;; amdgpu-corpus repo=ROCm/rocThrust kind=compiled arch=gfx1030 opt=O3
	.amdgcn_target "amdgcn-amd-amdhsa--gfx1030"
	.amdhsa_code_object_version 6
	.text
	.protected	_Z24InclusiveScanByKeyKerneliPiS_S_ ; -- Begin function _Z24InclusiveScanByKeyKerneliPiS_S_
	.globl	_Z24InclusiveScanByKeyKerneliPiS_S_
	.p2align	8
	.type	_Z24InclusiveScanByKeyKerneliPiS_S_,@function
_Z24InclusiveScanByKeyKerneliPiS_S_:    ; @_Z24InclusiveScanByKeyKerneliPiS_S_
; %bb.0:
	s_mov_b32 s0, exec_lo
	v_cmpx_eq_u32_e32 0, v0
	s_cbranch_execz .LBB0_5
; %bb.1:
	s_load_dword s6, s[4:5], 0x0
	s_waitcnt lgkmcnt(0)
	s_cmp_eq_u32 s6, 0
	s_cbranch_scc1 .LBB0_5
; %bb.2:
	s_clause 0x1
	s_load_dwordx4 s[0:3], s[4:5], 0x8
	s_load_dwordx2 s[4:5], s[4:5], 0x18
	v_mov_b32_e32 v0, 0
	s_cmp_eq_u32 s6, 1
	s_waitcnt lgkmcnt(0)
	s_load_dword s8, s[0:1], 0x0
	s_load_dword s9, s[2:3], 0x0
	s_waitcnt lgkmcnt(0)
	v_mov_b32_e32 v1, s8
	global_store_dword v0, v1, s[4:5]
	s_cbranch_scc1 .LBB0_5
; %bb.3:
	s_ashr_i32 s7, s6, 31
	v_mov_b32_e32 v2, s9
	s_lshl_b64 s[6:7], s[6:7], 2
	s_add_u32 s2, s2, 4
	s_addc_u32 s3, s3, 0
	s_add_u32 s4, s4, 4
	s_addc_u32 s5, s5, 0
	s_add_u32 s0, s0, 4
	v_mov_b32_e32 v1, s8
	s_addc_u32 s1, s1, 0
	s_add_u32 s6, s6, -4
	s_addc_u32 s7, s7, -1
	.p2align	6
.LBB0_4:                                ; =>This Inner Loop Header: Depth=1
	s_clause 0x1
	global_load_dword v3, v0, s[2:3]
	global_load_dword v4, v0, s[0:1]
	s_add_u32 s2, s2, 4
	s_addc_u32 s3, s3, 0
	s_waitcnt vmcnt(1)
	v_cmp_eq_u32_e32 vcc_lo, v2, v3
	v_mov_b32_e32 v2, v3
	v_cndmask_b32_e32 v1, 0, v1, vcc_lo
	s_waitcnt vmcnt(0)
	v_add_nc_u32_e32 v1, v1, v4
	global_store_dword v0, v1, s[4:5]
	s_add_u32 s4, s4, 4
	s_addc_u32 s5, s5, 0
	s_add_u32 s0, s0, 4
	s_addc_u32 s1, s1, 0
	s_add_u32 s6, s6, -4
	s_addc_u32 s7, s7, -1
	s_cmp_lg_u64 s[6:7], 0
	s_cbranch_scc1 .LBB0_4
.LBB0_5:
	s_endpgm
	.section	.rodata,"a",@progbits
	.p2align	6, 0x0
	.amdhsa_kernel _Z24InclusiveScanByKeyKerneliPiS_S_
		.amdhsa_group_segment_fixed_size 0
		.amdhsa_private_segment_fixed_size 0
		.amdhsa_kernarg_size 32
		.amdhsa_user_sgpr_count 6
		.amdhsa_user_sgpr_private_segment_buffer 1
		.amdhsa_user_sgpr_dispatch_ptr 0
		.amdhsa_user_sgpr_queue_ptr 0
		.amdhsa_user_sgpr_kernarg_segment_ptr 1
		.amdhsa_user_sgpr_dispatch_id 0
		.amdhsa_user_sgpr_flat_scratch_init 0
		.amdhsa_user_sgpr_private_segment_size 0
		.amdhsa_wavefront_size32 1
		.amdhsa_uses_dynamic_stack 0
		.amdhsa_system_sgpr_private_segment_wavefront_offset 0
		.amdhsa_system_sgpr_workgroup_id_x 1
		.amdhsa_system_sgpr_workgroup_id_y 0
		.amdhsa_system_sgpr_workgroup_id_z 0
		.amdhsa_system_sgpr_workgroup_info 0
		.amdhsa_system_vgpr_workitem_id 0
		.amdhsa_next_free_vgpr 5
		.amdhsa_next_free_sgpr 10
		.amdhsa_reserve_vcc 1
		.amdhsa_reserve_flat_scratch 0
		.amdhsa_float_round_mode_32 0
		.amdhsa_float_round_mode_16_64 0
		.amdhsa_float_denorm_mode_32 3
		.amdhsa_float_denorm_mode_16_64 3
		.amdhsa_dx10_clamp 1
		.amdhsa_ieee_mode 1
		.amdhsa_fp16_overflow 0
		.amdhsa_workgroup_processor_mode 1
		.amdhsa_memory_ordered 1
		.amdhsa_forward_progress 1
		.amdhsa_shared_vgpr_count 0
		.amdhsa_exception_fp_ieee_invalid_op 0
		.amdhsa_exception_fp_denorm_src 0
		.amdhsa_exception_fp_ieee_div_zero 0
		.amdhsa_exception_fp_ieee_overflow 0
		.amdhsa_exception_fp_ieee_underflow 0
		.amdhsa_exception_fp_ieee_inexact 0
		.amdhsa_exception_int_div_zero 0
	.end_amdhsa_kernel
	.text
.Lfunc_end0:
	.size	_Z24InclusiveScanByKeyKerneliPiS_S_, .Lfunc_end0-_Z24InclusiveScanByKeyKerneliPiS_S_
                                        ; -- End function
	.set _Z24InclusiveScanByKeyKerneliPiS_S_.num_vgpr, 5
	.set _Z24InclusiveScanByKeyKerneliPiS_S_.num_agpr, 0
	.set _Z24InclusiveScanByKeyKerneliPiS_S_.numbered_sgpr, 10
	.set _Z24InclusiveScanByKeyKerneliPiS_S_.num_named_barrier, 0
	.set _Z24InclusiveScanByKeyKerneliPiS_S_.private_seg_size, 0
	.set _Z24InclusiveScanByKeyKerneliPiS_S_.uses_vcc, 1
	.set _Z24InclusiveScanByKeyKerneliPiS_S_.uses_flat_scratch, 0
	.set _Z24InclusiveScanByKeyKerneliPiS_S_.has_dyn_sized_stack, 0
	.set _Z24InclusiveScanByKeyKerneliPiS_S_.has_recursion, 0
	.set _Z24InclusiveScanByKeyKerneliPiS_S_.has_indirect_call, 0
	.section	.AMDGPU.csdata,"",@progbits
; Kernel info:
; codeLenInByte = 288
; TotalNumSgprs: 12
; NumVgprs: 5
; ScratchSize: 0
; MemoryBound: 0
; FloatMode: 240
; IeeeMode: 1
; LDSByteSize: 0 bytes/workgroup (compile time only)
; SGPRBlocks: 0
; VGPRBlocks: 0
; NumSGPRsForWavesPerEU: 12
; NumVGPRsForWavesPerEU: 5
; Occupancy: 16
; WaveLimiterHint : 0
; COMPUTE_PGM_RSRC2:SCRATCH_EN: 0
; COMPUTE_PGM_RSRC2:USER_SGPR: 6
; COMPUTE_PGM_RSRC2:TRAP_HANDLER: 0
; COMPUTE_PGM_RSRC2:TGID_X_EN: 1
; COMPUTE_PGM_RSRC2:TGID_Y_EN: 0
; COMPUTE_PGM_RSRC2:TGID_Z_EN: 0
; COMPUTE_PGM_RSRC2:TIDIG_COMP_CNT: 0
	.text
	.protected	_Z24ExclusiveScanByKeyKerneliPiS_S_ ; -- Begin function _Z24ExclusiveScanByKeyKerneliPiS_S_
	.globl	_Z24ExclusiveScanByKeyKerneliPiS_S_
	.p2align	8
	.type	_Z24ExclusiveScanByKeyKerneliPiS_S_,@function
_Z24ExclusiveScanByKeyKerneliPiS_S_:    ; @_Z24ExclusiveScanByKeyKerneliPiS_S_
; %bb.0:
	s_mov_b32 s0, exec_lo
	v_cmpx_eq_u32_e32 0, v0
	s_cbranch_execz .LBB1_5
; %bb.1:
	s_load_dword s6, s[4:5], 0x0
	s_waitcnt lgkmcnt(0)
	s_cmp_eq_u32 s6, 0
	s_cbranch_scc1 .LBB1_5
; %bb.2:
	s_clause 0x1
	s_load_dwordx4 s[0:3], s[4:5], 0x8
	s_load_dwordx2 s[4:5], s[4:5], 0x18
	v_mov_b32_e32 v0, 0
	s_cmp_eq_u32 s6, 1
	s_waitcnt lgkmcnt(0)
	s_load_dword s9, s[2:3], 0x0
	s_load_dword s8, s[0:1], 0x0
	global_store_dword v0, v0, s[4:5]
	s_cbranch_scc1 .LBB1_5
; %bb.3:
	s_ashr_i32 s7, s6, 31
	s_waitcnt lgkmcnt(0)
	v_mov_b32_e32 v1, s9
	s_lshl_b64 s[6:7], s[6:7], 2
	s_add_u32 s2, s2, 4
	s_addc_u32 s3, s3, 0
	s_add_u32 s4, s4, 4
	s_addc_u32 s5, s5, 0
	s_add_u32 s6, s6, -4
	v_mov_b32_e32 v2, s8
	s_addc_u32 s7, s7, -1
	s_add_u32 s0, s0, 4
	s_addc_u32 s1, s1, 0
	.p2align	6
.LBB1_4:                                ; =>This Inner Loop Header: Depth=1
	s_clause 0x1
	global_load_dword v3, v0, s[2:3]
	global_load_dword v4, v0, s[0:1]
	s_add_u32 s2, s2, 4
	s_addc_u32 s3, s3, 0
	s_waitcnt vmcnt(1)
	v_cmp_eq_u32_e32 vcc_lo, v1, v3
	v_mov_b32_e32 v1, v3
	v_cndmask_b32_e32 v2, 0, v2, vcc_lo
	global_store_dword v0, v2, s[4:5]
	s_add_u32 s4, s4, 4
	s_addc_u32 s5, s5, 0
	s_add_u32 s6, s6, -4
	s_waitcnt vmcnt(0)
	v_add_nc_u32_e32 v2, v2, v4
	s_addc_u32 s7, s7, -1
	s_add_u32 s0, s0, 4
	s_addc_u32 s1, s1, 0
	s_cmp_lg_u64 s[6:7], 0
	s_cbranch_scc1 .LBB1_4
.LBB1_5:
	s_endpgm
	.section	.rodata,"a",@progbits
	.p2align	6, 0x0
	.amdhsa_kernel _Z24ExclusiveScanByKeyKerneliPiS_S_
		.amdhsa_group_segment_fixed_size 0
		.amdhsa_private_segment_fixed_size 0
		.amdhsa_kernarg_size 32
		.amdhsa_user_sgpr_count 6
		.amdhsa_user_sgpr_private_segment_buffer 1
		.amdhsa_user_sgpr_dispatch_ptr 0
		.amdhsa_user_sgpr_queue_ptr 0
		.amdhsa_user_sgpr_kernarg_segment_ptr 1
		.amdhsa_user_sgpr_dispatch_id 0
		.amdhsa_user_sgpr_flat_scratch_init 0
		.amdhsa_user_sgpr_private_segment_size 0
		.amdhsa_wavefront_size32 1
		.amdhsa_uses_dynamic_stack 0
		.amdhsa_system_sgpr_private_segment_wavefront_offset 0
		.amdhsa_system_sgpr_workgroup_id_x 1
		.amdhsa_system_sgpr_workgroup_id_y 0
		.amdhsa_system_sgpr_workgroup_id_z 0
		.amdhsa_system_sgpr_workgroup_info 0
		.amdhsa_system_vgpr_workitem_id 0
		.amdhsa_next_free_vgpr 5
		.amdhsa_next_free_sgpr 10
		.amdhsa_reserve_vcc 1
		.amdhsa_reserve_flat_scratch 0
		.amdhsa_float_round_mode_32 0
		.amdhsa_float_round_mode_16_64 0
		.amdhsa_float_denorm_mode_32 3
		.amdhsa_float_denorm_mode_16_64 3
		.amdhsa_dx10_clamp 1
		.amdhsa_ieee_mode 1
		.amdhsa_fp16_overflow 0
		.amdhsa_workgroup_processor_mode 1
		.amdhsa_memory_ordered 1
		.amdhsa_forward_progress 1
		.amdhsa_shared_vgpr_count 0
		.amdhsa_exception_fp_ieee_invalid_op 0
		.amdhsa_exception_fp_denorm_src 0
		.amdhsa_exception_fp_ieee_div_zero 0
		.amdhsa_exception_fp_ieee_overflow 0
		.amdhsa_exception_fp_ieee_underflow 0
		.amdhsa_exception_fp_ieee_inexact 0
		.amdhsa_exception_int_div_zero 0
	.end_amdhsa_kernel
	.text
.Lfunc_end1:
	.size	_Z24ExclusiveScanByKeyKerneliPiS_S_, .Lfunc_end1-_Z24ExclusiveScanByKeyKerneliPiS_S_
                                        ; -- End function
	.set _Z24ExclusiveScanByKeyKerneliPiS_S_.num_vgpr, 5
	.set _Z24ExclusiveScanByKeyKerneliPiS_S_.num_agpr, 0
	.set _Z24ExclusiveScanByKeyKerneliPiS_S_.numbered_sgpr, 10
	.set _Z24ExclusiveScanByKeyKerneliPiS_S_.num_named_barrier, 0
	.set _Z24ExclusiveScanByKeyKerneliPiS_S_.private_seg_size, 0
	.set _Z24ExclusiveScanByKeyKerneliPiS_S_.uses_vcc, 1
	.set _Z24ExclusiveScanByKeyKerneliPiS_S_.uses_flat_scratch, 0
	.set _Z24ExclusiveScanByKeyKerneliPiS_S_.has_dyn_sized_stack, 0
	.set _Z24ExclusiveScanByKeyKerneliPiS_S_.has_recursion, 0
	.set _Z24ExclusiveScanByKeyKerneliPiS_S_.has_indirect_call, 0
	.section	.AMDGPU.csdata,"",@progbits
; Kernel info:
; codeLenInByte = 288
; TotalNumSgprs: 12
; NumVgprs: 5
; ScratchSize: 0
; MemoryBound: 0
; FloatMode: 240
; IeeeMode: 1
; LDSByteSize: 0 bytes/workgroup (compile time only)
; SGPRBlocks: 0
; VGPRBlocks: 0
; NumSGPRsForWavesPerEU: 12
; NumVGPRsForWavesPerEU: 5
; Occupancy: 16
; WaveLimiterHint : 0
; COMPUTE_PGM_RSRC2:SCRATCH_EN: 0
; COMPUTE_PGM_RSRC2:USER_SGPR: 6
; COMPUTE_PGM_RSRC2:TRAP_HANDLER: 0
; COMPUTE_PGM_RSRC2:TGID_X_EN: 1
; COMPUTE_PGM_RSRC2:TGID_Y_EN: 0
; COMPUTE_PGM_RSRC2:TGID_Z_EN: 0
; COMPUTE_PGM_RSRC2:TIDIG_COMP_CNT: 0
	.section	.text._ZN6thrust23THRUST_200600_302600_NS11hip_rocprim14__parallel_for6kernelILj256ENS1_20__uninitialized_fill7functorINS0_10device_ptrIxEExEEmLj1EEEvT0_T1_SA_,"axG",@progbits,_ZN6thrust23THRUST_200600_302600_NS11hip_rocprim14__parallel_for6kernelILj256ENS1_20__uninitialized_fill7functorINS0_10device_ptrIxEExEEmLj1EEEvT0_T1_SA_,comdat
	.protected	_ZN6thrust23THRUST_200600_302600_NS11hip_rocprim14__parallel_for6kernelILj256ENS1_20__uninitialized_fill7functorINS0_10device_ptrIxEExEEmLj1EEEvT0_T1_SA_ ; -- Begin function _ZN6thrust23THRUST_200600_302600_NS11hip_rocprim14__parallel_for6kernelILj256ENS1_20__uninitialized_fill7functorINS0_10device_ptrIxEExEEmLj1EEEvT0_T1_SA_
	.globl	_ZN6thrust23THRUST_200600_302600_NS11hip_rocprim14__parallel_for6kernelILj256ENS1_20__uninitialized_fill7functorINS0_10device_ptrIxEExEEmLj1EEEvT0_T1_SA_
	.p2align	8
	.type	_ZN6thrust23THRUST_200600_302600_NS11hip_rocprim14__parallel_for6kernelILj256ENS1_20__uninitialized_fill7functorINS0_10device_ptrIxEExEEmLj1EEEvT0_T1_SA_,@function
_ZN6thrust23THRUST_200600_302600_NS11hip_rocprim14__parallel_for6kernelILj256ENS1_20__uninitialized_fill7functorINS0_10device_ptrIxEExEEmLj1EEEvT0_T1_SA_: ; @_ZN6thrust23THRUST_200600_302600_NS11hip_rocprim14__parallel_for6kernelILj256ENS1_20__uninitialized_fill7functorINS0_10device_ptrIxEExEEmLj1EEEvT0_T1_SA_
; %bb.0:
	s_load_dwordx8 s[8:15], s[4:5], 0x0
	s_lshl_b32 s0, s6, 8
	s_waitcnt lgkmcnt(0)
	s_add_u32 s0, s14, s0
	s_addc_u32 s1, s15, 0
	s_sub_u32 s2, s12, s0
	s_subb_u32 s3, s13, s1
	v_cmp_lt_u64_e64 s3, 0xff, s[2:3]
	s_and_b32 vcc_lo, exec_lo, s3
	s_mov_b32 s3, -1
	s_cbranch_vccz .LBB2_3
; %bb.1:
	s_andn2_b32 vcc_lo, exec_lo, s3
	s_cbranch_vccz .LBB2_6
.LBB2_2:
	s_endpgm
.LBB2_3:
	v_cmp_gt_u32_e32 vcc_lo, s2, v0
	s_and_saveexec_b32 s2, vcc_lo
	s_cbranch_execz .LBB2_5
; %bb.4:
	v_lshlrev_b32_e32 v1, 3, v0
	s_lshl_b64 s[4:5], s[0:1], 3
	v_mov_b32_e32 v3, s10
	s_add_u32 s3, s8, s4
	s_addc_u32 s4, s9, s5
	v_add_co_u32 v1, s3, s3, v1
	v_add_co_ci_u32_e64 v2, null, s4, 0, s3
	v_mov_b32_e32 v4, s11
	flat_store_dwordx2 v[1:2], v[3:4]
.LBB2_5:
	s_or_b32 exec_lo, exec_lo, s2
	s_cbranch_execnz .LBB2_2
.LBB2_6:
	v_lshlrev_b32_e32 v0, 3, v0
	s_lshl_b64 s[0:1], s[0:1], 3
	v_mov_b32_e32 v2, s10
	s_add_u32 s0, s8, s0
	s_addc_u32 s1, s9, s1
	v_add_co_u32 v0, s0, s0, v0
	v_add_co_ci_u32_e64 v1, null, s1, 0, s0
	v_mov_b32_e32 v3, s11
	flat_store_dwordx2 v[0:1], v[2:3]
	s_endpgm
	.section	.rodata,"a",@progbits
	.p2align	6, 0x0
	.amdhsa_kernel _ZN6thrust23THRUST_200600_302600_NS11hip_rocprim14__parallel_for6kernelILj256ENS1_20__uninitialized_fill7functorINS0_10device_ptrIxEExEEmLj1EEEvT0_T1_SA_
		.amdhsa_group_segment_fixed_size 0
		.amdhsa_private_segment_fixed_size 0
		.amdhsa_kernarg_size 32
		.amdhsa_user_sgpr_count 6
		.amdhsa_user_sgpr_private_segment_buffer 1
		.amdhsa_user_sgpr_dispatch_ptr 0
		.amdhsa_user_sgpr_queue_ptr 0
		.amdhsa_user_sgpr_kernarg_segment_ptr 1
		.amdhsa_user_sgpr_dispatch_id 0
		.amdhsa_user_sgpr_flat_scratch_init 0
		.amdhsa_user_sgpr_private_segment_size 0
		.amdhsa_wavefront_size32 1
		.amdhsa_uses_dynamic_stack 0
		.amdhsa_system_sgpr_private_segment_wavefront_offset 0
		.amdhsa_system_sgpr_workgroup_id_x 1
		.amdhsa_system_sgpr_workgroup_id_y 0
		.amdhsa_system_sgpr_workgroup_id_z 0
		.amdhsa_system_sgpr_workgroup_info 0
		.amdhsa_system_vgpr_workitem_id 0
		.amdhsa_next_free_vgpr 5
		.amdhsa_next_free_sgpr 16
		.amdhsa_reserve_vcc 1
		.amdhsa_reserve_flat_scratch 0
		.amdhsa_float_round_mode_32 0
		.amdhsa_float_round_mode_16_64 0
		.amdhsa_float_denorm_mode_32 3
		.amdhsa_float_denorm_mode_16_64 3
		.amdhsa_dx10_clamp 1
		.amdhsa_ieee_mode 1
		.amdhsa_fp16_overflow 0
		.amdhsa_workgroup_processor_mode 1
		.amdhsa_memory_ordered 1
		.amdhsa_forward_progress 1
		.amdhsa_shared_vgpr_count 0
		.amdhsa_exception_fp_ieee_invalid_op 0
		.amdhsa_exception_fp_denorm_src 0
		.amdhsa_exception_fp_ieee_div_zero 0
		.amdhsa_exception_fp_ieee_overflow 0
		.amdhsa_exception_fp_ieee_underflow 0
		.amdhsa_exception_fp_ieee_inexact 0
		.amdhsa_exception_int_div_zero 0
	.end_amdhsa_kernel
	.section	.text._ZN6thrust23THRUST_200600_302600_NS11hip_rocprim14__parallel_for6kernelILj256ENS1_20__uninitialized_fill7functorINS0_10device_ptrIxEExEEmLj1EEEvT0_T1_SA_,"axG",@progbits,_ZN6thrust23THRUST_200600_302600_NS11hip_rocprim14__parallel_for6kernelILj256ENS1_20__uninitialized_fill7functorINS0_10device_ptrIxEExEEmLj1EEEvT0_T1_SA_,comdat
.Lfunc_end2:
	.size	_ZN6thrust23THRUST_200600_302600_NS11hip_rocprim14__parallel_for6kernelILj256ENS1_20__uninitialized_fill7functorINS0_10device_ptrIxEExEEmLj1EEEvT0_T1_SA_, .Lfunc_end2-_ZN6thrust23THRUST_200600_302600_NS11hip_rocprim14__parallel_for6kernelILj256ENS1_20__uninitialized_fill7functorINS0_10device_ptrIxEExEEmLj1EEEvT0_T1_SA_
                                        ; -- End function
	.set _ZN6thrust23THRUST_200600_302600_NS11hip_rocprim14__parallel_for6kernelILj256ENS1_20__uninitialized_fill7functorINS0_10device_ptrIxEExEEmLj1EEEvT0_T1_SA_.num_vgpr, 5
	.set _ZN6thrust23THRUST_200600_302600_NS11hip_rocprim14__parallel_for6kernelILj256ENS1_20__uninitialized_fill7functorINS0_10device_ptrIxEExEEmLj1EEEvT0_T1_SA_.num_agpr, 0
	.set _ZN6thrust23THRUST_200600_302600_NS11hip_rocprim14__parallel_for6kernelILj256ENS1_20__uninitialized_fill7functorINS0_10device_ptrIxEExEEmLj1EEEvT0_T1_SA_.numbered_sgpr, 16
	.set _ZN6thrust23THRUST_200600_302600_NS11hip_rocprim14__parallel_for6kernelILj256ENS1_20__uninitialized_fill7functorINS0_10device_ptrIxEExEEmLj1EEEvT0_T1_SA_.num_named_barrier, 0
	.set _ZN6thrust23THRUST_200600_302600_NS11hip_rocprim14__parallel_for6kernelILj256ENS1_20__uninitialized_fill7functorINS0_10device_ptrIxEExEEmLj1EEEvT0_T1_SA_.private_seg_size, 0
	.set _ZN6thrust23THRUST_200600_302600_NS11hip_rocprim14__parallel_for6kernelILj256ENS1_20__uninitialized_fill7functorINS0_10device_ptrIxEExEEmLj1EEEvT0_T1_SA_.uses_vcc, 1
	.set _ZN6thrust23THRUST_200600_302600_NS11hip_rocprim14__parallel_for6kernelILj256ENS1_20__uninitialized_fill7functorINS0_10device_ptrIxEExEEmLj1EEEvT0_T1_SA_.uses_flat_scratch, 0
	.set _ZN6thrust23THRUST_200600_302600_NS11hip_rocprim14__parallel_for6kernelILj256ENS1_20__uninitialized_fill7functorINS0_10device_ptrIxEExEEmLj1EEEvT0_T1_SA_.has_dyn_sized_stack, 0
	.set _ZN6thrust23THRUST_200600_302600_NS11hip_rocprim14__parallel_for6kernelILj256ENS1_20__uninitialized_fill7functorINS0_10device_ptrIxEExEEmLj1EEEvT0_T1_SA_.has_recursion, 0
	.set _ZN6thrust23THRUST_200600_302600_NS11hip_rocprim14__parallel_for6kernelILj256ENS1_20__uninitialized_fill7functorINS0_10device_ptrIxEExEEmLj1EEEvT0_T1_SA_.has_indirect_call, 0
	.section	.AMDGPU.csdata,"",@progbits
; Kernel info:
; codeLenInByte = 188
; TotalNumSgprs: 18
; NumVgprs: 5
; ScratchSize: 0
; MemoryBound: 0
; FloatMode: 240
; IeeeMode: 1
; LDSByteSize: 0 bytes/workgroup (compile time only)
; SGPRBlocks: 0
; VGPRBlocks: 0
; NumSGPRsForWavesPerEU: 18
; NumVGPRsForWavesPerEU: 5
; Occupancy: 16
; WaveLimiterHint : 0
; COMPUTE_PGM_RSRC2:SCRATCH_EN: 0
; COMPUTE_PGM_RSRC2:USER_SGPR: 6
; COMPUTE_PGM_RSRC2:TRAP_HANDLER: 0
; COMPUTE_PGM_RSRC2:TGID_X_EN: 1
; COMPUTE_PGM_RSRC2:TGID_Y_EN: 0
; COMPUTE_PGM_RSRC2:TGID_Z_EN: 0
; COMPUTE_PGM_RSRC2:TIDIG_COMP_CNT: 0
	.section	.text._ZN7rocprim17ROCPRIM_400000_NS6detail30init_device_scan_by_key_kernelINS1_19lookback_scan_stateINS0_5tupleIJxbEEELb0ELb0EEEN6thrust23THRUST_200600_302600_NS6detail15normal_iteratorINS8_10device_ptrIxEEEEjNS1_16block_id_wrapperIjLb0EEEEEvT_jjPNSG_10value_typeET0_PNSt15iterator_traitsISJ_E10value_typeEmT1_T2_,"axG",@progbits,_ZN7rocprim17ROCPRIM_400000_NS6detail30init_device_scan_by_key_kernelINS1_19lookback_scan_stateINS0_5tupleIJxbEEELb0ELb0EEEN6thrust23THRUST_200600_302600_NS6detail15normal_iteratorINS8_10device_ptrIxEEEEjNS1_16block_id_wrapperIjLb0EEEEEvT_jjPNSG_10value_typeET0_PNSt15iterator_traitsISJ_E10value_typeEmT1_T2_,comdat
	.protected	_ZN7rocprim17ROCPRIM_400000_NS6detail30init_device_scan_by_key_kernelINS1_19lookback_scan_stateINS0_5tupleIJxbEEELb0ELb0EEEN6thrust23THRUST_200600_302600_NS6detail15normal_iteratorINS8_10device_ptrIxEEEEjNS1_16block_id_wrapperIjLb0EEEEEvT_jjPNSG_10value_typeET0_PNSt15iterator_traitsISJ_E10value_typeEmT1_T2_ ; -- Begin function _ZN7rocprim17ROCPRIM_400000_NS6detail30init_device_scan_by_key_kernelINS1_19lookback_scan_stateINS0_5tupleIJxbEEELb0ELb0EEEN6thrust23THRUST_200600_302600_NS6detail15normal_iteratorINS8_10device_ptrIxEEEEjNS1_16block_id_wrapperIjLb0EEEEEvT_jjPNSG_10value_typeET0_PNSt15iterator_traitsISJ_E10value_typeEmT1_T2_
	.globl	_ZN7rocprim17ROCPRIM_400000_NS6detail30init_device_scan_by_key_kernelINS1_19lookback_scan_stateINS0_5tupleIJxbEEELb0ELb0EEEN6thrust23THRUST_200600_302600_NS6detail15normal_iteratorINS8_10device_ptrIxEEEEjNS1_16block_id_wrapperIjLb0EEEEEvT_jjPNSG_10value_typeET0_PNSt15iterator_traitsISJ_E10value_typeEmT1_T2_
	.p2align	8
	.type	_ZN7rocprim17ROCPRIM_400000_NS6detail30init_device_scan_by_key_kernelINS1_19lookback_scan_stateINS0_5tupleIJxbEEELb0ELb0EEEN6thrust23THRUST_200600_302600_NS6detail15normal_iteratorINS8_10device_ptrIxEEEEjNS1_16block_id_wrapperIjLb0EEEEEvT_jjPNSG_10value_typeET0_PNSt15iterator_traitsISJ_E10value_typeEmT1_T2_,@function
_ZN7rocprim17ROCPRIM_400000_NS6detail30init_device_scan_by_key_kernelINS1_19lookback_scan_stateINS0_5tupleIJxbEEELb0ELb0EEEN6thrust23THRUST_200600_302600_NS6detail15normal_iteratorINS8_10device_ptrIxEEEEjNS1_16block_id_wrapperIjLb0EEEEEvT_jjPNSG_10value_typeET0_PNSt15iterator_traitsISJ_E10value_typeEmT1_T2_: ; @_ZN7rocprim17ROCPRIM_400000_NS6detail30init_device_scan_by_key_kernelINS1_19lookback_scan_stateINS0_5tupleIJxbEEELb0ELb0EEEN6thrust23THRUST_200600_302600_NS6detail15normal_iteratorINS8_10device_ptrIxEEEEjNS1_16block_id_wrapperIjLb0EEEEEvT_jjPNSG_10value_typeET0_PNSt15iterator_traitsISJ_E10value_typeEmT1_T2_
; %bb.0:
	s_clause 0x2
	s_load_dword s0, s[4:5], 0x54
	s_load_dwordx8 s[8:15], s[4:5], 0x10
	s_load_dword s18, s[4:5], 0x48
	s_waitcnt lgkmcnt(0)
	s_and_b32 s19, s0, 0xffff
	s_cmp_eq_u64 s[12:13], 0
	v_mad_u64_u32 v[0:1], null, s6, s19, v[0:1]
	s_cbranch_scc1 .LBB3_6
; %bb.1:
	s_cmp_lt_u32 s11, s10
	s_mov_b32 s7, 0
	s_cselect_b32 s0, s11, 0
	s_mov_b32 s20, exec_lo
	v_cmpx_eq_u32_e64 s0, v0
	s_cbranch_execz .LBB3_5
; %bb.2:
	s_add_i32 s6, s11, 32
	s_load_dwordx4 s[0:3], s[4:5], 0x0
	v_mov_b32_e32 v1, s6
	s_add_u32 s16, s8, s6
	s_addc_u32 s17, s9, 0
	global_load_ubyte v2, v1, s[8:9] glc dlc
	v_mov_b32_e32 v1, 0
	s_waitcnt vmcnt(0)
	v_cmp_ne_u32_sdwa s21, v2, v1 src0_sel:WORD_0 src1_sel:DWORD
	v_readfirstlane_b32 s11, v2
	s_and_b32 vcc_lo, exec_lo, s21
	s_cbranch_vccnz .LBB3_4
.LBB3_3:                                ; =>This Inner Loop Header: Depth=1
	global_load_ubyte v2, v1, s[16:17] glc dlc
	s_waitcnt vmcnt(0)
	v_cmp_eq_u32_sdwa s21, v2, v1 src0_sel:WORD_0 src1_sel:DWORD
	v_readfirstlane_b32 s11, v2
	s_and_b32 vcc_lo, exec_lo, s21
	s_cbranch_vccnz .LBB3_3
.LBB3_4:
	s_and_b32 s11, 0xffff, s11
	v_mov_b32_e32 v3, 0
	s_cmp_eq_u32 s11, 1
	s_waitcnt lgkmcnt(0)
	buffer_gl1_inv
	buffer_gl0_inv
	s_cselect_b32 s3, s1, s3
	s_cselect_b32 s2, s0, s2
	s_lshl_b64 s[0:1], s[6:7], 4
	s_add_u32 s0, s2, s0
	s_addc_u32 s1, s3, s1
	s_clause 0x1
	global_load_dwordx2 v[1:2], v3, s[0:1]
	global_load_ubyte v4, v3, s[0:1] offset:8
	s_waitcnt vmcnt(1)
	global_store_dwordx2 v3, v[1:2], s[12:13]
	s_waitcnt vmcnt(0)
	global_store_byte v3, v4, s[12:13] offset:8
.LBB3_5:
	s_or_b32 exec_lo, exec_lo, s20
.LBB3_6:
	s_mov_b32 s0, exec_lo
	v_cmpx_gt_u32_e64 s10, v0
	s_cbranch_execz .LBB3_8
; %bb.7:
	v_add_nc_u32_e32 v1, 32, v0
	v_mov_b32_e32 v2, 0
	global_store_byte v1, v2, s[8:9]
.LBB3_8:
	s_or_b32 exec_lo, exec_lo, s0
	v_mov_b32_e32 v1, 0
	s_mov_b32 s0, exec_lo
	v_cmpx_gt_u32_e32 32, v0
	s_cbranch_execz .LBB3_10
; %bb.9:
	v_add_co_u32 v2, s1, s8, v0
	v_add_co_ci_u32_e64 v3, null, s9, 0, s1
	v_mov_b32_e32 v4, 0xff
	global_store_byte v[2:3], v4, off
.LBB3_10:
	s_or_b32 exec_lo, exec_lo, s0
	s_load_dwordx2 s[2:3], s[4:5], 0x38
	s_mov_b32 s0, exec_lo
	s_waitcnt lgkmcnt(0)
	v_cmpx_gt_u64_e64 s[2:3], v[0:1]
	s_cbranch_execz .LBB3_13
; %bb.11:
	s_clause 0x1
	s_load_dword s8, s[4:5], 0x40
	s_load_dwordx2 s[6:7], s[4:5], 0x30
	s_mov_b32 s1, 0
	v_lshlrev_b64 v[4:5], 3, v[0:1]
	s_mul_i32 s4, s18, s19
	s_waitcnt lgkmcnt(0)
	v_mad_u64_u32 v[2:3], null, s8, v0, 0
	s_add_i32 s0, s8, -1
	s_mul_hi_u32 s9, s8, s4
	s_lshl_b64 s[10:11], s[0:1], 3
	s_mul_i32 s8, s8, s4
	s_add_u32 s0, s14, s10
	s_addc_u32 s5, s15, s11
	v_lshlrev_b64 v[2:3], 3, v[2:3]
	v_add_co_u32 v2, vcc_lo, s0, v2
	v_add_co_ci_u32_e64 v3, null, s5, v3, vcc_lo
	v_add_co_u32 v4, vcc_lo, s6, v4
	v_add_co_ci_u32_e64 v5, null, s7, v5, vcc_lo
	s_mov_b32 s5, s1
	s_lshl_b64 s[6:7], s[8:9], 3
	s_lshl_b64 s[8:9], s[4:5], 3
	.p2align	6
.LBB3_12:                               ; =>This Inner Loop Header: Depth=1
	global_load_dwordx2 v[6:7], v[2:3], off
	v_add_co_u32 v0, vcc_lo, v0, s4
	v_add_co_ci_u32_e64 v1, null, 0, v1, vcc_lo
	v_add_co_u32 v2, vcc_lo, v2, s6
	v_add_co_ci_u32_e64 v3, null, s7, v3, vcc_lo
	v_cmp_le_u64_e32 vcc_lo, s[2:3], v[0:1]
	s_or_b32 s1, vcc_lo, s1
	s_waitcnt vmcnt(0)
	global_store_dwordx2 v[4:5], v[6:7], off
	v_add_co_u32 v4, s0, v4, s8
	v_add_co_ci_u32_e64 v5, null, s9, v5, s0
	s_andn2_b32 exec_lo, exec_lo, s1
	s_cbranch_execnz .LBB3_12
.LBB3_13:
	s_endpgm
	.section	.rodata,"a",@progbits
	.p2align	6, 0x0
	.amdhsa_kernel _ZN7rocprim17ROCPRIM_400000_NS6detail30init_device_scan_by_key_kernelINS1_19lookback_scan_stateINS0_5tupleIJxbEEELb0ELb0EEEN6thrust23THRUST_200600_302600_NS6detail15normal_iteratorINS8_10device_ptrIxEEEEjNS1_16block_id_wrapperIjLb0EEEEEvT_jjPNSG_10value_typeET0_PNSt15iterator_traitsISJ_E10value_typeEmT1_T2_
		.amdhsa_group_segment_fixed_size 0
		.amdhsa_private_segment_fixed_size 0
		.amdhsa_kernarg_size 328
		.amdhsa_user_sgpr_count 6
		.amdhsa_user_sgpr_private_segment_buffer 1
		.amdhsa_user_sgpr_dispatch_ptr 0
		.amdhsa_user_sgpr_queue_ptr 0
		.amdhsa_user_sgpr_kernarg_segment_ptr 1
		.amdhsa_user_sgpr_dispatch_id 0
		.amdhsa_user_sgpr_flat_scratch_init 0
		.amdhsa_user_sgpr_private_segment_size 0
		.amdhsa_wavefront_size32 1
		.amdhsa_uses_dynamic_stack 0
		.amdhsa_system_sgpr_private_segment_wavefront_offset 0
		.amdhsa_system_sgpr_workgroup_id_x 1
		.amdhsa_system_sgpr_workgroup_id_y 0
		.amdhsa_system_sgpr_workgroup_id_z 0
		.amdhsa_system_sgpr_workgroup_info 0
		.amdhsa_system_vgpr_workitem_id 0
		.amdhsa_next_free_vgpr 8
		.amdhsa_next_free_sgpr 22
		.amdhsa_reserve_vcc 1
		.amdhsa_reserve_flat_scratch 0
		.amdhsa_float_round_mode_32 0
		.amdhsa_float_round_mode_16_64 0
		.amdhsa_float_denorm_mode_32 3
		.amdhsa_float_denorm_mode_16_64 3
		.amdhsa_dx10_clamp 1
		.amdhsa_ieee_mode 1
		.amdhsa_fp16_overflow 0
		.amdhsa_workgroup_processor_mode 1
		.amdhsa_memory_ordered 1
		.amdhsa_forward_progress 1
		.amdhsa_shared_vgpr_count 0
		.amdhsa_exception_fp_ieee_invalid_op 0
		.amdhsa_exception_fp_denorm_src 0
		.amdhsa_exception_fp_ieee_div_zero 0
		.amdhsa_exception_fp_ieee_overflow 0
		.amdhsa_exception_fp_ieee_underflow 0
		.amdhsa_exception_fp_ieee_inexact 0
		.amdhsa_exception_int_div_zero 0
	.end_amdhsa_kernel
	.section	.text._ZN7rocprim17ROCPRIM_400000_NS6detail30init_device_scan_by_key_kernelINS1_19lookback_scan_stateINS0_5tupleIJxbEEELb0ELb0EEEN6thrust23THRUST_200600_302600_NS6detail15normal_iteratorINS8_10device_ptrIxEEEEjNS1_16block_id_wrapperIjLb0EEEEEvT_jjPNSG_10value_typeET0_PNSt15iterator_traitsISJ_E10value_typeEmT1_T2_,"axG",@progbits,_ZN7rocprim17ROCPRIM_400000_NS6detail30init_device_scan_by_key_kernelINS1_19lookback_scan_stateINS0_5tupleIJxbEEELb0ELb0EEEN6thrust23THRUST_200600_302600_NS6detail15normal_iteratorINS8_10device_ptrIxEEEEjNS1_16block_id_wrapperIjLb0EEEEEvT_jjPNSG_10value_typeET0_PNSt15iterator_traitsISJ_E10value_typeEmT1_T2_,comdat
.Lfunc_end3:
	.size	_ZN7rocprim17ROCPRIM_400000_NS6detail30init_device_scan_by_key_kernelINS1_19lookback_scan_stateINS0_5tupleIJxbEEELb0ELb0EEEN6thrust23THRUST_200600_302600_NS6detail15normal_iteratorINS8_10device_ptrIxEEEEjNS1_16block_id_wrapperIjLb0EEEEEvT_jjPNSG_10value_typeET0_PNSt15iterator_traitsISJ_E10value_typeEmT1_T2_, .Lfunc_end3-_ZN7rocprim17ROCPRIM_400000_NS6detail30init_device_scan_by_key_kernelINS1_19lookback_scan_stateINS0_5tupleIJxbEEELb0ELb0EEEN6thrust23THRUST_200600_302600_NS6detail15normal_iteratorINS8_10device_ptrIxEEEEjNS1_16block_id_wrapperIjLb0EEEEEvT_jjPNSG_10value_typeET0_PNSt15iterator_traitsISJ_E10value_typeEmT1_T2_
                                        ; -- End function
	.set _ZN7rocprim17ROCPRIM_400000_NS6detail30init_device_scan_by_key_kernelINS1_19lookback_scan_stateINS0_5tupleIJxbEEELb0ELb0EEEN6thrust23THRUST_200600_302600_NS6detail15normal_iteratorINS8_10device_ptrIxEEEEjNS1_16block_id_wrapperIjLb0EEEEEvT_jjPNSG_10value_typeET0_PNSt15iterator_traitsISJ_E10value_typeEmT1_T2_.num_vgpr, 8
	.set _ZN7rocprim17ROCPRIM_400000_NS6detail30init_device_scan_by_key_kernelINS1_19lookback_scan_stateINS0_5tupleIJxbEEELb0ELb0EEEN6thrust23THRUST_200600_302600_NS6detail15normal_iteratorINS8_10device_ptrIxEEEEjNS1_16block_id_wrapperIjLb0EEEEEvT_jjPNSG_10value_typeET0_PNSt15iterator_traitsISJ_E10value_typeEmT1_T2_.num_agpr, 0
	.set _ZN7rocprim17ROCPRIM_400000_NS6detail30init_device_scan_by_key_kernelINS1_19lookback_scan_stateINS0_5tupleIJxbEEELb0ELb0EEEN6thrust23THRUST_200600_302600_NS6detail15normal_iteratorINS8_10device_ptrIxEEEEjNS1_16block_id_wrapperIjLb0EEEEEvT_jjPNSG_10value_typeET0_PNSt15iterator_traitsISJ_E10value_typeEmT1_T2_.numbered_sgpr, 22
	.set _ZN7rocprim17ROCPRIM_400000_NS6detail30init_device_scan_by_key_kernelINS1_19lookback_scan_stateINS0_5tupleIJxbEEELb0ELb0EEEN6thrust23THRUST_200600_302600_NS6detail15normal_iteratorINS8_10device_ptrIxEEEEjNS1_16block_id_wrapperIjLb0EEEEEvT_jjPNSG_10value_typeET0_PNSt15iterator_traitsISJ_E10value_typeEmT1_T2_.num_named_barrier, 0
	.set _ZN7rocprim17ROCPRIM_400000_NS6detail30init_device_scan_by_key_kernelINS1_19lookback_scan_stateINS0_5tupleIJxbEEELb0ELb0EEEN6thrust23THRUST_200600_302600_NS6detail15normal_iteratorINS8_10device_ptrIxEEEEjNS1_16block_id_wrapperIjLb0EEEEEvT_jjPNSG_10value_typeET0_PNSt15iterator_traitsISJ_E10value_typeEmT1_T2_.private_seg_size, 0
	.set _ZN7rocprim17ROCPRIM_400000_NS6detail30init_device_scan_by_key_kernelINS1_19lookback_scan_stateINS0_5tupleIJxbEEELb0ELb0EEEN6thrust23THRUST_200600_302600_NS6detail15normal_iteratorINS8_10device_ptrIxEEEEjNS1_16block_id_wrapperIjLb0EEEEEvT_jjPNSG_10value_typeET0_PNSt15iterator_traitsISJ_E10value_typeEmT1_T2_.uses_vcc, 1
	.set _ZN7rocprim17ROCPRIM_400000_NS6detail30init_device_scan_by_key_kernelINS1_19lookback_scan_stateINS0_5tupleIJxbEEELb0ELb0EEEN6thrust23THRUST_200600_302600_NS6detail15normal_iteratorINS8_10device_ptrIxEEEEjNS1_16block_id_wrapperIjLb0EEEEEvT_jjPNSG_10value_typeET0_PNSt15iterator_traitsISJ_E10value_typeEmT1_T2_.uses_flat_scratch, 0
	.set _ZN7rocprim17ROCPRIM_400000_NS6detail30init_device_scan_by_key_kernelINS1_19lookback_scan_stateINS0_5tupleIJxbEEELb0ELb0EEEN6thrust23THRUST_200600_302600_NS6detail15normal_iteratorINS8_10device_ptrIxEEEEjNS1_16block_id_wrapperIjLb0EEEEEvT_jjPNSG_10value_typeET0_PNSt15iterator_traitsISJ_E10value_typeEmT1_T2_.has_dyn_sized_stack, 0
	.set _ZN7rocprim17ROCPRIM_400000_NS6detail30init_device_scan_by_key_kernelINS1_19lookback_scan_stateINS0_5tupleIJxbEEELb0ELb0EEEN6thrust23THRUST_200600_302600_NS6detail15normal_iteratorINS8_10device_ptrIxEEEEjNS1_16block_id_wrapperIjLb0EEEEEvT_jjPNSG_10value_typeET0_PNSt15iterator_traitsISJ_E10value_typeEmT1_T2_.has_recursion, 0
	.set _ZN7rocprim17ROCPRIM_400000_NS6detail30init_device_scan_by_key_kernelINS1_19lookback_scan_stateINS0_5tupleIJxbEEELb0ELb0EEEN6thrust23THRUST_200600_302600_NS6detail15normal_iteratorINS8_10device_ptrIxEEEEjNS1_16block_id_wrapperIjLb0EEEEEvT_jjPNSG_10value_typeET0_PNSt15iterator_traitsISJ_E10value_typeEmT1_T2_.has_indirect_call, 0
	.section	.AMDGPU.csdata,"",@progbits
; Kernel info:
; codeLenInByte = 664
; TotalNumSgprs: 24
; NumVgprs: 8
; ScratchSize: 0
; MemoryBound: 0
; FloatMode: 240
; IeeeMode: 1
; LDSByteSize: 0 bytes/workgroup (compile time only)
; SGPRBlocks: 0
; VGPRBlocks: 0
; NumSGPRsForWavesPerEU: 24
; NumVGPRsForWavesPerEU: 8
; Occupancy: 16
; WaveLimiterHint : 0
; COMPUTE_PGM_RSRC2:SCRATCH_EN: 0
; COMPUTE_PGM_RSRC2:USER_SGPR: 6
; COMPUTE_PGM_RSRC2:TRAP_HANDLER: 0
; COMPUTE_PGM_RSRC2:TGID_X_EN: 1
; COMPUTE_PGM_RSRC2:TGID_Y_EN: 0
; COMPUTE_PGM_RSRC2:TGID_Z_EN: 0
; COMPUTE_PGM_RSRC2:TIDIG_COMP_CNT: 0
	.section	.text._ZN7rocprim17ROCPRIM_400000_NS6detail30init_device_scan_by_key_kernelINS1_19lookback_scan_stateINS0_5tupleIJxbEEELb0ELb0EEENS1_16block_id_wrapperIjLb0EEEEEvT_jjPNS9_10value_typeET0_,"axG",@progbits,_ZN7rocprim17ROCPRIM_400000_NS6detail30init_device_scan_by_key_kernelINS1_19lookback_scan_stateINS0_5tupleIJxbEEELb0ELb0EEENS1_16block_id_wrapperIjLb0EEEEEvT_jjPNS9_10value_typeET0_,comdat
	.protected	_ZN7rocprim17ROCPRIM_400000_NS6detail30init_device_scan_by_key_kernelINS1_19lookback_scan_stateINS0_5tupleIJxbEEELb0ELb0EEENS1_16block_id_wrapperIjLb0EEEEEvT_jjPNS9_10value_typeET0_ ; -- Begin function _ZN7rocprim17ROCPRIM_400000_NS6detail30init_device_scan_by_key_kernelINS1_19lookback_scan_stateINS0_5tupleIJxbEEELb0ELb0EEENS1_16block_id_wrapperIjLb0EEEEEvT_jjPNS9_10value_typeET0_
	.globl	_ZN7rocprim17ROCPRIM_400000_NS6detail30init_device_scan_by_key_kernelINS1_19lookback_scan_stateINS0_5tupleIJxbEEELb0ELb0EEENS1_16block_id_wrapperIjLb0EEEEEvT_jjPNS9_10value_typeET0_
	.p2align	8
	.type	_ZN7rocprim17ROCPRIM_400000_NS6detail30init_device_scan_by_key_kernelINS1_19lookback_scan_stateINS0_5tupleIJxbEEELb0ELb0EEENS1_16block_id_wrapperIjLb0EEEEEvT_jjPNS9_10value_typeET0_,@function
_ZN7rocprim17ROCPRIM_400000_NS6detail30init_device_scan_by_key_kernelINS1_19lookback_scan_stateINS0_5tupleIJxbEEELb0ELb0EEENS1_16block_id_wrapperIjLb0EEEEEvT_jjPNS9_10value_typeET0_: ; @_ZN7rocprim17ROCPRIM_400000_NS6detail30init_device_scan_by_key_kernelINS1_19lookback_scan_stateINS0_5tupleIJxbEEELb0ELb0EEENS1_16block_id_wrapperIjLb0EEEEEvT_jjPNS9_10value_typeET0_
; %bb.0:
	s_clause 0x2
	s_load_dword s7, s[4:5], 0x3c
	s_load_dwordx2 s[8:9], s[4:5], 0x20
	s_load_dwordx4 s[0:3], s[4:5], 0x10
	s_waitcnt lgkmcnt(0)
	s_and_b32 s7, s7, 0xffff
	s_cmp_eq_u64 s[8:9], 0
	v_mad_u64_u32 v[0:1], null, s6, s7, v[0:1]
	s_cbranch_scc1 .LBB4_6
; %bb.1:
	s_cmp_lt_u32 s3, s2
	s_mov_b32 s11, 0
	s_cselect_b32 s6, s3, 0
	s_mov_b32 s14, exec_lo
	v_cmpx_eq_u32_e64 s6, v0
	s_cbranch_execz .LBB4_5
; %bb.2:
	s_add_i32 s10, s3, 32
	s_load_dwordx4 s[4:7], s[4:5], 0x0
	v_mov_b32_e32 v1, s10
	s_add_u32 s12, s0, s10
	s_addc_u32 s13, s1, 0
	global_load_ubyte v2, v1, s[0:1] glc dlc
	v_mov_b32_e32 v1, 0
	s_waitcnt vmcnt(0)
	v_cmp_ne_u32_sdwa s15, v2, v1 src0_sel:WORD_0 src1_sel:DWORD
	v_readfirstlane_b32 s3, v2
	s_and_b32 vcc_lo, exec_lo, s15
	s_cbranch_vccnz .LBB4_4
.LBB4_3:                                ; =>This Inner Loop Header: Depth=1
	global_load_ubyte v2, v1, s[12:13] glc dlc
	s_waitcnt vmcnt(0)
	v_cmp_eq_u32_sdwa s15, v2, v1 src0_sel:WORD_0 src1_sel:DWORD
	v_readfirstlane_b32 s3, v2
	s_and_b32 vcc_lo, exec_lo, s15
	s_cbranch_vccnz .LBB4_3
.LBB4_4:
	s_and_b32 s3, 0xffff, s3
	v_mov_b32_e32 v3, 0
	s_cmp_eq_u32 s3, 1
	s_waitcnt lgkmcnt(0)
	buffer_gl1_inv
	buffer_gl0_inv
	s_cselect_b32 s3, s5, s7
	s_cselect_b32 s6, s4, s6
	s_lshl_b64 s[4:5], s[10:11], 4
	s_add_u32 s4, s6, s4
	s_addc_u32 s5, s3, s5
	s_clause 0x1
	global_load_dwordx2 v[1:2], v3, s[4:5]
	global_load_ubyte v4, v3, s[4:5] offset:8
	s_waitcnt vmcnt(1)
	global_store_dwordx2 v3, v[1:2], s[8:9]
	s_waitcnt vmcnt(0)
	global_store_byte v3, v4, s[8:9] offset:8
.LBB4_5:
	s_or_b32 exec_lo, exec_lo, s14
.LBB4_6:
	v_cmp_gt_u32_e32 vcc_lo, s2, v0
	s_and_saveexec_b32 s2, vcc_lo
	s_cbranch_execz .LBB4_8
; %bb.7:
	v_add_nc_u32_e32 v1, 32, v0
	v_mov_b32_e32 v2, 0
	global_store_byte v1, v2, s[0:1]
.LBB4_8:
	s_or_b32 exec_lo, exec_lo, s2
	s_mov_b32 s2, exec_lo
	v_cmpx_gt_u32_e32 32, v0
	s_cbranch_execz .LBB4_10
; %bb.9:
	v_mov_b32_e32 v1, 0xff
	global_store_byte v0, v1, s[0:1]
.LBB4_10:
	s_endpgm
	.section	.rodata,"a",@progbits
	.p2align	6, 0x0
	.amdhsa_kernel _ZN7rocprim17ROCPRIM_400000_NS6detail30init_device_scan_by_key_kernelINS1_19lookback_scan_stateINS0_5tupleIJxbEEELb0ELb0EEENS1_16block_id_wrapperIjLb0EEEEEvT_jjPNS9_10value_typeET0_
		.amdhsa_group_segment_fixed_size 0
		.amdhsa_private_segment_fixed_size 0
		.amdhsa_kernarg_size 304
		.amdhsa_user_sgpr_count 6
		.amdhsa_user_sgpr_private_segment_buffer 1
		.amdhsa_user_sgpr_dispatch_ptr 0
		.amdhsa_user_sgpr_queue_ptr 0
		.amdhsa_user_sgpr_kernarg_segment_ptr 1
		.amdhsa_user_sgpr_dispatch_id 0
		.amdhsa_user_sgpr_flat_scratch_init 0
		.amdhsa_user_sgpr_private_segment_size 0
		.amdhsa_wavefront_size32 1
		.amdhsa_uses_dynamic_stack 0
		.amdhsa_system_sgpr_private_segment_wavefront_offset 0
		.amdhsa_system_sgpr_workgroup_id_x 1
		.amdhsa_system_sgpr_workgroup_id_y 0
		.amdhsa_system_sgpr_workgroup_id_z 0
		.amdhsa_system_sgpr_workgroup_info 0
		.amdhsa_system_vgpr_workitem_id 0
		.amdhsa_next_free_vgpr 5
		.amdhsa_next_free_sgpr 16
		.amdhsa_reserve_vcc 1
		.amdhsa_reserve_flat_scratch 0
		.amdhsa_float_round_mode_32 0
		.amdhsa_float_round_mode_16_64 0
		.amdhsa_float_denorm_mode_32 3
		.amdhsa_float_denorm_mode_16_64 3
		.amdhsa_dx10_clamp 1
		.amdhsa_ieee_mode 1
		.amdhsa_fp16_overflow 0
		.amdhsa_workgroup_processor_mode 1
		.amdhsa_memory_ordered 1
		.amdhsa_forward_progress 1
		.amdhsa_shared_vgpr_count 0
		.amdhsa_exception_fp_ieee_invalid_op 0
		.amdhsa_exception_fp_denorm_src 0
		.amdhsa_exception_fp_ieee_div_zero 0
		.amdhsa_exception_fp_ieee_overflow 0
		.amdhsa_exception_fp_ieee_underflow 0
		.amdhsa_exception_fp_ieee_inexact 0
		.amdhsa_exception_int_div_zero 0
	.end_amdhsa_kernel
	.section	.text._ZN7rocprim17ROCPRIM_400000_NS6detail30init_device_scan_by_key_kernelINS1_19lookback_scan_stateINS0_5tupleIJxbEEELb0ELb0EEENS1_16block_id_wrapperIjLb0EEEEEvT_jjPNS9_10value_typeET0_,"axG",@progbits,_ZN7rocprim17ROCPRIM_400000_NS6detail30init_device_scan_by_key_kernelINS1_19lookback_scan_stateINS0_5tupleIJxbEEELb0ELb0EEENS1_16block_id_wrapperIjLb0EEEEEvT_jjPNS9_10value_typeET0_,comdat
.Lfunc_end4:
	.size	_ZN7rocprim17ROCPRIM_400000_NS6detail30init_device_scan_by_key_kernelINS1_19lookback_scan_stateINS0_5tupleIJxbEEELb0ELb0EEENS1_16block_id_wrapperIjLb0EEEEEvT_jjPNS9_10value_typeET0_, .Lfunc_end4-_ZN7rocprim17ROCPRIM_400000_NS6detail30init_device_scan_by_key_kernelINS1_19lookback_scan_stateINS0_5tupleIJxbEEELb0ELb0EEENS1_16block_id_wrapperIjLb0EEEEEvT_jjPNS9_10value_typeET0_
                                        ; -- End function
	.set _ZN7rocprim17ROCPRIM_400000_NS6detail30init_device_scan_by_key_kernelINS1_19lookback_scan_stateINS0_5tupleIJxbEEELb0ELb0EEENS1_16block_id_wrapperIjLb0EEEEEvT_jjPNS9_10value_typeET0_.num_vgpr, 5
	.set _ZN7rocprim17ROCPRIM_400000_NS6detail30init_device_scan_by_key_kernelINS1_19lookback_scan_stateINS0_5tupleIJxbEEELb0ELb0EEENS1_16block_id_wrapperIjLb0EEEEEvT_jjPNS9_10value_typeET0_.num_agpr, 0
	.set _ZN7rocprim17ROCPRIM_400000_NS6detail30init_device_scan_by_key_kernelINS1_19lookback_scan_stateINS0_5tupleIJxbEEELb0ELb0EEENS1_16block_id_wrapperIjLb0EEEEEvT_jjPNS9_10value_typeET0_.numbered_sgpr, 16
	.set _ZN7rocprim17ROCPRIM_400000_NS6detail30init_device_scan_by_key_kernelINS1_19lookback_scan_stateINS0_5tupleIJxbEEELb0ELb0EEENS1_16block_id_wrapperIjLb0EEEEEvT_jjPNS9_10value_typeET0_.num_named_barrier, 0
	.set _ZN7rocprim17ROCPRIM_400000_NS6detail30init_device_scan_by_key_kernelINS1_19lookback_scan_stateINS0_5tupleIJxbEEELb0ELb0EEENS1_16block_id_wrapperIjLb0EEEEEvT_jjPNS9_10value_typeET0_.private_seg_size, 0
	.set _ZN7rocprim17ROCPRIM_400000_NS6detail30init_device_scan_by_key_kernelINS1_19lookback_scan_stateINS0_5tupleIJxbEEELb0ELb0EEENS1_16block_id_wrapperIjLb0EEEEEvT_jjPNS9_10value_typeET0_.uses_vcc, 1
	.set _ZN7rocprim17ROCPRIM_400000_NS6detail30init_device_scan_by_key_kernelINS1_19lookback_scan_stateINS0_5tupleIJxbEEELb0ELb0EEENS1_16block_id_wrapperIjLb0EEEEEvT_jjPNS9_10value_typeET0_.uses_flat_scratch, 0
	.set _ZN7rocprim17ROCPRIM_400000_NS6detail30init_device_scan_by_key_kernelINS1_19lookback_scan_stateINS0_5tupleIJxbEEELb0ELb0EEENS1_16block_id_wrapperIjLb0EEEEEvT_jjPNS9_10value_typeET0_.has_dyn_sized_stack, 0
	.set _ZN7rocprim17ROCPRIM_400000_NS6detail30init_device_scan_by_key_kernelINS1_19lookback_scan_stateINS0_5tupleIJxbEEELb0ELb0EEENS1_16block_id_wrapperIjLb0EEEEEvT_jjPNS9_10value_typeET0_.has_recursion, 0
	.set _ZN7rocprim17ROCPRIM_400000_NS6detail30init_device_scan_by_key_kernelINS1_19lookback_scan_stateINS0_5tupleIJxbEEELb0ELb0EEENS1_16block_id_wrapperIjLb0EEEEEvT_jjPNS9_10value_typeET0_.has_indirect_call, 0
	.section	.AMDGPU.csdata,"",@progbits
; Kernel info:
; codeLenInByte = 344
; TotalNumSgprs: 18
; NumVgprs: 5
; ScratchSize: 0
; MemoryBound: 0
; FloatMode: 240
; IeeeMode: 1
; LDSByteSize: 0 bytes/workgroup (compile time only)
; SGPRBlocks: 0
; VGPRBlocks: 0
; NumSGPRsForWavesPerEU: 18
; NumVGPRsForWavesPerEU: 5
; Occupancy: 16
; WaveLimiterHint : 0
; COMPUTE_PGM_RSRC2:SCRATCH_EN: 0
; COMPUTE_PGM_RSRC2:USER_SGPR: 6
; COMPUTE_PGM_RSRC2:TRAP_HANDLER: 0
; COMPUTE_PGM_RSRC2:TGID_X_EN: 1
; COMPUTE_PGM_RSRC2:TGID_Y_EN: 0
; COMPUTE_PGM_RSRC2:TGID_Z_EN: 0
; COMPUTE_PGM_RSRC2:TIDIG_COMP_CNT: 0
	.section	.text._ZN7rocprim17ROCPRIM_400000_NS6detail17trampoline_kernelINS0_14default_configENS1_27scan_by_key_config_selectorIxxEEZZNS1_16scan_by_key_implILNS1_25lookback_scan_determinismE0ELb0ES3_N6thrust23THRUST_200600_302600_NS6detail15normal_iteratorINS9_10device_ptrIxEEEESE_SE_xNS9_4plusIvEENS9_8equal_toIvEExEE10hipError_tPvRmT2_T3_T4_T5_mT6_T7_P12ihipStream_tbENKUlT_T0_E_clISt17integral_constantIbLb0EESZ_EEDaSU_SV_EUlSU_E_NS1_11comp_targetILNS1_3genE0ELNS1_11target_archE4294967295ELNS1_3gpuE0ELNS1_3repE0EEENS1_30default_config_static_selectorELNS0_4arch9wavefront6targetE0EEEvT1_,"axG",@progbits,_ZN7rocprim17ROCPRIM_400000_NS6detail17trampoline_kernelINS0_14default_configENS1_27scan_by_key_config_selectorIxxEEZZNS1_16scan_by_key_implILNS1_25lookback_scan_determinismE0ELb0ES3_N6thrust23THRUST_200600_302600_NS6detail15normal_iteratorINS9_10device_ptrIxEEEESE_SE_xNS9_4plusIvEENS9_8equal_toIvEExEE10hipError_tPvRmT2_T3_T4_T5_mT6_T7_P12ihipStream_tbENKUlT_T0_E_clISt17integral_constantIbLb0EESZ_EEDaSU_SV_EUlSU_E_NS1_11comp_targetILNS1_3genE0ELNS1_11target_archE4294967295ELNS1_3gpuE0ELNS1_3repE0EEENS1_30default_config_static_selectorELNS0_4arch9wavefront6targetE0EEEvT1_,comdat
	.protected	_ZN7rocprim17ROCPRIM_400000_NS6detail17trampoline_kernelINS0_14default_configENS1_27scan_by_key_config_selectorIxxEEZZNS1_16scan_by_key_implILNS1_25lookback_scan_determinismE0ELb0ES3_N6thrust23THRUST_200600_302600_NS6detail15normal_iteratorINS9_10device_ptrIxEEEESE_SE_xNS9_4plusIvEENS9_8equal_toIvEExEE10hipError_tPvRmT2_T3_T4_T5_mT6_T7_P12ihipStream_tbENKUlT_T0_E_clISt17integral_constantIbLb0EESZ_EEDaSU_SV_EUlSU_E_NS1_11comp_targetILNS1_3genE0ELNS1_11target_archE4294967295ELNS1_3gpuE0ELNS1_3repE0EEENS1_30default_config_static_selectorELNS0_4arch9wavefront6targetE0EEEvT1_ ; -- Begin function _ZN7rocprim17ROCPRIM_400000_NS6detail17trampoline_kernelINS0_14default_configENS1_27scan_by_key_config_selectorIxxEEZZNS1_16scan_by_key_implILNS1_25lookback_scan_determinismE0ELb0ES3_N6thrust23THRUST_200600_302600_NS6detail15normal_iteratorINS9_10device_ptrIxEEEESE_SE_xNS9_4plusIvEENS9_8equal_toIvEExEE10hipError_tPvRmT2_T3_T4_T5_mT6_T7_P12ihipStream_tbENKUlT_T0_E_clISt17integral_constantIbLb0EESZ_EEDaSU_SV_EUlSU_E_NS1_11comp_targetILNS1_3genE0ELNS1_11target_archE4294967295ELNS1_3gpuE0ELNS1_3repE0EEENS1_30default_config_static_selectorELNS0_4arch9wavefront6targetE0EEEvT1_
	.globl	_ZN7rocprim17ROCPRIM_400000_NS6detail17trampoline_kernelINS0_14default_configENS1_27scan_by_key_config_selectorIxxEEZZNS1_16scan_by_key_implILNS1_25lookback_scan_determinismE0ELb0ES3_N6thrust23THRUST_200600_302600_NS6detail15normal_iteratorINS9_10device_ptrIxEEEESE_SE_xNS9_4plusIvEENS9_8equal_toIvEExEE10hipError_tPvRmT2_T3_T4_T5_mT6_T7_P12ihipStream_tbENKUlT_T0_E_clISt17integral_constantIbLb0EESZ_EEDaSU_SV_EUlSU_E_NS1_11comp_targetILNS1_3genE0ELNS1_11target_archE4294967295ELNS1_3gpuE0ELNS1_3repE0EEENS1_30default_config_static_selectorELNS0_4arch9wavefront6targetE0EEEvT1_
	.p2align	8
	.type	_ZN7rocprim17ROCPRIM_400000_NS6detail17trampoline_kernelINS0_14default_configENS1_27scan_by_key_config_selectorIxxEEZZNS1_16scan_by_key_implILNS1_25lookback_scan_determinismE0ELb0ES3_N6thrust23THRUST_200600_302600_NS6detail15normal_iteratorINS9_10device_ptrIxEEEESE_SE_xNS9_4plusIvEENS9_8equal_toIvEExEE10hipError_tPvRmT2_T3_T4_T5_mT6_T7_P12ihipStream_tbENKUlT_T0_E_clISt17integral_constantIbLb0EESZ_EEDaSU_SV_EUlSU_E_NS1_11comp_targetILNS1_3genE0ELNS1_11target_archE4294967295ELNS1_3gpuE0ELNS1_3repE0EEENS1_30default_config_static_selectorELNS0_4arch9wavefront6targetE0EEEvT1_,@function
_ZN7rocprim17ROCPRIM_400000_NS6detail17trampoline_kernelINS0_14default_configENS1_27scan_by_key_config_selectorIxxEEZZNS1_16scan_by_key_implILNS1_25lookback_scan_determinismE0ELb0ES3_N6thrust23THRUST_200600_302600_NS6detail15normal_iteratorINS9_10device_ptrIxEEEESE_SE_xNS9_4plusIvEENS9_8equal_toIvEExEE10hipError_tPvRmT2_T3_T4_T5_mT6_T7_P12ihipStream_tbENKUlT_T0_E_clISt17integral_constantIbLb0EESZ_EEDaSU_SV_EUlSU_E_NS1_11comp_targetILNS1_3genE0ELNS1_11target_archE4294967295ELNS1_3gpuE0ELNS1_3repE0EEENS1_30default_config_static_selectorELNS0_4arch9wavefront6targetE0EEEvT1_: ; @_ZN7rocprim17ROCPRIM_400000_NS6detail17trampoline_kernelINS0_14default_configENS1_27scan_by_key_config_selectorIxxEEZZNS1_16scan_by_key_implILNS1_25lookback_scan_determinismE0ELb0ES3_N6thrust23THRUST_200600_302600_NS6detail15normal_iteratorINS9_10device_ptrIxEEEESE_SE_xNS9_4plusIvEENS9_8equal_toIvEExEE10hipError_tPvRmT2_T3_T4_T5_mT6_T7_P12ihipStream_tbENKUlT_T0_E_clISt17integral_constantIbLb0EESZ_EEDaSU_SV_EUlSU_E_NS1_11comp_targetILNS1_3genE0ELNS1_11target_archE4294967295ELNS1_3gpuE0ELNS1_3repE0EEENS1_30default_config_static_selectorELNS0_4arch9wavefront6targetE0EEEvT1_
; %bb.0:
	.section	.rodata,"a",@progbits
	.p2align	6, 0x0
	.amdhsa_kernel _ZN7rocprim17ROCPRIM_400000_NS6detail17trampoline_kernelINS0_14default_configENS1_27scan_by_key_config_selectorIxxEEZZNS1_16scan_by_key_implILNS1_25lookback_scan_determinismE0ELb0ES3_N6thrust23THRUST_200600_302600_NS6detail15normal_iteratorINS9_10device_ptrIxEEEESE_SE_xNS9_4plusIvEENS9_8equal_toIvEExEE10hipError_tPvRmT2_T3_T4_T5_mT6_T7_P12ihipStream_tbENKUlT_T0_E_clISt17integral_constantIbLb0EESZ_EEDaSU_SV_EUlSU_E_NS1_11comp_targetILNS1_3genE0ELNS1_11target_archE4294967295ELNS1_3gpuE0ELNS1_3repE0EEENS1_30default_config_static_selectorELNS0_4arch9wavefront6targetE0EEEvT1_
		.amdhsa_group_segment_fixed_size 0
		.amdhsa_private_segment_fixed_size 0
		.amdhsa_kernarg_size 136
		.amdhsa_user_sgpr_count 6
		.amdhsa_user_sgpr_private_segment_buffer 1
		.amdhsa_user_sgpr_dispatch_ptr 0
		.amdhsa_user_sgpr_queue_ptr 0
		.amdhsa_user_sgpr_kernarg_segment_ptr 1
		.amdhsa_user_sgpr_dispatch_id 0
		.amdhsa_user_sgpr_flat_scratch_init 0
		.amdhsa_user_sgpr_private_segment_size 0
		.amdhsa_wavefront_size32 1
		.amdhsa_uses_dynamic_stack 0
		.amdhsa_system_sgpr_private_segment_wavefront_offset 0
		.amdhsa_system_sgpr_workgroup_id_x 1
		.amdhsa_system_sgpr_workgroup_id_y 0
		.amdhsa_system_sgpr_workgroup_id_z 0
		.amdhsa_system_sgpr_workgroup_info 0
		.amdhsa_system_vgpr_workitem_id 0
		.amdhsa_next_free_vgpr 1
		.amdhsa_next_free_sgpr 1
		.amdhsa_reserve_vcc 0
		.amdhsa_reserve_flat_scratch 0
		.amdhsa_float_round_mode_32 0
		.amdhsa_float_round_mode_16_64 0
		.amdhsa_float_denorm_mode_32 3
		.amdhsa_float_denorm_mode_16_64 3
		.amdhsa_dx10_clamp 1
		.amdhsa_ieee_mode 1
		.amdhsa_fp16_overflow 0
		.amdhsa_workgroup_processor_mode 1
		.amdhsa_memory_ordered 1
		.amdhsa_forward_progress 1
		.amdhsa_shared_vgpr_count 0
		.amdhsa_exception_fp_ieee_invalid_op 0
		.amdhsa_exception_fp_denorm_src 0
		.amdhsa_exception_fp_ieee_div_zero 0
		.amdhsa_exception_fp_ieee_overflow 0
		.amdhsa_exception_fp_ieee_underflow 0
		.amdhsa_exception_fp_ieee_inexact 0
		.amdhsa_exception_int_div_zero 0
	.end_amdhsa_kernel
	.section	.text._ZN7rocprim17ROCPRIM_400000_NS6detail17trampoline_kernelINS0_14default_configENS1_27scan_by_key_config_selectorIxxEEZZNS1_16scan_by_key_implILNS1_25lookback_scan_determinismE0ELb0ES3_N6thrust23THRUST_200600_302600_NS6detail15normal_iteratorINS9_10device_ptrIxEEEESE_SE_xNS9_4plusIvEENS9_8equal_toIvEExEE10hipError_tPvRmT2_T3_T4_T5_mT6_T7_P12ihipStream_tbENKUlT_T0_E_clISt17integral_constantIbLb0EESZ_EEDaSU_SV_EUlSU_E_NS1_11comp_targetILNS1_3genE0ELNS1_11target_archE4294967295ELNS1_3gpuE0ELNS1_3repE0EEENS1_30default_config_static_selectorELNS0_4arch9wavefront6targetE0EEEvT1_,"axG",@progbits,_ZN7rocprim17ROCPRIM_400000_NS6detail17trampoline_kernelINS0_14default_configENS1_27scan_by_key_config_selectorIxxEEZZNS1_16scan_by_key_implILNS1_25lookback_scan_determinismE0ELb0ES3_N6thrust23THRUST_200600_302600_NS6detail15normal_iteratorINS9_10device_ptrIxEEEESE_SE_xNS9_4plusIvEENS9_8equal_toIvEExEE10hipError_tPvRmT2_T3_T4_T5_mT6_T7_P12ihipStream_tbENKUlT_T0_E_clISt17integral_constantIbLb0EESZ_EEDaSU_SV_EUlSU_E_NS1_11comp_targetILNS1_3genE0ELNS1_11target_archE4294967295ELNS1_3gpuE0ELNS1_3repE0EEENS1_30default_config_static_selectorELNS0_4arch9wavefront6targetE0EEEvT1_,comdat
.Lfunc_end5:
	.size	_ZN7rocprim17ROCPRIM_400000_NS6detail17trampoline_kernelINS0_14default_configENS1_27scan_by_key_config_selectorIxxEEZZNS1_16scan_by_key_implILNS1_25lookback_scan_determinismE0ELb0ES3_N6thrust23THRUST_200600_302600_NS6detail15normal_iteratorINS9_10device_ptrIxEEEESE_SE_xNS9_4plusIvEENS9_8equal_toIvEExEE10hipError_tPvRmT2_T3_T4_T5_mT6_T7_P12ihipStream_tbENKUlT_T0_E_clISt17integral_constantIbLb0EESZ_EEDaSU_SV_EUlSU_E_NS1_11comp_targetILNS1_3genE0ELNS1_11target_archE4294967295ELNS1_3gpuE0ELNS1_3repE0EEENS1_30default_config_static_selectorELNS0_4arch9wavefront6targetE0EEEvT1_, .Lfunc_end5-_ZN7rocprim17ROCPRIM_400000_NS6detail17trampoline_kernelINS0_14default_configENS1_27scan_by_key_config_selectorIxxEEZZNS1_16scan_by_key_implILNS1_25lookback_scan_determinismE0ELb0ES3_N6thrust23THRUST_200600_302600_NS6detail15normal_iteratorINS9_10device_ptrIxEEEESE_SE_xNS9_4plusIvEENS9_8equal_toIvEExEE10hipError_tPvRmT2_T3_T4_T5_mT6_T7_P12ihipStream_tbENKUlT_T0_E_clISt17integral_constantIbLb0EESZ_EEDaSU_SV_EUlSU_E_NS1_11comp_targetILNS1_3genE0ELNS1_11target_archE4294967295ELNS1_3gpuE0ELNS1_3repE0EEENS1_30default_config_static_selectorELNS0_4arch9wavefront6targetE0EEEvT1_
                                        ; -- End function
	.set _ZN7rocprim17ROCPRIM_400000_NS6detail17trampoline_kernelINS0_14default_configENS1_27scan_by_key_config_selectorIxxEEZZNS1_16scan_by_key_implILNS1_25lookback_scan_determinismE0ELb0ES3_N6thrust23THRUST_200600_302600_NS6detail15normal_iteratorINS9_10device_ptrIxEEEESE_SE_xNS9_4plusIvEENS9_8equal_toIvEExEE10hipError_tPvRmT2_T3_T4_T5_mT6_T7_P12ihipStream_tbENKUlT_T0_E_clISt17integral_constantIbLb0EESZ_EEDaSU_SV_EUlSU_E_NS1_11comp_targetILNS1_3genE0ELNS1_11target_archE4294967295ELNS1_3gpuE0ELNS1_3repE0EEENS1_30default_config_static_selectorELNS0_4arch9wavefront6targetE0EEEvT1_.num_vgpr, 0
	.set _ZN7rocprim17ROCPRIM_400000_NS6detail17trampoline_kernelINS0_14default_configENS1_27scan_by_key_config_selectorIxxEEZZNS1_16scan_by_key_implILNS1_25lookback_scan_determinismE0ELb0ES3_N6thrust23THRUST_200600_302600_NS6detail15normal_iteratorINS9_10device_ptrIxEEEESE_SE_xNS9_4plusIvEENS9_8equal_toIvEExEE10hipError_tPvRmT2_T3_T4_T5_mT6_T7_P12ihipStream_tbENKUlT_T0_E_clISt17integral_constantIbLb0EESZ_EEDaSU_SV_EUlSU_E_NS1_11comp_targetILNS1_3genE0ELNS1_11target_archE4294967295ELNS1_3gpuE0ELNS1_3repE0EEENS1_30default_config_static_selectorELNS0_4arch9wavefront6targetE0EEEvT1_.num_agpr, 0
	.set _ZN7rocprim17ROCPRIM_400000_NS6detail17trampoline_kernelINS0_14default_configENS1_27scan_by_key_config_selectorIxxEEZZNS1_16scan_by_key_implILNS1_25lookback_scan_determinismE0ELb0ES3_N6thrust23THRUST_200600_302600_NS6detail15normal_iteratorINS9_10device_ptrIxEEEESE_SE_xNS9_4plusIvEENS9_8equal_toIvEExEE10hipError_tPvRmT2_T3_T4_T5_mT6_T7_P12ihipStream_tbENKUlT_T0_E_clISt17integral_constantIbLb0EESZ_EEDaSU_SV_EUlSU_E_NS1_11comp_targetILNS1_3genE0ELNS1_11target_archE4294967295ELNS1_3gpuE0ELNS1_3repE0EEENS1_30default_config_static_selectorELNS0_4arch9wavefront6targetE0EEEvT1_.numbered_sgpr, 0
	.set _ZN7rocprim17ROCPRIM_400000_NS6detail17trampoline_kernelINS0_14default_configENS1_27scan_by_key_config_selectorIxxEEZZNS1_16scan_by_key_implILNS1_25lookback_scan_determinismE0ELb0ES3_N6thrust23THRUST_200600_302600_NS6detail15normal_iteratorINS9_10device_ptrIxEEEESE_SE_xNS9_4plusIvEENS9_8equal_toIvEExEE10hipError_tPvRmT2_T3_T4_T5_mT6_T7_P12ihipStream_tbENKUlT_T0_E_clISt17integral_constantIbLb0EESZ_EEDaSU_SV_EUlSU_E_NS1_11comp_targetILNS1_3genE0ELNS1_11target_archE4294967295ELNS1_3gpuE0ELNS1_3repE0EEENS1_30default_config_static_selectorELNS0_4arch9wavefront6targetE0EEEvT1_.num_named_barrier, 0
	.set _ZN7rocprim17ROCPRIM_400000_NS6detail17trampoline_kernelINS0_14default_configENS1_27scan_by_key_config_selectorIxxEEZZNS1_16scan_by_key_implILNS1_25lookback_scan_determinismE0ELb0ES3_N6thrust23THRUST_200600_302600_NS6detail15normal_iteratorINS9_10device_ptrIxEEEESE_SE_xNS9_4plusIvEENS9_8equal_toIvEExEE10hipError_tPvRmT2_T3_T4_T5_mT6_T7_P12ihipStream_tbENKUlT_T0_E_clISt17integral_constantIbLb0EESZ_EEDaSU_SV_EUlSU_E_NS1_11comp_targetILNS1_3genE0ELNS1_11target_archE4294967295ELNS1_3gpuE0ELNS1_3repE0EEENS1_30default_config_static_selectorELNS0_4arch9wavefront6targetE0EEEvT1_.private_seg_size, 0
	.set _ZN7rocprim17ROCPRIM_400000_NS6detail17trampoline_kernelINS0_14default_configENS1_27scan_by_key_config_selectorIxxEEZZNS1_16scan_by_key_implILNS1_25lookback_scan_determinismE0ELb0ES3_N6thrust23THRUST_200600_302600_NS6detail15normal_iteratorINS9_10device_ptrIxEEEESE_SE_xNS9_4plusIvEENS9_8equal_toIvEExEE10hipError_tPvRmT2_T3_T4_T5_mT6_T7_P12ihipStream_tbENKUlT_T0_E_clISt17integral_constantIbLb0EESZ_EEDaSU_SV_EUlSU_E_NS1_11comp_targetILNS1_3genE0ELNS1_11target_archE4294967295ELNS1_3gpuE0ELNS1_3repE0EEENS1_30default_config_static_selectorELNS0_4arch9wavefront6targetE0EEEvT1_.uses_vcc, 0
	.set _ZN7rocprim17ROCPRIM_400000_NS6detail17trampoline_kernelINS0_14default_configENS1_27scan_by_key_config_selectorIxxEEZZNS1_16scan_by_key_implILNS1_25lookback_scan_determinismE0ELb0ES3_N6thrust23THRUST_200600_302600_NS6detail15normal_iteratorINS9_10device_ptrIxEEEESE_SE_xNS9_4plusIvEENS9_8equal_toIvEExEE10hipError_tPvRmT2_T3_T4_T5_mT6_T7_P12ihipStream_tbENKUlT_T0_E_clISt17integral_constantIbLb0EESZ_EEDaSU_SV_EUlSU_E_NS1_11comp_targetILNS1_3genE0ELNS1_11target_archE4294967295ELNS1_3gpuE0ELNS1_3repE0EEENS1_30default_config_static_selectorELNS0_4arch9wavefront6targetE0EEEvT1_.uses_flat_scratch, 0
	.set _ZN7rocprim17ROCPRIM_400000_NS6detail17trampoline_kernelINS0_14default_configENS1_27scan_by_key_config_selectorIxxEEZZNS1_16scan_by_key_implILNS1_25lookback_scan_determinismE0ELb0ES3_N6thrust23THRUST_200600_302600_NS6detail15normal_iteratorINS9_10device_ptrIxEEEESE_SE_xNS9_4plusIvEENS9_8equal_toIvEExEE10hipError_tPvRmT2_T3_T4_T5_mT6_T7_P12ihipStream_tbENKUlT_T0_E_clISt17integral_constantIbLb0EESZ_EEDaSU_SV_EUlSU_E_NS1_11comp_targetILNS1_3genE0ELNS1_11target_archE4294967295ELNS1_3gpuE0ELNS1_3repE0EEENS1_30default_config_static_selectorELNS0_4arch9wavefront6targetE0EEEvT1_.has_dyn_sized_stack, 0
	.set _ZN7rocprim17ROCPRIM_400000_NS6detail17trampoline_kernelINS0_14default_configENS1_27scan_by_key_config_selectorIxxEEZZNS1_16scan_by_key_implILNS1_25lookback_scan_determinismE0ELb0ES3_N6thrust23THRUST_200600_302600_NS6detail15normal_iteratorINS9_10device_ptrIxEEEESE_SE_xNS9_4plusIvEENS9_8equal_toIvEExEE10hipError_tPvRmT2_T3_T4_T5_mT6_T7_P12ihipStream_tbENKUlT_T0_E_clISt17integral_constantIbLb0EESZ_EEDaSU_SV_EUlSU_E_NS1_11comp_targetILNS1_3genE0ELNS1_11target_archE4294967295ELNS1_3gpuE0ELNS1_3repE0EEENS1_30default_config_static_selectorELNS0_4arch9wavefront6targetE0EEEvT1_.has_recursion, 0
	.set _ZN7rocprim17ROCPRIM_400000_NS6detail17trampoline_kernelINS0_14default_configENS1_27scan_by_key_config_selectorIxxEEZZNS1_16scan_by_key_implILNS1_25lookback_scan_determinismE0ELb0ES3_N6thrust23THRUST_200600_302600_NS6detail15normal_iteratorINS9_10device_ptrIxEEEESE_SE_xNS9_4plusIvEENS9_8equal_toIvEExEE10hipError_tPvRmT2_T3_T4_T5_mT6_T7_P12ihipStream_tbENKUlT_T0_E_clISt17integral_constantIbLb0EESZ_EEDaSU_SV_EUlSU_E_NS1_11comp_targetILNS1_3genE0ELNS1_11target_archE4294967295ELNS1_3gpuE0ELNS1_3repE0EEENS1_30default_config_static_selectorELNS0_4arch9wavefront6targetE0EEEvT1_.has_indirect_call, 0
	.section	.AMDGPU.csdata,"",@progbits
; Kernel info:
; codeLenInByte = 0
; TotalNumSgprs: 0
; NumVgprs: 0
; ScratchSize: 0
; MemoryBound: 0
; FloatMode: 240
; IeeeMode: 1
; LDSByteSize: 0 bytes/workgroup (compile time only)
; SGPRBlocks: 0
; VGPRBlocks: 0
; NumSGPRsForWavesPerEU: 1
; NumVGPRsForWavesPerEU: 1
; Occupancy: 16
; WaveLimiterHint : 0
; COMPUTE_PGM_RSRC2:SCRATCH_EN: 0
; COMPUTE_PGM_RSRC2:USER_SGPR: 6
; COMPUTE_PGM_RSRC2:TRAP_HANDLER: 0
; COMPUTE_PGM_RSRC2:TGID_X_EN: 1
; COMPUTE_PGM_RSRC2:TGID_Y_EN: 0
; COMPUTE_PGM_RSRC2:TGID_Z_EN: 0
; COMPUTE_PGM_RSRC2:TIDIG_COMP_CNT: 0
	.section	.text._ZN7rocprim17ROCPRIM_400000_NS6detail17trampoline_kernelINS0_14default_configENS1_27scan_by_key_config_selectorIxxEEZZNS1_16scan_by_key_implILNS1_25lookback_scan_determinismE0ELb0ES3_N6thrust23THRUST_200600_302600_NS6detail15normal_iteratorINS9_10device_ptrIxEEEESE_SE_xNS9_4plusIvEENS9_8equal_toIvEExEE10hipError_tPvRmT2_T3_T4_T5_mT6_T7_P12ihipStream_tbENKUlT_T0_E_clISt17integral_constantIbLb0EESZ_EEDaSU_SV_EUlSU_E_NS1_11comp_targetILNS1_3genE10ELNS1_11target_archE1201ELNS1_3gpuE5ELNS1_3repE0EEENS1_30default_config_static_selectorELNS0_4arch9wavefront6targetE0EEEvT1_,"axG",@progbits,_ZN7rocprim17ROCPRIM_400000_NS6detail17trampoline_kernelINS0_14default_configENS1_27scan_by_key_config_selectorIxxEEZZNS1_16scan_by_key_implILNS1_25lookback_scan_determinismE0ELb0ES3_N6thrust23THRUST_200600_302600_NS6detail15normal_iteratorINS9_10device_ptrIxEEEESE_SE_xNS9_4plusIvEENS9_8equal_toIvEExEE10hipError_tPvRmT2_T3_T4_T5_mT6_T7_P12ihipStream_tbENKUlT_T0_E_clISt17integral_constantIbLb0EESZ_EEDaSU_SV_EUlSU_E_NS1_11comp_targetILNS1_3genE10ELNS1_11target_archE1201ELNS1_3gpuE5ELNS1_3repE0EEENS1_30default_config_static_selectorELNS0_4arch9wavefront6targetE0EEEvT1_,comdat
	.protected	_ZN7rocprim17ROCPRIM_400000_NS6detail17trampoline_kernelINS0_14default_configENS1_27scan_by_key_config_selectorIxxEEZZNS1_16scan_by_key_implILNS1_25lookback_scan_determinismE0ELb0ES3_N6thrust23THRUST_200600_302600_NS6detail15normal_iteratorINS9_10device_ptrIxEEEESE_SE_xNS9_4plusIvEENS9_8equal_toIvEExEE10hipError_tPvRmT2_T3_T4_T5_mT6_T7_P12ihipStream_tbENKUlT_T0_E_clISt17integral_constantIbLb0EESZ_EEDaSU_SV_EUlSU_E_NS1_11comp_targetILNS1_3genE10ELNS1_11target_archE1201ELNS1_3gpuE5ELNS1_3repE0EEENS1_30default_config_static_selectorELNS0_4arch9wavefront6targetE0EEEvT1_ ; -- Begin function _ZN7rocprim17ROCPRIM_400000_NS6detail17trampoline_kernelINS0_14default_configENS1_27scan_by_key_config_selectorIxxEEZZNS1_16scan_by_key_implILNS1_25lookback_scan_determinismE0ELb0ES3_N6thrust23THRUST_200600_302600_NS6detail15normal_iteratorINS9_10device_ptrIxEEEESE_SE_xNS9_4plusIvEENS9_8equal_toIvEExEE10hipError_tPvRmT2_T3_T4_T5_mT6_T7_P12ihipStream_tbENKUlT_T0_E_clISt17integral_constantIbLb0EESZ_EEDaSU_SV_EUlSU_E_NS1_11comp_targetILNS1_3genE10ELNS1_11target_archE1201ELNS1_3gpuE5ELNS1_3repE0EEENS1_30default_config_static_selectorELNS0_4arch9wavefront6targetE0EEEvT1_
	.globl	_ZN7rocprim17ROCPRIM_400000_NS6detail17trampoline_kernelINS0_14default_configENS1_27scan_by_key_config_selectorIxxEEZZNS1_16scan_by_key_implILNS1_25lookback_scan_determinismE0ELb0ES3_N6thrust23THRUST_200600_302600_NS6detail15normal_iteratorINS9_10device_ptrIxEEEESE_SE_xNS9_4plusIvEENS9_8equal_toIvEExEE10hipError_tPvRmT2_T3_T4_T5_mT6_T7_P12ihipStream_tbENKUlT_T0_E_clISt17integral_constantIbLb0EESZ_EEDaSU_SV_EUlSU_E_NS1_11comp_targetILNS1_3genE10ELNS1_11target_archE1201ELNS1_3gpuE5ELNS1_3repE0EEENS1_30default_config_static_selectorELNS0_4arch9wavefront6targetE0EEEvT1_
	.p2align	8
	.type	_ZN7rocprim17ROCPRIM_400000_NS6detail17trampoline_kernelINS0_14default_configENS1_27scan_by_key_config_selectorIxxEEZZNS1_16scan_by_key_implILNS1_25lookback_scan_determinismE0ELb0ES3_N6thrust23THRUST_200600_302600_NS6detail15normal_iteratorINS9_10device_ptrIxEEEESE_SE_xNS9_4plusIvEENS9_8equal_toIvEExEE10hipError_tPvRmT2_T3_T4_T5_mT6_T7_P12ihipStream_tbENKUlT_T0_E_clISt17integral_constantIbLb0EESZ_EEDaSU_SV_EUlSU_E_NS1_11comp_targetILNS1_3genE10ELNS1_11target_archE1201ELNS1_3gpuE5ELNS1_3repE0EEENS1_30default_config_static_selectorELNS0_4arch9wavefront6targetE0EEEvT1_,@function
_ZN7rocprim17ROCPRIM_400000_NS6detail17trampoline_kernelINS0_14default_configENS1_27scan_by_key_config_selectorIxxEEZZNS1_16scan_by_key_implILNS1_25lookback_scan_determinismE0ELb0ES3_N6thrust23THRUST_200600_302600_NS6detail15normal_iteratorINS9_10device_ptrIxEEEESE_SE_xNS9_4plusIvEENS9_8equal_toIvEExEE10hipError_tPvRmT2_T3_T4_T5_mT6_T7_P12ihipStream_tbENKUlT_T0_E_clISt17integral_constantIbLb0EESZ_EEDaSU_SV_EUlSU_E_NS1_11comp_targetILNS1_3genE10ELNS1_11target_archE1201ELNS1_3gpuE5ELNS1_3repE0EEENS1_30default_config_static_selectorELNS0_4arch9wavefront6targetE0EEEvT1_: ; @_ZN7rocprim17ROCPRIM_400000_NS6detail17trampoline_kernelINS0_14default_configENS1_27scan_by_key_config_selectorIxxEEZZNS1_16scan_by_key_implILNS1_25lookback_scan_determinismE0ELb0ES3_N6thrust23THRUST_200600_302600_NS6detail15normal_iteratorINS9_10device_ptrIxEEEESE_SE_xNS9_4plusIvEENS9_8equal_toIvEExEE10hipError_tPvRmT2_T3_T4_T5_mT6_T7_P12ihipStream_tbENKUlT_T0_E_clISt17integral_constantIbLb0EESZ_EEDaSU_SV_EUlSU_E_NS1_11comp_targetILNS1_3genE10ELNS1_11target_archE1201ELNS1_3gpuE5ELNS1_3repE0EEENS1_30default_config_static_selectorELNS0_4arch9wavefront6targetE0EEEvT1_
; %bb.0:
	.section	.rodata,"a",@progbits
	.p2align	6, 0x0
	.amdhsa_kernel _ZN7rocprim17ROCPRIM_400000_NS6detail17trampoline_kernelINS0_14default_configENS1_27scan_by_key_config_selectorIxxEEZZNS1_16scan_by_key_implILNS1_25lookback_scan_determinismE0ELb0ES3_N6thrust23THRUST_200600_302600_NS6detail15normal_iteratorINS9_10device_ptrIxEEEESE_SE_xNS9_4plusIvEENS9_8equal_toIvEExEE10hipError_tPvRmT2_T3_T4_T5_mT6_T7_P12ihipStream_tbENKUlT_T0_E_clISt17integral_constantIbLb0EESZ_EEDaSU_SV_EUlSU_E_NS1_11comp_targetILNS1_3genE10ELNS1_11target_archE1201ELNS1_3gpuE5ELNS1_3repE0EEENS1_30default_config_static_selectorELNS0_4arch9wavefront6targetE0EEEvT1_
		.amdhsa_group_segment_fixed_size 0
		.amdhsa_private_segment_fixed_size 0
		.amdhsa_kernarg_size 136
		.amdhsa_user_sgpr_count 6
		.amdhsa_user_sgpr_private_segment_buffer 1
		.amdhsa_user_sgpr_dispatch_ptr 0
		.amdhsa_user_sgpr_queue_ptr 0
		.amdhsa_user_sgpr_kernarg_segment_ptr 1
		.amdhsa_user_sgpr_dispatch_id 0
		.amdhsa_user_sgpr_flat_scratch_init 0
		.amdhsa_user_sgpr_private_segment_size 0
		.amdhsa_wavefront_size32 1
		.amdhsa_uses_dynamic_stack 0
		.amdhsa_system_sgpr_private_segment_wavefront_offset 0
		.amdhsa_system_sgpr_workgroup_id_x 1
		.amdhsa_system_sgpr_workgroup_id_y 0
		.amdhsa_system_sgpr_workgroup_id_z 0
		.amdhsa_system_sgpr_workgroup_info 0
		.amdhsa_system_vgpr_workitem_id 0
		.amdhsa_next_free_vgpr 1
		.amdhsa_next_free_sgpr 1
		.amdhsa_reserve_vcc 0
		.amdhsa_reserve_flat_scratch 0
		.amdhsa_float_round_mode_32 0
		.amdhsa_float_round_mode_16_64 0
		.amdhsa_float_denorm_mode_32 3
		.amdhsa_float_denorm_mode_16_64 3
		.amdhsa_dx10_clamp 1
		.amdhsa_ieee_mode 1
		.amdhsa_fp16_overflow 0
		.amdhsa_workgroup_processor_mode 1
		.amdhsa_memory_ordered 1
		.amdhsa_forward_progress 1
		.amdhsa_shared_vgpr_count 0
		.amdhsa_exception_fp_ieee_invalid_op 0
		.amdhsa_exception_fp_denorm_src 0
		.amdhsa_exception_fp_ieee_div_zero 0
		.amdhsa_exception_fp_ieee_overflow 0
		.amdhsa_exception_fp_ieee_underflow 0
		.amdhsa_exception_fp_ieee_inexact 0
		.amdhsa_exception_int_div_zero 0
	.end_amdhsa_kernel
	.section	.text._ZN7rocprim17ROCPRIM_400000_NS6detail17trampoline_kernelINS0_14default_configENS1_27scan_by_key_config_selectorIxxEEZZNS1_16scan_by_key_implILNS1_25lookback_scan_determinismE0ELb0ES3_N6thrust23THRUST_200600_302600_NS6detail15normal_iteratorINS9_10device_ptrIxEEEESE_SE_xNS9_4plusIvEENS9_8equal_toIvEExEE10hipError_tPvRmT2_T3_T4_T5_mT6_T7_P12ihipStream_tbENKUlT_T0_E_clISt17integral_constantIbLb0EESZ_EEDaSU_SV_EUlSU_E_NS1_11comp_targetILNS1_3genE10ELNS1_11target_archE1201ELNS1_3gpuE5ELNS1_3repE0EEENS1_30default_config_static_selectorELNS0_4arch9wavefront6targetE0EEEvT1_,"axG",@progbits,_ZN7rocprim17ROCPRIM_400000_NS6detail17trampoline_kernelINS0_14default_configENS1_27scan_by_key_config_selectorIxxEEZZNS1_16scan_by_key_implILNS1_25lookback_scan_determinismE0ELb0ES3_N6thrust23THRUST_200600_302600_NS6detail15normal_iteratorINS9_10device_ptrIxEEEESE_SE_xNS9_4plusIvEENS9_8equal_toIvEExEE10hipError_tPvRmT2_T3_T4_T5_mT6_T7_P12ihipStream_tbENKUlT_T0_E_clISt17integral_constantIbLb0EESZ_EEDaSU_SV_EUlSU_E_NS1_11comp_targetILNS1_3genE10ELNS1_11target_archE1201ELNS1_3gpuE5ELNS1_3repE0EEENS1_30default_config_static_selectorELNS0_4arch9wavefront6targetE0EEEvT1_,comdat
.Lfunc_end6:
	.size	_ZN7rocprim17ROCPRIM_400000_NS6detail17trampoline_kernelINS0_14default_configENS1_27scan_by_key_config_selectorIxxEEZZNS1_16scan_by_key_implILNS1_25lookback_scan_determinismE0ELb0ES3_N6thrust23THRUST_200600_302600_NS6detail15normal_iteratorINS9_10device_ptrIxEEEESE_SE_xNS9_4plusIvEENS9_8equal_toIvEExEE10hipError_tPvRmT2_T3_T4_T5_mT6_T7_P12ihipStream_tbENKUlT_T0_E_clISt17integral_constantIbLb0EESZ_EEDaSU_SV_EUlSU_E_NS1_11comp_targetILNS1_3genE10ELNS1_11target_archE1201ELNS1_3gpuE5ELNS1_3repE0EEENS1_30default_config_static_selectorELNS0_4arch9wavefront6targetE0EEEvT1_, .Lfunc_end6-_ZN7rocprim17ROCPRIM_400000_NS6detail17trampoline_kernelINS0_14default_configENS1_27scan_by_key_config_selectorIxxEEZZNS1_16scan_by_key_implILNS1_25lookback_scan_determinismE0ELb0ES3_N6thrust23THRUST_200600_302600_NS6detail15normal_iteratorINS9_10device_ptrIxEEEESE_SE_xNS9_4plusIvEENS9_8equal_toIvEExEE10hipError_tPvRmT2_T3_T4_T5_mT6_T7_P12ihipStream_tbENKUlT_T0_E_clISt17integral_constantIbLb0EESZ_EEDaSU_SV_EUlSU_E_NS1_11comp_targetILNS1_3genE10ELNS1_11target_archE1201ELNS1_3gpuE5ELNS1_3repE0EEENS1_30default_config_static_selectorELNS0_4arch9wavefront6targetE0EEEvT1_
                                        ; -- End function
	.set _ZN7rocprim17ROCPRIM_400000_NS6detail17trampoline_kernelINS0_14default_configENS1_27scan_by_key_config_selectorIxxEEZZNS1_16scan_by_key_implILNS1_25lookback_scan_determinismE0ELb0ES3_N6thrust23THRUST_200600_302600_NS6detail15normal_iteratorINS9_10device_ptrIxEEEESE_SE_xNS9_4plusIvEENS9_8equal_toIvEExEE10hipError_tPvRmT2_T3_T4_T5_mT6_T7_P12ihipStream_tbENKUlT_T0_E_clISt17integral_constantIbLb0EESZ_EEDaSU_SV_EUlSU_E_NS1_11comp_targetILNS1_3genE10ELNS1_11target_archE1201ELNS1_3gpuE5ELNS1_3repE0EEENS1_30default_config_static_selectorELNS0_4arch9wavefront6targetE0EEEvT1_.num_vgpr, 0
	.set _ZN7rocprim17ROCPRIM_400000_NS6detail17trampoline_kernelINS0_14default_configENS1_27scan_by_key_config_selectorIxxEEZZNS1_16scan_by_key_implILNS1_25lookback_scan_determinismE0ELb0ES3_N6thrust23THRUST_200600_302600_NS6detail15normal_iteratorINS9_10device_ptrIxEEEESE_SE_xNS9_4plusIvEENS9_8equal_toIvEExEE10hipError_tPvRmT2_T3_T4_T5_mT6_T7_P12ihipStream_tbENKUlT_T0_E_clISt17integral_constantIbLb0EESZ_EEDaSU_SV_EUlSU_E_NS1_11comp_targetILNS1_3genE10ELNS1_11target_archE1201ELNS1_3gpuE5ELNS1_3repE0EEENS1_30default_config_static_selectorELNS0_4arch9wavefront6targetE0EEEvT1_.num_agpr, 0
	.set _ZN7rocprim17ROCPRIM_400000_NS6detail17trampoline_kernelINS0_14default_configENS1_27scan_by_key_config_selectorIxxEEZZNS1_16scan_by_key_implILNS1_25lookback_scan_determinismE0ELb0ES3_N6thrust23THRUST_200600_302600_NS6detail15normal_iteratorINS9_10device_ptrIxEEEESE_SE_xNS9_4plusIvEENS9_8equal_toIvEExEE10hipError_tPvRmT2_T3_T4_T5_mT6_T7_P12ihipStream_tbENKUlT_T0_E_clISt17integral_constantIbLb0EESZ_EEDaSU_SV_EUlSU_E_NS1_11comp_targetILNS1_3genE10ELNS1_11target_archE1201ELNS1_3gpuE5ELNS1_3repE0EEENS1_30default_config_static_selectorELNS0_4arch9wavefront6targetE0EEEvT1_.numbered_sgpr, 0
	.set _ZN7rocprim17ROCPRIM_400000_NS6detail17trampoline_kernelINS0_14default_configENS1_27scan_by_key_config_selectorIxxEEZZNS1_16scan_by_key_implILNS1_25lookback_scan_determinismE0ELb0ES3_N6thrust23THRUST_200600_302600_NS6detail15normal_iteratorINS9_10device_ptrIxEEEESE_SE_xNS9_4plusIvEENS9_8equal_toIvEExEE10hipError_tPvRmT2_T3_T4_T5_mT6_T7_P12ihipStream_tbENKUlT_T0_E_clISt17integral_constantIbLb0EESZ_EEDaSU_SV_EUlSU_E_NS1_11comp_targetILNS1_3genE10ELNS1_11target_archE1201ELNS1_3gpuE5ELNS1_3repE0EEENS1_30default_config_static_selectorELNS0_4arch9wavefront6targetE0EEEvT1_.num_named_barrier, 0
	.set _ZN7rocprim17ROCPRIM_400000_NS6detail17trampoline_kernelINS0_14default_configENS1_27scan_by_key_config_selectorIxxEEZZNS1_16scan_by_key_implILNS1_25lookback_scan_determinismE0ELb0ES3_N6thrust23THRUST_200600_302600_NS6detail15normal_iteratorINS9_10device_ptrIxEEEESE_SE_xNS9_4plusIvEENS9_8equal_toIvEExEE10hipError_tPvRmT2_T3_T4_T5_mT6_T7_P12ihipStream_tbENKUlT_T0_E_clISt17integral_constantIbLb0EESZ_EEDaSU_SV_EUlSU_E_NS1_11comp_targetILNS1_3genE10ELNS1_11target_archE1201ELNS1_3gpuE5ELNS1_3repE0EEENS1_30default_config_static_selectorELNS0_4arch9wavefront6targetE0EEEvT1_.private_seg_size, 0
	.set _ZN7rocprim17ROCPRIM_400000_NS6detail17trampoline_kernelINS0_14default_configENS1_27scan_by_key_config_selectorIxxEEZZNS1_16scan_by_key_implILNS1_25lookback_scan_determinismE0ELb0ES3_N6thrust23THRUST_200600_302600_NS6detail15normal_iteratorINS9_10device_ptrIxEEEESE_SE_xNS9_4plusIvEENS9_8equal_toIvEExEE10hipError_tPvRmT2_T3_T4_T5_mT6_T7_P12ihipStream_tbENKUlT_T0_E_clISt17integral_constantIbLb0EESZ_EEDaSU_SV_EUlSU_E_NS1_11comp_targetILNS1_3genE10ELNS1_11target_archE1201ELNS1_3gpuE5ELNS1_3repE0EEENS1_30default_config_static_selectorELNS0_4arch9wavefront6targetE0EEEvT1_.uses_vcc, 0
	.set _ZN7rocprim17ROCPRIM_400000_NS6detail17trampoline_kernelINS0_14default_configENS1_27scan_by_key_config_selectorIxxEEZZNS1_16scan_by_key_implILNS1_25lookback_scan_determinismE0ELb0ES3_N6thrust23THRUST_200600_302600_NS6detail15normal_iteratorINS9_10device_ptrIxEEEESE_SE_xNS9_4plusIvEENS9_8equal_toIvEExEE10hipError_tPvRmT2_T3_T4_T5_mT6_T7_P12ihipStream_tbENKUlT_T0_E_clISt17integral_constantIbLb0EESZ_EEDaSU_SV_EUlSU_E_NS1_11comp_targetILNS1_3genE10ELNS1_11target_archE1201ELNS1_3gpuE5ELNS1_3repE0EEENS1_30default_config_static_selectorELNS0_4arch9wavefront6targetE0EEEvT1_.uses_flat_scratch, 0
	.set _ZN7rocprim17ROCPRIM_400000_NS6detail17trampoline_kernelINS0_14default_configENS1_27scan_by_key_config_selectorIxxEEZZNS1_16scan_by_key_implILNS1_25lookback_scan_determinismE0ELb0ES3_N6thrust23THRUST_200600_302600_NS6detail15normal_iteratorINS9_10device_ptrIxEEEESE_SE_xNS9_4plusIvEENS9_8equal_toIvEExEE10hipError_tPvRmT2_T3_T4_T5_mT6_T7_P12ihipStream_tbENKUlT_T0_E_clISt17integral_constantIbLb0EESZ_EEDaSU_SV_EUlSU_E_NS1_11comp_targetILNS1_3genE10ELNS1_11target_archE1201ELNS1_3gpuE5ELNS1_3repE0EEENS1_30default_config_static_selectorELNS0_4arch9wavefront6targetE0EEEvT1_.has_dyn_sized_stack, 0
	.set _ZN7rocprim17ROCPRIM_400000_NS6detail17trampoline_kernelINS0_14default_configENS1_27scan_by_key_config_selectorIxxEEZZNS1_16scan_by_key_implILNS1_25lookback_scan_determinismE0ELb0ES3_N6thrust23THRUST_200600_302600_NS6detail15normal_iteratorINS9_10device_ptrIxEEEESE_SE_xNS9_4plusIvEENS9_8equal_toIvEExEE10hipError_tPvRmT2_T3_T4_T5_mT6_T7_P12ihipStream_tbENKUlT_T0_E_clISt17integral_constantIbLb0EESZ_EEDaSU_SV_EUlSU_E_NS1_11comp_targetILNS1_3genE10ELNS1_11target_archE1201ELNS1_3gpuE5ELNS1_3repE0EEENS1_30default_config_static_selectorELNS0_4arch9wavefront6targetE0EEEvT1_.has_recursion, 0
	.set _ZN7rocprim17ROCPRIM_400000_NS6detail17trampoline_kernelINS0_14default_configENS1_27scan_by_key_config_selectorIxxEEZZNS1_16scan_by_key_implILNS1_25lookback_scan_determinismE0ELb0ES3_N6thrust23THRUST_200600_302600_NS6detail15normal_iteratorINS9_10device_ptrIxEEEESE_SE_xNS9_4plusIvEENS9_8equal_toIvEExEE10hipError_tPvRmT2_T3_T4_T5_mT6_T7_P12ihipStream_tbENKUlT_T0_E_clISt17integral_constantIbLb0EESZ_EEDaSU_SV_EUlSU_E_NS1_11comp_targetILNS1_3genE10ELNS1_11target_archE1201ELNS1_3gpuE5ELNS1_3repE0EEENS1_30default_config_static_selectorELNS0_4arch9wavefront6targetE0EEEvT1_.has_indirect_call, 0
	.section	.AMDGPU.csdata,"",@progbits
; Kernel info:
; codeLenInByte = 0
; TotalNumSgprs: 0
; NumVgprs: 0
; ScratchSize: 0
; MemoryBound: 0
; FloatMode: 240
; IeeeMode: 1
; LDSByteSize: 0 bytes/workgroup (compile time only)
; SGPRBlocks: 0
; VGPRBlocks: 0
; NumSGPRsForWavesPerEU: 1
; NumVGPRsForWavesPerEU: 1
; Occupancy: 16
; WaveLimiterHint : 0
; COMPUTE_PGM_RSRC2:SCRATCH_EN: 0
; COMPUTE_PGM_RSRC2:USER_SGPR: 6
; COMPUTE_PGM_RSRC2:TRAP_HANDLER: 0
; COMPUTE_PGM_RSRC2:TGID_X_EN: 1
; COMPUTE_PGM_RSRC2:TGID_Y_EN: 0
; COMPUTE_PGM_RSRC2:TGID_Z_EN: 0
; COMPUTE_PGM_RSRC2:TIDIG_COMP_CNT: 0
	.section	.text._ZN7rocprim17ROCPRIM_400000_NS6detail17trampoline_kernelINS0_14default_configENS1_27scan_by_key_config_selectorIxxEEZZNS1_16scan_by_key_implILNS1_25lookback_scan_determinismE0ELb0ES3_N6thrust23THRUST_200600_302600_NS6detail15normal_iteratorINS9_10device_ptrIxEEEESE_SE_xNS9_4plusIvEENS9_8equal_toIvEExEE10hipError_tPvRmT2_T3_T4_T5_mT6_T7_P12ihipStream_tbENKUlT_T0_E_clISt17integral_constantIbLb0EESZ_EEDaSU_SV_EUlSU_E_NS1_11comp_targetILNS1_3genE5ELNS1_11target_archE942ELNS1_3gpuE9ELNS1_3repE0EEENS1_30default_config_static_selectorELNS0_4arch9wavefront6targetE0EEEvT1_,"axG",@progbits,_ZN7rocprim17ROCPRIM_400000_NS6detail17trampoline_kernelINS0_14default_configENS1_27scan_by_key_config_selectorIxxEEZZNS1_16scan_by_key_implILNS1_25lookback_scan_determinismE0ELb0ES3_N6thrust23THRUST_200600_302600_NS6detail15normal_iteratorINS9_10device_ptrIxEEEESE_SE_xNS9_4plusIvEENS9_8equal_toIvEExEE10hipError_tPvRmT2_T3_T4_T5_mT6_T7_P12ihipStream_tbENKUlT_T0_E_clISt17integral_constantIbLb0EESZ_EEDaSU_SV_EUlSU_E_NS1_11comp_targetILNS1_3genE5ELNS1_11target_archE942ELNS1_3gpuE9ELNS1_3repE0EEENS1_30default_config_static_selectorELNS0_4arch9wavefront6targetE0EEEvT1_,comdat
	.protected	_ZN7rocprim17ROCPRIM_400000_NS6detail17trampoline_kernelINS0_14default_configENS1_27scan_by_key_config_selectorIxxEEZZNS1_16scan_by_key_implILNS1_25lookback_scan_determinismE0ELb0ES3_N6thrust23THRUST_200600_302600_NS6detail15normal_iteratorINS9_10device_ptrIxEEEESE_SE_xNS9_4plusIvEENS9_8equal_toIvEExEE10hipError_tPvRmT2_T3_T4_T5_mT6_T7_P12ihipStream_tbENKUlT_T0_E_clISt17integral_constantIbLb0EESZ_EEDaSU_SV_EUlSU_E_NS1_11comp_targetILNS1_3genE5ELNS1_11target_archE942ELNS1_3gpuE9ELNS1_3repE0EEENS1_30default_config_static_selectorELNS0_4arch9wavefront6targetE0EEEvT1_ ; -- Begin function _ZN7rocprim17ROCPRIM_400000_NS6detail17trampoline_kernelINS0_14default_configENS1_27scan_by_key_config_selectorIxxEEZZNS1_16scan_by_key_implILNS1_25lookback_scan_determinismE0ELb0ES3_N6thrust23THRUST_200600_302600_NS6detail15normal_iteratorINS9_10device_ptrIxEEEESE_SE_xNS9_4plusIvEENS9_8equal_toIvEExEE10hipError_tPvRmT2_T3_T4_T5_mT6_T7_P12ihipStream_tbENKUlT_T0_E_clISt17integral_constantIbLb0EESZ_EEDaSU_SV_EUlSU_E_NS1_11comp_targetILNS1_3genE5ELNS1_11target_archE942ELNS1_3gpuE9ELNS1_3repE0EEENS1_30default_config_static_selectorELNS0_4arch9wavefront6targetE0EEEvT1_
	.globl	_ZN7rocprim17ROCPRIM_400000_NS6detail17trampoline_kernelINS0_14default_configENS1_27scan_by_key_config_selectorIxxEEZZNS1_16scan_by_key_implILNS1_25lookback_scan_determinismE0ELb0ES3_N6thrust23THRUST_200600_302600_NS6detail15normal_iteratorINS9_10device_ptrIxEEEESE_SE_xNS9_4plusIvEENS9_8equal_toIvEExEE10hipError_tPvRmT2_T3_T4_T5_mT6_T7_P12ihipStream_tbENKUlT_T0_E_clISt17integral_constantIbLb0EESZ_EEDaSU_SV_EUlSU_E_NS1_11comp_targetILNS1_3genE5ELNS1_11target_archE942ELNS1_3gpuE9ELNS1_3repE0EEENS1_30default_config_static_selectorELNS0_4arch9wavefront6targetE0EEEvT1_
	.p2align	8
	.type	_ZN7rocprim17ROCPRIM_400000_NS6detail17trampoline_kernelINS0_14default_configENS1_27scan_by_key_config_selectorIxxEEZZNS1_16scan_by_key_implILNS1_25lookback_scan_determinismE0ELb0ES3_N6thrust23THRUST_200600_302600_NS6detail15normal_iteratorINS9_10device_ptrIxEEEESE_SE_xNS9_4plusIvEENS9_8equal_toIvEExEE10hipError_tPvRmT2_T3_T4_T5_mT6_T7_P12ihipStream_tbENKUlT_T0_E_clISt17integral_constantIbLb0EESZ_EEDaSU_SV_EUlSU_E_NS1_11comp_targetILNS1_3genE5ELNS1_11target_archE942ELNS1_3gpuE9ELNS1_3repE0EEENS1_30default_config_static_selectorELNS0_4arch9wavefront6targetE0EEEvT1_,@function
_ZN7rocprim17ROCPRIM_400000_NS6detail17trampoline_kernelINS0_14default_configENS1_27scan_by_key_config_selectorIxxEEZZNS1_16scan_by_key_implILNS1_25lookback_scan_determinismE0ELb0ES3_N6thrust23THRUST_200600_302600_NS6detail15normal_iteratorINS9_10device_ptrIxEEEESE_SE_xNS9_4plusIvEENS9_8equal_toIvEExEE10hipError_tPvRmT2_T3_T4_T5_mT6_T7_P12ihipStream_tbENKUlT_T0_E_clISt17integral_constantIbLb0EESZ_EEDaSU_SV_EUlSU_E_NS1_11comp_targetILNS1_3genE5ELNS1_11target_archE942ELNS1_3gpuE9ELNS1_3repE0EEENS1_30default_config_static_selectorELNS0_4arch9wavefront6targetE0EEEvT1_: ; @_ZN7rocprim17ROCPRIM_400000_NS6detail17trampoline_kernelINS0_14default_configENS1_27scan_by_key_config_selectorIxxEEZZNS1_16scan_by_key_implILNS1_25lookback_scan_determinismE0ELb0ES3_N6thrust23THRUST_200600_302600_NS6detail15normal_iteratorINS9_10device_ptrIxEEEESE_SE_xNS9_4plusIvEENS9_8equal_toIvEExEE10hipError_tPvRmT2_T3_T4_T5_mT6_T7_P12ihipStream_tbENKUlT_T0_E_clISt17integral_constantIbLb0EESZ_EEDaSU_SV_EUlSU_E_NS1_11comp_targetILNS1_3genE5ELNS1_11target_archE942ELNS1_3gpuE9ELNS1_3repE0EEENS1_30default_config_static_selectorELNS0_4arch9wavefront6targetE0EEEvT1_
; %bb.0:
	.section	.rodata,"a",@progbits
	.p2align	6, 0x0
	.amdhsa_kernel _ZN7rocprim17ROCPRIM_400000_NS6detail17trampoline_kernelINS0_14default_configENS1_27scan_by_key_config_selectorIxxEEZZNS1_16scan_by_key_implILNS1_25lookback_scan_determinismE0ELb0ES3_N6thrust23THRUST_200600_302600_NS6detail15normal_iteratorINS9_10device_ptrIxEEEESE_SE_xNS9_4plusIvEENS9_8equal_toIvEExEE10hipError_tPvRmT2_T3_T4_T5_mT6_T7_P12ihipStream_tbENKUlT_T0_E_clISt17integral_constantIbLb0EESZ_EEDaSU_SV_EUlSU_E_NS1_11comp_targetILNS1_3genE5ELNS1_11target_archE942ELNS1_3gpuE9ELNS1_3repE0EEENS1_30default_config_static_selectorELNS0_4arch9wavefront6targetE0EEEvT1_
		.amdhsa_group_segment_fixed_size 0
		.amdhsa_private_segment_fixed_size 0
		.amdhsa_kernarg_size 136
		.amdhsa_user_sgpr_count 6
		.amdhsa_user_sgpr_private_segment_buffer 1
		.amdhsa_user_sgpr_dispatch_ptr 0
		.amdhsa_user_sgpr_queue_ptr 0
		.amdhsa_user_sgpr_kernarg_segment_ptr 1
		.amdhsa_user_sgpr_dispatch_id 0
		.amdhsa_user_sgpr_flat_scratch_init 0
		.amdhsa_user_sgpr_private_segment_size 0
		.amdhsa_wavefront_size32 1
		.amdhsa_uses_dynamic_stack 0
		.amdhsa_system_sgpr_private_segment_wavefront_offset 0
		.amdhsa_system_sgpr_workgroup_id_x 1
		.amdhsa_system_sgpr_workgroup_id_y 0
		.amdhsa_system_sgpr_workgroup_id_z 0
		.amdhsa_system_sgpr_workgroup_info 0
		.amdhsa_system_vgpr_workitem_id 0
		.amdhsa_next_free_vgpr 1
		.amdhsa_next_free_sgpr 1
		.amdhsa_reserve_vcc 0
		.amdhsa_reserve_flat_scratch 0
		.amdhsa_float_round_mode_32 0
		.amdhsa_float_round_mode_16_64 0
		.amdhsa_float_denorm_mode_32 3
		.amdhsa_float_denorm_mode_16_64 3
		.amdhsa_dx10_clamp 1
		.amdhsa_ieee_mode 1
		.amdhsa_fp16_overflow 0
		.amdhsa_workgroup_processor_mode 1
		.amdhsa_memory_ordered 1
		.amdhsa_forward_progress 1
		.amdhsa_shared_vgpr_count 0
		.amdhsa_exception_fp_ieee_invalid_op 0
		.amdhsa_exception_fp_denorm_src 0
		.amdhsa_exception_fp_ieee_div_zero 0
		.amdhsa_exception_fp_ieee_overflow 0
		.amdhsa_exception_fp_ieee_underflow 0
		.amdhsa_exception_fp_ieee_inexact 0
		.amdhsa_exception_int_div_zero 0
	.end_amdhsa_kernel
	.section	.text._ZN7rocprim17ROCPRIM_400000_NS6detail17trampoline_kernelINS0_14default_configENS1_27scan_by_key_config_selectorIxxEEZZNS1_16scan_by_key_implILNS1_25lookback_scan_determinismE0ELb0ES3_N6thrust23THRUST_200600_302600_NS6detail15normal_iteratorINS9_10device_ptrIxEEEESE_SE_xNS9_4plusIvEENS9_8equal_toIvEExEE10hipError_tPvRmT2_T3_T4_T5_mT6_T7_P12ihipStream_tbENKUlT_T0_E_clISt17integral_constantIbLb0EESZ_EEDaSU_SV_EUlSU_E_NS1_11comp_targetILNS1_3genE5ELNS1_11target_archE942ELNS1_3gpuE9ELNS1_3repE0EEENS1_30default_config_static_selectorELNS0_4arch9wavefront6targetE0EEEvT1_,"axG",@progbits,_ZN7rocprim17ROCPRIM_400000_NS6detail17trampoline_kernelINS0_14default_configENS1_27scan_by_key_config_selectorIxxEEZZNS1_16scan_by_key_implILNS1_25lookback_scan_determinismE0ELb0ES3_N6thrust23THRUST_200600_302600_NS6detail15normal_iteratorINS9_10device_ptrIxEEEESE_SE_xNS9_4plusIvEENS9_8equal_toIvEExEE10hipError_tPvRmT2_T3_T4_T5_mT6_T7_P12ihipStream_tbENKUlT_T0_E_clISt17integral_constantIbLb0EESZ_EEDaSU_SV_EUlSU_E_NS1_11comp_targetILNS1_3genE5ELNS1_11target_archE942ELNS1_3gpuE9ELNS1_3repE0EEENS1_30default_config_static_selectorELNS0_4arch9wavefront6targetE0EEEvT1_,comdat
.Lfunc_end7:
	.size	_ZN7rocprim17ROCPRIM_400000_NS6detail17trampoline_kernelINS0_14default_configENS1_27scan_by_key_config_selectorIxxEEZZNS1_16scan_by_key_implILNS1_25lookback_scan_determinismE0ELb0ES3_N6thrust23THRUST_200600_302600_NS6detail15normal_iteratorINS9_10device_ptrIxEEEESE_SE_xNS9_4plusIvEENS9_8equal_toIvEExEE10hipError_tPvRmT2_T3_T4_T5_mT6_T7_P12ihipStream_tbENKUlT_T0_E_clISt17integral_constantIbLb0EESZ_EEDaSU_SV_EUlSU_E_NS1_11comp_targetILNS1_3genE5ELNS1_11target_archE942ELNS1_3gpuE9ELNS1_3repE0EEENS1_30default_config_static_selectorELNS0_4arch9wavefront6targetE0EEEvT1_, .Lfunc_end7-_ZN7rocprim17ROCPRIM_400000_NS6detail17trampoline_kernelINS0_14default_configENS1_27scan_by_key_config_selectorIxxEEZZNS1_16scan_by_key_implILNS1_25lookback_scan_determinismE0ELb0ES3_N6thrust23THRUST_200600_302600_NS6detail15normal_iteratorINS9_10device_ptrIxEEEESE_SE_xNS9_4plusIvEENS9_8equal_toIvEExEE10hipError_tPvRmT2_T3_T4_T5_mT6_T7_P12ihipStream_tbENKUlT_T0_E_clISt17integral_constantIbLb0EESZ_EEDaSU_SV_EUlSU_E_NS1_11comp_targetILNS1_3genE5ELNS1_11target_archE942ELNS1_3gpuE9ELNS1_3repE0EEENS1_30default_config_static_selectorELNS0_4arch9wavefront6targetE0EEEvT1_
                                        ; -- End function
	.set _ZN7rocprim17ROCPRIM_400000_NS6detail17trampoline_kernelINS0_14default_configENS1_27scan_by_key_config_selectorIxxEEZZNS1_16scan_by_key_implILNS1_25lookback_scan_determinismE0ELb0ES3_N6thrust23THRUST_200600_302600_NS6detail15normal_iteratorINS9_10device_ptrIxEEEESE_SE_xNS9_4plusIvEENS9_8equal_toIvEExEE10hipError_tPvRmT2_T3_T4_T5_mT6_T7_P12ihipStream_tbENKUlT_T0_E_clISt17integral_constantIbLb0EESZ_EEDaSU_SV_EUlSU_E_NS1_11comp_targetILNS1_3genE5ELNS1_11target_archE942ELNS1_3gpuE9ELNS1_3repE0EEENS1_30default_config_static_selectorELNS0_4arch9wavefront6targetE0EEEvT1_.num_vgpr, 0
	.set _ZN7rocprim17ROCPRIM_400000_NS6detail17trampoline_kernelINS0_14default_configENS1_27scan_by_key_config_selectorIxxEEZZNS1_16scan_by_key_implILNS1_25lookback_scan_determinismE0ELb0ES3_N6thrust23THRUST_200600_302600_NS6detail15normal_iteratorINS9_10device_ptrIxEEEESE_SE_xNS9_4plusIvEENS9_8equal_toIvEExEE10hipError_tPvRmT2_T3_T4_T5_mT6_T7_P12ihipStream_tbENKUlT_T0_E_clISt17integral_constantIbLb0EESZ_EEDaSU_SV_EUlSU_E_NS1_11comp_targetILNS1_3genE5ELNS1_11target_archE942ELNS1_3gpuE9ELNS1_3repE0EEENS1_30default_config_static_selectorELNS0_4arch9wavefront6targetE0EEEvT1_.num_agpr, 0
	.set _ZN7rocprim17ROCPRIM_400000_NS6detail17trampoline_kernelINS0_14default_configENS1_27scan_by_key_config_selectorIxxEEZZNS1_16scan_by_key_implILNS1_25lookback_scan_determinismE0ELb0ES3_N6thrust23THRUST_200600_302600_NS6detail15normal_iteratorINS9_10device_ptrIxEEEESE_SE_xNS9_4plusIvEENS9_8equal_toIvEExEE10hipError_tPvRmT2_T3_T4_T5_mT6_T7_P12ihipStream_tbENKUlT_T0_E_clISt17integral_constantIbLb0EESZ_EEDaSU_SV_EUlSU_E_NS1_11comp_targetILNS1_3genE5ELNS1_11target_archE942ELNS1_3gpuE9ELNS1_3repE0EEENS1_30default_config_static_selectorELNS0_4arch9wavefront6targetE0EEEvT1_.numbered_sgpr, 0
	.set _ZN7rocprim17ROCPRIM_400000_NS6detail17trampoline_kernelINS0_14default_configENS1_27scan_by_key_config_selectorIxxEEZZNS1_16scan_by_key_implILNS1_25lookback_scan_determinismE0ELb0ES3_N6thrust23THRUST_200600_302600_NS6detail15normal_iteratorINS9_10device_ptrIxEEEESE_SE_xNS9_4plusIvEENS9_8equal_toIvEExEE10hipError_tPvRmT2_T3_T4_T5_mT6_T7_P12ihipStream_tbENKUlT_T0_E_clISt17integral_constantIbLb0EESZ_EEDaSU_SV_EUlSU_E_NS1_11comp_targetILNS1_3genE5ELNS1_11target_archE942ELNS1_3gpuE9ELNS1_3repE0EEENS1_30default_config_static_selectorELNS0_4arch9wavefront6targetE0EEEvT1_.num_named_barrier, 0
	.set _ZN7rocprim17ROCPRIM_400000_NS6detail17trampoline_kernelINS0_14default_configENS1_27scan_by_key_config_selectorIxxEEZZNS1_16scan_by_key_implILNS1_25lookback_scan_determinismE0ELb0ES3_N6thrust23THRUST_200600_302600_NS6detail15normal_iteratorINS9_10device_ptrIxEEEESE_SE_xNS9_4plusIvEENS9_8equal_toIvEExEE10hipError_tPvRmT2_T3_T4_T5_mT6_T7_P12ihipStream_tbENKUlT_T0_E_clISt17integral_constantIbLb0EESZ_EEDaSU_SV_EUlSU_E_NS1_11comp_targetILNS1_3genE5ELNS1_11target_archE942ELNS1_3gpuE9ELNS1_3repE0EEENS1_30default_config_static_selectorELNS0_4arch9wavefront6targetE0EEEvT1_.private_seg_size, 0
	.set _ZN7rocprim17ROCPRIM_400000_NS6detail17trampoline_kernelINS0_14default_configENS1_27scan_by_key_config_selectorIxxEEZZNS1_16scan_by_key_implILNS1_25lookback_scan_determinismE0ELb0ES3_N6thrust23THRUST_200600_302600_NS6detail15normal_iteratorINS9_10device_ptrIxEEEESE_SE_xNS9_4plusIvEENS9_8equal_toIvEExEE10hipError_tPvRmT2_T3_T4_T5_mT6_T7_P12ihipStream_tbENKUlT_T0_E_clISt17integral_constantIbLb0EESZ_EEDaSU_SV_EUlSU_E_NS1_11comp_targetILNS1_3genE5ELNS1_11target_archE942ELNS1_3gpuE9ELNS1_3repE0EEENS1_30default_config_static_selectorELNS0_4arch9wavefront6targetE0EEEvT1_.uses_vcc, 0
	.set _ZN7rocprim17ROCPRIM_400000_NS6detail17trampoline_kernelINS0_14default_configENS1_27scan_by_key_config_selectorIxxEEZZNS1_16scan_by_key_implILNS1_25lookback_scan_determinismE0ELb0ES3_N6thrust23THRUST_200600_302600_NS6detail15normal_iteratorINS9_10device_ptrIxEEEESE_SE_xNS9_4plusIvEENS9_8equal_toIvEExEE10hipError_tPvRmT2_T3_T4_T5_mT6_T7_P12ihipStream_tbENKUlT_T0_E_clISt17integral_constantIbLb0EESZ_EEDaSU_SV_EUlSU_E_NS1_11comp_targetILNS1_3genE5ELNS1_11target_archE942ELNS1_3gpuE9ELNS1_3repE0EEENS1_30default_config_static_selectorELNS0_4arch9wavefront6targetE0EEEvT1_.uses_flat_scratch, 0
	.set _ZN7rocprim17ROCPRIM_400000_NS6detail17trampoline_kernelINS0_14default_configENS1_27scan_by_key_config_selectorIxxEEZZNS1_16scan_by_key_implILNS1_25lookback_scan_determinismE0ELb0ES3_N6thrust23THRUST_200600_302600_NS6detail15normal_iteratorINS9_10device_ptrIxEEEESE_SE_xNS9_4plusIvEENS9_8equal_toIvEExEE10hipError_tPvRmT2_T3_T4_T5_mT6_T7_P12ihipStream_tbENKUlT_T0_E_clISt17integral_constantIbLb0EESZ_EEDaSU_SV_EUlSU_E_NS1_11comp_targetILNS1_3genE5ELNS1_11target_archE942ELNS1_3gpuE9ELNS1_3repE0EEENS1_30default_config_static_selectorELNS0_4arch9wavefront6targetE0EEEvT1_.has_dyn_sized_stack, 0
	.set _ZN7rocprim17ROCPRIM_400000_NS6detail17trampoline_kernelINS0_14default_configENS1_27scan_by_key_config_selectorIxxEEZZNS1_16scan_by_key_implILNS1_25lookback_scan_determinismE0ELb0ES3_N6thrust23THRUST_200600_302600_NS6detail15normal_iteratorINS9_10device_ptrIxEEEESE_SE_xNS9_4plusIvEENS9_8equal_toIvEExEE10hipError_tPvRmT2_T3_T4_T5_mT6_T7_P12ihipStream_tbENKUlT_T0_E_clISt17integral_constantIbLb0EESZ_EEDaSU_SV_EUlSU_E_NS1_11comp_targetILNS1_3genE5ELNS1_11target_archE942ELNS1_3gpuE9ELNS1_3repE0EEENS1_30default_config_static_selectorELNS0_4arch9wavefront6targetE0EEEvT1_.has_recursion, 0
	.set _ZN7rocprim17ROCPRIM_400000_NS6detail17trampoline_kernelINS0_14default_configENS1_27scan_by_key_config_selectorIxxEEZZNS1_16scan_by_key_implILNS1_25lookback_scan_determinismE0ELb0ES3_N6thrust23THRUST_200600_302600_NS6detail15normal_iteratorINS9_10device_ptrIxEEEESE_SE_xNS9_4plusIvEENS9_8equal_toIvEExEE10hipError_tPvRmT2_T3_T4_T5_mT6_T7_P12ihipStream_tbENKUlT_T0_E_clISt17integral_constantIbLb0EESZ_EEDaSU_SV_EUlSU_E_NS1_11comp_targetILNS1_3genE5ELNS1_11target_archE942ELNS1_3gpuE9ELNS1_3repE0EEENS1_30default_config_static_selectorELNS0_4arch9wavefront6targetE0EEEvT1_.has_indirect_call, 0
	.section	.AMDGPU.csdata,"",@progbits
; Kernel info:
; codeLenInByte = 0
; TotalNumSgprs: 0
; NumVgprs: 0
; ScratchSize: 0
; MemoryBound: 0
; FloatMode: 240
; IeeeMode: 1
; LDSByteSize: 0 bytes/workgroup (compile time only)
; SGPRBlocks: 0
; VGPRBlocks: 0
; NumSGPRsForWavesPerEU: 1
; NumVGPRsForWavesPerEU: 1
; Occupancy: 16
; WaveLimiterHint : 0
; COMPUTE_PGM_RSRC2:SCRATCH_EN: 0
; COMPUTE_PGM_RSRC2:USER_SGPR: 6
; COMPUTE_PGM_RSRC2:TRAP_HANDLER: 0
; COMPUTE_PGM_RSRC2:TGID_X_EN: 1
; COMPUTE_PGM_RSRC2:TGID_Y_EN: 0
; COMPUTE_PGM_RSRC2:TGID_Z_EN: 0
; COMPUTE_PGM_RSRC2:TIDIG_COMP_CNT: 0
	.section	.text._ZN7rocprim17ROCPRIM_400000_NS6detail17trampoline_kernelINS0_14default_configENS1_27scan_by_key_config_selectorIxxEEZZNS1_16scan_by_key_implILNS1_25lookback_scan_determinismE0ELb0ES3_N6thrust23THRUST_200600_302600_NS6detail15normal_iteratorINS9_10device_ptrIxEEEESE_SE_xNS9_4plusIvEENS9_8equal_toIvEExEE10hipError_tPvRmT2_T3_T4_T5_mT6_T7_P12ihipStream_tbENKUlT_T0_E_clISt17integral_constantIbLb0EESZ_EEDaSU_SV_EUlSU_E_NS1_11comp_targetILNS1_3genE4ELNS1_11target_archE910ELNS1_3gpuE8ELNS1_3repE0EEENS1_30default_config_static_selectorELNS0_4arch9wavefront6targetE0EEEvT1_,"axG",@progbits,_ZN7rocprim17ROCPRIM_400000_NS6detail17trampoline_kernelINS0_14default_configENS1_27scan_by_key_config_selectorIxxEEZZNS1_16scan_by_key_implILNS1_25lookback_scan_determinismE0ELb0ES3_N6thrust23THRUST_200600_302600_NS6detail15normal_iteratorINS9_10device_ptrIxEEEESE_SE_xNS9_4plusIvEENS9_8equal_toIvEExEE10hipError_tPvRmT2_T3_T4_T5_mT6_T7_P12ihipStream_tbENKUlT_T0_E_clISt17integral_constantIbLb0EESZ_EEDaSU_SV_EUlSU_E_NS1_11comp_targetILNS1_3genE4ELNS1_11target_archE910ELNS1_3gpuE8ELNS1_3repE0EEENS1_30default_config_static_selectorELNS0_4arch9wavefront6targetE0EEEvT1_,comdat
	.protected	_ZN7rocprim17ROCPRIM_400000_NS6detail17trampoline_kernelINS0_14default_configENS1_27scan_by_key_config_selectorIxxEEZZNS1_16scan_by_key_implILNS1_25lookback_scan_determinismE0ELb0ES3_N6thrust23THRUST_200600_302600_NS6detail15normal_iteratorINS9_10device_ptrIxEEEESE_SE_xNS9_4plusIvEENS9_8equal_toIvEExEE10hipError_tPvRmT2_T3_T4_T5_mT6_T7_P12ihipStream_tbENKUlT_T0_E_clISt17integral_constantIbLb0EESZ_EEDaSU_SV_EUlSU_E_NS1_11comp_targetILNS1_3genE4ELNS1_11target_archE910ELNS1_3gpuE8ELNS1_3repE0EEENS1_30default_config_static_selectorELNS0_4arch9wavefront6targetE0EEEvT1_ ; -- Begin function _ZN7rocprim17ROCPRIM_400000_NS6detail17trampoline_kernelINS0_14default_configENS1_27scan_by_key_config_selectorIxxEEZZNS1_16scan_by_key_implILNS1_25lookback_scan_determinismE0ELb0ES3_N6thrust23THRUST_200600_302600_NS6detail15normal_iteratorINS9_10device_ptrIxEEEESE_SE_xNS9_4plusIvEENS9_8equal_toIvEExEE10hipError_tPvRmT2_T3_T4_T5_mT6_T7_P12ihipStream_tbENKUlT_T0_E_clISt17integral_constantIbLb0EESZ_EEDaSU_SV_EUlSU_E_NS1_11comp_targetILNS1_3genE4ELNS1_11target_archE910ELNS1_3gpuE8ELNS1_3repE0EEENS1_30default_config_static_selectorELNS0_4arch9wavefront6targetE0EEEvT1_
	.globl	_ZN7rocprim17ROCPRIM_400000_NS6detail17trampoline_kernelINS0_14default_configENS1_27scan_by_key_config_selectorIxxEEZZNS1_16scan_by_key_implILNS1_25lookback_scan_determinismE0ELb0ES3_N6thrust23THRUST_200600_302600_NS6detail15normal_iteratorINS9_10device_ptrIxEEEESE_SE_xNS9_4plusIvEENS9_8equal_toIvEExEE10hipError_tPvRmT2_T3_T4_T5_mT6_T7_P12ihipStream_tbENKUlT_T0_E_clISt17integral_constantIbLb0EESZ_EEDaSU_SV_EUlSU_E_NS1_11comp_targetILNS1_3genE4ELNS1_11target_archE910ELNS1_3gpuE8ELNS1_3repE0EEENS1_30default_config_static_selectorELNS0_4arch9wavefront6targetE0EEEvT1_
	.p2align	8
	.type	_ZN7rocprim17ROCPRIM_400000_NS6detail17trampoline_kernelINS0_14default_configENS1_27scan_by_key_config_selectorIxxEEZZNS1_16scan_by_key_implILNS1_25lookback_scan_determinismE0ELb0ES3_N6thrust23THRUST_200600_302600_NS6detail15normal_iteratorINS9_10device_ptrIxEEEESE_SE_xNS9_4plusIvEENS9_8equal_toIvEExEE10hipError_tPvRmT2_T3_T4_T5_mT6_T7_P12ihipStream_tbENKUlT_T0_E_clISt17integral_constantIbLb0EESZ_EEDaSU_SV_EUlSU_E_NS1_11comp_targetILNS1_3genE4ELNS1_11target_archE910ELNS1_3gpuE8ELNS1_3repE0EEENS1_30default_config_static_selectorELNS0_4arch9wavefront6targetE0EEEvT1_,@function
_ZN7rocprim17ROCPRIM_400000_NS6detail17trampoline_kernelINS0_14default_configENS1_27scan_by_key_config_selectorIxxEEZZNS1_16scan_by_key_implILNS1_25lookback_scan_determinismE0ELb0ES3_N6thrust23THRUST_200600_302600_NS6detail15normal_iteratorINS9_10device_ptrIxEEEESE_SE_xNS9_4plusIvEENS9_8equal_toIvEExEE10hipError_tPvRmT2_T3_T4_T5_mT6_T7_P12ihipStream_tbENKUlT_T0_E_clISt17integral_constantIbLb0EESZ_EEDaSU_SV_EUlSU_E_NS1_11comp_targetILNS1_3genE4ELNS1_11target_archE910ELNS1_3gpuE8ELNS1_3repE0EEENS1_30default_config_static_selectorELNS0_4arch9wavefront6targetE0EEEvT1_: ; @_ZN7rocprim17ROCPRIM_400000_NS6detail17trampoline_kernelINS0_14default_configENS1_27scan_by_key_config_selectorIxxEEZZNS1_16scan_by_key_implILNS1_25lookback_scan_determinismE0ELb0ES3_N6thrust23THRUST_200600_302600_NS6detail15normal_iteratorINS9_10device_ptrIxEEEESE_SE_xNS9_4plusIvEENS9_8equal_toIvEExEE10hipError_tPvRmT2_T3_T4_T5_mT6_T7_P12ihipStream_tbENKUlT_T0_E_clISt17integral_constantIbLb0EESZ_EEDaSU_SV_EUlSU_E_NS1_11comp_targetILNS1_3genE4ELNS1_11target_archE910ELNS1_3gpuE8ELNS1_3repE0EEENS1_30default_config_static_selectorELNS0_4arch9wavefront6targetE0EEEvT1_
; %bb.0:
	.section	.rodata,"a",@progbits
	.p2align	6, 0x0
	.amdhsa_kernel _ZN7rocprim17ROCPRIM_400000_NS6detail17trampoline_kernelINS0_14default_configENS1_27scan_by_key_config_selectorIxxEEZZNS1_16scan_by_key_implILNS1_25lookback_scan_determinismE0ELb0ES3_N6thrust23THRUST_200600_302600_NS6detail15normal_iteratorINS9_10device_ptrIxEEEESE_SE_xNS9_4plusIvEENS9_8equal_toIvEExEE10hipError_tPvRmT2_T3_T4_T5_mT6_T7_P12ihipStream_tbENKUlT_T0_E_clISt17integral_constantIbLb0EESZ_EEDaSU_SV_EUlSU_E_NS1_11comp_targetILNS1_3genE4ELNS1_11target_archE910ELNS1_3gpuE8ELNS1_3repE0EEENS1_30default_config_static_selectorELNS0_4arch9wavefront6targetE0EEEvT1_
		.amdhsa_group_segment_fixed_size 0
		.amdhsa_private_segment_fixed_size 0
		.amdhsa_kernarg_size 136
		.amdhsa_user_sgpr_count 6
		.amdhsa_user_sgpr_private_segment_buffer 1
		.amdhsa_user_sgpr_dispatch_ptr 0
		.amdhsa_user_sgpr_queue_ptr 0
		.amdhsa_user_sgpr_kernarg_segment_ptr 1
		.amdhsa_user_sgpr_dispatch_id 0
		.amdhsa_user_sgpr_flat_scratch_init 0
		.amdhsa_user_sgpr_private_segment_size 0
		.amdhsa_wavefront_size32 1
		.amdhsa_uses_dynamic_stack 0
		.amdhsa_system_sgpr_private_segment_wavefront_offset 0
		.amdhsa_system_sgpr_workgroup_id_x 1
		.amdhsa_system_sgpr_workgroup_id_y 0
		.amdhsa_system_sgpr_workgroup_id_z 0
		.amdhsa_system_sgpr_workgroup_info 0
		.amdhsa_system_vgpr_workitem_id 0
		.amdhsa_next_free_vgpr 1
		.amdhsa_next_free_sgpr 1
		.amdhsa_reserve_vcc 0
		.amdhsa_reserve_flat_scratch 0
		.amdhsa_float_round_mode_32 0
		.amdhsa_float_round_mode_16_64 0
		.amdhsa_float_denorm_mode_32 3
		.amdhsa_float_denorm_mode_16_64 3
		.amdhsa_dx10_clamp 1
		.amdhsa_ieee_mode 1
		.amdhsa_fp16_overflow 0
		.amdhsa_workgroup_processor_mode 1
		.amdhsa_memory_ordered 1
		.amdhsa_forward_progress 1
		.amdhsa_shared_vgpr_count 0
		.amdhsa_exception_fp_ieee_invalid_op 0
		.amdhsa_exception_fp_denorm_src 0
		.amdhsa_exception_fp_ieee_div_zero 0
		.amdhsa_exception_fp_ieee_overflow 0
		.amdhsa_exception_fp_ieee_underflow 0
		.amdhsa_exception_fp_ieee_inexact 0
		.amdhsa_exception_int_div_zero 0
	.end_amdhsa_kernel
	.section	.text._ZN7rocprim17ROCPRIM_400000_NS6detail17trampoline_kernelINS0_14default_configENS1_27scan_by_key_config_selectorIxxEEZZNS1_16scan_by_key_implILNS1_25lookback_scan_determinismE0ELb0ES3_N6thrust23THRUST_200600_302600_NS6detail15normal_iteratorINS9_10device_ptrIxEEEESE_SE_xNS9_4plusIvEENS9_8equal_toIvEExEE10hipError_tPvRmT2_T3_T4_T5_mT6_T7_P12ihipStream_tbENKUlT_T0_E_clISt17integral_constantIbLb0EESZ_EEDaSU_SV_EUlSU_E_NS1_11comp_targetILNS1_3genE4ELNS1_11target_archE910ELNS1_3gpuE8ELNS1_3repE0EEENS1_30default_config_static_selectorELNS0_4arch9wavefront6targetE0EEEvT1_,"axG",@progbits,_ZN7rocprim17ROCPRIM_400000_NS6detail17trampoline_kernelINS0_14default_configENS1_27scan_by_key_config_selectorIxxEEZZNS1_16scan_by_key_implILNS1_25lookback_scan_determinismE0ELb0ES3_N6thrust23THRUST_200600_302600_NS6detail15normal_iteratorINS9_10device_ptrIxEEEESE_SE_xNS9_4plusIvEENS9_8equal_toIvEExEE10hipError_tPvRmT2_T3_T4_T5_mT6_T7_P12ihipStream_tbENKUlT_T0_E_clISt17integral_constantIbLb0EESZ_EEDaSU_SV_EUlSU_E_NS1_11comp_targetILNS1_3genE4ELNS1_11target_archE910ELNS1_3gpuE8ELNS1_3repE0EEENS1_30default_config_static_selectorELNS0_4arch9wavefront6targetE0EEEvT1_,comdat
.Lfunc_end8:
	.size	_ZN7rocprim17ROCPRIM_400000_NS6detail17trampoline_kernelINS0_14default_configENS1_27scan_by_key_config_selectorIxxEEZZNS1_16scan_by_key_implILNS1_25lookback_scan_determinismE0ELb0ES3_N6thrust23THRUST_200600_302600_NS6detail15normal_iteratorINS9_10device_ptrIxEEEESE_SE_xNS9_4plusIvEENS9_8equal_toIvEExEE10hipError_tPvRmT2_T3_T4_T5_mT6_T7_P12ihipStream_tbENKUlT_T0_E_clISt17integral_constantIbLb0EESZ_EEDaSU_SV_EUlSU_E_NS1_11comp_targetILNS1_3genE4ELNS1_11target_archE910ELNS1_3gpuE8ELNS1_3repE0EEENS1_30default_config_static_selectorELNS0_4arch9wavefront6targetE0EEEvT1_, .Lfunc_end8-_ZN7rocprim17ROCPRIM_400000_NS6detail17trampoline_kernelINS0_14default_configENS1_27scan_by_key_config_selectorIxxEEZZNS1_16scan_by_key_implILNS1_25lookback_scan_determinismE0ELb0ES3_N6thrust23THRUST_200600_302600_NS6detail15normal_iteratorINS9_10device_ptrIxEEEESE_SE_xNS9_4plusIvEENS9_8equal_toIvEExEE10hipError_tPvRmT2_T3_T4_T5_mT6_T7_P12ihipStream_tbENKUlT_T0_E_clISt17integral_constantIbLb0EESZ_EEDaSU_SV_EUlSU_E_NS1_11comp_targetILNS1_3genE4ELNS1_11target_archE910ELNS1_3gpuE8ELNS1_3repE0EEENS1_30default_config_static_selectorELNS0_4arch9wavefront6targetE0EEEvT1_
                                        ; -- End function
	.set _ZN7rocprim17ROCPRIM_400000_NS6detail17trampoline_kernelINS0_14default_configENS1_27scan_by_key_config_selectorIxxEEZZNS1_16scan_by_key_implILNS1_25lookback_scan_determinismE0ELb0ES3_N6thrust23THRUST_200600_302600_NS6detail15normal_iteratorINS9_10device_ptrIxEEEESE_SE_xNS9_4plusIvEENS9_8equal_toIvEExEE10hipError_tPvRmT2_T3_T4_T5_mT6_T7_P12ihipStream_tbENKUlT_T0_E_clISt17integral_constantIbLb0EESZ_EEDaSU_SV_EUlSU_E_NS1_11comp_targetILNS1_3genE4ELNS1_11target_archE910ELNS1_3gpuE8ELNS1_3repE0EEENS1_30default_config_static_selectorELNS0_4arch9wavefront6targetE0EEEvT1_.num_vgpr, 0
	.set _ZN7rocprim17ROCPRIM_400000_NS6detail17trampoline_kernelINS0_14default_configENS1_27scan_by_key_config_selectorIxxEEZZNS1_16scan_by_key_implILNS1_25lookback_scan_determinismE0ELb0ES3_N6thrust23THRUST_200600_302600_NS6detail15normal_iteratorINS9_10device_ptrIxEEEESE_SE_xNS9_4plusIvEENS9_8equal_toIvEExEE10hipError_tPvRmT2_T3_T4_T5_mT6_T7_P12ihipStream_tbENKUlT_T0_E_clISt17integral_constantIbLb0EESZ_EEDaSU_SV_EUlSU_E_NS1_11comp_targetILNS1_3genE4ELNS1_11target_archE910ELNS1_3gpuE8ELNS1_3repE0EEENS1_30default_config_static_selectorELNS0_4arch9wavefront6targetE0EEEvT1_.num_agpr, 0
	.set _ZN7rocprim17ROCPRIM_400000_NS6detail17trampoline_kernelINS0_14default_configENS1_27scan_by_key_config_selectorIxxEEZZNS1_16scan_by_key_implILNS1_25lookback_scan_determinismE0ELb0ES3_N6thrust23THRUST_200600_302600_NS6detail15normal_iteratorINS9_10device_ptrIxEEEESE_SE_xNS9_4plusIvEENS9_8equal_toIvEExEE10hipError_tPvRmT2_T3_T4_T5_mT6_T7_P12ihipStream_tbENKUlT_T0_E_clISt17integral_constantIbLb0EESZ_EEDaSU_SV_EUlSU_E_NS1_11comp_targetILNS1_3genE4ELNS1_11target_archE910ELNS1_3gpuE8ELNS1_3repE0EEENS1_30default_config_static_selectorELNS0_4arch9wavefront6targetE0EEEvT1_.numbered_sgpr, 0
	.set _ZN7rocprim17ROCPRIM_400000_NS6detail17trampoline_kernelINS0_14default_configENS1_27scan_by_key_config_selectorIxxEEZZNS1_16scan_by_key_implILNS1_25lookback_scan_determinismE0ELb0ES3_N6thrust23THRUST_200600_302600_NS6detail15normal_iteratorINS9_10device_ptrIxEEEESE_SE_xNS9_4plusIvEENS9_8equal_toIvEExEE10hipError_tPvRmT2_T3_T4_T5_mT6_T7_P12ihipStream_tbENKUlT_T0_E_clISt17integral_constantIbLb0EESZ_EEDaSU_SV_EUlSU_E_NS1_11comp_targetILNS1_3genE4ELNS1_11target_archE910ELNS1_3gpuE8ELNS1_3repE0EEENS1_30default_config_static_selectorELNS0_4arch9wavefront6targetE0EEEvT1_.num_named_barrier, 0
	.set _ZN7rocprim17ROCPRIM_400000_NS6detail17trampoline_kernelINS0_14default_configENS1_27scan_by_key_config_selectorIxxEEZZNS1_16scan_by_key_implILNS1_25lookback_scan_determinismE0ELb0ES3_N6thrust23THRUST_200600_302600_NS6detail15normal_iteratorINS9_10device_ptrIxEEEESE_SE_xNS9_4plusIvEENS9_8equal_toIvEExEE10hipError_tPvRmT2_T3_T4_T5_mT6_T7_P12ihipStream_tbENKUlT_T0_E_clISt17integral_constantIbLb0EESZ_EEDaSU_SV_EUlSU_E_NS1_11comp_targetILNS1_3genE4ELNS1_11target_archE910ELNS1_3gpuE8ELNS1_3repE0EEENS1_30default_config_static_selectorELNS0_4arch9wavefront6targetE0EEEvT1_.private_seg_size, 0
	.set _ZN7rocprim17ROCPRIM_400000_NS6detail17trampoline_kernelINS0_14default_configENS1_27scan_by_key_config_selectorIxxEEZZNS1_16scan_by_key_implILNS1_25lookback_scan_determinismE0ELb0ES3_N6thrust23THRUST_200600_302600_NS6detail15normal_iteratorINS9_10device_ptrIxEEEESE_SE_xNS9_4plusIvEENS9_8equal_toIvEExEE10hipError_tPvRmT2_T3_T4_T5_mT6_T7_P12ihipStream_tbENKUlT_T0_E_clISt17integral_constantIbLb0EESZ_EEDaSU_SV_EUlSU_E_NS1_11comp_targetILNS1_3genE4ELNS1_11target_archE910ELNS1_3gpuE8ELNS1_3repE0EEENS1_30default_config_static_selectorELNS0_4arch9wavefront6targetE0EEEvT1_.uses_vcc, 0
	.set _ZN7rocprim17ROCPRIM_400000_NS6detail17trampoline_kernelINS0_14default_configENS1_27scan_by_key_config_selectorIxxEEZZNS1_16scan_by_key_implILNS1_25lookback_scan_determinismE0ELb0ES3_N6thrust23THRUST_200600_302600_NS6detail15normal_iteratorINS9_10device_ptrIxEEEESE_SE_xNS9_4plusIvEENS9_8equal_toIvEExEE10hipError_tPvRmT2_T3_T4_T5_mT6_T7_P12ihipStream_tbENKUlT_T0_E_clISt17integral_constantIbLb0EESZ_EEDaSU_SV_EUlSU_E_NS1_11comp_targetILNS1_3genE4ELNS1_11target_archE910ELNS1_3gpuE8ELNS1_3repE0EEENS1_30default_config_static_selectorELNS0_4arch9wavefront6targetE0EEEvT1_.uses_flat_scratch, 0
	.set _ZN7rocprim17ROCPRIM_400000_NS6detail17trampoline_kernelINS0_14default_configENS1_27scan_by_key_config_selectorIxxEEZZNS1_16scan_by_key_implILNS1_25lookback_scan_determinismE0ELb0ES3_N6thrust23THRUST_200600_302600_NS6detail15normal_iteratorINS9_10device_ptrIxEEEESE_SE_xNS9_4plusIvEENS9_8equal_toIvEExEE10hipError_tPvRmT2_T3_T4_T5_mT6_T7_P12ihipStream_tbENKUlT_T0_E_clISt17integral_constantIbLb0EESZ_EEDaSU_SV_EUlSU_E_NS1_11comp_targetILNS1_3genE4ELNS1_11target_archE910ELNS1_3gpuE8ELNS1_3repE0EEENS1_30default_config_static_selectorELNS0_4arch9wavefront6targetE0EEEvT1_.has_dyn_sized_stack, 0
	.set _ZN7rocprim17ROCPRIM_400000_NS6detail17trampoline_kernelINS0_14default_configENS1_27scan_by_key_config_selectorIxxEEZZNS1_16scan_by_key_implILNS1_25lookback_scan_determinismE0ELb0ES3_N6thrust23THRUST_200600_302600_NS6detail15normal_iteratorINS9_10device_ptrIxEEEESE_SE_xNS9_4plusIvEENS9_8equal_toIvEExEE10hipError_tPvRmT2_T3_T4_T5_mT6_T7_P12ihipStream_tbENKUlT_T0_E_clISt17integral_constantIbLb0EESZ_EEDaSU_SV_EUlSU_E_NS1_11comp_targetILNS1_3genE4ELNS1_11target_archE910ELNS1_3gpuE8ELNS1_3repE0EEENS1_30default_config_static_selectorELNS0_4arch9wavefront6targetE0EEEvT1_.has_recursion, 0
	.set _ZN7rocprim17ROCPRIM_400000_NS6detail17trampoline_kernelINS0_14default_configENS1_27scan_by_key_config_selectorIxxEEZZNS1_16scan_by_key_implILNS1_25lookback_scan_determinismE0ELb0ES3_N6thrust23THRUST_200600_302600_NS6detail15normal_iteratorINS9_10device_ptrIxEEEESE_SE_xNS9_4plusIvEENS9_8equal_toIvEExEE10hipError_tPvRmT2_T3_T4_T5_mT6_T7_P12ihipStream_tbENKUlT_T0_E_clISt17integral_constantIbLb0EESZ_EEDaSU_SV_EUlSU_E_NS1_11comp_targetILNS1_3genE4ELNS1_11target_archE910ELNS1_3gpuE8ELNS1_3repE0EEENS1_30default_config_static_selectorELNS0_4arch9wavefront6targetE0EEEvT1_.has_indirect_call, 0
	.section	.AMDGPU.csdata,"",@progbits
; Kernel info:
; codeLenInByte = 0
; TotalNumSgprs: 0
; NumVgprs: 0
; ScratchSize: 0
; MemoryBound: 0
; FloatMode: 240
; IeeeMode: 1
; LDSByteSize: 0 bytes/workgroup (compile time only)
; SGPRBlocks: 0
; VGPRBlocks: 0
; NumSGPRsForWavesPerEU: 1
; NumVGPRsForWavesPerEU: 1
; Occupancy: 16
; WaveLimiterHint : 0
; COMPUTE_PGM_RSRC2:SCRATCH_EN: 0
; COMPUTE_PGM_RSRC2:USER_SGPR: 6
; COMPUTE_PGM_RSRC2:TRAP_HANDLER: 0
; COMPUTE_PGM_RSRC2:TGID_X_EN: 1
; COMPUTE_PGM_RSRC2:TGID_Y_EN: 0
; COMPUTE_PGM_RSRC2:TGID_Z_EN: 0
; COMPUTE_PGM_RSRC2:TIDIG_COMP_CNT: 0
	.section	.text._ZN7rocprim17ROCPRIM_400000_NS6detail17trampoline_kernelINS0_14default_configENS1_27scan_by_key_config_selectorIxxEEZZNS1_16scan_by_key_implILNS1_25lookback_scan_determinismE0ELb0ES3_N6thrust23THRUST_200600_302600_NS6detail15normal_iteratorINS9_10device_ptrIxEEEESE_SE_xNS9_4plusIvEENS9_8equal_toIvEExEE10hipError_tPvRmT2_T3_T4_T5_mT6_T7_P12ihipStream_tbENKUlT_T0_E_clISt17integral_constantIbLb0EESZ_EEDaSU_SV_EUlSU_E_NS1_11comp_targetILNS1_3genE3ELNS1_11target_archE908ELNS1_3gpuE7ELNS1_3repE0EEENS1_30default_config_static_selectorELNS0_4arch9wavefront6targetE0EEEvT1_,"axG",@progbits,_ZN7rocprim17ROCPRIM_400000_NS6detail17trampoline_kernelINS0_14default_configENS1_27scan_by_key_config_selectorIxxEEZZNS1_16scan_by_key_implILNS1_25lookback_scan_determinismE0ELb0ES3_N6thrust23THRUST_200600_302600_NS6detail15normal_iteratorINS9_10device_ptrIxEEEESE_SE_xNS9_4plusIvEENS9_8equal_toIvEExEE10hipError_tPvRmT2_T3_T4_T5_mT6_T7_P12ihipStream_tbENKUlT_T0_E_clISt17integral_constantIbLb0EESZ_EEDaSU_SV_EUlSU_E_NS1_11comp_targetILNS1_3genE3ELNS1_11target_archE908ELNS1_3gpuE7ELNS1_3repE0EEENS1_30default_config_static_selectorELNS0_4arch9wavefront6targetE0EEEvT1_,comdat
	.protected	_ZN7rocprim17ROCPRIM_400000_NS6detail17trampoline_kernelINS0_14default_configENS1_27scan_by_key_config_selectorIxxEEZZNS1_16scan_by_key_implILNS1_25lookback_scan_determinismE0ELb0ES3_N6thrust23THRUST_200600_302600_NS6detail15normal_iteratorINS9_10device_ptrIxEEEESE_SE_xNS9_4plusIvEENS9_8equal_toIvEExEE10hipError_tPvRmT2_T3_T4_T5_mT6_T7_P12ihipStream_tbENKUlT_T0_E_clISt17integral_constantIbLb0EESZ_EEDaSU_SV_EUlSU_E_NS1_11comp_targetILNS1_3genE3ELNS1_11target_archE908ELNS1_3gpuE7ELNS1_3repE0EEENS1_30default_config_static_selectorELNS0_4arch9wavefront6targetE0EEEvT1_ ; -- Begin function _ZN7rocprim17ROCPRIM_400000_NS6detail17trampoline_kernelINS0_14default_configENS1_27scan_by_key_config_selectorIxxEEZZNS1_16scan_by_key_implILNS1_25lookback_scan_determinismE0ELb0ES3_N6thrust23THRUST_200600_302600_NS6detail15normal_iteratorINS9_10device_ptrIxEEEESE_SE_xNS9_4plusIvEENS9_8equal_toIvEExEE10hipError_tPvRmT2_T3_T4_T5_mT6_T7_P12ihipStream_tbENKUlT_T0_E_clISt17integral_constantIbLb0EESZ_EEDaSU_SV_EUlSU_E_NS1_11comp_targetILNS1_3genE3ELNS1_11target_archE908ELNS1_3gpuE7ELNS1_3repE0EEENS1_30default_config_static_selectorELNS0_4arch9wavefront6targetE0EEEvT1_
	.globl	_ZN7rocprim17ROCPRIM_400000_NS6detail17trampoline_kernelINS0_14default_configENS1_27scan_by_key_config_selectorIxxEEZZNS1_16scan_by_key_implILNS1_25lookback_scan_determinismE0ELb0ES3_N6thrust23THRUST_200600_302600_NS6detail15normal_iteratorINS9_10device_ptrIxEEEESE_SE_xNS9_4plusIvEENS9_8equal_toIvEExEE10hipError_tPvRmT2_T3_T4_T5_mT6_T7_P12ihipStream_tbENKUlT_T0_E_clISt17integral_constantIbLb0EESZ_EEDaSU_SV_EUlSU_E_NS1_11comp_targetILNS1_3genE3ELNS1_11target_archE908ELNS1_3gpuE7ELNS1_3repE0EEENS1_30default_config_static_selectorELNS0_4arch9wavefront6targetE0EEEvT1_
	.p2align	8
	.type	_ZN7rocprim17ROCPRIM_400000_NS6detail17trampoline_kernelINS0_14default_configENS1_27scan_by_key_config_selectorIxxEEZZNS1_16scan_by_key_implILNS1_25lookback_scan_determinismE0ELb0ES3_N6thrust23THRUST_200600_302600_NS6detail15normal_iteratorINS9_10device_ptrIxEEEESE_SE_xNS9_4plusIvEENS9_8equal_toIvEExEE10hipError_tPvRmT2_T3_T4_T5_mT6_T7_P12ihipStream_tbENKUlT_T0_E_clISt17integral_constantIbLb0EESZ_EEDaSU_SV_EUlSU_E_NS1_11comp_targetILNS1_3genE3ELNS1_11target_archE908ELNS1_3gpuE7ELNS1_3repE0EEENS1_30default_config_static_selectorELNS0_4arch9wavefront6targetE0EEEvT1_,@function
_ZN7rocprim17ROCPRIM_400000_NS6detail17trampoline_kernelINS0_14default_configENS1_27scan_by_key_config_selectorIxxEEZZNS1_16scan_by_key_implILNS1_25lookback_scan_determinismE0ELb0ES3_N6thrust23THRUST_200600_302600_NS6detail15normal_iteratorINS9_10device_ptrIxEEEESE_SE_xNS9_4plusIvEENS9_8equal_toIvEExEE10hipError_tPvRmT2_T3_T4_T5_mT6_T7_P12ihipStream_tbENKUlT_T0_E_clISt17integral_constantIbLb0EESZ_EEDaSU_SV_EUlSU_E_NS1_11comp_targetILNS1_3genE3ELNS1_11target_archE908ELNS1_3gpuE7ELNS1_3repE0EEENS1_30default_config_static_selectorELNS0_4arch9wavefront6targetE0EEEvT1_: ; @_ZN7rocprim17ROCPRIM_400000_NS6detail17trampoline_kernelINS0_14default_configENS1_27scan_by_key_config_selectorIxxEEZZNS1_16scan_by_key_implILNS1_25lookback_scan_determinismE0ELb0ES3_N6thrust23THRUST_200600_302600_NS6detail15normal_iteratorINS9_10device_ptrIxEEEESE_SE_xNS9_4plusIvEENS9_8equal_toIvEExEE10hipError_tPvRmT2_T3_T4_T5_mT6_T7_P12ihipStream_tbENKUlT_T0_E_clISt17integral_constantIbLb0EESZ_EEDaSU_SV_EUlSU_E_NS1_11comp_targetILNS1_3genE3ELNS1_11target_archE908ELNS1_3gpuE7ELNS1_3repE0EEENS1_30default_config_static_selectorELNS0_4arch9wavefront6targetE0EEEvT1_
; %bb.0:
	.section	.rodata,"a",@progbits
	.p2align	6, 0x0
	.amdhsa_kernel _ZN7rocprim17ROCPRIM_400000_NS6detail17trampoline_kernelINS0_14default_configENS1_27scan_by_key_config_selectorIxxEEZZNS1_16scan_by_key_implILNS1_25lookback_scan_determinismE0ELb0ES3_N6thrust23THRUST_200600_302600_NS6detail15normal_iteratorINS9_10device_ptrIxEEEESE_SE_xNS9_4plusIvEENS9_8equal_toIvEExEE10hipError_tPvRmT2_T3_T4_T5_mT6_T7_P12ihipStream_tbENKUlT_T0_E_clISt17integral_constantIbLb0EESZ_EEDaSU_SV_EUlSU_E_NS1_11comp_targetILNS1_3genE3ELNS1_11target_archE908ELNS1_3gpuE7ELNS1_3repE0EEENS1_30default_config_static_selectorELNS0_4arch9wavefront6targetE0EEEvT1_
		.amdhsa_group_segment_fixed_size 0
		.amdhsa_private_segment_fixed_size 0
		.amdhsa_kernarg_size 136
		.amdhsa_user_sgpr_count 6
		.amdhsa_user_sgpr_private_segment_buffer 1
		.amdhsa_user_sgpr_dispatch_ptr 0
		.amdhsa_user_sgpr_queue_ptr 0
		.amdhsa_user_sgpr_kernarg_segment_ptr 1
		.amdhsa_user_sgpr_dispatch_id 0
		.amdhsa_user_sgpr_flat_scratch_init 0
		.amdhsa_user_sgpr_private_segment_size 0
		.amdhsa_wavefront_size32 1
		.amdhsa_uses_dynamic_stack 0
		.amdhsa_system_sgpr_private_segment_wavefront_offset 0
		.amdhsa_system_sgpr_workgroup_id_x 1
		.amdhsa_system_sgpr_workgroup_id_y 0
		.amdhsa_system_sgpr_workgroup_id_z 0
		.amdhsa_system_sgpr_workgroup_info 0
		.amdhsa_system_vgpr_workitem_id 0
		.amdhsa_next_free_vgpr 1
		.amdhsa_next_free_sgpr 1
		.amdhsa_reserve_vcc 0
		.amdhsa_reserve_flat_scratch 0
		.amdhsa_float_round_mode_32 0
		.amdhsa_float_round_mode_16_64 0
		.amdhsa_float_denorm_mode_32 3
		.amdhsa_float_denorm_mode_16_64 3
		.amdhsa_dx10_clamp 1
		.amdhsa_ieee_mode 1
		.amdhsa_fp16_overflow 0
		.amdhsa_workgroup_processor_mode 1
		.amdhsa_memory_ordered 1
		.amdhsa_forward_progress 1
		.amdhsa_shared_vgpr_count 0
		.amdhsa_exception_fp_ieee_invalid_op 0
		.amdhsa_exception_fp_denorm_src 0
		.amdhsa_exception_fp_ieee_div_zero 0
		.amdhsa_exception_fp_ieee_overflow 0
		.amdhsa_exception_fp_ieee_underflow 0
		.amdhsa_exception_fp_ieee_inexact 0
		.amdhsa_exception_int_div_zero 0
	.end_amdhsa_kernel
	.section	.text._ZN7rocprim17ROCPRIM_400000_NS6detail17trampoline_kernelINS0_14default_configENS1_27scan_by_key_config_selectorIxxEEZZNS1_16scan_by_key_implILNS1_25lookback_scan_determinismE0ELb0ES3_N6thrust23THRUST_200600_302600_NS6detail15normal_iteratorINS9_10device_ptrIxEEEESE_SE_xNS9_4plusIvEENS9_8equal_toIvEExEE10hipError_tPvRmT2_T3_T4_T5_mT6_T7_P12ihipStream_tbENKUlT_T0_E_clISt17integral_constantIbLb0EESZ_EEDaSU_SV_EUlSU_E_NS1_11comp_targetILNS1_3genE3ELNS1_11target_archE908ELNS1_3gpuE7ELNS1_3repE0EEENS1_30default_config_static_selectorELNS0_4arch9wavefront6targetE0EEEvT1_,"axG",@progbits,_ZN7rocprim17ROCPRIM_400000_NS6detail17trampoline_kernelINS0_14default_configENS1_27scan_by_key_config_selectorIxxEEZZNS1_16scan_by_key_implILNS1_25lookback_scan_determinismE0ELb0ES3_N6thrust23THRUST_200600_302600_NS6detail15normal_iteratorINS9_10device_ptrIxEEEESE_SE_xNS9_4plusIvEENS9_8equal_toIvEExEE10hipError_tPvRmT2_T3_T4_T5_mT6_T7_P12ihipStream_tbENKUlT_T0_E_clISt17integral_constantIbLb0EESZ_EEDaSU_SV_EUlSU_E_NS1_11comp_targetILNS1_3genE3ELNS1_11target_archE908ELNS1_3gpuE7ELNS1_3repE0EEENS1_30default_config_static_selectorELNS0_4arch9wavefront6targetE0EEEvT1_,comdat
.Lfunc_end9:
	.size	_ZN7rocprim17ROCPRIM_400000_NS6detail17trampoline_kernelINS0_14default_configENS1_27scan_by_key_config_selectorIxxEEZZNS1_16scan_by_key_implILNS1_25lookback_scan_determinismE0ELb0ES3_N6thrust23THRUST_200600_302600_NS6detail15normal_iteratorINS9_10device_ptrIxEEEESE_SE_xNS9_4plusIvEENS9_8equal_toIvEExEE10hipError_tPvRmT2_T3_T4_T5_mT6_T7_P12ihipStream_tbENKUlT_T0_E_clISt17integral_constantIbLb0EESZ_EEDaSU_SV_EUlSU_E_NS1_11comp_targetILNS1_3genE3ELNS1_11target_archE908ELNS1_3gpuE7ELNS1_3repE0EEENS1_30default_config_static_selectorELNS0_4arch9wavefront6targetE0EEEvT1_, .Lfunc_end9-_ZN7rocprim17ROCPRIM_400000_NS6detail17trampoline_kernelINS0_14default_configENS1_27scan_by_key_config_selectorIxxEEZZNS1_16scan_by_key_implILNS1_25lookback_scan_determinismE0ELb0ES3_N6thrust23THRUST_200600_302600_NS6detail15normal_iteratorINS9_10device_ptrIxEEEESE_SE_xNS9_4plusIvEENS9_8equal_toIvEExEE10hipError_tPvRmT2_T3_T4_T5_mT6_T7_P12ihipStream_tbENKUlT_T0_E_clISt17integral_constantIbLb0EESZ_EEDaSU_SV_EUlSU_E_NS1_11comp_targetILNS1_3genE3ELNS1_11target_archE908ELNS1_3gpuE7ELNS1_3repE0EEENS1_30default_config_static_selectorELNS0_4arch9wavefront6targetE0EEEvT1_
                                        ; -- End function
	.set _ZN7rocprim17ROCPRIM_400000_NS6detail17trampoline_kernelINS0_14default_configENS1_27scan_by_key_config_selectorIxxEEZZNS1_16scan_by_key_implILNS1_25lookback_scan_determinismE0ELb0ES3_N6thrust23THRUST_200600_302600_NS6detail15normal_iteratorINS9_10device_ptrIxEEEESE_SE_xNS9_4plusIvEENS9_8equal_toIvEExEE10hipError_tPvRmT2_T3_T4_T5_mT6_T7_P12ihipStream_tbENKUlT_T0_E_clISt17integral_constantIbLb0EESZ_EEDaSU_SV_EUlSU_E_NS1_11comp_targetILNS1_3genE3ELNS1_11target_archE908ELNS1_3gpuE7ELNS1_3repE0EEENS1_30default_config_static_selectorELNS0_4arch9wavefront6targetE0EEEvT1_.num_vgpr, 0
	.set _ZN7rocprim17ROCPRIM_400000_NS6detail17trampoline_kernelINS0_14default_configENS1_27scan_by_key_config_selectorIxxEEZZNS1_16scan_by_key_implILNS1_25lookback_scan_determinismE0ELb0ES3_N6thrust23THRUST_200600_302600_NS6detail15normal_iteratorINS9_10device_ptrIxEEEESE_SE_xNS9_4plusIvEENS9_8equal_toIvEExEE10hipError_tPvRmT2_T3_T4_T5_mT6_T7_P12ihipStream_tbENKUlT_T0_E_clISt17integral_constantIbLb0EESZ_EEDaSU_SV_EUlSU_E_NS1_11comp_targetILNS1_3genE3ELNS1_11target_archE908ELNS1_3gpuE7ELNS1_3repE0EEENS1_30default_config_static_selectorELNS0_4arch9wavefront6targetE0EEEvT1_.num_agpr, 0
	.set _ZN7rocprim17ROCPRIM_400000_NS6detail17trampoline_kernelINS0_14default_configENS1_27scan_by_key_config_selectorIxxEEZZNS1_16scan_by_key_implILNS1_25lookback_scan_determinismE0ELb0ES3_N6thrust23THRUST_200600_302600_NS6detail15normal_iteratorINS9_10device_ptrIxEEEESE_SE_xNS9_4plusIvEENS9_8equal_toIvEExEE10hipError_tPvRmT2_T3_T4_T5_mT6_T7_P12ihipStream_tbENKUlT_T0_E_clISt17integral_constantIbLb0EESZ_EEDaSU_SV_EUlSU_E_NS1_11comp_targetILNS1_3genE3ELNS1_11target_archE908ELNS1_3gpuE7ELNS1_3repE0EEENS1_30default_config_static_selectorELNS0_4arch9wavefront6targetE0EEEvT1_.numbered_sgpr, 0
	.set _ZN7rocprim17ROCPRIM_400000_NS6detail17trampoline_kernelINS0_14default_configENS1_27scan_by_key_config_selectorIxxEEZZNS1_16scan_by_key_implILNS1_25lookback_scan_determinismE0ELb0ES3_N6thrust23THRUST_200600_302600_NS6detail15normal_iteratorINS9_10device_ptrIxEEEESE_SE_xNS9_4plusIvEENS9_8equal_toIvEExEE10hipError_tPvRmT2_T3_T4_T5_mT6_T7_P12ihipStream_tbENKUlT_T0_E_clISt17integral_constantIbLb0EESZ_EEDaSU_SV_EUlSU_E_NS1_11comp_targetILNS1_3genE3ELNS1_11target_archE908ELNS1_3gpuE7ELNS1_3repE0EEENS1_30default_config_static_selectorELNS0_4arch9wavefront6targetE0EEEvT1_.num_named_barrier, 0
	.set _ZN7rocprim17ROCPRIM_400000_NS6detail17trampoline_kernelINS0_14default_configENS1_27scan_by_key_config_selectorIxxEEZZNS1_16scan_by_key_implILNS1_25lookback_scan_determinismE0ELb0ES3_N6thrust23THRUST_200600_302600_NS6detail15normal_iteratorINS9_10device_ptrIxEEEESE_SE_xNS9_4plusIvEENS9_8equal_toIvEExEE10hipError_tPvRmT2_T3_T4_T5_mT6_T7_P12ihipStream_tbENKUlT_T0_E_clISt17integral_constantIbLb0EESZ_EEDaSU_SV_EUlSU_E_NS1_11comp_targetILNS1_3genE3ELNS1_11target_archE908ELNS1_3gpuE7ELNS1_3repE0EEENS1_30default_config_static_selectorELNS0_4arch9wavefront6targetE0EEEvT1_.private_seg_size, 0
	.set _ZN7rocprim17ROCPRIM_400000_NS6detail17trampoline_kernelINS0_14default_configENS1_27scan_by_key_config_selectorIxxEEZZNS1_16scan_by_key_implILNS1_25lookback_scan_determinismE0ELb0ES3_N6thrust23THRUST_200600_302600_NS6detail15normal_iteratorINS9_10device_ptrIxEEEESE_SE_xNS9_4plusIvEENS9_8equal_toIvEExEE10hipError_tPvRmT2_T3_T4_T5_mT6_T7_P12ihipStream_tbENKUlT_T0_E_clISt17integral_constantIbLb0EESZ_EEDaSU_SV_EUlSU_E_NS1_11comp_targetILNS1_3genE3ELNS1_11target_archE908ELNS1_3gpuE7ELNS1_3repE0EEENS1_30default_config_static_selectorELNS0_4arch9wavefront6targetE0EEEvT1_.uses_vcc, 0
	.set _ZN7rocprim17ROCPRIM_400000_NS6detail17trampoline_kernelINS0_14default_configENS1_27scan_by_key_config_selectorIxxEEZZNS1_16scan_by_key_implILNS1_25lookback_scan_determinismE0ELb0ES3_N6thrust23THRUST_200600_302600_NS6detail15normal_iteratorINS9_10device_ptrIxEEEESE_SE_xNS9_4plusIvEENS9_8equal_toIvEExEE10hipError_tPvRmT2_T3_T4_T5_mT6_T7_P12ihipStream_tbENKUlT_T0_E_clISt17integral_constantIbLb0EESZ_EEDaSU_SV_EUlSU_E_NS1_11comp_targetILNS1_3genE3ELNS1_11target_archE908ELNS1_3gpuE7ELNS1_3repE0EEENS1_30default_config_static_selectorELNS0_4arch9wavefront6targetE0EEEvT1_.uses_flat_scratch, 0
	.set _ZN7rocprim17ROCPRIM_400000_NS6detail17trampoline_kernelINS0_14default_configENS1_27scan_by_key_config_selectorIxxEEZZNS1_16scan_by_key_implILNS1_25lookback_scan_determinismE0ELb0ES3_N6thrust23THRUST_200600_302600_NS6detail15normal_iteratorINS9_10device_ptrIxEEEESE_SE_xNS9_4plusIvEENS9_8equal_toIvEExEE10hipError_tPvRmT2_T3_T4_T5_mT6_T7_P12ihipStream_tbENKUlT_T0_E_clISt17integral_constantIbLb0EESZ_EEDaSU_SV_EUlSU_E_NS1_11comp_targetILNS1_3genE3ELNS1_11target_archE908ELNS1_3gpuE7ELNS1_3repE0EEENS1_30default_config_static_selectorELNS0_4arch9wavefront6targetE0EEEvT1_.has_dyn_sized_stack, 0
	.set _ZN7rocprim17ROCPRIM_400000_NS6detail17trampoline_kernelINS0_14default_configENS1_27scan_by_key_config_selectorIxxEEZZNS1_16scan_by_key_implILNS1_25lookback_scan_determinismE0ELb0ES3_N6thrust23THRUST_200600_302600_NS6detail15normal_iteratorINS9_10device_ptrIxEEEESE_SE_xNS9_4plusIvEENS9_8equal_toIvEExEE10hipError_tPvRmT2_T3_T4_T5_mT6_T7_P12ihipStream_tbENKUlT_T0_E_clISt17integral_constantIbLb0EESZ_EEDaSU_SV_EUlSU_E_NS1_11comp_targetILNS1_3genE3ELNS1_11target_archE908ELNS1_3gpuE7ELNS1_3repE0EEENS1_30default_config_static_selectorELNS0_4arch9wavefront6targetE0EEEvT1_.has_recursion, 0
	.set _ZN7rocprim17ROCPRIM_400000_NS6detail17trampoline_kernelINS0_14default_configENS1_27scan_by_key_config_selectorIxxEEZZNS1_16scan_by_key_implILNS1_25lookback_scan_determinismE0ELb0ES3_N6thrust23THRUST_200600_302600_NS6detail15normal_iteratorINS9_10device_ptrIxEEEESE_SE_xNS9_4plusIvEENS9_8equal_toIvEExEE10hipError_tPvRmT2_T3_T4_T5_mT6_T7_P12ihipStream_tbENKUlT_T0_E_clISt17integral_constantIbLb0EESZ_EEDaSU_SV_EUlSU_E_NS1_11comp_targetILNS1_3genE3ELNS1_11target_archE908ELNS1_3gpuE7ELNS1_3repE0EEENS1_30default_config_static_selectorELNS0_4arch9wavefront6targetE0EEEvT1_.has_indirect_call, 0
	.section	.AMDGPU.csdata,"",@progbits
; Kernel info:
; codeLenInByte = 0
; TotalNumSgprs: 0
; NumVgprs: 0
; ScratchSize: 0
; MemoryBound: 0
; FloatMode: 240
; IeeeMode: 1
; LDSByteSize: 0 bytes/workgroup (compile time only)
; SGPRBlocks: 0
; VGPRBlocks: 0
; NumSGPRsForWavesPerEU: 1
; NumVGPRsForWavesPerEU: 1
; Occupancy: 16
; WaveLimiterHint : 0
; COMPUTE_PGM_RSRC2:SCRATCH_EN: 0
; COMPUTE_PGM_RSRC2:USER_SGPR: 6
; COMPUTE_PGM_RSRC2:TRAP_HANDLER: 0
; COMPUTE_PGM_RSRC2:TGID_X_EN: 1
; COMPUTE_PGM_RSRC2:TGID_Y_EN: 0
; COMPUTE_PGM_RSRC2:TGID_Z_EN: 0
; COMPUTE_PGM_RSRC2:TIDIG_COMP_CNT: 0
	.section	.text._ZN7rocprim17ROCPRIM_400000_NS6detail17trampoline_kernelINS0_14default_configENS1_27scan_by_key_config_selectorIxxEEZZNS1_16scan_by_key_implILNS1_25lookback_scan_determinismE0ELb0ES3_N6thrust23THRUST_200600_302600_NS6detail15normal_iteratorINS9_10device_ptrIxEEEESE_SE_xNS9_4plusIvEENS9_8equal_toIvEExEE10hipError_tPvRmT2_T3_T4_T5_mT6_T7_P12ihipStream_tbENKUlT_T0_E_clISt17integral_constantIbLb0EESZ_EEDaSU_SV_EUlSU_E_NS1_11comp_targetILNS1_3genE2ELNS1_11target_archE906ELNS1_3gpuE6ELNS1_3repE0EEENS1_30default_config_static_selectorELNS0_4arch9wavefront6targetE0EEEvT1_,"axG",@progbits,_ZN7rocprim17ROCPRIM_400000_NS6detail17trampoline_kernelINS0_14default_configENS1_27scan_by_key_config_selectorIxxEEZZNS1_16scan_by_key_implILNS1_25lookback_scan_determinismE0ELb0ES3_N6thrust23THRUST_200600_302600_NS6detail15normal_iteratorINS9_10device_ptrIxEEEESE_SE_xNS9_4plusIvEENS9_8equal_toIvEExEE10hipError_tPvRmT2_T3_T4_T5_mT6_T7_P12ihipStream_tbENKUlT_T0_E_clISt17integral_constantIbLb0EESZ_EEDaSU_SV_EUlSU_E_NS1_11comp_targetILNS1_3genE2ELNS1_11target_archE906ELNS1_3gpuE6ELNS1_3repE0EEENS1_30default_config_static_selectorELNS0_4arch9wavefront6targetE0EEEvT1_,comdat
	.protected	_ZN7rocprim17ROCPRIM_400000_NS6detail17trampoline_kernelINS0_14default_configENS1_27scan_by_key_config_selectorIxxEEZZNS1_16scan_by_key_implILNS1_25lookback_scan_determinismE0ELb0ES3_N6thrust23THRUST_200600_302600_NS6detail15normal_iteratorINS9_10device_ptrIxEEEESE_SE_xNS9_4plusIvEENS9_8equal_toIvEExEE10hipError_tPvRmT2_T3_T4_T5_mT6_T7_P12ihipStream_tbENKUlT_T0_E_clISt17integral_constantIbLb0EESZ_EEDaSU_SV_EUlSU_E_NS1_11comp_targetILNS1_3genE2ELNS1_11target_archE906ELNS1_3gpuE6ELNS1_3repE0EEENS1_30default_config_static_selectorELNS0_4arch9wavefront6targetE0EEEvT1_ ; -- Begin function _ZN7rocprim17ROCPRIM_400000_NS6detail17trampoline_kernelINS0_14default_configENS1_27scan_by_key_config_selectorIxxEEZZNS1_16scan_by_key_implILNS1_25lookback_scan_determinismE0ELb0ES3_N6thrust23THRUST_200600_302600_NS6detail15normal_iteratorINS9_10device_ptrIxEEEESE_SE_xNS9_4plusIvEENS9_8equal_toIvEExEE10hipError_tPvRmT2_T3_T4_T5_mT6_T7_P12ihipStream_tbENKUlT_T0_E_clISt17integral_constantIbLb0EESZ_EEDaSU_SV_EUlSU_E_NS1_11comp_targetILNS1_3genE2ELNS1_11target_archE906ELNS1_3gpuE6ELNS1_3repE0EEENS1_30default_config_static_selectorELNS0_4arch9wavefront6targetE0EEEvT1_
	.globl	_ZN7rocprim17ROCPRIM_400000_NS6detail17trampoline_kernelINS0_14default_configENS1_27scan_by_key_config_selectorIxxEEZZNS1_16scan_by_key_implILNS1_25lookback_scan_determinismE0ELb0ES3_N6thrust23THRUST_200600_302600_NS6detail15normal_iteratorINS9_10device_ptrIxEEEESE_SE_xNS9_4plusIvEENS9_8equal_toIvEExEE10hipError_tPvRmT2_T3_T4_T5_mT6_T7_P12ihipStream_tbENKUlT_T0_E_clISt17integral_constantIbLb0EESZ_EEDaSU_SV_EUlSU_E_NS1_11comp_targetILNS1_3genE2ELNS1_11target_archE906ELNS1_3gpuE6ELNS1_3repE0EEENS1_30default_config_static_selectorELNS0_4arch9wavefront6targetE0EEEvT1_
	.p2align	8
	.type	_ZN7rocprim17ROCPRIM_400000_NS6detail17trampoline_kernelINS0_14default_configENS1_27scan_by_key_config_selectorIxxEEZZNS1_16scan_by_key_implILNS1_25lookback_scan_determinismE0ELb0ES3_N6thrust23THRUST_200600_302600_NS6detail15normal_iteratorINS9_10device_ptrIxEEEESE_SE_xNS9_4plusIvEENS9_8equal_toIvEExEE10hipError_tPvRmT2_T3_T4_T5_mT6_T7_P12ihipStream_tbENKUlT_T0_E_clISt17integral_constantIbLb0EESZ_EEDaSU_SV_EUlSU_E_NS1_11comp_targetILNS1_3genE2ELNS1_11target_archE906ELNS1_3gpuE6ELNS1_3repE0EEENS1_30default_config_static_selectorELNS0_4arch9wavefront6targetE0EEEvT1_,@function
_ZN7rocprim17ROCPRIM_400000_NS6detail17trampoline_kernelINS0_14default_configENS1_27scan_by_key_config_selectorIxxEEZZNS1_16scan_by_key_implILNS1_25lookback_scan_determinismE0ELb0ES3_N6thrust23THRUST_200600_302600_NS6detail15normal_iteratorINS9_10device_ptrIxEEEESE_SE_xNS9_4plusIvEENS9_8equal_toIvEExEE10hipError_tPvRmT2_T3_T4_T5_mT6_T7_P12ihipStream_tbENKUlT_T0_E_clISt17integral_constantIbLb0EESZ_EEDaSU_SV_EUlSU_E_NS1_11comp_targetILNS1_3genE2ELNS1_11target_archE906ELNS1_3gpuE6ELNS1_3repE0EEENS1_30default_config_static_selectorELNS0_4arch9wavefront6targetE0EEEvT1_: ; @_ZN7rocprim17ROCPRIM_400000_NS6detail17trampoline_kernelINS0_14default_configENS1_27scan_by_key_config_selectorIxxEEZZNS1_16scan_by_key_implILNS1_25lookback_scan_determinismE0ELb0ES3_N6thrust23THRUST_200600_302600_NS6detail15normal_iteratorINS9_10device_ptrIxEEEESE_SE_xNS9_4plusIvEENS9_8equal_toIvEExEE10hipError_tPvRmT2_T3_T4_T5_mT6_T7_P12ihipStream_tbENKUlT_T0_E_clISt17integral_constantIbLb0EESZ_EEDaSU_SV_EUlSU_E_NS1_11comp_targetILNS1_3genE2ELNS1_11target_archE906ELNS1_3gpuE6ELNS1_3repE0EEENS1_30default_config_static_selectorELNS0_4arch9wavefront6targetE0EEEvT1_
; %bb.0:
	.section	.rodata,"a",@progbits
	.p2align	6, 0x0
	.amdhsa_kernel _ZN7rocprim17ROCPRIM_400000_NS6detail17trampoline_kernelINS0_14default_configENS1_27scan_by_key_config_selectorIxxEEZZNS1_16scan_by_key_implILNS1_25lookback_scan_determinismE0ELb0ES3_N6thrust23THRUST_200600_302600_NS6detail15normal_iteratorINS9_10device_ptrIxEEEESE_SE_xNS9_4plusIvEENS9_8equal_toIvEExEE10hipError_tPvRmT2_T3_T4_T5_mT6_T7_P12ihipStream_tbENKUlT_T0_E_clISt17integral_constantIbLb0EESZ_EEDaSU_SV_EUlSU_E_NS1_11comp_targetILNS1_3genE2ELNS1_11target_archE906ELNS1_3gpuE6ELNS1_3repE0EEENS1_30default_config_static_selectorELNS0_4arch9wavefront6targetE0EEEvT1_
		.amdhsa_group_segment_fixed_size 0
		.amdhsa_private_segment_fixed_size 0
		.amdhsa_kernarg_size 136
		.amdhsa_user_sgpr_count 6
		.amdhsa_user_sgpr_private_segment_buffer 1
		.amdhsa_user_sgpr_dispatch_ptr 0
		.amdhsa_user_sgpr_queue_ptr 0
		.amdhsa_user_sgpr_kernarg_segment_ptr 1
		.amdhsa_user_sgpr_dispatch_id 0
		.amdhsa_user_sgpr_flat_scratch_init 0
		.amdhsa_user_sgpr_private_segment_size 0
		.amdhsa_wavefront_size32 1
		.amdhsa_uses_dynamic_stack 0
		.amdhsa_system_sgpr_private_segment_wavefront_offset 0
		.amdhsa_system_sgpr_workgroup_id_x 1
		.amdhsa_system_sgpr_workgroup_id_y 0
		.amdhsa_system_sgpr_workgroup_id_z 0
		.amdhsa_system_sgpr_workgroup_info 0
		.amdhsa_system_vgpr_workitem_id 0
		.amdhsa_next_free_vgpr 1
		.amdhsa_next_free_sgpr 1
		.amdhsa_reserve_vcc 0
		.amdhsa_reserve_flat_scratch 0
		.amdhsa_float_round_mode_32 0
		.amdhsa_float_round_mode_16_64 0
		.amdhsa_float_denorm_mode_32 3
		.amdhsa_float_denorm_mode_16_64 3
		.amdhsa_dx10_clamp 1
		.amdhsa_ieee_mode 1
		.amdhsa_fp16_overflow 0
		.amdhsa_workgroup_processor_mode 1
		.amdhsa_memory_ordered 1
		.amdhsa_forward_progress 1
		.amdhsa_shared_vgpr_count 0
		.amdhsa_exception_fp_ieee_invalid_op 0
		.amdhsa_exception_fp_denorm_src 0
		.amdhsa_exception_fp_ieee_div_zero 0
		.amdhsa_exception_fp_ieee_overflow 0
		.amdhsa_exception_fp_ieee_underflow 0
		.amdhsa_exception_fp_ieee_inexact 0
		.amdhsa_exception_int_div_zero 0
	.end_amdhsa_kernel
	.section	.text._ZN7rocprim17ROCPRIM_400000_NS6detail17trampoline_kernelINS0_14default_configENS1_27scan_by_key_config_selectorIxxEEZZNS1_16scan_by_key_implILNS1_25lookback_scan_determinismE0ELb0ES3_N6thrust23THRUST_200600_302600_NS6detail15normal_iteratorINS9_10device_ptrIxEEEESE_SE_xNS9_4plusIvEENS9_8equal_toIvEExEE10hipError_tPvRmT2_T3_T4_T5_mT6_T7_P12ihipStream_tbENKUlT_T0_E_clISt17integral_constantIbLb0EESZ_EEDaSU_SV_EUlSU_E_NS1_11comp_targetILNS1_3genE2ELNS1_11target_archE906ELNS1_3gpuE6ELNS1_3repE0EEENS1_30default_config_static_selectorELNS0_4arch9wavefront6targetE0EEEvT1_,"axG",@progbits,_ZN7rocprim17ROCPRIM_400000_NS6detail17trampoline_kernelINS0_14default_configENS1_27scan_by_key_config_selectorIxxEEZZNS1_16scan_by_key_implILNS1_25lookback_scan_determinismE0ELb0ES3_N6thrust23THRUST_200600_302600_NS6detail15normal_iteratorINS9_10device_ptrIxEEEESE_SE_xNS9_4plusIvEENS9_8equal_toIvEExEE10hipError_tPvRmT2_T3_T4_T5_mT6_T7_P12ihipStream_tbENKUlT_T0_E_clISt17integral_constantIbLb0EESZ_EEDaSU_SV_EUlSU_E_NS1_11comp_targetILNS1_3genE2ELNS1_11target_archE906ELNS1_3gpuE6ELNS1_3repE0EEENS1_30default_config_static_selectorELNS0_4arch9wavefront6targetE0EEEvT1_,comdat
.Lfunc_end10:
	.size	_ZN7rocprim17ROCPRIM_400000_NS6detail17trampoline_kernelINS0_14default_configENS1_27scan_by_key_config_selectorIxxEEZZNS1_16scan_by_key_implILNS1_25lookback_scan_determinismE0ELb0ES3_N6thrust23THRUST_200600_302600_NS6detail15normal_iteratorINS9_10device_ptrIxEEEESE_SE_xNS9_4plusIvEENS9_8equal_toIvEExEE10hipError_tPvRmT2_T3_T4_T5_mT6_T7_P12ihipStream_tbENKUlT_T0_E_clISt17integral_constantIbLb0EESZ_EEDaSU_SV_EUlSU_E_NS1_11comp_targetILNS1_3genE2ELNS1_11target_archE906ELNS1_3gpuE6ELNS1_3repE0EEENS1_30default_config_static_selectorELNS0_4arch9wavefront6targetE0EEEvT1_, .Lfunc_end10-_ZN7rocprim17ROCPRIM_400000_NS6detail17trampoline_kernelINS0_14default_configENS1_27scan_by_key_config_selectorIxxEEZZNS1_16scan_by_key_implILNS1_25lookback_scan_determinismE0ELb0ES3_N6thrust23THRUST_200600_302600_NS6detail15normal_iteratorINS9_10device_ptrIxEEEESE_SE_xNS9_4plusIvEENS9_8equal_toIvEExEE10hipError_tPvRmT2_T3_T4_T5_mT6_T7_P12ihipStream_tbENKUlT_T0_E_clISt17integral_constantIbLb0EESZ_EEDaSU_SV_EUlSU_E_NS1_11comp_targetILNS1_3genE2ELNS1_11target_archE906ELNS1_3gpuE6ELNS1_3repE0EEENS1_30default_config_static_selectorELNS0_4arch9wavefront6targetE0EEEvT1_
                                        ; -- End function
	.set _ZN7rocprim17ROCPRIM_400000_NS6detail17trampoline_kernelINS0_14default_configENS1_27scan_by_key_config_selectorIxxEEZZNS1_16scan_by_key_implILNS1_25lookback_scan_determinismE0ELb0ES3_N6thrust23THRUST_200600_302600_NS6detail15normal_iteratorINS9_10device_ptrIxEEEESE_SE_xNS9_4plusIvEENS9_8equal_toIvEExEE10hipError_tPvRmT2_T3_T4_T5_mT6_T7_P12ihipStream_tbENKUlT_T0_E_clISt17integral_constantIbLb0EESZ_EEDaSU_SV_EUlSU_E_NS1_11comp_targetILNS1_3genE2ELNS1_11target_archE906ELNS1_3gpuE6ELNS1_3repE0EEENS1_30default_config_static_selectorELNS0_4arch9wavefront6targetE0EEEvT1_.num_vgpr, 0
	.set _ZN7rocprim17ROCPRIM_400000_NS6detail17trampoline_kernelINS0_14default_configENS1_27scan_by_key_config_selectorIxxEEZZNS1_16scan_by_key_implILNS1_25lookback_scan_determinismE0ELb0ES3_N6thrust23THRUST_200600_302600_NS6detail15normal_iteratorINS9_10device_ptrIxEEEESE_SE_xNS9_4plusIvEENS9_8equal_toIvEExEE10hipError_tPvRmT2_T3_T4_T5_mT6_T7_P12ihipStream_tbENKUlT_T0_E_clISt17integral_constantIbLb0EESZ_EEDaSU_SV_EUlSU_E_NS1_11comp_targetILNS1_3genE2ELNS1_11target_archE906ELNS1_3gpuE6ELNS1_3repE0EEENS1_30default_config_static_selectorELNS0_4arch9wavefront6targetE0EEEvT1_.num_agpr, 0
	.set _ZN7rocprim17ROCPRIM_400000_NS6detail17trampoline_kernelINS0_14default_configENS1_27scan_by_key_config_selectorIxxEEZZNS1_16scan_by_key_implILNS1_25lookback_scan_determinismE0ELb0ES3_N6thrust23THRUST_200600_302600_NS6detail15normal_iteratorINS9_10device_ptrIxEEEESE_SE_xNS9_4plusIvEENS9_8equal_toIvEExEE10hipError_tPvRmT2_T3_T4_T5_mT6_T7_P12ihipStream_tbENKUlT_T0_E_clISt17integral_constantIbLb0EESZ_EEDaSU_SV_EUlSU_E_NS1_11comp_targetILNS1_3genE2ELNS1_11target_archE906ELNS1_3gpuE6ELNS1_3repE0EEENS1_30default_config_static_selectorELNS0_4arch9wavefront6targetE0EEEvT1_.numbered_sgpr, 0
	.set _ZN7rocprim17ROCPRIM_400000_NS6detail17trampoline_kernelINS0_14default_configENS1_27scan_by_key_config_selectorIxxEEZZNS1_16scan_by_key_implILNS1_25lookback_scan_determinismE0ELb0ES3_N6thrust23THRUST_200600_302600_NS6detail15normal_iteratorINS9_10device_ptrIxEEEESE_SE_xNS9_4plusIvEENS9_8equal_toIvEExEE10hipError_tPvRmT2_T3_T4_T5_mT6_T7_P12ihipStream_tbENKUlT_T0_E_clISt17integral_constantIbLb0EESZ_EEDaSU_SV_EUlSU_E_NS1_11comp_targetILNS1_3genE2ELNS1_11target_archE906ELNS1_3gpuE6ELNS1_3repE0EEENS1_30default_config_static_selectorELNS0_4arch9wavefront6targetE0EEEvT1_.num_named_barrier, 0
	.set _ZN7rocprim17ROCPRIM_400000_NS6detail17trampoline_kernelINS0_14default_configENS1_27scan_by_key_config_selectorIxxEEZZNS1_16scan_by_key_implILNS1_25lookback_scan_determinismE0ELb0ES3_N6thrust23THRUST_200600_302600_NS6detail15normal_iteratorINS9_10device_ptrIxEEEESE_SE_xNS9_4plusIvEENS9_8equal_toIvEExEE10hipError_tPvRmT2_T3_T4_T5_mT6_T7_P12ihipStream_tbENKUlT_T0_E_clISt17integral_constantIbLb0EESZ_EEDaSU_SV_EUlSU_E_NS1_11comp_targetILNS1_3genE2ELNS1_11target_archE906ELNS1_3gpuE6ELNS1_3repE0EEENS1_30default_config_static_selectorELNS0_4arch9wavefront6targetE0EEEvT1_.private_seg_size, 0
	.set _ZN7rocprim17ROCPRIM_400000_NS6detail17trampoline_kernelINS0_14default_configENS1_27scan_by_key_config_selectorIxxEEZZNS1_16scan_by_key_implILNS1_25lookback_scan_determinismE0ELb0ES3_N6thrust23THRUST_200600_302600_NS6detail15normal_iteratorINS9_10device_ptrIxEEEESE_SE_xNS9_4plusIvEENS9_8equal_toIvEExEE10hipError_tPvRmT2_T3_T4_T5_mT6_T7_P12ihipStream_tbENKUlT_T0_E_clISt17integral_constantIbLb0EESZ_EEDaSU_SV_EUlSU_E_NS1_11comp_targetILNS1_3genE2ELNS1_11target_archE906ELNS1_3gpuE6ELNS1_3repE0EEENS1_30default_config_static_selectorELNS0_4arch9wavefront6targetE0EEEvT1_.uses_vcc, 0
	.set _ZN7rocprim17ROCPRIM_400000_NS6detail17trampoline_kernelINS0_14default_configENS1_27scan_by_key_config_selectorIxxEEZZNS1_16scan_by_key_implILNS1_25lookback_scan_determinismE0ELb0ES3_N6thrust23THRUST_200600_302600_NS6detail15normal_iteratorINS9_10device_ptrIxEEEESE_SE_xNS9_4plusIvEENS9_8equal_toIvEExEE10hipError_tPvRmT2_T3_T4_T5_mT6_T7_P12ihipStream_tbENKUlT_T0_E_clISt17integral_constantIbLb0EESZ_EEDaSU_SV_EUlSU_E_NS1_11comp_targetILNS1_3genE2ELNS1_11target_archE906ELNS1_3gpuE6ELNS1_3repE0EEENS1_30default_config_static_selectorELNS0_4arch9wavefront6targetE0EEEvT1_.uses_flat_scratch, 0
	.set _ZN7rocprim17ROCPRIM_400000_NS6detail17trampoline_kernelINS0_14default_configENS1_27scan_by_key_config_selectorIxxEEZZNS1_16scan_by_key_implILNS1_25lookback_scan_determinismE0ELb0ES3_N6thrust23THRUST_200600_302600_NS6detail15normal_iteratorINS9_10device_ptrIxEEEESE_SE_xNS9_4plusIvEENS9_8equal_toIvEExEE10hipError_tPvRmT2_T3_T4_T5_mT6_T7_P12ihipStream_tbENKUlT_T0_E_clISt17integral_constantIbLb0EESZ_EEDaSU_SV_EUlSU_E_NS1_11comp_targetILNS1_3genE2ELNS1_11target_archE906ELNS1_3gpuE6ELNS1_3repE0EEENS1_30default_config_static_selectorELNS0_4arch9wavefront6targetE0EEEvT1_.has_dyn_sized_stack, 0
	.set _ZN7rocprim17ROCPRIM_400000_NS6detail17trampoline_kernelINS0_14default_configENS1_27scan_by_key_config_selectorIxxEEZZNS1_16scan_by_key_implILNS1_25lookback_scan_determinismE0ELb0ES3_N6thrust23THRUST_200600_302600_NS6detail15normal_iteratorINS9_10device_ptrIxEEEESE_SE_xNS9_4plusIvEENS9_8equal_toIvEExEE10hipError_tPvRmT2_T3_T4_T5_mT6_T7_P12ihipStream_tbENKUlT_T0_E_clISt17integral_constantIbLb0EESZ_EEDaSU_SV_EUlSU_E_NS1_11comp_targetILNS1_3genE2ELNS1_11target_archE906ELNS1_3gpuE6ELNS1_3repE0EEENS1_30default_config_static_selectorELNS0_4arch9wavefront6targetE0EEEvT1_.has_recursion, 0
	.set _ZN7rocprim17ROCPRIM_400000_NS6detail17trampoline_kernelINS0_14default_configENS1_27scan_by_key_config_selectorIxxEEZZNS1_16scan_by_key_implILNS1_25lookback_scan_determinismE0ELb0ES3_N6thrust23THRUST_200600_302600_NS6detail15normal_iteratorINS9_10device_ptrIxEEEESE_SE_xNS9_4plusIvEENS9_8equal_toIvEExEE10hipError_tPvRmT2_T3_T4_T5_mT6_T7_P12ihipStream_tbENKUlT_T0_E_clISt17integral_constantIbLb0EESZ_EEDaSU_SV_EUlSU_E_NS1_11comp_targetILNS1_3genE2ELNS1_11target_archE906ELNS1_3gpuE6ELNS1_3repE0EEENS1_30default_config_static_selectorELNS0_4arch9wavefront6targetE0EEEvT1_.has_indirect_call, 0
	.section	.AMDGPU.csdata,"",@progbits
; Kernel info:
; codeLenInByte = 0
; TotalNumSgprs: 0
; NumVgprs: 0
; ScratchSize: 0
; MemoryBound: 0
; FloatMode: 240
; IeeeMode: 1
; LDSByteSize: 0 bytes/workgroup (compile time only)
; SGPRBlocks: 0
; VGPRBlocks: 0
; NumSGPRsForWavesPerEU: 1
; NumVGPRsForWavesPerEU: 1
; Occupancy: 16
; WaveLimiterHint : 0
; COMPUTE_PGM_RSRC2:SCRATCH_EN: 0
; COMPUTE_PGM_RSRC2:USER_SGPR: 6
; COMPUTE_PGM_RSRC2:TRAP_HANDLER: 0
; COMPUTE_PGM_RSRC2:TGID_X_EN: 1
; COMPUTE_PGM_RSRC2:TGID_Y_EN: 0
; COMPUTE_PGM_RSRC2:TGID_Z_EN: 0
; COMPUTE_PGM_RSRC2:TIDIG_COMP_CNT: 0
	.section	.text._ZN7rocprim17ROCPRIM_400000_NS6detail17trampoline_kernelINS0_14default_configENS1_27scan_by_key_config_selectorIxxEEZZNS1_16scan_by_key_implILNS1_25lookback_scan_determinismE0ELb0ES3_N6thrust23THRUST_200600_302600_NS6detail15normal_iteratorINS9_10device_ptrIxEEEESE_SE_xNS9_4plusIvEENS9_8equal_toIvEExEE10hipError_tPvRmT2_T3_T4_T5_mT6_T7_P12ihipStream_tbENKUlT_T0_E_clISt17integral_constantIbLb0EESZ_EEDaSU_SV_EUlSU_E_NS1_11comp_targetILNS1_3genE10ELNS1_11target_archE1200ELNS1_3gpuE4ELNS1_3repE0EEENS1_30default_config_static_selectorELNS0_4arch9wavefront6targetE0EEEvT1_,"axG",@progbits,_ZN7rocprim17ROCPRIM_400000_NS6detail17trampoline_kernelINS0_14default_configENS1_27scan_by_key_config_selectorIxxEEZZNS1_16scan_by_key_implILNS1_25lookback_scan_determinismE0ELb0ES3_N6thrust23THRUST_200600_302600_NS6detail15normal_iteratorINS9_10device_ptrIxEEEESE_SE_xNS9_4plusIvEENS9_8equal_toIvEExEE10hipError_tPvRmT2_T3_T4_T5_mT6_T7_P12ihipStream_tbENKUlT_T0_E_clISt17integral_constantIbLb0EESZ_EEDaSU_SV_EUlSU_E_NS1_11comp_targetILNS1_3genE10ELNS1_11target_archE1200ELNS1_3gpuE4ELNS1_3repE0EEENS1_30default_config_static_selectorELNS0_4arch9wavefront6targetE0EEEvT1_,comdat
	.protected	_ZN7rocprim17ROCPRIM_400000_NS6detail17trampoline_kernelINS0_14default_configENS1_27scan_by_key_config_selectorIxxEEZZNS1_16scan_by_key_implILNS1_25lookback_scan_determinismE0ELb0ES3_N6thrust23THRUST_200600_302600_NS6detail15normal_iteratorINS9_10device_ptrIxEEEESE_SE_xNS9_4plusIvEENS9_8equal_toIvEExEE10hipError_tPvRmT2_T3_T4_T5_mT6_T7_P12ihipStream_tbENKUlT_T0_E_clISt17integral_constantIbLb0EESZ_EEDaSU_SV_EUlSU_E_NS1_11comp_targetILNS1_3genE10ELNS1_11target_archE1200ELNS1_3gpuE4ELNS1_3repE0EEENS1_30default_config_static_selectorELNS0_4arch9wavefront6targetE0EEEvT1_ ; -- Begin function _ZN7rocprim17ROCPRIM_400000_NS6detail17trampoline_kernelINS0_14default_configENS1_27scan_by_key_config_selectorIxxEEZZNS1_16scan_by_key_implILNS1_25lookback_scan_determinismE0ELb0ES3_N6thrust23THRUST_200600_302600_NS6detail15normal_iteratorINS9_10device_ptrIxEEEESE_SE_xNS9_4plusIvEENS9_8equal_toIvEExEE10hipError_tPvRmT2_T3_T4_T5_mT6_T7_P12ihipStream_tbENKUlT_T0_E_clISt17integral_constantIbLb0EESZ_EEDaSU_SV_EUlSU_E_NS1_11comp_targetILNS1_3genE10ELNS1_11target_archE1200ELNS1_3gpuE4ELNS1_3repE0EEENS1_30default_config_static_selectorELNS0_4arch9wavefront6targetE0EEEvT1_
	.globl	_ZN7rocprim17ROCPRIM_400000_NS6detail17trampoline_kernelINS0_14default_configENS1_27scan_by_key_config_selectorIxxEEZZNS1_16scan_by_key_implILNS1_25lookback_scan_determinismE0ELb0ES3_N6thrust23THRUST_200600_302600_NS6detail15normal_iteratorINS9_10device_ptrIxEEEESE_SE_xNS9_4plusIvEENS9_8equal_toIvEExEE10hipError_tPvRmT2_T3_T4_T5_mT6_T7_P12ihipStream_tbENKUlT_T0_E_clISt17integral_constantIbLb0EESZ_EEDaSU_SV_EUlSU_E_NS1_11comp_targetILNS1_3genE10ELNS1_11target_archE1200ELNS1_3gpuE4ELNS1_3repE0EEENS1_30default_config_static_selectorELNS0_4arch9wavefront6targetE0EEEvT1_
	.p2align	8
	.type	_ZN7rocprim17ROCPRIM_400000_NS6detail17trampoline_kernelINS0_14default_configENS1_27scan_by_key_config_selectorIxxEEZZNS1_16scan_by_key_implILNS1_25lookback_scan_determinismE0ELb0ES3_N6thrust23THRUST_200600_302600_NS6detail15normal_iteratorINS9_10device_ptrIxEEEESE_SE_xNS9_4plusIvEENS9_8equal_toIvEExEE10hipError_tPvRmT2_T3_T4_T5_mT6_T7_P12ihipStream_tbENKUlT_T0_E_clISt17integral_constantIbLb0EESZ_EEDaSU_SV_EUlSU_E_NS1_11comp_targetILNS1_3genE10ELNS1_11target_archE1200ELNS1_3gpuE4ELNS1_3repE0EEENS1_30default_config_static_selectorELNS0_4arch9wavefront6targetE0EEEvT1_,@function
_ZN7rocprim17ROCPRIM_400000_NS6detail17trampoline_kernelINS0_14default_configENS1_27scan_by_key_config_selectorIxxEEZZNS1_16scan_by_key_implILNS1_25lookback_scan_determinismE0ELb0ES3_N6thrust23THRUST_200600_302600_NS6detail15normal_iteratorINS9_10device_ptrIxEEEESE_SE_xNS9_4plusIvEENS9_8equal_toIvEExEE10hipError_tPvRmT2_T3_T4_T5_mT6_T7_P12ihipStream_tbENKUlT_T0_E_clISt17integral_constantIbLb0EESZ_EEDaSU_SV_EUlSU_E_NS1_11comp_targetILNS1_3genE10ELNS1_11target_archE1200ELNS1_3gpuE4ELNS1_3repE0EEENS1_30default_config_static_selectorELNS0_4arch9wavefront6targetE0EEEvT1_: ; @_ZN7rocprim17ROCPRIM_400000_NS6detail17trampoline_kernelINS0_14default_configENS1_27scan_by_key_config_selectorIxxEEZZNS1_16scan_by_key_implILNS1_25lookback_scan_determinismE0ELb0ES3_N6thrust23THRUST_200600_302600_NS6detail15normal_iteratorINS9_10device_ptrIxEEEESE_SE_xNS9_4plusIvEENS9_8equal_toIvEExEE10hipError_tPvRmT2_T3_T4_T5_mT6_T7_P12ihipStream_tbENKUlT_T0_E_clISt17integral_constantIbLb0EESZ_EEDaSU_SV_EUlSU_E_NS1_11comp_targetILNS1_3genE10ELNS1_11target_archE1200ELNS1_3gpuE4ELNS1_3repE0EEENS1_30default_config_static_selectorELNS0_4arch9wavefront6targetE0EEEvT1_
; %bb.0:
	.section	.rodata,"a",@progbits
	.p2align	6, 0x0
	.amdhsa_kernel _ZN7rocprim17ROCPRIM_400000_NS6detail17trampoline_kernelINS0_14default_configENS1_27scan_by_key_config_selectorIxxEEZZNS1_16scan_by_key_implILNS1_25lookback_scan_determinismE0ELb0ES3_N6thrust23THRUST_200600_302600_NS6detail15normal_iteratorINS9_10device_ptrIxEEEESE_SE_xNS9_4plusIvEENS9_8equal_toIvEExEE10hipError_tPvRmT2_T3_T4_T5_mT6_T7_P12ihipStream_tbENKUlT_T0_E_clISt17integral_constantIbLb0EESZ_EEDaSU_SV_EUlSU_E_NS1_11comp_targetILNS1_3genE10ELNS1_11target_archE1200ELNS1_3gpuE4ELNS1_3repE0EEENS1_30default_config_static_selectorELNS0_4arch9wavefront6targetE0EEEvT1_
		.amdhsa_group_segment_fixed_size 0
		.amdhsa_private_segment_fixed_size 0
		.amdhsa_kernarg_size 136
		.amdhsa_user_sgpr_count 6
		.amdhsa_user_sgpr_private_segment_buffer 1
		.amdhsa_user_sgpr_dispatch_ptr 0
		.amdhsa_user_sgpr_queue_ptr 0
		.amdhsa_user_sgpr_kernarg_segment_ptr 1
		.amdhsa_user_sgpr_dispatch_id 0
		.amdhsa_user_sgpr_flat_scratch_init 0
		.amdhsa_user_sgpr_private_segment_size 0
		.amdhsa_wavefront_size32 1
		.amdhsa_uses_dynamic_stack 0
		.amdhsa_system_sgpr_private_segment_wavefront_offset 0
		.amdhsa_system_sgpr_workgroup_id_x 1
		.amdhsa_system_sgpr_workgroup_id_y 0
		.amdhsa_system_sgpr_workgroup_id_z 0
		.amdhsa_system_sgpr_workgroup_info 0
		.amdhsa_system_vgpr_workitem_id 0
		.amdhsa_next_free_vgpr 1
		.amdhsa_next_free_sgpr 1
		.amdhsa_reserve_vcc 0
		.amdhsa_reserve_flat_scratch 0
		.amdhsa_float_round_mode_32 0
		.amdhsa_float_round_mode_16_64 0
		.amdhsa_float_denorm_mode_32 3
		.amdhsa_float_denorm_mode_16_64 3
		.amdhsa_dx10_clamp 1
		.amdhsa_ieee_mode 1
		.amdhsa_fp16_overflow 0
		.amdhsa_workgroup_processor_mode 1
		.amdhsa_memory_ordered 1
		.amdhsa_forward_progress 1
		.amdhsa_shared_vgpr_count 0
		.amdhsa_exception_fp_ieee_invalid_op 0
		.amdhsa_exception_fp_denorm_src 0
		.amdhsa_exception_fp_ieee_div_zero 0
		.amdhsa_exception_fp_ieee_overflow 0
		.amdhsa_exception_fp_ieee_underflow 0
		.amdhsa_exception_fp_ieee_inexact 0
		.amdhsa_exception_int_div_zero 0
	.end_amdhsa_kernel
	.section	.text._ZN7rocprim17ROCPRIM_400000_NS6detail17trampoline_kernelINS0_14default_configENS1_27scan_by_key_config_selectorIxxEEZZNS1_16scan_by_key_implILNS1_25lookback_scan_determinismE0ELb0ES3_N6thrust23THRUST_200600_302600_NS6detail15normal_iteratorINS9_10device_ptrIxEEEESE_SE_xNS9_4plusIvEENS9_8equal_toIvEExEE10hipError_tPvRmT2_T3_T4_T5_mT6_T7_P12ihipStream_tbENKUlT_T0_E_clISt17integral_constantIbLb0EESZ_EEDaSU_SV_EUlSU_E_NS1_11comp_targetILNS1_3genE10ELNS1_11target_archE1200ELNS1_3gpuE4ELNS1_3repE0EEENS1_30default_config_static_selectorELNS0_4arch9wavefront6targetE0EEEvT1_,"axG",@progbits,_ZN7rocprim17ROCPRIM_400000_NS6detail17trampoline_kernelINS0_14default_configENS1_27scan_by_key_config_selectorIxxEEZZNS1_16scan_by_key_implILNS1_25lookback_scan_determinismE0ELb0ES3_N6thrust23THRUST_200600_302600_NS6detail15normal_iteratorINS9_10device_ptrIxEEEESE_SE_xNS9_4plusIvEENS9_8equal_toIvEExEE10hipError_tPvRmT2_T3_T4_T5_mT6_T7_P12ihipStream_tbENKUlT_T0_E_clISt17integral_constantIbLb0EESZ_EEDaSU_SV_EUlSU_E_NS1_11comp_targetILNS1_3genE10ELNS1_11target_archE1200ELNS1_3gpuE4ELNS1_3repE0EEENS1_30default_config_static_selectorELNS0_4arch9wavefront6targetE0EEEvT1_,comdat
.Lfunc_end11:
	.size	_ZN7rocprim17ROCPRIM_400000_NS6detail17trampoline_kernelINS0_14default_configENS1_27scan_by_key_config_selectorIxxEEZZNS1_16scan_by_key_implILNS1_25lookback_scan_determinismE0ELb0ES3_N6thrust23THRUST_200600_302600_NS6detail15normal_iteratorINS9_10device_ptrIxEEEESE_SE_xNS9_4plusIvEENS9_8equal_toIvEExEE10hipError_tPvRmT2_T3_T4_T5_mT6_T7_P12ihipStream_tbENKUlT_T0_E_clISt17integral_constantIbLb0EESZ_EEDaSU_SV_EUlSU_E_NS1_11comp_targetILNS1_3genE10ELNS1_11target_archE1200ELNS1_3gpuE4ELNS1_3repE0EEENS1_30default_config_static_selectorELNS0_4arch9wavefront6targetE0EEEvT1_, .Lfunc_end11-_ZN7rocprim17ROCPRIM_400000_NS6detail17trampoline_kernelINS0_14default_configENS1_27scan_by_key_config_selectorIxxEEZZNS1_16scan_by_key_implILNS1_25lookback_scan_determinismE0ELb0ES3_N6thrust23THRUST_200600_302600_NS6detail15normal_iteratorINS9_10device_ptrIxEEEESE_SE_xNS9_4plusIvEENS9_8equal_toIvEExEE10hipError_tPvRmT2_T3_T4_T5_mT6_T7_P12ihipStream_tbENKUlT_T0_E_clISt17integral_constantIbLb0EESZ_EEDaSU_SV_EUlSU_E_NS1_11comp_targetILNS1_3genE10ELNS1_11target_archE1200ELNS1_3gpuE4ELNS1_3repE0EEENS1_30default_config_static_selectorELNS0_4arch9wavefront6targetE0EEEvT1_
                                        ; -- End function
	.set _ZN7rocprim17ROCPRIM_400000_NS6detail17trampoline_kernelINS0_14default_configENS1_27scan_by_key_config_selectorIxxEEZZNS1_16scan_by_key_implILNS1_25lookback_scan_determinismE0ELb0ES3_N6thrust23THRUST_200600_302600_NS6detail15normal_iteratorINS9_10device_ptrIxEEEESE_SE_xNS9_4plusIvEENS9_8equal_toIvEExEE10hipError_tPvRmT2_T3_T4_T5_mT6_T7_P12ihipStream_tbENKUlT_T0_E_clISt17integral_constantIbLb0EESZ_EEDaSU_SV_EUlSU_E_NS1_11comp_targetILNS1_3genE10ELNS1_11target_archE1200ELNS1_3gpuE4ELNS1_3repE0EEENS1_30default_config_static_selectorELNS0_4arch9wavefront6targetE0EEEvT1_.num_vgpr, 0
	.set _ZN7rocprim17ROCPRIM_400000_NS6detail17trampoline_kernelINS0_14default_configENS1_27scan_by_key_config_selectorIxxEEZZNS1_16scan_by_key_implILNS1_25lookback_scan_determinismE0ELb0ES3_N6thrust23THRUST_200600_302600_NS6detail15normal_iteratorINS9_10device_ptrIxEEEESE_SE_xNS9_4plusIvEENS9_8equal_toIvEExEE10hipError_tPvRmT2_T3_T4_T5_mT6_T7_P12ihipStream_tbENKUlT_T0_E_clISt17integral_constantIbLb0EESZ_EEDaSU_SV_EUlSU_E_NS1_11comp_targetILNS1_3genE10ELNS1_11target_archE1200ELNS1_3gpuE4ELNS1_3repE0EEENS1_30default_config_static_selectorELNS0_4arch9wavefront6targetE0EEEvT1_.num_agpr, 0
	.set _ZN7rocprim17ROCPRIM_400000_NS6detail17trampoline_kernelINS0_14default_configENS1_27scan_by_key_config_selectorIxxEEZZNS1_16scan_by_key_implILNS1_25lookback_scan_determinismE0ELb0ES3_N6thrust23THRUST_200600_302600_NS6detail15normal_iteratorINS9_10device_ptrIxEEEESE_SE_xNS9_4plusIvEENS9_8equal_toIvEExEE10hipError_tPvRmT2_T3_T4_T5_mT6_T7_P12ihipStream_tbENKUlT_T0_E_clISt17integral_constantIbLb0EESZ_EEDaSU_SV_EUlSU_E_NS1_11comp_targetILNS1_3genE10ELNS1_11target_archE1200ELNS1_3gpuE4ELNS1_3repE0EEENS1_30default_config_static_selectorELNS0_4arch9wavefront6targetE0EEEvT1_.numbered_sgpr, 0
	.set _ZN7rocprim17ROCPRIM_400000_NS6detail17trampoline_kernelINS0_14default_configENS1_27scan_by_key_config_selectorIxxEEZZNS1_16scan_by_key_implILNS1_25lookback_scan_determinismE0ELb0ES3_N6thrust23THRUST_200600_302600_NS6detail15normal_iteratorINS9_10device_ptrIxEEEESE_SE_xNS9_4plusIvEENS9_8equal_toIvEExEE10hipError_tPvRmT2_T3_T4_T5_mT6_T7_P12ihipStream_tbENKUlT_T0_E_clISt17integral_constantIbLb0EESZ_EEDaSU_SV_EUlSU_E_NS1_11comp_targetILNS1_3genE10ELNS1_11target_archE1200ELNS1_3gpuE4ELNS1_3repE0EEENS1_30default_config_static_selectorELNS0_4arch9wavefront6targetE0EEEvT1_.num_named_barrier, 0
	.set _ZN7rocprim17ROCPRIM_400000_NS6detail17trampoline_kernelINS0_14default_configENS1_27scan_by_key_config_selectorIxxEEZZNS1_16scan_by_key_implILNS1_25lookback_scan_determinismE0ELb0ES3_N6thrust23THRUST_200600_302600_NS6detail15normal_iteratorINS9_10device_ptrIxEEEESE_SE_xNS9_4plusIvEENS9_8equal_toIvEExEE10hipError_tPvRmT2_T3_T4_T5_mT6_T7_P12ihipStream_tbENKUlT_T0_E_clISt17integral_constantIbLb0EESZ_EEDaSU_SV_EUlSU_E_NS1_11comp_targetILNS1_3genE10ELNS1_11target_archE1200ELNS1_3gpuE4ELNS1_3repE0EEENS1_30default_config_static_selectorELNS0_4arch9wavefront6targetE0EEEvT1_.private_seg_size, 0
	.set _ZN7rocprim17ROCPRIM_400000_NS6detail17trampoline_kernelINS0_14default_configENS1_27scan_by_key_config_selectorIxxEEZZNS1_16scan_by_key_implILNS1_25lookback_scan_determinismE0ELb0ES3_N6thrust23THRUST_200600_302600_NS6detail15normal_iteratorINS9_10device_ptrIxEEEESE_SE_xNS9_4plusIvEENS9_8equal_toIvEExEE10hipError_tPvRmT2_T3_T4_T5_mT6_T7_P12ihipStream_tbENKUlT_T0_E_clISt17integral_constantIbLb0EESZ_EEDaSU_SV_EUlSU_E_NS1_11comp_targetILNS1_3genE10ELNS1_11target_archE1200ELNS1_3gpuE4ELNS1_3repE0EEENS1_30default_config_static_selectorELNS0_4arch9wavefront6targetE0EEEvT1_.uses_vcc, 0
	.set _ZN7rocprim17ROCPRIM_400000_NS6detail17trampoline_kernelINS0_14default_configENS1_27scan_by_key_config_selectorIxxEEZZNS1_16scan_by_key_implILNS1_25lookback_scan_determinismE0ELb0ES3_N6thrust23THRUST_200600_302600_NS6detail15normal_iteratorINS9_10device_ptrIxEEEESE_SE_xNS9_4plusIvEENS9_8equal_toIvEExEE10hipError_tPvRmT2_T3_T4_T5_mT6_T7_P12ihipStream_tbENKUlT_T0_E_clISt17integral_constantIbLb0EESZ_EEDaSU_SV_EUlSU_E_NS1_11comp_targetILNS1_3genE10ELNS1_11target_archE1200ELNS1_3gpuE4ELNS1_3repE0EEENS1_30default_config_static_selectorELNS0_4arch9wavefront6targetE0EEEvT1_.uses_flat_scratch, 0
	.set _ZN7rocprim17ROCPRIM_400000_NS6detail17trampoline_kernelINS0_14default_configENS1_27scan_by_key_config_selectorIxxEEZZNS1_16scan_by_key_implILNS1_25lookback_scan_determinismE0ELb0ES3_N6thrust23THRUST_200600_302600_NS6detail15normal_iteratorINS9_10device_ptrIxEEEESE_SE_xNS9_4plusIvEENS9_8equal_toIvEExEE10hipError_tPvRmT2_T3_T4_T5_mT6_T7_P12ihipStream_tbENKUlT_T0_E_clISt17integral_constantIbLb0EESZ_EEDaSU_SV_EUlSU_E_NS1_11comp_targetILNS1_3genE10ELNS1_11target_archE1200ELNS1_3gpuE4ELNS1_3repE0EEENS1_30default_config_static_selectorELNS0_4arch9wavefront6targetE0EEEvT1_.has_dyn_sized_stack, 0
	.set _ZN7rocprim17ROCPRIM_400000_NS6detail17trampoline_kernelINS0_14default_configENS1_27scan_by_key_config_selectorIxxEEZZNS1_16scan_by_key_implILNS1_25lookback_scan_determinismE0ELb0ES3_N6thrust23THRUST_200600_302600_NS6detail15normal_iteratorINS9_10device_ptrIxEEEESE_SE_xNS9_4plusIvEENS9_8equal_toIvEExEE10hipError_tPvRmT2_T3_T4_T5_mT6_T7_P12ihipStream_tbENKUlT_T0_E_clISt17integral_constantIbLb0EESZ_EEDaSU_SV_EUlSU_E_NS1_11comp_targetILNS1_3genE10ELNS1_11target_archE1200ELNS1_3gpuE4ELNS1_3repE0EEENS1_30default_config_static_selectorELNS0_4arch9wavefront6targetE0EEEvT1_.has_recursion, 0
	.set _ZN7rocprim17ROCPRIM_400000_NS6detail17trampoline_kernelINS0_14default_configENS1_27scan_by_key_config_selectorIxxEEZZNS1_16scan_by_key_implILNS1_25lookback_scan_determinismE0ELb0ES3_N6thrust23THRUST_200600_302600_NS6detail15normal_iteratorINS9_10device_ptrIxEEEESE_SE_xNS9_4plusIvEENS9_8equal_toIvEExEE10hipError_tPvRmT2_T3_T4_T5_mT6_T7_P12ihipStream_tbENKUlT_T0_E_clISt17integral_constantIbLb0EESZ_EEDaSU_SV_EUlSU_E_NS1_11comp_targetILNS1_3genE10ELNS1_11target_archE1200ELNS1_3gpuE4ELNS1_3repE0EEENS1_30default_config_static_selectorELNS0_4arch9wavefront6targetE0EEEvT1_.has_indirect_call, 0
	.section	.AMDGPU.csdata,"",@progbits
; Kernel info:
; codeLenInByte = 0
; TotalNumSgprs: 0
; NumVgprs: 0
; ScratchSize: 0
; MemoryBound: 0
; FloatMode: 240
; IeeeMode: 1
; LDSByteSize: 0 bytes/workgroup (compile time only)
; SGPRBlocks: 0
; VGPRBlocks: 0
; NumSGPRsForWavesPerEU: 1
; NumVGPRsForWavesPerEU: 1
; Occupancy: 16
; WaveLimiterHint : 0
; COMPUTE_PGM_RSRC2:SCRATCH_EN: 0
; COMPUTE_PGM_RSRC2:USER_SGPR: 6
; COMPUTE_PGM_RSRC2:TRAP_HANDLER: 0
; COMPUTE_PGM_RSRC2:TGID_X_EN: 1
; COMPUTE_PGM_RSRC2:TGID_Y_EN: 0
; COMPUTE_PGM_RSRC2:TGID_Z_EN: 0
; COMPUTE_PGM_RSRC2:TIDIG_COMP_CNT: 0
	.section	.text._ZN7rocprim17ROCPRIM_400000_NS6detail17trampoline_kernelINS0_14default_configENS1_27scan_by_key_config_selectorIxxEEZZNS1_16scan_by_key_implILNS1_25lookback_scan_determinismE0ELb0ES3_N6thrust23THRUST_200600_302600_NS6detail15normal_iteratorINS9_10device_ptrIxEEEESE_SE_xNS9_4plusIvEENS9_8equal_toIvEExEE10hipError_tPvRmT2_T3_T4_T5_mT6_T7_P12ihipStream_tbENKUlT_T0_E_clISt17integral_constantIbLb0EESZ_EEDaSU_SV_EUlSU_E_NS1_11comp_targetILNS1_3genE9ELNS1_11target_archE1100ELNS1_3gpuE3ELNS1_3repE0EEENS1_30default_config_static_selectorELNS0_4arch9wavefront6targetE0EEEvT1_,"axG",@progbits,_ZN7rocprim17ROCPRIM_400000_NS6detail17trampoline_kernelINS0_14default_configENS1_27scan_by_key_config_selectorIxxEEZZNS1_16scan_by_key_implILNS1_25lookback_scan_determinismE0ELb0ES3_N6thrust23THRUST_200600_302600_NS6detail15normal_iteratorINS9_10device_ptrIxEEEESE_SE_xNS9_4plusIvEENS9_8equal_toIvEExEE10hipError_tPvRmT2_T3_T4_T5_mT6_T7_P12ihipStream_tbENKUlT_T0_E_clISt17integral_constantIbLb0EESZ_EEDaSU_SV_EUlSU_E_NS1_11comp_targetILNS1_3genE9ELNS1_11target_archE1100ELNS1_3gpuE3ELNS1_3repE0EEENS1_30default_config_static_selectorELNS0_4arch9wavefront6targetE0EEEvT1_,comdat
	.protected	_ZN7rocprim17ROCPRIM_400000_NS6detail17trampoline_kernelINS0_14default_configENS1_27scan_by_key_config_selectorIxxEEZZNS1_16scan_by_key_implILNS1_25lookback_scan_determinismE0ELb0ES3_N6thrust23THRUST_200600_302600_NS6detail15normal_iteratorINS9_10device_ptrIxEEEESE_SE_xNS9_4plusIvEENS9_8equal_toIvEExEE10hipError_tPvRmT2_T3_T4_T5_mT6_T7_P12ihipStream_tbENKUlT_T0_E_clISt17integral_constantIbLb0EESZ_EEDaSU_SV_EUlSU_E_NS1_11comp_targetILNS1_3genE9ELNS1_11target_archE1100ELNS1_3gpuE3ELNS1_3repE0EEENS1_30default_config_static_selectorELNS0_4arch9wavefront6targetE0EEEvT1_ ; -- Begin function _ZN7rocprim17ROCPRIM_400000_NS6detail17trampoline_kernelINS0_14default_configENS1_27scan_by_key_config_selectorIxxEEZZNS1_16scan_by_key_implILNS1_25lookback_scan_determinismE0ELb0ES3_N6thrust23THRUST_200600_302600_NS6detail15normal_iteratorINS9_10device_ptrIxEEEESE_SE_xNS9_4plusIvEENS9_8equal_toIvEExEE10hipError_tPvRmT2_T3_T4_T5_mT6_T7_P12ihipStream_tbENKUlT_T0_E_clISt17integral_constantIbLb0EESZ_EEDaSU_SV_EUlSU_E_NS1_11comp_targetILNS1_3genE9ELNS1_11target_archE1100ELNS1_3gpuE3ELNS1_3repE0EEENS1_30default_config_static_selectorELNS0_4arch9wavefront6targetE0EEEvT1_
	.globl	_ZN7rocprim17ROCPRIM_400000_NS6detail17trampoline_kernelINS0_14default_configENS1_27scan_by_key_config_selectorIxxEEZZNS1_16scan_by_key_implILNS1_25lookback_scan_determinismE0ELb0ES3_N6thrust23THRUST_200600_302600_NS6detail15normal_iteratorINS9_10device_ptrIxEEEESE_SE_xNS9_4plusIvEENS9_8equal_toIvEExEE10hipError_tPvRmT2_T3_T4_T5_mT6_T7_P12ihipStream_tbENKUlT_T0_E_clISt17integral_constantIbLb0EESZ_EEDaSU_SV_EUlSU_E_NS1_11comp_targetILNS1_3genE9ELNS1_11target_archE1100ELNS1_3gpuE3ELNS1_3repE0EEENS1_30default_config_static_selectorELNS0_4arch9wavefront6targetE0EEEvT1_
	.p2align	8
	.type	_ZN7rocprim17ROCPRIM_400000_NS6detail17trampoline_kernelINS0_14default_configENS1_27scan_by_key_config_selectorIxxEEZZNS1_16scan_by_key_implILNS1_25lookback_scan_determinismE0ELb0ES3_N6thrust23THRUST_200600_302600_NS6detail15normal_iteratorINS9_10device_ptrIxEEEESE_SE_xNS9_4plusIvEENS9_8equal_toIvEExEE10hipError_tPvRmT2_T3_T4_T5_mT6_T7_P12ihipStream_tbENKUlT_T0_E_clISt17integral_constantIbLb0EESZ_EEDaSU_SV_EUlSU_E_NS1_11comp_targetILNS1_3genE9ELNS1_11target_archE1100ELNS1_3gpuE3ELNS1_3repE0EEENS1_30default_config_static_selectorELNS0_4arch9wavefront6targetE0EEEvT1_,@function
_ZN7rocprim17ROCPRIM_400000_NS6detail17trampoline_kernelINS0_14default_configENS1_27scan_by_key_config_selectorIxxEEZZNS1_16scan_by_key_implILNS1_25lookback_scan_determinismE0ELb0ES3_N6thrust23THRUST_200600_302600_NS6detail15normal_iteratorINS9_10device_ptrIxEEEESE_SE_xNS9_4plusIvEENS9_8equal_toIvEExEE10hipError_tPvRmT2_T3_T4_T5_mT6_T7_P12ihipStream_tbENKUlT_T0_E_clISt17integral_constantIbLb0EESZ_EEDaSU_SV_EUlSU_E_NS1_11comp_targetILNS1_3genE9ELNS1_11target_archE1100ELNS1_3gpuE3ELNS1_3repE0EEENS1_30default_config_static_selectorELNS0_4arch9wavefront6targetE0EEEvT1_: ; @_ZN7rocprim17ROCPRIM_400000_NS6detail17trampoline_kernelINS0_14default_configENS1_27scan_by_key_config_selectorIxxEEZZNS1_16scan_by_key_implILNS1_25lookback_scan_determinismE0ELb0ES3_N6thrust23THRUST_200600_302600_NS6detail15normal_iteratorINS9_10device_ptrIxEEEESE_SE_xNS9_4plusIvEENS9_8equal_toIvEExEE10hipError_tPvRmT2_T3_T4_T5_mT6_T7_P12ihipStream_tbENKUlT_T0_E_clISt17integral_constantIbLb0EESZ_EEDaSU_SV_EUlSU_E_NS1_11comp_targetILNS1_3genE9ELNS1_11target_archE1100ELNS1_3gpuE3ELNS1_3repE0EEENS1_30default_config_static_selectorELNS0_4arch9wavefront6targetE0EEEvT1_
; %bb.0:
	.section	.rodata,"a",@progbits
	.p2align	6, 0x0
	.amdhsa_kernel _ZN7rocprim17ROCPRIM_400000_NS6detail17trampoline_kernelINS0_14default_configENS1_27scan_by_key_config_selectorIxxEEZZNS1_16scan_by_key_implILNS1_25lookback_scan_determinismE0ELb0ES3_N6thrust23THRUST_200600_302600_NS6detail15normal_iteratorINS9_10device_ptrIxEEEESE_SE_xNS9_4plusIvEENS9_8equal_toIvEExEE10hipError_tPvRmT2_T3_T4_T5_mT6_T7_P12ihipStream_tbENKUlT_T0_E_clISt17integral_constantIbLb0EESZ_EEDaSU_SV_EUlSU_E_NS1_11comp_targetILNS1_3genE9ELNS1_11target_archE1100ELNS1_3gpuE3ELNS1_3repE0EEENS1_30default_config_static_selectorELNS0_4arch9wavefront6targetE0EEEvT1_
		.amdhsa_group_segment_fixed_size 0
		.amdhsa_private_segment_fixed_size 0
		.amdhsa_kernarg_size 136
		.amdhsa_user_sgpr_count 6
		.amdhsa_user_sgpr_private_segment_buffer 1
		.amdhsa_user_sgpr_dispatch_ptr 0
		.amdhsa_user_sgpr_queue_ptr 0
		.amdhsa_user_sgpr_kernarg_segment_ptr 1
		.amdhsa_user_sgpr_dispatch_id 0
		.amdhsa_user_sgpr_flat_scratch_init 0
		.amdhsa_user_sgpr_private_segment_size 0
		.amdhsa_wavefront_size32 1
		.amdhsa_uses_dynamic_stack 0
		.amdhsa_system_sgpr_private_segment_wavefront_offset 0
		.amdhsa_system_sgpr_workgroup_id_x 1
		.amdhsa_system_sgpr_workgroup_id_y 0
		.amdhsa_system_sgpr_workgroup_id_z 0
		.amdhsa_system_sgpr_workgroup_info 0
		.amdhsa_system_vgpr_workitem_id 0
		.amdhsa_next_free_vgpr 1
		.amdhsa_next_free_sgpr 1
		.amdhsa_reserve_vcc 0
		.amdhsa_reserve_flat_scratch 0
		.amdhsa_float_round_mode_32 0
		.amdhsa_float_round_mode_16_64 0
		.amdhsa_float_denorm_mode_32 3
		.amdhsa_float_denorm_mode_16_64 3
		.amdhsa_dx10_clamp 1
		.amdhsa_ieee_mode 1
		.amdhsa_fp16_overflow 0
		.amdhsa_workgroup_processor_mode 1
		.amdhsa_memory_ordered 1
		.amdhsa_forward_progress 1
		.amdhsa_shared_vgpr_count 0
		.amdhsa_exception_fp_ieee_invalid_op 0
		.amdhsa_exception_fp_denorm_src 0
		.amdhsa_exception_fp_ieee_div_zero 0
		.amdhsa_exception_fp_ieee_overflow 0
		.amdhsa_exception_fp_ieee_underflow 0
		.amdhsa_exception_fp_ieee_inexact 0
		.amdhsa_exception_int_div_zero 0
	.end_amdhsa_kernel
	.section	.text._ZN7rocprim17ROCPRIM_400000_NS6detail17trampoline_kernelINS0_14default_configENS1_27scan_by_key_config_selectorIxxEEZZNS1_16scan_by_key_implILNS1_25lookback_scan_determinismE0ELb0ES3_N6thrust23THRUST_200600_302600_NS6detail15normal_iteratorINS9_10device_ptrIxEEEESE_SE_xNS9_4plusIvEENS9_8equal_toIvEExEE10hipError_tPvRmT2_T3_T4_T5_mT6_T7_P12ihipStream_tbENKUlT_T0_E_clISt17integral_constantIbLb0EESZ_EEDaSU_SV_EUlSU_E_NS1_11comp_targetILNS1_3genE9ELNS1_11target_archE1100ELNS1_3gpuE3ELNS1_3repE0EEENS1_30default_config_static_selectorELNS0_4arch9wavefront6targetE0EEEvT1_,"axG",@progbits,_ZN7rocprim17ROCPRIM_400000_NS6detail17trampoline_kernelINS0_14default_configENS1_27scan_by_key_config_selectorIxxEEZZNS1_16scan_by_key_implILNS1_25lookback_scan_determinismE0ELb0ES3_N6thrust23THRUST_200600_302600_NS6detail15normal_iteratorINS9_10device_ptrIxEEEESE_SE_xNS9_4plusIvEENS9_8equal_toIvEExEE10hipError_tPvRmT2_T3_T4_T5_mT6_T7_P12ihipStream_tbENKUlT_T0_E_clISt17integral_constantIbLb0EESZ_EEDaSU_SV_EUlSU_E_NS1_11comp_targetILNS1_3genE9ELNS1_11target_archE1100ELNS1_3gpuE3ELNS1_3repE0EEENS1_30default_config_static_selectorELNS0_4arch9wavefront6targetE0EEEvT1_,comdat
.Lfunc_end12:
	.size	_ZN7rocprim17ROCPRIM_400000_NS6detail17trampoline_kernelINS0_14default_configENS1_27scan_by_key_config_selectorIxxEEZZNS1_16scan_by_key_implILNS1_25lookback_scan_determinismE0ELb0ES3_N6thrust23THRUST_200600_302600_NS6detail15normal_iteratorINS9_10device_ptrIxEEEESE_SE_xNS9_4plusIvEENS9_8equal_toIvEExEE10hipError_tPvRmT2_T3_T4_T5_mT6_T7_P12ihipStream_tbENKUlT_T0_E_clISt17integral_constantIbLb0EESZ_EEDaSU_SV_EUlSU_E_NS1_11comp_targetILNS1_3genE9ELNS1_11target_archE1100ELNS1_3gpuE3ELNS1_3repE0EEENS1_30default_config_static_selectorELNS0_4arch9wavefront6targetE0EEEvT1_, .Lfunc_end12-_ZN7rocprim17ROCPRIM_400000_NS6detail17trampoline_kernelINS0_14default_configENS1_27scan_by_key_config_selectorIxxEEZZNS1_16scan_by_key_implILNS1_25lookback_scan_determinismE0ELb0ES3_N6thrust23THRUST_200600_302600_NS6detail15normal_iteratorINS9_10device_ptrIxEEEESE_SE_xNS9_4plusIvEENS9_8equal_toIvEExEE10hipError_tPvRmT2_T3_T4_T5_mT6_T7_P12ihipStream_tbENKUlT_T0_E_clISt17integral_constantIbLb0EESZ_EEDaSU_SV_EUlSU_E_NS1_11comp_targetILNS1_3genE9ELNS1_11target_archE1100ELNS1_3gpuE3ELNS1_3repE0EEENS1_30default_config_static_selectorELNS0_4arch9wavefront6targetE0EEEvT1_
                                        ; -- End function
	.set _ZN7rocprim17ROCPRIM_400000_NS6detail17trampoline_kernelINS0_14default_configENS1_27scan_by_key_config_selectorIxxEEZZNS1_16scan_by_key_implILNS1_25lookback_scan_determinismE0ELb0ES3_N6thrust23THRUST_200600_302600_NS6detail15normal_iteratorINS9_10device_ptrIxEEEESE_SE_xNS9_4plusIvEENS9_8equal_toIvEExEE10hipError_tPvRmT2_T3_T4_T5_mT6_T7_P12ihipStream_tbENKUlT_T0_E_clISt17integral_constantIbLb0EESZ_EEDaSU_SV_EUlSU_E_NS1_11comp_targetILNS1_3genE9ELNS1_11target_archE1100ELNS1_3gpuE3ELNS1_3repE0EEENS1_30default_config_static_selectorELNS0_4arch9wavefront6targetE0EEEvT1_.num_vgpr, 0
	.set _ZN7rocprim17ROCPRIM_400000_NS6detail17trampoline_kernelINS0_14default_configENS1_27scan_by_key_config_selectorIxxEEZZNS1_16scan_by_key_implILNS1_25lookback_scan_determinismE0ELb0ES3_N6thrust23THRUST_200600_302600_NS6detail15normal_iteratorINS9_10device_ptrIxEEEESE_SE_xNS9_4plusIvEENS9_8equal_toIvEExEE10hipError_tPvRmT2_T3_T4_T5_mT6_T7_P12ihipStream_tbENKUlT_T0_E_clISt17integral_constantIbLb0EESZ_EEDaSU_SV_EUlSU_E_NS1_11comp_targetILNS1_3genE9ELNS1_11target_archE1100ELNS1_3gpuE3ELNS1_3repE0EEENS1_30default_config_static_selectorELNS0_4arch9wavefront6targetE0EEEvT1_.num_agpr, 0
	.set _ZN7rocprim17ROCPRIM_400000_NS6detail17trampoline_kernelINS0_14default_configENS1_27scan_by_key_config_selectorIxxEEZZNS1_16scan_by_key_implILNS1_25lookback_scan_determinismE0ELb0ES3_N6thrust23THRUST_200600_302600_NS6detail15normal_iteratorINS9_10device_ptrIxEEEESE_SE_xNS9_4plusIvEENS9_8equal_toIvEExEE10hipError_tPvRmT2_T3_T4_T5_mT6_T7_P12ihipStream_tbENKUlT_T0_E_clISt17integral_constantIbLb0EESZ_EEDaSU_SV_EUlSU_E_NS1_11comp_targetILNS1_3genE9ELNS1_11target_archE1100ELNS1_3gpuE3ELNS1_3repE0EEENS1_30default_config_static_selectorELNS0_4arch9wavefront6targetE0EEEvT1_.numbered_sgpr, 0
	.set _ZN7rocprim17ROCPRIM_400000_NS6detail17trampoline_kernelINS0_14default_configENS1_27scan_by_key_config_selectorIxxEEZZNS1_16scan_by_key_implILNS1_25lookback_scan_determinismE0ELb0ES3_N6thrust23THRUST_200600_302600_NS6detail15normal_iteratorINS9_10device_ptrIxEEEESE_SE_xNS9_4plusIvEENS9_8equal_toIvEExEE10hipError_tPvRmT2_T3_T4_T5_mT6_T7_P12ihipStream_tbENKUlT_T0_E_clISt17integral_constantIbLb0EESZ_EEDaSU_SV_EUlSU_E_NS1_11comp_targetILNS1_3genE9ELNS1_11target_archE1100ELNS1_3gpuE3ELNS1_3repE0EEENS1_30default_config_static_selectorELNS0_4arch9wavefront6targetE0EEEvT1_.num_named_barrier, 0
	.set _ZN7rocprim17ROCPRIM_400000_NS6detail17trampoline_kernelINS0_14default_configENS1_27scan_by_key_config_selectorIxxEEZZNS1_16scan_by_key_implILNS1_25lookback_scan_determinismE0ELb0ES3_N6thrust23THRUST_200600_302600_NS6detail15normal_iteratorINS9_10device_ptrIxEEEESE_SE_xNS9_4plusIvEENS9_8equal_toIvEExEE10hipError_tPvRmT2_T3_T4_T5_mT6_T7_P12ihipStream_tbENKUlT_T0_E_clISt17integral_constantIbLb0EESZ_EEDaSU_SV_EUlSU_E_NS1_11comp_targetILNS1_3genE9ELNS1_11target_archE1100ELNS1_3gpuE3ELNS1_3repE0EEENS1_30default_config_static_selectorELNS0_4arch9wavefront6targetE0EEEvT1_.private_seg_size, 0
	.set _ZN7rocprim17ROCPRIM_400000_NS6detail17trampoline_kernelINS0_14default_configENS1_27scan_by_key_config_selectorIxxEEZZNS1_16scan_by_key_implILNS1_25lookback_scan_determinismE0ELb0ES3_N6thrust23THRUST_200600_302600_NS6detail15normal_iteratorINS9_10device_ptrIxEEEESE_SE_xNS9_4plusIvEENS9_8equal_toIvEExEE10hipError_tPvRmT2_T3_T4_T5_mT6_T7_P12ihipStream_tbENKUlT_T0_E_clISt17integral_constantIbLb0EESZ_EEDaSU_SV_EUlSU_E_NS1_11comp_targetILNS1_3genE9ELNS1_11target_archE1100ELNS1_3gpuE3ELNS1_3repE0EEENS1_30default_config_static_selectorELNS0_4arch9wavefront6targetE0EEEvT1_.uses_vcc, 0
	.set _ZN7rocprim17ROCPRIM_400000_NS6detail17trampoline_kernelINS0_14default_configENS1_27scan_by_key_config_selectorIxxEEZZNS1_16scan_by_key_implILNS1_25lookback_scan_determinismE0ELb0ES3_N6thrust23THRUST_200600_302600_NS6detail15normal_iteratorINS9_10device_ptrIxEEEESE_SE_xNS9_4plusIvEENS9_8equal_toIvEExEE10hipError_tPvRmT2_T3_T4_T5_mT6_T7_P12ihipStream_tbENKUlT_T0_E_clISt17integral_constantIbLb0EESZ_EEDaSU_SV_EUlSU_E_NS1_11comp_targetILNS1_3genE9ELNS1_11target_archE1100ELNS1_3gpuE3ELNS1_3repE0EEENS1_30default_config_static_selectorELNS0_4arch9wavefront6targetE0EEEvT1_.uses_flat_scratch, 0
	.set _ZN7rocprim17ROCPRIM_400000_NS6detail17trampoline_kernelINS0_14default_configENS1_27scan_by_key_config_selectorIxxEEZZNS1_16scan_by_key_implILNS1_25lookback_scan_determinismE0ELb0ES3_N6thrust23THRUST_200600_302600_NS6detail15normal_iteratorINS9_10device_ptrIxEEEESE_SE_xNS9_4plusIvEENS9_8equal_toIvEExEE10hipError_tPvRmT2_T3_T4_T5_mT6_T7_P12ihipStream_tbENKUlT_T0_E_clISt17integral_constantIbLb0EESZ_EEDaSU_SV_EUlSU_E_NS1_11comp_targetILNS1_3genE9ELNS1_11target_archE1100ELNS1_3gpuE3ELNS1_3repE0EEENS1_30default_config_static_selectorELNS0_4arch9wavefront6targetE0EEEvT1_.has_dyn_sized_stack, 0
	.set _ZN7rocprim17ROCPRIM_400000_NS6detail17trampoline_kernelINS0_14default_configENS1_27scan_by_key_config_selectorIxxEEZZNS1_16scan_by_key_implILNS1_25lookback_scan_determinismE0ELb0ES3_N6thrust23THRUST_200600_302600_NS6detail15normal_iteratorINS9_10device_ptrIxEEEESE_SE_xNS9_4plusIvEENS9_8equal_toIvEExEE10hipError_tPvRmT2_T3_T4_T5_mT6_T7_P12ihipStream_tbENKUlT_T0_E_clISt17integral_constantIbLb0EESZ_EEDaSU_SV_EUlSU_E_NS1_11comp_targetILNS1_3genE9ELNS1_11target_archE1100ELNS1_3gpuE3ELNS1_3repE0EEENS1_30default_config_static_selectorELNS0_4arch9wavefront6targetE0EEEvT1_.has_recursion, 0
	.set _ZN7rocprim17ROCPRIM_400000_NS6detail17trampoline_kernelINS0_14default_configENS1_27scan_by_key_config_selectorIxxEEZZNS1_16scan_by_key_implILNS1_25lookback_scan_determinismE0ELb0ES3_N6thrust23THRUST_200600_302600_NS6detail15normal_iteratorINS9_10device_ptrIxEEEESE_SE_xNS9_4plusIvEENS9_8equal_toIvEExEE10hipError_tPvRmT2_T3_T4_T5_mT6_T7_P12ihipStream_tbENKUlT_T0_E_clISt17integral_constantIbLb0EESZ_EEDaSU_SV_EUlSU_E_NS1_11comp_targetILNS1_3genE9ELNS1_11target_archE1100ELNS1_3gpuE3ELNS1_3repE0EEENS1_30default_config_static_selectorELNS0_4arch9wavefront6targetE0EEEvT1_.has_indirect_call, 0
	.section	.AMDGPU.csdata,"",@progbits
; Kernel info:
; codeLenInByte = 0
; TotalNumSgprs: 0
; NumVgprs: 0
; ScratchSize: 0
; MemoryBound: 0
; FloatMode: 240
; IeeeMode: 1
; LDSByteSize: 0 bytes/workgroup (compile time only)
; SGPRBlocks: 0
; VGPRBlocks: 0
; NumSGPRsForWavesPerEU: 1
; NumVGPRsForWavesPerEU: 1
; Occupancy: 16
; WaveLimiterHint : 0
; COMPUTE_PGM_RSRC2:SCRATCH_EN: 0
; COMPUTE_PGM_RSRC2:USER_SGPR: 6
; COMPUTE_PGM_RSRC2:TRAP_HANDLER: 0
; COMPUTE_PGM_RSRC2:TGID_X_EN: 1
; COMPUTE_PGM_RSRC2:TGID_Y_EN: 0
; COMPUTE_PGM_RSRC2:TGID_Z_EN: 0
; COMPUTE_PGM_RSRC2:TIDIG_COMP_CNT: 0
	.section	.text._ZN7rocprim17ROCPRIM_400000_NS6detail17trampoline_kernelINS0_14default_configENS1_27scan_by_key_config_selectorIxxEEZZNS1_16scan_by_key_implILNS1_25lookback_scan_determinismE0ELb0ES3_N6thrust23THRUST_200600_302600_NS6detail15normal_iteratorINS9_10device_ptrIxEEEESE_SE_xNS9_4plusIvEENS9_8equal_toIvEExEE10hipError_tPvRmT2_T3_T4_T5_mT6_T7_P12ihipStream_tbENKUlT_T0_E_clISt17integral_constantIbLb0EESZ_EEDaSU_SV_EUlSU_E_NS1_11comp_targetILNS1_3genE8ELNS1_11target_archE1030ELNS1_3gpuE2ELNS1_3repE0EEENS1_30default_config_static_selectorELNS0_4arch9wavefront6targetE0EEEvT1_,"axG",@progbits,_ZN7rocprim17ROCPRIM_400000_NS6detail17trampoline_kernelINS0_14default_configENS1_27scan_by_key_config_selectorIxxEEZZNS1_16scan_by_key_implILNS1_25lookback_scan_determinismE0ELb0ES3_N6thrust23THRUST_200600_302600_NS6detail15normal_iteratorINS9_10device_ptrIxEEEESE_SE_xNS9_4plusIvEENS9_8equal_toIvEExEE10hipError_tPvRmT2_T3_T4_T5_mT6_T7_P12ihipStream_tbENKUlT_T0_E_clISt17integral_constantIbLb0EESZ_EEDaSU_SV_EUlSU_E_NS1_11comp_targetILNS1_3genE8ELNS1_11target_archE1030ELNS1_3gpuE2ELNS1_3repE0EEENS1_30default_config_static_selectorELNS0_4arch9wavefront6targetE0EEEvT1_,comdat
	.protected	_ZN7rocprim17ROCPRIM_400000_NS6detail17trampoline_kernelINS0_14default_configENS1_27scan_by_key_config_selectorIxxEEZZNS1_16scan_by_key_implILNS1_25lookback_scan_determinismE0ELb0ES3_N6thrust23THRUST_200600_302600_NS6detail15normal_iteratorINS9_10device_ptrIxEEEESE_SE_xNS9_4plusIvEENS9_8equal_toIvEExEE10hipError_tPvRmT2_T3_T4_T5_mT6_T7_P12ihipStream_tbENKUlT_T0_E_clISt17integral_constantIbLb0EESZ_EEDaSU_SV_EUlSU_E_NS1_11comp_targetILNS1_3genE8ELNS1_11target_archE1030ELNS1_3gpuE2ELNS1_3repE0EEENS1_30default_config_static_selectorELNS0_4arch9wavefront6targetE0EEEvT1_ ; -- Begin function _ZN7rocprim17ROCPRIM_400000_NS6detail17trampoline_kernelINS0_14default_configENS1_27scan_by_key_config_selectorIxxEEZZNS1_16scan_by_key_implILNS1_25lookback_scan_determinismE0ELb0ES3_N6thrust23THRUST_200600_302600_NS6detail15normal_iteratorINS9_10device_ptrIxEEEESE_SE_xNS9_4plusIvEENS9_8equal_toIvEExEE10hipError_tPvRmT2_T3_T4_T5_mT6_T7_P12ihipStream_tbENKUlT_T0_E_clISt17integral_constantIbLb0EESZ_EEDaSU_SV_EUlSU_E_NS1_11comp_targetILNS1_3genE8ELNS1_11target_archE1030ELNS1_3gpuE2ELNS1_3repE0EEENS1_30default_config_static_selectorELNS0_4arch9wavefront6targetE0EEEvT1_
	.globl	_ZN7rocprim17ROCPRIM_400000_NS6detail17trampoline_kernelINS0_14default_configENS1_27scan_by_key_config_selectorIxxEEZZNS1_16scan_by_key_implILNS1_25lookback_scan_determinismE0ELb0ES3_N6thrust23THRUST_200600_302600_NS6detail15normal_iteratorINS9_10device_ptrIxEEEESE_SE_xNS9_4plusIvEENS9_8equal_toIvEExEE10hipError_tPvRmT2_T3_T4_T5_mT6_T7_P12ihipStream_tbENKUlT_T0_E_clISt17integral_constantIbLb0EESZ_EEDaSU_SV_EUlSU_E_NS1_11comp_targetILNS1_3genE8ELNS1_11target_archE1030ELNS1_3gpuE2ELNS1_3repE0EEENS1_30default_config_static_selectorELNS0_4arch9wavefront6targetE0EEEvT1_
	.p2align	8
	.type	_ZN7rocprim17ROCPRIM_400000_NS6detail17trampoline_kernelINS0_14default_configENS1_27scan_by_key_config_selectorIxxEEZZNS1_16scan_by_key_implILNS1_25lookback_scan_determinismE0ELb0ES3_N6thrust23THRUST_200600_302600_NS6detail15normal_iteratorINS9_10device_ptrIxEEEESE_SE_xNS9_4plusIvEENS9_8equal_toIvEExEE10hipError_tPvRmT2_T3_T4_T5_mT6_T7_P12ihipStream_tbENKUlT_T0_E_clISt17integral_constantIbLb0EESZ_EEDaSU_SV_EUlSU_E_NS1_11comp_targetILNS1_3genE8ELNS1_11target_archE1030ELNS1_3gpuE2ELNS1_3repE0EEENS1_30default_config_static_selectorELNS0_4arch9wavefront6targetE0EEEvT1_,@function
_ZN7rocprim17ROCPRIM_400000_NS6detail17trampoline_kernelINS0_14default_configENS1_27scan_by_key_config_selectorIxxEEZZNS1_16scan_by_key_implILNS1_25lookback_scan_determinismE0ELb0ES3_N6thrust23THRUST_200600_302600_NS6detail15normal_iteratorINS9_10device_ptrIxEEEESE_SE_xNS9_4plusIvEENS9_8equal_toIvEExEE10hipError_tPvRmT2_T3_T4_T5_mT6_T7_P12ihipStream_tbENKUlT_T0_E_clISt17integral_constantIbLb0EESZ_EEDaSU_SV_EUlSU_E_NS1_11comp_targetILNS1_3genE8ELNS1_11target_archE1030ELNS1_3gpuE2ELNS1_3repE0EEENS1_30default_config_static_selectorELNS0_4arch9wavefront6targetE0EEEvT1_: ; @_ZN7rocprim17ROCPRIM_400000_NS6detail17trampoline_kernelINS0_14default_configENS1_27scan_by_key_config_selectorIxxEEZZNS1_16scan_by_key_implILNS1_25lookback_scan_determinismE0ELb0ES3_N6thrust23THRUST_200600_302600_NS6detail15normal_iteratorINS9_10device_ptrIxEEEESE_SE_xNS9_4plusIvEENS9_8equal_toIvEExEE10hipError_tPvRmT2_T3_T4_T5_mT6_T7_P12ihipStream_tbENKUlT_T0_E_clISt17integral_constantIbLb0EESZ_EEDaSU_SV_EUlSU_E_NS1_11comp_targetILNS1_3genE8ELNS1_11target_archE1030ELNS1_3gpuE2ELNS1_3repE0EEENS1_30default_config_static_selectorELNS0_4arch9wavefront6targetE0EEEvT1_
; %bb.0:
	s_clause 0x4
	s_load_dwordx8 s[12:19], s[4:5], 0x0
	s_load_dwordx2 s[34:35], s[4:5], 0x50
	s_load_dword s2, s[4:5], 0x58
	s_load_dwordx8 s[36:43], s[4:5], 0x60
	s_load_dwordx8 s[20:27], s[4:5], 0x30
	s_mov_b32 s1, 0
	s_waitcnt lgkmcnt(0)
	s_barrier
	buffer_gl0_inv
	s_lshl_b64 s[28:29], s[14:15], 3
	s_add_u32 s4, s12, s28
	s_mul_i32 s0, s35, s2
	s_mul_hi_u32 s3, s34, s2
	s_addc_u32 s5, s13, s29
	s_add_u32 s7, s16, s28
	s_addc_u32 s8, s17, s29
	s_add_i32 s3, s3, s0
	s_cmp_lg_u64 s[40:41], 0
	s_mul_i32 s0, s6, 0xd00
	s_cselect_b32 s44, -1, 0
	s_lshl_b64 s[30:31], s[0:1], 3
	s_mul_i32 s0, s34, s2
	s_add_u32 s14, s4, s30
	s_addc_u32 s15, s5, s31
	s_add_u32 s40, s7, s30
	s_addc_u32 s41, s8, s31
	;; [unrolled: 2-line block ×3, first 2 shown]
	s_add_u32 s2, s36, -1
	s_addc_u32 s3, s37, -1
	s_mul_i32 s33, s2, 0xfffff300
	v_cmp_ge_u64_e64 s27, s[16:17], s[2:3]
	s_and_b32 vcc_lo, exec_lo, s27
	s_cbranch_vccz .LBB13_72
; %bb.1:
	v_mov_b32_e32 v1, s14
	v_mov_b32_e32 v2, s15
	s_add_i32 s45, s33, s26
	v_cmp_gt_u32_e64 s0, s45, v0
	flat_load_dwordx2 v[1:2], v[1:2]
	s_waitcnt vmcnt(0) lgkmcnt(0)
	v_mov_b32_e32 v4, v2
	v_mov_b32_e32 v3, v1
	s_and_saveexec_b32 s1, s0
	s_cbranch_execz .LBB13_3
; %bb.2:
	v_lshlrev_b32_e32 v3, 3, v0
	v_add_co_u32 v3, s2, s14, v3
	v_add_co_ci_u32_e64 v4, null, s15, 0, s2
	flat_load_dwordx2 v[3:4], v[3:4]
.LBB13_3:
	s_or_b32 exec_lo, exec_lo, s1
	v_or_b32_e32 v5, 0x100, v0
	v_cmp_gt_u32_e64 s1, s45, v5
	v_lshlrev_b32_e32 v27, 3, v5
	v_mov_b32_e32 v6, v2
	v_mov_b32_e32 v5, v1
	s_and_saveexec_b32 s2, s1
	s_cbranch_execz .LBB13_5
; %bb.4:
	v_add_co_u32 v5, s3, s14, v27
	v_add_co_ci_u32_e64 v6, null, s15, 0, s3
	flat_load_dwordx2 v[5:6], v[5:6]
.LBB13_5:
	s_or_b32 exec_lo, exec_lo, s2
	v_or_b32_e32 v7, 0x200, v0
	v_cmp_gt_u32_e64 s2, s45, v7
	v_lshlrev_b32_e32 v28, 3, v7
	v_mov_b32_e32 v8, v2
	v_mov_b32_e32 v7, v1
	s_and_saveexec_b32 s3, s2
	s_cbranch_execz .LBB13_7
; %bb.6:
	v_add_co_u32 v7, s4, s14, v28
	v_add_co_ci_u32_e64 v8, null, s15, 0, s4
	flat_load_dwordx2 v[7:8], v[7:8]
.LBB13_7:
	;; [unrolled: 13-line block ×11, first 2 shown]
	s_or_b32 exec_lo, exec_lo, s13
	v_or_b32_e32 v38, 0xc00, v0
	v_cmp_gt_u32_e64 s13, s45, v38
	v_lshlrev_b32_e32 v38, 3, v38
	s_and_saveexec_b32 s36, s13
	s_cbranch_execz .LBB13_27
; %bb.26:
	v_add_co_u32 v1, s37, s14, v38
	v_add_co_ci_u32_e64 v2, null, s15, 0, s37
	flat_load_dwordx2 v[1:2], v[1:2]
.LBB13_27:
	s_or_b32 exec_lo, exec_lo, s36
	v_lshlrev_b32_e32 v39, 3, v0
	s_cmp_eq_u64 s[16:17], 0
	s_mov_b64 s[36:37], s[14:15]
	s_waitcnt vmcnt(0) lgkmcnt(0)
	ds_write2st64_b64 v39, v[3:4], v[5:6] offset1:4
	ds_write2st64_b64 v39, v[7:8], v[9:10] offset0:8 offset1:12
	ds_write2st64_b64 v39, v[11:12], v[13:14] offset0:16 offset1:20
	;; [unrolled: 1-line block ×5, first 2 shown]
	v_mad_u32_u24 v101, 0x60, v0, v39
	ds_write_b64 v39, v[1:2] offset:24576
	s_waitcnt lgkmcnt(0)
	s_barrier
	buffer_gl0_inv
	ds_read2_b64 v[65:68], v101 offset0:2 offset1:3
	ds_read2_b64 v[57:60], v101 offset0:3 offset1:4
	ds_read2_b64 v[69:72], v101 offset1:1
	ds_read2_b64 v[73:76], v101 offset0:1 offset1:2
	ds_read2_b64 v[49:52], v101 offset0:7 offset1:8
	;; [unrolled: 1-line block ×5, first 2 shown]
	s_cbranch_scc1 .LBB13_31
; %bb.28:
	s_andn2_b32 vcc_lo, exec_lo, s44
	s_cbranch_vccnz .LBB13_237
; %bb.29:
	s_lshl_b64 s[36:37], s[16:17], 3
	s_add_u32 s36, s42, s36
	s_addc_u32 s37, s43, s37
	s_add_u32 s36, s36, -8
	s_addc_u32 s37, s37, -1
	s_cbranch_execnz .LBB13_31
.LBB13_30:
	s_add_u32 s36, s14, -8
	s_addc_u32 s37, s15, -1
.LBB13_31:
	v_mov_b32_e32 v1, s36
	v_mov_b32_e32 v2, s37
	s_mov_b32 s36, exec_lo
	flat_load_dwordx2 v[11:12], v[1:2]
	v_mad_i32_i24 v1, 0xffffffa0, v0, v101
	s_waitcnt lgkmcnt(1)
	ds_write_b64 v1, v[47:48] offset:26624
	s_waitcnt vmcnt(0) lgkmcnt(0)
	s_barrier
	buffer_gl0_inv
	v_cmpx_ne_u32_e32 0, v0
; %bb.32:
	v_mul_i32_i24_e32 v1, 0xffffffa0, v0
	v_add_nc_u32_e32 v1, v101, v1
	ds_read_b64 v[11:12], v1 offset:26616
; %bb.33:
	s_or_b32 exec_lo, exec_lo, s36
	s_waitcnt lgkmcnt(0)
	s_barrier
	buffer_gl0_inv
                                        ; implicit-def: $vgpr1_vgpr2
	s_and_saveexec_b32 s36, s0
	s_cbranch_execnz .LBB13_225
; %bb.34:
	s_or_b32 exec_lo, exec_lo, s36
                                        ; implicit-def: $vgpr3_vgpr4
	s_and_saveexec_b32 s0, s1
	s_cbranch_execnz .LBB13_226
.LBB13_35:
	s_or_b32 exec_lo, exec_lo, s0
                                        ; implicit-def: $vgpr5_vgpr6
	s_and_saveexec_b32 s0, s2
	s_cbranch_execnz .LBB13_227
.LBB13_36:
	s_or_b32 exec_lo, exec_lo, s0
                                        ; implicit-def: $vgpr7_vgpr8
	s_and_saveexec_b32 s0, s3
	s_cbranch_execnz .LBB13_228
.LBB13_37:
	s_or_b32 exec_lo, exec_lo, s0
                                        ; implicit-def: $vgpr9_vgpr10
	s_and_saveexec_b32 s0, s4
	s_cbranch_execnz .LBB13_229
.LBB13_38:
	s_or_b32 exec_lo, exec_lo, s0
                                        ; implicit-def: $vgpr13_vgpr14
	s_and_saveexec_b32 s0, s5
	s_cbranch_execnz .LBB13_230
.LBB13_39:
	s_or_b32 exec_lo, exec_lo, s0
                                        ; implicit-def: $vgpr15_vgpr16
	s_and_saveexec_b32 s0, s7
	s_cbranch_execnz .LBB13_231
.LBB13_40:
	s_or_b32 exec_lo, exec_lo, s0
                                        ; implicit-def: $vgpr17_vgpr18
	s_and_saveexec_b32 s0, s8
	s_cbranch_execnz .LBB13_232
.LBB13_41:
	s_or_b32 exec_lo, exec_lo, s0
                                        ; implicit-def: $vgpr19_vgpr20
	s_and_saveexec_b32 s0, s9
	s_cbranch_execnz .LBB13_233
.LBB13_42:
	s_or_b32 exec_lo, exec_lo, s0
                                        ; implicit-def: $vgpr21_vgpr22
	s_and_saveexec_b32 s0, s10
	s_cbranch_execnz .LBB13_234
.LBB13_43:
	s_or_b32 exec_lo, exec_lo, s0
                                        ; implicit-def: $vgpr23_vgpr24
	s_and_saveexec_b32 s0, s11
	s_cbranch_execnz .LBB13_235
.LBB13_44:
	s_or_b32 exec_lo, exec_lo, s0
                                        ; implicit-def: $vgpr25_vgpr26
	s_and_saveexec_b32 s0, s12
	s_cbranch_execnz .LBB13_236
.LBB13_45:
	s_or_b32 exec_lo, exec_lo, s0
                                        ; implicit-def: $vgpr27_vgpr28
	s_and_saveexec_b32 s0, s13
	s_cbranch_execz .LBB13_47
.LBB13_46:
	v_add_co_u32 v27, s1, s40, v38
	v_add_co_ci_u32_e64 v28, null, s41, 0, s1
	flat_load_dwordx2 v[27:28], v[27:28]
.LBB13_47:
	s_or_b32 exec_lo, exec_lo, s0
	v_mul_u32_u24_e32 v104, 13, v0
	s_waitcnt vmcnt(0) lgkmcnt(0)
	ds_write2st64_b64 v39, v[1:2], v[3:4] offset1:4
	ds_write2st64_b64 v39, v[5:6], v[7:8] offset0:8 offset1:12
	ds_write2st64_b64 v39, v[9:10], v[13:14] offset0:16 offset1:20
	;; [unrolled: 1-line block ×5, first 2 shown]
	ds_write_b64 v39, v[27:28] offset:24576
	v_mov_b32_e32 v5, 0
	v_mov_b32_e32 v29, 0
	;; [unrolled: 1-line block ×22, first 2 shown]
	v_cmp_gt_u32_e32 vcc_lo, s45, v104
	v_mov_b32_e32 v99, 0
	v_mov_b32_e32 v6, 0
	;; [unrolled: 1-line block ×45, first 2 shown]
	s_mov_b32 s4, 0
	s_mov_b32 s1, 0
	s_waitcnt lgkmcnt(0)
	s_barrier
	buffer_gl0_inv
                                        ; implicit-def: $sgpr5
                                        ; implicit-def: $vgpr35_vgpr36
	s_and_saveexec_b32 s7, vcc_lo
	s_cbranch_execz .LBB13_71
; %bb.48:
	ds_read_b64 v[1:2], v101
	v_add_nc_u32_e32 v3, 1, v104
	v_mov_b32_e32 v5, 0
	v_mov_b32_e32 v29, 0
	;; [unrolled: 1-line block ×4, first 2 shown]
	v_cmp_gt_u32_e64 s0, s45, v3
	v_mov_b32_e32 v31, 0
	v_mov_b32_e32 v39, 0
	;; [unrolled: 1-line block ×59, first 2 shown]
	v_cmp_ne_u64_e32 vcc_lo, v[11:12], v[69:70]
                                        ; implicit-def: $sgpr5
                                        ; implicit-def: $vgpr35_vgpr36
	s_and_saveexec_b32 s8, s0
	s_cbranch_execz .LBB13_70
; %bb.49:
	ds_read2_b64 v[9:12], v101 offset0:1 offset1:2
	v_cmp_ne_u64_e64 s0, v[71:72], v[75:76]
	v_cmp_ne_u64_e64 s2, v[69:70], v[73:74]
	v_add_nc_u32_e32 v5, 2, v104
	v_cmp_ne_u64_e64 s1, v[67:68], v[59:60]
	v_mov_b32_e32 v29, 0
	v_mov_b32_e32 v27, 0
	v_cndmask_b32_e64 v3, 0, 1, s0
	v_cmp_ne_u64_e64 s0, v[65:66], v[57:58]
	v_cndmask_b32_e64 v4, 0, 1, s2
	v_cmp_gt_u32_e64 s2, s45, v5
	v_mov_b32_e32 v5, 0
	v_mov_b32_e32 v33, 0
	;; [unrolled: 1-line block ×17, first 2 shown]
	v_lshlrev_b16 v3, 8, v3
	v_mov_b32_e32 v99, 0
	v_mov_b32_e32 v6, 0
	;; [unrolled: 1-line block ×38, first 2 shown]
	s_mov_b32 s3, 0
                                        ; implicit-def: $sgpr5
                                        ; implicit-def: $vgpr35_vgpr36
	s_and_saveexec_b32 s9, s2
	s_cbranch_execz .LBB13_69
; %bb.50:
	v_cndmask_b32_e64 v7, 0, 1, s1
	v_cndmask_b32_e64 v8, 0, 1, s0
	v_add_nc_u32_e32 v13, 3, v104
	v_mov_b32_e32 v5, 0
	v_mov_b32_e32 v29, 0
	v_lshlrev_b16 v7, 8, v7
	v_mov_b32_e32 v27, 0
	v_mov_b32_e32 v33, 0
	;; [unrolled: 1-line block ×4, first 2 shown]
	v_or_b32_e32 v53, v8, v7
	v_mov_b32_e32 v37, 0
	v_mov_b32_e32 v55, 0
	v_cmp_gt_u32_e64 s0, s45, v13
	v_mov_b32_e32 v77, 0
	v_lshlrev_b32_e32 v54, 16, v53
	v_mov_b32_e32 v25, 0
	v_mov_b32_e32 v79, 0
	;; [unrolled: 1-line block ×4, first 2 shown]
	v_or_b32_sdwa v7, v3, v54 dst_sel:DWORD dst_unused:UNUSED_PAD src0_sel:WORD_0 src1_sel:DWORD
	v_mov_b32_e32 v17, 0
	v_mov_b32_e32 v19, 0
	;; [unrolled: 1-line block ×4, first 2 shown]
	v_lshrrev_b32_e32 v93, 8, v7
	v_mov_b32_e32 v7, 0
	v_mov_b32_e32 v6, 0
	;; [unrolled: 1-line block ×34, first 2 shown]
	s_mov_b32 s1, 0
                                        ; implicit-def: $sgpr5
                                        ; implicit-def: $vgpr35_vgpr36
	s_and_saveexec_b32 s10, s0
	s_cbranch_execz .LBB13_68
; %bb.51:
	ds_read2_b64 v[13:16], v101 offset0:3 offset1:4
	v_add_nc_u32_e32 v7, 4, v104
	v_mov_b32_e32 v5, 0
	v_mov_b32_e32 v29, 0
	;; [unrolled: 1-line block ×4, first 2 shown]
	v_cmp_gt_u32_e64 s0, s45, v7
	v_mov_b32_e32 v31, 0
	v_mov_b32_e32 v39, 0
	;; [unrolled: 1-line block ×41, first 2 shown]
                                        ; implicit-def: $sgpr5
                                        ; implicit-def: $vgpr35_vgpr36
	s_and_saveexec_b32 s11, s0
	s_cbranch_execz .LBB13_67
; %bb.52:
	v_add_nc_u32_e32 v7, 5, v104
	v_mov_b32_e32 v5, 0
	v_mov_b32_e32 v29, 0
	;; [unrolled: 1-line block ×4, first 2 shown]
	v_cmp_gt_u32_e64 s0, s45, v7
	v_mov_b32_e32 v31, 0
	v_mov_b32_e32 v39, 0
	;; [unrolled: 1-line block ×34, first 2 shown]
                                        ; implicit-def: $sgpr5
                                        ; implicit-def: $vgpr35_vgpr36
	s_and_saveexec_b32 s12, s0
	s_cbranch_execz .LBB13_66
; %bb.53:
	ds_read2_b64 v[17:20], v101 offset0:5 offset1:6
	v_cmp_ne_u64_e64 s0, v[61:62], v[63:64]
	v_cmp_ne_u64_e64 s2, v[59:60], v[61:62]
	v_add_nc_u32_e32 v6, 6, v104
	v_cmp_ne_u64_e64 s1, v[49:50], v[51:52]
	v_mov_b32_e32 v29, 0
	v_mov_b32_e32 v27, 0
	v_cndmask_b32_e64 v5, 0, 1, s0
	v_cmp_ne_u64_e64 s0, v[63:64], v[49:50]
	v_cndmask_b32_e64 v38, 0, 1, s2
	v_cmp_gt_u32_e64 s2, s45, v6
	v_mov_b32_e32 v33, 0
	v_lshlrev_b16 v37, 8, v5
	v_mov_b32_e32 v5, 0
	v_mov_b32_e32 v31, 0
	;; [unrolled: 1-line block ×30, first 2 shown]
                                        ; implicit-def: $sgpr5
                                        ; implicit-def: $vgpr35_vgpr36
	s_and_saveexec_b32 s13, s2
	s_cbranch_execz .LBB13_65
; %bb.54:
	v_cndmask_b32_e64 v5, 0, 1, s1
	v_cndmask_b32_e64 v7, 0, 1, s0
	v_mov_b32_e32 v29, 0
	v_mov_b32_e32 v27, 0
	;; [unrolled: 1-line block ×3, first 2 shown]
	v_lshlrev_b16 v8, 8, v5
	v_mov_b32_e32 v5, 0
	v_mov_b32_e32 v77, 0
	;; [unrolled: 1-line block ×4, first 2 shown]
	v_or_b32_e32 v31, v7, v8
	v_mov_b32_e32 v7, 0
	v_mov_b32_e32 v21, 0
	v_add_nc_u32_e32 v23, 7, v104
	v_mov_b32_e32 v98, 0
	v_lshlrev_b32_e32 v32, 16, v31
	v_mov_b32_e32 v6, 0
	v_mov_b32_e32 v97, 0
	v_mov_b32_e32 v94, 0
	v_mov_b32_e32 v96, 0
	v_or_b32_sdwa v24, v37, v32 dst_sel:DWORD dst_unused:UNUSED_PAD src0_sel:WORD_0 src1_sel:DWORD
	v_mov_b32_e32 v30, 0
	v_mov_b32_e32 v28, 0
	;; [unrolled: 1-line block ×11, first 2 shown]
	v_lshrrev_b32_e32 v95, 8, v24
	v_mov_b32_e32 v83, 0
	s_mov_b32 s1, 0
	s_mov_b32 s36, exec_lo
                                        ; implicit-def: $sgpr5
                                        ; implicit-def: $vgpr35_vgpr36
	v_cmpx_gt_u32_e64 s45, v23
	s_cbranch_execz .LBB13_64
; %bb.55:
	ds_read2_b64 v[21:24], v101 offset0:7 offset1:8
	v_add_nc_u32_e32 v7, 8, v104
	v_mov_b32_e32 v5, 0
	v_mov_b32_e32 v29, 0
	;; [unrolled: 1-line block ×4, first 2 shown]
	v_cmp_gt_u32_e64 s0, s45, v7
	v_mov_b32_e32 v7, 0
	v_mov_b32_e32 v25, 0
	;; [unrolled: 1-line block ×16, first 2 shown]
                                        ; implicit-def: $sgpr5
                                        ; implicit-def: $vgpr35_vgpr36
	s_and_saveexec_b32 s37, s0
	s_cbranch_execz .LBB13_63
; %bb.56:
	v_add_nc_u32_e32 v7, 9, v104
	v_mov_b32_e32 v5, 0
	v_mov_b32_e32 v29, 0
	;; [unrolled: 1-line block ×4, first 2 shown]
	v_cmp_gt_u32_e64 s0, s45, v7
	v_mov_b32_e32 v7, 0
	v_mov_b32_e32 v6, 0
	;; [unrolled: 1-line block ×10, first 2 shown]
                                        ; implicit-def: $sgpr5
                                        ; implicit-def: $vgpr35_vgpr36
	s_and_saveexec_b32 s46, s0
	s_cbranch_execz .LBB13_62
; %bb.57:
	ds_read2_b64 v[25:28], v101 offset0:9 offset1:10
	v_add_nc_u32_e32 v5, 10, v104
	v_cmp_ne_u64_e64 s0, v[51:52], v[41:42]
	v_mov_b32_e32 v7, 0
	v_mov_b32_e32 v77, 0
	;; [unrolled: 1-line block ×3, first 2 shown]
	v_cmp_gt_u32_e64 s1, s45, v5
	v_mov_b32_e32 v5, 0
	v_mov_b32_e32 v6, 0
	;; [unrolled: 1-line block ×5, first 2 shown]
	s_mov_b32 s2, 0
                                        ; implicit-def: $sgpr5
                                        ; implicit-def: $vgpr35_vgpr36
	s_and_saveexec_b32 s47, s1
	s_cbranch_execz .LBB13_61
; %bb.58:
	v_cmp_ne_u64_e64 s1, v[41:42], v[43:44]
	v_mov_b32_e32 v7, 0
	v_add_nc_u32_e32 v5, 11, v104
	v_mov_b32_e32 v8, 0
	v_mov_b32_e32 v81, 0
	s_mov_b32 s48, exec_lo
                                        ; implicit-def: $sgpr5
                                        ; implicit-def: $vgpr35_vgpr36
	v_cmpx_gt_u32_e64 s45, v5
	s_xor_b32 s48, exec_lo, s48
	s_cbranch_execz .LBB13_60
; %bb.59:
	ds_read2_b64 v[33:36], v101 offset0:11 offset1:12
	v_add_nc_u32_e32 v5, 12, v104
	v_cmp_ne_u64_e64 s3, v[43:44], v[45:46]
	v_cmp_ne_u64_e64 s5, v[45:46], v[47:48]
	v_cmp_gt_u32_e64 s2, s45, v5
	v_cndmask_b32_e64 v81, 0, 1, s3
	s_and_b32 s3, s2, exec_lo
	s_waitcnt lgkmcnt(0)
	v_mov_b32_e32 v7, v33
	v_mov_b32_e32 v8, v34
.LBB13_60:
	s_or_b32 exec_lo, exec_lo, s48
	s_waitcnt lgkmcnt(0)
	v_mov_b32_e32 v5, v27
	v_mov_b32_e32 v78, v28
	v_cndmask_b32_e64 v94, 0, 1, s1
	v_mov_b32_e32 v6, v28
	v_mov_b32_e32 v77, v27
	s_and_b32 s2, s3, exec_lo
.LBB13_61:
	s_or_b32 exec_lo, exec_lo, s47
	v_cndmask_b32_e64 v96, 0, 1, s0
	s_waitcnt lgkmcnt(0)
	v_mov_b32_e32 v30, v26
	v_mov_b32_e32 v29, v25
	s_and_b32 s1, s2, exec_lo
	v_mov_b32_e32 v83, v96
.LBB13_62:
	s_or_b32 exec_lo, exec_lo, s46
	s_waitcnt lgkmcnt(0)
	v_mov_b32_e32 v28, v24
	v_mov_b32_e32 v80, v24
	v_lshrrev_b32_e32 v97, 24, v32
	v_mov_b32_e32 v27, v23
	v_mov_b32_e32 v82, v94
	;; [unrolled: 1-line block ×3, first 2 shown]
	s_and_b32 s1, s1, exec_lo
.LBB13_63:
	s_or_b32 exec_lo, exec_lo, s37
	s_waitcnt lgkmcnt(0)
	v_mov_b32_e32 v34, v22
	v_mov_b32_e32 v98, v31
	;; [unrolled: 1-line block ×4, first 2 shown]
	s_and_b32 s1, s1, exec_lo
.LBB13_64:
	s_or_b32 exec_lo, exec_lo, s36
	s_waitcnt lgkmcnt(0)
	v_mov_b32_e32 v32, v20
	v_mov_b32_e32 v24, v20
	;; [unrolled: 1-line block ×6, first 2 shown]
	s_and_b32 s3, s1, exec_lo
.LBB13_65:
	s_or_b32 exec_lo, exec_lo, s13
	s_waitcnt lgkmcnt(0)
	v_mov_b32_e32 v40, v18
	v_or_b32_e32 v99, v38, v37
	v_mov_b32_e32 v39, v17
	s_and_b32 s1, s3, exec_lo
.LBB13_66:
	s_or_b32 exec_lo, exec_lo, s12
	v_lshrrev_b32_e32 v100, 24, v54
	s_waitcnt lgkmcnt(0)
	v_mov_b32_e32 v38, v16
	v_mov_b32_e32 v20, v16
	;; [unrolled: 1-line block ×6, first 2 shown]
	s_and_b32 s1, s1, exec_lo
.LBB13_67:
	s_or_b32 exec_lo, exec_lo, s11
	s_waitcnt lgkmcnt(0)
	v_mov_b32_e32 v56, v14
	v_mov_b32_e32 v102, v53
	;; [unrolled: 1-line block ×4, first 2 shown]
	s_and_b32 s1, s1, exec_lo
.LBB13_68:
	s_or_b32 exec_lo, exec_lo, s10
	s_waitcnt lgkmcnt(0)
	v_mov_b32_e32 v54, v12
	v_mov_b32_e32 v16, v12
	;; [unrolled: 1-line block ×5, first 2 shown]
	s_and_b32 s3, s1, exec_lo
.LBB13_69:
	s_or_b32 exec_lo, exec_lo, s9
	v_or_b32_e32 v103, v4, v3
	s_waitcnt lgkmcnt(0)
	v_mov_b32_e32 v3, v9
	v_mov_b32_e32 v4, v10
	s_and_b32 s1, s3, exec_lo
	v_mov_b32_e32 v92, v103
.LBB13_70:
	s_or_b32 exec_lo, exec_lo, s8
	v_cndmask_b32_e64 v105, 0, 1, vcc_lo
	s_and_b32 s1, s1, exec_lo
	v_mov_b32_e32 v87, v105
.LBB13_71:
	s_or_b32 exec_lo, exec_lo, s7
	v_lshlrev_b32_e32 v57, 3, v0
	s_and_b32 vcc_lo, exec_lo, s4
	s_cbranch_vccnz .LBB13_73
	s_branch .LBB13_81
.LBB13_72:
                                        ; implicit-def: $sgpr5
                                        ; implicit-def: $vgpr99
                                        ; implicit-def: $vgpr95
                                        ; implicit-def: $vgpr98
                                        ; implicit-def: $vgpr97
                                        ; implicit-def: $vgpr103
                                        ; implicit-def: $vgpr93
                                        ; implicit-def: $vgpr102
                                        ; implicit-def: $vgpr100
                                        ; implicit-def: $vgpr35_vgpr36
                                        ; implicit-def: $vgpr94
                                        ; implicit-def: $vgpr5_vgpr6
                                        ; implicit-def: $vgpr96
                                        ; implicit-def: $vgpr29_vgpr30
                                        ; implicit-def: $vgpr33_vgpr34
                                        ; implicit-def: $vgpr39_vgpr40
                                        ; implicit-def: $vgpr55_vgpr56
                                        ; implicit-def: $vgpr3_vgpr4
                                        ; implicit-def: $vgpr105
                                        ; implicit-def: $vgpr88
                                        ; implicit-def: $vgpr86
                                        ; implicit-def: $vgpr85
                                        ; implicit-def: $vgpr84
                                        ; implicit-def: $vgpr92
                                        ; implicit-def: $vgpr91
                                        ; implicit-def: $vgpr90
                                        ; implicit-def: $vgpr89
                                        ; implicit-def: $vgpr81
                                        ; implicit-def: $vgpr82
                                        ; implicit-def: $vgpr77_vgpr78
                                        ; implicit-def: $vgpr83
                                        ; implicit-def: $vgpr25_vgpr26
                                        ; implicit-def: $vgpr79_vgpr80
                                        ; implicit-def: $vgpr21_vgpr22
                                        ; implicit-def: $vgpr23_vgpr24
                                        ; implicit-def: $vgpr17_vgpr18
                                        ; implicit-def: $vgpr19_vgpr20
                                        ; implicit-def: $vgpr13_vgpr14
                                        ; implicit-def: $vgpr15_vgpr16
                                        ; implicit-def: $vgpr9_vgpr10
                                        ; implicit-def: $vgpr87
	v_lshlrev_b32_e32 v57, 3, v0
	s_cbranch_execz .LBB13_81
.LBB13_73:
	s_waitcnt lgkmcnt(0)
	v_add_co_u32 v1, s0, s14, v57
	v_add_co_ci_u32_e64 v2, null, s15, 0, s0
	v_mad_u32_u24 v35, 0x60, v0, v57
	v_add_co_u32 v3, vcc_lo, 0x800, v1
	v_add_co_ci_u32_e64 v4, null, 0, v2, vcc_lo
	v_add_co_u32 v5, vcc_lo, 0x1000, v1
	v_add_co_ci_u32_e64 v6, null, 0, v2, vcc_lo
	;; [unrolled: 2-line block ×10, first 2 shown]
	v_add_co_u32 v25, vcc_lo, 0x5800, v1
	s_clause 0x7
	flat_load_dwordx2 v[17:18], v[1:2]
	flat_load_dwordx2 v[3:4], v[3:4]
	;; [unrolled: 1-line block ×8, first 2 shown]
	v_add_co_ci_u32_e64 v26, null, 0, v2, vcc_lo
	v_add_co_u32 v1, vcc_lo, 0x6000, v1
	v_add_co_ci_u32_e64 v2, null, 0, v2, vcc_lo
	s_clause 0x4
	flat_load_dwordx2 v[19:20], v[19:20]
	flat_load_dwordx2 v[21:22], v[21:22]
	;; [unrolled: 1-line block ×5, first 2 shown]
	s_cmp_eq_u64 s[16:17], 0
	s_waitcnt vmcnt(11) lgkmcnt(11)
	ds_write2st64_b64 v57, v[17:18], v[3:4] offset1:4
	s_waitcnt vmcnt(9) lgkmcnt(10)
	ds_write2st64_b64 v57, v[5:6], v[7:8] offset0:8 offset1:12
	s_waitcnt vmcnt(7) lgkmcnt(9)
	ds_write2st64_b64 v57, v[9:10], v[11:12] offset0:16 offset1:20
	;; [unrolled: 2-line block ×5, first 2 shown]
	s_waitcnt vmcnt(0) lgkmcnt(6)
	ds_write_b64 v57, v[1:2] offset:24576
	s_waitcnt lgkmcnt(0)
	s_barrier
	buffer_gl0_inv
	ds_read2_b64 v[1:4], v35 offset0:2 offset1:3
	ds_read2_b64 v[9:12], v35 offset0:3 offset1:4
	ds_read2_b64 v[5:8], v35 offset1:1
	ds_read2_b64 v[13:16], v35 offset0:1 offset1:2
	ds_read2_b64 v[17:20], v35 offset0:7 offset1:8
	;; [unrolled: 1-line block ×5, first 2 shown]
	s_cbranch_scc1 .LBB13_78
; %bb.74:
	s_andn2_b32 vcc_lo, exec_lo, s44
	s_cbranch_vccnz .LBB13_238
; %bb.75:
	s_lshl_b64 s[0:1], s[16:17], 3
	s_add_u32 s0, s42, s0
	s_addc_u32 s1, s43, s1
	s_add_u32 s0, s0, -8
	s_addc_u32 s1, s1, -1
	s_cbranch_execnz .LBB13_77
.LBB13_76:
	s_add_u32 s0, s14, -8
	s_addc_u32 s1, s15, -1
.LBB13_77:
	s_mov_b64 s[14:15], s[0:1]
.LBB13_78:
	v_mov_b32_e32 v34, s15
	v_mov_b32_e32 v33, s14
	v_mad_i32_i24 v36, 0xffffffa0, v0, v35
	s_mov_b32 s0, exec_lo
	flat_load_dwordx2 v[33:34], v[33:34]
	s_waitcnt lgkmcnt(1)
	ds_write_b64 v36, v[31:32] offset:26624
	s_waitcnt vmcnt(0) lgkmcnt(0)
	s_barrier
	buffer_gl0_inv
	v_cmpx_ne_u32_e32 0, v0
; %bb.79:
	v_mul_i32_i24_e32 v33, 0xffffffa0, v0
	v_add_nc_u32_e32 v33, v35, v33
	ds_read_b64 v[33:34], v33 offset:26616
; %bb.80:
	s_or_b32 exec_lo, exec_lo, s0
	v_add_co_u32 v36, s0, s40, v57
	v_add_co_ci_u32_e64 v37, null, s41, 0, s0
	s_waitcnt lgkmcnt(0)
	v_add_co_u32 v38, vcc_lo, 0x800, v36
	v_add_co_ci_u32_e64 v39, null, 0, v37, vcc_lo
	v_add_co_u32 v40, vcc_lo, 0x1000, v36
	v_add_co_ci_u32_e64 v41, null, 0, v37, vcc_lo
	;; [unrolled: 2-line block ×10, first 2 shown]
	v_add_co_u32 v62, vcc_lo, 0x5800, v36
	s_barrier
	buffer_gl0_inv
	s_clause 0x7
	flat_load_dwordx2 v[52:53], v[36:37]
	flat_load_dwordx2 v[38:39], v[38:39]
	;; [unrolled: 1-line block ×8, first 2 shown]
	v_add_co_ci_u32_e64 v63, null, 0, v37, vcc_lo
	v_add_co_u32 v36, vcc_lo, 0x6000, v36
	v_add_co_ci_u32_e64 v37, null, 0, v37, vcc_lo
	s_clause 0x4
	flat_load_dwordx2 v[54:55], v[54:55]
	flat_load_dwordx2 v[58:59], v[58:59]
	flat_load_dwordx2 v[60:61], v[60:61]
	flat_load_dwordx2 v[62:63], v[62:63]
	flat_load_dwordx2 v[36:37], v[36:37]
	v_cmp_ne_u64_e32 vcc_lo, v[27:28], v[29:30]
	v_cmp_ne_u64_e64 s5, v[29:30], v[31:32]
	s_mov_b32 s1, -1
	s_waitcnt vmcnt(11) lgkmcnt(11)
	ds_write2st64_b64 v57, v[52:53], v[38:39] offset1:4
	s_waitcnt vmcnt(9) lgkmcnt(10)
	ds_write2st64_b64 v57, v[40:41], v[42:43] offset0:8 offset1:12
	s_waitcnt vmcnt(7) lgkmcnt(9)
	ds_write2st64_b64 v57, v[44:45], v[46:47] offset0:16 offset1:20
	s_waitcnt vmcnt(5) lgkmcnt(8)
	ds_write2st64_b64 v57, v[48:49], v[50:51] offset0:24 offset1:28
	s_waitcnt vmcnt(3) lgkmcnt(7)
	ds_write2st64_b64 v57, v[54:55], v[58:59] offset0:32 offset1:36
	s_waitcnt vmcnt(1) lgkmcnt(6)
	ds_write2st64_b64 v57, v[60:61], v[62:63] offset0:40 offset1:44
	s_waitcnt vmcnt(0) lgkmcnt(6)
	ds_write_b64 v57, v[36:37] offset:24576
	v_cndmask_b32_e64 v81, 0, 1, vcc_lo
	v_cmp_ne_u64_e32 vcc_lo, v[25:26], v[27:28]
	s_waitcnt lgkmcnt(0)
	s_barrier
	buffer_gl0_inv
	v_cndmask_b32_e64 v94, 0, 1, vcc_lo
	v_cmp_ne_u64_e32 vcc_lo, v[19:20], v[25:26]
	v_mov_b32_e32 v82, v94
	v_cndmask_b32_e64 v96, 0, 1, vcc_lo
	v_cmp_ne_u64_e32 vcc_lo, v[21:22], v[23:24]
	v_mov_b32_e32 v83, v96
	v_cndmask_b32_e64 v25, 0, 1, vcc_lo
	v_cmp_ne_u64_e32 vcc_lo, v[11:12], v[21:22]
	v_cndmask_b32_e64 v21, 0, 1, vcc_lo
	v_cmp_ne_u64_e32 vcc_lo, v[17:18], v[19:20]
	;; [unrolled: 2-line block ×7, first 2 shown]
	v_lshlrev_b16 v2, 8, v19
	v_lshlrev_b16 v10, 8, v7
	;; [unrolled: 1-line block ×4, first 2 shown]
	v_cndmask_b32_e64 v1, 0, 1, vcc_lo
	v_cmp_ne_u64_e32 vcc_lo, v[33:34], v[5:6]
	v_or_b32_e32 v98, v17, v2
	v_or_b32_e32 v103, v8, v10
	ds_read2_b64 v[27:30], v35 offset0:8 offset1:9
	ds_read2_b64 v[5:8], v35 offset0:10 offset1:11
	v_or_b32_e32 v102, v1, v3
	ds_read2_b64 v[37:40], v35 offset0:4 offset1:5
	ds_read2_b64 v[31:34], v35 offset0:6 offset1:7
	ds_read2_b64 v[1:4], v35 offset1:1
	ds_read2_b64 v[53:56], v35 offset0:2 offset1:3
	v_lshlrev_b32_e32 v11, 16, v98
	ds_read_b64 v[35:36], v35 offset:96
	v_lshlrev_b32_e32 v12, 16, v102
	v_or_b32_e32 v99, v21, v9
	v_cndmask_b32_e64 v105, 0, 1, vcc_lo
	v_or_b32_sdwa v9, v9, v11 dst_sel:DWORD dst_unused:UNUSED_PAD src0_sel:WORD_0 src1_sel:DWORD
	v_lshrrev_b32_e32 v97, 24, v11
	v_or_b32_sdwa v10, v10, v12 dst_sel:DWORD dst_unused:UNUSED_PAD src0_sel:WORD_0 src1_sel:DWORD
	v_lshrrev_b32_e32 v100, 24, v12
	v_mov_b32_e32 v88, v99
	v_lshrrev_b32_e32 v95, 8, v9
	v_mov_b32_e32 v85, v98
	;; [unrolled: 2-line block ×3, first 2 shown]
	v_mov_b32_e32 v90, v102
	s_waitcnt lgkmcnt(6)
	v_mov_b32_e32 v25, v29
	s_waitcnt lgkmcnt(5)
	v_mov_b32_e32 v78, v6
	v_mov_b32_e32 v80, v28
	s_waitcnt lgkmcnt(3)
	v_mov_b32_e32 v21, v33
	v_mov_b32_e32 v23, v31
	;; [unrolled: 1-line block ×4, first 2 shown]
	s_waitcnt lgkmcnt(1)
	v_mov_b32_e32 v13, v55
	v_mov_b32_e32 v15, v53
	;; [unrolled: 1-line block ×18, first 2 shown]
.LBB13_81:
	v_mov_b32_e32 v11, 0
	v_mov_b32_e32 v12, 0
	;; [unrolled: 1-line block ×3, first 2 shown]
	s_and_saveexec_b32 s0, s1
	s_cbranch_execz .LBB13_83
; %bb.82:
	v_mov_b32_e32 v10, v4
	v_mov_b32_e32 v15, v53
	;; [unrolled: 1-line block ×10, first 2 shown]
	s_waitcnt lgkmcnt(0)
	v_mov_b32_e32 v11, v35
	v_cndmask_b32_e64 v58, 0, 1, s5
	v_mov_b32_e32 v87, v105
	v_mov_b32_e32 v9, v3
	;; [unrolled: 1-line block ×22, first 2 shown]
.LBB13_83:
	s_or_b32 exec_lo, exec_lo, s0
	v_and_b32_e32 v61, 1, v88
	v_and_b32_e32 v62, 1, v84
	;; [unrolled: 1-line block ×5, first 2 shown]
	v_or_b32_e32 v55, v89, v90
	v_or_b32_e32 v54, v85, v86
	;; [unrolled: 1-line block ×3, first 2 shown]
	v_cmp_eq_u32_e64 s16, 1, v61
	v_cmp_eq_u32_e64 s14, 1, v62
	;; [unrolled: 1-line block ×3, first 2 shown]
	v_cmp_eq_u16_e64 s0, 0, v58
	v_cmp_eq_u32_e64 s13, 1, v59
	v_mbcnt_lo_u32_b32 v53, -1, 0
	s_cmp_lg_u32 s6, 0
	v_cmp_eq_u32_e32 vcc_lo, 1, v63
	s_waitcnt lgkmcnt(0)
	s_barrier
	buffer_gl0_inv
	s_cbranch_scc0 .LBB13_141
; %bb.84:
	v_mov_b32_e32 v3, 0
	v_or_b32_e32 v6, v92, v87
	v_cmp_eq_u16_sdwa s11, v92, v3 src0_sel:BYTE_0 src1_sel:DWORD
	v_cmp_eq_u16_sdwa s12, v91, v3 src0_sel:BYTE_0 src1_sel:DWORD
	;; [unrolled: 1-line block ×5, first 2 shown]
	v_cndmask_b32_e64 v5, 0, v1, s11
	v_cndmask_b32_e64 v4, 0, v2, s11
	v_cmp_eq_u16_sdwa s7, v86, v3 src0_sel:BYTE_0 src1_sel:DWORD
	v_cmp_eq_u16_sdwa s5, v85, v3 src0_sel:BYTE_0 src1_sel:DWORD
	;; [unrolled: 1-line block ×3, first 2 shown]
	v_add_co_u32 v5, s1, v5, v9
	v_add_co_ci_u32_e64 v4, null, v4, v10, s1
	v_cmp_eq_u16_sdwa s2, v83, v3 src0_sel:BYTE_0 src1_sel:DWORD
	v_cndmask_b32_e64 v5, 0, v5, s12
	v_cmp_ne_u16_sdwa s37, v56, v3 src0_sel:BYTE_0 src1_sel:DWORD
	v_cndmask_b32_e64 v4, 0, v4, s12
	v_cmp_ne_u16_sdwa s17, v6, v3 src0_sel:BYTE_0 src1_sel:DWORD
	v_cmp_ne_u16_sdwa s36, v55, v3 src0_sel:BYTE_0 src1_sel:DWORD
	v_add_co_u32 v5, s1, v5, v15
	v_add_co_ci_u32_e64 v4, null, v4, v16, s1
	v_cmp_ne_u16_sdwa s40, v54, v3 src0_sel:BYTE_0 src1_sel:DWORD
	v_cndmask_b32_e64 v5, 0, v5, s10
	s_or_b32 s15, s37, s15
	v_cndmask_b32_e64 v4, 0, v4, s10
	s_or_b32 s15, s13, s15
	s_or_b32 s14, s40, s14
	v_add_co_u32 v5, s1, v5, v13
	v_add_co_ci_u32_e64 v4, null, v4, v14, s1
	s_or_b32 s16, s36, s16
	v_cndmask_b32_e64 v5, 0, v5, s9
	v_cndmask_b32_e64 v4, 0, v4, s9
	v_add_co_u32 v5, s1, v5, v19
	v_add_co_ci_u32_e64 v4, null, v4, v20, s1
	v_cndmask_b32_e64 v5, 0, v5, s8
	v_cndmask_b32_e64 v4, 0, v4, s8
	v_add_co_u32 v5, s1, v5, v17
	v_add_co_ci_u32_e64 v4, null, v4, v18, s1
	;; [unrolled: 4-line block ×6, first 2 shown]
	v_cmp_eq_u16_sdwa s1, v82, v3 src0_sel:BYTE_0 src1_sel:DWORD
	v_cndmask_b32_e64 v5, 0, v5, s1
	v_cndmask_b32_e64 v4, 0, v4, s1
	v_add_co_u32 v5, s3, v5, v77
	v_add_co_ci_u32_e64 v4, null, v4, v78, s3
	v_cmp_eq_u16_sdwa s3, v81, v3 src0_sel:BYTE_0 src1_sel:DWORD
	v_cndmask_b32_e64 v3, 0, v4, s3
	v_cndmask_b32_e64 v4, 0, v5, s3
	v_add_co_u32 v4, s13, v4, v7
	v_add_co_ci_u32_e64 v3, null, v3, v8, s13
	s_or_b32 s13, s15, s14
	v_cndmask_b32_e64 v4, 0, v4, s0
	s_or_b32 s14, s17, vcc_lo
	v_cndmask_b32_e64 v6, 0, v3, s0
	s_or_b32 s13, s13, s16
	s_or_b32 s13, s13, s14
	v_add_co_u32 v5, vcc_lo, v4, v11
	v_cndmask_b32_e64 v3, 0, 1, s13
	v_add_co_ci_u32_e64 v6, null, v6, v12, vcc_lo
	v_and_b32_e32 v4, 15, v53
	v_mov_b32_dpp v28, v5 row_shr:1 row_mask:0xf bank_mask:0xf
	v_mov_b32_dpp v27, v3 row_shr:1 row_mask:0xf bank_mask:0xf
	;; [unrolled: 1-line block ×3, first 2 shown]
	s_mov_b32 s14, exec_lo
	v_cmpx_ne_u32_e32 0, v4
; %bb.85:
	v_cndmask_b32_e64 v28, v28, 0, s13
	v_cndmask_b32_e64 v29, v29, 0, s13
	v_and_or_b32 v3, v27, 1, v3
	v_add_co_u32 v5, vcc_lo, v28, v5
	v_add_co_ci_u32_e64 v6, null, v29, v6, vcc_lo
; %bb.86:
	s_or_b32 exec_lo, exec_lo, s14
	v_mov_b32_dpp v28, v5 row_shr:2 row_mask:0xf bank_mask:0xf
	v_mov_b32_dpp v29, v6 row_shr:2 row_mask:0xf bank_mask:0xf
	v_mov_b32_dpp v27, v3 row_shr:2 row_mask:0xf bank_mask:0xf
	s_mov_b32 s13, exec_lo
	v_cmpx_lt_u32_e32 1, v4
	s_cbranch_execz .LBB13_88
; %bb.87:
	v_cmp_eq_u16_e32 vcc_lo, 0, v3
	v_or_b32_e32 v3, v27, v3
	v_cndmask_b32_e32 v28, 0, v28, vcc_lo
	v_cndmask_b32_e32 v29, 0, v29, vcc_lo
	v_and_b32_e32 v3, 1, v3
	v_add_co_u32 v5, vcc_lo, v28, v5
	v_add_co_ci_u32_e64 v6, null, v29, v6, vcc_lo
.LBB13_88:
	s_or_b32 exec_lo, exec_lo, s13
	v_mov_b32_dpp v28, v5 row_shr:4 row_mask:0xf bank_mask:0xf
	v_mov_b32_dpp v29, v6 row_shr:4 row_mask:0xf bank_mask:0xf
	v_mov_b32_dpp v27, v3 row_shr:4 row_mask:0xf bank_mask:0xf
	s_mov_b32 s13, exec_lo
	v_cmpx_lt_u32_e32 3, v4
	s_cbranch_execz .LBB13_90
; %bb.89:
	v_cmp_eq_u16_e32 vcc_lo, 0, v3
	v_or_b32_e32 v3, v27, v3
	v_cndmask_b32_e32 v28, 0, v28, vcc_lo
	v_cndmask_b32_e32 v29, 0, v29, vcc_lo
	v_and_b32_e32 v3, 1, v3
	v_add_co_u32 v5, vcc_lo, v28, v5
	v_add_co_ci_u32_e64 v6, null, v29, v6, vcc_lo
.LBB13_90:
	;; [unrolled: 16-line block ×3, first 2 shown]
	s_or_b32 exec_lo, exec_lo, s13
	ds_swizzle_b32 v4, v5 offset:swizzle(BROADCAST,32,15)
	ds_swizzle_b32 v28, v6 offset:swizzle(BROADCAST,32,15)
	;; [unrolled: 1-line block ×3, first 2 shown]
	v_and_b32_e32 v27, 16, v53
	v_cmp_ne_u32_e32 vcc_lo, 0, v27
	v_mov_b32_e32 v27, v3
	s_and_saveexec_b32 s15, vcc_lo
	s_cbranch_execz .LBB13_94
; %bb.93:
	v_cmp_eq_u16_e32 vcc_lo, 0, v3
	v_and_b32_e32 v3, 1, v3
	s_waitcnt lgkmcnt(0)
	v_and_b32_e32 v27, 1, v29
	v_cndmask_b32_e32 v28, 0, v28, vcc_lo
	v_cndmask_b32_e32 v4, 0, v4, vcc_lo
	v_cmp_eq_u32_e32 vcc_lo, 1, v3
	v_cmp_eq_u32_e64 s13, 1, v27
	v_add_co_u32 v5, s14, v4, v5
	s_or_b32 s13, vcc_lo, s13
	v_add_co_ci_u32_e64 v6, null, v28, v6, s14
	v_cndmask_b32_e64 v3, 0, 1, s13
	v_cndmask_b32_e64 v27, 0, 1, s13
.LBB13_94:
	s_or_b32 exec_lo, exec_lo, s15
	s_waitcnt lgkmcnt(1)
	v_lshrrev_b32_e32 v28, 5, v0
	v_or_b32_e32 v4, 31, v0
	s_mov_b32 s13, exec_lo
	v_lshlrev_b32_e32 v28, 4, v28
	v_cmpx_eq_u32_e64 v0, v4
	s_cbranch_execz .LBB13_96
; %bb.95:
	ds_write_b64 v28, v[5:6]
	ds_write_b8 v28, v3 offset:8
.LBB13_96:
	s_or_b32 exec_lo, exec_lo, s13
	s_mov_b32 s15, exec_lo
	s_waitcnt lgkmcnt(0)
	s_barrier
	buffer_gl0_inv
	v_cmpx_gt_u32_e32 8, v0
	s_cbranch_execz .LBB13_104
; %bb.97:
	v_lshlrev_b32_e32 v29, 4, v0
	v_and_b32_e32 v30, 7, v53
	s_mov_b32 s13, exec_lo
	ds_read_b64 v[3:4], v29
	ds_read_b32 v34, v29 offset:8
	s_waitcnt lgkmcnt(1)
	v_mov_b32_dpp v35, v3 row_shr:1 row_mask:0xf bank_mask:0xf
	v_mov_b32_dpp v36, v4 row_shr:1 row_mask:0xf bank_mask:0xf
	s_waitcnt lgkmcnt(0)
	v_and_b32_e32 v32, 0xffffff00, v34
	v_mov_b32_dpp v37, v34 row_shr:1 row_mask:0xf bank_mask:0xf
	v_mov_b32_e32 v33, v34
	v_mov_b32_e32 v31, v34
	v_cmpx_ne_u32_e32 0, v30
	s_cbranch_execz .LBB13_99
; %bb.98:
	v_mov_b32_e32 v31, 0
	v_cmp_eq_u16_sdwa vcc_lo, v34, v31 src0_sel:BYTE_0 src1_sel:DWORD
	v_or_b32_e32 v31, v37, v34
	v_cndmask_b32_e32 v35, 0, v35, vcc_lo
	v_cndmask_b32_e32 v34, 0, v36, vcc_lo
	v_and_b32_e32 v33, 1, v31
	v_and_b32_e32 v31, 1, v31
	v_add_co_u32 v3, vcc_lo, v35, v3
	v_add_co_ci_u32_e64 v4, null, v34, v4, vcc_lo
	v_or_b32_e32 v34, v31, v32
.LBB13_99:
	s_or_b32 exec_lo, exec_lo, s13
	v_mov_b32_dpp v35, v3 row_shr:2 row_mask:0xf bank_mask:0xf
	v_mov_b32_dpp v36, v4 row_shr:2 row_mask:0xf bank_mask:0xf
	;; [unrolled: 1-line block ×3, first 2 shown]
	s_mov_b32 s16, exec_lo
	v_cmpx_lt_u32_e32 1, v30
	s_cbranch_execz .LBB13_101
; %bb.100:
	v_mov_b32_e32 v33, 0
	v_and_b32_e32 v34, 1, v31
	v_and_b32_e32 v37, 1, v37
	v_cmp_eq_u16_sdwa vcc_lo, v31, v33 src0_sel:BYTE_0 src1_sel:DWORD
	v_cmp_eq_u32_e64 s13, 1, v34
	v_cmp_eq_u32_e64 s14, 1, v37
	v_cndmask_b32_e32 v34, 0, v35, vcc_lo
	v_cndmask_b32_e32 v31, 0, v36, vcc_lo
	s_or_b32 s13, s13, s14
	v_cndmask_b32_e64 v33, 0, 1, s13
	v_cndmask_b32_e64 v35, 0, 1, s13
	v_add_co_u32 v3, vcc_lo, v34, v3
	v_add_co_ci_u32_e64 v4, null, v31, v4, vcc_lo
	v_or_b32_e32 v34, v32, v35
	v_mov_b32_e32 v31, v33
.LBB13_101:
	s_or_b32 exec_lo, exec_lo, s16
	v_mov_b32_dpp v32, v3 row_shr:4 row_mask:0xf bank_mask:0xf
	v_mov_b32_dpp v35, v4 row_shr:4 row_mask:0xf bank_mask:0xf
	;; [unrolled: 1-line block ×3, first 2 shown]
	s_mov_b32 s16, exec_lo
	v_cmpx_lt_u32_e32 3, v30
	s_cbranch_execz .LBB13_103
; %bb.102:
	v_mov_b32_e32 v30, 0
	v_cmp_eq_u16_sdwa vcc_lo, v31, v30 src0_sel:BYTE_0 src1_sel:DWORD
	v_and_b32_e32 v30, 1, v31
	v_and_b32_e32 v31, 1, v34
	v_cndmask_b32_e32 v33, 0, v35, vcc_lo
	v_cndmask_b32_e32 v32, 0, v32, vcc_lo
	v_cmp_eq_u32_e32 vcc_lo, 1, v30
	v_cmp_eq_u32_e64 s13, 1, v31
	v_add_co_u32 v3, s14, v32, v3
	s_or_b32 s13, vcc_lo, s13
	v_add_co_ci_u32_e64 v4, null, v33, v4, s14
	v_cndmask_b32_e64 v33, 0, 1, s13
.LBB13_103:
	s_or_b32 exec_lo, exec_lo, s16
	ds_write_b64 v29, v[3:4]
	ds_write_b8 v29, v33 offset:8
.LBB13_104:
	s_or_b32 exec_lo, exec_lo, s15
	v_mov_b32_e32 v3, 0
	v_mov_b32_e32 v4, 0
	;; [unrolled: 1-line block ×3, first 2 shown]
	s_mov_b32 s14, exec_lo
	v_cmp_gt_u32_e32 vcc_lo, 32, v0
	s_waitcnt lgkmcnt(0)
	s_barrier
	buffer_gl0_inv
	v_cmpx_lt_u32_e32 31, v0
	s_cbranch_execz .LBB13_106
; %bb.105:
	v_add_nc_u32_e32 v3, -16, v28
	v_add_nc_u32_e32 v28, -8, v28
	v_cmp_eq_u32_e64 s13, 0, v27
	ds_read_b64 v[3:4], v3
	ds_read_u8 v28, v28
	s_waitcnt lgkmcnt(1)
	v_cndmask_b32_e64 v30, 0, v3, s13
	v_cndmask_b32_e64 v29, 0, v4, s13
	s_waitcnt lgkmcnt(0)
	v_or_b32_e32 v27, v28, v27
	v_and_b32_e32 v33, 1, v28
	v_add_co_u32 v5, s13, v30, v5
	v_add_co_ci_u32_e64 v6, null, v29, v6, s13
	v_and_b32_e32 v27, 1, v27
.LBB13_106:
	s_or_b32 exec_lo, exec_lo, s14
	v_sub_co_u32 v28, s13, v53, 1
	v_cmp_gt_i32_e64 s14, 0, v28
	v_cndmask_b32_e64 v28, v28, v53, s14
	v_lshlrev_b32_e32 v28, 2, v28
	ds_bpermute_b32 v34, v28, v5
	ds_bpermute_b32 v35, v28, v6
	;; [unrolled: 1-line block ×3, first 2 shown]
	s_and_saveexec_b32 s16, vcc_lo
	s_cbranch_execz .LBB13_146
; %bb.107:
	v_mov_b32_e32 v29, 0
	ds_read_b64 v[5:6], v29 offset:112
	ds_read_u8 v37, v29 offset:120
	s_and_saveexec_b32 s14, s13
	s_cbranch_execz .LBB13_109
; %bb.108:
	s_add_i32 s36, s6, 32
	s_mov_b32 s37, 0
	v_mov_b32_e32 v27, 1
	s_lshl_b64 s[40:41], s[36:37], 4
	v_mov_b32_e32 v28, s36
	s_add_u32 s40, s20, s40
	s_addc_u32 s41, s21, s41
	s_waitcnt lgkmcnt(1)
	global_store_dwordx2 v29, v[5:6], s[40:41]
	s_waitcnt lgkmcnt(0)
	global_store_byte v29, v37, s[40:41] offset:8
	s_waitcnt_vscnt null, 0x0
	buffer_gl1_inv
	buffer_gl0_inv
	global_store_byte v28, v27, s[24:25]
.LBB13_109:
	s_or_b32 exec_lo, exec_lo, s14
	v_xad_u32 v27, v53, -1, s6
	s_mov_b32 s15, 0
	s_mov_b32 s14, exec_lo
	v_add_nc_u32_e32 v28, 32, v27
	global_load_ubyte v38, v28, s[24:25] glc dlc
	s_waitcnt vmcnt(0)
	v_cmpx_eq_u16_e32 0, v38
	s_cbranch_execz .LBB13_113
; %bb.110:
	v_add_co_u32 v30, s17, s24, v28
	v_add_co_ci_u32_e64 v31, null, s25, 0, s17
.LBB13_111:                             ; =>This Inner Loop Header: Depth=1
	global_load_ubyte v38, v[30:31], off glc dlc
	s_waitcnt vmcnt(0)
	v_cmp_ne_u16_e32 vcc_lo, 0, v38
	s_or_b32 s15, vcc_lo, s15
	s_andn2_b32 exec_lo, exec_lo, s15
	s_cbranch_execnz .LBB13_111
; %bb.112:
	s_or_b32 exec_lo, exec_lo, s15
.LBB13_113:
	s_or_b32 exec_lo, exec_lo, s14
	v_cmp_eq_u16_e32 vcc_lo, 1, v38
	v_mov_b32_e32 v31, s20
	v_mov_b32_e32 v30, s21
	v_lshlrev_b64 v[28:29], 4, v[28:29]
	s_waitcnt lgkmcnt(0)
	s_waitcnt_vscnt null, 0x0
	buffer_gl1_inv
	buffer_gl0_inv
	v_lshlrev_b32_e64 v40, v53, -1
	v_cndmask_b32_e32 v31, s22, v31, vcc_lo
	v_cndmask_b32_e32 v30, s23, v30, vcc_lo
	s_mov_b32 s14, exec_lo
	v_add_co_u32 v28, vcc_lo, v31, v28
	v_add_co_ci_u32_e64 v29, null, v30, v29, vcc_lo
	v_cmp_ne_u32_e32 vcc_lo, 31, v53
	s_clause 0x1
	global_load_ubyte v51, v[28:29], off offset:8
	global_load_dwordx2 v[31:32], v[28:29], off
	v_add_co_ci_u32_e64 v28, null, 0, v53, vcc_lo
	v_cmp_eq_u16_e32 vcc_lo, 2, v38
	v_lshlrev_b32_e32 v39, 2, v28
	v_and_or_b32 v28, vcc_lo, v40, 0x80000000
	v_ffbl_b32_e32 v28, v28
	s_waitcnt vmcnt(1)
	v_and_b32_e32 v29, 1, v51
	s_waitcnt vmcnt(0)
	ds_bpermute_b32 v30, v39, v31
	ds_bpermute_b32 v41, v39, v32
	ds_bpermute_b32 v42, v39, v29
	v_cmpx_lt_u32_e64 v53, v28
	s_cbranch_execz .LBB13_115
; %bb.114:
	v_mov_b32_e32 v29, 0
	v_cmp_eq_u16_sdwa vcc_lo, v51, v29 src0_sel:BYTE_0 src1_sel:DWORD
	s_waitcnt lgkmcnt(0)
	v_and_b32_e32 v29, 1, v42
	v_cndmask_b32_e32 v30, 0, v30, vcc_lo
	v_cndmask_b32_e32 v41, 0, v41, vcc_lo
	v_or_b32_e32 v51, v29, v51
	v_add_co_u32 v31, vcc_lo, v30, v31
	v_add_co_ci_u32_e64 v32, null, v41, v32, vcc_lo
	v_and_b32_e32 v29, 0xff, v51
.LBB13_115:
	s_or_b32 exec_lo, exec_lo, s14
	v_cmp_gt_u32_e32 vcc_lo, 30, v53
	s_waitcnt lgkmcnt(0)
	v_add_nc_u32_e32 v42, 2, v53
	s_mov_b32 s17, exec_lo
	v_cndmask_b32_e64 v30, 0, 2, vcc_lo
	v_add_lshl_u32 v41, v30, v53, 2
	ds_bpermute_b32 v30, v41, v31
	ds_bpermute_b32 v43, v41, v32
	ds_bpermute_b32 v44, v41, v29
	v_cmpx_le_u32_e64 v42, v28
	s_cbranch_execz .LBB13_117
; %bb.116:
	v_mov_b32_e32 v29, 0
	v_and_b32_e32 v45, 1, v51
	s_waitcnt lgkmcnt(0)
	v_and_b32_e32 v44, 1, v44
	v_cmp_eq_u16_sdwa vcc_lo, v51, v29 src0_sel:BYTE_0 src1_sel:DWORD
	v_cmp_eq_u32_e64 s14, 1, v45
	v_cmp_eq_u32_e64 s15, 1, v44
	v_cndmask_b32_e32 v30, 0, v30, vcc_lo
	v_cndmask_b32_e32 v29, 0, v43, vcc_lo
	s_or_b32 s14, s14, s15
	v_cndmask_b32_e64 v51, 0, 1, s14
	v_add_co_u32 v31, vcc_lo, v30, v31
	v_add_co_ci_u32_e64 v32, null, v29, v32, vcc_lo
	v_cndmask_b32_e64 v29, 0, 1, s14
.LBB13_117:
	s_or_b32 exec_lo, exec_lo, s17
	v_cmp_gt_u32_e32 vcc_lo, 28, v53
	s_waitcnt lgkmcnt(0)
	v_add_nc_u32_e32 v44, 4, v53
	s_mov_b32 s17, exec_lo
	v_cndmask_b32_e64 v30, 0, 4, vcc_lo
	v_add_lshl_u32 v43, v30, v53, 2
	ds_bpermute_b32 v30, v43, v31
	ds_bpermute_b32 v45, v43, v32
	ds_bpermute_b32 v46, v43, v29
	v_cmpx_le_u32_e64 v44, v28
	s_cbranch_execz .LBB13_119
; %bb.118:
	v_mov_b32_e32 v29, 0
	v_and_b32_e32 v47, 1, v51
	s_waitcnt lgkmcnt(0)
	v_and_b32_e32 v46, 1, v46
	v_cmp_eq_u16_sdwa vcc_lo, v51, v29 src0_sel:BYTE_0 src1_sel:DWORD
	v_cmp_eq_u32_e64 s14, 1, v47
	v_cmp_eq_u32_e64 s15, 1, v46
	v_cndmask_b32_e32 v30, 0, v30, vcc_lo
	v_cndmask_b32_e32 v29, 0, v45, vcc_lo
	s_or_b32 s14, s14, s15
	v_cndmask_b32_e64 v51, 0, 1, s14
	v_add_co_u32 v31, vcc_lo, v30, v31
	v_add_co_ci_u32_e64 v32, null, v29, v32, vcc_lo
	v_cndmask_b32_e64 v29, 0, 1, s14
.LBB13_119:
	s_or_b32 exec_lo, exec_lo, s17
	v_cmp_gt_u32_e32 vcc_lo, 24, v53
	s_waitcnt lgkmcnt(0)
	v_add_nc_u32_e32 v46, 8, v53
	s_mov_b32 s17, exec_lo
	v_cndmask_b32_e64 v30, 0, 8, vcc_lo
	v_add_lshl_u32 v45, v30, v53, 2
	ds_bpermute_b32 v30, v45, v31
	ds_bpermute_b32 v47, v45, v32
	ds_bpermute_b32 v48, v45, v29
	v_cmpx_le_u32_e64 v46, v28
	s_cbranch_execz .LBB13_121
; %bb.120:
	v_mov_b32_e32 v29, 0
	v_and_b32_e32 v49, 1, v51
	s_waitcnt lgkmcnt(0)
	v_and_b32_e32 v48, 1, v48
	v_cmp_eq_u16_sdwa vcc_lo, v51, v29 src0_sel:BYTE_0 src1_sel:DWORD
	v_cmp_eq_u32_e64 s14, 1, v49
	v_cmp_eq_u32_e64 s15, 1, v48
	v_cndmask_b32_e32 v30, 0, v30, vcc_lo
	v_cndmask_b32_e32 v29, 0, v47, vcc_lo
	s_or_b32 s14, s14, s15
	v_cndmask_b32_e64 v51, 0, 1, s14
	v_add_co_u32 v31, vcc_lo, v30, v31
	v_add_co_ci_u32_e64 v32, null, v29, v32, vcc_lo
	v_cndmask_b32_e64 v29, 0, 1, s14
.LBB13_121:
	s_or_b32 exec_lo, exec_lo, s17
	s_waitcnt lgkmcnt(0)
	v_lshl_or_b32 v48, v53, 2, 64
	v_add_nc_u32_e32 v49, 16, v53
	s_mov_b32 s17, exec_lo
	ds_bpermute_b32 v30, v48, v31
	ds_bpermute_b32 v47, v48, v32
	;; [unrolled: 1-line block ×3, first 2 shown]
	v_cmpx_le_u32_e64 v49, v28
	s_cbranch_execz .LBB13_123
; %bb.122:
	v_mov_b32_e32 v28, 0
	s_waitcnt lgkmcnt(0)
	v_and_b32_e32 v29, 1, v29
	v_cmp_eq_u16_sdwa vcc_lo, v51, v28 src0_sel:BYTE_0 src1_sel:DWORD
	v_and_b32_e32 v28, 1, v51
	v_cmp_eq_u32_e64 s14, 1, v29
	v_cndmask_b32_e32 v47, 0, v47, vcc_lo
	v_cndmask_b32_e32 v30, 0, v30, vcc_lo
	v_cmp_eq_u32_e32 vcc_lo, 1, v28
	v_add_co_u32 v31, s15, v30, v31
	s_or_b32 s14, vcc_lo, s14
	v_add_co_ci_u32_e64 v32, null, v47, v32, s15
	v_cndmask_b32_e64 v51, 0, 1, s14
.LBB13_123:
	s_or_b32 exec_lo, exec_lo, s17
	v_mov_b32_e32 v28, 0
	v_mov_b32_e32 v50, 2
	s_branch .LBB13_126
.LBB13_124:                             ;   in Loop: Header=BB13_126 Depth=1
	s_or_b32 exec_lo, exec_lo, s36
	v_cmp_eq_u16_sdwa vcc_lo, v47, v28 src0_sel:BYTE_0 src1_sel:DWORD
	v_and_b32_e32 v51, 1, v47
	v_subrev_nc_u32_e32 v27, 32, v27
	v_cndmask_b32_e32 v31, 0, v31, vcc_lo
	v_cndmask_b32_e32 v32, 0, v32, vcc_lo
	v_cmp_eq_u32_e32 vcc_lo, 1, v51
	v_add_co_u32 v31, s14, v31, v29
	v_add_co_ci_u32_e64 v32, null, v32, v30, s14
	s_or_b32 s14, vcc_lo, s17
	v_cndmask_b32_e64 v51, 0, 1, s14
	s_mov_b32 s14, 0
.LBB13_125:                             ;   in Loop: Header=BB13_126 Depth=1
	s_and_b32 vcc_lo, exec_lo, s14
	s_cbranch_vccnz .LBB13_142
.LBB13_126:                             ; =>This Loop Header: Depth=1
                                        ;     Child Loop BB13_129 Depth 2
	v_cmp_ne_u16_sdwa s14, v38, v50 src0_sel:BYTE_0 src1_sel:DWORD
	s_waitcnt lgkmcnt(0)
	v_mov_b32_e32 v29, v31
	v_mov_b32_e32 v47, v51
	;; [unrolled: 1-line block ×3, first 2 shown]
                                        ; implicit-def: $vgpr51
                                        ; implicit-def: $vgpr31_vgpr32
                                        ; implicit-def: $vgpr38
	s_cmp_lg_u32 s14, exec_lo
	s_mov_b32 s14, -1
	s_cbranch_scc1 .LBB13_125
; %bb.127:                              ;   in Loop: Header=BB13_126 Depth=1
	global_load_ubyte v38, v27, s[24:25] glc dlc
	s_mov_b32 s14, exec_lo
	s_waitcnt vmcnt(0)
	v_cmpx_eq_u16_e32 0, v38
	s_cbranch_execz .LBB13_131
; %bb.128:                              ;   in Loop: Header=BB13_126 Depth=1
	v_add_co_u32 v31, s15, s24, v27
	v_add_co_ci_u32_e64 v32, null, s25, 0, s15
	s_mov_b32 s15, 0
.LBB13_129:                             ;   Parent Loop BB13_126 Depth=1
                                        ; =>  This Inner Loop Header: Depth=2
	global_load_ubyte v38, v[31:32], off glc dlc
	s_waitcnt vmcnt(0)
	v_cmp_ne_u16_e32 vcc_lo, 0, v38
	s_or_b32 s15, vcc_lo, s15
	s_andn2_b32 exec_lo, exec_lo, s15
	s_cbranch_execnz .LBB13_129
; %bb.130:                              ;   in Loop: Header=BB13_126 Depth=1
	s_or_b32 exec_lo, exec_lo, s15
.LBB13_131:                             ;   in Loop: Header=BB13_126 Depth=1
	s_or_b32 exec_lo, exec_lo, s14
	v_cmp_eq_u16_e32 vcc_lo, 1, v38
	v_mov_b32_e32 v52, s20
	v_mov_b32_e32 v51, s21
	v_lshlrev_b64 v[31:32], 4, v[27:28]
	buffer_gl1_inv
	buffer_gl0_inv
	s_mov_b32 s14, exec_lo
	v_cndmask_b32_e32 v52, s22, v52, vcc_lo
	v_cndmask_b32_e32 v51, s23, v51, vcc_lo
	v_add_co_u32 v31, vcc_lo, v52, v31
	v_add_co_ci_u32_e64 v32, null, v51, v32, vcc_lo
	v_cmp_eq_u16_e32 vcc_lo, 2, v38
	s_clause 0x1
	global_load_ubyte v52, v[31:32], off offset:8
	global_load_dwordx2 v[31:32], v[31:32], off
	v_and_or_b32 v51, vcc_lo, v40, 0x80000000
	v_ffbl_b32_e32 v51, v51
	s_waitcnt vmcnt(1)
	v_and_b32_e32 v64, 1, v52
	s_waitcnt vmcnt(0)
	ds_bpermute_b32 v65, v39, v31
	ds_bpermute_b32 v66, v39, v32
	ds_bpermute_b32 v67, v39, v64
	v_cmpx_lt_u32_e64 v53, v51
	s_cbranch_execz .LBB13_133
; %bb.132:                              ;   in Loop: Header=BB13_126 Depth=1
	v_cmp_eq_u16_sdwa vcc_lo, v52, v28 src0_sel:BYTE_0 src1_sel:DWORD
	s_waitcnt lgkmcnt(0)
	v_and_b32_e32 v64, 1, v67
	v_cndmask_b32_e32 v65, 0, v65, vcc_lo
	v_cndmask_b32_e32 v66, 0, v66, vcc_lo
	v_or_b32_e32 v52, v64, v52
	v_add_co_u32 v31, vcc_lo, v65, v31
	v_add_co_ci_u32_e64 v32, null, v66, v32, vcc_lo
	v_and_b32_e32 v64, 0xff, v52
.LBB13_133:                             ;   in Loop: Header=BB13_126 Depth=1
	s_or_b32 exec_lo, exec_lo, s14
	s_waitcnt lgkmcnt(2)
	ds_bpermute_b32 v65, v41, v31
	s_waitcnt lgkmcnt(2)
	ds_bpermute_b32 v66, v41, v32
	;; [unrolled: 2-line block ×3, first 2 shown]
	v_and_b32_e32 v68, 1, v52
	s_mov_b32 s15, exec_lo
	v_cmp_eq_u32_e64 s17, 1, v68
	v_cmpx_le_u32_e64 v42, v51
	s_cbranch_execz .LBB13_135
; %bb.134:                              ;   in Loop: Header=BB13_126 Depth=1
	v_cmp_eq_u16_sdwa vcc_lo, v52, v28 src0_sel:BYTE_0 src1_sel:DWORD
	s_waitcnt lgkmcnt(0)
	v_and_b32_e32 v52, 1, v67
	v_cndmask_b32_e32 v65, 0, v65, vcc_lo
	v_cndmask_b32_e32 v64, 0, v66, vcc_lo
	v_cmp_eq_u32_e32 vcc_lo, 1, v52
	v_add_co_u32 v31, s14, v65, v31
	v_add_co_ci_u32_e64 v32, null, v64, v32, s14
	s_or_b32 s14, s17, vcc_lo
	s_andn2_b32 s17, s17, exec_lo
	v_cndmask_b32_e64 v52, 0, 1, s14
	v_cndmask_b32_e64 v64, 0, 1, s14
	s_and_b32 s14, s14, exec_lo
	s_or_b32 s17, s17, s14
.LBB13_135:                             ;   in Loop: Header=BB13_126 Depth=1
	s_or_b32 exec_lo, exec_lo, s15
	s_waitcnt lgkmcnt(2)
	ds_bpermute_b32 v65, v43, v31
	s_waitcnt lgkmcnt(2)
	ds_bpermute_b32 v66, v43, v32
	s_waitcnt lgkmcnt(2)
	ds_bpermute_b32 v67, v43, v64
	s_mov_b32 s36, exec_lo
	v_cmpx_le_u32_e64 v44, v51
	s_cbranch_execz .LBB13_137
; %bb.136:                              ;   in Loop: Header=BB13_126 Depth=1
	v_cmp_eq_u16_sdwa vcc_lo, v52, v28 src0_sel:BYTE_0 src1_sel:DWORD
	v_and_b32_e32 v52, 1, v52
	s_waitcnt lgkmcnt(0)
	v_and_b32_e32 v64, 1, v67
	v_cndmask_b32_e32 v66, 0, v66, vcc_lo
	v_cndmask_b32_e32 v65, 0, v65, vcc_lo
	v_cmp_eq_u32_e32 vcc_lo, 1, v52
	v_cmp_eq_u32_e64 s14, 1, v64
	v_add_co_u32 v31, s15, v65, v31
	s_or_b32 s14, vcc_lo, s14
	v_add_co_ci_u32_e64 v32, null, v66, v32, s15
	v_cndmask_b32_e64 v52, 0, 1, s14
	v_cndmask_b32_e64 v64, 0, 1, s14
	s_andn2_b32 s15, s17, exec_lo
	s_and_b32 s14, s14, exec_lo
	s_or_b32 s17, s15, s14
.LBB13_137:                             ;   in Loop: Header=BB13_126 Depth=1
	s_or_b32 exec_lo, exec_lo, s36
	s_waitcnt lgkmcnt(2)
	ds_bpermute_b32 v65, v45, v31
	s_waitcnt lgkmcnt(2)
	ds_bpermute_b32 v66, v45, v32
	;; [unrolled: 2-line block ×3, first 2 shown]
	s_mov_b32 s36, exec_lo
	v_cmpx_le_u32_e64 v46, v51
	s_cbranch_execz .LBB13_139
; %bb.138:                              ;   in Loop: Header=BB13_126 Depth=1
	v_cmp_eq_u16_sdwa vcc_lo, v52, v28 src0_sel:BYTE_0 src1_sel:DWORD
	v_and_b32_e32 v52, 1, v52
	s_waitcnt lgkmcnt(0)
	v_and_b32_e32 v64, 1, v67
	v_cndmask_b32_e32 v66, 0, v66, vcc_lo
	v_cndmask_b32_e32 v65, 0, v65, vcc_lo
	v_cmp_eq_u32_e32 vcc_lo, 1, v52
	v_cmp_eq_u32_e64 s14, 1, v64
	v_add_co_u32 v31, s15, v65, v31
	s_or_b32 s14, vcc_lo, s14
	v_add_co_ci_u32_e64 v32, null, v66, v32, s15
	v_cndmask_b32_e64 v52, 0, 1, s14
	v_cndmask_b32_e64 v64, 0, 1, s14
	s_andn2_b32 s15, s17, exec_lo
	s_and_b32 s14, s14, exec_lo
	s_or_b32 s17, s15, s14
.LBB13_139:                             ;   in Loop: Header=BB13_126 Depth=1
	s_or_b32 exec_lo, exec_lo, s36
	s_waitcnt lgkmcnt(2)
	ds_bpermute_b32 v65, v48, v31
	s_waitcnt lgkmcnt(2)
	ds_bpermute_b32 v66, v48, v32
	ds_bpermute_b32 v64, v48, v64
	s_mov_b32 s36, exec_lo
	v_cmpx_le_u32_e64 v49, v51
	s_cbranch_execz .LBB13_124
; %bb.140:                              ;   in Loop: Header=BB13_126 Depth=1
	v_cmp_eq_u16_sdwa vcc_lo, v52, v28 src0_sel:BYTE_0 src1_sel:DWORD
	v_and_b32_e32 v51, 1, v52
	s_waitcnt lgkmcnt(0)
	v_and_b32_e32 v52, 1, v64
	v_cndmask_b32_e32 v65, 0, v65, vcc_lo
	v_cndmask_b32_e32 v64, 0, v66, vcc_lo
	v_cmp_eq_u32_e32 vcc_lo, 1, v51
	v_cmp_eq_u32_e64 s14, 1, v52
	v_add_co_u32 v31, s15, v65, v31
	v_add_co_ci_u32_e64 v32, null, v64, v32, s15
	s_or_b32 s14, vcc_lo, s14
	s_andn2_b32 s15, s17, exec_lo
	s_and_b32 s14, s14, exec_lo
	s_or_b32 s17, s15, s14
	s_branch .LBB13_124
.LBB13_141:
                                        ; implicit-def: $vgpr49_vgpr50
                                        ; implicit-def: $vgpr47_vgpr48
                                        ; implicit-def: $vgpr43_vgpr44
                                        ; implicit-def: $vgpr39_vgpr40
                                        ; implicit-def: $vgpr35_vgpr36
                                        ; implicit-def: $vgpr31_vgpr32
                                        ; implicit-def: $vgpr27_vgpr28
                                        ; implicit-def: $vgpr45_vgpr46
                                        ; implicit-def: $vgpr41_vgpr42
                                        ; implicit-def: $vgpr37_vgpr38
                                        ; implicit-def: $vgpr33_vgpr34
                                        ; implicit-def: $vgpr29_vgpr30
                                        ; implicit-def: $vgpr51_vgpr52
	s_cbranch_execnz .LBB13_147
	s_branch .LBB13_176
.LBB13_142:
	s_and_saveexec_b32 s14, s13
	s_cbranch_execz .LBB13_144
; %bb.143:
	v_mov_b32_e32 v27, 0
	v_or_b32_e32 v28, v37, v47
	s_mov_b32 s21, 0
	s_add_i32 s20, s6, 32
	v_mov_b32_e32 v31, 2
	v_cmp_eq_u32_sdwa vcc_lo, v37, v27 src0_sel:BYTE_0 src1_sel:DWORD
	s_lshl_b64 s[36:37], s[20:21], 4
	v_mov_b32_e32 v38, s20
	v_and_b32_e32 v28, 1, v28
	s_add_u32 s20, s22, s36
	v_cndmask_b32_e32 v37, 0, v29, vcc_lo
	v_cndmask_b32_e32 v32, 0, v30, vcc_lo
	s_addc_u32 s21, s23, s37
	v_add_co_u32 v5, vcc_lo, v37, v5
	v_add_co_ci_u32_e64 v6, null, v32, v6, vcc_lo
	global_store_byte v27, v28, s[20:21] offset:8
	global_store_dwordx2 v27, v[5:6], s[20:21]
	s_waitcnt lgkmcnt(0)
	s_waitcnt_vscnt null, 0x0
	buffer_gl1_inv
	buffer_gl0_inv
	global_store_byte v38, v31, s[24:25]
.LBB13_144:
	s_or_b32 exec_lo, exec_lo, s14
	v_cmp_eq_u32_e32 vcc_lo, 0, v0
	s_and_b32 exec_lo, exec_lo, vcc_lo
	s_cbranch_execz .LBB13_146
; %bb.145:
	v_mov_b32_e32 v5, 0
	ds_write_b64 v5, v[29:30] offset:112
	ds_write_b8 v5, v47 offset:120
.LBB13_146:
	s_or_b32 exec_lo, exec_lo, s16
	s_waitcnt lgkmcnt(0)
	v_cndmask_b32_e64 v5, v36, v33, s13
	v_and_b32_e32 v28, 1, v87
	v_mov_b32_e32 v27, 0
	s_waitcnt_vscnt null, 0x0
	s_barrier
	v_and_b32_e32 v29, 1, v5
	v_cmp_eq_u32_e32 vcc_lo, 1, v28
	buffer_gl0_inv
	ds_read_b64 v[5:6], v27 offset:112
	v_cndmask_b32_e64 v3, v34, v3, s13
	v_cmp_eq_u32_e64 s6, 1, v29
	v_cndmask_b32_e64 v4, v35, v4, s13
	s_or_b32 s6, vcc_lo, s6
	v_cmp_eq_u16_sdwa vcc_lo, v87, v27 src0_sel:BYTE_0 src1_sel:DWORD
	v_cndmask_b32_e64 v28, 0, 1, s6
	v_cmp_eq_u32_e64 s6, 0, v0
	v_cndmask_b32_e32 v3, 0, v3, vcc_lo
	v_cndmask_b32_e32 v4, 0, v4, vcc_lo
	v_cndmask_b32_e64 v28, v28, v87, s6
	v_cndmask_b32_e64 v3, v3, 0, s6
	;; [unrolled: 1-line block ×3, first 2 shown]
	v_cmp_eq_u16_sdwa vcc_lo, v28, v27 src0_sel:BYTE_0 src1_sel:DWORD
	s_waitcnt lgkmcnt(0)
	v_cndmask_b32_e32 v6, 0, v6, vcc_lo
	v_cndmask_b32_e32 v5, 0, v5, vcc_lo
	v_add_co_u32 v3, vcc_lo, v3, v1
	v_add_co_ci_u32_e64 v4, null, v4, v2, vcc_lo
	v_add_co_u32 v51, vcc_lo, v3, v5
	v_add_co_ci_u32_e64 v52, null, v4, v6, vcc_lo
	v_cndmask_b32_e64 v3, 0, v51, s11
	v_cndmask_b32_e64 v4, 0, v52, s11
	v_add_co_u32 v27, vcc_lo, v3, v9
	v_add_co_ci_u32_e64 v28, null, v4, v10, vcc_lo
	v_cndmask_b32_e64 v3, 0, v27, s12
	v_cndmask_b32_e64 v4, 0, v28, s12
	;; [unrolled: 4-line block ×12, first 2 shown]
	v_add_co_u32 v49, vcc_lo, v3, v11
	v_add_co_ci_u32_e64 v50, null, v4, v12, vcc_lo
	s_branch .LBB13_176
.LBB13_147:
	s_cmp_lg_u64 s[34:35], 0
	v_cmp_eq_u32_e32 vcc_lo, 0, v0
	s_cselect_b32 s1, -1, 0
	s_cmp_lg_u64 s[38:39], 0
	v_cmp_ne_u32_e64 s0, 0, v0
	s_cselect_b32 s2, -1, 0
	s_and_b32 s1, s1, s2
	s_and_b32 s1, vcc_lo, s1
	s_and_saveexec_b32 s2, s1
	s_cbranch_execz .LBB13_149
; %bb.148:
	v_mov_b32_e32 v5, 0
	s_clause 0x1
	global_load_dwordx2 v[3:4], v5, s[38:39]
	global_load_ubyte v6, v5, s[38:39] offset:8
	v_cmp_eq_u16_sdwa s1, v87, v5 src0_sel:BYTE_0 src1_sel:DWORD
	s_waitcnt vmcnt(1)
	v_cndmask_b32_e64 v3, 0, v3, s1
	v_cndmask_b32_e64 v4, 0, v4, s1
	s_waitcnt vmcnt(0)
	v_or_b32_e32 v5, v87, v6
	v_add_co_u32 v1, s1, v3, v1
	v_add_co_ci_u32_e64 v2, null, v4, v2, s1
	v_and_b32_e32 v87, 1, v5
.LBB13_149:
	s_or_b32 exec_lo, exec_lo, s2
	v_mov_b32_e32 v3, 0
	v_or_b32_e32 v6, v87, v92
	v_cmp_eq_u32_e64 s12, 1, v61
	v_cmp_eq_u32_e64 s15, 1, v60
	;; [unrolled: 1-line block ×3, first 2 shown]
	v_cmp_eq_u16_sdwa s1, v92, v3 src0_sel:BYTE_0 src1_sel:DWORD
	v_cmp_ne_u16_sdwa s20, v55, v3 src0_sel:BYTE_0 src1_sel:DWORD
	v_cmp_ne_u16_sdwa s21, v56, v3 src0_sel:BYTE_0 src1_sel:DWORD
	;; [unrolled: 1-line block ×4, first 2 shown]
	v_cndmask_b32_e64 v5, 0, v1, s1
	v_cndmask_b32_e64 v4, 0, v2, s1
	s_or_b32 s20, s20, s12
	s_or_b32 s12, s21, s15
	v_cmp_eq_u32_e64 s14, 1, v62
	v_add_co_u32 v27, s2, v5, v9
	v_add_co_ci_u32_e64 v28, null, v4, v10, s2
	v_cmp_eq_u16_sdwa s2, v91, v3 src0_sel:BYTE_0 src1_sel:DWORD
	s_or_b32 s15, s16, s12
	v_cmp_eq_u32_e64 s13, 1, v63
	s_or_b32 s14, s34, s14
	v_and_b32_e32 v51, 15, v53
	v_cndmask_b32_e64 v5, 0, v27, s2
	v_cndmask_b32_e64 v4, 0, v28, s2
	s_or_b32 s14, s15, s14
	s_or_b32 s13, s17, s13
	;; [unrolled: 1-line block ×3, first 2 shown]
	v_add_co_u32 v29, s3, v5, v15
	v_add_co_ci_u32_e64 v30, null, v4, v16, s3
	v_cmp_eq_u16_sdwa s3, v90, v3 src0_sel:BYTE_0 src1_sel:DWORD
	s_or_b32 s14, s14, s13
	s_mov_b32 s15, exec_lo
	v_cndmask_b32_e64 v54, 0, 1, s14
	v_cndmask_b32_e64 v5, 0, v29, s3
	;; [unrolled: 1-line block ×3, first 2 shown]
	v_mov_b32_dpp v52, v54 row_shr:1 row_mask:0xf bank_mask:0xf
	v_add_co_u32 v31, s4, v5, v13
	v_add_co_ci_u32_e64 v32, null, v4, v14, s4
	v_cmp_eq_u16_sdwa s4, v89, v3 src0_sel:BYTE_0 src1_sel:DWORD
	v_cndmask_b32_e64 v5, 0, v31, s4
	v_cndmask_b32_e64 v4, 0, v32, s4
	v_add_co_u32 v33, s5, v5, v19
	v_add_co_ci_u32_e64 v34, null, v4, v20, s5
	v_cmp_eq_u16_sdwa s5, v88, v3 src0_sel:BYTE_0 src1_sel:DWORD
	v_cndmask_b32_e64 v5, 0, v33, s5
	v_cndmask_b32_e64 v4, 0, v34, s5
	;; [unrolled: 5-line block ×8, first 2 shown]
	v_add_co_u32 v47, s12, v4, v7
	v_add_co_ci_u32_e64 v48, null, v3, v8, s12
	v_cmp_eq_u16_e64 s12, 0, v58
	v_cndmask_b32_e64 v4, 0, v47, s12
	v_cndmask_b32_e64 v3, 0, v48, s12
	v_add_co_u32 v49, s13, v4, v11
	v_add_co_ci_u32_e64 v50, null, v3, v12, s13
	v_mov_b32_e32 v3, v49
	v_mov_b32_dpp v55, v49 row_shr:1 row_mask:0xf bank_mask:0xf
	v_mov_b32_dpp v56, v50 row_shr:1 row_mask:0xf bank_mask:0xf
	v_mov_b32_e32 v4, v50
	v_mov_b32_e32 v6, v50
	;; [unrolled: 1-line block ×3, first 2 shown]
	v_cmpx_ne_u32_e32 0, v51
	s_cbranch_execz .LBB13_151
; %bb.150:
	v_cndmask_b32_e64 v3, v55, 0, s14
	v_cndmask_b32_e64 v4, v56, 0, s14
	v_and_or_b32 v54, v52, 1, v54
	v_add_co_u32 v3, s13, v49, v3
	v_add_co_ci_u32_e64 v4, null, v50, v4, s13
	v_mov_b32_e32 v5, v3
	v_mov_b32_e32 v6, v4
.LBB13_151:
	s_or_b32 exec_lo, exec_lo, s15
	v_mov_b32_dpp v55, v5 row_shr:2 row_mask:0xf bank_mask:0xf
	v_mov_b32_dpp v56, v6 row_shr:2 row_mask:0xf bank_mask:0xf
	v_mov_b32_dpp v52, v54 row_shr:2 row_mask:0xf bank_mask:0xf
	s_mov_b32 s14, exec_lo
	v_cmpx_lt_u32_e32 1, v51
	s_cbranch_execz .LBB13_153
; %bb.152:
	v_cmp_eq_u16_e64 s13, 0, v54
	v_or_b32_e32 v52, v52, v54
	v_cndmask_b32_e64 v5, 0, v55, s13
	v_cndmask_b32_e64 v6, 0, v56, s13
	v_and_b32_e32 v54, 1, v52
	v_add_co_u32 v5, s13, v5, v3
	v_add_co_ci_u32_e64 v6, null, v6, v4, s13
	v_mov_b32_e32 v3, v5
	v_mov_b32_e32 v4, v6
.LBB13_153:
	s_or_b32 exec_lo, exec_lo, s14
	v_mov_b32_dpp v55, v5 row_shr:4 row_mask:0xf bank_mask:0xf
	v_mov_b32_dpp v56, v6 row_shr:4 row_mask:0xf bank_mask:0xf
	v_mov_b32_dpp v52, v54 row_shr:4 row_mask:0xf bank_mask:0xf
	s_mov_b32 s14, exec_lo
	v_cmpx_lt_u32_e32 3, v51
	s_cbranch_execz .LBB13_155
; %bb.154:
	v_cmp_eq_u16_e64 s13, 0, v54
	v_or_b32_e32 v52, v52, v54
	v_cndmask_b32_e64 v5, 0, v55, s13
	v_cndmask_b32_e64 v6, 0, v56, s13
	v_and_b32_e32 v54, 1, v52
	v_add_co_u32 v5, s13, v5, v3
	v_add_co_ci_u32_e64 v6, null, v6, v4, s13
	v_mov_b32_e32 v3, v5
	v_mov_b32_e32 v4, v6
.LBB13_155:
	;; [unrolled: 18-line block ×3, first 2 shown]
	s_or_b32 exec_lo, exec_lo, s14
	ds_swizzle_b32 v5, v5 offset:swizzle(BROADCAST,32,15)
	ds_swizzle_b32 v6, v6 offset:swizzle(BROADCAST,32,15)
	;; [unrolled: 1-line block ×3, first 2 shown]
	v_and_b32_e32 v51, 16, v53
	v_cmp_ne_u32_e64 s13, 0, v51
	v_mov_b32_e32 v51, v54
	s_and_saveexec_b32 s16, s13
	s_cbranch_execz .LBB13_159
; %bb.158:
	v_cmp_eq_u16_e64 s13, 0, v54
	v_and_b32_e32 v51, 1, v54
	s_waitcnt lgkmcnt(0)
	v_and_b32_e32 v52, 1, v52
	v_cndmask_b32_e64 v6, 0, v6, s13
	v_cndmask_b32_e64 v5, 0, v5, s13
	v_cmp_eq_u32_e64 s13, 1, v51
	v_cmp_eq_u32_e64 s14, 1, v52
	v_add_co_u32 v3, s15, v5, v3
	s_or_b32 s13, s13, s14
	v_add_co_ci_u32_e64 v4, null, v6, v4, s15
	v_cndmask_b32_e64 v54, 0, 1, s13
	v_cndmask_b32_e64 v51, 0, 1, s13
.LBB13_159:
	s_or_b32 exec_lo, exec_lo, s16
	s_waitcnt lgkmcnt(2)
	v_or_b32_e32 v5, 31, v0
	s_waitcnt lgkmcnt(0)
	v_lshrrev_b32_e32 v52, 5, v0
	s_mov_b32 s14, exec_lo
	v_cmpx_eq_u32_e64 v0, v5
	s_cbranch_execz .LBB13_161
; %bb.160:
	v_lshlrev_b32_e32 v5, 4, v52
	ds_write_b64 v5, v[3:4]
	ds_write_b8 v5, v54 offset:8
.LBB13_161:
	s_or_b32 exec_lo, exec_lo, s14
	s_mov_b32 s16, exec_lo
	s_waitcnt lgkmcnt(0)
	s_barrier
	buffer_gl0_inv
	v_cmpx_gt_u32_e32 8, v0
	s_cbranch_execz .LBB13_169
; %bb.162:
	v_lshlrev_b32_e32 v54, 4, v0
	v_and_b32_e32 v55, 7, v53
	s_mov_b32 s14, exec_lo
	ds_read_b64 v[5:6], v54
	ds_read_b32 v60, v54 offset:8
	s_waitcnt lgkmcnt(1)
	v_mov_b32_dpp v61, v5 row_shr:1 row_mask:0xf bank_mask:0xf
	v_mov_b32_dpp v62, v6 row_shr:1 row_mask:0xf bank_mask:0xf
	s_waitcnt lgkmcnt(0)
	v_and_b32_e32 v58, 0xffffff00, v60
	v_mov_b32_dpp v63, v60 row_shr:1 row_mask:0xf bank_mask:0xf
	v_mov_b32_e32 v59, v60
	v_mov_b32_e32 v56, v60
	v_cmpx_ne_u32_e32 0, v55
	s_cbranch_execz .LBB13_164
; %bb.163:
	v_mov_b32_e32 v56, 0
	v_cmp_eq_u16_sdwa s13, v60, v56 src0_sel:BYTE_0 src1_sel:DWORD
	v_or_b32_e32 v56, v63, v60
	v_cndmask_b32_e64 v61, 0, v61, s13
	v_cndmask_b32_e64 v60, 0, v62, s13
	v_and_b32_e32 v59, 1, v56
	v_and_b32_e32 v56, 1, v56
	v_add_co_u32 v5, s13, v61, v5
	v_add_co_ci_u32_e64 v6, null, v60, v6, s13
	v_or_b32_e32 v60, v56, v58
.LBB13_164:
	s_or_b32 exec_lo, exec_lo, s14
	v_mov_b32_dpp v61, v5 row_shr:2 row_mask:0xf bank_mask:0xf
	v_mov_b32_dpp v62, v6 row_shr:2 row_mask:0xf bank_mask:0xf
	;; [unrolled: 1-line block ×3, first 2 shown]
	s_mov_b32 s17, exec_lo
	v_cmpx_lt_u32_e32 1, v55
	s_cbranch_execz .LBB13_166
; %bb.165:
	v_mov_b32_e32 v59, 0
	v_and_b32_e32 v60, 1, v56
	v_and_b32_e32 v63, 1, v63
	v_cmp_eq_u16_sdwa s13, v56, v59 src0_sel:BYTE_0 src1_sel:DWORD
	v_cmp_eq_u32_e64 s14, 1, v60
	v_cmp_eq_u32_e64 s15, 1, v63
	v_cndmask_b32_e64 v56, 0, v62, s13
	v_cndmask_b32_e64 v60, 0, v61, s13
	s_or_b32 s13, s14, s15
	v_cndmask_b32_e64 v59, 0, 1, s13
	v_cndmask_b32_e64 v61, 0, 1, s13
	v_add_co_u32 v5, s13, v60, v5
	v_add_co_ci_u32_e64 v6, null, v56, v6, s13
	v_or_b32_e32 v60, v58, v61
	v_mov_b32_e32 v56, v59
.LBB13_166:
	s_or_b32 exec_lo, exec_lo, s17
	v_mov_b32_dpp v58, v5 row_shr:4 row_mask:0xf bank_mask:0xf
	v_mov_b32_dpp v61, v6 row_shr:4 row_mask:0xf bank_mask:0xf
	v_mov_b32_dpp v60, v60 row_shr:4 row_mask:0xf bank_mask:0xf
	s_mov_b32 s17, exec_lo
	v_cmpx_lt_u32_e32 3, v55
	s_cbranch_execz .LBB13_168
; %bb.167:
	v_mov_b32_e32 v55, 0
	v_cmp_eq_u16_sdwa s13, v56, v55 src0_sel:BYTE_0 src1_sel:DWORD
	v_and_b32_e32 v55, 1, v56
	v_and_b32_e32 v56, 1, v60
	v_cndmask_b32_e64 v59, 0, v61, s13
	v_cndmask_b32_e64 v58, 0, v58, s13
	v_cmp_eq_u32_e64 s13, 1, v55
	v_cmp_eq_u32_e64 s14, 1, v56
	v_add_co_u32 v5, s15, v58, v5
	s_or_b32 s13, s13, s14
	v_add_co_ci_u32_e64 v6, null, v59, v6, s15
	v_cndmask_b32_e64 v59, 0, 1, s13
.LBB13_168:
	s_or_b32 exec_lo, exec_lo, s17
	ds_write_b64 v54, v[5:6]
	ds_write_b8 v54, v59 offset:8
.LBB13_169:
	s_or_b32 exec_lo, exec_lo, s16
	v_mov_b32_e32 v5, 0
	v_mov_b32_e32 v6, 0
	s_mov_b32 s14, exec_lo
	s_waitcnt lgkmcnt(0)
	s_barrier
	buffer_gl0_inv
	v_cmpx_lt_u32_e32 31, v0
	s_cbranch_execz .LBB13_171
; %bb.170:
	v_lshl_add_u32 v5, v52, 4, -16
	v_cmp_eq_u32_e64 s13, 0, v51
	ds_read_b64 v[5:6], v5
	s_waitcnt lgkmcnt(0)
	v_cndmask_b32_e64 v52, 0, v5, s13
	v_cndmask_b32_e64 v51, 0, v6, s13
	v_add_co_u32 v3, s13, v52, v3
	v_add_co_ci_u32_e64 v4, null, v51, v4, s13
.LBB13_171:
	s_or_b32 exec_lo, exec_lo, s14
	v_add_nc_u32_e32 v51, -1, v53
	v_cmp_gt_i32_e64 s13, 0, v51
	v_cndmask_b32_e64 v51, v51, v53, s13
	v_lshlrev_b32_e32 v51, 2, v51
	ds_bpermute_b32 v3, v51, v3
	ds_bpermute_b32 v4, v51, v4
	s_and_saveexec_b32 s13, s0
	s_cbranch_execz .LBB13_173
; %bb.172:
	v_cmp_eq_u32_e64 s0, 0, v53
	v_mov_b32_e32 v27, 0
	;;#ASMSTART
	;;#ASMEND
	s_waitcnt lgkmcnt(1)
	v_cndmask_b32_e64 v3, v3, v5, s0
	s_waitcnt lgkmcnt(0)
	v_cndmask_b32_e64 v4, v4, v6, s0
	v_cmp_eq_u16_sdwa s0, v87, v27 src0_sel:BYTE_0 src1_sel:DWORD
	v_cndmask_b32_e64 v3, 0, v3, s0
	v_cndmask_b32_e64 v4, 0, v4, s0
	v_add_co_u32 v1, s0, v3, v1
	v_add_co_ci_u32_e64 v2, null, v4, v2, s0
	v_cndmask_b32_e64 v3, 0, v1, s1
	v_cndmask_b32_e64 v4, 0, v2, s1
	v_add_co_u32 v27, s0, v3, v9
	v_add_co_ci_u32_e64 v28, null, v4, v10, s0
	;; [unrolled: 4-line block ×13, first 2 shown]
.LBB13_173:
	s_or_b32 exec_lo, exec_lo, s13
	s_and_saveexec_b32 s0, vcc_lo
	s_cbranch_execz .LBB13_175
; %bb.174:
	v_mov_b32_e32 v5, 0
	v_mov_b32_e32 v7, 2
	s_waitcnt lgkmcnt(0)
	ds_read_b64 v[3:4], v5 offset:112
	ds_read_u8 v6, v5 offset:120
	s_waitcnt lgkmcnt(1)
	global_store_dwordx2 v5, v[3:4], s[22:23] offset:512
	s_waitcnt lgkmcnt(0)
	global_store_byte v5, v6, s[22:23] offset:520
	s_waitcnt_vscnt null, 0x0
	buffer_gl1_inv
	buffer_gl0_inv
	global_store_byte v5, v7, s[24:25] offset:32
.LBB13_175:
	s_or_b32 exec_lo, exec_lo, s0
	v_mov_b32_e32 v52, v2
	v_mov_b32_e32 v51, v1
.LBB13_176:
	s_add_u32 s0, s18, s28
	s_addc_u32 s1, s19, s29
	s_add_u32 s0, s0, s30
	s_addc_u32 s1, s1, s31
	s_and_b32 vcc_lo, exec_lo, s27
	s_cbranch_vccz .LBB13_220
; %bb.177:
	v_mul_u32_u24_e32 v1, 13, v0
	s_add_i32 s33, s33, s26
	s_mov_b32 s2, exec_lo
	v_cmpx_gt_u32_e64 s33, v1
	s_cbranch_execz .LBB13_195
; %bb.178:
	v_add_nc_u32_e32 v2, 1, v1
	s_mov_b32 s3, exec_lo
	v_cmpx_gt_u32_e64 s33, v2
	s_cbranch_execz .LBB13_194
; %bb.179:
	v_add_nc_u32_e32 v2, 2, v1
	;; [unrolled: 5-line block ×8, first 2 shown]
	s_mov_b32 s10, exec_lo
	v_cmpx_gt_u32_e64 s33, v2
; %bb.186:
	v_add_nc_u32_e32 v2, 9, v1
	s_mov_b32 s11, exec_lo
	v_cmpx_gt_u32_e64 s33, v2
	s_or_b32 exec_lo, exec_lo, s11
; %bb.187:
	s_or_b32 exec_lo, exec_lo, s10
.LBB13_188:
	s_or_b32 exec_lo, exec_lo, s9
.LBB13_189:
	s_or_b32 exec_lo, exec_lo, s8
.LBB13_190:
	s_or_b32 exec_lo, exec_lo, s7
.LBB13_191:
	s_or_b32 exec_lo, exec_lo, s6
.LBB13_192:
	s_or_b32 exec_lo, exec_lo, s5
.LBB13_193:
	s_or_b32 exec_lo, exec_lo, s4
.LBB13_194:
	s_or_b32 exec_lo, exec_lo, s3
.LBB13_195:
	s_or_b32 exec_lo, exec_lo, s2
	v_lshlrev_b32_e32 v53, 3, v1
	s_waitcnt lgkmcnt(0)
	s_waitcnt_vscnt null, 0x0
	s_barrier
	buffer_gl0_inv
	v_add_co_u32 v25, s2, s0, v57
	v_mad_i32_i24 v1, 0xffffffa0, v0, v53
	ds_write2_b64 v53, v[51:52], v[27:28] offset1:1
	ds_write2_b64 v53, v[29:30], v[31:32] offset0:2 offset1:3
	ds_write2_b64 v53, v[33:34], v[35:36] offset0:4 offset1:5
	;; [unrolled: 1-line block ×5, first 2 shown]
	ds_write_b64 v53, v[49:50] offset:96
	s_waitcnt lgkmcnt(0)
	s_barrier
	buffer_gl0_inv
	ds_read2st64_b64 v[21:24], v1 offset0:4 offset1:8
	ds_read2st64_b64 v[17:20], v1 offset0:12 offset1:16
	;; [unrolled: 1-line block ×6, first 2 shown]
	v_add_co_ci_u32_e64 v26, null, s1, 0, s2
	s_mov_b32 s2, exec_lo
	v_cmpx_gt_u32_e64 s33, v0
	s_cbranch_execz .LBB13_197
; %bb.196:
	v_mul_i32_i24_e32 v54, 0xffffffa0, v0
	v_add_nc_u32_e32 v53, v53, v54
	ds_read_b64 v[53:54], v53
	s_waitcnt lgkmcnt(0)
	flat_store_dwordx2 v[25:26], v[53:54]
.LBB13_197:
	s_or_b32 exec_lo, exec_lo, s2
	v_or_b32_e32 v53, 0x100, v0
	s_mov_b32 s2, exec_lo
	v_cmpx_gt_u32_e64 s33, v53
	s_cbranch_execz .LBB13_199
; %bb.198:
	v_add_co_u32 v53, vcc_lo, 0x800, v25
	v_add_co_ci_u32_e64 v54, null, 0, v26, vcc_lo
	s_waitcnt lgkmcnt(5)
	flat_store_dwordx2 v[53:54], v[21:22]
.LBB13_199:
	s_or_b32 exec_lo, exec_lo, s2
	s_waitcnt lgkmcnt(5)
	v_or_b32_e32 v21, 0x200, v0
	s_mov_b32 s2, exec_lo
	v_cmpx_gt_u32_e64 s33, v21
	s_cbranch_execz .LBB13_201
; %bb.200:
	v_add_co_u32 v21, vcc_lo, 0x1000, v25
	v_add_co_ci_u32_e64 v22, null, 0, v26, vcc_lo
	flat_store_dwordx2 v[21:22], v[23:24]
.LBB13_201:
	s_or_b32 exec_lo, exec_lo, s2
	v_or_b32_e32 v21, 0x300, v0
	s_mov_b32 s2, exec_lo
	v_cmpx_gt_u32_e64 s33, v21
	s_cbranch_execz .LBB13_203
; %bb.202:
	v_add_co_u32 v21, vcc_lo, 0x1800, v25
	v_add_co_ci_u32_e64 v22, null, 0, v26, vcc_lo
	s_waitcnt lgkmcnt(4)
	flat_store_dwordx2 v[21:22], v[17:18]
.LBB13_203:
	s_or_b32 exec_lo, exec_lo, s2
	s_waitcnt lgkmcnt(4)
	v_or_b32_e32 v17, 0x400, v0
	s_mov_b32 s2, exec_lo
	v_cmpx_gt_u32_e64 s33, v17
	s_cbranch_execz .LBB13_205
; %bb.204:
	v_add_co_u32 v17, vcc_lo, 0x2000, v25
	v_add_co_ci_u32_e64 v18, null, 0, v26, vcc_lo
	flat_store_dwordx2 v[17:18], v[19:20]
.LBB13_205:
	;; [unrolled: 22-line block ×5, first 2 shown]
	s_or_b32 exec_lo, exec_lo, s2
	v_or_b32_e32 v5, 0xb00, v0
	s_mov_b32 s2, exec_lo
	v_cmpx_gt_u32_e64 s33, v5
	s_cbranch_execz .LBB13_219
; %bb.218:
	v_add_co_u32 v5, vcc_lo, 0x5800, v25
	v_add_co_ci_u32_e64 v6, null, 0, v26, vcc_lo
	s_waitcnt lgkmcnt(0)
	flat_store_dwordx2 v[5:6], v[1:2]
.LBB13_219:
	s_or_b32 exec_lo, exec_lo, s2
	s_waitcnt lgkmcnt(0)
	v_or_b32_e32 v1, 0xc00, v0
	v_cmp_gt_u32_e64 s2, s33, v1
	s_branch .LBB13_222
.LBB13_220:
	s_mov_b32 s2, 0
                                        ; implicit-def: $vgpr3_vgpr4
	s_cbranch_execz .LBB13_222
; %bb.221:
	v_mul_i32_i24_e32 v2, 0xffffffa0, v0
	v_mul_u32_u24_e32 v1, 0x68, v0
	s_waitcnt lgkmcnt(0)
	s_waitcnt_vscnt null, 0x0
	s_barrier
	buffer_gl0_inv
	v_mad_u32_u24 v3, 0x68, v0, v2
	ds_write2_b64 v1, v[51:52], v[27:28] offset1:1
	ds_write2_b64 v1, v[29:30], v[31:32] offset0:2 offset1:3
	ds_write2_b64 v1, v[33:34], v[35:36] offset0:4 offset1:5
	;; [unrolled: 1-line block ×5, first 2 shown]
	ds_write_b64 v1, v[49:50] offset:96
	s_waitcnt lgkmcnt(0)
	s_barrier
	buffer_gl0_inv
	ds_read2st64_b64 v[5:8], v3 offset1:4
	ds_read2st64_b64 v[9:12], v3 offset0:8 offset1:12
	ds_read2st64_b64 v[13:16], v3 offset0:16 offset1:20
	;; [unrolled: 1-line block ×3, first 2 shown]
	v_add_co_u32 v1, s3, s0, v57
	v_add_co_ci_u32_e64 v2, null, s1, 0, s3
	ds_read2st64_b64 v[21:24], v3 offset0:32 offset1:36
	v_add_co_u32 v29, vcc_lo, 0x800, v1
	v_add_co_ci_u32_e64 v30, null, 0, v2, vcc_lo
	v_add_co_u32 v31, vcc_lo, 0x1000, v1
	v_add_co_ci_u32_e64 v32, null, 0, v2, vcc_lo
	ds_read2st64_b64 v[25:28], v3 offset0:40 offset1:44
	ds_read_b64 v[3:4], v3 offset:24576
	s_or_b32 s2, s2, exec_lo
	s_waitcnt lgkmcnt(6)
	flat_store_dwordx2 v[1:2], v[5:6]
	flat_store_dwordx2 v[29:30], v[7:8]
	s_waitcnt lgkmcnt(7)
	flat_store_dwordx2 v[31:32], v[9:10]
	v_add_co_u32 v5, vcc_lo, 0x1800, v1
	v_add_co_ci_u32_e64 v6, null, 0, v2, vcc_lo
	v_add_co_u32 v7, vcc_lo, 0x2000, v1
	v_add_co_ci_u32_e64 v8, null, 0, v2, vcc_lo
	;; [unrolled: 2-line block ×5, first 2 shown]
	flat_store_dwordx2 v[5:6], v[11:12]
	s_waitcnt lgkmcnt(8)
	flat_store_dwordx2 v[7:8], v[13:14]
	flat_store_dwordx2 v[9:10], v[15:16]
	s_waitcnt lgkmcnt(9)
	flat_store_dwordx2 v[29:30], v[17:18]
	flat_store_dwordx2 v[31:32], v[19:20]
	v_add_co_u32 v5, vcc_lo, 0x4000, v1
	v_add_co_ci_u32_e64 v6, null, 0, v2, vcc_lo
	v_add_co_u32 v7, vcc_lo, 0x4800, v1
	v_add_co_ci_u32_e64 v8, null, 0, v2, vcc_lo
	;; [unrolled: 2-line block ×4, first 2 shown]
	s_waitcnt lgkmcnt(10)
	flat_store_dwordx2 v[5:6], v[21:22]
	flat_store_dwordx2 v[7:8], v[23:24]
	s_waitcnt lgkmcnt(11)
	flat_store_dwordx2 v[9:10], v[25:26]
	flat_store_dwordx2 v[1:2], v[27:28]
.LBB13_222:
	s_and_saveexec_b32 s3, s2
	s_cbranch_execnz .LBB13_224
; %bb.223:
	s_endpgm
.LBB13_224:
	v_lshlrev_b32_e32 v0, 3, v0
	v_add_co_u32 v0, s0, s0, v0
	v_add_co_ci_u32_e64 v1, null, s1, 0, s0
	v_add_co_u32 v0, vcc_lo, 0x6000, v0
	v_add_co_ci_u32_e64 v1, null, 0, v1, vcc_lo
	s_waitcnt lgkmcnt(0)
	flat_store_dwordx2 v[0:1], v[3:4]
	s_endpgm
.LBB13_225:
	v_add_co_u32 v1, s0, s40, v39
	v_add_co_ci_u32_e64 v2, null, s41, 0, s0
	flat_load_dwordx2 v[1:2], v[1:2]
	s_or_b32 exec_lo, exec_lo, s36
                                        ; implicit-def: $vgpr3_vgpr4
	s_and_saveexec_b32 s0, s1
	s_cbranch_execz .LBB13_35
.LBB13_226:
	v_add_co_u32 v3, s1, s40, v27
	v_add_co_ci_u32_e64 v4, null, s41, 0, s1
	flat_load_dwordx2 v[3:4], v[3:4]
	s_or_b32 exec_lo, exec_lo, s0
                                        ; implicit-def: $vgpr5_vgpr6
	s_and_saveexec_b32 s0, s2
	s_cbranch_execz .LBB13_36
.LBB13_227:
	v_add_co_u32 v5, s1, s40, v28
	v_add_co_ci_u32_e64 v6, null, s41, 0, s1
	flat_load_dwordx2 v[5:6], v[5:6]
	s_or_b32 exec_lo, exec_lo, s0
                                        ; implicit-def: $vgpr7_vgpr8
	s_and_saveexec_b32 s0, s3
	s_cbranch_execz .LBB13_37
.LBB13_228:
	v_add_co_u32 v7, s1, s40, v29
	v_add_co_ci_u32_e64 v8, null, s41, 0, s1
	flat_load_dwordx2 v[7:8], v[7:8]
	s_or_b32 exec_lo, exec_lo, s0
                                        ; implicit-def: $vgpr9_vgpr10
	s_and_saveexec_b32 s0, s4
	s_cbranch_execz .LBB13_38
.LBB13_229:
	v_add_co_u32 v9, s1, s40, v30
	v_add_co_ci_u32_e64 v10, null, s41, 0, s1
	flat_load_dwordx2 v[9:10], v[9:10]
	s_or_b32 exec_lo, exec_lo, s0
                                        ; implicit-def: $vgpr13_vgpr14
	s_and_saveexec_b32 s0, s5
	s_cbranch_execz .LBB13_39
.LBB13_230:
	v_add_co_u32 v13, s1, s40, v31
	v_add_co_ci_u32_e64 v14, null, s41, 0, s1
	flat_load_dwordx2 v[13:14], v[13:14]
	s_or_b32 exec_lo, exec_lo, s0
                                        ; implicit-def: $vgpr15_vgpr16
	s_and_saveexec_b32 s0, s7
	s_cbranch_execz .LBB13_40
.LBB13_231:
	v_add_co_u32 v15, s1, s40, v32
	v_add_co_ci_u32_e64 v16, null, s41, 0, s1
	flat_load_dwordx2 v[15:16], v[15:16]
	s_or_b32 exec_lo, exec_lo, s0
                                        ; implicit-def: $vgpr17_vgpr18
	s_and_saveexec_b32 s0, s8
	s_cbranch_execz .LBB13_41
.LBB13_232:
	v_add_co_u32 v17, s1, s40, v33
	v_add_co_ci_u32_e64 v18, null, s41, 0, s1
	flat_load_dwordx2 v[17:18], v[17:18]
	s_or_b32 exec_lo, exec_lo, s0
                                        ; implicit-def: $vgpr19_vgpr20
	s_and_saveexec_b32 s0, s9
	s_cbranch_execz .LBB13_42
.LBB13_233:
	v_add_co_u32 v19, s1, s40, v34
	v_add_co_ci_u32_e64 v20, null, s41, 0, s1
	flat_load_dwordx2 v[19:20], v[19:20]
	s_or_b32 exec_lo, exec_lo, s0
                                        ; implicit-def: $vgpr21_vgpr22
	s_and_saveexec_b32 s0, s10
	s_cbranch_execz .LBB13_43
.LBB13_234:
	v_add_co_u32 v21, s1, s40, v35
	v_add_co_ci_u32_e64 v22, null, s41, 0, s1
	flat_load_dwordx2 v[21:22], v[21:22]
	s_or_b32 exec_lo, exec_lo, s0
                                        ; implicit-def: $vgpr23_vgpr24
	s_and_saveexec_b32 s0, s11
	s_cbranch_execz .LBB13_44
.LBB13_235:
	v_add_co_u32 v23, s1, s40, v36
	v_add_co_ci_u32_e64 v24, null, s41, 0, s1
	flat_load_dwordx2 v[23:24], v[23:24]
	s_or_b32 exec_lo, exec_lo, s0
                                        ; implicit-def: $vgpr25_vgpr26
	s_and_saveexec_b32 s0, s12
	s_cbranch_execz .LBB13_45
.LBB13_236:
	v_add_co_u32 v25, s1, s40, v37
	v_add_co_ci_u32_e64 v26, null, s41, 0, s1
	flat_load_dwordx2 v[25:26], v[25:26]
	s_or_b32 exec_lo, exec_lo, s0
                                        ; implicit-def: $vgpr27_vgpr28
	s_and_saveexec_b32 s0, s13
	s_cbranch_execnz .LBB13_46
	s_branch .LBB13_47
.LBB13_237:
                                        ; implicit-def: $sgpr36_sgpr37
	s_branch .LBB13_30
.LBB13_238:
                                        ; implicit-def: $sgpr0_sgpr1
	s_branch .LBB13_76
	.section	.rodata,"a",@progbits
	.p2align	6, 0x0
	.amdhsa_kernel _ZN7rocprim17ROCPRIM_400000_NS6detail17trampoline_kernelINS0_14default_configENS1_27scan_by_key_config_selectorIxxEEZZNS1_16scan_by_key_implILNS1_25lookback_scan_determinismE0ELb0ES3_N6thrust23THRUST_200600_302600_NS6detail15normal_iteratorINS9_10device_ptrIxEEEESE_SE_xNS9_4plusIvEENS9_8equal_toIvEExEE10hipError_tPvRmT2_T3_T4_T5_mT6_T7_P12ihipStream_tbENKUlT_T0_E_clISt17integral_constantIbLb0EESZ_EEDaSU_SV_EUlSU_E_NS1_11comp_targetILNS1_3genE8ELNS1_11target_archE1030ELNS1_3gpuE2ELNS1_3repE0EEENS1_30default_config_static_selectorELNS0_4arch9wavefront6targetE0EEEvT1_
		.amdhsa_group_segment_fixed_size 30720
		.amdhsa_private_segment_fixed_size 0
		.amdhsa_kernarg_size 136
		.amdhsa_user_sgpr_count 6
		.amdhsa_user_sgpr_private_segment_buffer 1
		.amdhsa_user_sgpr_dispatch_ptr 0
		.amdhsa_user_sgpr_queue_ptr 0
		.amdhsa_user_sgpr_kernarg_segment_ptr 1
		.amdhsa_user_sgpr_dispatch_id 0
		.amdhsa_user_sgpr_flat_scratch_init 0
		.amdhsa_user_sgpr_private_segment_size 0
		.amdhsa_wavefront_size32 1
		.amdhsa_uses_dynamic_stack 0
		.amdhsa_system_sgpr_private_segment_wavefront_offset 0
		.amdhsa_system_sgpr_workgroup_id_x 1
		.amdhsa_system_sgpr_workgroup_id_y 0
		.amdhsa_system_sgpr_workgroup_id_z 0
		.amdhsa_system_sgpr_workgroup_info 0
		.amdhsa_system_vgpr_workitem_id 0
		.amdhsa_next_free_vgpr 113
		.amdhsa_next_free_sgpr 49
		.amdhsa_reserve_vcc 1
		.amdhsa_reserve_flat_scratch 1
		.amdhsa_float_round_mode_32 0
		.amdhsa_float_round_mode_16_64 0
		.amdhsa_float_denorm_mode_32 3
		.amdhsa_float_denorm_mode_16_64 3
		.amdhsa_dx10_clamp 1
		.amdhsa_ieee_mode 1
		.amdhsa_fp16_overflow 0
		.amdhsa_workgroup_processor_mode 1
		.amdhsa_memory_ordered 1
		.amdhsa_forward_progress 1
		.amdhsa_shared_vgpr_count 0
		.amdhsa_exception_fp_ieee_invalid_op 0
		.amdhsa_exception_fp_denorm_src 0
		.amdhsa_exception_fp_ieee_div_zero 0
		.amdhsa_exception_fp_ieee_overflow 0
		.amdhsa_exception_fp_ieee_underflow 0
		.amdhsa_exception_fp_ieee_inexact 0
		.amdhsa_exception_int_div_zero 0
	.end_amdhsa_kernel
	.section	.text._ZN7rocprim17ROCPRIM_400000_NS6detail17trampoline_kernelINS0_14default_configENS1_27scan_by_key_config_selectorIxxEEZZNS1_16scan_by_key_implILNS1_25lookback_scan_determinismE0ELb0ES3_N6thrust23THRUST_200600_302600_NS6detail15normal_iteratorINS9_10device_ptrIxEEEESE_SE_xNS9_4plusIvEENS9_8equal_toIvEExEE10hipError_tPvRmT2_T3_T4_T5_mT6_T7_P12ihipStream_tbENKUlT_T0_E_clISt17integral_constantIbLb0EESZ_EEDaSU_SV_EUlSU_E_NS1_11comp_targetILNS1_3genE8ELNS1_11target_archE1030ELNS1_3gpuE2ELNS1_3repE0EEENS1_30default_config_static_selectorELNS0_4arch9wavefront6targetE0EEEvT1_,"axG",@progbits,_ZN7rocprim17ROCPRIM_400000_NS6detail17trampoline_kernelINS0_14default_configENS1_27scan_by_key_config_selectorIxxEEZZNS1_16scan_by_key_implILNS1_25lookback_scan_determinismE0ELb0ES3_N6thrust23THRUST_200600_302600_NS6detail15normal_iteratorINS9_10device_ptrIxEEEESE_SE_xNS9_4plusIvEENS9_8equal_toIvEExEE10hipError_tPvRmT2_T3_T4_T5_mT6_T7_P12ihipStream_tbENKUlT_T0_E_clISt17integral_constantIbLb0EESZ_EEDaSU_SV_EUlSU_E_NS1_11comp_targetILNS1_3genE8ELNS1_11target_archE1030ELNS1_3gpuE2ELNS1_3repE0EEENS1_30default_config_static_selectorELNS0_4arch9wavefront6targetE0EEEvT1_,comdat
.Lfunc_end13:
	.size	_ZN7rocprim17ROCPRIM_400000_NS6detail17trampoline_kernelINS0_14default_configENS1_27scan_by_key_config_selectorIxxEEZZNS1_16scan_by_key_implILNS1_25lookback_scan_determinismE0ELb0ES3_N6thrust23THRUST_200600_302600_NS6detail15normal_iteratorINS9_10device_ptrIxEEEESE_SE_xNS9_4plusIvEENS9_8equal_toIvEExEE10hipError_tPvRmT2_T3_T4_T5_mT6_T7_P12ihipStream_tbENKUlT_T0_E_clISt17integral_constantIbLb0EESZ_EEDaSU_SV_EUlSU_E_NS1_11comp_targetILNS1_3genE8ELNS1_11target_archE1030ELNS1_3gpuE2ELNS1_3repE0EEENS1_30default_config_static_selectorELNS0_4arch9wavefront6targetE0EEEvT1_, .Lfunc_end13-_ZN7rocprim17ROCPRIM_400000_NS6detail17trampoline_kernelINS0_14default_configENS1_27scan_by_key_config_selectorIxxEEZZNS1_16scan_by_key_implILNS1_25lookback_scan_determinismE0ELb0ES3_N6thrust23THRUST_200600_302600_NS6detail15normal_iteratorINS9_10device_ptrIxEEEESE_SE_xNS9_4plusIvEENS9_8equal_toIvEExEE10hipError_tPvRmT2_T3_T4_T5_mT6_T7_P12ihipStream_tbENKUlT_T0_E_clISt17integral_constantIbLb0EESZ_EEDaSU_SV_EUlSU_E_NS1_11comp_targetILNS1_3genE8ELNS1_11target_archE1030ELNS1_3gpuE2ELNS1_3repE0EEENS1_30default_config_static_selectorELNS0_4arch9wavefront6targetE0EEEvT1_
                                        ; -- End function
	.set _ZN7rocprim17ROCPRIM_400000_NS6detail17trampoline_kernelINS0_14default_configENS1_27scan_by_key_config_selectorIxxEEZZNS1_16scan_by_key_implILNS1_25lookback_scan_determinismE0ELb0ES3_N6thrust23THRUST_200600_302600_NS6detail15normal_iteratorINS9_10device_ptrIxEEEESE_SE_xNS9_4plusIvEENS9_8equal_toIvEExEE10hipError_tPvRmT2_T3_T4_T5_mT6_T7_P12ihipStream_tbENKUlT_T0_E_clISt17integral_constantIbLb0EESZ_EEDaSU_SV_EUlSU_E_NS1_11comp_targetILNS1_3genE8ELNS1_11target_archE1030ELNS1_3gpuE2ELNS1_3repE0EEENS1_30default_config_static_selectorELNS0_4arch9wavefront6targetE0EEEvT1_.num_vgpr, 106
	.set _ZN7rocprim17ROCPRIM_400000_NS6detail17trampoline_kernelINS0_14default_configENS1_27scan_by_key_config_selectorIxxEEZZNS1_16scan_by_key_implILNS1_25lookback_scan_determinismE0ELb0ES3_N6thrust23THRUST_200600_302600_NS6detail15normal_iteratorINS9_10device_ptrIxEEEESE_SE_xNS9_4plusIvEENS9_8equal_toIvEExEE10hipError_tPvRmT2_T3_T4_T5_mT6_T7_P12ihipStream_tbENKUlT_T0_E_clISt17integral_constantIbLb0EESZ_EEDaSU_SV_EUlSU_E_NS1_11comp_targetILNS1_3genE8ELNS1_11target_archE1030ELNS1_3gpuE2ELNS1_3repE0EEENS1_30default_config_static_selectorELNS0_4arch9wavefront6targetE0EEEvT1_.num_agpr, 0
	.set _ZN7rocprim17ROCPRIM_400000_NS6detail17trampoline_kernelINS0_14default_configENS1_27scan_by_key_config_selectorIxxEEZZNS1_16scan_by_key_implILNS1_25lookback_scan_determinismE0ELb0ES3_N6thrust23THRUST_200600_302600_NS6detail15normal_iteratorINS9_10device_ptrIxEEEESE_SE_xNS9_4plusIvEENS9_8equal_toIvEExEE10hipError_tPvRmT2_T3_T4_T5_mT6_T7_P12ihipStream_tbENKUlT_T0_E_clISt17integral_constantIbLb0EESZ_EEDaSU_SV_EUlSU_E_NS1_11comp_targetILNS1_3genE8ELNS1_11target_archE1030ELNS1_3gpuE2ELNS1_3repE0EEENS1_30default_config_static_selectorELNS0_4arch9wavefront6targetE0EEEvT1_.numbered_sgpr, 49
	.set _ZN7rocprim17ROCPRIM_400000_NS6detail17trampoline_kernelINS0_14default_configENS1_27scan_by_key_config_selectorIxxEEZZNS1_16scan_by_key_implILNS1_25lookback_scan_determinismE0ELb0ES3_N6thrust23THRUST_200600_302600_NS6detail15normal_iteratorINS9_10device_ptrIxEEEESE_SE_xNS9_4plusIvEENS9_8equal_toIvEExEE10hipError_tPvRmT2_T3_T4_T5_mT6_T7_P12ihipStream_tbENKUlT_T0_E_clISt17integral_constantIbLb0EESZ_EEDaSU_SV_EUlSU_E_NS1_11comp_targetILNS1_3genE8ELNS1_11target_archE1030ELNS1_3gpuE2ELNS1_3repE0EEENS1_30default_config_static_selectorELNS0_4arch9wavefront6targetE0EEEvT1_.num_named_barrier, 0
	.set _ZN7rocprim17ROCPRIM_400000_NS6detail17trampoline_kernelINS0_14default_configENS1_27scan_by_key_config_selectorIxxEEZZNS1_16scan_by_key_implILNS1_25lookback_scan_determinismE0ELb0ES3_N6thrust23THRUST_200600_302600_NS6detail15normal_iteratorINS9_10device_ptrIxEEEESE_SE_xNS9_4plusIvEENS9_8equal_toIvEExEE10hipError_tPvRmT2_T3_T4_T5_mT6_T7_P12ihipStream_tbENKUlT_T0_E_clISt17integral_constantIbLb0EESZ_EEDaSU_SV_EUlSU_E_NS1_11comp_targetILNS1_3genE8ELNS1_11target_archE1030ELNS1_3gpuE2ELNS1_3repE0EEENS1_30default_config_static_selectorELNS0_4arch9wavefront6targetE0EEEvT1_.private_seg_size, 0
	.set _ZN7rocprim17ROCPRIM_400000_NS6detail17trampoline_kernelINS0_14default_configENS1_27scan_by_key_config_selectorIxxEEZZNS1_16scan_by_key_implILNS1_25lookback_scan_determinismE0ELb0ES3_N6thrust23THRUST_200600_302600_NS6detail15normal_iteratorINS9_10device_ptrIxEEEESE_SE_xNS9_4plusIvEENS9_8equal_toIvEExEE10hipError_tPvRmT2_T3_T4_T5_mT6_T7_P12ihipStream_tbENKUlT_T0_E_clISt17integral_constantIbLb0EESZ_EEDaSU_SV_EUlSU_E_NS1_11comp_targetILNS1_3genE8ELNS1_11target_archE1030ELNS1_3gpuE2ELNS1_3repE0EEENS1_30default_config_static_selectorELNS0_4arch9wavefront6targetE0EEEvT1_.uses_vcc, 1
	.set _ZN7rocprim17ROCPRIM_400000_NS6detail17trampoline_kernelINS0_14default_configENS1_27scan_by_key_config_selectorIxxEEZZNS1_16scan_by_key_implILNS1_25lookback_scan_determinismE0ELb0ES3_N6thrust23THRUST_200600_302600_NS6detail15normal_iteratorINS9_10device_ptrIxEEEESE_SE_xNS9_4plusIvEENS9_8equal_toIvEExEE10hipError_tPvRmT2_T3_T4_T5_mT6_T7_P12ihipStream_tbENKUlT_T0_E_clISt17integral_constantIbLb0EESZ_EEDaSU_SV_EUlSU_E_NS1_11comp_targetILNS1_3genE8ELNS1_11target_archE1030ELNS1_3gpuE2ELNS1_3repE0EEENS1_30default_config_static_selectorELNS0_4arch9wavefront6targetE0EEEvT1_.uses_flat_scratch, 1
	.set _ZN7rocprim17ROCPRIM_400000_NS6detail17trampoline_kernelINS0_14default_configENS1_27scan_by_key_config_selectorIxxEEZZNS1_16scan_by_key_implILNS1_25lookback_scan_determinismE0ELb0ES3_N6thrust23THRUST_200600_302600_NS6detail15normal_iteratorINS9_10device_ptrIxEEEESE_SE_xNS9_4plusIvEENS9_8equal_toIvEExEE10hipError_tPvRmT2_T3_T4_T5_mT6_T7_P12ihipStream_tbENKUlT_T0_E_clISt17integral_constantIbLb0EESZ_EEDaSU_SV_EUlSU_E_NS1_11comp_targetILNS1_3genE8ELNS1_11target_archE1030ELNS1_3gpuE2ELNS1_3repE0EEENS1_30default_config_static_selectorELNS0_4arch9wavefront6targetE0EEEvT1_.has_dyn_sized_stack, 0
	.set _ZN7rocprim17ROCPRIM_400000_NS6detail17trampoline_kernelINS0_14default_configENS1_27scan_by_key_config_selectorIxxEEZZNS1_16scan_by_key_implILNS1_25lookback_scan_determinismE0ELb0ES3_N6thrust23THRUST_200600_302600_NS6detail15normal_iteratorINS9_10device_ptrIxEEEESE_SE_xNS9_4plusIvEENS9_8equal_toIvEExEE10hipError_tPvRmT2_T3_T4_T5_mT6_T7_P12ihipStream_tbENKUlT_T0_E_clISt17integral_constantIbLb0EESZ_EEDaSU_SV_EUlSU_E_NS1_11comp_targetILNS1_3genE8ELNS1_11target_archE1030ELNS1_3gpuE2ELNS1_3repE0EEENS1_30default_config_static_selectorELNS0_4arch9wavefront6targetE0EEEvT1_.has_recursion, 0
	.set _ZN7rocprim17ROCPRIM_400000_NS6detail17trampoline_kernelINS0_14default_configENS1_27scan_by_key_config_selectorIxxEEZZNS1_16scan_by_key_implILNS1_25lookback_scan_determinismE0ELb0ES3_N6thrust23THRUST_200600_302600_NS6detail15normal_iteratorINS9_10device_ptrIxEEEESE_SE_xNS9_4plusIvEENS9_8equal_toIvEExEE10hipError_tPvRmT2_T3_T4_T5_mT6_T7_P12ihipStream_tbENKUlT_T0_E_clISt17integral_constantIbLb0EESZ_EEDaSU_SV_EUlSU_E_NS1_11comp_targetILNS1_3genE8ELNS1_11target_archE1030ELNS1_3gpuE2ELNS1_3repE0EEENS1_30default_config_static_selectorELNS0_4arch9wavefront6targetE0EEEvT1_.has_indirect_call, 0
	.section	.AMDGPU.csdata,"",@progbits
; Kernel info:
; codeLenInByte = 15252
; TotalNumSgprs: 51
; NumVgprs: 106
; ScratchSize: 0
; MemoryBound: 0
; FloatMode: 240
; IeeeMode: 1
; LDSByteSize: 30720 bytes/workgroup (compile time only)
; SGPRBlocks: 0
; VGPRBlocks: 14
; NumSGPRsForWavesPerEU: 51
; NumVGPRsForWavesPerEU: 113
; Occupancy: 8
; WaveLimiterHint : 1
; COMPUTE_PGM_RSRC2:SCRATCH_EN: 0
; COMPUTE_PGM_RSRC2:USER_SGPR: 6
; COMPUTE_PGM_RSRC2:TRAP_HANDLER: 0
; COMPUTE_PGM_RSRC2:TGID_X_EN: 1
; COMPUTE_PGM_RSRC2:TGID_Y_EN: 0
; COMPUTE_PGM_RSRC2:TGID_Z_EN: 0
; COMPUTE_PGM_RSRC2:TIDIG_COMP_CNT: 0
	.section	.text._ZN7rocprim17ROCPRIM_400000_NS6detail30init_device_scan_by_key_kernelINS1_19lookback_scan_stateINS0_5tupleIJxbEEELb1ELb0EEEN6thrust23THRUST_200600_302600_NS6detail15normal_iteratorINS8_10device_ptrIxEEEEjNS1_16block_id_wrapperIjLb1EEEEEvT_jjPNSG_10value_typeET0_PNSt15iterator_traitsISJ_E10value_typeEmT1_T2_,"axG",@progbits,_ZN7rocprim17ROCPRIM_400000_NS6detail30init_device_scan_by_key_kernelINS1_19lookback_scan_stateINS0_5tupleIJxbEEELb1ELb0EEEN6thrust23THRUST_200600_302600_NS6detail15normal_iteratorINS8_10device_ptrIxEEEEjNS1_16block_id_wrapperIjLb1EEEEEvT_jjPNSG_10value_typeET0_PNSt15iterator_traitsISJ_E10value_typeEmT1_T2_,comdat
	.protected	_ZN7rocprim17ROCPRIM_400000_NS6detail30init_device_scan_by_key_kernelINS1_19lookback_scan_stateINS0_5tupleIJxbEEELb1ELb0EEEN6thrust23THRUST_200600_302600_NS6detail15normal_iteratorINS8_10device_ptrIxEEEEjNS1_16block_id_wrapperIjLb1EEEEEvT_jjPNSG_10value_typeET0_PNSt15iterator_traitsISJ_E10value_typeEmT1_T2_ ; -- Begin function _ZN7rocprim17ROCPRIM_400000_NS6detail30init_device_scan_by_key_kernelINS1_19lookback_scan_stateINS0_5tupleIJxbEEELb1ELb0EEEN6thrust23THRUST_200600_302600_NS6detail15normal_iteratorINS8_10device_ptrIxEEEEjNS1_16block_id_wrapperIjLb1EEEEEvT_jjPNSG_10value_typeET0_PNSt15iterator_traitsISJ_E10value_typeEmT1_T2_
	.globl	_ZN7rocprim17ROCPRIM_400000_NS6detail30init_device_scan_by_key_kernelINS1_19lookback_scan_stateINS0_5tupleIJxbEEELb1ELb0EEEN6thrust23THRUST_200600_302600_NS6detail15normal_iteratorINS8_10device_ptrIxEEEEjNS1_16block_id_wrapperIjLb1EEEEEvT_jjPNSG_10value_typeET0_PNSt15iterator_traitsISJ_E10value_typeEmT1_T2_
	.p2align	8
	.type	_ZN7rocprim17ROCPRIM_400000_NS6detail30init_device_scan_by_key_kernelINS1_19lookback_scan_stateINS0_5tupleIJxbEEELb1ELb0EEEN6thrust23THRUST_200600_302600_NS6detail15normal_iteratorINS8_10device_ptrIxEEEEjNS1_16block_id_wrapperIjLb1EEEEEvT_jjPNSG_10value_typeET0_PNSt15iterator_traitsISJ_E10value_typeEmT1_T2_,@function
_ZN7rocprim17ROCPRIM_400000_NS6detail30init_device_scan_by_key_kernelINS1_19lookback_scan_stateINS0_5tupleIJxbEEELb1ELb0EEEN6thrust23THRUST_200600_302600_NS6detail15normal_iteratorINS8_10device_ptrIxEEEEjNS1_16block_id_wrapperIjLb1EEEEEvT_jjPNSG_10value_typeET0_PNSt15iterator_traitsISJ_E10value_typeEmT1_T2_: ; @_ZN7rocprim17ROCPRIM_400000_NS6detail30init_device_scan_by_key_kernelINS1_19lookback_scan_stateINS0_5tupleIJxbEEELb1ELb0EEEN6thrust23THRUST_200600_302600_NS6detail15normal_iteratorINS8_10device_ptrIxEEEEjNS1_16block_id_wrapperIjLb1EEEEEvT_jjPNSG_10value_typeET0_PNSt15iterator_traitsISJ_E10value_typeEmT1_T2_
; %bb.0:
	s_clause 0x2
	s_load_dword s0, s[4:5], 0x5c
	s_load_dwordx8 s[8:15], s[4:5], 0x10
	s_load_dword s18, s[4:5], 0x50
	s_waitcnt lgkmcnt(0)
	s_and_b32 s19, s0, 0xffff
	s_cmp_eq_u64 s[12:13], 0
	v_mad_u64_u32 v[0:1], null, s6, s19, v[0:1]
	s_cbranch_scc1 .LBB14_9
; %bb.1:
	s_cmp_lt_u32 s11, s10
	s_mov_b32 s7, 0
	s_cselect_b32 s0, s11, 0
	s_mov_b32 s20, exec_lo
	v_cmpx_eq_u32_e64 s0, v0
	s_cbranch_execz .LBB14_8
; %bb.2:
	s_add_i32 s6, s11, 32
	s_load_dwordx4 s[0:3], s[4:5], 0x0
	v_mov_b32_e32 v1, s6
	s_add_u32 s16, s8, s6
	s_addc_u32 s17, s9, 0
	global_load_ubyte v2, v1, s[8:9] glc dlc
	v_mov_b32_e32 v1, 0
	s_waitcnt vmcnt(0)
	v_cmp_ne_u32_sdwa s11, v2, v1 src0_sel:WORD_0 src1_sel:DWORD
	v_readfirstlane_b32 s21, v2
	s_and_b32 vcc_lo, exec_lo, s11
	s_cbranch_vccnz .LBB14_7
; %bb.3:
	s_mov_b32 s11, 1
.LBB14_4:                               ; =>This Loop Header: Depth=1
                                        ;     Child Loop BB14_5 Depth 2
	s_mov_b32 s21, s11
.LBB14_5:                               ;   Parent Loop BB14_4 Depth=1
                                        ; =>  This Inner Loop Header: Depth=2
	s_add_i32 s21, s21, -1
	s_sleep 1
	s_cmp_eq_u32 s21, 0
	s_cbranch_scc0 .LBB14_5
; %bb.6:                                ;   in Loop: Header=BB14_4 Depth=1
	global_load_ubyte v2, v1, s[16:17] glc dlc
	s_cmp_lt_u32 s11, 32
	s_cselect_b32 s21, -1, 0
	s_cmp_lg_u32 s21, 0
	s_addc_u32 s11, s11, 0
	s_waitcnt vmcnt(0)
	v_cmp_ne_u32_sdwa s22, v2, v1 src0_sel:WORD_0 src1_sel:DWORD
	v_readfirstlane_b32 s21, v2
	s_and_b32 vcc_lo, exec_lo, s22
	s_cbranch_vccz .LBB14_4
.LBB14_7:
	s_and_b32 s11, 0xffff, s21
	v_mov_b32_e32 v3, 0
	s_cmp_eq_u32 s11, 1
	s_waitcnt lgkmcnt(0)
	buffer_gl1_inv
	buffer_gl0_inv
	s_cselect_b32 s3, s1, s3
	s_cselect_b32 s2, s0, s2
	s_lshl_b64 s[0:1], s[6:7], 4
	s_add_u32 s0, s2, s0
	s_addc_u32 s1, s3, s1
	s_clause 0x1
	global_load_dwordx2 v[1:2], v3, s[0:1]
	global_load_ubyte v4, v3, s[0:1] offset:8
	s_waitcnt vmcnt(1)
	global_store_dwordx2 v3, v[1:2], s[12:13]
	s_waitcnt vmcnt(0)
	global_store_byte v3, v4, s[12:13] offset:8
.LBB14_8:
	s_or_b32 exec_lo, exec_lo, s20
.LBB14_9:
	s_mov_b32 s0, exec_lo
	v_cmpx_eq_u32_e32 0, v0
	s_cbranch_execz .LBB14_11
; %bb.10:
	s_load_dwordx2 s[2:3], s[4:5], 0x48
	v_mov_b32_e32 v1, 0
	s_waitcnt lgkmcnt(0)
	global_store_dword v1, v1, s[2:3]
.LBB14_11:
	s_or_b32 exec_lo, exec_lo, s0
	s_mov_b32 s0, exec_lo
	v_cmpx_gt_u32_e64 s10, v0
	s_cbranch_execz .LBB14_13
; %bb.12:
	v_add_nc_u32_e32 v1, 32, v0
	v_mov_b32_e32 v2, 0
	global_store_byte v1, v2, s[8:9]
.LBB14_13:
	s_or_b32 exec_lo, exec_lo, s0
	v_mov_b32_e32 v1, 0
	s_mov_b32 s0, exec_lo
	v_cmpx_gt_u32_e32 32, v0
	s_cbranch_execz .LBB14_15
; %bb.14:
	v_add_co_u32 v2, s1, s8, v0
	v_add_co_ci_u32_e64 v3, null, s9, 0, s1
	v_mov_b32_e32 v4, 0xff
	global_store_byte v[2:3], v4, off
.LBB14_15:
	s_or_b32 exec_lo, exec_lo, s0
	s_load_dwordx2 s[2:3], s[4:5], 0x38
	s_mov_b32 s0, exec_lo
	s_waitcnt lgkmcnt(0)
	v_cmpx_gt_u64_e64 s[2:3], v[0:1]
	s_cbranch_execz .LBB14_18
; %bb.16:
	s_clause 0x1
	s_load_dword s8, s[4:5], 0x40
	s_load_dwordx2 s[6:7], s[4:5], 0x30
	s_mov_b32 s1, 0
	v_lshlrev_b64 v[4:5], 3, v[0:1]
	s_mul_i32 s4, s18, s19
	s_waitcnt lgkmcnt(0)
	v_mad_u64_u32 v[2:3], null, s8, v0, 0
	s_add_i32 s0, s8, -1
	s_mul_hi_u32 s9, s8, s4
	s_lshl_b64 s[10:11], s[0:1], 3
	s_mul_i32 s8, s8, s4
	s_add_u32 s0, s14, s10
	s_addc_u32 s5, s15, s11
	v_lshlrev_b64 v[2:3], 3, v[2:3]
	v_add_co_u32 v2, vcc_lo, s0, v2
	v_add_co_ci_u32_e64 v3, null, s5, v3, vcc_lo
	v_add_co_u32 v4, vcc_lo, s6, v4
	v_add_co_ci_u32_e64 v5, null, s7, v5, vcc_lo
	s_mov_b32 s5, s1
	s_lshl_b64 s[6:7], s[8:9], 3
	s_lshl_b64 s[8:9], s[4:5], 3
	.p2align	6
.LBB14_17:                              ; =>This Inner Loop Header: Depth=1
	global_load_dwordx2 v[6:7], v[2:3], off
	v_add_co_u32 v0, vcc_lo, v0, s4
	v_add_co_ci_u32_e64 v1, null, 0, v1, vcc_lo
	v_add_co_u32 v2, vcc_lo, v2, s6
	v_add_co_ci_u32_e64 v3, null, s7, v3, vcc_lo
	v_cmp_le_u64_e32 vcc_lo, s[2:3], v[0:1]
	s_or_b32 s1, vcc_lo, s1
	s_waitcnt vmcnt(0)
	global_store_dwordx2 v[4:5], v[6:7], off
	v_add_co_u32 v4, s0, v4, s8
	v_add_co_ci_u32_e64 v5, null, s9, v5, s0
	s_andn2_b32 exec_lo, exec_lo, s1
	s_cbranch_execnz .LBB14_17
.LBB14_18:
	s_endpgm
	.section	.rodata,"a",@progbits
	.p2align	6, 0x0
	.amdhsa_kernel _ZN7rocprim17ROCPRIM_400000_NS6detail30init_device_scan_by_key_kernelINS1_19lookback_scan_stateINS0_5tupleIJxbEEELb1ELb0EEEN6thrust23THRUST_200600_302600_NS6detail15normal_iteratorINS8_10device_ptrIxEEEEjNS1_16block_id_wrapperIjLb1EEEEEvT_jjPNSG_10value_typeET0_PNSt15iterator_traitsISJ_E10value_typeEmT1_T2_
		.amdhsa_group_segment_fixed_size 0
		.amdhsa_private_segment_fixed_size 0
		.amdhsa_kernarg_size 336
		.amdhsa_user_sgpr_count 6
		.amdhsa_user_sgpr_private_segment_buffer 1
		.amdhsa_user_sgpr_dispatch_ptr 0
		.amdhsa_user_sgpr_queue_ptr 0
		.amdhsa_user_sgpr_kernarg_segment_ptr 1
		.amdhsa_user_sgpr_dispatch_id 0
		.amdhsa_user_sgpr_flat_scratch_init 0
		.amdhsa_user_sgpr_private_segment_size 0
		.amdhsa_wavefront_size32 1
		.amdhsa_uses_dynamic_stack 0
		.amdhsa_system_sgpr_private_segment_wavefront_offset 0
		.amdhsa_system_sgpr_workgroup_id_x 1
		.amdhsa_system_sgpr_workgroup_id_y 0
		.amdhsa_system_sgpr_workgroup_id_z 0
		.amdhsa_system_sgpr_workgroup_info 0
		.amdhsa_system_vgpr_workitem_id 0
		.amdhsa_next_free_vgpr 8
		.amdhsa_next_free_sgpr 23
		.amdhsa_reserve_vcc 1
		.amdhsa_reserve_flat_scratch 0
		.amdhsa_float_round_mode_32 0
		.amdhsa_float_round_mode_16_64 0
		.amdhsa_float_denorm_mode_32 3
		.amdhsa_float_denorm_mode_16_64 3
		.amdhsa_dx10_clamp 1
		.amdhsa_ieee_mode 1
		.amdhsa_fp16_overflow 0
		.amdhsa_workgroup_processor_mode 1
		.amdhsa_memory_ordered 1
		.amdhsa_forward_progress 1
		.amdhsa_shared_vgpr_count 0
		.amdhsa_exception_fp_ieee_invalid_op 0
		.amdhsa_exception_fp_denorm_src 0
		.amdhsa_exception_fp_ieee_div_zero 0
		.amdhsa_exception_fp_ieee_overflow 0
		.amdhsa_exception_fp_ieee_underflow 0
		.amdhsa_exception_fp_ieee_inexact 0
		.amdhsa_exception_int_div_zero 0
	.end_amdhsa_kernel
	.section	.text._ZN7rocprim17ROCPRIM_400000_NS6detail30init_device_scan_by_key_kernelINS1_19lookback_scan_stateINS0_5tupleIJxbEEELb1ELb0EEEN6thrust23THRUST_200600_302600_NS6detail15normal_iteratorINS8_10device_ptrIxEEEEjNS1_16block_id_wrapperIjLb1EEEEEvT_jjPNSG_10value_typeET0_PNSt15iterator_traitsISJ_E10value_typeEmT1_T2_,"axG",@progbits,_ZN7rocprim17ROCPRIM_400000_NS6detail30init_device_scan_by_key_kernelINS1_19lookback_scan_stateINS0_5tupleIJxbEEELb1ELb0EEEN6thrust23THRUST_200600_302600_NS6detail15normal_iteratorINS8_10device_ptrIxEEEEjNS1_16block_id_wrapperIjLb1EEEEEvT_jjPNSG_10value_typeET0_PNSt15iterator_traitsISJ_E10value_typeEmT1_T2_,comdat
.Lfunc_end14:
	.size	_ZN7rocprim17ROCPRIM_400000_NS6detail30init_device_scan_by_key_kernelINS1_19lookback_scan_stateINS0_5tupleIJxbEEELb1ELb0EEEN6thrust23THRUST_200600_302600_NS6detail15normal_iteratorINS8_10device_ptrIxEEEEjNS1_16block_id_wrapperIjLb1EEEEEvT_jjPNSG_10value_typeET0_PNSt15iterator_traitsISJ_E10value_typeEmT1_T2_, .Lfunc_end14-_ZN7rocprim17ROCPRIM_400000_NS6detail30init_device_scan_by_key_kernelINS1_19lookback_scan_stateINS0_5tupleIJxbEEELb1ELb0EEEN6thrust23THRUST_200600_302600_NS6detail15normal_iteratorINS8_10device_ptrIxEEEEjNS1_16block_id_wrapperIjLb1EEEEEvT_jjPNSG_10value_typeET0_PNSt15iterator_traitsISJ_E10value_typeEmT1_T2_
                                        ; -- End function
	.set _ZN7rocprim17ROCPRIM_400000_NS6detail30init_device_scan_by_key_kernelINS1_19lookback_scan_stateINS0_5tupleIJxbEEELb1ELb0EEEN6thrust23THRUST_200600_302600_NS6detail15normal_iteratorINS8_10device_ptrIxEEEEjNS1_16block_id_wrapperIjLb1EEEEEvT_jjPNSG_10value_typeET0_PNSt15iterator_traitsISJ_E10value_typeEmT1_T2_.num_vgpr, 8
	.set _ZN7rocprim17ROCPRIM_400000_NS6detail30init_device_scan_by_key_kernelINS1_19lookback_scan_stateINS0_5tupleIJxbEEELb1ELb0EEEN6thrust23THRUST_200600_302600_NS6detail15normal_iteratorINS8_10device_ptrIxEEEEjNS1_16block_id_wrapperIjLb1EEEEEvT_jjPNSG_10value_typeET0_PNSt15iterator_traitsISJ_E10value_typeEmT1_T2_.num_agpr, 0
	.set _ZN7rocprim17ROCPRIM_400000_NS6detail30init_device_scan_by_key_kernelINS1_19lookback_scan_stateINS0_5tupleIJxbEEELb1ELb0EEEN6thrust23THRUST_200600_302600_NS6detail15normal_iteratorINS8_10device_ptrIxEEEEjNS1_16block_id_wrapperIjLb1EEEEEvT_jjPNSG_10value_typeET0_PNSt15iterator_traitsISJ_E10value_typeEmT1_T2_.numbered_sgpr, 23
	.set _ZN7rocprim17ROCPRIM_400000_NS6detail30init_device_scan_by_key_kernelINS1_19lookback_scan_stateINS0_5tupleIJxbEEELb1ELb0EEEN6thrust23THRUST_200600_302600_NS6detail15normal_iteratorINS8_10device_ptrIxEEEEjNS1_16block_id_wrapperIjLb1EEEEEvT_jjPNSG_10value_typeET0_PNSt15iterator_traitsISJ_E10value_typeEmT1_T2_.num_named_barrier, 0
	.set _ZN7rocprim17ROCPRIM_400000_NS6detail30init_device_scan_by_key_kernelINS1_19lookback_scan_stateINS0_5tupleIJxbEEELb1ELb0EEEN6thrust23THRUST_200600_302600_NS6detail15normal_iteratorINS8_10device_ptrIxEEEEjNS1_16block_id_wrapperIjLb1EEEEEvT_jjPNSG_10value_typeET0_PNSt15iterator_traitsISJ_E10value_typeEmT1_T2_.private_seg_size, 0
	.set _ZN7rocprim17ROCPRIM_400000_NS6detail30init_device_scan_by_key_kernelINS1_19lookback_scan_stateINS0_5tupleIJxbEEELb1ELb0EEEN6thrust23THRUST_200600_302600_NS6detail15normal_iteratorINS8_10device_ptrIxEEEEjNS1_16block_id_wrapperIjLb1EEEEEvT_jjPNSG_10value_typeET0_PNSt15iterator_traitsISJ_E10value_typeEmT1_T2_.uses_vcc, 1
	.set _ZN7rocprim17ROCPRIM_400000_NS6detail30init_device_scan_by_key_kernelINS1_19lookback_scan_stateINS0_5tupleIJxbEEELb1ELb0EEEN6thrust23THRUST_200600_302600_NS6detail15normal_iteratorINS8_10device_ptrIxEEEEjNS1_16block_id_wrapperIjLb1EEEEEvT_jjPNSG_10value_typeET0_PNSt15iterator_traitsISJ_E10value_typeEmT1_T2_.uses_flat_scratch, 0
	.set _ZN7rocprim17ROCPRIM_400000_NS6detail30init_device_scan_by_key_kernelINS1_19lookback_scan_stateINS0_5tupleIJxbEEELb1ELb0EEEN6thrust23THRUST_200600_302600_NS6detail15normal_iteratorINS8_10device_ptrIxEEEEjNS1_16block_id_wrapperIjLb1EEEEEvT_jjPNSG_10value_typeET0_PNSt15iterator_traitsISJ_E10value_typeEmT1_T2_.has_dyn_sized_stack, 0
	.set _ZN7rocprim17ROCPRIM_400000_NS6detail30init_device_scan_by_key_kernelINS1_19lookback_scan_stateINS0_5tupleIJxbEEELb1ELb0EEEN6thrust23THRUST_200600_302600_NS6detail15normal_iteratorINS8_10device_ptrIxEEEEjNS1_16block_id_wrapperIjLb1EEEEEvT_jjPNSG_10value_typeET0_PNSt15iterator_traitsISJ_E10value_typeEmT1_T2_.has_recursion, 0
	.set _ZN7rocprim17ROCPRIM_400000_NS6detail30init_device_scan_by_key_kernelINS1_19lookback_scan_stateINS0_5tupleIJxbEEELb1ELb0EEEN6thrust23THRUST_200600_302600_NS6detail15normal_iteratorINS8_10device_ptrIxEEEEjNS1_16block_id_wrapperIjLb1EEEEEvT_jjPNSG_10value_typeET0_PNSt15iterator_traitsISJ_E10value_typeEmT1_T2_.has_indirect_call, 0
	.section	.AMDGPU.csdata,"",@progbits
; Kernel info:
; codeLenInByte = 728
; TotalNumSgprs: 25
; NumVgprs: 8
; ScratchSize: 0
; MemoryBound: 0
; FloatMode: 240
; IeeeMode: 1
; LDSByteSize: 0 bytes/workgroup (compile time only)
; SGPRBlocks: 0
; VGPRBlocks: 0
; NumSGPRsForWavesPerEU: 25
; NumVGPRsForWavesPerEU: 8
; Occupancy: 16
; WaveLimiterHint : 0
; COMPUTE_PGM_RSRC2:SCRATCH_EN: 0
; COMPUTE_PGM_RSRC2:USER_SGPR: 6
; COMPUTE_PGM_RSRC2:TRAP_HANDLER: 0
; COMPUTE_PGM_RSRC2:TGID_X_EN: 1
; COMPUTE_PGM_RSRC2:TGID_Y_EN: 0
; COMPUTE_PGM_RSRC2:TGID_Z_EN: 0
; COMPUTE_PGM_RSRC2:TIDIG_COMP_CNT: 0
	.section	.text._ZN7rocprim17ROCPRIM_400000_NS6detail30init_device_scan_by_key_kernelINS1_19lookback_scan_stateINS0_5tupleIJxbEEELb1ELb0EEENS1_16block_id_wrapperIjLb1EEEEEvT_jjPNS9_10value_typeET0_,"axG",@progbits,_ZN7rocprim17ROCPRIM_400000_NS6detail30init_device_scan_by_key_kernelINS1_19lookback_scan_stateINS0_5tupleIJxbEEELb1ELb0EEENS1_16block_id_wrapperIjLb1EEEEEvT_jjPNS9_10value_typeET0_,comdat
	.protected	_ZN7rocprim17ROCPRIM_400000_NS6detail30init_device_scan_by_key_kernelINS1_19lookback_scan_stateINS0_5tupleIJxbEEELb1ELb0EEENS1_16block_id_wrapperIjLb1EEEEEvT_jjPNS9_10value_typeET0_ ; -- Begin function _ZN7rocprim17ROCPRIM_400000_NS6detail30init_device_scan_by_key_kernelINS1_19lookback_scan_stateINS0_5tupleIJxbEEELb1ELb0EEENS1_16block_id_wrapperIjLb1EEEEEvT_jjPNS9_10value_typeET0_
	.globl	_ZN7rocprim17ROCPRIM_400000_NS6detail30init_device_scan_by_key_kernelINS1_19lookback_scan_stateINS0_5tupleIJxbEEELb1ELb0EEENS1_16block_id_wrapperIjLb1EEEEEvT_jjPNS9_10value_typeET0_
	.p2align	8
	.type	_ZN7rocprim17ROCPRIM_400000_NS6detail30init_device_scan_by_key_kernelINS1_19lookback_scan_stateINS0_5tupleIJxbEEELb1ELb0EEENS1_16block_id_wrapperIjLb1EEEEEvT_jjPNS9_10value_typeET0_,@function
_ZN7rocprim17ROCPRIM_400000_NS6detail30init_device_scan_by_key_kernelINS1_19lookback_scan_stateINS0_5tupleIJxbEEELb1ELb0EEENS1_16block_id_wrapperIjLb1EEEEEvT_jjPNS9_10value_typeET0_: ; @_ZN7rocprim17ROCPRIM_400000_NS6detail30init_device_scan_by_key_kernelINS1_19lookback_scan_stateINS0_5tupleIJxbEEELb1ELb0EEENS1_16block_id_wrapperIjLb1EEEEEvT_jjPNS9_10value_typeET0_
; %bb.0:
	s_clause 0x1
	s_load_dword s0, s[4:5], 0x3c
	s_load_dwordx8 s[8:15], s[4:5], 0x10
	s_waitcnt lgkmcnt(0)
	s_and_b32 s0, s0, 0xffff
	s_cmp_eq_u64 s[12:13], 0
	v_mad_u64_u32 v[0:1], null, s6, s0, v[0:1]
	s_cbranch_scc1 .LBB15_9
; %bb.1:
	s_cmp_lt_u32 s11, s10
	s_mov_b32 s7, 0
	s_cselect_b32 s0, s11, 0
	s_mov_b32 s16, exec_lo
	v_cmpx_eq_u32_e64 s0, v0
	s_cbranch_execz .LBB15_8
; %bb.2:
	s_add_i32 s6, s11, 32
	s_load_dwordx4 s[0:3], s[4:5], 0x0
	v_mov_b32_e32 v1, s6
	s_add_u32 s4, s8, s6
	s_addc_u32 s5, s9, 0
	global_load_ubyte v2, v1, s[8:9] glc dlc
	v_mov_b32_e32 v1, 0
	s_waitcnt vmcnt(0)
	v_cmp_ne_u32_sdwa s11, v2, v1 src0_sel:WORD_0 src1_sel:DWORD
	v_readfirstlane_b32 s17, v2
	s_and_b32 vcc_lo, exec_lo, s11
	s_cbranch_vccnz .LBB15_7
; %bb.3:
	s_mov_b32 s11, 1
.LBB15_4:                               ; =>This Loop Header: Depth=1
                                        ;     Child Loop BB15_5 Depth 2
	s_mov_b32 s17, s11
.LBB15_5:                               ;   Parent Loop BB15_4 Depth=1
                                        ; =>  This Inner Loop Header: Depth=2
	s_add_i32 s17, s17, -1
	s_sleep 1
	s_cmp_eq_u32 s17, 0
	s_cbranch_scc0 .LBB15_5
; %bb.6:                                ;   in Loop: Header=BB15_4 Depth=1
	global_load_ubyte v2, v1, s[4:5] glc dlc
	s_cmp_lt_u32 s11, 32
	s_cselect_b32 s17, -1, 0
	s_cmp_lg_u32 s17, 0
	s_addc_u32 s11, s11, 0
	s_waitcnt vmcnt(0)
	v_cmp_ne_u32_sdwa s18, v2, v1 src0_sel:WORD_0 src1_sel:DWORD
	v_readfirstlane_b32 s17, v2
	s_and_b32 vcc_lo, exec_lo, s18
	s_cbranch_vccz .LBB15_4
.LBB15_7:
	s_and_b32 s4, 0xffff, s17
	v_mov_b32_e32 v3, 0
	s_cmp_eq_u32 s4, 1
	s_waitcnt lgkmcnt(0)
	buffer_gl1_inv
	buffer_gl0_inv
	s_cselect_b32 s3, s1, s3
	s_cselect_b32 s2, s0, s2
	s_lshl_b64 s[0:1], s[6:7], 4
	s_add_u32 s0, s2, s0
	s_addc_u32 s1, s3, s1
	s_clause 0x1
	global_load_dwordx2 v[1:2], v3, s[0:1]
	global_load_ubyte v4, v3, s[0:1] offset:8
	s_waitcnt vmcnt(1)
	global_store_dwordx2 v3, v[1:2], s[12:13]
	s_waitcnt vmcnt(0)
	global_store_byte v3, v4, s[12:13] offset:8
.LBB15_8:
	s_or_b32 exec_lo, exec_lo, s16
.LBB15_9:
	s_mov_b32 s0, exec_lo
	v_cmpx_eq_u32_e32 0, v0
	s_cbranch_execz .LBB15_11
; %bb.10:
	v_mov_b32_e32 v1, 0
	global_store_dword v1, v1, s[14:15]
.LBB15_11:
	s_or_b32 exec_lo, exec_lo, s0
	s_mov_b32 s0, exec_lo
	v_cmpx_gt_u32_e64 s10, v0
	s_cbranch_execz .LBB15_13
; %bb.12:
	v_add_nc_u32_e32 v1, 32, v0
	v_mov_b32_e32 v2, 0
	global_store_byte v1, v2, s[8:9]
.LBB15_13:
	s_or_b32 exec_lo, exec_lo, s0
	s_mov_b32 s0, exec_lo
	v_cmpx_gt_u32_e32 32, v0
	s_cbranch_execz .LBB15_15
; %bb.14:
	v_mov_b32_e32 v1, 0xff
	global_store_byte v0, v1, s[8:9]
.LBB15_15:
	s_endpgm
	.section	.rodata,"a",@progbits
	.p2align	6, 0x0
	.amdhsa_kernel _ZN7rocprim17ROCPRIM_400000_NS6detail30init_device_scan_by_key_kernelINS1_19lookback_scan_stateINS0_5tupleIJxbEEELb1ELb0EEENS1_16block_id_wrapperIjLb1EEEEEvT_jjPNS9_10value_typeET0_
		.amdhsa_group_segment_fixed_size 0
		.amdhsa_private_segment_fixed_size 0
		.amdhsa_kernarg_size 304
		.amdhsa_user_sgpr_count 6
		.amdhsa_user_sgpr_private_segment_buffer 1
		.amdhsa_user_sgpr_dispatch_ptr 0
		.amdhsa_user_sgpr_queue_ptr 0
		.amdhsa_user_sgpr_kernarg_segment_ptr 1
		.amdhsa_user_sgpr_dispatch_id 0
		.amdhsa_user_sgpr_flat_scratch_init 0
		.amdhsa_user_sgpr_private_segment_size 0
		.amdhsa_wavefront_size32 1
		.amdhsa_uses_dynamic_stack 0
		.amdhsa_system_sgpr_private_segment_wavefront_offset 0
		.amdhsa_system_sgpr_workgroup_id_x 1
		.amdhsa_system_sgpr_workgroup_id_y 0
		.amdhsa_system_sgpr_workgroup_id_z 0
		.amdhsa_system_sgpr_workgroup_info 0
		.amdhsa_system_vgpr_workitem_id 0
		.amdhsa_next_free_vgpr 5
		.amdhsa_next_free_sgpr 19
		.amdhsa_reserve_vcc 1
		.amdhsa_reserve_flat_scratch 0
		.amdhsa_float_round_mode_32 0
		.amdhsa_float_round_mode_16_64 0
		.amdhsa_float_denorm_mode_32 3
		.amdhsa_float_denorm_mode_16_64 3
		.amdhsa_dx10_clamp 1
		.amdhsa_ieee_mode 1
		.amdhsa_fp16_overflow 0
		.amdhsa_workgroup_processor_mode 1
		.amdhsa_memory_ordered 1
		.amdhsa_forward_progress 1
		.amdhsa_shared_vgpr_count 0
		.amdhsa_exception_fp_ieee_invalid_op 0
		.amdhsa_exception_fp_denorm_src 0
		.amdhsa_exception_fp_ieee_div_zero 0
		.amdhsa_exception_fp_ieee_overflow 0
		.amdhsa_exception_fp_ieee_underflow 0
		.amdhsa_exception_fp_ieee_inexact 0
		.amdhsa_exception_int_div_zero 0
	.end_amdhsa_kernel
	.section	.text._ZN7rocprim17ROCPRIM_400000_NS6detail30init_device_scan_by_key_kernelINS1_19lookback_scan_stateINS0_5tupleIJxbEEELb1ELb0EEENS1_16block_id_wrapperIjLb1EEEEEvT_jjPNS9_10value_typeET0_,"axG",@progbits,_ZN7rocprim17ROCPRIM_400000_NS6detail30init_device_scan_by_key_kernelINS1_19lookback_scan_stateINS0_5tupleIJxbEEELb1ELb0EEENS1_16block_id_wrapperIjLb1EEEEEvT_jjPNS9_10value_typeET0_,comdat
.Lfunc_end15:
	.size	_ZN7rocprim17ROCPRIM_400000_NS6detail30init_device_scan_by_key_kernelINS1_19lookback_scan_stateINS0_5tupleIJxbEEELb1ELb0EEENS1_16block_id_wrapperIjLb1EEEEEvT_jjPNS9_10value_typeET0_, .Lfunc_end15-_ZN7rocprim17ROCPRIM_400000_NS6detail30init_device_scan_by_key_kernelINS1_19lookback_scan_stateINS0_5tupleIJxbEEELb1ELb0EEENS1_16block_id_wrapperIjLb1EEEEEvT_jjPNS9_10value_typeET0_
                                        ; -- End function
	.set _ZN7rocprim17ROCPRIM_400000_NS6detail30init_device_scan_by_key_kernelINS1_19lookback_scan_stateINS0_5tupleIJxbEEELb1ELb0EEENS1_16block_id_wrapperIjLb1EEEEEvT_jjPNS9_10value_typeET0_.num_vgpr, 5
	.set _ZN7rocprim17ROCPRIM_400000_NS6detail30init_device_scan_by_key_kernelINS1_19lookback_scan_stateINS0_5tupleIJxbEEELb1ELb0EEENS1_16block_id_wrapperIjLb1EEEEEvT_jjPNS9_10value_typeET0_.num_agpr, 0
	.set _ZN7rocprim17ROCPRIM_400000_NS6detail30init_device_scan_by_key_kernelINS1_19lookback_scan_stateINS0_5tupleIJxbEEELb1ELb0EEENS1_16block_id_wrapperIjLb1EEEEEvT_jjPNS9_10value_typeET0_.numbered_sgpr, 19
	.set _ZN7rocprim17ROCPRIM_400000_NS6detail30init_device_scan_by_key_kernelINS1_19lookback_scan_stateINS0_5tupleIJxbEEELb1ELb0EEENS1_16block_id_wrapperIjLb1EEEEEvT_jjPNS9_10value_typeET0_.num_named_barrier, 0
	.set _ZN7rocprim17ROCPRIM_400000_NS6detail30init_device_scan_by_key_kernelINS1_19lookback_scan_stateINS0_5tupleIJxbEEELb1ELb0EEENS1_16block_id_wrapperIjLb1EEEEEvT_jjPNS9_10value_typeET0_.private_seg_size, 0
	.set _ZN7rocprim17ROCPRIM_400000_NS6detail30init_device_scan_by_key_kernelINS1_19lookback_scan_stateINS0_5tupleIJxbEEELb1ELb0EEENS1_16block_id_wrapperIjLb1EEEEEvT_jjPNS9_10value_typeET0_.uses_vcc, 1
	.set _ZN7rocprim17ROCPRIM_400000_NS6detail30init_device_scan_by_key_kernelINS1_19lookback_scan_stateINS0_5tupleIJxbEEELb1ELb0EEENS1_16block_id_wrapperIjLb1EEEEEvT_jjPNS9_10value_typeET0_.uses_flat_scratch, 0
	.set _ZN7rocprim17ROCPRIM_400000_NS6detail30init_device_scan_by_key_kernelINS1_19lookback_scan_stateINS0_5tupleIJxbEEELb1ELb0EEENS1_16block_id_wrapperIjLb1EEEEEvT_jjPNS9_10value_typeET0_.has_dyn_sized_stack, 0
	.set _ZN7rocprim17ROCPRIM_400000_NS6detail30init_device_scan_by_key_kernelINS1_19lookback_scan_stateINS0_5tupleIJxbEEELb1ELb0EEENS1_16block_id_wrapperIjLb1EEEEEvT_jjPNS9_10value_typeET0_.has_recursion, 0
	.set _ZN7rocprim17ROCPRIM_400000_NS6detail30init_device_scan_by_key_kernelINS1_19lookback_scan_stateINS0_5tupleIJxbEEELb1ELb0EEENS1_16block_id_wrapperIjLb1EEEEEvT_jjPNS9_10value_typeET0_.has_indirect_call, 0
	.section	.AMDGPU.csdata,"",@progbits
; Kernel info:
; codeLenInByte = 408
; TotalNumSgprs: 21
; NumVgprs: 5
; ScratchSize: 0
; MemoryBound: 0
; FloatMode: 240
; IeeeMode: 1
; LDSByteSize: 0 bytes/workgroup (compile time only)
; SGPRBlocks: 0
; VGPRBlocks: 0
; NumSGPRsForWavesPerEU: 21
; NumVGPRsForWavesPerEU: 5
; Occupancy: 16
; WaveLimiterHint : 0
; COMPUTE_PGM_RSRC2:SCRATCH_EN: 0
; COMPUTE_PGM_RSRC2:USER_SGPR: 6
; COMPUTE_PGM_RSRC2:TRAP_HANDLER: 0
; COMPUTE_PGM_RSRC2:TGID_X_EN: 1
; COMPUTE_PGM_RSRC2:TGID_Y_EN: 0
; COMPUTE_PGM_RSRC2:TGID_Z_EN: 0
; COMPUTE_PGM_RSRC2:TIDIG_COMP_CNT: 0
	.section	.text._ZN7rocprim17ROCPRIM_400000_NS6detail17trampoline_kernelINS0_14default_configENS1_27scan_by_key_config_selectorIxxEEZZNS1_16scan_by_key_implILNS1_25lookback_scan_determinismE0ELb0ES3_N6thrust23THRUST_200600_302600_NS6detail15normal_iteratorINS9_10device_ptrIxEEEESE_SE_xNS9_4plusIvEENS9_8equal_toIvEExEE10hipError_tPvRmT2_T3_T4_T5_mT6_T7_P12ihipStream_tbENKUlT_T0_E_clISt17integral_constantIbLb1EESZ_EEDaSU_SV_EUlSU_E_NS1_11comp_targetILNS1_3genE0ELNS1_11target_archE4294967295ELNS1_3gpuE0ELNS1_3repE0EEENS1_30default_config_static_selectorELNS0_4arch9wavefront6targetE0EEEvT1_,"axG",@progbits,_ZN7rocprim17ROCPRIM_400000_NS6detail17trampoline_kernelINS0_14default_configENS1_27scan_by_key_config_selectorIxxEEZZNS1_16scan_by_key_implILNS1_25lookback_scan_determinismE0ELb0ES3_N6thrust23THRUST_200600_302600_NS6detail15normal_iteratorINS9_10device_ptrIxEEEESE_SE_xNS9_4plusIvEENS9_8equal_toIvEExEE10hipError_tPvRmT2_T3_T4_T5_mT6_T7_P12ihipStream_tbENKUlT_T0_E_clISt17integral_constantIbLb1EESZ_EEDaSU_SV_EUlSU_E_NS1_11comp_targetILNS1_3genE0ELNS1_11target_archE4294967295ELNS1_3gpuE0ELNS1_3repE0EEENS1_30default_config_static_selectorELNS0_4arch9wavefront6targetE0EEEvT1_,comdat
	.protected	_ZN7rocprim17ROCPRIM_400000_NS6detail17trampoline_kernelINS0_14default_configENS1_27scan_by_key_config_selectorIxxEEZZNS1_16scan_by_key_implILNS1_25lookback_scan_determinismE0ELb0ES3_N6thrust23THRUST_200600_302600_NS6detail15normal_iteratorINS9_10device_ptrIxEEEESE_SE_xNS9_4plusIvEENS9_8equal_toIvEExEE10hipError_tPvRmT2_T3_T4_T5_mT6_T7_P12ihipStream_tbENKUlT_T0_E_clISt17integral_constantIbLb1EESZ_EEDaSU_SV_EUlSU_E_NS1_11comp_targetILNS1_3genE0ELNS1_11target_archE4294967295ELNS1_3gpuE0ELNS1_3repE0EEENS1_30default_config_static_selectorELNS0_4arch9wavefront6targetE0EEEvT1_ ; -- Begin function _ZN7rocprim17ROCPRIM_400000_NS6detail17trampoline_kernelINS0_14default_configENS1_27scan_by_key_config_selectorIxxEEZZNS1_16scan_by_key_implILNS1_25lookback_scan_determinismE0ELb0ES3_N6thrust23THRUST_200600_302600_NS6detail15normal_iteratorINS9_10device_ptrIxEEEESE_SE_xNS9_4plusIvEENS9_8equal_toIvEExEE10hipError_tPvRmT2_T3_T4_T5_mT6_T7_P12ihipStream_tbENKUlT_T0_E_clISt17integral_constantIbLb1EESZ_EEDaSU_SV_EUlSU_E_NS1_11comp_targetILNS1_3genE0ELNS1_11target_archE4294967295ELNS1_3gpuE0ELNS1_3repE0EEENS1_30default_config_static_selectorELNS0_4arch9wavefront6targetE0EEEvT1_
	.globl	_ZN7rocprim17ROCPRIM_400000_NS6detail17trampoline_kernelINS0_14default_configENS1_27scan_by_key_config_selectorIxxEEZZNS1_16scan_by_key_implILNS1_25lookback_scan_determinismE0ELb0ES3_N6thrust23THRUST_200600_302600_NS6detail15normal_iteratorINS9_10device_ptrIxEEEESE_SE_xNS9_4plusIvEENS9_8equal_toIvEExEE10hipError_tPvRmT2_T3_T4_T5_mT6_T7_P12ihipStream_tbENKUlT_T0_E_clISt17integral_constantIbLb1EESZ_EEDaSU_SV_EUlSU_E_NS1_11comp_targetILNS1_3genE0ELNS1_11target_archE4294967295ELNS1_3gpuE0ELNS1_3repE0EEENS1_30default_config_static_selectorELNS0_4arch9wavefront6targetE0EEEvT1_
	.p2align	8
	.type	_ZN7rocprim17ROCPRIM_400000_NS6detail17trampoline_kernelINS0_14default_configENS1_27scan_by_key_config_selectorIxxEEZZNS1_16scan_by_key_implILNS1_25lookback_scan_determinismE0ELb0ES3_N6thrust23THRUST_200600_302600_NS6detail15normal_iteratorINS9_10device_ptrIxEEEESE_SE_xNS9_4plusIvEENS9_8equal_toIvEExEE10hipError_tPvRmT2_T3_T4_T5_mT6_T7_P12ihipStream_tbENKUlT_T0_E_clISt17integral_constantIbLb1EESZ_EEDaSU_SV_EUlSU_E_NS1_11comp_targetILNS1_3genE0ELNS1_11target_archE4294967295ELNS1_3gpuE0ELNS1_3repE0EEENS1_30default_config_static_selectorELNS0_4arch9wavefront6targetE0EEEvT1_,@function
_ZN7rocprim17ROCPRIM_400000_NS6detail17trampoline_kernelINS0_14default_configENS1_27scan_by_key_config_selectorIxxEEZZNS1_16scan_by_key_implILNS1_25lookback_scan_determinismE0ELb0ES3_N6thrust23THRUST_200600_302600_NS6detail15normal_iteratorINS9_10device_ptrIxEEEESE_SE_xNS9_4plusIvEENS9_8equal_toIvEExEE10hipError_tPvRmT2_T3_T4_T5_mT6_T7_P12ihipStream_tbENKUlT_T0_E_clISt17integral_constantIbLb1EESZ_EEDaSU_SV_EUlSU_E_NS1_11comp_targetILNS1_3genE0ELNS1_11target_archE4294967295ELNS1_3gpuE0ELNS1_3repE0EEENS1_30default_config_static_selectorELNS0_4arch9wavefront6targetE0EEEvT1_: ; @_ZN7rocprim17ROCPRIM_400000_NS6detail17trampoline_kernelINS0_14default_configENS1_27scan_by_key_config_selectorIxxEEZZNS1_16scan_by_key_implILNS1_25lookback_scan_determinismE0ELb0ES3_N6thrust23THRUST_200600_302600_NS6detail15normal_iteratorINS9_10device_ptrIxEEEESE_SE_xNS9_4plusIvEENS9_8equal_toIvEExEE10hipError_tPvRmT2_T3_T4_T5_mT6_T7_P12ihipStream_tbENKUlT_T0_E_clISt17integral_constantIbLb1EESZ_EEDaSU_SV_EUlSU_E_NS1_11comp_targetILNS1_3genE0ELNS1_11target_archE4294967295ELNS1_3gpuE0ELNS1_3repE0EEENS1_30default_config_static_selectorELNS0_4arch9wavefront6targetE0EEEvT1_
; %bb.0:
	.section	.rodata,"a",@progbits
	.p2align	6, 0x0
	.amdhsa_kernel _ZN7rocprim17ROCPRIM_400000_NS6detail17trampoline_kernelINS0_14default_configENS1_27scan_by_key_config_selectorIxxEEZZNS1_16scan_by_key_implILNS1_25lookback_scan_determinismE0ELb0ES3_N6thrust23THRUST_200600_302600_NS6detail15normal_iteratorINS9_10device_ptrIxEEEESE_SE_xNS9_4plusIvEENS9_8equal_toIvEExEE10hipError_tPvRmT2_T3_T4_T5_mT6_T7_P12ihipStream_tbENKUlT_T0_E_clISt17integral_constantIbLb1EESZ_EEDaSU_SV_EUlSU_E_NS1_11comp_targetILNS1_3genE0ELNS1_11target_archE4294967295ELNS1_3gpuE0ELNS1_3repE0EEENS1_30default_config_static_selectorELNS0_4arch9wavefront6targetE0EEEvT1_
		.amdhsa_group_segment_fixed_size 0
		.amdhsa_private_segment_fixed_size 0
		.amdhsa_kernarg_size 136
		.amdhsa_user_sgpr_count 6
		.amdhsa_user_sgpr_private_segment_buffer 1
		.amdhsa_user_sgpr_dispatch_ptr 0
		.amdhsa_user_sgpr_queue_ptr 0
		.amdhsa_user_sgpr_kernarg_segment_ptr 1
		.amdhsa_user_sgpr_dispatch_id 0
		.amdhsa_user_sgpr_flat_scratch_init 0
		.amdhsa_user_sgpr_private_segment_size 0
		.amdhsa_wavefront_size32 1
		.amdhsa_uses_dynamic_stack 0
		.amdhsa_system_sgpr_private_segment_wavefront_offset 0
		.amdhsa_system_sgpr_workgroup_id_x 1
		.amdhsa_system_sgpr_workgroup_id_y 0
		.amdhsa_system_sgpr_workgroup_id_z 0
		.amdhsa_system_sgpr_workgroup_info 0
		.amdhsa_system_vgpr_workitem_id 0
		.amdhsa_next_free_vgpr 1
		.amdhsa_next_free_sgpr 1
		.amdhsa_reserve_vcc 0
		.amdhsa_reserve_flat_scratch 0
		.amdhsa_float_round_mode_32 0
		.amdhsa_float_round_mode_16_64 0
		.amdhsa_float_denorm_mode_32 3
		.amdhsa_float_denorm_mode_16_64 3
		.amdhsa_dx10_clamp 1
		.amdhsa_ieee_mode 1
		.amdhsa_fp16_overflow 0
		.amdhsa_workgroup_processor_mode 1
		.amdhsa_memory_ordered 1
		.amdhsa_forward_progress 1
		.amdhsa_shared_vgpr_count 0
		.amdhsa_exception_fp_ieee_invalid_op 0
		.amdhsa_exception_fp_denorm_src 0
		.amdhsa_exception_fp_ieee_div_zero 0
		.amdhsa_exception_fp_ieee_overflow 0
		.amdhsa_exception_fp_ieee_underflow 0
		.amdhsa_exception_fp_ieee_inexact 0
		.amdhsa_exception_int_div_zero 0
	.end_amdhsa_kernel
	.section	.text._ZN7rocprim17ROCPRIM_400000_NS6detail17trampoline_kernelINS0_14default_configENS1_27scan_by_key_config_selectorIxxEEZZNS1_16scan_by_key_implILNS1_25lookback_scan_determinismE0ELb0ES3_N6thrust23THRUST_200600_302600_NS6detail15normal_iteratorINS9_10device_ptrIxEEEESE_SE_xNS9_4plusIvEENS9_8equal_toIvEExEE10hipError_tPvRmT2_T3_T4_T5_mT6_T7_P12ihipStream_tbENKUlT_T0_E_clISt17integral_constantIbLb1EESZ_EEDaSU_SV_EUlSU_E_NS1_11comp_targetILNS1_3genE0ELNS1_11target_archE4294967295ELNS1_3gpuE0ELNS1_3repE0EEENS1_30default_config_static_selectorELNS0_4arch9wavefront6targetE0EEEvT1_,"axG",@progbits,_ZN7rocprim17ROCPRIM_400000_NS6detail17trampoline_kernelINS0_14default_configENS1_27scan_by_key_config_selectorIxxEEZZNS1_16scan_by_key_implILNS1_25lookback_scan_determinismE0ELb0ES3_N6thrust23THRUST_200600_302600_NS6detail15normal_iteratorINS9_10device_ptrIxEEEESE_SE_xNS9_4plusIvEENS9_8equal_toIvEExEE10hipError_tPvRmT2_T3_T4_T5_mT6_T7_P12ihipStream_tbENKUlT_T0_E_clISt17integral_constantIbLb1EESZ_EEDaSU_SV_EUlSU_E_NS1_11comp_targetILNS1_3genE0ELNS1_11target_archE4294967295ELNS1_3gpuE0ELNS1_3repE0EEENS1_30default_config_static_selectorELNS0_4arch9wavefront6targetE0EEEvT1_,comdat
.Lfunc_end16:
	.size	_ZN7rocprim17ROCPRIM_400000_NS6detail17trampoline_kernelINS0_14default_configENS1_27scan_by_key_config_selectorIxxEEZZNS1_16scan_by_key_implILNS1_25lookback_scan_determinismE0ELb0ES3_N6thrust23THRUST_200600_302600_NS6detail15normal_iteratorINS9_10device_ptrIxEEEESE_SE_xNS9_4plusIvEENS9_8equal_toIvEExEE10hipError_tPvRmT2_T3_T4_T5_mT6_T7_P12ihipStream_tbENKUlT_T0_E_clISt17integral_constantIbLb1EESZ_EEDaSU_SV_EUlSU_E_NS1_11comp_targetILNS1_3genE0ELNS1_11target_archE4294967295ELNS1_3gpuE0ELNS1_3repE0EEENS1_30default_config_static_selectorELNS0_4arch9wavefront6targetE0EEEvT1_, .Lfunc_end16-_ZN7rocprim17ROCPRIM_400000_NS6detail17trampoline_kernelINS0_14default_configENS1_27scan_by_key_config_selectorIxxEEZZNS1_16scan_by_key_implILNS1_25lookback_scan_determinismE0ELb0ES3_N6thrust23THRUST_200600_302600_NS6detail15normal_iteratorINS9_10device_ptrIxEEEESE_SE_xNS9_4plusIvEENS9_8equal_toIvEExEE10hipError_tPvRmT2_T3_T4_T5_mT6_T7_P12ihipStream_tbENKUlT_T0_E_clISt17integral_constantIbLb1EESZ_EEDaSU_SV_EUlSU_E_NS1_11comp_targetILNS1_3genE0ELNS1_11target_archE4294967295ELNS1_3gpuE0ELNS1_3repE0EEENS1_30default_config_static_selectorELNS0_4arch9wavefront6targetE0EEEvT1_
                                        ; -- End function
	.set _ZN7rocprim17ROCPRIM_400000_NS6detail17trampoline_kernelINS0_14default_configENS1_27scan_by_key_config_selectorIxxEEZZNS1_16scan_by_key_implILNS1_25lookback_scan_determinismE0ELb0ES3_N6thrust23THRUST_200600_302600_NS6detail15normal_iteratorINS9_10device_ptrIxEEEESE_SE_xNS9_4plusIvEENS9_8equal_toIvEExEE10hipError_tPvRmT2_T3_T4_T5_mT6_T7_P12ihipStream_tbENKUlT_T0_E_clISt17integral_constantIbLb1EESZ_EEDaSU_SV_EUlSU_E_NS1_11comp_targetILNS1_3genE0ELNS1_11target_archE4294967295ELNS1_3gpuE0ELNS1_3repE0EEENS1_30default_config_static_selectorELNS0_4arch9wavefront6targetE0EEEvT1_.num_vgpr, 0
	.set _ZN7rocprim17ROCPRIM_400000_NS6detail17trampoline_kernelINS0_14default_configENS1_27scan_by_key_config_selectorIxxEEZZNS1_16scan_by_key_implILNS1_25lookback_scan_determinismE0ELb0ES3_N6thrust23THRUST_200600_302600_NS6detail15normal_iteratorINS9_10device_ptrIxEEEESE_SE_xNS9_4plusIvEENS9_8equal_toIvEExEE10hipError_tPvRmT2_T3_T4_T5_mT6_T7_P12ihipStream_tbENKUlT_T0_E_clISt17integral_constantIbLb1EESZ_EEDaSU_SV_EUlSU_E_NS1_11comp_targetILNS1_3genE0ELNS1_11target_archE4294967295ELNS1_3gpuE0ELNS1_3repE0EEENS1_30default_config_static_selectorELNS0_4arch9wavefront6targetE0EEEvT1_.num_agpr, 0
	.set _ZN7rocprim17ROCPRIM_400000_NS6detail17trampoline_kernelINS0_14default_configENS1_27scan_by_key_config_selectorIxxEEZZNS1_16scan_by_key_implILNS1_25lookback_scan_determinismE0ELb0ES3_N6thrust23THRUST_200600_302600_NS6detail15normal_iteratorINS9_10device_ptrIxEEEESE_SE_xNS9_4plusIvEENS9_8equal_toIvEExEE10hipError_tPvRmT2_T3_T4_T5_mT6_T7_P12ihipStream_tbENKUlT_T0_E_clISt17integral_constantIbLb1EESZ_EEDaSU_SV_EUlSU_E_NS1_11comp_targetILNS1_3genE0ELNS1_11target_archE4294967295ELNS1_3gpuE0ELNS1_3repE0EEENS1_30default_config_static_selectorELNS0_4arch9wavefront6targetE0EEEvT1_.numbered_sgpr, 0
	.set _ZN7rocprim17ROCPRIM_400000_NS6detail17trampoline_kernelINS0_14default_configENS1_27scan_by_key_config_selectorIxxEEZZNS1_16scan_by_key_implILNS1_25lookback_scan_determinismE0ELb0ES3_N6thrust23THRUST_200600_302600_NS6detail15normal_iteratorINS9_10device_ptrIxEEEESE_SE_xNS9_4plusIvEENS9_8equal_toIvEExEE10hipError_tPvRmT2_T3_T4_T5_mT6_T7_P12ihipStream_tbENKUlT_T0_E_clISt17integral_constantIbLb1EESZ_EEDaSU_SV_EUlSU_E_NS1_11comp_targetILNS1_3genE0ELNS1_11target_archE4294967295ELNS1_3gpuE0ELNS1_3repE0EEENS1_30default_config_static_selectorELNS0_4arch9wavefront6targetE0EEEvT1_.num_named_barrier, 0
	.set _ZN7rocprim17ROCPRIM_400000_NS6detail17trampoline_kernelINS0_14default_configENS1_27scan_by_key_config_selectorIxxEEZZNS1_16scan_by_key_implILNS1_25lookback_scan_determinismE0ELb0ES3_N6thrust23THRUST_200600_302600_NS6detail15normal_iteratorINS9_10device_ptrIxEEEESE_SE_xNS9_4plusIvEENS9_8equal_toIvEExEE10hipError_tPvRmT2_T3_T4_T5_mT6_T7_P12ihipStream_tbENKUlT_T0_E_clISt17integral_constantIbLb1EESZ_EEDaSU_SV_EUlSU_E_NS1_11comp_targetILNS1_3genE0ELNS1_11target_archE4294967295ELNS1_3gpuE0ELNS1_3repE0EEENS1_30default_config_static_selectorELNS0_4arch9wavefront6targetE0EEEvT1_.private_seg_size, 0
	.set _ZN7rocprim17ROCPRIM_400000_NS6detail17trampoline_kernelINS0_14default_configENS1_27scan_by_key_config_selectorIxxEEZZNS1_16scan_by_key_implILNS1_25lookback_scan_determinismE0ELb0ES3_N6thrust23THRUST_200600_302600_NS6detail15normal_iteratorINS9_10device_ptrIxEEEESE_SE_xNS9_4plusIvEENS9_8equal_toIvEExEE10hipError_tPvRmT2_T3_T4_T5_mT6_T7_P12ihipStream_tbENKUlT_T0_E_clISt17integral_constantIbLb1EESZ_EEDaSU_SV_EUlSU_E_NS1_11comp_targetILNS1_3genE0ELNS1_11target_archE4294967295ELNS1_3gpuE0ELNS1_3repE0EEENS1_30default_config_static_selectorELNS0_4arch9wavefront6targetE0EEEvT1_.uses_vcc, 0
	.set _ZN7rocprim17ROCPRIM_400000_NS6detail17trampoline_kernelINS0_14default_configENS1_27scan_by_key_config_selectorIxxEEZZNS1_16scan_by_key_implILNS1_25lookback_scan_determinismE0ELb0ES3_N6thrust23THRUST_200600_302600_NS6detail15normal_iteratorINS9_10device_ptrIxEEEESE_SE_xNS9_4plusIvEENS9_8equal_toIvEExEE10hipError_tPvRmT2_T3_T4_T5_mT6_T7_P12ihipStream_tbENKUlT_T0_E_clISt17integral_constantIbLb1EESZ_EEDaSU_SV_EUlSU_E_NS1_11comp_targetILNS1_3genE0ELNS1_11target_archE4294967295ELNS1_3gpuE0ELNS1_3repE0EEENS1_30default_config_static_selectorELNS0_4arch9wavefront6targetE0EEEvT1_.uses_flat_scratch, 0
	.set _ZN7rocprim17ROCPRIM_400000_NS6detail17trampoline_kernelINS0_14default_configENS1_27scan_by_key_config_selectorIxxEEZZNS1_16scan_by_key_implILNS1_25lookback_scan_determinismE0ELb0ES3_N6thrust23THRUST_200600_302600_NS6detail15normal_iteratorINS9_10device_ptrIxEEEESE_SE_xNS9_4plusIvEENS9_8equal_toIvEExEE10hipError_tPvRmT2_T3_T4_T5_mT6_T7_P12ihipStream_tbENKUlT_T0_E_clISt17integral_constantIbLb1EESZ_EEDaSU_SV_EUlSU_E_NS1_11comp_targetILNS1_3genE0ELNS1_11target_archE4294967295ELNS1_3gpuE0ELNS1_3repE0EEENS1_30default_config_static_selectorELNS0_4arch9wavefront6targetE0EEEvT1_.has_dyn_sized_stack, 0
	.set _ZN7rocprim17ROCPRIM_400000_NS6detail17trampoline_kernelINS0_14default_configENS1_27scan_by_key_config_selectorIxxEEZZNS1_16scan_by_key_implILNS1_25lookback_scan_determinismE0ELb0ES3_N6thrust23THRUST_200600_302600_NS6detail15normal_iteratorINS9_10device_ptrIxEEEESE_SE_xNS9_4plusIvEENS9_8equal_toIvEExEE10hipError_tPvRmT2_T3_T4_T5_mT6_T7_P12ihipStream_tbENKUlT_T0_E_clISt17integral_constantIbLb1EESZ_EEDaSU_SV_EUlSU_E_NS1_11comp_targetILNS1_3genE0ELNS1_11target_archE4294967295ELNS1_3gpuE0ELNS1_3repE0EEENS1_30default_config_static_selectorELNS0_4arch9wavefront6targetE0EEEvT1_.has_recursion, 0
	.set _ZN7rocprim17ROCPRIM_400000_NS6detail17trampoline_kernelINS0_14default_configENS1_27scan_by_key_config_selectorIxxEEZZNS1_16scan_by_key_implILNS1_25lookback_scan_determinismE0ELb0ES3_N6thrust23THRUST_200600_302600_NS6detail15normal_iteratorINS9_10device_ptrIxEEEESE_SE_xNS9_4plusIvEENS9_8equal_toIvEExEE10hipError_tPvRmT2_T3_T4_T5_mT6_T7_P12ihipStream_tbENKUlT_T0_E_clISt17integral_constantIbLb1EESZ_EEDaSU_SV_EUlSU_E_NS1_11comp_targetILNS1_3genE0ELNS1_11target_archE4294967295ELNS1_3gpuE0ELNS1_3repE0EEENS1_30default_config_static_selectorELNS0_4arch9wavefront6targetE0EEEvT1_.has_indirect_call, 0
	.section	.AMDGPU.csdata,"",@progbits
; Kernel info:
; codeLenInByte = 0
; TotalNumSgprs: 0
; NumVgprs: 0
; ScratchSize: 0
; MemoryBound: 0
; FloatMode: 240
; IeeeMode: 1
; LDSByteSize: 0 bytes/workgroup (compile time only)
; SGPRBlocks: 0
; VGPRBlocks: 0
; NumSGPRsForWavesPerEU: 1
; NumVGPRsForWavesPerEU: 1
; Occupancy: 16
; WaveLimiterHint : 0
; COMPUTE_PGM_RSRC2:SCRATCH_EN: 0
; COMPUTE_PGM_RSRC2:USER_SGPR: 6
; COMPUTE_PGM_RSRC2:TRAP_HANDLER: 0
; COMPUTE_PGM_RSRC2:TGID_X_EN: 1
; COMPUTE_PGM_RSRC2:TGID_Y_EN: 0
; COMPUTE_PGM_RSRC2:TGID_Z_EN: 0
; COMPUTE_PGM_RSRC2:TIDIG_COMP_CNT: 0
	.section	.text._ZN7rocprim17ROCPRIM_400000_NS6detail17trampoline_kernelINS0_14default_configENS1_27scan_by_key_config_selectorIxxEEZZNS1_16scan_by_key_implILNS1_25lookback_scan_determinismE0ELb0ES3_N6thrust23THRUST_200600_302600_NS6detail15normal_iteratorINS9_10device_ptrIxEEEESE_SE_xNS9_4plusIvEENS9_8equal_toIvEExEE10hipError_tPvRmT2_T3_T4_T5_mT6_T7_P12ihipStream_tbENKUlT_T0_E_clISt17integral_constantIbLb1EESZ_EEDaSU_SV_EUlSU_E_NS1_11comp_targetILNS1_3genE10ELNS1_11target_archE1201ELNS1_3gpuE5ELNS1_3repE0EEENS1_30default_config_static_selectorELNS0_4arch9wavefront6targetE0EEEvT1_,"axG",@progbits,_ZN7rocprim17ROCPRIM_400000_NS6detail17trampoline_kernelINS0_14default_configENS1_27scan_by_key_config_selectorIxxEEZZNS1_16scan_by_key_implILNS1_25lookback_scan_determinismE0ELb0ES3_N6thrust23THRUST_200600_302600_NS6detail15normal_iteratorINS9_10device_ptrIxEEEESE_SE_xNS9_4plusIvEENS9_8equal_toIvEExEE10hipError_tPvRmT2_T3_T4_T5_mT6_T7_P12ihipStream_tbENKUlT_T0_E_clISt17integral_constantIbLb1EESZ_EEDaSU_SV_EUlSU_E_NS1_11comp_targetILNS1_3genE10ELNS1_11target_archE1201ELNS1_3gpuE5ELNS1_3repE0EEENS1_30default_config_static_selectorELNS0_4arch9wavefront6targetE0EEEvT1_,comdat
	.protected	_ZN7rocprim17ROCPRIM_400000_NS6detail17trampoline_kernelINS0_14default_configENS1_27scan_by_key_config_selectorIxxEEZZNS1_16scan_by_key_implILNS1_25lookback_scan_determinismE0ELb0ES3_N6thrust23THRUST_200600_302600_NS6detail15normal_iteratorINS9_10device_ptrIxEEEESE_SE_xNS9_4plusIvEENS9_8equal_toIvEExEE10hipError_tPvRmT2_T3_T4_T5_mT6_T7_P12ihipStream_tbENKUlT_T0_E_clISt17integral_constantIbLb1EESZ_EEDaSU_SV_EUlSU_E_NS1_11comp_targetILNS1_3genE10ELNS1_11target_archE1201ELNS1_3gpuE5ELNS1_3repE0EEENS1_30default_config_static_selectorELNS0_4arch9wavefront6targetE0EEEvT1_ ; -- Begin function _ZN7rocprim17ROCPRIM_400000_NS6detail17trampoline_kernelINS0_14default_configENS1_27scan_by_key_config_selectorIxxEEZZNS1_16scan_by_key_implILNS1_25lookback_scan_determinismE0ELb0ES3_N6thrust23THRUST_200600_302600_NS6detail15normal_iteratorINS9_10device_ptrIxEEEESE_SE_xNS9_4plusIvEENS9_8equal_toIvEExEE10hipError_tPvRmT2_T3_T4_T5_mT6_T7_P12ihipStream_tbENKUlT_T0_E_clISt17integral_constantIbLb1EESZ_EEDaSU_SV_EUlSU_E_NS1_11comp_targetILNS1_3genE10ELNS1_11target_archE1201ELNS1_3gpuE5ELNS1_3repE0EEENS1_30default_config_static_selectorELNS0_4arch9wavefront6targetE0EEEvT1_
	.globl	_ZN7rocprim17ROCPRIM_400000_NS6detail17trampoline_kernelINS0_14default_configENS1_27scan_by_key_config_selectorIxxEEZZNS1_16scan_by_key_implILNS1_25lookback_scan_determinismE0ELb0ES3_N6thrust23THRUST_200600_302600_NS6detail15normal_iteratorINS9_10device_ptrIxEEEESE_SE_xNS9_4plusIvEENS9_8equal_toIvEExEE10hipError_tPvRmT2_T3_T4_T5_mT6_T7_P12ihipStream_tbENKUlT_T0_E_clISt17integral_constantIbLb1EESZ_EEDaSU_SV_EUlSU_E_NS1_11comp_targetILNS1_3genE10ELNS1_11target_archE1201ELNS1_3gpuE5ELNS1_3repE0EEENS1_30default_config_static_selectorELNS0_4arch9wavefront6targetE0EEEvT1_
	.p2align	8
	.type	_ZN7rocprim17ROCPRIM_400000_NS6detail17trampoline_kernelINS0_14default_configENS1_27scan_by_key_config_selectorIxxEEZZNS1_16scan_by_key_implILNS1_25lookback_scan_determinismE0ELb0ES3_N6thrust23THRUST_200600_302600_NS6detail15normal_iteratorINS9_10device_ptrIxEEEESE_SE_xNS9_4plusIvEENS9_8equal_toIvEExEE10hipError_tPvRmT2_T3_T4_T5_mT6_T7_P12ihipStream_tbENKUlT_T0_E_clISt17integral_constantIbLb1EESZ_EEDaSU_SV_EUlSU_E_NS1_11comp_targetILNS1_3genE10ELNS1_11target_archE1201ELNS1_3gpuE5ELNS1_3repE0EEENS1_30default_config_static_selectorELNS0_4arch9wavefront6targetE0EEEvT1_,@function
_ZN7rocprim17ROCPRIM_400000_NS6detail17trampoline_kernelINS0_14default_configENS1_27scan_by_key_config_selectorIxxEEZZNS1_16scan_by_key_implILNS1_25lookback_scan_determinismE0ELb0ES3_N6thrust23THRUST_200600_302600_NS6detail15normal_iteratorINS9_10device_ptrIxEEEESE_SE_xNS9_4plusIvEENS9_8equal_toIvEExEE10hipError_tPvRmT2_T3_T4_T5_mT6_T7_P12ihipStream_tbENKUlT_T0_E_clISt17integral_constantIbLb1EESZ_EEDaSU_SV_EUlSU_E_NS1_11comp_targetILNS1_3genE10ELNS1_11target_archE1201ELNS1_3gpuE5ELNS1_3repE0EEENS1_30default_config_static_selectorELNS0_4arch9wavefront6targetE0EEEvT1_: ; @_ZN7rocprim17ROCPRIM_400000_NS6detail17trampoline_kernelINS0_14default_configENS1_27scan_by_key_config_selectorIxxEEZZNS1_16scan_by_key_implILNS1_25lookback_scan_determinismE0ELb0ES3_N6thrust23THRUST_200600_302600_NS6detail15normal_iteratorINS9_10device_ptrIxEEEESE_SE_xNS9_4plusIvEENS9_8equal_toIvEExEE10hipError_tPvRmT2_T3_T4_T5_mT6_T7_P12ihipStream_tbENKUlT_T0_E_clISt17integral_constantIbLb1EESZ_EEDaSU_SV_EUlSU_E_NS1_11comp_targetILNS1_3genE10ELNS1_11target_archE1201ELNS1_3gpuE5ELNS1_3repE0EEENS1_30default_config_static_selectorELNS0_4arch9wavefront6targetE0EEEvT1_
; %bb.0:
	.section	.rodata,"a",@progbits
	.p2align	6, 0x0
	.amdhsa_kernel _ZN7rocprim17ROCPRIM_400000_NS6detail17trampoline_kernelINS0_14default_configENS1_27scan_by_key_config_selectorIxxEEZZNS1_16scan_by_key_implILNS1_25lookback_scan_determinismE0ELb0ES3_N6thrust23THRUST_200600_302600_NS6detail15normal_iteratorINS9_10device_ptrIxEEEESE_SE_xNS9_4plusIvEENS9_8equal_toIvEExEE10hipError_tPvRmT2_T3_T4_T5_mT6_T7_P12ihipStream_tbENKUlT_T0_E_clISt17integral_constantIbLb1EESZ_EEDaSU_SV_EUlSU_E_NS1_11comp_targetILNS1_3genE10ELNS1_11target_archE1201ELNS1_3gpuE5ELNS1_3repE0EEENS1_30default_config_static_selectorELNS0_4arch9wavefront6targetE0EEEvT1_
		.amdhsa_group_segment_fixed_size 0
		.amdhsa_private_segment_fixed_size 0
		.amdhsa_kernarg_size 136
		.amdhsa_user_sgpr_count 6
		.amdhsa_user_sgpr_private_segment_buffer 1
		.amdhsa_user_sgpr_dispatch_ptr 0
		.amdhsa_user_sgpr_queue_ptr 0
		.amdhsa_user_sgpr_kernarg_segment_ptr 1
		.amdhsa_user_sgpr_dispatch_id 0
		.amdhsa_user_sgpr_flat_scratch_init 0
		.amdhsa_user_sgpr_private_segment_size 0
		.amdhsa_wavefront_size32 1
		.amdhsa_uses_dynamic_stack 0
		.amdhsa_system_sgpr_private_segment_wavefront_offset 0
		.amdhsa_system_sgpr_workgroup_id_x 1
		.amdhsa_system_sgpr_workgroup_id_y 0
		.amdhsa_system_sgpr_workgroup_id_z 0
		.amdhsa_system_sgpr_workgroup_info 0
		.amdhsa_system_vgpr_workitem_id 0
		.amdhsa_next_free_vgpr 1
		.amdhsa_next_free_sgpr 1
		.amdhsa_reserve_vcc 0
		.amdhsa_reserve_flat_scratch 0
		.amdhsa_float_round_mode_32 0
		.amdhsa_float_round_mode_16_64 0
		.amdhsa_float_denorm_mode_32 3
		.amdhsa_float_denorm_mode_16_64 3
		.amdhsa_dx10_clamp 1
		.amdhsa_ieee_mode 1
		.amdhsa_fp16_overflow 0
		.amdhsa_workgroup_processor_mode 1
		.amdhsa_memory_ordered 1
		.amdhsa_forward_progress 1
		.amdhsa_shared_vgpr_count 0
		.amdhsa_exception_fp_ieee_invalid_op 0
		.amdhsa_exception_fp_denorm_src 0
		.amdhsa_exception_fp_ieee_div_zero 0
		.amdhsa_exception_fp_ieee_overflow 0
		.amdhsa_exception_fp_ieee_underflow 0
		.amdhsa_exception_fp_ieee_inexact 0
		.amdhsa_exception_int_div_zero 0
	.end_amdhsa_kernel
	.section	.text._ZN7rocprim17ROCPRIM_400000_NS6detail17trampoline_kernelINS0_14default_configENS1_27scan_by_key_config_selectorIxxEEZZNS1_16scan_by_key_implILNS1_25lookback_scan_determinismE0ELb0ES3_N6thrust23THRUST_200600_302600_NS6detail15normal_iteratorINS9_10device_ptrIxEEEESE_SE_xNS9_4plusIvEENS9_8equal_toIvEExEE10hipError_tPvRmT2_T3_T4_T5_mT6_T7_P12ihipStream_tbENKUlT_T0_E_clISt17integral_constantIbLb1EESZ_EEDaSU_SV_EUlSU_E_NS1_11comp_targetILNS1_3genE10ELNS1_11target_archE1201ELNS1_3gpuE5ELNS1_3repE0EEENS1_30default_config_static_selectorELNS0_4arch9wavefront6targetE0EEEvT1_,"axG",@progbits,_ZN7rocprim17ROCPRIM_400000_NS6detail17trampoline_kernelINS0_14default_configENS1_27scan_by_key_config_selectorIxxEEZZNS1_16scan_by_key_implILNS1_25lookback_scan_determinismE0ELb0ES3_N6thrust23THRUST_200600_302600_NS6detail15normal_iteratorINS9_10device_ptrIxEEEESE_SE_xNS9_4plusIvEENS9_8equal_toIvEExEE10hipError_tPvRmT2_T3_T4_T5_mT6_T7_P12ihipStream_tbENKUlT_T0_E_clISt17integral_constantIbLb1EESZ_EEDaSU_SV_EUlSU_E_NS1_11comp_targetILNS1_3genE10ELNS1_11target_archE1201ELNS1_3gpuE5ELNS1_3repE0EEENS1_30default_config_static_selectorELNS0_4arch9wavefront6targetE0EEEvT1_,comdat
.Lfunc_end17:
	.size	_ZN7rocprim17ROCPRIM_400000_NS6detail17trampoline_kernelINS0_14default_configENS1_27scan_by_key_config_selectorIxxEEZZNS1_16scan_by_key_implILNS1_25lookback_scan_determinismE0ELb0ES3_N6thrust23THRUST_200600_302600_NS6detail15normal_iteratorINS9_10device_ptrIxEEEESE_SE_xNS9_4plusIvEENS9_8equal_toIvEExEE10hipError_tPvRmT2_T3_T4_T5_mT6_T7_P12ihipStream_tbENKUlT_T0_E_clISt17integral_constantIbLb1EESZ_EEDaSU_SV_EUlSU_E_NS1_11comp_targetILNS1_3genE10ELNS1_11target_archE1201ELNS1_3gpuE5ELNS1_3repE0EEENS1_30default_config_static_selectorELNS0_4arch9wavefront6targetE0EEEvT1_, .Lfunc_end17-_ZN7rocprim17ROCPRIM_400000_NS6detail17trampoline_kernelINS0_14default_configENS1_27scan_by_key_config_selectorIxxEEZZNS1_16scan_by_key_implILNS1_25lookback_scan_determinismE0ELb0ES3_N6thrust23THRUST_200600_302600_NS6detail15normal_iteratorINS9_10device_ptrIxEEEESE_SE_xNS9_4plusIvEENS9_8equal_toIvEExEE10hipError_tPvRmT2_T3_T4_T5_mT6_T7_P12ihipStream_tbENKUlT_T0_E_clISt17integral_constantIbLb1EESZ_EEDaSU_SV_EUlSU_E_NS1_11comp_targetILNS1_3genE10ELNS1_11target_archE1201ELNS1_3gpuE5ELNS1_3repE0EEENS1_30default_config_static_selectorELNS0_4arch9wavefront6targetE0EEEvT1_
                                        ; -- End function
	.set _ZN7rocprim17ROCPRIM_400000_NS6detail17trampoline_kernelINS0_14default_configENS1_27scan_by_key_config_selectorIxxEEZZNS1_16scan_by_key_implILNS1_25lookback_scan_determinismE0ELb0ES3_N6thrust23THRUST_200600_302600_NS6detail15normal_iteratorINS9_10device_ptrIxEEEESE_SE_xNS9_4plusIvEENS9_8equal_toIvEExEE10hipError_tPvRmT2_T3_T4_T5_mT6_T7_P12ihipStream_tbENKUlT_T0_E_clISt17integral_constantIbLb1EESZ_EEDaSU_SV_EUlSU_E_NS1_11comp_targetILNS1_3genE10ELNS1_11target_archE1201ELNS1_3gpuE5ELNS1_3repE0EEENS1_30default_config_static_selectorELNS0_4arch9wavefront6targetE0EEEvT1_.num_vgpr, 0
	.set _ZN7rocprim17ROCPRIM_400000_NS6detail17trampoline_kernelINS0_14default_configENS1_27scan_by_key_config_selectorIxxEEZZNS1_16scan_by_key_implILNS1_25lookback_scan_determinismE0ELb0ES3_N6thrust23THRUST_200600_302600_NS6detail15normal_iteratorINS9_10device_ptrIxEEEESE_SE_xNS9_4plusIvEENS9_8equal_toIvEExEE10hipError_tPvRmT2_T3_T4_T5_mT6_T7_P12ihipStream_tbENKUlT_T0_E_clISt17integral_constantIbLb1EESZ_EEDaSU_SV_EUlSU_E_NS1_11comp_targetILNS1_3genE10ELNS1_11target_archE1201ELNS1_3gpuE5ELNS1_3repE0EEENS1_30default_config_static_selectorELNS0_4arch9wavefront6targetE0EEEvT1_.num_agpr, 0
	.set _ZN7rocprim17ROCPRIM_400000_NS6detail17trampoline_kernelINS0_14default_configENS1_27scan_by_key_config_selectorIxxEEZZNS1_16scan_by_key_implILNS1_25lookback_scan_determinismE0ELb0ES3_N6thrust23THRUST_200600_302600_NS6detail15normal_iteratorINS9_10device_ptrIxEEEESE_SE_xNS9_4plusIvEENS9_8equal_toIvEExEE10hipError_tPvRmT2_T3_T4_T5_mT6_T7_P12ihipStream_tbENKUlT_T0_E_clISt17integral_constantIbLb1EESZ_EEDaSU_SV_EUlSU_E_NS1_11comp_targetILNS1_3genE10ELNS1_11target_archE1201ELNS1_3gpuE5ELNS1_3repE0EEENS1_30default_config_static_selectorELNS0_4arch9wavefront6targetE0EEEvT1_.numbered_sgpr, 0
	.set _ZN7rocprim17ROCPRIM_400000_NS6detail17trampoline_kernelINS0_14default_configENS1_27scan_by_key_config_selectorIxxEEZZNS1_16scan_by_key_implILNS1_25lookback_scan_determinismE0ELb0ES3_N6thrust23THRUST_200600_302600_NS6detail15normal_iteratorINS9_10device_ptrIxEEEESE_SE_xNS9_4plusIvEENS9_8equal_toIvEExEE10hipError_tPvRmT2_T3_T4_T5_mT6_T7_P12ihipStream_tbENKUlT_T0_E_clISt17integral_constantIbLb1EESZ_EEDaSU_SV_EUlSU_E_NS1_11comp_targetILNS1_3genE10ELNS1_11target_archE1201ELNS1_3gpuE5ELNS1_3repE0EEENS1_30default_config_static_selectorELNS0_4arch9wavefront6targetE0EEEvT1_.num_named_barrier, 0
	.set _ZN7rocprim17ROCPRIM_400000_NS6detail17trampoline_kernelINS0_14default_configENS1_27scan_by_key_config_selectorIxxEEZZNS1_16scan_by_key_implILNS1_25lookback_scan_determinismE0ELb0ES3_N6thrust23THRUST_200600_302600_NS6detail15normal_iteratorINS9_10device_ptrIxEEEESE_SE_xNS9_4plusIvEENS9_8equal_toIvEExEE10hipError_tPvRmT2_T3_T4_T5_mT6_T7_P12ihipStream_tbENKUlT_T0_E_clISt17integral_constantIbLb1EESZ_EEDaSU_SV_EUlSU_E_NS1_11comp_targetILNS1_3genE10ELNS1_11target_archE1201ELNS1_3gpuE5ELNS1_3repE0EEENS1_30default_config_static_selectorELNS0_4arch9wavefront6targetE0EEEvT1_.private_seg_size, 0
	.set _ZN7rocprim17ROCPRIM_400000_NS6detail17trampoline_kernelINS0_14default_configENS1_27scan_by_key_config_selectorIxxEEZZNS1_16scan_by_key_implILNS1_25lookback_scan_determinismE0ELb0ES3_N6thrust23THRUST_200600_302600_NS6detail15normal_iteratorINS9_10device_ptrIxEEEESE_SE_xNS9_4plusIvEENS9_8equal_toIvEExEE10hipError_tPvRmT2_T3_T4_T5_mT6_T7_P12ihipStream_tbENKUlT_T0_E_clISt17integral_constantIbLb1EESZ_EEDaSU_SV_EUlSU_E_NS1_11comp_targetILNS1_3genE10ELNS1_11target_archE1201ELNS1_3gpuE5ELNS1_3repE0EEENS1_30default_config_static_selectorELNS0_4arch9wavefront6targetE0EEEvT1_.uses_vcc, 0
	.set _ZN7rocprim17ROCPRIM_400000_NS6detail17trampoline_kernelINS0_14default_configENS1_27scan_by_key_config_selectorIxxEEZZNS1_16scan_by_key_implILNS1_25lookback_scan_determinismE0ELb0ES3_N6thrust23THRUST_200600_302600_NS6detail15normal_iteratorINS9_10device_ptrIxEEEESE_SE_xNS9_4plusIvEENS9_8equal_toIvEExEE10hipError_tPvRmT2_T3_T4_T5_mT6_T7_P12ihipStream_tbENKUlT_T0_E_clISt17integral_constantIbLb1EESZ_EEDaSU_SV_EUlSU_E_NS1_11comp_targetILNS1_3genE10ELNS1_11target_archE1201ELNS1_3gpuE5ELNS1_3repE0EEENS1_30default_config_static_selectorELNS0_4arch9wavefront6targetE0EEEvT1_.uses_flat_scratch, 0
	.set _ZN7rocprim17ROCPRIM_400000_NS6detail17trampoline_kernelINS0_14default_configENS1_27scan_by_key_config_selectorIxxEEZZNS1_16scan_by_key_implILNS1_25lookback_scan_determinismE0ELb0ES3_N6thrust23THRUST_200600_302600_NS6detail15normal_iteratorINS9_10device_ptrIxEEEESE_SE_xNS9_4plusIvEENS9_8equal_toIvEExEE10hipError_tPvRmT2_T3_T4_T5_mT6_T7_P12ihipStream_tbENKUlT_T0_E_clISt17integral_constantIbLb1EESZ_EEDaSU_SV_EUlSU_E_NS1_11comp_targetILNS1_3genE10ELNS1_11target_archE1201ELNS1_3gpuE5ELNS1_3repE0EEENS1_30default_config_static_selectorELNS0_4arch9wavefront6targetE0EEEvT1_.has_dyn_sized_stack, 0
	.set _ZN7rocprim17ROCPRIM_400000_NS6detail17trampoline_kernelINS0_14default_configENS1_27scan_by_key_config_selectorIxxEEZZNS1_16scan_by_key_implILNS1_25lookback_scan_determinismE0ELb0ES3_N6thrust23THRUST_200600_302600_NS6detail15normal_iteratorINS9_10device_ptrIxEEEESE_SE_xNS9_4plusIvEENS9_8equal_toIvEExEE10hipError_tPvRmT2_T3_T4_T5_mT6_T7_P12ihipStream_tbENKUlT_T0_E_clISt17integral_constantIbLb1EESZ_EEDaSU_SV_EUlSU_E_NS1_11comp_targetILNS1_3genE10ELNS1_11target_archE1201ELNS1_3gpuE5ELNS1_3repE0EEENS1_30default_config_static_selectorELNS0_4arch9wavefront6targetE0EEEvT1_.has_recursion, 0
	.set _ZN7rocprim17ROCPRIM_400000_NS6detail17trampoline_kernelINS0_14default_configENS1_27scan_by_key_config_selectorIxxEEZZNS1_16scan_by_key_implILNS1_25lookback_scan_determinismE0ELb0ES3_N6thrust23THRUST_200600_302600_NS6detail15normal_iteratorINS9_10device_ptrIxEEEESE_SE_xNS9_4plusIvEENS9_8equal_toIvEExEE10hipError_tPvRmT2_T3_T4_T5_mT6_T7_P12ihipStream_tbENKUlT_T0_E_clISt17integral_constantIbLb1EESZ_EEDaSU_SV_EUlSU_E_NS1_11comp_targetILNS1_3genE10ELNS1_11target_archE1201ELNS1_3gpuE5ELNS1_3repE0EEENS1_30default_config_static_selectorELNS0_4arch9wavefront6targetE0EEEvT1_.has_indirect_call, 0
	.section	.AMDGPU.csdata,"",@progbits
; Kernel info:
; codeLenInByte = 0
; TotalNumSgprs: 0
; NumVgprs: 0
; ScratchSize: 0
; MemoryBound: 0
; FloatMode: 240
; IeeeMode: 1
; LDSByteSize: 0 bytes/workgroup (compile time only)
; SGPRBlocks: 0
; VGPRBlocks: 0
; NumSGPRsForWavesPerEU: 1
; NumVGPRsForWavesPerEU: 1
; Occupancy: 16
; WaveLimiterHint : 0
; COMPUTE_PGM_RSRC2:SCRATCH_EN: 0
; COMPUTE_PGM_RSRC2:USER_SGPR: 6
; COMPUTE_PGM_RSRC2:TRAP_HANDLER: 0
; COMPUTE_PGM_RSRC2:TGID_X_EN: 1
; COMPUTE_PGM_RSRC2:TGID_Y_EN: 0
; COMPUTE_PGM_RSRC2:TGID_Z_EN: 0
; COMPUTE_PGM_RSRC2:TIDIG_COMP_CNT: 0
	.section	.text._ZN7rocprim17ROCPRIM_400000_NS6detail17trampoline_kernelINS0_14default_configENS1_27scan_by_key_config_selectorIxxEEZZNS1_16scan_by_key_implILNS1_25lookback_scan_determinismE0ELb0ES3_N6thrust23THRUST_200600_302600_NS6detail15normal_iteratorINS9_10device_ptrIxEEEESE_SE_xNS9_4plusIvEENS9_8equal_toIvEExEE10hipError_tPvRmT2_T3_T4_T5_mT6_T7_P12ihipStream_tbENKUlT_T0_E_clISt17integral_constantIbLb1EESZ_EEDaSU_SV_EUlSU_E_NS1_11comp_targetILNS1_3genE5ELNS1_11target_archE942ELNS1_3gpuE9ELNS1_3repE0EEENS1_30default_config_static_selectorELNS0_4arch9wavefront6targetE0EEEvT1_,"axG",@progbits,_ZN7rocprim17ROCPRIM_400000_NS6detail17trampoline_kernelINS0_14default_configENS1_27scan_by_key_config_selectorIxxEEZZNS1_16scan_by_key_implILNS1_25lookback_scan_determinismE0ELb0ES3_N6thrust23THRUST_200600_302600_NS6detail15normal_iteratorINS9_10device_ptrIxEEEESE_SE_xNS9_4plusIvEENS9_8equal_toIvEExEE10hipError_tPvRmT2_T3_T4_T5_mT6_T7_P12ihipStream_tbENKUlT_T0_E_clISt17integral_constantIbLb1EESZ_EEDaSU_SV_EUlSU_E_NS1_11comp_targetILNS1_3genE5ELNS1_11target_archE942ELNS1_3gpuE9ELNS1_3repE0EEENS1_30default_config_static_selectorELNS0_4arch9wavefront6targetE0EEEvT1_,comdat
	.protected	_ZN7rocprim17ROCPRIM_400000_NS6detail17trampoline_kernelINS0_14default_configENS1_27scan_by_key_config_selectorIxxEEZZNS1_16scan_by_key_implILNS1_25lookback_scan_determinismE0ELb0ES3_N6thrust23THRUST_200600_302600_NS6detail15normal_iteratorINS9_10device_ptrIxEEEESE_SE_xNS9_4plusIvEENS9_8equal_toIvEExEE10hipError_tPvRmT2_T3_T4_T5_mT6_T7_P12ihipStream_tbENKUlT_T0_E_clISt17integral_constantIbLb1EESZ_EEDaSU_SV_EUlSU_E_NS1_11comp_targetILNS1_3genE5ELNS1_11target_archE942ELNS1_3gpuE9ELNS1_3repE0EEENS1_30default_config_static_selectorELNS0_4arch9wavefront6targetE0EEEvT1_ ; -- Begin function _ZN7rocprim17ROCPRIM_400000_NS6detail17trampoline_kernelINS0_14default_configENS1_27scan_by_key_config_selectorIxxEEZZNS1_16scan_by_key_implILNS1_25lookback_scan_determinismE0ELb0ES3_N6thrust23THRUST_200600_302600_NS6detail15normal_iteratorINS9_10device_ptrIxEEEESE_SE_xNS9_4plusIvEENS9_8equal_toIvEExEE10hipError_tPvRmT2_T3_T4_T5_mT6_T7_P12ihipStream_tbENKUlT_T0_E_clISt17integral_constantIbLb1EESZ_EEDaSU_SV_EUlSU_E_NS1_11comp_targetILNS1_3genE5ELNS1_11target_archE942ELNS1_3gpuE9ELNS1_3repE0EEENS1_30default_config_static_selectorELNS0_4arch9wavefront6targetE0EEEvT1_
	.globl	_ZN7rocprim17ROCPRIM_400000_NS6detail17trampoline_kernelINS0_14default_configENS1_27scan_by_key_config_selectorIxxEEZZNS1_16scan_by_key_implILNS1_25lookback_scan_determinismE0ELb0ES3_N6thrust23THRUST_200600_302600_NS6detail15normal_iteratorINS9_10device_ptrIxEEEESE_SE_xNS9_4plusIvEENS9_8equal_toIvEExEE10hipError_tPvRmT2_T3_T4_T5_mT6_T7_P12ihipStream_tbENKUlT_T0_E_clISt17integral_constantIbLb1EESZ_EEDaSU_SV_EUlSU_E_NS1_11comp_targetILNS1_3genE5ELNS1_11target_archE942ELNS1_3gpuE9ELNS1_3repE0EEENS1_30default_config_static_selectorELNS0_4arch9wavefront6targetE0EEEvT1_
	.p2align	8
	.type	_ZN7rocprim17ROCPRIM_400000_NS6detail17trampoline_kernelINS0_14default_configENS1_27scan_by_key_config_selectorIxxEEZZNS1_16scan_by_key_implILNS1_25lookback_scan_determinismE0ELb0ES3_N6thrust23THRUST_200600_302600_NS6detail15normal_iteratorINS9_10device_ptrIxEEEESE_SE_xNS9_4plusIvEENS9_8equal_toIvEExEE10hipError_tPvRmT2_T3_T4_T5_mT6_T7_P12ihipStream_tbENKUlT_T0_E_clISt17integral_constantIbLb1EESZ_EEDaSU_SV_EUlSU_E_NS1_11comp_targetILNS1_3genE5ELNS1_11target_archE942ELNS1_3gpuE9ELNS1_3repE0EEENS1_30default_config_static_selectorELNS0_4arch9wavefront6targetE0EEEvT1_,@function
_ZN7rocprim17ROCPRIM_400000_NS6detail17trampoline_kernelINS0_14default_configENS1_27scan_by_key_config_selectorIxxEEZZNS1_16scan_by_key_implILNS1_25lookback_scan_determinismE0ELb0ES3_N6thrust23THRUST_200600_302600_NS6detail15normal_iteratorINS9_10device_ptrIxEEEESE_SE_xNS9_4plusIvEENS9_8equal_toIvEExEE10hipError_tPvRmT2_T3_T4_T5_mT6_T7_P12ihipStream_tbENKUlT_T0_E_clISt17integral_constantIbLb1EESZ_EEDaSU_SV_EUlSU_E_NS1_11comp_targetILNS1_3genE5ELNS1_11target_archE942ELNS1_3gpuE9ELNS1_3repE0EEENS1_30default_config_static_selectorELNS0_4arch9wavefront6targetE0EEEvT1_: ; @_ZN7rocprim17ROCPRIM_400000_NS6detail17trampoline_kernelINS0_14default_configENS1_27scan_by_key_config_selectorIxxEEZZNS1_16scan_by_key_implILNS1_25lookback_scan_determinismE0ELb0ES3_N6thrust23THRUST_200600_302600_NS6detail15normal_iteratorINS9_10device_ptrIxEEEESE_SE_xNS9_4plusIvEENS9_8equal_toIvEExEE10hipError_tPvRmT2_T3_T4_T5_mT6_T7_P12ihipStream_tbENKUlT_T0_E_clISt17integral_constantIbLb1EESZ_EEDaSU_SV_EUlSU_E_NS1_11comp_targetILNS1_3genE5ELNS1_11target_archE942ELNS1_3gpuE9ELNS1_3repE0EEENS1_30default_config_static_selectorELNS0_4arch9wavefront6targetE0EEEvT1_
; %bb.0:
	.section	.rodata,"a",@progbits
	.p2align	6, 0x0
	.amdhsa_kernel _ZN7rocprim17ROCPRIM_400000_NS6detail17trampoline_kernelINS0_14default_configENS1_27scan_by_key_config_selectorIxxEEZZNS1_16scan_by_key_implILNS1_25lookback_scan_determinismE0ELb0ES3_N6thrust23THRUST_200600_302600_NS6detail15normal_iteratorINS9_10device_ptrIxEEEESE_SE_xNS9_4plusIvEENS9_8equal_toIvEExEE10hipError_tPvRmT2_T3_T4_T5_mT6_T7_P12ihipStream_tbENKUlT_T0_E_clISt17integral_constantIbLb1EESZ_EEDaSU_SV_EUlSU_E_NS1_11comp_targetILNS1_3genE5ELNS1_11target_archE942ELNS1_3gpuE9ELNS1_3repE0EEENS1_30default_config_static_selectorELNS0_4arch9wavefront6targetE0EEEvT1_
		.amdhsa_group_segment_fixed_size 0
		.amdhsa_private_segment_fixed_size 0
		.amdhsa_kernarg_size 136
		.amdhsa_user_sgpr_count 6
		.amdhsa_user_sgpr_private_segment_buffer 1
		.amdhsa_user_sgpr_dispatch_ptr 0
		.amdhsa_user_sgpr_queue_ptr 0
		.amdhsa_user_sgpr_kernarg_segment_ptr 1
		.amdhsa_user_sgpr_dispatch_id 0
		.amdhsa_user_sgpr_flat_scratch_init 0
		.amdhsa_user_sgpr_private_segment_size 0
		.amdhsa_wavefront_size32 1
		.amdhsa_uses_dynamic_stack 0
		.amdhsa_system_sgpr_private_segment_wavefront_offset 0
		.amdhsa_system_sgpr_workgroup_id_x 1
		.amdhsa_system_sgpr_workgroup_id_y 0
		.amdhsa_system_sgpr_workgroup_id_z 0
		.amdhsa_system_sgpr_workgroup_info 0
		.amdhsa_system_vgpr_workitem_id 0
		.amdhsa_next_free_vgpr 1
		.amdhsa_next_free_sgpr 1
		.amdhsa_reserve_vcc 0
		.amdhsa_reserve_flat_scratch 0
		.amdhsa_float_round_mode_32 0
		.amdhsa_float_round_mode_16_64 0
		.amdhsa_float_denorm_mode_32 3
		.amdhsa_float_denorm_mode_16_64 3
		.amdhsa_dx10_clamp 1
		.amdhsa_ieee_mode 1
		.amdhsa_fp16_overflow 0
		.amdhsa_workgroup_processor_mode 1
		.amdhsa_memory_ordered 1
		.amdhsa_forward_progress 1
		.amdhsa_shared_vgpr_count 0
		.amdhsa_exception_fp_ieee_invalid_op 0
		.amdhsa_exception_fp_denorm_src 0
		.amdhsa_exception_fp_ieee_div_zero 0
		.amdhsa_exception_fp_ieee_overflow 0
		.amdhsa_exception_fp_ieee_underflow 0
		.amdhsa_exception_fp_ieee_inexact 0
		.amdhsa_exception_int_div_zero 0
	.end_amdhsa_kernel
	.section	.text._ZN7rocprim17ROCPRIM_400000_NS6detail17trampoline_kernelINS0_14default_configENS1_27scan_by_key_config_selectorIxxEEZZNS1_16scan_by_key_implILNS1_25lookback_scan_determinismE0ELb0ES3_N6thrust23THRUST_200600_302600_NS6detail15normal_iteratorINS9_10device_ptrIxEEEESE_SE_xNS9_4plusIvEENS9_8equal_toIvEExEE10hipError_tPvRmT2_T3_T4_T5_mT6_T7_P12ihipStream_tbENKUlT_T0_E_clISt17integral_constantIbLb1EESZ_EEDaSU_SV_EUlSU_E_NS1_11comp_targetILNS1_3genE5ELNS1_11target_archE942ELNS1_3gpuE9ELNS1_3repE0EEENS1_30default_config_static_selectorELNS0_4arch9wavefront6targetE0EEEvT1_,"axG",@progbits,_ZN7rocprim17ROCPRIM_400000_NS6detail17trampoline_kernelINS0_14default_configENS1_27scan_by_key_config_selectorIxxEEZZNS1_16scan_by_key_implILNS1_25lookback_scan_determinismE0ELb0ES3_N6thrust23THRUST_200600_302600_NS6detail15normal_iteratorINS9_10device_ptrIxEEEESE_SE_xNS9_4plusIvEENS9_8equal_toIvEExEE10hipError_tPvRmT2_T3_T4_T5_mT6_T7_P12ihipStream_tbENKUlT_T0_E_clISt17integral_constantIbLb1EESZ_EEDaSU_SV_EUlSU_E_NS1_11comp_targetILNS1_3genE5ELNS1_11target_archE942ELNS1_3gpuE9ELNS1_3repE0EEENS1_30default_config_static_selectorELNS0_4arch9wavefront6targetE0EEEvT1_,comdat
.Lfunc_end18:
	.size	_ZN7rocprim17ROCPRIM_400000_NS6detail17trampoline_kernelINS0_14default_configENS1_27scan_by_key_config_selectorIxxEEZZNS1_16scan_by_key_implILNS1_25lookback_scan_determinismE0ELb0ES3_N6thrust23THRUST_200600_302600_NS6detail15normal_iteratorINS9_10device_ptrIxEEEESE_SE_xNS9_4plusIvEENS9_8equal_toIvEExEE10hipError_tPvRmT2_T3_T4_T5_mT6_T7_P12ihipStream_tbENKUlT_T0_E_clISt17integral_constantIbLb1EESZ_EEDaSU_SV_EUlSU_E_NS1_11comp_targetILNS1_3genE5ELNS1_11target_archE942ELNS1_3gpuE9ELNS1_3repE0EEENS1_30default_config_static_selectorELNS0_4arch9wavefront6targetE0EEEvT1_, .Lfunc_end18-_ZN7rocprim17ROCPRIM_400000_NS6detail17trampoline_kernelINS0_14default_configENS1_27scan_by_key_config_selectorIxxEEZZNS1_16scan_by_key_implILNS1_25lookback_scan_determinismE0ELb0ES3_N6thrust23THRUST_200600_302600_NS6detail15normal_iteratorINS9_10device_ptrIxEEEESE_SE_xNS9_4plusIvEENS9_8equal_toIvEExEE10hipError_tPvRmT2_T3_T4_T5_mT6_T7_P12ihipStream_tbENKUlT_T0_E_clISt17integral_constantIbLb1EESZ_EEDaSU_SV_EUlSU_E_NS1_11comp_targetILNS1_3genE5ELNS1_11target_archE942ELNS1_3gpuE9ELNS1_3repE0EEENS1_30default_config_static_selectorELNS0_4arch9wavefront6targetE0EEEvT1_
                                        ; -- End function
	.set _ZN7rocprim17ROCPRIM_400000_NS6detail17trampoline_kernelINS0_14default_configENS1_27scan_by_key_config_selectorIxxEEZZNS1_16scan_by_key_implILNS1_25lookback_scan_determinismE0ELb0ES3_N6thrust23THRUST_200600_302600_NS6detail15normal_iteratorINS9_10device_ptrIxEEEESE_SE_xNS9_4plusIvEENS9_8equal_toIvEExEE10hipError_tPvRmT2_T3_T4_T5_mT6_T7_P12ihipStream_tbENKUlT_T0_E_clISt17integral_constantIbLb1EESZ_EEDaSU_SV_EUlSU_E_NS1_11comp_targetILNS1_3genE5ELNS1_11target_archE942ELNS1_3gpuE9ELNS1_3repE0EEENS1_30default_config_static_selectorELNS0_4arch9wavefront6targetE0EEEvT1_.num_vgpr, 0
	.set _ZN7rocprim17ROCPRIM_400000_NS6detail17trampoline_kernelINS0_14default_configENS1_27scan_by_key_config_selectorIxxEEZZNS1_16scan_by_key_implILNS1_25lookback_scan_determinismE0ELb0ES3_N6thrust23THRUST_200600_302600_NS6detail15normal_iteratorINS9_10device_ptrIxEEEESE_SE_xNS9_4plusIvEENS9_8equal_toIvEExEE10hipError_tPvRmT2_T3_T4_T5_mT6_T7_P12ihipStream_tbENKUlT_T0_E_clISt17integral_constantIbLb1EESZ_EEDaSU_SV_EUlSU_E_NS1_11comp_targetILNS1_3genE5ELNS1_11target_archE942ELNS1_3gpuE9ELNS1_3repE0EEENS1_30default_config_static_selectorELNS0_4arch9wavefront6targetE0EEEvT1_.num_agpr, 0
	.set _ZN7rocprim17ROCPRIM_400000_NS6detail17trampoline_kernelINS0_14default_configENS1_27scan_by_key_config_selectorIxxEEZZNS1_16scan_by_key_implILNS1_25lookback_scan_determinismE0ELb0ES3_N6thrust23THRUST_200600_302600_NS6detail15normal_iteratorINS9_10device_ptrIxEEEESE_SE_xNS9_4plusIvEENS9_8equal_toIvEExEE10hipError_tPvRmT2_T3_T4_T5_mT6_T7_P12ihipStream_tbENKUlT_T0_E_clISt17integral_constantIbLb1EESZ_EEDaSU_SV_EUlSU_E_NS1_11comp_targetILNS1_3genE5ELNS1_11target_archE942ELNS1_3gpuE9ELNS1_3repE0EEENS1_30default_config_static_selectorELNS0_4arch9wavefront6targetE0EEEvT1_.numbered_sgpr, 0
	.set _ZN7rocprim17ROCPRIM_400000_NS6detail17trampoline_kernelINS0_14default_configENS1_27scan_by_key_config_selectorIxxEEZZNS1_16scan_by_key_implILNS1_25lookback_scan_determinismE0ELb0ES3_N6thrust23THRUST_200600_302600_NS6detail15normal_iteratorINS9_10device_ptrIxEEEESE_SE_xNS9_4plusIvEENS9_8equal_toIvEExEE10hipError_tPvRmT2_T3_T4_T5_mT6_T7_P12ihipStream_tbENKUlT_T0_E_clISt17integral_constantIbLb1EESZ_EEDaSU_SV_EUlSU_E_NS1_11comp_targetILNS1_3genE5ELNS1_11target_archE942ELNS1_3gpuE9ELNS1_3repE0EEENS1_30default_config_static_selectorELNS0_4arch9wavefront6targetE0EEEvT1_.num_named_barrier, 0
	.set _ZN7rocprim17ROCPRIM_400000_NS6detail17trampoline_kernelINS0_14default_configENS1_27scan_by_key_config_selectorIxxEEZZNS1_16scan_by_key_implILNS1_25lookback_scan_determinismE0ELb0ES3_N6thrust23THRUST_200600_302600_NS6detail15normal_iteratorINS9_10device_ptrIxEEEESE_SE_xNS9_4plusIvEENS9_8equal_toIvEExEE10hipError_tPvRmT2_T3_T4_T5_mT6_T7_P12ihipStream_tbENKUlT_T0_E_clISt17integral_constantIbLb1EESZ_EEDaSU_SV_EUlSU_E_NS1_11comp_targetILNS1_3genE5ELNS1_11target_archE942ELNS1_3gpuE9ELNS1_3repE0EEENS1_30default_config_static_selectorELNS0_4arch9wavefront6targetE0EEEvT1_.private_seg_size, 0
	.set _ZN7rocprim17ROCPRIM_400000_NS6detail17trampoline_kernelINS0_14default_configENS1_27scan_by_key_config_selectorIxxEEZZNS1_16scan_by_key_implILNS1_25lookback_scan_determinismE0ELb0ES3_N6thrust23THRUST_200600_302600_NS6detail15normal_iteratorINS9_10device_ptrIxEEEESE_SE_xNS9_4plusIvEENS9_8equal_toIvEExEE10hipError_tPvRmT2_T3_T4_T5_mT6_T7_P12ihipStream_tbENKUlT_T0_E_clISt17integral_constantIbLb1EESZ_EEDaSU_SV_EUlSU_E_NS1_11comp_targetILNS1_3genE5ELNS1_11target_archE942ELNS1_3gpuE9ELNS1_3repE0EEENS1_30default_config_static_selectorELNS0_4arch9wavefront6targetE0EEEvT1_.uses_vcc, 0
	.set _ZN7rocprim17ROCPRIM_400000_NS6detail17trampoline_kernelINS0_14default_configENS1_27scan_by_key_config_selectorIxxEEZZNS1_16scan_by_key_implILNS1_25lookback_scan_determinismE0ELb0ES3_N6thrust23THRUST_200600_302600_NS6detail15normal_iteratorINS9_10device_ptrIxEEEESE_SE_xNS9_4plusIvEENS9_8equal_toIvEExEE10hipError_tPvRmT2_T3_T4_T5_mT6_T7_P12ihipStream_tbENKUlT_T0_E_clISt17integral_constantIbLb1EESZ_EEDaSU_SV_EUlSU_E_NS1_11comp_targetILNS1_3genE5ELNS1_11target_archE942ELNS1_3gpuE9ELNS1_3repE0EEENS1_30default_config_static_selectorELNS0_4arch9wavefront6targetE0EEEvT1_.uses_flat_scratch, 0
	.set _ZN7rocprim17ROCPRIM_400000_NS6detail17trampoline_kernelINS0_14default_configENS1_27scan_by_key_config_selectorIxxEEZZNS1_16scan_by_key_implILNS1_25lookback_scan_determinismE0ELb0ES3_N6thrust23THRUST_200600_302600_NS6detail15normal_iteratorINS9_10device_ptrIxEEEESE_SE_xNS9_4plusIvEENS9_8equal_toIvEExEE10hipError_tPvRmT2_T3_T4_T5_mT6_T7_P12ihipStream_tbENKUlT_T0_E_clISt17integral_constantIbLb1EESZ_EEDaSU_SV_EUlSU_E_NS1_11comp_targetILNS1_3genE5ELNS1_11target_archE942ELNS1_3gpuE9ELNS1_3repE0EEENS1_30default_config_static_selectorELNS0_4arch9wavefront6targetE0EEEvT1_.has_dyn_sized_stack, 0
	.set _ZN7rocprim17ROCPRIM_400000_NS6detail17trampoline_kernelINS0_14default_configENS1_27scan_by_key_config_selectorIxxEEZZNS1_16scan_by_key_implILNS1_25lookback_scan_determinismE0ELb0ES3_N6thrust23THRUST_200600_302600_NS6detail15normal_iteratorINS9_10device_ptrIxEEEESE_SE_xNS9_4plusIvEENS9_8equal_toIvEExEE10hipError_tPvRmT2_T3_T4_T5_mT6_T7_P12ihipStream_tbENKUlT_T0_E_clISt17integral_constantIbLb1EESZ_EEDaSU_SV_EUlSU_E_NS1_11comp_targetILNS1_3genE5ELNS1_11target_archE942ELNS1_3gpuE9ELNS1_3repE0EEENS1_30default_config_static_selectorELNS0_4arch9wavefront6targetE0EEEvT1_.has_recursion, 0
	.set _ZN7rocprim17ROCPRIM_400000_NS6detail17trampoline_kernelINS0_14default_configENS1_27scan_by_key_config_selectorIxxEEZZNS1_16scan_by_key_implILNS1_25lookback_scan_determinismE0ELb0ES3_N6thrust23THRUST_200600_302600_NS6detail15normal_iteratorINS9_10device_ptrIxEEEESE_SE_xNS9_4plusIvEENS9_8equal_toIvEExEE10hipError_tPvRmT2_T3_T4_T5_mT6_T7_P12ihipStream_tbENKUlT_T0_E_clISt17integral_constantIbLb1EESZ_EEDaSU_SV_EUlSU_E_NS1_11comp_targetILNS1_3genE5ELNS1_11target_archE942ELNS1_3gpuE9ELNS1_3repE0EEENS1_30default_config_static_selectorELNS0_4arch9wavefront6targetE0EEEvT1_.has_indirect_call, 0
	.section	.AMDGPU.csdata,"",@progbits
; Kernel info:
; codeLenInByte = 0
; TotalNumSgprs: 0
; NumVgprs: 0
; ScratchSize: 0
; MemoryBound: 0
; FloatMode: 240
; IeeeMode: 1
; LDSByteSize: 0 bytes/workgroup (compile time only)
; SGPRBlocks: 0
; VGPRBlocks: 0
; NumSGPRsForWavesPerEU: 1
; NumVGPRsForWavesPerEU: 1
; Occupancy: 16
; WaveLimiterHint : 0
; COMPUTE_PGM_RSRC2:SCRATCH_EN: 0
; COMPUTE_PGM_RSRC2:USER_SGPR: 6
; COMPUTE_PGM_RSRC2:TRAP_HANDLER: 0
; COMPUTE_PGM_RSRC2:TGID_X_EN: 1
; COMPUTE_PGM_RSRC2:TGID_Y_EN: 0
; COMPUTE_PGM_RSRC2:TGID_Z_EN: 0
; COMPUTE_PGM_RSRC2:TIDIG_COMP_CNT: 0
	.section	.text._ZN7rocprim17ROCPRIM_400000_NS6detail17trampoline_kernelINS0_14default_configENS1_27scan_by_key_config_selectorIxxEEZZNS1_16scan_by_key_implILNS1_25lookback_scan_determinismE0ELb0ES3_N6thrust23THRUST_200600_302600_NS6detail15normal_iteratorINS9_10device_ptrIxEEEESE_SE_xNS9_4plusIvEENS9_8equal_toIvEExEE10hipError_tPvRmT2_T3_T4_T5_mT6_T7_P12ihipStream_tbENKUlT_T0_E_clISt17integral_constantIbLb1EESZ_EEDaSU_SV_EUlSU_E_NS1_11comp_targetILNS1_3genE4ELNS1_11target_archE910ELNS1_3gpuE8ELNS1_3repE0EEENS1_30default_config_static_selectorELNS0_4arch9wavefront6targetE0EEEvT1_,"axG",@progbits,_ZN7rocprim17ROCPRIM_400000_NS6detail17trampoline_kernelINS0_14default_configENS1_27scan_by_key_config_selectorIxxEEZZNS1_16scan_by_key_implILNS1_25lookback_scan_determinismE0ELb0ES3_N6thrust23THRUST_200600_302600_NS6detail15normal_iteratorINS9_10device_ptrIxEEEESE_SE_xNS9_4plusIvEENS9_8equal_toIvEExEE10hipError_tPvRmT2_T3_T4_T5_mT6_T7_P12ihipStream_tbENKUlT_T0_E_clISt17integral_constantIbLb1EESZ_EEDaSU_SV_EUlSU_E_NS1_11comp_targetILNS1_3genE4ELNS1_11target_archE910ELNS1_3gpuE8ELNS1_3repE0EEENS1_30default_config_static_selectorELNS0_4arch9wavefront6targetE0EEEvT1_,comdat
	.protected	_ZN7rocprim17ROCPRIM_400000_NS6detail17trampoline_kernelINS0_14default_configENS1_27scan_by_key_config_selectorIxxEEZZNS1_16scan_by_key_implILNS1_25lookback_scan_determinismE0ELb0ES3_N6thrust23THRUST_200600_302600_NS6detail15normal_iteratorINS9_10device_ptrIxEEEESE_SE_xNS9_4plusIvEENS9_8equal_toIvEExEE10hipError_tPvRmT2_T3_T4_T5_mT6_T7_P12ihipStream_tbENKUlT_T0_E_clISt17integral_constantIbLb1EESZ_EEDaSU_SV_EUlSU_E_NS1_11comp_targetILNS1_3genE4ELNS1_11target_archE910ELNS1_3gpuE8ELNS1_3repE0EEENS1_30default_config_static_selectorELNS0_4arch9wavefront6targetE0EEEvT1_ ; -- Begin function _ZN7rocprim17ROCPRIM_400000_NS6detail17trampoline_kernelINS0_14default_configENS1_27scan_by_key_config_selectorIxxEEZZNS1_16scan_by_key_implILNS1_25lookback_scan_determinismE0ELb0ES3_N6thrust23THRUST_200600_302600_NS6detail15normal_iteratorINS9_10device_ptrIxEEEESE_SE_xNS9_4plusIvEENS9_8equal_toIvEExEE10hipError_tPvRmT2_T3_T4_T5_mT6_T7_P12ihipStream_tbENKUlT_T0_E_clISt17integral_constantIbLb1EESZ_EEDaSU_SV_EUlSU_E_NS1_11comp_targetILNS1_3genE4ELNS1_11target_archE910ELNS1_3gpuE8ELNS1_3repE0EEENS1_30default_config_static_selectorELNS0_4arch9wavefront6targetE0EEEvT1_
	.globl	_ZN7rocprim17ROCPRIM_400000_NS6detail17trampoline_kernelINS0_14default_configENS1_27scan_by_key_config_selectorIxxEEZZNS1_16scan_by_key_implILNS1_25lookback_scan_determinismE0ELb0ES3_N6thrust23THRUST_200600_302600_NS6detail15normal_iteratorINS9_10device_ptrIxEEEESE_SE_xNS9_4plusIvEENS9_8equal_toIvEExEE10hipError_tPvRmT2_T3_T4_T5_mT6_T7_P12ihipStream_tbENKUlT_T0_E_clISt17integral_constantIbLb1EESZ_EEDaSU_SV_EUlSU_E_NS1_11comp_targetILNS1_3genE4ELNS1_11target_archE910ELNS1_3gpuE8ELNS1_3repE0EEENS1_30default_config_static_selectorELNS0_4arch9wavefront6targetE0EEEvT1_
	.p2align	8
	.type	_ZN7rocprim17ROCPRIM_400000_NS6detail17trampoline_kernelINS0_14default_configENS1_27scan_by_key_config_selectorIxxEEZZNS1_16scan_by_key_implILNS1_25lookback_scan_determinismE0ELb0ES3_N6thrust23THRUST_200600_302600_NS6detail15normal_iteratorINS9_10device_ptrIxEEEESE_SE_xNS9_4plusIvEENS9_8equal_toIvEExEE10hipError_tPvRmT2_T3_T4_T5_mT6_T7_P12ihipStream_tbENKUlT_T0_E_clISt17integral_constantIbLb1EESZ_EEDaSU_SV_EUlSU_E_NS1_11comp_targetILNS1_3genE4ELNS1_11target_archE910ELNS1_3gpuE8ELNS1_3repE0EEENS1_30default_config_static_selectorELNS0_4arch9wavefront6targetE0EEEvT1_,@function
_ZN7rocprim17ROCPRIM_400000_NS6detail17trampoline_kernelINS0_14default_configENS1_27scan_by_key_config_selectorIxxEEZZNS1_16scan_by_key_implILNS1_25lookback_scan_determinismE0ELb0ES3_N6thrust23THRUST_200600_302600_NS6detail15normal_iteratorINS9_10device_ptrIxEEEESE_SE_xNS9_4plusIvEENS9_8equal_toIvEExEE10hipError_tPvRmT2_T3_T4_T5_mT6_T7_P12ihipStream_tbENKUlT_T0_E_clISt17integral_constantIbLb1EESZ_EEDaSU_SV_EUlSU_E_NS1_11comp_targetILNS1_3genE4ELNS1_11target_archE910ELNS1_3gpuE8ELNS1_3repE0EEENS1_30default_config_static_selectorELNS0_4arch9wavefront6targetE0EEEvT1_: ; @_ZN7rocprim17ROCPRIM_400000_NS6detail17trampoline_kernelINS0_14default_configENS1_27scan_by_key_config_selectorIxxEEZZNS1_16scan_by_key_implILNS1_25lookback_scan_determinismE0ELb0ES3_N6thrust23THRUST_200600_302600_NS6detail15normal_iteratorINS9_10device_ptrIxEEEESE_SE_xNS9_4plusIvEENS9_8equal_toIvEExEE10hipError_tPvRmT2_T3_T4_T5_mT6_T7_P12ihipStream_tbENKUlT_T0_E_clISt17integral_constantIbLb1EESZ_EEDaSU_SV_EUlSU_E_NS1_11comp_targetILNS1_3genE4ELNS1_11target_archE910ELNS1_3gpuE8ELNS1_3repE0EEENS1_30default_config_static_selectorELNS0_4arch9wavefront6targetE0EEEvT1_
; %bb.0:
	.section	.rodata,"a",@progbits
	.p2align	6, 0x0
	.amdhsa_kernel _ZN7rocprim17ROCPRIM_400000_NS6detail17trampoline_kernelINS0_14default_configENS1_27scan_by_key_config_selectorIxxEEZZNS1_16scan_by_key_implILNS1_25lookback_scan_determinismE0ELb0ES3_N6thrust23THRUST_200600_302600_NS6detail15normal_iteratorINS9_10device_ptrIxEEEESE_SE_xNS9_4plusIvEENS9_8equal_toIvEExEE10hipError_tPvRmT2_T3_T4_T5_mT6_T7_P12ihipStream_tbENKUlT_T0_E_clISt17integral_constantIbLb1EESZ_EEDaSU_SV_EUlSU_E_NS1_11comp_targetILNS1_3genE4ELNS1_11target_archE910ELNS1_3gpuE8ELNS1_3repE0EEENS1_30default_config_static_selectorELNS0_4arch9wavefront6targetE0EEEvT1_
		.amdhsa_group_segment_fixed_size 0
		.amdhsa_private_segment_fixed_size 0
		.amdhsa_kernarg_size 136
		.amdhsa_user_sgpr_count 6
		.amdhsa_user_sgpr_private_segment_buffer 1
		.amdhsa_user_sgpr_dispatch_ptr 0
		.amdhsa_user_sgpr_queue_ptr 0
		.amdhsa_user_sgpr_kernarg_segment_ptr 1
		.amdhsa_user_sgpr_dispatch_id 0
		.amdhsa_user_sgpr_flat_scratch_init 0
		.amdhsa_user_sgpr_private_segment_size 0
		.amdhsa_wavefront_size32 1
		.amdhsa_uses_dynamic_stack 0
		.amdhsa_system_sgpr_private_segment_wavefront_offset 0
		.amdhsa_system_sgpr_workgroup_id_x 1
		.amdhsa_system_sgpr_workgroup_id_y 0
		.amdhsa_system_sgpr_workgroup_id_z 0
		.amdhsa_system_sgpr_workgroup_info 0
		.amdhsa_system_vgpr_workitem_id 0
		.amdhsa_next_free_vgpr 1
		.amdhsa_next_free_sgpr 1
		.amdhsa_reserve_vcc 0
		.amdhsa_reserve_flat_scratch 0
		.amdhsa_float_round_mode_32 0
		.amdhsa_float_round_mode_16_64 0
		.amdhsa_float_denorm_mode_32 3
		.amdhsa_float_denorm_mode_16_64 3
		.amdhsa_dx10_clamp 1
		.amdhsa_ieee_mode 1
		.amdhsa_fp16_overflow 0
		.amdhsa_workgroup_processor_mode 1
		.amdhsa_memory_ordered 1
		.amdhsa_forward_progress 1
		.amdhsa_shared_vgpr_count 0
		.amdhsa_exception_fp_ieee_invalid_op 0
		.amdhsa_exception_fp_denorm_src 0
		.amdhsa_exception_fp_ieee_div_zero 0
		.amdhsa_exception_fp_ieee_overflow 0
		.amdhsa_exception_fp_ieee_underflow 0
		.amdhsa_exception_fp_ieee_inexact 0
		.amdhsa_exception_int_div_zero 0
	.end_amdhsa_kernel
	.section	.text._ZN7rocprim17ROCPRIM_400000_NS6detail17trampoline_kernelINS0_14default_configENS1_27scan_by_key_config_selectorIxxEEZZNS1_16scan_by_key_implILNS1_25lookback_scan_determinismE0ELb0ES3_N6thrust23THRUST_200600_302600_NS6detail15normal_iteratorINS9_10device_ptrIxEEEESE_SE_xNS9_4plusIvEENS9_8equal_toIvEExEE10hipError_tPvRmT2_T3_T4_T5_mT6_T7_P12ihipStream_tbENKUlT_T0_E_clISt17integral_constantIbLb1EESZ_EEDaSU_SV_EUlSU_E_NS1_11comp_targetILNS1_3genE4ELNS1_11target_archE910ELNS1_3gpuE8ELNS1_3repE0EEENS1_30default_config_static_selectorELNS0_4arch9wavefront6targetE0EEEvT1_,"axG",@progbits,_ZN7rocprim17ROCPRIM_400000_NS6detail17trampoline_kernelINS0_14default_configENS1_27scan_by_key_config_selectorIxxEEZZNS1_16scan_by_key_implILNS1_25lookback_scan_determinismE0ELb0ES3_N6thrust23THRUST_200600_302600_NS6detail15normal_iteratorINS9_10device_ptrIxEEEESE_SE_xNS9_4plusIvEENS9_8equal_toIvEExEE10hipError_tPvRmT2_T3_T4_T5_mT6_T7_P12ihipStream_tbENKUlT_T0_E_clISt17integral_constantIbLb1EESZ_EEDaSU_SV_EUlSU_E_NS1_11comp_targetILNS1_3genE4ELNS1_11target_archE910ELNS1_3gpuE8ELNS1_3repE0EEENS1_30default_config_static_selectorELNS0_4arch9wavefront6targetE0EEEvT1_,comdat
.Lfunc_end19:
	.size	_ZN7rocprim17ROCPRIM_400000_NS6detail17trampoline_kernelINS0_14default_configENS1_27scan_by_key_config_selectorIxxEEZZNS1_16scan_by_key_implILNS1_25lookback_scan_determinismE0ELb0ES3_N6thrust23THRUST_200600_302600_NS6detail15normal_iteratorINS9_10device_ptrIxEEEESE_SE_xNS9_4plusIvEENS9_8equal_toIvEExEE10hipError_tPvRmT2_T3_T4_T5_mT6_T7_P12ihipStream_tbENKUlT_T0_E_clISt17integral_constantIbLb1EESZ_EEDaSU_SV_EUlSU_E_NS1_11comp_targetILNS1_3genE4ELNS1_11target_archE910ELNS1_3gpuE8ELNS1_3repE0EEENS1_30default_config_static_selectorELNS0_4arch9wavefront6targetE0EEEvT1_, .Lfunc_end19-_ZN7rocprim17ROCPRIM_400000_NS6detail17trampoline_kernelINS0_14default_configENS1_27scan_by_key_config_selectorIxxEEZZNS1_16scan_by_key_implILNS1_25lookback_scan_determinismE0ELb0ES3_N6thrust23THRUST_200600_302600_NS6detail15normal_iteratorINS9_10device_ptrIxEEEESE_SE_xNS9_4plusIvEENS9_8equal_toIvEExEE10hipError_tPvRmT2_T3_T4_T5_mT6_T7_P12ihipStream_tbENKUlT_T0_E_clISt17integral_constantIbLb1EESZ_EEDaSU_SV_EUlSU_E_NS1_11comp_targetILNS1_3genE4ELNS1_11target_archE910ELNS1_3gpuE8ELNS1_3repE0EEENS1_30default_config_static_selectorELNS0_4arch9wavefront6targetE0EEEvT1_
                                        ; -- End function
	.set _ZN7rocprim17ROCPRIM_400000_NS6detail17trampoline_kernelINS0_14default_configENS1_27scan_by_key_config_selectorIxxEEZZNS1_16scan_by_key_implILNS1_25lookback_scan_determinismE0ELb0ES3_N6thrust23THRUST_200600_302600_NS6detail15normal_iteratorINS9_10device_ptrIxEEEESE_SE_xNS9_4plusIvEENS9_8equal_toIvEExEE10hipError_tPvRmT2_T3_T4_T5_mT6_T7_P12ihipStream_tbENKUlT_T0_E_clISt17integral_constantIbLb1EESZ_EEDaSU_SV_EUlSU_E_NS1_11comp_targetILNS1_3genE4ELNS1_11target_archE910ELNS1_3gpuE8ELNS1_3repE0EEENS1_30default_config_static_selectorELNS0_4arch9wavefront6targetE0EEEvT1_.num_vgpr, 0
	.set _ZN7rocprim17ROCPRIM_400000_NS6detail17trampoline_kernelINS0_14default_configENS1_27scan_by_key_config_selectorIxxEEZZNS1_16scan_by_key_implILNS1_25lookback_scan_determinismE0ELb0ES3_N6thrust23THRUST_200600_302600_NS6detail15normal_iteratorINS9_10device_ptrIxEEEESE_SE_xNS9_4plusIvEENS9_8equal_toIvEExEE10hipError_tPvRmT2_T3_T4_T5_mT6_T7_P12ihipStream_tbENKUlT_T0_E_clISt17integral_constantIbLb1EESZ_EEDaSU_SV_EUlSU_E_NS1_11comp_targetILNS1_3genE4ELNS1_11target_archE910ELNS1_3gpuE8ELNS1_3repE0EEENS1_30default_config_static_selectorELNS0_4arch9wavefront6targetE0EEEvT1_.num_agpr, 0
	.set _ZN7rocprim17ROCPRIM_400000_NS6detail17trampoline_kernelINS0_14default_configENS1_27scan_by_key_config_selectorIxxEEZZNS1_16scan_by_key_implILNS1_25lookback_scan_determinismE0ELb0ES3_N6thrust23THRUST_200600_302600_NS6detail15normal_iteratorINS9_10device_ptrIxEEEESE_SE_xNS9_4plusIvEENS9_8equal_toIvEExEE10hipError_tPvRmT2_T3_T4_T5_mT6_T7_P12ihipStream_tbENKUlT_T0_E_clISt17integral_constantIbLb1EESZ_EEDaSU_SV_EUlSU_E_NS1_11comp_targetILNS1_3genE4ELNS1_11target_archE910ELNS1_3gpuE8ELNS1_3repE0EEENS1_30default_config_static_selectorELNS0_4arch9wavefront6targetE0EEEvT1_.numbered_sgpr, 0
	.set _ZN7rocprim17ROCPRIM_400000_NS6detail17trampoline_kernelINS0_14default_configENS1_27scan_by_key_config_selectorIxxEEZZNS1_16scan_by_key_implILNS1_25lookback_scan_determinismE0ELb0ES3_N6thrust23THRUST_200600_302600_NS6detail15normal_iteratorINS9_10device_ptrIxEEEESE_SE_xNS9_4plusIvEENS9_8equal_toIvEExEE10hipError_tPvRmT2_T3_T4_T5_mT6_T7_P12ihipStream_tbENKUlT_T0_E_clISt17integral_constantIbLb1EESZ_EEDaSU_SV_EUlSU_E_NS1_11comp_targetILNS1_3genE4ELNS1_11target_archE910ELNS1_3gpuE8ELNS1_3repE0EEENS1_30default_config_static_selectorELNS0_4arch9wavefront6targetE0EEEvT1_.num_named_barrier, 0
	.set _ZN7rocprim17ROCPRIM_400000_NS6detail17trampoline_kernelINS0_14default_configENS1_27scan_by_key_config_selectorIxxEEZZNS1_16scan_by_key_implILNS1_25lookback_scan_determinismE0ELb0ES3_N6thrust23THRUST_200600_302600_NS6detail15normal_iteratorINS9_10device_ptrIxEEEESE_SE_xNS9_4plusIvEENS9_8equal_toIvEExEE10hipError_tPvRmT2_T3_T4_T5_mT6_T7_P12ihipStream_tbENKUlT_T0_E_clISt17integral_constantIbLb1EESZ_EEDaSU_SV_EUlSU_E_NS1_11comp_targetILNS1_3genE4ELNS1_11target_archE910ELNS1_3gpuE8ELNS1_3repE0EEENS1_30default_config_static_selectorELNS0_4arch9wavefront6targetE0EEEvT1_.private_seg_size, 0
	.set _ZN7rocprim17ROCPRIM_400000_NS6detail17trampoline_kernelINS0_14default_configENS1_27scan_by_key_config_selectorIxxEEZZNS1_16scan_by_key_implILNS1_25lookback_scan_determinismE0ELb0ES3_N6thrust23THRUST_200600_302600_NS6detail15normal_iteratorINS9_10device_ptrIxEEEESE_SE_xNS9_4plusIvEENS9_8equal_toIvEExEE10hipError_tPvRmT2_T3_T4_T5_mT6_T7_P12ihipStream_tbENKUlT_T0_E_clISt17integral_constantIbLb1EESZ_EEDaSU_SV_EUlSU_E_NS1_11comp_targetILNS1_3genE4ELNS1_11target_archE910ELNS1_3gpuE8ELNS1_3repE0EEENS1_30default_config_static_selectorELNS0_4arch9wavefront6targetE0EEEvT1_.uses_vcc, 0
	.set _ZN7rocprim17ROCPRIM_400000_NS6detail17trampoline_kernelINS0_14default_configENS1_27scan_by_key_config_selectorIxxEEZZNS1_16scan_by_key_implILNS1_25lookback_scan_determinismE0ELb0ES3_N6thrust23THRUST_200600_302600_NS6detail15normal_iteratorINS9_10device_ptrIxEEEESE_SE_xNS9_4plusIvEENS9_8equal_toIvEExEE10hipError_tPvRmT2_T3_T4_T5_mT6_T7_P12ihipStream_tbENKUlT_T0_E_clISt17integral_constantIbLb1EESZ_EEDaSU_SV_EUlSU_E_NS1_11comp_targetILNS1_3genE4ELNS1_11target_archE910ELNS1_3gpuE8ELNS1_3repE0EEENS1_30default_config_static_selectorELNS0_4arch9wavefront6targetE0EEEvT1_.uses_flat_scratch, 0
	.set _ZN7rocprim17ROCPRIM_400000_NS6detail17trampoline_kernelINS0_14default_configENS1_27scan_by_key_config_selectorIxxEEZZNS1_16scan_by_key_implILNS1_25lookback_scan_determinismE0ELb0ES3_N6thrust23THRUST_200600_302600_NS6detail15normal_iteratorINS9_10device_ptrIxEEEESE_SE_xNS9_4plusIvEENS9_8equal_toIvEExEE10hipError_tPvRmT2_T3_T4_T5_mT6_T7_P12ihipStream_tbENKUlT_T0_E_clISt17integral_constantIbLb1EESZ_EEDaSU_SV_EUlSU_E_NS1_11comp_targetILNS1_3genE4ELNS1_11target_archE910ELNS1_3gpuE8ELNS1_3repE0EEENS1_30default_config_static_selectorELNS0_4arch9wavefront6targetE0EEEvT1_.has_dyn_sized_stack, 0
	.set _ZN7rocprim17ROCPRIM_400000_NS6detail17trampoline_kernelINS0_14default_configENS1_27scan_by_key_config_selectorIxxEEZZNS1_16scan_by_key_implILNS1_25lookback_scan_determinismE0ELb0ES3_N6thrust23THRUST_200600_302600_NS6detail15normal_iteratorINS9_10device_ptrIxEEEESE_SE_xNS9_4plusIvEENS9_8equal_toIvEExEE10hipError_tPvRmT2_T3_T4_T5_mT6_T7_P12ihipStream_tbENKUlT_T0_E_clISt17integral_constantIbLb1EESZ_EEDaSU_SV_EUlSU_E_NS1_11comp_targetILNS1_3genE4ELNS1_11target_archE910ELNS1_3gpuE8ELNS1_3repE0EEENS1_30default_config_static_selectorELNS0_4arch9wavefront6targetE0EEEvT1_.has_recursion, 0
	.set _ZN7rocprim17ROCPRIM_400000_NS6detail17trampoline_kernelINS0_14default_configENS1_27scan_by_key_config_selectorIxxEEZZNS1_16scan_by_key_implILNS1_25lookback_scan_determinismE0ELb0ES3_N6thrust23THRUST_200600_302600_NS6detail15normal_iteratorINS9_10device_ptrIxEEEESE_SE_xNS9_4plusIvEENS9_8equal_toIvEExEE10hipError_tPvRmT2_T3_T4_T5_mT6_T7_P12ihipStream_tbENKUlT_T0_E_clISt17integral_constantIbLb1EESZ_EEDaSU_SV_EUlSU_E_NS1_11comp_targetILNS1_3genE4ELNS1_11target_archE910ELNS1_3gpuE8ELNS1_3repE0EEENS1_30default_config_static_selectorELNS0_4arch9wavefront6targetE0EEEvT1_.has_indirect_call, 0
	.section	.AMDGPU.csdata,"",@progbits
; Kernel info:
; codeLenInByte = 0
; TotalNumSgprs: 0
; NumVgprs: 0
; ScratchSize: 0
; MemoryBound: 0
; FloatMode: 240
; IeeeMode: 1
; LDSByteSize: 0 bytes/workgroup (compile time only)
; SGPRBlocks: 0
; VGPRBlocks: 0
; NumSGPRsForWavesPerEU: 1
; NumVGPRsForWavesPerEU: 1
; Occupancy: 16
; WaveLimiterHint : 0
; COMPUTE_PGM_RSRC2:SCRATCH_EN: 0
; COMPUTE_PGM_RSRC2:USER_SGPR: 6
; COMPUTE_PGM_RSRC2:TRAP_HANDLER: 0
; COMPUTE_PGM_RSRC2:TGID_X_EN: 1
; COMPUTE_PGM_RSRC2:TGID_Y_EN: 0
; COMPUTE_PGM_RSRC2:TGID_Z_EN: 0
; COMPUTE_PGM_RSRC2:TIDIG_COMP_CNT: 0
	.section	.text._ZN7rocprim17ROCPRIM_400000_NS6detail17trampoline_kernelINS0_14default_configENS1_27scan_by_key_config_selectorIxxEEZZNS1_16scan_by_key_implILNS1_25lookback_scan_determinismE0ELb0ES3_N6thrust23THRUST_200600_302600_NS6detail15normal_iteratorINS9_10device_ptrIxEEEESE_SE_xNS9_4plusIvEENS9_8equal_toIvEExEE10hipError_tPvRmT2_T3_T4_T5_mT6_T7_P12ihipStream_tbENKUlT_T0_E_clISt17integral_constantIbLb1EESZ_EEDaSU_SV_EUlSU_E_NS1_11comp_targetILNS1_3genE3ELNS1_11target_archE908ELNS1_3gpuE7ELNS1_3repE0EEENS1_30default_config_static_selectorELNS0_4arch9wavefront6targetE0EEEvT1_,"axG",@progbits,_ZN7rocprim17ROCPRIM_400000_NS6detail17trampoline_kernelINS0_14default_configENS1_27scan_by_key_config_selectorIxxEEZZNS1_16scan_by_key_implILNS1_25lookback_scan_determinismE0ELb0ES3_N6thrust23THRUST_200600_302600_NS6detail15normal_iteratorINS9_10device_ptrIxEEEESE_SE_xNS9_4plusIvEENS9_8equal_toIvEExEE10hipError_tPvRmT2_T3_T4_T5_mT6_T7_P12ihipStream_tbENKUlT_T0_E_clISt17integral_constantIbLb1EESZ_EEDaSU_SV_EUlSU_E_NS1_11comp_targetILNS1_3genE3ELNS1_11target_archE908ELNS1_3gpuE7ELNS1_3repE0EEENS1_30default_config_static_selectorELNS0_4arch9wavefront6targetE0EEEvT1_,comdat
	.protected	_ZN7rocprim17ROCPRIM_400000_NS6detail17trampoline_kernelINS0_14default_configENS1_27scan_by_key_config_selectorIxxEEZZNS1_16scan_by_key_implILNS1_25lookback_scan_determinismE0ELb0ES3_N6thrust23THRUST_200600_302600_NS6detail15normal_iteratorINS9_10device_ptrIxEEEESE_SE_xNS9_4plusIvEENS9_8equal_toIvEExEE10hipError_tPvRmT2_T3_T4_T5_mT6_T7_P12ihipStream_tbENKUlT_T0_E_clISt17integral_constantIbLb1EESZ_EEDaSU_SV_EUlSU_E_NS1_11comp_targetILNS1_3genE3ELNS1_11target_archE908ELNS1_3gpuE7ELNS1_3repE0EEENS1_30default_config_static_selectorELNS0_4arch9wavefront6targetE0EEEvT1_ ; -- Begin function _ZN7rocprim17ROCPRIM_400000_NS6detail17trampoline_kernelINS0_14default_configENS1_27scan_by_key_config_selectorIxxEEZZNS1_16scan_by_key_implILNS1_25lookback_scan_determinismE0ELb0ES3_N6thrust23THRUST_200600_302600_NS6detail15normal_iteratorINS9_10device_ptrIxEEEESE_SE_xNS9_4plusIvEENS9_8equal_toIvEExEE10hipError_tPvRmT2_T3_T4_T5_mT6_T7_P12ihipStream_tbENKUlT_T0_E_clISt17integral_constantIbLb1EESZ_EEDaSU_SV_EUlSU_E_NS1_11comp_targetILNS1_3genE3ELNS1_11target_archE908ELNS1_3gpuE7ELNS1_3repE0EEENS1_30default_config_static_selectorELNS0_4arch9wavefront6targetE0EEEvT1_
	.globl	_ZN7rocprim17ROCPRIM_400000_NS6detail17trampoline_kernelINS0_14default_configENS1_27scan_by_key_config_selectorIxxEEZZNS1_16scan_by_key_implILNS1_25lookback_scan_determinismE0ELb0ES3_N6thrust23THRUST_200600_302600_NS6detail15normal_iteratorINS9_10device_ptrIxEEEESE_SE_xNS9_4plusIvEENS9_8equal_toIvEExEE10hipError_tPvRmT2_T3_T4_T5_mT6_T7_P12ihipStream_tbENKUlT_T0_E_clISt17integral_constantIbLb1EESZ_EEDaSU_SV_EUlSU_E_NS1_11comp_targetILNS1_3genE3ELNS1_11target_archE908ELNS1_3gpuE7ELNS1_3repE0EEENS1_30default_config_static_selectorELNS0_4arch9wavefront6targetE0EEEvT1_
	.p2align	8
	.type	_ZN7rocprim17ROCPRIM_400000_NS6detail17trampoline_kernelINS0_14default_configENS1_27scan_by_key_config_selectorIxxEEZZNS1_16scan_by_key_implILNS1_25lookback_scan_determinismE0ELb0ES3_N6thrust23THRUST_200600_302600_NS6detail15normal_iteratorINS9_10device_ptrIxEEEESE_SE_xNS9_4plusIvEENS9_8equal_toIvEExEE10hipError_tPvRmT2_T3_T4_T5_mT6_T7_P12ihipStream_tbENKUlT_T0_E_clISt17integral_constantIbLb1EESZ_EEDaSU_SV_EUlSU_E_NS1_11comp_targetILNS1_3genE3ELNS1_11target_archE908ELNS1_3gpuE7ELNS1_3repE0EEENS1_30default_config_static_selectorELNS0_4arch9wavefront6targetE0EEEvT1_,@function
_ZN7rocprim17ROCPRIM_400000_NS6detail17trampoline_kernelINS0_14default_configENS1_27scan_by_key_config_selectorIxxEEZZNS1_16scan_by_key_implILNS1_25lookback_scan_determinismE0ELb0ES3_N6thrust23THRUST_200600_302600_NS6detail15normal_iteratorINS9_10device_ptrIxEEEESE_SE_xNS9_4plusIvEENS9_8equal_toIvEExEE10hipError_tPvRmT2_T3_T4_T5_mT6_T7_P12ihipStream_tbENKUlT_T0_E_clISt17integral_constantIbLb1EESZ_EEDaSU_SV_EUlSU_E_NS1_11comp_targetILNS1_3genE3ELNS1_11target_archE908ELNS1_3gpuE7ELNS1_3repE0EEENS1_30default_config_static_selectorELNS0_4arch9wavefront6targetE0EEEvT1_: ; @_ZN7rocprim17ROCPRIM_400000_NS6detail17trampoline_kernelINS0_14default_configENS1_27scan_by_key_config_selectorIxxEEZZNS1_16scan_by_key_implILNS1_25lookback_scan_determinismE0ELb0ES3_N6thrust23THRUST_200600_302600_NS6detail15normal_iteratorINS9_10device_ptrIxEEEESE_SE_xNS9_4plusIvEENS9_8equal_toIvEExEE10hipError_tPvRmT2_T3_T4_T5_mT6_T7_P12ihipStream_tbENKUlT_T0_E_clISt17integral_constantIbLb1EESZ_EEDaSU_SV_EUlSU_E_NS1_11comp_targetILNS1_3genE3ELNS1_11target_archE908ELNS1_3gpuE7ELNS1_3repE0EEENS1_30default_config_static_selectorELNS0_4arch9wavefront6targetE0EEEvT1_
; %bb.0:
	.section	.rodata,"a",@progbits
	.p2align	6, 0x0
	.amdhsa_kernel _ZN7rocprim17ROCPRIM_400000_NS6detail17trampoline_kernelINS0_14default_configENS1_27scan_by_key_config_selectorIxxEEZZNS1_16scan_by_key_implILNS1_25lookback_scan_determinismE0ELb0ES3_N6thrust23THRUST_200600_302600_NS6detail15normal_iteratorINS9_10device_ptrIxEEEESE_SE_xNS9_4plusIvEENS9_8equal_toIvEExEE10hipError_tPvRmT2_T3_T4_T5_mT6_T7_P12ihipStream_tbENKUlT_T0_E_clISt17integral_constantIbLb1EESZ_EEDaSU_SV_EUlSU_E_NS1_11comp_targetILNS1_3genE3ELNS1_11target_archE908ELNS1_3gpuE7ELNS1_3repE0EEENS1_30default_config_static_selectorELNS0_4arch9wavefront6targetE0EEEvT1_
		.amdhsa_group_segment_fixed_size 0
		.amdhsa_private_segment_fixed_size 0
		.amdhsa_kernarg_size 136
		.amdhsa_user_sgpr_count 6
		.amdhsa_user_sgpr_private_segment_buffer 1
		.amdhsa_user_sgpr_dispatch_ptr 0
		.amdhsa_user_sgpr_queue_ptr 0
		.amdhsa_user_sgpr_kernarg_segment_ptr 1
		.amdhsa_user_sgpr_dispatch_id 0
		.amdhsa_user_sgpr_flat_scratch_init 0
		.amdhsa_user_sgpr_private_segment_size 0
		.amdhsa_wavefront_size32 1
		.amdhsa_uses_dynamic_stack 0
		.amdhsa_system_sgpr_private_segment_wavefront_offset 0
		.amdhsa_system_sgpr_workgroup_id_x 1
		.amdhsa_system_sgpr_workgroup_id_y 0
		.amdhsa_system_sgpr_workgroup_id_z 0
		.amdhsa_system_sgpr_workgroup_info 0
		.amdhsa_system_vgpr_workitem_id 0
		.amdhsa_next_free_vgpr 1
		.amdhsa_next_free_sgpr 1
		.amdhsa_reserve_vcc 0
		.amdhsa_reserve_flat_scratch 0
		.amdhsa_float_round_mode_32 0
		.amdhsa_float_round_mode_16_64 0
		.amdhsa_float_denorm_mode_32 3
		.amdhsa_float_denorm_mode_16_64 3
		.amdhsa_dx10_clamp 1
		.amdhsa_ieee_mode 1
		.amdhsa_fp16_overflow 0
		.amdhsa_workgroup_processor_mode 1
		.amdhsa_memory_ordered 1
		.amdhsa_forward_progress 1
		.amdhsa_shared_vgpr_count 0
		.amdhsa_exception_fp_ieee_invalid_op 0
		.amdhsa_exception_fp_denorm_src 0
		.amdhsa_exception_fp_ieee_div_zero 0
		.amdhsa_exception_fp_ieee_overflow 0
		.amdhsa_exception_fp_ieee_underflow 0
		.amdhsa_exception_fp_ieee_inexact 0
		.amdhsa_exception_int_div_zero 0
	.end_amdhsa_kernel
	.section	.text._ZN7rocprim17ROCPRIM_400000_NS6detail17trampoline_kernelINS0_14default_configENS1_27scan_by_key_config_selectorIxxEEZZNS1_16scan_by_key_implILNS1_25lookback_scan_determinismE0ELb0ES3_N6thrust23THRUST_200600_302600_NS6detail15normal_iteratorINS9_10device_ptrIxEEEESE_SE_xNS9_4plusIvEENS9_8equal_toIvEExEE10hipError_tPvRmT2_T3_T4_T5_mT6_T7_P12ihipStream_tbENKUlT_T0_E_clISt17integral_constantIbLb1EESZ_EEDaSU_SV_EUlSU_E_NS1_11comp_targetILNS1_3genE3ELNS1_11target_archE908ELNS1_3gpuE7ELNS1_3repE0EEENS1_30default_config_static_selectorELNS0_4arch9wavefront6targetE0EEEvT1_,"axG",@progbits,_ZN7rocprim17ROCPRIM_400000_NS6detail17trampoline_kernelINS0_14default_configENS1_27scan_by_key_config_selectorIxxEEZZNS1_16scan_by_key_implILNS1_25lookback_scan_determinismE0ELb0ES3_N6thrust23THRUST_200600_302600_NS6detail15normal_iteratorINS9_10device_ptrIxEEEESE_SE_xNS9_4plusIvEENS9_8equal_toIvEExEE10hipError_tPvRmT2_T3_T4_T5_mT6_T7_P12ihipStream_tbENKUlT_T0_E_clISt17integral_constantIbLb1EESZ_EEDaSU_SV_EUlSU_E_NS1_11comp_targetILNS1_3genE3ELNS1_11target_archE908ELNS1_3gpuE7ELNS1_3repE0EEENS1_30default_config_static_selectorELNS0_4arch9wavefront6targetE0EEEvT1_,comdat
.Lfunc_end20:
	.size	_ZN7rocprim17ROCPRIM_400000_NS6detail17trampoline_kernelINS0_14default_configENS1_27scan_by_key_config_selectorIxxEEZZNS1_16scan_by_key_implILNS1_25lookback_scan_determinismE0ELb0ES3_N6thrust23THRUST_200600_302600_NS6detail15normal_iteratorINS9_10device_ptrIxEEEESE_SE_xNS9_4plusIvEENS9_8equal_toIvEExEE10hipError_tPvRmT2_T3_T4_T5_mT6_T7_P12ihipStream_tbENKUlT_T0_E_clISt17integral_constantIbLb1EESZ_EEDaSU_SV_EUlSU_E_NS1_11comp_targetILNS1_3genE3ELNS1_11target_archE908ELNS1_3gpuE7ELNS1_3repE0EEENS1_30default_config_static_selectorELNS0_4arch9wavefront6targetE0EEEvT1_, .Lfunc_end20-_ZN7rocprim17ROCPRIM_400000_NS6detail17trampoline_kernelINS0_14default_configENS1_27scan_by_key_config_selectorIxxEEZZNS1_16scan_by_key_implILNS1_25lookback_scan_determinismE0ELb0ES3_N6thrust23THRUST_200600_302600_NS6detail15normal_iteratorINS9_10device_ptrIxEEEESE_SE_xNS9_4plusIvEENS9_8equal_toIvEExEE10hipError_tPvRmT2_T3_T4_T5_mT6_T7_P12ihipStream_tbENKUlT_T0_E_clISt17integral_constantIbLb1EESZ_EEDaSU_SV_EUlSU_E_NS1_11comp_targetILNS1_3genE3ELNS1_11target_archE908ELNS1_3gpuE7ELNS1_3repE0EEENS1_30default_config_static_selectorELNS0_4arch9wavefront6targetE0EEEvT1_
                                        ; -- End function
	.set _ZN7rocprim17ROCPRIM_400000_NS6detail17trampoline_kernelINS0_14default_configENS1_27scan_by_key_config_selectorIxxEEZZNS1_16scan_by_key_implILNS1_25lookback_scan_determinismE0ELb0ES3_N6thrust23THRUST_200600_302600_NS6detail15normal_iteratorINS9_10device_ptrIxEEEESE_SE_xNS9_4plusIvEENS9_8equal_toIvEExEE10hipError_tPvRmT2_T3_T4_T5_mT6_T7_P12ihipStream_tbENKUlT_T0_E_clISt17integral_constantIbLb1EESZ_EEDaSU_SV_EUlSU_E_NS1_11comp_targetILNS1_3genE3ELNS1_11target_archE908ELNS1_3gpuE7ELNS1_3repE0EEENS1_30default_config_static_selectorELNS0_4arch9wavefront6targetE0EEEvT1_.num_vgpr, 0
	.set _ZN7rocprim17ROCPRIM_400000_NS6detail17trampoline_kernelINS0_14default_configENS1_27scan_by_key_config_selectorIxxEEZZNS1_16scan_by_key_implILNS1_25lookback_scan_determinismE0ELb0ES3_N6thrust23THRUST_200600_302600_NS6detail15normal_iteratorINS9_10device_ptrIxEEEESE_SE_xNS9_4plusIvEENS9_8equal_toIvEExEE10hipError_tPvRmT2_T3_T4_T5_mT6_T7_P12ihipStream_tbENKUlT_T0_E_clISt17integral_constantIbLb1EESZ_EEDaSU_SV_EUlSU_E_NS1_11comp_targetILNS1_3genE3ELNS1_11target_archE908ELNS1_3gpuE7ELNS1_3repE0EEENS1_30default_config_static_selectorELNS0_4arch9wavefront6targetE0EEEvT1_.num_agpr, 0
	.set _ZN7rocprim17ROCPRIM_400000_NS6detail17trampoline_kernelINS0_14default_configENS1_27scan_by_key_config_selectorIxxEEZZNS1_16scan_by_key_implILNS1_25lookback_scan_determinismE0ELb0ES3_N6thrust23THRUST_200600_302600_NS6detail15normal_iteratorINS9_10device_ptrIxEEEESE_SE_xNS9_4plusIvEENS9_8equal_toIvEExEE10hipError_tPvRmT2_T3_T4_T5_mT6_T7_P12ihipStream_tbENKUlT_T0_E_clISt17integral_constantIbLb1EESZ_EEDaSU_SV_EUlSU_E_NS1_11comp_targetILNS1_3genE3ELNS1_11target_archE908ELNS1_3gpuE7ELNS1_3repE0EEENS1_30default_config_static_selectorELNS0_4arch9wavefront6targetE0EEEvT1_.numbered_sgpr, 0
	.set _ZN7rocprim17ROCPRIM_400000_NS6detail17trampoline_kernelINS0_14default_configENS1_27scan_by_key_config_selectorIxxEEZZNS1_16scan_by_key_implILNS1_25lookback_scan_determinismE0ELb0ES3_N6thrust23THRUST_200600_302600_NS6detail15normal_iteratorINS9_10device_ptrIxEEEESE_SE_xNS9_4plusIvEENS9_8equal_toIvEExEE10hipError_tPvRmT2_T3_T4_T5_mT6_T7_P12ihipStream_tbENKUlT_T0_E_clISt17integral_constantIbLb1EESZ_EEDaSU_SV_EUlSU_E_NS1_11comp_targetILNS1_3genE3ELNS1_11target_archE908ELNS1_3gpuE7ELNS1_3repE0EEENS1_30default_config_static_selectorELNS0_4arch9wavefront6targetE0EEEvT1_.num_named_barrier, 0
	.set _ZN7rocprim17ROCPRIM_400000_NS6detail17trampoline_kernelINS0_14default_configENS1_27scan_by_key_config_selectorIxxEEZZNS1_16scan_by_key_implILNS1_25lookback_scan_determinismE0ELb0ES3_N6thrust23THRUST_200600_302600_NS6detail15normal_iteratorINS9_10device_ptrIxEEEESE_SE_xNS9_4plusIvEENS9_8equal_toIvEExEE10hipError_tPvRmT2_T3_T4_T5_mT6_T7_P12ihipStream_tbENKUlT_T0_E_clISt17integral_constantIbLb1EESZ_EEDaSU_SV_EUlSU_E_NS1_11comp_targetILNS1_3genE3ELNS1_11target_archE908ELNS1_3gpuE7ELNS1_3repE0EEENS1_30default_config_static_selectorELNS0_4arch9wavefront6targetE0EEEvT1_.private_seg_size, 0
	.set _ZN7rocprim17ROCPRIM_400000_NS6detail17trampoline_kernelINS0_14default_configENS1_27scan_by_key_config_selectorIxxEEZZNS1_16scan_by_key_implILNS1_25lookback_scan_determinismE0ELb0ES3_N6thrust23THRUST_200600_302600_NS6detail15normal_iteratorINS9_10device_ptrIxEEEESE_SE_xNS9_4plusIvEENS9_8equal_toIvEExEE10hipError_tPvRmT2_T3_T4_T5_mT6_T7_P12ihipStream_tbENKUlT_T0_E_clISt17integral_constantIbLb1EESZ_EEDaSU_SV_EUlSU_E_NS1_11comp_targetILNS1_3genE3ELNS1_11target_archE908ELNS1_3gpuE7ELNS1_3repE0EEENS1_30default_config_static_selectorELNS0_4arch9wavefront6targetE0EEEvT1_.uses_vcc, 0
	.set _ZN7rocprim17ROCPRIM_400000_NS6detail17trampoline_kernelINS0_14default_configENS1_27scan_by_key_config_selectorIxxEEZZNS1_16scan_by_key_implILNS1_25lookback_scan_determinismE0ELb0ES3_N6thrust23THRUST_200600_302600_NS6detail15normal_iteratorINS9_10device_ptrIxEEEESE_SE_xNS9_4plusIvEENS9_8equal_toIvEExEE10hipError_tPvRmT2_T3_T4_T5_mT6_T7_P12ihipStream_tbENKUlT_T0_E_clISt17integral_constantIbLb1EESZ_EEDaSU_SV_EUlSU_E_NS1_11comp_targetILNS1_3genE3ELNS1_11target_archE908ELNS1_3gpuE7ELNS1_3repE0EEENS1_30default_config_static_selectorELNS0_4arch9wavefront6targetE0EEEvT1_.uses_flat_scratch, 0
	.set _ZN7rocprim17ROCPRIM_400000_NS6detail17trampoline_kernelINS0_14default_configENS1_27scan_by_key_config_selectorIxxEEZZNS1_16scan_by_key_implILNS1_25lookback_scan_determinismE0ELb0ES3_N6thrust23THRUST_200600_302600_NS6detail15normal_iteratorINS9_10device_ptrIxEEEESE_SE_xNS9_4plusIvEENS9_8equal_toIvEExEE10hipError_tPvRmT2_T3_T4_T5_mT6_T7_P12ihipStream_tbENKUlT_T0_E_clISt17integral_constantIbLb1EESZ_EEDaSU_SV_EUlSU_E_NS1_11comp_targetILNS1_3genE3ELNS1_11target_archE908ELNS1_3gpuE7ELNS1_3repE0EEENS1_30default_config_static_selectorELNS0_4arch9wavefront6targetE0EEEvT1_.has_dyn_sized_stack, 0
	.set _ZN7rocprim17ROCPRIM_400000_NS6detail17trampoline_kernelINS0_14default_configENS1_27scan_by_key_config_selectorIxxEEZZNS1_16scan_by_key_implILNS1_25lookback_scan_determinismE0ELb0ES3_N6thrust23THRUST_200600_302600_NS6detail15normal_iteratorINS9_10device_ptrIxEEEESE_SE_xNS9_4plusIvEENS9_8equal_toIvEExEE10hipError_tPvRmT2_T3_T4_T5_mT6_T7_P12ihipStream_tbENKUlT_T0_E_clISt17integral_constantIbLb1EESZ_EEDaSU_SV_EUlSU_E_NS1_11comp_targetILNS1_3genE3ELNS1_11target_archE908ELNS1_3gpuE7ELNS1_3repE0EEENS1_30default_config_static_selectorELNS0_4arch9wavefront6targetE0EEEvT1_.has_recursion, 0
	.set _ZN7rocprim17ROCPRIM_400000_NS6detail17trampoline_kernelINS0_14default_configENS1_27scan_by_key_config_selectorIxxEEZZNS1_16scan_by_key_implILNS1_25lookback_scan_determinismE0ELb0ES3_N6thrust23THRUST_200600_302600_NS6detail15normal_iteratorINS9_10device_ptrIxEEEESE_SE_xNS9_4plusIvEENS9_8equal_toIvEExEE10hipError_tPvRmT2_T3_T4_T5_mT6_T7_P12ihipStream_tbENKUlT_T0_E_clISt17integral_constantIbLb1EESZ_EEDaSU_SV_EUlSU_E_NS1_11comp_targetILNS1_3genE3ELNS1_11target_archE908ELNS1_3gpuE7ELNS1_3repE0EEENS1_30default_config_static_selectorELNS0_4arch9wavefront6targetE0EEEvT1_.has_indirect_call, 0
	.section	.AMDGPU.csdata,"",@progbits
; Kernel info:
; codeLenInByte = 0
; TotalNumSgprs: 0
; NumVgprs: 0
; ScratchSize: 0
; MemoryBound: 0
; FloatMode: 240
; IeeeMode: 1
; LDSByteSize: 0 bytes/workgroup (compile time only)
; SGPRBlocks: 0
; VGPRBlocks: 0
; NumSGPRsForWavesPerEU: 1
; NumVGPRsForWavesPerEU: 1
; Occupancy: 16
; WaveLimiterHint : 0
; COMPUTE_PGM_RSRC2:SCRATCH_EN: 0
; COMPUTE_PGM_RSRC2:USER_SGPR: 6
; COMPUTE_PGM_RSRC2:TRAP_HANDLER: 0
; COMPUTE_PGM_RSRC2:TGID_X_EN: 1
; COMPUTE_PGM_RSRC2:TGID_Y_EN: 0
; COMPUTE_PGM_RSRC2:TGID_Z_EN: 0
; COMPUTE_PGM_RSRC2:TIDIG_COMP_CNT: 0
	.section	.text._ZN7rocprim17ROCPRIM_400000_NS6detail17trampoline_kernelINS0_14default_configENS1_27scan_by_key_config_selectorIxxEEZZNS1_16scan_by_key_implILNS1_25lookback_scan_determinismE0ELb0ES3_N6thrust23THRUST_200600_302600_NS6detail15normal_iteratorINS9_10device_ptrIxEEEESE_SE_xNS9_4plusIvEENS9_8equal_toIvEExEE10hipError_tPvRmT2_T3_T4_T5_mT6_T7_P12ihipStream_tbENKUlT_T0_E_clISt17integral_constantIbLb1EESZ_EEDaSU_SV_EUlSU_E_NS1_11comp_targetILNS1_3genE2ELNS1_11target_archE906ELNS1_3gpuE6ELNS1_3repE0EEENS1_30default_config_static_selectorELNS0_4arch9wavefront6targetE0EEEvT1_,"axG",@progbits,_ZN7rocprim17ROCPRIM_400000_NS6detail17trampoline_kernelINS0_14default_configENS1_27scan_by_key_config_selectorIxxEEZZNS1_16scan_by_key_implILNS1_25lookback_scan_determinismE0ELb0ES3_N6thrust23THRUST_200600_302600_NS6detail15normal_iteratorINS9_10device_ptrIxEEEESE_SE_xNS9_4plusIvEENS9_8equal_toIvEExEE10hipError_tPvRmT2_T3_T4_T5_mT6_T7_P12ihipStream_tbENKUlT_T0_E_clISt17integral_constantIbLb1EESZ_EEDaSU_SV_EUlSU_E_NS1_11comp_targetILNS1_3genE2ELNS1_11target_archE906ELNS1_3gpuE6ELNS1_3repE0EEENS1_30default_config_static_selectorELNS0_4arch9wavefront6targetE0EEEvT1_,comdat
	.protected	_ZN7rocprim17ROCPRIM_400000_NS6detail17trampoline_kernelINS0_14default_configENS1_27scan_by_key_config_selectorIxxEEZZNS1_16scan_by_key_implILNS1_25lookback_scan_determinismE0ELb0ES3_N6thrust23THRUST_200600_302600_NS6detail15normal_iteratorINS9_10device_ptrIxEEEESE_SE_xNS9_4plusIvEENS9_8equal_toIvEExEE10hipError_tPvRmT2_T3_T4_T5_mT6_T7_P12ihipStream_tbENKUlT_T0_E_clISt17integral_constantIbLb1EESZ_EEDaSU_SV_EUlSU_E_NS1_11comp_targetILNS1_3genE2ELNS1_11target_archE906ELNS1_3gpuE6ELNS1_3repE0EEENS1_30default_config_static_selectorELNS0_4arch9wavefront6targetE0EEEvT1_ ; -- Begin function _ZN7rocprim17ROCPRIM_400000_NS6detail17trampoline_kernelINS0_14default_configENS1_27scan_by_key_config_selectorIxxEEZZNS1_16scan_by_key_implILNS1_25lookback_scan_determinismE0ELb0ES3_N6thrust23THRUST_200600_302600_NS6detail15normal_iteratorINS9_10device_ptrIxEEEESE_SE_xNS9_4plusIvEENS9_8equal_toIvEExEE10hipError_tPvRmT2_T3_T4_T5_mT6_T7_P12ihipStream_tbENKUlT_T0_E_clISt17integral_constantIbLb1EESZ_EEDaSU_SV_EUlSU_E_NS1_11comp_targetILNS1_3genE2ELNS1_11target_archE906ELNS1_3gpuE6ELNS1_3repE0EEENS1_30default_config_static_selectorELNS0_4arch9wavefront6targetE0EEEvT1_
	.globl	_ZN7rocprim17ROCPRIM_400000_NS6detail17trampoline_kernelINS0_14default_configENS1_27scan_by_key_config_selectorIxxEEZZNS1_16scan_by_key_implILNS1_25lookback_scan_determinismE0ELb0ES3_N6thrust23THRUST_200600_302600_NS6detail15normal_iteratorINS9_10device_ptrIxEEEESE_SE_xNS9_4plusIvEENS9_8equal_toIvEExEE10hipError_tPvRmT2_T3_T4_T5_mT6_T7_P12ihipStream_tbENKUlT_T0_E_clISt17integral_constantIbLb1EESZ_EEDaSU_SV_EUlSU_E_NS1_11comp_targetILNS1_3genE2ELNS1_11target_archE906ELNS1_3gpuE6ELNS1_3repE0EEENS1_30default_config_static_selectorELNS0_4arch9wavefront6targetE0EEEvT1_
	.p2align	8
	.type	_ZN7rocprim17ROCPRIM_400000_NS6detail17trampoline_kernelINS0_14default_configENS1_27scan_by_key_config_selectorIxxEEZZNS1_16scan_by_key_implILNS1_25lookback_scan_determinismE0ELb0ES3_N6thrust23THRUST_200600_302600_NS6detail15normal_iteratorINS9_10device_ptrIxEEEESE_SE_xNS9_4plusIvEENS9_8equal_toIvEExEE10hipError_tPvRmT2_T3_T4_T5_mT6_T7_P12ihipStream_tbENKUlT_T0_E_clISt17integral_constantIbLb1EESZ_EEDaSU_SV_EUlSU_E_NS1_11comp_targetILNS1_3genE2ELNS1_11target_archE906ELNS1_3gpuE6ELNS1_3repE0EEENS1_30default_config_static_selectorELNS0_4arch9wavefront6targetE0EEEvT1_,@function
_ZN7rocprim17ROCPRIM_400000_NS6detail17trampoline_kernelINS0_14default_configENS1_27scan_by_key_config_selectorIxxEEZZNS1_16scan_by_key_implILNS1_25lookback_scan_determinismE0ELb0ES3_N6thrust23THRUST_200600_302600_NS6detail15normal_iteratorINS9_10device_ptrIxEEEESE_SE_xNS9_4plusIvEENS9_8equal_toIvEExEE10hipError_tPvRmT2_T3_T4_T5_mT6_T7_P12ihipStream_tbENKUlT_T0_E_clISt17integral_constantIbLb1EESZ_EEDaSU_SV_EUlSU_E_NS1_11comp_targetILNS1_3genE2ELNS1_11target_archE906ELNS1_3gpuE6ELNS1_3repE0EEENS1_30default_config_static_selectorELNS0_4arch9wavefront6targetE0EEEvT1_: ; @_ZN7rocprim17ROCPRIM_400000_NS6detail17trampoline_kernelINS0_14default_configENS1_27scan_by_key_config_selectorIxxEEZZNS1_16scan_by_key_implILNS1_25lookback_scan_determinismE0ELb0ES3_N6thrust23THRUST_200600_302600_NS6detail15normal_iteratorINS9_10device_ptrIxEEEESE_SE_xNS9_4plusIvEENS9_8equal_toIvEExEE10hipError_tPvRmT2_T3_T4_T5_mT6_T7_P12ihipStream_tbENKUlT_T0_E_clISt17integral_constantIbLb1EESZ_EEDaSU_SV_EUlSU_E_NS1_11comp_targetILNS1_3genE2ELNS1_11target_archE906ELNS1_3gpuE6ELNS1_3repE0EEENS1_30default_config_static_selectorELNS0_4arch9wavefront6targetE0EEEvT1_
; %bb.0:
	.section	.rodata,"a",@progbits
	.p2align	6, 0x0
	.amdhsa_kernel _ZN7rocprim17ROCPRIM_400000_NS6detail17trampoline_kernelINS0_14default_configENS1_27scan_by_key_config_selectorIxxEEZZNS1_16scan_by_key_implILNS1_25lookback_scan_determinismE0ELb0ES3_N6thrust23THRUST_200600_302600_NS6detail15normal_iteratorINS9_10device_ptrIxEEEESE_SE_xNS9_4plusIvEENS9_8equal_toIvEExEE10hipError_tPvRmT2_T3_T4_T5_mT6_T7_P12ihipStream_tbENKUlT_T0_E_clISt17integral_constantIbLb1EESZ_EEDaSU_SV_EUlSU_E_NS1_11comp_targetILNS1_3genE2ELNS1_11target_archE906ELNS1_3gpuE6ELNS1_3repE0EEENS1_30default_config_static_selectorELNS0_4arch9wavefront6targetE0EEEvT1_
		.amdhsa_group_segment_fixed_size 0
		.amdhsa_private_segment_fixed_size 0
		.amdhsa_kernarg_size 136
		.amdhsa_user_sgpr_count 6
		.amdhsa_user_sgpr_private_segment_buffer 1
		.amdhsa_user_sgpr_dispatch_ptr 0
		.amdhsa_user_sgpr_queue_ptr 0
		.amdhsa_user_sgpr_kernarg_segment_ptr 1
		.amdhsa_user_sgpr_dispatch_id 0
		.amdhsa_user_sgpr_flat_scratch_init 0
		.amdhsa_user_sgpr_private_segment_size 0
		.amdhsa_wavefront_size32 1
		.amdhsa_uses_dynamic_stack 0
		.amdhsa_system_sgpr_private_segment_wavefront_offset 0
		.amdhsa_system_sgpr_workgroup_id_x 1
		.amdhsa_system_sgpr_workgroup_id_y 0
		.amdhsa_system_sgpr_workgroup_id_z 0
		.amdhsa_system_sgpr_workgroup_info 0
		.amdhsa_system_vgpr_workitem_id 0
		.amdhsa_next_free_vgpr 1
		.amdhsa_next_free_sgpr 1
		.amdhsa_reserve_vcc 0
		.amdhsa_reserve_flat_scratch 0
		.amdhsa_float_round_mode_32 0
		.amdhsa_float_round_mode_16_64 0
		.amdhsa_float_denorm_mode_32 3
		.amdhsa_float_denorm_mode_16_64 3
		.amdhsa_dx10_clamp 1
		.amdhsa_ieee_mode 1
		.amdhsa_fp16_overflow 0
		.amdhsa_workgroup_processor_mode 1
		.amdhsa_memory_ordered 1
		.amdhsa_forward_progress 1
		.amdhsa_shared_vgpr_count 0
		.amdhsa_exception_fp_ieee_invalid_op 0
		.amdhsa_exception_fp_denorm_src 0
		.amdhsa_exception_fp_ieee_div_zero 0
		.amdhsa_exception_fp_ieee_overflow 0
		.amdhsa_exception_fp_ieee_underflow 0
		.amdhsa_exception_fp_ieee_inexact 0
		.amdhsa_exception_int_div_zero 0
	.end_amdhsa_kernel
	.section	.text._ZN7rocprim17ROCPRIM_400000_NS6detail17trampoline_kernelINS0_14default_configENS1_27scan_by_key_config_selectorIxxEEZZNS1_16scan_by_key_implILNS1_25lookback_scan_determinismE0ELb0ES3_N6thrust23THRUST_200600_302600_NS6detail15normal_iteratorINS9_10device_ptrIxEEEESE_SE_xNS9_4plusIvEENS9_8equal_toIvEExEE10hipError_tPvRmT2_T3_T4_T5_mT6_T7_P12ihipStream_tbENKUlT_T0_E_clISt17integral_constantIbLb1EESZ_EEDaSU_SV_EUlSU_E_NS1_11comp_targetILNS1_3genE2ELNS1_11target_archE906ELNS1_3gpuE6ELNS1_3repE0EEENS1_30default_config_static_selectorELNS0_4arch9wavefront6targetE0EEEvT1_,"axG",@progbits,_ZN7rocprim17ROCPRIM_400000_NS6detail17trampoline_kernelINS0_14default_configENS1_27scan_by_key_config_selectorIxxEEZZNS1_16scan_by_key_implILNS1_25lookback_scan_determinismE0ELb0ES3_N6thrust23THRUST_200600_302600_NS6detail15normal_iteratorINS9_10device_ptrIxEEEESE_SE_xNS9_4plusIvEENS9_8equal_toIvEExEE10hipError_tPvRmT2_T3_T4_T5_mT6_T7_P12ihipStream_tbENKUlT_T0_E_clISt17integral_constantIbLb1EESZ_EEDaSU_SV_EUlSU_E_NS1_11comp_targetILNS1_3genE2ELNS1_11target_archE906ELNS1_3gpuE6ELNS1_3repE0EEENS1_30default_config_static_selectorELNS0_4arch9wavefront6targetE0EEEvT1_,comdat
.Lfunc_end21:
	.size	_ZN7rocprim17ROCPRIM_400000_NS6detail17trampoline_kernelINS0_14default_configENS1_27scan_by_key_config_selectorIxxEEZZNS1_16scan_by_key_implILNS1_25lookback_scan_determinismE0ELb0ES3_N6thrust23THRUST_200600_302600_NS6detail15normal_iteratorINS9_10device_ptrIxEEEESE_SE_xNS9_4plusIvEENS9_8equal_toIvEExEE10hipError_tPvRmT2_T3_T4_T5_mT6_T7_P12ihipStream_tbENKUlT_T0_E_clISt17integral_constantIbLb1EESZ_EEDaSU_SV_EUlSU_E_NS1_11comp_targetILNS1_3genE2ELNS1_11target_archE906ELNS1_3gpuE6ELNS1_3repE0EEENS1_30default_config_static_selectorELNS0_4arch9wavefront6targetE0EEEvT1_, .Lfunc_end21-_ZN7rocprim17ROCPRIM_400000_NS6detail17trampoline_kernelINS0_14default_configENS1_27scan_by_key_config_selectorIxxEEZZNS1_16scan_by_key_implILNS1_25lookback_scan_determinismE0ELb0ES3_N6thrust23THRUST_200600_302600_NS6detail15normal_iteratorINS9_10device_ptrIxEEEESE_SE_xNS9_4plusIvEENS9_8equal_toIvEExEE10hipError_tPvRmT2_T3_T4_T5_mT6_T7_P12ihipStream_tbENKUlT_T0_E_clISt17integral_constantIbLb1EESZ_EEDaSU_SV_EUlSU_E_NS1_11comp_targetILNS1_3genE2ELNS1_11target_archE906ELNS1_3gpuE6ELNS1_3repE0EEENS1_30default_config_static_selectorELNS0_4arch9wavefront6targetE0EEEvT1_
                                        ; -- End function
	.set _ZN7rocprim17ROCPRIM_400000_NS6detail17trampoline_kernelINS0_14default_configENS1_27scan_by_key_config_selectorIxxEEZZNS1_16scan_by_key_implILNS1_25lookback_scan_determinismE0ELb0ES3_N6thrust23THRUST_200600_302600_NS6detail15normal_iteratorINS9_10device_ptrIxEEEESE_SE_xNS9_4plusIvEENS9_8equal_toIvEExEE10hipError_tPvRmT2_T3_T4_T5_mT6_T7_P12ihipStream_tbENKUlT_T0_E_clISt17integral_constantIbLb1EESZ_EEDaSU_SV_EUlSU_E_NS1_11comp_targetILNS1_3genE2ELNS1_11target_archE906ELNS1_3gpuE6ELNS1_3repE0EEENS1_30default_config_static_selectorELNS0_4arch9wavefront6targetE0EEEvT1_.num_vgpr, 0
	.set _ZN7rocprim17ROCPRIM_400000_NS6detail17trampoline_kernelINS0_14default_configENS1_27scan_by_key_config_selectorIxxEEZZNS1_16scan_by_key_implILNS1_25lookback_scan_determinismE0ELb0ES3_N6thrust23THRUST_200600_302600_NS6detail15normal_iteratorINS9_10device_ptrIxEEEESE_SE_xNS9_4plusIvEENS9_8equal_toIvEExEE10hipError_tPvRmT2_T3_T4_T5_mT6_T7_P12ihipStream_tbENKUlT_T0_E_clISt17integral_constantIbLb1EESZ_EEDaSU_SV_EUlSU_E_NS1_11comp_targetILNS1_3genE2ELNS1_11target_archE906ELNS1_3gpuE6ELNS1_3repE0EEENS1_30default_config_static_selectorELNS0_4arch9wavefront6targetE0EEEvT1_.num_agpr, 0
	.set _ZN7rocprim17ROCPRIM_400000_NS6detail17trampoline_kernelINS0_14default_configENS1_27scan_by_key_config_selectorIxxEEZZNS1_16scan_by_key_implILNS1_25lookback_scan_determinismE0ELb0ES3_N6thrust23THRUST_200600_302600_NS6detail15normal_iteratorINS9_10device_ptrIxEEEESE_SE_xNS9_4plusIvEENS9_8equal_toIvEExEE10hipError_tPvRmT2_T3_T4_T5_mT6_T7_P12ihipStream_tbENKUlT_T0_E_clISt17integral_constantIbLb1EESZ_EEDaSU_SV_EUlSU_E_NS1_11comp_targetILNS1_3genE2ELNS1_11target_archE906ELNS1_3gpuE6ELNS1_3repE0EEENS1_30default_config_static_selectorELNS0_4arch9wavefront6targetE0EEEvT1_.numbered_sgpr, 0
	.set _ZN7rocprim17ROCPRIM_400000_NS6detail17trampoline_kernelINS0_14default_configENS1_27scan_by_key_config_selectorIxxEEZZNS1_16scan_by_key_implILNS1_25lookback_scan_determinismE0ELb0ES3_N6thrust23THRUST_200600_302600_NS6detail15normal_iteratorINS9_10device_ptrIxEEEESE_SE_xNS9_4plusIvEENS9_8equal_toIvEExEE10hipError_tPvRmT2_T3_T4_T5_mT6_T7_P12ihipStream_tbENKUlT_T0_E_clISt17integral_constantIbLb1EESZ_EEDaSU_SV_EUlSU_E_NS1_11comp_targetILNS1_3genE2ELNS1_11target_archE906ELNS1_3gpuE6ELNS1_3repE0EEENS1_30default_config_static_selectorELNS0_4arch9wavefront6targetE0EEEvT1_.num_named_barrier, 0
	.set _ZN7rocprim17ROCPRIM_400000_NS6detail17trampoline_kernelINS0_14default_configENS1_27scan_by_key_config_selectorIxxEEZZNS1_16scan_by_key_implILNS1_25lookback_scan_determinismE0ELb0ES3_N6thrust23THRUST_200600_302600_NS6detail15normal_iteratorINS9_10device_ptrIxEEEESE_SE_xNS9_4plusIvEENS9_8equal_toIvEExEE10hipError_tPvRmT2_T3_T4_T5_mT6_T7_P12ihipStream_tbENKUlT_T0_E_clISt17integral_constantIbLb1EESZ_EEDaSU_SV_EUlSU_E_NS1_11comp_targetILNS1_3genE2ELNS1_11target_archE906ELNS1_3gpuE6ELNS1_3repE0EEENS1_30default_config_static_selectorELNS0_4arch9wavefront6targetE0EEEvT1_.private_seg_size, 0
	.set _ZN7rocprim17ROCPRIM_400000_NS6detail17trampoline_kernelINS0_14default_configENS1_27scan_by_key_config_selectorIxxEEZZNS1_16scan_by_key_implILNS1_25lookback_scan_determinismE0ELb0ES3_N6thrust23THRUST_200600_302600_NS6detail15normal_iteratorINS9_10device_ptrIxEEEESE_SE_xNS9_4plusIvEENS9_8equal_toIvEExEE10hipError_tPvRmT2_T3_T4_T5_mT6_T7_P12ihipStream_tbENKUlT_T0_E_clISt17integral_constantIbLb1EESZ_EEDaSU_SV_EUlSU_E_NS1_11comp_targetILNS1_3genE2ELNS1_11target_archE906ELNS1_3gpuE6ELNS1_3repE0EEENS1_30default_config_static_selectorELNS0_4arch9wavefront6targetE0EEEvT1_.uses_vcc, 0
	.set _ZN7rocprim17ROCPRIM_400000_NS6detail17trampoline_kernelINS0_14default_configENS1_27scan_by_key_config_selectorIxxEEZZNS1_16scan_by_key_implILNS1_25lookback_scan_determinismE0ELb0ES3_N6thrust23THRUST_200600_302600_NS6detail15normal_iteratorINS9_10device_ptrIxEEEESE_SE_xNS9_4plusIvEENS9_8equal_toIvEExEE10hipError_tPvRmT2_T3_T4_T5_mT6_T7_P12ihipStream_tbENKUlT_T0_E_clISt17integral_constantIbLb1EESZ_EEDaSU_SV_EUlSU_E_NS1_11comp_targetILNS1_3genE2ELNS1_11target_archE906ELNS1_3gpuE6ELNS1_3repE0EEENS1_30default_config_static_selectorELNS0_4arch9wavefront6targetE0EEEvT1_.uses_flat_scratch, 0
	.set _ZN7rocprim17ROCPRIM_400000_NS6detail17trampoline_kernelINS0_14default_configENS1_27scan_by_key_config_selectorIxxEEZZNS1_16scan_by_key_implILNS1_25lookback_scan_determinismE0ELb0ES3_N6thrust23THRUST_200600_302600_NS6detail15normal_iteratorINS9_10device_ptrIxEEEESE_SE_xNS9_4plusIvEENS9_8equal_toIvEExEE10hipError_tPvRmT2_T3_T4_T5_mT6_T7_P12ihipStream_tbENKUlT_T0_E_clISt17integral_constantIbLb1EESZ_EEDaSU_SV_EUlSU_E_NS1_11comp_targetILNS1_3genE2ELNS1_11target_archE906ELNS1_3gpuE6ELNS1_3repE0EEENS1_30default_config_static_selectorELNS0_4arch9wavefront6targetE0EEEvT1_.has_dyn_sized_stack, 0
	.set _ZN7rocprim17ROCPRIM_400000_NS6detail17trampoline_kernelINS0_14default_configENS1_27scan_by_key_config_selectorIxxEEZZNS1_16scan_by_key_implILNS1_25lookback_scan_determinismE0ELb0ES3_N6thrust23THRUST_200600_302600_NS6detail15normal_iteratorINS9_10device_ptrIxEEEESE_SE_xNS9_4plusIvEENS9_8equal_toIvEExEE10hipError_tPvRmT2_T3_T4_T5_mT6_T7_P12ihipStream_tbENKUlT_T0_E_clISt17integral_constantIbLb1EESZ_EEDaSU_SV_EUlSU_E_NS1_11comp_targetILNS1_3genE2ELNS1_11target_archE906ELNS1_3gpuE6ELNS1_3repE0EEENS1_30default_config_static_selectorELNS0_4arch9wavefront6targetE0EEEvT1_.has_recursion, 0
	.set _ZN7rocprim17ROCPRIM_400000_NS6detail17trampoline_kernelINS0_14default_configENS1_27scan_by_key_config_selectorIxxEEZZNS1_16scan_by_key_implILNS1_25lookback_scan_determinismE0ELb0ES3_N6thrust23THRUST_200600_302600_NS6detail15normal_iteratorINS9_10device_ptrIxEEEESE_SE_xNS9_4plusIvEENS9_8equal_toIvEExEE10hipError_tPvRmT2_T3_T4_T5_mT6_T7_P12ihipStream_tbENKUlT_T0_E_clISt17integral_constantIbLb1EESZ_EEDaSU_SV_EUlSU_E_NS1_11comp_targetILNS1_3genE2ELNS1_11target_archE906ELNS1_3gpuE6ELNS1_3repE0EEENS1_30default_config_static_selectorELNS0_4arch9wavefront6targetE0EEEvT1_.has_indirect_call, 0
	.section	.AMDGPU.csdata,"",@progbits
; Kernel info:
; codeLenInByte = 0
; TotalNumSgprs: 0
; NumVgprs: 0
; ScratchSize: 0
; MemoryBound: 0
; FloatMode: 240
; IeeeMode: 1
; LDSByteSize: 0 bytes/workgroup (compile time only)
; SGPRBlocks: 0
; VGPRBlocks: 0
; NumSGPRsForWavesPerEU: 1
; NumVGPRsForWavesPerEU: 1
; Occupancy: 16
; WaveLimiterHint : 0
; COMPUTE_PGM_RSRC2:SCRATCH_EN: 0
; COMPUTE_PGM_RSRC2:USER_SGPR: 6
; COMPUTE_PGM_RSRC2:TRAP_HANDLER: 0
; COMPUTE_PGM_RSRC2:TGID_X_EN: 1
; COMPUTE_PGM_RSRC2:TGID_Y_EN: 0
; COMPUTE_PGM_RSRC2:TGID_Z_EN: 0
; COMPUTE_PGM_RSRC2:TIDIG_COMP_CNT: 0
	.section	.text._ZN7rocprim17ROCPRIM_400000_NS6detail17trampoline_kernelINS0_14default_configENS1_27scan_by_key_config_selectorIxxEEZZNS1_16scan_by_key_implILNS1_25lookback_scan_determinismE0ELb0ES3_N6thrust23THRUST_200600_302600_NS6detail15normal_iteratorINS9_10device_ptrIxEEEESE_SE_xNS9_4plusIvEENS9_8equal_toIvEExEE10hipError_tPvRmT2_T3_T4_T5_mT6_T7_P12ihipStream_tbENKUlT_T0_E_clISt17integral_constantIbLb1EESZ_EEDaSU_SV_EUlSU_E_NS1_11comp_targetILNS1_3genE10ELNS1_11target_archE1200ELNS1_3gpuE4ELNS1_3repE0EEENS1_30default_config_static_selectorELNS0_4arch9wavefront6targetE0EEEvT1_,"axG",@progbits,_ZN7rocprim17ROCPRIM_400000_NS6detail17trampoline_kernelINS0_14default_configENS1_27scan_by_key_config_selectorIxxEEZZNS1_16scan_by_key_implILNS1_25lookback_scan_determinismE0ELb0ES3_N6thrust23THRUST_200600_302600_NS6detail15normal_iteratorINS9_10device_ptrIxEEEESE_SE_xNS9_4plusIvEENS9_8equal_toIvEExEE10hipError_tPvRmT2_T3_T4_T5_mT6_T7_P12ihipStream_tbENKUlT_T0_E_clISt17integral_constantIbLb1EESZ_EEDaSU_SV_EUlSU_E_NS1_11comp_targetILNS1_3genE10ELNS1_11target_archE1200ELNS1_3gpuE4ELNS1_3repE0EEENS1_30default_config_static_selectorELNS0_4arch9wavefront6targetE0EEEvT1_,comdat
	.protected	_ZN7rocprim17ROCPRIM_400000_NS6detail17trampoline_kernelINS0_14default_configENS1_27scan_by_key_config_selectorIxxEEZZNS1_16scan_by_key_implILNS1_25lookback_scan_determinismE0ELb0ES3_N6thrust23THRUST_200600_302600_NS6detail15normal_iteratorINS9_10device_ptrIxEEEESE_SE_xNS9_4plusIvEENS9_8equal_toIvEExEE10hipError_tPvRmT2_T3_T4_T5_mT6_T7_P12ihipStream_tbENKUlT_T0_E_clISt17integral_constantIbLb1EESZ_EEDaSU_SV_EUlSU_E_NS1_11comp_targetILNS1_3genE10ELNS1_11target_archE1200ELNS1_3gpuE4ELNS1_3repE0EEENS1_30default_config_static_selectorELNS0_4arch9wavefront6targetE0EEEvT1_ ; -- Begin function _ZN7rocprim17ROCPRIM_400000_NS6detail17trampoline_kernelINS0_14default_configENS1_27scan_by_key_config_selectorIxxEEZZNS1_16scan_by_key_implILNS1_25lookback_scan_determinismE0ELb0ES3_N6thrust23THRUST_200600_302600_NS6detail15normal_iteratorINS9_10device_ptrIxEEEESE_SE_xNS9_4plusIvEENS9_8equal_toIvEExEE10hipError_tPvRmT2_T3_T4_T5_mT6_T7_P12ihipStream_tbENKUlT_T0_E_clISt17integral_constantIbLb1EESZ_EEDaSU_SV_EUlSU_E_NS1_11comp_targetILNS1_3genE10ELNS1_11target_archE1200ELNS1_3gpuE4ELNS1_3repE0EEENS1_30default_config_static_selectorELNS0_4arch9wavefront6targetE0EEEvT1_
	.globl	_ZN7rocprim17ROCPRIM_400000_NS6detail17trampoline_kernelINS0_14default_configENS1_27scan_by_key_config_selectorIxxEEZZNS1_16scan_by_key_implILNS1_25lookback_scan_determinismE0ELb0ES3_N6thrust23THRUST_200600_302600_NS6detail15normal_iteratorINS9_10device_ptrIxEEEESE_SE_xNS9_4plusIvEENS9_8equal_toIvEExEE10hipError_tPvRmT2_T3_T4_T5_mT6_T7_P12ihipStream_tbENKUlT_T0_E_clISt17integral_constantIbLb1EESZ_EEDaSU_SV_EUlSU_E_NS1_11comp_targetILNS1_3genE10ELNS1_11target_archE1200ELNS1_3gpuE4ELNS1_3repE0EEENS1_30default_config_static_selectorELNS0_4arch9wavefront6targetE0EEEvT1_
	.p2align	8
	.type	_ZN7rocprim17ROCPRIM_400000_NS6detail17trampoline_kernelINS0_14default_configENS1_27scan_by_key_config_selectorIxxEEZZNS1_16scan_by_key_implILNS1_25lookback_scan_determinismE0ELb0ES3_N6thrust23THRUST_200600_302600_NS6detail15normal_iteratorINS9_10device_ptrIxEEEESE_SE_xNS9_4plusIvEENS9_8equal_toIvEExEE10hipError_tPvRmT2_T3_T4_T5_mT6_T7_P12ihipStream_tbENKUlT_T0_E_clISt17integral_constantIbLb1EESZ_EEDaSU_SV_EUlSU_E_NS1_11comp_targetILNS1_3genE10ELNS1_11target_archE1200ELNS1_3gpuE4ELNS1_3repE0EEENS1_30default_config_static_selectorELNS0_4arch9wavefront6targetE0EEEvT1_,@function
_ZN7rocprim17ROCPRIM_400000_NS6detail17trampoline_kernelINS0_14default_configENS1_27scan_by_key_config_selectorIxxEEZZNS1_16scan_by_key_implILNS1_25lookback_scan_determinismE0ELb0ES3_N6thrust23THRUST_200600_302600_NS6detail15normal_iteratorINS9_10device_ptrIxEEEESE_SE_xNS9_4plusIvEENS9_8equal_toIvEExEE10hipError_tPvRmT2_T3_T4_T5_mT6_T7_P12ihipStream_tbENKUlT_T0_E_clISt17integral_constantIbLb1EESZ_EEDaSU_SV_EUlSU_E_NS1_11comp_targetILNS1_3genE10ELNS1_11target_archE1200ELNS1_3gpuE4ELNS1_3repE0EEENS1_30default_config_static_selectorELNS0_4arch9wavefront6targetE0EEEvT1_: ; @_ZN7rocprim17ROCPRIM_400000_NS6detail17trampoline_kernelINS0_14default_configENS1_27scan_by_key_config_selectorIxxEEZZNS1_16scan_by_key_implILNS1_25lookback_scan_determinismE0ELb0ES3_N6thrust23THRUST_200600_302600_NS6detail15normal_iteratorINS9_10device_ptrIxEEEESE_SE_xNS9_4plusIvEENS9_8equal_toIvEExEE10hipError_tPvRmT2_T3_T4_T5_mT6_T7_P12ihipStream_tbENKUlT_T0_E_clISt17integral_constantIbLb1EESZ_EEDaSU_SV_EUlSU_E_NS1_11comp_targetILNS1_3genE10ELNS1_11target_archE1200ELNS1_3gpuE4ELNS1_3repE0EEENS1_30default_config_static_selectorELNS0_4arch9wavefront6targetE0EEEvT1_
; %bb.0:
	.section	.rodata,"a",@progbits
	.p2align	6, 0x0
	.amdhsa_kernel _ZN7rocprim17ROCPRIM_400000_NS6detail17trampoline_kernelINS0_14default_configENS1_27scan_by_key_config_selectorIxxEEZZNS1_16scan_by_key_implILNS1_25lookback_scan_determinismE0ELb0ES3_N6thrust23THRUST_200600_302600_NS6detail15normal_iteratorINS9_10device_ptrIxEEEESE_SE_xNS9_4plusIvEENS9_8equal_toIvEExEE10hipError_tPvRmT2_T3_T4_T5_mT6_T7_P12ihipStream_tbENKUlT_T0_E_clISt17integral_constantIbLb1EESZ_EEDaSU_SV_EUlSU_E_NS1_11comp_targetILNS1_3genE10ELNS1_11target_archE1200ELNS1_3gpuE4ELNS1_3repE0EEENS1_30default_config_static_selectorELNS0_4arch9wavefront6targetE0EEEvT1_
		.amdhsa_group_segment_fixed_size 0
		.amdhsa_private_segment_fixed_size 0
		.amdhsa_kernarg_size 136
		.amdhsa_user_sgpr_count 6
		.amdhsa_user_sgpr_private_segment_buffer 1
		.amdhsa_user_sgpr_dispatch_ptr 0
		.amdhsa_user_sgpr_queue_ptr 0
		.amdhsa_user_sgpr_kernarg_segment_ptr 1
		.amdhsa_user_sgpr_dispatch_id 0
		.amdhsa_user_sgpr_flat_scratch_init 0
		.amdhsa_user_sgpr_private_segment_size 0
		.amdhsa_wavefront_size32 1
		.amdhsa_uses_dynamic_stack 0
		.amdhsa_system_sgpr_private_segment_wavefront_offset 0
		.amdhsa_system_sgpr_workgroup_id_x 1
		.amdhsa_system_sgpr_workgroup_id_y 0
		.amdhsa_system_sgpr_workgroup_id_z 0
		.amdhsa_system_sgpr_workgroup_info 0
		.amdhsa_system_vgpr_workitem_id 0
		.amdhsa_next_free_vgpr 1
		.amdhsa_next_free_sgpr 1
		.amdhsa_reserve_vcc 0
		.amdhsa_reserve_flat_scratch 0
		.amdhsa_float_round_mode_32 0
		.amdhsa_float_round_mode_16_64 0
		.amdhsa_float_denorm_mode_32 3
		.amdhsa_float_denorm_mode_16_64 3
		.amdhsa_dx10_clamp 1
		.amdhsa_ieee_mode 1
		.amdhsa_fp16_overflow 0
		.amdhsa_workgroup_processor_mode 1
		.amdhsa_memory_ordered 1
		.amdhsa_forward_progress 1
		.amdhsa_shared_vgpr_count 0
		.amdhsa_exception_fp_ieee_invalid_op 0
		.amdhsa_exception_fp_denorm_src 0
		.amdhsa_exception_fp_ieee_div_zero 0
		.amdhsa_exception_fp_ieee_overflow 0
		.amdhsa_exception_fp_ieee_underflow 0
		.amdhsa_exception_fp_ieee_inexact 0
		.amdhsa_exception_int_div_zero 0
	.end_amdhsa_kernel
	.section	.text._ZN7rocprim17ROCPRIM_400000_NS6detail17trampoline_kernelINS0_14default_configENS1_27scan_by_key_config_selectorIxxEEZZNS1_16scan_by_key_implILNS1_25lookback_scan_determinismE0ELb0ES3_N6thrust23THRUST_200600_302600_NS6detail15normal_iteratorINS9_10device_ptrIxEEEESE_SE_xNS9_4plusIvEENS9_8equal_toIvEExEE10hipError_tPvRmT2_T3_T4_T5_mT6_T7_P12ihipStream_tbENKUlT_T0_E_clISt17integral_constantIbLb1EESZ_EEDaSU_SV_EUlSU_E_NS1_11comp_targetILNS1_3genE10ELNS1_11target_archE1200ELNS1_3gpuE4ELNS1_3repE0EEENS1_30default_config_static_selectorELNS0_4arch9wavefront6targetE0EEEvT1_,"axG",@progbits,_ZN7rocprim17ROCPRIM_400000_NS6detail17trampoline_kernelINS0_14default_configENS1_27scan_by_key_config_selectorIxxEEZZNS1_16scan_by_key_implILNS1_25lookback_scan_determinismE0ELb0ES3_N6thrust23THRUST_200600_302600_NS6detail15normal_iteratorINS9_10device_ptrIxEEEESE_SE_xNS9_4plusIvEENS9_8equal_toIvEExEE10hipError_tPvRmT2_T3_T4_T5_mT6_T7_P12ihipStream_tbENKUlT_T0_E_clISt17integral_constantIbLb1EESZ_EEDaSU_SV_EUlSU_E_NS1_11comp_targetILNS1_3genE10ELNS1_11target_archE1200ELNS1_3gpuE4ELNS1_3repE0EEENS1_30default_config_static_selectorELNS0_4arch9wavefront6targetE0EEEvT1_,comdat
.Lfunc_end22:
	.size	_ZN7rocprim17ROCPRIM_400000_NS6detail17trampoline_kernelINS0_14default_configENS1_27scan_by_key_config_selectorIxxEEZZNS1_16scan_by_key_implILNS1_25lookback_scan_determinismE0ELb0ES3_N6thrust23THRUST_200600_302600_NS6detail15normal_iteratorINS9_10device_ptrIxEEEESE_SE_xNS9_4plusIvEENS9_8equal_toIvEExEE10hipError_tPvRmT2_T3_T4_T5_mT6_T7_P12ihipStream_tbENKUlT_T0_E_clISt17integral_constantIbLb1EESZ_EEDaSU_SV_EUlSU_E_NS1_11comp_targetILNS1_3genE10ELNS1_11target_archE1200ELNS1_3gpuE4ELNS1_3repE0EEENS1_30default_config_static_selectorELNS0_4arch9wavefront6targetE0EEEvT1_, .Lfunc_end22-_ZN7rocprim17ROCPRIM_400000_NS6detail17trampoline_kernelINS0_14default_configENS1_27scan_by_key_config_selectorIxxEEZZNS1_16scan_by_key_implILNS1_25lookback_scan_determinismE0ELb0ES3_N6thrust23THRUST_200600_302600_NS6detail15normal_iteratorINS9_10device_ptrIxEEEESE_SE_xNS9_4plusIvEENS9_8equal_toIvEExEE10hipError_tPvRmT2_T3_T4_T5_mT6_T7_P12ihipStream_tbENKUlT_T0_E_clISt17integral_constantIbLb1EESZ_EEDaSU_SV_EUlSU_E_NS1_11comp_targetILNS1_3genE10ELNS1_11target_archE1200ELNS1_3gpuE4ELNS1_3repE0EEENS1_30default_config_static_selectorELNS0_4arch9wavefront6targetE0EEEvT1_
                                        ; -- End function
	.set _ZN7rocprim17ROCPRIM_400000_NS6detail17trampoline_kernelINS0_14default_configENS1_27scan_by_key_config_selectorIxxEEZZNS1_16scan_by_key_implILNS1_25lookback_scan_determinismE0ELb0ES3_N6thrust23THRUST_200600_302600_NS6detail15normal_iteratorINS9_10device_ptrIxEEEESE_SE_xNS9_4plusIvEENS9_8equal_toIvEExEE10hipError_tPvRmT2_T3_T4_T5_mT6_T7_P12ihipStream_tbENKUlT_T0_E_clISt17integral_constantIbLb1EESZ_EEDaSU_SV_EUlSU_E_NS1_11comp_targetILNS1_3genE10ELNS1_11target_archE1200ELNS1_3gpuE4ELNS1_3repE0EEENS1_30default_config_static_selectorELNS0_4arch9wavefront6targetE0EEEvT1_.num_vgpr, 0
	.set _ZN7rocprim17ROCPRIM_400000_NS6detail17trampoline_kernelINS0_14default_configENS1_27scan_by_key_config_selectorIxxEEZZNS1_16scan_by_key_implILNS1_25lookback_scan_determinismE0ELb0ES3_N6thrust23THRUST_200600_302600_NS6detail15normal_iteratorINS9_10device_ptrIxEEEESE_SE_xNS9_4plusIvEENS9_8equal_toIvEExEE10hipError_tPvRmT2_T3_T4_T5_mT6_T7_P12ihipStream_tbENKUlT_T0_E_clISt17integral_constantIbLb1EESZ_EEDaSU_SV_EUlSU_E_NS1_11comp_targetILNS1_3genE10ELNS1_11target_archE1200ELNS1_3gpuE4ELNS1_3repE0EEENS1_30default_config_static_selectorELNS0_4arch9wavefront6targetE0EEEvT1_.num_agpr, 0
	.set _ZN7rocprim17ROCPRIM_400000_NS6detail17trampoline_kernelINS0_14default_configENS1_27scan_by_key_config_selectorIxxEEZZNS1_16scan_by_key_implILNS1_25lookback_scan_determinismE0ELb0ES3_N6thrust23THRUST_200600_302600_NS6detail15normal_iteratorINS9_10device_ptrIxEEEESE_SE_xNS9_4plusIvEENS9_8equal_toIvEExEE10hipError_tPvRmT2_T3_T4_T5_mT6_T7_P12ihipStream_tbENKUlT_T0_E_clISt17integral_constantIbLb1EESZ_EEDaSU_SV_EUlSU_E_NS1_11comp_targetILNS1_3genE10ELNS1_11target_archE1200ELNS1_3gpuE4ELNS1_3repE0EEENS1_30default_config_static_selectorELNS0_4arch9wavefront6targetE0EEEvT1_.numbered_sgpr, 0
	.set _ZN7rocprim17ROCPRIM_400000_NS6detail17trampoline_kernelINS0_14default_configENS1_27scan_by_key_config_selectorIxxEEZZNS1_16scan_by_key_implILNS1_25lookback_scan_determinismE0ELb0ES3_N6thrust23THRUST_200600_302600_NS6detail15normal_iteratorINS9_10device_ptrIxEEEESE_SE_xNS9_4plusIvEENS9_8equal_toIvEExEE10hipError_tPvRmT2_T3_T4_T5_mT6_T7_P12ihipStream_tbENKUlT_T0_E_clISt17integral_constantIbLb1EESZ_EEDaSU_SV_EUlSU_E_NS1_11comp_targetILNS1_3genE10ELNS1_11target_archE1200ELNS1_3gpuE4ELNS1_3repE0EEENS1_30default_config_static_selectorELNS0_4arch9wavefront6targetE0EEEvT1_.num_named_barrier, 0
	.set _ZN7rocprim17ROCPRIM_400000_NS6detail17trampoline_kernelINS0_14default_configENS1_27scan_by_key_config_selectorIxxEEZZNS1_16scan_by_key_implILNS1_25lookback_scan_determinismE0ELb0ES3_N6thrust23THRUST_200600_302600_NS6detail15normal_iteratorINS9_10device_ptrIxEEEESE_SE_xNS9_4plusIvEENS9_8equal_toIvEExEE10hipError_tPvRmT2_T3_T4_T5_mT6_T7_P12ihipStream_tbENKUlT_T0_E_clISt17integral_constantIbLb1EESZ_EEDaSU_SV_EUlSU_E_NS1_11comp_targetILNS1_3genE10ELNS1_11target_archE1200ELNS1_3gpuE4ELNS1_3repE0EEENS1_30default_config_static_selectorELNS0_4arch9wavefront6targetE0EEEvT1_.private_seg_size, 0
	.set _ZN7rocprim17ROCPRIM_400000_NS6detail17trampoline_kernelINS0_14default_configENS1_27scan_by_key_config_selectorIxxEEZZNS1_16scan_by_key_implILNS1_25lookback_scan_determinismE0ELb0ES3_N6thrust23THRUST_200600_302600_NS6detail15normal_iteratorINS9_10device_ptrIxEEEESE_SE_xNS9_4plusIvEENS9_8equal_toIvEExEE10hipError_tPvRmT2_T3_T4_T5_mT6_T7_P12ihipStream_tbENKUlT_T0_E_clISt17integral_constantIbLb1EESZ_EEDaSU_SV_EUlSU_E_NS1_11comp_targetILNS1_3genE10ELNS1_11target_archE1200ELNS1_3gpuE4ELNS1_3repE0EEENS1_30default_config_static_selectorELNS0_4arch9wavefront6targetE0EEEvT1_.uses_vcc, 0
	.set _ZN7rocprim17ROCPRIM_400000_NS6detail17trampoline_kernelINS0_14default_configENS1_27scan_by_key_config_selectorIxxEEZZNS1_16scan_by_key_implILNS1_25lookback_scan_determinismE0ELb0ES3_N6thrust23THRUST_200600_302600_NS6detail15normal_iteratorINS9_10device_ptrIxEEEESE_SE_xNS9_4plusIvEENS9_8equal_toIvEExEE10hipError_tPvRmT2_T3_T4_T5_mT6_T7_P12ihipStream_tbENKUlT_T0_E_clISt17integral_constantIbLb1EESZ_EEDaSU_SV_EUlSU_E_NS1_11comp_targetILNS1_3genE10ELNS1_11target_archE1200ELNS1_3gpuE4ELNS1_3repE0EEENS1_30default_config_static_selectorELNS0_4arch9wavefront6targetE0EEEvT1_.uses_flat_scratch, 0
	.set _ZN7rocprim17ROCPRIM_400000_NS6detail17trampoline_kernelINS0_14default_configENS1_27scan_by_key_config_selectorIxxEEZZNS1_16scan_by_key_implILNS1_25lookback_scan_determinismE0ELb0ES3_N6thrust23THRUST_200600_302600_NS6detail15normal_iteratorINS9_10device_ptrIxEEEESE_SE_xNS9_4plusIvEENS9_8equal_toIvEExEE10hipError_tPvRmT2_T3_T4_T5_mT6_T7_P12ihipStream_tbENKUlT_T0_E_clISt17integral_constantIbLb1EESZ_EEDaSU_SV_EUlSU_E_NS1_11comp_targetILNS1_3genE10ELNS1_11target_archE1200ELNS1_3gpuE4ELNS1_3repE0EEENS1_30default_config_static_selectorELNS0_4arch9wavefront6targetE0EEEvT1_.has_dyn_sized_stack, 0
	.set _ZN7rocprim17ROCPRIM_400000_NS6detail17trampoline_kernelINS0_14default_configENS1_27scan_by_key_config_selectorIxxEEZZNS1_16scan_by_key_implILNS1_25lookback_scan_determinismE0ELb0ES3_N6thrust23THRUST_200600_302600_NS6detail15normal_iteratorINS9_10device_ptrIxEEEESE_SE_xNS9_4plusIvEENS9_8equal_toIvEExEE10hipError_tPvRmT2_T3_T4_T5_mT6_T7_P12ihipStream_tbENKUlT_T0_E_clISt17integral_constantIbLb1EESZ_EEDaSU_SV_EUlSU_E_NS1_11comp_targetILNS1_3genE10ELNS1_11target_archE1200ELNS1_3gpuE4ELNS1_3repE0EEENS1_30default_config_static_selectorELNS0_4arch9wavefront6targetE0EEEvT1_.has_recursion, 0
	.set _ZN7rocprim17ROCPRIM_400000_NS6detail17trampoline_kernelINS0_14default_configENS1_27scan_by_key_config_selectorIxxEEZZNS1_16scan_by_key_implILNS1_25lookback_scan_determinismE0ELb0ES3_N6thrust23THRUST_200600_302600_NS6detail15normal_iteratorINS9_10device_ptrIxEEEESE_SE_xNS9_4plusIvEENS9_8equal_toIvEExEE10hipError_tPvRmT2_T3_T4_T5_mT6_T7_P12ihipStream_tbENKUlT_T0_E_clISt17integral_constantIbLb1EESZ_EEDaSU_SV_EUlSU_E_NS1_11comp_targetILNS1_3genE10ELNS1_11target_archE1200ELNS1_3gpuE4ELNS1_3repE0EEENS1_30default_config_static_selectorELNS0_4arch9wavefront6targetE0EEEvT1_.has_indirect_call, 0
	.section	.AMDGPU.csdata,"",@progbits
; Kernel info:
; codeLenInByte = 0
; TotalNumSgprs: 0
; NumVgprs: 0
; ScratchSize: 0
; MemoryBound: 0
; FloatMode: 240
; IeeeMode: 1
; LDSByteSize: 0 bytes/workgroup (compile time only)
; SGPRBlocks: 0
; VGPRBlocks: 0
; NumSGPRsForWavesPerEU: 1
; NumVGPRsForWavesPerEU: 1
; Occupancy: 16
; WaveLimiterHint : 0
; COMPUTE_PGM_RSRC2:SCRATCH_EN: 0
; COMPUTE_PGM_RSRC2:USER_SGPR: 6
; COMPUTE_PGM_RSRC2:TRAP_HANDLER: 0
; COMPUTE_PGM_RSRC2:TGID_X_EN: 1
; COMPUTE_PGM_RSRC2:TGID_Y_EN: 0
; COMPUTE_PGM_RSRC2:TGID_Z_EN: 0
; COMPUTE_PGM_RSRC2:TIDIG_COMP_CNT: 0
	.section	.text._ZN7rocprim17ROCPRIM_400000_NS6detail17trampoline_kernelINS0_14default_configENS1_27scan_by_key_config_selectorIxxEEZZNS1_16scan_by_key_implILNS1_25lookback_scan_determinismE0ELb0ES3_N6thrust23THRUST_200600_302600_NS6detail15normal_iteratorINS9_10device_ptrIxEEEESE_SE_xNS9_4plusIvEENS9_8equal_toIvEExEE10hipError_tPvRmT2_T3_T4_T5_mT6_T7_P12ihipStream_tbENKUlT_T0_E_clISt17integral_constantIbLb1EESZ_EEDaSU_SV_EUlSU_E_NS1_11comp_targetILNS1_3genE9ELNS1_11target_archE1100ELNS1_3gpuE3ELNS1_3repE0EEENS1_30default_config_static_selectorELNS0_4arch9wavefront6targetE0EEEvT1_,"axG",@progbits,_ZN7rocprim17ROCPRIM_400000_NS6detail17trampoline_kernelINS0_14default_configENS1_27scan_by_key_config_selectorIxxEEZZNS1_16scan_by_key_implILNS1_25lookback_scan_determinismE0ELb0ES3_N6thrust23THRUST_200600_302600_NS6detail15normal_iteratorINS9_10device_ptrIxEEEESE_SE_xNS9_4plusIvEENS9_8equal_toIvEExEE10hipError_tPvRmT2_T3_T4_T5_mT6_T7_P12ihipStream_tbENKUlT_T0_E_clISt17integral_constantIbLb1EESZ_EEDaSU_SV_EUlSU_E_NS1_11comp_targetILNS1_3genE9ELNS1_11target_archE1100ELNS1_3gpuE3ELNS1_3repE0EEENS1_30default_config_static_selectorELNS0_4arch9wavefront6targetE0EEEvT1_,comdat
	.protected	_ZN7rocprim17ROCPRIM_400000_NS6detail17trampoline_kernelINS0_14default_configENS1_27scan_by_key_config_selectorIxxEEZZNS1_16scan_by_key_implILNS1_25lookback_scan_determinismE0ELb0ES3_N6thrust23THRUST_200600_302600_NS6detail15normal_iteratorINS9_10device_ptrIxEEEESE_SE_xNS9_4plusIvEENS9_8equal_toIvEExEE10hipError_tPvRmT2_T3_T4_T5_mT6_T7_P12ihipStream_tbENKUlT_T0_E_clISt17integral_constantIbLb1EESZ_EEDaSU_SV_EUlSU_E_NS1_11comp_targetILNS1_3genE9ELNS1_11target_archE1100ELNS1_3gpuE3ELNS1_3repE0EEENS1_30default_config_static_selectorELNS0_4arch9wavefront6targetE0EEEvT1_ ; -- Begin function _ZN7rocprim17ROCPRIM_400000_NS6detail17trampoline_kernelINS0_14default_configENS1_27scan_by_key_config_selectorIxxEEZZNS1_16scan_by_key_implILNS1_25lookback_scan_determinismE0ELb0ES3_N6thrust23THRUST_200600_302600_NS6detail15normal_iteratorINS9_10device_ptrIxEEEESE_SE_xNS9_4plusIvEENS9_8equal_toIvEExEE10hipError_tPvRmT2_T3_T4_T5_mT6_T7_P12ihipStream_tbENKUlT_T0_E_clISt17integral_constantIbLb1EESZ_EEDaSU_SV_EUlSU_E_NS1_11comp_targetILNS1_3genE9ELNS1_11target_archE1100ELNS1_3gpuE3ELNS1_3repE0EEENS1_30default_config_static_selectorELNS0_4arch9wavefront6targetE0EEEvT1_
	.globl	_ZN7rocprim17ROCPRIM_400000_NS6detail17trampoline_kernelINS0_14default_configENS1_27scan_by_key_config_selectorIxxEEZZNS1_16scan_by_key_implILNS1_25lookback_scan_determinismE0ELb0ES3_N6thrust23THRUST_200600_302600_NS6detail15normal_iteratorINS9_10device_ptrIxEEEESE_SE_xNS9_4plusIvEENS9_8equal_toIvEExEE10hipError_tPvRmT2_T3_T4_T5_mT6_T7_P12ihipStream_tbENKUlT_T0_E_clISt17integral_constantIbLb1EESZ_EEDaSU_SV_EUlSU_E_NS1_11comp_targetILNS1_3genE9ELNS1_11target_archE1100ELNS1_3gpuE3ELNS1_3repE0EEENS1_30default_config_static_selectorELNS0_4arch9wavefront6targetE0EEEvT1_
	.p2align	8
	.type	_ZN7rocprim17ROCPRIM_400000_NS6detail17trampoline_kernelINS0_14default_configENS1_27scan_by_key_config_selectorIxxEEZZNS1_16scan_by_key_implILNS1_25lookback_scan_determinismE0ELb0ES3_N6thrust23THRUST_200600_302600_NS6detail15normal_iteratorINS9_10device_ptrIxEEEESE_SE_xNS9_4plusIvEENS9_8equal_toIvEExEE10hipError_tPvRmT2_T3_T4_T5_mT6_T7_P12ihipStream_tbENKUlT_T0_E_clISt17integral_constantIbLb1EESZ_EEDaSU_SV_EUlSU_E_NS1_11comp_targetILNS1_3genE9ELNS1_11target_archE1100ELNS1_3gpuE3ELNS1_3repE0EEENS1_30default_config_static_selectorELNS0_4arch9wavefront6targetE0EEEvT1_,@function
_ZN7rocprim17ROCPRIM_400000_NS6detail17trampoline_kernelINS0_14default_configENS1_27scan_by_key_config_selectorIxxEEZZNS1_16scan_by_key_implILNS1_25lookback_scan_determinismE0ELb0ES3_N6thrust23THRUST_200600_302600_NS6detail15normal_iteratorINS9_10device_ptrIxEEEESE_SE_xNS9_4plusIvEENS9_8equal_toIvEExEE10hipError_tPvRmT2_T3_T4_T5_mT6_T7_P12ihipStream_tbENKUlT_T0_E_clISt17integral_constantIbLb1EESZ_EEDaSU_SV_EUlSU_E_NS1_11comp_targetILNS1_3genE9ELNS1_11target_archE1100ELNS1_3gpuE3ELNS1_3repE0EEENS1_30default_config_static_selectorELNS0_4arch9wavefront6targetE0EEEvT1_: ; @_ZN7rocprim17ROCPRIM_400000_NS6detail17trampoline_kernelINS0_14default_configENS1_27scan_by_key_config_selectorIxxEEZZNS1_16scan_by_key_implILNS1_25lookback_scan_determinismE0ELb0ES3_N6thrust23THRUST_200600_302600_NS6detail15normal_iteratorINS9_10device_ptrIxEEEESE_SE_xNS9_4plusIvEENS9_8equal_toIvEExEE10hipError_tPvRmT2_T3_T4_T5_mT6_T7_P12ihipStream_tbENKUlT_T0_E_clISt17integral_constantIbLb1EESZ_EEDaSU_SV_EUlSU_E_NS1_11comp_targetILNS1_3genE9ELNS1_11target_archE1100ELNS1_3gpuE3ELNS1_3repE0EEENS1_30default_config_static_selectorELNS0_4arch9wavefront6targetE0EEEvT1_
; %bb.0:
	.section	.rodata,"a",@progbits
	.p2align	6, 0x0
	.amdhsa_kernel _ZN7rocprim17ROCPRIM_400000_NS6detail17trampoline_kernelINS0_14default_configENS1_27scan_by_key_config_selectorIxxEEZZNS1_16scan_by_key_implILNS1_25lookback_scan_determinismE0ELb0ES3_N6thrust23THRUST_200600_302600_NS6detail15normal_iteratorINS9_10device_ptrIxEEEESE_SE_xNS9_4plusIvEENS9_8equal_toIvEExEE10hipError_tPvRmT2_T3_T4_T5_mT6_T7_P12ihipStream_tbENKUlT_T0_E_clISt17integral_constantIbLb1EESZ_EEDaSU_SV_EUlSU_E_NS1_11comp_targetILNS1_3genE9ELNS1_11target_archE1100ELNS1_3gpuE3ELNS1_3repE0EEENS1_30default_config_static_selectorELNS0_4arch9wavefront6targetE0EEEvT1_
		.amdhsa_group_segment_fixed_size 0
		.amdhsa_private_segment_fixed_size 0
		.amdhsa_kernarg_size 136
		.amdhsa_user_sgpr_count 6
		.amdhsa_user_sgpr_private_segment_buffer 1
		.amdhsa_user_sgpr_dispatch_ptr 0
		.amdhsa_user_sgpr_queue_ptr 0
		.amdhsa_user_sgpr_kernarg_segment_ptr 1
		.amdhsa_user_sgpr_dispatch_id 0
		.amdhsa_user_sgpr_flat_scratch_init 0
		.amdhsa_user_sgpr_private_segment_size 0
		.amdhsa_wavefront_size32 1
		.amdhsa_uses_dynamic_stack 0
		.amdhsa_system_sgpr_private_segment_wavefront_offset 0
		.amdhsa_system_sgpr_workgroup_id_x 1
		.amdhsa_system_sgpr_workgroup_id_y 0
		.amdhsa_system_sgpr_workgroup_id_z 0
		.amdhsa_system_sgpr_workgroup_info 0
		.amdhsa_system_vgpr_workitem_id 0
		.amdhsa_next_free_vgpr 1
		.amdhsa_next_free_sgpr 1
		.amdhsa_reserve_vcc 0
		.amdhsa_reserve_flat_scratch 0
		.amdhsa_float_round_mode_32 0
		.amdhsa_float_round_mode_16_64 0
		.amdhsa_float_denorm_mode_32 3
		.amdhsa_float_denorm_mode_16_64 3
		.amdhsa_dx10_clamp 1
		.amdhsa_ieee_mode 1
		.amdhsa_fp16_overflow 0
		.amdhsa_workgroup_processor_mode 1
		.amdhsa_memory_ordered 1
		.amdhsa_forward_progress 1
		.amdhsa_shared_vgpr_count 0
		.amdhsa_exception_fp_ieee_invalid_op 0
		.amdhsa_exception_fp_denorm_src 0
		.amdhsa_exception_fp_ieee_div_zero 0
		.amdhsa_exception_fp_ieee_overflow 0
		.amdhsa_exception_fp_ieee_underflow 0
		.amdhsa_exception_fp_ieee_inexact 0
		.amdhsa_exception_int_div_zero 0
	.end_amdhsa_kernel
	.section	.text._ZN7rocprim17ROCPRIM_400000_NS6detail17trampoline_kernelINS0_14default_configENS1_27scan_by_key_config_selectorIxxEEZZNS1_16scan_by_key_implILNS1_25lookback_scan_determinismE0ELb0ES3_N6thrust23THRUST_200600_302600_NS6detail15normal_iteratorINS9_10device_ptrIxEEEESE_SE_xNS9_4plusIvEENS9_8equal_toIvEExEE10hipError_tPvRmT2_T3_T4_T5_mT6_T7_P12ihipStream_tbENKUlT_T0_E_clISt17integral_constantIbLb1EESZ_EEDaSU_SV_EUlSU_E_NS1_11comp_targetILNS1_3genE9ELNS1_11target_archE1100ELNS1_3gpuE3ELNS1_3repE0EEENS1_30default_config_static_selectorELNS0_4arch9wavefront6targetE0EEEvT1_,"axG",@progbits,_ZN7rocprim17ROCPRIM_400000_NS6detail17trampoline_kernelINS0_14default_configENS1_27scan_by_key_config_selectorIxxEEZZNS1_16scan_by_key_implILNS1_25lookback_scan_determinismE0ELb0ES3_N6thrust23THRUST_200600_302600_NS6detail15normal_iteratorINS9_10device_ptrIxEEEESE_SE_xNS9_4plusIvEENS9_8equal_toIvEExEE10hipError_tPvRmT2_T3_T4_T5_mT6_T7_P12ihipStream_tbENKUlT_T0_E_clISt17integral_constantIbLb1EESZ_EEDaSU_SV_EUlSU_E_NS1_11comp_targetILNS1_3genE9ELNS1_11target_archE1100ELNS1_3gpuE3ELNS1_3repE0EEENS1_30default_config_static_selectorELNS0_4arch9wavefront6targetE0EEEvT1_,comdat
.Lfunc_end23:
	.size	_ZN7rocprim17ROCPRIM_400000_NS6detail17trampoline_kernelINS0_14default_configENS1_27scan_by_key_config_selectorIxxEEZZNS1_16scan_by_key_implILNS1_25lookback_scan_determinismE0ELb0ES3_N6thrust23THRUST_200600_302600_NS6detail15normal_iteratorINS9_10device_ptrIxEEEESE_SE_xNS9_4plusIvEENS9_8equal_toIvEExEE10hipError_tPvRmT2_T3_T4_T5_mT6_T7_P12ihipStream_tbENKUlT_T0_E_clISt17integral_constantIbLb1EESZ_EEDaSU_SV_EUlSU_E_NS1_11comp_targetILNS1_3genE9ELNS1_11target_archE1100ELNS1_3gpuE3ELNS1_3repE0EEENS1_30default_config_static_selectorELNS0_4arch9wavefront6targetE0EEEvT1_, .Lfunc_end23-_ZN7rocprim17ROCPRIM_400000_NS6detail17trampoline_kernelINS0_14default_configENS1_27scan_by_key_config_selectorIxxEEZZNS1_16scan_by_key_implILNS1_25lookback_scan_determinismE0ELb0ES3_N6thrust23THRUST_200600_302600_NS6detail15normal_iteratorINS9_10device_ptrIxEEEESE_SE_xNS9_4plusIvEENS9_8equal_toIvEExEE10hipError_tPvRmT2_T3_T4_T5_mT6_T7_P12ihipStream_tbENKUlT_T0_E_clISt17integral_constantIbLb1EESZ_EEDaSU_SV_EUlSU_E_NS1_11comp_targetILNS1_3genE9ELNS1_11target_archE1100ELNS1_3gpuE3ELNS1_3repE0EEENS1_30default_config_static_selectorELNS0_4arch9wavefront6targetE0EEEvT1_
                                        ; -- End function
	.set _ZN7rocprim17ROCPRIM_400000_NS6detail17trampoline_kernelINS0_14default_configENS1_27scan_by_key_config_selectorIxxEEZZNS1_16scan_by_key_implILNS1_25lookback_scan_determinismE0ELb0ES3_N6thrust23THRUST_200600_302600_NS6detail15normal_iteratorINS9_10device_ptrIxEEEESE_SE_xNS9_4plusIvEENS9_8equal_toIvEExEE10hipError_tPvRmT2_T3_T4_T5_mT6_T7_P12ihipStream_tbENKUlT_T0_E_clISt17integral_constantIbLb1EESZ_EEDaSU_SV_EUlSU_E_NS1_11comp_targetILNS1_3genE9ELNS1_11target_archE1100ELNS1_3gpuE3ELNS1_3repE0EEENS1_30default_config_static_selectorELNS0_4arch9wavefront6targetE0EEEvT1_.num_vgpr, 0
	.set _ZN7rocprim17ROCPRIM_400000_NS6detail17trampoline_kernelINS0_14default_configENS1_27scan_by_key_config_selectorIxxEEZZNS1_16scan_by_key_implILNS1_25lookback_scan_determinismE0ELb0ES3_N6thrust23THRUST_200600_302600_NS6detail15normal_iteratorINS9_10device_ptrIxEEEESE_SE_xNS9_4plusIvEENS9_8equal_toIvEExEE10hipError_tPvRmT2_T3_T4_T5_mT6_T7_P12ihipStream_tbENKUlT_T0_E_clISt17integral_constantIbLb1EESZ_EEDaSU_SV_EUlSU_E_NS1_11comp_targetILNS1_3genE9ELNS1_11target_archE1100ELNS1_3gpuE3ELNS1_3repE0EEENS1_30default_config_static_selectorELNS0_4arch9wavefront6targetE0EEEvT1_.num_agpr, 0
	.set _ZN7rocprim17ROCPRIM_400000_NS6detail17trampoline_kernelINS0_14default_configENS1_27scan_by_key_config_selectorIxxEEZZNS1_16scan_by_key_implILNS1_25lookback_scan_determinismE0ELb0ES3_N6thrust23THRUST_200600_302600_NS6detail15normal_iteratorINS9_10device_ptrIxEEEESE_SE_xNS9_4plusIvEENS9_8equal_toIvEExEE10hipError_tPvRmT2_T3_T4_T5_mT6_T7_P12ihipStream_tbENKUlT_T0_E_clISt17integral_constantIbLb1EESZ_EEDaSU_SV_EUlSU_E_NS1_11comp_targetILNS1_3genE9ELNS1_11target_archE1100ELNS1_3gpuE3ELNS1_3repE0EEENS1_30default_config_static_selectorELNS0_4arch9wavefront6targetE0EEEvT1_.numbered_sgpr, 0
	.set _ZN7rocprim17ROCPRIM_400000_NS6detail17trampoline_kernelINS0_14default_configENS1_27scan_by_key_config_selectorIxxEEZZNS1_16scan_by_key_implILNS1_25lookback_scan_determinismE0ELb0ES3_N6thrust23THRUST_200600_302600_NS6detail15normal_iteratorINS9_10device_ptrIxEEEESE_SE_xNS9_4plusIvEENS9_8equal_toIvEExEE10hipError_tPvRmT2_T3_T4_T5_mT6_T7_P12ihipStream_tbENKUlT_T0_E_clISt17integral_constantIbLb1EESZ_EEDaSU_SV_EUlSU_E_NS1_11comp_targetILNS1_3genE9ELNS1_11target_archE1100ELNS1_3gpuE3ELNS1_3repE0EEENS1_30default_config_static_selectorELNS0_4arch9wavefront6targetE0EEEvT1_.num_named_barrier, 0
	.set _ZN7rocprim17ROCPRIM_400000_NS6detail17trampoline_kernelINS0_14default_configENS1_27scan_by_key_config_selectorIxxEEZZNS1_16scan_by_key_implILNS1_25lookback_scan_determinismE0ELb0ES3_N6thrust23THRUST_200600_302600_NS6detail15normal_iteratorINS9_10device_ptrIxEEEESE_SE_xNS9_4plusIvEENS9_8equal_toIvEExEE10hipError_tPvRmT2_T3_T4_T5_mT6_T7_P12ihipStream_tbENKUlT_T0_E_clISt17integral_constantIbLb1EESZ_EEDaSU_SV_EUlSU_E_NS1_11comp_targetILNS1_3genE9ELNS1_11target_archE1100ELNS1_3gpuE3ELNS1_3repE0EEENS1_30default_config_static_selectorELNS0_4arch9wavefront6targetE0EEEvT1_.private_seg_size, 0
	.set _ZN7rocprim17ROCPRIM_400000_NS6detail17trampoline_kernelINS0_14default_configENS1_27scan_by_key_config_selectorIxxEEZZNS1_16scan_by_key_implILNS1_25lookback_scan_determinismE0ELb0ES3_N6thrust23THRUST_200600_302600_NS6detail15normal_iteratorINS9_10device_ptrIxEEEESE_SE_xNS9_4plusIvEENS9_8equal_toIvEExEE10hipError_tPvRmT2_T3_T4_T5_mT6_T7_P12ihipStream_tbENKUlT_T0_E_clISt17integral_constantIbLb1EESZ_EEDaSU_SV_EUlSU_E_NS1_11comp_targetILNS1_3genE9ELNS1_11target_archE1100ELNS1_3gpuE3ELNS1_3repE0EEENS1_30default_config_static_selectorELNS0_4arch9wavefront6targetE0EEEvT1_.uses_vcc, 0
	.set _ZN7rocprim17ROCPRIM_400000_NS6detail17trampoline_kernelINS0_14default_configENS1_27scan_by_key_config_selectorIxxEEZZNS1_16scan_by_key_implILNS1_25lookback_scan_determinismE0ELb0ES3_N6thrust23THRUST_200600_302600_NS6detail15normal_iteratorINS9_10device_ptrIxEEEESE_SE_xNS9_4plusIvEENS9_8equal_toIvEExEE10hipError_tPvRmT2_T3_T4_T5_mT6_T7_P12ihipStream_tbENKUlT_T0_E_clISt17integral_constantIbLb1EESZ_EEDaSU_SV_EUlSU_E_NS1_11comp_targetILNS1_3genE9ELNS1_11target_archE1100ELNS1_3gpuE3ELNS1_3repE0EEENS1_30default_config_static_selectorELNS0_4arch9wavefront6targetE0EEEvT1_.uses_flat_scratch, 0
	.set _ZN7rocprim17ROCPRIM_400000_NS6detail17trampoline_kernelINS0_14default_configENS1_27scan_by_key_config_selectorIxxEEZZNS1_16scan_by_key_implILNS1_25lookback_scan_determinismE0ELb0ES3_N6thrust23THRUST_200600_302600_NS6detail15normal_iteratorINS9_10device_ptrIxEEEESE_SE_xNS9_4plusIvEENS9_8equal_toIvEExEE10hipError_tPvRmT2_T3_T4_T5_mT6_T7_P12ihipStream_tbENKUlT_T0_E_clISt17integral_constantIbLb1EESZ_EEDaSU_SV_EUlSU_E_NS1_11comp_targetILNS1_3genE9ELNS1_11target_archE1100ELNS1_3gpuE3ELNS1_3repE0EEENS1_30default_config_static_selectorELNS0_4arch9wavefront6targetE0EEEvT1_.has_dyn_sized_stack, 0
	.set _ZN7rocprim17ROCPRIM_400000_NS6detail17trampoline_kernelINS0_14default_configENS1_27scan_by_key_config_selectorIxxEEZZNS1_16scan_by_key_implILNS1_25lookback_scan_determinismE0ELb0ES3_N6thrust23THRUST_200600_302600_NS6detail15normal_iteratorINS9_10device_ptrIxEEEESE_SE_xNS9_4plusIvEENS9_8equal_toIvEExEE10hipError_tPvRmT2_T3_T4_T5_mT6_T7_P12ihipStream_tbENKUlT_T0_E_clISt17integral_constantIbLb1EESZ_EEDaSU_SV_EUlSU_E_NS1_11comp_targetILNS1_3genE9ELNS1_11target_archE1100ELNS1_3gpuE3ELNS1_3repE0EEENS1_30default_config_static_selectorELNS0_4arch9wavefront6targetE0EEEvT1_.has_recursion, 0
	.set _ZN7rocprim17ROCPRIM_400000_NS6detail17trampoline_kernelINS0_14default_configENS1_27scan_by_key_config_selectorIxxEEZZNS1_16scan_by_key_implILNS1_25lookback_scan_determinismE0ELb0ES3_N6thrust23THRUST_200600_302600_NS6detail15normal_iteratorINS9_10device_ptrIxEEEESE_SE_xNS9_4plusIvEENS9_8equal_toIvEExEE10hipError_tPvRmT2_T3_T4_T5_mT6_T7_P12ihipStream_tbENKUlT_T0_E_clISt17integral_constantIbLb1EESZ_EEDaSU_SV_EUlSU_E_NS1_11comp_targetILNS1_3genE9ELNS1_11target_archE1100ELNS1_3gpuE3ELNS1_3repE0EEENS1_30default_config_static_selectorELNS0_4arch9wavefront6targetE0EEEvT1_.has_indirect_call, 0
	.section	.AMDGPU.csdata,"",@progbits
; Kernel info:
; codeLenInByte = 0
; TotalNumSgprs: 0
; NumVgprs: 0
; ScratchSize: 0
; MemoryBound: 0
; FloatMode: 240
; IeeeMode: 1
; LDSByteSize: 0 bytes/workgroup (compile time only)
; SGPRBlocks: 0
; VGPRBlocks: 0
; NumSGPRsForWavesPerEU: 1
; NumVGPRsForWavesPerEU: 1
; Occupancy: 16
; WaveLimiterHint : 0
; COMPUTE_PGM_RSRC2:SCRATCH_EN: 0
; COMPUTE_PGM_RSRC2:USER_SGPR: 6
; COMPUTE_PGM_RSRC2:TRAP_HANDLER: 0
; COMPUTE_PGM_RSRC2:TGID_X_EN: 1
; COMPUTE_PGM_RSRC2:TGID_Y_EN: 0
; COMPUTE_PGM_RSRC2:TGID_Z_EN: 0
; COMPUTE_PGM_RSRC2:TIDIG_COMP_CNT: 0
	.section	.text._ZN7rocprim17ROCPRIM_400000_NS6detail17trampoline_kernelINS0_14default_configENS1_27scan_by_key_config_selectorIxxEEZZNS1_16scan_by_key_implILNS1_25lookback_scan_determinismE0ELb0ES3_N6thrust23THRUST_200600_302600_NS6detail15normal_iteratorINS9_10device_ptrIxEEEESE_SE_xNS9_4plusIvEENS9_8equal_toIvEExEE10hipError_tPvRmT2_T3_T4_T5_mT6_T7_P12ihipStream_tbENKUlT_T0_E_clISt17integral_constantIbLb1EESZ_EEDaSU_SV_EUlSU_E_NS1_11comp_targetILNS1_3genE8ELNS1_11target_archE1030ELNS1_3gpuE2ELNS1_3repE0EEENS1_30default_config_static_selectorELNS0_4arch9wavefront6targetE0EEEvT1_,"axG",@progbits,_ZN7rocprim17ROCPRIM_400000_NS6detail17trampoline_kernelINS0_14default_configENS1_27scan_by_key_config_selectorIxxEEZZNS1_16scan_by_key_implILNS1_25lookback_scan_determinismE0ELb0ES3_N6thrust23THRUST_200600_302600_NS6detail15normal_iteratorINS9_10device_ptrIxEEEESE_SE_xNS9_4plusIvEENS9_8equal_toIvEExEE10hipError_tPvRmT2_T3_T4_T5_mT6_T7_P12ihipStream_tbENKUlT_T0_E_clISt17integral_constantIbLb1EESZ_EEDaSU_SV_EUlSU_E_NS1_11comp_targetILNS1_3genE8ELNS1_11target_archE1030ELNS1_3gpuE2ELNS1_3repE0EEENS1_30default_config_static_selectorELNS0_4arch9wavefront6targetE0EEEvT1_,comdat
	.protected	_ZN7rocprim17ROCPRIM_400000_NS6detail17trampoline_kernelINS0_14default_configENS1_27scan_by_key_config_selectorIxxEEZZNS1_16scan_by_key_implILNS1_25lookback_scan_determinismE0ELb0ES3_N6thrust23THRUST_200600_302600_NS6detail15normal_iteratorINS9_10device_ptrIxEEEESE_SE_xNS9_4plusIvEENS9_8equal_toIvEExEE10hipError_tPvRmT2_T3_T4_T5_mT6_T7_P12ihipStream_tbENKUlT_T0_E_clISt17integral_constantIbLb1EESZ_EEDaSU_SV_EUlSU_E_NS1_11comp_targetILNS1_3genE8ELNS1_11target_archE1030ELNS1_3gpuE2ELNS1_3repE0EEENS1_30default_config_static_selectorELNS0_4arch9wavefront6targetE0EEEvT1_ ; -- Begin function _ZN7rocprim17ROCPRIM_400000_NS6detail17trampoline_kernelINS0_14default_configENS1_27scan_by_key_config_selectorIxxEEZZNS1_16scan_by_key_implILNS1_25lookback_scan_determinismE0ELb0ES3_N6thrust23THRUST_200600_302600_NS6detail15normal_iteratorINS9_10device_ptrIxEEEESE_SE_xNS9_4plusIvEENS9_8equal_toIvEExEE10hipError_tPvRmT2_T3_T4_T5_mT6_T7_P12ihipStream_tbENKUlT_T0_E_clISt17integral_constantIbLb1EESZ_EEDaSU_SV_EUlSU_E_NS1_11comp_targetILNS1_3genE8ELNS1_11target_archE1030ELNS1_3gpuE2ELNS1_3repE0EEENS1_30default_config_static_selectorELNS0_4arch9wavefront6targetE0EEEvT1_
	.globl	_ZN7rocprim17ROCPRIM_400000_NS6detail17trampoline_kernelINS0_14default_configENS1_27scan_by_key_config_selectorIxxEEZZNS1_16scan_by_key_implILNS1_25lookback_scan_determinismE0ELb0ES3_N6thrust23THRUST_200600_302600_NS6detail15normal_iteratorINS9_10device_ptrIxEEEESE_SE_xNS9_4plusIvEENS9_8equal_toIvEExEE10hipError_tPvRmT2_T3_T4_T5_mT6_T7_P12ihipStream_tbENKUlT_T0_E_clISt17integral_constantIbLb1EESZ_EEDaSU_SV_EUlSU_E_NS1_11comp_targetILNS1_3genE8ELNS1_11target_archE1030ELNS1_3gpuE2ELNS1_3repE0EEENS1_30default_config_static_selectorELNS0_4arch9wavefront6targetE0EEEvT1_
	.p2align	8
	.type	_ZN7rocprim17ROCPRIM_400000_NS6detail17trampoline_kernelINS0_14default_configENS1_27scan_by_key_config_selectorIxxEEZZNS1_16scan_by_key_implILNS1_25lookback_scan_determinismE0ELb0ES3_N6thrust23THRUST_200600_302600_NS6detail15normal_iteratorINS9_10device_ptrIxEEEESE_SE_xNS9_4plusIvEENS9_8equal_toIvEExEE10hipError_tPvRmT2_T3_T4_T5_mT6_T7_P12ihipStream_tbENKUlT_T0_E_clISt17integral_constantIbLb1EESZ_EEDaSU_SV_EUlSU_E_NS1_11comp_targetILNS1_3genE8ELNS1_11target_archE1030ELNS1_3gpuE2ELNS1_3repE0EEENS1_30default_config_static_selectorELNS0_4arch9wavefront6targetE0EEEvT1_,@function
_ZN7rocprim17ROCPRIM_400000_NS6detail17trampoline_kernelINS0_14default_configENS1_27scan_by_key_config_selectorIxxEEZZNS1_16scan_by_key_implILNS1_25lookback_scan_determinismE0ELb0ES3_N6thrust23THRUST_200600_302600_NS6detail15normal_iteratorINS9_10device_ptrIxEEEESE_SE_xNS9_4plusIvEENS9_8equal_toIvEExEE10hipError_tPvRmT2_T3_T4_T5_mT6_T7_P12ihipStream_tbENKUlT_T0_E_clISt17integral_constantIbLb1EESZ_EEDaSU_SV_EUlSU_E_NS1_11comp_targetILNS1_3genE8ELNS1_11target_archE1030ELNS1_3gpuE2ELNS1_3repE0EEENS1_30default_config_static_selectorELNS0_4arch9wavefront6targetE0EEEvT1_: ; @_ZN7rocprim17ROCPRIM_400000_NS6detail17trampoline_kernelINS0_14default_configENS1_27scan_by_key_config_selectorIxxEEZZNS1_16scan_by_key_implILNS1_25lookback_scan_determinismE0ELb0ES3_N6thrust23THRUST_200600_302600_NS6detail15normal_iteratorINS9_10device_ptrIxEEEESE_SE_xNS9_4plusIvEENS9_8equal_toIvEExEE10hipError_tPvRmT2_T3_T4_T5_mT6_T7_P12ihipStream_tbENKUlT_T0_E_clISt17integral_constantIbLb1EESZ_EEDaSU_SV_EUlSU_E_NS1_11comp_targetILNS1_3genE8ELNS1_11target_archE1030ELNS1_3gpuE2ELNS1_3repE0EEENS1_30default_config_static_selectorELNS0_4arch9wavefront6targetE0EEEvT1_
; %bb.0:
	s_endpgm
	.section	.rodata,"a",@progbits
	.p2align	6, 0x0
	.amdhsa_kernel _ZN7rocprim17ROCPRIM_400000_NS6detail17trampoline_kernelINS0_14default_configENS1_27scan_by_key_config_selectorIxxEEZZNS1_16scan_by_key_implILNS1_25lookback_scan_determinismE0ELb0ES3_N6thrust23THRUST_200600_302600_NS6detail15normal_iteratorINS9_10device_ptrIxEEEESE_SE_xNS9_4plusIvEENS9_8equal_toIvEExEE10hipError_tPvRmT2_T3_T4_T5_mT6_T7_P12ihipStream_tbENKUlT_T0_E_clISt17integral_constantIbLb1EESZ_EEDaSU_SV_EUlSU_E_NS1_11comp_targetILNS1_3genE8ELNS1_11target_archE1030ELNS1_3gpuE2ELNS1_3repE0EEENS1_30default_config_static_selectorELNS0_4arch9wavefront6targetE0EEEvT1_
		.amdhsa_group_segment_fixed_size 0
		.amdhsa_private_segment_fixed_size 0
		.amdhsa_kernarg_size 136
		.amdhsa_user_sgpr_count 6
		.amdhsa_user_sgpr_private_segment_buffer 1
		.amdhsa_user_sgpr_dispatch_ptr 0
		.amdhsa_user_sgpr_queue_ptr 0
		.amdhsa_user_sgpr_kernarg_segment_ptr 1
		.amdhsa_user_sgpr_dispatch_id 0
		.amdhsa_user_sgpr_flat_scratch_init 0
		.amdhsa_user_sgpr_private_segment_size 0
		.amdhsa_wavefront_size32 1
		.amdhsa_uses_dynamic_stack 0
		.amdhsa_system_sgpr_private_segment_wavefront_offset 0
		.amdhsa_system_sgpr_workgroup_id_x 1
		.amdhsa_system_sgpr_workgroup_id_y 0
		.amdhsa_system_sgpr_workgroup_id_z 0
		.amdhsa_system_sgpr_workgroup_info 0
		.amdhsa_system_vgpr_workitem_id 0
		.amdhsa_next_free_vgpr 1
		.amdhsa_next_free_sgpr 1
		.amdhsa_reserve_vcc 0
		.amdhsa_reserve_flat_scratch 0
		.amdhsa_float_round_mode_32 0
		.amdhsa_float_round_mode_16_64 0
		.amdhsa_float_denorm_mode_32 3
		.amdhsa_float_denorm_mode_16_64 3
		.amdhsa_dx10_clamp 1
		.amdhsa_ieee_mode 1
		.amdhsa_fp16_overflow 0
		.amdhsa_workgroup_processor_mode 1
		.amdhsa_memory_ordered 1
		.amdhsa_forward_progress 1
		.amdhsa_shared_vgpr_count 0
		.amdhsa_exception_fp_ieee_invalid_op 0
		.amdhsa_exception_fp_denorm_src 0
		.amdhsa_exception_fp_ieee_div_zero 0
		.amdhsa_exception_fp_ieee_overflow 0
		.amdhsa_exception_fp_ieee_underflow 0
		.amdhsa_exception_fp_ieee_inexact 0
		.amdhsa_exception_int_div_zero 0
	.end_amdhsa_kernel
	.section	.text._ZN7rocprim17ROCPRIM_400000_NS6detail17trampoline_kernelINS0_14default_configENS1_27scan_by_key_config_selectorIxxEEZZNS1_16scan_by_key_implILNS1_25lookback_scan_determinismE0ELb0ES3_N6thrust23THRUST_200600_302600_NS6detail15normal_iteratorINS9_10device_ptrIxEEEESE_SE_xNS9_4plusIvEENS9_8equal_toIvEExEE10hipError_tPvRmT2_T3_T4_T5_mT6_T7_P12ihipStream_tbENKUlT_T0_E_clISt17integral_constantIbLb1EESZ_EEDaSU_SV_EUlSU_E_NS1_11comp_targetILNS1_3genE8ELNS1_11target_archE1030ELNS1_3gpuE2ELNS1_3repE0EEENS1_30default_config_static_selectorELNS0_4arch9wavefront6targetE0EEEvT1_,"axG",@progbits,_ZN7rocprim17ROCPRIM_400000_NS6detail17trampoline_kernelINS0_14default_configENS1_27scan_by_key_config_selectorIxxEEZZNS1_16scan_by_key_implILNS1_25lookback_scan_determinismE0ELb0ES3_N6thrust23THRUST_200600_302600_NS6detail15normal_iteratorINS9_10device_ptrIxEEEESE_SE_xNS9_4plusIvEENS9_8equal_toIvEExEE10hipError_tPvRmT2_T3_T4_T5_mT6_T7_P12ihipStream_tbENKUlT_T0_E_clISt17integral_constantIbLb1EESZ_EEDaSU_SV_EUlSU_E_NS1_11comp_targetILNS1_3genE8ELNS1_11target_archE1030ELNS1_3gpuE2ELNS1_3repE0EEENS1_30default_config_static_selectorELNS0_4arch9wavefront6targetE0EEEvT1_,comdat
.Lfunc_end24:
	.size	_ZN7rocprim17ROCPRIM_400000_NS6detail17trampoline_kernelINS0_14default_configENS1_27scan_by_key_config_selectorIxxEEZZNS1_16scan_by_key_implILNS1_25lookback_scan_determinismE0ELb0ES3_N6thrust23THRUST_200600_302600_NS6detail15normal_iteratorINS9_10device_ptrIxEEEESE_SE_xNS9_4plusIvEENS9_8equal_toIvEExEE10hipError_tPvRmT2_T3_T4_T5_mT6_T7_P12ihipStream_tbENKUlT_T0_E_clISt17integral_constantIbLb1EESZ_EEDaSU_SV_EUlSU_E_NS1_11comp_targetILNS1_3genE8ELNS1_11target_archE1030ELNS1_3gpuE2ELNS1_3repE0EEENS1_30default_config_static_selectorELNS0_4arch9wavefront6targetE0EEEvT1_, .Lfunc_end24-_ZN7rocprim17ROCPRIM_400000_NS6detail17trampoline_kernelINS0_14default_configENS1_27scan_by_key_config_selectorIxxEEZZNS1_16scan_by_key_implILNS1_25lookback_scan_determinismE0ELb0ES3_N6thrust23THRUST_200600_302600_NS6detail15normal_iteratorINS9_10device_ptrIxEEEESE_SE_xNS9_4plusIvEENS9_8equal_toIvEExEE10hipError_tPvRmT2_T3_T4_T5_mT6_T7_P12ihipStream_tbENKUlT_T0_E_clISt17integral_constantIbLb1EESZ_EEDaSU_SV_EUlSU_E_NS1_11comp_targetILNS1_3genE8ELNS1_11target_archE1030ELNS1_3gpuE2ELNS1_3repE0EEENS1_30default_config_static_selectorELNS0_4arch9wavefront6targetE0EEEvT1_
                                        ; -- End function
	.set _ZN7rocprim17ROCPRIM_400000_NS6detail17trampoline_kernelINS0_14default_configENS1_27scan_by_key_config_selectorIxxEEZZNS1_16scan_by_key_implILNS1_25lookback_scan_determinismE0ELb0ES3_N6thrust23THRUST_200600_302600_NS6detail15normal_iteratorINS9_10device_ptrIxEEEESE_SE_xNS9_4plusIvEENS9_8equal_toIvEExEE10hipError_tPvRmT2_T3_T4_T5_mT6_T7_P12ihipStream_tbENKUlT_T0_E_clISt17integral_constantIbLb1EESZ_EEDaSU_SV_EUlSU_E_NS1_11comp_targetILNS1_3genE8ELNS1_11target_archE1030ELNS1_3gpuE2ELNS1_3repE0EEENS1_30default_config_static_selectorELNS0_4arch9wavefront6targetE0EEEvT1_.num_vgpr, 0
	.set _ZN7rocprim17ROCPRIM_400000_NS6detail17trampoline_kernelINS0_14default_configENS1_27scan_by_key_config_selectorIxxEEZZNS1_16scan_by_key_implILNS1_25lookback_scan_determinismE0ELb0ES3_N6thrust23THRUST_200600_302600_NS6detail15normal_iteratorINS9_10device_ptrIxEEEESE_SE_xNS9_4plusIvEENS9_8equal_toIvEExEE10hipError_tPvRmT2_T3_T4_T5_mT6_T7_P12ihipStream_tbENKUlT_T0_E_clISt17integral_constantIbLb1EESZ_EEDaSU_SV_EUlSU_E_NS1_11comp_targetILNS1_3genE8ELNS1_11target_archE1030ELNS1_3gpuE2ELNS1_3repE0EEENS1_30default_config_static_selectorELNS0_4arch9wavefront6targetE0EEEvT1_.num_agpr, 0
	.set _ZN7rocprim17ROCPRIM_400000_NS6detail17trampoline_kernelINS0_14default_configENS1_27scan_by_key_config_selectorIxxEEZZNS1_16scan_by_key_implILNS1_25lookback_scan_determinismE0ELb0ES3_N6thrust23THRUST_200600_302600_NS6detail15normal_iteratorINS9_10device_ptrIxEEEESE_SE_xNS9_4plusIvEENS9_8equal_toIvEExEE10hipError_tPvRmT2_T3_T4_T5_mT6_T7_P12ihipStream_tbENKUlT_T0_E_clISt17integral_constantIbLb1EESZ_EEDaSU_SV_EUlSU_E_NS1_11comp_targetILNS1_3genE8ELNS1_11target_archE1030ELNS1_3gpuE2ELNS1_3repE0EEENS1_30default_config_static_selectorELNS0_4arch9wavefront6targetE0EEEvT1_.numbered_sgpr, 0
	.set _ZN7rocprim17ROCPRIM_400000_NS6detail17trampoline_kernelINS0_14default_configENS1_27scan_by_key_config_selectorIxxEEZZNS1_16scan_by_key_implILNS1_25lookback_scan_determinismE0ELb0ES3_N6thrust23THRUST_200600_302600_NS6detail15normal_iteratorINS9_10device_ptrIxEEEESE_SE_xNS9_4plusIvEENS9_8equal_toIvEExEE10hipError_tPvRmT2_T3_T4_T5_mT6_T7_P12ihipStream_tbENKUlT_T0_E_clISt17integral_constantIbLb1EESZ_EEDaSU_SV_EUlSU_E_NS1_11comp_targetILNS1_3genE8ELNS1_11target_archE1030ELNS1_3gpuE2ELNS1_3repE0EEENS1_30default_config_static_selectorELNS0_4arch9wavefront6targetE0EEEvT1_.num_named_barrier, 0
	.set _ZN7rocprim17ROCPRIM_400000_NS6detail17trampoline_kernelINS0_14default_configENS1_27scan_by_key_config_selectorIxxEEZZNS1_16scan_by_key_implILNS1_25lookback_scan_determinismE0ELb0ES3_N6thrust23THRUST_200600_302600_NS6detail15normal_iteratorINS9_10device_ptrIxEEEESE_SE_xNS9_4plusIvEENS9_8equal_toIvEExEE10hipError_tPvRmT2_T3_T4_T5_mT6_T7_P12ihipStream_tbENKUlT_T0_E_clISt17integral_constantIbLb1EESZ_EEDaSU_SV_EUlSU_E_NS1_11comp_targetILNS1_3genE8ELNS1_11target_archE1030ELNS1_3gpuE2ELNS1_3repE0EEENS1_30default_config_static_selectorELNS0_4arch9wavefront6targetE0EEEvT1_.private_seg_size, 0
	.set _ZN7rocprim17ROCPRIM_400000_NS6detail17trampoline_kernelINS0_14default_configENS1_27scan_by_key_config_selectorIxxEEZZNS1_16scan_by_key_implILNS1_25lookback_scan_determinismE0ELb0ES3_N6thrust23THRUST_200600_302600_NS6detail15normal_iteratorINS9_10device_ptrIxEEEESE_SE_xNS9_4plusIvEENS9_8equal_toIvEExEE10hipError_tPvRmT2_T3_T4_T5_mT6_T7_P12ihipStream_tbENKUlT_T0_E_clISt17integral_constantIbLb1EESZ_EEDaSU_SV_EUlSU_E_NS1_11comp_targetILNS1_3genE8ELNS1_11target_archE1030ELNS1_3gpuE2ELNS1_3repE0EEENS1_30default_config_static_selectorELNS0_4arch9wavefront6targetE0EEEvT1_.uses_vcc, 0
	.set _ZN7rocprim17ROCPRIM_400000_NS6detail17trampoline_kernelINS0_14default_configENS1_27scan_by_key_config_selectorIxxEEZZNS1_16scan_by_key_implILNS1_25lookback_scan_determinismE0ELb0ES3_N6thrust23THRUST_200600_302600_NS6detail15normal_iteratorINS9_10device_ptrIxEEEESE_SE_xNS9_4plusIvEENS9_8equal_toIvEExEE10hipError_tPvRmT2_T3_T4_T5_mT6_T7_P12ihipStream_tbENKUlT_T0_E_clISt17integral_constantIbLb1EESZ_EEDaSU_SV_EUlSU_E_NS1_11comp_targetILNS1_3genE8ELNS1_11target_archE1030ELNS1_3gpuE2ELNS1_3repE0EEENS1_30default_config_static_selectorELNS0_4arch9wavefront6targetE0EEEvT1_.uses_flat_scratch, 0
	.set _ZN7rocprim17ROCPRIM_400000_NS6detail17trampoline_kernelINS0_14default_configENS1_27scan_by_key_config_selectorIxxEEZZNS1_16scan_by_key_implILNS1_25lookback_scan_determinismE0ELb0ES3_N6thrust23THRUST_200600_302600_NS6detail15normal_iteratorINS9_10device_ptrIxEEEESE_SE_xNS9_4plusIvEENS9_8equal_toIvEExEE10hipError_tPvRmT2_T3_T4_T5_mT6_T7_P12ihipStream_tbENKUlT_T0_E_clISt17integral_constantIbLb1EESZ_EEDaSU_SV_EUlSU_E_NS1_11comp_targetILNS1_3genE8ELNS1_11target_archE1030ELNS1_3gpuE2ELNS1_3repE0EEENS1_30default_config_static_selectorELNS0_4arch9wavefront6targetE0EEEvT1_.has_dyn_sized_stack, 0
	.set _ZN7rocprim17ROCPRIM_400000_NS6detail17trampoline_kernelINS0_14default_configENS1_27scan_by_key_config_selectorIxxEEZZNS1_16scan_by_key_implILNS1_25lookback_scan_determinismE0ELb0ES3_N6thrust23THRUST_200600_302600_NS6detail15normal_iteratorINS9_10device_ptrIxEEEESE_SE_xNS9_4plusIvEENS9_8equal_toIvEExEE10hipError_tPvRmT2_T3_T4_T5_mT6_T7_P12ihipStream_tbENKUlT_T0_E_clISt17integral_constantIbLb1EESZ_EEDaSU_SV_EUlSU_E_NS1_11comp_targetILNS1_3genE8ELNS1_11target_archE1030ELNS1_3gpuE2ELNS1_3repE0EEENS1_30default_config_static_selectorELNS0_4arch9wavefront6targetE0EEEvT1_.has_recursion, 0
	.set _ZN7rocprim17ROCPRIM_400000_NS6detail17trampoline_kernelINS0_14default_configENS1_27scan_by_key_config_selectorIxxEEZZNS1_16scan_by_key_implILNS1_25lookback_scan_determinismE0ELb0ES3_N6thrust23THRUST_200600_302600_NS6detail15normal_iteratorINS9_10device_ptrIxEEEESE_SE_xNS9_4plusIvEENS9_8equal_toIvEExEE10hipError_tPvRmT2_T3_T4_T5_mT6_T7_P12ihipStream_tbENKUlT_T0_E_clISt17integral_constantIbLb1EESZ_EEDaSU_SV_EUlSU_E_NS1_11comp_targetILNS1_3genE8ELNS1_11target_archE1030ELNS1_3gpuE2ELNS1_3repE0EEENS1_30default_config_static_selectorELNS0_4arch9wavefront6targetE0EEEvT1_.has_indirect_call, 0
	.section	.AMDGPU.csdata,"",@progbits
; Kernel info:
; codeLenInByte = 4
; TotalNumSgprs: 0
; NumVgprs: 0
; ScratchSize: 0
; MemoryBound: 0
; FloatMode: 240
; IeeeMode: 1
; LDSByteSize: 0 bytes/workgroup (compile time only)
; SGPRBlocks: 0
; VGPRBlocks: 0
; NumSGPRsForWavesPerEU: 1
; NumVGPRsForWavesPerEU: 1
; Occupancy: 16
; WaveLimiterHint : 0
; COMPUTE_PGM_RSRC2:SCRATCH_EN: 0
; COMPUTE_PGM_RSRC2:USER_SGPR: 6
; COMPUTE_PGM_RSRC2:TRAP_HANDLER: 0
; COMPUTE_PGM_RSRC2:TGID_X_EN: 1
; COMPUTE_PGM_RSRC2:TGID_Y_EN: 0
; COMPUTE_PGM_RSRC2:TGID_Z_EN: 0
; COMPUTE_PGM_RSRC2:TIDIG_COMP_CNT: 0
	.section	.text._ZN7rocprim17ROCPRIM_400000_NS6detail30init_device_scan_by_key_kernelINS1_19lookback_scan_stateINS0_5tupleIJxbEEELb1ELb0EEEN6thrust23THRUST_200600_302600_NS6detail15normal_iteratorINS8_10device_ptrIxEEEEjNS1_16block_id_wrapperIjLb0EEEEEvT_jjPNSG_10value_typeET0_PNSt15iterator_traitsISJ_E10value_typeEmT1_T2_,"axG",@progbits,_ZN7rocprim17ROCPRIM_400000_NS6detail30init_device_scan_by_key_kernelINS1_19lookback_scan_stateINS0_5tupleIJxbEEELb1ELb0EEEN6thrust23THRUST_200600_302600_NS6detail15normal_iteratorINS8_10device_ptrIxEEEEjNS1_16block_id_wrapperIjLb0EEEEEvT_jjPNSG_10value_typeET0_PNSt15iterator_traitsISJ_E10value_typeEmT1_T2_,comdat
	.protected	_ZN7rocprim17ROCPRIM_400000_NS6detail30init_device_scan_by_key_kernelINS1_19lookback_scan_stateINS0_5tupleIJxbEEELb1ELb0EEEN6thrust23THRUST_200600_302600_NS6detail15normal_iteratorINS8_10device_ptrIxEEEEjNS1_16block_id_wrapperIjLb0EEEEEvT_jjPNSG_10value_typeET0_PNSt15iterator_traitsISJ_E10value_typeEmT1_T2_ ; -- Begin function _ZN7rocprim17ROCPRIM_400000_NS6detail30init_device_scan_by_key_kernelINS1_19lookback_scan_stateINS0_5tupleIJxbEEELb1ELb0EEEN6thrust23THRUST_200600_302600_NS6detail15normal_iteratorINS8_10device_ptrIxEEEEjNS1_16block_id_wrapperIjLb0EEEEEvT_jjPNSG_10value_typeET0_PNSt15iterator_traitsISJ_E10value_typeEmT1_T2_
	.globl	_ZN7rocprim17ROCPRIM_400000_NS6detail30init_device_scan_by_key_kernelINS1_19lookback_scan_stateINS0_5tupleIJxbEEELb1ELb0EEEN6thrust23THRUST_200600_302600_NS6detail15normal_iteratorINS8_10device_ptrIxEEEEjNS1_16block_id_wrapperIjLb0EEEEEvT_jjPNSG_10value_typeET0_PNSt15iterator_traitsISJ_E10value_typeEmT1_T2_
	.p2align	8
	.type	_ZN7rocprim17ROCPRIM_400000_NS6detail30init_device_scan_by_key_kernelINS1_19lookback_scan_stateINS0_5tupleIJxbEEELb1ELb0EEEN6thrust23THRUST_200600_302600_NS6detail15normal_iteratorINS8_10device_ptrIxEEEEjNS1_16block_id_wrapperIjLb0EEEEEvT_jjPNSG_10value_typeET0_PNSt15iterator_traitsISJ_E10value_typeEmT1_T2_,@function
_ZN7rocprim17ROCPRIM_400000_NS6detail30init_device_scan_by_key_kernelINS1_19lookback_scan_stateINS0_5tupleIJxbEEELb1ELb0EEEN6thrust23THRUST_200600_302600_NS6detail15normal_iteratorINS8_10device_ptrIxEEEEjNS1_16block_id_wrapperIjLb0EEEEEvT_jjPNSG_10value_typeET0_PNSt15iterator_traitsISJ_E10value_typeEmT1_T2_: ; @_ZN7rocprim17ROCPRIM_400000_NS6detail30init_device_scan_by_key_kernelINS1_19lookback_scan_stateINS0_5tupleIJxbEEELb1ELb0EEEN6thrust23THRUST_200600_302600_NS6detail15normal_iteratorINS8_10device_ptrIxEEEEjNS1_16block_id_wrapperIjLb0EEEEEvT_jjPNSG_10value_typeET0_PNSt15iterator_traitsISJ_E10value_typeEmT1_T2_
; %bb.0:
	s_clause 0x2
	s_load_dword s0, s[4:5], 0x54
	s_load_dwordx8 s[8:15], s[4:5], 0x10
	s_load_dword s18, s[4:5], 0x48
	s_waitcnt lgkmcnt(0)
	s_and_b32 s19, s0, 0xffff
	s_cmp_eq_u64 s[12:13], 0
	v_mad_u64_u32 v[0:1], null, s6, s19, v[0:1]
	s_cbranch_scc1 .LBB25_9
; %bb.1:
	s_cmp_lt_u32 s11, s10
	s_mov_b32 s7, 0
	s_cselect_b32 s0, s11, 0
	s_mov_b32 s20, exec_lo
	v_cmpx_eq_u32_e64 s0, v0
	s_cbranch_execz .LBB25_8
; %bb.2:
	s_add_i32 s6, s11, 32
	s_load_dwordx4 s[0:3], s[4:5], 0x0
	v_mov_b32_e32 v1, s6
	s_add_u32 s16, s8, s6
	s_addc_u32 s17, s9, 0
	global_load_ubyte v2, v1, s[8:9] glc dlc
	v_mov_b32_e32 v1, 0
	s_waitcnt vmcnt(0)
	v_cmp_ne_u32_sdwa s11, v2, v1 src0_sel:WORD_0 src1_sel:DWORD
	v_readfirstlane_b32 s21, v2
	s_and_b32 vcc_lo, exec_lo, s11
	s_cbranch_vccnz .LBB25_7
; %bb.3:
	s_mov_b32 s11, 1
.LBB25_4:                               ; =>This Loop Header: Depth=1
                                        ;     Child Loop BB25_5 Depth 2
	s_mov_b32 s21, s11
.LBB25_5:                               ;   Parent Loop BB25_4 Depth=1
                                        ; =>  This Inner Loop Header: Depth=2
	s_add_i32 s21, s21, -1
	s_sleep 1
	s_cmp_eq_u32 s21, 0
	s_cbranch_scc0 .LBB25_5
; %bb.6:                                ;   in Loop: Header=BB25_4 Depth=1
	global_load_ubyte v2, v1, s[16:17] glc dlc
	s_cmp_lt_u32 s11, 32
	s_cselect_b32 s21, -1, 0
	s_cmp_lg_u32 s21, 0
	s_addc_u32 s11, s11, 0
	s_waitcnt vmcnt(0)
	v_cmp_ne_u32_sdwa s22, v2, v1 src0_sel:WORD_0 src1_sel:DWORD
	v_readfirstlane_b32 s21, v2
	s_and_b32 vcc_lo, exec_lo, s22
	s_cbranch_vccz .LBB25_4
.LBB25_7:
	s_and_b32 s11, 0xffff, s21
	v_mov_b32_e32 v3, 0
	s_cmp_eq_u32 s11, 1
	s_waitcnt lgkmcnt(0)
	buffer_gl1_inv
	buffer_gl0_inv
	s_cselect_b32 s3, s1, s3
	s_cselect_b32 s2, s0, s2
	s_lshl_b64 s[0:1], s[6:7], 4
	s_add_u32 s0, s2, s0
	s_addc_u32 s1, s3, s1
	s_clause 0x1
	global_load_dwordx2 v[1:2], v3, s[0:1]
	global_load_ubyte v4, v3, s[0:1] offset:8
	s_waitcnt vmcnt(1)
	global_store_dwordx2 v3, v[1:2], s[12:13]
	s_waitcnt vmcnt(0)
	global_store_byte v3, v4, s[12:13] offset:8
.LBB25_8:
	s_or_b32 exec_lo, exec_lo, s20
.LBB25_9:
	s_mov_b32 s0, exec_lo
	v_cmpx_gt_u32_e64 s10, v0
	s_cbranch_execz .LBB25_11
; %bb.10:
	v_add_nc_u32_e32 v1, 32, v0
	v_mov_b32_e32 v2, 0
	global_store_byte v1, v2, s[8:9]
.LBB25_11:
	s_or_b32 exec_lo, exec_lo, s0
	v_mov_b32_e32 v1, 0
	s_mov_b32 s0, exec_lo
	v_cmpx_gt_u32_e32 32, v0
	s_cbranch_execz .LBB25_13
; %bb.12:
	v_add_co_u32 v2, s1, s8, v0
	v_add_co_ci_u32_e64 v3, null, s9, 0, s1
	v_mov_b32_e32 v4, 0xff
	global_store_byte v[2:3], v4, off
.LBB25_13:
	s_or_b32 exec_lo, exec_lo, s0
	s_load_dwordx2 s[2:3], s[4:5], 0x38
	s_mov_b32 s0, exec_lo
	s_waitcnt lgkmcnt(0)
	v_cmpx_gt_u64_e64 s[2:3], v[0:1]
	s_cbranch_execz .LBB25_16
; %bb.14:
	s_clause 0x1
	s_load_dword s8, s[4:5], 0x40
	s_load_dwordx2 s[6:7], s[4:5], 0x30
	s_mov_b32 s1, 0
	v_lshlrev_b64 v[4:5], 3, v[0:1]
	s_mul_i32 s4, s18, s19
	s_waitcnt lgkmcnt(0)
	v_mad_u64_u32 v[2:3], null, s8, v0, 0
	s_add_i32 s0, s8, -1
	s_mul_hi_u32 s9, s8, s4
	s_lshl_b64 s[10:11], s[0:1], 3
	s_mul_i32 s8, s8, s4
	s_add_u32 s0, s14, s10
	s_addc_u32 s5, s15, s11
	v_lshlrev_b64 v[2:3], 3, v[2:3]
	v_add_co_u32 v2, vcc_lo, s0, v2
	v_add_co_ci_u32_e64 v3, null, s5, v3, vcc_lo
	v_add_co_u32 v4, vcc_lo, s6, v4
	v_add_co_ci_u32_e64 v5, null, s7, v5, vcc_lo
	s_mov_b32 s5, s1
	s_lshl_b64 s[6:7], s[8:9], 3
	s_lshl_b64 s[8:9], s[4:5], 3
	.p2align	6
.LBB25_15:                              ; =>This Inner Loop Header: Depth=1
	global_load_dwordx2 v[6:7], v[2:3], off
	v_add_co_u32 v0, vcc_lo, v0, s4
	v_add_co_ci_u32_e64 v1, null, 0, v1, vcc_lo
	v_add_co_u32 v2, vcc_lo, v2, s6
	v_add_co_ci_u32_e64 v3, null, s7, v3, vcc_lo
	v_cmp_le_u64_e32 vcc_lo, s[2:3], v[0:1]
	s_or_b32 s1, vcc_lo, s1
	s_waitcnt vmcnt(0)
	global_store_dwordx2 v[4:5], v[6:7], off
	v_add_co_u32 v4, s0, v4, s8
	v_add_co_ci_u32_e64 v5, null, s9, v5, s0
	s_andn2_b32 exec_lo, exec_lo, s1
	s_cbranch_execnz .LBB25_15
.LBB25_16:
	s_endpgm
	.section	.rodata,"a",@progbits
	.p2align	6, 0x0
	.amdhsa_kernel _ZN7rocprim17ROCPRIM_400000_NS6detail30init_device_scan_by_key_kernelINS1_19lookback_scan_stateINS0_5tupleIJxbEEELb1ELb0EEEN6thrust23THRUST_200600_302600_NS6detail15normal_iteratorINS8_10device_ptrIxEEEEjNS1_16block_id_wrapperIjLb0EEEEEvT_jjPNSG_10value_typeET0_PNSt15iterator_traitsISJ_E10value_typeEmT1_T2_
		.amdhsa_group_segment_fixed_size 0
		.amdhsa_private_segment_fixed_size 0
		.amdhsa_kernarg_size 328
		.amdhsa_user_sgpr_count 6
		.amdhsa_user_sgpr_private_segment_buffer 1
		.amdhsa_user_sgpr_dispatch_ptr 0
		.amdhsa_user_sgpr_queue_ptr 0
		.amdhsa_user_sgpr_kernarg_segment_ptr 1
		.amdhsa_user_sgpr_dispatch_id 0
		.amdhsa_user_sgpr_flat_scratch_init 0
		.amdhsa_user_sgpr_private_segment_size 0
		.amdhsa_wavefront_size32 1
		.amdhsa_uses_dynamic_stack 0
		.amdhsa_system_sgpr_private_segment_wavefront_offset 0
		.amdhsa_system_sgpr_workgroup_id_x 1
		.amdhsa_system_sgpr_workgroup_id_y 0
		.amdhsa_system_sgpr_workgroup_id_z 0
		.amdhsa_system_sgpr_workgroup_info 0
		.amdhsa_system_vgpr_workitem_id 0
		.amdhsa_next_free_vgpr 8
		.amdhsa_next_free_sgpr 23
		.amdhsa_reserve_vcc 1
		.amdhsa_reserve_flat_scratch 0
		.amdhsa_float_round_mode_32 0
		.amdhsa_float_round_mode_16_64 0
		.amdhsa_float_denorm_mode_32 3
		.amdhsa_float_denorm_mode_16_64 3
		.amdhsa_dx10_clamp 1
		.amdhsa_ieee_mode 1
		.amdhsa_fp16_overflow 0
		.amdhsa_workgroup_processor_mode 1
		.amdhsa_memory_ordered 1
		.amdhsa_forward_progress 1
		.amdhsa_shared_vgpr_count 0
		.amdhsa_exception_fp_ieee_invalid_op 0
		.amdhsa_exception_fp_denorm_src 0
		.amdhsa_exception_fp_ieee_div_zero 0
		.amdhsa_exception_fp_ieee_overflow 0
		.amdhsa_exception_fp_ieee_underflow 0
		.amdhsa_exception_fp_ieee_inexact 0
		.amdhsa_exception_int_div_zero 0
	.end_amdhsa_kernel
	.section	.text._ZN7rocprim17ROCPRIM_400000_NS6detail30init_device_scan_by_key_kernelINS1_19lookback_scan_stateINS0_5tupleIJxbEEELb1ELb0EEEN6thrust23THRUST_200600_302600_NS6detail15normal_iteratorINS8_10device_ptrIxEEEEjNS1_16block_id_wrapperIjLb0EEEEEvT_jjPNSG_10value_typeET0_PNSt15iterator_traitsISJ_E10value_typeEmT1_T2_,"axG",@progbits,_ZN7rocprim17ROCPRIM_400000_NS6detail30init_device_scan_by_key_kernelINS1_19lookback_scan_stateINS0_5tupleIJxbEEELb1ELb0EEEN6thrust23THRUST_200600_302600_NS6detail15normal_iteratorINS8_10device_ptrIxEEEEjNS1_16block_id_wrapperIjLb0EEEEEvT_jjPNSG_10value_typeET0_PNSt15iterator_traitsISJ_E10value_typeEmT1_T2_,comdat
.Lfunc_end25:
	.size	_ZN7rocprim17ROCPRIM_400000_NS6detail30init_device_scan_by_key_kernelINS1_19lookback_scan_stateINS0_5tupleIJxbEEELb1ELb0EEEN6thrust23THRUST_200600_302600_NS6detail15normal_iteratorINS8_10device_ptrIxEEEEjNS1_16block_id_wrapperIjLb0EEEEEvT_jjPNSG_10value_typeET0_PNSt15iterator_traitsISJ_E10value_typeEmT1_T2_, .Lfunc_end25-_ZN7rocprim17ROCPRIM_400000_NS6detail30init_device_scan_by_key_kernelINS1_19lookback_scan_stateINS0_5tupleIJxbEEELb1ELb0EEEN6thrust23THRUST_200600_302600_NS6detail15normal_iteratorINS8_10device_ptrIxEEEEjNS1_16block_id_wrapperIjLb0EEEEEvT_jjPNSG_10value_typeET0_PNSt15iterator_traitsISJ_E10value_typeEmT1_T2_
                                        ; -- End function
	.set _ZN7rocprim17ROCPRIM_400000_NS6detail30init_device_scan_by_key_kernelINS1_19lookback_scan_stateINS0_5tupleIJxbEEELb1ELb0EEEN6thrust23THRUST_200600_302600_NS6detail15normal_iteratorINS8_10device_ptrIxEEEEjNS1_16block_id_wrapperIjLb0EEEEEvT_jjPNSG_10value_typeET0_PNSt15iterator_traitsISJ_E10value_typeEmT1_T2_.num_vgpr, 8
	.set _ZN7rocprim17ROCPRIM_400000_NS6detail30init_device_scan_by_key_kernelINS1_19lookback_scan_stateINS0_5tupleIJxbEEELb1ELb0EEEN6thrust23THRUST_200600_302600_NS6detail15normal_iteratorINS8_10device_ptrIxEEEEjNS1_16block_id_wrapperIjLb0EEEEEvT_jjPNSG_10value_typeET0_PNSt15iterator_traitsISJ_E10value_typeEmT1_T2_.num_agpr, 0
	.set _ZN7rocprim17ROCPRIM_400000_NS6detail30init_device_scan_by_key_kernelINS1_19lookback_scan_stateINS0_5tupleIJxbEEELb1ELb0EEEN6thrust23THRUST_200600_302600_NS6detail15normal_iteratorINS8_10device_ptrIxEEEEjNS1_16block_id_wrapperIjLb0EEEEEvT_jjPNSG_10value_typeET0_PNSt15iterator_traitsISJ_E10value_typeEmT1_T2_.numbered_sgpr, 23
	.set _ZN7rocprim17ROCPRIM_400000_NS6detail30init_device_scan_by_key_kernelINS1_19lookback_scan_stateINS0_5tupleIJxbEEELb1ELb0EEEN6thrust23THRUST_200600_302600_NS6detail15normal_iteratorINS8_10device_ptrIxEEEEjNS1_16block_id_wrapperIjLb0EEEEEvT_jjPNSG_10value_typeET0_PNSt15iterator_traitsISJ_E10value_typeEmT1_T2_.num_named_barrier, 0
	.set _ZN7rocprim17ROCPRIM_400000_NS6detail30init_device_scan_by_key_kernelINS1_19lookback_scan_stateINS0_5tupleIJxbEEELb1ELb0EEEN6thrust23THRUST_200600_302600_NS6detail15normal_iteratorINS8_10device_ptrIxEEEEjNS1_16block_id_wrapperIjLb0EEEEEvT_jjPNSG_10value_typeET0_PNSt15iterator_traitsISJ_E10value_typeEmT1_T2_.private_seg_size, 0
	.set _ZN7rocprim17ROCPRIM_400000_NS6detail30init_device_scan_by_key_kernelINS1_19lookback_scan_stateINS0_5tupleIJxbEEELb1ELb0EEEN6thrust23THRUST_200600_302600_NS6detail15normal_iteratorINS8_10device_ptrIxEEEEjNS1_16block_id_wrapperIjLb0EEEEEvT_jjPNSG_10value_typeET0_PNSt15iterator_traitsISJ_E10value_typeEmT1_T2_.uses_vcc, 1
	.set _ZN7rocprim17ROCPRIM_400000_NS6detail30init_device_scan_by_key_kernelINS1_19lookback_scan_stateINS0_5tupleIJxbEEELb1ELb0EEEN6thrust23THRUST_200600_302600_NS6detail15normal_iteratorINS8_10device_ptrIxEEEEjNS1_16block_id_wrapperIjLb0EEEEEvT_jjPNSG_10value_typeET0_PNSt15iterator_traitsISJ_E10value_typeEmT1_T2_.uses_flat_scratch, 0
	.set _ZN7rocprim17ROCPRIM_400000_NS6detail30init_device_scan_by_key_kernelINS1_19lookback_scan_stateINS0_5tupleIJxbEEELb1ELb0EEEN6thrust23THRUST_200600_302600_NS6detail15normal_iteratorINS8_10device_ptrIxEEEEjNS1_16block_id_wrapperIjLb0EEEEEvT_jjPNSG_10value_typeET0_PNSt15iterator_traitsISJ_E10value_typeEmT1_T2_.has_dyn_sized_stack, 0
	.set _ZN7rocprim17ROCPRIM_400000_NS6detail30init_device_scan_by_key_kernelINS1_19lookback_scan_stateINS0_5tupleIJxbEEELb1ELb0EEEN6thrust23THRUST_200600_302600_NS6detail15normal_iteratorINS8_10device_ptrIxEEEEjNS1_16block_id_wrapperIjLb0EEEEEvT_jjPNSG_10value_typeET0_PNSt15iterator_traitsISJ_E10value_typeEmT1_T2_.has_recursion, 0
	.set _ZN7rocprim17ROCPRIM_400000_NS6detail30init_device_scan_by_key_kernelINS1_19lookback_scan_stateINS0_5tupleIJxbEEELb1ELb0EEEN6thrust23THRUST_200600_302600_NS6detail15normal_iteratorINS8_10device_ptrIxEEEEjNS1_16block_id_wrapperIjLb0EEEEEvT_jjPNSG_10value_typeET0_PNSt15iterator_traitsISJ_E10value_typeEmT1_T2_.has_indirect_call, 0
	.section	.AMDGPU.csdata,"",@progbits
; Kernel info:
; codeLenInByte = 664
; TotalNumSgprs: 25
; NumVgprs: 8
; ScratchSize: 0
; MemoryBound: 0
; FloatMode: 240
; IeeeMode: 1
; LDSByteSize: 0 bytes/workgroup (compile time only)
; SGPRBlocks: 0
; VGPRBlocks: 0
; NumSGPRsForWavesPerEU: 25
; NumVGPRsForWavesPerEU: 8
; Occupancy: 16
; WaveLimiterHint : 0
; COMPUTE_PGM_RSRC2:SCRATCH_EN: 0
; COMPUTE_PGM_RSRC2:USER_SGPR: 6
; COMPUTE_PGM_RSRC2:TRAP_HANDLER: 0
; COMPUTE_PGM_RSRC2:TGID_X_EN: 1
; COMPUTE_PGM_RSRC2:TGID_Y_EN: 0
; COMPUTE_PGM_RSRC2:TGID_Z_EN: 0
; COMPUTE_PGM_RSRC2:TIDIG_COMP_CNT: 0
	.section	.text._ZN7rocprim17ROCPRIM_400000_NS6detail30init_device_scan_by_key_kernelINS1_19lookback_scan_stateINS0_5tupleIJxbEEELb1ELb0EEENS1_16block_id_wrapperIjLb0EEEEEvT_jjPNS9_10value_typeET0_,"axG",@progbits,_ZN7rocprim17ROCPRIM_400000_NS6detail30init_device_scan_by_key_kernelINS1_19lookback_scan_stateINS0_5tupleIJxbEEELb1ELb0EEENS1_16block_id_wrapperIjLb0EEEEEvT_jjPNS9_10value_typeET0_,comdat
	.protected	_ZN7rocprim17ROCPRIM_400000_NS6detail30init_device_scan_by_key_kernelINS1_19lookback_scan_stateINS0_5tupleIJxbEEELb1ELb0EEENS1_16block_id_wrapperIjLb0EEEEEvT_jjPNS9_10value_typeET0_ ; -- Begin function _ZN7rocprim17ROCPRIM_400000_NS6detail30init_device_scan_by_key_kernelINS1_19lookback_scan_stateINS0_5tupleIJxbEEELb1ELb0EEENS1_16block_id_wrapperIjLb0EEEEEvT_jjPNS9_10value_typeET0_
	.globl	_ZN7rocprim17ROCPRIM_400000_NS6detail30init_device_scan_by_key_kernelINS1_19lookback_scan_stateINS0_5tupleIJxbEEELb1ELb0EEENS1_16block_id_wrapperIjLb0EEEEEvT_jjPNS9_10value_typeET0_
	.p2align	8
	.type	_ZN7rocprim17ROCPRIM_400000_NS6detail30init_device_scan_by_key_kernelINS1_19lookback_scan_stateINS0_5tupleIJxbEEELb1ELb0EEENS1_16block_id_wrapperIjLb0EEEEEvT_jjPNS9_10value_typeET0_,@function
_ZN7rocprim17ROCPRIM_400000_NS6detail30init_device_scan_by_key_kernelINS1_19lookback_scan_stateINS0_5tupleIJxbEEELb1ELb0EEENS1_16block_id_wrapperIjLb0EEEEEvT_jjPNS9_10value_typeET0_: ; @_ZN7rocprim17ROCPRIM_400000_NS6detail30init_device_scan_by_key_kernelINS1_19lookback_scan_stateINS0_5tupleIJxbEEELb1ELb0EEENS1_16block_id_wrapperIjLb0EEEEEvT_jjPNS9_10value_typeET0_
; %bb.0:
	s_clause 0x2
	s_load_dword s7, s[4:5], 0x3c
	s_load_dwordx2 s[8:9], s[4:5], 0x20
	s_load_dwordx4 s[0:3], s[4:5], 0x10
	s_waitcnt lgkmcnt(0)
	s_and_b32 s7, s7, 0xffff
	s_cmp_eq_u64 s[8:9], 0
	v_mad_u64_u32 v[0:1], null, s6, s7, v[0:1]
	s_cbranch_scc1 .LBB26_9
; %bb.1:
	s_cmp_lt_u32 s3, s2
	s_mov_b32 s11, 0
	s_cselect_b32 s6, s3, 0
	s_mov_b32 s14, exec_lo
	v_cmpx_eq_u32_e64 s6, v0
	s_cbranch_execz .LBB26_8
; %bb.2:
	s_add_i32 s10, s3, 32
	s_load_dwordx4 s[4:7], s[4:5], 0x0
	v_mov_b32_e32 v1, s10
	s_add_u32 s12, s0, s10
	s_addc_u32 s13, s1, 0
	global_load_ubyte v2, v1, s[0:1] glc dlc
	v_mov_b32_e32 v1, 0
	s_waitcnt vmcnt(0)
	v_cmp_ne_u32_sdwa s3, v2, v1 src0_sel:WORD_0 src1_sel:DWORD
	v_readfirstlane_b32 s15, v2
	s_and_b32 vcc_lo, exec_lo, s3
	s_cbranch_vccnz .LBB26_7
; %bb.3:
	s_mov_b32 s3, 1
.LBB26_4:                               ; =>This Loop Header: Depth=1
                                        ;     Child Loop BB26_5 Depth 2
	s_mov_b32 s15, s3
.LBB26_5:                               ;   Parent Loop BB26_4 Depth=1
                                        ; =>  This Inner Loop Header: Depth=2
	s_add_i32 s15, s15, -1
	s_sleep 1
	s_cmp_eq_u32 s15, 0
	s_cbranch_scc0 .LBB26_5
; %bb.6:                                ;   in Loop: Header=BB26_4 Depth=1
	global_load_ubyte v2, v1, s[12:13] glc dlc
	s_cmp_lt_u32 s3, 32
	s_cselect_b32 s15, -1, 0
	s_cmp_lg_u32 s15, 0
	s_addc_u32 s3, s3, 0
	s_waitcnt vmcnt(0)
	v_cmp_ne_u32_sdwa s16, v2, v1 src0_sel:WORD_0 src1_sel:DWORD
	v_readfirstlane_b32 s15, v2
	s_and_b32 vcc_lo, exec_lo, s16
	s_cbranch_vccz .LBB26_4
.LBB26_7:
	s_and_b32 s3, 0xffff, s15
	v_mov_b32_e32 v3, 0
	s_cmp_eq_u32 s3, 1
	s_waitcnt lgkmcnt(0)
	buffer_gl1_inv
	buffer_gl0_inv
	s_cselect_b32 s3, s5, s7
	s_cselect_b32 s6, s4, s6
	s_lshl_b64 s[4:5], s[10:11], 4
	s_add_u32 s4, s6, s4
	s_addc_u32 s5, s3, s5
	s_clause 0x1
	global_load_dwordx2 v[1:2], v3, s[4:5]
	global_load_ubyte v4, v3, s[4:5] offset:8
	s_waitcnt vmcnt(1)
	global_store_dwordx2 v3, v[1:2], s[8:9]
	s_waitcnt vmcnt(0)
	global_store_byte v3, v4, s[8:9] offset:8
.LBB26_8:
	s_or_b32 exec_lo, exec_lo, s14
.LBB26_9:
	v_cmp_gt_u32_e32 vcc_lo, s2, v0
	s_and_saveexec_b32 s2, vcc_lo
	s_cbranch_execz .LBB26_11
; %bb.10:
	v_add_nc_u32_e32 v1, 32, v0
	v_mov_b32_e32 v2, 0
	global_store_byte v1, v2, s[0:1]
.LBB26_11:
	s_or_b32 exec_lo, exec_lo, s2
	s_mov_b32 s2, exec_lo
	v_cmpx_gt_u32_e32 32, v0
	s_cbranch_execz .LBB26_13
; %bb.12:
	v_mov_b32_e32 v1, 0xff
	global_store_byte v0, v1, s[0:1]
.LBB26_13:
	s_endpgm
	.section	.rodata,"a",@progbits
	.p2align	6, 0x0
	.amdhsa_kernel _ZN7rocprim17ROCPRIM_400000_NS6detail30init_device_scan_by_key_kernelINS1_19lookback_scan_stateINS0_5tupleIJxbEEELb1ELb0EEENS1_16block_id_wrapperIjLb0EEEEEvT_jjPNS9_10value_typeET0_
		.amdhsa_group_segment_fixed_size 0
		.amdhsa_private_segment_fixed_size 0
		.amdhsa_kernarg_size 304
		.amdhsa_user_sgpr_count 6
		.amdhsa_user_sgpr_private_segment_buffer 1
		.amdhsa_user_sgpr_dispatch_ptr 0
		.amdhsa_user_sgpr_queue_ptr 0
		.amdhsa_user_sgpr_kernarg_segment_ptr 1
		.amdhsa_user_sgpr_dispatch_id 0
		.amdhsa_user_sgpr_flat_scratch_init 0
		.amdhsa_user_sgpr_private_segment_size 0
		.amdhsa_wavefront_size32 1
		.amdhsa_uses_dynamic_stack 0
		.amdhsa_system_sgpr_private_segment_wavefront_offset 0
		.amdhsa_system_sgpr_workgroup_id_x 1
		.amdhsa_system_sgpr_workgroup_id_y 0
		.amdhsa_system_sgpr_workgroup_id_z 0
		.amdhsa_system_sgpr_workgroup_info 0
		.amdhsa_system_vgpr_workitem_id 0
		.amdhsa_next_free_vgpr 5
		.amdhsa_next_free_sgpr 17
		.amdhsa_reserve_vcc 1
		.amdhsa_reserve_flat_scratch 0
		.amdhsa_float_round_mode_32 0
		.amdhsa_float_round_mode_16_64 0
		.amdhsa_float_denorm_mode_32 3
		.amdhsa_float_denorm_mode_16_64 3
		.amdhsa_dx10_clamp 1
		.amdhsa_ieee_mode 1
		.amdhsa_fp16_overflow 0
		.amdhsa_workgroup_processor_mode 1
		.amdhsa_memory_ordered 1
		.amdhsa_forward_progress 1
		.amdhsa_shared_vgpr_count 0
		.amdhsa_exception_fp_ieee_invalid_op 0
		.amdhsa_exception_fp_denorm_src 0
		.amdhsa_exception_fp_ieee_div_zero 0
		.amdhsa_exception_fp_ieee_overflow 0
		.amdhsa_exception_fp_ieee_underflow 0
		.amdhsa_exception_fp_ieee_inexact 0
		.amdhsa_exception_int_div_zero 0
	.end_amdhsa_kernel
	.section	.text._ZN7rocprim17ROCPRIM_400000_NS6detail30init_device_scan_by_key_kernelINS1_19lookback_scan_stateINS0_5tupleIJxbEEELb1ELb0EEENS1_16block_id_wrapperIjLb0EEEEEvT_jjPNS9_10value_typeET0_,"axG",@progbits,_ZN7rocprim17ROCPRIM_400000_NS6detail30init_device_scan_by_key_kernelINS1_19lookback_scan_stateINS0_5tupleIJxbEEELb1ELb0EEENS1_16block_id_wrapperIjLb0EEEEEvT_jjPNS9_10value_typeET0_,comdat
.Lfunc_end26:
	.size	_ZN7rocprim17ROCPRIM_400000_NS6detail30init_device_scan_by_key_kernelINS1_19lookback_scan_stateINS0_5tupleIJxbEEELb1ELb0EEENS1_16block_id_wrapperIjLb0EEEEEvT_jjPNS9_10value_typeET0_, .Lfunc_end26-_ZN7rocprim17ROCPRIM_400000_NS6detail30init_device_scan_by_key_kernelINS1_19lookback_scan_stateINS0_5tupleIJxbEEELb1ELb0EEENS1_16block_id_wrapperIjLb0EEEEEvT_jjPNS9_10value_typeET0_
                                        ; -- End function
	.set _ZN7rocprim17ROCPRIM_400000_NS6detail30init_device_scan_by_key_kernelINS1_19lookback_scan_stateINS0_5tupleIJxbEEELb1ELb0EEENS1_16block_id_wrapperIjLb0EEEEEvT_jjPNS9_10value_typeET0_.num_vgpr, 5
	.set _ZN7rocprim17ROCPRIM_400000_NS6detail30init_device_scan_by_key_kernelINS1_19lookback_scan_stateINS0_5tupleIJxbEEELb1ELb0EEENS1_16block_id_wrapperIjLb0EEEEEvT_jjPNS9_10value_typeET0_.num_agpr, 0
	.set _ZN7rocprim17ROCPRIM_400000_NS6detail30init_device_scan_by_key_kernelINS1_19lookback_scan_stateINS0_5tupleIJxbEEELb1ELb0EEENS1_16block_id_wrapperIjLb0EEEEEvT_jjPNS9_10value_typeET0_.numbered_sgpr, 17
	.set _ZN7rocprim17ROCPRIM_400000_NS6detail30init_device_scan_by_key_kernelINS1_19lookback_scan_stateINS0_5tupleIJxbEEELb1ELb0EEENS1_16block_id_wrapperIjLb0EEEEEvT_jjPNS9_10value_typeET0_.num_named_barrier, 0
	.set _ZN7rocprim17ROCPRIM_400000_NS6detail30init_device_scan_by_key_kernelINS1_19lookback_scan_stateINS0_5tupleIJxbEEELb1ELb0EEENS1_16block_id_wrapperIjLb0EEEEEvT_jjPNS9_10value_typeET0_.private_seg_size, 0
	.set _ZN7rocprim17ROCPRIM_400000_NS6detail30init_device_scan_by_key_kernelINS1_19lookback_scan_stateINS0_5tupleIJxbEEELb1ELb0EEENS1_16block_id_wrapperIjLb0EEEEEvT_jjPNS9_10value_typeET0_.uses_vcc, 1
	.set _ZN7rocprim17ROCPRIM_400000_NS6detail30init_device_scan_by_key_kernelINS1_19lookback_scan_stateINS0_5tupleIJxbEEELb1ELb0EEENS1_16block_id_wrapperIjLb0EEEEEvT_jjPNS9_10value_typeET0_.uses_flat_scratch, 0
	.set _ZN7rocprim17ROCPRIM_400000_NS6detail30init_device_scan_by_key_kernelINS1_19lookback_scan_stateINS0_5tupleIJxbEEELb1ELb0EEENS1_16block_id_wrapperIjLb0EEEEEvT_jjPNS9_10value_typeET0_.has_dyn_sized_stack, 0
	.set _ZN7rocprim17ROCPRIM_400000_NS6detail30init_device_scan_by_key_kernelINS1_19lookback_scan_stateINS0_5tupleIJxbEEELb1ELb0EEENS1_16block_id_wrapperIjLb0EEEEEvT_jjPNS9_10value_typeET0_.has_recursion, 0
	.set _ZN7rocprim17ROCPRIM_400000_NS6detail30init_device_scan_by_key_kernelINS1_19lookback_scan_stateINS0_5tupleIJxbEEELb1ELb0EEENS1_16block_id_wrapperIjLb0EEEEEvT_jjPNS9_10value_typeET0_.has_indirect_call, 0
	.section	.AMDGPU.csdata,"",@progbits
; Kernel info:
; codeLenInByte = 384
; TotalNumSgprs: 19
; NumVgprs: 5
; ScratchSize: 0
; MemoryBound: 0
; FloatMode: 240
; IeeeMode: 1
; LDSByteSize: 0 bytes/workgroup (compile time only)
; SGPRBlocks: 0
; VGPRBlocks: 0
; NumSGPRsForWavesPerEU: 19
; NumVGPRsForWavesPerEU: 5
; Occupancy: 16
; WaveLimiterHint : 0
; COMPUTE_PGM_RSRC2:SCRATCH_EN: 0
; COMPUTE_PGM_RSRC2:USER_SGPR: 6
; COMPUTE_PGM_RSRC2:TRAP_HANDLER: 0
; COMPUTE_PGM_RSRC2:TGID_X_EN: 1
; COMPUTE_PGM_RSRC2:TGID_Y_EN: 0
; COMPUTE_PGM_RSRC2:TGID_Z_EN: 0
; COMPUTE_PGM_RSRC2:TIDIG_COMP_CNT: 0
	.section	.text._ZN7rocprim17ROCPRIM_400000_NS6detail17trampoline_kernelINS0_14default_configENS1_27scan_by_key_config_selectorIxxEEZZNS1_16scan_by_key_implILNS1_25lookback_scan_determinismE0ELb0ES3_N6thrust23THRUST_200600_302600_NS6detail15normal_iteratorINS9_10device_ptrIxEEEESE_SE_xNS9_4plusIvEENS9_8equal_toIvEExEE10hipError_tPvRmT2_T3_T4_T5_mT6_T7_P12ihipStream_tbENKUlT_T0_E_clISt17integral_constantIbLb1EESY_IbLb0EEEEDaSU_SV_EUlSU_E_NS1_11comp_targetILNS1_3genE0ELNS1_11target_archE4294967295ELNS1_3gpuE0ELNS1_3repE0EEENS1_30default_config_static_selectorELNS0_4arch9wavefront6targetE0EEEvT1_,"axG",@progbits,_ZN7rocprim17ROCPRIM_400000_NS6detail17trampoline_kernelINS0_14default_configENS1_27scan_by_key_config_selectorIxxEEZZNS1_16scan_by_key_implILNS1_25lookback_scan_determinismE0ELb0ES3_N6thrust23THRUST_200600_302600_NS6detail15normal_iteratorINS9_10device_ptrIxEEEESE_SE_xNS9_4plusIvEENS9_8equal_toIvEExEE10hipError_tPvRmT2_T3_T4_T5_mT6_T7_P12ihipStream_tbENKUlT_T0_E_clISt17integral_constantIbLb1EESY_IbLb0EEEEDaSU_SV_EUlSU_E_NS1_11comp_targetILNS1_3genE0ELNS1_11target_archE4294967295ELNS1_3gpuE0ELNS1_3repE0EEENS1_30default_config_static_selectorELNS0_4arch9wavefront6targetE0EEEvT1_,comdat
	.protected	_ZN7rocprim17ROCPRIM_400000_NS6detail17trampoline_kernelINS0_14default_configENS1_27scan_by_key_config_selectorIxxEEZZNS1_16scan_by_key_implILNS1_25lookback_scan_determinismE0ELb0ES3_N6thrust23THRUST_200600_302600_NS6detail15normal_iteratorINS9_10device_ptrIxEEEESE_SE_xNS9_4plusIvEENS9_8equal_toIvEExEE10hipError_tPvRmT2_T3_T4_T5_mT6_T7_P12ihipStream_tbENKUlT_T0_E_clISt17integral_constantIbLb1EESY_IbLb0EEEEDaSU_SV_EUlSU_E_NS1_11comp_targetILNS1_3genE0ELNS1_11target_archE4294967295ELNS1_3gpuE0ELNS1_3repE0EEENS1_30default_config_static_selectorELNS0_4arch9wavefront6targetE0EEEvT1_ ; -- Begin function _ZN7rocprim17ROCPRIM_400000_NS6detail17trampoline_kernelINS0_14default_configENS1_27scan_by_key_config_selectorIxxEEZZNS1_16scan_by_key_implILNS1_25lookback_scan_determinismE0ELb0ES3_N6thrust23THRUST_200600_302600_NS6detail15normal_iteratorINS9_10device_ptrIxEEEESE_SE_xNS9_4plusIvEENS9_8equal_toIvEExEE10hipError_tPvRmT2_T3_T4_T5_mT6_T7_P12ihipStream_tbENKUlT_T0_E_clISt17integral_constantIbLb1EESY_IbLb0EEEEDaSU_SV_EUlSU_E_NS1_11comp_targetILNS1_3genE0ELNS1_11target_archE4294967295ELNS1_3gpuE0ELNS1_3repE0EEENS1_30default_config_static_selectorELNS0_4arch9wavefront6targetE0EEEvT1_
	.globl	_ZN7rocprim17ROCPRIM_400000_NS6detail17trampoline_kernelINS0_14default_configENS1_27scan_by_key_config_selectorIxxEEZZNS1_16scan_by_key_implILNS1_25lookback_scan_determinismE0ELb0ES3_N6thrust23THRUST_200600_302600_NS6detail15normal_iteratorINS9_10device_ptrIxEEEESE_SE_xNS9_4plusIvEENS9_8equal_toIvEExEE10hipError_tPvRmT2_T3_T4_T5_mT6_T7_P12ihipStream_tbENKUlT_T0_E_clISt17integral_constantIbLb1EESY_IbLb0EEEEDaSU_SV_EUlSU_E_NS1_11comp_targetILNS1_3genE0ELNS1_11target_archE4294967295ELNS1_3gpuE0ELNS1_3repE0EEENS1_30default_config_static_selectorELNS0_4arch9wavefront6targetE0EEEvT1_
	.p2align	8
	.type	_ZN7rocprim17ROCPRIM_400000_NS6detail17trampoline_kernelINS0_14default_configENS1_27scan_by_key_config_selectorIxxEEZZNS1_16scan_by_key_implILNS1_25lookback_scan_determinismE0ELb0ES3_N6thrust23THRUST_200600_302600_NS6detail15normal_iteratorINS9_10device_ptrIxEEEESE_SE_xNS9_4plusIvEENS9_8equal_toIvEExEE10hipError_tPvRmT2_T3_T4_T5_mT6_T7_P12ihipStream_tbENKUlT_T0_E_clISt17integral_constantIbLb1EESY_IbLb0EEEEDaSU_SV_EUlSU_E_NS1_11comp_targetILNS1_3genE0ELNS1_11target_archE4294967295ELNS1_3gpuE0ELNS1_3repE0EEENS1_30default_config_static_selectorELNS0_4arch9wavefront6targetE0EEEvT1_,@function
_ZN7rocprim17ROCPRIM_400000_NS6detail17trampoline_kernelINS0_14default_configENS1_27scan_by_key_config_selectorIxxEEZZNS1_16scan_by_key_implILNS1_25lookback_scan_determinismE0ELb0ES3_N6thrust23THRUST_200600_302600_NS6detail15normal_iteratorINS9_10device_ptrIxEEEESE_SE_xNS9_4plusIvEENS9_8equal_toIvEExEE10hipError_tPvRmT2_T3_T4_T5_mT6_T7_P12ihipStream_tbENKUlT_T0_E_clISt17integral_constantIbLb1EESY_IbLb0EEEEDaSU_SV_EUlSU_E_NS1_11comp_targetILNS1_3genE0ELNS1_11target_archE4294967295ELNS1_3gpuE0ELNS1_3repE0EEENS1_30default_config_static_selectorELNS0_4arch9wavefront6targetE0EEEvT1_: ; @_ZN7rocprim17ROCPRIM_400000_NS6detail17trampoline_kernelINS0_14default_configENS1_27scan_by_key_config_selectorIxxEEZZNS1_16scan_by_key_implILNS1_25lookback_scan_determinismE0ELb0ES3_N6thrust23THRUST_200600_302600_NS6detail15normal_iteratorINS9_10device_ptrIxEEEESE_SE_xNS9_4plusIvEENS9_8equal_toIvEExEE10hipError_tPvRmT2_T3_T4_T5_mT6_T7_P12ihipStream_tbENKUlT_T0_E_clISt17integral_constantIbLb1EESY_IbLb0EEEEDaSU_SV_EUlSU_E_NS1_11comp_targetILNS1_3genE0ELNS1_11target_archE4294967295ELNS1_3gpuE0ELNS1_3repE0EEENS1_30default_config_static_selectorELNS0_4arch9wavefront6targetE0EEEvT1_
; %bb.0:
	.section	.rodata,"a",@progbits
	.p2align	6, 0x0
	.amdhsa_kernel _ZN7rocprim17ROCPRIM_400000_NS6detail17trampoline_kernelINS0_14default_configENS1_27scan_by_key_config_selectorIxxEEZZNS1_16scan_by_key_implILNS1_25lookback_scan_determinismE0ELb0ES3_N6thrust23THRUST_200600_302600_NS6detail15normal_iteratorINS9_10device_ptrIxEEEESE_SE_xNS9_4plusIvEENS9_8equal_toIvEExEE10hipError_tPvRmT2_T3_T4_T5_mT6_T7_P12ihipStream_tbENKUlT_T0_E_clISt17integral_constantIbLb1EESY_IbLb0EEEEDaSU_SV_EUlSU_E_NS1_11comp_targetILNS1_3genE0ELNS1_11target_archE4294967295ELNS1_3gpuE0ELNS1_3repE0EEENS1_30default_config_static_selectorELNS0_4arch9wavefront6targetE0EEEvT1_
		.amdhsa_group_segment_fixed_size 0
		.amdhsa_private_segment_fixed_size 0
		.amdhsa_kernarg_size 136
		.amdhsa_user_sgpr_count 6
		.amdhsa_user_sgpr_private_segment_buffer 1
		.amdhsa_user_sgpr_dispatch_ptr 0
		.amdhsa_user_sgpr_queue_ptr 0
		.amdhsa_user_sgpr_kernarg_segment_ptr 1
		.amdhsa_user_sgpr_dispatch_id 0
		.amdhsa_user_sgpr_flat_scratch_init 0
		.amdhsa_user_sgpr_private_segment_size 0
		.amdhsa_wavefront_size32 1
		.amdhsa_uses_dynamic_stack 0
		.amdhsa_system_sgpr_private_segment_wavefront_offset 0
		.amdhsa_system_sgpr_workgroup_id_x 1
		.amdhsa_system_sgpr_workgroup_id_y 0
		.amdhsa_system_sgpr_workgroup_id_z 0
		.amdhsa_system_sgpr_workgroup_info 0
		.amdhsa_system_vgpr_workitem_id 0
		.amdhsa_next_free_vgpr 1
		.amdhsa_next_free_sgpr 1
		.amdhsa_reserve_vcc 0
		.amdhsa_reserve_flat_scratch 0
		.amdhsa_float_round_mode_32 0
		.amdhsa_float_round_mode_16_64 0
		.amdhsa_float_denorm_mode_32 3
		.amdhsa_float_denorm_mode_16_64 3
		.amdhsa_dx10_clamp 1
		.amdhsa_ieee_mode 1
		.amdhsa_fp16_overflow 0
		.amdhsa_workgroup_processor_mode 1
		.amdhsa_memory_ordered 1
		.amdhsa_forward_progress 1
		.amdhsa_shared_vgpr_count 0
		.amdhsa_exception_fp_ieee_invalid_op 0
		.amdhsa_exception_fp_denorm_src 0
		.amdhsa_exception_fp_ieee_div_zero 0
		.amdhsa_exception_fp_ieee_overflow 0
		.amdhsa_exception_fp_ieee_underflow 0
		.amdhsa_exception_fp_ieee_inexact 0
		.amdhsa_exception_int_div_zero 0
	.end_amdhsa_kernel
	.section	.text._ZN7rocprim17ROCPRIM_400000_NS6detail17trampoline_kernelINS0_14default_configENS1_27scan_by_key_config_selectorIxxEEZZNS1_16scan_by_key_implILNS1_25lookback_scan_determinismE0ELb0ES3_N6thrust23THRUST_200600_302600_NS6detail15normal_iteratorINS9_10device_ptrIxEEEESE_SE_xNS9_4plusIvEENS9_8equal_toIvEExEE10hipError_tPvRmT2_T3_T4_T5_mT6_T7_P12ihipStream_tbENKUlT_T0_E_clISt17integral_constantIbLb1EESY_IbLb0EEEEDaSU_SV_EUlSU_E_NS1_11comp_targetILNS1_3genE0ELNS1_11target_archE4294967295ELNS1_3gpuE0ELNS1_3repE0EEENS1_30default_config_static_selectorELNS0_4arch9wavefront6targetE0EEEvT1_,"axG",@progbits,_ZN7rocprim17ROCPRIM_400000_NS6detail17trampoline_kernelINS0_14default_configENS1_27scan_by_key_config_selectorIxxEEZZNS1_16scan_by_key_implILNS1_25lookback_scan_determinismE0ELb0ES3_N6thrust23THRUST_200600_302600_NS6detail15normal_iteratorINS9_10device_ptrIxEEEESE_SE_xNS9_4plusIvEENS9_8equal_toIvEExEE10hipError_tPvRmT2_T3_T4_T5_mT6_T7_P12ihipStream_tbENKUlT_T0_E_clISt17integral_constantIbLb1EESY_IbLb0EEEEDaSU_SV_EUlSU_E_NS1_11comp_targetILNS1_3genE0ELNS1_11target_archE4294967295ELNS1_3gpuE0ELNS1_3repE0EEENS1_30default_config_static_selectorELNS0_4arch9wavefront6targetE0EEEvT1_,comdat
.Lfunc_end27:
	.size	_ZN7rocprim17ROCPRIM_400000_NS6detail17trampoline_kernelINS0_14default_configENS1_27scan_by_key_config_selectorIxxEEZZNS1_16scan_by_key_implILNS1_25lookback_scan_determinismE0ELb0ES3_N6thrust23THRUST_200600_302600_NS6detail15normal_iteratorINS9_10device_ptrIxEEEESE_SE_xNS9_4plusIvEENS9_8equal_toIvEExEE10hipError_tPvRmT2_T3_T4_T5_mT6_T7_P12ihipStream_tbENKUlT_T0_E_clISt17integral_constantIbLb1EESY_IbLb0EEEEDaSU_SV_EUlSU_E_NS1_11comp_targetILNS1_3genE0ELNS1_11target_archE4294967295ELNS1_3gpuE0ELNS1_3repE0EEENS1_30default_config_static_selectorELNS0_4arch9wavefront6targetE0EEEvT1_, .Lfunc_end27-_ZN7rocprim17ROCPRIM_400000_NS6detail17trampoline_kernelINS0_14default_configENS1_27scan_by_key_config_selectorIxxEEZZNS1_16scan_by_key_implILNS1_25lookback_scan_determinismE0ELb0ES3_N6thrust23THRUST_200600_302600_NS6detail15normal_iteratorINS9_10device_ptrIxEEEESE_SE_xNS9_4plusIvEENS9_8equal_toIvEExEE10hipError_tPvRmT2_T3_T4_T5_mT6_T7_P12ihipStream_tbENKUlT_T0_E_clISt17integral_constantIbLb1EESY_IbLb0EEEEDaSU_SV_EUlSU_E_NS1_11comp_targetILNS1_3genE0ELNS1_11target_archE4294967295ELNS1_3gpuE0ELNS1_3repE0EEENS1_30default_config_static_selectorELNS0_4arch9wavefront6targetE0EEEvT1_
                                        ; -- End function
	.set _ZN7rocprim17ROCPRIM_400000_NS6detail17trampoline_kernelINS0_14default_configENS1_27scan_by_key_config_selectorIxxEEZZNS1_16scan_by_key_implILNS1_25lookback_scan_determinismE0ELb0ES3_N6thrust23THRUST_200600_302600_NS6detail15normal_iteratorINS9_10device_ptrIxEEEESE_SE_xNS9_4plusIvEENS9_8equal_toIvEExEE10hipError_tPvRmT2_T3_T4_T5_mT6_T7_P12ihipStream_tbENKUlT_T0_E_clISt17integral_constantIbLb1EESY_IbLb0EEEEDaSU_SV_EUlSU_E_NS1_11comp_targetILNS1_3genE0ELNS1_11target_archE4294967295ELNS1_3gpuE0ELNS1_3repE0EEENS1_30default_config_static_selectorELNS0_4arch9wavefront6targetE0EEEvT1_.num_vgpr, 0
	.set _ZN7rocprim17ROCPRIM_400000_NS6detail17trampoline_kernelINS0_14default_configENS1_27scan_by_key_config_selectorIxxEEZZNS1_16scan_by_key_implILNS1_25lookback_scan_determinismE0ELb0ES3_N6thrust23THRUST_200600_302600_NS6detail15normal_iteratorINS9_10device_ptrIxEEEESE_SE_xNS9_4plusIvEENS9_8equal_toIvEExEE10hipError_tPvRmT2_T3_T4_T5_mT6_T7_P12ihipStream_tbENKUlT_T0_E_clISt17integral_constantIbLb1EESY_IbLb0EEEEDaSU_SV_EUlSU_E_NS1_11comp_targetILNS1_3genE0ELNS1_11target_archE4294967295ELNS1_3gpuE0ELNS1_3repE0EEENS1_30default_config_static_selectorELNS0_4arch9wavefront6targetE0EEEvT1_.num_agpr, 0
	.set _ZN7rocprim17ROCPRIM_400000_NS6detail17trampoline_kernelINS0_14default_configENS1_27scan_by_key_config_selectorIxxEEZZNS1_16scan_by_key_implILNS1_25lookback_scan_determinismE0ELb0ES3_N6thrust23THRUST_200600_302600_NS6detail15normal_iteratorINS9_10device_ptrIxEEEESE_SE_xNS9_4plusIvEENS9_8equal_toIvEExEE10hipError_tPvRmT2_T3_T4_T5_mT6_T7_P12ihipStream_tbENKUlT_T0_E_clISt17integral_constantIbLb1EESY_IbLb0EEEEDaSU_SV_EUlSU_E_NS1_11comp_targetILNS1_3genE0ELNS1_11target_archE4294967295ELNS1_3gpuE0ELNS1_3repE0EEENS1_30default_config_static_selectorELNS0_4arch9wavefront6targetE0EEEvT1_.numbered_sgpr, 0
	.set _ZN7rocprim17ROCPRIM_400000_NS6detail17trampoline_kernelINS0_14default_configENS1_27scan_by_key_config_selectorIxxEEZZNS1_16scan_by_key_implILNS1_25lookback_scan_determinismE0ELb0ES3_N6thrust23THRUST_200600_302600_NS6detail15normal_iteratorINS9_10device_ptrIxEEEESE_SE_xNS9_4plusIvEENS9_8equal_toIvEExEE10hipError_tPvRmT2_T3_T4_T5_mT6_T7_P12ihipStream_tbENKUlT_T0_E_clISt17integral_constantIbLb1EESY_IbLb0EEEEDaSU_SV_EUlSU_E_NS1_11comp_targetILNS1_3genE0ELNS1_11target_archE4294967295ELNS1_3gpuE0ELNS1_3repE0EEENS1_30default_config_static_selectorELNS0_4arch9wavefront6targetE0EEEvT1_.num_named_barrier, 0
	.set _ZN7rocprim17ROCPRIM_400000_NS6detail17trampoline_kernelINS0_14default_configENS1_27scan_by_key_config_selectorIxxEEZZNS1_16scan_by_key_implILNS1_25lookback_scan_determinismE0ELb0ES3_N6thrust23THRUST_200600_302600_NS6detail15normal_iteratorINS9_10device_ptrIxEEEESE_SE_xNS9_4plusIvEENS9_8equal_toIvEExEE10hipError_tPvRmT2_T3_T4_T5_mT6_T7_P12ihipStream_tbENKUlT_T0_E_clISt17integral_constantIbLb1EESY_IbLb0EEEEDaSU_SV_EUlSU_E_NS1_11comp_targetILNS1_3genE0ELNS1_11target_archE4294967295ELNS1_3gpuE0ELNS1_3repE0EEENS1_30default_config_static_selectorELNS0_4arch9wavefront6targetE0EEEvT1_.private_seg_size, 0
	.set _ZN7rocprim17ROCPRIM_400000_NS6detail17trampoline_kernelINS0_14default_configENS1_27scan_by_key_config_selectorIxxEEZZNS1_16scan_by_key_implILNS1_25lookback_scan_determinismE0ELb0ES3_N6thrust23THRUST_200600_302600_NS6detail15normal_iteratorINS9_10device_ptrIxEEEESE_SE_xNS9_4plusIvEENS9_8equal_toIvEExEE10hipError_tPvRmT2_T3_T4_T5_mT6_T7_P12ihipStream_tbENKUlT_T0_E_clISt17integral_constantIbLb1EESY_IbLb0EEEEDaSU_SV_EUlSU_E_NS1_11comp_targetILNS1_3genE0ELNS1_11target_archE4294967295ELNS1_3gpuE0ELNS1_3repE0EEENS1_30default_config_static_selectorELNS0_4arch9wavefront6targetE0EEEvT1_.uses_vcc, 0
	.set _ZN7rocprim17ROCPRIM_400000_NS6detail17trampoline_kernelINS0_14default_configENS1_27scan_by_key_config_selectorIxxEEZZNS1_16scan_by_key_implILNS1_25lookback_scan_determinismE0ELb0ES3_N6thrust23THRUST_200600_302600_NS6detail15normal_iteratorINS9_10device_ptrIxEEEESE_SE_xNS9_4plusIvEENS9_8equal_toIvEExEE10hipError_tPvRmT2_T3_T4_T5_mT6_T7_P12ihipStream_tbENKUlT_T0_E_clISt17integral_constantIbLb1EESY_IbLb0EEEEDaSU_SV_EUlSU_E_NS1_11comp_targetILNS1_3genE0ELNS1_11target_archE4294967295ELNS1_3gpuE0ELNS1_3repE0EEENS1_30default_config_static_selectorELNS0_4arch9wavefront6targetE0EEEvT1_.uses_flat_scratch, 0
	.set _ZN7rocprim17ROCPRIM_400000_NS6detail17trampoline_kernelINS0_14default_configENS1_27scan_by_key_config_selectorIxxEEZZNS1_16scan_by_key_implILNS1_25lookback_scan_determinismE0ELb0ES3_N6thrust23THRUST_200600_302600_NS6detail15normal_iteratorINS9_10device_ptrIxEEEESE_SE_xNS9_4plusIvEENS9_8equal_toIvEExEE10hipError_tPvRmT2_T3_T4_T5_mT6_T7_P12ihipStream_tbENKUlT_T0_E_clISt17integral_constantIbLb1EESY_IbLb0EEEEDaSU_SV_EUlSU_E_NS1_11comp_targetILNS1_3genE0ELNS1_11target_archE4294967295ELNS1_3gpuE0ELNS1_3repE0EEENS1_30default_config_static_selectorELNS0_4arch9wavefront6targetE0EEEvT1_.has_dyn_sized_stack, 0
	.set _ZN7rocprim17ROCPRIM_400000_NS6detail17trampoline_kernelINS0_14default_configENS1_27scan_by_key_config_selectorIxxEEZZNS1_16scan_by_key_implILNS1_25lookback_scan_determinismE0ELb0ES3_N6thrust23THRUST_200600_302600_NS6detail15normal_iteratorINS9_10device_ptrIxEEEESE_SE_xNS9_4plusIvEENS9_8equal_toIvEExEE10hipError_tPvRmT2_T3_T4_T5_mT6_T7_P12ihipStream_tbENKUlT_T0_E_clISt17integral_constantIbLb1EESY_IbLb0EEEEDaSU_SV_EUlSU_E_NS1_11comp_targetILNS1_3genE0ELNS1_11target_archE4294967295ELNS1_3gpuE0ELNS1_3repE0EEENS1_30default_config_static_selectorELNS0_4arch9wavefront6targetE0EEEvT1_.has_recursion, 0
	.set _ZN7rocprim17ROCPRIM_400000_NS6detail17trampoline_kernelINS0_14default_configENS1_27scan_by_key_config_selectorIxxEEZZNS1_16scan_by_key_implILNS1_25lookback_scan_determinismE0ELb0ES3_N6thrust23THRUST_200600_302600_NS6detail15normal_iteratorINS9_10device_ptrIxEEEESE_SE_xNS9_4plusIvEENS9_8equal_toIvEExEE10hipError_tPvRmT2_T3_T4_T5_mT6_T7_P12ihipStream_tbENKUlT_T0_E_clISt17integral_constantIbLb1EESY_IbLb0EEEEDaSU_SV_EUlSU_E_NS1_11comp_targetILNS1_3genE0ELNS1_11target_archE4294967295ELNS1_3gpuE0ELNS1_3repE0EEENS1_30default_config_static_selectorELNS0_4arch9wavefront6targetE0EEEvT1_.has_indirect_call, 0
	.section	.AMDGPU.csdata,"",@progbits
; Kernel info:
; codeLenInByte = 0
; TotalNumSgprs: 0
; NumVgprs: 0
; ScratchSize: 0
; MemoryBound: 0
; FloatMode: 240
; IeeeMode: 1
; LDSByteSize: 0 bytes/workgroup (compile time only)
; SGPRBlocks: 0
; VGPRBlocks: 0
; NumSGPRsForWavesPerEU: 1
; NumVGPRsForWavesPerEU: 1
; Occupancy: 16
; WaveLimiterHint : 0
; COMPUTE_PGM_RSRC2:SCRATCH_EN: 0
; COMPUTE_PGM_RSRC2:USER_SGPR: 6
; COMPUTE_PGM_RSRC2:TRAP_HANDLER: 0
; COMPUTE_PGM_RSRC2:TGID_X_EN: 1
; COMPUTE_PGM_RSRC2:TGID_Y_EN: 0
; COMPUTE_PGM_RSRC2:TGID_Z_EN: 0
; COMPUTE_PGM_RSRC2:TIDIG_COMP_CNT: 0
	.section	.text._ZN7rocprim17ROCPRIM_400000_NS6detail17trampoline_kernelINS0_14default_configENS1_27scan_by_key_config_selectorIxxEEZZNS1_16scan_by_key_implILNS1_25lookback_scan_determinismE0ELb0ES3_N6thrust23THRUST_200600_302600_NS6detail15normal_iteratorINS9_10device_ptrIxEEEESE_SE_xNS9_4plusIvEENS9_8equal_toIvEExEE10hipError_tPvRmT2_T3_T4_T5_mT6_T7_P12ihipStream_tbENKUlT_T0_E_clISt17integral_constantIbLb1EESY_IbLb0EEEEDaSU_SV_EUlSU_E_NS1_11comp_targetILNS1_3genE10ELNS1_11target_archE1201ELNS1_3gpuE5ELNS1_3repE0EEENS1_30default_config_static_selectorELNS0_4arch9wavefront6targetE0EEEvT1_,"axG",@progbits,_ZN7rocprim17ROCPRIM_400000_NS6detail17trampoline_kernelINS0_14default_configENS1_27scan_by_key_config_selectorIxxEEZZNS1_16scan_by_key_implILNS1_25lookback_scan_determinismE0ELb0ES3_N6thrust23THRUST_200600_302600_NS6detail15normal_iteratorINS9_10device_ptrIxEEEESE_SE_xNS9_4plusIvEENS9_8equal_toIvEExEE10hipError_tPvRmT2_T3_T4_T5_mT6_T7_P12ihipStream_tbENKUlT_T0_E_clISt17integral_constantIbLb1EESY_IbLb0EEEEDaSU_SV_EUlSU_E_NS1_11comp_targetILNS1_3genE10ELNS1_11target_archE1201ELNS1_3gpuE5ELNS1_3repE0EEENS1_30default_config_static_selectorELNS0_4arch9wavefront6targetE0EEEvT1_,comdat
	.protected	_ZN7rocprim17ROCPRIM_400000_NS6detail17trampoline_kernelINS0_14default_configENS1_27scan_by_key_config_selectorIxxEEZZNS1_16scan_by_key_implILNS1_25lookback_scan_determinismE0ELb0ES3_N6thrust23THRUST_200600_302600_NS6detail15normal_iteratorINS9_10device_ptrIxEEEESE_SE_xNS9_4plusIvEENS9_8equal_toIvEExEE10hipError_tPvRmT2_T3_T4_T5_mT6_T7_P12ihipStream_tbENKUlT_T0_E_clISt17integral_constantIbLb1EESY_IbLb0EEEEDaSU_SV_EUlSU_E_NS1_11comp_targetILNS1_3genE10ELNS1_11target_archE1201ELNS1_3gpuE5ELNS1_3repE0EEENS1_30default_config_static_selectorELNS0_4arch9wavefront6targetE0EEEvT1_ ; -- Begin function _ZN7rocprim17ROCPRIM_400000_NS6detail17trampoline_kernelINS0_14default_configENS1_27scan_by_key_config_selectorIxxEEZZNS1_16scan_by_key_implILNS1_25lookback_scan_determinismE0ELb0ES3_N6thrust23THRUST_200600_302600_NS6detail15normal_iteratorINS9_10device_ptrIxEEEESE_SE_xNS9_4plusIvEENS9_8equal_toIvEExEE10hipError_tPvRmT2_T3_T4_T5_mT6_T7_P12ihipStream_tbENKUlT_T0_E_clISt17integral_constantIbLb1EESY_IbLb0EEEEDaSU_SV_EUlSU_E_NS1_11comp_targetILNS1_3genE10ELNS1_11target_archE1201ELNS1_3gpuE5ELNS1_3repE0EEENS1_30default_config_static_selectorELNS0_4arch9wavefront6targetE0EEEvT1_
	.globl	_ZN7rocprim17ROCPRIM_400000_NS6detail17trampoline_kernelINS0_14default_configENS1_27scan_by_key_config_selectorIxxEEZZNS1_16scan_by_key_implILNS1_25lookback_scan_determinismE0ELb0ES3_N6thrust23THRUST_200600_302600_NS6detail15normal_iteratorINS9_10device_ptrIxEEEESE_SE_xNS9_4plusIvEENS9_8equal_toIvEExEE10hipError_tPvRmT2_T3_T4_T5_mT6_T7_P12ihipStream_tbENKUlT_T0_E_clISt17integral_constantIbLb1EESY_IbLb0EEEEDaSU_SV_EUlSU_E_NS1_11comp_targetILNS1_3genE10ELNS1_11target_archE1201ELNS1_3gpuE5ELNS1_3repE0EEENS1_30default_config_static_selectorELNS0_4arch9wavefront6targetE0EEEvT1_
	.p2align	8
	.type	_ZN7rocprim17ROCPRIM_400000_NS6detail17trampoline_kernelINS0_14default_configENS1_27scan_by_key_config_selectorIxxEEZZNS1_16scan_by_key_implILNS1_25lookback_scan_determinismE0ELb0ES3_N6thrust23THRUST_200600_302600_NS6detail15normal_iteratorINS9_10device_ptrIxEEEESE_SE_xNS9_4plusIvEENS9_8equal_toIvEExEE10hipError_tPvRmT2_T3_T4_T5_mT6_T7_P12ihipStream_tbENKUlT_T0_E_clISt17integral_constantIbLb1EESY_IbLb0EEEEDaSU_SV_EUlSU_E_NS1_11comp_targetILNS1_3genE10ELNS1_11target_archE1201ELNS1_3gpuE5ELNS1_3repE0EEENS1_30default_config_static_selectorELNS0_4arch9wavefront6targetE0EEEvT1_,@function
_ZN7rocprim17ROCPRIM_400000_NS6detail17trampoline_kernelINS0_14default_configENS1_27scan_by_key_config_selectorIxxEEZZNS1_16scan_by_key_implILNS1_25lookback_scan_determinismE0ELb0ES3_N6thrust23THRUST_200600_302600_NS6detail15normal_iteratorINS9_10device_ptrIxEEEESE_SE_xNS9_4plusIvEENS9_8equal_toIvEExEE10hipError_tPvRmT2_T3_T4_T5_mT6_T7_P12ihipStream_tbENKUlT_T0_E_clISt17integral_constantIbLb1EESY_IbLb0EEEEDaSU_SV_EUlSU_E_NS1_11comp_targetILNS1_3genE10ELNS1_11target_archE1201ELNS1_3gpuE5ELNS1_3repE0EEENS1_30default_config_static_selectorELNS0_4arch9wavefront6targetE0EEEvT1_: ; @_ZN7rocprim17ROCPRIM_400000_NS6detail17trampoline_kernelINS0_14default_configENS1_27scan_by_key_config_selectorIxxEEZZNS1_16scan_by_key_implILNS1_25lookback_scan_determinismE0ELb0ES3_N6thrust23THRUST_200600_302600_NS6detail15normal_iteratorINS9_10device_ptrIxEEEESE_SE_xNS9_4plusIvEENS9_8equal_toIvEExEE10hipError_tPvRmT2_T3_T4_T5_mT6_T7_P12ihipStream_tbENKUlT_T0_E_clISt17integral_constantIbLb1EESY_IbLb0EEEEDaSU_SV_EUlSU_E_NS1_11comp_targetILNS1_3genE10ELNS1_11target_archE1201ELNS1_3gpuE5ELNS1_3repE0EEENS1_30default_config_static_selectorELNS0_4arch9wavefront6targetE0EEEvT1_
; %bb.0:
	.section	.rodata,"a",@progbits
	.p2align	6, 0x0
	.amdhsa_kernel _ZN7rocprim17ROCPRIM_400000_NS6detail17trampoline_kernelINS0_14default_configENS1_27scan_by_key_config_selectorIxxEEZZNS1_16scan_by_key_implILNS1_25lookback_scan_determinismE0ELb0ES3_N6thrust23THRUST_200600_302600_NS6detail15normal_iteratorINS9_10device_ptrIxEEEESE_SE_xNS9_4plusIvEENS9_8equal_toIvEExEE10hipError_tPvRmT2_T3_T4_T5_mT6_T7_P12ihipStream_tbENKUlT_T0_E_clISt17integral_constantIbLb1EESY_IbLb0EEEEDaSU_SV_EUlSU_E_NS1_11comp_targetILNS1_3genE10ELNS1_11target_archE1201ELNS1_3gpuE5ELNS1_3repE0EEENS1_30default_config_static_selectorELNS0_4arch9wavefront6targetE0EEEvT1_
		.amdhsa_group_segment_fixed_size 0
		.amdhsa_private_segment_fixed_size 0
		.amdhsa_kernarg_size 136
		.amdhsa_user_sgpr_count 6
		.amdhsa_user_sgpr_private_segment_buffer 1
		.amdhsa_user_sgpr_dispatch_ptr 0
		.amdhsa_user_sgpr_queue_ptr 0
		.amdhsa_user_sgpr_kernarg_segment_ptr 1
		.amdhsa_user_sgpr_dispatch_id 0
		.amdhsa_user_sgpr_flat_scratch_init 0
		.amdhsa_user_sgpr_private_segment_size 0
		.amdhsa_wavefront_size32 1
		.amdhsa_uses_dynamic_stack 0
		.amdhsa_system_sgpr_private_segment_wavefront_offset 0
		.amdhsa_system_sgpr_workgroup_id_x 1
		.amdhsa_system_sgpr_workgroup_id_y 0
		.amdhsa_system_sgpr_workgroup_id_z 0
		.amdhsa_system_sgpr_workgroup_info 0
		.amdhsa_system_vgpr_workitem_id 0
		.amdhsa_next_free_vgpr 1
		.amdhsa_next_free_sgpr 1
		.amdhsa_reserve_vcc 0
		.amdhsa_reserve_flat_scratch 0
		.amdhsa_float_round_mode_32 0
		.amdhsa_float_round_mode_16_64 0
		.amdhsa_float_denorm_mode_32 3
		.amdhsa_float_denorm_mode_16_64 3
		.amdhsa_dx10_clamp 1
		.amdhsa_ieee_mode 1
		.amdhsa_fp16_overflow 0
		.amdhsa_workgroup_processor_mode 1
		.amdhsa_memory_ordered 1
		.amdhsa_forward_progress 1
		.amdhsa_shared_vgpr_count 0
		.amdhsa_exception_fp_ieee_invalid_op 0
		.amdhsa_exception_fp_denorm_src 0
		.amdhsa_exception_fp_ieee_div_zero 0
		.amdhsa_exception_fp_ieee_overflow 0
		.amdhsa_exception_fp_ieee_underflow 0
		.amdhsa_exception_fp_ieee_inexact 0
		.amdhsa_exception_int_div_zero 0
	.end_amdhsa_kernel
	.section	.text._ZN7rocprim17ROCPRIM_400000_NS6detail17trampoline_kernelINS0_14default_configENS1_27scan_by_key_config_selectorIxxEEZZNS1_16scan_by_key_implILNS1_25lookback_scan_determinismE0ELb0ES3_N6thrust23THRUST_200600_302600_NS6detail15normal_iteratorINS9_10device_ptrIxEEEESE_SE_xNS9_4plusIvEENS9_8equal_toIvEExEE10hipError_tPvRmT2_T3_T4_T5_mT6_T7_P12ihipStream_tbENKUlT_T0_E_clISt17integral_constantIbLb1EESY_IbLb0EEEEDaSU_SV_EUlSU_E_NS1_11comp_targetILNS1_3genE10ELNS1_11target_archE1201ELNS1_3gpuE5ELNS1_3repE0EEENS1_30default_config_static_selectorELNS0_4arch9wavefront6targetE0EEEvT1_,"axG",@progbits,_ZN7rocprim17ROCPRIM_400000_NS6detail17trampoline_kernelINS0_14default_configENS1_27scan_by_key_config_selectorIxxEEZZNS1_16scan_by_key_implILNS1_25lookback_scan_determinismE0ELb0ES3_N6thrust23THRUST_200600_302600_NS6detail15normal_iteratorINS9_10device_ptrIxEEEESE_SE_xNS9_4plusIvEENS9_8equal_toIvEExEE10hipError_tPvRmT2_T3_T4_T5_mT6_T7_P12ihipStream_tbENKUlT_T0_E_clISt17integral_constantIbLb1EESY_IbLb0EEEEDaSU_SV_EUlSU_E_NS1_11comp_targetILNS1_3genE10ELNS1_11target_archE1201ELNS1_3gpuE5ELNS1_3repE0EEENS1_30default_config_static_selectorELNS0_4arch9wavefront6targetE0EEEvT1_,comdat
.Lfunc_end28:
	.size	_ZN7rocprim17ROCPRIM_400000_NS6detail17trampoline_kernelINS0_14default_configENS1_27scan_by_key_config_selectorIxxEEZZNS1_16scan_by_key_implILNS1_25lookback_scan_determinismE0ELb0ES3_N6thrust23THRUST_200600_302600_NS6detail15normal_iteratorINS9_10device_ptrIxEEEESE_SE_xNS9_4plusIvEENS9_8equal_toIvEExEE10hipError_tPvRmT2_T3_T4_T5_mT6_T7_P12ihipStream_tbENKUlT_T0_E_clISt17integral_constantIbLb1EESY_IbLb0EEEEDaSU_SV_EUlSU_E_NS1_11comp_targetILNS1_3genE10ELNS1_11target_archE1201ELNS1_3gpuE5ELNS1_3repE0EEENS1_30default_config_static_selectorELNS0_4arch9wavefront6targetE0EEEvT1_, .Lfunc_end28-_ZN7rocprim17ROCPRIM_400000_NS6detail17trampoline_kernelINS0_14default_configENS1_27scan_by_key_config_selectorIxxEEZZNS1_16scan_by_key_implILNS1_25lookback_scan_determinismE0ELb0ES3_N6thrust23THRUST_200600_302600_NS6detail15normal_iteratorINS9_10device_ptrIxEEEESE_SE_xNS9_4plusIvEENS9_8equal_toIvEExEE10hipError_tPvRmT2_T3_T4_T5_mT6_T7_P12ihipStream_tbENKUlT_T0_E_clISt17integral_constantIbLb1EESY_IbLb0EEEEDaSU_SV_EUlSU_E_NS1_11comp_targetILNS1_3genE10ELNS1_11target_archE1201ELNS1_3gpuE5ELNS1_3repE0EEENS1_30default_config_static_selectorELNS0_4arch9wavefront6targetE0EEEvT1_
                                        ; -- End function
	.set _ZN7rocprim17ROCPRIM_400000_NS6detail17trampoline_kernelINS0_14default_configENS1_27scan_by_key_config_selectorIxxEEZZNS1_16scan_by_key_implILNS1_25lookback_scan_determinismE0ELb0ES3_N6thrust23THRUST_200600_302600_NS6detail15normal_iteratorINS9_10device_ptrIxEEEESE_SE_xNS9_4plusIvEENS9_8equal_toIvEExEE10hipError_tPvRmT2_T3_T4_T5_mT6_T7_P12ihipStream_tbENKUlT_T0_E_clISt17integral_constantIbLb1EESY_IbLb0EEEEDaSU_SV_EUlSU_E_NS1_11comp_targetILNS1_3genE10ELNS1_11target_archE1201ELNS1_3gpuE5ELNS1_3repE0EEENS1_30default_config_static_selectorELNS0_4arch9wavefront6targetE0EEEvT1_.num_vgpr, 0
	.set _ZN7rocprim17ROCPRIM_400000_NS6detail17trampoline_kernelINS0_14default_configENS1_27scan_by_key_config_selectorIxxEEZZNS1_16scan_by_key_implILNS1_25lookback_scan_determinismE0ELb0ES3_N6thrust23THRUST_200600_302600_NS6detail15normal_iteratorINS9_10device_ptrIxEEEESE_SE_xNS9_4plusIvEENS9_8equal_toIvEExEE10hipError_tPvRmT2_T3_T4_T5_mT6_T7_P12ihipStream_tbENKUlT_T0_E_clISt17integral_constantIbLb1EESY_IbLb0EEEEDaSU_SV_EUlSU_E_NS1_11comp_targetILNS1_3genE10ELNS1_11target_archE1201ELNS1_3gpuE5ELNS1_3repE0EEENS1_30default_config_static_selectorELNS0_4arch9wavefront6targetE0EEEvT1_.num_agpr, 0
	.set _ZN7rocprim17ROCPRIM_400000_NS6detail17trampoline_kernelINS0_14default_configENS1_27scan_by_key_config_selectorIxxEEZZNS1_16scan_by_key_implILNS1_25lookback_scan_determinismE0ELb0ES3_N6thrust23THRUST_200600_302600_NS6detail15normal_iteratorINS9_10device_ptrIxEEEESE_SE_xNS9_4plusIvEENS9_8equal_toIvEExEE10hipError_tPvRmT2_T3_T4_T5_mT6_T7_P12ihipStream_tbENKUlT_T0_E_clISt17integral_constantIbLb1EESY_IbLb0EEEEDaSU_SV_EUlSU_E_NS1_11comp_targetILNS1_3genE10ELNS1_11target_archE1201ELNS1_3gpuE5ELNS1_3repE0EEENS1_30default_config_static_selectorELNS0_4arch9wavefront6targetE0EEEvT1_.numbered_sgpr, 0
	.set _ZN7rocprim17ROCPRIM_400000_NS6detail17trampoline_kernelINS0_14default_configENS1_27scan_by_key_config_selectorIxxEEZZNS1_16scan_by_key_implILNS1_25lookback_scan_determinismE0ELb0ES3_N6thrust23THRUST_200600_302600_NS6detail15normal_iteratorINS9_10device_ptrIxEEEESE_SE_xNS9_4plusIvEENS9_8equal_toIvEExEE10hipError_tPvRmT2_T3_T4_T5_mT6_T7_P12ihipStream_tbENKUlT_T0_E_clISt17integral_constantIbLb1EESY_IbLb0EEEEDaSU_SV_EUlSU_E_NS1_11comp_targetILNS1_3genE10ELNS1_11target_archE1201ELNS1_3gpuE5ELNS1_3repE0EEENS1_30default_config_static_selectorELNS0_4arch9wavefront6targetE0EEEvT1_.num_named_barrier, 0
	.set _ZN7rocprim17ROCPRIM_400000_NS6detail17trampoline_kernelINS0_14default_configENS1_27scan_by_key_config_selectorIxxEEZZNS1_16scan_by_key_implILNS1_25lookback_scan_determinismE0ELb0ES3_N6thrust23THRUST_200600_302600_NS6detail15normal_iteratorINS9_10device_ptrIxEEEESE_SE_xNS9_4plusIvEENS9_8equal_toIvEExEE10hipError_tPvRmT2_T3_T4_T5_mT6_T7_P12ihipStream_tbENKUlT_T0_E_clISt17integral_constantIbLb1EESY_IbLb0EEEEDaSU_SV_EUlSU_E_NS1_11comp_targetILNS1_3genE10ELNS1_11target_archE1201ELNS1_3gpuE5ELNS1_3repE0EEENS1_30default_config_static_selectorELNS0_4arch9wavefront6targetE0EEEvT1_.private_seg_size, 0
	.set _ZN7rocprim17ROCPRIM_400000_NS6detail17trampoline_kernelINS0_14default_configENS1_27scan_by_key_config_selectorIxxEEZZNS1_16scan_by_key_implILNS1_25lookback_scan_determinismE0ELb0ES3_N6thrust23THRUST_200600_302600_NS6detail15normal_iteratorINS9_10device_ptrIxEEEESE_SE_xNS9_4plusIvEENS9_8equal_toIvEExEE10hipError_tPvRmT2_T3_T4_T5_mT6_T7_P12ihipStream_tbENKUlT_T0_E_clISt17integral_constantIbLb1EESY_IbLb0EEEEDaSU_SV_EUlSU_E_NS1_11comp_targetILNS1_3genE10ELNS1_11target_archE1201ELNS1_3gpuE5ELNS1_3repE0EEENS1_30default_config_static_selectorELNS0_4arch9wavefront6targetE0EEEvT1_.uses_vcc, 0
	.set _ZN7rocprim17ROCPRIM_400000_NS6detail17trampoline_kernelINS0_14default_configENS1_27scan_by_key_config_selectorIxxEEZZNS1_16scan_by_key_implILNS1_25lookback_scan_determinismE0ELb0ES3_N6thrust23THRUST_200600_302600_NS6detail15normal_iteratorINS9_10device_ptrIxEEEESE_SE_xNS9_4plusIvEENS9_8equal_toIvEExEE10hipError_tPvRmT2_T3_T4_T5_mT6_T7_P12ihipStream_tbENKUlT_T0_E_clISt17integral_constantIbLb1EESY_IbLb0EEEEDaSU_SV_EUlSU_E_NS1_11comp_targetILNS1_3genE10ELNS1_11target_archE1201ELNS1_3gpuE5ELNS1_3repE0EEENS1_30default_config_static_selectorELNS0_4arch9wavefront6targetE0EEEvT1_.uses_flat_scratch, 0
	.set _ZN7rocprim17ROCPRIM_400000_NS6detail17trampoline_kernelINS0_14default_configENS1_27scan_by_key_config_selectorIxxEEZZNS1_16scan_by_key_implILNS1_25lookback_scan_determinismE0ELb0ES3_N6thrust23THRUST_200600_302600_NS6detail15normal_iteratorINS9_10device_ptrIxEEEESE_SE_xNS9_4plusIvEENS9_8equal_toIvEExEE10hipError_tPvRmT2_T3_T4_T5_mT6_T7_P12ihipStream_tbENKUlT_T0_E_clISt17integral_constantIbLb1EESY_IbLb0EEEEDaSU_SV_EUlSU_E_NS1_11comp_targetILNS1_3genE10ELNS1_11target_archE1201ELNS1_3gpuE5ELNS1_3repE0EEENS1_30default_config_static_selectorELNS0_4arch9wavefront6targetE0EEEvT1_.has_dyn_sized_stack, 0
	.set _ZN7rocprim17ROCPRIM_400000_NS6detail17trampoline_kernelINS0_14default_configENS1_27scan_by_key_config_selectorIxxEEZZNS1_16scan_by_key_implILNS1_25lookback_scan_determinismE0ELb0ES3_N6thrust23THRUST_200600_302600_NS6detail15normal_iteratorINS9_10device_ptrIxEEEESE_SE_xNS9_4plusIvEENS9_8equal_toIvEExEE10hipError_tPvRmT2_T3_T4_T5_mT6_T7_P12ihipStream_tbENKUlT_T0_E_clISt17integral_constantIbLb1EESY_IbLb0EEEEDaSU_SV_EUlSU_E_NS1_11comp_targetILNS1_3genE10ELNS1_11target_archE1201ELNS1_3gpuE5ELNS1_3repE0EEENS1_30default_config_static_selectorELNS0_4arch9wavefront6targetE0EEEvT1_.has_recursion, 0
	.set _ZN7rocprim17ROCPRIM_400000_NS6detail17trampoline_kernelINS0_14default_configENS1_27scan_by_key_config_selectorIxxEEZZNS1_16scan_by_key_implILNS1_25lookback_scan_determinismE0ELb0ES3_N6thrust23THRUST_200600_302600_NS6detail15normal_iteratorINS9_10device_ptrIxEEEESE_SE_xNS9_4plusIvEENS9_8equal_toIvEExEE10hipError_tPvRmT2_T3_T4_T5_mT6_T7_P12ihipStream_tbENKUlT_T0_E_clISt17integral_constantIbLb1EESY_IbLb0EEEEDaSU_SV_EUlSU_E_NS1_11comp_targetILNS1_3genE10ELNS1_11target_archE1201ELNS1_3gpuE5ELNS1_3repE0EEENS1_30default_config_static_selectorELNS0_4arch9wavefront6targetE0EEEvT1_.has_indirect_call, 0
	.section	.AMDGPU.csdata,"",@progbits
; Kernel info:
; codeLenInByte = 0
; TotalNumSgprs: 0
; NumVgprs: 0
; ScratchSize: 0
; MemoryBound: 0
; FloatMode: 240
; IeeeMode: 1
; LDSByteSize: 0 bytes/workgroup (compile time only)
; SGPRBlocks: 0
; VGPRBlocks: 0
; NumSGPRsForWavesPerEU: 1
; NumVGPRsForWavesPerEU: 1
; Occupancy: 16
; WaveLimiterHint : 0
; COMPUTE_PGM_RSRC2:SCRATCH_EN: 0
; COMPUTE_PGM_RSRC2:USER_SGPR: 6
; COMPUTE_PGM_RSRC2:TRAP_HANDLER: 0
; COMPUTE_PGM_RSRC2:TGID_X_EN: 1
; COMPUTE_PGM_RSRC2:TGID_Y_EN: 0
; COMPUTE_PGM_RSRC2:TGID_Z_EN: 0
; COMPUTE_PGM_RSRC2:TIDIG_COMP_CNT: 0
	.section	.text._ZN7rocprim17ROCPRIM_400000_NS6detail17trampoline_kernelINS0_14default_configENS1_27scan_by_key_config_selectorIxxEEZZNS1_16scan_by_key_implILNS1_25lookback_scan_determinismE0ELb0ES3_N6thrust23THRUST_200600_302600_NS6detail15normal_iteratorINS9_10device_ptrIxEEEESE_SE_xNS9_4plusIvEENS9_8equal_toIvEExEE10hipError_tPvRmT2_T3_T4_T5_mT6_T7_P12ihipStream_tbENKUlT_T0_E_clISt17integral_constantIbLb1EESY_IbLb0EEEEDaSU_SV_EUlSU_E_NS1_11comp_targetILNS1_3genE5ELNS1_11target_archE942ELNS1_3gpuE9ELNS1_3repE0EEENS1_30default_config_static_selectorELNS0_4arch9wavefront6targetE0EEEvT1_,"axG",@progbits,_ZN7rocprim17ROCPRIM_400000_NS6detail17trampoline_kernelINS0_14default_configENS1_27scan_by_key_config_selectorIxxEEZZNS1_16scan_by_key_implILNS1_25lookback_scan_determinismE0ELb0ES3_N6thrust23THRUST_200600_302600_NS6detail15normal_iteratorINS9_10device_ptrIxEEEESE_SE_xNS9_4plusIvEENS9_8equal_toIvEExEE10hipError_tPvRmT2_T3_T4_T5_mT6_T7_P12ihipStream_tbENKUlT_T0_E_clISt17integral_constantIbLb1EESY_IbLb0EEEEDaSU_SV_EUlSU_E_NS1_11comp_targetILNS1_3genE5ELNS1_11target_archE942ELNS1_3gpuE9ELNS1_3repE0EEENS1_30default_config_static_selectorELNS0_4arch9wavefront6targetE0EEEvT1_,comdat
	.protected	_ZN7rocprim17ROCPRIM_400000_NS6detail17trampoline_kernelINS0_14default_configENS1_27scan_by_key_config_selectorIxxEEZZNS1_16scan_by_key_implILNS1_25lookback_scan_determinismE0ELb0ES3_N6thrust23THRUST_200600_302600_NS6detail15normal_iteratorINS9_10device_ptrIxEEEESE_SE_xNS9_4plusIvEENS9_8equal_toIvEExEE10hipError_tPvRmT2_T3_T4_T5_mT6_T7_P12ihipStream_tbENKUlT_T0_E_clISt17integral_constantIbLb1EESY_IbLb0EEEEDaSU_SV_EUlSU_E_NS1_11comp_targetILNS1_3genE5ELNS1_11target_archE942ELNS1_3gpuE9ELNS1_3repE0EEENS1_30default_config_static_selectorELNS0_4arch9wavefront6targetE0EEEvT1_ ; -- Begin function _ZN7rocprim17ROCPRIM_400000_NS6detail17trampoline_kernelINS0_14default_configENS1_27scan_by_key_config_selectorIxxEEZZNS1_16scan_by_key_implILNS1_25lookback_scan_determinismE0ELb0ES3_N6thrust23THRUST_200600_302600_NS6detail15normal_iteratorINS9_10device_ptrIxEEEESE_SE_xNS9_4plusIvEENS9_8equal_toIvEExEE10hipError_tPvRmT2_T3_T4_T5_mT6_T7_P12ihipStream_tbENKUlT_T0_E_clISt17integral_constantIbLb1EESY_IbLb0EEEEDaSU_SV_EUlSU_E_NS1_11comp_targetILNS1_3genE5ELNS1_11target_archE942ELNS1_3gpuE9ELNS1_3repE0EEENS1_30default_config_static_selectorELNS0_4arch9wavefront6targetE0EEEvT1_
	.globl	_ZN7rocprim17ROCPRIM_400000_NS6detail17trampoline_kernelINS0_14default_configENS1_27scan_by_key_config_selectorIxxEEZZNS1_16scan_by_key_implILNS1_25lookback_scan_determinismE0ELb0ES3_N6thrust23THRUST_200600_302600_NS6detail15normal_iteratorINS9_10device_ptrIxEEEESE_SE_xNS9_4plusIvEENS9_8equal_toIvEExEE10hipError_tPvRmT2_T3_T4_T5_mT6_T7_P12ihipStream_tbENKUlT_T0_E_clISt17integral_constantIbLb1EESY_IbLb0EEEEDaSU_SV_EUlSU_E_NS1_11comp_targetILNS1_3genE5ELNS1_11target_archE942ELNS1_3gpuE9ELNS1_3repE0EEENS1_30default_config_static_selectorELNS0_4arch9wavefront6targetE0EEEvT1_
	.p2align	8
	.type	_ZN7rocprim17ROCPRIM_400000_NS6detail17trampoline_kernelINS0_14default_configENS1_27scan_by_key_config_selectorIxxEEZZNS1_16scan_by_key_implILNS1_25lookback_scan_determinismE0ELb0ES3_N6thrust23THRUST_200600_302600_NS6detail15normal_iteratorINS9_10device_ptrIxEEEESE_SE_xNS9_4plusIvEENS9_8equal_toIvEExEE10hipError_tPvRmT2_T3_T4_T5_mT6_T7_P12ihipStream_tbENKUlT_T0_E_clISt17integral_constantIbLb1EESY_IbLb0EEEEDaSU_SV_EUlSU_E_NS1_11comp_targetILNS1_3genE5ELNS1_11target_archE942ELNS1_3gpuE9ELNS1_3repE0EEENS1_30default_config_static_selectorELNS0_4arch9wavefront6targetE0EEEvT1_,@function
_ZN7rocprim17ROCPRIM_400000_NS6detail17trampoline_kernelINS0_14default_configENS1_27scan_by_key_config_selectorIxxEEZZNS1_16scan_by_key_implILNS1_25lookback_scan_determinismE0ELb0ES3_N6thrust23THRUST_200600_302600_NS6detail15normal_iteratorINS9_10device_ptrIxEEEESE_SE_xNS9_4plusIvEENS9_8equal_toIvEExEE10hipError_tPvRmT2_T3_T4_T5_mT6_T7_P12ihipStream_tbENKUlT_T0_E_clISt17integral_constantIbLb1EESY_IbLb0EEEEDaSU_SV_EUlSU_E_NS1_11comp_targetILNS1_3genE5ELNS1_11target_archE942ELNS1_3gpuE9ELNS1_3repE0EEENS1_30default_config_static_selectorELNS0_4arch9wavefront6targetE0EEEvT1_: ; @_ZN7rocprim17ROCPRIM_400000_NS6detail17trampoline_kernelINS0_14default_configENS1_27scan_by_key_config_selectorIxxEEZZNS1_16scan_by_key_implILNS1_25lookback_scan_determinismE0ELb0ES3_N6thrust23THRUST_200600_302600_NS6detail15normal_iteratorINS9_10device_ptrIxEEEESE_SE_xNS9_4plusIvEENS9_8equal_toIvEExEE10hipError_tPvRmT2_T3_T4_T5_mT6_T7_P12ihipStream_tbENKUlT_T0_E_clISt17integral_constantIbLb1EESY_IbLb0EEEEDaSU_SV_EUlSU_E_NS1_11comp_targetILNS1_3genE5ELNS1_11target_archE942ELNS1_3gpuE9ELNS1_3repE0EEENS1_30default_config_static_selectorELNS0_4arch9wavefront6targetE0EEEvT1_
; %bb.0:
	.section	.rodata,"a",@progbits
	.p2align	6, 0x0
	.amdhsa_kernel _ZN7rocprim17ROCPRIM_400000_NS6detail17trampoline_kernelINS0_14default_configENS1_27scan_by_key_config_selectorIxxEEZZNS1_16scan_by_key_implILNS1_25lookback_scan_determinismE0ELb0ES3_N6thrust23THRUST_200600_302600_NS6detail15normal_iteratorINS9_10device_ptrIxEEEESE_SE_xNS9_4plusIvEENS9_8equal_toIvEExEE10hipError_tPvRmT2_T3_T4_T5_mT6_T7_P12ihipStream_tbENKUlT_T0_E_clISt17integral_constantIbLb1EESY_IbLb0EEEEDaSU_SV_EUlSU_E_NS1_11comp_targetILNS1_3genE5ELNS1_11target_archE942ELNS1_3gpuE9ELNS1_3repE0EEENS1_30default_config_static_selectorELNS0_4arch9wavefront6targetE0EEEvT1_
		.amdhsa_group_segment_fixed_size 0
		.amdhsa_private_segment_fixed_size 0
		.amdhsa_kernarg_size 136
		.amdhsa_user_sgpr_count 6
		.amdhsa_user_sgpr_private_segment_buffer 1
		.amdhsa_user_sgpr_dispatch_ptr 0
		.amdhsa_user_sgpr_queue_ptr 0
		.amdhsa_user_sgpr_kernarg_segment_ptr 1
		.amdhsa_user_sgpr_dispatch_id 0
		.amdhsa_user_sgpr_flat_scratch_init 0
		.amdhsa_user_sgpr_private_segment_size 0
		.amdhsa_wavefront_size32 1
		.amdhsa_uses_dynamic_stack 0
		.amdhsa_system_sgpr_private_segment_wavefront_offset 0
		.amdhsa_system_sgpr_workgroup_id_x 1
		.amdhsa_system_sgpr_workgroup_id_y 0
		.amdhsa_system_sgpr_workgroup_id_z 0
		.amdhsa_system_sgpr_workgroup_info 0
		.amdhsa_system_vgpr_workitem_id 0
		.amdhsa_next_free_vgpr 1
		.amdhsa_next_free_sgpr 1
		.amdhsa_reserve_vcc 0
		.amdhsa_reserve_flat_scratch 0
		.amdhsa_float_round_mode_32 0
		.amdhsa_float_round_mode_16_64 0
		.amdhsa_float_denorm_mode_32 3
		.amdhsa_float_denorm_mode_16_64 3
		.amdhsa_dx10_clamp 1
		.amdhsa_ieee_mode 1
		.amdhsa_fp16_overflow 0
		.amdhsa_workgroup_processor_mode 1
		.amdhsa_memory_ordered 1
		.amdhsa_forward_progress 1
		.amdhsa_shared_vgpr_count 0
		.amdhsa_exception_fp_ieee_invalid_op 0
		.amdhsa_exception_fp_denorm_src 0
		.amdhsa_exception_fp_ieee_div_zero 0
		.amdhsa_exception_fp_ieee_overflow 0
		.amdhsa_exception_fp_ieee_underflow 0
		.amdhsa_exception_fp_ieee_inexact 0
		.amdhsa_exception_int_div_zero 0
	.end_amdhsa_kernel
	.section	.text._ZN7rocprim17ROCPRIM_400000_NS6detail17trampoline_kernelINS0_14default_configENS1_27scan_by_key_config_selectorIxxEEZZNS1_16scan_by_key_implILNS1_25lookback_scan_determinismE0ELb0ES3_N6thrust23THRUST_200600_302600_NS6detail15normal_iteratorINS9_10device_ptrIxEEEESE_SE_xNS9_4plusIvEENS9_8equal_toIvEExEE10hipError_tPvRmT2_T3_T4_T5_mT6_T7_P12ihipStream_tbENKUlT_T0_E_clISt17integral_constantIbLb1EESY_IbLb0EEEEDaSU_SV_EUlSU_E_NS1_11comp_targetILNS1_3genE5ELNS1_11target_archE942ELNS1_3gpuE9ELNS1_3repE0EEENS1_30default_config_static_selectorELNS0_4arch9wavefront6targetE0EEEvT1_,"axG",@progbits,_ZN7rocprim17ROCPRIM_400000_NS6detail17trampoline_kernelINS0_14default_configENS1_27scan_by_key_config_selectorIxxEEZZNS1_16scan_by_key_implILNS1_25lookback_scan_determinismE0ELb0ES3_N6thrust23THRUST_200600_302600_NS6detail15normal_iteratorINS9_10device_ptrIxEEEESE_SE_xNS9_4plusIvEENS9_8equal_toIvEExEE10hipError_tPvRmT2_T3_T4_T5_mT6_T7_P12ihipStream_tbENKUlT_T0_E_clISt17integral_constantIbLb1EESY_IbLb0EEEEDaSU_SV_EUlSU_E_NS1_11comp_targetILNS1_3genE5ELNS1_11target_archE942ELNS1_3gpuE9ELNS1_3repE0EEENS1_30default_config_static_selectorELNS0_4arch9wavefront6targetE0EEEvT1_,comdat
.Lfunc_end29:
	.size	_ZN7rocprim17ROCPRIM_400000_NS6detail17trampoline_kernelINS0_14default_configENS1_27scan_by_key_config_selectorIxxEEZZNS1_16scan_by_key_implILNS1_25lookback_scan_determinismE0ELb0ES3_N6thrust23THRUST_200600_302600_NS6detail15normal_iteratorINS9_10device_ptrIxEEEESE_SE_xNS9_4plusIvEENS9_8equal_toIvEExEE10hipError_tPvRmT2_T3_T4_T5_mT6_T7_P12ihipStream_tbENKUlT_T0_E_clISt17integral_constantIbLb1EESY_IbLb0EEEEDaSU_SV_EUlSU_E_NS1_11comp_targetILNS1_3genE5ELNS1_11target_archE942ELNS1_3gpuE9ELNS1_3repE0EEENS1_30default_config_static_selectorELNS0_4arch9wavefront6targetE0EEEvT1_, .Lfunc_end29-_ZN7rocprim17ROCPRIM_400000_NS6detail17trampoline_kernelINS0_14default_configENS1_27scan_by_key_config_selectorIxxEEZZNS1_16scan_by_key_implILNS1_25lookback_scan_determinismE0ELb0ES3_N6thrust23THRUST_200600_302600_NS6detail15normal_iteratorINS9_10device_ptrIxEEEESE_SE_xNS9_4plusIvEENS9_8equal_toIvEExEE10hipError_tPvRmT2_T3_T4_T5_mT6_T7_P12ihipStream_tbENKUlT_T0_E_clISt17integral_constantIbLb1EESY_IbLb0EEEEDaSU_SV_EUlSU_E_NS1_11comp_targetILNS1_3genE5ELNS1_11target_archE942ELNS1_3gpuE9ELNS1_3repE0EEENS1_30default_config_static_selectorELNS0_4arch9wavefront6targetE0EEEvT1_
                                        ; -- End function
	.set _ZN7rocprim17ROCPRIM_400000_NS6detail17trampoline_kernelINS0_14default_configENS1_27scan_by_key_config_selectorIxxEEZZNS1_16scan_by_key_implILNS1_25lookback_scan_determinismE0ELb0ES3_N6thrust23THRUST_200600_302600_NS6detail15normal_iteratorINS9_10device_ptrIxEEEESE_SE_xNS9_4plusIvEENS9_8equal_toIvEExEE10hipError_tPvRmT2_T3_T4_T5_mT6_T7_P12ihipStream_tbENKUlT_T0_E_clISt17integral_constantIbLb1EESY_IbLb0EEEEDaSU_SV_EUlSU_E_NS1_11comp_targetILNS1_3genE5ELNS1_11target_archE942ELNS1_3gpuE9ELNS1_3repE0EEENS1_30default_config_static_selectorELNS0_4arch9wavefront6targetE0EEEvT1_.num_vgpr, 0
	.set _ZN7rocprim17ROCPRIM_400000_NS6detail17trampoline_kernelINS0_14default_configENS1_27scan_by_key_config_selectorIxxEEZZNS1_16scan_by_key_implILNS1_25lookback_scan_determinismE0ELb0ES3_N6thrust23THRUST_200600_302600_NS6detail15normal_iteratorINS9_10device_ptrIxEEEESE_SE_xNS9_4plusIvEENS9_8equal_toIvEExEE10hipError_tPvRmT2_T3_T4_T5_mT6_T7_P12ihipStream_tbENKUlT_T0_E_clISt17integral_constantIbLb1EESY_IbLb0EEEEDaSU_SV_EUlSU_E_NS1_11comp_targetILNS1_3genE5ELNS1_11target_archE942ELNS1_3gpuE9ELNS1_3repE0EEENS1_30default_config_static_selectorELNS0_4arch9wavefront6targetE0EEEvT1_.num_agpr, 0
	.set _ZN7rocprim17ROCPRIM_400000_NS6detail17trampoline_kernelINS0_14default_configENS1_27scan_by_key_config_selectorIxxEEZZNS1_16scan_by_key_implILNS1_25lookback_scan_determinismE0ELb0ES3_N6thrust23THRUST_200600_302600_NS6detail15normal_iteratorINS9_10device_ptrIxEEEESE_SE_xNS9_4plusIvEENS9_8equal_toIvEExEE10hipError_tPvRmT2_T3_T4_T5_mT6_T7_P12ihipStream_tbENKUlT_T0_E_clISt17integral_constantIbLb1EESY_IbLb0EEEEDaSU_SV_EUlSU_E_NS1_11comp_targetILNS1_3genE5ELNS1_11target_archE942ELNS1_3gpuE9ELNS1_3repE0EEENS1_30default_config_static_selectorELNS0_4arch9wavefront6targetE0EEEvT1_.numbered_sgpr, 0
	.set _ZN7rocprim17ROCPRIM_400000_NS6detail17trampoline_kernelINS0_14default_configENS1_27scan_by_key_config_selectorIxxEEZZNS1_16scan_by_key_implILNS1_25lookback_scan_determinismE0ELb0ES3_N6thrust23THRUST_200600_302600_NS6detail15normal_iteratorINS9_10device_ptrIxEEEESE_SE_xNS9_4plusIvEENS9_8equal_toIvEExEE10hipError_tPvRmT2_T3_T4_T5_mT6_T7_P12ihipStream_tbENKUlT_T0_E_clISt17integral_constantIbLb1EESY_IbLb0EEEEDaSU_SV_EUlSU_E_NS1_11comp_targetILNS1_3genE5ELNS1_11target_archE942ELNS1_3gpuE9ELNS1_3repE0EEENS1_30default_config_static_selectorELNS0_4arch9wavefront6targetE0EEEvT1_.num_named_barrier, 0
	.set _ZN7rocprim17ROCPRIM_400000_NS6detail17trampoline_kernelINS0_14default_configENS1_27scan_by_key_config_selectorIxxEEZZNS1_16scan_by_key_implILNS1_25lookback_scan_determinismE0ELb0ES3_N6thrust23THRUST_200600_302600_NS6detail15normal_iteratorINS9_10device_ptrIxEEEESE_SE_xNS9_4plusIvEENS9_8equal_toIvEExEE10hipError_tPvRmT2_T3_T4_T5_mT6_T7_P12ihipStream_tbENKUlT_T0_E_clISt17integral_constantIbLb1EESY_IbLb0EEEEDaSU_SV_EUlSU_E_NS1_11comp_targetILNS1_3genE5ELNS1_11target_archE942ELNS1_3gpuE9ELNS1_3repE0EEENS1_30default_config_static_selectorELNS0_4arch9wavefront6targetE0EEEvT1_.private_seg_size, 0
	.set _ZN7rocprim17ROCPRIM_400000_NS6detail17trampoline_kernelINS0_14default_configENS1_27scan_by_key_config_selectorIxxEEZZNS1_16scan_by_key_implILNS1_25lookback_scan_determinismE0ELb0ES3_N6thrust23THRUST_200600_302600_NS6detail15normal_iteratorINS9_10device_ptrIxEEEESE_SE_xNS9_4plusIvEENS9_8equal_toIvEExEE10hipError_tPvRmT2_T3_T4_T5_mT6_T7_P12ihipStream_tbENKUlT_T0_E_clISt17integral_constantIbLb1EESY_IbLb0EEEEDaSU_SV_EUlSU_E_NS1_11comp_targetILNS1_3genE5ELNS1_11target_archE942ELNS1_3gpuE9ELNS1_3repE0EEENS1_30default_config_static_selectorELNS0_4arch9wavefront6targetE0EEEvT1_.uses_vcc, 0
	.set _ZN7rocprim17ROCPRIM_400000_NS6detail17trampoline_kernelINS0_14default_configENS1_27scan_by_key_config_selectorIxxEEZZNS1_16scan_by_key_implILNS1_25lookback_scan_determinismE0ELb0ES3_N6thrust23THRUST_200600_302600_NS6detail15normal_iteratorINS9_10device_ptrIxEEEESE_SE_xNS9_4plusIvEENS9_8equal_toIvEExEE10hipError_tPvRmT2_T3_T4_T5_mT6_T7_P12ihipStream_tbENKUlT_T0_E_clISt17integral_constantIbLb1EESY_IbLb0EEEEDaSU_SV_EUlSU_E_NS1_11comp_targetILNS1_3genE5ELNS1_11target_archE942ELNS1_3gpuE9ELNS1_3repE0EEENS1_30default_config_static_selectorELNS0_4arch9wavefront6targetE0EEEvT1_.uses_flat_scratch, 0
	.set _ZN7rocprim17ROCPRIM_400000_NS6detail17trampoline_kernelINS0_14default_configENS1_27scan_by_key_config_selectorIxxEEZZNS1_16scan_by_key_implILNS1_25lookback_scan_determinismE0ELb0ES3_N6thrust23THRUST_200600_302600_NS6detail15normal_iteratorINS9_10device_ptrIxEEEESE_SE_xNS9_4plusIvEENS9_8equal_toIvEExEE10hipError_tPvRmT2_T3_T4_T5_mT6_T7_P12ihipStream_tbENKUlT_T0_E_clISt17integral_constantIbLb1EESY_IbLb0EEEEDaSU_SV_EUlSU_E_NS1_11comp_targetILNS1_3genE5ELNS1_11target_archE942ELNS1_3gpuE9ELNS1_3repE0EEENS1_30default_config_static_selectorELNS0_4arch9wavefront6targetE0EEEvT1_.has_dyn_sized_stack, 0
	.set _ZN7rocprim17ROCPRIM_400000_NS6detail17trampoline_kernelINS0_14default_configENS1_27scan_by_key_config_selectorIxxEEZZNS1_16scan_by_key_implILNS1_25lookback_scan_determinismE0ELb0ES3_N6thrust23THRUST_200600_302600_NS6detail15normal_iteratorINS9_10device_ptrIxEEEESE_SE_xNS9_4plusIvEENS9_8equal_toIvEExEE10hipError_tPvRmT2_T3_T4_T5_mT6_T7_P12ihipStream_tbENKUlT_T0_E_clISt17integral_constantIbLb1EESY_IbLb0EEEEDaSU_SV_EUlSU_E_NS1_11comp_targetILNS1_3genE5ELNS1_11target_archE942ELNS1_3gpuE9ELNS1_3repE0EEENS1_30default_config_static_selectorELNS0_4arch9wavefront6targetE0EEEvT1_.has_recursion, 0
	.set _ZN7rocprim17ROCPRIM_400000_NS6detail17trampoline_kernelINS0_14default_configENS1_27scan_by_key_config_selectorIxxEEZZNS1_16scan_by_key_implILNS1_25lookback_scan_determinismE0ELb0ES3_N6thrust23THRUST_200600_302600_NS6detail15normal_iteratorINS9_10device_ptrIxEEEESE_SE_xNS9_4plusIvEENS9_8equal_toIvEExEE10hipError_tPvRmT2_T3_T4_T5_mT6_T7_P12ihipStream_tbENKUlT_T0_E_clISt17integral_constantIbLb1EESY_IbLb0EEEEDaSU_SV_EUlSU_E_NS1_11comp_targetILNS1_3genE5ELNS1_11target_archE942ELNS1_3gpuE9ELNS1_3repE0EEENS1_30default_config_static_selectorELNS0_4arch9wavefront6targetE0EEEvT1_.has_indirect_call, 0
	.section	.AMDGPU.csdata,"",@progbits
; Kernel info:
; codeLenInByte = 0
; TotalNumSgprs: 0
; NumVgprs: 0
; ScratchSize: 0
; MemoryBound: 0
; FloatMode: 240
; IeeeMode: 1
; LDSByteSize: 0 bytes/workgroup (compile time only)
; SGPRBlocks: 0
; VGPRBlocks: 0
; NumSGPRsForWavesPerEU: 1
; NumVGPRsForWavesPerEU: 1
; Occupancy: 16
; WaveLimiterHint : 0
; COMPUTE_PGM_RSRC2:SCRATCH_EN: 0
; COMPUTE_PGM_RSRC2:USER_SGPR: 6
; COMPUTE_PGM_RSRC2:TRAP_HANDLER: 0
; COMPUTE_PGM_RSRC2:TGID_X_EN: 1
; COMPUTE_PGM_RSRC2:TGID_Y_EN: 0
; COMPUTE_PGM_RSRC2:TGID_Z_EN: 0
; COMPUTE_PGM_RSRC2:TIDIG_COMP_CNT: 0
	.section	.text._ZN7rocprim17ROCPRIM_400000_NS6detail17trampoline_kernelINS0_14default_configENS1_27scan_by_key_config_selectorIxxEEZZNS1_16scan_by_key_implILNS1_25lookback_scan_determinismE0ELb0ES3_N6thrust23THRUST_200600_302600_NS6detail15normal_iteratorINS9_10device_ptrIxEEEESE_SE_xNS9_4plusIvEENS9_8equal_toIvEExEE10hipError_tPvRmT2_T3_T4_T5_mT6_T7_P12ihipStream_tbENKUlT_T0_E_clISt17integral_constantIbLb1EESY_IbLb0EEEEDaSU_SV_EUlSU_E_NS1_11comp_targetILNS1_3genE4ELNS1_11target_archE910ELNS1_3gpuE8ELNS1_3repE0EEENS1_30default_config_static_selectorELNS0_4arch9wavefront6targetE0EEEvT1_,"axG",@progbits,_ZN7rocprim17ROCPRIM_400000_NS6detail17trampoline_kernelINS0_14default_configENS1_27scan_by_key_config_selectorIxxEEZZNS1_16scan_by_key_implILNS1_25lookback_scan_determinismE0ELb0ES3_N6thrust23THRUST_200600_302600_NS6detail15normal_iteratorINS9_10device_ptrIxEEEESE_SE_xNS9_4plusIvEENS9_8equal_toIvEExEE10hipError_tPvRmT2_T3_T4_T5_mT6_T7_P12ihipStream_tbENKUlT_T0_E_clISt17integral_constantIbLb1EESY_IbLb0EEEEDaSU_SV_EUlSU_E_NS1_11comp_targetILNS1_3genE4ELNS1_11target_archE910ELNS1_3gpuE8ELNS1_3repE0EEENS1_30default_config_static_selectorELNS0_4arch9wavefront6targetE0EEEvT1_,comdat
	.protected	_ZN7rocprim17ROCPRIM_400000_NS6detail17trampoline_kernelINS0_14default_configENS1_27scan_by_key_config_selectorIxxEEZZNS1_16scan_by_key_implILNS1_25lookback_scan_determinismE0ELb0ES3_N6thrust23THRUST_200600_302600_NS6detail15normal_iteratorINS9_10device_ptrIxEEEESE_SE_xNS9_4plusIvEENS9_8equal_toIvEExEE10hipError_tPvRmT2_T3_T4_T5_mT6_T7_P12ihipStream_tbENKUlT_T0_E_clISt17integral_constantIbLb1EESY_IbLb0EEEEDaSU_SV_EUlSU_E_NS1_11comp_targetILNS1_3genE4ELNS1_11target_archE910ELNS1_3gpuE8ELNS1_3repE0EEENS1_30default_config_static_selectorELNS0_4arch9wavefront6targetE0EEEvT1_ ; -- Begin function _ZN7rocprim17ROCPRIM_400000_NS6detail17trampoline_kernelINS0_14default_configENS1_27scan_by_key_config_selectorIxxEEZZNS1_16scan_by_key_implILNS1_25lookback_scan_determinismE0ELb0ES3_N6thrust23THRUST_200600_302600_NS6detail15normal_iteratorINS9_10device_ptrIxEEEESE_SE_xNS9_4plusIvEENS9_8equal_toIvEExEE10hipError_tPvRmT2_T3_T4_T5_mT6_T7_P12ihipStream_tbENKUlT_T0_E_clISt17integral_constantIbLb1EESY_IbLb0EEEEDaSU_SV_EUlSU_E_NS1_11comp_targetILNS1_3genE4ELNS1_11target_archE910ELNS1_3gpuE8ELNS1_3repE0EEENS1_30default_config_static_selectorELNS0_4arch9wavefront6targetE0EEEvT1_
	.globl	_ZN7rocprim17ROCPRIM_400000_NS6detail17trampoline_kernelINS0_14default_configENS1_27scan_by_key_config_selectorIxxEEZZNS1_16scan_by_key_implILNS1_25lookback_scan_determinismE0ELb0ES3_N6thrust23THRUST_200600_302600_NS6detail15normal_iteratorINS9_10device_ptrIxEEEESE_SE_xNS9_4plusIvEENS9_8equal_toIvEExEE10hipError_tPvRmT2_T3_T4_T5_mT6_T7_P12ihipStream_tbENKUlT_T0_E_clISt17integral_constantIbLb1EESY_IbLb0EEEEDaSU_SV_EUlSU_E_NS1_11comp_targetILNS1_3genE4ELNS1_11target_archE910ELNS1_3gpuE8ELNS1_3repE0EEENS1_30default_config_static_selectorELNS0_4arch9wavefront6targetE0EEEvT1_
	.p2align	8
	.type	_ZN7rocprim17ROCPRIM_400000_NS6detail17trampoline_kernelINS0_14default_configENS1_27scan_by_key_config_selectorIxxEEZZNS1_16scan_by_key_implILNS1_25lookback_scan_determinismE0ELb0ES3_N6thrust23THRUST_200600_302600_NS6detail15normal_iteratorINS9_10device_ptrIxEEEESE_SE_xNS9_4plusIvEENS9_8equal_toIvEExEE10hipError_tPvRmT2_T3_T4_T5_mT6_T7_P12ihipStream_tbENKUlT_T0_E_clISt17integral_constantIbLb1EESY_IbLb0EEEEDaSU_SV_EUlSU_E_NS1_11comp_targetILNS1_3genE4ELNS1_11target_archE910ELNS1_3gpuE8ELNS1_3repE0EEENS1_30default_config_static_selectorELNS0_4arch9wavefront6targetE0EEEvT1_,@function
_ZN7rocprim17ROCPRIM_400000_NS6detail17trampoline_kernelINS0_14default_configENS1_27scan_by_key_config_selectorIxxEEZZNS1_16scan_by_key_implILNS1_25lookback_scan_determinismE0ELb0ES3_N6thrust23THRUST_200600_302600_NS6detail15normal_iteratorINS9_10device_ptrIxEEEESE_SE_xNS9_4plusIvEENS9_8equal_toIvEExEE10hipError_tPvRmT2_T3_T4_T5_mT6_T7_P12ihipStream_tbENKUlT_T0_E_clISt17integral_constantIbLb1EESY_IbLb0EEEEDaSU_SV_EUlSU_E_NS1_11comp_targetILNS1_3genE4ELNS1_11target_archE910ELNS1_3gpuE8ELNS1_3repE0EEENS1_30default_config_static_selectorELNS0_4arch9wavefront6targetE0EEEvT1_: ; @_ZN7rocprim17ROCPRIM_400000_NS6detail17trampoline_kernelINS0_14default_configENS1_27scan_by_key_config_selectorIxxEEZZNS1_16scan_by_key_implILNS1_25lookback_scan_determinismE0ELb0ES3_N6thrust23THRUST_200600_302600_NS6detail15normal_iteratorINS9_10device_ptrIxEEEESE_SE_xNS9_4plusIvEENS9_8equal_toIvEExEE10hipError_tPvRmT2_T3_T4_T5_mT6_T7_P12ihipStream_tbENKUlT_T0_E_clISt17integral_constantIbLb1EESY_IbLb0EEEEDaSU_SV_EUlSU_E_NS1_11comp_targetILNS1_3genE4ELNS1_11target_archE910ELNS1_3gpuE8ELNS1_3repE0EEENS1_30default_config_static_selectorELNS0_4arch9wavefront6targetE0EEEvT1_
; %bb.0:
	.section	.rodata,"a",@progbits
	.p2align	6, 0x0
	.amdhsa_kernel _ZN7rocprim17ROCPRIM_400000_NS6detail17trampoline_kernelINS0_14default_configENS1_27scan_by_key_config_selectorIxxEEZZNS1_16scan_by_key_implILNS1_25lookback_scan_determinismE0ELb0ES3_N6thrust23THRUST_200600_302600_NS6detail15normal_iteratorINS9_10device_ptrIxEEEESE_SE_xNS9_4plusIvEENS9_8equal_toIvEExEE10hipError_tPvRmT2_T3_T4_T5_mT6_T7_P12ihipStream_tbENKUlT_T0_E_clISt17integral_constantIbLb1EESY_IbLb0EEEEDaSU_SV_EUlSU_E_NS1_11comp_targetILNS1_3genE4ELNS1_11target_archE910ELNS1_3gpuE8ELNS1_3repE0EEENS1_30default_config_static_selectorELNS0_4arch9wavefront6targetE0EEEvT1_
		.amdhsa_group_segment_fixed_size 0
		.amdhsa_private_segment_fixed_size 0
		.amdhsa_kernarg_size 136
		.amdhsa_user_sgpr_count 6
		.amdhsa_user_sgpr_private_segment_buffer 1
		.amdhsa_user_sgpr_dispatch_ptr 0
		.amdhsa_user_sgpr_queue_ptr 0
		.amdhsa_user_sgpr_kernarg_segment_ptr 1
		.amdhsa_user_sgpr_dispatch_id 0
		.amdhsa_user_sgpr_flat_scratch_init 0
		.amdhsa_user_sgpr_private_segment_size 0
		.amdhsa_wavefront_size32 1
		.amdhsa_uses_dynamic_stack 0
		.amdhsa_system_sgpr_private_segment_wavefront_offset 0
		.amdhsa_system_sgpr_workgroup_id_x 1
		.amdhsa_system_sgpr_workgroup_id_y 0
		.amdhsa_system_sgpr_workgroup_id_z 0
		.amdhsa_system_sgpr_workgroup_info 0
		.amdhsa_system_vgpr_workitem_id 0
		.amdhsa_next_free_vgpr 1
		.amdhsa_next_free_sgpr 1
		.amdhsa_reserve_vcc 0
		.amdhsa_reserve_flat_scratch 0
		.amdhsa_float_round_mode_32 0
		.amdhsa_float_round_mode_16_64 0
		.amdhsa_float_denorm_mode_32 3
		.amdhsa_float_denorm_mode_16_64 3
		.amdhsa_dx10_clamp 1
		.amdhsa_ieee_mode 1
		.amdhsa_fp16_overflow 0
		.amdhsa_workgroup_processor_mode 1
		.amdhsa_memory_ordered 1
		.amdhsa_forward_progress 1
		.amdhsa_shared_vgpr_count 0
		.amdhsa_exception_fp_ieee_invalid_op 0
		.amdhsa_exception_fp_denorm_src 0
		.amdhsa_exception_fp_ieee_div_zero 0
		.amdhsa_exception_fp_ieee_overflow 0
		.amdhsa_exception_fp_ieee_underflow 0
		.amdhsa_exception_fp_ieee_inexact 0
		.amdhsa_exception_int_div_zero 0
	.end_amdhsa_kernel
	.section	.text._ZN7rocprim17ROCPRIM_400000_NS6detail17trampoline_kernelINS0_14default_configENS1_27scan_by_key_config_selectorIxxEEZZNS1_16scan_by_key_implILNS1_25lookback_scan_determinismE0ELb0ES3_N6thrust23THRUST_200600_302600_NS6detail15normal_iteratorINS9_10device_ptrIxEEEESE_SE_xNS9_4plusIvEENS9_8equal_toIvEExEE10hipError_tPvRmT2_T3_T4_T5_mT6_T7_P12ihipStream_tbENKUlT_T0_E_clISt17integral_constantIbLb1EESY_IbLb0EEEEDaSU_SV_EUlSU_E_NS1_11comp_targetILNS1_3genE4ELNS1_11target_archE910ELNS1_3gpuE8ELNS1_3repE0EEENS1_30default_config_static_selectorELNS0_4arch9wavefront6targetE0EEEvT1_,"axG",@progbits,_ZN7rocprim17ROCPRIM_400000_NS6detail17trampoline_kernelINS0_14default_configENS1_27scan_by_key_config_selectorIxxEEZZNS1_16scan_by_key_implILNS1_25lookback_scan_determinismE0ELb0ES3_N6thrust23THRUST_200600_302600_NS6detail15normal_iteratorINS9_10device_ptrIxEEEESE_SE_xNS9_4plusIvEENS9_8equal_toIvEExEE10hipError_tPvRmT2_T3_T4_T5_mT6_T7_P12ihipStream_tbENKUlT_T0_E_clISt17integral_constantIbLb1EESY_IbLb0EEEEDaSU_SV_EUlSU_E_NS1_11comp_targetILNS1_3genE4ELNS1_11target_archE910ELNS1_3gpuE8ELNS1_3repE0EEENS1_30default_config_static_selectorELNS0_4arch9wavefront6targetE0EEEvT1_,comdat
.Lfunc_end30:
	.size	_ZN7rocprim17ROCPRIM_400000_NS6detail17trampoline_kernelINS0_14default_configENS1_27scan_by_key_config_selectorIxxEEZZNS1_16scan_by_key_implILNS1_25lookback_scan_determinismE0ELb0ES3_N6thrust23THRUST_200600_302600_NS6detail15normal_iteratorINS9_10device_ptrIxEEEESE_SE_xNS9_4plusIvEENS9_8equal_toIvEExEE10hipError_tPvRmT2_T3_T4_T5_mT6_T7_P12ihipStream_tbENKUlT_T0_E_clISt17integral_constantIbLb1EESY_IbLb0EEEEDaSU_SV_EUlSU_E_NS1_11comp_targetILNS1_3genE4ELNS1_11target_archE910ELNS1_3gpuE8ELNS1_3repE0EEENS1_30default_config_static_selectorELNS0_4arch9wavefront6targetE0EEEvT1_, .Lfunc_end30-_ZN7rocprim17ROCPRIM_400000_NS6detail17trampoline_kernelINS0_14default_configENS1_27scan_by_key_config_selectorIxxEEZZNS1_16scan_by_key_implILNS1_25lookback_scan_determinismE0ELb0ES3_N6thrust23THRUST_200600_302600_NS6detail15normal_iteratorINS9_10device_ptrIxEEEESE_SE_xNS9_4plusIvEENS9_8equal_toIvEExEE10hipError_tPvRmT2_T3_T4_T5_mT6_T7_P12ihipStream_tbENKUlT_T0_E_clISt17integral_constantIbLb1EESY_IbLb0EEEEDaSU_SV_EUlSU_E_NS1_11comp_targetILNS1_3genE4ELNS1_11target_archE910ELNS1_3gpuE8ELNS1_3repE0EEENS1_30default_config_static_selectorELNS0_4arch9wavefront6targetE0EEEvT1_
                                        ; -- End function
	.set _ZN7rocprim17ROCPRIM_400000_NS6detail17trampoline_kernelINS0_14default_configENS1_27scan_by_key_config_selectorIxxEEZZNS1_16scan_by_key_implILNS1_25lookback_scan_determinismE0ELb0ES3_N6thrust23THRUST_200600_302600_NS6detail15normal_iteratorINS9_10device_ptrIxEEEESE_SE_xNS9_4plusIvEENS9_8equal_toIvEExEE10hipError_tPvRmT2_T3_T4_T5_mT6_T7_P12ihipStream_tbENKUlT_T0_E_clISt17integral_constantIbLb1EESY_IbLb0EEEEDaSU_SV_EUlSU_E_NS1_11comp_targetILNS1_3genE4ELNS1_11target_archE910ELNS1_3gpuE8ELNS1_3repE0EEENS1_30default_config_static_selectorELNS0_4arch9wavefront6targetE0EEEvT1_.num_vgpr, 0
	.set _ZN7rocprim17ROCPRIM_400000_NS6detail17trampoline_kernelINS0_14default_configENS1_27scan_by_key_config_selectorIxxEEZZNS1_16scan_by_key_implILNS1_25lookback_scan_determinismE0ELb0ES3_N6thrust23THRUST_200600_302600_NS6detail15normal_iteratorINS9_10device_ptrIxEEEESE_SE_xNS9_4plusIvEENS9_8equal_toIvEExEE10hipError_tPvRmT2_T3_T4_T5_mT6_T7_P12ihipStream_tbENKUlT_T0_E_clISt17integral_constantIbLb1EESY_IbLb0EEEEDaSU_SV_EUlSU_E_NS1_11comp_targetILNS1_3genE4ELNS1_11target_archE910ELNS1_3gpuE8ELNS1_3repE0EEENS1_30default_config_static_selectorELNS0_4arch9wavefront6targetE0EEEvT1_.num_agpr, 0
	.set _ZN7rocprim17ROCPRIM_400000_NS6detail17trampoline_kernelINS0_14default_configENS1_27scan_by_key_config_selectorIxxEEZZNS1_16scan_by_key_implILNS1_25lookback_scan_determinismE0ELb0ES3_N6thrust23THRUST_200600_302600_NS6detail15normal_iteratorINS9_10device_ptrIxEEEESE_SE_xNS9_4plusIvEENS9_8equal_toIvEExEE10hipError_tPvRmT2_T3_T4_T5_mT6_T7_P12ihipStream_tbENKUlT_T0_E_clISt17integral_constantIbLb1EESY_IbLb0EEEEDaSU_SV_EUlSU_E_NS1_11comp_targetILNS1_3genE4ELNS1_11target_archE910ELNS1_3gpuE8ELNS1_3repE0EEENS1_30default_config_static_selectorELNS0_4arch9wavefront6targetE0EEEvT1_.numbered_sgpr, 0
	.set _ZN7rocprim17ROCPRIM_400000_NS6detail17trampoline_kernelINS0_14default_configENS1_27scan_by_key_config_selectorIxxEEZZNS1_16scan_by_key_implILNS1_25lookback_scan_determinismE0ELb0ES3_N6thrust23THRUST_200600_302600_NS6detail15normal_iteratorINS9_10device_ptrIxEEEESE_SE_xNS9_4plusIvEENS9_8equal_toIvEExEE10hipError_tPvRmT2_T3_T4_T5_mT6_T7_P12ihipStream_tbENKUlT_T0_E_clISt17integral_constantIbLb1EESY_IbLb0EEEEDaSU_SV_EUlSU_E_NS1_11comp_targetILNS1_3genE4ELNS1_11target_archE910ELNS1_3gpuE8ELNS1_3repE0EEENS1_30default_config_static_selectorELNS0_4arch9wavefront6targetE0EEEvT1_.num_named_barrier, 0
	.set _ZN7rocprim17ROCPRIM_400000_NS6detail17trampoline_kernelINS0_14default_configENS1_27scan_by_key_config_selectorIxxEEZZNS1_16scan_by_key_implILNS1_25lookback_scan_determinismE0ELb0ES3_N6thrust23THRUST_200600_302600_NS6detail15normal_iteratorINS9_10device_ptrIxEEEESE_SE_xNS9_4plusIvEENS9_8equal_toIvEExEE10hipError_tPvRmT2_T3_T4_T5_mT6_T7_P12ihipStream_tbENKUlT_T0_E_clISt17integral_constantIbLb1EESY_IbLb0EEEEDaSU_SV_EUlSU_E_NS1_11comp_targetILNS1_3genE4ELNS1_11target_archE910ELNS1_3gpuE8ELNS1_3repE0EEENS1_30default_config_static_selectorELNS0_4arch9wavefront6targetE0EEEvT1_.private_seg_size, 0
	.set _ZN7rocprim17ROCPRIM_400000_NS6detail17trampoline_kernelINS0_14default_configENS1_27scan_by_key_config_selectorIxxEEZZNS1_16scan_by_key_implILNS1_25lookback_scan_determinismE0ELb0ES3_N6thrust23THRUST_200600_302600_NS6detail15normal_iteratorINS9_10device_ptrIxEEEESE_SE_xNS9_4plusIvEENS9_8equal_toIvEExEE10hipError_tPvRmT2_T3_T4_T5_mT6_T7_P12ihipStream_tbENKUlT_T0_E_clISt17integral_constantIbLb1EESY_IbLb0EEEEDaSU_SV_EUlSU_E_NS1_11comp_targetILNS1_3genE4ELNS1_11target_archE910ELNS1_3gpuE8ELNS1_3repE0EEENS1_30default_config_static_selectorELNS0_4arch9wavefront6targetE0EEEvT1_.uses_vcc, 0
	.set _ZN7rocprim17ROCPRIM_400000_NS6detail17trampoline_kernelINS0_14default_configENS1_27scan_by_key_config_selectorIxxEEZZNS1_16scan_by_key_implILNS1_25lookback_scan_determinismE0ELb0ES3_N6thrust23THRUST_200600_302600_NS6detail15normal_iteratorINS9_10device_ptrIxEEEESE_SE_xNS9_4plusIvEENS9_8equal_toIvEExEE10hipError_tPvRmT2_T3_T4_T5_mT6_T7_P12ihipStream_tbENKUlT_T0_E_clISt17integral_constantIbLb1EESY_IbLb0EEEEDaSU_SV_EUlSU_E_NS1_11comp_targetILNS1_3genE4ELNS1_11target_archE910ELNS1_3gpuE8ELNS1_3repE0EEENS1_30default_config_static_selectorELNS0_4arch9wavefront6targetE0EEEvT1_.uses_flat_scratch, 0
	.set _ZN7rocprim17ROCPRIM_400000_NS6detail17trampoline_kernelINS0_14default_configENS1_27scan_by_key_config_selectorIxxEEZZNS1_16scan_by_key_implILNS1_25lookback_scan_determinismE0ELb0ES3_N6thrust23THRUST_200600_302600_NS6detail15normal_iteratorINS9_10device_ptrIxEEEESE_SE_xNS9_4plusIvEENS9_8equal_toIvEExEE10hipError_tPvRmT2_T3_T4_T5_mT6_T7_P12ihipStream_tbENKUlT_T0_E_clISt17integral_constantIbLb1EESY_IbLb0EEEEDaSU_SV_EUlSU_E_NS1_11comp_targetILNS1_3genE4ELNS1_11target_archE910ELNS1_3gpuE8ELNS1_3repE0EEENS1_30default_config_static_selectorELNS0_4arch9wavefront6targetE0EEEvT1_.has_dyn_sized_stack, 0
	.set _ZN7rocprim17ROCPRIM_400000_NS6detail17trampoline_kernelINS0_14default_configENS1_27scan_by_key_config_selectorIxxEEZZNS1_16scan_by_key_implILNS1_25lookback_scan_determinismE0ELb0ES3_N6thrust23THRUST_200600_302600_NS6detail15normal_iteratorINS9_10device_ptrIxEEEESE_SE_xNS9_4plusIvEENS9_8equal_toIvEExEE10hipError_tPvRmT2_T3_T4_T5_mT6_T7_P12ihipStream_tbENKUlT_T0_E_clISt17integral_constantIbLb1EESY_IbLb0EEEEDaSU_SV_EUlSU_E_NS1_11comp_targetILNS1_3genE4ELNS1_11target_archE910ELNS1_3gpuE8ELNS1_3repE0EEENS1_30default_config_static_selectorELNS0_4arch9wavefront6targetE0EEEvT1_.has_recursion, 0
	.set _ZN7rocprim17ROCPRIM_400000_NS6detail17trampoline_kernelINS0_14default_configENS1_27scan_by_key_config_selectorIxxEEZZNS1_16scan_by_key_implILNS1_25lookback_scan_determinismE0ELb0ES3_N6thrust23THRUST_200600_302600_NS6detail15normal_iteratorINS9_10device_ptrIxEEEESE_SE_xNS9_4plusIvEENS9_8equal_toIvEExEE10hipError_tPvRmT2_T3_T4_T5_mT6_T7_P12ihipStream_tbENKUlT_T0_E_clISt17integral_constantIbLb1EESY_IbLb0EEEEDaSU_SV_EUlSU_E_NS1_11comp_targetILNS1_3genE4ELNS1_11target_archE910ELNS1_3gpuE8ELNS1_3repE0EEENS1_30default_config_static_selectorELNS0_4arch9wavefront6targetE0EEEvT1_.has_indirect_call, 0
	.section	.AMDGPU.csdata,"",@progbits
; Kernel info:
; codeLenInByte = 0
; TotalNumSgprs: 0
; NumVgprs: 0
; ScratchSize: 0
; MemoryBound: 0
; FloatMode: 240
; IeeeMode: 1
; LDSByteSize: 0 bytes/workgroup (compile time only)
; SGPRBlocks: 0
; VGPRBlocks: 0
; NumSGPRsForWavesPerEU: 1
; NumVGPRsForWavesPerEU: 1
; Occupancy: 16
; WaveLimiterHint : 0
; COMPUTE_PGM_RSRC2:SCRATCH_EN: 0
; COMPUTE_PGM_RSRC2:USER_SGPR: 6
; COMPUTE_PGM_RSRC2:TRAP_HANDLER: 0
; COMPUTE_PGM_RSRC2:TGID_X_EN: 1
; COMPUTE_PGM_RSRC2:TGID_Y_EN: 0
; COMPUTE_PGM_RSRC2:TGID_Z_EN: 0
; COMPUTE_PGM_RSRC2:TIDIG_COMP_CNT: 0
	.section	.text._ZN7rocprim17ROCPRIM_400000_NS6detail17trampoline_kernelINS0_14default_configENS1_27scan_by_key_config_selectorIxxEEZZNS1_16scan_by_key_implILNS1_25lookback_scan_determinismE0ELb0ES3_N6thrust23THRUST_200600_302600_NS6detail15normal_iteratorINS9_10device_ptrIxEEEESE_SE_xNS9_4plusIvEENS9_8equal_toIvEExEE10hipError_tPvRmT2_T3_T4_T5_mT6_T7_P12ihipStream_tbENKUlT_T0_E_clISt17integral_constantIbLb1EESY_IbLb0EEEEDaSU_SV_EUlSU_E_NS1_11comp_targetILNS1_3genE3ELNS1_11target_archE908ELNS1_3gpuE7ELNS1_3repE0EEENS1_30default_config_static_selectorELNS0_4arch9wavefront6targetE0EEEvT1_,"axG",@progbits,_ZN7rocprim17ROCPRIM_400000_NS6detail17trampoline_kernelINS0_14default_configENS1_27scan_by_key_config_selectorIxxEEZZNS1_16scan_by_key_implILNS1_25lookback_scan_determinismE0ELb0ES3_N6thrust23THRUST_200600_302600_NS6detail15normal_iteratorINS9_10device_ptrIxEEEESE_SE_xNS9_4plusIvEENS9_8equal_toIvEExEE10hipError_tPvRmT2_T3_T4_T5_mT6_T7_P12ihipStream_tbENKUlT_T0_E_clISt17integral_constantIbLb1EESY_IbLb0EEEEDaSU_SV_EUlSU_E_NS1_11comp_targetILNS1_3genE3ELNS1_11target_archE908ELNS1_3gpuE7ELNS1_3repE0EEENS1_30default_config_static_selectorELNS0_4arch9wavefront6targetE0EEEvT1_,comdat
	.protected	_ZN7rocprim17ROCPRIM_400000_NS6detail17trampoline_kernelINS0_14default_configENS1_27scan_by_key_config_selectorIxxEEZZNS1_16scan_by_key_implILNS1_25lookback_scan_determinismE0ELb0ES3_N6thrust23THRUST_200600_302600_NS6detail15normal_iteratorINS9_10device_ptrIxEEEESE_SE_xNS9_4plusIvEENS9_8equal_toIvEExEE10hipError_tPvRmT2_T3_T4_T5_mT6_T7_P12ihipStream_tbENKUlT_T0_E_clISt17integral_constantIbLb1EESY_IbLb0EEEEDaSU_SV_EUlSU_E_NS1_11comp_targetILNS1_3genE3ELNS1_11target_archE908ELNS1_3gpuE7ELNS1_3repE0EEENS1_30default_config_static_selectorELNS0_4arch9wavefront6targetE0EEEvT1_ ; -- Begin function _ZN7rocprim17ROCPRIM_400000_NS6detail17trampoline_kernelINS0_14default_configENS1_27scan_by_key_config_selectorIxxEEZZNS1_16scan_by_key_implILNS1_25lookback_scan_determinismE0ELb0ES3_N6thrust23THRUST_200600_302600_NS6detail15normal_iteratorINS9_10device_ptrIxEEEESE_SE_xNS9_4plusIvEENS9_8equal_toIvEExEE10hipError_tPvRmT2_T3_T4_T5_mT6_T7_P12ihipStream_tbENKUlT_T0_E_clISt17integral_constantIbLb1EESY_IbLb0EEEEDaSU_SV_EUlSU_E_NS1_11comp_targetILNS1_3genE3ELNS1_11target_archE908ELNS1_3gpuE7ELNS1_3repE0EEENS1_30default_config_static_selectorELNS0_4arch9wavefront6targetE0EEEvT1_
	.globl	_ZN7rocprim17ROCPRIM_400000_NS6detail17trampoline_kernelINS0_14default_configENS1_27scan_by_key_config_selectorIxxEEZZNS1_16scan_by_key_implILNS1_25lookback_scan_determinismE0ELb0ES3_N6thrust23THRUST_200600_302600_NS6detail15normal_iteratorINS9_10device_ptrIxEEEESE_SE_xNS9_4plusIvEENS9_8equal_toIvEExEE10hipError_tPvRmT2_T3_T4_T5_mT6_T7_P12ihipStream_tbENKUlT_T0_E_clISt17integral_constantIbLb1EESY_IbLb0EEEEDaSU_SV_EUlSU_E_NS1_11comp_targetILNS1_3genE3ELNS1_11target_archE908ELNS1_3gpuE7ELNS1_3repE0EEENS1_30default_config_static_selectorELNS0_4arch9wavefront6targetE0EEEvT1_
	.p2align	8
	.type	_ZN7rocprim17ROCPRIM_400000_NS6detail17trampoline_kernelINS0_14default_configENS1_27scan_by_key_config_selectorIxxEEZZNS1_16scan_by_key_implILNS1_25lookback_scan_determinismE0ELb0ES3_N6thrust23THRUST_200600_302600_NS6detail15normal_iteratorINS9_10device_ptrIxEEEESE_SE_xNS9_4plusIvEENS9_8equal_toIvEExEE10hipError_tPvRmT2_T3_T4_T5_mT6_T7_P12ihipStream_tbENKUlT_T0_E_clISt17integral_constantIbLb1EESY_IbLb0EEEEDaSU_SV_EUlSU_E_NS1_11comp_targetILNS1_3genE3ELNS1_11target_archE908ELNS1_3gpuE7ELNS1_3repE0EEENS1_30default_config_static_selectorELNS0_4arch9wavefront6targetE0EEEvT1_,@function
_ZN7rocprim17ROCPRIM_400000_NS6detail17trampoline_kernelINS0_14default_configENS1_27scan_by_key_config_selectorIxxEEZZNS1_16scan_by_key_implILNS1_25lookback_scan_determinismE0ELb0ES3_N6thrust23THRUST_200600_302600_NS6detail15normal_iteratorINS9_10device_ptrIxEEEESE_SE_xNS9_4plusIvEENS9_8equal_toIvEExEE10hipError_tPvRmT2_T3_T4_T5_mT6_T7_P12ihipStream_tbENKUlT_T0_E_clISt17integral_constantIbLb1EESY_IbLb0EEEEDaSU_SV_EUlSU_E_NS1_11comp_targetILNS1_3genE3ELNS1_11target_archE908ELNS1_3gpuE7ELNS1_3repE0EEENS1_30default_config_static_selectorELNS0_4arch9wavefront6targetE0EEEvT1_: ; @_ZN7rocprim17ROCPRIM_400000_NS6detail17trampoline_kernelINS0_14default_configENS1_27scan_by_key_config_selectorIxxEEZZNS1_16scan_by_key_implILNS1_25lookback_scan_determinismE0ELb0ES3_N6thrust23THRUST_200600_302600_NS6detail15normal_iteratorINS9_10device_ptrIxEEEESE_SE_xNS9_4plusIvEENS9_8equal_toIvEExEE10hipError_tPvRmT2_T3_T4_T5_mT6_T7_P12ihipStream_tbENKUlT_T0_E_clISt17integral_constantIbLb1EESY_IbLb0EEEEDaSU_SV_EUlSU_E_NS1_11comp_targetILNS1_3genE3ELNS1_11target_archE908ELNS1_3gpuE7ELNS1_3repE0EEENS1_30default_config_static_selectorELNS0_4arch9wavefront6targetE0EEEvT1_
; %bb.0:
	.section	.rodata,"a",@progbits
	.p2align	6, 0x0
	.amdhsa_kernel _ZN7rocprim17ROCPRIM_400000_NS6detail17trampoline_kernelINS0_14default_configENS1_27scan_by_key_config_selectorIxxEEZZNS1_16scan_by_key_implILNS1_25lookback_scan_determinismE0ELb0ES3_N6thrust23THRUST_200600_302600_NS6detail15normal_iteratorINS9_10device_ptrIxEEEESE_SE_xNS9_4plusIvEENS9_8equal_toIvEExEE10hipError_tPvRmT2_T3_T4_T5_mT6_T7_P12ihipStream_tbENKUlT_T0_E_clISt17integral_constantIbLb1EESY_IbLb0EEEEDaSU_SV_EUlSU_E_NS1_11comp_targetILNS1_3genE3ELNS1_11target_archE908ELNS1_3gpuE7ELNS1_3repE0EEENS1_30default_config_static_selectorELNS0_4arch9wavefront6targetE0EEEvT1_
		.amdhsa_group_segment_fixed_size 0
		.amdhsa_private_segment_fixed_size 0
		.amdhsa_kernarg_size 136
		.amdhsa_user_sgpr_count 6
		.amdhsa_user_sgpr_private_segment_buffer 1
		.amdhsa_user_sgpr_dispatch_ptr 0
		.amdhsa_user_sgpr_queue_ptr 0
		.amdhsa_user_sgpr_kernarg_segment_ptr 1
		.amdhsa_user_sgpr_dispatch_id 0
		.amdhsa_user_sgpr_flat_scratch_init 0
		.amdhsa_user_sgpr_private_segment_size 0
		.amdhsa_wavefront_size32 1
		.amdhsa_uses_dynamic_stack 0
		.amdhsa_system_sgpr_private_segment_wavefront_offset 0
		.amdhsa_system_sgpr_workgroup_id_x 1
		.amdhsa_system_sgpr_workgroup_id_y 0
		.amdhsa_system_sgpr_workgroup_id_z 0
		.amdhsa_system_sgpr_workgroup_info 0
		.amdhsa_system_vgpr_workitem_id 0
		.amdhsa_next_free_vgpr 1
		.amdhsa_next_free_sgpr 1
		.amdhsa_reserve_vcc 0
		.amdhsa_reserve_flat_scratch 0
		.amdhsa_float_round_mode_32 0
		.amdhsa_float_round_mode_16_64 0
		.amdhsa_float_denorm_mode_32 3
		.amdhsa_float_denorm_mode_16_64 3
		.amdhsa_dx10_clamp 1
		.amdhsa_ieee_mode 1
		.amdhsa_fp16_overflow 0
		.amdhsa_workgroup_processor_mode 1
		.amdhsa_memory_ordered 1
		.amdhsa_forward_progress 1
		.amdhsa_shared_vgpr_count 0
		.amdhsa_exception_fp_ieee_invalid_op 0
		.amdhsa_exception_fp_denorm_src 0
		.amdhsa_exception_fp_ieee_div_zero 0
		.amdhsa_exception_fp_ieee_overflow 0
		.amdhsa_exception_fp_ieee_underflow 0
		.amdhsa_exception_fp_ieee_inexact 0
		.amdhsa_exception_int_div_zero 0
	.end_amdhsa_kernel
	.section	.text._ZN7rocprim17ROCPRIM_400000_NS6detail17trampoline_kernelINS0_14default_configENS1_27scan_by_key_config_selectorIxxEEZZNS1_16scan_by_key_implILNS1_25lookback_scan_determinismE0ELb0ES3_N6thrust23THRUST_200600_302600_NS6detail15normal_iteratorINS9_10device_ptrIxEEEESE_SE_xNS9_4plusIvEENS9_8equal_toIvEExEE10hipError_tPvRmT2_T3_T4_T5_mT6_T7_P12ihipStream_tbENKUlT_T0_E_clISt17integral_constantIbLb1EESY_IbLb0EEEEDaSU_SV_EUlSU_E_NS1_11comp_targetILNS1_3genE3ELNS1_11target_archE908ELNS1_3gpuE7ELNS1_3repE0EEENS1_30default_config_static_selectorELNS0_4arch9wavefront6targetE0EEEvT1_,"axG",@progbits,_ZN7rocprim17ROCPRIM_400000_NS6detail17trampoline_kernelINS0_14default_configENS1_27scan_by_key_config_selectorIxxEEZZNS1_16scan_by_key_implILNS1_25lookback_scan_determinismE0ELb0ES3_N6thrust23THRUST_200600_302600_NS6detail15normal_iteratorINS9_10device_ptrIxEEEESE_SE_xNS9_4plusIvEENS9_8equal_toIvEExEE10hipError_tPvRmT2_T3_T4_T5_mT6_T7_P12ihipStream_tbENKUlT_T0_E_clISt17integral_constantIbLb1EESY_IbLb0EEEEDaSU_SV_EUlSU_E_NS1_11comp_targetILNS1_3genE3ELNS1_11target_archE908ELNS1_3gpuE7ELNS1_3repE0EEENS1_30default_config_static_selectorELNS0_4arch9wavefront6targetE0EEEvT1_,comdat
.Lfunc_end31:
	.size	_ZN7rocprim17ROCPRIM_400000_NS6detail17trampoline_kernelINS0_14default_configENS1_27scan_by_key_config_selectorIxxEEZZNS1_16scan_by_key_implILNS1_25lookback_scan_determinismE0ELb0ES3_N6thrust23THRUST_200600_302600_NS6detail15normal_iteratorINS9_10device_ptrIxEEEESE_SE_xNS9_4plusIvEENS9_8equal_toIvEExEE10hipError_tPvRmT2_T3_T4_T5_mT6_T7_P12ihipStream_tbENKUlT_T0_E_clISt17integral_constantIbLb1EESY_IbLb0EEEEDaSU_SV_EUlSU_E_NS1_11comp_targetILNS1_3genE3ELNS1_11target_archE908ELNS1_3gpuE7ELNS1_3repE0EEENS1_30default_config_static_selectorELNS0_4arch9wavefront6targetE0EEEvT1_, .Lfunc_end31-_ZN7rocprim17ROCPRIM_400000_NS6detail17trampoline_kernelINS0_14default_configENS1_27scan_by_key_config_selectorIxxEEZZNS1_16scan_by_key_implILNS1_25lookback_scan_determinismE0ELb0ES3_N6thrust23THRUST_200600_302600_NS6detail15normal_iteratorINS9_10device_ptrIxEEEESE_SE_xNS9_4plusIvEENS9_8equal_toIvEExEE10hipError_tPvRmT2_T3_T4_T5_mT6_T7_P12ihipStream_tbENKUlT_T0_E_clISt17integral_constantIbLb1EESY_IbLb0EEEEDaSU_SV_EUlSU_E_NS1_11comp_targetILNS1_3genE3ELNS1_11target_archE908ELNS1_3gpuE7ELNS1_3repE0EEENS1_30default_config_static_selectorELNS0_4arch9wavefront6targetE0EEEvT1_
                                        ; -- End function
	.set _ZN7rocprim17ROCPRIM_400000_NS6detail17trampoline_kernelINS0_14default_configENS1_27scan_by_key_config_selectorIxxEEZZNS1_16scan_by_key_implILNS1_25lookback_scan_determinismE0ELb0ES3_N6thrust23THRUST_200600_302600_NS6detail15normal_iteratorINS9_10device_ptrIxEEEESE_SE_xNS9_4plusIvEENS9_8equal_toIvEExEE10hipError_tPvRmT2_T3_T4_T5_mT6_T7_P12ihipStream_tbENKUlT_T0_E_clISt17integral_constantIbLb1EESY_IbLb0EEEEDaSU_SV_EUlSU_E_NS1_11comp_targetILNS1_3genE3ELNS1_11target_archE908ELNS1_3gpuE7ELNS1_3repE0EEENS1_30default_config_static_selectorELNS0_4arch9wavefront6targetE0EEEvT1_.num_vgpr, 0
	.set _ZN7rocprim17ROCPRIM_400000_NS6detail17trampoline_kernelINS0_14default_configENS1_27scan_by_key_config_selectorIxxEEZZNS1_16scan_by_key_implILNS1_25lookback_scan_determinismE0ELb0ES3_N6thrust23THRUST_200600_302600_NS6detail15normal_iteratorINS9_10device_ptrIxEEEESE_SE_xNS9_4plusIvEENS9_8equal_toIvEExEE10hipError_tPvRmT2_T3_T4_T5_mT6_T7_P12ihipStream_tbENKUlT_T0_E_clISt17integral_constantIbLb1EESY_IbLb0EEEEDaSU_SV_EUlSU_E_NS1_11comp_targetILNS1_3genE3ELNS1_11target_archE908ELNS1_3gpuE7ELNS1_3repE0EEENS1_30default_config_static_selectorELNS0_4arch9wavefront6targetE0EEEvT1_.num_agpr, 0
	.set _ZN7rocprim17ROCPRIM_400000_NS6detail17trampoline_kernelINS0_14default_configENS1_27scan_by_key_config_selectorIxxEEZZNS1_16scan_by_key_implILNS1_25lookback_scan_determinismE0ELb0ES3_N6thrust23THRUST_200600_302600_NS6detail15normal_iteratorINS9_10device_ptrIxEEEESE_SE_xNS9_4plusIvEENS9_8equal_toIvEExEE10hipError_tPvRmT2_T3_T4_T5_mT6_T7_P12ihipStream_tbENKUlT_T0_E_clISt17integral_constantIbLb1EESY_IbLb0EEEEDaSU_SV_EUlSU_E_NS1_11comp_targetILNS1_3genE3ELNS1_11target_archE908ELNS1_3gpuE7ELNS1_3repE0EEENS1_30default_config_static_selectorELNS0_4arch9wavefront6targetE0EEEvT1_.numbered_sgpr, 0
	.set _ZN7rocprim17ROCPRIM_400000_NS6detail17trampoline_kernelINS0_14default_configENS1_27scan_by_key_config_selectorIxxEEZZNS1_16scan_by_key_implILNS1_25lookback_scan_determinismE0ELb0ES3_N6thrust23THRUST_200600_302600_NS6detail15normal_iteratorINS9_10device_ptrIxEEEESE_SE_xNS9_4plusIvEENS9_8equal_toIvEExEE10hipError_tPvRmT2_T3_T4_T5_mT6_T7_P12ihipStream_tbENKUlT_T0_E_clISt17integral_constantIbLb1EESY_IbLb0EEEEDaSU_SV_EUlSU_E_NS1_11comp_targetILNS1_3genE3ELNS1_11target_archE908ELNS1_3gpuE7ELNS1_3repE0EEENS1_30default_config_static_selectorELNS0_4arch9wavefront6targetE0EEEvT1_.num_named_barrier, 0
	.set _ZN7rocprim17ROCPRIM_400000_NS6detail17trampoline_kernelINS0_14default_configENS1_27scan_by_key_config_selectorIxxEEZZNS1_16scan_by_key_implILNS1_25lookback_scan_determinismE0ELb0ES3_N6thrust23THRUST_200600_302600_NS6detail15normal_iteratorINS9_10device_ptrIxEEEESE_SE_xNS9_4plusIvEENS9_8equal_toIvEExEE10hipError_tPvRmT2_T3_T4_T5_mT6_T7_P12ihipStream_tbENKUlT_T0_E_clISt17integral_constantIbLb1EESY_IbLb0EEEEDaSU_SV_EUlSU_E_NS1_11comp_targetILNS1_3genE3ELNS1_11target_archE908ELNS1_3gpuE7ELNS1_3repE0EEENS1_30default_config_static_selectorELNS0_4arch9wavefront6targetE0EEEvT1_.private_seg_size, 0
	.set _ZN7rocprim17ROCPRIM_400000_NS6detail17trampoline_kernelINS0_14default_configENS1_27scan_by_key_config_selectorIxxEEZZNS1_16scan_by_key_implILNS1_25lookback_scan_determinismE0ELb0ES3_N6thrust23THRUST_200600_302600_NS6detail15normal_iteratorINS9_10device_ptrIxEEEESE_SE_xNS9_4plusIvEENS9_8equal_toIvEExEE10hipError_tPvRmT2_T3_T4_T5_mT6_T7_P12ihipStream_tbENKUlT_T0_E_clISt17integral_constantIbLb1EESY_IbLb0EEEEDaSU_SV_EUlSU_E_NS1_11comp_targetILNS1_3genE3ELNS1_11target_archE908ELNS1_3gpuE7ELNS1_3repE0EEENS1_30default_config_static_selectorELNS0_4arch9wavefront6targetE0EEEvT1_.uses_vcc, 0
	.set _ZN7rocprim17ROCPRIM_400000_NS6detail17trampoline_kernelINS0_14default_configENS1_27scan_by_key_config_selectorIxxEEZZNS1_16scan_by_key_implILNS1_25lookback_scan_determinismE0ELb0ES3_N6thrust23THRUST_200600_302600_NS6detail15normal_iteratorINS9_10device_ptrIxEEEESE_SE_xNS9_4plusIvEENS9_8equal_toIvEExEE10hipError_tPvRmT2_T3_T4_T5_mT6_T7_P12ihipStream_tbENKUlT_T0_E_clISt17integral_constantIbLb1EESY_IbLb0EEEEDaSU_SV_EUlSU_E_NS1_11comp_targetILNS1_3genE3ELNS1_11target_archE908ELNS1_3gpuE7ELNS1_3repE0EEENS1_30default_config_static_selectorELNS0_4arch9wavefront6targetE0EEEvT1_.uses_flat_scratch, 0
	.set _ZN7rocprim17ROCPRIM_400000_NS6detail17trampoline_kernelINS0_14default_configENS1_27scan_by_key_config_selectorIxxEEZZNS1_16scan_by_key_implILNS1_25lookback_scan_determinismE0ELb0ES3_N6thrust23THRUST_200600_302600_NS6detail15normal_iteratorINS9_10device_ptrIxEEEESE_SE_xNS9_4plusIvEENS9_8equal_toIvEExEE10hipError_tPvRmT2_T3_T4_T5_mT6_T7_P12ihipStream_tbENKUlT_T0_E_clISt17integral_constantIbLb1EESY_IbLb0EEEEDaSU_SV_EUlSU_E_NS1_11comp_targetILNS1_3genE3ELNS1_11target_archE908ELNS1_3gpuE7ELNS1_3repE0EEENS1_30default_config_static_selectorELNS0_4arch9wavefront6targetE0EEEvT1_.has_dyn_sized_stack, 0
	.set _ZN7rocprim17ROCPRIM_400000_NS6detail17trampoline_kernelINS0_14default_configENS1_27scan_by_key_config_selectorIxxEEZZNS1_16scan_by_key_implILNS1_25lookback_scan_determinismE0ELb0ES3_N6thrust23THRUST_200600_302600_NS6detail15normal_iteratorINS9_10device_ptrIxEEEESE_SE_xNS9_4plusIvEENS9_8equal_toIvEExEE10hipError_tPvRmT2_T3_T4_T5_mT6_T7_P12ihipStream_tbENKUlT_T0_E_clISt17integral_constantIbLb1EESY_IbLb0EEEEDaSU_SV_EUlSU_E_NS1_11comp_targetILNS1_3genE3ELNS1_11target_archE908ELNS1_3gpuE7ELNS1_3repE0EEENS1_30default_config_static_selectorELNS0_4arch9wavefront6targetE0EEEvT1_.has_recursion, 0
	.set _ZN7rocprim17ROCPRIM_400000_NS6detail17trampoline_kernelINS0_14default_configENS1_27scan_by_key_config_selectorIxxEEZZNS1_16scan_by_key_implILNS1_25lookback_scan_determinismE0ELb0ES3_N6thrust23THRUST_200600_302600_NS6detail15normal_iteratorINS9_10device_ptrIxEEEESE_SE_xNS9_4plusIvEENS9_8equal_toIvEExEE10hipError_tPvRmT2_T3_T4_T5_mT6_T7_P12ihipStream_tbENKUlT_T0_E_clISt17integral_constantIbLb1EESY_IbLb0EEEEDaSU_SV_EUlSU_E_NS1_11comp_targetILNS1_3genE3ELNS1_11target_archE908ELNS1_3gpuE7ELNS1_3repE0EEENS1_30default_config_static_selectorELNS0_4arch9wavefront6targetE0EEEvT1_.has_indirect_call, 0
	.section	.AMDGPU.csdata,"",@progbits
; Kernel info:
; codeLenInByte = 0
; TotalNumSgprs: 0
; NumVgprs: 0
; ScratchSize: 0
; MemoryBound: 0
; FloatMode: 240
; IeeeMode: 1
; LDSByteSize: 0 bytes/workgroup (compile time only)
; SGPRBlocks: 0
; VGPRBlocks: 0
; NumSGPRsForWavesPerEU: 1
; NumVGPRsForWavesPerEU: 1
; Occupancy: 16
; WaveLimiterHint : 0
; COMPUTE_PGM_RSRC2:SCRATCH_EN: 0
; COMPUTE_PGM_RSRC2:USER_SGPR: 6
; COMPUTE_PGM_RSRC2:TRAP_HANDLER: 0
; COMPUTE_PGM_RSRC2:TGID_X_EN: 1
; COMPUTE_PGM_RSRC2:TGID_Y_EN: 0
; COMPUTE_PGM_RSRC2:TGID_Z_EN: 0
; COMPUTE_PGM_RSRC2:TIDIG_COMP_CNT: 0
	.section	.text._ZN7rocprim17ROCPRIM_400000_NS6detail17trampoline_kernelINS0_14default_configENS1_27scan_by_key_config_selectorIxxEEZZNS1_16scan_by_key_implILNS1_25lookback_scan_determinismE0ELb0ES3_N6thrust23THRUST_200600_302600_NS6detail15normal_iteratorINS9_10device_ptrIxEEEESE_SE_xNS9_4plusIvEENS9_8equal_toIvEExEE10hipError_tPvRmT2_T3_T4_T5_mT6_T7_P12ihipStream_tbENKUlT_T0_E_clISt17integral_constantIbLb1EESY_IbLb0EEEEDaSU_SV_EUlSU_E_NS1_11comp_targetILNS1_3genE2ELNS1_11target_archE906ELNS1_3gpuE6ELNS1_3repE0EEENS1_30default_config_static_selectorELNS0_4arch9wavefront6targetE0EEEvT1_,"axG",@progbits,_ZN7rocprim17ROCPRIM_400000_NS6detail17trampoline_kernelINS0_14default_configENS1_27scan_by_key_config_selectorIxxEEZZNS1_16scan_by_key_implILNS1_25lookback_scan_determinismE0ELb0ES3_N6thrust23THRUST_200600_302600_NS6detail15normal_iteratorINS9_10device_ptrIxEEEESE_SE_xNS9_4plusIvEENS9_8equal_toIvEExEE10hipError_tPvRmT2_T3_T4_T5_mT6_T7_P12ihipStream_tbENKUlT_T0_E_clISt17integral_constantIbLb1EESY_IbLb0EEEEDaSU_SV_EUlSU_E_NS1_11comp_targetILNS1_3genE2ELNS1_11target_archE906ELNS1_3gpuE6ELNS1_3repE0EEENS1_30default_config_static_selectorELNS0_4arch9wavefront6targetE0EEEvT1_,comdat
	.protected	_ZN7rocprim17ROCPRIM_400000_NS6detail17trampoline_kernelINS0_14default_configENS1_27scan_by_key_config_selectorIxxEEZZNS1_16scan_by_key_implILNS1_25lookback_scan_determinismE0ELb0ES3_N6thrust23THRUST_200600_302600_NS6detail15normal_iteratorINS9_10device_ptrIxEEEESE_SE_xNS9_4plusIvEENS9_8equal_toIvEExEE10hipError_tPvRmT2_T3_T4_T5_mT6_T7_P12ihipStream_tbENKUlT_T0_E_clISt17integral_constantIbLb1EESY_IbLb0EEEEDaSU_SV_EUlSU_E_NS1_11comp_targetILNS1_3genE2ELNS1_11target_archE906ELNS1_3gpuE6ELNS1_3repE0EEENS1_30default_config_static_selectorELNS0_4arch9wavefront6targetE0EEEvT1_ ; -- Begin function _ZN7rocprim17ROCPRIM_400000_NS6detail17trampoline_kernelINS0_14default_configENS1_27scan_by_key_config_selectorIxxEEZZNS1_16scan_by_key_implILNS1_25lookback_scan_determinismE0ELb0ES3_N6thrust23THRUST_200600_302600_NS6detail15normal_iteratorINS9_10device_ptrIxEEEESE_SE_xNS9_4plusIvEENS9_8equal_toIvEExEE10hipError_tPvRmT2_T3_T4_T5_mT6_T7_P12ihipStream_tbENKUlT_T0_E_clISt17integral_constantIbLb1EESY_IbLb0EEEEDaSU_SV_EUlSU_E_NS1_11comp_targetILNS1_3genE2ELNS1_11target_archE906ELNS1_3gpuE6ELNS1_3repE0EEENS1_30default_config_static_selectorELNS0_4arch9wavefront6targetE0EEEvT1_
	.globl	_ZN7rocprim17ROCPRIM_400000_NS6detail17trampoline_kernelINS0_14default_configENS1_27scan_by_key_config_selectorIxxEEZZNS1_16scan_by_key_implILNS1_25lookback_scan_determinismE0ELb0ES3_N6thrust23THRUST_200600_302600_NS6detail15normal_iteratorINS9_10device_ptrIxEEEESE_SE_xNS9_4plusIvEENS9_8equal_toIvEExEE10hipError_tPvRmT2_T3_T4_T5_mT6_T7_P12ihipStream_tbENKUlT_T0_E_clISt17integral_constantIbLb1EESY_IbLb0EEEEDaSU_SV_EUlSU_E_NS1_11comp_targetILNS1_3genE2ELNS1_11target_archE906ELNS1_3gpuE6ELNS1_3repE0EEENS1_30default_config_static_selectorELNS0_4arch9wavefront6targetE0EEEvT1_
	.p2align	8
	.type	_ZN7rocprim17ROCPRIM_400000_NS6detail17trampoline_kernelINS0_14default_configENS1_27scan_by_key_config_selectorIxxEEZZNS1_16scan_by_key_implILNS1_25lookback_scan_determinismE0ELb0ES3_N6thrust23THRUST_200600_302600_NS6detail15normal_iteratorINS9_10device_ptrIxEEEESE_SE_xNS9_4plusIvEENS9_8equal_toIvEExEE10hipError_tPvRmT2_T3_T4_T5_mT6_T7_P12ihipStream_tbENKUlT_T0_E_clISt17integral_constantIbLb1EESY_IbLb0EEEEDaSU_SV_EUlSU_E_NS1_11comp_targetILNS1_3genE2ELNS1_11target_archE906ELNS1_3gpuE6ELNS1_3repE0EEENS1_30default_config_static_selectorELNS0_4arch9wavefront6targetE0EEEvT1_,@function
_ZN7rocprim17ROCPRIM_400000_NS6detail17trampoline_kernelINS0_14default_configENS1_27scan_by_key_config_selectorIxxEEZZNS1_16scan_by_key_implILNS1_25lookback_scan_determinismE0ELb0ES3_N6thrust23THRUST_200600_302600_NS6detail15normal_iteratorINS9_10device_ptrIxEEEESE_SE_xNS9_4plusIvEENS9_8equal_toIvEExEE10hipError_tPvRmT2_T3_T4_T5_mT6_T7_P12ihipStream_tbENKUlT_T0_E_clISt17integral_constantIbLb1EESY_IbLb0EEEEDaSU_SV_EUlSU_E_NS1_11comp_targetILNS1_3genE2ELNS1_11target_archE906ELNS1_3gpuE6ELNS1_3repE0EEENS1_30default_config_static_selectorELNS0_4arch9wavefront6targetE0EEEvT1_: ; @_ZN7rocprim17ROCPRIM_400000_NS6detail17trampoline_kernelINS0_14default_configENS1_27scan_by_key_config_selectorIxxEEZZNS1_16scan_by_key_implILNS1_25lookback_scan_determinismE0ELb0ES3_N6thrust23THRUST_200600_302600_NS6detail15normal_iteratorINS9_10device_ptrIxEEEESE_SE_xNS9_4plusIvEENS9_8equal_toIvEExEE10hipError_tPvRmT2_T3_T4_T5_mT6_T7_P12ihipStream_tbENKUlT_T0_E_clISt17integral_constantIbLb1EESY_IbLb0EEEEDaSU_SV_EUlSU_E_NS1_11comp_targetILNS1_3genE2ELNS1_11target_archE906ELNS1_3gpuE6ELNS1_3repE0EEENS1_30default_config_static_selectorELNS0_4arch9wavefront6targetE0EEEvT1_
; %bb.0:
	.section	.rodata,"a",@progbits
	.p2align	6, 0x0
	.amdhsa_kernel _ZN7rocprim17ROCPRIM_400000_NS6detail17trampoline_kernelINS0_14default_configENS1_27scan_by_key_config_selectorIxxEEZZNS1_16scan_by_key_implILNS1_25lookback_scan_determinismE0ELb0ES3_N6thrust23THRUST_200600_302600_NS6detail15normal_iteratorINS9_10device_ptrIxEEEESE_SE_xNS9_4plusIvEENS9_8equal_toIvEExEE10hipError_tPvRmT2_T3_T4_T5_mT6_T7_P12ihipStream_tbENKUlT_T0_E_clISt17integral_constantIbLb1EESY_IbLb0EEEEDaSU_SV_EUlSU_E_NS1_11comp_targetILNS1_3genE2ELNS1_11target_archE906ELNS1_3gpuE6ELNS1_3repE0EEENS1_30default_config_static_selectorELNS0_4arch9wavefront6targetE0EEEvT1_
		.amdhsa_group_segment_fixed_size 0
		.amdhsa_private_segment_fixed_size 0
		.amdhsa_kernarg_size 136
		.amdhsa_user_sgpr_count 6
		.amdhsa_user_sgpr_private_segment_buffer 1
		.amdhsa_user_sgpr_dispatch_ptr 0
		.amdhsa_user_sgpr_queue_ptr 0
		.amdhsa_user_sgpr_kernarg_segment_ptr 1
		.amdhsa_user_sgpr_dispatch_id 0
		.amdhsa_user_sgpr_flat_scratch_init 0
		.amdhsa_user_sgpr_private_segment_size 0
		.amdhsa_wavefront_size32 1
		.amdhsa_uses_dynamic_stack 0
		.amdhsa_system_sgpr_private_segment_wavefront_offset 0
		.amdhsa_system_sgpr_workgroup_id_x 1
		.amdhsa_system_sgpr_workgroup_id_y 0
		.amdhsa_system_sgpr_workgroup_id_z 0
		.amdhsa_system_sgpr_workgroup_info 0
		.amdhsa_system_vgpr_workitem_id 0
		.amdhsa_next_free_vgpr 1
		.amdhsa_next_free_sgpr 1
		.amdhsa_reserve_vcc 0
		.amdhsa_reserve_flat_scratch 0
		.amdhsa_float_round_mode_32 0
		.amdhsa_float_round_mode_16_64 0
		.amdhsa_float_denorm_mode_32 3
		.amdhsa_float_denorm_mode_16_64 3
		.amdhsa_dx10_clamp 1
		.amdhsa_ieee_mode 1
		.amdhsa_fp16_overflow 0
		.amdhsa_workgroup_processor_mode 1
		.amdhsa_memory_ordered 1
		.amdhsa_forward_progress 1
		.amdhsa_shared_vgpr_count 0
		.amdhsa_exception_fp_ieee_invalid_op 0
		.amdhsa_exception_fp_denorm_src 0
		.amdhsa_exception_fp_ieee_div_zero 0
		.amdhsa_exception_fp_ieee_overflow 0
		.amdhsa_exception_fp_ieee_underflow 0
		.amdhsa_exception_fp_ieee_inexact 0
		.amdhsa_exception_int_div_zero 0
	.end_amdhsa_kernel
	.section	.text._ZN7rocprim17ROCPRIM_400000_NS6detail17trampoline_kernelINS0_14default_configENS1_27scan_by_key_config_selectorIxxEEZZNS1_16scan_by_key_implILNS1_25lookback_scan_determinismE0ELb0ES3_N6thrust23THRUST_200600_302600_NS6detail15normal_iteratorINS9_10device_ptrIxEEEESE_SE_xNS9_4plusIvEENS9_8equal_toIvEExEE10hipError_tPvRmT2_T3_T4_T5_mT6_T7_P12ihipStream_tbENKUlT_T0_E_clISt17integral_constantIbLb1EESY_IbLb0EEEEDaSU_SV_EUlSU_E_NS1_11comp_targetILNS1_3genE2ELNS1_11target_archE906ELNS1_3gpuE6ELNS1_3repE0EEENS1_30default_config_static_selectorELNS0_4arch9wavefront6targetE0EEEvT1_,"axG",@progbits,_ZN7rocprim17ROCPRIM_400000_NS6detail17trampoline_kernelINS0_14default_configENS1_27scan_by_key_config_selectorIxxEEZZNS1_16scan_by_key_implILNS1_25lookback_scan_determinismE0ELb0ES3_N6thrust23THRUST_200600_302600_NS6detail15normal_iteratorINS9_10device_ptrIxEEEESE_SE_xNS9_4plusIvEENS9_8equal_toIvEExEE10hipError_tPvRmT2_T3_T4_T5_mT6_T7_P12ihipStream_tbENKUlT_T0_E_clISt17integral_constantIbLb1EESY_IbLb0EEEEDaSU_SV_EUlSU_E_NS1_11comp_targetILNS1_3genE2ELNS1_11target_archE906ELNS1_3gpuE6ELNS1_3repE0EEENS1_30default_config_static_selectorELNS0_4arch9wavefront6targetE0EEEvT1_,comdat
.Lfunc_end32:
	.size	_ZN7rocprim17ROCPRIM_400000_NS6detail17trampoline_kernelINS0_14default_configENS1_27scan_by_key_config_selectorIxxEEZZNS1_16scan_by_key_implILNS1_25lookback_scan_determinismE0ELb0ES3_N6thrust23THRUST_200600_302600_NS6detail15normal_iteratorINS9_10device_ptrIxEEEESE_SE_xNS9_4plusIvEENS9_8equal_toIvEExEE10hipError_tPvRmT2_T3_T4_T5_mT6_T7_P12ihipStream_tbENKUlT_T0_E_clISt17integral_constantIbLb1EESY_IbLb0EEEEDaSU_SV_EUlSU_E_NS1_11comp_targetILNS1_3genE2ELNS1_11target_archE906ELNS1_3gpuE6ELNS1_3repE0EEENS1_30default_config_static_selectorELNS0_4arch9wavefront6targetE0EEEvT1_, .Lfunc_end32-_ZN7rocprim17ROCPRIM_400000_NS6detail17trampoline_kernelINS0_14default_configENS1_27scan_by_key_config_selectorIxxEEZZNS1_16scan_by_key_implILNS1_25lookback_scan_determinismE0ELb0ES3_N6thrust23THRUST_200600_302600_NS6detail15normal_iteratorINS9_10device_ptrIxEEEESE_SE_xNS9_4plusIvEENS9_8equal_toIvEExEE10hipError_tPvRmT2_T3_T4_T5_mT6_T7_P12ihipStream_tbENKUlT_T0_E_clISt17integral_constantIbLb1EESY_IbLb0EEEEDaSU_SV_EUlSU_E_NS1_11comp_targetILNS1_3genE2ELNS1_11target_archE906ELNS1_3gpuE6ELNS1_3repE0EEENS1_30default_config_static_selectorELNS0_4arch9wavefront6targetE0EEEvT1_
                                        ; -- End function
	.set _ZN7rocprim17ROCPRIM_400000_NS6detail17trampoline_kernelINS0_14default_configENS1_27scan_by_key_config_selectorIxxEEZZNS1_16scan_by_key_implILNS1_25lookback_scan_determinismE0ELb0ES3_N6thrust23THRUST_200600_302600_NS6detail15normal_iteratorINS9_10device_ptrIxEEEESE_SE_xNS9_4plusIvEENS9_8equal_toIvEExEE10hipError_tPvRmT2_T3_T4_T5_mT6_T7_P12ihipStream_tbENKUlT_T0_E_clISt17integral_constantIbLb1EESY_IbLb0EEEEDaSU_SV_EUlSU_E_NS1_11comp_targetILNS1_3genE2ELNS1_11target_archE906ELNS1_3gpuE6ELNS1_3repE0EEENS1_30default_config_static_selectorELNS0_4arch9wavefront6targetE0EEEvT1_.num_vgpr, 0
	.set _ZN7rocprim17ROCPRIM_400000_NS6detail17trampoline_kernelINS0_14default_configENS1_27scan_by_key_config_selectorIxxEEZZNS1_16scan_by_key_implILNS1_25lookback_scan_determinismE0ELb0ES3_N6thrust23THRUST_200600_302600_NS6detail15normal_iteratorINS9_10device_ptrIxEEEESE_SE_xNS9_4plusIvEENS9_8equal_toIvEExEE10hipError_tPvRmT2_T3_T4_T5_mT6_T7_P12ihipStream_tbENKUlT_T0_E_clISt17integral_constantIbLb1EESY_IbLb0EEEEDaSU_SV_EUlSU_E_NS1_11comp_targetILNS1_3genE2ELNS1_11target_archE906ELNS1_3gpuE6ELNS1_3repE0EEENS1_30default_config_static_selectorELNS0_4arch9wavefront6targetE0EEEvT1_.num_agpr, 0
	.set _ZN7rocprim17ROCPRIM_400000_NS6detail17trampoline_kernelINS0_14default_configENS1_27scan_by_key_config_selectorIxxEEZZNS1_16scan_by_key_implILNS1_25lookback_scan_determinismE0ELb0ES3_N6thrust23THRUST_200600_302600_NS6detail15normal_iteratorINS9_10device_ptrIxEEEESE_SE_xNS9_4plusIvEENS9_8equal_toIvEExEE10hipError_tPvRmT2_T3_T4_T5_mT6_T7_P12ihipStream_tbENKUlT_T0_E_clISt17integral_constantIbLb1EESY_IbLb0EEEEDaSU_SV_EUlSU_E_NS1_11comp_targetILNS1_3genE2ELNS1_11target_archE906ELNS1_3gpuE6ELNS1_3repE0EEENS1_30default_config_static_selectorELNS0_4arch9wavefront6targetE0EEEvT1_.numbered_sgpr, 0
	.set _ZN7rocprim17ROCPRIM_400000_NS6detail17trampoline_kernelINS0_14default_configENS1_27scan_by_key_config_selectorIxxEEZZNS1_16scan_by_key_implILNS1_25lookback_scan_determinismE0ELb0ES3_N6thrust23THRUST_200600_302600_NS6detail15normal_iteratorINS9_10device_ptrIxEEEESE_SE_xNS9_4plusIvEENS9_8equal_toIvEExEE10hipError_tPvRmT2_T3_T4_T5_mT6_T7_P12ihipStream_tbENKUlT_T0_E_clISt17integral_constantIbLb1EESY_IbLb0EEEEDaSU_SV_EUlSU_E_NS1_11comp_targetILNS1_3genE2ELNS1_11target_archE906ELNS1_3gpuE6ELNS1_3repE0EEENS1_30default_config_static_selectorELNS0_4arch9wavefront6targetE0EEEvT1_.num_named_barrier, 0
	.set _ZN7rocprim17ROCPRIM_400000_NS6detail17trampoline_kernelINS0_14default_configENS1_27scan_by_key_config_selectorIxxEEZZNS1_16scan_by_key_implILNS1_25lookback_scan_determinismE0ELb0ES3_N6thrust23THRUST_200600_302600_NS6detail15normal_iteratorINS9_10device_ptrIxEEEESE_SE_xNS9_4plusIvEENS9_8equal_toIvEExEE10hipError_tPvRmT2_T3_T4_T5_mT6_T7_P12ihipStream_tbENKUlT_T0_E_clISt17integral_constantIbLb1EESY_IbLb0EEEEDaSU_SV_EUlSU_E_NS1_11comp_targetILNS1_3genE2ELNS1_11target_archE906ELNS1_3gpuE6ELNS1_3repE0EEENS1_30default_config_static_selectorELNS0_4arch9wavefront6targetE0EEEvT1_.private_seg_size, 0
	.set _ZN7rocprim17ROCPRIM_400000_NS6detail17trampoline_kernelINS0_14default_configENS1_27scan_by_key_config_selectorIxxEEZZNS1_16scan_by_key_implILNS1_25lookback_scan_determinismE0ELb0ES3_N6thrust23THRUST_200600_302600_NS6detail15normal_iteratorINS9_10device_ptrIxEEEESE_SE_xNS9_4plusIvEENS9_8equal_toIvEExEE10hipError_tPvRmT2_T3_T4_T5_mT6_T7_P12ihipStream_tbENKUlT_T0_E_clISt17integral_constantIbLb1EESY_IbLb0EEEEDaSU_SV_EUlSU_E_NS1_11comp_targetILNS1_3genE2ELNS1_11target_archE906ELNS1_3gpuE6ELNS1_3repE0EEENS1_30default_config_static_selectorELNS0_4arch9wavefront6targetE0EEEvT1_.uses_vcc, 0
	.set _ZN7rocprim17ROCPRIM_400000_NS6detail17trampoline_kernelINS0_14default_configENS1_27scan_by_key_config_selectorIxxEEZZNS1_16scan_by_key_implILNS1_25lookback_scan_determinismE0ELb0ES3_N6thrust23THRUST_200600_302600_NS6detail15normal_iteratorINS9_10device_ptrIxEEEESE_SE_xNS9_4plusIvEENS9_8equal_toIvEExEE10hipError_tPvRmT2_T3_T4_T5_mT6_T7_P12ihipStream_tbENKUlT_T0_E_clISt17integral_constantIbLb1EESY_IbLb0EEEEDaSU_SV_EUlSU_E_NS1_11comp_targetILNS1_3genE2ELNS1_11target_archE906ELNS1_3gpuE6ELNS1_3repE0EEENS1_30default_config_static_selectorELNS0_4arch9wavefront6targetE0EEEvT1_.uses_flat_scratch, 0
	.set _ZN7rocprim17ROCPRIM_400000_NS6detail17trampoline_kernelINS0_14default_configENS1_27scan_by_key_config_selectorIxxEEZZNS1_16scan_by_key_implILNS1_25lookback_scan_determinismE0ELb0ES3_N6thrust23THRUST_200600_302600_NS6detail15normal_iteratorINS9_10device_ptrIxEEEESE_SE_xNS9_4plusIvEENS9_8equal_toIvEExEE10hipError_tPvRmT2_T3_T4_T5_mT6_T7_P12ihipStream_tbENKUlT_T0_E_clISt17integral_constantIbLb1EESY_IbLb0EEEEDaSU_SV_EUlSU_E_NS1_11comp_targetILNS1_3genE2ELNS1_11target_archE906ELNS1_3gpuE6ELNS1_3repE0EEENS1_30default_config_static_selectorELNS0_4arch9wavefront6targetE0EEEvT1_.has_dyn_sized_stack, 0
	.set _ZN7rocprim17ROCPRIM_400000_NS6detail17trampoline_kernelINS0_14default_configENS1_27scan_by_key_config_selectorIxxEEZZNS1_16scan_by_key_implILNS1_25lookback_scan_determinismE0ELb0ES3_N6thrust23THRUST_200600_302600_NS6detail15normal_iteratorINS9_10device_ptrIxEEEESE_SE_xNS9_4plusIvEENS9_8equal_toIvEExEE10hipError_tPvRmT2_T3_T4_T5_mT6_T7_P12ihipStream_tbENKUlT_T0_E_clISt17integral_constantIbLb1EESY_IbLb0EEEEDaSU_SV_EUlSU_E_NS1_11comp_targetILNS1_3genE2ELNS1_11target_archE906ELNS1_3gpuE6ELNS1_3repE0EEENS1_30default_config_static_selectorELNS0_4arch9wavefront6targetE0EEEvT1_.has_recursion, 0
	.set _ZN7rocprim17ROCPRIM_400000_NS6detail17trampoline_kernelINS0_14default_configENS1_27scan_by_key_config_selectorIxxEEZZNS1_16scan_by_key_implILNS1_25lookback_scan_determinismE0ELb0ES3_N6thrust23THRUST_200600_302600_NS6detail15normal_iteratorINS9_10device_ptrIxEEEESE_SE_xNS9_4plusIvEENS9_8equal_toIvEExEE10hipError_tPvRmT2_T3_T4_T5_mT6_T7_P12ihipStream_tbENKUlT_T0_E_clISt17integral_constantIbLb1EESY_IbLb0EEEEDaSU_SV_EUlSU_E_NS1_11comp_targetILNS1_3genE2ELNS1_11target_archE906ELNS1_3gpuE6ELNS1_3repE0EEENS1_30default_config_static_selectorELNS0_4arch9wavefront6targetE0EEEvT1_.has_indirect_call, 0
	.section	.AMDGPU.csdata,"",@progbits
; Kernel info:
; codeLenInByte = 0
; TotalNumSgprs: 0
; NumVgprs: 0
; ScratchSize: 0
; MemoryBound: 0
; FloatMode: 240
; IeeeMode: 1
; LDSByteSize: 0 bytes/workgroup (compile time only)
; SGPRBlocks: 0
; VGPRBlocks: 0
; NumSGPRsForWavesPerEU: 1
; NumVGPRsForWavesPerEU: 1
; Occupancy: 16
; WaveLimiterHint : 0
; COMPUTE_PGM_RSRC2:SCRATCH_EN: 0
; COMPUTE_PGM_RSRC2:USER_SGPR: 6
; COMPUTE_PGM_RSRC2:TRAP_HANDLER: 0
; COMPUTE_PGM_RSRC2:TGID_X_EN: 1
; COMPUTE_PGM_RSRC2:TGID_Y_EN: 0
; COMPUTE_PGM_RSRC2:TGID_Z_EN: 0
; COMPUTE_PGM_RSRC2:TIDIG_COMP_CNT: 0
	.section	.text._ZN7rocprim17ROCPRIM_400000_NS6detail17trampoline_kernelINS0_14default_configENS1_27scan_by_key_config_selectorIxxEEZZNS1_16scan_by_key_implILNS1_25lookback_scan_determinismE0ELb0ES3_N6thrust23THRUST_200600_302600_NS6detail15normal_iteratorINS9_10device_ptrIxEEEESE_SE_xNS9_4plusIvEENS9_8equal_toIvEExEE10hipError_tPvRmT2_T3_T4_T5_mT6_T7_P12ihipStream_tbENKUlT_T0_E_clISt17integral_constantIbLb1EESY_IbLb0EEEEDaSU_SV_EUlSU_E_NS1_11comp_targetILNS1_3genE10ELNS1_11target_archE1200ELNS1_3gpuE4ELNS1_3repE0EEENS1_30default_config_static_selectorELNS0_4arch9wavefront6targetE0EEEvT1_,"axG",@progbits,_ZN7rocprim17ROCPRIM_400000_NS6detail17trampoline_kernelINS0_14default_configENS1_27scan_by_key_config_selectorIxxEEZZNS1_16scan_by_key_implILNS1_25lookback_scan_determinismE0ELb0ES3_N6thrust23THRUST_200600_302600_NS6detail15normal_iteratorINS9_10device_ptrIxEEEESE_SE_xNS9_4plusIvEENS9_8equal_toIvEExEE10hipError_tPvRmT2_T3_T4_T5_mT6_T7_P12ihipStream_tbENKUlT_T0_E_clISt17integral_constantIbLb1EESY_IbLb0EEEEDaSU_SV_EUlSU_E_NS1_11comp_targetILNS1_3genE10ELNS1_11target_archE1200ELNS1_3gpuE4ELNS1_3repE0EEENS1_30default_config_static_selectorELNS0_4arch9wavefront6targetE0EEEvT1_,comdat
	.protected	_ZN7rocprim17ROCPRIM_400000_NS6detail17trampoline_kernelINS0_14default_configENS1_27scan_by_key_config_selectorIxxEEZZNS1_16scan_by_key_implILNS1_25lookback_scan_determinismE0ELb0ES3_N6thrust23THRUST_200600_302600_NS6detail15normal_iteratorINS9_10device_ptrIxEEEESE_SE_xNS9_4plusIvEENS9_8equal_toIvEExEE10hipError_tPvRmT2_T3_T4_T5_mT6_T7_P12ihipStream_tbENKUlT_T0_E_clISt17integral_constantIbLb1EESY_IbLb0EEEEDaSU_SV_EUlSU_E_NS1_11comp_targetILNS1_3genE10ELNS1_11target_archE1200ELNS1_3gpuE4ELNS1_3repE0EEENS1_30default_config_static_selectorELNS0_4arch9wavefront6targetE0EEEvT1_ ; -- Begin function _ZN7rocprim17ROCPRIM_400000_NS6detail17trampoline_kernelINS0_14default_configENS1_27scan_by_key_config_selectorIxxEEZZNS1_16scan_by_key_implILNS1_25lookback_scan_determinismE0ELb0ES3_N6thrust23THRUST_200600_302600_NS6detail15normal_iteratorINS9_10device_ptrIxEEEESE_SE_xNS9_4plusIvEENS9_8equal_toIvEExEE10hipError_tPvRmT2_T3_T4_T5_mT6_T7_P12ihipStream_tbENKUlT_T0_E_clISt17integral_constantIbLb1EESY_IbLb0EEEEDaSU_SV_EUlSU_E_NS1_11comp_targetILNS1_3genE10ELNS1_11target_archE1200ELNS1_3gpuE4ELNS1_3repE0EEENS1_30default_config_static_selectorELNS0_4arch9wavefront6targetE0EEEvT1_
	.globl	_ZN7rocprim17ROCPRIM_400000_NS6detail17trampoline_kernelINS0_14default_configENS1_27scan_by_key_config_selectorIxxEEZZNS1_16scan_by_key_implILNS1_25lookback_scan_determinismE0ELb0ES3_N6thrust23THRUST_200600_302600_NS6detail15normal_iteratorINS9_10device_ptrIxEEEESE_SE_xNS9_4plusIvEENS9_8equal_toIvEExEE10hipError_tPvRmT2_T3_T4_T5_mT6_T7_P12ihipStream_tbENKUlT_T0_E_clISt17integral_constantIbLb1EESY_IbLb0EEEEDaSU_SV_EUlSU_E_NS1_11comp_targetILNS1_3genE10ELNS1_11target_archE1200ELNS1_3gpuE4ELNS1_3repE0EEENS1_30default_config_static_selectorELNS0_4arch9wavefront6targetE0EEEvT1_
	.p2align	8
	.type	_ZN7rocprim17ROCPRIM_400000_NS6detail17trampoline_kernelINS0_14default_configENS1_27scan_by_key_config_selectorIxxEEZZNS1_16scan_by_key_implILNS1_25lookback_scan_determinismE0ELb0ES3_N6thrust23THRUST_200600_302600_NS6detail15normal_iteratorINS9_10device_ptrIxEEEESE_SE_xNS9_4plusIvEENS9_8equal_toIvEExEE10hipError_tPvRmT2_T3_T4_T5_mT6_T7_P12ihipStream_tbENKUlT_T0_E_clISt17integral_constantIbLb1EESY_IbLb0EEEEDaSU_SV_EUlSU_E_NS1_11comp_targetILNS1_3genE10ELNS1_11target_archE1200ELNS1_3gpuE4ELNS1_3repE0EEENS1_30default_config_static_selectorELNS0_4arch9wavefront6targetE0EEEvT1_,@function
_ZN7rocprim17ROCPRIM_400000_NS6detail17trampoline_kernelINS0_14default_configENS1_27scan_by_key_config_selectorIxxEEZZNS1_16scan_by_key_implILNS1_25lookback_scan_determinismE0ELb0ES3_N6thrust23THRUST_200600_302600_NS6detail15normal_iteratorINS9_10device_ptrIxEEEESE_SE_xNS9_4plusIvEENS9_8equal_toIvEExEE10hipError_tPvRmT2_T3_T4_T5_mT6_T7_P12ihipStream_tbENKUlT_T0_E_clISt17integral_constantIbLb1EESY_IbLb0EEEEDaSU_SV_EUlSU_E_NS1_11comp_targetILNS1_3genE10ELNS1_11target_archE1200ELNS1_3gpuE4ELNS1_3repE0EEENS1_30default_config_static_selectorELNS0_4arch9wavefront6targetE0EEEvT1_: ; @_ZN7rocprim17ROCPRIM_400000_NS6detail17trampoline_kernelINS0_14default_configENS1_27scan_by_key_config_selectorIxxEEZZNS1_16scan_by_key_implILNS1_25lookback_scan_determinismE0ELb0ES3_N6thrust23THRUST_200600_302600_NS6detail15normal_iteratorINS9_10device_ptrIxEEEESE_SE_xNS9_4plusIvEENS9_8equal_toIvEExEE10hipError_tPvRmT2_T3_T4_T5_mT6_T7_P12ihipStream_tbENKUlT_T0_E_clISt17integral_constantIbLb1EESY_IbLb0EEEEDaSU_SV_EUlSU_E_NS1_11comp_targetILNS1_3genE10ELNS1_11target_archE1200ELNS1_3gpuE4ELNS1_3repE0EEENS1_30default_config_static_selectorELNS0_4arch9wavefront6targetE0EEEvT1_
; %bb.0:
	.section	.rodata,"a",@progbits
	.p2align	6, 0x0
	.amdhsa_kernel _ZN7rocprim17ROCPRIM_400000_NS6detail17trampoline_kernelINS0_14default_configENS1_27scan_by_key_config_selectorIxxEEZZNS1_16scan_by_key_implILNS1_25lookback_scan_determinismE0ELb0ES3_N6thrust23THRUST_200600_302600_NS6detail15normal_iteratorINS9_10device_ptrIxEEEESE_SE_xNS9_4plusIvEENS9_8equal_toIvEExEE10hipError_tPvRmT2_T3_T4_T5_mT6_T7_P12ihipStream_tbENKUlT_T0_E_clISt17integral_constantIbLb1EESY_IbLb0EEEEDaSU_SV_EUlSU_E_NS1_11comp_targetILNS1_3genE10ELNS1_11target_archE1200ELNS1_3gpuE4ELNS1_3repE0EEENS1_30default_config_static_selectorELNS0_4arch9wavefront6targetE0EEEvT1_
		.amdhsa_group_segment_fixed_size 0
		.amdhsa_private_segment_fixed_size 0
		.amdhsa_kernarg_size 136
		.amdhsa_user_sgpr_count 6
		.amdhsa_user_sgpr_private_segment_buffer 1
		.amdhsa_user_sgpr_dispatch_ptr 0
		.amdhsa_user_sgpr_queue_ptr 0
		.amdhsa_user_sgpr_kernarg_segment_ptr 1
		.amdhsa_user_sgpr_dispatch_id 0
		.amdhsa_user_sgpr_flat_scratch_init 0
		.amdhsa_user_sgpr_private_segment_size 0
		.amdhsa_wavefront_size32 1
		.amdhsa_uses_dynamic_stack 0
		.amdhsa_system_sgpr_private_segment_wavefront_offset 0
		.amdhsa_system_sgpr_workgroup_id_x 1
		.amdhsa_system_sgpr_workgroup_id_y 0
		.amdhsa_system_sgpr_workgroup_id_z 0
		.amdhsa_system_sgpr_workgroup_info 0
		.amdhsa_system_vgpr_workitem_id 0
		.amdhsa_next_free_vgpr 1
		.amdhsa_next_free_sgpr 1
		.amdhsa_reserve_vcc 0
		.amdhsa_reserve_flat_scratch 0
		.amdhsa_float_round_mode_32 0
		.amdhsa_float_round_mode_16_64 0
		.amdhsa_float_denorm_mode_32 3
		.amdhsa_float_denorm_mode_16_64 3
		.amdhsa_dx10_clamp 1
		.amdhsa_ieee_mode 1
		.amdhsa_fp16_overflow 0
		.amdhsa_workgroup_processor_mode 1
		.amdhsa_memory_ordered 1
		.amdhsa_forward_progress 1
		.amdhsa_shared_vgpr_count 0
		.amdhsa_exception_fp_ieee_invalid_op 0
		.amdhsa_exception_fp_denorm_src 0
		.amdhsa_exception_fp_ieee_div_zero 0
		.amdhsa_exception_fp_ieee_overflow 0
		.amdhsa_exception_fp_ieee_underflow 0
		.amdhsa_exception_fp_ieee_inexact 0
		.amdhsa_exception_int_div_zero 0
	.end_amdhsa_kernel
	.section	.text._ZN7rocprim17ROCPRIM_400000_NS6detail17trampoline_kernelINS0_14default_configENS1_27scan_by_key_config_selectorIxxEEZZNS1_16scan_by_key_implILNS1_25lookback_scan_determinismE0ELb0ES3_N6thrust23THRUST_200600_302600_NS6detail15normal_iteratorINS9_10device_ptrIxEEEESE_SE_xNS9_4plusIvEENS9_8equal_toIvEExEE10hipError_tPvRmT2_T3_T4_T5_mT6_T7_P12ihipStream_tbENKUlT_T0_E_clISt17integral_constantIbLb1EESY_IbLb0EEEEDaSU_SV_EUlSU_E_NS1_11comp_targetILNS1_3genE10ELNS1_11target_archE1200ELNS1_3gpuE4ELNS1_3repE0EEENS1_30default_config_static_selectorELNS0_4arch9wavefront6targetE0EEEvT1_,"axG",@progbits,_ZN7rocprim17ROCPRIM_400000_NS6detail17trampoline_kernelINS0_14default_configENS1_27scan_by_key_config_selectorIxxEEZZNS1_16scan_by_key_implILNS1_25lookback_scan_determinismE0ELb0ES3_N6thrust23THRUST_200600_302600_NS6detail15normal_iteratorINS9_10device_ptrIxEEEESE_SE_xNS9_4plusIvEENS9_8equal_toIvEExEE10hipError_tPvRmT2_T3_T4_T5_mT6_T7_P12ihipStream_tbENKUlT_T0_E_clISt17integral_constantIbLb1EESY_IbLb0EEEEDaSU_SV_EUlSU_E_NS1_11comp_targetILNS1_3genE10ELNS1_11target_archE1200ELNS1_3gpuE4ELNS1_3repE0EEENS1_30default_config_static_selectorELNS0_4arch9wavefront6targetE0EEEvT1_,comdat
.Lfunc_end33:
	.size	_ZN7rocprim17ROCPRIM_400000_NS6detail17trampoline_kernelINS0_14default_configENS1_27scan_by_key_config_selectorIxxEEZZNS1_16scan_by_key_implILNS1_25lookback_scan_determinismE0ELb0ES3_N6thrust23THRUST_200600_302600_NS6detail15normal_iteratorINS9_10device_ptrIxEEEESE_SE_xNS9_4plusIvEENS9_8equal_toIvEExEE10hipError_tPvRmT2_T3_T4_T5_mT6_T7_P12ihipStream_tbENKUlT_T0_E_clISt17integral_constantIbLb1EESY_IbLb0EEEEDaSU_SV_EUlSU_E_NS1_11comp_targetILNS1_3genE10ELNS1_11target_archE1200ELNS1_3gpuE4ELNS1_3repE0EEENS1_30default_config_static_selectorELNS0_4arch9wavefront6targetE0EEEvT1_, .Lfunc_end33-_ZN7rocprim17ROCPRIM_400000_NS6detail17trampoline_kernelINS0_14default_configENS1_27scan_by_key_config_selectorIxxEEZZNS1_16scan_by_key_implILNS1_25lookback_scan_determinismE0ELb0ES3_N6thrust23THRUST_200600_302600_NS6detail15normal_iteratorINS9_10device_ptrIxEEEESE_SE_xNS9_4plusIvEENS9_8equal_toIvEExEE10hipError_tPvRmT2_T3_T4_T5_mT6_T7_P12ihipStream_tbENKUlT_T0_E_clISt17integral_constantIbLb1EESY_IbLb0EEEEDaSU_SV_EUlSU_E_NS1_11comp_targetILNS1_3genE10ELNS1_11target_archE1200ELNS1_3gpuE4ELNS1_3repE0EEENS1_30default_config_static_selectorELNS0_4arch9wavefront6targetE0EEEvT1_
                                        ; -- End function
	.set _ZN7rocprim17ROCPRIM_400000_NS6detail17trampoline_kernelINS0_14default_configENS1_27scan_by_key_config_selectorIxxEEZZNS1_16scan_by_key_implILNS1_25lookback_scan_determinismE0ELb0ES3_N6thrust23THRUST_200600_302600_NS6detail15normal_iteratorINS9_10device_ptrIxEEEESE_SE_xNS9_4plusIvEENS9_8equal_toIvEExEE10hipError_tPvRmT2_T3_T4_T5_mT6_T7_P12ihipStream_tbENKUlT_T0_E_clISt17integral_constantIbLb1EESY_IbLb0EEEEDaSU_SV_EUlSU_E_NS1_11comp_targetILNS1_3genE10ELNS1_11target_archE1200ELNS1_3gpuE4ELNS1_3repE0EEENS1_30default_config_static_selectorELNS0_4arch9wavefront6targetE0EEEvT1_.num_vgpr, 0
	.set _ZN7rocprim17ROCPRIM_400000_NS6detail17trampoline_kernelINS0_14default_configENS1_27scan_by_key_config_selectorIxxEEZZNS1_16scan_by_key_implILNS1_25lookback_scan_determinismE0ELb0ES3_N6thrust23THRUST_200600_302600_NS6detail15normal_iteratorINS9_10device_ptrIxEEEESE_SE_xNS9_4plusIvEENS9_8equal_toIvEExEE10hipError_tPvRmT2_T3_T4_T5_mT6_T7_P12ihipStream_tbENKUlT_T0_E_clISt17integral_constantIbLb1EESY_IbLb0EEEEDaSU_SV_EUlSU_E_NS1_11comp_targetILNS1_3genE10ELNS1_11target_archE1200ELNS1_3gpuE4ELNS1_3repE0EEENS1_30default_config_static_selectorELNS0_4arch9wavefront6targetE0EEEvT1_.num_agpr, 0
	.set _ZN7rocprim17ROCPRIM_400000_NS6detail17trampoline_kernelINS0_14default_configENS1_27scan_by_key_config_selectorIxxEEZZNS1_16scan_by_key_implILNS1_25lookback_scan_determinismE0ELb0ES3_N6thrust23THRUST_200600_302600_NS6detail15normal_iteratorINS9_10device_ptrIxEEEESE_SE_xNS9_4plusIvEENS9_8equal_toIvEExEE10hipError_tPvRmT2_T3_T4_T5_mT6_T7_P12ihipStream_tbENKUlT_T0_E_clISt17integral_constantIbLb1EESY_IbLb0EEEEDaSU_SV_EUlSU_E_NS1_11comp_targetILNS1_3genE10ELNS1_11target_archE1200ELNS1_3gpuE4ELNS1_3repE0EEENS1_30default_config_static_selectorELNS0_4arch9wavefront6targetE0EEEvT1_.numbered_sgpr, 0
	.set _ZN7rocprim17ROCPRIM_400000_NS6detail17trampoline_kernelINS0_14default_configENS1_27scan_by_key_config_selectorIxxEEZZNS1_16scan_by_key_implILNS1_25lookback_scan_determinismE0ELb0ES3_N6thrust23THRUST_200600_302600_NS6detail15normal_iteratorINS9_10device_ptrIxEEEESE_SE_xNS9_4plusIvEENS9_8equal_toIvEExEE10hipError_tPvRmT2_T3_T4_T5_mT6_T7_P12ihipStream_tbENKUlT_T0_E_clISt17integral_constantIbLb1EESY_IbLb0EEEEDaSU_SV_EUlSU_E_NS1_11comp_targetILNS1_3genE10ELNS1_11target_archE1200ELNS1_3gpuE4ELNS1_3repE0EEENS1_30default_config_static_selectorELNS0_4arch9wavefront6targetE0EEEvT1_.num_named_barrier, 0
	.set _ZN7rocprim17ROCPRIM_400000_NS6detail17trampoline_kernelINS0_14default_configENS1_27scan_by_key_config_selectorIxxEEZZNS1_16scan_by_key_implILNS1_25lookback_scan_determinismE0ELb0ES3_N6thrust23THRUST_200600_302600_NS6detail15normal_iteratorINS9_10device_ptrIxEEEESE_SE_xNS9_4plusIvEENS9_8equal_toIvEExEE10hipError_tPvRmT2_T3_T4_T5_mT6_T7_P12ihipStream_tbENKUlT_T0_E_clISt17integral_constantIbLb1EESY_IbLb0EEEEDaSU_SV_EUlSU_E_NS1_11comp_targetILNS1_3genE10ELNS1_11target_archE1200ELNS1_3gpuE4ELNS1_3repE0EEENS1_30default_config_static_selectorELNS0_4arch9wavefront6targetE0EEEvT1_.private_seg_size, 0
	.set _ZN7rocprim17ROCPRIM_400000_NS6detail17trampoline_kernelINS0_14default_configENS1_27scan_by_key_config_selectorIxxEEZZNS1_16scan_by_key_implILNS1_25lookback_scan_determinismE0ELb0ES3_N6thrust23THRUST_200600_302600_NS6detail15normal_iteratorINS9_10device_ptrIxEEEESE_SE_xNS9_4plusIvEENS9_8equal_toIvEExEE10hipError_tPvRmT2_T3_T4_T5_mT6_T7_P12ihipStream_tbENKUlT_T0_E_clISt17integral_constantIbLb1EESY_IbLb0EEEEDaSU_SV_EUlSU_E_NS1_11comp_targetILNS1_3genE10ELNS1_11target_archE1200ELNS1_3gpuE4ELNS1_3repE0EEENS1_30default_config_static_selectorELNS0_4arch9wavefront6targetE0EEEvT1_.uses_vcc, 0
	.set _ZN7rocprim17ROCPRIM_400000_NS6detail17trampoline_kernelINS0_14default_configENS1_27scan_by_key_config_selectorIxxEEZZNS1_16scan_by_key_implILNS1_25lookback_scan_determinismE0ELb0ES3_N6thrust23THRUST_200600_302600_NS6detail15normal_iteratorINS9_10device_ptrIxEEEESE_SE_xNS9_4plusIvEENS9_8equal_toIvEExEE10hipError_tPvRmT2_T3_T4_T5_mT6_T7_P12ihipStream_tbENKUlT_T0_E_clISt17integral_constantIbLb1EESY_IbLb0EEEEDaSU_SV_EUlSU_E_NS1_11comp_targetILNS1_3genE10ELNS1_11target_archE1200ELNS1_3gpuE4ELNS1_3repE0EEENS1_30default_config_static_selectorELNS0_4arch9wavefront6targetE0EEEvT1_.uses_flat_scratch, 0
	.set _ZN7rocprim17ROCPRIM_400000_NS6detail17trampoline_kernelINS0_14default_configENS1_27scan_by_key_config_selectorIxxEEZZNS1_16scan_by_key_implILNS1_25lookback_scan_determinismE0ELb0ES3_N6thrust23THRUST_200600_302600_NS6detail15normal_iteratorINS9_10device_ptrIxEEEESE_SE_xNS9_4plusIvEENS9_8equal_toIvEExEE10hipError_tPvRmT2_T3_T4_T5_mT6_T7_P12ihipStream_tbENKUlT_T0_E_clISt17integral_constantIbLb1EESY_IbLb0EEEEDaSU_SV_EUlSU_E_NS1_11comp_targetILNS1_3genE10ELNS1_11target_archE1200ELNS1_3gpuE4ELNS1_3repE0EEENS1_30default_config_static_selectorELNS0_4arch9wavefront6targetE0EEEvT1_.has_dyn_sized_stack, 0
	.set _ZN7rocprim17ROCPRIM_400000_NS6detail17trampoline_kernelINS0_14default_configENS1_27scan_by_key_config_selectorIxxEEZZNS1_16scan_by_key_implILNS1_25lookback_scan_determinismE0ELb0ES3_N6thrust23THRUST_200600_302600_NS6detail15normal_iteratorINS9_10device_ptrIxEEEESE_SE_xNS9_4plusIvEENS9_8equal_toIvEExEE10hipError_tPvRmT2_T3_T4_T5_mT6_T7_P12ihipStream_tbENKUlT_T0_E_clISt17integral_constantIbLb1EESY_IbLb0EEEEDaSU_SV_EUlSU_E_NS1_11comp_targetILNS1_3genE10ELNS1_11target_archE1200ELNS1_3gpuE4ELNS1_3repE0EEENS1_30default_config_static_selectorELNS0_4arch9wavefront6targetE0EEEvT1_.has_recursion, 0
	.set _ZN7rocprim17ROCPRIM_400000_NS6detail17trampoline_kernelINS0_14default_configENS1_27scan_by_key_config_selectorIxxEEZZNS1_16scan_by_key_implILNS1_25lookback_scan_determinismE0ELb0ES3_N6thrust23THRUST_200600_302600_NS6detail15normal_iteratorINS9_10device_ptrIxEEEESE_SE_xNS9_4plusIvEENS9_8equal_toIvEExEE10hipError_tPvRmT2_T3_T4_T5_mT6_T7_P12ihipStream_tbENKUlT_T0_E_clISt17integral_constantIbLb1EESY_IbLb0EEEEDaSU_SV_EUlSU_E_NS1_11comp_targetILNS1_3genE10ELNS1_11target_archE1200ELNS1_3gpuE4ELNS1_3repE0EEENS1_30default_config_static_selectorELNS0_4arch9wavefront6targetE0EEEvT1_.has_indirect_call, 0
	.section	.AMDGPU.csdata,"",@progbits
; Kernel info:
; codeLenInByte = 0
; TotalNumSgprs: 0
; NumVgprs: 0
; ScratchSize: 0
; MemoryBound: 0
; FloatMode: 240
; IeeeMode: 1
; LDSByteSize: 0 bytes/workgroup (compile time only)
; SGPRBlocks: 0
; VGPRBlocks: 0
; NumSGPRsForWavesPerEU: 1
; NumVGPRsForWavesPerEU: 1
; Occupancy: 16
; WaveLimiterHint : 0
; COMPUTE_PGM_RSRC2:SCRATCH_EN: 0
; COMPUTE_PGM_RSRC2:USER_SGPR: 6
; COMPUTE_PGM_RSRC2:TRAP_HANDLER: 0
; COMPUTE_PGM_RSRC2:TGID_X_EN: 1
; COMPUTE_PGM_RSRC2:TGID_Y_EN: 0
; COMPUTE_PGM_RSRC2:TGID_Z_EN: 0
; COMPUTE_PGM_RSRC2:TIDIG_COMP_CNT: 0
	.section	.text._ZN7rocprim17ROCPRIM_400000_NS6detail17trampoline_kernelINS0_14default_configENS1_27scan_by_key_config_selectorIxxEEZZNS1_16scan_by_key_implILNS1_25lookback_scan_determinismE0ELb0ES3_N6thrust23THRUST_200600_302600_NS6detail15normal_iteratorINS9_10device_ptrIxEEEESE_SE_xNS9_4plusIvEENS9_8equal_toIvEExEE10hipError_tPvRmT2_T3_T4_T5_mT6_T7_P12ihipStream_tbENKUlT_T0_E_clISt17integral_constantIbLb1EESY_IbLb0EEEEDaSU_SV_EUlSU_E_NS1_11comp_targetILNS1_3genE9ELNS1_11target_archE1100ELNS1_3gpuE3ELNS1_3repE0EEENS1_30default_config_static_selectorELNS0_4arch9wavefront6targetE0EEEvT1_,"axG",@progbits,_ZN7rocprim17ROCPRIM_400000_NS6detail17trampoline_kernelINS0_14default_configENS1_27scan_by_key_config_selectorIxxEEZZNS1_16scan_by_key_implILNS1_25lookback_scan_determinismE0ELb0ES3_N6thrust23THRUST_200600_302600_NS6detail15normal_iteratorINS9_10device_ptrIxEEEESE_SE_xNS9_4plusIvEENS9_8equal_toIvEExEE10hipError_tPvRmT2_T3_T4_T5_mT6_T7_P12ihipStream_tbENKUlT_T0_E_clISt17integral_constantIbLb1EESY_IbLb0EEEEDaSU_SV_EUlSU_E_NS1_11comp_targetILNS1_3genE9ELNS1_11target_archE1100ELNS1_3gpuE3ELNS1_3repE0EEENS1_30default_config_static_selectorELNS0_4arch9wavefront6targetE0EEEvT1_,comdat
	.protected	_ZN7rocprim17ROCPRIM_400000_NS6detail17trampoline_kernelINS0_14default_configENS1_27scan_by_key_config_selectorIxxEEZZNS1_16scan_by_key_implILNS1_25lookback_scan_determinismE0ELb0ES3_N6thrust23THRUST_200600_302600_NS6detail15normal_iteratorINS9_10device_ptrIxEEEESE_SE_xNS9_4plusIvEENS9_8equal_toIvEExEE10hipError_tPvRmT2_T3_T4_T5_mT6_T7_P12ihipStream_tbENKUlT_T0_E_clISt17integral_constantIbLb1EESY_IbLb0EEEEDaSU_SV_EUlSU_E_NS1_11comp_targetILNS1_3genE9ELNS1_11target_archE1100ELNS1_3gpuE3ELNS1_3repE0EEENS1_30default_config_static_selectorELNS0_4arch9wavefront6targetE0EEEvT1_ ; -- Begin function _ZN7rocprim17ROCPRIM_400000_NS6detail17trampoline_kernelINS0_14default_configENS1_27scan_by_key_config_selectorIxxEEZZNS1_16scan_by_key_implILNS1_25lookback_scan_determinismE0ELb0ES3_N6thrust23THRUST_200600_302600_NS6detail15normal_iteratorINS9_10device_ptrIxEEEESE_SE_xNS9_4plusIvEENS9_8equal_toIvEExEE10hipError_tPvRmT2_T3_T4_T5_mT6_T7_P12ihipStream_tbENKUlT_T0_E_clISt17integral_constantIbLb1EESY_IbLb0EEEEDaSU_SV_EUlSU_E_NS1_11comp_targetILNS1_3genE9ELNS1_11target_archE1100ELNS1_3gpuE3ELNS1_3repE0EEENS1_30default_config_static_selectorELNS0_4arch9wavefront6targetE0EEEvT1_
	.globl	_ZN7rocprim17ROCPRIM_400000_NS6detail17trampoline_kernelINS0_14default_configENS1_27scan_by_key_config_selectorIxxEEZZNS1_16scan_by_key_implILNS1_25lookback_scan_determinismE0ELb0ES3_N6thrust23THRUST_200600_302600_NS6detail15normal_iteratorINS9_10device_ptrIxEEEESE_SE_xNS9_4plusIvEENS9_8equal_toIvEExEE10hipError_tPvRmT2_T3_T4_T5_mT6_T7_P12ihipStream_tbENKUlT_T0_E_clISt17integral_constantIbLb1EESY_IbLb0EEEEDaSU_SV_EUlSU_E_NS1_11comp_targetILNS1_3genE9ELNS1_11target_archE1100ELNS1_3gpuE3ELNS1_3repE0EEENS1_30default_config_static_selectorELNS0_4arch9wavefront6targetE0EEEvT1_
	.p2align	8
	.type	_ZN7rocprim17ROCPRIM_400000_NS6detail17trampoline_kernelINS0_14default_configENS1_27scan_by_key_config_selectorIxxEEZZNS1_16scan_by_key_implILNS1_25lookback_scan_determinismE0ELb0ES3_N6thrust23THRUST_200600_302600_NS6detail15normal_iteratorINS9_10device_ptrIxEEEESE_SE_xNS9_4plusIvEENS9_8equal_toIvEExEE10hipError_tPvRmT2_T3_T4_T5_mT6_T7_P12ihipStream_tbENKUlT_T0_E_clISt17integral_constantIbLb1EESY_IbLb0EEEEDaSU_SV_EUlSU_E_NS1_11comp_targetILNS1_3genE9ELNS1_11target_archE1100ELNS1_3gpuE3ELNS1_3repE0EEENS1_30default_config_static_selectorELNS0_4arch9wavefront6targetE0EEEvT1_,@function
_ZN7rocprim17ROCPRIM_400000_NS6detail17trampoline_kernelINS0_14default_configENS1_27scan_by_key_config_selectorIxxEEZZNS1_16scan_by_key_implILNS1_25lookback_scan_determinismE0ELb0ES3_N6thrust23THRUST_200600_302600_NS6detail15normal_iteratorINS9_10device_ptrIxEEEESE_SE_xNS9_4plusIvEENS9_8equal_toIvEExEE10hipError_tPvRmT2_T3_T4_T5_mT6_T7_P12ihipStream_tbENKUlT_T0_E_clISt17integral_constantIbLb1EESY_IbLb0EEEEDaSU_SV_EUlSU_E_NS1_11comp_targetILNS1_3genE9ELNS1_11target_archE1100ELNS1_3gpuE3ELNS1_3repE0EEENS1_30default_config_static_selectorELNS0_4arch9wavefront6targetE0EEEvT1_: ; @_ZN7rocprim17ROCPRIM_400000_NS6detail17trampoline_kernelINS0_14default_configENS1_27scan_by_key_config_selectorIxxEEZZNS1_16scan_by_key_implILNS1_25lookback_scan_determinismE0ELb0ES3_N6thrust23THRUST_200600_302600_NS6detail15normal_iteratorINS9_10device_ptrIxEEEESE_SE_xNS9_4plusIvEENS9_8equal_toIvEExEE10hipError_tPvRmT2_T3_T4_T5_mT6_T7_P12ihipStream_tbENKUlT_T0_E_clISt17integral_constantIbLb1EESY_IbLb0EEEEDaSU_SV_EUlSU_E_NS1_11comp_targetILNS1_3genE9ELNS1_11target_archE1100ELNS1_3gpuE3ELNS1_3repE0EEENS1_30default_config_static_selectorELNS0_4arch9wavefront6targetE0EEEvT1_
; %bb.0:
	.section	.rodata,"a",@progbits
	.p2align	6, 0x0
	.amdhsa_kernel _ZN7rocprim17ROCPRIM_400000_NS6detail17trampoline_kernelINS0_14default_configENS1_27scan_by_key_config_selectorIxxEEZZNS1_16scan_by_key_implILNS1_25lookback_scan_determinismE0ELb0ES3_N6thrust23THRUST_200600_302600_NS6detail15normal_iteratorINS9_10device_ptrIxEEEESE_SE_xNS9_4plusIvEENS9_8equal_toIvEExEE10hipError_tPvRmT2_T3_T4_T5_mT6_T7_P12ihipStream_tbENKUlT_T0_E_clISt17integral_constantIbLb1EESY_IbLb0EEEEDaSU_SV_EUlSU_E_NS1_11comp_targetILNS1_3genE9ELNS1_11target_archE1100ELNS1_3gpuE3ELNS1_3repE0EEENS1_30default_config_static_selectorELNS0_4arch9wavefront6targetE0EEEvT1_
		.amdhsa_group_segment_fixed_size 0
		.amdhsa_private_segment_fixed_size 0
		.amdhsa_kernarg_size 136
		.amdhsa_user_sgpr_count 6
		.amdhsa_user_sgpr_private_segment_buffer 1
		.amdhsa_user_sgpr_dispatch_ptr 0
		.amdhsa_user_sgpr_queue_ptr 0
		.amdhsa_user_sgpr_kernarg_segment_ptr 1
		.amdhsa_user_sgpr_dispatch_id 0
		.amdhsa_user_sgpr_flat_scratch_init 0
		.amdhsa_user_sgpr_private_segment_size 0
		.amdhsa_wavefront_size32 1
		.amdhsa_uses_dynamic_stack 0
		.amdhsa_system_sgpr_private_segment_wavefront_offset 0
		.amdhsa_system_sgpr_workgroup_id_x 1
		.amdhsa_system_sgpr_workgroup_id_y 0
		.amdhsa_system_sgpr_workgroup_id_z 0
		.amdhsa_system_sgpr_workgroup_info 0
		.amdhsa_system_vgpr_workitem_id 0
		.amdhsa_next_free_vgpr 1
		.amdhsa_next_free_sgpr 1
		.amdhsa_reserve_vcc 0
		.amdhsa_reserve_flat_scratch 0
		.amdhsa_float_round_mode_32 0
		.amdhsa_float_round_mode_16_64 0
		.amdhsa_float_denorm_mode_32 3
		.amdhsa_float_denorm_mode_16_64 3
		.amdhsa_dx10_clamp 1
		.amdhsa_ieee_mode 1
		.amdhsa_fp16_overflow 0
		.amdhsa_workgroup_processor_mode 1
		.amdhsa_memory_ordered 1
		.amdhsa_forward_progress 1
		.amdhsa_shared_vgpr_count 0
		.amdhsa_exception_fp_ieee_invalid_op 0
		.amdhsa_exception_fp_denorm_src 0
		.amdhsa_exception_fp_ieee_div_zero 0
		.amdhsa_exception_fp_ieee_overflow 0
		.amdhsa_exception_fp_ieee_underflow 0
		.amdhsa_exception_fp_ieee_inexact 0
		.amdhsa_exception_int_div_zero 0
	.end_amdhsa_kernel
	.section	.text._ZN7rocprim17ROCPRIM_400000_NS6detail17trampoline_kernelINS0_14default_configENS1_27scan_by_key_config_selectorIxxEEZZNS1_16scan_by_key_implILNS1_25lookback_scan_determinismE0ELb0ES3_N6thrust23THRUST_200600_302600_NS6detail15normal_iteratorINS9_10device_ptrIxEEEESE_SE_xNS9_4plusIvEENS9_8equal_toIvEExEE10hipError_tPvRmT2_T3_T4_T5_mT6_T7_P12ihipStream_tbENKUlT_T0_E_clISt17integral_constantIbLb1EESY_IbLb0EEEEDaSU_SV_EUlSU_E_NS1_11comp_targetILNS1_3genE9ELNS1_11target_archE1100ELNS1_3gpuE3ELNS1_3repE0EEENS1_30default_config_static_selectorELNS0_4arch9wavefront6targetE0EEEvT1_,"axG",@progbits,_ZN7rocprim17ROCPRIM_400000_NS6detail17trampoline_kernelINS0_14default_configENS1_27scan_by_key_config_selectorIxxEEZZNS1_16scan_by_key_implILNS1_25lookback_scan_determinismE0ELb0ES3_N6thrust23THRUST_200600_302600_NS6detail15normal_iteratorINS9_10device_ptrIxEEEESE_SE_xNS9_4plusIvEENS9_8equal_toIvEExEE10hipError_tPvRmT2_T3_T4_T5_mT6_T7_P12ihipStream_tbENKUlT_T0_E_clISt17integral_constantIbLb1EESY_IbLb0EEEEDaSU_SV_EUlSU_E_NS1_11comp_targetILNS1_3genE9ELNS1_11target_archE1100ELNS1_3gpuE3ELNS1_3repE0EEENS1_30default_config_static_selectorELNS0_4arch9wavefront6targetE0EEEvT1_,comdat
.Lfunc_end34:
	.size	_ZN7rocprim17ROCPRIM_400000_NS6detail17trampoline_kernelINS0_14default_configENS1_27scan_by_key_config_selectorIxxEEZZNS1_16scan_by_key_implILNS1_25lookback_scan_determinismE0ELb0ES3_N6thrust23THRUST_200600_302600_NS6detail15normal_iteratorINS9_10device_ptrIxEEEESE_SE_xNS9_4plusIvEENS9_8equal_toIvEExEE10hipError_tPvRmT2_T3_T4_T5_mT6_T7_P12ihipStream_tbENKUlT_T0_E_clISt17integral_constantIbLb1EESY_IbLb0EEEEDaSU_SV_EUlSU_E_NS1_11comp_targetILNS1_3genE9ELNS1_11target_archE1100ELNS1_3gpuE3ELNS1_3repE0EEENS1_30default_config_static_selectorELNS0_4arch9wavefront6targetE0EEEvT1_, .Lfunc_end34-_ZN7rocprim17ROCPRIM_400000_NS6detail17trampoline_kernelINS0_14default_configENS1_27scan_by_key_config_selectorIxxEEZZNS1_16scan_by_key_implILNS1_25lookback_scan_determinismE0ELb0ES3_N6thrust23THRUST_200600_302600_NS6detail15normal_iteratorINS9_10device_ptrIxEEEESE_SE_xNS9_4plusIvEENS9_8equal_toIvEExEE10hipError_tPvRmT2_T3_T4_T5_mT6_T7_P12ihipStream_tbENKUlT_T0_E_clISt17integral_constantIbLb1EESY_IbLb0EEEEDaSU_SV_EUlSU_E_NS1_11comp_targetILNS1_3genE9ELNS1_11target_archE1100ELNS1_3gpuE3ELNS1_3repE0EEENS1_30default_config_static_selectorELNS0_4arch9wavefront6targetE0EEEvT1_
                                        ; -- End function
	.set _ZN7rocprim17ROCPRIM_400000_NS6detail17trampoline_kernelINS0_14default_configENS1_27scan_by_key_config_selectorIxxEEZZNS1_16scan_by_key_implILNS1_25lookback_scan_determinismE0ELb0ES3_N6thrust23THRUST_200600_302600_NS6detail15normal_iteratorINS9_10device_ptrIxEEEESE_SE_xNS9_4plusIvEENS9_8equal_toIvEExEE10hipError_tPvRmT2_T3_T4_T5_mT6_T7_P12ihipStream_tbENKUlT_T0_E_clISt17integral_constantIbLb1EESY_IbLb0EEEEDaSU_SV_EUlSU_E_NS1_11comp_targetILNS1_3genE9ELNS1_11target_archE1100ELNS1_3gpuE3ELNS1_3repE0EEENS1_30default_config_static_selectorELNS0_4arch9wavefront6targetE0EEEvT1_.num_vgpr, 0
	.set _ZN7rocprim17ROCPRIM_400000_NS6detail17trampoline_kernelINS0_14default_configENS1_27scan_by_key_config_selectorIxxEEZZNS1_16scan_by_key_implILNS1_25lookback_scan_determinismE0ELb0ES3_N6thrust23THRUST_200600_302600_NS6detail15normal_iteratorINS9_10device_ptrIxEEEESE_SE_xNS9_4plusIvEENS9_8equal_toIvEExEE10hipError_tPvRmT2_T3_T4_T5_mT6_T7_P12ihipStream_tbENKUlT_T0_E_clISt17integral_constantIbLb1EESY_IbLb0EEEEDaSU_SV_EUlSU_E_NS1_11comp_targetILNS1_3genE9ELNS1_11target_archE1100ELNS1_3gpuE3ELNS1_3repE0EEENS1_30default_config_static_selectorELNS0_4arch9wavefront6targetE0EEEvT1_.num_agpr, 0
	.set _ZN7rocprim17ROCPRIM_400000_NS6detail17trampoline_kernelINS0_14default_configENS1_27scan_by_key_config_selectorIxxEEZZNS1_16scan_by_key_implILNS1_25lookback_scan_determinismE0ELb0ES3_N6thrust23THRUST_200600_302600_NS6detail15normal_iteratorINS9_10device_ptrIxEEEESE_SE_xNS9_4plusIvEENS9_8equal_toIvEExEE10hipError_tPvRmT2_T3_T4_T5_mT6_T7_P12ihipStream_tbENKUlT_T0_E_clISt17integral_constantIbLb1EESY_IbLb0EEEEDaSU_SV_EUlSU_E_NS1_11comp_targetILNS1_3genE9ELNS1_11target_archE1100ELNS1_3gpuE3ELNS1_3repE0EEENS1_30default_config_static_selectorELNS0_4arch9wavefront6targetE0EEEvT1_.numbered_sgpr, 0
	.set _ZN7rocprim17ROCPRIM_400000_NS6detail17trampoline_kernelINS0_14default_configENS1_27scan_by_key_config_selectorIxxEEZZNS1_16scan_by_key_implILNS1_25lookback_scan_determinismE0ELb0ES3_N6thrust23THRUST_200600_302600_NS6detail15normal_iteratorINS9_10device_ptrIxEEEESE_SE_xNS9_4plusIvEENS9_8equal_toIvEExEE10hipError_tPvRmT2_T3_T4_T5_mT6_T7_P12ihipStream_tbENKUlT_T0_E_clISt17integral_constantIbLb1EESY_IbLb0EEEEDaSU_SV_EUlSU_E_NS1_11comp_targetILNS1_3genE9ELNS1_11target_archE1100ELNS1_3gpuE3ELNS1_3repE0EEENS1_30default_config_static_selectorELNS0_4arch9wavefront6targetE0EEEvT1_.num_named_barrier, 0
	.set _ZN7rocprim17ROCPRIM_400000_NS6detail17trampoline_kernelINS0_14default_configENS1_27scan_by_key_config_selectorIxxEEZZNS1_16scan_by_key_implILNS1_25lookback_scan_determinismE0ELb0ES3_N6thrust23THRUST_200600_302600_NS6detail15normal_iteratorINS9_10device_ptrIxEEEESE_SE_xNS9_4plusIvEENS9_8equal_toIvEExEE10hipError_tPvRmT2_T3_T4_T5_mT6_T7_P12ihipStream_tbENKUlT_T0_E_clISt17integral_constantIbLb1EESY_IbLb0EEEEDaSU_SV_EUlSU_E_NS1_11comp_targetILNS1_3genE9ELNS1_11target_archE1100ELNS1_3gpuE3ELNS1_3repE0EEENS1_30default_config_static_selectorELNS0_4arch9wavefront6targetE0EEEvT1_.private_seg_size, 0
	.set _ZN7rocprim17ROCPRIM_400000_NS6detail17trampoline_kernelINS0_14default_configENS1_27scan_by_key_config_selectorIxxEEZZNS1_16scan_by_key_implILNS1_25lookback_scan_determinismE0ELb0ES3_N6thrust23THRUST_200600_302600_NS6detail15normal_iteratorINS9_10device_ptrIxEEEESE_SE_xNS9_4plusIvEENS9_8equal_toIvEExEE10hipError_tPvRmT2_T3_T4_T5_mT6_T7_P12ihipStream_tbENKUlT_T0_E_clISt17integral_constantIbLb1EESY_IbLb0EEEEDaSU_SV_EUlSU_E_NS1_11comp_targetILNS1_3genE9ELNS1_11target_archE1100ELNS1_3gpuE3ELNS1_3repE0EEENS1_30default_config_static_selectorELNS0_4arch9wavefront6targetE0EEEvT1_.uses_vcc, 0
	.set _ZN7rocprim17ROCPRIM_400000_NS6detail17trampoline_kernelINS0_14default_configENS1_27scan_by_key_config_selectorIxxEEZZNS1_16scan_by_key_implILNS1_25lookback_scan_determinismE0ELb0ES3_N6thrust23THRUST_200600_302600_NS6detail15normal_iteratorINS9_10device_ptrIxEEEESE_SE_xNS9_4plusIvEENS9_8equal_toIvEExEE10hipError_tPvRmT2_T3_T4_T5_mT6_T7_P12ihipStream_tbENKUlT_T0_E_clISt17integral_constantIbLb1EESY_IbLb0EEEEDaSU_SV_EUlSU_E_NS1_11comp_targetILNS1_3genE9ELNS1_11target_archE1100ELNS1_3gpuE3ELNS1_3repE0EEENS1_30default_config_static_selectorELNS0_4arch9wavefront6targetE0EEEvT1_.uses_flat_scratch, 0
	.set _ZN7rocprim17ROCPRIM_400000_NS6detail17trampoline_kernelINS0_14default_configENS1_27scan_by_key_config_selectorIxxEEZZNS1_16scan_by_key_implILNS1_25lookback_scan_determinismE0ELb0ES3_N6thrust23THRUST_200600_302600_NS6detail15normal_iteratorINS9_10device_ptrIxEEEESE_SE_xNS9_4plusIvEENS9_8equal_toIvEExEE10hipError_tPvRmT2_T3_T4_T5_mT6_T7_P12ihipStream_tbENKUlT_T0_E_clISt17integral_constantIbLb1EESY_IbLb0EEEEDaSU_SV_EUlSU_E_NS1_11comp_targetILNS1_3genE9ELNS1_11target_archE1100ELNS1_3gpuE3ELNS1_3repE0EEENS1_30default_config_static_selectorELNS0_4arch9wavefront6targetE0EEEvT1_.has_dyn_sized_stack, 0
	.set _ZN7rocprim17ROCPRIM_400000_NS6detail17trampoline_kernelINS0_14default_configENS1_27scan_by_key_config_selectorIxxEEZZNS1_16scan_by_key_implILNS1_25lookback_scan_determinismE0ELb0ES3_N6thrust23THRUST_200600_302600_NS6detail15normal_iteratorINS9_10device_ptrIxEEEESE_SE_xNS9_4plusIvEENS9_8equal_toIvEExEE10hipError_tPvRmT2_T3_T4_T5_mT6_T7_P12ihipStream_tbENKUlT_T0_E_clISt17integral_constantIbLb1EESY_IbLb0EEEEDaSU_SV_EUlSU_E_NS1_11comp_targetILNS1_3genE9ELNS1_11target_archE1100ELNS1_3gpuE3ELNS1_3repE0EEENS1_30default_config_static_selectorELNS0_4arch9wavefront6targetE0EEEvT1_.has_recursion, 0
	.set _ZN7rocprim17ROCPRIM_400000_NS6detail17trampoline_kernelINS0_14default_configENS1_27scan_by_key_config_selectorIxxEEZZNS1_16scan_by_key_implILNS1_25lookback_scan_determinismE0ELb0ES3_N6thrust23THRUST_200600_302600_NS6detail15normal_iteratorINS9_10device_ptrIxEEEESE_SE_xNS9_4plusIvEENS9_8equal_toIvEExEE10hipError_tPvRmT2_T3_T4_T5_mT6_T7_P12ihipStream_tbENKUlT_T0_E_clISt17integral_constantIbLb1EESY_IbLb0EEEEDaSU_SV_EUlSU_E_NS1_11comp_targetILNS1_3genE9ELNS1_11target_archE1100ELNS1_3gpuE3ELNS1_3repE0EEENS1_30default_config_static_selectorELNS0_4arch9wavefront6targetE0EEEvT1_.has_indirect_call, 0
	.section	.AMDGPU.csdata,"",@progbits
; Kernel info:
; codeLenInByte = 0
; TotalNumSgprs: 0
; NumVgprs: 0
; ScratchSize: 0
; MemoryBound: 0
; FloatMode: 240
; IeeeMode: 1
; LDSByteSize: 0 bytes/workgroup (compile time only)
; SGPRBlocks: 0
; VGPRBlocks: 0
; NumSGPRsForWavesPerEU: 1
; NumVGPRsForWavesPerEU: 1
; Occupancy: 16
; WaveLimiterHint : 0
; COMPUTE_PGM_RSRC2:SCRATCH_EN: 0
; COMPUTE_PGM_RSRC2:USER_SGPR: 6
; COMPUTE_PGM_RSRC2:TRAP_HANDLER: 0
; COMPUTE_PGM_RSRC2:TGID_X_EN: 1
; COMPUTE_PGM_RSRC2:TGID_Y_EN: 0
; COMPUTE_PGM_RSRC2:TGID_Z_EN: 0
; COMPUTE_PGM_RSRC2:TIDIG_COMP_CNT: 0
	.section	.text._ZN7rocprim17ROCPRIM_400000_NS6detail17trampoline_kernelINS0_14default_configENS1_27scan_by_key_config_selectorIxxEEZZNS1_16scan_by_key_implILNS1_25lookback_scan_determinismE0ELb0ES3_N6thrust23THRUST_200600_302600_NS6detail15normal_iteratorINS9_10device_ptrIxEEEESE_SE_xNS9_4plusIvEENS9_8equal_toIvEExEE10hipError_tPvRmT2_T3_T4_T5_mT6_T7_P12ihipStream_tbENKUlT_T0_E_clISt17integral_constantIbLb1EESY_IbLb0EEEEDaSU_SV_EUlSU_E_NS1_11comp_targetILNS1_3genE8ELNS1_11target_archE1030ELNS1_3gpuE2ELNS1_3repE0EEENS1_30default_config_static_selectorELNS0_4arch9wavefront6targetE0EEEvT1_,"axG",@progbits,_ZN7rocprim17ROCPRIM_400000_NS6detail17trampoline_kernelINS0_14default_configENS1_27scan_by_key_config_selectorIxxEEZZNS1_16scan_by_key_implILNS1_25lookback_scan_determinismE0ELb0ES3_N6thrust23THRUST_200600_302600_NS6detail15normal_iteratorINS9_10device_ptrIxEEEESE_SE_xNS9_4plusIvEENS9_8equal_toIvEExEE10hipError_tPvRmT2_T3_T4_T5_mT6_T7_P12ihipStream_tbENKUlT_T0_E_clISt17integral_constantIbLb1EESY_IbLb0EEEEDaSU_SV_EUlSU_E_NS1_11comp_targetILNS1_3genE8ELNS1_11target_archE1030ELNS1_3gpuE2ELNS1_3repE0EEENS1_30default_config_static_selectorELNS0_4arch9wavefront6targetE0EEEvT1_,comdat
	.protected	_ZN7rocprim17ROCPRIM_400000_NS6detail17trampoline_kernelINS0_14default_configENS1_27scan_by_key_config_selectorIxxEEZZNS1_16scan_by_key_implILNS1_25lookback_scan_determinismE0ELb0ES3_N6thrust23THRUST_200600_302600_NS6detail15normal_iteratorINS9_10device_ptrIxEEEESE_SE_xNS9_4plusIvEENS9_8equal_toIvEExEE10hipError_tPvRmT2_T3_T4_T5_mT6_T7_P12ihipStream_tbENKUlT_T0_E_clISt17integral_constantIbLb1EESY_IbLb0EEEEDaSU_SV_EUlSU_E_NS1_11comp_targetILNS1_3genE8ELNS1_11target_archE1030ELNS1_3gpuE2ELNS1_3repE0EEENS1_30default_config_static_selectorELNS0_4arch9wavefront6targetE0EEEvT1_ ; -- Begin function _ZN7rocprim17ROCPRIM_400000_NS6detail17trampoline_kernelINS0_14default_configENS1_27scan_by_key_config_selectorIxxEEZZNS1_16scan_by_key_implILNS1_25lookback_scan_determinismE0ELb0ES3_N6thrust23THRUST_200600_302600_NS6detail15normal_iteratorINS9_10device_ptrIxEEEESE_SE_xNS9_4plusIvEENS9_8equal_toIvEExEE10hipError_tPvRmT2_T3_T4_T5_mT6_T7_P12ihipStream_tbENKUlT_T0_E_clISt17integral_constantIbLb1EESY_IbLb0EEEEDaSU_SV_EUlSU_E_NS1_11comp_targetILNS1_3genE8ELNS1_11target_archE1030ELNS1_3gpuE2ELNS1_3repE0EEENS1_30default_config_static_selectorELNS0_4arch9wavefront6targetE0EEEvT1_
	.globl	_ZN7rocprim17ROCPRIM_400000_NS6detail17trampoline_kernelINS0_14default_configENS1_27scan_by_key_config_selectorIxxEEZZNS1_16scan_by_key_implILNS1_25lookback_scan_determinismE0ELb0ES3_N6thrust23THRUST_200600_302600_NS6detail15normal_iteratorINS9_10device_ptrIxEEEESE_SE_xNS9_4plusIvEENS9_8equal_toIvEExEE10hipError_tPvRmT2_T3_T4_T5_mT6_T7_P12ihipStream_tbENKUlT_T0_E_clISt17integral_constantIbLb1EESY_IbLb0EEEEDaSU_SV_EUlSU_E_NS1_11comp_targetILNS1_3genE8ELNS1_11target_archE1030ELNS1_3gpuE2ELNS1_3repE0EEENS1_30default_config_static_selectorELNS0_4arch9wavefront6targetE0EEEvT1_
	.p2align	8
	.type	_ZN7rocprim17ROCPRIM_400000_NS6detail17trampoline_kernelINS0_14default_configENS1_27scan_by_key_config_selectorIxxEEZZNS1_16scan_by_key_implILNS1_25lookback_scan_determinismE0ELb0ES3_N6thrust23THRUST_200600_302600_NS6detail15normal_iteratorINS9_10device_ptrIxEEEESE_SE_xNS9_4plusIvEENS9_8equal_toIvEExEE10hipError_tPvRmT2_T3_T4_T5_mT6_T7_P12ihipStream_tbENKUlT_T0_E_clISt17integral_constantIbLb1EESY_IbLb0EEEEDaSU_SV_EUlSU_E_NS1_11comp_targetILNS1_3genE8ELNS1_11target_archE1030ELNS1_3gpuE2ELNS1_3repE0EEENS1_30default_config_static_selectorELNS0_4arch9wavefront6targetE0EEEvT1_,@function
_ZN7rocprim17ROCPRIM_400000_NS6detail17trampoline_kernelINS0_14default_configENS1_27scan_by_key_config_selectorIxxEEZZNS1_16scan_by_key_implILNS1_25lookback_scan_determinismE0ELb0ES3_N6thrust23THRUST_200600_302600_NS6detail15normal_iteratorINS9_10device_ptrIxEEEESE_SE_xNS9_4plusIvEENS9_8equal_toIvEExEE10hipError_tPvRmT2_T3_T4_T5_mT6_T7_P12ihipStream_tbENKUlT_T0_E_clISt17integral_constantIbLb1EESY_IbLb0EEEEDaSU_SV_EUlSU_E_NS1_11comp_targetILNS1_3genE8ELNS1_11target_archE1030ELNS1_3gpuE2ELNS1_3repE0EEENS1_30default_config_static_selectorELNS0_4arch9wavefront6targetE0EEEvT1_: ; @_ZN7rocprim17ROCPRIM_400000_NS6detail17trampoline_kernelINS0_14default_configENS1_27scan_by_key_config_selectorIxxEEZZNS1_16scan_by_key_implILNS1_25lookback_scan_determinismE0ELb0ES3_N6thrust23THRUST_200600_302600_NS6detail15normal_iteratorINS9_10device_ptrIxEEEESE_SE_xNS9_4plusIvEENS9_8equal_toIvEExEE10hipError_tPvRmT2_T3_T4_T5_mT6_T7_P12ihipStream_tbENKUlT_T0_E_clISt17integral_constantIbLb1EESY_IbLb0EEEEDaSU_SV_EUlSU_E_NS1_11comp_targetILNS1_3genE8ELNS1_11target_archE1030ELNS1_3gpuE2ELNS1_3repE0EEENS1_30default_config_static_selectorELNS0_4arch9wavefront6targetE0EEEvT1_
; %bb.0:
	s_endpgm
	.section	.rodata,"a",@progbits
	.p2align	6, 0x0
	.amdhsa_kernel _ZN7rocprim17ROCPRIM_400000_NS6detail17trampoline_kernelINS0_14default_configENS1_27scan_by_key_config_selectorIxxEEZZNS1_16scan_by_key_implILNS1_25lookback_scan_determinismE0ELb0ES3_N6thrust23THRUST_200600_302600_NS6detail15normal_iteratorINS9_10device_ptrIxEEEESE_SE_xNS9_4plusIvEENS9_8equal_toIvEExEE10hipError_tPvRmT2_T3_T4_T5_mT6_T7_P12ihipStream_tbENKUlT_T0_E_clISt17integral_constantIbLb1EESY_IbLb0EEEEDaSU_SV_EUlSU_E_NS1_11comp_targetILNS1_3genE8ELNS1_11target_archE1030ELNS1_3gpuE2ELNS1_3repE0EEENS1_30default_config_static_selectorELNS0_4arch9wavefront6targetE0EEEvT1_
		.amdhsa_group_segment_fixed_size 0
		.amdhsa_private_segment_fixed_size 0
		.amdhsa_kernarg_size 136
		.amdhsa_user_sgpr_count 6
		.amdhsa_user_sgpr_private_segment_buffer 1
		.amdhsa_user_sgpr_dispatch_ptr 0
		.amdhsa_user_sgpr_queue_ptr 0
		.amdhsa_user_sgpr_kernarg_segment_ptr 1
		.amdhsa_user_sgpr_dispatch_id 0
		.amdhsa_user_sgpr_flat_scratch_init 0
		.amdhsa_user_sgpr_private_segment_size 0
		.amdhsa_wavefront_size32 1
		.amdhsa_uses_dynamic_stack 0
		.amdhsa_system_sgpr_private_segment_wavefront_offset 0
		.amdhsa_system_sgpr_workgroup_id_x 1
		.amdhsa_system_sgpr_workgroup_id_y 0
		.amdhsa_system_sgpr_workgroup_id_z 0
		.amdhsa_system_sgpr_workgroup_info 0
		.amdhsa_system_vgpr_workitem_id 0
		.amdhsa_next_free_vgpr 1
		.amdhsa_next_free_sgpr 1
		.amdhsa_reserve_vcc 0
		.amdhsa_reserve_flat_scratch 0
		.amdhsa_float_round_mode_32 0
		.amdhsa_float_round_mode_16_64 0
		.amdhsa_float_denorm_mode_32 3
		.amdhsa_float_denorm_mode_16_64 3
		.amdhsa_dx10_clamp 1
		.amdhsa_ieee_mode 1
		.amdhsa_fp16_overflow 0
		.amdhsa_workgroup_processor_mode 1
		.amdhsa_memory_ordered 1
		.amdhsa_forward_progress 1
		.amdhsa_shared_vgpr_count 0
		.amdhsa_exception_fp_ieee_invalid_op 0
		.amdhsa_exception_fp_denorm_src 0
		.amdhsa_exception_fp_ieee_div_zero 0
		.amdhsa_exception_fp_ieee_overflow 0
		.amdhsa_exception_fp_ieee_underflow 0
		.amdhsa_exception_fp_ieee_inexact 0
		.amdhsa_exception_int_div_zero 0
	.end_amdhsa_kernel
	.section	.text._ZN7rocprim17ROCPRIM_400000_NS6detail17trampoline_kernelINS0_14default_configENS1_27scan_by_key_config_selectorIxxEEZZNS1_16scan_by_key_implILNS1_25lookback_scan_determinismE0ELb0ES3_N6thrust23THRUST_200600_302600_NS6detail15normal_iteratorINS9_10device_ptrIxEEEESE_SE_xNS9_4plusIvEENS9_8equal_toIvEExEE10hipError_tPvRmT2_T3_T4_T5_mT6_T7_P12ihipStream_tbENKUlT_T0_E_clISt17integral_constantIbLb1EESY_IbLb0EEEEDaSU_SV_EUlSU_E_NS1_11comp_targetILNS1_3genE8ELNS1_11target_archE1030ELNS1_3gpuE2ELNS1_3repE0EEENS1_30default_config_static_selectorELNS0_4arch9wavefront6targetE0EEEvT1_,"axG",@progbits,_ZN7rocprim17ROCPRIM_400000_NS6detail17trampoline_kernelINS0_14default_configENS1_27scan_by_key_config_selectorIxxEEZZNS1_16scan_by_key_implILNS1_25lookback_scan_determinismE0ELb0ES3_N6thrust23THRUST_200600_302600_NS6detail15normal_iteratorINS9_10device_ptrIxEEEESE_SE_xNS9_4plusIvEENS9_8equal_toIvEExEE10hipError_tPvRmT2_T3_T4_T5_mT6_T7_P12ihipStream_tbENKUlT_T0_E_clISt17integral_constantIbLb1EESY_IbLb0EEEEDaSU_SV_EUlSU_E_NS1_11comp_targetILNS1_3genE8ELNS1_11target_archE1030ELNS1_3gpuE2ELNS1_3repE0EEENS1_30default_config_static_selectorELNS0_4arch9wavefront6targetE0EEEvT1_,comdat
.Lfunc_end35:
	.size	_ZN7rocprim17ROCPRIM_400000_NS6detail17trampoline_kernelINS0_14default_configENS1_27scan_by_key_config_selectorIxxEEZZNS1_16scan_by_key_implILNS1_25lookback_scan_determinismE0ELb0ES3_N6thrust23THRUST_200600_302600_NS6detail15normal_iteratorINS9_10device_ptrIxEEEESE_SE_xNS9_4plusIvEENS9_8equal_toIvEExEE10hipError_tPvRmT2_T3_T4_T5_mT6_T7_P12ihipStream_tbENKUlT_T0_E_clISt17integral_constantIbLb1EESY_IbLb0EEEEDaSU_SV_EUlSU_E_NS1_11comp_targetILNS1_3genE8ELNS1_11target_archE1030ELNS1_3gpuE2ELNS1_3repE0EEENS1_30default_config_static_selectorELNS0_4arch9wavefront6targetE0EEEvT1_, .Lfunc_end35-_ZN7rocprim17ROCPRIM_400000_NS6detail17trampoline_kernelINS0_14default_configENS1_27scan_by_key_config_selectorIxxEEZZNS1_16scan_by_key_implILNS1_25lookback_scan_determinismE0ELb0ES3_N6thrust23THRUST_200600_302600_NS6detail15normal_iteratorINS9_10device_ptrIxEEEESE_SE_xNS9_4plusIvEENS9_8equal_toIvEExEE10hipError_tPvRmT2_T3_T4_T5_mT6_T7_P12ihipStream_tbENKUlT_T0_E_clISt17integral_constantIbLb1EESY_IbLb0EEEEDaSU_SV_EUlSU_E_NS1_11comp_targetILNS1_3genE8ELNS1_11target_archE1030ELNS1_3gpuE2ELNS1_3repE0EEENS1_30default_config_static_selectorELNS0_4arch9wavefront6targetE0EEEvT1_
                                        ; -- End function
	.set _ZN7rocprim17ROCPRIM_400000_NS6detail17trampoline_kernelINS0_14default_configENS1_27scan_by_key_config_selectorIxxEEZZNS1_16scan_by_key_implILNS1_25lookback_scan_determinismE0ELb0ES3_N6thrust23THRUST_200600_302600_NS6detail15normal_iteratorINS9_10device_ptrIxEEEESE_SE_xNS9_4plusIvEENS9_8equal_toIvEExEE10hipError_tPvRmT2_T3_T4_T5_mT6_T7_P12ihipStream_tbENKUlT_T0_E_clISt17integral_constantIbLb1EESY_IbLb0EEEEDaSU_SV_EUlSU_E_NS1_11comp_targetILNS1_3genE8ELNS1_11target_archE1030ELNS1_3gpuE2ELNS1_3repE0EEENS1_30default_config_static_selectorELNS0_4arch9wavefront6targetE0EEEvT1_.num_vgpr, 0
	.set _ZN7rocprim17ROCPRIM_400000_NS6detail17trampoline_kernelINS0_14default_configENS1_27scan_by_key_config_selectorIxxEEZZNS1_16scan_by_key_implILNS1_25lookback_scan_determinismE0ELb0ES3_N6thrust23THRUST_200600_302600_NS6detail15normal_iteratorINS9_10device_ptrIxEEEESE_SE_xNS9_4plusIvEENS9_8equal_toIvEExEE10hipError_tPvRmT2_T3_T4_T5_mT6_T7_P12ihipStream_tbENKUlT_T0_E_clISt17integral_constantIbLb1EESY_IbLb0EEEEDaSU_SV_EUlSU_E_NS1_11comp_targetILNS1_3genE8ELNS1_11target_archE1030ELNS1_3gpuE2ELNS1_3repE0EEENS1_30default_config_static_selectorELNS0_4arch9wavefront6targetE0EEEvT1_.num_agpr, 0
	.set _ZN7rocprim17ROCPRIM_400000_NS6detail17trampoline_kernelINS0_14default_configENS1_27scan_by_key_config_selectorIxxEEZZNS1_16scan_by_key_implILNS1_25lookback_scan_determinismE0ELb0ES3_N6thrust23THRUST_200600_302600_NS6detail15normal_iteratorINS9_10device_ptrIxEEEESE_SE_xNS9_4plusIvEENS9_8equal_toIvEExEE10hipError_tPvRmT2_T3_T4_T5_mT6_T7_P12ihipStream_tbENKUlT_T0_E_clISt17integral_constantIbLb1EESY_IbLb0EEEEDaSU_SV_EUlSU_E_NS1_11comp_targetILNS1_3genE8ELNS1_11target_archE1030ELNS1_3gpuE2ELNS1_3repE0EEENS1_30default_config_static_selectorELNS0_4arch9wavefront6targetE0EEEvT1_.numbered_sgpr, 0
	.set _ZN7rocprim17ROCPRIM_400000_NS6detail17trampoline_kernelINS0_14default_configENS1_27scan_by_key_config_selectorIxxEEZZNS1_16scan_by_key_implILNS1_25lookback_scan_determinismE0ELb0ES3_N6thrust23THRUST_200600_302600_NS6detail15normal_iteratorINS9_10device_ptrIxEEEESE_SE_xNS9_4plusIvEENS9_8equal_toIvEExEE10hipError_tPvRmT2_T3_T4_T5_mT6_T7_P12ihipStream_tbENKUlT_T0_E_clISt17integral_constantIbLb1EESY_IbLb0EEEEDaSU_SV_EUlSU_E_NS1_11comp_targetILNS1_3genE8ELNS1_11target_archE1030ELNS1_3gpuE2ELNS1_3repE0EEENS1_30default_config_static_selectorELNS0_4arch9wavefront6targetE0EEEvT1_.num_named_barrier, 0
	.set _ZN7rocprim17ROCPRIM_400000_NS6detail17trampoline_kernelINS0_14default_configENS1_27scan_by_key_config_selectorIxxEEZZNS1_16scan_by_key_implILNS1_25lookback_scan_determinismE0ELb0ES3_N6thrust23THRUST_200600_302600_NS6detail15normal_iteratorINS9_10device_ptrIxEEEESE_SE_xNS9_4plusIvEENS9_8equal_toIvEExEE10hipError_tPvRmT2_T3_T4_T5_mT6_T7_P12ihipStream_tbENKUlT_T0_E_clISt17integral_constantIbLb1EESY_IbLb0EEEEDaSU_SV_EUlSU_E_NS1_11comp_targetILNS1_3genE8ELNS1_11target_archE1030ELNS1_3gpuE2ELNS1_3repE0EEENS1_30default_config_static_selectorELNS0_4arch9wavefront6targetE0EEEvT1_.private_seg_size, 0
	.set _ZN7rocprim17ROCPRIM_400000_NS6detail17trampoline_kernelINS0_14default_configENS1_27scan_by_key_config_selectorIxxEEZZNS1_16scan_by_key_implILNS1_25lookback_scan_determinismE0ELb0ES3_N6thrust23THRUST_200600_302600_NS6detail15normal_iteratorINS9_10device_ptrIxEEEESE_SE_xNS9_4plusIvEENS9_8equal_toIvEExEE10hipError_tPvRmT2_T3_T4_T5_mT6_T7_P12ihipStream_tbENKUlT_T0_E_clISt17integral_constantIbLb1EESY_IbLb0EEEEDaSU_SV_EUlSU_E_NS1_11comp_targetILNS1_3genE8ELNS1_11target_archE1030ELNS1_3gpuE2ELNS1_3repE0EEENS1_30default_config_static_selectorELNS0_4arch9wavefront6targetE0EEEvT1_.uses_vcc, 0
	.set _ZN7rocprim17ROCPRIM_400000_NS6detail17trampoline_kernelINS0_14default_configENS1_27scan_by_key_config_selectorIxxEEZZNS1_16scan_by_key_implILNS1_25lookback_scan_determinismE0ELb0ES3_N6thrust23THRUST_200600_302600_NS6detail15normal_iteratorINS9_10device_ptrIxEEEESE_SE_xNS9_4plusIvEENS9_8equal_toIvEExEE10hipError_tPvRmT2_T3_T4_T5_mT6_T7_P12ihipStream_tbENKUlT_T0_E_clISt17integral_constantIbLb1EESY_IbLb0EEEEDaSU_SV_EUlSU_E_NS1_11comp_targetILNS1_3genE8ELNS1_11target_archE1030ELNS1_3gpuE2ELNS1_3repE0EEENS1_30default_config_static_selectorELNS0_4arch9wavefront6targetE0EEEvT1_.uses_flat_scratch, 0
	.set _ZN7rocprim17ROCPRIM_400000_NS6detail17trampoline_kernelINS0_14default_configENS1_27scan_by_key_config_selectorIxxEEZZNS1_16scan_by_key_implILNS1_25lookback_scan_determinismE0ELb0ES3_N6thrust23THRUST_200600_302600_NS6detail15normal_iteratorINS9_10device_ptrIxEEEESE_SE_xNS9_4plusIvEENS9_8equal_toIvEExEE10hipError_tPvRmT2_T3_T4_T5_mT6_T7_P12ihipStream_tbENKUlT_T0_E_clISt17integral_constantIbLb1EESY_IbLb0EEEEDaSU_SV_EUlSU_E_NS1_11comp_targetILNS1_3genE8ELNS1_11target_archE1030ELNS1_3gpuE2ELNS1_3repE0EEENS1_30default_config_static_selectorELNS0_4arch9wavefront6targetE0EEEvT1_.has_dyn_sized_stack, 0
	.set _ZN7rocprim17ROCPRIM_400000_NS6detail17trampoline_kernelINS0_14default_configENS1_27scan_by_key_config_selectorIxxEEZZNS1_16scan_by_key_implILNS1_25lookback_scan_determinismE0ELb0ES3_N6thrust23THRUST_200600_302600_NS6detail15normal_iteratorINS9_10device_ptrIxEEEESE_SE_xNS9_4plusIvEENS9_8equal_toIvEExEE10hipError_tPvRmT2_T3_T4_T5_mT6_T7_P12ihipStream_tbENKUlT_T0_E_clISt17integral_constantIbLb1EESY_IbLb0EEEEDaSU_SV_EUlSU_E_NS1_11comp_targetILNS1_3genE8ELNS1_11target_archE1030ELNS1_3gpuE2ELNS1_3repE0EEENS1_30default_config_static_selectorELNS0_4arch9wavefront6targetE0EEEvT1_.has_recursion, 0
	.set _ZN7rocprim17ROCPRIM_400000_NS6detail17trampoline_kernelINS0_14default_configENS1_27scan_by_key_config_selectorIxxEEZZNS1_16scan_by_key_implILNS1_25lookback_scan_determinismE0ELb0ES3_N6thrust23THRUST_200600_302600_NS6detail15normal_iteratorINS9_10device_ptrIxEEEESE_SE_xNS9_4plusIvEENS9_8equal_toIvEExEE10hipError_tPvRmT2_T3_T4_T5_mT6_T7_P12ihipStream_tbENKUlT_T0_E_clISt17integral_constantIbLb1EESY_IbLb0EEEEDaSU_SV_EUlSU_E_NS1_11comp_targetILNS1_3genE8ELNS1_11target_archE1030ELNS1_3gpuE2ELNS1_3repE0EEENS1_30default_config_static_selectorELNS0_4arch9wavefront6targetE0EEEvT1_.has_indirect_call, 0
	.section	.AMDGPU.csdata,"",@progbits
; Kernel info:
; codeLenInByte = 4
; TotalNumSgprs: 0
; NumVgprs: 0
; ScratchSize: 0
; MemoryBound: 0
; FloatMode: 240
; IeeeMode: 1
; LDSByteSize: 0 bytes/workgroup (compile time only)
; SGPRBlocks: 0
; VGPRBlocks: 0
; NumSGPRsForWavesPerEU: 1
; NumVGPRsForWavesPerEU: 1
; Occupancy: 16
; WaveLimiterHint : 0
; COMPUTE_PGM_RSRC2:SCRATCH_EN: 0
; COMPUTE_PGM_RSRC2:USER_SGPR: 6
; COMPUTE_PGM_RSRC2:TRAP_HANDLER: 0
; COMPUTE_PGM_RSRC2:TGID_X_EN: 1
; COMPUTE_PGM_RSRC2:TGID_Y_EN: 0
; COMPUTE_PGM_RSRC2:TGID_Z_EN: 0
; COMPUTE_PGM_RSRC2:TIDIG_COMP_CNT: 0
	.section	.text._ZN7rocprim17ROCPRIM_400000_NS6detail30init_device_scan_by_key_kernelINS1_19lookback_scan_stateINS0_5tupleIJxbEEELb0ELb0EEEN6thrust23THRUST_200600_302600_NS6detail15normal_iteratorINS8_10device_ptrIxEEEEjNS1_16block_id_wrapperIjLb1EEEEEvT_jjPNSG_10value_typeET0_PNSt15iterator_traitsISJ_E10value_typeEmT1_T2_,"axG",@progbits,_ZN7rocprim17ROCPRIM_400000_NS6detail30init_device_scan_by_key_kernelINS1_19lookback_scan_stateINS0_5tupleIJxbEEELb0ELb0EEEN6thrust23THRUST_200600_302600_NS6detail15normal_iteratorINS8_10device_ptrIxEEEEjNS1_16block_id_wrapperIjLb1EEEEEvT_jjPNSG_10value_typeET0_PNSt15iterator_traitsISJ_E10value_typeEmT1_T2_,comdat
	.protected	_ZN7rocprim17ROCPRIM_400000_NS6detail30init_device_scan_by_key_kernelINS1_19lookback_scan_stateINS0_5tupleIJxbEEELb0ELb0EEEN6thrust23THRUST_200600_302600_NS6detail15normal_iteratorINS8_10device_ptrIxEEEEjNS1_16block_id_wrapperIjLb1EEEEEvT_jjPNSG_10value_typeET0_PNSt15iterator_traitsISJ_E10value_typeEmT1_T2_ ; -- Begin function _ZN7rocprim17ROCPRIM_400000_NS6detail30init_device_scan_by_key_kernelINS1_19lookback_scan_stateINS0_5tupleIJxbEEELb0ELb0EEEN6thrust23THRUST_200600_302600_NS6detail15normal_iteratorINS8_10device_ptrIxEEEEjNS1_16block_id_wrapperIjLb1EEEEEvT_jjPNSG_10value_typeET0_PNSt15iterator_traitsISJ_E10value_typeEmT1_T2_
	.globl	_ZN7rocprim17ROCPRIM_400000_NS6detail30init_device_scan_by_key_kernelINS1_19lookback_scan_stateINS0_5tupleIJxbEEELb0ELb0EEEN6thrust23THRUST_200600_302600_NS6detail15normal_iteratorINS8_10device_ptrIxEEEEjNS1_16block_id_wrapperIjLb1EEEEEvT_jjPNSG_10value_typeET0_PNSt15iterator_traitsISJ_E10value_typeEmT1_T2_
	.p2align	8
	.type	_ZN7rocprim17ROCPRIM_400000_NS6detail30init_device_scan_by_key_kernelINS1_19lookback_scan_stateINS0_5tupleIJxbEEELb0ELb0EEEN6thrust23THRUST_200600_302600_NS6detail15normal_iteratorINS8_10device_ptrIxEEEEjNS1_16block_id_wrapperIjLb1EEEEEvT_jjPNSG_10value_typeET0_PNSt15iterator_traitsISJ_E10value_typeEmT1_T2_,@function
_ZN7rocprim17ROCPRIM_400000_NS6detail30init_device_scan_by_key_kernelINS1_19lookback_scan_stateINS0_5tupleIJxbEEELb0ELb0EEEN6thrust23THRUST_200600_302600_NS6detail15normal_iteratorINS8_10device_ptrIxEEEEjNS1_16block_id_wrapperIjLb1EEEEEvT_jjPNSG_10value_typeET0_PNSt15iterator_traitsISJ_E10value_typeEmT1_T2_: ; @_ZN7rocprim17ROCPRIM_400000_NS6detail30init_device_scan_by_key_kernelINS1_19lookback_scan_stateINS0_5tupleIJxbEEELb0ELb0EEEN6thrust23THRUST_200600_302600_NS6detail15normal_iteratorINS8_10device_ptrIxEEEEjNS1_16block_id_wrapperIjLb1EEEEEvT_jjPNSG_10value_typeET0_PNSt15iterator_traitsISJ_E10value_typeEmT1_T2_
; %bb.0:
	s_clause 0x2
	s_load_dword s0, s[4:5], 0x5c
	s_load_dwordx8 s[8:15], s[4:5], 0x10
	s_load_dword s18, s[4:5], 0x50
	s_waitcnt lgkmcnt(0)
	s_and_b32 s19, s0, 0xffff
	s_cmp_eq_u64 s[12:13], 0
	v_mad_u64_u32 v[0:1], null, s6, s19, v[0:1]
	s_cbranch_scc1 .LBB36_6
; %bb.1:
	s_cmp_lt_u32 s11, s10
	s_mov_b32 s7, 0
	s_cselect_b32 s0, s11, 0
	s_mov_b32 s20, exec_lo
	v_cmpx_eq_u32_e64 s0, v0
	s_cbranch_execz .LBB36_5
; %bb.2:
	s_add_i32 s6, s11, 32
	s_load_dwordx4 s[0:3], s[4:5], 0x0
	v_mov_b32_e32 v1, s6
	s_add_u32 s16, s8, s6
	s_addc_u32 s17, s9, 0
	global_load_ubyte v2, v1, s[8:9] glc dlc
	v_mov_b32_e32 v1, 0
	s_waitcnt vmcnt(0)
	v_cmp_ne_u32_sdwa s21, v2, v1 src0_sel:WORD_0 src1_sel:DWORD
	v_readfirstlane_b32 s11, v2
	s_and_b32 vcc_lo, exec_lo, s21
	s_cbranch_vccnz .LBB36_4
.LBB36_3:                               ; =>This Inner Loop Header: Depth=1
	global_load_ubyte v2, v1, s[16:17] glc dlc
	s_waitcnt vmcnt(0)
	v_cmp_eq_u32_sdwa s21, v2, v1 src0_sel:WORD_0 src1_sel:DWORD
	v_readfirstlane_b32 s11, v2
	s_and_b32 vcc_lo, exec_lo, s21
	s_cbranch_vccnz .LBB36_3
.LBB36_4:
	s_and_b32 s11, 0xffff, s11
	v_mov_b32_e32 v3, 0
	s_cmp_eq_u32 s11, 1
	s_waitcnt lgkmcnt(0)
	buffer_gl1_inv
	buffer_gl0_inv
	s_cselect_b32 s3, s1, s3
	s_cselect_b32 s2, s0, s2
	s_lshl_b64 s[0:1], s[6:7], 4
	s_add_u32 s0, s2, s0
	s_addc_u32 s1, s3, s1
	s_clause 0x1
	global_load_dwordx2 v[1:2], v3, s[0:1]
	global_load_ubyte v4, v3, s[0:1] offset:8
	s_waitcnt vmcnt(1)
	global_store_dwordx2 v3, v[1:2], s[12:13]
	s_waitcnt vmcnt(0)
	global_store_byte v3, v4, s[12:13] offset:8
.LBB36_5:
	s_or_b32 exec_lo, exec_lo, s20
.LBB36_6:
	s_mov_b32 s0, exec_lo
	v_cmpx_eq_u32_e32 0, v0
	s_cbranch_execz .LBB36_8
; %bb.7:
	s_load_dwordx2 s[2:3], s[4:5], 0x48
	v_mov_b32_e32 v1, 0
	s_waitcnt lgkmcnt(0)
	global_store_dword v1, v1, s[2:3]
.LBB36_8:
	s_or_b32 exec_lo, exec_lo, s0
	s_mov_b32 s0, exec_lo
	v_cmpx_gt_u32_e64 s10, v0
	s_cbranch_execz .LBB36_10
; %bb.9:
	v_add_nc_u32_e32 v1, 32, v0
	v_mov_b32_e32 v2, 0
	global_store_byte v1, v2, s[8:9]
.LBB36_10:
	s_or_b32 exec_lo, exec_lo, s0
	v_mov_b32_e32 v1, 0
	s_mov_b32 s0, exec_lo
	v_cmpx_gt_u32_e32 32, v0
	s_cbranch_execz .LBB36_12
; %bb.11:
	v_add_co_u32 v2, s1, s8, v0
	v_add_co_ci_u32_e64 v3, null, s9, 0, s1
	v_mov_b32_e32 v4, 0xff
	global_store_byte v[2:3], v4, off
.LBB36_12:
	s_or_b32 exec_lo, exec_lo, s0
	s_load_dwordx2 s[2:3], s[4:5], 0x38
	s_mov_b32 s0, exec_lo
	s_waitcnt lgkmcnt(0)
	v_cmpx_gt_u64_e64 s[2:3], v[0:1]
	s_cbranch_execz .LBB36_15
; %bb.13:
	s_clause 0x1
	s_load_dword s8, s[4:5], 0x40
	s_load_dwordx2 s[6:7], s[4:5], 0x30
	s_mov_b32 s1, 0
	v_lshlrev_b64 v[4:5], 3, v[0:1]
	s_mul_i32 s4, s18, s19
	s_waitcnt lgkmcnt(0)
	v_mad_u64_u32 v[2:3], null, s8, v0, 0
	s_add_i32 s0, s8, -1
	s_mul_hi_u32 s9, s8, s4
	s_lshl_b64 s[10:11], s[0:1], 3
	s_mul_i32 s8, s8, s4
	s_add_u32 s0, s14, s10
	s_addc_u32 s5, s15, s11
	v_lshlrev_b64 v[2:3], 3, v[2:3]
	v_add_co_u32 v2, vcc_lo, s0, v2
	v_add_co_ci_u32_e64 v3, null, s5, v3, vcc_lo
	v_add_co_u32 v4, vcc_lo, s6, v4
	v_add_co_ci_u32_e64 v5, null, s7, v5, vcc_lo
	s_mov_b32 s5, s1
	s_lshl_b64 s[6:7], s[8:9], 3
	s_lshl_b64 s[8:9], s[4:5], 3
	.p2align	6
.LBB36_14:                              ; =>This Inner Loop Header: Depth=1
	global_load_dwordx2 v[6:7], v[2:3], off
	v_add_co_u32 v0, vcc_lo, v0, s4
	v_add_co_ci_u32_e64 v1, null, 0, v1, vcc_lo
	v_add_co_u32 v2, vcc_lo, v2, s6
	v_add_co_ci_u32_e64 v3, null, s7, v3, vcc_lo
	v_cmp_le_u64_e32 vcc_lo, s[2:3], v[0:1]
	s_or_b32 s1, vcc_lo, s1
	s_waitcnt vmcnt(0)
	global_store_dwordx2 v[4:5], v[6:7], off
	v_add_co_u32 v4, s0, v4, s8
	v_add_co_ci_u32_e64 v5, null, s9, v5, s0
	s_andn2_b32 exec_lo, exec_lo, s1
	s_cbranch_execnz .LBB36_14
.LBB36_15:
	s_endpgm
	.section	.rodata,"a",@progbits
	.p2align	6, 0x0
	.amdhsa_kernel _ZN7rocprim17ROCPRIM_400000_NS6detail30init_device_scan_by_key_kernelINS1_19lookback_scan_stateINS0_5tupleIJxbEEELb0ELb0EEEN6thrust23THRUST_200600_302600_NS6detail15normal_iteratorINS8_10device_ptrIxEEEEjNS1_16block_id_wrapperIjLb1EEEEEvT_jjPNSG_10value_typeET0_PNSt15iterator_traitsISJ_E10value_typeEmT1_T2_
		.amdhsa_group_segment_fixed_size 0
		.amdhsa_private_segment_fixed_size 0
		.amdhsa_kernarg_size 336
		.amdhsa_user_sgpr_count 6
		.amdhsa_user_sgpr_private_segment_buffer 1
		.amdhsa_user_sgpr_dispatch_ptr 0
		.amdhsa_user_sgpr_queue_ptr 0
		.amdhsa_user_sgpr_kernarg_segment_ptr 1
		.amdhsa_user_sgpr_dispatch_id 0
		.amdhsa_user_sgpr_flat_scratch_init 0
		.amdhsa_user_sgpr_private_segment_size 0
		.amdhsa_wavefront_size32 1
		.amdhsa_uses_dynamic_stack 0
		.amdhsa_system_sgpr_private_segment_wavefront_offset 0
		.amdhsa_system_sgpr_workgroup_id_x 1
		.amdhsa_system_sgpr_workgroup_id_y 0
		.amdhsa_system_sgpr_workgroup_id_z 0
		.amdhsa_system_sgpr_workgroup_info 0
		.amdhsa_system_vgpr_workitem_id 0
		.amdhsa_next_free_vgpr 8
		.amdhsa_next_free_sgpr 22
		.amdhsa_reserve_vcc 1
		.amdhsa_reserve_flat_scratch 0
		.amdhsa_float_round_mode_32 0
		.amdhsa_float_round_mode_16_64 0
		.amdhsa_float_denorm_mode_32 3
		.amdhsa_float_denorm_mode_16_64 3
		.amdhsa_dx10_clamp 1
		.amdhsa_ieee_mode 1
		.amdhsa_fp16_overflow 0
		.amdhsa_workgroup_processor_mode 1
		.amdhsa_memory_ordered 1
		.amdhsa_forward_progress 1
		.amdhsa_shared_vgpr_count 0
		.amdhsa_exception_fp_ieee_invalid_op 0
		.amdhsa_exception_fp_denorm_src 0
		.amdhsa_exception_fp_ieee_div_zero 0
		.amdhsa_exception_fp_ieee_overflow 0
		.amdhsa_exception_fp_ieee_underflow 0
		.amdhsa_exception_fp_ieee_inexact 0
		.amdhsa_exception_int_div_zero 0
	.end_amdhsa_kernel
	.section	.text._ZN7rocprim17ROCPRIM_400000_NS6detail30init_device_scan_by_key_kernelINS1_19lookback_scan_stateINS0_5tupleIJxbEEELb0ELb0EEEN6thrust23THRUST_200600_302600_NS6detail15normal_iteratorINS8_10device_ptrIxEEEEjNS1_16block_id_wrapperIjLb1EEEEEvT_jjPNSG_10value_typeET0_PNSt15iterator_traitsISJ_E10value_typeEmT1_T2_,"axG",@progbits,_ZN7rocprim17ROCPRIM_400000_NS6detail30init_device_scan_by_key_kernelINS1_19lookback_scan_stateINS0_5tupleIJxbEEELb0ELb0EEEN6thrust23THRUST_200600_302600_NS6detail15normal_iteratorINS8_10device_ptrIxEEEEjNS1_16block_id_wrapperIjLb1EEEEEvT_jjPNSG_10value_typeET0_PNSt15iterator_traitsISJ_E10value_typeEmT1_T2_,comdat
.Lfunc_end36:
	.size	_ZN7rocprim17ROCPRIM_400000_NS6detail30init_device_scan_by_key_kernelINS1_19lookback_scan_stateINS0_5tupleIJxbEEELb0ELb0EEEN6thrust23THRUST_200600_302600_NS6detail15normal_iteratorINS8_10device_ptrIxEEEEjNS1_16block_id_wrapperIjLb1EEEEEvT_jjPNSG_10value_typeET0_PNSt15iterator_traitsISJ_E10value_typeEmT1_T2_, .Lfunc_end36-_ZN7rocprim17ROCPRIM_400000_NS6detail30init_device_scan_by_key_kernelINS1_19lookback_scan_stateINS0_5tupleIJxbEEELb0ELb0EEEN6thrust23THRUST_200600_302600_NS6detail15normal_iteratorINS8_10device_ptrIxEEEEjNS1_16block_id_wrapperIjLb1EEEEEvT_jjPNSG_10value_typeET0_PNSt15iterator_traitsISJ_E10value_typeEmT1_T2_
                                        ; -- End function
	.set _ZN7rocprim17ROCPRIM_400000_NS6detail30init_device_scan_by_key_kernelINS1_19lookback_scan_stateINS0_5tupleIJxbEEELb0ELb0EEEN6thrust23THRUST_200600_302600_NS6detail15normal_iteratorINS8_10device_ptrIxEEEEjNS1_16block_id_wrapperIjLb1EEEEEvT_jjPNSG_10value_typeET0_PNSt15iterator_traitsISJ_E10value_typeEmT1_T2_.num_vgpr, 8
	.set _ZN7rocprim17ROCPRIM_400000_NS6detail30init_device_scan_by_key_kernelINS1_19lookback_scan_stateINS0_5tupleIJxbEEELb0ELb0EEEN6thrust23THRUST_200600_302600_NS6detail15normal_iteratorINS8_10device_ptrIxEEEEjNS1_16block_id_wrapperIjLb1EEEEEvT_jjPNSG_10value_typeET0_PNSt15iterator_traitsISJ_E10value_typeEmT1_T2_.num_agpr, 0
	.set _ZN7rocprim17ROCPRIM_400000_NS6detail30init_device_scan_by_key_kernelINS1_19lookback_scan_stateINS0_5tupleIJxbEEELb0ELb0EEEN6thrust23THRUST_200600_302600_NS6detail15normal_iteratorINS8_10device_ptrIxEEEEjNS1_16block_id_wrapperIjLb1EEEEEvT_jjPNSG_10value_typeET0_PNSt15iterator_traitsISJ_E10value_typeEmT1_T2_.numbered_sgpr, 22
	.set _ZN7rocprim17ROCPRIM_400000_NS6detail30init_device_scan_by_key_kernelINS1_19lookback_scan_stateINS0_5tupleIJxbEEELb0ELb0EEEN6thrust23THRUST_200600_302600_NS6detail15normal_iteratorINS8_10device_ptrIxEEEEjNS1_16block_id_wrapperIjLb1EEEEEvT_jjPNSG_10value_typeET0_PNSt15iterator_traitsISJ_E10value_typeEmT1_T2_.num_named_barrier, 0
	.set _ZN7rocprim17ROCPRIM_400000_NS6detail30init_device_scan_by_key_kernelINS1_19lookback_scan_stateINS0_5tupleIJxbEEELb0ELb0EEEN6thrust23THRUST_200600_302600_NS6detail15normal_iteratorINS8_10device_ptrIxEEEEjNS1_16block_id_wrapperIjLb1EEEEEvT_jjPNSG_10value_typeET0_PNSt15iterator_traitsISJ_E10value_typeEmT1_T2_.private_seg_size, 0
	.set _ZN7rocprim17ROCPRIM_400000_NS6detail30init_device_scan_by_key_kernelINS1_19lookback_scan_stateINS0_5tupleIJxbEEELb0ELb0EEEN6thrust23THRUST_200600_302600_NS6detail15normal_iteratorINS8_10device_ptrIxEEEEjNS1_16block_id_wrapperIjLb1EEEEEvT_jjPNSG_10value_typeET0_PNSt15iterator_traitsISJ_E10value_typeEmT1_T2_.uses_vcc, 1
	.set _ZN7rocprim17ROCPRIM_400000_NS6detail30init_device_scan_by_key_kernelINS1_19lookback_scan_stateINS0_5tupleIJxbEEELb0ELb0EEEN6thrust23THRUST_200600_302600_NS6detail15normal_iteratorINS8_10device_ptrIxEEEEjNS1_16block_id_wrapperIjLb1EEEEEvT_jjPNSG_10value_typeET0_PNSt15iterator_traitsISJ_E10value_typeEmT1_T2_.uses_flat_scratch, 0
	.set _ZN7rocprim17ROCPRIM_400000_NS6detail30init_device_scan_by_key_kernelINS1_19lookback_scan_stateINS0_5tupleIJxbEEELb0ELb0EEEN6thrust23THRUST_200600_302600_NS6detail15normal_iteratorINS8_10device_ptrIxEEEEjNS1_16block_id_wrapperIjLb1EEEEEvT_jjPNSG_10value_typeET0_PNSt15iterator_traitsISJ_E10value_typeEmT1_T2_.has_dyn_sized_stack, 0
	.set _ZN7rocprim17ROCPRIM_400000_NS6detail30init_device_scan_by_key_kernelINS1_19lookback_scan_stateINS0_5tupleIJxbEEELb0ELb0EEEN6thrust23THRUST_200600_302600_NS6detail15normal_iteratorINS8_10device_ptrIxEEEEjNS1_16block_id_wrapperIjLb1EEEEEvT_jjPNSG_10value_typeET0_PNSt15iterator_traitsISJ_E10value_typeEmT1_T2_.has_recursion, 0
	.set _ZN7rocprim17ROCPRIM_400000_NS6detail30init_device_scan_by_key_kernelINS1_19lookback_scan_stateINS0_5tupleIJxbEEELb0ELb0EEEN6thrust23THRUST_200600_302600_NS6detail15normal_iteratorINS8_10device_ptrIxEEEEjNS1_16block_id_wrapperIjLb1EEEEEvT_jjPNSG_10value_typeET0_PNSt15iterator_traitsISJ_E10value_typeEmT1_T2_.has_indirect_call, 0
	.section	.AMDGPU.csdata,"",@progbits
; Kernel info:
; codeLenInByte = 664
; TotalNumSgprs: 24
; NumVgprs: 8
; ScratchSize: 0
; MemoryBound: 0
; FloatMode: 240
; IeeeMode: 1
; LDSByteSize: 0 bytes/workgroup (compile time only)
; SGPRBlocks: 0
; VGPRBlocks: 0
; NumSGPRsForWavesPerEU: 24
; NumVGPRsForWavesPerEU: 8
; Occupancy: 16
; WaveLimiterHint : 0
; COMPUTE_PGM_RSRC2:SCRATCH_EN: 0
; COMPUTE_PGM_RSRC2:USER_SGPR: 6
; COMPUTE_PGM_RSRC2:TRAP_HANDLER: 0
; COMPUTE_PGM_RSRC2:TGID_X_EN: 1
; COMPUTE_PGM_RSRC2:TGID_Y_EN: 0
; COMPUTE_PGM_RSRC2:TGID_Z_EN: 0
; COMPUTE_PGM_RSRC2:TIDIG_COMP_CNT: 0
	.section	.text._ZN7rocprim17ROCPRIM_400000_NS6detail30init_device_scan_by_key_kernelINS1_19lookback_scan_stateINS0_5tupleIJxbEEELb0ELb0EEENS1_16block_id_wrapperIjLb1EEEEEvT_jjPNS9_10value_typeET0_,"axG",@progbits,_ZN7rocprim17ROCPRIM_400000_NS6detail30init_device_scan_by_key_kernelINS1_19lookback_scan_stateINS0_5tupleIJxbEEELb0ELb0EEENS1_16block_id_wrapperIjLb1EEEEEvT_jjPNS9_10value_typeET0_,comdat
	.protected	_ZN7rocprim17ROCPRIM_400000_NS6detail30init_device_scan_by_key_kernelINS1_19lookback_scan_stateINS0_5tupleIJxbEEELb0ELb0EEENS1_16block_id_wrapperIjLb1EEEEEvT_jjPNS9_10value_typeET0_ ; -- Begin function _ZN7rocprim17ROCPRIM_400000_NS6detail30init_device_scan_by_key_kernelINS1_19lookback_scan_stateINS0_5tupleIJxbEEELb0ELb0EEENS1_16block_id_wrapperIjLb1EEEEEvT_jjPNS9_10value_typeET0_
	.globl	_ZN7rocprim17ROCPRIM_400000_NS6detail30init_device_scan_by_key_kernelINS1_19lookback_scan_stateINS0_5tupleIJxbEEELb0ELb0EEENS1_16block_id_wrapperIjLb1EEEEEvT_jjPNS9_10value_typeET0_
	.p2align	8
	.type	_ZN7rocprim17ROCPRIM_400000_NS6detail30init_device_scan_by_key_kernelINS1_19lookback_scan_stateINS0_5tupleIJxbEEELb0ELb0EEENS1_16block_id_wrapperIjLb1EEEEEvT_jjPNS9_10value_typeET0_,@function
_ZN7rocprim17ROCPRIM_400000_NS6detail30init_device_scan_by_key_kernelINS1_19lookback_scan_stateINS0_5tupleIJxbEEELb0ELb0EEENS1_16block_id_wrapperIjLb1EEEEEvT_jjPNS9_10value_typeET0_: ; @_ZN7rocprim17ROCPRIM_400000_NS6detail30init_device_scan_by_key_kernelINS1_19lookback_scan_stateINS0_5tupleIJxbEEELb0ELb0EEENS1_16block_id_wrapperIjLb1EEEEEvT_jjPNS9_10value_typeET0_
; %bb.0:
	s_clause 0x1
	s_load_dword s0, s[4:5], 0x3c
	s_load_dwordx8 s[8:15], s[4:5], 0x10
	s_waitcnt lgkmcnt(0)
	s_and_b32 s0, s0, 0xffff
	s_cmp_eq_u64 s[12:13], 0
	v_mad_u64_u32 v[0:1], null, s6, s0, v[0:1]
	s_cbranch_scc1 .LBB37_6
; %bb.1:
	s_cmp_lt_u32 s11, s10
	s_mov_b32 s7, 0
	s_cselect_b32 s0, s11, 0
	s_mov_b32 s16, exec_lo
	v_cmpx_eq_u32_e64 s0, v0
	s_cbranch_execz .LBB37_5
; %bb.2:
	s_add_i32 s6, s11, 32
	s_load_dwordx4 s[0:3], s[4:5], 0x0
	v_mov_b32_e32 v1, s6
	s_add_u32 s4, s8, s6
	s_addc_u32 s5, s9, 0
	global_load_ubyte v2, v1, s[8:9] glc dlc
	v_mov_b32_e32 v1, 0
	s_waitcnt vmcnt(0)
	v_cmp_ne_u32_sdwa s17, v2, v1 src0_sel:WORD_0 src1_sel:DWORD
	v_readfirstlane_b32 s11, v2
	s_and_b32 vcc_lo, exec_lo, s17
	s_cbranch_vccnz .LBB37_4
.LBB37_3:                               ; =>This Inner Loop Header: Depth=1
	global_load_ubyte v2, v1, s[4:5] glc dlc
	s_waitcnt vmcnt(0)
	v_cmp_eq_u32_sdwa s17, v2, v1 src0_sel:WORD_0 src1_sel:DWORD
	v_readfirstlane_b32 s11, v2
	s_and_b32 vcc_lo, exec_lo, s17
	s_cbranch_vccnz .LBB37_3
.LBB37_4:
	s_and_b32 s4, 0xffff, s11
	v_mov_b32_e32 v3, 0
	s_cmp_eq_u32 s4, 1
	s_waitcnt lgkmcnt(0)
	buffer_gl1_inv
	buffer_gl0_inv
	s_cselect_b32 s3, s1, s3
	s_cselect_b32 s2, s0, s2
	s_lshl_b64 s[0:1], s[6:7], 4
	s_add_u32 s0, s2, s0
	s_addc_u32 s1, s3, s1
	s_clause 0x1
	global_load_dwordx2 v[1:2], v3, s[0:1]
	global_load_ubyte v4, v3, s[0:1] offset:8
	s_waitcnt vmcnt(1)
	global_store_dwordx2 v3, v[1:2], s[12:13]
	s_waitcnt vmcnt(0)
	global_store_byte v3, v4, s[12:13] offset:8
.LBB37_5:
	s_or_b32 exec_lo, exec_lo, s16
.LBB37_6:
	s_mov_b32 s0, exec_lo
	v_cmpx_eq_u32_e32 0, v0
	s_cbranch_execz .LBB37_8
; %bb.7:
	v_mov_b32_e32 v1, 0
	global_store_dword v1, v1, s[14:15]
.LBB37_8:
	s_or_b32 exec_lo, exec_lo, s0
	s_mov_b32 s0, exec_lo
	v_cmpx_gt_u32_e64 s10, v0
	s_cbranch_execz .LBB37_10
; %bb.9:
	v_add_nc_u32_e32 v1, 32, v0
	v_mov_b32_e32 v2, 0
	global_store_byte v1, v2, s[8:9]
.LBB37_10:
	s_or_b32 exec_lo, exec_lo, s0
	s_mov_b32 s0, exec_lo
	v_cmpx_gt_u32_e32 32, v0
	s_cbranch_execz .LBB37_12
; %bb.11:
	v_mov_b32_e32 v1, 0xff
	global_store_byte v0, v1, s[8:9]
.LBB37_12:
	s_endpgm
	.section	.rodata,"a",@progbits
	.p2align	6, 0x0
	.amdhsa_kernel _ZN7rocprim17ROCPRIM_400000_NS6detail30init_device_scan_by_key_kernelINS1_19lookback_scan_stateINS0_5tupleIJxbEEELb0ELb0EEENS1_16block_id_wrapperIjLb1EEEEEvT_jjPNS9_10value_typeET0_
		.amdhsa_group_segment_fixed_size 0
		.amdhsa_private_segment_fixed_size 0
		.amdhsa_kernarg_size 304
		.amdhsa_user_sgpr_count 6
		.amdhsa_user_sgpr_private_segment_buffer 1
		.amdhsa_user_sgpr_dispatch_ptr 0
		.amdhsa_user_sgpr_queue_ptr 0
		.amdhsa_user_sgpr_kernarg_segment_ptr 1
		.amdhsa_user_sgpr_dispatch_id 0
		.amdhsa_user_sgpr_flat_scratch_init 0
		.amdhsa_user_sgpr_private_segment_size 0
		.amdhsa_wavefront_size32 1
		.amdhsa_uses_dynamic_stack 0
		.amdhsa_system_sgpr_private_segment_wavefront_offset 0
		.amdhsa_system_sgpr_workgroup_id_x 1
		.amdhsa_system_sgpr_workgroup_id_y 0
		.amdhsa_system_sgpr_workgroup_id_z 0
		.amdhsa_system_sgpr_workgroup_info 0
		.amdhsa_system_vgpr_workitem_id 0
		.amdhsa_next_free_vgpr 5
		.amdhsa_next_free_sgpr 18
		.amdhsa_reserve_vcc 1
		.amdhsa_reserve_flat_scratch 0
		.amdhsa_float_round_mode_32 0
		.amdhsa_float_round_mode_16_64 0
		.amdhsa_float_denorm_mode_32 3
		.amdhsa_float_denorm_mode_16_64 3
		.amdhsa_dx10_clamp 1
		.amdhsa_ieee_mode 1
		.amdhsa_fp16_overflow 0
		.amdhsa_workgroup_processor_mode 1
		.amdhsa_memory_ordered 1
		.amdhsa_forward_progress 1
		.amdhsa_shared_vgpr_count 0
		.amdhsa_exception_fp_ieee_invalid_op 0
		.amdhsa_exception_fp_denorm_src 0
		.amdhsa_exception_fp_ieee_div_zero 0
		.amdhsa_exception_fp_ieee_overflow 0
		.amdhsa_exception_fp_ieee_underflow 0
		.amdhsa_exception_fp_ieee_inexact 0
		.amdhsa_exception_int_div_zero 0
	.end_amdhsa_kernel
	.section	.text._ZN7rocprim17ROCPRIM_400000_NS6detail30init_device_scan_by_key_kernelINS1_19lookback_scan_stateINS0_5tupleIJxbEEELb0ELb0EEENS1_16block_id_wrapperIjLb1EEEEEvT_jjPNS9_10value_typeET0_,"axG",@progbits,_ZN7rocprim17ROCPRIM_400000_NS6detail30init_device_scan_by_key_kernelINS1_19lookback_scan_stateINS0_5tupleIJxbEEELb0ELb0EEENS1_16block_id_wrapperIjLb1EEEEEvT_jjPNS9_10value_typeET0_,comdat
.Lfunc_end37:
	.size	_ZN7rocprim17ROCPRIM_400000_NS6detail30init_device_scan_by_key_kernelINS1_19lookback_scan_stateINS0_5tupleIJxbEEELb0ELb0EEENS1_16block_id_wrapperIjLb1EEEEEvT_jjPNS9_10value_typeET0_, .Lfunc_end37-_ZN7rocprim17ROCPRIM_400000_NS6detail30init_device_scan_by_key_kernelINS1_19lookback_scan_stateINS0_5tupleIJxbEEELb0ELb0EEENS1_16block_id_wrapperIjLb1EEEEEvT_jjPNS9_10value_typeET0_
                                        ; -- End function
	.set _ZN7rocprim17ROCPRIM_400000_NS6detail30init_device_scan_by_key_kernelINS1_19lookback_scan_stateINS0_5tupleIJxbEEELb0ELb0EEENS1_16block_id_wrapperIjLb1EEEEEvT_jjPNS9_10value_typeET0_.num_vgpr, 5
	.set _ZN7rocprim17ROCPRIM_400000_NS6detail30init_device_scan_by_key_kernelINS1_19lookback_scan_stateINS0_5tupleIJxbEEELb0ELb0EEENS1_16block_id_wrapperIjLb1EEEEEvT_jjPNS9_10value_typeET0_.num_agpr, 0
	.set _ZN7rocprim17ROCPRIM_400000_NS6detail30init_device_scan_by_key_kernelINS1_19lookback_scan_stateINS0_5tupleIJxbEEELb0ELb0EEENS1_16block_id_wrapperIjLb1EEEEEvT_jjPNS9_10value_typeET0_.numbered_sgpr, 18
	.set _ZN7rocprim17ROCPRIM_400000_NS6detail30init_device_scan_by_key_kernelINS1_19lookback_scan_stateINS0_5tupleIJxbEEELb0ELb0EEENS1_16block_id_wrapperIjLb1EEEEEvT_jjPNS9_10value_typeET0_.num_named_barrier, 0
	.set _ZN7rocprim17ROCPRIM_400000_NS6detail30init_device_scan_by_key_kernelINS1_19lookback_scan_stateINS0_5tupleIJxbEEELb0ELb0EEENS1_16block_id_wrapperIjLb1EEEEEvT_jjPNS9_10value_typeET0_.private_seg_size, 0
	.set _ZN7rocprim17ROCPRIM_400000_NS6detail30init_device_scan_by_key_kernelINS1_19lookback_scan_stateINS0_5tupleIJxbEEELb0ELb0EEENS1_16block_id_wrapperIjLb1EEEEEvT_jjPNS9_10value_typeET0_.uses_vcc, 1
	.set _ZN7rocprim17ROCPRIM_400000_NS6detail30init_device_scan_by_key_kernelINS1_19lookback_scan_stateINS0_5tupleIJxbEEELb0ELb0EEENS1_16block_id_wrapperIjLb1EEEEEvT_jjPNS9_10value_typeET0_.uses_flat_scratch, 0
	.set _ZN7rocprim17ROCPRIM_400000_NS6detail30init_device_scan_by_key_kernelINS1_19lookback_scan_stateINS0_5tupleIJxbEEELb0ELb0EEENS1_16block_id_wrapperIjLb1EEEEEvT_jjPNS9_10value_typeET0_.has_dyn_sized_stack, 0
	.set _ZN7rocprim17ROCPRIM_400000_NS6detail30init_device_scan_by_key_kernelINS1_19lookback_scan_stateINS0_5tupleIJxbEEELb0ELb0EEENS1_16block_id_wrapperIjLb1EEEEEvT_jjPNS9_10value_typeET0_.has_recursion, 0
	.set _ZN7rocprim17ROCPRIM_400000_NS6detail30init_device_scan_by_key_kernelINS1_19lookback_scan_stateINS0_5tupleIJxbEEELb0ELb0EEENS1_16block_id_wrapperIjLb1EEEEEvT_jjPNS9_10value_typeET0_.has_indirect_call, 0
	.section	.AMDGPU.csdata,"",@progbits
; Kernel info:
; codeLenInByte = 368
; TotalNumSgprs: 20
; NumVgprs: 5
; ScratchSize: 0
; MemoryBound: 0
; FloatMode: 240
; IeeeMode: 1
; LDSByteSize: 0 bytes/workgroup (compile time only)
; SGPRBlocks: 0
; VGPRBlocks: 0
; NumSGPRsForWavesPerEU: 20
; NumVGPRsForWavesPerEU: 5
; Occupancy: 16
; WaveLimiterHint : 0
; COMPUTE_PGM_RSRC2:SCRATCH_EN: 0
; COMPUTE_PGM_RSRC2:USER_SGPR: 6
; COMPUTE_PGM_RSRC2:TRAP_HANDLER: 0
; COMPUTE_PGM_RSRC2:TGID_X_EN: 1
; COMPUTE_PGM_RSRC2:TGID_Y_EN: 0
; COMPUTE_PGM_RSRC2:TGID_Z_EN: 0
; COMPUTE_PGM_RSRC2:TIDIG_COMP_CNT: 0
	.section	.text._ZN7rocprim17ROCPRIM_400000_NS6detail17trampoline_kernelINS0_14default_configENS1_27scan_by_key_config_selectorIxxEEZZNS1_16scan_by_key_implILNS1_25lookback_scan_determinismE0ELb0ES3_N6thrust23THRUST_200600_302600_NS6detail15normal_iteratorINS9_10device_ptrIxEEEESE_SE_xNS9_4plusIvEENS9_8equal_toIvEExEE10hipError_tPvRmT2_T3_T4_T5_mT6_T7_P12ihipStream_tbENKUlT_T0_E_clISt17integral_constantIbLb0EESY_IbLb1EEEEDaSU_SV_EUlSU_E_NS1_11comp_targetILNS1_3genE0ELNS1_11target_archE4294967295ELNS1_3gpuE0ELNS1_3repE0EEENS1_30default_config_static_selectorELNS0_4arch9wavefront6targetE0EEEvT1_,"axG",@progbits,_ZN7rocprim17ROCPRIM_400000_NS6detail17trampoline_kernelINS0_14default_configENS1_27scan_by_key_config_selectorIxxEEZZNS1_16scan_by_key_implILNS1_25lookback_scan_determinismE0ELb0ES3_N6thrust23THRUST_200600_302600_NS6detail15normal_iteratorINS9_10device_ptrIxEEEESE_SE_xNS9_4plusIvEENS9_8equal_toIvEExEE10hipError_tPvRmT2_T3_T4_T5_mT6_T7_P12ihipStream_tbENKUlT_T0_E_clISt17integral_constantIbLb0EESY_IbLb1EEEEDaSU_SV_EUlSU_E_NS1_11comp_targetILNS1_3genE0ELNS1_11target_archE4294967295ELNS1_3gpuE0ELNS1_3repE0EEENS1_30default_config_static_selectorELNS0_4arch9wavefront6targetE0EEEvT1_,comdat
	.protected	_ZN7rocprim17ROCPRIM_400000_NS6detail17trampoline_kernelINS0_14default_configENS1_27scan_by_key_config_selectorIxxEEZZNS1_16scan_by_key_implILNS1_25lookback_scan_determinismE0ELb0ES3_N6thrust23THRUST_200600_302600_NS6detail15normal_iteratorINS9_10device_ptrIxEEEESE_SE_xNS9_4plusIvEENS9_8equal_toIvEExEE10hipError_tPvRmT2_T3_T4_T5_mT6_T7_P12ihipStream_tbENKUlT_T0_E_clISt17integral_constantIbLb0EESY_IbLb1EEEEDaSU_SV_EUlSU_E_NS1_11comp_targetILNS1_3genE0ELNS1_11target_archE4294967295ELNS1_3gpuE0ELNS1_3repE0EEENS1_30default_config_static_selectorELNS0_4arch9wavefront6targetE0EEEvT1_ ; -- Begin function _ZN7rocprim17ROCPRIM_400000_NS6detail17trampoline_kernelINS0_14default_configENS1_27scan_by_key_config_selectorIxxEEZZNS1_16scan_by_key_implILNS1_25lookback_scan_determinismE0ELb0ES3_N6thrust23THRUST_200600_302600_NS6detail15normal_iteratorINS9_10device_ptrIxEEEESE_SE_xNS9_4plusIvEENS9_8equal_toIvEExEE10hipError_tPvRmT2_T3_T4_T5_mT6_T7_P12ihipStream_tbENKUlT_T0_E_clISt17integral_constantIbLb0EESY_IbLb1EEEEDaSU_SV_EUlSU_E_NS1_11comp_targetILNS1_3genE0ELNS1_11target_archE4294967295ELNS1_3gpuE0ELNS1_3repE0EEENS1_30default_config_static_selectorELNS0_4arch9wavefront6targetE0EEEvT1_
	.globl	_ZN7rocprim17ROCPRIM_400000_NS6detail17trampoline_kernelINS0_14default_configENS1_27scan_by_key_config_selectorIxxEEZZNS1_16scan_by_key_implILNS1_25lookback_scan_determinismE0ELb0ES3_N6thrust23THRUST_200600_302600_NS6detail15normal_iteratorINS9_10device_ptrIxEEEESE_SE_xNS9_4plusIvEENS9_8equal_toIvEExEE10hipError_tPvRmT2_T3_T4_T5_mT6_T7_P12ihipStream_tbENKUlT_T0_E_clISt17integral_constantIbLb0EESY_IbLb1EEEEDaSU_SV_EUlSU_E_NS1_11comp_targetILNS1_3genE0ELNS1_11target_archE4294967295ELNS1_3gpuE0ELNS1_3repE0EEENS1_30default_config_static_selectorELNS0_4arch9wavefront6targetE0EEEvT1_
	.p2align	8
	.type	_ZN7rocprim17ROCPRIM_400000_NS6detail17trampoline_kernelINS0_14default_configENS1_27scan_by_key_config_selectorIxxEEZZNS1_16scan_by_key_implILNS1_25lookback_scan_determinismE0ELb0ES3_N6thrust23THRUST_200600_302600_NS6detail15normal_iteratorINS9_10device_ptrIxEEEESE_SE_xNS9_4plusIvEENS9_8equal_toIvEExEE10hipError_tPvRmT2_T3_T4_T5_mT6_T7_P12ihipStream_tbENKUlT_T0_E_clISt17integral_constantIbLb0EESY_IbLb1EEEEDaSU_SV_EUlSU_E_NS1_11comp_targetILNS1_3genE0ELNS1_11target_archE4294967295ELNS1_3gpuE0ELNS1_3repE0EEENS1_30default_config_static_selectorELNS0_4arch9wavefront6targetE0EEEvT1_,@function
_ZN7rocprim17ROCPRIM_400000_NS6detail17trampoline_kernelINS0_14default_configENS1_27scan_by_key_config_selectorIxxEEZZNS1_16scan_by_key_implILNS1_25lookback_scan_determinismE0ELb0ES3_N6thrust23THRUST_200600_302600_NS6detail15normal_iteratorINS9_10device_ptrIxEEEESE_SE_xNS9_4plusIvEENS9_8equal_toIvEExEE10hipError_tPvRmT2_T3_T4_T5_mT6_T7_P12ihipStream_tbENKUlT_T0_E_clISt17integral_constantIbLb0EESY_IbLb1EEEEDaSU_SV_EUlSU_E_NS1_11comp_targetILNS1_3genE0ELNS1_11target_archE4294967295ELNS1_3gpuE0ELNS1_3repE0EEENS1_30default_config_static_selectorELNS0_4arch9wavefront6targetE0EEEvT1_: ; @_ZN7rocprim17ROCPRIM_400000_NS6detail17trampoline_kernelINS0_14default_configENS1_27scan_by_key_config_selectorIxxEEZZNS1_16scan_by_key_implILNS1_25lookback_scan_determinismE0ELb0ES3_N6thrust23THRUST_200600_302600_NS6detail15normal_iteratorINS9_10device_ptrIxEEEESE_SE_xNS9_4plusIvEENS9_8equal_toIvEExEE10hipError_tPvRmT2_T3_T4_T5_mT6_T7_P12ihipStream_tbENKUlT_T0_E_clISt17integral_constantIbLb0EESY_IbLb1EEEEDaSU_SV_EUlSU_E_NS1_11comp_targetILNS1_3genE0ELNS1_11target_archE4294967295ELNS1_3gpuE0ELNS1_3repE0EEENS1_30default_config_static_selectorELNS0_4arch9wavefront6targetE0EEEvT1_
; %bb.0:
	.section	.rodata,"a",@progbits
	.p2align	6, 0x0
	.amdhsa_kernel _ZN7rocprim17ROCPRIM_400000_NS6detail17trampoline_kernelINS0_14default_configENS1_27scan_by_key_config_selectorIxxEEZZNS1_16scan_by_key_implILNS1_25lookback_scan_determinismE0ELb0ES3_N6thrust23THRUST_200600_302600_NS6detail15normal_iteratorINS9_10device_ptrIxEEEESE_SE_xNS9_4plusIvEENS9_8equal_toIvEExEE10hipError_tPvRmT2_T3_T4_T5_mT6_T7_P12ihipStream_tbENKUlT_T0_E_clISt17integral_constantIbLb0EESY_IbLb1EEEEDaSU_SV_EUlSU_E_NS1_11comp_targetILNS1_3genE0ELNS1_11target_archE4294967295ELNS1_3gpuE0ELNS1_3repE0EEENS1_30default_config_static_selectorELNS0_4arch9wavefront6targetE0EEEvT1_
		.amdhsa_group_segment_fixed_size 0
		.amdhsa_private_segment_fixed_size 0
		.amdhsa_kernarg_size 136
		.amdhsa_user_sgpr_count 6
		.amdhsa_user_sgpr_private_segment_buffer 1
		.amdhsa_user_sgpr_dispatch_ptr 0
		.amdhsa_user_sgpr_queue_ptr 0
		.amdhsa_user_sgpr_kernarg_segment_ptr 1
		.amdhsa_user_sgpr_dispatch_id 0
		.amdhsa_user_sgpr_flat_scratch_init 0
		.amdhsa_user_sgpr_private_segment_size 0
		.amdhsa_wavefront_size32 1
		.amdhsa_uses_dynamic_stack 0
		.amdhsa_system_sgpr_private_segment_wavefront_offset 0
		.amdhsa_system_sgpr_workgroup_id_x 1
		.amdhsa_system_sgpr_workgroup_id_y 0
		.amdhsa_system_sgpr_workgroup_id_z 0
		.amdhsa_system_sgpr_workgroup_info 0
		.amdhsa_system_vgpr_workitem_id 0
		.amdhsa_next_free_vgpr 1
		.amdhsa_next_free_sgpr 1
		.amdhsa_reserve_vcc 0
		.amdhsa_reserve_flat_scratch 0
		.amdhsa_float_round_mode_32 0
		.amdhsa_float_round_mode_16_64 0
		.amdhsa_float_denorm_mode_32 3
		.amdhsa_float_denorm_mode_16_64 3
		.amdhsa_dx10_clamp 1
		.amdhsa_ieee_mode 1
		.amdhsa_fp16_overflow 0
		.amdhsa_workgroup_processor_mode 1
		.amdhsa_memory_ordered 1
		.amdhsa_forward_progress 1
		.amdhsa_shared_vgpr_count 0
		.amdhsa_exception_fp_ieee_invalid_op 0
		.amdhsa_exception_fp_denorm_src 0
		.amdhsa_exception_fp_ieee_div_zero 0
		.amdhsa_exception_fp_ieee_overflow 0
		.amdhsa_exception_fp_ieee_underflow 0
		.amdhsa_exception_fp_ieee_inexact 0
		.amdhsa_exception_int_div_zero 0
	.end_amdhsa_kernel
	.section	.text._ZN7rocprim17ROCPRIM_400000_NS6detail17trampoline_kernelINS0_14default_configENS1_27scan_by_key_config_selectorIxxEEZZNS1_16scan_by_key_implILNS1_25lookback_scan_determinismE0ELb0ES3_N6thrust23THRUST_200600_302600_NS6detail15normal_iteratorINS9_10device_ptrIxEEEESE_SE_xNS9_4plusIvEENS9_8equal_toIvEExEE10hipError_tPvRmT2_T3_T4_T5_mT6_T7_P12ihipStream_tbENKUlT_T0_E_clISt17integral_constantIbLb0EESY_IbLb1EEEEDaSU_SV_EUlSU_E_NS1_11comp_targetILNS1_3genE0ELNS1_11target_archE4294967295ELNS1_3gpuE0ELNS1_3repE0EEENS1_30default_config_static_selectorELNS0_4arch9wavefront6targetE0EEEvT1_,"axG",@progbits,_ZN7rocprim17ROCPRIM_400000_NS6detail17trampoline_kernelINS0_14default_configENS1_27scan_by_key_config_selectorIxxEEZZNS1_16scan_by_key_implILNS1_25lookback_scan_determinismE0ELb0ES3_N6thrust23THRUST_200600_302600_NS6detail15normal_iteratorINS9_10device_ptrIxEEEESE_SE_xNS9_4plusIvEENS9_8equal_toIvEExEE10hipError_tPvRmT2_T3_T4_T5_mT6_T7_P12ihipStream_tbENKUlT_T0_E_clISt17integral_constantIbLb0EESY_IbLb1EEEEDaSU_SV_EUlSU_E_NS1_11comp_targetILNS1_3genE0ELNS1_11target_archE4294967295ELNS1_3gpuE0ELNS1_3repE0EEENS1_30default_config_static_selectorELNS0_4arch9wavefront6targetE0EEEvT1_,comdat
.Lfunc_end38:
	.size	_ZN7rocprim17ROCPRIM_400000_NS6detail17trampoline_kernelINS0_14default_configENS1_27scan_by_key_config_selectorIxxEEZZNS1_16scan_by_key_implILNS1_25lookback_scan_determinismE0ELb0ES3_N6thrust23THRUST_200600_302600_NS6detail15normal_iteratorINS9_10device_ptrIxEEEESE_SE_xNS9_4plusIvEENS9_8equal_toIvEExEE10hipError_tPvRmT2_T3_T4_T5_mT6_T7_P12ihipStream_tbENKUlT_T0_E_clISt17integral_constantIbLb0EESY_IbLb1EEEEDaSU_SV_EUlSU_E_NS1_11comp_targetILNS1_3genE0ELNS1_11target_archE4294967295ELNS1_3gpuE0ELNS1_3repE0EEENS1_30default_config_static_selectorELNS0_4arch9wavefront6targetE0EEEvT1_, .Lfunc_end38-_ZN7rocprim17ROCPRIM_400000_NS6detail17trampoline_kernelINS0_14default_configENS1_27scan_by_key_config_selectorIxxEEZZNS1_16scan_by_key_implILNS1_25lookback_scan_determinismE0ELb0ES3_N6thrust23THRUST_200600_302600_NS6detail15normal_iteratorINS9_10device_ptrIxEEEESE_SE_xNS9_4plusIvEENS9_8equal_toIvEExEE10hipError_tPvRmT2_T3_T4_T5_mT6_T7_P12ihipStream_tbENKUlT_T0_E_clISt17integral_constantIbLb0EESY_IbLb1EEEEDaSU_SV_EUlSU_E_NS1_11comp_targetILNS1_3genE0ELNS1_11target_archE4294967295ELNS1_3gpuE0ELNS1_3repE0EEENS1_30default_config_static_selectorELNS0_4arch9wavefront6targetE0EEEvT1_
                                        ; -- End function
	.set _ZN7rocprim17ROCPRIM_400000_NS6detail17trampoline_kernelINS0_14default_configENS1_27scan_by_key_config_selectorIxxEEZZNS1_16scan_by_key_implILNS1_25lookback_scan_determinismE0ELb0ES3_N6thrust23THRUST_200600_302600_NS6detail15normal_iteratorINS9_10device_ptrIxEEEESE_SE_xNS9_4plusIvEENS9_8equal_toIvEExEE10hipError_tPvRmT2_T3_T4_T5_mT6_T7_P12ihipStream_tbENKUlT_T0_E_clISt17integral_constantIbLb0EESY_IbLb1EEEEDaSU_SV_EUlSU_E_NS1_11comp_targetILNS1_3genE0ELNS1_11target_archE4294967295ELNS1_3gpuE0ELNS1_3repE0EEENS1_30default_config_static_selectorELNS0_4arch9wavefront6targetE0EEEvT1_.num_vgpr, 0
	.set _ZN7rocprim17ROCPRIM_400000_NS6detail17trampoline_kernelINS0_14default_configENS1_27scan_by_key_config_selectorIxxEEZZNS1_16scan_by_key_implILNS1_25lookback_scan_determinismE0ELb0ES3_N6thrust23THRUST_200600_302600_NS6detail15normal_iteratorINS9_10device_ptrIxEEEESE_SE_xNS9_4plusIvEENS9_8equal_toIvEExEE10hipError_tPvRmT2_T3_T4_T5_mT6_T7_P12ihipStream_tbENKUlT_T0_E_clISt17integral_constantIbLb0EESY_IbLb1EEEEDaSU_SV_EUlSU_E_NS1_11comp_targetILNS1_3genE0ELNS1_11target_archE4294967295ELNS1_3gpuE0ELNS1_3repE0EEENS1_30default_config_static_selectorELNS0_4arch9wavefront6targetE0EEEvT1_.num_agpr, 0
	.set _ZN7rocprim17ROCPRIM_400000_NS6detail17trampoline_kernelINS0_14default_configENS1_27scan_by_key_config_selectorIxxEEZZNS1_16scan_by_key_implILNS1_25lookback_scan_determinismE0ELb0ES3_N6thrust23THRUST_200600_302600_NS6detail15normal_iteratorINS9_10device_ptrIxEEEESE_SE_xNS9_4plusIvEENS9_8equal_toIvEExEE10hipError_tPvRmT2_T3_T4_T5_mT6_T7_P12ihipStream_tbENKUlT_T0_E_clISt17integral_constantIbLb0EESY_IbLb1EEEEDaSU_SV_EUlSU_E_NS1_11comp_targetILNS1_3genE0ELNS1_11target_archE4294967295ELNS1_3gpuE0ELNS1_3repE0EEENS1_30default_config_static_selectorELNS0_4arch9wavefront6targetE0EEEvT1_.numbered_sgpr, 0
	.set _ZN7rocprim17ROCPRIM_400000_NS6detail17trampoline_kernelINS0_14default_configENS1_27scan_by_key_config_selectorIxxEEZZNS1_16scan_by_key_implILNS1_25lookback_scan_determinismE0ELb0ES3_N6thrust23THRUST_200600_302600_NS6detail15normal_iteratorINS9_10device_ptrIxEEEESE_SE_xNS9_4plusIvEENS9_8equal_toIvEExEE10hipError_tPvRmT2_T3_T4_T5_mT6_T7_P12ihipStream_tbENKUlT_T0_E_clISt17integral_constantIbLb0EESY_IbLb1EEEEDaSU_SV_EUlSU_E_NS1_11comp_targetILNS1_3genE0ELNS1_11target_archE4294967295ELNS1_3gpuE0ELNS1_3repE0EEENS1_30default_config_static_selectorELNS0_4arch9wavefront6targetE0EEEvT1_.num_named_barrier, 0
	.set _ZN7rocprim17ROCPRIM_400000_NS6detail17trampoline_kernelINS0_14default_configENS1_27scan_by_key_config_selectorIxxEEZZNS1_16scan_by_key_implILNS1_25lookback_scan_determinismE0ELb0ES3_N6thrust23THRUST_200600_302600_NS6detail15normal_iteratorINS9_10device_ptrIxEEEESE_SE_xNS9_4plusIvEENS9_8equal_toIvEExEE10hipError_tPvRmT2_T3_T4_T5_mT6_T7_P12ihipStream_tbENKUlT_T0_E_clISt17integral_constantIbLb0EESY_IbLb1EEEEDaSU_SV_EUlSU_E_NS1_11comp_targetILNS1_3genE0ELNS1_11target_archE4294967295ELNS1_3gpuE0ELNS1_3repE0EEENS1_30default_config_static_selectorELNS0_4arch9wavefront6targetE0EEEvT1_.private_seg_size, 0
	.set _ZN7rocprim17ROCPRIM_400000_NS6detail17trampoline_kernelINS0_14default_configENS1_27scan_by_key_config_selectorIxxEEZZNS1_16scan_by_key_implILNS1_25lookback_scan_determinismE0ELb0ES3_N6thrust23THRUST_200600_302600_NS6detail15normal_iteratorINS9_10device_ptrIxEEEESE_SE_xNS9_4plusIvEENS9_8equal_toIvEExEE10hipError_tPvRmT2_T3_T4_T5_mT6_T7_P12ihipStream_tbENKUlT_T0_E_clISt17integral_constantIbLb0EESY_IbLb1EEEEDaSU_SV_EUlSU_E_NS1_11comp_targetILNS1_3genE0ELNS1_11target_archE4294967295ELNS1_3gpuE0ELNS1_3repE0EEENS1_30default_config_static_selectorELNS0_4arch9wavefront6targetE0EEEvT1_.uses_vcc, 0
	.set _ZN7rocprim17ROCPRIM_400000_NS6detail17trampoline_kernelINS0_14default_configENS1_27scan_by_key_config_selectorIxxEEZZNS1_16scan_by_key_implILNS1_25lookback_scan_determinismE0ELb0ES3_N6thrust23THRUST_200600_302600_NS6detail15normal_iteratorINS9_10device_ptrIxEEEESE_SE_xNS9_4plusIvEENS9_8equal_toIvEExEE10hipError_tPvRmT2_T3_T4_T5_mT6_T7_P12ihipStream_tbENKUlT_T0_E_clISt17integral_constantIbLb0EESY_IbLb1EEEEDaSU_SV_EUlSU_E_NS1_11comp_targetILNS1_3genE0ELNS1_11target_archE4294967295ELNS1_3gpuE0ELNS1_3repE0EEENS1_30default_config_static_selectorELNS0_4arch9wavefront6targetE0EEEvT1_.uses_flat_scratch, 0
	.set _ZN7rocprim17ROCPRIM_400000_NS6detail17trampoline_kernelINS0_14default_configENS1_27scan_by_key_config_selectorIxxEEZZNS1_16scan_by_key_implILNS1_25lookback_scan_determinismE0ELb0ES3_N6thrust23THRUST_200600_302600_NS6detail15normal_iteratorINS9_10device_ptrIxEEEESE_SE_xNS9_4plusIvEENS9_8equal_toIvEExEE10hipError_tPvRmT2_T3_T4_T5_mT6_T7_P12ihipStream_tbENKUlT_T0_E_clISt17integral_constantIbLb0EESY_IbLb1EEEEDaSU_SV_EUlSU_E_NS1_11comp_targetILNS1_3genE0ELNS1_11target_archE4294967295ELNS1_3gpuE0ELNS1_3repE0EEENS1_30default_config_static_selectorELNS0_4arch9wavefront6targetE0EEEvT1_.has_dyn_sized_stack, 0
	.set _ZN7rocprim17ROCPRIM_400000_NS6detail17trampoline_kernelINS0_14default_configENS1_27scan_by_key_config_selectorIxxEEZZNS1_16scan_by_key_implILNS1_25lookback_scan_determinismE0ELb0ES3_N6thrust23THRUST_200600_302600_NS6detail15normal_iteratorINS9_10device_ptrIxEEEESE_SE_xNS9_4plusIvEENS9_8equal_toIvEExEE10hipError_tPvRmT2_T3_T4_T5_mT6_T7_P12ihipStream_tbENKUlT_T0_E_clISt17integral_constantIbLb0EESY_IbLb1EEEEDaSU_SV_EUlSU_E_NS1_11comp_targetILNS1_3genE0ELNS1_11target_archE4294967295ELNS1_3gpuE0ELNS1_3repE0EEENS1_30default_config_static_selectorELNS0_4arch9wavefront6targetE0EEEvT1_.has_recursion, 0
	.set _ZN7rocprim17ROCPRIM_400000_NS6detail17trampoline_kernelINS0_14default_configENS1_27scan_by_key_config_selectorIxxEEZZNS1_16scan_by_key_implILNS1_25lookback_scan_determinismE0ELb0ES3_N6thrust23THRUST_200600_302600_NS6detail15normal_iteratorINS9_10device_ptrIxEEEESE_SE_xNS9_4plusIvEENS9_8equal_toIvEExEE10hipError_tPvRmT2_T3_T4_T5_mT6_T7_P12ihipStream_tbENKUlT_T0_E_clISt17integral_constantIbLb0EESY_IbLb1EEEEDaSU_SV_EUlSU_E_NS1_11comp_targetILNS1_3genE0ELNS1_11target_archE4294967295ELNS1_3gpuE0ELNS1_3repE0EEENS1_30default_config_static_selectorELNS0_4arch9wavefront6targetE0EEEvT1_.has_indirect_call, 0
	.section	.AMDGPU.csdata,"",@progbits
; Kernel info:
; codeLenInByte = 0
; TotalNumSgprs: 0
; NumVgprs: 0
; ScratchSize: 0
; MemoryBound: 0
; FloatMode: 240
; IeeeMode: 1
; LDSByteSize: 0 bytes/workgroup (compile time only)
; SGPRBlocks: 0
; VGPRBlocks: 0
; NumSGPRsForWavesPerEU: 1
; NumVGPRsForWavesPerEU: 1
; Occupancy: 16
; WaveLimiterHint : 0
; COMPUTE_PGM_RSRC2:SCRATCH_EN: 0
; COMPUTE_PGM_RSRC2:USER_SGPR: 6
; COMPUTE_PGM_RSRC2:TRAP_HANDLER: 0
; COMPUTE_PGM_RSRC2:TGID_X_EN: 1
; COMPUTE_PGM_RSRC2:TGID_Y_EN: 0
; COMPUTE_PGM_RSRC2:TGID_Z_EN: 0
; COMPUTE_PGM_RSRC2:TIDIG_COMP_CNT: 0
	.section	.text._ZN7rocprim17ROCPRIM_400000_NS6detail17trampoline_kernelINS0_14default_configENS1_27scan_by_key_config_selectorIxxEEZZNS1_16scan_by_key_implILNS1_25lookback_scan_determinismE0ELb0ES3_N6thrust23THRUST_200600_302600_NS6detail15normal_iteratorINS9_10device_ptrIxEEEESE_SE_xNS9_4plusIvEENS9_8equal_toIvEExEE10hipError_tPvRmT2_T3_T4_T5_mT6_T7_P12ihipStream_tbENKUlT_T0_E_clISt17integral_constantIbLb0EESY_IbLb1EEEEDaSU_SV_EUlSU_E_NS1_11comp_targetILNS1_3genE10ELNS1_11target_archE1201ELNS1_3gpuE5ELNS1_3repE0EEENS1_30default_config_static_selectorELNS0_4arch9wavefront6targetE0EEEvT1_,"axG",@progbits,_ZN7rocprim17ROCPRIM_400000_NS6detail17trampoline_kernelINS0_14default_configENS1_27scan_by_key_config_selectorIxxEEZZNS1_16scan_by_key_implILNS1_25lookback_scan_determinismE0ELb0ES3_N6thrust23THRUST_200600_302600_NS6detail15normal_iteratorINS9_10device_ptrIxEEEESE_SE_xNS9_4plusIvEENS9_8equal_toIvEExEE10hipError_tPvRmT2_T3_T4_T5_mT6_T7_P12ihipStream_tbENKUlT_T0_E_clISt17integral_constantIbLb0EESY_IbLb1EEEEDaSU_SV_EUlSU_E_NS1_11comp_targetILNS1_3genE10ELNS1_11target_archE1201ELNS1_3gpuE5ELNS1_3repE0EEENS1_30default_config_static_selectorELNS0_4arch9wavefront6targetE0EEEvT1_,comdat
	.protected	_ZN7rocprim17ROCPRIM_400000_NS6detail17trampoline_kernelINS0_14default_configENS1_27scan_by_key_config_selectorIxxEEZZNS1_16scan_by_key_implILNS1_25lookback_scan_determinismE0ELb0ES3_N6thrust23THRUST_200600_302600_NS6detail15normal_iteratorINS9_10device_ptrIxEEEESE_SE_xNS9_4plusIvEENS9_8equal_toIvEExEE10hipError_tPvRmT2_T3_T4_T5_mT6_T7_P12ihipStream_tbENKUlT_T0_E_clISt17integral_constantIbLb0EESY_IbLb1EEEEDaSU_SV_EUlSU_E_NS1_11comp_targetILNS1_3genE10ELNS1_11target_archE1201ELNS1_3gpuE5ELNS1_3repE0EEENS1_30default_config_static_selectorELNS0_4arch9wavefront6targetE0EEEvT1_ ; -- Begin function _ZN7rocprim17ROCPRIM_400000_NS6detail17trampoline_kernelINS0_14default_configENS1_27scan_by_key_config_selectorIxxEEZZNS1_16scan_by_key_implILNS1_25lookback_scan_determinismE0ELb0ES3_N6thrust23THRUST_200600_302600_NS6detail15normal_iteratorINS9_10device_ptrIxEEEESE_SE_xNS9_4plusIvEENS9_8equal_toIvEExEE10hipError_tPvRmT2_T3_T4_T5_mT6_T7_P12ihipStream_tbENKUlT_T0_E_clISt17integral_constantIbLb0EESY_IbLb1EEEEDaSU_SV_EUlSU_E_NS1_11comp_targetILNS1_3genE10ELNS1_11target_archE1201ELNS1_3gpuE5ELNS1_3repE0EEENS1_30default_config_static_selectorELNS0_4arch9wavefront6targetE0EEEvT1_
	.globl	_ZN7rocprim17ROCPRIM_400000_NS6detail17trampoline_kernelINS0_14default_configENS1_27scan_by_key_config_selectorIxxEEZZNS1_16scan_by_key_implILNS1_25lookback_scan_determinismE0ELb0ES3_N6thrust23THRUST_200600_302600_NS6detail15normal_iteratorINS9_10device_ptrIxEEEESE_SE_xNS9_4plusIvEENS9_8equal_toIvEExEE10hipError_tPvRmT2_T3_T4_T5_mT6_T7_P12ihipStream_tbENKUlT_T0_E_clISt17integral_constantIbLb0EESY_IbLb1EEEEDaSU_SV_EUlSU_E_NS1_11comp_targetILNS1_3genE10ELNS1_11target_archE1201ELNS1_3gpuE5ELNS1_3repE0EEENS1_30default_config_static_selectorELNS0_4arch9wavefront6targetE0EEEvT1_
	.p2align	8
	.type	_ZN7rocprim17ROCPRIM_400000_NS6detail17trampoline_kernelINS0_14default_configENS1_27scan_by_key_config_selectorIxxEEZZNS1_16scan_by_key_implILNS1_25lookback_scan_determinismE0ELb0ES3_N6thrust23THRUST_200600_302600_NS6detail15normal_iteratorINS9_10device_ptrIxEEEESE_SE_xNS9_4plusIvEENS9_8equal_toIvEExEE10hipError_tPvRmT2_T3_T4_T5_mT6_T7_P12ihipStream_tbENKUlT_T0_E_clISt17integral_constantIbLb0EESY_IbLb1EEEEDaSU_SV_EUlSU_E_NS1_11comp_targetILNS1_3genE10ELNS1_11target_archE1201ELNS1_3gpuE5ELNS1_3repE0EEENS1_30default_config_static_selectorELNS0_4arch9wavefront6targetE0EEEvT1_,@function
_ZN7rocprim17ROCPRIM_400000_NS6detail17trampoline_kernelINS0_14default_configENS1_27scan_by_key_config_selectorIxxEEZZNS1_16scan_by_key_implILNS1_25lookback_scan_determinismE0ELb0ES3_N6thrust23THRUST_200600_302600_NS6detail15normal_iteratorINS9_10device_ptrIxEEEESE_SE_xNS9_4plusIvEENS9_8equal_toIvEExEE10hipError_tPvRmT2_T3_T4_T5_mT6_T7_P12ihipStream_tbENKUlT_T0_E_clISt17integral_constantIbLb0EESY_IbLb1EEEEDaSU_SV_EUlSU_E_NS1_11comp_targetILNS1_3genE10ELNS1_11target_archE1201ELNS1_3gpuE5ELNS1_3repE0EEENS1_30default_config_static_selectorELNS0_4arch9wavefront6targetE0EEEvT1_: ; @_ZN7rocprim17ROCPRIM_400000_NS6detail17trampoline_kernelINS0_14default_configENS1_27scan_by_key_config_selectorIxxEEZZNS1_16scan_by_key_implILNS1_25lookback_scan_determinismE0ELb0ES3_N6thrust23THRUST_200600_302600_NS6detail15normal_iteratorINS9_10device_ptrIxEEEESE_SE_xNS9_4plusIvEENS9_8equal_toIvEExEE10hipError_tPvRmT2_T3_T4_T5_mT6_T7_P12ihipStream_tbENKUlT_T0_E_clISt17integral_constantIbLb0EESY_IbLb1EEEEDaSU_SV_EUlSU_E_NS1_11comp_targetILNS1_3genE10ELNS1_11target_archE1201ELNS1_3gpuE5ELNS1_3repE0EEENS1_30default_config_static_selectorELNS0_4arch9wavefront6targetE0EEEvT1_
; %bb.0:
	.section	.rodata,"a",@progbits
	.p2align	6, 0x0
	.amdhsa_kernel _ZN7rocprim17ROCPRIM_400000_NS6detail17trampoline_kernelINS0_14default_configENS1_27scan_by_key_config_selectorIxxEEZZNS1_16scan_by_key_implILNS1_25lookback_scan_determinismE0ELb0ES3_N6thrust23THRUST_200600_302600_NS6detail15normal_iteratorINS9_10device_ptrIxEEEESE_SE_xNS9_4plusIvEENS9_8equal_toIvEExEE10hipError_tPvRmT2_T3_T4_T5_mT6_T7_P12ihipStream_tbENKUlT_T0_E_clISt17integral_constantIbLb0EESY_IbLb1EEEEDaSU_SV_EUlSU_E_NS1_11comp_targetILNS1_3genE10ELNS1_11target_archE1201ELNS1_3gpuE5ELNS1_3repE0EEENS1_30default_config_static_selectorELNS0_4arch9wavefront6targetE0EEEvT1_
		.amdhsa_group_segment_fixed_size 0
		.amdhsa_private_segment_fixed_size 0
		.amdhsa_kernarg_size 136
		.amdhsa_user_sgpr_count 6
		.amdhsa_user_sgpr_private_segment_buffer 1
		.amdhsa_user_sgpr_dispatch_ptr 0
		.amdhsa_user_sgpr_queue_ptr 0
		.amdhsa_user_sgpr_kernarg_segment_ptr 1
		.amdhsa_user_sgpr_dispatch_id 0
		.amdhsa_user_sgpr_flat_scratch_init 0
		.amdhsa_user_sgpr_private_segment_size 0
		.amdhsa_wavefront_size32 1
		.amdhsa_uses_dynamic_stack 0
		.amdhsa_system_sgpr_private_segment_wavefront_offset 0
		.amdhsa_system_sgpr_workgroup_id_x 1
		.amdhsa_system_sgpr_workgroup_id_y 0
		.amdhsa_system_sgpr_workgroup_id_z 0
		.amdhsa_system_sgpr_workgroup_info 0
		.amdhsa_system_vgpr_workitem_id 0
		.amdhsa_next_free_vgpr 1
		.amdhsa_next_free_sgpr 1
		.amdhsa_reserve_vcc 0
		.amdhsa_reserve_flat_scratch 0
		.amdhsa_float_round_mode_32 0
		.amdhsa_float_round_mode_16_64 0
		.amdhsa_float_denorm_mode_32 3
		.amdhsa_float_denorm_mode_16_64 3
		.amdhsa_dx10_clamp 1
		.amdhsa_ieee_mode 1
		.amdhsa_fp16_overflow 0
		.amdhsa_workgroup_processor_mode 1
		.amdhsa_memory_ordered 1
		.amdhsa_forward_progress 1
		.amdhsa_shared_vgpr_count 0
		.amdhsa_exception_fp_ieee_invalid_op 0
		.amdhsa_exception_fp_denorm_src 0
		.amdhsa_exception_fp_ieee_div_zero 0
		.amdhsa_exception_fp_ieee_overflow 0
		.amdhsa_exception_fp_ieee_underflow 0
		.amdhsa_exception_fp_ieee_inexact 0
		.amdhsa_exception_int_div_zero 0
	.end_amdhsa_kernel
	.section	.text._ZN7rocprim17ROCPRIM_400000_NS6detail17trampoline_kernelINS0_14default_configENS1_27scan_by_key_config_selectorIxxEEZZNS1_16scan_by_key_implILNS1_25lookback_scan_determinismE0ELb0ES3_N6thrust23THRUST_200600_302600_NS6detail15normal_iteratorINS9_10device_ptrIxEEEESE_SE_xNS9_4plusIvEENS9_8equal_toIvEExEE10hipError_tPvRmT2_T3_T4_T5_mT6_T7_P12ihipStream_tbENKUlT_T0_E_clISt17integral_constantIbLb0EESY_IbLb1EEEEDaSU_SV_EUlSU_E_NS1_11comp_targetILNS1_3genE10ELNS1_11target_archE1201ELNS1_3gpuE5ELNS1_3repE0EEENS1_30default_config_static_selectorELNS0_4arch9wavefront6targetE0EEEvT1_,"axG",@progbits,_ZN7rocprim17ROCPRIM_400000_NS6detail17trampoline_kernelINS0_14default_configENS1_27scan_by_key_config_selectorIxxEEZZNS1_16scan_by_key_implILNS1_25lookback_scan_determinismE0ELb0ES3_N6thrust23THRUST_200600_302600_NS6detail15normal_iteratorINS9_10device_ptrIxEEEESE_SE_xNS9_4plusIvEENS9_8equal_toIvEExEE10hipError_tPvRmT2_T3_T4_T5_mT6_T7_P12ihipStream_tbENKUlT_T0_E_clISt17integral_constantIbLb0EESY_IbLb1EEEEDaSU_SV_EUlSU_E_NS1_11comp_targetILNS1_3genE10ELNS1_11target_archE1201ELNS1_3gpuE5ELNS1_3repE0EEENS1_30default_config_static_selectorELNS0_4arch9wavefront6targetE0EEEvT1_,comdat
.Lfunc_end39:
	.size	_ZN7rocprim17ROCPRIM_400000_NS6detail17trampoline_kernelINS0_14default_configENS1_27scan_by_key_config_selectorIxxEEZZNS1_16scan_by_key_implILNS1_25lookback_scan_determinismE0ELb0ES3_N6thrust23THRUST_200600_302600_NS6detail15normal_iteratorINS9_10device_ptrIxEEEESE_SE_xNS9_4plusIvEENS9_8equal_toIvEExEE10hipError_tPvRmT2_T3_T4_T5_mT6_T7_P12ihipStream_tbENKUlT_T0_E_clISt17integral_constantIbLb0EESY_IbLb1EEEEDaSU_SV_EUlSU_E_NS1_11comp_targetILNS1_3genE10ELNS1_11target_archE1201ELNS1_3gpuE5ELNS1_3repE0EEENS1_30default_config_static_selectorELNS0_4arch9wavefront6targetE0EEEvT1_, .Lfunc_end39-_ZN7rocprim17ROCPRIM_400000_NS6detail17trampoline_kernelINS0_14default_configENS1_27scan_by_key_config_selectorIxxEEZZNS1_16scan_by_key_implILNS1_25lookback_scan_determinismE0ELb0ES3_N6thrust23THRUST_200600_302600_NS6detail15normal_iteratorINS9_10device_ptrIxEEEESE_SE_xNS9_4plusIvEENS9_8equal_toIvEExEE10hipError_tPvRmT2_T3_T4_T5_mT6_T7_P12ihipStream_tbENKUlT_T0_E_clISt17integral_constantIbLb0EESY_IbLb1EEEEDaSU_SV_EUlSU_E_NS1_11comp_targetILNS1_3genE10ELNS1_11target_archE1201ELNS1_3gpuE5ELNS1_3repE0EEENS1_30default_config_static_selectorELNS0_4arch9wavefront6targetE0EEEvT1_
                                        ; -- End function
	.set _ZN7rocprim17ROCPRIM_400000_NS6detail17trampoline_kernelINS0_14default_configENS1_27scan_by_key_config_selectorIxxEEZZNS1_16scan_by_key_implILNS1_25lookback_scan_determinismE0ELb0ES3_N6thrust23THRUST_200600_302600_NS6detail15normal_iteratorINS9_10device_ptrIxEEEESE_SE_xNS9_4plusIvEENS9_8equal_toIvEExEE10hipError_tPvRmT2_T3_T4_T5_mT6_T7_P12ihipStream_tbENKUlT_T0_E_clISt17integral_constantIbLb0EESY_IbLb1EEEEDaSU_SV_EUlSU_E_NS1_11comp_targetILNS1_3genE10ELNS1_11target_archE1201ELNS1_3gpuE5ELNS1_3repE0EEENS1_30default_config_static_selectorELNS0_4arch9wavefront6targetE0EEEvT1_.num_vgpr, 0
	.set _ZN7rocprim17ROCPRIM_400000_NS6detail17trampoline_kernelINS0_14default_configENS1_27scan_by_key_config_selectorIxxEEZZNS1_16scan_by_key_implILNS1_25lookback_scan_determinismE0ELb0ES3_N6thrust23THRUST_200600_302600_NS6detail15normal_iteratorINS9_10device_ptrIxEEEESE_SE_xNS9_4plusIvEENS9_8equal_toIvEExEE10hipError_tPvRmT2_T3_T4_T5_mT6_T7_P12ihipStream_tbENKUlT_T0_E_clISt17integral_constantIbLb0EESY_IbLb1EEEEDaSU_SV_EUlSU_E_NS1_11comp_targetILNS1_3genE10ELNS1_11target_archE1201ELNS1_3gpuE5ELNS1_3repE0EEENS1_30default_config_static_selectorELNS0_4arch9wavefront6targetE0EEEvT1_.num_agpr, 0
	.set _ZN7rocprim17ROCPRIM_400000_NS6detail17trampoline_kernelINS0_14default_configENS1_27scan_by_key_config_selectorIxxEEZZNS1_16scan_by_key_implILNS1_25lookback_scan_determinismE0ELb0ES3_N6thrust23THRUST_200600_302600_NS6detail15normal_iteratorINS9_10device_ptrIxEEEESE_SE_xNS9_4plusIvEENS9_8equal_toIvEExEE10hipError_tPvRmT2_T3_T4_T5_mT6_T7_P12ihipStream_tbENKUlT_T0_E_clISt17integral_constantIbLb0EESY_IbLb1EEEEDaSU_SV_EUlSU_E_NS1_11comp_targetILNS1_3genE10ELNS1_11target_archE1201ELNS1_3gpuE5ELNS1_3repE0EEENS1_30default_config_static_selectorELNS0_4arch9wavefront6targetE0EEEvT1_.numbered_sgpr, 0
	.set _ZN7rocprim17ROCPRIM_400000_NS6detail17trampoline_kernelINS0_14default_configENS1_27scan_by_key_config_selectorIxxEEZZNS1_16scan_by_key_implILNS1_25lookback_scan_determinismE0ELb0ES3_N6thrust23THRUST_200600_302600_NS6detail15normal_iteratorINS9_10device_ptrIxEEEESE_SE_xNS9_4plusIvEENS9_8equal_toIvEExEE10hipError_tPvRmT2_T3_T4_T5_mT6_T7_P12ihipStream_tbENKUlT_T0_E_clISt17integral_constantIbLb0EESY_IbLb1EEEEDaSU_SV_EUlSU_E_NS1_11comp_targetILNS1_3genE10ELNS1_11target_archE1201ELNS1_3gpuE5ELNS1_3repE0EEENS1_30default_config_static_selectorELNS0_4arch9wavefront6targetE0EEEvT1_.num_named_barrier, 0
	.set _ZN7rocprim17ROCPRIM_400000_NS6detail17trampoline_kernelINS0_14default_configENS1_27scan_by_key_config_selectorIxxEEZZNS1_16scan_by_key_implILNS1_25lookback_scan_determinismE0ELb0ES3_N6thrust23THRUST_200600_302600_NS6detail15normal_iteratorINS9_10device_ptrIxEEEESE_SE_xNS9_4plusIvEENS9_8equal_toIvEExEE10hipError_tPvRmT2_T3_T4_T5_mT6_T7_P12ihipStream_tbENKUlT_T0_E_clISt17integral_constantIbLb0EESY_IbLb1EEEEDaSU_SV_EUlSU_E_NS1_11comp_targetILNS1_3genE10ELNS1_11target_archE1201ELNS1_3gpuE5ELNS1_3repE0EEENS1_30default_config_static_selectorELNS0_4arch9wavefront6targetE0EEEvT1_.private_seg_size, 0
	.set _ZN7rocprim17ROCPRIM_400000_NS6detail17trampoline_kernelINS0_14default_configENS1_27scan_by_key_config_selectorIxxEEZZNS1_16scan_by_key_implILNS1_25lookback_scan_determinismE0ELb0ES3_N6thrust23THRUST_200600_302600_NS6detail15normal_iteratorINS9_10device_ptrIxEEEESE_SE_xNS9_4plusIvEENS9_8equal_toIvEExEE10hipError_tPvRmT2_T3_T4_T5_mT6_T7_P12ihipStream_tbENKUlT_T0_E_clISt17integral_constantIbLb0EESY_IbLb1EEEEDaSU_SV_EUlSU_E_NS1_11comp_targetILNS1_3genE10ELNS1_11target_archE1201ELNS1_3gpuE5ELNS1_3repE0EEENS1_30default_config_static_selectorELNS0_4arch9wavefront6targetE0EEEvT1_.uses_vcc, 0
	.set _ZN7rocprim17ROCPRIM_400000_NS6detail17trampoline_kernelINS0_14default_configENS1_27scan_by_key_config_selectorIxxEEZZNS1_16scan_by_key_implILNS1_25lookback_scan_determinismE0ELb0ES3_N6thrust23THRUST_200600_302600_NS6detail15normal_iteratorINS9_10device_ptrIxEEEESE_SE_xNS9_4plusIvEENS9_8equal_toIvEExEE10hipError_tPvRmT2_T3_T4_T5_mT6_T7_P12ihipStream_tbENKUlT_T0_E_clISt17integral_constantIbLb0EESY_IbLb1EEEEDaSU_SV_EUlSU_E_NS1_11comp_targetILNS1_3genE10ELNS1_11target_archE1201ELNS1_3gpuE5ELNS1_3repE0EEENS1_30default_config_static_selectorELNS0_4arch9wavefront6targetE0EEEvT1_.uses_flat_scratch, 0
	.set _ZN7rocprim17ROCPRIM_400000_NS6detail17trampoline_kernelINS0_14default_configENS1_27scan_by_key_config_selectorIxxEEZZNS1_16scan_by_key_implILNS1_25lookback_scan_determinismE0ELb0ES3_N6thrust23THRUST_200600_302600_NS6detail15normal_iteratorINS9_10device_ptrIxEEEESE_SE_xNS9_4plusIvEENS9_8equal_toIvEExEE10hipError_tPvRmT2_T3_T4_T5_mT6_T7_P12ihipStream_tbENKUlT_T0_E_clISt17integral_constantIbLb0EESY_IbLb1EEEEDaSU_SV_EUlSU_E_NS1_11comp_targetILNS1_3genE10ELNS1_11target_archE1201ELNS1_3gpuE5ELNS1_3repE0EEENS1_30default_config_static_selectorELNS0_4arch9wavefront6targetE0EEEvT1_.has_dyn_sized_stack, 0
	.set _ZN7rocprim17ROCPRIM_400000_NS6detail17trampoline_kernelINS0_14default_configENS1_27scan_by_key_config_selectorIxxEEZZNS1_16scan_by_key_implILNS1_25lookback_scan_determinismE0ELb0ES3_N6thrust23THRUST_200600_302600_NS6detail15normal_iteratorINS9_10device_ptrIxEEEESE_SE_xNS9_4plusIvEENS9_8equal_toIvEExEE10hipError_tPvRmT2_T3_T4_T5_mT6_T7_P12ihipStream_tbENKUlT_T0_E_clISt17integral_constantIbLb0EESY_IbLb1EEEEDaSU_SV_EUlSU_E_NS1_11comp_targetILNS1_3genE10ELNS1_11target_archE1201ELNS1_3gpuE5ELNS1_3repE0EEENS1_30default_config_static_selectorELNS0_4arch9wavefront6targetE0EEEvT1_.has_recursion, 0
	.set _ZN7rocprim17ROCPRIM_400000_NS6detail17trampoline_kernelINS0_14default_configENS1_27scan_by_key_config_selectorIxxEEZZNS1_16scan_by_key_implILNS1_25lookback_scan_determinismE0ELb0ES3_N6thrust23THRUST_200600_302600_NS6detail15normal_iteratorINS9_10device_ptrIxEEEESE_SE_xNS9_4plusIvEENS9_8equal_toIvEExEE10hipError_tPvRmT2_T3_T4_T5_mT6_T7_P12ihipStream_tbENKUlT_T0_E_clISt17integral_constantIbLb0EESY_IbLb1EEEEDaSU_SV_EUlSU_E_NS1_11comp_targetILNS1_3genE10ELNS1_11target_archE1201ELNS1_3gpuE5ELNS1_3repE0EEENS1_30default_config_static_selectorELNS0_4arch9wavefront6targetE0EEEvT1_.has_indirect_call, 0
	.section	.AMDGPU.csdata,"",@progbits
; Kernel info:
; codeLenInByte = 0
; TotalNumSgprs: 0
; NumVgprs: 0
; ScratchSize: 0
; MemoryBound: 0
; FloatMode: 240
; IeeeMode: 1
; LDSByteSize: 0 bytes/workgroup (compile time only)
; SGPRBlocks: 0
; VGPRBlocks: 0
; NumSGPRsForWavesPerEU: 1
; NumVGPRsForWavesPerEU: 1
; Occupancy: 16
; WaveLimiterHint : 0
; COMPUTE_PGM_RSRC2:SCRATCH_EN: 0
; COMPUTE_PGM_RSRC2:USER_SGPR: 6
; COMPUTE_PGM_RSRC2:TRAP_HANDLER: 0
; COMPUTE_PGM_RSRC2:TGID_X_EN: 1
; COMPUTE_PGM_RSRC2:TGID_Y_EN: 0
; COMPUTE_PGM_RSRC2:TGID_Z_EN: 0
; COMPUTE_PGM_RSRC2:TIDIG_COMP_CNT: 0
	.section	.text._ZN7rocprim17ROCPRIM_400000_NS6detail17trampoline_kernelINS0_14default_configENS1_27scan_by_key_config_selectorIxxEEZZNS1_16scan_by_key_implILNS1_25lookback_scan_determinismE0ELb0ES3_N6thrust23THRUST_200600_302600_NS6detail15normal_iteratorINS9_10device_ptrIxEEEESE_SE_xNS9_4plusIvEENS9_8equal_toIvEExEE10hipError_tPvRmT2_T3_T4_T5_mT6_T7_P12ihipStream_tbENKUlT_T0_E_clISt17integral_constantIbLb0EESY_IbLb1EEEEDaSU_SV_EUlSU_E_NS1_11comp_targetILNS1_3genE5ELNS1_11target_archE942ELNS1_3gpuE9ELNS1_3repE0EEENS1_30default_config_static_selectorELNS0_4arch9wavefront6targetE0EEEvT1_,"axG",@progbits,_ZN7rocprim17ROCPRIM_400000_NS6detail17trampoline_kernelINS0_14default_configENS1_27scan_by_key_config_selectorIxxEEZZNS1_16scan_by_key_implILNS1_25lookback_scan_determinismE0ELb0ES3_N6thrust23THRUST_200600_302600_NS6detail15normal_iteratorINS9_10device_ptrIxEEEESE_SE_xNS9_4plusIvEENS9_8equal_toIvEExEE10hipError_tPvRmT2_T3_T4_T5_mT6_T7_P12ihipStream_tbENKUlT_T0_E_clISt17integral_constantIbLb0EESY_IbLb1EEEEDaSU_SV_EUlSU_E_NS1_11comp_targetILNS1_3genE5ELNS1_11target_archE942ELNS1_3gpuE9ELNS1_3repE0EEENS1_30default_config_static_selectorELNS0_4arch9wavefront6targetE0EEEvT1_,comdat
	.protected	_ZN7rocprim17ROCPRIM_400000_NS6detail17trampoline_kernelINS0_14default_configENS1_27scan_by_key_config_selectorIxxEEZZNS1_16scan_by_key_implILNS1_25lookback_scan_determinismE0ELb0ES3_N6thrust23THRUST_200600_302600_NS6detail15normal_iteratorINS9_10device_ptrIxEEEESE_SE_xNS9_4plusIvEENS9_8equal_toIvEExEE10hipError_tPvRmT2_T3_T4_T5_mT6_T7_P12ihipStream_tbENKUlT_T0_E_clISt17integral_constantIbLb0EESY_IbLb1EEEEDaSU_SV_EUlSU_E_NS1_11comp_targetILNS1_3genE5ELNS1_11target_archE942ELNS1_3gpuE9ELNS1_3repE0EEENS1_30default_config_static_selectorELNS0_4arch9wavefront6targetE0EEEvT1_ ; -- Begin function _ZN7rocprim17ROCPRIM_400000_NS6detail17trampoline_kernelINS0_14default_configENS1_27scan_by_key_config_selectorIxxEEZZNS1_16scan_by_key_implILNS1_25lookback_scan_determinismE0ELb0ES3_N6thrust23THRUST_200600_302600_NS6detail15normal_iteratorINS9_10device_ptrIxEEEESE_SE_xNS9_4plusIvEENS9_8equal_toIvEExEE10hipError_tPvRmT2_T3_T4_T5_mT6_T7_P12ihipStream_tbENKUlT_T0_E_clISt17integral_constantIbLb0EESY_IbLb1EEEEDaSU_SV_EUlSU_E_NS1_11comp_targetILNS1_3genE5ELNS1_11target_archE942ELNS1_3gpuE9ELNS1_3repE0EEENS1_30default_config_static_selectorELNS0_4arch9wavefront6targetE0EEEvT1_
	.globl	_ZN7rocprim17ROCPRIM_400000_NS6detail17trampoline_kernelINS0_14default_configENS1_27scan_by_key_config_selectorIxxEEZZNS1_16scan_by_key_implILNS1_25lookback_scan_determinismE0ELb0ES3_N6thrust23THRUST_200600_302600_NS6detail15normal_iteratorINS9_10device_ptrIxEEEESE_SE_xNS9_4plusIvEENS9_8equal_toIvEExEE10hipError_tPvRmT2_T3_T4_T5_mT6_T7_P12ihipStream_tbENKUlT_T0_E_clISt17integral_constantIbLb0EESY_IbLb1EEEEDaSU_SV_EUlSU_E_NS1_11comp_targetILNS1_3genE5ELNS1_11target_archE942ELNS1_3gpuE9ELNS1_3repE0EEENS1_30default_config_static_selectorELNS0_4arch9wavefront6targetE0EEEvT1_
	.p2align	8
	.type	_ZN7rocprim17ROCPRIM_400000_NS6detail17trampoline_kernelINS0_14default_configENS1_27scan_by_key_config_selectorIxxEEZZNS1_16scan_by_key_implILNS1_25lookback_scan_determinismE0ELb0ES3_N6thrust23THRUST_200600_302600_NS6detail15normal_iteratorINS9_10device_ptrIxEEEESE_SE_xNS9_4plusIvEENS9_8equal_toIvEExEE10hipError_tPvRmT2_T3_T4_T5_mT6_T7_P12ihipStream_tbENKUlT_T0_E_clISt17integral_constantIbLb0EESY_IbLb1EEEEDaSU_SV_EUlSU_E_NS1_11comp_targetILNS1_3genE5ELNS1_11target_archE942ELNS1_3gpuE9ELNS1_3repE0EEENS1_30default_config_static_selectorELNS0_4arch9wavefront6targetE0EEEvT1_,@function
_ZN7rocprim17ROCPRIM_400000_NS6detail17trampoline_kernelINS0_14default_configENS1_27scan_by_key_config_selectorIxxEEZZNS1_16scan_by_key_implILNS1_25lookback_scan_determinismE0ELb0ES3_N6thrust23THRUST_200600_302600_NS6detail15normal_iteratorINS9_10device_ptrIxEEEESE_SE_xNS9_4plusIvEENS9_8equal_toIvEExEE10hipError_tPvRmT2_T3_T4_T5_mT6_T7_P12ihipStream_tbENKUlT_T0_E_clISt17integral_constantIbLb0EESY_IbLb1EEEEDaSU_SV_EUlSU_E_NS1_11comp_targetILNS1_3genE5ELNS1_11target_archE942ELNS1_3gpuE9ELNS1_3repE0EEENS1_30default_config_static_selectorELNS0_4arch9wavefront6targetE0EEEvT1_: ; @_ZN7rocprim17ROCPRIM_400000_NS6detail17trampoline_kernelINS0_14default_configENS1_27scan_by_key_config_selectorIxxEEZZNS1_16scan_by_key_implILNS1_25lookback_scan_determinismE0ELb0ES3_N6thrust23THRUST_200600_302600_NS6detail15normal_iteratorINS9_10device_ptrIxEEEESE_SE_xNS9_4plusIvEENS9_8equal_toIvEExEE10hipError_tPvRmT2_T3_T4_T5_mT6_T7_P12ihipStream_tbENKUlT_T0_E_clISt17integral_constantIbLb0EESY_IbLb1EEEEDaSU_SV_EUlSU_E_NS1_11comp_targetILNS1_3genE5ELNS1_11target_archE942ELNS1_3gpuE9ELNS1_3repE0EEENS1_30default_config_static_selectorELNS0_4arch9wavefront6targetE0EEEvT1_
; %bb.0:
	.section	.rodata,"a",@progbits
	.p2align	6, 0x0
	.amdhsa_kernel _ZN7rocprim17ROCPRIM_400000_NS6detail17trampoline_kernelINS0_14default_configENS1_27scan_by_key_config_selectorIxxEEZZNS1_16scan_by_key_implILNS1_25lookback_scan_determinismE0ELb0ES3_N6thrust23THRUST_200600_302600_NS6detail15normal_iteratorINS9_10device_ptrIxEEEESE_SE_xNS9_4plusIvEENS9_8equal_toIvEExEE10hipError_tPvRmT2_T3_T4_T5_mT6_T7_P12ihipStream_tbENKUlT_T0_E_clISt17integral_constantIbLb0EESY_IbLb1EEEEDaSU_SV_EUlSU_E_NS1_11comp_targetILNS1_3genE5ELNS1_11target_archE942ELNS1_3gpuE9ELNS1_3repE0EEENS1_30default_config_static_selectorELNS0_4arch9wavefront6targetE0EEEvT1_
		.amdhsa_group_segment_fixed_size 0
		.amdhsa_private_segment_fixed_size 0
		.amdhsa_kernarg_size 136
		.amdhsa_user_sgpr_count 6
		.amdhsa_user_sgpr_private_segment_buffer 1
		.amdhsa_user_sgpr_dispatch_ptr 0
		.amdhsa_user_sgpr_queue_ptr 0
		.amdhsa_user_sgpr_kernarg_segment_ptr 1
		.amdhsa_user_sgpr_dispatch_id 0
		.amdhsa_user_sgpr_flat_scratch_init 0
		.amdhsa_user_sgpr_private_segment_size 0
		.amdhsa_wavefront_size32 1
		.amdhsa_uses_dynamic_stack 0
		.amdhsa_system_sgpr_private_segment_wavefront_offset 0
		.amdhsa_system_sgpr_workgroup_id_x 1
		.amdhsa_system_sgpr_workgroup_id_y 0
		.amdhsa_system_sgpr_workgroup_id_z 0
		.amdhsa_system_sgpr_workgroup_info 0
		.amdhsa_system_vgpr_workitem_id 0
		.amdhsa_next_free_vgpr 1
		.amdhsa_next_free_sgpr 1
		.amdhsa_reserve_vcc 0
		.amdhsa_reserve_flat_scratch 0
		.amdhsa_float_round_mode_32 0
		.amdhsa_float_round_mode_16_64 0
		.amdhsa_float_denorm_mode_32 3
		.amdhsa_float_denorm_mode_16_64 3
		.amdhsa_dx10_clamp 1
		.amdhsa_ieee_mode 1
		.amdhsa_fp16_overflow 0
		.amdhsa_workgroup_processor_mode 1
		.amdhsa_memory_ordered 1
		.amdhsa_forward_progress 1
		.amdhsa_shared_vgpr_count 0
		.amdhsa_exception_fp_ieee_invalid_op 0
		.amdhsa_exception_fp_denorm_src 0
		.amdhsa_exception_fp_ieee_div_zero 0
		.amdhsa_exception_fp_ieee_overflow 0
		.amdhsa_exception_fp_ieee_underflow 0
		.amdhsa_exception_fp_ieee_inexact 0
		.amdhsa_exception_int_div_zero 0
	.end_amdhsa_kernel
	.section	.text._ZN7rocprim17ROCPRIM_400000_NS6detail17trampoline_kernelINS0_14default_configENS1_27scan_by_key_config_selectorIxxEEZZNS1_16scan_by_key_implILNS1_25lookback_scan_determinismE0ELb0ES3_N6thrust23THRUST_200600_302600_NS6detail15normal_iteratorINS9_10device_ptrIxEEEESE_SE_xNS9_4plusIvEENS9_8equal_toIvEExEE10hipError_tPvRmT2_T3_T4_T5_mT6_T7_P12ihipStream_tbENKUlT_T0_E_clISt17integral_constantIbLb0EESY_IbLb1EEEEDaSU_SV_EUlSU_E_NS1_11comp_targetILNS1_3genE5ELNS1_11target_archE942ELNS1_3gpuE9ELNS1_3repE0EEENS1_30default_config_static_selectorELNS0_4arch9wavefront6targetE0EEEvT1_,"axG",@progbits,_ZN7rocprim17ROCPRIM_400000_NS6detail17trampoline_kernelINS0_14default_configENS1_27scan_by_key_config_selectorIxxEEZZNS1_16scan_by_key_implILNS1_25lookback_scan_determinismE0ELb0ES3_N6thrust23THRUST_200600_302600_NS6detail15normal_iteratorINS9_10device_ptrIxEEEESE_SE_xNS9_4plusIvEENS9_8equal_toIvEExEE10hipError_tPvRmT2_T3_T4_T5_mT6_T7_P12ihipStream_tbENKUlT_T0_E_clISt17integral_constantIbLb0EESY_IbLb1EEEEDaSU_SV_EUlSU_E_NS1_11comp_targetILNS1_3genE5ELNS1_11target_archE942ELNS1_3gpuE9ELNS1_3repE0EEENS1_30default_config_static_selectorELNS0_4arch9wavefront6targetE0EEEvT1_,comdat
.Lfunc_end40:
	.size	_ZN7rocprim17ROCPRIM_400000_NS6detail17trampoline_kernelINS0_14default_configENS1_27scan_by_key_config_selectorIxxEEZZNS1_16scan_by_key_implILNS1_25lookback_scan_determinismE0ELb0ES3_N6thrust23THRUST_200600_302600_NS6detail15normal_iteratorINS9_10device_ptrIxEEEESE_SE_xNS9_4plusIvEENS9_8equal_toIvEExEE10hipError_tPvRmT2_T3_T4_T5_mT6_T7_P12ihipStream_tbENKUlT_T0_E_clISt17integral_constantIbLb0EESY_IbLb1EEEEDaSU_SV_EUlSU_E_NS1_11comp_targetILNS1_3genE5ELNS1_11target_archE942ELNS1_3gpuE9ELNS1_3repE0EEENS1_30default_config_static_selectorELNS0_4arch9wavefront6targetE0EEEvT1_, .Lfunc_end40-_ZN7rocprim17ROCPRIM_400000_NS6detail17trampoline_kernelINS0_14default_configENS1_27scan_by_key_config_selectorIxxEEZZNS1_16scan_by_key_implILNS1_25lookback_scan_determinismE0ELb0ES3_N6thrust23THRUST_200600_302600_NS6detail15normal_iteratorINS9_10device_ptrIxEEEESE_SE_xNS9_4plusIvEENS9_8equal_toIvEExEE10hipError_tPvRmT2_T3_T4_T5_mT6_T7_P12ihipStream_tbENKUlT_T0_E_clISt17integral_constantIbLb0EESY_IbLb1EEEEDaSU_SV_EUlSU_E_NS1_11comp_targetILNS1_3genE5ELNS1_11target_archE942ELNS1_3gpuE9ELNS1_3repE0EEENS1_30default_config_static_selectorELNS0_4arch9wavefront6targetE0EEEvT1_
                                        ; -- End function
	.set _ZN7rocprim17ROCPRIM_400000_NS6detail17trampoline_kernelINS0_14default_configENS1_27scan_by_key_config_selectorIxxEEZZNS1_16scan_by_key_implILNS1_25lookback_scan_determinismE0ELb0ES3_N6thrust23THRUST_200600_302600_NS6detail15normal_iteratorINS9_10device_ptrIxEEEESE_SE_xNS9_4plusIvEENS9_8equal_toIvEExEE10hipError_tPvRmT2_T3_T4_T5_mT6_T7_P12ihipStream_tbENKUlT_T0_E_clISt17integral_constantIbLb0EESY_IbLb1EEEEDaSU_SV_EUlSU_E_NS1_11comp_targetILNS1_3genE5ELNS1_11target_archE942ELNS1_3gpuE9ELNS1_3repE0EEENS1_30default_config_static_selectorELNS0_4arch9wavefront6targetE0EEEvT1_.num_vgpr, 0
	.set _ZN7rocprim17ROCPRIM_400000_NS6detail17trampoline_kernelINS0_14default_configENS1_27scan_by_key_config_selectorIxxEEZZNS1_16scan_by_key_implILNS1_25lookback_scan_determinismE0ELb0ES3_N6thrust23THRUST_200600_302600_NS6detail15normal_iteratorINS9_10device_ptrIxEEEESE_SE_xNS9_4plusIvEENS9_8equal_toIvEExEE10hipError_tPvRmT2_T3_T4_T5_mT6_T7_P12ihipStream_tbENKUlT_T0_E_clISt17integral_constantIbLb0EESY_IbLb1EEEEDaSU_SV_EUlSU_E_NS1_11comp_targetILNS1_3genE5ELNS1_11target_archE942ELNS1_3gpuE9ELNS1_3repE0EEENS1_30default_config_static_selectorELNS0_4arch9wavefront6targetE0EEEvT1_.num_agpr, 0
	.set _ZN7rocprim17ROCPRIM_400000_NS6detail17trampoline_kernelINS0_14default_configENS1_27scan_by_key_config_selectorIxxEEZZNS1_16scan_by_key_implILNS1_25lookback_scan_determinismE0ELb0ES3_N6thrust23THRUST_200600_302600_NS6detail15normal_iteratorINS9_10device_ptrIxEEEESE_SE_xNS9_4plusIvEENS9_8equal_toIvEExEE10hipError_tPvRmT2_T3_T4_T5_mT6_T7_P12ihipStream_tbENKUlT_T0_E_clISt17integral_constantIbLb0EESY_IbLb1EEEEDaSU_SV_EUlSU_E_NS1_11comp_targetILNS1_3genE5ELNS1_11target_archE942ELNS1_3gpuE9ELNS1_3repE0EEENS1_30default_config_static_selectorELNS0_4arch9wavefront6targetE0EEEvT1_.numbered_sgpr, 0
	.set _ZN7rocprim17ROCPRIM_400000_NS6detail17trampoline_kernelINS0_14default_configENS1_27scan_by_key_config_selectorIxxEEZZNS1_16scan_by_key_implILNS1_25lookback_scan_determinismE0ELb0ES3_N6thrust23THRUST_200600_302600_NS6detail15normal_iteratorINS9_10device_ptrIxEEEESE_SE_xNS9_4plusIvEENS9_8equal_toIvEExEE10hipError_tPvRmT2_T3_T4_T5_mT6_T7_P12ihipStream_tbENKUlT_T0_E_clISt17integral_constantIbLb0EESY_IbLb1EEEEDaSU_SV_EUlSU_E_NS1_11comp_targetILNS1_3genE5ELNS1_11target_archE942ELNS1_3gpuE9ELNS1_3repE0EEENS1_30default_config_static_selectorELNS0_4arch9wavefront6targetE0EEEvT1_.num_named_barrier, 0
	.set _ZN7rocprim17ROCPRIM_400000_NS6detail17trampoline_kernelINS0_14default_configENS1_27scan_by_key_config_selectorIxxEEZZNS1_16scan_by_key_implILNS1_25lookback_scan_determinismE0ELb0ES3_N6thrust23THRUST_200600_302600_NS6detail15normal_iteratorINS9_10device_ptrIxEEEESE_SE_xNS9_4plusIvEENS9_8equal_toIvEExEE10hipError_tPvRmT2_T3_T4_T5_mT6_T7_P12ihipStream_tbENKUlT_T0_E_clISt17integral_constantIbLb0EESY_IbLb1EEEEDaSU_SV_EUlSU_E_NS1_11comp_targetILNS1_3genE5ELNS1_11target_archE942ELNS1_3gpuE9ELNS1_3repE0EEENS1_30default_config_static_selectorELNS0_4arch9wavefront6targetE0EEEvT1_.private_seg_size, 0
	.set _ZN7rocprim17ROCPRIM_400000_NS6detail17trampoline_kernelINS0_14default_configENS1_27scan_by_key_config_selectorIxxEEZZNS1_16scan_by_key_implILNS1_25lookback_scan_determinismE0ELb0ES3_N6thrust23THRUST_200600_302600_NS6detail15normal_iteratorINS9_10device_ptrIxEEEESE_SE_xNS9_4plusIvEENS9_8equal_toIvEExEE10hipError_tPvRmT2_T3_T4_T5_mT6_T7_P12ihipStream_tbENKUlT_T0_E_clISt17integral_constantIbLb0EESY_IbLb1EEEEDaSU_SV_EUlSU_E_NS1_11comp_targetILNS1_3genE5ELNS1_11target_archE942ELNS1_3gpuE9ELNS1_3repE0EEENS1_30default_config_static_selectorELNS0_4arch9wavefront6targetE0EEEvT1_.uses_vcc, 0
	.set _ZN7rocprim17ROCPRIM_400000_NS6detail17trampoline_kernelINS0_14default_configENS1_27scan_by_key_config_selectorIxxEEZZNS1_16scan_by_key_implILNS1_25lookback_scan_determinismE0ELb0ES3_N6thrust23THRUST_200600_302600_NS6detail15normal_iteratorINS9_10device_ptrIxEEEESE_SE_xNS9_4plusIvEENS9_8equal_toIvEExEE10hipError_tPvRmT2_T3_T4_T5_mT6_T7_P12ihipStream_tbENKUlT_T0_E_clISt17integral_constantIbLb0EESY_IbLb1EEEEDaSU_SV_EUlSU_E_NS1_11comp_targetILNS1_3genE5ELNS1_11target_archE942ELNS1_3gpuE9ELNS1_3repE0EEENS1_30default_config_static_selectorELNS0_4arch9wavefront6targetE0EEEvT1_.uses_flat_scratch, 0
	.set _ZN7rocprim17ROCPRIM_400000_NS6detail17trampoline_kernelINS0_14default_configENS1_27scan_by_key_config_selectorIxxEEZZNS1_16scan_by_key_implILNS1_25lookback_scan_determinismE0ELb0ES3_N6thrust23THRUST_200600_302600_NS6detail15normal_iteratorINS9_10device_ptrIxEEEESE_SE_xNS9_4plusIvEENS9_8equal_toIvEExEE10hipError_tPvRmT2_T3_T4_T5_mT6_T7_P12ihipStream_tbENKUlT_T0_E_clISt17integral_constantIbLb0EESY_IbLb1EEEEDaSU_SV_EUlSU_E_NS1_11comp_targetILNS1_3genE5ELNS1_11target_archE942ELNS1_3gpuE9ELNS1_3repE0EEENS1_30default_config_static_selectorELNS0_4arch9wavefront6targetE0EEEvT1_.has_dyn_sized_stack, 0
	.set _ZN7rocprim17ROCPRIM_400000_NS6detail17trampoline_kernelINS0_14default_configENS1_27scan_by_key_config_selectorIxxEEZZNS1_16scan_by_key_implILNS1_25lookback_scan_determinismE0ELb0ES3_N6thrust23THRUST_200600_302600_NS6detail15normal_iteratorINS9_10device_ptrIxEEEESE_SE_xNS9_4plusIvEENS9_8equal_toIvEExEE10hipError_tPvRmT2_T3_T4_T5_mT6_T7_P12ihipStream_tbENKUlT_T0_E_clISt17integral_constantIbLb0EESY_IbLb1EEEEDaSU_SV_EUlSU_E_NS1_11comp_targetILNS1_3genE5ELNS1_11target_archE942ELNS1_3gpuE9ELNS1_3repE0EEENS1_30default_config_static_selectorELNS0_4arch9wavefront6targetE0EEEvT1_.has_recursion, 0
	.set _ZN7rocprim17ROCPRIM_400000_NS6detail17trampoline_kernelINS0_14default_configENS1_27scan_by_key_config_selectorIxxEEZZNS1_16scan_by_key_implILNS1_25lookback_scan_determinismE0ELb0ES3_N6thrust23THRUST_200600_302600_NS6detail15normal_iteratorINS9_10device_ptrIxEEEESE_SE_xNS9_4plusIvEENS9_8equal_toIvEExEE10hipError_tPvRmT2_T3_T4_T5_mT6_T7_P12ihipStream_tbENKUlT_T0_E_clISt17integral_constantIbLb0EESY_IbLb1EEEEDaSU_SV_EUlSU_E_NS1_11comp_targetILNS1_3genE5ELNS1_11target_archE942ELNS1_3gpuE9ELNS1_3repE0EEENS1_30default_config_static_selectorELNS0_4arch9wavefront6targetE0EEEvT1_.has_indirect_call, 0
	.section	.AMDGPU.csdata,"",@progbits
; Kernel info:
; codeLenInByte = 0
; TotalNumSgprs: 0
; NumVgprs: 0
; ScratchSize: 0
; MemoryBound: 0
; FloatMode: 240
; IeeeMode: 1
; LDSByteSize: 0 bytes/workgroup (compile time only)
; SGPRBlocks: 0
; VGPRBlocks: 0
; NumSGPRsForWavesPerEU: 1
; NumVGPRsForWavesPerEU: 1
; Occupancy: 16
; WaveLimiterHint : 0
; COMPUTE_PGM_RSRC2:SCRATCH_EN: 0
; COMPUTE_PGM_RSRC2:USER_SGPR: 6
; COMPUTE_PGM_RSRC2:TRAP_HANDLER: 0
; COMPUTE_PGM_RSRC2:TGID_X_EN: 1
; COMPUTE_PGM_RSRC2:TGID_Y_EN: 0
; COMPUTE_PGM_RSRC2:TGID_Z_EN: 0
; COMPUTE_PGM_RSRC2:TIDIG_COMP_CNT: 0
	.section	.text._ZN7rocprim17ROCPRIM_400000_NS6detail17trampoline_kernelINS0_14default_configENS1_27scan_by_key_config_selectorIxxEEZZNS1_16scan_by_key_implILNS1_25lookback_scan_determinismE0ELb0ES3_N6thrust23THRUST_200600_302600_NS6detail15normal_iteratorINS9_10device_ptrIxEEEESE_SE_xNS9_4plusIvEENS9_8equal_toIvEExEE10hipError_tPvRmT2_T3_T4_T5_mT6_T7_P12ihipStream_tbENKUlT_T0_E_clISt17integral_constantIbLb0EESY_IbLb1EEEEDaSU_SV_EUlSU_E_NS1_11comp_targetILNS1_3genE4ELNS1_11target_archE910ELNS1_3gpuE8ELNS1_3repE0EEENS1_30default_config_static_selectorELNS0_4arch9wavefront6targetE0EEEvT1_,"axG",@progbits,_ZN7rocprim17ROCPRIM_400000_NS6detail17trampoline_kernelINS0_14default_configENS1_27scan_by_key_config_selectorIxxEEZZNS1_16scan_by_key_implILNS1_25lookback_scan_determinismE0ELb0ES3_N6thrust23THRUST_200600_302600_NS6detail15normal_iteratorINS9_10device_ptrIxEEEESE_SE_xNS9_4plusIvEENS9_8equal_toIvEExEE10hipError_tPvRmT2_T3_T4_T5_mT6_T7_P12ihipStream_tbENKUlT_T0_E_clISt17integral_constantIbLb0EESY_IbLb1EEEEDaSU_SV_EUlSU_E_NS1_11comp_targetILNS1_3genE4ELNS1_11target_archE910ELNS1_3gpuE8ELNS1_3repE0EEENS1_30default_config_static_selectorELNS0_4arch9wavefront6targetE0EEEvT1_,comdat
	.protected	_ZN7rocprim17ROCPRIM_400000_NS6detail17trampoline_kernelINS0_14default_configENS1_27scan_by_key_config_selectorIxxEEZZNS1_16scan_by_key_implILNS1_25lookback_scan_determinismE0ELb0ES3_N6thrust23THRUST_200600_302600_NS6detail15normal_iteratorINS9_10device_ptrIxEEEESE_SE_xNS9_4plusIvEENS9_8equal_toIvEExEE10hipError_tPvRmT2_T3_T4_T5_mT6_T7_P12ihipStream_tbENKUlT_T0_E_clISt17integral_constantIbLb0EESY_IbLb1EEEEDaSU_SV_EUlSU_E_NS1_11comp_targetILNS1_3genE4ELNS1_11target_archE910ELNS1_3gpuE8ELNS1_3repE0EEENS1_30default_config_static_selectorELNS0_4arch9wavefront6targetE0EEEvT1_ ; -- Begin function _ZN7rocprim17ROCPRIM_400000_NS6detail17trampoline_kernelINS0_14default_configENS1_27scan_by_key_config_selectorIxxEEZZNS1_16scan_by_key_implILNS1_25lookback_scan_determinismE0ELb0ES3_N6thrust23THRUST_200600_302600_NS6detail15normal_iteratorINS9_10device_ptrIxEEEESE_SE_xNS9_4plusIvEENS9_8equal_toIvEExEE10hipError_tPvRmT2_T3_T4_T5_mT6_T7_P12ihipStream_tbENKUlT_T0_E_clISt17integral_constantIbLb0EESY_IbLb1EEEEDaSU_SV_EUlSU_E_NS1_11comp_targetILNS1_3genE4ELNS1_11target_archE910ELNS1_3gpuE8ELNS1_3repE0EEENS1_30default_config_static_selectorELNS0_4arch9wavefront6targetE0EEEvT1_
	.globl	_ZN7rocprim17ROCPRIM_400000_NS6detail17trampoline_kernelINS0_14default_configENS1_27scan_by_key_config_selectorIxxEEZZNS1_16scan_by_key_implILNS1_25lookback_scan_determinismE0ELb0ES3_N6thrust23THRUST_200600_302600_NS6detail15normal_iteratorINS9_10device_ptrIxEEEESE_SE_xNS9_4plusIvEENS9_8equal_toIvEExEE10hipError_tPvRmT2_T3_T4_T5_mT6_T7_P12ihipStream_tbENKUlT_T0_E_clISt17integral_constantIbLb0EESY_IbLb1EEEEDaSU_SV_EUlSU_E_NS1_11comp_targetILNS1_3genE4ELNS1_11target_archE910ELNS1_3gpuE8ELNS1_3repE0EEENS1_30default_config_static_selectorELNS0_4arch9wavefront6targetE0EEEvT1_
	.p2align	8
	.type	_ZN7rocprim17ROCPRIM_400000_NS6detail17trampoline_kernelINS0_14default_configENS1_27scan_by_key_config_selectorIxxEEZZNS1_16scan_by_key_implILNS1_25lookback_scan_determinismE0ELb0ES3_N6thrust23THRUST_200600_302600_NS6detail15normal_iteratorINS9_10device_ptrIxEEEESE_SE_xNS9_4plusIvEENS9_8equal_toIvEExEE10hipError_tPvRmT2_T3_T4_T5_mT6_T7_P12ihipStream_tbENKUlT_T0_E_clISt17integral_constantIbLb0EESY_IbLb1EEEEDaSU_SV_EUlSU_E_NS1_11comp_targetILNS1_3genE4ELNS1_11target_archE910ELNS1_3gpuE8ELNS1_3repE0EEENS1_30default_config_static_selectorELNS0_4arch9wavefront6targetE0EEEvT1_,@function
_ZN7rocprim17ROCPRIM_400000_NS6detail17trampoline_kernelINS0_14default_configENS1_27scan_by_key_config_selectorIxxEEZZNS1_16scan_by_key_implILNS1_25lookback_scan_determinismE0ELb0ES3_N6thrust23THRUST_200600_302600_NS6detail15normal_iteratorINS9_10device_ptrIxEEEESE_SE_xNS9_4plusIvEENS9_8equal_toIvEExEE10hipError_tPvRmT2_T3_T4_T5_mT6_T7_P12ihipStream_tbENKUlT_T0_E_clISt17integral_constantIbLb0EESY_IbLb1EEEEDaSU_SV_EUlSU_E_NS1_11comp_targetILNS1_3genE4ELNS1_11target_archE910ELNS1_3gpuE8ELNS1_3repE0EEENS1_30default_config_static_selectorELNS0_4arch9wavefront6targetE0EEEvT1_: ; @_ZN7rocprim17ROCPRIM_400000_NS6detail17trampoline_kernelINS0_14default_configENS1_27scan_by_key_config_selectorIxxEEZZNS1_16scan_by_key_implILNS1_25lookback_scan_determinismE0ELb0ES3_N6thrust23THRUST_200600_302600_NS6detail15normal_iteratorINS9_10device_ptrIxEEEESE_SE_xNS9_4plusIvEENS9_8equal_toIvEExEE10hipError_tPvRmT2_T3_T4_T5_mT6_T7_P12ihipStream_tbENKUlT_T0_E_clISt17integral_constantIbLb0EESY_IbLb1EEEEDaSU_SV_EUlSU_E_NS1_11comp_targetILNS1_3genE4ELNS1_11target_archE910ELNS1_3gpuE8ELNS1_3repE0EEENS1_30default_config_static_selectorELNS0_4arch9wavefront6targetE0EEEvT1_
; %bb.0:
	.section	.rodata,"a",@progbits
	.p2align	6, 0x0
	.amdhsa_kernel _ZN7rocprim17ROCPRIM_400000_NS6detail17trampoline_kernelINS0_14default_configENS1_27scan_by_key_config_selectorIxxEEZZNS1_16scan_by_key_implILNS1_25lookback_scan_determinismE0ELb0ES3_N6thrust23THRUST_200600_302600_NS6detail15normal_iteratorINS9_10device_ptrIxEEEESE_SE_xNS9_4plusIvEENS9_8equal_toIvEExEE10hipError_tPvRmT2_T3_T4_T5_mT6_T7_P12ihipStream_tbENKUlT_T0_E_clISt17integral_constantIbLb0EESY_IbLb1EEEEDaSU_SV_EUlSU_E_NS1_11comp_targetILNS1_3genE4ELNS1_11target_archE910ELNS1_3gpuE8ELNS1_3repE0EEENS1_30default_config_static_selectorELNS0_4arch9wavefront6targetE0EEEvT1_
		.amdhsa_group_segment_fixed_size 0
		.amdhsa_private_segment_fixed_size 0
		.amdhsa_kernarg_size 136
		.amdhsa_user_sgpr_count 6
		.amdhsa_user_sgpr_private_segment_buffer 1
		.amdhsa_user_sgpr_dispatch_ptr 0
		.amdhsa_user_sgpr_queue_ptr 0
		.amdhsa_user_sgpr_kernarg_segment_ptr 1
		.amdhsa_user_sgpr_dispatch_id 0
		.amdhsa_user_sgpr_flat_scratch_init 0
		.amdhsa_user_sgpr_private_segment_size 0
		.amdhsa_wavefront_size32 1
		.amdhsa_uses_dynamic_stack 0
		.amdhsa_system_sgpr_private_segment_wavefront_offset 0
		.amdhsa_system_sgpr_workgroup_id_x 1
		.amdhsa_system_sgpr_workgroup_id_y 0
		.amdhsa_system_sgpr_workgroup_id_z 0
		.amdhsa_system_sgpr_workgroup_info 0
		.amdhsa_system_vgpr_workitem_id 0
		.amdhsa_next_free_vgpr 1
		.amdhsa_next_free_sgpr 1
		.amdhsa_reserve_vcc 0
		.amdhsa_reserve_flat_scratch 0
		.amdhsa_float_round_mode_32 0
		.amdhsa_float_round_mode_16_64 0
		.amdhsa_float_denorm_mode_32 3
		.amdhsa_float_denorm_mode_16_64 3
		.amdhsa_dx10_clamp 1
		.amdhsa_ieee_mode 1
		.amdhsa_fp16_overflow 0
		.amdhsa_workgroup_processor_mode 1
		.amdhsa_memory_ordered 1
		.amdhsa_forward_progress 1
		.amdhsa_shared_vgpr_count 0
		.amdhsa_exception_fp_ieee_invalid_op 0
		.amdhsa_exception_fp_denorm_src 0
		.amdhsa_exception_fp_ieee_div_zero 0
		.amdhsa_exception_fp_ieee_overflow 0
		.amdhsa_exception_fp_ieee_underflow 0
		.amdhsa_exception_fp_ieee_inexact 0
		.amdhsa_exception_int_div_zero 0
	.end_amdhsa_kernel
	.section	.text._ZN7rocprim17ROCPRIM_400000_NS6detail17trampoline_kernelINS0_14default_configENS1_27scan_by_key_config_selectorIxxEEZZNS1_16scan_by_key_implILNS1_25lookback_scan_determinismE0ELb0ES3_N6thrust23THRUST_200600_302600_NS6detail15normal_iteratorINS9_10device_ptrIxEEEESE_SE_xNS9_4plusIvEENS9_8equal_toIvEExEE10hipError_tPvRmT2_T3_T4_T5_mT6_T7_P12ihipStream_tbENKUlT_T0_E_clISt17integral_constantIbLb0EESY_IbLb1EEEEDaSU_SV_EUlSU_E_NS1_11comp_targetILNS1_3genE4ELNS1_11target_archE910ELNS1_3gpuE8ELNS1_3repE0EEENS1_30default_config_static_selectorELNS0_4arch9wavefront6targetE0EEEvT1_,"axG",@progbits,_ZN7rocprim17ROCPRIM_400000_NS6detail17trampoline_kernelINS0_14default_configENS1_27scan_by_key_config_selectorIxxEEZZNS1_16scan_by_key_implILNS1_25lookback_scan_determinismE0ELb0ES3_N6thrust23THRUST_200600_302600_NS6detail15normal_iteratorINS9_10device_ptrIxEEEESE_SE_xNS9_4plusIvEENS9_8equal_toIvEExEE10hipError_tPvRmT2_T3_T4_T5_mT6_T7_P12ihipStream_tbENKUlT_T0_E_clISt17integral_constantIbLb0EESY_IbLb1EEEEDaSU_SV_EUlSU_E_NS1_11comp_targetILNS1_3genE4ELNS1_11target_archE910ELNS1_3gpuE8ELNS1_3repE0EEENS1_30default_config_static_selectorELNS0_4arch9wavefront6targetE0EEEvT1_,comdat
.Lfunc_end41:
	.size	_ZN7rocprim17ROCPRIM_400000_NS6detail17trampoline_kernelINS0_14default_configENS1_27scan_by_key_config_selectorIxxEEZZNS1_16scan_by_key_implILNS1_25lookback_scan_determinismE0ELb0ES3_N6thrust23THRUST_200600_302600_NS6detail15normal_iteratorINS9_10device_ptrIxEEEESE_SE_xNS9_4plusIvEENS9_8equal_toIvEExEE10hipError_tPvRmT2_T3_T4_T5_mT6_T7_P12ihipStream_tbENKUlT_T0_E_clISt17integral_constantIbLb0EESY_IbLb1EEEEDaSU_SV_EUlSU_E_NS1_11comp_targetILNS1_3genE4ELNS1_11target_archE910ELNS1_3gpuE8ELNS1_3repE0EEENS1_30default_config_static_selectorELNS0_4arch9wavefront6targetE0EEEvT1_, .Lfunc_end41-_ZN7rocprim17ROCPRIM_400000_NS6detail17trampoline_kernelINS0_14default_configENS1_27scan_by_key_config_selectorIxxEEZZNS1_16scan_by_key_implILNS1_25lookback_scan_determinismE0ELb0ES3_N6thrust23THRUST_200600_302600_NS6detail15normal_iteratorINS9_10device_ptrIxEEEESE_SE_xNS9_4plusIvEENS9_8equal_toIvEExEE10hipError_tPvRmT2_T3_T4_T5_mT6_T7_P12ihipStream_tbENKUlT_T0_E_clISt17integral_constantIbLb0EESY_IbLb1EEEEDaSU_SV_EUlSU_E_NS1_11comp_targetILNS1_3genE4ELNS1_11target_archE910ELNS1_3gpuE8ELNS1_3repE0EEENS1_30default_config_static_selectorELNS0_4arch9wavefront6targetE0EEEvT1_
                                        ; -- End function
	.set _ZN7rocprim17ROCPRIM_400000_NS6detail17trampoline_kernelINS0_14default_configENS1_27scan_by_key_config_selectorIxxEEZZNS1_16scan_by_key_implILNS1_25lookback_scan_determinismE0ELb0ES3_N6thrust23THRUST_200600_302600_NS6detail15normal_iteratorINS9_10device_ptrIxEEEESE_SE_xNS9_4plusIvEENS9_8equal_toIvEExEE10hipError_tPvRmT2_T3_T4_T5_mT6_T7_P12ihipStream_tbENKUlT_T0_E_clISt17integral_constantIbLb0EESY_IbLb1EEEEDaSU_SV_EUlSU_E_NS1_11comp_targetILNS1_3genE4ELNS1_11target_archE910ELNS1_3gpuE8ELNS1_3repE0EEENS1_30default_config_static_selectorELNS0_4arch9wavefront6targetE0EEEvT1_.num_vgpr, 0
	.set _ZN7rocprim17ROCPRIM_400000_NS6detail17trampoline_kernelINS0_14default_configENS1_27scan_by_key_config_selectorIxxEEZZNS1_16scan_by_key_implILNS1_25lookback_scan_determinismE0ELb0ES3_N6thrust23THRUST_200600_302600_NS6detail15normal_iteratorINS9_10device_ptrIxEEEESE_SE_xNS9_4plusIvEENS9_8equal_toIvEExEE10hipError_tPvRmT2_T3_T4_T5_mT6_T7_P12ihipStream_tbENKUlT_T0_E_clISt17integral_constantIbLb0EESY_IbLb1EEEEDaSU_SV_EUlSU_E_NS1_11comp_targetILNS1_3genE4ELNS1_11target_archE910ELNS1_3gpuE8ELNS1_3repE0EEENS1_30default_config_static_selectorELNS0_4arch9wavefront6targetE0EEEvT1_.num_agpr, 0
	.set _ZN7rocprim17ROCPRIM_400000_NS6detail17trampoline_kernelINS0_14default_configENS1_27scan_by_key_config_selectorIxxEEZZNS1_16scan_by_key_implILNS1_25lookback_scan_determinismE0ELb0ES3_N6thrust23THRUST_200600_302600_NS6detail15normal_iteratorINS9_10device_ptrIxEEEESE_SE_xNS9_4plusIvEENS9_8equal_toIvEExEE10hipError_tPvRmT2_T3_T4_T5_mT6_T7_P12ihipStream_tbENKUlT_T0_E_clISt17integral_constantIbLb0EESY_IbLb1EEEEDaSU_SV_EUlSU_E_NS1_11comp_targetILNS1_3genE4ELNS1_11target_archE910ELNS1_3gpuE8ELNS1_3repE0EEENS1_30default_config_static_selectorELNS0_4arch9wavefront6targetE0EEEvT1_.numbered_sgpr, 0
	.set _ZN7rocprim17ROCPRIM_400000_NS6detail17trampoline_kernelINS0_14default_configENS1_27scan_by_key_config_selectorIxxEEZZNS1_16scan_by_key_implILNS1_25lookback_scan_determinismE0ELb0ES3_N6thrust23THRUST_200600_302600_NS6detail15normal_iteratorINS9_10device_ptrIxEEEESE_SE_xNS9_4plusIvEENS9_8equal_toIvEExEE10hipError_tPvRmT2_T3_T4_T5_mT6_T7_P12ihipStream_tbENKUlT_T0_E_clISt17integral_constantIbLb0EESY_IbLb1EEEEDaSU_SV_EUlSU_E_NS1_11comp_targetILNS1_3genE4ELNS1_11target_archE910ELNS1_3gpuE8ELNS1_3repE0EEENS1_30default_config_static_selectorELNS0_4arch9wavefront6targetE0EEEvT1_.num_named_barrier, 0
	.set _ZN7rocprim17ROCPRIM_400000_NS6detail17trampoline_kernelINS0_14default_configENS1_27scan_by_key_config_selectorIxxEEZZNS1_16scan_by_key_implILNS1_25lookback_scan_determinismE0ELb0ES3_N6thrust23THRUST_200600_302600_NS6detail15normal_iteratorINS9_10device_ptrIxEEEESE_SE_xNS9_4plusIvEENS9_8equal_toIvEExEE10hipError_tPvRmT2_T3_T4_T5_mT6_T7_P12ihipStream_tbENKUlT_T0_E_clISt17integral_constantIbLb0EESY_IbLb1EEEEDaSU_SV_EUlSU_E_NS1_11comp_targetILNS1_3genE4ELNS1_11target_archE910ELNS1_3gpuE8ELNS1_3repE0EEENS1_30default_config_static_selectorELNS0_4arch9wavefront6targetE0EEEvT1_.private_seg_size, 0
	.set _ZN7rocprim17ROCPRIM_400000_NS6detail17trampoline_kernelINS0_14default_configENS1_27scan_by_key_config_selectorIxxEEZZNS1_16scan_by_key_implILNS1_25lookback_scan_determinismE0ELb0ES3_N6thrust23THRUST_200600_302600_NS6detail15normal_iteratorINS9_10device_ptrIxEEEESE_SE_xNS9_4plusIvEENS9_8equal_toIvEExEE10hipError_tPvRmT2_T3_T4_T5_mT6_T7_P12ihipStream_tbENKUlT_T0_E_clISt17integral_constantIbLb0EESY_IbLb1EEEEDaSU_SV_EUlSU_E_NS1_11comp_targetILNS1_3genE4ELNS1_11target_archE910ELNS1_3gpuE8ELNS1_3repE0EEENS1_30default_config_static_selectorELNS0_4arch9wavefront6targetE0EEEvT1_.uses_vcc, 0
	.set _ZN7rocprim17ROCPRIM_400000_NS6detail17trampoline_kernelINS0_14default_configENS1_27scan_by_key_config_selectorIxxEEZZNS1_16scan_by_key_implILNS1_25lookback_scan_determinismE0ELb0ES3_N6thrust23THRUST_200600_302600_NS6detail15normal_iteratorINS9_10device_ptrIxEEEESE_SE_xNS9_4plusIvEENS9_8equal_toIvEExEE10hipError_tPvRmT2_T3_T4_T5_mT6_T7_P12ihipStream_tbENKUlT_T0_E_clISt17integral_constantIbLb0EESY_IbLb1EEEEDaSU_SV_EUlSU_E_NS1_11comp_targetILNS1_3genE4ELNS1_11target_archE910ELNS1_3gpuE8ELNS1_3repE0EEENS1_30default_config_static_selectorELNS0_4arch9wavefront6targetE0EEEvT1_.uses_flat_scratch, 0
	.set _ZN7rocprim17ROCPRIM_400000_NS6detail17trampoline_kernelINS0_14default_configENS1_27scan_by_key_config_selectorIxxEEZZNS1_16scan_by_key_implILNS1_25lookback_scan_determinismE0ELb0ES3_N6thrust23THRUST_200600_302600_NS6detail15normal_iteratorINS9_10device_ptrIxEEEESE_SE_xNS9_4plusIvEENS9_8equal_toIvEExEE10hipError_tPvRmT2_T3_T4_T5_mT6_T7_P12ihipStream_tbENKUlT_T0_E_clISt17integral_constantIbLb0EESY_IbLb1EEEEDaSU_SV_EUlSU_E_NS1_11comp_targetILNS1_3genE4ELNS1_11target_archE910ELNS1_3gpuE8ELNS1_3repE0EEENS1_30default_config_static_selectorELNS0_4arch9wavefront6targetE0EEEvT1_.has_dyn_sized_stack, 0
	.set _ZN7rocprim17ROCPRIM_400000_NS6detail17trampoline_kernelINS0_14default_configENS1_27scan_by_key_config_selectorIxxEEZZNS1_16scan_by_key_implILNS1_25lookback_scan_determinismE0ELb0ES3_N6thrust23THRUST_200600_302600_NS6detail15normal_iteratorINS9_10device_ptrIxEEEESE_SE_xNS9_4plusIvEENS9_8equal_toIvEExEE10hipError_tPvRmT2_T3_T4_T5_mT6_T7_P12ihipStream_tbENKUlT_T0_E_clISt17integral_constantIbLb0EESY_IbLb1EEEEDaSU_SV_EUlSU_E_NS1_11comp_targetILNS1_3genE4ELNS1_11target_archE910ELNS1_3gpuE8ELNS1_3repE0EEENS1_30default_config_static_selectorELNS0_4arch9wavefront6targetE0EEEvT1_.has_recursion, 0
	.set _ZN7rocprim17ROCPRIM_400000_NS6detail17trampoline_kernelINS0_14default_configENS1_27scan_by_key_config_selectorIxxEEZZNS1_16scan_by_key_implILNS1_25lookback_scan_determinismE0ELb0ES3_N6thrust23THRUST_200600_302600_NS6detail15normal_iteratorINS9_10device_ptrIxEEEESE_SE_xNS9_4plusIvEENS9_8equal_toIvEExEE10hipError_tPvRmT2_T3_T4_T5_mT6_T7_P12ihipStream_tbENKUlT_T0_E_clISt17integral_constantIbLb0EESY_IbLb1EEEEDaSU_SV_EUlSU_E_NS1_11comp_targetILNS1_3genE4ELNS1_11target_archE910ELNS1_3gpuE8ELNS1_3repE0EEENS1_30default_config_static_selectorELNS0_4arch9wavefront6targetE0EEEvT1_.has_indirect_call, 0
	.section	.AMDGPU.csdata,"",@progbits
; Kernel info:
; codeLenInByte = 0
; TotalNumSgprs: 0
; NumVgprs: 0
; ScratchSize: 0
; MemoryBound: 0
; FloatMode: 240
; IeeeMode: 1
; LDSByteSize: 0 bytes/workgroup (compile time only)
; SGPRBlocks: 0
; VGPRBlocks: 0
; NumSGPRsForWavesPerEU: 1
; NumVGPRsForWavesPerEU: 1
; Occupancy: 16
; WaveLimiterHint : 0
; COMPUTE_PGM_RSRC2:SCRATCH_EN: 0
; COMPUTE_PGM_RSRC2:USER_SGPR: 6
; COMPUTE_PGM_RSRC2:TRAP_HANDLER: 0
; COMPUTE_PGM_RSRC2:TGID_X_EN: 1
; COMPUTE_PGM_RSRC2:TGID_Y_EN: 0
; COMPUTE_PGM_RSRC2:TGID_Z_EN: 0
; COMPUTE_PGM_RSRC2:TIDIG_COMP_CNT: 0
	.section	.text._ZN7rocprim17ROCPRIM_400000_NS6detail17trampoline_kernelINS0_14default_configENS1_27scan_by_key_config_selectorIxxEEZZNS1_16scan_by_key_implILNS1_25lookback_scan_determinismE0ELb0ES3_N6thrust23THRUST_200600_302600_NS6detail15normal_iteratorINS9_10device_ptrIxEEEESE_SE_xNS9_4plusIvEENS9_8equal_toIvEExEE10hipError_tPvRmT2_T3_T4_T5_mT6_T7_P12ihipStream_tbENKUlT_T0_E_clISt17integral_constantIbLb0EESY_IbLb1EEEEDaSU_SV_EUlSU_E_NS1_11comp_targetILNS1_3genE3ELNS1_11target_archE908ELNS1_3gpuE7ELNS1_3repE0EEENS1_30default_config_static_selectorELNS0_4arch9wavefront6targetE0EEEvT1_,"axG",@progbits,_ZN7rocprim17ROCPRIM_400000_NS6detail17trampoline_kernelINS0_14default_configENS1_27scan_by_key_config_selectorIxxEEZZNS1_16scan_by_key_implILNS1_25lookback_scan_determinismE0ELb0ES3_N6thrust23THRUST_200600_302600_NS6detail15normal_iteratorINS9_10device_ptrIxEEEESE_SE_xNS9_4plusIvEENS9_8equal_toIvEExEE10hipError_tPvRmT2_T3_T4_T5_mT6_T7_P12ihipStream_tbENKUlT_T0_E_clISt17integral_constantIbLb0EESY_IbLb1EEEEDaSU_SV_EUlSU_E_NS1_11comp_targetILNS1_3genE3ELNS1_11target_archE908ELNS1_3gpuE7ELNS1_3repE0EEENS1_30default_config_static_selectorELNS0_4arch9wavefront6targetE0EEEvT1_,comdat
	.protected	_ZN7rocprim17ROCPRIM_400000_NS6detail17trampoline_kernelINS0_14default_configENS1_27scan_by_key_config_selectorIxxEEZZNS1_16scan_by_key_implILNS1_25lookback_scan_determinismE0ELb0ES3_N6thrust23THRUST_200600_302600_NS6detail15normal_iteratorINS9_10device_ptrIxEEEESE_SE_xNS9_4plusIvEENS9_8equal_toIvEExEE10hipError_tPvRmT2_T3_T4_T5_mT6_T7_P12ihipStream_tbENKUlT_T0_E_clISt17integral_constantIbLb0EESY_IbLb1EEEEDaSU_SV_EUlSU_E_NS1_11comp_targetILNS1_3genE3ELNS1_11target_archE908ELNS1_3gpuE7ELNS1_3repE0EEENS1_30default_config_static_selectorELNS0_4arch9wavefront6targetE0EEEvT1_ ; -- Begin function _ZN7rocprim17ROCPRIM_400000_NS6detail17trampoline_kernelINS0_14default_configENS1_27scan_by_key_config_selectorIxxEEZZNS1_16scan_by_key_implILNS1_25lookback_scan_determinismE0ELb0ES3_N6thrust23THRUST_200600_302600_NS6detail15normal_iteratorINS9_10device_ptrIxEEEESE_SE_xNS9_4plusIvEENS9_8equal_toIvEExEE10hipError_tPvRmT2_T3_T4_T5_mT6_T7_P12ihipStream_tbENKUlT_T0_E_clISt17integral_constantIbLb0EESY_IbLb1EEEEDaSU_SV_EUlSU_E_NS1_11comp_targetILNS1_3genE3ELNS1_11target_archE908ELNS1_3gpuE7ELNS1_3repE0EEENS1_30default_config_static_selectorELNS0_4arch9wavefront6targetE0EEEvT1_
	.globl	_ZN7rocprim17ROCPRIM_400000_NS6detail17trampoline_kernelINS0_14default_configENS1_27scan_by_key_config_selectorIxxEEZZNS1_16scan_by_key_implILNS1_25lookback_scan_determinismE0ELb0ES3_N6thrust23THRUST_200600_302600_NS6detail15normal_iteratorINS9_10device_ptrIxEEEESE_SE_xNS9_4plusIvEENS9_8equal_toIvEExEE10hipError_tPvRmT2_T3_T4_T5_mT6_T7_P12ihipStream_tbENKUlT_T0_E_clISt17integral_constantIbLb0EESY_IbLb1EEEEDaSU_SV_EUlSU_E_NS1_11comp_targetILNS1_3genE3ELNS1_11target_archE908ELNS1_3gpuE7ELNS1_3repE0EEENS1_30default_config_static_selectorELNS0_4arch9wavefront6targetE0EEEvT1_
	.p2align	8
	.type	_ZN7rocprim17ROCPRIM_400000_NS6detail17trampoline_kernelINS0_14default_configENS1_27scan_by_key_config_selectorIxxEEZZNS1_16scan_by_key_implILNS1_25lookback_scan_determinismE0ELb0ES3_N6thrust23THRUST_200600_302600_NS6detail15normal_iteratorINS9_10device_ptrIxEEEESE_SE_xNS9_4plusIvEENS9_8equal_toIvEExEE10hipError_tPvRmT2_T3_T4_T5_mT6_T7_P12ihipStream_tbENKUlT_T0_E_clISt17integral_constantIbLb0EESY_IbLb1EEEEDaSU_SV_EUlSU_E_NS1_11comp_targetILNS1_3genE3ELNS1_11target_archE908ELNS1_3gpuE7ELNS1_3repE0EEENS1_30default_config_static_selectorELNS0_4arch9wavefront6targetE0EEEvT1_,@function
_ZN7rocprim17ROCPRIM_400000_NS6detail17trampoline_kernelINS0_14default_configENS1_27scan_by_key_config_selectorIxxEEZZNS1_16scan_by_key_implILNS1_25lookback_scan_determinismE0ELb0ES3_N6thrust23THRUST_200600_302600_NS6detail15normal_iteratorINS9_10device_ptrIxEEEESE_SE_xNS9_4plusIvEENS9_8equal_toIvEExEE10hipError_tPvRmT2_T3_T4_T5_mT6_T7_P12ihipStream_tbENKUlT_T0_E_clISt17integral_constantIbLb0EESY_IbLb1EEEEDaSU_SV_EUlSU_E_NS1_11comp_targetILNS1_3genE3ELNS1_11target_archE908ELNS1_3gpuE7ELNS1_3repE0EEENS1_30default_config_static_selectorELNS0_4arch9wavefront6targetE0EEEvT1_: ; @_ZN7rocprim17ROCPRIM_400000_NS6detail17trampoline_kernelINS0_14default_configENS1_27scan_by_key_config_selectorIxxEEZZNS1_16scan_by_key_implILNS1_25lookback_scan_determinismE0ELb0ES3_N6thrust23THRUST_200600_302600_NS6detail15normal_iteratorINS9_10device_ptrIxEEEESE_SE_xNS9_4plusIvEENS9_8equal_toIvEExEE10hipError_tPvRmT2_T3_T4_T5_mT6_T7_P12ihipStream_tbENKUlT_T0_E_clISt17integral_constantIbLb0EESY_IbLb1EEEEDaSU_SV_EUlSU_E_NS1_11comp_targetILNS1_3genE3ELNS1_11target_archE908ELNS1_3gpuE7ELNS1_3repE0EEENS1_30default_config_static_selectorELNS0_4arch9wavefront6targetE0EEEvT1_
; %bb.0:
	.section	.rodata,"a",@progbits
	.p2align	6, 0x0
	.amdhsa_kernel _ZN7rocprim17ROCPRIM_400000_NS6detail17trampoline_kernelINS0_14default_configENS1_27scan_by_key_config_selectorIxxEEZZNS1_16scan_by_key_implILNS1_25lookback_scan_determinismE0ELb0ES3_N6thrust23THRUST_200600_302600_NS6detail15normal_iteratorINS9_10device_ptrIxEEEESE_SE_xNS9_4plusIvEENS9_8equal_toIvEExEE10hipError_tPvRmT2_T3_T4_T5_mT6_T7_P12ihipStream_tbENKUlT_T0_E_clISt17integral_constantIbLb0EESY_IbLb1EEEEDaSU_SV_EUlSU_E_NS1_11comp_targetILNS1_3genE3ELNS1_11target_archE908ELNS1_3gpuE7ELNS1_3repE0EEENS1_30default_config_static_selectorELNS0_4arch9wavefront6targetE0EEEvT1_
		.amdhsa_group_segment_fixed_size 0
		.amdhsa_private_segment_fixed_size 0
		.amdhsa_kernarg_size 136
		.amdhsa_user_sgpr_count 6
		.amdhsa_user_sgpr_private_segment_buffer 1
		.amdhsa_user_sgpr_dispatch_ptr 0
		.amdhsa_user_sgpr_queue_ptr 0
		.amdhsa_user_sgpr_kernarg_segment_ptr 1
		.amdhsa_user_sgpr_dispatch_id 0
		.amdhsa_user_sgpr_flat_scratch_init 0
		.amdhsa_user_sgpr_private_segment_size 0
		.amdhsa_wavefront_size32 1
		.amdhsa_uses_dynamic_stack 0
		.amdhsa_system_sgpr_private_segment_wavefront_offset 0
		.amdhsa_system_sgpr_workgroup_id_x 1
		.amdhsa_system_sgpr_workgroup_id_y 0
		.amdhsa_system_sgpr_workgroup_id_z 0
		.amdhsa_system_sgpr_workgroup_info 0
		.amdhsa_system_vgpr_workitem_id 0
		.amdhsa_next_free_vgpr 1
		.amdhsa_next_free_sgpr 1
		.amdhsa_reserve_vcc 0
		.amdhsa_reserve_flat_scratch 0
		.amdhsa_float_round_mode_32 0
		.amdhsa_float_round_mode_16_64 0
		.amdhsa_float_denorm_mode_32 3
		.amdhsa_float_denorm_mode_16_64 3
		.amdhsa_dx10_clamp 1
		.amdhsa_ieee_mode 1
		.amdhsa_fp16_overflow 0
		.amdhsa_workgroup_processor_mode 1
		.amdhsa_memory_ordered 1
		.amdhsa_forward_progress 1
		.amdhsa_shared_vgpr_count 0
		.amdhsa_exception_fp_ieee_invalid_op 0
		.amdhsa_exception_fp_denorm_src 0
		.amdhsa_exception_fp_ieee_div_zero 0
		.amdhsa_exception_fp_ieee_overflow 0
		.amdhsa_exception_fp_ieee_underflow 0
		.amdhsa_exception_fp_ieee_inexact 0
		.amdhsa_exception_int_div_zero 0
	.end_amdhsa_kernel
	.section	.text._ZN7rocprim17ROCPRIM_400000_NS6detail17trampoline_kernelINS0_14default_configENS1_27scan_by_key_config_selectorIxxEEZZNS1_16scan_by_key_implILNS1_25lookback_scan_determinismE0ELb0ES3_N6thrust23THRUST_200600_302600_NS6detail15normal_iteratorINS9_10device_ptrIxEEEESE_SE_xNS9_4plusIvEENS9_8equal_toIvEExEE10hipError_tPvRmT2_T3_T4_T5_mT6_T7_P12ihipStream_tbENKUlT_T0_E_clISt17integral_constantIbLb0EESY_IbLb1EEEEDaSU_SV_EUlSU_E_NS1_11comp_targetILNS1_3genE3ELNS1_11target_archE908ELNS1_3gpuE7ELNS1_3repE0EEENS1_30default_config_static_selectorELNS0_4arch9wavefront6targetE0EEEvT1_,"axG",@progbits,_ZN7rocprim17ROCPRIM_400000_NS6detail17trampoline_kernelINS0_14default_configENS1_27scan_by_key_config_selectorIxxEEZZNS1_16scan_by_key_implILNS1_25lookback_scan_determinismE0ELb0ES3_N6thrust23THRUST_200600_302600_NS6detail15normal_iteratorINS9_10device_ptrIxEEEESE_SE_xNS9_4plusIvEENS9_8equal_toIvEExEE10hipError_tPvRmT2_T3_T4_T5_mT6_T7_P12ihipStream_tbENKUlT_T0_E_clISt17integral_constantIbLb0EESY_IbLb1EEEEDaSU_SV_EUlSU_E_NS1_11comp_targetILNS1_3genE3ELNS1_11target_archE908ELNS1_3gpuE7ELNS1_3repE0EEENS1_30default_config_static_selectorELNS0_4arch9wavefront6targetE0EEEvT1_,comdat
.Lfunc_end42:
	.size	_ZN7rocprim17ROCPRIM_400000_NS6detail17trampoline_kernelINS0_14default_configENS1_27scan_by_key_config_selectorIxxEEZZNS1_16scan_by_key_implILNS1_25lookback_scan_determinismE0ELb0ES3_N6thrust23THRUST_200600_302600_NS6detail15normal_iteratorINS9_10device_ptrIxEEEESE_SE_xNS9_4plusIvEENS9_8equal_toIvEExEE10hipError_tPvRmT2_T3_T4_T5_mT6_T7_P12ihipStream_tbENKUlT_T0_E_clISt17integral_constantIbLb0EESY_IbLb1EEEEDaSU_SV_EUlSU_E_NS1_11comp_targetILNS1_3genE3ELNS1_11target_archE908ELNS1_3gpuE7ELNS1_3repE0EEENS1_30default_config_static_selectorELNS0_4arch9wavefront6targetE0EEEvT1_, .Lfunc_end42-_ZN7rocprim17ROCPRIM_400000_NS6detail17trampoline_kernelINS0_14default_configENS1_27scan_by_key_config_selectorIxxEEZZNS1_16scan_by_key_implILNS1_25lookback_scan_determinismE0ELb0ES3_N6thrust23THRUST_200600_302600_NS6detail15normal_iteratorINS9_10device_ptrIxEEEESE_SE_xNS9_4plusIvEENS9_8equal_toIvEExEE10hipError_tPvRmT2_T3_T4_T5_mT6_T7_P12ihipStream_tbENKUlT_T0_E_clISt17integral_constantIbLb0EESY_IbLb1EEEEDaSU_SV_EUlSU_E_NS1_11comp_targetILNS1_3genE3ELNS1_11target_archE908ELNS1_3gpuE7ELNS1_3repE0EEENS1_30default_config_static_selectorELNS0_4arch9wavefront6targetE0EEEvT1_
                                        ; -- End function
	.set _ZN7rocprim17ROCPRIM_400000_NS6detail17trampoline_kernelINS0_14default_configENS1_27scan_by_key_config_selectorIxxEEZZNS1_16scan_by_key_implILNS1_25lookback_scan_determinismE0ELb0ES3_N6thrust23THRUST_200600_302600_NS6detail15normal_iteratorINS9_10device_ptrIxEEEESE_SE_xNS9_4plusIvEENS9_8equal_toIvEExEE10hipError_tPvRmT2_T3_T4_T5_mT6_T7_P12ihipStream_tbENKUlT_T0_E_clISt17integral_constantIbLb0EESY_IbLb1EEEEDaSU_SV_EUlSU_E_NS1_11comp_targetILNS1_3genE3ELNS1_11target_archE908ELNS1_3gpuE7ELNS1_3repE0EEENS1_30default_config_static_selectorELNS0_4arch9wavefront6targetE0EEEvT1_.num_vgpr, 0
	.set _ZN7rocprim17ROCPRIM_400000_NS6detail17trampoline_kernelINS0_14default_configENS1_27scan_by_key_config_selectorIxxEEZZNS1_16scan_by_key_implILNS1_25lookback_scan_determinismE0ELb0ES3_N6thrust23THRUST_200600_302600_NS6detail15normal_iteratorINS9_10device_ptrIxEEEESE_SE_xNS9_4plusIvEENS9_8equal_toIvEExEE10hipError_tPvRmT2_T3_T4_T5_mT6_T7_P12ihipStream_tbENKUlT_T0_E_clISt17integral_constantIbLb0EESY_IbLb1EEEEDaSU_SV_EUlSU_E_NS1_11comp_targetILNS1_3genE3ELNS1_11target_archE908ELNS1_3gpuE7ELNS1_3repE0EEENS1_30default_config_static_selectorELNS0_4arch9wavefront6targetE0EEEvT1_.num_agpr, 0
	.set _ZN7rocprim17ROCPRIM_400000_NS6detail17trampoline_kernelINS0_14default_configENS1_27scan_by_key_config_selectorIxxEEZZNS1_16scan_by_key_implILNS1_25lookback_scan_determinismE0ELb0ES3_N6thrust23THRUST_200600_302600_NS6detail15normal_iteratorINS9_10device_ptrIxEEEESE_SE_xNS9_4plusIvEENS9_8equal_toIvEExEE10hipError_tPvRmT2_T3_T4_T5_mT6_T7_P12ihipStream_tbENKUlT_T0_E_clISt17integral_constantIbLb0EESY_IbLb1EEEEDaSU_SV_EUlSU_E_NS1_11comp_targetILNS1_3genE3ELNS1_11target_archE908ELNS1_3gpuE7ELNS1_3repE0EEENS1_30default_config_static_selectorELNS0_4arch9wavefront6targetE0EEEvT1_.numbered_sgpr, 0
	.set _ZN7rocprim17ROCPRIM_400000_NS6detail17trampoline_kernelINS0_14default_configENS1_27scan_by_key_config_selectorIxxEEZZNS1_16scan_by_key_implILNS1_25lookback_scan_determinismE0ELb0ES3_N6thrust23THRUST_200600_302600_NS6detail15normal_iteratorINS9_10device_ptrIxEEEESE_SE_xNS9_4plusIvEENS9_8equal_toIvEExEE10hipError_tPvRmT2_T3_T4_T5_mT6_T7_P12ihipStream_tbENKUlT_T0_E_clISt17integral_constantIbLb0EESY_IbLb1EEEEDaSU_SV_EUlSU_E_NS1_11comp_targetILNS1_3genE3ELNS1_11target_archE908ELNS1_3gpuE7ELNS1_3repE0EEENS1_30default_config_static_selectorELNS0_4arch9wavefront6targetE0EEEvT1_.num_named_barrier, 0
	.set _ZN7rocprim17ROCPRIM_400000_NS6detail17trampoline_kernelINS0_14default_configENS1_27scan_by_key_config_selectorIxxEEZZNS1_16scan_by_key_implILNS1_25lookback_scan_determinismE0ELb0ES3_N6thrust23THRUST_200600_302600_NS6detail15normal_iteratorINS9_10device_ptrIxEEEESE_SE_xNS9_4plusIvEENS9_8equal_toIvEExEE10hipError_tPvRmT2_T3_T4_T5_mT6_T7_P12ihipStream_tbENKUlT_T0_E_clISt17integral_constantIbLb0EESY_IbLb1EEEEDaSU_SV_EUlSU_E_NS1_11comp_targetILNS1_3genE3ELNS1_11target_archE908ELNS1_3gpuE7ELNS1_3repE0EEENS1_30default_config_static_selectorELNS0_4arch9wavefront6targetE0EEEvT1_.private_seg_size, 0
	.set _ZN7rocprim17ROCPRIM_400000_NS6detail17trampoline_kernelINS0_14default_configENS1_27scan_by_key_config_selectorIxxEEZZNS1_16scan_by_key_implILNS1_25lookback_scan_determinismE0ELb0ES3_N6thrust23THRUST_200600_302600_NS6detail15normal_iteratorINS9_10device_ptrIxEEEESE_SE_xNS9_4plusIvEENS9_8equal_toIvEExEE10hipError_tPvRmT2_T3_T4_T5_mT6_T7_P12ihipStream_tbENKUlT_T0_E_clISt17integral_constantIbLb0EESY_IbLb1EEEEDaSU_SV_EUlSU_E_NS1_11comp_targetILNS1_3genE3ELNS1_11target_archE908ELNS1_3gpuE7ELNS1_3repE0EEENS1_30default_config_static_selectorELNS0_4arch9wavefront6targetE0EEEvT1_.uses_vcc, 0
	.set _ZN7rocprim17ROCPRIM_400000_NS6detail17trampoline_kernelINS0_14default_configENS1_27scan_by_key_config_selectorIxxEEZZNS1_16scan_by_key_implILNS1_25lookback_scan_determinismE0ELb0ES3_N6thrust23THRUST_200600_302600_NS6detail15normal_iteratorINS9_10device_ptrIxEEEESE_SE_xNS9_4plusIvEENS9_8equal_toIvEExEE10hipError_tPvRmT2_T3_T4_T5_mT6_T7_P12ihipStream_tbENKUlT_T0_E_clISt17integral_constantIbLb0EESY_IbLb1EEEEDaSU_SV_EUlSU_E_NS1_11comp_targetILNS1_3genE3ELNS1_11target_archE908ELNS1_3gpuE7ELNS1_3repE0EEENS1_30default_config_static_selectorELNS0_4arch9wavefront6targetE0EEEvT1_.uses_flat_scratch, 0
	.set _ZN7rocprim17ROCPRIM_400000_NS6detail17trampoline_kernelINS0_14default_configENS1_27scan_by_key_config_selectorIxxEEZZNS1_16scan_by_key_implILNS1_25lookback_scan_determinismE0ELb0ES3_N6thrust23THRUST_200600_302600_NS6detail15normal_iteratorINS9_10device_ptrIxEEEESE_SE_xNS9_4plusIvEENS9_8equal_toIvEExEE10hipError_tPvRmT2_T3_T4_T5_mT6_T7_P12ihipStream_tbENKUlT_T0_E_clISt17integral_constantIbLb0EESY_IbLb1EEEEDaSU_SV_EUlSU_E_NS1_11comp_targetILNS1_3genE3ELNS1_11target_archE908ELNS1_3gpuE7ELNS1_3repE0EEENS1_30default_config_static_selectorELNS0_4arch9wavefront6targetE0EEEvT1_.has_dyn_sized_stack, 0
	.set _ZN7rocprim17ROCPRIM_400000_NS6detail17trampoline_kernelINS0_14default_configENS1_27scan_by_key_config_selectorIxxEEZZNS1_16scan_by_key_implILNS1_25lookback_scan_determinismE0ELb0ES3_N6thrust23THRUST_200600_302600_NS6detail15normal_iteratorINS9_10device_ptrIxEEEESE_SE_xNS9_4plusIvEENS9_8equal_toIvEExEE10hipError_tPvRmT2_T3_T4_T5_mT6_T7_P12ihipStream_tbENKUlT_T0_E_clISt17integral_constantIbLb0EESY_IbLb1EEEEDaSU_SV_EUlSU_E_NS1_11comp_targetILNS1_3genE3ELNS1_11target_archE908ELNS1_3gpuE7ELNS1_3repE0EEENS1_30default_config_static_selectorELNS0_4arch9wavefront6targetE0EEEvT1_.has_recursion, 0
	.set _ZN7rocprim17ROCPRIM_400000_NS6detail17trampoline_kernelINS0_14default_configENS1_27scan_by_key_config_selectorIxxEEZZNS1_16scan_by_key_implILNS1_25lookback_scan_determinismE0ELb0ES3_N6thrust23THRUST_200600_302600_NS6detail15normal_iteratorINS9_10device_ptrIxEEEESE_SE_xNS9_4plusIvEENS9_8equal_toIvEExEE10hipError_tPvRmT2_T3_T4_T5_mT6_T7_P12ihipStream_tbENKUlT_T0_E_clISt17integral_constantIbLb0EESY_IbLb1EEEEDaSU_SV_EUlSU_E_NS1_11comp_targetILNS1_3genE3ELNS1_11target_archE908ELNS1_3gpuE7ELNS1_3repE0EEENS1_30default_config_static_selectorELNS0_4arch9wavefront6targetE0EEEvT1_.has_indirect_call, 0
	.section	.AMDGPU.csdata,"",@progbits
; Kernel info:
; codeLenInByte = 0
; TotalNumSgprs: 0
; NumVgprs: 0
; ScratchSize: 0
; MemoryBound: 0
; FloatMode: 240
; IeeeMode: 1
; LDSByteSize: 0 bytes/workgroup (compile time only)
; SGPRBlocks: 0
; VGPRBlocks: 0
; NumSGPRsForWavesPerEU: 1
; NumVGPRsForWavesPerEU: 1
; Occupancy: 16
; WaveLimiterHint : 0
; COMPUTE_PGM_RSRC2:SCRATCH_EN: 0
; COMPUTE_PGM_RSRC2:USER_SGPR: 6
; COMPUTE_PGM_RSRC2:TRAP_HANDLER: 0
; COMPUTE_PGM_RSRC2:TGID_X_EN: 1
; COMPUTE_PGM_RSRC2:TGID_Y_EN: 0
; COMPUTE_PGM_RSRC2:TGID_Z_EN: 0
; COMPUTE_PGM_RSRC2:TIDIG_COMP_CNT: 0
	.section	.text._ZN7rocprim17ROCPRIM_400000_NS6detail17trampoline_kernelINS0_14default_configENS1_27scan_by_key_config_selectorIxxEEZZNS1_16scan_by_key_implILNS1_25lookback_scan_determinismE0ELb0ES3_N6thrust23THRUST_200600_302600_NS6detail15normal_iteratorINS9_10device_ptrIxEEEESE_SE_xNS9_4plusIvEENS9_8equal_toIvEExEE10hipError_tPvRmT2_T3_T4_T5_mT6_T7_P12ihipStream_tbENKUlT_T0_E_clISt17integral_constantIbLb0EESY_IbLb1EEEEDaSU_SV_EUlSU_E_NS1_11comp_targetILNS1_3genE2ELNS1_11target_archE906ELNS1_3gpuE6ELNS1_3repE0EEENS1_30default_config_static_selectorELNS0_4arch9wavefront6targetE0EEEvT1_,"axG",@progbits,_ZN7rocprim17ROCPRIM_400000_NS6detail17trampoline_kernelINS0_14default_configENS1_27scan_by_key_config_selectorIxxEEZZNS1_16scan_by_key_implILNS1_25lookback_scan_determinismE0ELb0ES3_N6thrust23THRUST_200600_302600_NS6detail15normal_iteratorINS9_10device_ptrIxEEEESE_SE_xNS9_4plusIvEENS9_8equal_toIvEExEE10hipError_tPvRmT2_T3_T4_T5_mT6_T7_P12ihipStream_tbENKUlT_T0_E_clISt17integral_constantIbLb0EESY_IbLb1EEEEDaSU_SV_EUlSU_E_NS1_11comp_targetILNS1_3genE2ELNS1_11target_archE906ELNS1_3gpuE6ELNS1_3repE0EEENS1_30default_config_static_selectorELNS0_4arch9wavefront6targetE0EEEvT1_,comdat
	.protected	_ZN7rocprim17ROCPRIM_400000_NS6detail17trampoline_kernelINS0_14default_configENS1_27scan_by_key_config_selectorIxxEEZZNS1_16scan_by_key_implILNS1_25lookback_scan_determinismE0ELb0ES3_N6thrust23THRUST_200600_302600_NS6detail15normal_iteratorINS9_10device_ptrIxEEEESE_SE_xNS9_4plusIvEENS9_8equal_toIvEExEE10hipError_tPvRmT2_T3_T4_T5_mT6_T7_P12ihipStream_tbENKUlT_T0_E_clISt17integral_constantIbLb0EESY_IbLb1EEEEDaSU_SV_EUlSU_E_NS1_11comp_targetILNS1_3genE2ELNS1_11target_archE906ELNS1_3gpuE6ELNS1_3repE0EEENS1_30default_config_static_selectorELNS0_4arch9wavefront6targetE0EEEvT1_ ; -- Begin function _ZN7rocprim17ROCPRIM_400000_NS6detail17trampoline_kernelINS0_14default_configENS1_27scan_by_key_config_selectorIxxEEZZNS1_16scan_by_key_implILNS1_25lookback_scan_determinismE0ELb0ES3_N6thrust23THRUST_200600_302600_NS6detail15normal_iteratorINS9_10device_ptrIxEEEESE_SE_xNS9_4plusIvEENS9_8equal_toIvEExEE10hipError_tPvRmT2_T3_T4_T5_mT6_T7_P12ihipStream_tbENKUlT_T0_E_clISt17integral_constantIbLb0EESY_IbLb1EEEEDaSU_SV_EUlSU_E_NS1_11comp_targetILNS1_3genE2ELNS1_11target_archE906ELNS1_3gpuE6ELNS1_3repE0EEENS1_30default_config_static_selectorELNS0_4arch9wavefront6targetE0EEEvT1_
	.globl	_ZN7rocprim17ROCPRIM_400000_NS6detail17trampoline_kernelINS0_14default_configENS1_27scan_by_key_config_selectorIxxEEZZNS1_16scan_by_key_implILNS1_25lookback_scan_determinismE0ELb0ES3_N6thrust23THRUST_200600_302600_NS6detail15normal_iteratorINS9_10device_ptrIxEEEESE_SE_xNS9_4plusIvEENS9_8equal_toIvEExEE10hipError_tPvRmT2_T3_T4_T5_mT6_T7_P12ihipStream_tbENKUlT_T0_E_clISt17integral_constantIbLb0EESY_IbLb1EEEEDaSU_SV_EUlSU_E_NS1_11comp_targetILNS1_3genE2ELNS1_11target_archE906ELNS1_3gpuE6ELNS1_3repE0EEENS1_30default_config_static_selectorELNS0_4arch9wavefront6targetE0EEEvT1_
	.p2align	8
	.type	_ZN7rocprim17ROCPRIM_400000_NS6detail17trampoline_kernelINS0_14default_configENS1_27scan_by_key_config_selectorIxxEEZZNS1_16scan_by_key_implILNS1_25lookback_scan_determinismE0ELb0ES3_N6thrust23THRUST_200600_302600_NS6detail15normal_iteratorINS9_10device_ptrIxEEEESE_SE_xNS9_4plusIvEENS9_8equal_toIvEExEE10hipError_tPvRmT2_T3_T4_T5_mT6_T7_P12ihipStream_tbENKUlT_T0_E_clISt17integral_constantIbLb0EESY_IbLb1EEEEDaSU_SV_EUlSU_E_NS1_11comp_targetILNS1_3genE2ELNS1_11target_archE906ELNS1_3gpuE6ELNS1_3repE0EEENS1_30default_config_static_selectorELNS0_4arch9wavefront6targetE0EEEvT1_,@function
_ZN7rocprim17ROCPRIM_400000_NS6detail17trampoline_kernelINS0_14default_configENS1_27scan_by_key_config_selectorIxxEEZZNS1_16scan_by_key_implILNS1_25lookback_scan_determinismE0ELb0ES3_N6thrust23THRUST_200600_302600_NS6detail15normal_iteratorINS9_10device_ptrIxEEEESE_SE_xNS9_4plusIvEENS9_8equal_toIvEExEE10hipError_tPvRmT2_T3_T4_T5_mT6_T7_P12ihipStream_tbENKUlT_T0_E_clISt17integral_constantIbLb0EESY_IbLb1EEEEDaSU_SV_EUlSU_E_NS1_11comp_targetILNS1_3genE2ELNS1_11target_archE906ELNS1_3gpuE6ELNS1_3repE0EEENS1_30default_config_static_selectorELNS0_4arch9wavefront6targetE0EEEvT1_: ; @_ZN7rocprim17ROCPRIM_400000_NS6detail17trampoline_kernelINS0_14default_configENS1_27scan_by_key_config_selectorIxxEEZZNS1_16scan_by_key_implILNS1_25lookback_scan_determinismE0ELb0ES3_N6thrust23THRUST_200600_302600_NS6detail15normal_iteratorINS9_10device_ptrIxEEEESE_SE_xNS9_4plusIvEENS9_8equal_toIvEExEE10hipError_tPvRmT2_T3_T4_T5_mT6_T7_P12ihipStream_tbENKUlT_T0_E_clISt17integral_constantIbLb0EESY_IbLb1EEEEDaSU_SV_EUlSU_E_NS1_11comp_targetILNS1_3genE2ELNS1_11target_archE906ELNS1_3gpuE6ELNS1_3repE0EEENS1_30default_config_static_selectorELNS0_4arch9wavefront6targetE0EEEvT1_
; %bb.0:
	.section	.rodata,"a",@progbits
	.p2align	6, 0x0
	.amdhsa_kernel _ZN7rocprim17ROCPRIM_400000_NS6detail17trampoline_kernelINS0_14default_configENS1_27scan_by_key_config_selectorIxxEEZZNS1_16scan_by_key_implILNS1_25lookback_scan_determinismE0ELb0ES3_N6thrust23THRUST_200600_302600_NS6detail15normal_iteratorINS9_10device_ptrIxEEEESE_SE_xNS9_4plusIvEENS9_8equal_toIvEExEE10hipError_tPvRmT2_T3_T4_T5_mT6_T7_P12ihipStream_tbENKUlT_T0_E_clISt17integral_constantIbLb0EESY_IbLb1EEEEDaSU_SV_EUlSU_E_NS1_11comp_targetILNS1_3genE2ELNS1_11target_archE906ELNS1_3gpuE6ELNS1_3repE0EEENS1_30default_config_static_selectorELNS0_4arch9wavefront6targetE0EEEvT1_
		.amdhsa_group_segment_fixed_size 0
		.amdhsa_private_segment_fixed_size 0
		.amdhsa_kernarg_size 136
		.amdhsa_user_sgpr_count 6
		.amdhsa_user_sgpr_private_segment_buffer 1
		.amdhsa_user_sgpr_dispatch_ptr 0
		.amdhsa_user_sgpr_queue_ptr 0
		.amdhsa_user_sgpr_kernarg_segment_ptr 1
		.amdhsa_user_sgpr_dispatch_id 0
		.amdhsa_user_sgpr_flat_scratch_init 0
		.amdhsa_user_sgpr_private_segment_size 0
		.amdhsa_wavefront_size32 1
		.amdhsa_uses_dynamic_stack 0
		.amdhsa_system_sgpr_private_segment_wavefront_offset 0
		.amdhsa_system_sgpr_workgroup_id_x 1
		.amdhsa_system_sgpr_workgroup_id_y 0
		.amdhsa_system_sgpr_workgroup_id_z 0
		.amdhsa_system_sgpr_workgroup_info 0
		.amdhsa_system_vgpr_workitem_id 0
		.amdhsa_next_free_vgpr 1
		.amdhsa_next_free_sgpr 1
		.amdhsa_reserve_vcc 0
		.amdhsa_reserve_flat_scratch 0
		.amdhsa_float_round_mode_32 0
		.amdhsa_float_round_mode_16_64 0
		.amdhsa_float_denorm_mode_32 3
		.amdhsa_float_denorm_mode_16_64 3
		.amdhsa_dx10_clamp 1
		.amdhsa_ieee_mode 1
		.amdhsa_fp16_overflow 0
		.amdhsa_workgroup_processor_mode 1
		.amdhsa_memory_ordered 1
		.amdhsa_forward_progress 1
		.amdhsa_shared_vgpr_count 0
		.amdhsa_exception_fp_ieee_invalid_op 0
		.amdhsa_exception_fp_denorm_src 0
		.amdhsa_exception_fp_ieee_div_zero 0
		.amdhsa_exception_fp_ieee_overflow 0
		.amdhsa_exception_fp_ieee_underflow 0
		.amdhsa_exception_fp_ieee_inexact 0
		.amdhsa_exception_int_div_zero 0
	.end_amdhsa_kernel
	.section	.text._ZN7rocprim17ROCPRIM_400000_NS6detail17trampoline_kernelINS0_14default_configENS1_27scan_by_key_config_selectorIxxEEZZNS1_16scan_by_key_implILNS1_25lookback_scan_determinismE0ELb0ES3_N6thrust23THRUST_200600_302600_NS6detail15normal_iteratorINS9_10device_ptrIxEEEESE_SE_xNS9_4plusIvEENS9_8equal_toIvEExEE10hipError_tPvRmT2_T3_T4_T5_mT6_T7_P12ihipStream_tbENKUlT_T0_E_clISt17integral_constantIbLb0EESY_IbLb1EEEEDaSU_SV_EUlSU_E_NS1_11comp_targetILNS1_3genE2ELNS1_11target_archE906ELNS1_3gpuE6ELNS1_3repE0EEENS1_30default_config_static_selectorELNS0_4arch9wavefront6targetE0EEEvT1_,"axG",@progbits,_ZN7rocprim17ROCPRIM_400000_NS6detail17trampoline_kernelINS0_14default_configENS1_27scan_by_key_config_selectorIxxEEZZNS1_16scan_by_key_implILNS1_25lookback_scan_determinismE0ELb0ES3_N6thrust23THRUST_200600_302600_NS6detail15normal_iteratorINS9_10device_ptrIxEEEESE_SE_xNS9_4plusIvEENS9_8equal_toIvEExEE10hipError_tPvRmT2_T3_T4_T5_mT6_T7_P12ihipStream_tbENKUlT_T0_E_clISt17integral_constantIbLb0EESY_IbLb1EEEEDaSU_SV_EUlSU_E_NS1_11comp_targetILNS1_3genE2ELNS1_11target_archE906ELNS1_3gpuE6ELNS1_3repE0EEENS1_30default_config_static_selectorELNS0_4arch9wavefront6targetE0EEEvT1_,comdat
.Lfunc_end43:
	.size	_ZN7rocprim17ROCPRIM_400000_NS6detail17trampoline_kernelINS0_14default_configENS1_27scan_by_key_config_selectorIxxEEZZNS1_16scan_by_key_implILNS1_25lookback_scan_determinismE0ELb0ES3_N6thrust23THRUST_200600_302600_NS6detail15normal_iteratorINS9_10device_ptrIxEEEESE_SE_xNS9_4plusIvEENS9_8equal_toIvEExEE10hipError_tPvRmT2_T3_T4_T5_mT6_T7_P12ihipStream_tbENKUlT_T0_E_clISt17integral_constantIbLb0EESY_IbLb1EEEEDaSU_SV_EUlSU_E_NS1_11comp_targetILNS1_3genE2ELNS1_11target_archE906ELNS1_3gpuE6ELNS1_3repE0EEENS1_30default_config_static_selectorELNS0_4arch9wavefront6targetE0EEEvT1_, .Lfunc_end43-_ZN7rocprim17ROCPRIM_400000_NS6detail17trampoline_kernelINS0_14default_configENS1_27scan_by_key_config_selectorIxxEEZZNS1_16scan_by_key_implILNS1_25lookback_scan_determinismE0ELb0ES3_N6thrust23THRUST_200600_302600_NS6detail15normal_iteratorINS9_10device_ptrIxEEEESE_SE_xNS9_4plusIvEENS9_8equal_toIvEExEE10hipError_tPvRmT2_T3_T4_T5_mT6_T7_P12ihipStream_tbENKUlT_T0_E_clISt17integral_constantIbLb0EESY_IbLb1EEEEDaSU_SV_EUlSU_E_NS1_11comp_targetILNS1_3genE2ELNS1_11target_archE906ELNS1_3gpuE6ELNS1_3repE0EEENS1_30default_config_static_selectorELNS0_4arch9wavefront6targetE0EEEvT1_
                                        ; -- End function
	.set _ZN7rocprim17ROCPRIM_400000_NS6detail17trampoline_kernelINS0_14default_configENS1_27scan_by_key_config_selectorIxxEEZZNS1_16scan_by_key_implILNS1_25lookback_scan_determinismE0ELb0ES3_N6thrust23THRUST_200600_302600_NS6detail15normal_iteratorINS9_10device_ptrIxEEEESE_SE_xNS9_4plusIvEENS9_8equal_toIvEExEE10hipError_tPvRmT2_T3_T4_T5_mT6_T7_P12ihipStream_tbENKUlT_T0_E_clISt17integral_constantIbLb0EESY_IbLb1EEEEDaSU_SV_EUlSU_E_NS1_11comp_targetILNS1_3genE2ELNS1_11target_archE906ELNS1_3gpuE6ELNS1_3repE0EEENS1_30default_config_static_selectorELNS0_4arch9wavefront6targetE0EEEvT1_.num_vgpr, 0
	.set _ZN7rocprim17ROCPRIM_400000_NS6detail17trampoline_kernelINS0_14default_configENS1_27scan_by_key_config_selectorIxxEEZZNS1_16scan_by_key_implILNS1_25lookback_scan_determinismE0ELb0ES3_N6thrust23THRUST_200600_302600_NS6detail15normal_iteratorINS9_10device_ptrIxEEEESE_SE_xNS9_4plusIvEENS9_8equal_toIvEExEE10hipError_tPvRmT2_T3_T4_T5_mT6_T7_P12ihipStream_tbENKUlT_T0_E_clISt17integral_constantIbLb0EESY_IbLb1EEEEDaSU_SV_EUlSU_E_NS1_11comp_targetILNS1_3genE2ELNS1_11target_archE906ELNS1_3gpuE6ELNS1_3repE0EEENS1_30default_config_static_selectorELNS0_4arch9wavefront6targetE0EEEvT1_.num_agpr, 0
	.set _ZN7rocprim17ROCPRIM_400000_NS6detail17trampoline_kernelINS0_14default_configENS1_27scan_by_key_config_selectorIxxEEZZNS1_16scan_by_key_implILNS1_25lookback_scan_determinismE0ELb0ES3_N6thrust23THRUST_200600_302600_NS6detail15normal_iteratorINS9_10device_ptrIxEEEESE_SE_xNS9_4plusIvEENS9_8equal_toIvEExEE10hipError_tPvRmT2_T3_T4_T5_mT6_T7_P12ihipStream_tbENKUlT_T0_E_clISt17integral_constantIbLb0EESY_IbLb1EEEEDaSU_SV_EUlSU_E_NS1_11comp_targetILNS1_3genE2ELNS1_11target_archE906ELNS1_3gpuE6ELNS1_3repE0EEENS1_30default_config_static_selectorELNS0_4arch9wavefront6targetE0EEEvT1_.numbered_sgpr, 0
	.set _ZN7rocprim17ROCPRIM_400000_NS6detail17trampoline_kernelINS0_14default_configENS1_27scan_by_key_config_selectorIxxEEZZNS1_16scan_by_key_implILNS1_25lookback_scan_determinismE0ELb0ES3_N6thrust23THRUST_200600_302600_NS6detail15normal_iteratorINS9_10device_ptrIxEEEESE_SE_xNS9_4plusIvEENS9_8equal_toIvEExEE10hipError_tPvRmT2_T3_T4_T5_mT6_T7_P12ihipStream_tbENKUlT_T0_E_clISt17integral_constantIbLb0EESY_IbLb1EEEEDaSU_SV_EUlSU_E_NS1_11comp_targetILNS1_3genE2ELNS1_11target_archE906ELNS1_3gpuE6ELNS1_3repE0EEENS1_30default_config_static_selectorELNS0_4arch9wavefront6targetE0EEEvT1_.num_named_barrier, 0
	.set _ZN7rocprim17ROCPRIM_400000_NS6detail17trampoline_kernelINS0_14default_configENS1_27scan_by_key_config_selectorIxxEEZZNS1_16scan_by_key_implILNS1_25lookback_scan_determinismE0ELb0ES3_N6thrust23THRUST_200600_302600_NS6detail15normal_iteratorINS9_10device_ptrIxEEEESE_SE_xNS9_4plusIvEENS9_8equal_toIvEExEE10hipError_tPvRmT2_T3_T4_T5_mT6_T7_P12ihipStream_tbENKUlT_T0_E_clISt17integral_constantIbLb0EESY_IbLb1EEEEDaSU_SV_EUlSU_E_NS1_11comp_targetILNS1_3genE2ELNS1_11target_archE906ELNS1_3gpuE6ELNS1_3repE0EEENS1_30default_config_static_selectorELNS0_4arch9wavefront6targetE0EEEvT1_.private_seg_size, 0
	.set _ZN7rocprim17ROCPRIM_400000_NS6detail17trampoline_kernelINS0_14default_configENS1_27scan_by_key_config_selectorIxxEEZZNS1_16scan_by_key_implILNS1_25lookback_scan_determinismE0ELb0ES3_N6thrust23THRUST_200600_302600_NS6detail15normal_iteratorINS9_10device_ptrIxEEEESE_SE_xNS9_4plusIvEENS9_8equal_toIvEExEE10hipError_tPvRmT2_T3_T4_T5_mT6_T7_P12ihipStream_tbENKUlT_T0_E_clISt17integral_constantIbLb0EESY_IbLb1EEEEDaSU_SV_EUlSU_E_NS1_11comp_targetILNS1_3genE2ELNS1_11target_archE906ELNS1_3gpuE6ELNS1_3repE0EEENS1_30default_config_static_selectorELNS0_4arch9wavefront6targetE0EEEvT1_.uses_vcc, 0
	.set _ZN7rocprim17ROCPRIM_400000_NS6detail17trampoline_kernelINS0_14default_configENS1_27scan_by_key_config_selectorIxxEEZZNS1_16scan_by_key_implILNS1_25lookback_scan_determinismE0ELb0ES3_N6thrust23THRUST_200600_302600_NS6detail15normal_iteratorINS9_10device_ptrIxEEEESE_SE_xNS9_4plusIvEENS9_8equal_toIvEExEE10hipError_tPvRmT2_T3_T4_T5_mT6_T7_P12ihipStream_tbENKUlT_T0_E_clISt17integral_constantIbLb0EESY_IbLb1EEEEDaSU_SV_EUlSU_E_NS1_11comp_targetILNS1_3genE2ELNS1_11target_archE906ELNS1_3gpuE6ELNS1_3repE0EEENS1_30default_config_static_selectorELNS0_4arch9wavefront6targetE0EEEvT1_.uses_flat_scratch, 0
	.set _ZN7rocprim17ROCPRIM_400000_NS6detail17trampoline_kernelINS0_14default_configENS1_27scan_by_key_config_selectorIxxEEZZNS1_16scan_by_key_implILNS1_25lookback_scan_determinismE0ELb0ES3_N6thrust23THRUST_200600_302600_NS6detail15normal_iteratorINS9_10device_ptrIxEEEESE_SE_xNS9_4plusIvEENS9_8equal_toIvEExEE10hipError_tPvRmT2_T3_T4_T5_mT6_T7_P12ihipStream_tbENKUlT_T0_E_clISt17integral_constantIbLb0EESY_IbLb1EEEEDaSU_SV_EUlSU_E_NS1_11comp_targetILNS1_3genE2ELNS1_11target_archE906ELNS1_3gpuE6ELNS1_3repE0EEENS1_30default_config_static_selectorELNS0_4arch9wavefront6targetE0EEEvT1_.has_dyn_sized_stack, 0
	.set _ZN7rocprim17ROCPRIM_400000_NS6detail17trampoline_kernelINS0_14default_configENS1_27scan_by_key_config_selectorIxxEEZZNS1_16scan_by_key_implILNS1_25lookback_scan_determinismE0ELb0ES3_N6thrust23THRUST_200600_302600_NS6detail15normal_iteratorINS9_10device_ptrIxEEEESE_SE_xNS9_4plusIvEENS9_8equal_toIvEExEE10hipError_tPvRmT2_T3_T4_T5_mT6_T7_P12ihipStream_tbENKUlT_T0_E_clISt17integral_constantIbLb0EESY_IbLb1EEEEDaSU_SV_EUlSU_E_NS1_11comp_targetILNS1_3genE2ELNS1_11target_archE906ELNS1_3gpuE6ELNS1_3repE0EEENS1_30default_config_static_selectorELNS0_4arch9wavefront6targetE0EEEvT1_.has_recursion, 0
	.set _ZN7rocprim17ROCPRIM_400000_NS6detail17trampoline_kernelINS0_14default_configENS1_27scan_by_key_config_selectorIxxEEZZNS1_16scan_by_key_implILNS1_25lookback_scan_determinismE0ELb0ES3_N6thrust23THRUST_200600_302600_NS6detail15normal_iteratorINS9_10device_ptrIxEEEESE_SE_xNS9_4plusIvEENS9_8equal_toIvEExEE10hipError_tPvRmT2_T3_T4_T5_mT6_T7_P12ihipStream_tbENKUlT_T0_E_clISt17integral_constantIbLb0EESY_IbLb1EEEEDaSU_SV_EUlSU_E_NS1_11comp_targetILNS1_3genE2ELNS1_11target_archE906ELNS1_3gpuE6ELNS1_3repE0EEENS1_30default_config_static_selectorELNS0_4arch9wavefront6targetE0EEEvT1_.has_indirect_call, 0
	.section	.AMDGPU.csdata,"",@progbits
; Kernel info:
; codeLenInByte = 0
; TotalNumSgprs: 0
; NumVgprs: 0
; ScratchSize: 0
; MemoryBound: 0
; FloatMode: 240
; IeeeMode: 1
; LDSByteSize: 0 bytes/workgroup (compile time only)
; SGPRBlocks: 0
; VGPRBlocks: 0
; NumSGPRsForWavesPerEU: 1
; NumVGPRsForWavesPerEU: 1
; Occupancy: 16
; WaveLimiterHint : 0
; COMPUTE_PGM_RSRC2:SCRATCH_EN: 0
; COMPUTE_PGM_RSRC2:USER_SGPR: 6
; COMPUTE_PGM_RSRC2:TRAP_HANDLER: 0
; COMPUTE_PGM_RSRC2:TGID_X_EN: 1
; COMPUTE_PGM_RSRC2:TGID_Y_EN: 0
; COMPUTE_PGM_RSRC2:TGID_Z_EN: 0
; COMPUTE_PGM_RSRC2:TIDIG_COMP_CNT: 0
	.section	.text._ZN7rocprim17ROCPRIM_400000_NS6detail17trampoline_kernelINS0_14default_configENS1_27scan_by_key_config_selectorIxxEEZZNS1_16scan_by_key_implILNS1_25lookback_scan_determinismE0ELb0ES3_N6thrust23THRUST_200600_302600_NS6detail15normal_iteratorINS9_10device_ptrIxEEEESE_SE_xNS9_4plusIvEENS9_8equal_toIvEExEE10hipError_tPvRmT2_T3_T4_T5_mT6_T7_P12ihipStream_tbENKUlT_T0_E_clISt17integral_constantIbLb0EESY_IbLb1EEEEDaSU_SV_EUlSU_E_NS1_11comp_targetILNS1_3genE10ELNS1_11target_archE1200ELNS1_3gpuE4ELNS1_3repE0EEENS1_30default_config_static_selectorELNS0_4arch9wavefront6targetE0EEEvT1_,"axG",@progbits,_ZN7rocprim17ROCPRIM_400000_NS6detail17trampoline_kernelINS0_14default_configENS1_27scan_by_key_config_selectorIxxEEZZNS1_16scan_by_key_implILNS1_25lookback_scan_determinismE0ELb0ES3_N6thrust23THRUST_200600_302600_NS6detail15normal_iteratorINS9_10device_ptrIxEEEESE_SE_xNS9_4plusIvEENS9_8equal_toIvEExEE10hipError_tPvRmT2_T3_T4_T5_mT6_T7_P12ihipStream_tbENKUlT_T0_E_clISt17integral_constantIbLb0EESY_IbLb1EEEEDaSU_SV_EUlSU_E_NS1_11comp_targetILNS1_3genE10ELNS1_11target_archE1200ELNS1_3gpuE4ELNS1_3repE0EEENS1_30default_config_static_selectorELNS0_4arch9wavefront6targetE0EEEvT1_,comdat
	.protected	_ZN7rocprim17ROCPRIM_400000_NS6detail17trampoline_kernelINS0_14default_configENS1_27scan_by_key_config_selectorIxxEEZZNS1_16scan_by_key_implILNS1_25lookback_scan_determinismE0ELb0ES3_N6thrust23THRUST_200600_302600_NS6detail15normal_iteratorINS9_10device_ptrIxEEEESE_SE_xNS9_4plusIvEENS9_8equal_toIvEExEE10hipError_tPvRmT2_T3_T4_T5_mT6_T7_P12ihipStream_tbENKUlT_T0_E_clISt17integral_constantIbLb0EESY_IbLb1EEEEDaSU_SV_EUlSU_E_NS1_11comp_targetILNS1_3genE10ELNS1_11target_archE1200ELNS1_3gpuE4ELNS1_3repE0EEENS1_30default_config_static_selectorELNS0_4arch9wavefront6targetE0EEEvT1_ ; -- Begin function _ZN7rocprim17ROCPRIM_400000_NS6detail17trampoline_kernelINS0_14default_configENS1_27scan_by_key_config_selectorIxxEEZZNS1_16scan_by_key_implILNS1_25lookback_scan_determinismE0ELb0ES3_N6thrust23THRUST_200600_302600_NS6detail15normal_iteratorINS9_10device_ptrIxEEEESE_SE_xNS9_4plusIvEENS9_8equal_toIvEExEE10hipError_tPvRmT2_T3_T4_T5_mT6_T7_P12ihipStream_tbENKUlT_T0_E_clISt17integral_constantIbLb0EESY_IbLb1EEEEDaSU_SV_EUlSU_E_NS1_11comp_targetILNS1_3genE10ELNS1_11target_archE1200ELNS1_3gpuE4ELNS1_3repE0EEENS1_30default_config_static_selectorELNS0_4arch9wavefront6targetE0EEEvT1_
	.globl	_ZN7rocprim17ROCPRIM_400000_NS6detail17trampoline_kernelINS0_14default_configENS1_27scan_by_key_config_selectorIxxEEZZNS1_16scan_by_key_implILNS1_25lookback_scan_determinismE0ELb0ES3_N6thrust23THRUST_200600_302600_NS6detail15normal_iteratorINS9_10device_ptrIxEEEESE_SE_xNS9_4plusIvEENS9_8equal_toIvEExEE10hipError_tPvRmT2_T3_T4_T5_mT6_T7_P12ihipStream_tbENKUlT_T0_E_clISt17integral_constantIbLb0EESY_IbLb1EEEEDaSU_SV_EUlSU_E_NS1_11comp_targetILNS1_3genE10ELNS1_11target_archE1200ELNS1_3gpuE4ELNS1_3repE0EEENS1_30default_config_static_selectorELNS0_4arch9wavefront6targetE0EEEvT1_
	.p2align	8
	.type	_ZN7rocprim17ROCPRIM_400000_NS6detail17trampoline_kernelINS0_14default_configENS1_27scan_by_key_config_selectorIxxEEZZNS1_16scan_by_key_implILNS1_25lookback_scan_determinismE0ELb0ES3_N6thrust23THRUST_200600_302600_NS6detail15normal_iteratorINS9_10device_ptrIxEEEESE_SE_xNS9_4plusIvEENS9_8equal_toIvEExEE10hipError_tPvRmT2_T3_T4_T5_mT6_T7_P12ihipStream_tbENKUlT_T0_E_clISt17integral_constantIbLb0EESY_IbLb1EEEEDaSU_SV_EUlSU_E_NS1_11comp_targetILNS1_3genE10ELNS1_11target_archE1200ELNS1_3gpuE4ELNS1_3repE0EEENS1_30default_config_static_selectorELNS0_4arch9wavefront6targetE0EEEvT1_,@function
_ZN7rocprim17ROCPRIM_400000_NS6detail17trampoline_kernelINS0_14default_configENS1_27scan_by_key_config_selectorIxxEEZZNS1_16scan_by_key_implILNS1_25lookback_scan_determinismE0ELb0ES3_N6thrust23THRUST_200600_302600_NS6detail15normal_iteratorINS9_10device_ptrIxEEEESE_SE_xNS9_4plusIvEENS9_8equal_toIvEExEE10hipError_tPvRmT2_T3_T4_T5_mT6_T7_P12ihipStream_tbENKUlT_T0_E_clISt17integral_constantIbLb0EESY_IbLb1EEEEDaSU_SV_EUlSU_E_NS1_11comp_targetILNS1_3genE10ELNS1_11target_archE1200ELNS1_3gpuE4ELNS1_3repE0EEENS1_30default_config_static_selectorELNS0_4arch9wavefront6targetE0EEEvT1_: ; @_ZN7rocprim17ROCPRIM_400000_NS6detail17trampoline_kernelINS0_14default_configENS1_27scan_by_key_config_selectorIxxEEZZNS1_16scan_by_key_implILNS1_25lookback_scan_determinismE0ELb0ES3_N6thrust23THRUST_200600_302600_NS6detail15normal_iteratorINS9_10device_ptrIxEEEESE_SE_xNS9_4plusIvEENS9_8equal_toIvEExEE10hipError_tPvRmT2_T3_T4_T5_mT6_T7_P12ihipStream_tbENKUlT_T0_E_clISt17integral_constantIbLb0EESY_IbLb1EEEEDaSU_SV_EUlSU_E_NS1_11comp_targetILNS1_3genE10ELNS1_11target_archE1200ELNS1_3gpuE4ELNS1_3repE0EEENS1_30default_config_static_selectorELNS0_4arch9wavefront6targetE0EEEvT1_
; %bb.0:
	.section	.rodata,"a",@progbits
	.p2align	6, 0x0
	.amdhsa_kernel _ZN7rocprim17ROCPRIM_400000_NS6detail17trampoline_kernelINS0_14default_configENS1_27scan_by_key_config_selectorIxxEEZZNS1_16scan_by_key_implILNS1_25lookback_scan_determinismE0ELb0ES3_N6thrust23THRUST_200600_302600_NS6detail15normal_iteratorINS9_10device_ptrIxEEEESE_SE_xNS9_4plusIvEENS9_8equal_toIvEExEE10hipError_tPvRmT2_T3_T4_T5_mT6_T7_P12ihipStream_tbENKUlT_T0_E_clISt17integral_constantIbLb0EESY_IbLb1EEEEDaSU_SV_EUlSU_E_NS1_11comp_targetILNS1_3genE10ELNS1_11target_archE1200ELNS1_3gpuE4ELNS1_3repE0EEENS1_30default_config_static_selectorELNS0_4arch9wavefront6targetE0EEEvT1_
		.amdhsa_group_segment_fixed_size 0
		.amdhsa_private_segment_fixed_size 0
		.amdhsa_kernarg_size 136
		.amdhsa_user_sgpr_count 6
		.amdhsa_user_sgpr_private_segment_buffer 1
		.amdhsa_user_sgpr_dispatch_ptr 0
		.amdhsa_user_sgpr_queue_ptr 0
		.amdhsa_user_sgpr_kernarg_segment_ptr 1
		.amdhsa_user_sgpr_dispatch_id 0
		.amdhsa_user_sgpr_flat_scratch_init 0
		.amdhsa_user_sgpr_private_segment_size 0
		.amdhsa_wavefront_size32 1
		.amdhsa_uses_dynamic_stack 0
		.amdhsa_system_sgpr_private_segment_wavefront_offset 0
		.amdhsa_system_sgpr_workgroup_id_x 1
		.amdhsa_system_sgpr_workgroup_id_y 0
		.amdhsa_system_sgpr_workgroup_id_z 0
		.amdhsa_system_sgpr_workgroup_info 0
		.amdhsa_system_vgpr_workitem_id 0
		.amdhsa_next_free_vgpr 1
		.amdhsa_next_free_sgpr 1
		.amdhsa_reserve_vcc 0
		.amdhsa_reserve_flat_scratch 0
		.amdhsa_float_round_mode_32 0
		.amdhsa_float_round_mode_16_64 0
		.amdhsa_float_denorm_mode_32 3
		.amdhsa_float_denorm_mode_16_64 3
		.amdhsa_dx10_clamp 1
		.amdhsa_ieee_mode 1
		.amdhsa_fp16_overflow 0
		.amdhsa_workgroup_processor_mode 1
		.amdhsa_memory_ordered 1
		.amdhsa_forward_progress 1
		.amdhsa_shared_vgpr_count 0
		.amdhsa_exception_fp_ieee_invalid_op 0
		.amdhsa_exception_fp_denorm_src 0
		.amdhsa_exception_fp_ieee_div_zero 0
		.amdhsa_exception_fp_ieee_overflow 0
		.amdhsa_exception_fp_ieee_underflow 0
		.amdhsa_exception_fp_ieee_inexact 0
		.amdhsa_exception_int_div_zero 0
	.end_amdhsa_kernel
	.section	.text._ZN7rocprim17ROCPRIM_400000_NS6detail17trampoline_kernelINS0_14default_configENS1_27scan_by_key_config_selectorIxxEEZZNS1_16scan_by_key_implILNS1_25lookback_scan_determinismE0ELb0ES3_N6thrust23THRUST_200600_302600_NS6detail15normal_iteratorINS9_10device_ptrIxEEEESE_SE_xNS9_4plusIvEENS9_8equal_toIvEExEE10hipError_tPvRmT2_T3_T4_T5_mT6_T7_P12ihipStream_tbENKUlT_T0_E_clISt17integral_constantIbLb0EESY_IbLb1EEEEDaSU_SV_EUlSU_E_NS1_11comp_targetILNS1_3genE10ELNS1_11target_archE1200ELNS1_3gpuE4ELNS1_3repE0EEENS1_30default_config_static_selectorELNS0_4arch9wavefront6targetE0EEEvT1_,"axG",@progbits,_ZN7rocprim17ROCPRIM_400000_NS6detail17trampoline_kernelINS0_14default_configENS1_27scan_by_key_config_selectorIxxEEZZNS1_16scan_by_key_implILNS1_25lookback_scan_determinismE0ELb0ES3_N6thrust23THRUST_200600_302600_NS6detail15normal_iteratorINS9_10device_ptrIxEEEESE_SE_xNS9_4plusIvEENS9_8equal_toIvEExEE10hipError_tPvRmT2_T3_T4_T5_mT6_T7_P12ihipStream_tbENKUlT_T0_E_clISt17integral_constantIbLb0EESY_IbLb1EEEEDaSU_SV_EUlSU_E_NS1_11comp_targetILNS1_3genE10ELNS1_11target_archE1200ELNS1_3gpuE4ELNS1_3repE0EEENS1_30default_config_static_selectorELNS0_4arch9wavefront6targetE0EEEvT1_,comdat
.Lfunc_end44:
	.size	_ZN7rocprim17ROCPRIM_400000_NS6detail17trampoline_kernelINS0_14default_configENS1_27scan_by_key_config_selectorIxxEEZZNS1_16scan_by_key_implILNS1_25lookback_scan_determinismE0ELb0ES3_N6thrust23THRUST_200600_302600_NS6detail15normal_iteratorINS9_10device_ptrIxEEEESE_SE_xNS9_4plusIvEENS9_8equal_toIvEExEE10hipError_tPvRmT2_T3_T4_T5_mT6_T7_P12ihipStream_tbENKUlT_T0_E_clISt17integral_constantIbLb0EESY_IbLb1EEEEDaSU_SV_EUlSU_E_NS1_11comp_targetILNS1_3genE10ELNS1_11target_archE1200ELNS1_3gpuE4ELNS1_3repE0EEENS1_30default_config_static_selectorELNS0_4arch9wavefront6targetE0EEEvT1_, .Lfunc_end44-_ZN7rocprim17ROCPRIM_400000_NS6detail17trampoline_kernelINS0_14default_configENS1_27scan_by_key_config_selectorIxxEEZZNS1_16scan_by_key_implILNS1_25lookback_scan_determinismE0ELb0ES3_N6thrust23THRUST_200600_302600_NS6detail15normal_iteratorINS9_10device_ptrIxEEEESE_SE_xNS9_4plusIvEENS9_8equal_toIvEExEE10hipError_tPvRmT2_T3_T4_T5_mT6_T7_P12ihipStream_tbENKUlT_T0_E_clISt17integral_constantIbLb0EESY_IbLb1EEEEDaSU_SV_EUlSU_E_NS1_11comp_targetILNS1_3genE10ELNS1_11target_archE1200ELNS1_3gpuE4ELNS1_3repE0EEENS1_30default_config_static_selectorELNS0_4arch9wavefront6targetE0EEEvT1_
                                        ; -- End function
	.set _ZN7rocprim17ROCPRIM_400000_NS6detail17trampoline_kernelINS0_14default_configENS1_27scan_by_key_config_selectorIxxEEZZNS1_16scan_by_key_implILNS1_25lookback_scan_determinismE0ELb0ES3_N6thrust23THRUST_200600_302600_NS6detail15normal_iteratorINS9_10device_ptrIxEEEESE_SE_xNS9_4plusIvEENS9_8equal_toIvEExEE10hipError_tPvRmT2_T3_T4_T5_mT6_T7_P12ihipStream_tbENKUlT_T0_E_clISt17integral_constantIbLb0EESY_IbLb1EEEEDaSU_SV_EUlSU_E_NS1_11comp_targetILNS1_3genE10ELNS1_11target_archE1200ELNS1_3gpuE4ELNS1_3repE0EEENS1_30default_config_static_selectorELNS0_4arch9wavefront6targetE0EEEvT1_.num_vgpr, 0
	.set _ZN7rocprim17ROCPRIM_400000_NS6detail17trampoline_kernelINS0_14default_configENS1_27scan_by_key_config_selectorIxxEEZZNS1_16scan_by_key_implILNS1_25lookback_scan_determinismE0ELb0ES3_N6thrust23THRUST_200600_302600_NS6detail15normal_iteratorINS9_10device_ptrIxEEEESE_SE_xNS9_4plusIvEENS9_8equal_toIvEExEE10hipError_tPvRmT2_T3_T4_T5_mT6_T7_P12ihipStream_tbENKUlT_T0_E_clISt17integral_constantIbLb0EESY_IbLb1EEEEDaSU_SV_EUlSU_E_NS1_11comp_targetILNS1_3genE10ELNS1_11target_archE1200ELNS1_3gpuE4ELNS1_3repE0EEENS1_30default_config_static_selectorELNS0_4arch9wavefront6targetE0EEEvT1_.num_agpr, 0
	.set _ZN7rocprim17ROCPRIM_400000_NS6detail17trampoline_kernelINS0_14default_configENS1_27scan_by_key_config_selectorIxxEEZZNS1_16scan_by_key_implILNS1_25lookback_scan_determinismE0ELb0ES3_N6thrust23THRUST_200600_302600_NS6detail15normal_iteratorINS9_10device_ptrIxEEEESE_SE_xNS9_4plusIvEENS9_8equal_toIvEExEE10hipError_tPvRmT2_T3_T4_T5_mT6_T7_P12ihipStream_tbENKUlT_T0_E_clISt17integral_constantIbLb0EESY_IbLb1EEEEDaSU_SV_EUlSU_E_NS1_11comp_targetILNS1_3genE10ELNS1_11target_archE1200ELNS1_3gpuE4ELNS1_3repE0EEENS1_30default_config_static_selectorELNS0_4arch9wavefront6targetE0EEEvT1_.numbered_sgpr, 0
	.set _ZN7rocprim17ROCPRIM_400000_NS6detail17trampoline_kernelINS0_14default_configENS1_27scan_by_key_config_selectorIxxEEZZNS1_16scan_by_key_implILNS1_25lookback_scan_determinismE0ELb0ES3_N6thrust23THRUST_200600_302600_NS6detail15normal_iteratorINS9_10device_ptrIxEEEESE_SE_xNS9_4plusIvEENS9_8equal_toIvEExEE10hipError_tPvRmT2_T3_T4_T5_mT6_T7_P12ihipStream_tbENKUlT_T0_E_clISt17integral_constantIbLb0EESY_IbLb1EEEEDaSU_SV_EUlSU_E_NS1_11comp_targetILNS1_3genE10ELNS1_11target_archE1200ELNS1_3gpuE4ELNS1_3repE0EEENS1_30default_config_static_selectorELNS0_4arch9wavefront6targetE0EEEvT1_.num_named_barrier, 0
	.set _ZN7rocprim17ROCPRIM_400000_NS6detail17trampoline_kernelINS0_14default_configENS1_27scan_by_key_config_selectorIxxEEZZNS1_16scan_by_key_implILNS1_25lookback_scan_determinismE0ELb0ES3_N6thrust23THRUST_200600_302600_NS6detail15normal_iteratorINS9_10device_ptrIxEEEESE_SE_xNS9_4plusIvEENS9_8equal_toIvEExEE10hipError_tPvRmT2_T3_T4_T5_mT6_T7_P12ihipStream_tbENKUlT_T0_E_clISt17integral_constantIbLb0EESY_IbLb1EEEEDaSU_SV_EUlSU_E_NS1_11comp_targetILNS1_3genE10ELNS1_11target_archE1200ELNS1_3gpuE4ELNS1_3repE0EEENS1_30default_config_static_selectorELNS0_4arch9wavefront6targetE0EEEvT1_.private_seg_size, 0
	.set _ZN7rocprim17ROCPRIM_400000_NS6detail17trampoline_kernelINS0_14default_configENS1_27scan_by_key_config_selectorIxxEEZZNS1_16scan_by_key_implILNS1_25lookback_scan_determinismE0ELb0ES3_N6thrust23THRUST_200600_302600_NS6detail15normal_iteratorINS9_10device_ptrIxEEEESE_SE_xNS9_4plusIvEENS9_8equal_toIvEExEE10hipError_tPvRmT2_T3_T4_T5_mT6_T7_P12ihipStream_tbENKUlT_T0_E_clISt17integral_constantIbLb0EESY_IbLb1EEEEDaSU_SV_EUlSU_E_NS1_11comp_targetILNS1_3genE10ELNS1_11target_archE1200ELNS1_3gpuE4ELNS1_3repE0EEENS1_30default_config_static_selectorELNS0_4arch9wavefront6targetE0EEEvT1_.uses_vcc, 0
	.set _ZN7rocprim17ROCPRIM_400000_NS6detail17trampoline_kernelINS0_14default_configENS1_27scan_by_key_config_selectorIxxEEZZNS1_16scan_by_key_implILNS1_25lookback_scan_determinismE0ELb0ES3_N6thrust23THRUST_200600_302600_NS6detail15normal_iteratorINS9_10device_ptrIxEEEESE_SE_xNS9_4plusIvEENS9_8equal_toIvEExEE10hipError_tPvRmT2_T3_T4_T5_mT6_T7_P12ihipStream_tbENKUlT_T0_E_clISt17integral_constantIbLb0EESY_IbLb1EEEEDaSU_SV_EUlSU_E_NS1_11comp_targetILNS1_3genE10ELNS1_11target_archE1200ELNS1_3gpuE4ELNS1_3repE0EEENS1_30default_config_static_selectorELNS0_4arch9wavefront6targetE0EEEvT1_.uses_flat_scratch, 0
	.set _ZN7rocprim17ROCPRIM_400000_NS6detail17trampoline_kernelINS0_14default_configENS1_27scan_by_key_config_selectorIxxEEZZNS1_16scan_by_key_implILNS1_25lookback_scan_determinismE0ELb0ES3_N6thrust23THRUST_200600_302600_NS6detail15normal_iteratorINS9_10device_ptrIxEEEESE_SE_xNS9_4plusIvEENS9_8equal_toIvEExEE10hipError_tPvRmT2_T3_T4_T5_mT6_T7_P12ihipStream_tbENKUlT_T0_E_clISt17integral_constantIbLb0EESY_IbLb1EEEEDaSU_SV_EUlSU_E_NS1_11comp_targetILNS1_3genE10ELNS1_11target_archE1200ELNS1_3gpuE4ELNS1_3repE0EEENS1_30default_config_static_selectorELNS0_4arch9wavefront6targetE0EEEvT1_.has_dyn_sized_stack, 0
	.set _ZN7rocprim17ROCPRIM_400000_NS6detail17trampoline_kernelINS0_14default_configENS1_27scan_by_key_config_selectorIxxEEZZNS1_16scan_by_key_implILNS1_25lookback_scan_determinismE0ELb0ES3_N6thrust23THRUST_200600_302600_NS6detail15normal_iteratorINS9_10device_ptrIxEEEESE_SE_xNS9_4plusIvEENS9_8equal_toIvEExEE10hipError_tPvRmT2_T3_T4_T5_mT6_T7_P12ihipStream_tbENKUlT_T0_E_clISt17integral_constantIbLb0EESY_IbLb1EEEEDaSU_SV_EUlSU_E_NS1_11comp_targetILNS1_3genE10ELNS1_11target_archE1200ELNS1_3gpuE4ELNS1_3repE0EEENS1_30default_config_static_selectorELNS0_4arch9wavefront6targetE0EEEvT1_.has_recursion, 0
	.set _ZN7rocprim17ROCPRIM_400000_NS6detail17trampoline_kernelINS0_14default_configENS1_27scan_by_key_config_selectorIxxEEZZNS1_16scan_by_key_implILNS1_25lookback_scan_determinismE0ELb0ES3_N6thrust23THRUST_200600_302600_NS6detail15normal_iteratorINS9_10device_ptrIxEEEESE_SE_xNS9_4plusIvEENS9_8equal_toIvEExEE10hipError_tPvRmT2_T3_T4_T5_mT6_T7_P12ihipStream_tbENKUlT_T0_E_clISt17integral_constantIbLb0EESY_IbLb1EEEEDaSU_SV_EUlSU_E_NS1_11comp_targetILNS1_3genE10ELNS1_11target_archE1200ELNS1_3gpuE4ELNS1_3repE0EEENS1_30default_config_static_selectorELNS0_4arch9wavefront6targetE0EEEvT1_.has_indirect_call, 0
	.section	.AMDGPU.csdata,"",@progbits
; Kernel info:
; codeLenInByte = 0
; TotalNumSgprs: 0
; NumVgprs: 0
; ScratchSize: 0
; MemoryBound: 0
; FloatMode: 240
; IeeeMode: 1
; LDSByteSize: 0 bytes/workgroup (compile time only)
; SGPRBlocks: 0
; VGPRBlocks: 0
; NumSGPRsForWavesPerEU: 1
; NumVGPRsForWavesPerEU: 1
; Occupancy: 16
; WaveLimiterHint : 0
; COMPUTE_PGM_RSRC2:SCRATCH_EN: 0
; COMPUTE_PGM_RSRC2:USER_SGPR: 6
; COMPUTE_PGM_RSRC2:TRAP_HANDLER: 0
; COMPUTE_PGM_RSRC2:TGID_X_EN: 1
; COMPUTE_PGM_RSRC2:TGID_Y_EN: 0
; COMPUTE_PGM_RSRC2:TGID_Z_EN: 0
; COMPUTE_PGM_RSRC2:TIDIG_COMP_CNT: 0
	.section	.text._ZN7rocprim17ROCPRIM_400000_NS6detail17trampoline_kernelINS0_14default_configENS1_27scan_by_key_config_selectorIxxEEZZNS1_16scan_by_key_implILNS1_25lookback_scan_determinismE0ELb0ES3_N6thrust23THRUST_200600_302600_NS6detail15normal_iteratorINS9_10device_ptrIxEEEESE_SE_xNS9_4plusIvEENS9_8equal_toIvEExEE10hipError_tPvRmT2_T3_T4_T5_mT6_T7_P12ihipStream_tbENKUlT_T0_E_clISt17integral_constantIbLb0EESY_IbLb1EEEEDaSU_SV_EUlSU_E_NS1_11comp_targetILNS1_3genE9ELNS1_11target_archE1100ELNS1_3gpuE3ELNS1_3repE0EEENS1_30default_config_static_selectorELNS0_4arch9wavefront6targetE0EEEvT1_,"axG",@progbits,_ZN7rocprim17ROCPRIM_400000_NS6detail17trampoline_kernelINS0_14default_configENS1_27scan_by_key_config_selectorIxxEEZZNS1_16scan_by_key_implILNS1_25lookback_scan_determinismE0ELb0ES3_N6thrust23THRUST_200600_302600_NS6detail15normal_iteratorINS9_10device_ptrIxEEEESE_SE_xNS9_4plusIvEENS9_8equal_toIvEExEE10hipError_tPvRmT2_T3_T4_T5_mT6_T7_P12ihipStream_tbENKUlT_T0_E_clISt17integral_constantIbLb0EESY_IbLb1EEEEDaSU_SV_EUlSU_E_NS1_11comp_targetILNS1_3genE9ELNS1_11target_archE1100ELNS1_3gpuE3ELNS1_3repE0EEENS1_30default_config_static_selectorELNS0_4arch9wavefront6targetE0EEEvT1_,comdat
	.protected	_ZN7rocprim17ROCPRIM_400000_NS6detail17trampoline_kernelINS0_14default_configENS1_27scan_by_key_config_selectorIxxEEZZNS1_16scan_by_key_implILNS1_25lookback_scan_determinismE0ELb0ES3_N6thrust23THRUST_200600_302600_NS6detail15normal_iteratorINS9_10device_ptrIxEEEESE_SE_xNS9_4plusIvEENS9_8equal_toIvEExEE10hipError_tPvRmT2_T3_T4_T5_mT6_T7_P12ihipStream_tbENKUlT_T0_E_clISt17integral_constantIbLb0EESY_IbLb1EEEEDaSU_SV_EUlSU_E_NS1_11comp_targetILNS1_3genE9ELNS1_11target_archE1100ELNS1_3gpuE3ELNS1_3repE0EEENS1_30default_config_static_selectorELNS0_4arch9wavefront6targetE0EEEvT1_ ; -- Begin function _ZN7rocprim17ROCPRIM_400000_NS6detail17trampoline_kernelINS0_14default_configENS1_27scan_by_key_config_selectorIxxEEZZNS1_16scan_by_key_implILNS1_25lookback_scan_determinismE0ELb0ES3_N6thrust23THRUST_200600_302600_NS6detail15normal_iteratorINS9_10device_ptrIxEEEESE_SE_xNS9_4plusIvEENS9_8equal_toIvEExEE10hipError_tPvRmT2_T3_T4_T5_mT6_T7_P12ihipStream_tbENKUlT_T0_E_clISt17integral_constantIbLb0EESY_IbLb1EEEEDaSU_SV_EUlSU_E_NS1_11comp_targetILNS1_3genE9ELNS1_11target_archE1100ELNS1_3gpuE3ELNS1_3repE0EEENS1_30default_config_static_selectorELNS0_4arch9wavefront6targetE0EEEvT1_
	.globl	_ZN7rocprim17ROCPRIM_400000_NS6detail17trampoline_kernelINS0_14default_configENS1_27scan_by_key_config_selectorIxxEEZZNS1_16scan_by_key_implILNS1_25lookback_scan_determinismE0ELb0ES3_N6thrust23THRUST_200600_302600_NS6detail15normal_iteratorINS9_10device_ptrIxEEEESE_SE_xNS9_4plusIvEENS9_8equal_toIvEExEE10hipError_tPvRmT2_T3_T4_T5_mT6_T7_P12ihipStream_tbENKUlT_T0_E_clISt17integral_constantIbLb0EESY_IbLb1EEEEDaSU_SV_EUlSU_E_NS1_11comp_targetILNS1_3genE9ELNS1_11target_archE1100ELNS1_3gpuE3ELNS1_3repE0EEENS1_30default_config_static_selectorELNS0_4arch9wavefront6targetE0EEEvT1_
	.p2align	8
	.type	_ZN7rocprim17ROCPRIM_400000_NS6detail17trampoline_kernelINS0_14default_configENS1_27scan_by_key_config_selectorIxxEEZZNS1_16scan_by_key_implILNS1_25lookback_scan_determinismE0ELb0ES3_N6thrust23THRUST_200600_302600_NS6detail15normal_iteratorINS9_10device_ptrIxEEEESE_SE_xNS9_4plusIvEENS9_8equal_toIvEExEE10hipError_tPvRmT2_T3_T4_T5_mT6_T7_P12ihipStream_tbENKUlT_T0_E_clISt17integral_constantIbLb0EESY_IbLb1EEEEDaSU_SV_EUlSU_E_NS1_11comp_targetILNS1_3genE9ELNS1_11target_archE1100ELNS1_3gpuE3ELNS1_3repE0EEENS1_30default_config_static_selectorELNS0_4arch9wavefront6targetE0EEEvT1_,@function
_ZN7rocprim17ROCPRIM_400000_NS6detail17trampoline_kernelINS0_14default_configENS1_27scan_by_key_config_selectorIxxEEZZNS1_16scan_by_key_implILNS1_25lookback_scan_determinismE0ELb0ES3_N6thrust23THRUST_200600_302600_NS6detail15normal_iteratorINS9_10device_ptrIxEEEESE_SE_xNS9_4plusIvEENS9_8equal_toIvEExEE10hipError_tPvRmT2_T3_T4_T5_mT6_T7_P12ihipStream_tbENKUlT_T0_E_clISt17integral_constantIbLb0EESY_IbLb1EEEEDaSU_SV_EUlSU_E_NS1_11comp_targetILNS1_3genE9ELNS1_11target_archE1100ELNS1_3gpuE3ELNS1_3repE0EEENS1_30default_config_static_selectorELNS0_4arch9wavefront6targetE0EEEvT1_: ; @_ZN7rocprim17ROCPRIM_400000_NS6detail17trampoline_kernelINS0_14default_configENS1_27scan_by_key_config_selectorIxxEEZZNS1_16scan_by_key_implILNS1_25lookback_scan_determinismE0ELb0ES3_N6thrust23THRUST_200600_302600_NS6detail15normal_iteratorINS9_10device_ptrIxEEEESE_SE_xNS9_4plusIvEENS9_8equal_toIvEExEE10hipError_tPvRmT2_T3_T4_T5_mT6_T7_P12ihipStream_tbENKUlT_T0_E_clISt17integral_constantIbLb0EESY_IbLb1EEEEDaSU_SV_EUlSU_E_NS1_11comp_targetILNS1_3genE9ELNS1_11target_archE1100ELNS1_3gpuE3ELNS1_3repE0EEENS1_30default_config_static_selectorELNS0_4arch9wavefront6targetE0EEEvT1_
; %bb.0:
	.section	.rodata,"a",@progbits
	.p2align	6, 0x0
	.amdhsa_kernel _ZN7rocprim17ROCPRIM_400000_NS6detail17trampoline_kernelINS0_14default_configENS1_27scan_by_key_config_selectorIxxEEZZNS1_16scan_by_key_implILNS1_25lookback_scan_determinismE0ELb0ES3_N6thrust23THRUST_200600_302600_NS6detail15normal_iteratorINS9_10device_ptrIxEEEESE_SE_xNS9_4plusIvEENS9_8equal_toIvEExEE10hipError_tPvRmT2_T3_T4_T5_mT6_T7_P12ihipStream_tbENKUlT_T0_E_clISt17integral_constantIbLb0EESY_IbLb1EEEEDaSU_SV_EUlSU_E_NS1_11comp_targetILNS1_3genE9ELNS1_11target_archE1100ELNS1_3gpuE3ELNS1_3repE0EEENS1_30default_config_static_selectorELNS0_4arch9wavefront6targetE0EEEvT1_
		.amdhsa_group_segment_fixed_size 0
		.amdhsa_private_segment_fixed_size 0
		.amdhsa_kernarg_size 136
		.amdhsa_user_sgpr_count 6
		.amdhsa_user_sgpr_private_segment_buffer 1
		.amdhsa_user_sgpr_dispatch_ptr 0
		.amdhsa_user_sgpr_queue_ptr 0
		.amdhsa_user_sgpr_kernarg_segment_ptr 1
		.amdhsa_user_sgpr_dispatch_id 0
		.amdhsa_user_sgpr_flat_scratch_init 0
		.amdhsa_user_sgpr_private_segment_size 0
		.amdhsa_wavefront_size32 1
		.amdhsa_uses_dynamic_stack 0
		.amdhsa_system_sgpr_private_segment_wavefront_offset 0
		.amdhsa_system_sgpr_workgroup_id_x 1
		.amdhsa_system_sgpr_workgroup_id_y 0
		.amdhsa_system_sgpr_workgroup_id_z 0
		.amdhsa_system_sgpr_workgroup_info 0
		.amdhsa_system_vgpr_workitem_id 0
		.amdhsa_next_free_vgpr 1
		.amdhsa_next_free_sgpr 1
		.amdhsa_reserve_vcc 0
		.amdhsa_reserve_flat_scratch 0
		.amdhsa_float_round_mode_32 0
		.amdhsa_float_round_mode_16_64 0
		.amdhsa_float_denorm_mode_32 3
		.amdhsa_float_denorm_mode_16_64 3
		.amdhsa_dx10_clamp 1
		.amdhsa_ieee_mode 1
		.amdhsa_fp16_overflow 0
		.amdhsa_workgroup_processor_mode 1
		.amdhsa_memory_ordered 1
		.amdhsa_forward_progress 1
		.amdhsa_shared_vgpr_count 0
		.amdhsa_exception_fp_ieee_invalid_op 0
		.amdhsa_exception_fp_denorm_src 0
		.amdhsa_exception_fp_ieee_div_zero 0
		.amdhsa_exception_fp_ieee_overflow 0
		.amdhsa_exception_fp_ieee_underflow 0
		.amdhsa_exception_fp_ieee_inexact 0
		.amdhsa_exception_int_div_zero 0
	.end_amdhsa_kernel
	.section	.text._ZN7rocprim17ROCPRIM_400000_NS6detail17trampoline_kernelINS0_14default_configENS1_27scan_by_key_config_selectorIxxEEZZNS1_16scan_by_key_implILNS1_25lookback_scan_determinismE0ELb0ES3_N6thrust23THRUST_200600_302600_NS6detail15normal_iteratorINS9_10device_ptrIxEEEESE_SE_xNS9_4plusIvEENS9_8equal_toIvEExEE10hipError_tPvRmT2_T3_T4_T5_mT6_T7_P12ihipStream_tbENKUlT_T0_E_clISt17integral_constantIbLb0EESY_IbLb1EEEEDaSU_SV_EUlSU_E_NS1_11comp_targetILNS1_3genE9ELNS1_11target_archE1100ELNS1_3gpuE3ELNS1_3repE0EEENS1_30default_config_static_selectorELNS0_4arch9wavefront6targetE0EEEvT1_,"axG",@progbits,_ZN7rocprim17ROCPRIM_400000_NS6detail17trampoline_kernelINS0_14default_configENS1_27scan_by_key_config_selectorIxxEEZZNS1_16scan_by_key_implILNS1_25lookback_scan_determinismE0ELb0ES3_N6thrust23THRUST_200600_302600_NS6detail15normal_iteratorINS9_10device_ptrIxEEEESE_SE_xNS9_4plusIvEENS9_8equal_toIvEExEE10hipError_tPvRmT2_T3_T4_T5_mT6_T7_P12ihipStream_tbENKUlT_T0_E_clISt17integral_constantIbLb0EESY_IbLb1EEEEDaSU_SV_EUlSU_E_NS1_11comp_targetILNS1_3genE9ELNS1_11target_archE1100ELNS1_3gpuE3ELNS1_3repE0EEENS1_30default_config_static_selectorELNS0_4arch9wavefront6targetE0EEEvT1_,comdat
.Lfunc_end45:
	.size	_ZN7rocprim17ROCPRIM_400000_NS6detail17trampoline_kernelINS0_14default_configENS1_27scan_by_key_config_selectorIxxEEZZNS1_16scan_by_key_implILNS1_25lookback_scan_determinismE0ELb0ES3_N6thrust23THRUST_200600_302600_NS6detail15normal_iteratorINS9_10device_ptrIxEEEESE_SE_xNS9_4plusIvEENS9_8equal_toIvEExEE10hipError_tPvRmT2_T3_T4_T5_mT6_T7_P12ihipStream_tbENKUlT_T0_E_clISt17integral_constantIbLb0EESY_IbLb1EEEEDaSU_SV_EUlSU_E_NS1_11comp_targetILNS1_3genE9ELNS1_11target_archE1100ELNS1_3gpuE3ELNS1_3repE0EEENS1_30default_config_static_selectorELNS0_4arch9wavefront6targetE0EEEvT1_, .Lfunc_end45-_ZN7rocprim17ROCPRIM_400000_NS6detail17trampoline_kernelINS0_14default_configENS1_27scan_by_key_config_selectorIxxEEZZNS1_16scan_by_key_implILNS1_25lookback_scan_determinismE0ELb0ES3_N6thrust23THRUST_200600_302600_NS6detail15normal_iteratorINS9_10device_ptrIxEEEESE_SE_xNS9_4plusIvEENS9_8equal_toIvEExEE10hipError_tPvRmT2_T3_T4_T5_mT6_T7_P12ihipStream_tbENKUlT_T0_E_clISt17integral_constantIbLb0EESY_IbLb1EEEEDaSU_SV_EUlSU_E_NS1_11comp_targetILNS1_3genE9ELNS1_11target_archE1100ELNS1_3gpuE3ELNS1_3repE0EEENS1_30default_config_static_selectorELNS0_4arch9wavefront6targetE0EEEvT1_
                                        ; -- End function
	.set _ZN7rocprim17ROCPRIM_400000_NS6detail17trampoline_kernelINS0_14default_configENS1_27scan_by_key_config_selectorIxxEEZZNS1_16scan_by_key_implILNS1_25lookback_scan_determinismE0ELb0ES3_N6thrust23THRUST_200600_302600_NS6detail15normal_iteratorINS9_10device_ptrIxEEEESE_SE_xNS9_4plusIvEENS9_8equal_toIvEExEE10hipError_tPvRmT2_T3_T4_T5_mT6_T7_P12ihipStream_tbENKUlT_T0_E_clISt17integral_constantIbLb0EESY_IbLb1EEEEDaSU_SV_EUlSU_E_NS1_11comp_targetILNS1_3genE9ELNS1_11target_archE1100ELNS1_3gpuE3ELNS1_3repE0EEENS1_30default_config_static_selectorELNS0_4arch9wavefront6targetE0EEEvT1_.num_vgpr, 0
	.set _ZN7rocprim17ROCPRIM_400000_NS6detail17trampoline_kernelINS0_14default_configENS1_27scan_by_key_config_selectorIxxEEZZNS1_16scan_by_key_implILNS1_25lookback_scan_determinismE0ELb0ES3_N6thrust23THRUST_200600_302600_NS6detail15normal_iteratorINS9_10device_ptrIxEEEESE_SE_xNS9_4plusIvEENS9_8equal_toIvEExEE10hipError_tPvRmT2_T3_T4_T5_mT6_T7_P12ihipStream_tbENKUlT_T0_E_clISt17integral_constantIbLb0EESY_IbLb1EEEEDaSU_SV_EUlSU_E_NS1_11comp_targetILNS1_3genE9ELNS1_11target_archE1100ELNS1_3gpuE3ELNS1_3repE0EEENS1_30default_config_static_selectorELNS0_4arch9wavefront6targetE0EEEvT1_.num_agpr, 0
	.set _ZN7rocprim17ROCPRIM_400000_NS6detail17trampoline_kernelINS0_14default_configENS1_27scan_by_key_config_selectorIxxEEZZNS1_16scan_by_key_implILNS1_25lookback_scan_determinismE0ELb0ES3_N6thrust23THRUST_200600_302600_NS6detail15normal_iteratorINS9_10device_ptrIxEEEESE_SE_xNS9_4plusIvEENS9_8equal_toIvEExEE10hipError_tPvRmT2_T3_T4_T5_mT6_T7_P12ihipStream_tbENKUlT_T0_E_clISt17integral_constantIbLb0EESY_IbLb1EEEEDaSU_SV_EUlSU_E_NS1_11comp_targetILNS1_3genE9ELNS1_11target_archE1100ELNS1_3gpuE3ELNS1_3repE0EEENS1_30default_config_static_selectorELNS0_4arch9wavefront6targetE0EEEvT1_.numbered_sgpr, 0
	.set _ZN7rocprim17ROCPRIM_400000_NS6detail17trampoline_kernelINS0_14default_configENS1_27scan_by_key_config_selectorIxxEEZZNS1_16scan_by_key_implILNS1_25lookback_scan_determinismE0ELb0ES3_N6thrust23THRUST_200600_302600_NS6detail15normal_iteratorINS9_10device_ptrIxEEEESE_SE_xNS9_4plusIvEENS9_8equal_toIvEExEE10hipError_tPvRmT2_T3_T4_T5_mT6_T7_P12ihipStream_tbENKUlT_T0_E_clISt17integral_constantIbLb0EESY_IbLb1EEEEDaSU_SV_EUlSU_E_NS1_11comp_targetILNS1_3genE9ELNS1_11target_archE1100ELNS1_3gpuE3ELNS1_3repE0EEENS1_30default_config_static_selectorELNS0_4arch9wavefront6targetE0EEEvT1_.num_named_barrier, 0
	.set _ZN7rocprim17ROCPRIM_400000_NS6detail17trampoline_kernelINS0_14default_configENS1_27scan_by_key_config_selectorIxxEEZZNS1_16scan_by_key_implILNS1_25lookback_scan_determinismE0ELb0ES3_N6thrust23THRUST_200600_302600_NS6detail15normal_iteratorINS9_10device_ptrIxEEEESE_SE_xNS9_4plusIvEENS9_8equal_toIvEExEE10hipError_tPvRmT2_T3_T4_T5_mT6_T7_P12ihipStream_tbENKUlT_T0_E_clISt17integral_constantIbLb0EESY_IbLb1EEEEDaSU_SV_EUlSU_E_NS1_11comp_targetILNS1_3genE9ELNS1_11target_archE1100ELNS1_3gpuE3ELNS1_3repE0EEENS1_30default_config_static_selectorELNS0_4arch9wavefront6targetE0EEEvT1_.private_seg_size, 0
	.set _ZN7rocprim17ROCPRIM_400000_NS6detail17trampoline_kernelINS0_14default_configENS1_27scan_by_key_config_selectorIxxEEZZNS1_16scan_by_key_implILNS1_25lookback_scan_determinismE0ELb0ES3_N6thrust23THRUST_200600_302600_NS6detail15normal_iteratorINS9_10device_ptrIxEEEESE_SE_xNS9_4plusIvEENS9_8equal_toIvEExEE10hipError_tPvRmT2_T3_T4_T5_mT6_T7_P12ihipStream_tbENKUlT_T0_E_clISt17integral_constantIbLb0EESY_IbLb1EEEEDaSU_SV_EUlSU_E_NS1_11comp_targetILNS1_3genE9ELNS1_11target_archE1100ELNS1_3gpuE3ELNS1_3repE0EEENS1_30default_config_static_selectorELNS0_4arch9wavefront6targetE0EEEvT1_.uses_vcc, 0
	.set _ZN7rocprim17ROCPRIM_400000_NS6detail17trampoline_kernelINS0_14default_configENS1_27scan_by_key_config_selectorIxxEEZZNS1_16scan_by_key_implILNS1_25lookback_scan_determinismE0ELb0ES3_N6thrust23THRUST_200600_302600_NS6detail15normal_iteratorINS9_10device_ptrIxEEEESE_SE_xNS9_4plusIvEENS9_8equal_toIvEExEE10hipError_tPvRmT2_T3_T4_T5_mT6_T7_P12ihipStream_tbENKUlT_T0_E_clISt17integral_constantIbLb0EESY_IbLb1EEEEDaSU_SV_EUlSU_E_NS1_11comp_targetILNS1_3genE9ELNS1_11target_archE1100ELNS1_3gpuE3ELNS1_3repE0EEENS1_30default_config_static_selectorELNS0_4arch9wavefront6targetE0EEEvT1_.uses_flat_scratch, 0
	.set _ZN7rocprim17ROCPRIM_400000_NS6detail17trampoline_kernelINS0_14default_configENS1_27scan_by_key_config_selectorIxxEEZZNS1_16scan_by_key_implILNS1_25lookback_scan_determinismE0ELb0ES3_N6thrust23THRUST_200600_302600_NS6detail15normal_iteratorINS9_10device_ptrIxEEEESE_SE_xNS9_4plusIvEENS9_8equal_toIvEExEE10hipError_tPvRmT2_T3_T4_T5_mT6_T7_P12ihipStream_tbENKUlT_T0_E_clISt17integral_constantIbLb0EESY_IbLb1EEEEDaSU_SV_EUlSU_E_NS1_11comp_targetILNS1_3genE9ELNS1_11target_archE1100ELNS1_3gpuE3ELNS1_3repE0EEENS1_30default_config_static_selectorELNS0_4arch9wavefront6targetE0EEEvT1_.has_dyn_sized_stack, 0
	.set _ZN7rocprim17ROCPRIM_400000_NS6detail17trampoline_kernelINS0_14default_configENS1_27scan_by_key_config_selectorIxxEEZZNS1_16scan_by_key_implILNS1_25lookback_scan_determinismE0ELb0ES3_N6thrust23THRUST_200600_302600_NS6detail15normal_iteratorINS9_10device_ptrIxEEEESE_SE_xNS9_4plusIvEENS9_8equal_toIvEExEE10hipError_tPvRmT2_T3_T4_T5_mT6_T7_P12ihipStream_tbENKUlT_T0_E_clISt17integral_constantIbLb0EESY_IbLb1EEEEDaSU_SV_EUlSU_E_NS1_11comp_targetILNS1_3genE9ELNS1_11target_archE1100ELNS1_3gpuE3ELNS1_3repE0EEENS1_30default_config_static_selectorELNS0_4arch9wavefront6targetE0EEEvT1_.has_recursion, 0
	.set _ZN7rocprim17ROCPRIM_400000_NS6detail17trampoline_kernelINS0_14default_configENS1_27scan_by_key_config_selectorIxxEEZZNS1_16scan_by_key_implILNS1_25lookback_scan_determinismE0ELb0ES3_N6thrust23THRUST_200600_302600_NS6detail15normal_iteratorINS9_10device_ptrIxEEEESE_SE_xNS9_4plusIvEENS9_8equal_toIvEExEE10hipError_tPvRmT2_T3_T4_T5_mT6_T7_P12ihipStream_tbENKUlT_T0_E_clISt17integral_constantIbLb0EESY_IbLb1EEEEDaSU_SV_EUlSU_E_NS1_11comp_targetILNS1_3genE9ELNS1_11target_archE1100ELNS1_3gpuE3ELNS1_3repE0EEENS1_30default_config_static_selectorELNS0_4arch9wavefront6targetE0EEEvT1_.has_indirect_call, 0
	.section	.AMDGPU.csdata,"",@progbits
; Kernel info:
; codeLenInByte = 0
; TotalNumSgprs: 0
; NumVgprs: 0
; ScratchSize: 0
; MemoryBound: 0
; FloatMode: 240
; IeeeMode: 1
; LDSByteSize: 0 bytes/workgroup (compile time only)
; SGPRBlocks: 0
; VGPRBlocks: 0
; NumSGPRsForWavesPerEU: 1
; NumVGPRsForWavesPerEU: 1
; Occupancy: 16
; WaveLimiterHint : 0
; COMPUTE_PGM_RSRC2:SCRATCH_EN: 0
; COMPUTE_PGM_RSRC2:USER_SGPR: 6
; COMPUTE_PGM_RSRC2:TRAP_HANDLER: 0
; COMPUTE_PGM_RSRC2:TGID_X_EN: 1
; COMPUTE_PGM_RSRC2:TGID_Y_EN: 0
; COMPUTE_PGM_RSRC2:TGID_Z_EN: 0
; COMPUTE_PGM_RSRC2:TIDIG_COMP_CNT: 0
	.section	.text._ZN7rocprim17ROCPRIM_400000_NS6detail17trampoline_kernelINS0_14default_configENS1_27scan_by_key_config_selectorIxxEEZZNS1_16scan_by_key_implILNS1_25lookback_scan_determinismE0ELb0ES3_N6thrust23THRUST_200600_302600_NS6detail15normal_iteratorINS9_10device_ptrIxEEEESE_SE_xNS9_4plusIvEENS9_8equal_toIvEExEE10hipError_tPvRmT2_T3_T4_T5_mT6_T7_P12ihipStream_tbENKUlT_T0_E_clISt17integral_constantIbLb0EESY_IbLb1EEEEDaSU_SV_EUlSU_E_NS1_11comp_targetILNS1_3genE8ELNS1_11target_archE1030ELNS1_3gpuE2ELNS1_3repE0EEENS1_30default_config_static_selectorELNS0_4arch9wavefront6targetE0EEEvT1_,"axG",@progbits,_ZN7rocprim17ROCPRIM_400000_NS6detail17trampoline_kernelINS0_14default_configENS1_27scan_by_key_config_selectorIxxEEZZNS1_16scan_by_key_implILNS1_25lookback_scan_determinismE0ELb0ES3_N6thrust23THRUST_200600_302600_NS6detail15normal_iteratorINS9_10device_ptrIxEEEESE_SE_xNS9_4plusIvEENS9_8equal_toIvEExEE10hipError_tPvRmT2_T3_T4_T5_mT6_T7_P12ihipStream_tbENKUlT_T0_E_clISt17integral_constantIbLb0EESY_IbLb1EEEEDaSU_SV_EUlSU_E_NS1_11comp_targetILNS1_3genE8ELNS1_11target_archE1030ELNS1_3gpuE2ELNS1_3repE0EEENS1_30default_config_static_selectorELNS0_4arch9wavefront6targetE0EEEvT1_,comdat
	.protected	_ZN7rocprim17ROCPRIM_400000_NS6detail17trampoline_kernelINS0_14default_configENS1_27scan_by_key_config_selectorIxxEEZZNS1_16scan_by_key_implILNS1_25lookback_scan_determinismE0ELb0ES3_N6thrust23THRUST_200600_302600_NS6detail15normal_iteratorINS9_10device_ptrIxEEEESE_SE_xNS9_4plusIvEENS9_8equal_toIvEExEE10hipError_tPvRmT2_T3_T4_T5_mT6_T7_P12ihipStream_tbENKUlT_T0_E_clISt17integral_constantIbLb0EESY_IbLb1EEEEDaSU_SV_EUlSU_E_NS1_11comp_targetILNS1_3genE8ELNS1_11target_archE1030ELNS1_3gpuE2ELNS1_3repE0EEENS1_30default_config_static_selectorELNS0_4arch9wavefront6targetE0EEEvT1_ ; -- Begin function _ZN7rocprim17ROCPRIM_400000_NS6detail17trampoline_kernelINS0_14default_configENS1_27scan_by_key_config_selectorIxxEEZZNS1_16scan_by_key_implILNS1_25lookback_scan_determinismE0ELb0ES3_N6thrust23THRUST_200600_302600_NS6detail15normal_iteratorINS9_10device_ptrIxEEEESE_SE_xNS9_4plusIvEENS9_8equal_toIvEExEE10hipError_tPvRmT2_T3_T4_T5_mT6_T7_P12ihipStream_tbENKUlT_T0_E_clISt17integral_constantIbLb0EESY_IbLb1EEEEDaSU_SV_EUlSU_E_NS1_11comp_targetILNS1_3genE8ELNS1_11target_archE1030ELNS1_3gpuE2ELNS1_3repE0EEENS1_30default_config_static_selectorELNS0_4arch9wavefront6targetE0EEEvT1_
	.globl	_ZN7rocprim17ROCPRIM_400000_NS6detail17trampoline_kernelINS0_14default_configENS1_27scan_by_key_config_selectorIxxEEZZNS1_16scan_by_key_implILNS1_25lookback_scan_determinismE0ELb0ES3_N6thrust23THRUST_200600_302600_NS6detail15normal_iteratorINS9_10device_ptrIxEEEESE_SE_xNS9_4plusIvEENS9_8equal_toIvEExEE10hipError_tPvRmT2_T3_T4_T5_mT6_T7_P12ihipStream_tbENKUlT_T0_E_clISt17integral_constantIbLb0EESY_IbLb1EEEEDaSU_SV_EUlSU_E_NS1_11comp_targetILNS1_3genE8ELNS1_11target_archE1030ELNS1_3gpuE2ELNS1_3repE0EEENS1_30default_config_static_selectorELNS0_4arch9wavefront6targetE0EEEvT1_
	.p2align	8
	.type	_ZN7rocprim17ROCPRIM_400000_NS6detail17trampoline_kernelINS0_14default_configENS1_27scan_by_key_config_selectorIxxEEZZNS1_16scan_by_key_implILNS1_25lookback_scan_determinismE0ELb0ES3_N6thrust23THRUST_200600_302600_NS6detail15normal_iteratorINS9_10device_ptrIxEEEESE_SE_xNS9_4plusIvEENS9_8equal_toIvEExEE10hipError_tPvRmT2_T3_T4_T5_mT6_T7_P12ihipStream_tbENKUlT_T0_E_clISt17integral_constantIbLb0EESY_IbLb1EEEEDaSU_SV_EUlSU_E_NS1_11comp_targetILNS1_3genE8ELNS1_11target_archE1030ELNS1_3gpuE2ELNS1_3repE0EEENS1_30default_config_static_selectorELNS0_4arch9wavefront6targetE0EEEvT1_,@function
_ZN7rocprim17ROCPRIM_400000_NS6detail17trampoline_kernelINS0_14default_configENS1_27scan_by_key_config_selectorIxxEEZZNS1_16scan_by_key_implILNS1_25lookback_scan_determinismE0ELb0ES3_N6thrust23THRUST_200600_302600_NS6detail15normal_iteratorINS9_10device_ptrIxEEEESE_SE_xNS9_4plusIvEENS9_8equal_toIvEExEE10hipError_tPvRmT2_T3_T4_T5_mT6_T7_P12ihipStream_tbENKUlT_T0_E_clISt17integral_constantIbLb0EESY_IbLb1EEEEDaSU_SV_EUlSU_E_NS1_11comp_targetILNS1_3genE8ELNS1_11target_archE1030ELNS1_3gpuE2ELNS1_3repE0EEENS1_30default_config_static_selectorELNS0_4arch9wavefront6targetE0EEEvT1_: ; @_ZN7rocprim17ROCPRIM_400000_NS6detail17trampoline_kernelINS0_14default_configENS1_27scan_by_key_config_selectorIxxEEZZNS1_16scan_by_key_implILNS1_25lookback_scan_determinismE0ELb0ES3_N6thrust23THRUST_200600_302600_NS6detail15normal_iteratorINS9_10device_ptrIxEEEESE_SE_xNS9_4plusIvEENS9_8equal_toIvEExEE10hipError_tPvRmT2_T3_T4_T5_mT6_T7_P12ihipStream_tbENKUlT_T0_E_clISt17integral_constantIbLb0EESY_IbLb1EEEEDaSU_SV_EUlSU_E_NS1_11comp_targetILNS1_3genE8ELNS1_11target_archE1030ELNS1_3gpuE2ELNS1_3repE0EEENS1_30default_config_static_selectorELNS0_4arch9wavefront6targetE0EEEvT1_
; %bb.0:
	s_clause 0x1
	s_load_dwordx8 s[20:27], s[4:5], 0x30
	s_load_dwordx2 s[34:35], s[4:5], 0x50
	v_cmp_ne_u32_e64 s1, 0, v0
	v_cmp_eq_u32_e64 s0, 0, v0
	s_and_saveexec_b32 s2, s0
	s_cbranch_execz .LBB46_4
; %bb.1:
	s_mov_b32 s6, exec_lo
	s_mov_b32 s3, exec_lo
	v_mbcnt_lo_u32_b32 v1, s6, 0
                                        ; implicit-def: $vgpr2
	v_cmpx_eq_u32_e32 0, v1
	s_cbranch_execz .LBB46_3
; %bb.2:
	s_load_dwordx2 s[8:9], s[4:5], 0x80
	s_bcnt1_i32_b32 s6, s6
	v_mov_b32_e32 v2, 0
	v_mov_b32_e32 v3, s6
	s_waitcnt lgkmcnt(0)
	global_atomic_add v2, v2, v3, s[8:9] glc
.LBB46_3:
	s_or_b32 exec_lo, exec_lo, s3
	s_waitcnt vmcnt(0)
	v_readfirstlane_b32 s3, v2
	v_mov_b32_e32 v2, 0
	v_add_nc_u32_e32 v1, s3, v1
	ds_write_b32 v2, v1
.LBB46_4:
	s_or_b32 exec_lo, exec_lo, s2
	v_mov_b32_e32 v1, 0
	s_clause 0x2
	s_load_dwordx8 s[12:19], s[4:5], 0x0
	s_load_dword s6, s[4:5], 0x58
	s_load_dwordx8 s[36:43], s[4:5], 0x60
	s_waitcnt lgkmcnt(0)
	s_barrier
	buffer_gl0_inv
	ds_read_b32 v1, v1
	s_waitcnt lgkmcnt(0)
	s_barrier
	buffer_gl0_inv
	s_barrier
	buffer_gl0_inv
	s_lshl_b64 s[28:29], s[14:15], 3
	s_mul_i32 s2, s35, s6
	s_add_u32 s4, s12, s28
	s_addc_u32 s5, s13, s29
	s_mul_hi_u32 s3, s34, s6
	s_add_u32 s7, s16, s28
	v_readfirstlane_b32 s44, v1
	s_addc_u32 s8, s17, s29
	s_add_i32 s9, s3, s2
	s_cmp_lg_u64 s[40:41], 0
	s_mov_b32 s3, 0
	s_mul_i32 s2, s44, 0xd00
	s_cselect_b32 s46, -1, 0
	s_lshl_b64 s[30:31], s[2:3], 3
	s_mul_i32 s2, s34, s6
	s_add_u32 s16, s4, s30
	s_addc_u32 s17, s5, s31
	s_add_u32 s15, s7, s30
	s_addc_u32 s45, s8, s31
	;; [unrolled: 2-line block ×3, first 2 shown]
	s_add_u32 s4, s36, -1
	s_addc_u32 s5, s37, -1
	s_mul_i32 s33, s4, 0xfffff300
	v_cmp_ge_u64_e64 s27, s[40:41], s[4:5]
	s_and_b32 vcc_lo, exec_lo, s27
	s_cbranch_vccz .LBB46_76
; %bb.5:
	v_mov_b32_e32 v1, s16
	v_mov_b32_e32 v2, s17
	s_add_i32 s47, s33, s26
	v_cmp_gt_u32_e64 s2, s47, v0
	flat_load_dwordx2 v[1:2], v[1:2]
	s_waitcnt vmcnt(0) lgkmcnt(0)
	v_mov_b32_e32 v4, v2
	v_mov_b32_e32 v3, v1
	s_and_saveexec_b32 s3, s2
	s_cbranch_execz .LBB46_7
; %bb.6:
	v_lshlrev_b32_e32 v3, 3, v0
	v_add_co_u32 v3, s4, s16, v3
	v_add_co_ci_u32_e64 v4, null, s17, 0, s4
	flat_load_dwordx2 v[3:4], v[3:4]
.LBB46_7:
	s_or_b32 exec_lo, exec_lo, s3
	v_or_b32_e32 v5, 0x100, v0
	v_cmp_gt_u32_e64 s3, s47, v5
	v_lshlrev_b32_e32 v27, 3, v5
	v_mov_b32_e32 v6, v2
	v_mov_b32_e32 v5, v1
	s_and_saveexec_b32 s4, s3
	s_cbranch_execz .LBB46_9
; %bb.8:
	v_add_co_u32 v5, s5, s16, v27
	v_add_co_ci_u32_e64 v6, null, s17, 0, s5
	flat_load_dwordx2 v[5:6], v[5:6]
.LBB46_9:
	s_or_b32 exec_lo, exec_lo, s4
	v_or_b32_e32 v7, 0x200, v0
	v_cmp_gt_u32_e64 s4, s47, v7
	v_lshlrev_b32_e32 v28, 3, v7
	v_mov_b32_e32 v8, v2
	v_mov_b32_e32 v7, v1
	s_and_saveexec_b32 s5, s4
	s_cbranch_execz .LBB46_11
; %bb.10:
	v_add_co_u32 v7, s6, s16, v28
	v_add_co_ci_u32_e64 v8, null, s17, 0, s6
	flat_load_dwordx2 v[7:8], v[7:8]
.LBB46_11:
	;; [unrolled: 13-line block ×11, first 2 shown]
	s_or_b32 exec_lo, exec_lo, s14
	v_or_b32_e32 v38, 0xc00, v0
	v_cmp_gt_u32_e64 s14, s47, v38
	v_lshlrev_b32_e32 v38, 3, v38
	s_and_saveexec_b32 s36, s14
	s_cbranch_execz .LBB46_31
; %bb.30:
	v_add_co_u32 v1, s37, s16, v38
	v_add_co_ci_u32_e64 v2, null, s17, 0, s37
	flat_load_dwordx2 v[1:2], v[1:2]
.LBB46_31:
	s_or_b32 exec_lo, exec_lo, s36
	v_lshlrev_b32_e32 v39, 3, v0
	s_cmp_eq_u64 s[40:41], 0
	s_mov_b64 s[36:37], s[16:17]
	s_waitcnt vmcnt(0) lgkmcnt(0)
	ds_write2st64_b64 v39, v[3:4], v[5:6] offset1:4
	ds_write2st64_b64 v39, v[7:8], v[9:10] offset0:8 offset1:12
	ds_write2st64_b64 v39, v[11:12], v[13:14] offset0:16 offset1:20
	;; [unrolled: 1-line block ×5, first 2 shown]
	v_mad_u32_u24 v101, 0x60, v0, v39
	ds_write_b64 v39, v[1:2] offset:24576
	s_waitcnt lgkmcnt(0)
	s_barrier
	buffer_gl0_inv
	ds_read2_b64 v[65:68], v101 offset0:2 offset1:3
	ds_read2_b64 v[57:60], v101 offset0:3 offset1:4
	ds_read2_b64 v[69:72], v101 offset1:1
	ds_read2_b64 v[73:76], v101 offset0:1 offset1:2
	ds_read2_b64 v[49:52], v101 offset0:7 offset1:8
	;; [unrolled: 1-line block ×5, first 2 shown]
	s_cbranch_scc1 .LBB46_35
; %bb.32:
	s_andn2_b32 vcc_lo, exec_lo, s46
	s_cbranch_vccnz .LBB46_241
; %bb.33:
	s_lshl_b64 s[36:37], s[40:41], 3
	s_add_u32 s36, s42, s36
	s_addc_u32 s37, s43, s37
	s_add_u32 s36, s36, -8
	s_addc_u32 s37, s37, -1
	s_cbranch_execnz .LBB46_35
.LBB46_34:
	s_add_u32 s36, s16, -8
	s_addc_u32 s37, s17, -1
.LBB46_35:
	v_mov_b32_e32 v1, s36
	v_mov_b32_e32 v2, s37
	flat_load_dwordx2 v[11:12], v[1:2]
	v_mad_i32_i24 v1, 0xffffffa0, v0, v101
	s_waitcnt lgkmcnt(1)
	ds_write_b64 v1, v[47:48] offset:26624
	s_waitcnt vmcnt(0) lgkmcnt(0)
	s_barrier
	buffer_gl0_inv
	s_and_saveexec_b32 s36, s1
; %bb.36:
	v_mul_i32_i24_e32 v1, 0xffffffa0, v0
	v_add_nc_u32_e32 v1, v101, v1
	ds_read_b64 v[11:12], v1 offset:26616
; %bb.37:
	s_or_b32 exec_lo, exec_lo, s36
	s_waitcnt lgkmcnt(0)
	s_barrier
	buffer_gl0_inv
                                        ; implicit-def: $vgpr1_vgpr2
	s_and_saveexec_b32 s36, s2
	s_cbranch_execnz .LBB46_229
; %bb.38:
	s_or_b32 exec_lo, exec_lo, s36
                                        ; implicit-def: $vgpr3_vgpr4
	s_and_saveexec_b32 s2, s3
	s_cbranch_execnz .LBB46_230
.LBB46_39:
	s_or_b32 exec_lo, exec_lo, s2
                                        ; implicit-def: $vgpr5_vgpr6
	s_and_saveexec_b32 s2, s4
	s_cbranch_execnz .LBB46_231
.LBB46_40:
	s_or_b32 exec_lo, exec_lo, s2
                                        ; implicit-def: $vgpr7_vgpr8
	s_and_saveexec_b32 s2, s5
	s_cbranch_execnz .LBB46_232
.LBB46_41:
	s_or_b32 exec_lo, exec_lo, s2
                                        ; implicit-def: $vgpr9_vgpr10
	s_and_saveexec_b32 s2, s6
	s_cbranch_execnz .LBB46_233
.LBB46_42:
	s_or_b32 exec_lo, exec_lo, s2
                                        ; implicit-def: $vgpr13_vgpr14
	s_and_saveexec_b32 s2, s7
	s_cbranch_execnz .LBB46_234
.LBB46_43:
	s_or_b32 exec_lo, exec_lo, s2
                                        ; implicit-def: $vgpr15_vgpr16
	s_and_saveexec_b32 s2, s8
	s_cbranch_execnz .LBB46_235
.LBB46_44:
	s_or_b32 exec_lo, exec_lo, s2
                                        ; implicit-def: $vgpr17_vgpr18
	s_and_saveexec_b32 s2, s9
	s_cbranch_execnz .LBB46_236
.LBB46_45:
	s_or_b32 exec_lo, exec_lo, s2
                                        ; implicit-def: $vgpr19_vgpr20
	s_and_saveexec_b32 s2, s10
	s_cbranch_execnz .LBB46_237
.LBB46_46:
	s_or_b32 exec_lo, exec_lo, s2
                                        ; implicit-def: $vgpr21_vgpr22
	s_and_saveexec_b32 s2, s11
	s_cbranch_execnz .LBB46_238
.LBB46_47:
	s_or_b32 exec_lo, exec_lo, s2
                                        ; implicit-def: $vgpr23_vgpr24
	s_and_saveexec_b32 s2, s12
	s_cbranch_execnz .LBB46_239
.LBB46_48:
	s_or_b32 exec_lo, exec_lo, s2
                                        ; implicit-def: $vgpr25_vgpr26
	s_and_saveexec_b32 s2, s13
	s_cbranch_execnz .LBB46_240
.LBB46_49:
	s_or_b32 exec_lo, exec_lo, s2
                                        ; implicit-def: $vgpr27_vgpr28
	s_and_saveexec_b32 s2, s14
	s_cbranch_execz .LBB46_51
.LBB46_50:
	v_add_co_u32 v27, s3, s15, v38
	v_add_co_ci_u32_e64 v28, null, s45, 0, s3
	flat_load_dwordx2 v[27:28], v[27:28]
.LBB46_51:
	s_or_b32 exec_lo, exec_lo, s2
	v_mul_u32_u24_e32 v104, 13, v0
	s_waitcnt vmcnt(0) lgkmcnt(0)
	ds_write2st64_b64 v39, v[1:2], v[3:4] offset1:4
	ds_write2st64_b64 v39, v[5:6], v[7:8] offset0:8 offset1:12
	ds_write2st64_b64 v39, v[9:10], v[13:14] offset0:16 offset1:20
	;; [unrolled: 1-line block ×5, first 2 shown]
	ds_write_b64 v39, v[27:28] offset:24576
	v_mov_b32_e32 v5, 0
	v_mov_b32_e32 v29, 0
	;; [unrolled: 1-line block ×22, first 2 shown]
	v_cmp_gt_u32_e32 vcc_lo, s47, v104
	v_mov_b32_e32 v99, 0
	v_mov_b32_e32 v6, 0
	;; [unrolled: 1-line block ×45, first 2 shown]
	s_mov_b32 s6, 0
	s_mov_b32 s3, 0
	s_waitcnt lgkmcnt(0)
	s_barrier
	buffer_gl0_inv
                                        ; implicit-def: $sgpr7
                                        ; implicit-def: $vgpr35_vgpr36
	s_and_saveexec_b32 s8, vcc_lo
	s_cbranch_execz .LBB46_75
; %bb.52:
	ds_read_b64 v[1:2], v101
	v_add_nc_u32_e32 v3, 1, v104
	v_mov_b32_e32 v5, 0
	v_mov_b32_e32 v29, 0
	;; [unrolled: 1-line block ×4, first 2 shown]
	v_cmp_gt_u32_e64 s2, s47, v3
	v_mov_b32_e32 v31, 0
	v_mov_b32_e32 v39, 0
	;; [unrolled: 1-line block ×59, first 2 shown]
	v_cmp_ne_u64_e32 vcc_lo, v[11:12], v[69:70]
                                        ; implicit-def: $sgpr7
                                        ; implicit-def: $vgpr35_vgpr36
	s_and_saveexec_b32 s9, s2
	s_cbranch_execz .LBB46_74
; %bb.53:
	ds_read2_b64 v[9:12], v101 offset0:1 offset1:2
	v_cmp_ne_u64_e64 s2, v[71:72], v[75:76]
	v_cmp_ne_u64_e64 s4, v[69:70], v[73:74]
	v_add_nc_u32_e32 v5, 2, v104
	v_cmp_ne_u64_e64 s3, v[67:68], v[59:60]
	v_mov_b32_e32 v29, 0
	v_mov_b32_e32 v27, 0
	v_cndmask_b32_e64 v3, 0, 1, s2
	v_cmp_ne_u64_e64 s2, v[65:66], v[57:58]
	v_cndmask_b32_e64 v4, 0, 1, s4
	v_cmp_gt_u32_e64 s4, s47, v5
	v_mov_b32_e32 v5, 0
	v_mov_b32_e32 v33, 0
	;; [unrolled: 1-line block ×17, first 2 shown]
	v_lshlrev_b16 v3, 8, v3
	v_mov_b32_e32 v99, 0
	v_mov_b32_e32 v6, 0
	v_mov_b32_e32 v95, 0
	v_mov_b32_e32 v98, 0
	v_mov_b32_e32 v97, 0
	v_mov_b32_e32 v93, 0
	v_mov_b32_e32 v102, 0
	v_mov_b32_e32 v100, 0
	v_mov_b32_e32 v94, 0
	v_mov_b32_e32 v96, 0
	v_mov_b32_e32 v30, 0
	v_mov_b32_e32 v28, 0
	v_mov_b32_e32 v34, 0
	v_mov_b32_e32 v32, 0
	v_mov_b32_e32 v40, 0
	v_mov_b32_e32 v38, 0
	v_mov_b32_e32 v56, 0
	v_mov_b32_e32 v54, 0
	v_mov_b32_e32 v88, 0
	v_mov_b32_e32 v86, 0
	v_mov_b32_e32 v85, 0
	v_mov_b32_e32 v84, 0
	v_mov_b32_e32 v91, 0
	v_mov_b32_e32 v90, 0
	v_mov_b32_e32 v89, 0
	v_mov_b32_e32 v81, 0
	v_mov_b32_e32 v8, 0
	v_mov_b32_e32 v82, 0
	v_mov_b32_e32 v78, 0
	v_mov_b32_e32 v26, 0
	v_mov_b32_e32 v80, 0
	v_mov_b32_e32 v22, 0
	v_mov_b32_e32 v24, 0
	v_mov_b32_e32 v18, 0
	v_mov_b32_e32 v20, 0
	v_mov_b32_e32 v14, 0
	v_mov_b32_e32 v16, 0
	v_mov_b32_e32 v83, 0
	s_mov_b32 s5, 0
                                        ; implicit-def: $sgpr7
                                        ; implicit-def: $vgpr35_vgpr36
	s_and_saveexec_b32 s10, s4
	s_cbranch_execz .LBB46_73
; %bb.54:
	v_cndmask_b32_e64 v7, 0, 1, s3
	v_cndmask_b32_e64 v8, 0, 1, s2
	v_add_nc_u32_e32 v13, 3, v104
	v_mov_b32_e32 v5, 0
	v_mov_b32_e32 v29, 0
	v_lshlrev_b16 v7, 8, v7
	v_mov_b32_e32 v27, 0
	v_mov_b32_e32 v33, 0
	;; [unrolled: 1-line block ×4, first 2 shown]
	v_or_b32_e32 v53, v8, v7
	v_mov_b32_e32 v37, 0
	v_mov_b32_e32 v55, 0
	v_cmp_gt_u32_e64 s2, s47, v13
	v_mov_b32_e32 v77, 0
	v_lshlrev_b32_e32 v54, 16, v53
	v_mov_b32_e32 v25, 0
	v_mov_b32_e32 v79, 0
	;; [unrolled: 1-line block ×4, first 2 shown]
	v_or_b32_sdwa v7, v3, v54 dst_sel:DWORD dst_unused:UNUSED_PAD src0_sel:WORD_0 src1_sel:DWORD
	v_mov_b32_e32 v17, 0
	v_mov_b32_e32 v19, 0
	;; [unrolled: 1-line block ×4, first 2 shown]
	v_lshrrev_b32_e32 v93, 8, v7
	v_mov_b32_e32 v7, 0
	v_mov_b32_e32 v6, 0
	v_mov_b32_e32 v95, 0
	v_mov_b32_e32 v98, 0
	v_mov_b32_e32 v97, 0
	v_mov_b32_e32 v102, 0
	v_mov_b32_e32 v100, 0
	v_mov_b32_e32 v94, 0
	v_mov_b32_e32 v96, 0
	v_mov_b32_e32 v30, 0
	v_mov_b32_e32 v28, 0
	v_mov_b32_e32 v34, 0
	v_mov_b32_e32 v32, 0
	v_mov_b32_e32 v40, 0
	v_mov_b32_e32 v38, 0
	v_mov_b32_e32 v56, 0
	v_mov_b32_e32 v88, 0
	v_mov_b32_e32 v86, 0
	v_mov_b32_e32 v85, 0
	v_mov_b32_e32 v84, 0
	v_mov_b32_e32 v90, 0
	v_mov_b32_e32 v89, 0
	v_mov_b32_e32 v81, 0
	v_mov_b32_e32 v8, 0
	v_mov_b32_e32 v82, 0
	v_mov_b32_e32 v78, 0
	v_mov_b32_e32 v26, 0
	v_mov_b32_e32 v80, 0
	v_mov_b32_e32 v22, 0
	v_mov_b32_e32 v24, 0
	v_mov_b32_e32 v18, 0
	v_mov_b32_e32 v20, 0
	v_mov_b32_e32 v14, 0
	v_mov_b32_e32 v83, 0
	s_mov_b32 s3, 0
                                        ; implicit-def: $sgpr7
                                        ; implicit-def: $vgpr35_vgpr36
	s_and_saveexec_b32 s11, s2
	s_cbranch_execz .LBB46_72
; %bb.55:
	ds_read2_b64 v[13:16], v101 offset0:3 offset1:4
	v_add_nc_u32_e32 v7, 4, v104
	v_mov_b32_e32 v5, 0
	v_mov_b32_e32 v29, 0
	;; [unrolled: 1-line block ×4, first 2 shown]
	v_cmp_gt_u32_e64 s2, s47, v7
	v_mov_b32_e32 v31, 0
	v_mov_b32_e32 v39, 0
	;; [unrolled: 1-line block ×41, first 2 shown]
                                        ; implicit-def: $sgpr7
                                        ; implicit-def: $vgpr35_vgpr36
	s_and_saveexec_b32 s12, s2
	s_cbranch_execz .LBB46_71
; %bb.56:
	v_add_nc_u32_e32 v7, 5, v104
	v_mov_b32_e32 v5, 0
	v_mov_b32_e32 v29, 0
	;; [unrolled: 1-line block ×4, first 2 shown]
	v_cmp_gt_u32_e64 s2, s47, v7
	v_mov_b32_e32 v31, 0
	v_mov_b32_e32 v39, 0
	;; [unrolled: 1-line block ×34, first 2 shown]
                                        ; implicit-def: $sgpr7
                                        ; implicit-def: $vgpr35_vgpr36
	s_and_saveexec_b32 s13, s2
	s_cbranch_execz .LBB46_70
; %bb.57:
	ds_read2_b64 v[17:20], v101 offset0:5 offset1:6
	v_cmp_ne_u64_e64 s2, v[61:62], v[63:64]
	v_cmp_ne_u64_e64 s4, v[59:60], v[61:62]
	v_add_nc_u32_e32 v6, 6, v104
	v_cmp_ne_u64_e64 s3, v[49:50], v[51:52]
	v_mov_b32_e32 v29, 0
	v_mov_b32_e32 v27, 0
	v_cndmask_b32_e64 v5, 0, 1, s2
	v_cmp_ne_u64_e64 s2, v[63:64], v[49:50]
	v_cndmask_b32_e64 v38, 0, 1, s4
	v_cmp_gt_u32_e64 s4, s47, v6
	v_mov_b32_e32 v33, 0
	v_lshlrev_b16 v37, 8, v5
	v_mov_b32_e32 v5, 0
	v_mov_b32_e32 v31, 0
	;; [unrolled: 1-line block ×30, first 2 shown]
                                        ; implicit-def: $sgpr7
                                        ; implicit-def: $vgpr35_vgpr36
	s_and_saveexec_b32 s14, s4
	s_cbranch_execz .LBB46_69
; %bb.58:
	v_cndmask_b32_e64 v5, 0, 1, s3
	v_cndmask_b32_e64 v7, 0, 1, s2
	v_mov_b32_e32 v29, 0
	v_mov_b32_e32 v27, 0
	;; [unrolled: 1-line block ×3, first 2 shown]
	v_lshlrev_b16 v8, 8, v5
	v_mov_b32_e32 v5, 0
	v_mov_b32_e32 v77, 0
	v_mov_b32_e32 v25, 0
	v_mov_b32_e32 v79, 0
	v_or_b32_e32 v31, v7, v8
	v_mov_b32_e32 v7, 0
	v_mov_b32_e32 v21, 0
	v_add_nc_u32_e32 v23, 7, v104
	v_mov_b32_e32 v98, 0
	v_lshlrev_b32_e32 v32, 16, v31
	v_mov_b32_e32 v6, 0
	v_mov_b32_e32 v97, 0
	;; [unrolled: 1-line block ×4, first 2 shown]
	v_or_b32_sdwa v24, v37, v32 dst_sel:DWORD dst_unused:UNUSED_PAD src0_sel:WORD_0 src1_sel:DWORD
	v_mov_b32_e32 v30, 0
	v_mov_b32_e32 v28, 0
	;; [unrolled: 1-line block ×11, first 2 shown]
	v_lshrrev_b32_e32 v95, 8, v24
	v_mov_b32_e32 v83, 0
	s_mov_b32 s3, 0
	s_mov_b32 s36, exec_lo
                                        ; implicit-def: $sgpr7
                                        ; implicit-def: $vgpr35_vgpr36
	v_cmpx_gt_u32_e64 s47, v23
	s_cbranch_execz .LBB46_68
; %bb.59:
	ds_read2_b64 v[21:24], v101 offset0:7 offset1:8
	v_add_nc_u32_e32 v7, 8, v104
	v_mov_b32_e32 v5, 0
	v_mov_b32_e32 v29, 0
	;; [unrolled: 1-line block ×4, first 2 shown]
	v_cmp_gt_u32_e64 s2, s47, v7
	v_mov_b32_e32 v7, 0
	v_mov_b32_e32 v25, 0
	;; [unrolled: 1-line block ×16, first 2 shown]
                                        ; implicit-def: $sgpr7
                                        ; implicit-def: $vgpr35_vgpr36
	s_and_saveexec_b32 s37, s2
	s_cbranch_execz .LBB46_67
; %bb.60:
	v_add_nc_u32_e32 v7, 9, v104
	v_mov_b32_e32 v5, 0
	v_mov_b32_e32 v29, 0
	;; [unrolled: 1-line block ×4, first 2 shown]
	v_cmp_gt_u32_e64 s2, s47, v7
	v_mov_b32_e32 v7, 0
	v_mov_b32_e32 v6, 0
	;; [unrolled: 1-line block ×10, first 2 shown]
                                        ; implicit-def: $sgpr7
                                        ; implicit-def: $vgpr35_vgpr36
	s_and_saveexec_b32 s48, s2
	s_cbranch_execz .LBB46_66
; %bb.61:
	ds_read2_b64 v[25:28], v101 offset0:9 offset1:10
	v_add_nc_u32_e32 v5, 10, v104
	v_cmp_ne_u64_e64 s2, v[51:52], v[41:42]
	v_mov_b32_e32 v7, 0
	v_mov_b32_e32 v77, 0
	;; [unrolled: 1-line block ×3, first 2 shown]
	v_cmp_gt_u32_e64 s3, s47, v5
	v_mov_b32_e32 v5, 0
	v_mov_b32_e32 v6, 0
	;; [unrolled: 1-line block ×5, first 2 shown]
	s_mov_b32 s4, 0
                                        ; implicit-def: $sgpr7
                                        ; implicit-def: $vgpr35_vgpr36
	s_and_saveexec_b32 s49, s3
	s_cbranch_execz .LBB46_65
; %bb.62:
	v_cmp_ne_u64_e64 s3, v[41:42], v[43:44]
	v_mov_b32_e32 v7, 0
	v_add_nc_u32_e32 v5, 11, v104
	v_mov_b32_e32 v8, 0
	v_mov_b32_e32 v81, 0
	s_mov_b32 s50, exec_lo
                                        ; implicit-def: $sgpr7
                                        ; implicit-def: $vgpr35_vgpr36
	v_cmpx_gt_u32_e64 s47, v5
	s_xor_b32 s50, exec_lo, s50
	s_cbranch_execz .LBB46_64
; %bb.63:
	ds_read2_b64 v[33:36], v101 offset0:11 offset1:12
	v_add_nc_u32_e32 v5, 12, v104
	v_cmp_ne_u64_e64 s5, v[43:44], v[45:46]
	v_cmp_ne_u64_e64 s7, v[45:46], v[47:48]
	v_cmp_gt_u32_e64 s4, s47, v5
	v_cndmask_b32_e64 v81, 0, 1, s5
	s_and_b32 s5, s4, exec_lo
	s_waitcnt lgkmcnt(0)
	v_mov_b32_e32 v7, v33
	v_mov_b32_e32 v8, v34
.LBB46_64:
	s_or_b32 exec_lo, exec_lo, s50
	s_waitcnt lgkmcnt(0)
	v_mov_b32_e32 v5, v27
	v_mov_b32_e32 v78, v28
	v_cndmask_b32_e64 v94, 0, 1, s3
	v_mov_b32_e32 v6, v28
	v_mov_b32_e32 v77, v27
	s_and_b32 s4, s5, exec_lo
.LBB46_65:
	s_or_b32 exec_lo, exec_lo, s49
	v_cndmask_b32_e64 v96, 0, 1, s2
	s_waitcnt lgkmcnt(0)
	v_mov_b32_e32 v30, v26
	v_mov_b32_e32 v29, v25
	s_and_b32 s3, s4, exec_lo
	v_mov_b32_e32 v83, v96
.LBB46_66:
	s_or_b32 exec_lo, exec_lo, s48
	s_waitcnt lgkmcnt(0)
	v_mov_b32_e32 v28, v24
	v_mov_b32_e32 v80, v24
	v_lshrrev_b32_e32 v97, 24, v32
	v_mov_b32_e32 v27, v23
	v_mov_b32_e32 v82, v94
	;; [unrolled: 1-line block ×3, first 2 shown]
	s_and_b32 s3, s3, exec_lo
.LBB46_67:
	s_or_b32 exec_lo, exec_lo, s37
	s_waitcnt lgkmcnt(0)
	v_mov_b32_e32 v34, v22
	v_mov_b32_e32 v98, v31
	;; [unrolled: 1-line block ×4, first 2 shown]
	s_and_b32 s3, s3, exec_lo
.LBB46_68:
	s_or_b32 exec_lo, exec_lo, s36
	s_waitcnt lgkmcnt(0)
	v_mov_b32_e32 v32, v20
	v_mov_b32_e32 v24, v20
	;; [unrolled: 1-line block ×6, first 2 shown]
	s_and_b32 s5, s3, exec_lo
.LBB46_69:
	s_or_b32 exec_lo, exec_lo, s14
	s_waitcnt lgkmcnt(0)
	v_mov_b32_e32 v40, v18
	v_or_b32_e32 v99, v38, v37
	v_mov_b32_e32 v39, v17
	s_and_b32 s3, s5, exec_lo
.LBB46_70:
	s_or_b32 exec_lo, exec_lo, s13
	v_lshrrev_b32_e32 v100, 24, v54
	s_waitcnt lgkmcnt(0)
	v_mov_b32_e32 v38, v16
	v_mov_b32_e32 v20, v16
	v_mov_b32_e32 v37, v15
	v_mov_b32_e32 v88, v99
	v_mov_b32_e32 v89, v100
	v_mov_b32_e32 v19, v15
	s_and_b32 s3, s3, exec_lo
.LBB46_71:
	s_or_b32 exec_lo, exec_lo, s12
	s_waitcnt lgkmcnt(0)
	v_mov_b32_e32 v56, v14
	v_mov_b32_e32 v102, v53
	v_mov_b32_e32 v55, v13
	v_mov_b32_e32 v90, v53
	s_and_b32 s3, s3, exec_lo
.LBB46_72:
	s_or_b32 exec_lo, exec_lo, s11
	s_waitcnt lgkmcnt(0)
	v_mov_b32_e32 v54, v12
	v_mov_b32_e32 v16, v12
	;; [unrolled: 1-line block ×5, first 2 shown]
	s_and_b32 s5, s3, exec_lo
.LBB46_73:
	s_or_b32 exec_lo, exec_lo, s10
	v_or_b32_e32 v103, v4, v3
	s_waitcnt lgkmcnt(0)
	v_mov_b32_e32 v3, v9
	v_mov_b32_e32 v4, v10
	s_and_b32 s3, s5, exec_lo
	v_mov_b32_e32 v92, v103
.LBB46_74:
	s_or_b32 exec_lo, exec_lo, s9
	v_cndmask_b32_e64 v105, 0, 1, vcc_lo
	s_and_b32 s3, s3, exec_lo
	v_mov_b32_e32 v87, v105
.LBB46_75:
	s_or_b32 exec_lo, exec_lo, s8
	v_lshlrev_b32_e32 v57, 3, v0
	s_and_b32 vcc_lo, exec_lo, s6
	s_cbranch_vccnz .LBB46_77
	s_branch .LBB46_85
.LBB46_76:
                                        ; implicit-def: $sgpr7
                                        ; implicit-def: $vgpr99
                                        ; implicit-def: $vgpr95
                                        ; implicit-def: $vgpr98
                                        ; implicit-def: $vgpr97
                                        ; implicit-def: $vgpr103
                                        ; implicit-def: $vgpr93
                                        ; implicit-def: $vgpr102
                                        ; implicit-def: $vgpr100
                                        ; implicit-def: $vgpr35_vgpr36
                                        ; implicit-def: $vgpr94
                                        ; implicit-def: $vgpr5_vgpr6
                                        ; implicit-def: $vgpr96
                                        ; implicit-def: $vgpr29_vgpr30
                                        ; implicit-def: $vgpr33_vgpr34
                                        ; implicit-def: $vgpr39_vgpr40
                                        ; implicit-def: $vgpr55_vgpr56
                                        ; implicit-def: $vgpr3_vgpr4
                                        ; implicit-def: $vgpr105
                                        ; implicit-def: $vgpr88
                                        ; implicit-def: $vgpr86
                                        ; implicit-def: $vgpr85
                                        ; implicit-def: $vgpr84
                                        ; implicit-def: $vgpr92
                                        ; implicit-def: $vgpr91
                                        ; implicit-def: $vgpr90
                                        ; implicit-def: $vgpr89
                                        ; implicit-def: $vgpr81
                                        ; implicit-def: $vgpr82
                                        ; implicit-def: $vgpr77_vgpr78
                                        ; implicit-def: $vgpr83
                                        ; implicit-def: $vgpr25_vgpr26
                                        ; implicit-def: $vgpr79_vgpr80
                                        ; implicit-def: $vgpr21_vgpr22
                                        ; implicit-def: $vgpr23_vgpr24
                                        ; implicit-def: $vgpr17_vgpr18
                                        ; implicit-def: $vgpr19_vgpr20
                                        ; implicit-def: $vgpr13_vgpr14
                                        ; implicit-def: $vgpr15_vgpr16
                                        ; implicit-def: $vgpr9_vgpr10
                                        ; implicit-def: $vgpr87
	v_lshlrev_b32_e32 v57, 3, v0
	s_cbranch_execz .LBB46_85
.LBB46_77:
	s_waitcnt lgkmcnt(0)
	v_add_co_u32 v1, s2, s16, v57
	v_add_co_ci_u32_e64 v2, null, s17, 0, s2
	v_mad_u32_u24 v35, 0x60, v0, v57
	v_add_co_u32 v3, vcc_lo, 0x800, v1
	v_add_co_ci_u32_e64 v4, null, 0, v2, vcc_lo
	v_add_co_u32 v5, vcc_lo, 0x1000, v1
	v_add_co_ci_u32_e64 v6, null, 0, v2, vcc_lo
	;; [unrolled: 2-line block ×10, first 2 shown]
	v_add_co_u32 v25, vcc_lo, 0x5800, v1
	s_clause 0x7
	flat_load_dwordx2 v[17:18], v[1:2]
	flat_load_dwordx2 v[3:4], v[3:4]
	flat_load_dwordx2 v[5:6], v[5:6]
	flat_load_dwordx2 v[7:8], v[7:8]
	flat_load_dwordx2 v[9:10], v[9:10]
	flat_load_dwordx2 v[11:12], v[11:12]
	flat_load_dwordx2 v[13:14], v[13:14]
	flat_load_dwordx2 v[15:16], v[15:16]
	v_add_co_ci_u32_e64 v26, null, 0, v2, vcc_lo
	v_add_co_u32 v1, vcc_lo, 0x6000, v1
	v_add_co_ci_u32_e64 v2, null, 0, v2, vcc_lo
	s_clause 0x4
	flat_load_dwordx2 v[19:20], v[19:20]
	flat_load_dwordx2 v[21:22], v[21:22]
	;; [unrolled: 1-line block ×5, first 2 shown]
	s_cmp_eq_u64 s[40:41], 0
	s_waitcnt vmcnt(11) lgkmcnt(11)
	ds_write2st64_b64 v57, v[17:18], v[3:4] offset1:4
	s_waitcnt vmcnt(9) lgkmcnt(10)
	ds_write2st64_b64 v57, v[5:6], v[7:8] offset0:8 offset1:12
	s_waitcnt vmcnt(7) lgkmcnt(9)
	ds_write2st64_b64 v57, v[9:10], v[11:12] offset0:16 offset1:20
	;; [unrolled: 2-line block ×5, first 2 shown]
	s_waitcnt vmcnt(0) lgkmcnt(6)
	ds_write_b64 v57, v[1:2] offset:24576
	s_waitcnt lgkmcnt(0)
	s_barrier
	buffer_gl0_inv
	ds_read2_b64 v[1:4], v35 offset0:2 offset1:3
	ds_read2_b64 v[9:12], v35 offset0:3 offset1:4
	ds_read2_b64 v[5:8], v35 offset1:1
	ds_read2_b64 v[13:16], v35 offset0:1 offset1:2
	ds_read2_b64 v[17:20], v35 offset0:7 offset1:8
	ds_read2_b64 v[21:24], v35 offset0:5 offset1:6
	ds_read2_b64 v[25:28], v35 offset0:9 offset1:10
	ds_read2_b64 v[29:32], v35 offset0:11 offset1:12
	s_cbranch_scc1 .LBB46_82
; %bb.78:
	s_andn2_b32 vcc_lo, exec_lo, s46
	s_cbranch_vccnz .LBB46_242
; %bb.79:
	s_lshl_b64 s[2:3], s[40:41], 3
	s_add_u32 s2, s42, s2
	s_addc_u32 s3, s43, s3
	s_add_u32 s2, s2, -8
	s_addc_u32 s3, s3, -1
	s_cbranch_execnz .LBB46_81
.LBB46_80:
	s_add_u32 s2, s16, -8
	s_addc_u32 s3, s17, -1
.LBB46_81:
	s_mov_b64 s[16:17], s[2:3]
.LBB46_82:
	v_mov_b32_e32 v34, s17
	v_mov_b32_e32 v33, s16
	v_mad_i32_i24 v36, 0xffffffa0, v0, v35
	flat_load_dwordx2 v[33:34], v[33:34]
	s_waitcnt lgkmcnt(1)
	ds_write_b64 v36, v[31:32] offset:26624
	s_waitcnt vmcnt(0) lgkmcnt(0)
	s_barrier
	buffer_gl0_inv
	s_and_saveexec_b32 s2, s1
; %bb.83:
	v_mul_i32_i24_e32 v33, 0xffffffa0, v0
	v_add_nc_u32_e32 v33, v35, v33
	ds_read_b64 v[33:34], v33 offset:26616
; %bb.84:
	s_or_b32 exec_lo, exec_lo, s2
	v_add_co_u32 v36, s2, s15, v57
	v_add_co_ci_u32_e64 v37, null, s45, 0, s2
	s_waitcnt lgkmcnt(0)
	v_add_co_u32 v38, vcc_lo, 0x800, v36
	v_add_co_ci_u32_e64 v39, null, 0, v37, vcc_lo
	v_add_co_u32 v40, vcc_lo, 0x1000, v36
	v_add_co_ci_u32_e64 v41, null, 0, v37, vcc_lo
	;; [unrolled: 2-line block ×10, first 2 shown]
	v_add_co_u32 v62, vcc_lo, 0x5800, v36
	s_barrier
	buffer_gl0_inv
	s_clause 0x7
	flat_load_dwordx2 v[52:53], v[36:37]
	flat_load_dwordx2 v[38:39], v[38:39]
	;; [unrolled: 1-line block ×8, first 2 shown]
	v_add_co_ci_u32_e64 v63, null, 0, v37, vcc_lo
	v_add_co_u32 v36, vcc_lo, 0x6000, v36
	v_add_co_ci_u32_e64 v37, null, 0, v37, vcc_lo
	s_clause 0x4
	flat_load_dwordx2 v[54:55], v[54:55]
	flat_load_dwordx2 v[58:59], v[58:59]
	;; [unrolled: 1-line block ×5, first 2 shown]
	v_cmp_ne_u64_e32 vcc_lo, v[27:28], v[29:30]
	v_cmp_ne_u64_e64 s7, v[29:30], v[31:32]
	s_mov_b32 s3, -1
	s_waitcnt vmcnt(11) lgkmcnt(11)
	ds_write2st64_b64 v57, v[52:53], v[38:39] offset1:4
	s_waitcnt vmcnt(9) lgkmcnt(10)
	ds_write2st64_b64 v57, v[40:41], v[42:43] offset0:8 offset1:12
	s_waitcnt vmcnt(7) lgkmcnt(9)
	ds_write2st64_b64 v57, v[44:45], v[46:47] offset0:16 offset1:20
	;; [unrolled: 2-line block ×5, first 2 shown]
	s_waitcnt vmcnt(0) lgkmcnt(6)
	ds_write_b64 v57, v[36:37] offset:24576
	v_cndmask_b32_e64 v81, 0, 1, vcc_lo
	v_cmp_ne_u64_e32 vcc_lo, v[25:26], v[27:28]
	s_waitcnt lgkmcnt(0)
	s_barrier
	buffer_gl0_inv
	v_cndmask_b32_e64 v94, 0, 1, vcc_lo
	v_cmp_ne_u64_e32 vcc_lo, v[19:20], v[25:26]
	v_mov_b32_e32 v82, v94
	v_cndmask_b32_e64 v96, 0, 1, vcc_lo
	v_cmp_ne_u64_e32 vcc_lo, v[21:22], v[23:24]
	v_mov_b32_e32 v83, v96
	v_cndmask_b32_e64 v25, 0, 1, vcc_lo
	v_cmp_ne_u64_e32 vcc_lo, v[11:12], v[21:22]
	v_cndmask_b32_e64 v21, 0, 1, vcc_lo
	v_cmp_ne_u64_e32 vcc_lo, v[17:18], v[19:20]
	;; [unrolled: 2-line block ×7, first 2 shown]
	v_lshlrev_b16 v2, 8, v19
	v_lshlrev_b16 v10, 8, v7
	;; [unrolled: 1-line block ×4, first 2 shown]
	v_cndmask_b32_e64 v1, 0, 1, vcc_lo
	v_cmp_ne_u64_e32 vcc_lo, v[33:34], v[5:6]
	v_or_b32_e32 v98, v17, v2
	v_or_b32_e32 v103, v8, v10
	ds_read2_b64 v[27:30], v35 offset0:8 offset1:9
	ds_read2_b64 v[5:8], v35 offset0:10 offset1:11
	v_or_b32_e32 v102, v1, v3
	ds_read2_b64 v[37:40], v35 offset0:4 offset1:5
	ds_read2_b64 v[31:34], v35 offset0:6 offset1:7
	ds_read2_b64 v[1:4], v35 offset1:1
	ds_read2_b64 v[53:56], v35 offset0:2 offset1:3
	v_lshlrev_b32_e32 v11, 16, v98
	ds_read_b64 v[35:36], v35 offset:96
	v_lshlrev_b32_e32 v12, 16, v102
	v_or_b32_e32 v99, v21, v9
	v_cndmask_b32_e64 v105, 0, 1, vcc_lo
	v_or_b32_sdwa v9, v9, v11 dst_sel:DWORD dst_unused:UNUSED_PAD src0_sel:WORD_0 src1_sel:DWORD
	v_lshrrev_b32_e32 v97, 24, v11
	v_or_b32_sdwa v10, v10, v12 dst_sel:DWORD dst_unused:UNUSED_PAD src0_sel:WORD_0 src1_sel:DWORD
	v_lshrrev_b32_e32 v100, 24, v12
	v_mov_b32_e32 v88, v99
	v_lshrrev_b32_e32 v95, 8, v9
	v_mov_b32_e32 v85, v98
	;; [unrolled: 2-line block ×3, first 2 shown]
	v_mov_b32_e32 v90, v102
	s_waitcnt lgkmcnt(6)
	v_mov_b32_e32 v25, v29
	s_waitcnt lgkmcnt(5)
	v_mov_b32_e32 v78, v6
	v_mov_b32_e32 v80, v28
	s_waitcnt lgkmcnt(3)
	v_mov_b32_e32 v21, v33
	v_mov_b32_e32 v23, v31
	v_mov_b32_e32 v17, v39
	v_mov_b32_e32 v19, v37
	s_waitcnt lgkmcnt(1)
	v_mov_b32_e32 v13, v55
	v_mov_b32_e32 v15, v53
	;; [unrolled: 1-line block ×18, first 2 shown]
.LBB46_85:
	v_mov_b32_e32 v11, 0
	v_mov_b32_e32 v12, 0
	v_mov_b32_e32 v58, 0
	s_and_saveexec_b32 s2, s3
	s_cbranch_execz .LBB46_87
; %bb.86:
	v_mov_b32_e32 v10, v4
	v_mov_b32_e32 v15, v53
	;; [unrolled: 1-line block ×10, first 2 shown]
	s_waitcnt lgkmcnt(0)
	v_mov_b32_e32 v11, v35
	v_cndmask_b32_e64 v58, 0, 1, s7
	v_mov_b32_e32 v87, v105
	v_mov_b32_e32 v9, v3
	;; [unrolled: 1-line block ×22, first 2 shown]
.LBB46_87:
	s_or_b32 exec_lo, exec_lo, s2
	v_and_b32_e32 v61, 1, v88
	v_and_b32_e32 v62, 1, v84
	v_and_b32_e32 v60, 1, v81
	v_and_b32_e32 v59, 1, v58
	v_and_b32_e32 v63, 1, v91
	v_or_b32_e32 v55, v89, v90
	v_or_b32_e32 v54, v85, v86
	;; [unrolled: 1-line block ×3, first 2 shown]
	v_cmp_eq_u32_e64 s17, 1, v61
	v_cmp_eq_u32_e64 s15, 1, v62
	v_cmp_eq_u32_e64 s16, 1, v60
	v_cmp_eq_u16_e64 s2, 0, v58
	v_cmp_eq_u32_e64 s14, 1, v59
	v_mbcnt_lo_u32_b32 v53, -1, 0
	s_cmp_lg_u32 s44, 0
	v_cmp_eq_u32_e32 vcc_lo, 1, v63
	s_waitcnt lgkmcnt(0)
	s_barrier
	buffer_gl0_inv
	s_cbranch_scc0 .LBB46_145
; %bb.88:
	v_mov_b32_e32 v3, 0
	v_or_b32_e32 v6, v92, v87
	v_cmp_eq_u16_sdwa s12, v92, v3 src0_sel:BYTE_0 src1_sel:DWORD
	v_cmp_eq_u16_sdwa s13, v91, v3 src0_sel:BYTE_0 src1_sel:DWORD
	;; [unrolled: 1-line block ×5, first 2 shown]
	v_cndmask_b32_e64 v5, 0, v1, s12
	v_cndmask_b32_e64 v4, 0, v2, s12
	v_cmp_eq_u16_sdwa s8, v86, v3 src0_sel:BYTE_0 src1_sel:DWORD
	v_cmp_eq_u16_sdwa s7, v85, v3 src0_sel:BYTE_0 src1_sel:DWORD
	;; [unrolled: 1-line block ×3, first 2 shown]
	v_add_co_u32 v5, s3, v5, v9
	v_add_co_ci_u32_e64 v4, null, v4, v10, s3
	v_cmp_eq_u16_sdwa s4, v83, v3 src0_sel:BYTE_0 src1_sel:DWORD
	v_cndmask_b32_e64 v5, 0, v5, s13
	v_cmp_ne_u16_sdwa s40, v56, v3 src0_sel:BYTE_0 src1_sel:DWORD
	v_cndmask_b32_e64 v4, 0, v4, s13
	v_cmp_ne_u16_sdwa s36, v6, v3 src0_sel:BYTE_0 src1_sel:DWORD
	v_cmp_ne_u16_sdwa s37, v55, v3 src0_sel:BYTE_0 src1_sel:DWORD
	v_add_co_u32 v5, s3, v5, v15
	v_add_co_ci_u32_e64 v4, null, v4, v16, s3
	v_cmp_ne_u16_sdwa s41, v54, v3 src0_sel:BYTE_0 src1_sel:DWORD
	v_cndmask_b32_e64 v5, 0, v5, s11
	s_or_b32 s16, s40, s16
	v_cndmask_b32_e64 v4, 0, v4, s11
	s_or_b32 s16, s14, s16
	s_or_b32 s15, s41, s15
	v_add_co_u32 v5, s3, v5, v13
	v_add_co_ci_u32_e64 v4, null, v4, v14, s3
	s_or_b32 s17, s37, s17
	v_cndmask_b32_e64 v5, 0, v5, s10
	v_cndmask_b32_e64 v4, 0, v4, s10
	v_add_co_u32 v5, s3, v5, v19
	v_add_co_ci_u32_e64 v4, null, v4, v20, s3
	v_cndmask_b32_e64 v5, 0, v5, s9
	v_cndmask_b32_e64 v4, 0, v4, s9
	v_add_co_u32 v5, s3, v5, v17
	v_add_co_ci_u32_e64 v4, null, v4, v18, s3
	;; [unrolled: 4-line block ×6, first 2 shown]
	v_cmp_eq_u16_sdwa s3, v82, v3 src0_sel:BYTE_0 src1_sel:DWORD
	v_cndmask_b32_e64 v5, 0, v5, s3
	v_cndmask_b32_e64 v4, 0, v4, s3
	v_add_co_u32 v5, s5, v5, v77
	v_add_co_ci_u32_e64 v4, null, v4, v78, s5
	v_cmp_eq_u16_sdwa s5, v81, v3 src0_sel:BYTE_0 src1_sel:DWORD
	v_cndmask_b32_e64 v3, 0, v4, s5
	v_cndmask_b32_e64 v4, 0, v5, s5
	v_add_co_u32 v4, s14, v4, v7
	v_add_co_ci_u32_e64 v3, null, v3, v8, s14
	s_or_b32 s14, s16, s15
	v_cndmask_b32_e64 v4, 0, v4, s2
	s_or_b32 s15, s36, vcc_lo
	v_cndmask_b32_e64 v6, 0, v3, s2
	s_or_b32 s14, s14, s17
	s_or_b32 s14, s14, s15
	v_add_co_u32 v5, vcc_lo, v4, v11
	v_cndmask_b32_e64 v3, 0, 1, s14
	v_add_co_ci_u32_e64 v6, null, v6, v12, vcc_lo
	v_and_b32_e32 v4, 15, v53
	v_mov_b32_dpp v28, v5 row_shr:1 row_mask:0xf bank_mask:0xf
	v_mov_b32_dpp v27, v3 row_shr:1 row_mask:0xf bank_mask:0xf
	;; [unrolled: 1-line block ×3, first 2 shown]
	s_mov_b32 s15, exec_lo
	v_cmpx_ne_u32_e32 0, v4
; %bb.89:
	v_cndmask_b32_e64 v28, v28, 0, s14
	v_cndmask_b32_e64 v29, v29, 0, s14
	v_and_or_b32 v3, v27, 1, v3
	v_add_co_u32 v5, vcc_lo, v28, v5
	v_add_co_ci_u32_e64 v6, null, v29, v6, vcc_lo
; %bb.90:
	s_or_b32 exec_lo, exec_lo, s15
	v_mov_b32_dpp v28, v5 row_shr:2 row_mask:0xf bank_mask:0xf
	v_mov_b32_dpp v29, v6 row_shr:2 row_mask:0xf bank_mask:0xf
	v_mov_b32_dpp v27, v3 row_shr:2 row_mask:0xf bank_mask:0xf
	s_mov_b32 s14, exec_lo
	v_cmpx_lt_u32_e32 1, v4
	s_cbranch_execz .LBB46_92
; %bb.91:
	v_cmp_eq_u16_e32 vcc_lo, 0, v3
	v_or_b32_e32 v3, v27, v3
	v_cndmask_b32_e32 v28, 0, v28, vcc_lo
	v_cndmask_b32_e32 v29, 0, v29, vcc_lo
	v_and_b32_e32 v3, 1, v3
	v_add_co_u32 v5, vcc_lo, v28, v5
	v_add_co_ci_u32_e64 v6, null, v29, v6, vcc_lo
.LBB46_92:
	s_or_b32 exec_lo, exec_lo, s14
	v_mov_b32_dpp v28, v5 row_shr:4 row_mask:0xf bank_mask:0xf
	v_mov_b32_dpp v29, v6 row_shr:4 row_mask:0xf bank_mask:0xf
	v_mov_b32_dpp v27, v3 row_shr:4 row_mask:0xf bank_mask:0xf
	s_mov_b32 s14, exec_lo
	v_cmpx_lt_u32_e32 3, v4
	s_cbranch_execz .LBB46_94
; %bb.93:
	v_cmp_eq_u16_e32 vcc_lo, 0, v3
	v_or_b32_e32 v3, v27, v3
	v_cndmask_b32_e32 v28, 0, v28, vcc_lo
	v_cndmask_b32_e32 v29, 0, v29, vcc_lo
	v_and_b32_e32 v3, 1, v3
	v_add_co_u32 v5, vcc_lo, v28, v5
	v_add_co_ci_u32_e64 v6, null, v29, v6, vcc_lo
.LBB46_94:
	;; [unrolled: 16-line block ×3, first 2 shown]
	s_or_b32 exec_lo, exec_lo, s14
	ds_swizzle_b32 v4, v5 offset:swizzle(BROADCAST,32,15)
	ds_swizzle_b32 v28, v6 offset:swizzle(BROADCAST,32,15)
	;; [unrolled: 1-line block ×3, first 2 shown]
	v_and_b32_e32 v27, 16, v53
	v_cmp_ne_u32_e32 vcc_lo, 0, v27
	v_mov_b32_e32 v27, v3
	s_and_saveexec_b32 s16, vcc_lo
	s_cbranch_execz .LBB46_98
; %bb.97:
	v_cmp_eq_u16_e32 vcc_lo, 0, v3
	v_and_b32_e32 v3, 1, v3
	s_waitcnt lgkmcnt(0)
	v_and_b32_e32 v27, 1, v29
	v_cndmask_b32_e32 v28, 0, v28, vcc_lo
	v_cndmask_b32_e32 v4, 0, v4, vcc_lo
	v_cmp_eq_u32_e32 vcc_lo, 1, v3
	v_cmp_eq_u32_e64 s14, 1, v27
	v_add_co_u32 v5, s15, v4, v5
	s_or_b32 s14, vcc_lo, s14
	v_add_co_ci_u32_e64 v6, null, v28, v6, s15
	v_cndmask_b32_e64 v3, 0, 1, s14
	v_cndmask_b32_e64 v27, 0, 1, s14
.LBB46_98:
	s_or_b32 exec_lo, exec_lo, s16
	s_waitcnt lgkmcnt(1)
	v_lshrrev_b32_e32 v28, 5, v0
	v_or_b32_e32 v4, 31, v0
	s_mov_b32 s14, exec_lo
	v_lshlrev_b32_e32 v28, 4, v28
	v_cmpx_eq_u32_e64 v0, v4
	s_cbranch_execz .LBB46_100
; %bb.99:
	ds_write_b64 v28, v[5:6]
	ds_write_b8 v28, v3 offset:8
.LBB46_100:
	s_or_b32 exec_lo, exec_lo, s14
	s_mov_b32 s16, exec_lo
	s_waitcnt lgkmcnt(0)
	s_barrier
	buffer_gl0_inv
	v_cmpx_gt_u32_e32 8, v0
	s_cbranch_execz .LBB46_108
; %bb.101:
	v_lshlrev_b32_e32 v29, 4, v0
	v_and_b32_e32 v30, 7, v53
	s_mov_b32 s14, exec_lo
	ds_read_b64 v[3:4], v29
	ds_read_b32 v34, v29 offset:8
	s_waitcnt lgkmcnt(1)
	v_mov_b32_dpp v35, v3 row_shr:1 row_mask:0xf bank_mask:0xf
	v_mov_b32_dpp v36, v4 row_shr:1 row_mask:0xf bank_mask:0xf
	s_waitcnt lgkmcnt(0)
	v_and_b32_e32 v32, 0xffffff00, v34
	v_mov_b32_dpp v37, v34 row_shr:1 row_mask:0xf bank_mask:0xf
	v_mov_b32_e32 v33, v34
	v_mov_b32_e32 v31, v34
	v_cmpx_ne_u32_e32 0, v30
	s_cbranch_execz .LBB46_103
; %bb.102:
	v_mov_b32_e32 v31, 0
	v_cmp_eq_u16_sdwa vcc_lo, v34, v31 src0_sel:BYTE_0 src1_sel:DWORD
	v_or_b32_e32 v31, v37, v34
	v_cndmask_b32_e32 v35, 0, v35, vcc_lo
	v_cndmask_b32_e32 v34, 0, v36, vcc_lo
	v_and_b32_e32 v33, 1, v31
	v_and_b32_e32 v31, 1, v31
	v_add_co_u32 v3, vcc_lo, v35, v3
	v_add_co_ci_u32_e64 v4, null, v34, v4, vcc_lo
	v_or_b32_e32 v34, v31, v32
.LBB46_103:
	s_or_b32 exec_lo, exec_lo, s14
	v_mov_b32_dpp v35, v3 row_shr:2 row_mask:0xf bank_mask:0xf
	v_mov_b32_dpp v36, v4 row_shr:2 row_mask:0xf bank_mask:0xf
	;; [unrolled: 1-line block ×3, first 2 shown]
	s_mov_b32 s17, exec_lo
	v_cmpx_lt_u32_e32 1, v30
	s_cbranch_execz .LBB46_105
; %bb.104:
	v_mov_b32_e32 v33, 0
	v_and_b32_e32 v34, 1, v31
	v_and_b32_e32 v37, 1, v37
	v_cmp_eq_u16_sdwa vcc_lo, v31, v33 src0_sel:BYTE_0 src1_sel:DWORD
	v_cmp_eq_u32_e64 s14, 1, v34
	v_cmp_eq_u32_e64 s15, 1, v37
	v_cndmask_b32_e32 v34, 0, v35, vcc_lo
	v_cndmask_b32_e32 v31, 0, v36, vcc_lo
	s_or_b32 s14, s14, s15
	v_cndmask_b32_e64 v33, 0, 1, s14
	v_cndmask_b32_e64 v35, 0, 1, s14
	v_add_co_u32 v3, vcc_lo, v34, v3
	v_add_co_ci_u32_e64 v4, null, v31, v4, vcc_lo
	v_or_b32_e32 v34, v32, v35
	v_mov_b32_e32 v31, v33
.LBB46_105:
	s_or_b32 exec_lo, exec_lo, s17
	v_mov_b32_dpp v32, v3 row_shr:4 row_mask:0xf bank_mask:0xf
	v_mov_b32_dpp v35, v4 row_shr:4 row_mask:0xf bank_mask:0xf
	;; [unrolled: 1-line block ×3, first 2 shown]
	s_mov_b32 s17, exec_lo
	v_cmpx_lt_u32_e32 3, v30
	s_cbranch_execz .LBB46_107
; %bb.106:
	v_mov_b32_e32 v30, 0
	v_cmp_eq_u16_sdwa vcc_lo, v31, v30 src0_sel:BYTE_0 src1_sel:DWORD
	v_and_b32_e32 v30, 1, v31
	v_and_b32_e32 v31, 1, v34
	v_cndmask_b32_e32 v33, 0, v35, vcc_lo
	v_cndmask_b32_e32 v32, 0, v32, vcc_lo
	v_cmp_eq_u32_e32 vcc_lo, 1, v30
	v_cmp_eq_u32_e64 s14, 1, v31
	v_add_co_u32 v3, s15, v32, v3
	s_or_b32 s14, vcc_lo, s14
	v_add_co_ci_u32_e64 v4, null, v33, v4, s15
	v_cndmask_b32_e64 v33, 0, 1, s14
.LBB46_107:
	s_or_b32 exec_lo, exec_lo, s17
	ds_write_b64 v29, v[3:4]
	ds_write_b8 v29, v33 offset:8
.LBB46_108:
	s_or_b32 exec_lo, exec_lo, s16
	v_mov_b32_e32 v3, 0
	v_mov_b32_e32 v4, 0
	;; [unrolled: 1-line block ×3, first 2 shown]
	s_mov_b32 s15, exec_lo
	v_cmp_gt_u32_e32 vcc_lo, 32, v0
	s_waitcnt lgkmcnt(0)
	s_barrier
	buffer_gl0_inv
	v_cmpx_lt_u32_e32 31, v0
	s_cbranch_execz .LBB46_110
; %bb.109:
	v_add_nc_u32_e32 v3, -16, v28
	v_add_nc_u32_e32 v28, -8, v28
	v_cmp_eq_u32_e64 s14, 0, v27
	ds_read_b64 v[3:4], v3
	ds_read_u8 v28, v28
	s_waitcnt lgkmcnt(1)
	v_cndmask_b32_e64 v30, 0, v3, s14
	v_cndmask_b32_e64 v29, 0, v4, s14
	s_waitcnt lgkmcnt(0)
	v_or_b32_e32 v27, v28, v27
	v_and_b32_e32 v33, 1, v28
	v_add_co_u32 v5, s14, v30, v5
	v_add_co_ci_u32_e64 v6, null, v29, v6, s14
	v_and_b32_e32 v27, 1, v27
.LBB46_110:
	s_or_b32 exec_lo, exec_lo, s15
	v_sub_co_u32 v28, s14, v53, 1
	v_cmp_gt_i32_e64 s15, 0, v28
	v_cndmask_b32_e64 v28, v28, v53, s15
	v_lshlrev_b32_e32 v28, 2, v28
	ds_bpermute_b32 v34, v28, v5
	ds_bpermute_b32 v35, v28, v6
	;; [unrolled: 1-line block ×3, first 2 shown]
	s_and_saveexec_b32 s17, vcc_lo
	s_cbranch_execz .LBB46_150
; %bb.111:
	v_mov_b32_e32 v29, 0
	ds_read_b64 v[5:6], v29 offset:112
	ds_read_u8 v37, v29 offset:120
	s_and_saveexec_b32 s15, s14
	s_cbranch_execz .LBB46_113
; %bb.112:
	s_add_i32 s36, s44, 32
	s_mov_b32 s37, 0
	v_mov_b32_e32 v27, 1
	s_lshl_b64 s[40:41], s[36:37], 4
	v_mov_b32_e32 v28, s36
	s_add_u32 s40, s20, s40
	s_addc_u32 s41, s21, s41
	s_waitcnt lgkmcnt(1)
	global_store_dwordx2 v29, v[5:6], s[40:41]
	s_waitcnt lgkmcnt(0)
	global_store_byte v29, v37, s[40:41] offset:8
	s_waitcnt_vscnt null, 0x0
	buffer_gl1_inv
	buffer_gl0_inv
	global_store_byte v28, v27, s[24:25]
.LBB46_113:
	s_or_b32 exec_lo, exec_lo, s15
	v_xad_u32 v27, v53, -1, s44
	s_mov_b32 s16, 0
	s_mov_b32 s15, exec_lo
	v_add_nc_u32_e32 v28, 32, v27
	global_load_ubyte v38, v28, s[24:25] glc dlc
	s_waitcnt vmcnt(0)
	v_cmpx_eq_u16_e32 0, v38
	s_cbranch_execz .LBB46_117
; %bb.114:
	v_add_co_u32 v30, s36, s24, v28
	v_add_co_ci_u32_e64 v31, null, s25, 0, s36
.LBB46_115:                             ; =>This Inner Loop Header: Depth=1
	global_load_ubyte v38, v[30:31], off glc dlc
	s_waitcnt vmcnt(0)
	v_cmp_ne_u16_e32 vcc_lo, 0, v38
	s_or_b32 s16, vcc_lo, s16
	s_andn2_b32 exec_lo, exec_lo, s16
	s_cbranch_execnz .LBB46_115
; %bb.116:
	s_or_b32 exec_lo, exec_lo, s16
.LBB46_117:
	s_or_b32 exec_lo, exec_lo, s15
	v_cmp_eq_u16_e32 vcc_lo, 1, v38
	v_mov_b32_e32 v31, s20
	v_mov_b32_e32 v30, s21
	v_lshlrev_b64 v[28:29], 4, v[28:29]
	s_waitcnt lgkmcnt(0)
	s_waitcnt_vscnt null, 0x0
	buffer_gl1_inv
	buffer_gl0_inv
	v_lshlrev_b32_e64 v40, v53, -1
	v_cndmask_b32_e32 v31, s22, v31, vcc_lo
	v_cndmask_b32_e32 v30, s23, v30, vcc_lo
	s_mov_b32 s15, exec_lo
	v_add_co_u32 v28, vcc_lo, v31, v28
	v_add_co_ci_u32_e64 v29, null, v30, v29, vcc_lo
	v_cmp_ne_u32_e32 vcc_lo, 31, v53
	s_clause 0x1
	global_load_ubyte v51, v[28:29], off offset:8
	global_load_dwordx2 v[31:32], v[28:29], off
	v_add_co_ci_u32_e64 v28, null, 0, v53, vcc_lo
	v_cmp_eq_u16_e32 vcc_lo, 2, v38
	v_lshlrev_b32_e32 v39, 2, v28
	v_and_or_b32 v28, vcc_lo, v40, 0x80000000
	v_ffbl_b32_e32 v28, v28
	s_waitcnt vmcnt(1)
	v_and_b32_e32 v29, 1, v51
	s_waitcnt vmcnt(0)
	ds_bpermute_b32 v30, v39, v31
	ds_bpermute_b32 v41, v39, v32
	ds_bpermute_b32 v42, v39, v29
	v_cmpx_lt_u32_e64 v53, v28
	s_cbranch_execz .LBB46_119
; %bb.118:
	v_mov_b32_e32 v29, 0
	v_cmp_eq_u16_sdwa vcc_lo, v51, v29 src0_sel:BYTE_0 src1_sel:DWORD
	s_waitcnt lgkmcnt(0)
	v_and_b32_e32 v29, 1, v42
	v_cndmask_b32_e32 v30, 0, v30, vcc_lo
	v_cndmask_b32_e32 v41, 0, v41, vcc_lo
	v_or_b32_e32 v51, v29, v51
	v_add_co_u32 v31, vcc_lo, v30, v31
	v_add_co_ci_u32_e64 v32, null, v41, v32, vcc_lo
	v_and_b32_e32 v29, 0xff, v51
.LBB46_119:
	s_or_b32 exec_lo, exec_lo, s15
	v_cmp_gt_u32_e32 vcc_lo, 30, v53
	s_waitcnt lgkmcnt(0)
	v_add_nc_u32_e32 v42, 2, v53
	s_mov_b32 s36, exec_lo
	v_cndmask_b32_e64 v30, 0, 2, vcc_lo
	v_add_lshl_u32 v41, v30, v53, 2
	ds_bpermute_b32 v30, v41, v31
	ds_bpermute_b32 v43, v41, v32
	ds_bpermute_b32 v44, v41, v29
	v_cmpx_le_u32_e64 v42, v28
	s_cbranch_execz .LBB46_121
; %bb.120:
	v_mov_b32_e32 v29, 0
	v_and_b32_e32 v45, 1, v51
	s_waitcnt lgkmcnt(0)
	v_and_b32_e32 v44, 1, v44
	v_cmp_eq_u16_sdwa vcc_lo, v51, v29 src0_sel:BYTE_0 src1_sel:DWORD
	v_cmp_eq_u32_e64 s15, 1, v45
	v_cmp_eq_u32_e64 s16, 1, v44
	v_cndmask_b32_e32 v30, 0, v30, vcc_lo
	v_cndmask_b32_e32 v29, 0, v43, vcc_lo
	s_or_b32 s15, s15, s16
	v_cndmask_b32_e64 v51, 0, 1, s15
	v_add_co_u32 v31, vcc_lo, v30, v31
	v_add_co_ci_u32_e64 v32, null, v29, v32, vcc_lo
	v_cndmask_b32_e64 v29, 0, 1, s15
.LBB46_121:
	s_or_b32 exec_lo, exec_lo, s36
	v_cmp_gt_u32_e32 vcc_lo, 28, v53
	s_waitcnt lgkmcnt(0)
	v_add_nc_u32_e32 v44, 4, v53
	s_mov_b32 s36, exec_lo
	v_cndmask_b32_e64 v30, 0, 4, vcc_lo
	v_add_lshl_u32 v43, v30, v53, 2
	ds_bpermute_b32 v30, v43, v31
	ds_bpermute_b32 v45, v43, v32
	ds_bpermute_b32 v46, v43, v29
	v_cmpx_le_u32_e64 v44, v28
	s_cbranch_execz .LBB46_123
; %bb.122:
	v_mov_b32_e32 v29, 0
	v_and_b32_e32 v47, 1, v51
	s_waitcnt lgkmcnt(0)
	v_and_b32_e32 v46, 1, v46
	v_cmp_eq_u16_sdwa vcc_lo, v51, v29 src0_sel:BYTE_0 src1_sel:DWORD
	v_cmp_eq_u32_e64 s15, 1, v47
	v_cmp_eq_u32_e64 s16, 1, v46
	v_cndmask_b32_e32 v30, 0, v30, vcc_lo
	v_cndmask_b32_e32 v29, 0, v45, vcc_lo
	s_or_b32 s15, s15, s16
	v_cndmask_b32_e64 v51, 0, 1, s15
	v_add_co_u32 v31, vcc_lo, v30, v31
	v_add_co_ci_u32_e64 v32, null, v29, v32, vcc_lo
	v_cndmask_b32_e64 v29, 0, 1, s15
.LBB46_123:
	;; [unrolled: 28-line block ×3, first 2 shown]
	s_or_b32 exec_lo, exec_lo, s36
	s_waitcnt lgkmcnt(0)
	v_lshl_or_b32 v48, v53, 2, 64
	v_add_nc_u32_e32 v49, 16, v53
	s_mov_b32 s36, exec_lo
	ds_bpermute_b32 v30, v48, v31
	ds_bpermute_b32 v47, v48, v32
	;; [unrolled: 1-line block ×3, first 2 shown]
	v_cmpx_le_u32_e64 v49, v28
	s_cbranch_execz .LBB46_127
; %bb.126:
	v_mov_b32_e32 v28, 0
	s_waitcnt lgkmcnt(0)
	v_and_b32_e32 v29, 1, v29
	v_cmp_eq_u16_sdwa vcc_lo, v51, v28 src0_sel:BYTE_0 src1_sel:DWORD
	v_and_b32_e32 v28, 1, v51
	v_cmp_eq_u32_e64 s15, 1, v29
	v_cndmask_b32_e32 v47, 0, v47, vcc_lo
	v_cndmask_b32_e32 v30, 0, v30, vcc_lo
	v_cmp_eq_u32_e32 vcc_lo, 1, v28
	v_add_co_u32 v31, s16, v30, v31
	s_or_b32 s15, vcc_lo, s15
	v_add_co_ci_u32_e64 v32, null, v47, v32, s16
	v_cndmask_b32_e64 v51, 0, 1, s15
.LBB46_127:
	s_or_b32 exec_lo, exec_lo, s36
	v_mov_b32_e32 v28, 0
	v_mov_b32_e32 v50, 2
	s_branch .LBB46_130
.LBB46_128:                             ;   in Loop: Header=BB46_130 Depth=1
	s_or_b32 exec_lo, exec_lo, s37
	v_cmp_eq_u16_sdwa vcc_lo, v47, v28 src0_sel:BYTE_0 src1_sel:DWORD
	v_and_b32_e32 v51, 1, v47
	v_subrev_nc_u32_e32 v27, 32, v27
	v_cndmask_b32_e32 v31, 0, v31, vcc_lo
	v_cndmask_b32_e32 v32, 0, v32, vcc_lo
	v_cmp_eq_u32_e32 vcc_lo, 1, v51
	v_add_co_u32 v31, s15, v31, v29
	v_add_co_ci_u32_e64 v32, null, v32, v30, s15
	s_or_b32 s15, vcc_lo, s36
	v_cndmask_b32_e64 v51, 0, 1, s15
	s_mov_b32 s15, 0
.LBB46_129:                             ;   in Loop: Header=BB46_130 Depth=1
	s_and_b32 vcc_lo, exec_lo, s15
	s_cbranch_vccnz .LBB46_146
.LBB46_130:                             ; =>This Loop Header: Depth=1
                                        ;     Child Loop BB46_133 Depth 2
	v_cmp_ne_u16_sdwa s15, v38, v50 src0_sel:BYTE_0 src1_sel:DWORD
	s_waitcnt lgkmcnt(0)
	v_mov_b32_e32 v29, v31
	v_mov_b32_e32 v47, v51
	;; [unrolled: 1-line block ×3, first 2 shown]
                                        ; implicit-def: $vgpr51
                                        ; implicit-def: $vgpr31_vgpr32
                                        ; implicit-def: $vgpr38
	s_cmp_lg_u32 s15, exec_lo
	s_mov_b32 s15, -1
	s_cbranch_scc1 .LBB46_129
; %bb.131:                              ;   in Loop: Header=BB46_130 Depth=1
	global_load_ubyte v38, v27, s[24:25] glc dlc
	s_mov_b32 s15, exec_lo
	s_waitcnt vmcnt(0)
	v_cmpx_eq_u16_e32 0, v38
	s_cbranch_execz .LBB46_135
; %bb.132:                              ;   in Loop: Header=BB46_130 Depth=1
	v_add_co_u32 v31, s16, s24, v27
	v_add_co_ci_u32_e64 v32, null, s25, 0, s16
	s_mov_b32 s16, 0
.LBB46_133:                             ;   Parent Loop BB46_130 Depth=1
                                        ; =>  This Inner Loop Header: Depth=2
	global_load_ubyte v38, v[31:32], off glc dlc
	s_waitcnt vmcnt(0)
	v_cmp_ne_u16_e32 vcc_lo, 0, v38
	s_or_b32 s16, vcc_lo, s16
	s_andn2_b32 exec_lo, exec_lo, s16
	s_cbranch_execnz .LBB46_133
; %bb.134:                              ;   in Loop: Header=BB46_130 Depth=1
	s_or_b32 exec_lo, exec_lo, s16
.LBB46_135:                             ;   in Loop: Header=BB46_130 Depth=1
	s_or_b32 exec_lo, exec_lo, s15
	v_cmp_eq_u16_e32 vcc_lo, 1, v38
	v_mov_b32_e32 v52, s20
	v_mov_b32_e32 v51, s21
	v_lshlrev_b64 v[31:32], 4, v[27:28]
	buffer_gl1_inv
	buffer_gl0_inv
	s_mov_b32 s15, exec_lo
	v_cndmask_b32_e32 v52, s22, v52, vcc_lo
	v_cndmask_b32_e32 v51, s23, v51, vcc_lo
	v_add_co_u32 v31, vcc_lo, v52, v31
	v_add_co_ci_u32_e64 v32, null, v51, v32, vcc_lo
	v_cmp_eq_u16_e32 vcc_lo, 2, v38
	s_clause 0x1
	global_load_ubyte v52, v[31:32], off offset:8
	global_load_dwordx2 v[31:32], v[31:32], off
	v_and_or_b32 v51, vcc_lo, v40, 0x80000000
	v_ffbl_b32_e32 v51, v51
	s_waitcnt vmcnt(1)
	v_and_b32_e32 v64, 1, v52
	s_waitcnt vmcnt(0)
	ds_bpermute_b32 v65, v39, v31
	ds_bpermute_b32 v66, v39, v32
	;; [unrolled: 1-line block ×3, first 2 shown]
	v_cmpx_lt_u32_e64 v53, v51
	s_cbranch_execz .LBB46_137
; %bb.136:                              ;   in Loop: Header=BB46_130 Depth=1
	v_cmp_eq_u16_sdwa vcc_lo, v52, v28 src0_sel:BYTE_0 src1_sel:DWORD
	s_waitcnt lgkmcnt(0)
	v_and_b32_e32 v64, 1, v67
	v_cndmask_b32_e32 v65, 0, v65, vcc_lo
	v_cndmask_b32_e32 v66, 0, v66, vcc_lo
	v_or_b32_e32 v52, v64, v52
	v_add_co_u32 v31, vcc_lo, v65, v31
	v_add_co_ci_u32_e64 v32, null, v66, v32, vcc_lo
	v_and_b32_e32 v64, 0xff, v52
.LBB46_137:                             ;   in Loop: Header=BB46_130 Depth=1
	s_or_b32 exec_lo, exec_lo, s15
	s_waitcnt lgkmcnt(2)
	ds_bpermute_b32 v65, v41, v31
	s_waitcnt lgkmcnt(2)
	ds_bpermute_b32 v66, v41, v32
	;; [unrolled: 2-line block ×3, first 2 shown]
	v_and_b32_e32 v68, 1, v52
	s_mov_b32 s16, exec_lo
	v_cmp_eq_u32_e64 s36, 1, v68
	v_cmpx_le_u32_e64 v42, v51
	s_cbranch_execz .LBB46_139
; %bb.138:                              ;   in Loop: Header=BB46_130 Depth=1
	v_cmp_eq_u16_sdwa vcc_lo, v52, v28 src0_sel:BYTE_0 src1_sel:DWORD
	s_waitcnt lgkmcnt(0)
	v_and_b32_e32 v52, 1, v67
	v_cndmask_b32_e32 v65, 0, v65, vcc_lo
	v_cndmask_b32_e32 v64, 0, v66, vcc_lo
	v_cmp_eq_u32_e32 vcc_lo, 1, v52
	v_add_co_u32 v31, s15, v65, v31
	v_add_co_ci_u32_e64 v32, null, v64, v32, s15
	s_or_b32 s15, s36, vcc_lo
	s_andn2_b32 s36, s36, exec_lo
	v_cndmask_b32_e64 v52, 0, 1, s15
	v_cndmask_b32_e64 v64, 0, 1, s15
	s_and_b32 s15, s15, exec_lo
	s_or_b32 s36, s36, s15
.LBB46_139:                             ;   in Loop: Header=BB46_130 Depth=1
	s_or_b32 exec_lo, exec_lo, s16
	s_waitcnt lgkmcnt(2)
	ds_bpermute_b32 v65, v43, v31
	s_waitcnt lgkmcnt(2)
	ds_bpermute_b32 v66, v43, v32
	;; [unrolled: 2-line block ×3, first 2 shown]
	s_mov_b32 s37, exec_lo
	v_cmpx_le_u32_e64 v44, v51
	s_cbranch_execz .LBB46_141
; %bb.140:                              ;   in Loop: Header=BB46_130 Depth=1
	v_cmp_eq_u16_sdwa vcc_lo, v52, v28 src0_sel:BYTE_0 src1_sel:DWORD
	v_and_b32_e32 v52, 1, v52
	s_waitcnt lgkmcnt(0)
	v_and_b32_e32 v64, 1, v67
	v_cndmask_b32_e32 v66, 0, v66, vcc_lo
	v_cndmask_b32_e32 v65, 0, v65, vcc_lo
	v_cmp_eq_u32_e32 vcc_lo, 1, v52
	v_cmp_eq_u32_e64 s15, 1, v64
	v_add_co_u32 v31, s16, v65, v31
	s_or_b32 s15, vcc_lo, s15
	v_add_co_ci_u32_e64 v32, null, v66, v32, s16
	v_cndmask_b32_e64 v52, 0, 1, s15
	v_cndmask_b32_e64 v64, 0, 1, s15
	s_andn2_b32 s16, s36, exec_lo
	s_and_b32 s15, s15, exec_lo
	s_or_b32 s36, s16, s15
.LBB46_141:                             ;   in Loop: Header=BB46_130 Depth=1
	s_or_b32 exec_lo, exec_lo, s37
	s_waitcnt lgkmcnt(2)
	ds_bpermute_b32 v65, v45, v31
	s_waitcnt lgkmcnt(2)
	ds_bpermute_b32 v66, v45, v32
	;; [unrolled: 2-line block ×3, first 2 shown]
	s_mov_b32 s37, exec_lo
	v_cmpx_le_u32_e64 v46, v51
	s_cbranch_execz .LBB46_143
; %bb.142:                              ;   in Loop: Header=BB46_130 Depth=1
	v_cmp_eq_u16_sdwa vcc_lo, v52, v28 src0_sel:BYTE_0 src1_sel:DWORD
	v_and_b32_e32 v52, 1, v52
	s_waitcnt lgkmcnt(0)
	v_and_b32_e32 v64, 1, v67
	v_cndmask_b32_e32 v66, 0, v66, vcc_lo
	v_cndmask_b32_e32 v65, 0, v65, vcc_lo
	v_cmp_eq_u32_e32 vcc_lo, 1, v52
	v_cmp_eq_u32_e64 s15, 1, v64
	v_add_co_u32 v31, s16, v65, v31
	s_or_b32 s15, vcc_lo, s15
	v_add_co_ci_u32_e64 v32, null, v66, v32, s16
	v_cndmask_b32_e64 v52, 0, 1, s15
	v_cndmask_b32_e64 v64, 0, 1, s15
	s_andn2_b32 s16, s36, exec_lo
	s_and_b32 s15, s15, exec_lo
	s_or_b32 s36, s16, s15
.LBB46_143:                             ;   in Loop: Header=BB46_130 Depth=1
	s_or_b32 exec_lo, exec_lo, s37
	s_waitcnt lgkmcnt(2)
	ds_bpermute_b32 v65, v48, v31
	s_waitcnt lgkmcnt(2)
	ds_bpermute_b32 v66, v48, v32
	ds_bpermute_b32 v64, v48, v64
	s_mov_b32 s37, exec_lo
	v_cmpx_le_u32_e64 v49, v51
	s_cbranch_execz .LBB46_128
; %bb.144:                              ;   in Loop: Header=BB46_130 Depth=1
	v_cmp_eq_u16_sdwa vcc_lo, v52, v28 src0_sel:BYTE_0 src1_sel:DWORD
	v_and_b32_e32 v51, 1, v52
	s_waitcnt lgkmcnt(0)
	v_and_b32_e32 v52, 1, v64
	v_cndmask_b32_e32 v65, 0, v65, vcc_lo
	v_cndmask_b32_e32 v64, 0, v66, vcc_lo
	v_cmp_eq_u32_e32 vcc_lo, 1, v51
	v_cmp_eq_u32_e64 s15, 1, v52
	v_add_co_u32 v31, s16, v65, v31
	v_add_co_ci_u32_e64 v32, null, v64, v32, s16
	s_or_b32 s15, vcc_lo, s15
	s_andn2_b32 s16, s36, exec_lo
	s_and_b32 s15, s15, exec_lo
	s_or_b32 s36, s16, s15
	s_branch .LBB46_128
.LBB46_145:
                                        ; implicit-def: $vgpr49_vgpr50
                                        ; implicit-def: $vgpr47_vgpr48
                                        ; implicit-def: $vgpr43_vgpr44
                                        ; implicit-def: $vgpr39_vgpr40
                                        ; implicit-def: $vgpr35_vgpr36
                                        ; implicit-def: $vgpr31_vgpr32
                                        ; implicit-def: $vgpr27_vgpr28
                                        ; implicit-def: $vgpr45_vgpr46
                                        ; implicit-def: $vgpr41_vgpr42
                                        ; implicit-def: $vgpr37_vgpr38
                                        ; implicit-def: $vgpr33_vgpr34
                                        ; implicit-def: $vgpr29_vgpr30
                                        ; implicit-def: $vgpr51_vgpr52
	s_cbranch_execnz .LBB46_151
	s_branch .LBB46_180
.LBB46_146:
	s_and_saveexec_b32 s15, s14
	s_cbranch_execz .LBB46_148
; %bb.147:
	v_mov_b32_e32 v27, 0
	v_or_b32_e32 v28, v37, v47
	s_mov_b32 s21, 0
	s_add_i32 s20, s44, 32
	v_mov_b32_e32 v31, 2
	v_cmp_eq_u32_sdwa vcc_lo, v37, v27 src0_sel:BYTE_0 src1_sel:DWORD
	s_lshl_b64 s[36:37], s[20:21], 4
	v_mov_b32_e32 v38, s20
	v_and_b32_e32 v28, 1, v28
	s_add_u32 s20, s22, s36
	v_cndmask_b32_e32 v37, 0, v29, vcc_lo
	v_cndmask_b32_e32 v32, 0, v30, vcc_lo
	s_addc_u32 s21, s23, s37
	v_add_co_u32 v5, vcc_lo, v37, v5
	v_add_co_ci_u32_e64 v6, null, v32, v6, vcc_lo
	global_store_byte v27, v28, s[20:21] offset:8
	global_store_dwordx2 v27, v[5:6], s[20:21]
	s_waitcnt lgkmcnt(0)
	s_waitcnt_vscnt null, 0x0
	buffer_gl1_inv
	buffer_gl0_inv
	global_store_byte v38, v31, s[24:25]
.LBB46_148:
	s_or_b32 exec_lo, exec_lo, s15
	s_and_b32 exec_lo, exec_lo, s0
	s_cbranch_execz .LBB46_150
; %bb.149:
	v_mov_b32_e32 v5, 0
	ds_write_b64 v5, v[29:30] offset:112
	ds_write_b8 v5, v47 offset:120
.LBB46_150:
	s_or_b32 exec_lo, exec_lo, s17
	s_waitcnt lgkmcnt(0)
	v_cndmask_b32_e64 v5, v36, v33, s14
	v_and_b32_e32 v28, 1, v87
	v_mov_b32_e32 v27, 0
	s_waitcnt_vscnt null, 0x0
	s_barrier
	v_and_b32_e32 v29, 1, v5
	v_cmp_eq_u32_e32 vcc_lo, 1, v28
	buffer_gl0_inv
	ds_read_b64 v[5:6], v27 offset:112
	v_cndmask_b32_e64 v3, v34, v3, s14
	v_cmp_eq_u32_e64 s15, 1, v29
	v_cndmask_b32_e64 v4, v35, v4, s14
	s_or_b32 s15, vcc_lo, s15
	v_cmp_eq_u16_sdwa vcc_lo, v87, v27 src0_sel:BYTE_0 src1_sel:DWORD
	v_cndmask_b32_e64 v28, 0, 1, s15
	v_cndmask_b32_e32 v3, 0, v3, vcc_lo
	v_cndmask_b32_e64 v28, v28, v87, s0
	v_cndmask_b32_e32 v4, 0, v4, vcc_lo
	v_cndmask_b32_e64 v3, v3, 0, s0
	v_cmp_eq_u16_sdwa vcc_lo, v28, v27 src0_sel:BYTE_0 src1_sel:DWORD
	v_cndmask_b32_e64 v4, v4, 0, s0
	s_waitcnt lgkmcnt(0)
	v_cndmask_b32_e32 v6, 0, v6, vcc_lo
	v_cndmask_b32_e32 v5, 0, v5, vcc_lo
	v_add_co_u32 v3, vcc_lo, v3, v1
	v_add_co_ci_u32_e64 v4, null, v4, v2, vcc_lo
	v_add_co_u32 v51, vcc_lo, v3, v5
	v_add_co_ci_u32_e64 v52, null, v4, v6, vcc_lo
	v_cndmask_b32_e64 v3, 0, v51, s12
	v_cndmask_b32_e64 v4, 0, v52, s12
	v_add_co_u32 v27, vcc_lo, v3, v9
	v_add_co_ci_u32_e64 v28, null, v4, v10, vcc_lo
	v_cndmask_b32_e64 v3, 0, v27, s13
	v_cndmask_b32_e64 v4, 0, v28, s13
	;; [unrolled: 4-line block ×12, first 2 shown]
	v_add_co_u32 v49, vcc_lo, v3, v11
	v_add_co_ci_u32_e64 v50, null, v4, v12, vcc_lo
	s_branch .LBB46_180
.LBB46_151:
	s_cmp_lg_u64 s[34:35], 0
	s_cselect_b32 s2, -1, 0
	s_cmp_lg_u64 s[38:39], 0
	s_cselect_b32 s3, -1, 0
	s_and_b32 s2, s2, s3
	s_and_b32 s3, s0, s2
	s_and_saveexec_b32 s2, s3
	s_cbranch_execz .LBB46_153
; %bb.152:
	v_mov_b32_e32 v5, 0
	s_clause 0x1
	global_load_dwordx2 v[3:4], v5, s[38:39]
	global_load_ubyte v6, v5, s[38:39] offset:8
	v_cmp_eq_u16_sdwa vcc_lo, v87, v5 src0_sel:BYTE_0 src1_sel:DWORD
	s_waitcnt vmcnt(1)
	v_cndmask_b32_e32 v3, 0, v3, vcc_lo
	v_cndmask_b32_e32 v4, 0, v4, vcc_lo
	s_waitcnt vmcnt(0)
	v_or_b32_e32 v5, v87, v6
	v_add_co_u32 v1, vcc_lo, v3, v1
	v_add_co_ci_u32_e64 v2, null, v4, v2, vcc_lo
	v_and_b32_e32 v87, 1, v5
.LBB46_153:
	s_or_b32 exec_lo, exec_lo, s2
	v_mov_b32_e32 v3, 0
	v_or_b32_e32 v6, v87, v92
	v_cmp_eq_u32_e64 s12, 1, v61
	v_cmp_eq_u32_e64 s15, 1, v60
	v_cmp_eq_u32_e64 s16, 1, v59
	v_cmp_eq_u16_sdwa vcc_lo, v92, v3 src0_sel:BYTE_0 src1_sel:DWORD
	v_cmp_ne_u16_sdwa s20, v55, v3 src0_sel:BYTE_0 src1_sel:DWORD
	v_cmp_ne_u16_sdwa s21, v56, v3 src0_sel:BYTE_0 src1_sel:DWORD
	;; [unrolled: 1-line block ×4, first 2 shown]
	v_cndmask_b32_e32 v5, 0, v1, vcc_lo
	v_cndmask_b32_e32 v4, 0, v2, vcc_lo
	s_or_b32 s20, s20, s12
	s_or_b32 s12, s21, s15
	v_cmp_eq_u32_e64 s14, 1, v62
	v_add_co_u32 v27, s2, v5, v9
	v_add_co_ci_u32_e64 v28, null, v4, v10, s2
	v_cmp_eq_u16_sdwa s2, v91, v3 src0_sel:BYTE_0 src1_sel:DWORD
	s_or_b32 s15, s16, s12
	v_cmp_eq_u32_e64 s13, 1, v63
	s_or_b32 s14, s34, s14
	v_and_b32_e32 v51, 15, v53
	v_cndmask_b32_e64 v5, 0, v27, s2
	v_cndmask_b32_e64 v4, 0, v28, s2
	s_or_b32 s14, s15, s14
	s_or_b32 s13, s17, s13
	;; [unrolled: 1-line block ×3, first 2 shown]
	v_add_co_u32 v29, s3, v5, v15
	v_add_co_ci_u32_e64 v30, null, v4, v16, s3
	v_cmp_eq_u16_sdwa s3, v90, v3 src0_sel:BYTE_0 src1_sel:DWORD
	s_or_b32 s14, s14, s13
	s_mov_b32 s15, exec_lo
	v_cndmask_b32_e64 v54, 0, 1, s14
	v_cndmask_b32_e64 v5, 0, v29, s3
	;; [unrolled: 1-line block ×3, first 2 shown]
	v_mov_b32_dpp v52, v54 row_shr:1 row_mask:0xf bank_mask:0xf
	v_add_co_u32 v31, s4, v5, v13
	v_add_co_ci_u32_e64 v32, null, v4, v14, s4
	v_cmp_eq_u16_sdwa s4, v89, v3 src0_sel:BYTE_0 src1_sel:DWORD
	v_cndmask_b32_e64 v5, 0, v31, s4
	v_cndmask_b32_e64 v4, 0, v32, s4
	v_add_co_u32 v33, s5, v5, v19
	v_add_co_ci_u32_e64 v34, null, v4, v20, s5
	v_cmp_eq_u16_sdwa s5, v88, v3 src0_sel:BYTE_0 src1_sel:DWORD
	v_cndmask_b32_e64 v5, 0, v33, s5
	v_cndmask_b32_e64 v4, 0, v34, s5
	v_add_co_u32 v35, s6, v5, v17
	v_add_co_ci_u32_e64 v36, null, v4, v18, s6
	v_cmp_eq_u16_sdwa s6, v86, v3 src0_sel:BYTE_0 src1_sel:DWORD
	v_cndmask_b32_e64 v5, 0, v35, s6
	v_cndmask_b32_e64 v4, 0, v36, s6
	v_add_co_u32 v37, s7, v5, v23
	v_add_co_ci_u32_e64 v38, null, v4, v24, s7
	v_cmp_eq_u16_sdwa s7, v85, v3 src0_sel:BYTE_0 src1_sel:DWORD
	v_cndmask_b32_e64 v5, 0, v37, s7
	v_cndmask_b32_e64 v4, 0, v38, s7
	v_add_co_u32 v39, s8, v5, v21
	v_add_co_ci_u32_e64 v40, null, v4, v22, s8
	v_cmp_eq_u16_sdwa s8, v84, v3 src0_sel:BYTE_0 src1_sel:DWORD
	v_cndmask_b32_e64 v5, 0, v39, s8
	v_cndmask_b32_e64 v4, 0, v40, s8
	v_add_co_u32 v41, s9, v5, v79
	v_add_co_ci_u32_e64 v42, null, v4, v80, s9
	v_cmp_eq_u16_sdwa s9, v83, v3 src0_sel:BYTE_0 src1_sel:DWORD
	v_cndmask_b32_e64 v5, 0, v41, s9
	v_cndmask_b32_e64 v4, 0, v42, s9
	v_add_co_u32 v43, s10, v5, v25
	v_add_co_ci_u32_e64 v44, null, v4, v26, s10
	v_cmp_eq_u16_sdwa s10, v82, v3 src0_sel:BYTE_0 src1_sel:DWORD
	v_cndmask_b32_e64 v5, 0, v43, s10
	v_cndmask_b32_e64 v4, 0, v44, s10
	v_add_co_u32 v45, s11, v5, v77
	v_add_co_ci_u32_e64 v46, null, v4, v78, s11
	v_cmp_eq_u16_sdwa s11, v81, v3 src0_sel:BYTE_0 src1_sel:DWORD
	v_cndmask_b32_e64 v4, 0, v45, s11
	v_cndmask_b32_e64 v3, 0, v46, s11
	v_add_co_u32 v47, s12, v4, v7
	v_add_co_ci_u32_e64 v48, null, v3, v8, s12
	v_cmp_eq_u16_e64 s12, 0, v58
	v_cndmask_b32_e64 v4, 0, v47, s12
	v_cndmask_b32_e64 v3, 0, v48, s12
	v_add_co_u32 v49, s13, v4, v11
	v_add_co_ci_u32_e64 v50, null, v3, v12, s13
	v_mov_b32_e32 v3, v49
	v_mov_b32_dpp v55, v49 row_shr:1 row_mask:0xf bank_mask:0xf
	v_mov_b32_dpp v56, v50 row_shr:1 row_mask:0xf bank_mask:0xf
	v_mov_b32_e32 v4, v50
	v_mov_b32_e32 v6, v50
	v_mov_b32_e32 v5, v49
	v_cmpx_ne_u32_e32 0, v51
	s_cbranch_execz .LBB46_155
; %bb.154:
	v_cndmask_b32_e64 v3, v55, 0, s14
	v_cndmask_b32_e64 v4, v56, 0, s14
	v_and_or_b32 v54, v52, 1, v54
	v_add_co_u32 v3, s13, v49, v3
	v_add_co_ci_u32_e64 v4, null, v50, v4, s13
	v_mov_b32_e32 v5, v3
	v_mov_b32_e32 v6, v4
.LBB46_155:
	s_or_b32 exec_lo, exec_lo, s15
	v_mov_b32_dpp v55, v5 row_shr:2 row_mask:0xf bank_mask:0xf
	v_mov_b32_dpp v56, v6 row_shr:2 row_mask:0xf bank_mask:0xf
	v_mov_b32_dpp v52, v54 row_shr:2 row_mask:0xf bank_mask:0xf
	s_mov_b32 s14, exec_lo
	v_cmpx_lt_u32_e32 1, v51
	s_cbranch_execz .LBB46_157
; %bb.156:
	v_cmp_eq_u16_e64 s13, 0, v54
	v_or_b32_e32 v52, v52, v54
	v_cndmask_b32_e64 v5, 0, v55, s13
	v_cndmask_b32_e64 v6, 0, v56, s13
	v_and_b32_e32 v54, 1, v52
	v_add_co_u32 v5, s13, v5, v3
	v_add_co_ci_u32_e64 v6, null, v6, v4, s13
	v_mov_b32_e32 v3, v5
	v_mov_b32_e32 v4, v6
.LBB46_157:
	s_or_b32 exec_lo, exec_lo, s14
	v_mov_b32_dpp v55, v5 row_shr:4 row_mask:0xf bank_mask:0xf
	v_mov_b32_dpp v56, v6 row_shr:4 row_mask:0xf bank_mask:0xf
	v_mov_b32_dpp v52, v54 row_shr:4 row_mask:0xf bank_mask:0xf
	s_mov_b32 s14, exec_lo
	v_cmpx_lt_u32_e32 3, v51
	s_cbranch_execz .LBB46_159
; %bb.158:
	v_cmp_eq_u16_e64 s13, 0, v54
	v_or_b32_e32 v52, v52, v54
	v_cndmask_b32_e64 v5, 0, v55, s13
	v_cndmask_b32_e64 v6, 0, v56, s13
	v_and_b32_e32 v54, 1, v52
	v_add_co_u32 v5, s13, v5, v3
	v_add_co_ci_u32_e64 v6, null, v6, v4, s13
	v_mov_b32_e32 v3, v5
	v_mov_b32_e32 v4, v6
.LBB46_159:
	;; [unrolled: 18-line block ×3, first 2 shown]
	s_or_b32 exec_lo, exec_lo, s14
	ds_swizzle_b32 v5, v5 offset:swizzle(BROADCAST,32,15)
	ds_swizzle_b32 v6, v6 offset:swizzle(BROADCAST,32,15)
	;; [unrolled: 1-line block ×3, first 2 shown]
	v_and_b32_e32 v51, 16, v53
	v_cmp_ne_u32_e64 s13, 0, v51
	v_mov_b32_e32 v51, v54
	s_and_saveexec_b32 s16, s13
	s_cbranch_execz .LBB46_163
; %bb.162:
	v_cmp_eq_u16_e64 s13, 0, v54
	v_and_b32_e32 v51, 1, v54
	s_waitcnt lgkmcnt(0)
	v_and_b32_e32 v52, 1, v52
	v_cndmask_b32_e64 v6, 0, v6, s13
	v_cndmask_b32_e64 v5, 0, v5, s13
	v_cmp_eq_u32_e64 s13, 1, v51
	v_cmp_eq_u32_e64 s14, 1, v52
	v_add_co_u32 v3, s15, v5, v3
	s_or_b32 s13, s13, s14
	v_add_co_ci_u32_e64 v4, null, v6, v4, s15
	v_cndmask_b32_e64 v54, 0, 1, s13
	v_cndmask_b32_e64 v51, 0, 1, s13
.LBB46_163:
	s_or_b32 exec_lo, exec_lo, s16
	s_waitcnt lgkmcnt(2)
	v_or_b32_e32 v5, 31, v0
	s_waitcnt lgkmcnt(0)
	v_lshrrev_b32_e32 v52, 5, v0
	s_mov_b32 s14, exec_lo
	v_cmpx_eq_u32_e64 v0, v5
	s_cbranch_execz .LBB46_165
; %bb.164:
	v_lshlrev_b32_e32 v5, 4, v52
	ds_write_b64 v5, v[3:4]
	ds_write_b8 v5, v54 offset:8
.LBB46_165:
	s_or_b32 exec_lo, exec_lo, s14
	s_mov_b32 s16, exec_lo
	s_waitcnt lgkmcnt(0)
	s_barrier
	buffer_gl0_inv
	v_cmpx_gt_u32_e32 8, v0
	s_cbranch_execz .LBB46_173
; %bb.166:
	v_lshlrev_b32_e32 v54, 4, v0
	v_and_b32_e32 v55, 7, v53
	s_mov_b32 s14, exec_lo
	ds_read_b64 v[5:6], v54
	ds_read_b32 v60, v54 offset:8
	s_waitcnt lgkmcnt(1)
	v_mov_b32_dpp v61, v5 row_shr:1 row_mask:0xf bank_mask:0xf
	v_mov_b32_dpp v62, v6 row_shr:1 row_mask:0xf bank_mask:0xf
	s_waitcnt lgkmcnt(0)
	v_and_b32_e32 v58, 0xffffff00, v60
	v_mov_b32_dpp v63, v60 row_shr:1 row_mask:0xf bank_mask:0xf
	v_mov_b32_e32 v59, v60
	v_mov_b32_e32 v56, v60
	v_cmpx_ne_u32_e32 0, v55
	s_cbranch_execz .LBB46_168
; %bb.167:
	v_mov_b32_e32 v56, 0
	v_cmp_eq_u16_sdwa s13, v60, v56 src0_sel:BYTE_0 src1_sel:DWORD
	v_or_b32_e32 v56, v63, v60
	v_cndmask_b32_e64 v61, 0, v61, s13
	v_cndmask_b32_e64 v60, 0, v62, s13
	v_and_b32_e32 v59, 1, v56
	v_and_b32_e32 v56, 1, v56
	v_add_co_u32 v5, s13, v61, v5
	v_add_co_ci_u32_e64 v6, null, v60, v6, s13
	v_or_b32_e32 v60, v56, v58
.LBB46_168:
	s_or_b32 exec_lo, exec_lo, s14
	v_mov_b32_dpp v61, v5 row_shr:2 row_mask:0xf bank_mask:0xf
	v_mov_b32_dpp v62, v6 row_shr:2 row_mask:0xf bank_mask:0xf
	;; [unrolled: 1-line block ×3, first 2 shown]
	s_mov_b32 s17, exec_lo
	v_cmpx_lt_u32_e32 1, v55
	s_cbranch_execz .LBB46_170
; %bb.169:
	v_mov_b32_e32 v59, 0
	v_and_b32_e32 v60, 1, v56
	v_and_b32_e32 v63, 1, v63
	v_cmp_eq_u16_sdwa s13, v56, v59 src0_sel:BYTE_0 src1_sel:DWORD
	v_cmp_eq_u32_e64 s14, 1, v60
	v_cmp_eq_u32_e64 s15, 1, v63
	v_cndmask_b32_e64 v56, 0, v62, s13
	v_cndmask_b32_e64 v60, 0, v61, s13
	s_or_b32 s13, s14, s15
	v_cndmask_b32_e64 v59, 0, 1, s13
	v_cndmask_b32_e64 v61, 0, 1, s13
	v_add_co_u32 v5, s13, v60, v5
	v_add_co_ci_u32_e64 v6, null, v56, v6, s13
	v_or_b32_e32 v60, v58, v61
	v_mov_b32_e32 v56, v59
.LBB46_170:
	s_or_b32 exec_lo, exec_lo, s17
	v_mov_b32_dpp v58, v5 row_shr:4 row_mask:0xf bank_mask:0xf
	v_mov_b32_dpp v61, v6 row_shr:4 row_mask:0xf bank_mask:0xf
	;; [unrolled: 1-line block ×3, first 2 shown]
	s_mov_b32 s17, exec_lo
	v_cmpx_lt_u32_e32 3, v55
	s_cbranch_execz .LBB46_172
; %bb.171:
	v_mov_b32_e32 v55, 0
	v_cmp_eq_u16_sdwa s13, v56, v55 src0_sel:BYTE_0 src1_sel:DWORD
	v_and_b32_e32 v55, 1, v56
	v_and_b32_e32 v56, 1, v60
	v_cndmask_b32_e64 v59, 0, v61, s13
	v_cndmask_b32_e64 v58, 0, v58, s13
	v_cmp_eq_u32_e64 s13, 1, v55
	v_cmp_eq_u32_e64 s14, 1, v56
	v_add_co_u32 v5, s15, v58, v5
	s_or_b32 s13, s13, s14
	v_add_co_ci_u32_e64 v6, null, v59, v6, s15
	v_cndmask_b32_e64 v59, 0, 1, s13
.LBB46_172:
	s_or_b32 exec_lo, exec_lo, s17
	ds_write_b64 v54, v[5:6]
	ds_write_b8 v54, v59 offset:8
.LBB46_173:
	s_or_b32 exec_lo, exec_lo, s16
	v_mov_b32_e32 v5, 0
	v_mov_b32_e32 v6, 0
	s_mov_b32 s14, exec_lo
	s_waitcnt lgkmcnt(0)
	s_barrier
	buffer_gl0_inv
	v_cmpx_lt_u32_e32 31, v0
	s_cbranch_execz .LBB46_175
; %bb.174:
	v_lshl_add_u32 v5, v52, 4, -16
	v_cmp_eq_u32_e64 s13, 0, v51
	ds_read_b64 v[5:6], v5
	s_waitcnt lgkmcnt(0)
	v_cndmask_b32_e64 v52, 0, v5, s13
	v_cndmask_b32_e64 v51, 0, v6, s13
	v_add_co_u32 v3, s13, v52, v3
	v_add_co_ci_u32_e64 v4, null, v51, v4, s13
.LBB46_175:
	s_or_b32 exec_lo, exec_lo, s14
	v_add_nc_u32_e32 v51, -1, v53
	v_cmp_gt_i32_e64 s13, 0, v51
	v_cndmask_b32_e64 v51, v51, v53, s13
	v_lshlrev_b32_e32 v51, 2, v51
	ds_bpermute_b32 v3, v51, v3
	ds_bpermute_b32 v4, v51, v4
	s_and_saveexec_b32 s13, s1
	s_cbranch_execz .LBB46_177
; %bb.176:
	v_cmp_eq_u32_e64 s1, 0, v53
	v_mov_b32_e32 v27, 0
	;;#ASMSTART
	;;#ASMEND
	s_waitcnt lgkmcnt(1)
	v_cndmask_b32_e64 v3, v3, v5, s1
	s_waitcnt lgkmcnt(0)
	v_cndmask_b32_e64 v4, v4, v6, s1
	v_cmp_eq_u16_sdwa s1, v87, v27 src0_sel:BYTE_0 src1_sel:DWORD
	v_cndmask_b32_e64 v3, 0, v3, s1
	v_cndmask_b32_e64 v4, 0, v4, s1
	v_add_co_u32 v1, s1, v3, v1
	v_add_co_ci_u32_e64 v2, null, v4, v2, s1
	v_cndmask_b32_e32 v3, 0, v1, vcc_lo
	v_cndmask_b32_e32 v4, 0, v2, vcc_lo
	v_add_co_u32 v27, vcc_lo, v3, v9
	v_add_co_ci_u32_e64 v28, null, v4, v10, vcc_lo
	v_cndmask_b32_e64 v3, 0, v27, s2
	v_cndmask_b32_e64 v4, 0, v28, s2
	v_add_co_u32 v29, vcc_lo, v3, v15
	v_add_co_ci_u32_e64 v30, null, v4, v16, vcc_lo
	v_cndmask_b32_e64 v3, 0, v29, s3
	v_cndmask_b32_e64 v4, 0, v30, s3
	;; [unrolled: 4-line block ×11, first 2 shown]
	v_add_co_u32 v49, vcc_lo, v3, v11
	v_add_co_ci_u32_e64 v50, null, v4, v12, vcc_lo
.LBB46_177:
	s_or_b32 exec_lo, exec_lo, s13
	s_and_saveexec_b32 s1, s0
	s_cbranch_execz .LBB46_179
; %bb.178:
	v_mov_b32_e32 v5, 0
	v_mov_b32_e32 v7, 2
	s_waitcnt lgkmcnt(0)
	ds_read_b64 v[3:4], v5 offset:112
	ds_read_u8 v6, v5 offset:120
	s_waitcnt lgkmcnt(1)
	global_store_dwordx2 v5, v[3:4], s[22:23] offset:512
	s_waitcnt lgkmcnt(0)
	global_store_byte v5, v6, s[22:23] offset:520
	s_waitcnt_vscnt null, 0x0
	buffer_gl1_inv
	buffer_gl0_inv
	global_store_byte v5, v7, s[24:25] offset:32
.LBB46_179:
	s_or_b32 exec_lo, exec_lo, s1
	v_mov_b32_e32 v52, v2
	v_mov_b32_e32 v51, v1
.LBB46_180:
	s_add_u32 s0, s18, s28
	s_addc_u32 s1, s19, s29
	s_add_u32 s0, s0, s30
	s_addc_u32 s1, s1, s31
	s_and_b32 vcc_lo, exec_lo, s27
	s_cbranch_vccz .LBB46_224
; %bb.181:
	v_mul_u32_u24_e32 v1, 13, v0
	s_add_i32 s33, s33, s26
	s_mov_b32 s2, exec_lo
	v_cmpx_gt_u32_e64 s33, v1
	s_cbranch_execz .LBB46_199
; %bb.182:
	v_add_nc_u32_e32 v2, 1, v1
	s_mov_b32 s3, exec_lo
	v_cmpx_gt_u32_e64 s33, v2
	s_cbranch_execz .LBB46_198
; %bb.183:
	v_add_nc_u32_e32 v2, 2, v1
	;; [unrolled: 5-line block ×8, first 2 shown]
	s_mov_b32 s10, exec_lo
	v_cmpx_gt_u32_e64 s33, v2
; %bb.190:
	v_add_nc_u32_e32 v2, 9, v1
	s_mov_b32 s11, exec_lo
	v_cmpx_gt_u32_e64 s33, v2
	s_or_b32 exec_lo, exec_lo, s11
; %bb.191:
	s_or_b32 exec_lo, exec_lo, s10
.LBB46_192:
	s_or_b32 exec_lo, exec_lo, s9
.LBB46_193:
	s_or_b32 exec_lo, exec_lo, s8
.LBB46_194:
	s_or_b32 exec_lo, exec_lo, s7
.LBB46_195:
	s_or_b32 exec_lo, exec_lo, s6
.LBB46_196:
	s_or_b32 exec_lo, exec_lo, s5
.LBB46_197:
	s_or_b32 exec_lo, exec_lo, s4
.LBB46_198:
	s_or_b32 exec_lo, exec_lo, s3
.LBB46_199:
	s_or_b32 exec_lo, exec_lo, s2
	v_lshlrev_b32_e32 v53, 3, v1
	s_waitcnt lgkmcnt(0)
	s_waitcnt_vscnt null, 0x0
	s_barrier
	buffer_gl0_inv
	v_add_co_u32 v25, s2, s0, v57
	v_mad_i32_i24 v1, 0xffffffa0, v0, v53
	ds_write2_b64 v53, v[51:52], v[27:28] offset1:1
	ds_write2_b64 v53, v[29:30], v[31:32] offset0:2 offset1:3
	ds_write2_b64 v53, v[33:34], v[35:36] offset0:4 offset1:5
	;; [unrolled: 1-line block ×5, first 2 shown]
	ds_write_b64 v53, v[49:50] offset:96
	s_waitcnt lgkmcnt(0)
	s_barrier
	buffer_gl0_inv
	ds_read2st64_b64 v[21:24], v1 offset0:4 offset1:8
	ds_read2st64_b64 v[17:20], v1 offset0:12 offset1:16
	;; [unrolled: 1-line block ×6, first 2 shown]
	v_add_co_ci_u32_e64 v26, null, s1, 0, s2
	s_mov_b32 s2, exec_lo
	v_cmpx_gt_u32_e64 s33, v0
	s_cbranch_execz .LBB46_201
; %bb.200:
	v_mul_i32_i24_e32 v54, 0xffffffa0, v0
	v_add_nc_u32_e32 v53, v53, v54
	ds_read_b64 v[53:54], v53
	s_waitcnt lgkmcnt(0)
	flat_store_dwordx2 v[25:26], v[53:54]
.LBB46_201:
	s_or_b32 exec_lo, exec_lo, s2
	v_or_b32_e32 v53, 0x100, v0
	s_mov_b32 s2, exec_lo
	v_cmpx_gt_u32_e64 s33, v53
	s_cbranch_execz .LBB46_203
; %bb.202:
	v_add_co_u32 v53, vcc_lo, 0x800, v25
	v_add_co_ci_u32_e64 v54, null, 0, v26, vcc_lo
	s_waitcnt lgkmcnt(5)
	flat_store_dwordx2 v[53:54], v[21:22]
.LBB46_203:
	s_or_b32 exec_lo, exec_lo, s2
	s_waitcnt lgkmcnt(5)
	v_or_b32_e32 v21, 0x200, v0
	s_mov_b32 s2, exec_lo
	v_cmpx_gt_u32_e64 s33, v21
	s_cbranch_execz .LBB46_205
; %bb.204:
	v_add_co_u32 v21, vcc_lo, 0x1000, v25
	v_add_co_ci_u32_e64 v22, null, 0, v26, vcc_lo
	flat_store_dwordx2 v[21:22], v[23:24]
.LBB46_205:
	s_or_b32 exec_lo, exec_lo, s2
	v_or_b32_e32 v21, 0x300, v0
	s_mov_b32 s2, exec_lo
	v_cmpx_gt_u32_e64 s33, v21
	s_cbranch_execz .LBB46_207
; %bb.206:
	v_add_co_u32 v21, vcc_lo, 0x1800, v25
	v_add_co_ci_u32_e64 v22, null, 0, v26, vcc_lo
	s_waitcnt lgkmcnt(4)
	flat_store_dwordx2 v[21:22], v[17:18]
.LBB46_207:
	s_or_b32 exec_lo, exec_lo, s2
	s_waitcnt lgkmcnt(4)
	v_or_b32_e32 v17, 0x400, v0
	s_mov_b32 s2, exec_lo
	v_cmpx_gt_u32_e64 s33, v17
	s_cbranch_execz .LBB46_209
; %bb.208:
	v_add_co_u32 v17, vcc_lo, 0x2000, v25
	v_add_co_ci_u32_e64 v18, null, 0, v26, vcc_lo
	flat_store_dwordx2 v[17:18], v[19:20]
.LBB46_209:
	;; [unrolled: 22-line block ×5, first 2 shown]
	s_or_b32 exec_lo, exec_lo, s2
	v_or_b32_e32 v5, 0xb00, v0
	s_mov_b32 s2, exec_lo
	v_cmpx_gt_u32_e64 s33, v5
	s_cbranch_execz .LBB46_223
; %bb.222:
	v_add_co_u32 v5, vcc_lo, 0x5800, v25
	v_add_co_ci_u32_e64 v6, null, 0, v26, vcc_lo
	s_waitcnt lgkmcnt(0)
	flat_store_dwordx2 v[5:6], v[1:2]
.LBB46_223:
	s_or_b32 exec_lo, exec_lo, s2
	s_waitcnt lgkmcnt(0)
	v_or_b32_e32 v1, 0xc00, v0
	v_cmp_gt_u32_e64 s2, s33, v1
	s_branch .LBB46_226
.LBB46_224:
	s_mov_b32 s2, 0
                                        ; implicit-def: $vgpr3_vgpr4
	s_cbranch_execz .LBB46_226
; %bb.225:
	v_mul_i32_i24_e32 v2, 0xffffffa0, v0
	v_mul_u32_u24_e32 v1, 0x68, v0
	s_waitcnt lgkmcnt(0)
	s_waitcnt_vscnt null, 0x0
	s_barrier
	buffer_gl0_inv
	v_mad_u32_u24 v3, 0x68, v0, v2
	ds_write2_b64 v1, v[51:52], v[27:28] offset1:1
	ds_write2_b64 v1, v[29:30], v[31:32] offset0:2 offset1:3
	ds_write2_b64 v1, v[33:34], v[35:36] offset0:4 offset1:5
	;; [unrolled: 1-line block ×5, first 2 shown]
	ds_write_b64 v1, v[49:50] offset:96
	s_waitcnt lgkmcnt(0)
	s_barrier
	buffer_gl0_inv
	ds_read2st64_b64 v[5:8], v3 offset1:4
	ds_read2st64_b64 v[9:12], v3 offset0:8 offset1:12
	ds_read2st64_b64 v[13:16], v3 offset0:16 offset1:20
	;; [unrolled: 1-line block ×3, first 2 shown]
	v_add_co_u32 v1, s3, s0, v57
	v_add_co_ci_u32_e64 v2, null, s1, 0, s3
	ds_read2st64_b64 v[21:24], v3 offset0:32 offset1:36
	v_add_co_u32 v29, vcc_lo, 0x800, v1
	v_add_co_ci_u32_e64 v30, null, 0, v2, vcc_lo
	v_add_co_u32 v31, vcc_lo, 0x1000, v1
	v_add_co_ci_u32_e64 v32, null, 0, v2, vcc_lo
	ds_read2st64_b64 v[25:28], v3 offset0:40 offset1:44
	ds_read_b64 v[3:4], v3 offset:24576
	s_or_b32 s2, s2, exec_lo
	s_waitcnt lgkmcnt(6)
	flat_store_dwordx2 v[1:2], v[5:6]
	flat_store_dwordx2 v[29:30], v[7:8]
	s_waitcnt lgkmcnt(7)
	flat_store_dwordx2 v[31:32], v[9:10]
	v_add_co_u32 v5, vcc_lo, 0x1800, v1
	v_add_co_ci_u32_e64 v6, null, 0, v2, vcc_lo
	v_add_co_u32 v7, vcc_lo, 0x2000, v1
	v_add_co_ci_u32_e64 v8, null, 0, v2, vcc_lo
	;; [unrolled: 2-line block ×5, first 2 shown]
	flat_store_dwordx2 v[5:6], v[11:12]
	s_waitcnt lgkmcnt(8)
	flat_store_dwordx2 v[7:8], v[13:14]
	flat_store_dwordx2 v[9:10], v[15:16]
	s_waitcnt lgkmcnt(9)
	flat_store_dwordx2 v[29:30], v[17:18]
	flat_store_dwordx2 v[31:32], v[19:20]
	v_add_co_u32 v5, vcc_lo, 0x4000, v1
	v_add_co_ci_u32_e64 v6, null, 0, v2, vcc_lo
	v_add_co_u32 v7, vcc_lo, 0x4800, v1
	v_add_co_ci_u32_e64 v8, null, 0, v2, vcc_lo
	;; [unrolled: 2-line block ×4, first 2 shown]
	s_waitcnt lgkmcnt(10)
	flat_store_dwordx2 v[5:6], v[21:22]
	flat_store_dwordx2 v[7:8], v[23:24]
	s_waitcnt lgkmcnt(11)
	flat_store_dwordx2 v[9:10], v[25:26]
	flat_store_dwordx2 v[1:2], v[27:28]
.LBB46_226:
	s_and_saveexec_b32 s3, s2
	s_cbranch_execnz .LBB46_228
; %bb.227:
	s_endpgm
.LBB46_228:
	v_lshlrev_b32_e32 v0, 3, v0
	v_add_co_u32 v0, s0, s0, v0
	v_add_co_ci_u32_e64 v1, null, s1, 0, s0
	v_add_co_u32 v0, vcc_lo, 0x6000, v0
	v_add_co_ci_u32_e64 v1, null, 0, v1, vcc_lo
	s_waitcnt lgkmcnt(0)
	flat_store_dwordx2 v[0:1], v[3:4]
	s_endpgm
.LBB46_229:
	v_add_co_u32 v1, s2, s15, v39
	v_add_co_ci_u32_e64 v2, null, s45, 0, s2
	flat_load_dwordx2 v[1:2], v[1:2]
	s_or_b32 exec_lo, exec_lo, s36
                                        ; implicit-def: $vgpr3_vgpr4
	s_and_saveexec_b32 s2, s3
	s_cbranch_execz .LBB46_39
.LBB46_230:
	v_add_co_u32 v3, s3, s15, v27
	v_add_co_ci_u32_e64 v4, null, s45, 0, s3
	flat_load_dwordx2 v[3:4], v[3:4]
	s_or_b32 exec_lo, exec_lo, s2
                                        ; implicit-def: $vgpr5_vgpr6
	s_and_saveexec_b32 s2, s4
	s_cbranch_execz .LBB46_40
.LBB46_231:
	v_add_co_u32 v5, s3, s15, v28
	v_add_co_ci_u32_e64 v6, null, s45, 0, s3
	flat_load_dwordx2 v[5:6], v[5:6]
	s_or_b32 exec_lo, exec_lo, s2
                                        ; implicit-def: $vgpr7_vgpr8
	s_and_saveexec_b32 s2, s5
	s_cbranch_execz .LBB46_41
.LBB46_232:
	v_add_co_u32 v7, s3, s15, v29
	v_add_co_ci_u32_e64 v8, null, s45, 0, s3
	flat_load_dwordx2 v[7:8], v[7:8]
	s_or_b32 exec_lo, exec_lo, s2
                                        ; implicit-def: $vgpr9_vgpr10
	s_and_saveexec_b32 s2, s6
	s_cbranch_execz .LBB46_42
.LBB46_233:
	v_add_co_u32 v9, s3, s15, v30
	v_add_co_ci_u32_e64 v10, null, s45, 0, s3
	flat_load_dwordx2 v[9:10], v[9:10]
	s_or_b32 exec_lo, exec_lo, s2
                                        ; implicit-def: $vgpr13_vgpr14
	s_and_saveexec_b32 s2, s7
	s_cbranch_execz .LBB46_43
.LBB46_234:
	v_add_co_u32 v13, s3, s15, v31
	v_add_co_ci_u32_e64 v14, null, s45, 0, s3
	flat_load_dwordx2 v[13:14], v[13:14]
	s_or_b32 exec_lo, exec_lo, s2
                                        ; implicit-def: $vgpr15_vgpr16
	s_and_saveexec_b32 s2, s8
	s_cbranch_execz .LBB46_44
.LBB46_235:
	v_add_co_u32 v15, s3, s15, v32
	v_add_co_ci_u32_e64 v16, null, s45, 0, s3
	flat_load_dwordx2 v[15:16], v[15:16]
	s_or_b32 exec_lo, exec_lo, s2
                                        ; implicit-def: $vgpr17_vgpr18
	s_and_saveexec_b32 s2, s9
	s_cbranch_execz .LBB46_45
.LBB46_236:
	v_add_co_u32 v17, s3, s15, v33
	v_add_co_ci_u32_e64 v18, null, s45, 0, s3
	flat_load_dwordx2 v[17:18], v[17:18]
	s_or_b32 exec_lo, exec_lo, s2
                                        ; implicit-def: $vgpr19_vgpr20
	s_and_saveexec_b32 s2, s10
	s_cbranch_execz .LBB46_46
.LBB46_237:
	v_add_co_u32 v19, s3, s15, v34
	v_add_co_ci_u32_e64 v20, null, s45, 0, s3
	flat_load_dwordx2 v[19:20], v[19:20]
	s_or_b32 exec_lo, exec_lo, s2
                                        ; implicit-def: $vgpr21_vgpr22
	s_and_saveexec_b32 s2, s11
	s_cbranch_execz .LBB46_47
.LBB46_238:
	v_add_co_u32 v21, s3, s15, v35
	v_add_co_ci_u32_e64 v22, null, s45, 0, s3
	flat_load_dwordx2 v[21:22], v[21:22]
	s_or_b32 exec_lo, exec_lo, s2
                                        ; implicit-def: $vgpr23_vgpr24
	s_and_saveexec_b32 s2, s12
	s_cbranch_execz .LBB46_48
.LBB46_239:
	v_add_co_u32 v23, s3, s15, v36
	v_add_co_ci_u32_e64 v24, null, s45, 0, s3
	flat_load_dwordx2 v[23:24], v[23:24]
	s_or_b32 exec_lo, exec_lo, s2
                                        ; implicit-def: $vgpr25_vgpr26
	s_and_saveexec_b32 s2, s13
	s_cbranch_execz .LBB46_49
.LBB46_240:
	v_add_co_u32 v25, s3, s15, v37
	v_add_co_ci_u32_e64 v26, null, s45, 0, s3
	flat_load_dwordx2 v[25:26], v[25:26]
	s_or_b32 exec_lo, exec_lo, s2
                                        ; implicit-def: $vgpr27_vgpr28
	s_and_saveexec_b32 s2, s14
	s_cbranch_execnz .LBB46_50
	s_branch .LBB46_51
.LBB46_241:
                                        ; implicit-def: $sgpr36_sgpr37
	s_branch .LBB46_34
.LBB46_242:
                                        ; implicit-def: $sgpr2_sgpr3
	s_branch .LBB46_80
	.section	.rodata,"a",@progbits
	.p2align	6, 0x0
	.amdhsa_kernel _ZN7rocprim17ROCPRIM_400000_NS6detail17trampoline_kernelINS0_14default_configENS1_27scan_by_key_config_selectorIxxEEZZNS1_16scan_by_key_implILNS1_25lookback_scan_determinismE0ELb0ES3_N6thrust23THRUST_200600_302600_NS6detail15normal_iteratorINS9_10device_ptrIxEEEESE_SE_xNS9_4plusIvEENS9_8equal_toIvEExEE10hipError_tPvRmT2_T3_T4_T5_mT6_T7_P12ihipStream_tbENKUlT_T0_E_clISt17integral_constantIbLb0EESY_IbLb1EEEEDaSU_SV_EUlSU_E_NS1_11comp_targetILNS1_3genE8ELNS1_11target_archE1030ELNS1_3gpuE2ELNS1_3repE0EEENS1_30default_config_static_selectorELNS0_4arch9wavefront6targetE0EEEvT1_
		.amdhsa_group_segment_fixed_size 30720
		.amdhsa_private_segment_fixed_size 0
		.amdhsa_kernarg_size 136
		.amdhsa_user_sgpr_count 6
		.amdhsa_user_sgpr_private_segment_buffer 1
		.amdhsa_user_sgpr_dispatch_ptr 0
		.amdhsa_user_sgpr_queue_ptr 0
		.amdhsa_user_sgpr_kernarg_segment_ptr 1
		.amdhsa_user_sgpr_dispatch_id 0
		.amdhsa_user_sgpr_flat_scratch_init 0
		.amdhsa_user_sgpr_private_segment_size 0
		.amdhsa_wavefront_size32 1
		.amdhsa_uses_dynamic_stack 0
		.amdhsa_system_sgpr_private_segment_wavefront_offset 0
		.amdhsa_system_sgpr_workgroup_id_x 1
		.amdhsa_system_sgpr_workgroup_id_y 0
		.amdhsa_system_sgpr_workgroup_id_z 0
		.amdhsa_system_sgpr_workgroup_info 0
		.amdhsa_system_vgpr_workitem_id 0
		.amdhsa_next_free_vgpr 113
		.amdhsa_next_free_sgpr 51
		.amdhsa_reserve_vcc 1
		.amdhsa_reserve_flat_scratch 1
		.amdhsa_float_round_mode_32 0
		.amdhsa_float_round_mode_16_64 0
		.amdhsa_float_denorm_mode_32 3
		.amdhsa_float_denorm_mode_16_64 3
		.amdhsa_dx10_clamp 1
		.amdhsa_ieee_mode 1
		.amdhsa_fp16_overflow 0
		.amdhsa_workgroup_processor_mode 1
		.amdhsa_memory_ordered 1
		.amdhsa_forward_progress 1
		.amdhsa_shared_vgpr_count 0
		.amdhsa_exception_fp_ieee_invalid_op 0
		.amdhsa_exception_fp_denorm_src 0
		.amdhsa_exception_fp_ieee_div_zero 0
		.amdhsa_exception_fp_ieee_overflow 0
		.amdhsa_exception_fp_ieee_underflow 0
		.amdhsa_exception_fp_ieee_inexact 0
		.amdhsa_exception_int_div_zero 0
	.end_amdhsa_kernel
	.section	.text._ZN7rocprim17ROCPRIM_400000_NS6detail17trampoline_kernelINS0_14default_configENS1_27scan_by_key_config_selectorIxxEEZZNS1_16scan_by_key_implILNS1_25lookback_scan_determinismE0ELb0ES3_N6thrust23THRUST_200600_302600_NS6detail15normal_iteratorINS9_10device_ptrIxEEEESE_SE_xNS9_4plusIvEENS9_8equal_toIvEExEE10hipError_tPvRmT2_T3_T4_T5_mT6_T7_P12ihipStream_tbENKUlT_T0_E_clISt17integral_constantIbLb0EESY_IbLb1EEEEDaSU_SV_EUlSU_E_NS1_11comp_targetILNS1_3genE8ELNS1_11target_archE1030ELNS1_3gpuE2ELNS1_3repE0EEENS1_30default_config_static_selectorELNS0_4arch9wavefront6targetE0EEEvT1_,"axG",@progbits,_ZN7rocprim17ROCPRIM_400000_NS6detail17trampoline_kernelINS0_14default_configENS1_27scan_by_key_config_selectorIxxEEZZNS1_16scan_by_key_implILNS1_25lookback_scan_determinismE0ELb0ES3_N6thrust23THRUST_200600_302600_NS6detail15normal_iteratorINS9_10device_ptrIxEEEESE_SE_xNS9_4plusIvEENS9_8equal_toIvEExEE10hipError_tPvRmT2_T3_T4_T5_mT6_T7_P12ihipStream_tbENKUlT_T0_E_clISt17integral_constantIbLb0EESY_IbLb1EEEEDaSU_SV_EUlSU_E_NS1_11comp_targetILNS1_3genE8ELNS1_11target_archE1030ELNS1_3gpuE2ELNS1_3repE0EEENS1_30default_config_static_selectorELNS0_4arch9wavefront6targetE0EEEvT1_,comdat
.Lfunc_end46:
	.size	_ZN7rocprim17ROCPRIM_400000_NS6detail17trampoline_kernelINS0_14default_configENS1_27scan_by_key_config_selectorIxxEEZZNS1_16scan_by_key_implILNS1_25lookback_scan_determinismE0ELb0ES3_N6thrust23THRUST_200600_302600_NS6detail15normal_iteratorINS9_10device_ptrIxEEEESE_SE_xNS9_4plusIvEENS9_8equal_toIvEExEE10hipError_tPvRmT2_T3_T4_T5_mT6_T7_P12ihipStream_tbENKUlT_T0_E_clISt17integral_constantIbLb0EESY_IbLb1EEEEDaSU_SV_EUlSU_E_NS1_11comp_targetILNS1_3genE8ELNS1_11target_archE1030ELNS1_3gpuE2ELNS1_3repE0EEENS1_30default_config_static_selectorELNS0_4arch9wavefront6targetE0EEEvT1_, .Lfunc_end46-_ZN7rocprim17ROCPRIM_400000_NS6detail17trampoline_kernelINS0_14default_configENS1_27scan_by_key_config_selectorIxxEEZZNS1_16scan_by_key_implILNS1_25lookback_scan_determinismE0ELb0ES3_N6thrust23THRUST_200600_302600_NS6detail15normal_iteratorINS9_10device_ptrIxEEEESE_SE_xNS9_4plusIvEENS9_8equal_toIvEExEE10hipError_tPvRmT2_T3_T4_T5_mT6_T7_P12ihipStream_tbENKUlT_T0_E_clISt17integral_constantIbLb0EESY_IbLb1EEEEDaSU_SV_EUlSU_E_NS1_11comp_targetILNS1_3genE8ELNS1_11target_archE1030ELNS1_3gpuE2ELNS1_3repE0EEENS1_30default_config_static_selectorELNS0_4arch9wavefront6targetE0EEEvT1_
                                        ; -- End function
	.set _ZN7rocprim17ROCPRIM_400000_NS6detail17trampoline_kernelINS0_14default_configENS1_27scan_by_key_config_selectorIxxEEZZNS1_16scan_by_key_implILNS1_25lookback_scan_determinismE0ELb0ES3_N6thrust23THRUST_200600_302600_NS6detail15normal_iteratorINS9_10device_ptrIxEEEESE_SE_xNS9_4plusIvEENS9_8equal_toIvEExEE10hipError_tPvRmT2_T3_T4_T5_mT6_T7_P12ihipStream_tbENKUlT_T0_E_clISt17integral_constantIbLb0EESY_IbLb1EEEEDaSU_SV_EUlSU_E_NS1_11comp_targetILNS1_3genE8ELNS1_11target_archE1030ELNS1_3gpuE2ELNS1_3repE0EEENS1_30default_config_static_selectorELNS0_4arch9wavefront6targetE0EEEvT1_.num_vgpr, 106
	.set _ZN7rocprim17ROCPRIM_400000_NS6detail17trampoline_kernelINS0_14default_configENS1_27scan_by_key_config_selectorIxxEEZZNS1_16scan_by_key_implILNS1_25lookback_scan_determinismE0ELb0ES3_N6thrust23THRUST_200600_302600_NS6detail15normal_iteratorINS9_10device_ptrIxEEEESE_SE_xNS9_4plusIvEENS9_8equal_toIvEExEE10hipError_tPvRmT2_T3_T4_T5_mT6_T7_P12ihipStream_tbENKUlT_T0_E_clISt17integral_constantIbLb0EESY_IbLb1EEEEDaSU_SV_EUlSU_E_NS1_11comp_targetILNS1_3genE8ELNS1_11target_archE1030ELNS1_3gpuE2ELNS1_3repE0EEENS1_30default_config_static_selectorELNS0_4arch9wavefront6targetE0EEEvT1_.num_agpr, 0
	.set _ZN7rocprim17ROCPRIM_400000_NS6detail17trampoline_kernelINS0_14default_configENS1_27scan_by_key_config_selectorIxxEEZZNS1_16scan_by_key_implILNS1_25lookback_scan_determinismE0ELb0ES3_N6thrust23THRUST_200600_302600_NS6detail15normal_iteratorINS9_10device_ptrIxEEEESE_SE_xNS9_4plusIvEENS9_8equal_toIvEExEE10hipError_tPvRmT2_T3_T4_T5_mT6_T7_P12ihipStream_tbENKUlT_T0_E_clISt17integral_constantIbLb0EESY_IbLb1EEEEDaSU_SV_EUlSU_E_NS1_11comp_targetILNS1_3genE8ELNS1_11target_archE1030ELNS1_3gpuE2ELNS1_3repE0EEENS1_30default_config_static_selectorELNS0_4arch9wavefront6targetE0EEEvT1_.numbered_sgpr, 51
	.set _ZN7rocprim17ROCPRIM_400000_NS6detail17trampoline_kernelINS0_14default_configENS1_27scan_by_key_config_selectorIxxEEZZNS1_16scan_by_key_implILNS1_25lookback_scan_determinismE0ELb0ES3_N6thrust23THRUST_200600_302600_NS6detail15normal_iteratorINS9_10device_ptrIxEEEESE_SE_xNS9_4plusIvEENS9_8equal_toIvEExEE10hipError_tPvRmT2_T3_T4_T5_mT6_T7_P12ihipStream_tbENKUlT_T0_E_clISt17integral_constantIbLb0EESY_IbLb1EEEEDaSU_SV_EUlSU_E_NS1_11comp_targetILNS1_3genE8ELNS1_11target_archE1030ELNS1_3gpuE2ELNS1_3repE0EEENS1_30default_config_static_selectorELNS0_4arch9wavefront6targetE0EEEvT1_.num_named_barrier, 0
	.set _ZN7rocprim17ROCPRIM_400000_NS6detail17trampoline_kernelINS0_14default_configENS1_27scan_by_key_config_selectorIxxEEZZNS1_16scan_by_key_implILNS1_25lookback_scan_determinismE0ELb0ES3_N6thrust23THRUST_200600_302600_NS6detail15normal_iteratorINS9_10device_ptrIxEEEESE_SE_xNS9_4plusIvEENS9_8equal_toIvEExEE10hipError_tPvRmT2_T3_T4_T5_mT6_T7_P12ihipStream_tbENKUlT_T0_E_clISt17integral_constantIbLb0EESY_IbLb1EEEEDaSU_SV_EUlSU_E_NS1_11comp_targetILNS1_3genE8ELNS1_11target_archE1030ELNS1_3gpuE2ELNS1_3repE0EEENS1_30default_config_static_selectorELNS0_4arch9wavefront6targetE0EEEvT1_.private_seg_size, 0
	.set _ZN7rocprim17ROCPRIM_400000_NS6detail17trampoline_kernelINS0_14default_configENS1_27scan_by_key_config_selectorIxxEEZZNS1_16scan_by_key_implILNS1_25lookback_scan_determinismE0ELb0ES3_N6thrust23THRUST_200600_302600_NS6detail15normal_iteratorINS9_10device_ptrIxEEEESE_SE_xNS9_4plusIvEENS9_8equal_toIvEExEE10hipError_tPvRmT2_T3_T4_T5_mT6_T7_P12ihipStream_tbENKUlT_T0_E_clISt17integral_constantIbLb0EESY_IbLb1EEEEDaSU_SV_EUlSU_E_NS1_11comp_targetILNS1_3genE8ELNS1_11target_archE1030ELNS1_3gpuE2ELNS1_3repE0EEENS1_30default_config_static_selectorELNS0_4arch9wavefront6targetE0EEEvT1_.uses_vcc, 1
	.set _ZN7rocprim17ROCPRIM_400000_NS6detail17trampoline_kernelINS0_14default_configENS1_27scan_by_key_config_selectorIxxEEZZNS1_16scan_by_key_implILNS1_25lookback_scan_determinismE0ELb0ES3_N6thrust23THRUST_200600_302600_NS6detail15normal_iteratorINS9_10device_ptrIxEEEESE_SE_xNS9_4plusIvEENS9_8equal_toIvEExEE10hipError_tPvRmT2_T3_T4_T5_mT6_T7_P12ihipStream_tbENKUlT_T0_E_clISt17integral_constantIbLb0EESY_IbLb1EEEEDaSU_SV_EUlSU_E_NS1_11comp_targetILNS1_3genE8ELNS1_11target_archE1030ELNS1_3gpuE2ELNS1_3repE0EEENS1_30default_config_static_selectorELNS0_4arch9wavefront6targetE0EEEvT1_.uses_flat_scratch, 1
	.set _ZN7rocprim17ROCPRIM_400000_NS6detail17trampoline_kernelINS0_14default_configENS1_27scan_by_key_config_selectorIxxEEZZNS1_16scan_by_key_implILNS1_25lookback_scan_determinismE0ELb0ES3_N6thrust23THRUST_200600_302600_NS6detail15normal_iteratorINS9_10device_ptrIxEEEESE_SE_xNS9_4plusIvEENS9_8equal_toIvEExEE10hipError_tPvRmT2_T3_T4_T5_mT6_T7_P12ihipStream_tbENKUlT_T0_E_clISt17integral_constantIbLb0EESY_IbLb1EEEEDaSU_SV_EUlSU_E_NS1_11comp_targetILNS1_3genE8ELNS1_11target_archE1030ELNS1_3gpuE2ELNS1_3repE0EEENS1_30default_config_static_selectorELNS0_4arch9wavefront6targetE0EEEvT1_.has_dyn_sized_stack, 0
	.set _ZN7rocprim17ROCPRIM_400000_NS6detail17trampoline_kernelINS0_14default_configENS1_27scan_by_key_config_selectorIxxEEZZNS1_16scan_by_key_implILNS1_25lookback_scan_determinismE0ELb0ES3_N6thrust23THRUST_200600_302600_NS6detail15normal_iteratorINS9_10device_ptrIxEEEESE_SE_xNS9_4plusIvEENS9_8equal_toIvEExEE10hipError_tPvRmT2_T3_T4_T5_mT6_T7_P12ihipStream_tbENKUlT_T0_E_clISt17integral_constantIbLb0EESY_IbLb1EEEEDaSU_SV_EUlSU_E_NS1_11comp_targetILNS1_3genE8ELNS1_11target_archE1030ELNS1_3gpuE2ELNS1_3repE0EEENS1_30default_config_static_selectorELNS0_4arch9wavefront6targetE0EEEvT1_.has_recursion, 0
	.set _ZN7rocprim17ROCPRIM_400000_NS6detail17trampoline_kernelINS0_14default_configENS1_27scan_by_key_config_selectorIxxEEZZNS1_16scan_by_key_implILNS1_25lookback_scan_determinismE0ELb0ES3_N6thrust23THRUST_200600_302600_NS6detail15normal_iteratorINS9_10device_ptrIxEEEESE_SE_xNS9_4plusIvEENS9_8equal_toIvEExEE10hipError_tPvRmT2_T3_T4_T5_mT6_T7_P12ihipStream_tbENKUlT_T0_E_clISt17integral_constantIbLb0EESY_IbLb1EEEEDaSU_SV_EUlSU_E_NS1_11comp_targetILNS1_3genE8ELNS1_11target_archE1030ELNS1_3gpuE2ELNS1_3repE0EEENS1_30default_config_static_selectorELNS0_4arch9wavefront6targetE0EEEvT1_.has_indirect_call, 0
	.section	.AMDGPU.csdata,"",@progbits
; Kernel info:
; codeLenInByte = 15356
; TotalNumSgprs: 53
; NumVgprs: 106
; ScratchSize: 0
; MemoryBound: 0
; FloatMode: 240
; IeeeMode: 1
; LDSByteSize: 30720 bytes/workgroup (compile time only)
; SGPRBlocks: 0
; VGPRBlocks: 14
; NumSGPRsForWavesPerEU: 53
; NumVGPRsForWavesPerEU: 113
; Occupancy: 8
; WaveLimiterHint : 1
; COMPUTE_PGM_RSRC2:SCRATCH_EN: 0
; COMPUTE_PGM_RSRC2:USER_SGPR: 6
; COMPUTE_PGM_RSRC2:TRAP_HANDLER: 0
; COMPUTE_PGM_RSRC2:TGID_X_EN: 1
; COMPUTE_PGM_RSRC2:TGID_Y_EN: 0
; COMPUTE_PGM_RSRC2:TGID_Z_EN: 0
; COMPUTE_PGM_RSRC2:TIDIG_COMP_CNT: 0
	.section	.text._ZN7rocprim17ROCPRIM_400000_NS6detail17trampoline_kernelINS0_14default_configENS1_27scan_by_key_config_selectorIxxEEZZNS1_16scan_by_key_implILNS1_25lookback_scan_determinismE0ELb0ES3_N6thrust23THRUST_200600_302600_NS6detail15normal_iteratorINS9_10device_ptrIxEEEESE_SE_xNS9_10multipliesIxEENS9_8equal_toIxEExEE10hipError_tPvRmT2_T3_T4_T5_mT6_T7_P12ihipStream_tbENKUlT_T0_E_clISt17integral_constantIbLb0EESZ_EEDaSU_SV_EUlSU_E_NS1_11comp_targetILNS1_3genE0ELNS1_11target_archE4294967295ELNS1_3gpuE0ELNS1_3repE0EEENS1_30default_config_static_selectorELNS0_4arch9wavefront6targetE0EEEvT1_,"axG",@progbits,_ZN7rocprim17ROCPRIM_400000_NS6detail17trampoline_kernelINS0_14default_configENS1_27scan_by_key_config_selectorIxxEEZZNS1_16scan_by_key_implILNS1_25lookback_scan_determinismE0ELb0ES3_N6thrust23THRUST_200600_302600_NS6detail15normal_iteratorINS9_10device_ptrIxEEEESE_SE_xNS9_10multipliesIxEENS9_8equal_toIxEExEE10hipError_tPvRmT2_T3_T4_T5_mT6_T7_P12ihipStream_tbENKUlT_T0_E_clISt17integral_constantIbLb0EESZ_EEDaSU_SV_EUlSU_E_NS1_11comp_targetILNS1_3genE0ELNS1_11target_archE4294967295ELNS1_3gpuE0ELNS1_3repE0EEENS1_30default_config_static_selectorELNS0_4arch9wavefront6targetE0EEEvT1_,comdat
	.protected	_ZN7rocprim17ROCPRIM_400000_NS6detail17trampoline_kernelINS0_14default_configENS1_27scan_by_key_config_selectorIxxEEZZNS1_16scan_by_key_implILNS1_25lookback_scan_determinismE0ELb0ES3_N6thrust23THRUST_200600_302600_NS6detail15normal_iteratorINS9_10device_ptrIxEEEESE_SE_xNS9_10multipliesIxEENS9_8equal_toIxEExEE10hipError_tPvRmT2_T3_T4_T5_mT6_T7_P12ihipStream_tbENKUlT_T0_E_clISt17integral_constantIbLb0EESZ_EEDaSU_SV_EUlSU_E_NS1_11comp_targetILNS1_3genE0ELNS1_11target_archE4294967295ELNS1_3gpuE0ELNS1_3repE0EEENS1_30default_config_static_selectorELNS0_4arch9wavefront6targetE0EEEvT1_ ; -- Begin function _ZN7rocprim17ROCPRIM_400000_NS6detail17trampoline_kernelINS0_14default_configENS1_27scan_by_key_config_selectorIxxEEZZNS1_16scan_by_key_implILNS1_25lookback_scan_determinismE0ELb0ES3_N6thrust23THRUST_200600_302600_NS6detail15normal_iteratorINS9_10device_ptrIxEEEESE_SE_xNS9_10multipliesIxEENS9_8equal_toIxEExEE10hipError_tPvRmT2_T3_T4_T5_mT6_T7_P12ihipStream_tbENKUlT_T0_E_clISt17integral_constantIbLb0EESZ_EEDaSU_SV_EUlSU_E_NS1_11comp_targetILNS1_3genE0ELNS1_11target_archE4294967295ELNS1_3gpuE0ELNS1_3repE0EEENS1_30default_config_static_selectorELNS0_4arch9wavefront6targetE0EEEvT1_
	.globl	_ZN7rocprim17ROCPRIM_400000_NS6detail17trampoline_kernelINS0_14default_configENS1_27scan_by_key_config_selectorIxxEEZZNS1_16scan_by_key_implILNS1_25lookback_scan_determinismE0ELb0ES3_N6thrust23THRUST_200600_302600_NS6detail15normal_iteratorINS9_10device_ptrIxEEEESE_SE_xNS9_10multipliesIxEENS9_8equal_toIxEExEE10hipError_tPvRmT2_T3_T4_T5_mT6_T7_P12ihipStream_tbENKUlT_T0_E_clISt17integral_constantIbLb0EESZ_EEDaSU_SV_EUlSU_E_NS1_11comp_targetILNS1_3genE0ELNS1_11target_archE4294967295ELNS1_3gpuE0ELNS1_3repE0EEENS1_30default_config_static_selectorELNS0_4arch9wavefront6targetE0EEEvT1_
	.p2align	8
	.type	_ZN7rocprim17ROCPRIM_400000_NS6detail17trampoline_kernelINS0_14default_configENS1_27scan_by_key_config_selectorIxxEEZZNS1_16scan_by_key_implILNS1_25lookback_scan_determinismE0ELb0ES3_N6thrust23THRUST_200600_302600_NS6detail15normal_iteratorINS9_10device_ptrIxEEEESE_SE_xNS9_10multipliesIxEENS9_8equal_toIxEExEE10hipError_tPvRmT2_T3_T4_T5_mT6_T7_P12ihipStream_tbENKUlT_T0_E_clISt17integral_constantIbLb0EESZ_EEDaSU_SV_EUlSU_E_NS1_11comp_targetILNS1_3genE0ELNS1_11target_archE4294967295ELNS1_3gpuE0ELNS1_3repE0EEENS1_30default_config_static_selectorELNS0_4arch9wavefront6targetE0EEEvT1_,@function
_ZN7rocprim17ROCPRIM_400000_NS6detail17trampoline_kernelINS0_14default_configENS1_27scan_by_key_config_selectorIxxEEZZNS1_16scan_by_key_implILNS1_25lookback_scan_determinismE0ELb0ES3_N6thrust23THRUST_200600_302600_NS6detail15normal_iteratorINS9_10device_ptrIxEEEESE_SE_xNS9_10multipliesIxEENS9_8equal_toIxEExEE10hipError_tPvRmT2_T3_T4_T5_mT6_T7_P12ihipStream_tbENKUlT_T0_E_clISt17integral_constantIbLb0EESZ_EEDaSU_SV_EUlSU_E_NS1_11comp_targetILNS1_3genE0ELNS1_11target_archE4294967295ELNS1_3gpuE0ELNS1_3repE0EEENS1_30default_config_static_selectorELNS0_4arch9wavefront6targetE0EEEvT1_: ; @_ZN7rocprim17ROCPRIM_400000_NS6detail17trampoline_kernelINS0_14default_configENS1_27scan_by_key_config_selectorIxxEEZZNS1_16scan_by_key_implILNS1_25lookback_scan_determinismE0ELb0ES3_N6thrust23THRUST_200600_302600_NS6detail15normal_iteratorINS9_10device_ptrIxEEEESE_SE_xNS9_10multipliesIxEENS9_8equal_toIxEExEE10hipError_tPvRmT2_T3_T4_T5_mT6_T7_P12ihipStream_tbENKUlT_T0_E_clISt17integral_constantIbLb0EESZ_EEDaSU_SV_EUlSU_E_NS1_11comp_targetILNS1_3genE0ELNS1_11target_archE4294967295ELNS1_3gpuE0ELNS1_3repE0EEENS1_30default_config_static_selectorELNS0_4arch9wavefront6targetE0EEEvT1_
; %bb.0:
	.section	.rodata,"a",@progbits
	.p2align	6, 0x0
	.amdhsa_kernel _ZN7rocprim17ROCPRIM_400000_NS6detail17trampoline_kernelINS0_14default_configENS1_27scan_by_key_config_selectorIxxEEZZNS1_16scan_by_key_implILNS1_25lookback_scan_determinismE0ELb0ES3_N6thrust23THRUST_200600_302600_NS6detail15normal_iteratorINS9_10device_ptrIxEEEESE_SE_xNS9_10multipliesIxEENS9_8equal_toIxEExEE10hipError_tPvRmT2_T3_T4_T5_mT6_T7_P12ihipStream_tbENKUlT_T0_E_clISt17integral_constantIbLb0EESZ_EEDaSU_SV_EUlSU_E_NS1_11comp_targetILNS1_3genE0ELNS1_11target_archE4294967295ELNS1_3gpuE0ELNS1_3repE0EEENS1_30default_config_static_selectorELNS0_4arch9wavefront6targetE0EEEvT1_
		.amdhsa_group_segment_fixed_size 0
		.amdhsa_private_segment_fixed_size 0
		.amdhsa_kernarg_size 136
		.amdhsa_user_sgpr_count 6
		.amdhsa_user_sgpr_private_segment_buffer 1
		.amdhsa_user_sgpr_dispatch_ptr 0
		.amdhsa_user_sgpr_queue_ptr 0
		.amdhsa_user_sgpr_kernarg_segment_ptr 1
		.amdhsa_user_sgpr_dispatch_id 0
		.amdhsa_user_sgpr_flat_scratch_init 0
		.amdhsa_user_sgpr_private_segment_size 0
		.amdhsa_wavefront_size32 1
		.amdhsa_uses_dynamic_stack 0
		.amdhsa_system_sgpr_private_segment_wavefront_offset 0
		.amdhsa_system_sgpr_workgroup_id_x 1
		.amdhsa_system_sgpr_workgroup_id_y 0
		.amdhsa_system_sgpr_workgroup_id_z 0
		.amdhsa_system_sgpr_workgroup_info 0
		.amdhsa_system_vgpr_workitem_id 0
		.amdhsa_next_free_vgpr 1
		.amdhsa_next_free_sgpr 1
		.amdhsa_reserve_vcc 0
		.amdhsa_reserve_flat_scratch 0
		.amdhsa_float_round_mode_32 0
		.amdhsa_float_round_mode_16_64 0
		.amdhsa_float_denorm_mode_32 3
		.amdhsa_float_denorm_mode_16_64 3
		.amdhsa_dx10_clamp 1
		.amdhsa_ieee_mode 1
		.amdhsa_fp16_overflow 0
		.amdhsa_workgroup_processor_mode 1
		.amdhsa_memory_ordered 1
		.amdhsa_forward_progress 1
		.amdhsa_shared_vgpr_count 0
		.amdhsa_exception_fp_ieee_invalid_op 0
		.amdhsa_exception_fp_denorm_src 0
		.amdhsa_exception_fp_ieee_div_zero 0
		.amdhsa_exception_fp_ieee_overflow 0
		.amdhsa_exception_fp_ieee_underflow 0
		.amdhsa_exception_fp_ieee_inexact 0
		.amdhsa_exception_int_div_zero 0
	.end_amdhsa_kernel
	.section	.text._ZN7rocprim17ROCPRIM_400000_NS6detail17trampoline_kernelINS0_14default_configENS1_27scan_by_key_config_selectorIxxEEZZNS1_16scan_by_key_implILNS1_25lookback_scan_determinismE0ELb0ES3_N6thrust23THRUST_200600_302600_NS6detail15normal_iteratorINS9_10device_ptrIxEEEESE_SE_xNS9_10multipliesIxEENS9_8equal_toIxEExEE10hipError_tPvRmT2_T3_T4_T5_mT6_T7_P12ihipStream_tbENKUlT_T0_E_clISt17integral_constantIbLb0EESZ_EEDaSU_SV_EUlSU_E_NS1_11comp_targetILNS1_3genE0ELNS1_11target_archE4294967295ELNS1_3gpuE0ELNS1_3repE0EEENS1_30default_config_static_selectorELNS0_4arch9wavefront6targetE0EEEvT1_,"axG",@progbits,_ZN7rocprim17ROCPRIM_400000_NS6detail17trampoline_kernelINS0_14default_configENS1_27scan_by_key_config_selectorIxxEEZZNS1_16scan_by_key_implILNS1_25lookback_scan_determinismE0ELb0ES3_N6thrust23THRUST_200600_302600_NS6detail15normal_iteratorINS9_10device_ptrIxEEEESE_SE_xNS9_10multipliesIxEENS9_8equal_toIxEExEE10hipError_tPvRmT2_T3_T4_T5_mT6_T7_P12ihipStream_tbENKUlT_T0_E_clISt17integral_constantIbLb0EESZ_EEDaSU_SV_EUlSU_E_NS1_11comp_targetILNS1_3genE0ELNS1_11target_archE4294967295ELNS1_3gpuE0ELNS1_3repE0EEENS1_30default_config_static_selectorELNS0_4arch9wavefront6targetE0EEEvT1_,comdat
.Lfunc_end47:
	.size	_ZN7rocprim17ROCPRIM_400000_NS6detail17trampoline_kernelINS0_14default_configENS1_27scan_by_key_config_selectorIxxEEZZNS1_16scan_by_key_implILNS1_25lookback_scan_determinismE0ELb0ES3_N6thrust23THRUST_200600_302600_NS6detail15normal_iteratorINS9_10device_ptrIxEEEESE_SE_xNS9_10multipliesIxEENS9_8equal_toIxEExEE10hipError_tPvRmT2_T3_T4_T5_mT6_T7_P12ihipStream_tbENKUlT_T0_E_clISt17integral_constantIbLb0EESZ_EEDaSU_SV_EUlSU_E_NS1_11comp_targetILNS1_3genE0ELNS1_11target_archE4294967295ELNS1_3gpuE0ELNS1_3repE0EEENS1_30default_config_static_selectorELNS0_4arch9wavefront6targetE0EEEvT1_, .Lfunc_end47-_ZN7rocprim17ROCPRIM_400000_NS6detail17trampoline_kernelINS0_14default_configENS1_27scan_by_key_config_selectorIxxEEZZNS1_16scan_by_key_implILNS1_25lookback_scan_determinismE0ELb0ES3_N6thrust23THRUST_200600_302600_NS6detail15normal_iteratorINS9_10device_ptrIxEEEESE_SE_xNS9_10multipliesIxEENS9_8equal_toIxEExEE10hipError_tPvRmT2_T3_T4_T5_mT6_T7_P12ihipStream_tbENKUlT_T0_E_clISt17integral_constantIbLb0EESZ_EEDaSU_SV_EUlSU_E_NS1_11comp_targetILNS1_3genE0ELNS1_11target_archE4294967295ELNS1_3gpuE0ELNS1_3repE0EEENS1_30default_config_static_selectorELNS0_4arch9wavefront6targetE0EEEvT1_
                                        ; -- End function
	.set _ZN7rocprim17ROCPRIM_400000_NS6detail17trampoline_kernelINS0_14default_configENS1_27scan_by_key_config_selectorIxxEEZZNS1_16scan_by_key_implILNS1_25lookback_scan_determinismE0ELb0ES3_N6thrust23THRUST_200600_302600_NS6detail15normal_iteratorINS9_10device_ptrIxEEEESE_SE_xNS9_10multipliesIxEENS9_8equal_toIxEExEE10hipError_tPvRmT2_T3_T4_T5_mT6_T7_P12ihipStream_tbENKUlT_T0_E_clISt17integral_constantIbLb0EESZ_EEDaSU_SV_EUlSU_E_NS1_11comp_targetILNS1_3genE0ELNS1_11target_archE4294967295ELNS1_3gpuE0ELNS1_3repE0EEENS1_30default_config_static_selectorELNS0_4arch9wavefront6targetE0EEEvT1_.num_vgpr, 0
	.set _ZN7rocprim17ROCPRIM_400000_NS6detail17trampoline_kernelINS0_14default_configENS1_27scan_by_key_config_selectorIxxEEZZNS1_16scan_by_key_implILNS1_25lookback_scan_determinismE0ELb0ES3_N6thrust23THRUST_200600_302600_NS6detail15normal_iteratorINS9_10device_ptrIxEEEESE_SE_xNS9_10multipliesIxEENS9_8equal_toIxEExEE10hipError_tPvRmT2_T3_T4_T5_mT6_T7_P12ihipStream_tbENKUlT_T0_E_clISt17integral_constantIbLb0EESZ_EEDaSU_SV_EUlSU_E_NS1_11comp_targetILNS1_3genE0ELNS1_11target_archE4294967295ELNS1_3gpuE0ELNS1_3repE0EEENS1_30default_config_static_selectorELNS0_4arch9wavefront6targetE0EEEvT1_.num_agpr, 0
	.set _ZN7rocprim17ROCPRIM_400000_NS6detail17trampoline_kernelINS0_14default_configENS1_27scan_by_key_config_selectorIxxEEZZNS1_16scan_by_key_implILNS1_25lookback_scan_determinismE0ELb0ES3_N6thrust23THRUST_200600_302600_NS6detail15normal_iteratorINS9_10device_ptrIxEEEESE_SE_xNS9_10multipliesIxEENS9_8equal_toIxEExEE10hipError_tPvRmT2_T3_T4_T5_mT6_T7_P12ihipStream_tbENKUlT_T0_E_clISt17integral_constantIbLb0EESZ_EEDaSU_SV_EUlSU_E_NS1_11comp_targetILNS1_3genE0ELNS1_11target_archE4294967295ELNS1_3gpuE0ELNS1_3repE0EEENS1_30default_config_static_selectorELNS0_4arch9wavefront6targetE0EEEvT1_.numbered_sgpr, 0
	.set _ZN7rocprim17ROCPRIM_400000_NS6detail17trampoline_kernelINS0_14default_configENS1_27scan_by_key_config_selectorIxxEEZZNS1_16scan_by_key_implILNS1_25lookback_scan_determinismE0ELb0ES3_N6thrust23THRUST_200600_302600_NS6detail15normal_iteratorINS9_10device_ptrIxEEEESE_SE_xNS9_10multipliesIxEENS9_8equal_toIxEExEE10hipError_tPvRmT2_T3_T4_T5_mT6_T7_P12ihipStream_tbENKUlT_T0_E_clISt17integral_constantIbLb0EESZ_EEDaSU_SV_EUlSU_E_NS1_11comp_targetILNS1_3genE0ELNS1_11target_archE4294967295ELNS1_3gpuE0ELNS1_3repE0EEENS1_30default_config_static_selectorELNS0_4arch9wavefront6targetE0EEEvT1_.num_named_barrier, 0
	.set _ZN7rocprim17ROCPRIM_400000_NS6detail17trampoline_kernelINS0_14default_configENS1_27scan_by_key_config_selectorIxxEEZZNS1_16scan_by_key_implILNS1_25lookback_scan_determinismE0ELb0ES3_N6thrust23THRUST_200600_302600_NS6detail15normal_iteratorINS9_10device_ptrIxEEEESE_SE_xNS9_10multipliesIxEENS9_8equal_toIxEExEE10hipError_tPvRmT2_T3_T4_T5_mT6_T7_P12ihipStream_tbENKUlT_T0_E_clISt17integral_constantIbLb0EESZ_EEDaSU_SV_EUlSU_E_NS1_11comp_targetILNS1_3genE0ELNS1_11target_archE4294967295ELNS1_3gpuE0ELNS1_3repE0EEENS1_30default_config_static_selectorELNS0_4arch9wavefront6targetE0EEEvT1_.private_seg_size, 0
	.set _ZN7rocprim17ROCPRIM_400000_NS6detail17trampoline_kernelINS0_14default_configENS1_27scan_by_key_config_selectorIxxEEZZNS1_16scan_by_key_implILNS1_25lookback_scan_determinismE0ELb0ES3_N6thrust23THRUST_200600_302600_NS6detail15normal_iteratorINS9_10device_ptrIxEEEESE_SE_xNS9_10multipliesIxEENS9_8equal_toIxEExEE10hipError_tPvRmT2_T3_T4_T5_mT6_T7_P12ihipStream_tbENKUlT_T0_E_clISt17integral_constantIbLb0EESZ_EEDaSU_SV_EUlSU_E_NS1_11comp_targetILNS1_3genE0ELNS1_11target_archE4294967295ELNS1_3gpuE0ELNS1_3repE0EEENS1_30default_config_static_selectorELNS0_4arch9wavefront6targetE0EEEvT1_.uses_vcc, 0
	.set _ZN7rocprim17ROCPRIM_400000_NS6detail17trampoline_kernelINS0_14default_configENS1_27scan_by_key_config_selectorIxxEEZZNS1_16scan_by_key_implILNS1_25lookback_scan_determinismE0ELb0ES3_N6thrust23THRUST_200600_302600_NS6detail15normal_iteratorINS9_10device_ptrIxEEEESE_SE_xNS9_10multipliesIxEENS9_8equal_toIxEExEE10hipError_tPvRmT2_T3_T4_T5_mT6_T7_P12ihipStream_tbENKUlT_T0_E_clISt17integral_constantIbLb0EESZ_EEDaSU_SV_EUlSU_E_NS1_11comp_targetILNS1_3genE0ELNS1_11target_archE4294967295ELNS1_3gpuE0ELNS1_3repE0EEENS1_30default_config_static_selectorELNS0_4arch9wavefront6targetE0EEEvT1_.uses_flat_scratch, 0
	.set _ZN7rocprim17ROCPRIM_400000_NS6detail17trampoline_kernelINS0_14default_configENS1_27scan_by_key_config_selectorIxxEEZZNS1_16scan_by_key_implILNS1_25lookback_scan_determinismE0ELb0ES3_N6thrust23THRUST_200600_302600_NS6detail15normal_iteratorINS9_10device_ptrIxEEEESE_SE_xNS9_10multipliesIxEENS9_8equal_toIxEExEE10hipError_tPvRmT2_T3_T4_T5_mT6_T7_P12ihipStream_tbENKUlT_T0_E_clISt17integral_constantIbLb0EESZ_EEDaSU_SV_EUlSU_E_NS1_11comp_targetILNS1_3genE0ELNS1_11target_archE4294967295ELNS1_3gpuE0ELNS1_3repE0EEENS1_30default_config_static_selectorELNS0_4arch9wavefront6targetE0EEEvT1_.has_dyn_sized_stack, 0
	.set _ZN7rocprim17ROCPRIM_400000_NS6detail17trampoline_kernelINS0_14default_configENS1_27scan_by_key_config_selectorIxxEEZZNS1_16scan_by_key_implILNS1_25lookback_scan_determinismE0ELb0ES3_N6thrust23THRUST_200600_302600_NS6detail15normal_iteratorINS9_10device_ptrIxEEEESE_SE_xNS9_10multipliesIxEENS9_8equal_toIxEExEE10hipError_tPvRmT2_T3_T4_T5_mT6_T7_P12ihipStream_tbENKUlT_T0_E_clISt17integral_constantIbLb0EESZ_EEDaSU_SV_EUlSU_E_NS1_11comp_targetILNS1_3genE0ELNS1_11target_archE4294967295ELNS1_3gpuE0ELNS1_3repE0EEENS1_30default_config_static_selectorELNS0_4arch9wavefront6targetE0EEEvT1_.has_recursion, 0
	.set _ZN7rocprim17ROCPRIM_400000_NS6detail17trampoline_kernelINS0_14default_configENS1_27scan_by_key_config_selectorIxxEEZZNS1_16scan_by_key_implILNS1_25lookback_scan_determinismE0ELb0ES3_N6thrust23THRUST_200600_302600_NS6detail15normal_iteratorINS9_10device_ptrIxEEEESE_SE_xNS9_10multipliesIxEENS9_8equal_toIxEExEE10hipError_tPvRmT2_T3_T4_T5_mT6_T7_P12ihipStream_tbENKUlT_T0_E_clISt17integral_constantIbLb0EESZ_EEDaSU_SV_EUlSU_E_NS1_11comp_targetILNS1_3genE0ELNS1_11target_archE4294967295ELNS1_3gpuE0ELNS1_3repE0EEENS1_30default_config_static_selectorELNS0_4arch9wavefront6targetE0EEEvT1_.has_indirect_call, 0
	.section	.AMDGPU.csdata,"",@progbits
; Kernel info:
; codeLenInByte = 0
; TotalNumSgprs: 0
; NumVgprs: 0
; ScratchSize: 0
; MemoryBound: 0
; FloatMode: 240
; IeeeMode: 1
; LDSByteSize: 0 bytes/workgroup (compile time only)
; SGPRBlocks: 0
; VGPRBlocks: 0
; NumSGPRsForWavesPerEU: 1
; NumVGPRsForWavesPerEU: 1
; Occupancy: 16
; WaveLimiterHint : 0
; COMPUTE_PGM_RSRC2:SCRATCH_EN: 0
; COMPUTE_PGM_RSRC2:USER_SGPR: 6
; COMPUTE_PGM_RSRC2:TRAP_HANDLER: 0
; COMPUTE_PGM_RSRC2:TGID_X_EN: 1
; COMPUTE_PGM_RSRC2:TGID_Y_EN: 0
; COMPUTE_PGM_RSRC2:TGID_Z_EN: 0
; COMPUTE_PGM_RSRC2:TIDIG_COMP_CNT: 0
	.section	.text._ZN7rocprim17ROCPRIM_400000_NS6detail17trampoline_kernelINS0_14default_configENS1_27scan_by_key_config_selectorIxxEEZZNS1_16scan_by_key_implILNS1_25lookback_scan_determinismE0ELb0ES3_N6thrust23THRUST_200600_302600_NS6detail15normal_iteratorINS9_10device_ptrIxEEEESE_SE_xNS9_10multipliesIxEENS9_8equal_toIxEExEE10hipError_tPvRmT2_T3_T4_T5_mT6_T7_P12ihipStream_tbENKUlT_T0_E_clISt17integral_constantIbLb0EESZ_EEDaSU_SV_EUlSU_E_NS1_11comp_targetILNS1_3genE10ELNS1_11target_archE1201ELNS1_3gpuE5ELNS1_3repE0EEENS1_30default_config_static_selectorELNS0_4arch9wavefront6targetE0EEEvT1_,"axG",@progbits,_ZN7rocprim17ROCPRIM_400000_NS6detail17trampoline_kernelINS0_14default_configENS1_27scan_by_key_config_selectorIxxEEZZNS1_16scan_by_key_implILNS1_25lookback_scan_determinismE0ELb0ES3_N6thrust23THRUST_200600_302600_NS6detail15normal_iteratorINS9_10device_ptrIxEEEESE_SE_xNS9_10multipliesIxEENS9_8equal_toIxEExEE10hipError_tPvRmT2_T3_T4_T5_mT6_T7_P12ihipStream_tbENKUlT_T0_E_clISt17integral_constantIbLb0EESZ_EEDaSU_SV_EUlSU_E_NS1_11comp_targetILNS1_3genE10ELNS1_11target_archE1201ELNS1_3gpuE5ELNS1_3repE0EEENS1_30default_config_static_selectorELNS0_4arch9wavefront6targetE0EEEvT1_,comdat
	.protected	_ZN7rocprim17ROCPRIM_400000_NS6detail17trampoline_kernelINS0_14default_configENS1_27scan_by_key_config_selectorIxxEEZZNS1_16scan_by_key_implILNS1_25lookback_scan_determinismE0ELb0ES3_N6thrust23THRUST_200600_302600_NS6detail15normal_iteratorINS9_10device_ptrIxEEEESE_SE_xNS9_10multipliesIxEENS9_8equal_toIxEExEE10hipError_tPvRmT2_T3_T4_T5_mT6_T7_P12ihipStream_tbENKUlT_T0_E_clISt17integral_constantIbLb0EESZ_EEDaSU_SV_EUlSU_E_NS1_11comp_targetILNS1_3genE10ELNS1_11target_archE1201ELNS1_3gpuE5ELNS1_3repE0EEENS1_30default_config_static_selectorELNS0_4arch9wavefront6targetE0EEEvT1_ ; -- Begin function _ZN7rocprim17ROCPRIM_400000_NS6detail17trampoline_kernelINS0_14default_configENS1_27scan_by_key_config_selectorIxxEEZZNS1_16scan_by_key_implILNS1_25lookback_scan_determinismE0ELb0ES3_N6thrust23THRUST_200600_302600_NS6detail15normal_iteratorINS9_10device_ptrIxEEEESE_SE_xNS9_10multipliesIxEENS9_8equal_toIxEExEE10hipError_tPvRmT2_T3_T4_T5_mT6_T7_P12ihipStream_tbENKUlT_T0_E_clISt17integral_constantIbLb0EESZ_EEDaSU_SV_EUlSU_E_NS1_11comp_targetILNS1_3genE10ELNS1_11target_archE1201ELNS1_3gpuE5ELNS1_3repE0EEENS1_30default_config_static_selectorELNS0_4arch9wavefront6targetE0EEEvT1_
	.globl	_ZN7rocprim17ROCPRIM_400000_NS6detail17trampoline_kernelINS0_14default_configENS1_27scan_by_key_config_selectorIxxEEZZNS1_16scan_by_key_implILNS1_25lookback_scan_determinismE0ELb0ES3_N6thrust23THRUST_200600_302600_NS6detail15normal_iteratorINS9_10device_ptrIxEEEESE_SE_xNS9_10multipliesIxEENS9_8equal_toIxEExEE10hipError_tPvRmT2_T3_T4_T5_mT6_T7_P12ihipStream_tbENKUlT_T0_E_clISt17integral_constantIbLb0EESZ_EEDaSU_SV_EUlSU_E_NS1_11comp_targetILNS1_3genE10ELNS1_11target_archE1201ELNS1_3gpuE5ELNS1_3repE0EEENS1_30default_config_static_selectorELNS0_4arch9wavefront6targetE0EEEvT1_
	.p2align	8
	.type	_ZN7rocprim17ROCPRIM_400000_NS6detail17trampoline_kernelINS0_14default_configENS1_27scan_by_key_config_selectorIxxEEZZNS1_16scan_by_key_implILNS1_25lookback_scan_determinismE0ELb0ES3_N6thrust23THRUST_200600_302600_NS6detail15normal_iteratorINS9_10device_ptrIxEEEESE_SE_xNS9_10multipliesIxEENS9_8equal_toIxEExEE10hipError_tPvRmT2_T3_T4_T5_mT6_T7_P12ihipStream_tbENKUlT_T0_E_clISt17integral_constantIbLb0EESZ_EEDaSU_SV_EUlSU_E_NS1_11comp_targetILNS1_3genE10ELNS1_11target_archE1201ELNS1_3gpuE5ELNS1_3repE0EEENS1_30default_config_static_selectorELNS0_4arch9wavefront6targetE0EEEvT1_,@function
_ZN7rocprim17ROCPRIM_400000_NS6detail17trampoline_kernelINS0_14default_configENS1_27scan_by_key_config_selectorIxxEEZZNS1_16scan_by_key_implILNS1_25lookback_scan_determinismE0ELb0ES3_N6thrust23THRUST_200600_302600_NS6detail15normal_iteratorINS9_10device_ptrIxEEEESE_SE_xNS9_10multipliesIxEENS9_8equal_toIxEExEE10hipError_tPvRmT2_T3_T4_T5_mT6_T7_P12ihipStream_tbENKUlT_T0_E_clISt17integral_constantIbLb0EESZ_EEDaSU_SV_EUlSU_E_NS1_11comp_targetILNS1_3genE10ELNS1_11target_archE1201ELNS1_3gpuE5ELNS1_3repE0EEENS1_30default_config_static_selectorELNS0_4arch9wavefront6targetE0EEEvT1_: ; @_ZN7rocprim17ROCPRIM_400000_NS6detail17trampoline_kernelINS0_14default_configENS1_27scan_by_key_config_selectorIxxEEZZNS1_16scan_by_key_implILNS1_25lookback_scan_determinismE0ELb0ES3_N6thrust23THRUST_200600_302600_NS6detail15normal_iteratorINS9_10device_ptrIxEEEESE_SE_xNS9_10multipliesIxEENS9_8equal_toIxEExEE10hipError_tPvRmT2_T3_T4_T5_mT6_T7_P12ihipStream_tbENKUlT_T0_E_clISt17integral_constantIbLb0EESZ_EEDaSU_SV_EUlSU_E_NS1_11comp_targetILNS1_3genE10ELNS1_11target_archE1201ELNS1_3gpuE5ELNS1_3repE0EEENS1_30default_config_static_selectorELNS0_4arch9wavefront6targetE0EEEvT1_
; %bb.0:
	.section	.rodata,"a",@progbits
	.p2align	6, 0x0
	.amdhsa_kernel _ZN7rocprim17ROCPRIM_400000_NS6detail17trampoline_kernelINS0_14default_configENS1_27scan_by_key_config_selectorIxxEEZZNS1_16scan_by_key_implILNS1_25lookback_scan_determinismE0ELb0ES3_N6thrust23THRUST_200600_302600_NS6detail15normal_iteratorINS9_10device_ptrIxEEEESE_SE_xNS9_10multipliesIxEENS9_8equal_toIxEExEE10hipError_tPvRmT2_T3_T4_T5_mT6_T7_P12ihipStream_tbENKUlT_T0_E_clISt17integral_constantIbLb0EESZ_EEDaSU_SV_EUlSU_E_NS1_11comp_targetILNS1_3genE10ELNS1_11target_archE1201ELNS1_3gpuE5ELNS1_3repE0EEENS1_30default_config_static_selectorELNS0_4arch9wavefront6targetE0EEEvT1_
		.amdhsa_group_segment_fixed_size 0
		.amdhsa_private_segment_fixed_size 0
		.amdhsa_kernarg_size 136
		.amdhsa_user_sgpr_count 6
		.amdhsa_user_sgpr_private_segment_buffer 1
		.amdhsa_user_sgpr_dispatch_ptr 0
		.amdhsa_user_sgpr_queue_ptr 0
		.amdhsa_user_sgpr_kernarg_segment_ptr 1
		.amdhsa_user_sgpr_dispatch_id 0
		.amdhsa_user_sgpr_flat_scratch_init 0
		.amdhsa_user_sgpr_private_segment_size 0
		.amdhsa_wavefront_size32 1
		.amdhsa_uses_dynamic_stack 0
		.amdhsa_system_sgpr_private_segment_wavefront_offset 0
		.amdhsa_system_sgpr_workgroup_id_x 1
		.amdhsa_system_sgpr_workgroup_id_y 0
		.amdhsa_system_sgpr_workgroup_id_z 0
		.amdhsa_system_sgpr_workgroup_info 0
		.amdhsa_system_vgpr_workitem_id 0
		.amdhsa_next_free_vgpr 1
		.amdhsa_next_free_sgpr 1
		.amdhsa_reserve_vcc 0
		.amdhsa_reserve_flat_scratch 0
		.amdhsa_float_round_mode_32 0
		.amdhsa_float_round_mode_16_64 0
		.amdhsa_float_denorm_mode_32 3
		.amdhsa_float_denorm_mode_16_64 3
		.amdhsa_dx10_clamp 1
		.amdhsa_ieee_mode 1
		.amdhsa_fp16_overflow 0
		.amdhsa_workgroup_processor_mode 1
		.amdhsa_memory_ordered 1
		.amdhsa_forward_progress 1
		.amdhsa_shared_vgpr_count 0
		.amdhsa_exception_fp_ieee_invalid_op 0
		.amdhsa_exception_fp_denorm_src 0
		.amdhsa_exception_fp_ieee_div_zero 0
		.amdhsa_exception_fp_ieee_overflow 0
		.amdhsa_exception_fp_ieee_underflow 0
		.amdhsa_exception_fp_ieee_inexact 0
		.amdhsa_exception_int_div_zero 0
	.end_amdhsa_kernel
	.section	.text._ZN7rocprim17ROCPRIM_400000_NS6detail17trampoline_kernelINS0_14default_configENS1_27scan_by_key_config_selectorIxxEEZZNS1_16scan_by_key_implILNS1_25lookback_scan_determinismE0ELb0ES3_N6thrust23THRUST_200600_302600_NS6detail15normal_iteratorINS9_10device_ptrIxEEEESE_SE_xNS9_10multipliesIxEENS9_8equal_toIxEExEE10hipError_tPvRmT2_T3_T4_T5_mT6_T7_P12ihipStream_tbENKUlT_T0_E_clISt17integral_constantIbLb0EESZ_EEDaSU_SV_EUlSU_E_NS1_11comp_targetILNS1_3genE10ELNS1_11target_archE1201ELNS1_3gpuE5ELNS1_3repE0EEENS1_30default_config_static_selectorELNS0_4arch9wavefront6targetE0EEEvT1_,"axG",@progbits,_ZN7rocprim17ROCPRIM_400000_NS6detail17trampoline_kernelINS0_14default_configENS1_27scan_by_key_config_selectorIxxEEZZNS1_16scan_by_key_implILNS1_25lookback_scan_determinismE0ELb0ES3_N6thrust23THRUST_200600_302600_NS6detail15normal_iteratorINS9_10device_ptrIxEEEESE_SE_xNS9_10multipliesIxEENS9_8equal_toIxEExEE10hipError_tPvRmT2_T3_T4_T5_mT6_T7_P12ihipStream_tbENKUlT_T0_E_clISt17integral_constantIbLb0EESZ_EEDaSU_SV_EUlSU_E_NS1_11comp_targetILNS1_3genE10ELNS1_11target_archE1201ELNS1_3gpuE5ELNS1_3repE0EEENS1_30default_config_static_selectorELNS0_4arch9wavefront6targetE0EEEvT1_,comdat
.Lfunc_end48:
	.size	_ZN7rocprim17ROCPRIM_400000_NS6detail17trampoline_kernelINS0_14default_configENS1_27scan_by_key_config_selectorIxxEEZZNS1_16scan_by_key_implILNS1_25lookback_scan_determinismE0ELb0ES3_N6thrust23THRUST_200600_302600_NS6detail15normal_iteratorINS9_10device_ptrIxEEEESE_SE_xNS9_10multipliesIxEENS9_8equal_toIxEExEE10hipError_tPvRmT2_T3_T4_T5_mT6_T7_P12ihipStream_tbENKUlT_T0_E_clISt17integral_constantIbLb0EESZ_EEDaSU_SV_EUlSU_E_NS1_11comp_targetILNS1_3genE10ELNS1_11target_archE1201ELNS1_3gpuE5ELNS1_3repE0EEENS1_30default_config_static_selectorELNS0_4arch9wavefront6targetE0EEEvT1_, .Lfunc_end48-_ZN7rocprim17ROCPRIM_400000_NS6detail17trampoline_kernelINS0_14default_configENS1_27scan_by_key_config_selectorIxxEEZZNS1_16scan_by_key_implILNS1_25lookback_scan_determinismE0ELb0ES3_N6thrust23THRUST_200600_302600_NS6detail15normal_iteratorINS9_10device_ptrIxEEEESE_SE_xNS9_10multipliesIxEENS9_8equal_toIxEExEE10hipError_tPvRmT2_T3_T4_T5_mT6_T7_P12ihipStream_tbENKUlT_T0_E_clISt17integral_constantIbLb0EESZ_EEDaSU_SV_EUlSU_E_NS1_11comp_targetILNS1_3genE10ELNS1_11target_archE1201ELNS1_3gpuE5ELNS1_3repE0EEENS1_30default_config_static_selectorELNS0_4arch9wavefront6targetE0EEEvT1_
                                        ; -- End function
	.set _ZN7rocprim17ROCPRIM_400000_NS6detail17trampoline_kernelINS0_14default_configENS1_27scan_by_key_config_selectorIxxEEZZNS1_16scan_by_key_implILNS1_25lookback_scan_determinismE0ELb0ES3_N6thrust23THRUST_200600_302600_NS6detail15normal_iteratorINS9_10device_ptrIxEEEESE_SE_xNS9_10multipliesIxEENS9_8equal_toIxEExEE10hipError_tPvRmT2_T3_T4_T5_mT6_T7_P12ihipStream_tbENKUlT_T0_E_clISt17integral_constantIbLb0EESZ_EEDaSU_SV_EUlSU_E_NS1_11comp_targetILNS1_3genE10ELNS1_11target_archE1201ELNS1_3gpuE5ELNS1_3repE0EEENS1_30default_config_static_selectorELNS0_4arch9wavefront6targetE0EEEvT1_.num_vgpr, 0
	.set _ZN7rocprim17ROCPRIM_400000_NS6detail17trampoline_kernelINS0_14default_configENS1_27scan_by_key_config_selectorIxxEEZZNS1_16scan_by_key_implILNS1_25lookback_scan_determinismE0ELb0ES3_N6thrust23THRUST_200600_302600_NS6detail15normal_iteratorINS9_10device_ptrIxEEEESE_SE_xNS9_10multipliesIxEENS9_8equal_toIxEExEE10hipError_tPvRmT2_T3_T4_T5_mT6_T7_P12ihipStream_tbENKUlT_T0_E_clISt17integral_constantIbLb0EESZ_EEDaSU_SV_EUlSU_E_NS1_11comp_targetILNS1_3genE10ELNS1_11target_archE1201ELNS1_3gpuE5ELNS1_3repE0EEENS1_30default_config_static_selectorELNS0_4arch9wavefront6targetE0EEEvT1_.num_agpr, 0
	.set _ZN7rocprim17ROCPRIM_400000_NS6detail17trampoline_kernelINS0_14default_configENS1_27scan_by_key_config_selectorIxxEEZZNS1_16scan_by_key_implILNS1_25lookback_scan_determinismE0ELb0ES3_N6thrust23THRUST_200600_302600_NS6detail15normal_iteratorINS9_10device_ptrIxEEEESE_SE_xNS9_10multipliesIxEENS9_8equal_toIxEExEE10hipError_tPvRmT2_T3_T4_T5_mT6_T7_P12ihipStream_tbENKUlT_T0_E_clISt17integral_constantIbLb0EESZ_EEDaSU_SV_EUlSU_E_NS1_11comp_targetILNS1_3genE10ELNS1_11target_archE1201ELNS1_3gpuE5ELNS1_3repE0EEENS1_30default_config_static_selectorELNS0_4arch9wavefront6targetE0EEEvT1_.numbered_sgpr, 0
	.set _ZN7rocprim17ROCPRIM_400000_NS6detail17trampoline_kernelINS0_14default_configENS1_27scan_by_key_config_selectorIxxEEZZNS1_16scan_by_key_implILNS1_25lookback_scan_determinismE0ELb0ES3_N6thrust23THRUST_200600_302600_NS6detail15normal_iteratorINS9_10device_ptrIxEEEESE_SE_xNS9_10multipliesIxEENS9_8equal_toIxEExEE10hipError_tPvRmT2_T3_T4_T5_mT6_T7_P12ihipStream_tbENKUlT_T0_E_clISt17integral_constantIbLb0EESZ_EEDaSU_SV_EUlSU_E_NS1_11comp_targetILNS1_3genE10ELNS1_11target_archE1201ELNS1_3gpuE5ELNS1_3repE0EEENS1_30default_config_static_selectorELNS0_4arch9wavefront6targetE0EEEvT1_.num_named_barrier, 0
	.set _ZN7rocprim17ROCPRIM_400000_NS6detail17trampoline_kernelINS0_14default_configENS1_27scan_by_key_config_selectorIxxEEZZNS1_16scan_by_key_implILNS1_25lookback_scan_determinismE0ELb0ES3_N6thrust23THRUST_200600_302600_NS6detail15normal_iteratorINS9_10device_ptrIxEEEESE_SE_xNS9_10multipliesIxEENS9_8equal_toIxEExEE10hipError_tPvRmT2_T3_T4_T5_mT6_T7_P12ihipStream_tbENKUlT_T0_E_clISt17integral_constantIbLb0EESZ_EEDaSU_SV_EUlSU_E_NS1_11comp_targetILNS1_3genE10ELNS1_11target_archE1201ELNS1_3gpuE5ELNS1_3repE0EEENS1_30default_config_static_selectorELNS0_4arch9wavefront6targetE0EEEvT1_.private_seg_size, 0
	.set _ZN7rocprim17ROCPRIM_400000_NS6detail17trampoline_kernelINS0_14default_configENS1_27scan_by_key_config_selectorIxxEEZZNS1_16scan_by_key_implILNS1_25lookback_scan_determinismE0ELb0ES3_N6thrust23THRUST_200600_302600_NS6detail15normal_iteratorINS9_10device_ptrIxEEEESE_SE_xNS9_10multipliesIxEENS9_8equal_toIxEExEE10hipError_tPvRmT2_T3_T4_T5_mT6_T7_P12ihipStream_tbENKUlT_T0_E_clISt17integral_constantIbLb0EESZ_EEDaSU_SV_EUlSU_E_NS1_11comp_targetILNS1_3genE10ELNS1_11target_archE1201ELNS1_3gpuE5ELNS1_3repE0EEENS1_30default_config_static_selectorELNS0_4arch9wavefront6targetE0EEEvT1_.uses_vcc, 0
	.set _ZN7rocprim17ROCPRIM_400000_NS6detail17trampoline_kernelINS0_14default_configENS1_27scan_by_key_config_selectorIxxEEZZNS1_16scan_by_key_implILNS1_25lookback_scan_determinismE0ELb0ES3_N6thrust23THRUST_200600_302600_NS6detail15normal_iteratorINS9_10device_ptrIxEEEESE_SE_xNS9_10multipliesIxEENS9_8equal_toIxEExEE10hipError_tPvRmT2_T3_T4_T5_mT6_T7_P12ihipStream_tbENKUlT_T0_E_clISt17integral_constantIbLb0EESZ_EEDaSU_SV_EUlSU_E_NS1_11comp_targetILNS1_3genE10ELNS1_11target_archE1201ELNS1_3gpuE5ELNS1_3repE0EEENS1_30default_config_static_selectorELNS0_4arch9wavefront6targetE0EEEvT1_.uses_flat_scratch, 0
	.set _ZN7rocprim17ROCPRIM_400000_NS6detail17trampoline_kernelINS0_14default_configENS1_27scan_by_key_config_selectorIxxEEZZNS1_16scan_by_key_implILNS1_25lookback_scan_determinismE0ELb0ES3_N6thrust23THRUST_200600_302600_NS6detail15normal_iteratorINS9_10device_ptrIxEEEESE_SE_xNS9_10multipliesIxEENS9_8equal_toIxEExEE10hipError_tPvRmT2_T3_T4_T5_mT6_T7_P12ihipStream_tbENKUlT_T0_E_clISt17integral_constantIbLb0EESZ_EEDaSU_SV_EUlSU_E_NS1_11comp_targetILNS1_3genE10ELNS1_11target_archE1201ELNS1_3gpuE5ELNS1_3repE0EEENS1_30default_config_static_selectorELNS0_4arch9wavefront6targetE0EEEvT1_.has_dyn_sized_stack, 0
	.set _ZN7rocprim17ROCPRIM_400000_NS6detail17trampoline_kernelINS0_14default_configENS1_27scan_by_key_config_selectorIxxEEZZNS1_16scan_by_key_implILNS1_25lookback_scan_determinismE0ELb0ES3_N6thrust23THRUST_200600_302600_NS6detail15normal_iteratorINS9_10device_ptrIxEEEESE_SE_xNS9_10multipliesIxEENS9_8equal_toIxEExEE10hipError_tPvRmT2_T3_T4_T5_mT6_T7_P12ihipStream_tbENKUlT_T0_E_clISt17integral_constantIbLb0EESZ_EEDaSU_SV_EUlSU_E_NS1_11comp_targetILNS1_3genE10ELNS1_11target_archE1201ELNS1_3gpuE5ELNS1_3repE0EEENS1_30default_config_static_selectorELNS0_4arch9wavefront6targetE0EEEvT1_.has_recursion, 0
	.set _ZN7rocprim17ROCPRIM_400000_NS6detail17trampoline_kernelINS0_14default_configENS1_27scan_by_key_config_selectorIxxEEZZNS1_16scan_by_key_implILNS1_25lookback_scan_determinismE0ELb0ES3_N6thrust23THRUST_200600_302600_NS6detail15normal_iteratorINS9_10device_ptrIxEEEESE_SE_xNS9_10multipliesIxEENS9_8equal_toIxEExEE10hipError_tPvRmT2_T3_T4_T5_mT6_T7_P12ihipStream_tbENKUlT_T0_E_clISt17integral_constantIbLb0EESZ_EEDaSU_SV_EUlSU_E_NS1_11comp_targetILNS1_3genE10ELNS1_11target_archE1201ELNS1_3gpuE5ELNS1_3repE0EEENS1_30default_config_static_selectorELNS0_4arch9wavefront6targetE0EEEvT1_.has_indirect_call, 0
	.section	.AMDGPU.csdata,"",@progbits
; Kernel info:
; codeLenInByte = 0
; TotalNumSgprs: 0
; NumVgprs: 0
; ScratchSize: 0
; MemoryBound: 0
; FloatMode: 240
; IeeeMode: 1
; LDSByteSize: 0 bytes/workgroup (compile time only)
; SGPRBlocks: 0
; VGPRBlocks: 0
; NumSGPRsForWavesPerEU: 1
; NumVGPRsForWavesPerEU: 1
; Occupancy: 16
; WaveLimiterHint : 0
; COMPUTE_PGM_RSRC2:SCRATCH_EN: 0
; COMPUTE_PGM_RSRC2:USER_SGPR: 6
; COMPUTE_PGM_RSRC2:TRAP_HANDLER: 0
; COMPUTE_PGM_RSRC2:TGID_X_EN: 1
; COMPUTE_PGM_RSRC2:TGID_Y_EN: 0
; COMPUTE_PGM_RSRC2:TGID_Z_EN: 0
; COMPUTE_PGM_RSRC2:TIDIG_COMP_CNT: 0
	.section	.text._ZN7rocprim17ROCPRIM_400000_NS6detail17trampoline_kernelINS0_14default_configENS1_27scan_by_key_config_selectorIxxEEZZNS1_16scan_by_key_implILNS1_25lookback_scan_determinismE0ELb0ES3_N6thrust23THRUST_200600_302600_NS6detail15normal_iteratorINS9_10device_ptrIxEEEESE_SE_xNS9_10multipliesIxEENS9_8equal_toIxEExEE10hipError_tPvRmT2_T3_T4_T5_mT6_T7_P12ihipStream_tbENKUlT_T0_E_clISt17integral_constantIbLb0EESZ_EEDaSU_SV_EUlSU_E_NS1_11comp_targetILNS1_3genE5ELNS1_11target_archE942ELNS1_3gpuE9ELNS1_3repE0EEENS1_30default_config_static_selectorELNS0_4arch9wavefront6targetE0EEEvT1_,"axG",@progbits,_ZN7rocprim17ROCPRIM_400000_NS6detail17trampoline_kernelINS0_14default_configENS1_27scan_by_key_config_selectorIxxEEZZNS1_16scan_by_key_implILNS1_25lookback_scan_determinismE0ELb0ES3_N6thrust23THRUST_200600_302600_NS6detail15normal_iteratorINS9_10device_ptrIxEEEESE_SE_xNS9_10multipliesIxEENS9_8equal_toIxEExEE10hipError_tPvRmT2_T3_T4_T5_mT6_T7_P12ihipStream_tbENKUlT_T0_E_clISt17integral_constantIbLb0EESZ_EEDaSU_SV_EUlSU_E_NS1_11comp_targetILNS1_3genE5ELNS1_11target_archE942ELNS1_3gpuE9ELNS1_3repE0EEENS1_30default_config_static_selectorELNS0_4arch9wavefront6targetE0EEEvT1_,comdat
	.protected	_ZN7rocprim17ROCPRIM_400000_NS6detail17trampoline_kernelINS0_14default_configENS1_27scan_by_key_config_selectorIxxEEZZNS1_16scan_by_key_implILNS1_25lookback_scan_determinismE0ELb0ES3_N6thrust23THRUST_200600_302600_NS6detail15normal_iteratorINS9_10device_ptrIxEEEESE_SE_xNS9_10multipliesIxEENS9_8equal_toIxEExEE10hipError_tPvRmT2_T3_T4_T5_mT6_T7_P12ihipStream_tbENKUlT_T0_E_clISt17integral_constantIbLb0EESZ_EEDaSU_SV_EUlSU_E_NS1_11comp_targetILNS1_3genE5ELNS1_11target_archE942ELNS1_3gpuE9ELNS1_3repE0EEENS1_30default_config_static_selectorELNS0_4arch9wavefront6targetE0EEEvT1_ ; -- Begin function _ZN7rocprim17ROCPRIM_400000_NS6detail17trampoline_kernelINS0_14default_configENS1_27scan_by_key_config_selectorIxxEEZZNS1_16scan_by_key_implILNS1_25lookback_scan_determinismE0ELb0ES3_N6thrust23THRUST_200600_302600_NS6detail15normal_iteratorINS9_10device_ptrIxEEEESE_SE_xNS9_10multipliesIxEENS9_8equal_toIxEExEE10hipError_tPvRmT2_T3_T4_T5_mT6_T7_P12ihipStream_tbENKUlT_T0_E_clISt17integral_constantIbLb0EESZ_EEDaSU_SV_EUlSU_E_NS1_11comp_targetILNS1_3genE5ELNS1_11target_archE942ELNS1_3gpuE9ELNS1_3repE0EEENS1_30default_config_static_selectorELNS0_4arch9wavefront6targetE0EEEvT1_
	.globl	_ZN7rocprim17ROCPRIM_400000_NS6detail17trampoline_kernelINS0_14default_configENS1_27scan_by_key_config_selectorIxxEEZZNS1_16scan_by_key_implILNS1_25lookback_scan_determinismE0ELb0ES3_N6thrust23THRUST_200600_302600_NS6detail15normal_iteratorINS9_10device_ptrIxEEEESE_SE_xNS9_10multipliesIxEENS9_8equal_toIxEExEE10hipError_tPvRmT2_T3_T4_T5_mT6_T7_P12ihipStream_tbENKUlT_T0_E_clISt17integral_constantIbLb0EESZ_EEDaSU_SV_EUlSU_E_NS1_11comp_targetILNS1_3genE5ELNS1_11target_archE942ELNS1_3gpuE9ELNS1_3repE0EEENS1_30default_config_static_selectorELNS0_4arch9wavefront6targetE0EEEvT1_
	.p2align	8
	.type	_ZN7rocprim17ROCPRIM_400000_NS6detail17trampoline_kernelINS0_14default_configENS1_27scan_by_key_config_selectorIxxEEZZNS1_16scan_by_key_implILNS1_25lookback_scan_determinismE0ELb0ES3_N6thrust23THRUST_200600_302600_NS6detail15normal_iteratorINS9_10device_ptrIxEEEESE_SE_xNS9_10multipliesIxEENS9_8equal_toIxEExEE10hipError_tPvRmT2_T3_T4_T5_mT6_T7_P12ihipStream_tbENKUlT_T0_E_clISt17integral_constantIbLb0EESZ_EEDaSU_SV_EUlSU_E_NS1_11comp_targetILNS1_3genE5ELNS1_11target_archE942ELNS1_3gpuE9ELNS1_3repE0EEENS1_30default_config_static_selectorELNS0_4arch9wavefront6targetE0EEEvT1_,@function
_ZN7rocprim17ROCPRIM_400000_NS6detail17trampoline_kernelINS0_14default_configENS1_27scan_by_key_config_selectorIxxEEZZNS1_16scan_by_key_implILNS1_25lookback_scan_determinismE0ELb0ES3_N6thrust23THRUST_200600_302600_NS6detail15normal_iteratorINS9_10device_ptrIxEEEESE_SE_xNS9_10multipliesIxEENS9_8equal_toIxEExEE10hipError_tPvRmT2_T3_T4_T5_mT6_T7_P12ihipStream_tbENKUlT_T0_E_clISt17integral_constantIbLb0EESZ_EEDaSU_SV_EUlSU_E_NS1_11comp_targetILNS1_3genE5ELNS1_11target_archE942ELNS1_3gpuE9ELNS1_3repE0EEENS1_30default_config_static_selectorELNS0_4arch9wavefront6targetE0EEEvT1_: ; @_ZN7rocprim17ROCPRIM_400000_NS6detail17trampoline_kernelINS0_14default_configENS1_27scan_by_key_config_selectorIxxEEZZNS1_16scan_by_key_implILNS1_25lookback_scan_determinismE0ELb0ES3_N6thrust23THRUST_200600_302600_NS6detail15normal_iteratorINS9_10device_ptrIxEEEESE_SE_xNS9_10multipliesIxEENS9_8equal_toIxEExEE10hipError_tPvRmT2_T3_T4_T5_mT6_T7_P12ihipStream_tbENKUlT_T0_E_clISt17integral_constantIbLb0EESZ_EEDaSU_SV_EUlSU_E_NS1_11comp_targetILNS1_3genE5ELNS1_11target_archE942ELNS1_3gpuE9ELNS1_3repE0EEENS1_30default_config_static_selectorELNS0_4arch9wavefront6targetE0EEEvT1_
; %bb.0:
	.section	.rodata,"a",@progbits
	.p2align	6, 0x0
	.amdhsa_kernel _ZN7rocprim17ROCPRIM_400000_NS6detail17trampoline_kernelINS0_14default_configENS1_27scan_by_key_config_selectorIxxEEZZNS1_16scan_by_key_implILNS1_25lookback_scan_determinismE0ELb0ES3_N6thrust23THRUST_200600_302600_NS6detail15normal_iteratorINS9_10device_ptrIxEEEESE_SE_xNS9_10multipliesIxEENS9_8equal_toIxEExEE10hipError_tPvRmT2_T3_T4_T5_mT6_T7_P12ihipStream_tbENKUlT_T0_E_clISt17integral_constantIbLb0EESZ_EEDaSU_SV_EUlSU_E_NS1_11comp_targetILNS1_3genE5ELNS1_11target_archE942ELNS1_3gpuE9ELNS1_3repE0EEENS1_30default_config_static_selectorELNS0_4arch9wavefront6targetE0EEEvT1_
		.amdhsa_group_segment_fixed_size 0
		.amdhsa_private_segment_fixed_size 0
		.amdhsa_kernarg_size 136
		.amdhsa_user_sgpr_count 6
		.amdhsa_user_sgpr_private_segment_buffer 1
		.amdhsa_user_sgpr_dispatch_ptr 0
		.amdhsa_user_sgpr_queue_ptr 0
		.amdhsa_user_sgpr_kernarg_segment_ptr 1
		.amdhsa_user_sgpr_dispatch_id 0
		.amdhsa_user_sgpr_flat_scratch_init 0
		.amdhsa_user_sgpr_private_segment_size 0
		.amdhsa_wavefront_size32 1
		.amdhsa_uses_dynamic_stack 0
		.amdhsa_system_sgpr_private_segment_wavefront_offset 0
		.amdhsa_system_sgpr_workgroup_id_x 1
		.amdhsa_system_sgpr_workgroup_id_y 0
		.amdhsa_system_sgpr_workgroup_id_z 0
		.amdhsa_system_sgpr_workgroup_info 0
		.amdhsa_system_vgpr_workitem_id 0
		.amdhsa_next_free_vgpr 1
		.amdhsa_next_free_sgpr 1
		.amdhsa_reserve_vcc 0
		.amdhsa_reserve_flat_scratch 0
		.amdhsa_float_round_mode_32 0
		.amdhsa_float_round_mode_16_64 0
		.amdhsa_float_denorm_mode_32 3
		.amdhsa_float_denorm_mode_16_64 3
		.amdhsa_dx10_clamp 1
		.amdhsa_ieee_mode 1
		.amdhsa_fp16_overflow 0
		.amdhsa_workgroup_processor_mode 1
		.amdhsa_memory_ordered 1
		.amdhsa_forward_progress 1
		.amdhsa_shared_vgpr_count 0
		.amdhsa_exception_fp_ieee_invalid_op 0
		.amdhsa_exception_fp_denorm_src 0
		.amdhsa_exception_fp_ieee_div_zero 0
		.amdhsa_exception_fp_ieee_overflow 0
		.amdhsa_exception_fp_ieee_underflow 0
		.amdhsa_exception_fp_ieee_inexact 0
		.amdhsa_exception_int_div_zero 0
	.end_amdhsa_kernel
	.section	.text._ZN7rocprim17ROCPRIM_400000_NS6detail17trampoline_kernelINS0_14default_configENS1_27scan_by_key_config_selectorIxxEEZZNS1_16scan_by_key_implILNS1_25lookback_scan_determinismE0ELb0ES3_N6thrust23THRUST_200600_302600_NS6detail15normal_iteratorINS9_10device_ptrIxEEEESE_SE_xNS9_10multipliesIxEENS9_8equal_toIxEExEE10hipError_tPvRmT2_T3_T4_T5_mT6_T7_P12ihipStream_tbENKUlT_T0_E_clISt17integral_constantIbLb0EESZ_EEDaSU_SV_EUlSU_E_NS1_11comp_targetILNS1_3genE5ELNS1_11target_archE942ELNS1_3gpuE9ELNS1_3repE0EEENS1_30default_config_static_selectorELNS0_4arch9wavefront6targetE0EEEvT1_,"axG",@progbits,_ZN7rocprim17ROCPRIM_400000_NS6detail17trampoline_kernelINS0_14default_configENS1_27scan_by_key_config_selectorIxxEEZZNS1_16scan_by_key_implILNS1_25lookback_scan_determinismE0ELb0ES3_N6thrust23THRUST_200600_302600_NS6detail15normal_iteratorINS9_10device_ptrIxEEEESE_SE_xNS9_10multipliesIxEENS9_8equal_toIxEExEE10hipError_tPvRmT2_T3_T4_T5_mT6_T7_P12ihipStream_tbENKUlT_T0_E_clISt17integral_constantIbLb0EESZ_EEDaSU_SV_EUlSU_E_NS1_11comp_targetILNS1_3genE5ELNS1_11target_archE942ELNS1_3gpuE9ELNS1_3repE0EEENS1_30default_config_static_selectorELNS0_4arch9wavefront6targetE0EEEvT1_,comdat
.Lfunc_end49:
	.size	_ZN7rocprim17ROCPRIM_400000_NS6detail17trampoline_kernelINS0_14default_configENS1_27scan_by_key_config_selectorIxxEEZZNS1_16scan_by_key_implILNS1_25lookback_scan_determinismE0ELb0ES3_N6thrust23THRUST_200600_302600_NS6detail15normal_iteratorINS9_10device_ptrIxEEEESE_SE_xNS9_10multipliesIxEENS9_8equal_toIxEExEE10hipError_tPvRmT2_T3_T4_T5_mT6_T7_P12ihipStream_tbENKUlT_T0_E_clISt17integral_constantIbLb0EESZ_EEDaSU_SV_EUlSU_E_NS1_11comp_targetILNS1_3genE5ELNS1_11target_archE942ELNS1_3gpuE9ELNS1_3repE0EEENS1_30default_config_static_selectorELNS0_4arch9wavefront6targetE0EEEvT1_, .Lfunc_end49-_ZN7rocprim17ROCPRIM_400000_NS6detail17trampoline_kernelINS0_14default_configENS1_27scan_by_key_config_selectorIxxEEZZNS1_16scan_by_key_implILNS1_25lookback_scan_determinismE0ELb0ES3_N6thrust23THRUST_200600_302600_NS6detail15normal_iteratorINS9_10device_ptrIxEEEESE_SE_xNS9_10multipliesIxEENS9_8equal_toIxEExEE10hipError_tPvRmT2_T3_T4_T5_mT6_T7_P12ihipStream_tbENKUlT_T0_E_clISt17integral_constantIbLb0EESZ_EEDaSU_SV_EUlSU_E_NS1_11comp_targetILNS1_3genE5ELNS1_11target_archE942ELNS1_3gpuE9ELNS1_3repE0EEENS1_30default_config_static_selectorELNS0_4arch9wavefront6targetE0EEEvT1_
                                        ; -- End function
	.set _ZN7rocprim17ROCPRIM_400000_NS6detail17trampoline_kernelINS0_14default_configENS1_27scan_by_key_config_selectorIxxEEZZNS1_16scan_by_key_implILNS1_25lookback_scan_determinismE0ELb0ES3_N6thrust23THRUST_200600_302600_NS6detail15normal_iteratorINS9_10device_ptrIxEEEESE_SE_xNS9_10multipliesIxEENS9_8equal_toIxEExEE10hipError_tPvRmT2_T3_T4_T5_mT6_T7_P12ihipStream_tbENKUlT_T0_E_clISt17integral_constantIbLb0EESZ_EEDaSU_SV_EUlSU_E_NS1_11comp_targetILNS1_3genE5ELNS1_11target_archE942ELNS1_3gpuE9ELNS1_3repE0EEENS1_30default_config_static_selectorELNS0_4arch9wavefront6targetE0EEEvT1_.num_vgpr, 0
	.set _ZN7rocprim17ROCPRIM_400000_NS6detail17trampoline_kernelINS0_14default_configENS1_27scan_by_key_config_selectorIxxEEZZNS1_16scan_by_key_implILNS1_25lookback_scan_determinismE0ELb0ES3_N6thrust23THRUST_200600_302600_NS6detail15normal_iteratorINS9_10device_ptrIxEEEESE_SE_xNS9_10multipliesIxEENS9_8equal_toIxEExEE10hipError_tPvRmT2_T3_T4_T5_mT6_T7_P12ihipStream_tbENKUlT_T0_E_clISt17integral_constantIbLb0EESZ_EEDaSU_SV_EUlSU_E_NS1_11comp_targetILNS1_3genE5ELNS1_11target_archE942ELNS1_3gpuE9ELNS1_3repE0EEENS1_30default_config_static_selectorELNS0_4arch9wavefront6targetE0EEEvT1_.num_agpr, 0
	.set _ZN7rocprim17ROCPRIM_400000_NS6detail17trampoline_kernelINS0_14default_configENS1_27scan_by_key_config_selectorIxxEEZZNS1_16scan_by_key_implILNS1_25lookback_scan_determinismE0ELb0ES3_N6thrust23THRUST_200600_302600_NS6detail15normal_iteratorINS9_10device_ptrIxEEEESE_SE_xNS9_10multipliesIxEENS9_8equal_toIxEExEE10hipError_tPvRmT2_T3_T4_T5_mT6_T7_P12ihipStream_tbENKUlT_T0_E_clISt17integral_constantIbLb0EESZ_EEDaSU_SV_EUlSU_E_NS1_11comp_targetILNS1_3genE5ELNS1_11target_archE942ELNS1_3gpuE9ELNS1_3repE0EEENS1_30default_config_static_selectorELNS0_4arch9wavefront6targetE0EEEvT1_.numbered_sgpr, 0
	.set _ZN7rocprim17ROCPRIM_400000_NS6detail17trampoline_kernelINS0_14default_configENS1_27scan_by_key_config_selectorIxxEEZZNS1_16scan_by_key_implILNS1_25lookback_scan_determinismE0ELb0ES3_N6thrust23THRUST_200600_302600_NS6detail15normal_iteratorINS9_10device_ptrIxEEEESE_SE_xNS9_10multipliesIxEENS9_8equal_toIxEExEE10hipError_tPvRmT2_T3_T4_T5_mT6_T7_P12ihipStream_tbENKUlT_T0_E_clISt17integral_constantIbLb0EESZ_EEDaSU_SV_EUlSU_E_NS1_11comp_targetILNS1_3genE5ELNS1_11target_archE942ELNS1_3gpuE9ELNS1_3repE0EEENS1_30default_config_static_selectorELNS0_4arch9wavefront6targetE0EEEvT1_.num_named_barrier, 0
	.set _ZN7rocprim17ROCPRIM_400000_NS6detail17trampoline_kernelINS0_14default_configENS1_27scan_by_key_config_selectorIxxEEZZNS1_16scan_by_key_implILNS1_25lookback_scan_determinismE0ELb0ES3_N6thrust23THRUST_200600_302600_NS6detail15normal_iteratorINS9_10device_ptrIxEEEESE_SE_xNS9_10multipliesIxEENS9_8equal_toIxEExEE10hipError_tPvRmT2_T3_T4_T5_mT6_T7_P12ihipStream_tbENKUlT_T0_E_clISt17integral_constantIbLb0EESZ_EEDaSU_SV_EUlSU_E_NS1_11comp_targetILNS1_3genE5ELNS1_11target_archE942ELNS1_3gpuE9ELNS1_3repE0EEENS1_30default_config_static_selectorELNS0_4arch9wavefront6targetE0EEEvT1_.private_seg_size, 0
	.set _ZN7rocprim17ROCPRIM_400000_NS6detail17trampoline_kernelINS0_14default_configENS1_27scan_by_key_config_selectorIxxEEZZNS1_16scan_by_key_implILNS1_25lookback_scan_determinismE0ELb0ES3_N6thrust23THRUST_200600_302600_NS6detail15normal_iteratorINS9_10device_ptrIxEEEESE_SE_xNS9_10multipliesIxEENS9_8equal_toIxEExEE10hipError_tPvRmT2_T3_T4_T5_mT6_T7_P12ihipStream_tbENKUlT_T0_E_clISt17integral_constantIbLb0EESZ_EEDaSU_SV_EUlSU_E_NS1_11comp_targetILNS1_3genE5ELNS1_11target_archE942ELNS1_3gpuE9ELNS1_3repE0EEENS1_30default_config_static_selectorELNS0_4arch9wavefront6targetE0EEEvT1_.uses_vcc, 0
	.set _ZN7rocprim17ROCPRIM_400000_NS6detail17trampoline_kernelINS0_14default_configENS1_27scan_by_key_config_selectorIxxEEZZNS1_16scan_by_key_implILNS1_25lookback_scan_determinismE0ELb0ES3_N6thrust23THRUST_200600_302600_NS6detail15normal_iteratorINS9_10device_ptrIxEEEESE_SE_xNS9_10multipliesIxEENS9_8equal_toIxEExEE10hipError_tPvRmT2_T3_T4_T5_mT6_T7_P12ihipStream_tbENKUlT_T0_E_clISt17integral_constantIbLb0EESZ_EEDaSU_SV_EUlSU_E_NS1_11comp_targetILNS1_3genE5ELNS1_11target_archE942ELNS1_3gpuE9ELNS1_3repE0EEENS1_30default_config_static_selectorELNS0_4arch9wavefront6targetE0EEEvT1_.uses_flat_scratch, 0
	.set _ZN7rocprim17ROCPRIM_400000_NS6detail17trampoline_kernelINS0_14default_configENS1_27scan_by_key_config_selectorIxxEEZZNS1_16scan_by_key_implILNS1_25lookback_scan_determinismE0ELb0ES3_N6thrust23THRUST_200600_302600_NS6detail15normal_iteratorINS9_10device_ptrIxEEEESE_SE_xNS9_10multipliesIxEENS9_8equal_toIxEExEE10hipError_tPvRmT2_T3_T4_T5_mT6_T7_P12ihipStream_tbENKUlT_T0_E_clISt17integral_constantIbLb0EESZ_EEDaSU_SV_EUlSU_E_NS1_11comp_targetILNS1_3genE5ELNS1_11target_archE942ELNS1_3gpuE9ELNS1_3repE0EEENS1_30default_config_static_selectorELNS0_4arch9wavefront6targetE0EEEvT1_.has_dyn_sized_stack, 0
	.set _ZN7rocprim17ROCPRIM_400000_NS6detail17trampoline_kernelINS0_14default_configENS1_27scan_by_key_config_selectorIxxEEZZNS1_16scan_by_key_implILNS1_25lookback_scan_determinismE0ELb0ES3_N6thrust23THRUST_200600_302600_NS6detail15normal_iteratorINS9_10device_ptrIxEEEESE_SE_xNS9_10multipliesIxEENS9_8equal_toIxEExEE10hipError_tPvRmT2_T3_T4_T5_mT6_T7_P12ihipStream_tbENKUlT_T0_E_clISt17integral_constantIbLb0EESZ_EEDaSU_SV_EUlSU_E_NS1_11comp_targetILNS1_3genE5ELNS1_11target_archE942ELNS1_3gpuE9ELNS1_3repE0EEENS1_30default_config_static_selectorELNS0_4arch9wavefront6targetE0EEEvT1_.has_recursion, 0
	.set _ZN7rocprim17ROCPRIM_400000_NS6detail17trampoline_kernelINS0_14default_configENS1_27scan_by_key_config_selectorIxxEEZZNS1_16scan_by_key_implILNS1_25lookback_scan_determinismE0ELb0ES3_N6thrust23THRUST_200600_302600_NS6detail15normal_iteratorINS9_10device_ptrIxEEEESE_SE_xNS9_10multipliesIxEENS9_8equal_toIxEExEE10hipError_tPvRmT2_T3_T4_T5_mT6_T7_P12ihipStream_tbENKUlT_T0_E_clISt17integral_constantIbLb0EESZ_EEDaSU_SV_EUlSU_E_NS1_11comp_targetILNS1_3genE5ELNS1_11target_archE942ELNS1_3gpuE9ELNS1_3repE0EEENS1_30default_config_static_selectorELNS0_4arch9wavefront6targetE0EEEvT1_.has_indirect_call, 0
	.section	.AMDGPU.csdata,"",@progbits
; Kernel info:
; codeLenInByte = 0
; TotalNumSgprs: 0
; NumVgprs: 0
; ScratchSize: 0
; MemoryBound: 0
; FloatMode: 240
; IeeeMode: 1
; LDSByteSize: 0 bytes/workgroup (compile time only)
; SGPRBlocks: 0
; VGPRBlocks: 0
; NumSGPRsForWavesPerEU: 1
; NumVGPRsForWavesPerEU: 1
; Occupancy: 16
; WaveLimiterHint : 0
; COMPUTE_PGM_RSRC2:SCRATCH_EN: 0
; COMPUTE_PGM_RSRC2:USER_SGPR: 6
; COMPUTE_PGM_RSRC2:TRAP_HANDLER: 0
; COMPUTE_PGM_RSRC2:TGID_X_EN: 1
; COMPUTE_PGM_RSRC2:TGID_Y_EN: 0
; COMPUTE_PGM_RSRC2:TGID_Z_EN: 0
; COMPUTE_PGM_RSRC2:TIDIG_COMP_CNT: 0
	.section	.text._ZN7rocprim17ROCPRIM_400000_NS6detail17trampoline_kernelINS0_14default_configENS1_27scan_by_key_config_selectorIxxEEZZNS1_16scan_by_key_implILNS1_25lookback_scan_determinismE0ELb0ES3_N6thrust23THRUST_200600_302600_NS6detail15normal_iteratorINS9_10device_ptrIxEEEESE_SE_xNS9_10multipliesIxEENS9_8equal_toIxEExEE10hipError_tPvRmT2_T3_T4_T5_mT6_T7_P12ihipStream_tbENKUlT_T0_E_clISt17integral_constantIbLb0EESZ_EEDaSU_SV_EUlSU_E_NS1_11comp_targetILNS1_3genE4ELNS1_11target_archE910ELNS1_3gpuE8ELNS1_3repE0EEENS1_30default_config_static_selectorELNS0_4arch9wavefront6targetE0EEEvT1_,"axG",@progbits,_ZN7rocprim17ROCPRIM_400000_NS6detail17trampoline_kernelINS0_14default_configENS1_27scan_by_key_config_selectorIxxEEZZNS1_16scan_by_key_implILNS1_25lookback_scan_determinismE0ELb0ES3_N6thrust23THRUST_200600_302600_NS6detail15normal_iteratorINS9_10device_ptrIxEEEESE_SE_xNS9_10multipliesIxEENS9_8equal_toIxEExEE10hipError_tPvRmT2_T3_T4_T5_mT6_T7_P12ihipStream_tbENKUlT_T0_E_clISt17integral_constantIbLb0EESZ_EEDaSU_SV_EUlSU_E_NS1_11comp_targetILNS1_3genE4ELNS1_11target_archE910ELNS1_3gpuE8ELNS1_3repE0EEENS1_30default_config_static_selectorELNS0_4arch9wavefront6targetE0EEEvT1_,comdat
	.protected	_ZN7rocprim17ROCPRIM_400000_NS6detail17trampoline_kernelINS0_14default_configENS1_27scan_by_key_config_selectorIxxEEZZNS1_16scan_by_key_implILNS1_25lookback_scan_determinismE0ELb0ES3_N6thrust23THRUST_200600_302600_NS6detail15normal_iteratorINS9_10device_ptrIxEEEESE_SE_xNS9_10multipliesIxEENS9_8equal_toIxEExEE10hipError_tPvRmT2_T3_T4_T5_mT6_T7_P12ihipStream_tbENKUlT_T0_E_clISt17integral_constantIbLb0EESZ_EEDaSU_SV_EUlSU_E_NS1_11comp_targetILNS1_3genE4ELNS1_11target_archE910ELNS1_3gpuE8ELNS1_3repE0EEENS1_30default_config_static_selectorELNS0_4arch9wavefront6targetE0EEEvT1_ ; -- Begin function _ZN7rocprim17ROCPRIM_400000_NS6detail17trampoline_kernelINS0_14default_configENS1_27scan_by_key_config_selectorIxxEEZZNS1_16scan_by_key_implILNS1_25lookback_scan_determinismE0ELb0ES3_N6thrust23THRUST_200600_302600_NS6detail15normal_iteratorINS9_10device_ptrIxEEEESE_SE_xNS9_10multipliesIxEENS9_8equal_toIxEExEE10hipError_tPvRmT2_T3_T4_T5_mT6_T7_P12ihipStream_tbENKUlT_T0_E_clISt17integral_constantIbLb0EESZ_EEDaSU_SV_EUlSU_E_NS1_11comp_targetILNS1_3genE4ELNS1_11target_archE910ELNS1_3gpuE8ELNS1_3repE0EEENS1_30default_config_static_selectorELNS0_4arch9wavefront6targetE0EEEvT1_
	.globl	_ZN7rocprim17ROCPRIM_400000_NS6detail17trampoline_kernelINS0_14default_configENS1_27scan_by_key_config_selectorIxxEEZZNS1_16scan_by_key_implILNS1_25lookback_scan_determinismE0ELb0ES3_N6thrust23THRUST_200600_302600_NS6detail15normal_iteratorINS9_10device_ptrIxEEEESE_SE_xNS9_10multipliesIxEENS9_8equal_toIxEExEE10hipError_tPvRmT2_T3_T4_T5_mT6_T7_P12ihipStream_tbENKUlT_T0_E_clISt17integral_constantIbLb0EESZ_EEDaSU_SV_EUlSU_E_NS1_11comp_targetILNS1_3genE4ELNS1_11target_archE910ELNS1_3gpuE8ELNS1_3repE0EEENS1_30default_config_static_selectorELNS0_4arch9wavefront6targetE0EEEvT1_
	.p2align	8
	.type	_ZN7rocprim17ROCPRIM_400000_NS6detail17trampoline_kernelINS0_14default_configENS1_27scan_by_key_config_selectorIxxEEZZNS1_16scan_by_key_implILNS1_25lookback_scan_determinismE0ELb0ES3_N6thrust23THRUST_200600_302600_NS6detail15normal_iteratorINS9_10device_ptrIxEEEESE_SE_xNS9_10multipliesIxEENS9_8equal_toIxEExEE10hipError_tPvRmT2_T3_T4_T5_mT6_T7_P12ihipStream_tbENKUlT_T0_E_clISt17integral_constantIbLb0EESZ_EEDaSU_SV_EUlSU_E_NS1_11comp_targetILNS1_3genE4ELNS1_11target_archE910ELNS1_3gpuE8ELNS1_3repE0EEENS1_30default_config_static_selectorELNS0_4arch9wavefront6targetE0EEEvT1_,@function
_ZN7rocprim17ROCPRIM_400000_NS6detail17trampoline_kernelINS0_14default_configENS1_27scan_by_key_config_selectorIxxEEZZNS1_16scan_by_key_implILNS1_25lookback_scan_determinismE0ELb0ES3_N6thrust23THRUST_200600_302600_NS6detail15normal_iteratorINS9_10device_ptrIxEEEESE_SE_xNS9_10multipliesIxEENS9_8equal_toIxEExEE10hipError_tPvRmT2_T3_T4_T5_mT6_T7_P12ihipStream_tbENKUlT_T0_E_clISt17integral_constantIbLb0EESZ_EEDaSU_SV_EUlSU_E_NS1_11comp_targetILNS1_3genE4ELNS1_11target_archE910ELNS1_3gpuE8ELNS1_3repE0EEENS1_30default_config_static_selectorELNS0_4arch9wavefront6targetE0EEEvT1_: ; @_ZN7rocprim17ROCPRIM_400000_NS6detail17trampoline_kernelINS0_14default_configENS1_27scan_by_key_config_selectorIxxEEZZNS1_16scan_by_key_implILNS1_25lookback_scan_determinismE0ELb0ES3_N6thrust23THRUST_200600_302600_NS6detail15normal_iteratorINS9_10device_ptrIxEEEESE_SE_xNS9_10multipliesIxEENS9_8equal_toIxEExEE10hipError_tPvRmT2_T3_T4_T5_mT6_T7_P12ihipStream_tbENKUlT_T0_E_clISt17integral_constantIbLb0EESZ_EEDaSU_SV_EUlSU_E_NS1_11comp_targetILNS1_3genE4ELNS1_11target_archE910ELNS1_3gpuE8ELNS1_3repE0EEENS1_30default_config_static_selectorELNS0_4arch9wavefront6targetE0EEEvT1_
; %bb.0:
	.section	.rodata,"a",@progbits
	.p2align	6, 0x0
	.amdhsa_kernel _ZN7rocprim17ROCPRIM_400000_NS6detail17trampoline_kernelINS0_14default_configENS1_27scan_by_key_config_selectorIxxEEZZNS1_16scan_by_key_implILNS1_25lookback_scan_determinismE0ELb0ES3_N6thrust23THRUST_200600_302600_NS6detail15normal_iteratorINS9_10device_ptrIxEEEESE_SE_xNS9_10multipliesIxEENS9_8equal_toIxEExEE10hipError_tPvRmT2_T3_T4_T5_mT6_T7_P12ihipStream_tbENKUlT_T0_E_clISt17integral_constantIbLb0EESZ_EEDaSU_SV_EUlSU_E_NS1_11comp_targetILNS1_3genE4ELNS1_11target_archE910ELNS1_3gpuE8ELNS1_3repE0EEENS1_30default_config_static_selectorELNS0_4arch9wavefront6targetE0EEEvT1_
		.amdhsa_group_segment_fixed_size 0
		.amdhsa_private_segment_fixed_size 0
		.amdhsa_kernarg_size 136
		.amdhsa_user_sgpr_count 6
		.amdhsa_user_sgpr_private_segment_buffer 1
		.amdhsa_user_sgpr_dispatch_ptr 0
		.amdhsa_user_sgpr_queue_ptr 0
		.amdhsa_user_sgpr_kernarg_segment_ptr 1
		.amdhsa_user_sgpr_dispatch_id 0
		.amdhsa_user_sgpr_flat_scratch_init 0
		.amdhsa_user_sgpr_private_segment_size 0
		.amdhsa_wavefront_size32 1
		.amdhsa_uses_dynamic_stack 0
		.amdhsa_system_sgpr_private_segment_wavefront_offset 0
		.amdhsa_system_sgpr_workgroup_id_x 1
		.amdhsa_system_sgpr_workgroup_id_y 0
		.amdhsa_system_sgpr_workgroup_id_z 0
		.amdhsa_system_sgpr_workgroup_info 0
		.amdhsa_system_vgpr_workitem_id 0
		.amdhsa_next_free_vgpr 1
		.amdhsa_next_free_sgpr 1
		.amdhsa_reserve_vcc 0
		.amdhsa_reserve_flat_scratch 0
		.amdhsa_float_round_mode_32 0
		.amdhsa_float_round_mode_16_64 0
		.amdhsa_float_denorm_mode_32 3
		.amdhsa_float_denorm_mode_16_64 3
		.amdhsa_dx10_clamp 1
		.amdhsa_ieee_mode 1
		.amdhsa_fp16_overflow 0
		.amdhsa_workgroup_processor_mode 1
		.amdhsa_memory_ordered 1
		.amdhsa_forward_progress 1
		.amdhsa_shared_vgpr_count 0
		.amdhsa_exception_fp_ieee_invalid_op 0
		.amdhsa_exception_fp_denorm_src 0
		.amdhsa_exception_fp_ieee_div_zero 0
		.amdhsa_exception_fp_ieee_overflow 0
		.amdhsa_exception_fp_ieee_underflow 0
		.amdhsa_exception_fp_ieee_inexact 0
		.amdhsa_exception_int_div_zero 0
	.end_amdhsa_kernel
	.section	.text._ZN7rocprim17ROCPRIM_400000_NS6detail17trampoline_kernelINS0_14default_configENS1_27scan_by_key_config_selectorIxxEEZZNS1_16scan_by_key_implILNS1_25lookback_scan_determinismE0ELb0ES3_N6thrust23THRUST_200600_302600_NS6detail15normal_iteratorINS9_10device_ptrIxEEEESE_SE_xNS9_10multipliesIxEENS9_8equal_toIxEExEE10hipError_tPvRmT2_T3_T4_T5_mT6_T7_P12ihipStream_tbENKUlT_T0_E_clISt17integral_constantIbLb0EESZ_EEDaSU_SV_EUlSU_E_NS1_11comp_targetILNS1_3genE4ELNS1_11target_archE910ELNS1_3gpuE8ELNS1_3repE0EEENS1_30default_config_static_selectorELNS0_4arch9wavefront6targetE0EEEvT1_,"axG",@progbits,_ZN7rocprim17ROCPRIM_400000_NS6detail17trampoline_kernelINS0_14default_configENS1_27scan_by_key_config_selectorIxxEEZZNS1_16scan_by_key_implILNS1_25lookback_scan_determinismE0ELb0ES3_N6thrust23THRUST_200600_302600_NS6detail15normal_iteratorINS9_10device_ptrIxEEEESE_SE_xNS9_10multipliesIxEENS9_8equal_toIxEExEE10hipError_tPvRmT2_T3_T4_T5_mT6_T7_P12ihipStream_tbENKUlT_T0_E_clISt17integral_constantIbLb0EESZ_EEDaSU_SV_EUlSU_E_NS1_11comp_targetILNS1_3genE4ELNS1_11target_archE910ELNS1_3gpuE8ELNS1_3repE0EEENS1_30default_config_static_selectorELNS0_4arch9wavefront6targetE0EEEvT1_,comdat
.Lfunc_end50:
	.size	_ZN7rocprim17ROCPRIM_400000_NS6detail17trampoline_kernelINS0_14default_configENS1_27scan_by_key_config_selectorIxxEEZZNS1_16scan_by_key_implILNS1_25lookback_scan_determinismE0ELb0ES3_N6thrust23THRUST_200600_302600_NS6detail15normal_iteratorINS9_10device_ptrIxEEEESE_SE_xNS9_10multipliesIxEENS9_8equal_toIxEExEE10hipError_tPvRmT2_T3_T4_T5_mT6_T7_P12ihipStream_tbENKUlT_T0_E_clISt17integral_constantIbLb0EESZ_EEDaSU_SV_EUlSU_E_NS1_11comp_targetILNS1_3genE4ELNS1_11target_archE910ELNS1_3gpuE8ELNS1_3repE0EEENS1_30default_config_static_selectorELNS0_4arch9wavefront6targetE0EEEvT1_, .Lfunc_end50-_ZN7rocprim17ROCPRIM_400000_NS6detail17trampoline_kernelINS0_14default_configENS1_27scan_by_key_config_selectorIxxEEZZNS1_16scan_by_key_implILNS1_25lookback_scan_determinismE0ELb0ES3_N6thrust23THRUST_200600_302600_NS6detail15normal_iteratorINS9_10device_ptrIxEEEESE_SE_xNS9_10multipliesIxEENS9_8equal_toIxEExEE10hipError_tPvRmT2_T3_T4_T5_mT6_T7_P12ihipStream_tbENKUlT_T0_E_clISt17integral_constantIbLb0EESZ_EEDaSU_SV_EUlSU_E_NS1_11comp_targetILNS1_3genE4ELNS1_11target_archE910ELNS1_3gpuE8ELNS1_3repE0EEENS1_30default_config_static_selectorELNS0_4arch9wavefront6targetE0EEEvT1_
                                        ; -- End function
	.set _ZN7rocprim17ROCPRIM_400000_NS6detail17trampoline_kernelINS0_14default_configENS1_27scan_by_key_config_selectorIxxEEZZNS1_16scan_by_key_implILNS1_25lookback_scan_determinismE0ELb0ES3_N6thrust23THRUST_200600_302600_NS6detail15normal_iteratorINS9_10device_ptrIxEEEESE_SE_xNS9_10multipliesIxEENS9_8equal_toIxEExEE10hipError_tPvRmT2_T3_T4_T5_mT6_T7_P12ihipStream_tbENKUlT_T0_E_clISt17integral_constantIbLb0EESZ_EEDaSU_SV_EUlSU_E_NS1_11comp_targetILNS1_3genE4ELNS1_11target_archE910ELNS1_3gpuE8ELNS1_3repE0EEENS1_30default_config_static_selectorELNS0_4arch9wavefront6targetE0EEEvT1_.num_vgpr, 0
	.set _ZN7rocprim17ROCPRIM_400000_NS6detail17trampoline_kernelINS0_14default_configENS1_27scan_by_key_config_selectorIxxEEZZNS1_16scan_by_key_implILNS1_25lookback_scan_determinismE0ELb0ES3_N6thrust23THRUST_200600_302600_NS6detail15normal_iteratorINS9_10device_ptrIxEEEESE_SE_xNS9_10multipliesIxEENS9_8equal_toIxEExEE10hipError_tPvRmT2_T3_T4_T5_mT6_T7_P12ihipStream_tbENKUlT_T0_E_clISt17integral_constantIbLb0EESZ_EEDaSU_SV_EUlSU_E_NS1_11comp_targetILNS1_3genE4ELNS1_11target_archE910ELNS1_3gpuE8ELNS1_3repE0EEENS1_30default_config_static_selectorELNS0_4arch9wavefront6targetE0EEEvT1_.num_agpr, 0
	.set _ZN7rocprim17ROCPRIM_400000_NS6detail17trampoline_kernelINS0_14default_configENS1_27scan_by_key_config_selectorIxxEEZZNS1_16scan_by_key_implILNS1_25lookback_scan_determinismE0ELb0ES3_N6thrust23THRUST_200600_302600_NS6detail15normal_iteratorINS9_10device_ptrIxEEEESE_SE_xNS9_10multipliesIxEENS9_8equal_toIxEExEE10hipError_tPvRmT2_T3_T4_T5_mT6_T7_P12ihipStream_tbENKUlT_T0_E_clISt17integral_constantIbLb0EESZ_EEDaSU_SV_EUlSU_E_NS1_11comp_targetILNS1_3genE4ELNS1_11target_archE910ELNS1_3gpuE8ELNS1_3repE0EEENS1_30default_config_static_selectorELNS0_4arch9wavefront6targetE0EEEvT1_.numbered_sgpr, 0
	.set _ZN7rocprim17ROCPRIM_400000_NS6detail17trampoline_kernelINS0_14default_configENS1_27scan_by_key_config_selectorIxxEEZZNS1_16scan_by_key_implILNS1_25lookback_scan_determinismE0ELb0ES3_N6thrust23THRUST_200600_302600_NS6detail15normal_iteratorINS9_10device_ptrIxEEEESE_SE_xNS9_10multipliesIxEENS9_8equal_toIxEExEE10hipError_tPvRmT2_T3_T4_T5_mT6_T7_P12ihipStream_tbENKUlT_T0_E_clISt17integral_constantIbLb0EESZ_EEDaSU_SV_EUlSU_E_NS1_11comp_targetILNS1_3genE4ELNS1_11target_archE910ELNS1_3gpuE8ELNS1_3repE0EEENS1_30default_config_static_selectorELNS0_4arch9wavefront6targetE0EEEvT1_.num_named_barrier, 0
	.set _ZN7rocprim17ROCPRIM_400000_NS6detail17trampoline_kernelINS0_14default_configENS1_27scan_by_key_config_selectorIxxEEZZNS1_16scan_by_key_implILNS1_25lookback_scan_determinismE0ELb0ES3_N6thrust23THRUST_200600_302600_NS6detail15normal_iteratorINS9_10device_ptrIxEEEESE_SE_xNS9_10multipliesIxEENS9_8equal_toIxEExEE10hipError_tPvRmT2_T3_T4_T5_mT6_T7_P12ihipStream_tbENKUlT_T0_E_clISt17integral_constantIbLb0EESZ_EEDaSU_SV_EUlSU_E_NS1_11comp_targetILNS1_3genE4ELNS1_11target_archE910ELNS1_3gpuE8ELNS1_3repE0EEENS1_30default_config_static_selectorELNS0_4arch9wavefront6targetE0EEEvT1_.private_seg_size, 0
	.set _ZN7rocprim17ROCPRIM_400000_NS6detail17trampoline_kernelINS0_14default_configENS1_27scan_by_key_config_selectorIxxEEZZNS1_16scan_by_key_implILNS1_25lookback_scan_determinismE0ELb0ES3_N6thrust23THRUST_200600_302600_NS6detail15normal_iteratorINS9_10device_ptrIxEEEESE_SE_xNS9_10multipliesIxEENS9_8equal_toIxEExEE10hipError_tPvRmT2_T3_T4_T5_mT6_T7_P12ihipStream_tbENKUlT_T0_E_clISt17integral_constantIbLb0EESZ_EEDaSU_SV_EUlSU_E_NS1_11comp_targetILNS1_3genE4ELNS1_11target_archE910ELNS1_3gpuE8ELNS1_3repE0EEENS1_30default_config_static_selectorELNS0_4arch9wavefront6targetE0EEEvT1_.uses_vcc, 0
	.set _ZN7rocprim17ROCPRIM_400000_NS6detail17trampoline_kernelINS0_14default_configENS1_27scan_by_key_config_selectorIxxEEZZNS1_16scan_by_key_implILNS1_25lookback_scan_determinismE0ELb0ES3_N6thrust23THRUST_200600_302600_NS6detail15normal_iteratorINS9_10device_ptrIxEEEESE_SE_xNS9_10multipliesIxEENS9_8equal_toIxEExEE10hipError_tPvRmT2_T3_T4_T5_mT6_T7_P12ihipStream_tbENKUlT_T0_E_clISt17integral_constantIbLb0EESZ_EEDaSU_SV_EUlSU_E_NS1_11comp_targetILNS1_3genE4ELNS1_11target_archE910ELNS1_3gpuE8ELNS1_3repE0EEENS1_30default_config_static_selectorELNS0_4arch9wavefront6targetE0EEEvT1_.uses_flat_scratch, 0
	.set _ZN7rocprim17ROCPRIM_400000_NS6detail17trampoline_kernelINS0_14default_configENS1_27scan_by_key_config_selectorIxxEEZZNS1_16scan_by_key_implILNS1_25lookback_scan_determinismE0ELb0ES3_N6thrust23THRUST_200600_302600_NS6detail15normal_iteratorINS9_10device_ptrIxEEEESE_SE_xNS9_10multipliesIxEENS9_8equal_toIxEExEE10hipError_tPvRmT2_T3_T4_T5_mT6_T7_P12ihipStream_tbENKUlT_T0_E_clISt17integral_constantIbLb0EESZ_EEDaSU_SV_EUlSU_E_NS1_11comp_targetILNS1_3genE4ELNS1_11target_archE910ELNS1_3gpuE8ELNS1_3repE0EEENS1_30default_config_static_selectorELNS0_4arch9wavefront6targetE0EEEvT1_.has_dyn_sized_stack, 0
	.set _ZN7rocprim17ROCPRIM_400000_NS6detail17trampoline_kernelINS0_14default_configENS1_27scan_by_key_config_selectorIxxEEZZNS1_16scan_by_key_implILNS1_25lookback_scan_determinismE0ELb0ES3_N6thrust23THRUST_200600_302600_NS6detail15normal_iteratorINS9_10device_ptrIxEEEESE_SE_xNS9_10multipliesIxEENS9_8equal_toIxEExEE10hipError_tPvRmT2_T3_T4_T5_mT6_T7_P12ihipStream_tbENKUlT_T0_E_clISt17integral_constantIbLb0EESZ_EEDaSU_SV_EUlSU_E_NS1_11comp_targetILNS1_3genE4ELNS1_11target_archE910ELNS1_3gpuE8ELNS1_3repE0EEENS1_30default_config_static_selectorELNS0_4arch9wavefront6targetE0EEEvT1_.has_recursion, 0
	.set _ZN7rocprim17ROCPRIM_400000_NS6detail17trampoline_kernelINS0_14default_configENS1_27scan_by_key_config_selectorIxxEEZZNS1_16scan_by_key_implILNS1_25lookback_scan_determinismE0ELb0ES3_N6thrust23THRUST_200600_302600_NS6detail15normal_iteratorINS9_10device_ptrIxEEEESE_SE_xNS9_10multipliesIxEENS9_8equal_toIxEExEE10hipError_tPvRmT2_T3_T4_T5_mT6_T7_P12ihipStream_tbENKUlT_T0_E_clISt17integral_constantIbLb0EESZ_EEDaSU_SV_EUlSU_E_NS1_11comp_targetILNS1_3genE4ELNS1_11target_archE910ELNS1_3gpuE8ELNS1_3repE0EEENS1_30default_config_static_selectorELNS0_4arch9wavefront6targetE0EEEvT1_.has_indirect_call, 0
	.section	.AMDGPU.csdata,"",@progbits
; Kernel info:
; codeLenInByte = 0
; TotalNumSgprs: 0
; NumVgprs: 0
; ScratchSize: 0
; MemoryBound: 0
; FloatMode: 240
; IeeeMode: 1
; LDSByteSize: 0 bytes/workgroup (compile time only)
; SGPRBlocks: 0
; VGPRBlocks: 0
; NumSGPRsForWavesPerEU: 1
; NumVGPRsForWavesPerEU: 1
; Occupancy: 16
; WaveLimiterHint : 0
; COMPUTE_PGM_RSRC2:SCRATCH_EN: 0
; COMPUTE_PGM_RSRC2:USER_SGPR: 6
; COMPUTE_PGM_RSRC2:TRAP_HANDLER: 0
; COMPUTE_PGM_RSRC2:TGID_X_EN: 1
; COMPUTE_PGM_RSRC2:TGID_Y_EN: 0
; COMPUTE_PGM_RSRC2:TGID_Z_EN: 0
; COMPUTE_PGM_RSRC2:TIDIG_COMP_CNT: 0
	.section	.text._ZN7rocprim17ROCPRIM_400000_NS6detail17trampoline_kernelINS0_14default_configENS1_27scan_by_key_config_selectorIxxEEZZNS1_16scan_by_key_implILNS1_25lookback_scan_determinismE0ELb0ES3_N6thrust23THRUST_200600_302600_NS6detail15normal_iteratorINS9_10device_ptrIxEEEESE_SE_xNS9_10multipliesIxEENS9_8equal_toIxEExEE10hipError_tPvRmT2_T3_T4_T5_mT6_T7_P12ihipStream_tbENKUlT_T0_E_clISt17integral_constantIbLb0EESZ_EEDaSU_SV_EUlSU_E_NS1_11comp_targetILNS1_3genE3ELNS1_11target_archE908ELNS1_3gpuE7ELNS1_3repE0EEENS1_30default_config_static_selectorELNS0_4arch9wavefront6targetE0EEEvT1_,"axG",@progbits,_ZN7rocprim17ROCPRIM_400000_NS6detail17trampoline_kernelINS0_14default_configENS1_27scan_by_key_config_selectorIxxEEZZNS1_16scan_by_key_implILNS1_25lookback_scan_determinismE0ELb0ES3_N6thrust23THRUST_200600_302600_NS6detail15normal_iteratorINS9_10device_ptrIxEEEESE_SE_xNS9_10multipliesIxEENS9_8equal_toIxEExEE10hipError_tPvRmT2_T3_T4_T5_mT6_T7_P12ihipStream_tbENKUlT_T0_E_clISt17integral_constantIbLb0EESZ_EEDaSU_SV_EUlSU_E_NS1_11comp_targetILNS1_3genE3ELNS1_11target_archE908ELNS1_3gpuE7ELNS1_3repE0EEENS1_30default_config_static_selectorELNS0_4arch9wavefront6targetE0EEEvT1_,comdat
	.protected	_ZN7rocprim17ROCPRIM_400000_NS6detail17trampoline_kernelINS0_14default_configENS1_27scan_by_key_config_selectorIxxEEZZNS1_16scan_by_key_implILNS1_25lookback_scan_determinismE0ELb0ES3_N6thrust23THRUST_200600_302600_NS6detail15normal_iteratorINS9_10device_ptrIxEEEESE_SE_xNS9_10multipliesIxEENS9_8equal_toIxEExEE10hipError_tPvRmT2_T3_T4_T5_mT6_T7_P12ihipStream_tbENKUlT_T0_E_clISt17integral_constantIbLb0EESZ_EEDaSU_SV_EUlSU_E_NS1_11comp_targetILNS1_3genE3ELNS1_11target_archE908ELNS1_3gpuE7ELNS1_3repE0EEENS1_30default_config_static_selectorELNS0_4arch9wavefront6targetE0EEEvT1_ ; -- Begin function _ZN7rocprim17ROCPRIM_400000_NS6detail17trampoline_kernelINS0_14default_configENS1_27scan_by_key_config_selectorIxxEEZZNS1_16scan_by_key_implILNS1_25lookback_scan_determinismE0ELb0ES3_N6thrust23THRUST_200600_302600_NS6detail15normal_iteratorINS9_10device_ptrIxEEEESE_SE_xNS9_10multipliesIxEENS9_8equal_toIxEExEE10hipError_tPvRmT2_T3_T4_T5_mT6_T7_P12ihipStream_tbENKUlT_T0_E_clISt17integral_constantIbLb0EESZ_EEDaSU_SV_EUlSU_E_NS1_11comp_targetILNS1_3genE3ELNS1_11target_archE908ELNS1_3gpuE7ELNS1_3repE0EEENS1_30default_config_static_selectorELNS0_4arch9wavefront6targetE0EEEvT1_
	.globl	_ZN7rocprim17ROCPRIM_400000_NS6detail17trampoline_kernelINS0_14default_configENS1_27scan_by_key_config_selectorIxxEEZZNS1_16scan_by_key_implILNS1_25lookback_scan_determinismE0ELb0ES3_N6thrust23THRUST_200600_302600_NS6detail15normal_iteratorINS9_10device_ptrIxEEEESE_SE_xNS9_10multipliesIxEENS9_8equal_toIxEExEE10hipError_tPvRmT2_T3_T4_T5_mT6_T7_P12ihipStream_tbENKUlT_T0_E_clISt17integral_constantIbLb0EESZ_EEDaSU_SV_EUlSU_E_NS1_11comp_targetILNS1_3genE3ELNS1_11target_archE908ELNS1_3gpuE7ELNS1_3repE0EEENS1_30default_config_static_selectorELNS0_4arch9wavefront6targetE0EEEvT1_
	.p2align	8
	.type	_ZN7rocprim17ROCPRIM_400000_NS6detail17trampoline_kernelINS0_14default_configENS1_27scan_by_key_config_selectorIxxEEZZNS1_16scan_by_key_implILNS1_25lookback_scan_determinismE0ELb0ES3_N6thrust23THRUST_200600_302600_NS6detail15normal_iteratorINS9_10device_ptrIxEEEESE_SE_xNS9_10multipliesIxEENS9_8equal_toIxEExEE10hipError_tPvRmT2_T3_T4_T5_mT6_T7_P12ihipStream_tbENKUlT_T0_E_clISt17integral_constantIbLb0EESZ_EEDaSU_SV_EUlSU_E_NS1_11comp_targetILNS1_3genE3ELNS1_11target_archE908ELNS1_3gpuE7ELNS1_3repE0EEENS1_30default_config_static_selectorELNS0_4arch9wavefront6targetE0EEEvT1_,@function
_ZN7rocprim17ROCPRIM_400000_NS6detail17trampoline_kernelINS0_14default_configENS1_27scan_by_key_config_selectorIxxEEZZNS1_16scan_by_key_implILNS1_25lookback_scan_determinismE0ELb0ES3_N6thrust23THRUST_200600_302600_NS6detail15normal_iteratorINS9_10device_ptrIxEEEESE_SE_xNS9_10multipliesIxEENS9_8equal_toIxEExEE10hipError_tPvRmT2_T3_T4_T5_mT6_T7_P12ihipStream_tbENKUlT_T0_E_clISt17integral_constantIbLb0EESZ_EEDaSU_SV_EUlSU_E_NS1_11comp_targetILNS1_3genE3ELNS1_11target_archE908ELNS1_3gpuE7ELNS1_3repE0EEENS1_30default_config_static_selectorELNS0_4arch9wavefront6targetE0EEEvT1_: ; @_ZN7rocprim17ROCPRIM_400000_NS6detail17trampoline_kernelINS0_14default_configENS1_27scan_by_key_config_selectorIxxEEZZNS1_16scan_by_key_implILNS1_25lookback_scan_determinismE0ELb0ES3_N6thrust23THRUST_200600_302600_NS6detail15normal_iteratorINS9_10device_ptrIxEEEESE_SE_xNS9_10multipliesIxEENS9_8equal_toIxEExEE10hipError_tPvRmT2_T3_T4_T5_mT6_T7_P12ihipStream_tbENKUlT_T0_E_clISt17integral_constantIbLb0EESZ_EEDaSU_SV_EUlSU_E_NS1_11comp_targetILNS1_3genE3ELNS1_11target_archE908ELNS1_3gpuE7ELNS1_3repE0EEENS1_30default_config_static_selectorELNS0_4arch9wavefront6targetE0EEEvT1_
; %bb.0:
	.section	.rodata,"a",@progbits
	.p2align	6, 0x0
	.amdhsa_kernel _ZN7rocprim17ROCPRIM_400000_NS6detail17trampoline_kernelINS0_14default_configENS1_27scan_by_key_config_selectorIxxEEZZNS1_16scan_by_key_implILNS1_25lookback_scan_determinismE0ELb0ES3_N6thrust23THRUST_200600_302600_NS6detail15normal_iteratorINS9_10device_ptrIxEEEESE_SE_xNS9_10multipliesIxEENS9_8equal_toIxEExEE10hipError_tPvRmT2_T3_T4_T5_mT6_T7_P12ihipStream_tbENKUlT_T0_E_clISt17integral_constantIbLb0EESZ_EEDaSU_SV_EUlSU_E_NS1_11comp_targetILNS1_3genE3ELNS1_11target_archE908ELNS1_3gpuE7ELNS1_3repE0EEENS1_30default_config_static_selectorELNS0_4arch9wavefront6targetE0EEEvT1_
		.amdhsa_group_segment_fixed_size 0
		.amdhsa_private_segment_fixed_size 0
		.amdhsa_kernarg_size 136
		.amdhsa_user_sgpr_count 6
		.amdhsa_user_sgpr_private_segment_buffer 1
		.amdhsa_user_sgpr_dispatch_ptr 0
		.amdhsa_user_sgpr_queue_ptr 0
		.amdhsa_user_sgpr_kernarg_segment_ptr 1
		.amdhsa_user_sgpr_dispatch_id 0
		.amdhsa_user_sgpr_flat_scratch_init 0
		.amdhsa_user_sgpr_private_segment_size 0
		.amdhsa_wavefront_size32 1
		.amdhsa_uses_dynamic_stack 0
		.amdhsa_system_sgpr_private_segment_wavefront_offset 0
		.amdhsa_system_sgpr_workgroup_id_x 1
		.amdhsa_system_sgpr_workgroup_id_y 0
		.amdhsa_system_sgpr_workgroup_id_z 0
		.amdhsa_system_sgpr_workgroup_info 0
		.amdhsa_system_vgpr_workitem_id 0
		.amdhsa_next_free_vgpr 1
		.amdhsa_next_free_sgpr 1
		.amdhsa_reserve_vcc 0
		.amdhsa_reserve_flat_scratch 0
		.amdhsa_float_round_mode_32 0
		.amdhsa_float_round_mode_16_64 0
		.amdhsa_float_denorm_mode_32 3
		.amdhsa_float_denorm_mode_16_64 3
		.amdhsa_dx10_clamp 1
		.amdhsa_ieee_mode 1
		.amdhsa_fp16_overflow 0
		.amdhsa_workgroup_processor_mode 1
		.amdhsa_memory_ordered 1
		.amdhsa_forward_progress 1
		.amdhsa_shared_vgpr_count 0
		.amdhsa_exception_fp_ieee_invalid_op 0
		.amdhsa_exception_fp_denorm_src 0
		.amdhsa_exception_fp_ieee_div_zero 0
		.amdhsa_exception_fp_ieee_overflow 0
		.amdhsa_exception_fp_ieee_underflow 0
		.amdhsa_exception_fp_ieee_inexact 0
		.amdhsa_exception_int_div_zero 0
	.end_amdhsa_kernel
	.section	.text._ZN7rocprim17ROCPRIM_400000_NS6detail17trampoline_kernelINS0_14default_configENS1_27scan_by_key_config_selectorIxxEEZZNS1_16scan_by_key_implILNS1_25lookback_scan_determinismE0ELb0ES3_N6thrust23THRUST_200600_302600_NS6detail15normal_iteratorINS9_10device_ptrIxEEEESE_SE_xNS9_10multipliesIxEENS9_8equal_toIxEExEE10hipError_tPvRmT2_T3_T4_T5_mT6_T7_P12ihipStream_tbENKUlT_T0_E_clISt17integral_constantIbLb0EESZ_EEDaSU_SV_EUlSU_E_NS1_11comp_targetILNS1_3genE3ELNS1_11target_archE908ELNS1_3gpuE7ELNS1_3repE0EEENS1_30default_config_static_selectorELNS0_4arch9wavefront6targetE0EEEvT1_,"axG",@progbits,_ZN7rocprim17ROCPRIM_400000_NS6detail17trampoline_kernelINS0_14default_configENS1_27scan_by_key_config_selectorIxxEEZZNS1_16scan_by_key_implILNS1_25lookback_scan_determinismE0ELb0ES3_N6thrust23THRUST_200600_302600_NS6detail15normal_iteratorINS9_10device_ptrIxEEEESE_SE_xNS9_10multipliesIxEENS9_8equal_toIxEExEE10hipError_tPvRmT2_T3_T4_T5_mT6_T7_P12ihipStream_tbENKUlT_T0_E_clISt17integral_constantIbLb0EESZ_EEDaSU_SV_EUlSU_E_NS1_11comp_targetILNS1_3genE3ELNS1_11target_archE908ELNS1_3gpuE7ELNS1_3repE0EEENS1_30default_config_static_selectorELNS0_4arch9wavefront6targetE0EEEvT1_,comdat
.Lfunc_end51:
	.size	_ZN7rocprim17ROCPRIM_400000_NS6detail17trampoline_kernelINS0_14default_configENS1_27scan_by_key_config_selectorIxxEEZZNS1_16scan_by_key_implILNS1_25lookback_scan_determinismE0ELb0ES3_N6thrust23THRUST_200600_302600_NS6detail15normal_iteratorINS9_10device_ptrIxEEEESE_SE_xNS9_10multipliesIxEENS9_8equal_toIxEExEE10hipError_tPvRmT2_T3_T4_T5_mT6_T7_P12ihipStream_tbENKUlT_T0_E_clISt17integral_constantIbLb0EESZ_EEDaSU_SV_EUlSU_E_NS1_11comp_targetILNS1_3genE3ELNS1_11target_archE908ELNS1_3gpuE7ELNS1_3repE0EEENS1_30default_config_static_selectorELNS0_4arch9wavefront6targetE0EEEvT1_, .Lfunc_end51-_ZN7rocprim17ROCPRIM_400000_NS6detail17trampoline_kernelINS0_14default_configENS1_27scan_by_key_config_selectorIxxEEZZNS1_16scan_by_key_implILNS1_25lookback_scan_determinismE0ELb0ES3_N6thrust23THRUST_200600_302600_NS6detail15normal_iteratorINS9_10device_ptrIxEEEESE_SE_xNS9_10multipliesIxEENS9_8equal_toIxEExEE10hipError_tPvRmT2_T3_T4_T5_mT6_T7_P12ihipStream_tbENKUlT_T0_E_clISt17integral_constantIbLb0EESZ_EEDaSU_SV_EUlSU_E_NS1_11comp_targetILNS1_3genE3ELNS1_11target_archE908ELNS1_3gpuE7ELNS1_3repE0EEENS1_30default_config_static_selectorELNS0_4arch9wavefront6targetE0EEEvT1_
                                        ; -- End function
	.set _ZN7rocprim17ROCPRIM_400000_NS6detail17trampoline_kernelINS0_14default_configENS1_27scan_by_key_config_selectorIxxEEZZNS1_16scan_by_key_implILNS1_25lookback_scan_determinismE0ELb0ES3_N6thrust23THRUST_200600_302600_NS6detail15normal_iteratorINS9_10device_ptrIxEEEESE_SE_xNS9_10multipliesIxEENS9_8equal_toIxEExEE10hipError_tPvRmT2_T3_T4_T5_mT6_T7_P12ihipStream_tbENKUlT_T0_E_clISt17integral_constantIbLb0EESZ_EEDaSU_SV_EUlSU_E_NS1_11comp_targetILNS1_3genE3ELNS1_11target_archE908ELNS1_3gpuE7ELNS1_3repE0EEENS1_30default_config_static_selectorELNS0_4arch9wavefront6targetE0EEEvT1_.num_vgpr, 0
	.set _ZN7rocprim17ROCPRIM_400000_NS6detail17trampoline_kernelINS0_14default_configENS1_27scan_by_key_config_selectorIxxEEZZNS1_16scan_by_key_implILNS1_25lookback_scan_determinismE0ELb0ES3_N6thrust23THRUST_200600_302600_NS6detail15normal_iteratorINS9_10device_ptrIxEEEESE_SE_xNS9_10multipliesIxEENS9_8equal_toIxEExEE10hipError_tPvRmT2_T3_T4_T5_mT6_T7_P12ihipStream_tbENKUlT_T0_E_clISt17integral_constantIbLb0EESZ_EEDaSU_SV_EUlSU_E_NS1_11comp_targetILNS1_3genE3ELNS1_11target_archE908ELNS1_3gpuE7ELNS1_3repE0EEENS1_30default_config_static_selectorELNS0_4arch9wavefront6targetE0EEEvT1_.num_agpr, 0
	.set _ZN7rocprim17ROCPRIM_400000_NS6detail17trampoline_kernelINS0_14default_configENS1_27scan_by_key_config_selectorIxxEEZZNS1_16scan_by_key_implILNS1_25lookback_scan_determinismE0ELb0ES3_N6thrust23THRUST_200600_302600_NS6detail15normal_iteratorINS9_10device_ptrIxEEEESE_SE_xNS9_10multipliesIxEENS9_8equal_toIxEExEE10hipError_tPvRmT2_T3_T4_T5_mT6_T7_P12ihipStream_tbENKUlT_T0_E_clISt17integral_constantIbLb0EESZ_EEDaSU_SV_EUlSU_E_NS1_11comp_targetILNS1_3genE3ELNS1_11target_archE908ELNS1_3gpuE7ELNS1_3repE0EEENS1_30default_config_static_selectorELNS0_4arch9wavefront6targetE0EEEvT1_.numbered_sgpr, 0
	.set _ZN7rocprim17ROCPRIM_400000_NS6detail17trampoline_kernelINS0_14default_configENS1_27scan_by_key_config_selectorIxxEEZZNS1_16scan_by_key_implILNS1_25lookback_scan_determinismE0ELb0ES3_N6thrust23THRUST_200600_302600_NS6detail15normal_iteratorINS9_10device_ptrIxEEEESE_SE_xNS9_10multipliesIxEENS9_8equal_toIxEExEE10hipError_tPvRmT2_T3_T4_T5_mT6_T7_P12ihipStream_tbENKUlT_T0_E_clISt17integral_constantIbLb0EESZ_EEDaSU_SV_EUlSU_E_NS1_11comp_targetILNS1_3genE3ELNS1_11target_archE908ELNS1_3gpuE7ELNS1_3repE0EEENS1_30default_config_static_selectorELNS0_4arch9wavefront6targetE0EEEvT1_.num_named_barrier, 0
	.set _ZN7rocprim17ROCPRIM_400000_NS6detail17trampoline_kernelINS0_14default_configENS1_27scan_by_key_config_selectorIxxEEZZNS1_16scan_by_key_implILNS1_25lookback_scan_determinismE0ELb0ES3_N6thrust23THRUST_200600_302600_NS6detail15normal_iteratorINS9_10device_ptrIxEEEESE_SE_xNS9_10multipliesIxEENS9_8equal_toIxEExEE10hipError_tPvRmT2_T3_T4_T5_mT6_T7_P12ihipStream_tbENKUlT_T0_E_clISt17integral_constantIbLb0EESZ_EEDaSU_SV_EUlSU_E_NS1_11comp_targetILNS1_3genE3ELNS1_11target_archE908ELNS1_3gpuE7ELNS1_3repE0EEENS1_30default_config_static_selectorELNS0_4arch9wavefront6targetE0EEEvT1_.private_seg_size, 0
	.set _ZN7rocprim17ROCPRIM_400000_NS6detail17trampoline_kernelINS0_14default_configENS1_27scan_by_key_config_selectorIxxEEZZNS1_16scan_by_key_implILNS1_25lookback_scan_determinismE0ELb0ES3_N6thrust23THRUST_200600_302600_NS6detail15normal_iteratorINS9_10device_ptrIxEEEESE_SE_xNS9_10multipliesIxEENS9_8equal_toIxEExEE10hipError_tPvRmT2_T3_T4_T5_mT6_T7_P12ihipStream_tbENKUlT_T0_E_clISt17integral_constantIbLb0EESZ_EEDaSU_SV_EUlSU_E_NS1_11comp_targetILNS1_3genE3ELNS1_11target_archE908ELNS1_3gpuE7ELNS1_3repE0EEENS1_30default_config_static_selectorELNS0_4arch9wavefront6targetE0EEEvT1_.uses_vcc, 0
	.set _ZN7rocprim17ROCPRIM_400000_NS6detail17trampoline_kernelINS0_14default_configENS1_27scan_by_key_config_selectorIxxEEZZNS1_16scan_by_key_implILNS1_25lookback_scan_determinismE0ELb0ES3_N6thrust23THRUST_200600_302600_NS6detail15normal_iteratorINS9_10device_ptrIxEEEESE_SE_xNS9_10multipliesIxEENS9_8equal_toIxEExEE10hipError_tPvRmT2_T3_T4_T5_mT6_T7_P12ihipStream_tbENKUlT_T0_E_clISt17integral_constantIbLb0EESZ_EEDaSU_SV_EUlSU_E_NS1_11comp_targetILNS1_3genE3ELNS1_11target_archE908ELNS1_3gpuE7ELNS1_3repE0EEENS1_30default_config_static_selectorELNS0_4arch9wavefront6targetE0EEEvT1_.uses_flat_scratch, 0
	.set _ZN7rocprim17ROCPRIM_400000_NS6detail17trampoline_kernelINS0_14default_configENS1_27scan_by_key_config_selectorIxxEEZZNS1_16scan_by_key_implILNS1_25lookback_scan_determinismE0ELb0ES3_N6thrust23THRUST_200600_302600_NS6detail15normal_iteratorINS9_10device_ptrIxEEEESE_SE_xNS9_10multipliesIxEENS9_8equal_toIxEExEE10hipError_tPvRmT2_T3_T4_T5_mT6_T7_P12ihipStream_tbENKUlT_T0_E_clISt17integral_constantIbLb0EESZ_EEDaSU_SV_EUlSU_E_NS1_11comp_targetILNS1_3genE3ELNS1_11target_archE908ELNS1_3gpuE7ELNS1_3repE0EEENS1_30default_config_static_selectorELNS0_4arch9wavefront6targetE0EEEvT1_.has_dyn_sized_stack, 0
	.set _ZN7rocprim17ROCPRIM_400000_NS6detail17trampoline_kernelINS0_14default_configENS1_27scan_by_key_config_selectorIxxEEZZNS1_16scan_by_key_implILNS1_25lookback_scan_determinismE0ELb0ES3_N6thrust23THRUST_200600_302600_NS6detail15normal_iteratorINS9_10device_ptrIxEEEESE_SE_xNS9_10multipliesIxEENS9_8equal_toIxEExEE10hipError_tPvRmT2_T3_T4_T5_mT6_T7_P12ihipStream_tbENKUlT_T0_E_clISt17integral_constantIbLb0EESZ_EEDaSU_SV_EUlSU_E_NS1_11comp_targetILNS1_3genE3ELNS1_11target_archE908ELNS1_3gpuE7ELNS1_3repE0EEENS1_30default_config_static_selectorELNS0_4arch9wavefront6targetE0EEEvT1_.has_recursion, 0
	.set _ZN7rocprim17ROCPRIM_400000_NS6detail17trampoline_kernelINS0_14default_configENS1_27scan_by_key_config_selectorIxxEEZZNS1_16scan_by_key_implILNS1_25lookback_scan_determinismE0ELb0ES3_N6thrust23THRUST_200600_302600_NS6detail15normal_iteratorINS9_10device_ptrIxEEEESE_SE_xNS9_10multipliesIxEENS9_8equal_toIxEExEE10hipError_tPvRmT2_T3_T4_T5_mT6_T7_P12ihipStream_tbENKUlT_T0_E_clISt17integral_constantIbLb0EESZ_EEDaSU_SV_EUlSU_E_NS1_11comp_targetILNS1_3genE3ELNS1_11target_archE908ELNS1_3gpuE7ELNS1_3repE0EEENS1_30default_config_static_selectorELNS0_4arch9wavefront6targetE0EEEvT1_.has_indirect_call, 0
	.section	.AMDGPU.csdata,"",@progbits
; Kernel info:
; codeLenInByte = 0
; TotalNumSgprs: 0
; NumVgprs: 0
; ScratchSize: 0
; MemoryBound: 0
; FloatMode: 240
; IeeeMode: 1
; LDSByteSize: 0 bytes/workgroup (compile time only)
; SGPRBlocks: 0
; VGPRBlocks: 0
; NumSGPRsForWavesPerEU: 1
; NumVGPRsForWavesPerEU: 1
; Occupancy: 16
; WaveLimiterHint : 0
; COMPUTE_PGM_RSRC2:SCRATCH_EN: 0
; COMPUTE_PGM_RSRC2:USER_SGPR: 6
; COMPUTE_PGM_RSRC2:TRAP_HANDLER: 0
; COMPUTE_PGM_RSRC2:TGID_X_EN: 1
; COMPUTE_PGM_RSRC2:TGID_Y_EN: 0
; COMPUTE_PGM_RSRC2:TGID_Z_EN: 0
; COMPUTE_PGM_RSRC2:TIDIG_COMP_CNT: 0
	.section	.text._ZN7rocprim17ROCPRIM_400000_NS6detail17trampoline_kernelINS0_14default_configENS1_27scan_by_key_config_selectorIxxEEZZNS1_16scan_by_key_implILNS1_25lookback_scan_determinismE0ELb0ES3_N6thrust23THRUST_200600_302600_NS6detail15normal_iteratorINS9_10device_ptrIxEEEESE_SE_xNS9_10multipliesIxEENS9_8equal_toIxEExEE10hipError_tPvRmT2_T3_T4_T5_mT6_T7_P12ihipStream_tbENKUlT_T0_E_clISt17integral_constantIbLb0EESZ_EEDaSU_SV_EUlSU_E_NS1_11comp_targetILNS1_3genE2ELNS1_11target_archE906ELNS1_3gpuE6ELNS1_3repE0EEENS1_30default_config_static_selectorELNS0_4arch9wavefront6targetE0EEEvT1_,"axG",@progbits,_ZN7rocprim17ROCPRIM_400000_NS6detail17trampoline_kernelINS0_14default_configENS1_27scan_by_key_config_selectorIxxEEZZNS1_16scan_by_key_implILNS1_25lookback_scan_determinismE0ELb0ES3_N6thrust23THRUST_200600_302600_NS6detail15normal_iteratorINS9_10device_ptrIxEEEESE_SE_xNS9_10multipliesIxEENS9_8equal_toIxEExEE10hipError_tPvRmT2_T3_T4_T5_mT6_T7_P12ihipStream_tbENKUlT_T0_E_clISt17integral_constantIbLb0EESZ_EEDaSU_SV_EUlSU_E_NS1_11comp_targetILNS1_3genE2ELNS1_11target_archE906ELNS1_3gpuE6ELNS1_3repE0EEENS1_30default_config_static_selectorELNS0_4arch9wavefront6targetE0EEEvT1_,comdat
	.protected	_ZN7rocprim17ROCPRIM_400000_NS6detail17trampoline_kernelINS0_14default_configENS1_27scan_by_key_config_selectorIxxEEZZNS1_16scan_by_key_implILNS1_25lookback_scan_determinismE0ELb0ES3_N6thrust23THRUST_200600_302600_NS6detail15normal_iteratorINS9_10device_ptrIxEEEESE_SE_xNS9_10multipliesIxEENS9_8equal_toIxEExEE10hipError_tPvRmT2_T3_T4_T5_mT6_T7_P12ihipStream_tbENKUlT_T0_E_clISt17integral_constantIbLb0EESZ_EEDaSU_SV_EUlSU_E_NS1_11comp_targetILNS1_3genE2ELNS1_11target_archE906ELNS1_3gpuE6ELNS1_3repE0EEENS1_30default_config_static_selectorELNS0_4arch9wavefront6targetE0EEEvT1_ ; -- Begin function _ZN7rocprim17ROCPRIM_400000_NS6detail17trampoline_kernelINS0_14default_configENS1_27scan_by_key_config_selectorIxxEEZZNS1_16scan_by_key_implILNS1_25lookback_scan_determinismE0ELb0ES3_N6thrust23THRUST_200600_302600_NS6detail15normal_iteratorINS9_10device_ptrIxEEEESE_SE_xNS9_10multipliesIxEENS9_8equal_toIxEExEE10hipError_tPvRmT2_T3_T4_T5_mT6_T7_P12ihipStream_tbENKUlT_T0_E_clISt17integral_constantIbLb0EESZ_EEDaSU_SV_EUlSU_E_NS1_11comp_targetILNS1_3genE2ELNS1_11target_archE906ELNS1_3gpuE6ELNS1_3repE0EEENS1_30default_config_static_selectorELNS0_4arch9wavefront6targetE0EEEvT1_
	.globl	_ZN7rocprim17ROCPRIM_400000_NS6detail17trampoline_kernelINS0_14default_configENS1_27scan_by_key_config_selectorIxxEEZZNS1_16scan_by_key_implILNS1_25lookback_scan_determinismE0ELb0ES3_N6thrust23THRUST_200600_302600_NS6detail15normal_iteratorINS9_10device_ptrIxEEEESE_SE_xNS9_10multipliesIxEENS9_8equal_toIxEExEE10hipError_tPvRmT2_T3_T4_T5_mT6_T7_P12ihipStream_tbENKUlT_T0_E_clISt17integral_constantIbLb0EESZ_EEDaSU_SV_EUlSU_E_NS1_11comp_targetILNS1_3genE2ELNS1_11target_archE906ELNS1_3gpuE6ELNS1_3repE0EEENS1_30default_config_static_selectorELNS0_4arch9wavefront6targetE0EEEvT1_
	.p2align	8
	.type	_ZN7rocprim17ROCPRIM_400000_NS6detail17trampoline_kernelINS0_14default_configENS1_27scan_by_key_config_selectorIxxEEZZNS1_16scan_by_key_implILNS1_25lookback_scan_determinismE0ELb0ES3_N6thrust23THRUST_200600_302600_NS6detail15normal_iteratorINS9_10device_ptrIxEEEESE_SE_xNS9_10multipliesIxEENS9_8equal_toIxEExEE10hipError_tPvRmT2_T3_T4_T5_mT6_T7_P12ihipStream_tbENKUlT_T0_E_clISt17integral_constantIbLb0EESZ_EEDaSU_SV_EUlSU_E_NS1_11comp_targetILNS1_3genE2ELNS1_11target_archE906ELNS1_3gpuE6ELNS1_3repE0EEENS1_30default_config_static_selectorELNS0_4arch9wavefront6targetE0EEEvT1_,@function
_ZN7rocprim17ROCPRIM_400000_NS6detail17trampoline_kernelINS0_14default_configENS1_27scan_by_key_config_selectorIxxEEZZNS1_16scan_by_key_implILNS1_25lookback_scan_determinismE0ELb0ES3_N6thrust23THRUST_200600_302600_NS6detail15normal_iteratorINS9_10device_ptrIxEEEESE_SE_xNS9_10multipliesIxEENS9_8equal_toIxEExEE10hipError_tPvRmT2_T3_T4_T5_mT6_T7_P12ihipStream_tbENKUlT_T0_E_clISt17integral_constantIbLb0EESZ_EEDaSU_SV_EUlSU_E_NS1_11comp_targetILNS1_3genE2ELNS1_11target_archE906ELNS1_3gpuE6ELNS1_3repE0EEENS1_30default_config_static_selectorELNS0_4arch9wavefront6targetE0EEEvT1_: ; @_ZN7rocprim17ROCPRIM_400000_NS6detail17trampoline_kernelINS0_14default_configENS1_27scan_by_key_config_selectorIxxEEZZNS1_16scan_by_key_implILNS1_25lookback_scan_determinismE0ELb0ES3_N6thrust23THRUST_200600_302600_NS6detail15normal_iteratorINS9_10device_ptrIxEEEESE_SE_xNS9_10multipliesIxEENS9_8equal_toIxEExEE10hipError_tPvRmT2_T3_T4_T5_mT6_T7_P12ihipStream_tbENKUlT_T0_E_clISt17integral_constantIbLb0EESZ_EEDaSU_SV_EUlSU_E_NS1_11comp_targetILNS1_3genE2ELNS1_11target_archE906ELNS1_3gpuE6ELNS1_3repE0EEENS1_30default_config_static_selectorELNS0_4arch9wavefront6targetE0EEEvT1_
; %bb.0:
	.section	.rodata,"a",@progbits
	.p2align	6, 0x0
	.amdhsa_kernel _ZN7rocprim17ROCPRIM_400000_NS6detail17trampoline_kernelINS0_14default_configENS1_27scan_by_key_config_selectorIxxEEZZNS1_16scan_by_key_implILNS1_25lookback_scan_determinismE0ELb0ES3_N6thrust23THRUST_200600_302600_NS6detail15normal_iteratorINS9_10device_ptrIxEEEESE_SE_xNS9_10multipliesIxEENS9_8equal_toIxEExEE10hipError_tPvRmT2_T3_T4_T5_mT6_T7_P12ihipStream_tbENKUlT_T0_E_clISt17integral_constantIbLb0EESZ_EEDaSU_SV_EUlSU_E_NS1_11comp_targetILNS1_3genE2ELNS1_11target_archE906ELNS1_3gpuE6ELNS1_3repE0EEENS1_30default_config_static_selectorELNS0_4arch9wavefront6targetE0EEEvT1_
		.amdhsa_group_segment_fixed_size 0
		.amdhsa_private_segment_fixed_size 0
		.amdhsa_kernarg_size 136
		.amdhsa_user_sgpr_count 6
		.amdhsa_user_sgpr_private_segment_buffer 1
		.amdhsa_user_sgpr_dispatch_ptr 0
		.amdhsa_user_sgpr_queue_ptr 0
		.amdhsa_user_sgpr_kernarg_segment_ptr 1
		.amdhsa_user_sgpr_dispatch_id 0
		.amdhsa_user_sgpr_flat_scratch_init 0
		.amdhsa_user_sgpr_private_segment_size 0
		.amdhsa_wavefront_size32 1
		.amdhsa_uses_dynamic_stack 0
		.amdhsa_system_sgpr_private_segment_wavefront_offset 0
		.amdhsa_system_sgpr_workgroup_id_x 1
		.amdhsa_system_sgpr_workgroup_id_y 0
		.amdhsa_system_sgpr_workgroup_id_z 0
		.amdhsa_system_sgpr_workgroup_info 0
		.amdhsa_system_vgpr_workitem_id 0
		.amdhsa_next_free_vgpr 1
		.amdhsa_next_free_sgpr 1
		.amdhsa_reserve_vcc 0
		.amdhsa_reserve_flat_scratch 0
		.amdhsa_float_round_mode_32 0
		.amdhsa_float_round_mode_16_64 0
		.amdhsa_float_denorm_mode_32 3
		.amdhsa_float_denorm_mode_16_64 3
		.amdhsa_dx10_clamp 1
		.amdhsa_ieee_mode 1
		.amdhsa_fp16_overflow 0
		.amdhsa_workgroup_processor_mode 1
		.amdhsa_memory_ordered 1
		.amdhsa_forward_progress 1
		.amdhsa_shared_vgpr_count 0
		.amdhsa_exception_fp_ieee_invalid_op 0
		.amdhsa_exception_fp_denorm_src 0
		.amdhsa_exception_fp_ieee_div_zero 0
		.amdhsa_exception_fp_ieee_overflow 0
		.amdhsa_exception_fp_ieee_underflow 0
		.amdhsa_exception_fp_ieee_inexact 0
		.amdhsa_exception_int_div_zero 0
	.end_amdhsa_kernel
	.section	.text._ZN7rocprim17ROCPRIM_400000_NS6detail17trampoline_kernelINS0_14default_configENS1_27scan_by_key_config_selectorIxxEEZZNS1_16scan_by_key_implILNS1_25lookback_scan_determinismE0ELb0ES3_N6thrust23THRUST_200600_302600_NS6detail15normal_iteratorINS9_10device_ptrIxEEEESE_SE_xNS9_10multipliesIxEENS9_8equal_toIxEExEE10hipError_tPvRmT2_T3_T4_T5_mT6_T7_P12ihipStream_tbENKUlT_T0_E_clISt17integral_constantIbLb0EESZ_EEDaSU_SV_EUlSU_E_NS1_11comp_targetILNS1_3genE2ELNS1_11target_archE906ELNS1_3gpuE6ELNS1_3repE0EEENS1_30default_config_static_selectorELNS0_4arch9wavefront6targetE0EEEvT1_,"axG",@progbits,_ZN7rocprim17ROCPRIM_400000_NS6detail17trampoline_kernelINS0_14default_configENS1_27scan_by_key_config_selectorIxxEEZZNS1_16scan_by_key_implILNS1_25lookback_scan_determinismE0ELb0ES3_N6thrust23THRUST_200600_302600_NS6detail15normal_iteratorINS9_10device_ptrIxEEEESE_SE_xNS9_10multipliesIxEENS9_8equal_toIxEExEE10hipError_tPvRmT2_T3_T4_T5_mT6_T7_P12ihipStream_tbENKUlT_T0_E_clISt17integral_constantIbLb0EESZ_EEDaSU_SV_EUlSU_E_NS1_11comp_targetILNS1_3genE2ELNS1_11target_archE906ELNS1_3gpuE6ELNS1_3repE0EEENS1_30default_config_static_selectorELNS0_4arch9wavefront6targetE0EEEvT1_,comdat
.Lfunc_end52:
	.size	_ZN7rocprim17ROCPRIM_400000_NS6detail17trampoline_kernelINS0_14default_configENS1_27scan_by_key_config_selectorIxxEEZZNS1_16scan_by_key_implILNS1_25lookback_scan_determinismE0ELb0ES3_N6thrust23THRUST_200600_302600_NS6detail15normal_iteratorINS9_10device_ptrIxEEEESE_SE_xNS9_10multipliesIxEENS9_8equal_toIxEExEE10hipError_tPvRmT2_T3_T4_T5_mT6_T7_P12ihipStream_tbENKUlT_T0_E_clISt17integral_constantIbLb0EESZ_EEDaSU_SV_EUlSU_E_NS1_11comp_targetILNS1_3genE2ELNS1_11target_archE906ELNS1_3gpuE6ELNS1_3repE0EEENS1_30default_config_static_selectorELNS0_4arch9wavefront6targetE0EEEvT1_, .Lfunc_end52-_ZN7rocprim17ROCPRIM_400000_NS6detail17trampoline_kernelINS0_14default_configENS1_27scan_by_key_config_selectorIxxEEZZNS1_16scan_by_key_implILNS1_25lookback_scan_determinismE0ELb0ES3_N6thrust23THRUST_200600_302600_NS6detail15normal_iteratorINS9_10device_ptrIxEEEESE_SE_xNS9_10multipliesIxEENS9_8equal_toIxEExEE10hipError_tPvRmT2_T3_T4_T5_mT6_T7_P12ihipStream_tbENKUlT_T0_E_clISt17integral_constantIbLb0EESZ_EEDaSU_SV_EUlSU_E_NS1_11comp_targetILNS1_3genE2ELNS1_11target_archE906ELNS1_3gpuE6ELNS1_3repE0EEENS1_30default_config_static_selectorELNS0_4arch9wavefront6targetE0EEEvT1_
                                        ; -- End function
	.set _ZN7rocprim17ROCPRIM_400000_NS6detail17trampoline_kernelINS0_14default_configENS1_27scan_by_key_config_selectorIxxEEZZNS1_16scan_by_key_implILNS1_25lookback_scan_determinismE0ELb0ES3_N6thrust23THRUST_200600_302600_NS6detail15normal_iteratorINS9_10device_ptrIxEEEESE_SE_xNS9_10multipliesIxEENS9_8equal_toIxEExEE10hipError_tPvRmT2_T3_T4_T5_mT6_T7_P12ihipStream_tbENKUlT_T0_E_clISt17integral_constantIbLb0EESZ_EEDaSU_SV_EUlSU_E_NS1_11comp_targetILNS1_3genE2ELNS1_11target_archE906ELNS1_3gpuE6ELNS1_3repE0EEENS1_30default_config_static_selectorELNS0_4arch9wavefront6targetE0EEEvT1_.num_vgpr, 0
	.set _ZN7rocprim17ROCPRIM_400000_NS6detail17trampoline_kernelINS0_14default_configENS1_27scan_by_key_config_selectorIxxEEZZNS1_16scan_by_key_implILNS1_25lookback_scan_determinismE0ELb0ES3_N6thrust23THRUST_200600_302600_NS6detail15normal_iteratorINS9_10device_ptrIxEEEESE_SE_xNS9_10multipliesIxEENS9_8equal_toIxEExEE10hipError_tPvRmT2_T3_T4_T5_mT6_T7_P12ihipStream_tbENKUlT_T0_E_clISt17integral_constantIbLb0EESZ_EEDaSU_SV_EUlSU_E_NS1_11comp_targetILNS1_3genE2ELNS1_11target_archE906ELNS1_3gpuE6ELNS1_3repE0EEENS1_30default_config_static_selectorELNS0_4arch9wavefront6targetE0EEEvT1_.num_agpr, 0
	.set _ZN7rocprim17ROCPRIM_400000_NS6detail17trampoline_kernelINS0_14default_configENS1_27scan_by_key_config_selectorIxxEEZZNS1_16scan_by_key_implILNS1_25lookback_scan_determinismE0ELb0ES3_N6thrust23THRUST_200600_302600_NS6detail15normal_iteratorINS9_10device_ptrIxEEEESE_SE_xNS9_10multipliesIxEENS9_8equal_toIxEExEE10hipError_tPvRmT2_T3_T4_T5_mT6_T7_P12ihipStream_tbENKUlT_T0_E_clISt17integral_constantIbLb0EESZ_EEDaSU_SV_EUlSU_E_NS1_11comp_targetILNS1_3genE2ELNS1_11target_archE906ELNS1_3gpuE6ELNS1_3repE0EEENS1_30default_config_static_selectorELNS0_4arch9wavefront6targetE0EEEvT1_.numbered_sgpr, 0
	.set _ZN7rocprim17ROCPRIM_400000_NS6detail17trampoline_kernelINS0_14default_configENS1_27scan_by_key_config_selectorIxxEEZZNS1_16scan_by_key_implILNS1_25lookback_scan_determinismE0ELb0ES3_N6thrust23THRUST_200600_302600_NS6detail15normal_iteratorINS9_10device_ptrIxEEEESE_SE_xNS9_10multipliesIxEENS9_8equal_toIxEExEE10hipError_tPvRmT2_T3_T4_T5_mT6_T7_P12ihipStream_tbENKUlT_T0_E_clISt17integral_constantIbLb0EESZ_EEDaSU_SV_EUlSU_E_NS1_11comp_targetILNS1_3genE2ELNS1_11target_archE906ELNS1_3gpuE6ELNS1_3repE0EEENS1_30default_config_static_selectorELNS0_4arch9wavefront6targetE0EEEvT1_.num_named_barrier, 0
	.set _ZN7rocprim17ROCPRIM_400000_NS6detail17trampoline_kernelINS0_14default_configENS1_27scan_by_key_config_selectorIxxEEZZNS1_16scan_by_key_implILNS1_25lookback_scan_determinismE0ELb0ES3_N6thrust23THRUST_200600_302600_NS6detail15normal_iteratorINS9_10device_ptrIxEEEESE_SE_xNS9_10multipliesIxEENS9_8equal_toIxEExEE10hipError_tPvRmT2_T3_T4_T5_mT6_T7_P12ihipStream_tbENKUlT_T0_E_clISt17integral_constantIbLb0EESZ_EEDaSU_SV_EUlSU_E_NS1_11comp_targetILNS1_3genE2ELNS1_11target_archE906ELNS1_3gpuE6ELNS1_3repE0EEENS1_30default_config_static_selectorELNS0_4arch9wavefront6targetE0EEEvT1_.private_seg_size, 0
	.set _ZN7rocprim17ROCPRIM_400000_NS6detail17trampoline_kernelINS0_14default_configENS1_27scan_by_key_config_selectorIxxEEZZNS1_16scan_by_key_implILNS1_25lookback_scan_determinismE0ELb0ES3_N6thrust23THRUST_200600_302600_NS6detail15normal_iteratorINS9_10device_ptrIxEEEESE_SE_xNS9_10multipliesIxEENS9_8equal_toIxEExEE10hipError_tPvRmT2_T3_T4_T5_mT6_T7_P12ihipStream_tbENKUlT_T0_E_clISt17integral_constantIbLb0EESZ_EEDaSU_SV_EUlSU_E_NS1_11comp_targetILNS1_3genE2ELNS1_11target_archE906ELNS1_3gpuE6ELNS1_3repE0EEENS1_30default_config_static_selectorELNS0_4arch9wavefront6targetE0EEEvT1_.uses_vcc, 0
	.set _ZN7rocprim17ROCPRIM_400000_NS6detail17trampoline_kernelINS0_14default_configENS1_27scan_by_key_config_selectorIxxEEZZNS1_16scan_by_key_implILNS1_25lookback_scan_determinismE0ELb0ES3_N6thrust23THRUST_200600_302600_NS6detail15normal_iteratorINS9_10device_ptrIxEEEESE_SE_xNS9_10multipliesIxEENS9_8equal_toIxEExEE10hipError_tPvRmT2_T3_T4_T5_mT6_T7_P12ihipStream_tbENKUlT_T0_E_clISt17integral_constantIbLb0EESZ_EEDaSU_SV_EUlSU_E_NS1_11comp_targetILNS1_3genE2ELNS1_11target_archE906ELNS1_3gpuE6ELNS1_3repE0EEENS1_30default_config_static_selectorELNS0_4arch9wavefront6targetE0EEEvT1_.uses_flat_scratch, 0
	.set _ZN7rocprim17ROCPRIM_400000_NS6detail17trampoline_kernelINS0_14default_configENS1_27scan_by_key_config_selectorIxxEEZZNS1_16scan_by_key_implILNS1_25lookback_scan_determinismE0ELb0ES3_N6thrust23THRUST_200600_302600_NS6detail15normal_iteratorINS9_10device_ptrIxEEEESE_SE_xNS9_10multipliesIxEENS9_8equal_toIxEExEE10hipError_tPvRmT2_T3_T4_T5_mT6_T7_P12ihipStream_tbENKUlT_T0_E_clISt17integral_constantIbLb0EESZ_EEDaSU_SV_EUlSU_E_NS1_11comp_targetILNS1_3genE2ELNS1_11target_archE906ELNS1_3gpuE6ELNS1_3repE0EEENS1_30default_config_static_selectorELNS0_4arch9wavefront6targetE0EEEvT1_.has_dyn_sized_stack, 0
	.set _ZN7rocprim17ROCPRIM_400000_NS6detail17trampoline_kernelINS0_14default_configENS1_27scan_by_key_config_selectorIxxEEZZNS1_16scan_by_key_implILNS1_25lookback_scan_determinismE0ELb0ES3_N6thrust23THRUST_200600_302600_NS6detail15normal_iteratorINS9_10device_ptrIxEEEESE_SE_xNS9_10multipliesIxEENS9_8equal_toIxEExEE10hipError_tPvRmT2_T3_T4_T5_mT6_T7_P12ihipStream_tbENKUlT_T0_E_clISt17integral_constantIbLb0EESZ_EEDaSU_SV_EUlSU_E_NS1_11comp_targetILNS1_3genE2ELNS1_11target_archE906ELNS1_3gpuE6ELNS1_3repE0EEENS1_30default_config_static_selectorELNS0_4arch9wavefront6targetE0EEEvT1_.has_recursion, 0
	.set _ZN7rocprim17ROCPRIM_400000_NS6detail17trampoline_kernelINS0_14default_configENS1_27scan_by_key_config_selectorIxxEEZZNS1_16scan_by_key_implILNS1_25lookback_scan_determinismE0ELb0ES3_N6thrust23THRUST_200600_302600_NS6detail15normal_iteratorINS9_10device_ptrIxEEEESE_SE_xNS9_10multipliesIxEENS9_8equal_toIxEExEE10hipError_tPvRmT2_T3_T4_T5_mT6_T7_P12ihipStream_tbENKUlT_T0_E_clISt17integral_constantIbLb0EESZ_EEDaSU_SV_EUlSU_E_NS1_11comp_targetILNS1_3genE2ELNS1_11target_archE906ELNS1_3gpuE6ELNS1_3repE0EEENS1_30default_config_static_selectorELNS0_4arch9wavefront6targetE0EEEvT1_.has_indirect_call, 0
	.section	.AMDGPU.csdata,"",@progbits
; Kernel info:
; codeLenInByte = 0
; TotalNumSgprs: 0
; NumVgprs: 0
; ScratchSize: 0
; MemoryBound: 0
; FloatMode: 240
; IeeeMode: 1
; LDSByteSize: 0 bytes/workgroup (compile time only)
; SGPRBlocks: 0
; VGPRBlocks: 0
; NumSGPRsForWavesPerEU: 1
; NumVGPRsForWavesPerEU: 1
; Occupancy: 16
; WaveLimiterHint : 0
; COMPUTE_PGM_RSRC2:SCRATCH_EN: 0
; COMPUTE_PGM_RSRC2:USER_SGPR: 6
; COMPUTE_PGM_RSRC2:TRAP_HANDLER: 0
; COMPUTE_PGM_RSRC2:TGID_X_EN: 1
; COMPUTE_PGM_RSRC2:TGID_Y_EN: 0
; COMPUTE_PGM_RSRC2:TGID_Z_EN: 0
; COMPUTE_PGM_RSRC2:TIDIG_COMP_CNT: 0
	.section	.text._ZN7rocprim17ROCPRIM_400000_NS6detail17trampoline_kernelINS0_14default_configENS1_27scan_by_key_config_selectorIxxEEZZNS1_16scan_by_key_implILNS1_25lookback_scan_determinismE0ELb0ES3_N6thrust23THRUST_200600_302600_NS6detail15normal_iteratorINS9_10device_ptrIxEEEESE_SE_xNS9_10multipliesIxEENS9_8equal_toIxEExEE10hipError_tPvRmT2_T3_T4_T5_mT6_T7_P12ihipStream_tbENKUlT_T0_E_clISt17integral_constantIbLb0EESZ_EEDaSU_SV_EUlSU_E_NS1_11comp_targetILNS1_3genE10ELNS1_11target_archE1200ELNS1_3gpuE4ELNS1_3repE0EEENS1_30default_config_static_selectorELNS0_4arch9wavefront6targetE0EEEvT1_,"axG",@progbits,_ZN7rocprim17ROCPRIM_400000_NS6detail17trampoline_kernelINS0_14default_configENS1_27scan_by_key_config_selectorIxxEEZZNS1_16scan_by_key_implILNS1_25lookback_scan_determinismE0ELb0ES3_N6thrust23THRUST_200600_302600_NS6detail15normal_iteratorINS9_10device_ptrIxEEEESE_SE_xNS9_10multipliesIxEENS9_8equal_toIxEExEE10hipError_tPvRmT2_T3_T4_T5_mT6_T7_P12ihipStream_tbENKUlT_T0_E_clISt17integral_constantIbLb0EESZ_EEDaSU_SV_EUlSU_E_NS1_11comp_targetILNS1_3genE10ELNS1_11target_archE1200ELNS1_3gpuE4ELNS1_3repE0EEENS1_30default_config_static_selectorELNS0_4arch9wavefront6targetE0EEEvT1_,comdat
	.protected	_ZN7rocprim17ROCPRIM_400000_NS6detail17trampoline_kernelINS0_14default_configENS1_27scan_by_key_config_selectorIxxEEZZNS1_16scan_by_key_implILNS1_25lookback_scan_determinismE0ELb0ES3_N6thrust23THRUST_200600_302600_NS6detail15normal_iteratorINS9_10device_ptrIxEEEESE_SE_xNS9_10multipliesIxEENS9_8equal_toIxEExEE10hipError_tPvRmT2_T3_T4_T5_mT6_T7_P12ihipStream_tbENKUlT_T0_E_clISt17integral_constantIbLb0EESZ_EEDaSU_SV_EUlSU_E_NS1_11comp_targetILNS1_3genE10ELNS1_11target_archE1200ELNS1_3gpuE4ELNS1_3repE0EEENS1_30default_config_static_selectorELNS0_4arch9wavefront6targetE0EEEvT1_ ; -- Begin function _ZN7rocprim17ROCPRIM_400000_NS6detail17trampoline_kernelINS0_14default_configENS1_27scan_by_key_config_selectorIxxEEZZNS1_16scan_by_key_implILNS1_25lookback_scan_determinismE0ELb0ES3_N6thrust23THRUST_200600_302600_NS6detail15normal_iteratorINS9_10device_ptrIxEEEESE_SE_xNS9_10multipliesIxEENS9_8equal_toIxEExEE10hipError_tPvRmT2_T3_T4_T5_mT6_T7_P12ihipStream_tbENKUlT_T0_E_clISt17integral_constantIbLb0EESZ_EEDaSU_SV_EUlSU_E_NS1_11comp_targetILNS1_3genE10ELNS1_11target_archE1200ELNS1_3gpuE4ELNS1_3repE0EEENS1_30default_config_static_selectorELNS0_4arch9wavefront6targetE0EEEvT1_
	.globl	_ZN7rocprim17ROCPRIM_400000_NS6detail17trampoline_kernelINS0_14default_configENS1_27scan_by_key_config_selectorIxxEEZZNS1_16scan_by_key_implILNS1_25lookback_scan_determinismE0ELb0ES3_N6thrust23THRUST_200600_302600_NS6detail15normal_iteratorINS9_10device_ptrIxEEEESE_SE_xNS9_10multipliesIxEENS9_8equal_toIxEExEE10hipError_tPvRmT2_T3_T4_T5_mT6_T7_P12ihipStream_tbENKUlT_T0_E_clISt17integral_constantIbLb0EESZ_EEDaSU_SV_EUlSU_E_NS1_11comp_targetILNS1_3genE10ELNS1_11target_archE1200ELNS1_3gpuE4ELNS1_3repE0EEENS1_30default_config_static_selectorELNS0_4arch9wavefront6targetE0EEEvT1_
	.p2align	8
	.type	_ZN7rocprim17ROCPRIM_400000_NS6detail17trampoline_kernelINS0_14default_configENS1_27scan_by_key_config_selectorIxxEEZZNS1_16scan_by_key_implILNS1_25lookback_scan_determinismE0ELb0ES3_N6thrust23THRUST_200600_302600_NS6detail15normal_iteratorINS9_10device_ptrIxEEEESE_SE_xNS9_10multipliesIxEENS9_8equal_toIxEExEE10hipError_tPvRmT2_T3_T4_T5_mT6_T7_P12ihipStream_tbENKUlT_T0_E_clISt17integral_constantIbLb0EESZ_EEDaSU_SV_EUlSU_E_NS1_11comp_targetILNS1_3genE10ELNS1_11target_archE1200ELNS1_3gpuE4ELNS1_3repE0EEENS1_30default_config_static_selectorELNS0_4arch9wavefront6targetE0EEEvT1_,@function
_ZN7rocprim17ROCPRIM_400000_NS6detail17trampoline_kernelINS0_14default_configENS1_27scan_by_key_config_selectorIxxEEZZNS1_16scan_by_key_implILNS1_25lookback_scan_determinismE0ELb0ES3_N6thrust23THRUST_200600_302600_NS6detail15normal_iteratorINS9_10device_ptrIxEEEESE_SE_xNS9_10multipliesIxEENS9_8equal_toIxEExEE10hipError_tPvRmT2_T3_T4_T5_mT6_T7_P12ihipStream_tbENKUlT_T0_E_clISt17integral_constantIbLb0EESZ_EEDaSU_SV_EUlSU_E_NS1_11comp_targetILNS1_3genE10ELNS1_11target_archE1200ELNS1_3gpuE4ELNS1_3repE0EEENS1_30default_config_static_selectorELNS0_4arch9wavefront6targetE0EEEvT1_: ; @_ZN7rocprim17ROCPRIM_400000_NS6detail17trampoline_kernelINS0_14default_configENS1_27scan_by_key_config_selectorIxxEEZZNS1_16scan_by_key_implILNS1_25lookback_scan_determinismE0ELb0ES3_N6thrust23THRUST_200600_302600_NS6detail15normal_iteratorINS9_10device_ptrIxEEEESE_SE_xNS9_10multipliesIxEENS9_8equal_toIxEExEE10hipError_tPvRmT2_T3_T4_T5_mT6_T7_P12ihipStream_tbENKUlT_T0_E_clISt17integral_constantIbLb0EESZ_EEDaSU_SV_EUlSU_E_NS1_11comp_targetILNS1_3genE10ELNS1_11target_archE1200ELNS1_3gpuE4ELNS1_3repE0EEENS1_30default_config_static_selectorELNS0_4arch9wavefront6targetE0EEEvT1_
; %bb.0:
	.section	.rodata,"a",@progbits
	.p2align	6, 0x0
	.amdhsa_kernel _ZN7rocprim17ROCPRIM_400000_NS6detail17trampoline_kernelINS0_14default_configENS1_27scan_by_key_config_selectorIxxEEZZNS1_16scan_by_key_implILNS1_25lookback_scan_determinismE0ELb0ES3_N6thrust23THRUST_200600_302600_NS6detail15normal_iteratorINS9_10device_ptrIxEEEESE_SE_xNS9_10multipliesIxEENS9_8equal_toIxEExEE10hipError_tPvRmT2_T3_T4_T5_mT6_T7_P12ihipStream_tbENKUlT_T0_E_clISt17integral_constantIbLb0EESZ_EEDaSU_SV_EUlSU_E_NS1_11comp_targetILNS1_3genE10ELNS1_11target_archE1200ELNS1_3gpuE4ELNS1_3repE0EEENS1_30default_config_static_selectorELNS0_4arch9wavefront6targetE0EEEvT1_
		.amdhsa_group_segment_fixed_size 0
		.amdhsa_private_segment_fixed_size 0
		.amdhsa_kernarg_size 136
		.amdhsa_user_sgpr_count 6
		.amdhsa_user_sgpr_private_segment_buffer 1
		.amdhsa_user_sgpr_dispatch_ptr 0
		.amdhsa_user_sgpr_queue_ptr 0
		.amdhsa_user_sgpr_kernarg_segment_ptr 1
		.amdhsa_user_sgpr_dispatch_id 0
		.amdhsa_user_sgpr_flat_scratch_init 0
		.amdhsa_user_sgpr_private_segment_size 0
		.amdhsa_wavefront_size32 1
		.amdhsa_uses_dynamic_stack 0
		.amdhsa_system_sgpr_private_segment_wavefront_offset 0
		.amdhsa_system_sgpr_workgroup_id_x 1
		.amdhsa_system_sgpr_workgroup_id_y 0
		.amdhsa_system_sgpr_workgroup_id_z 0
		.amdhsa_system_sgpr_workgroup_info 0
		.amdhsa_system_vgpr_workitem_id 0
		.amdhsa_next_free_vgpr 1
		.amdhsa_next_free_sgpr 1
		.amdhsa_reserve_vcc 0
		.amdhsa_reserve_flat_scratch 0
		.amdhsa_float_round_mode_32 0
		.amdhsa_float_round_mode_16_64 0
		.amdhsa_float_denorm_mode_32 3
		.amdhsa_float_denorm_mode_16_64 3
		.amdhsa_dx10_clamp 1
		.amdhsa_ieee_mode 1
		.amdhsa_fp16_overflow 0
		.amdhsa_workgroup_processor_mode 1
		.amdhsa_memory_ordered 1
		.amdhsa_forward_progress 1
		.amdhsa_shared_vgpr_count 0
		.amdhsa_exception_fp_ieee_invalid_op 0
		.amdhsa_exception_fp_denorm_src 0
		.amdhsa_exception_fp_ieee_div_zero 0
		.amdhsa_exception_fp_ieee_overflow 0
		.amdhsa_exception_fp_ieee_underflow 0
		.amdhsa_exception_fp_ieee_inexact 0
		.amdhsa_exception_int_div_zero 0
	.end_amdhsa_kernel
	.section	.text._ZN7rocprim17ROCPRIM_400000_NS6detail17trampoline_kernelINS0_14default_configENS1_27scan_by_key_config_selectorIxxEEZZNS1_16scan_by_key_implILNS1_25lookback_scan_determinismE0ELb0ES3_N6thrust23THRUST_200600_302600_NS6detail15normal_iteratorINS9_10device_ptrIxEEEESE_SE_xNS9_10multipliesIxEENS9_8equal_toIxEExEE10hipError_tPvRmT2_T3_T4_T5_mT6_T7_P12ihipStream_tbENKUlT_T0_E_clISt17integral_constantIbLb0EESZ_EEDaSU_SV_EUlSU_E_NS1_11comp_targetILNS1_3genE10ELNS1_11target_archE1200ELNS1_3gpuE4ELNS1_3repE0EEENS1_30default_config_static_selectorELNS0_4arch9wavefront6targetE0EEEvT1_,"axG",@progbits,_ZN7rocprim17ROCPRIM_400000_NS6detail17trampoline_kernelINS0_14default_configENS1_27scan_by_key_config_selectorIxxEEZZNS1_16scan_by_key_implILNS1_25lookback_scan_determinismE0ELb0ES3_N6thrust23THRUST_200600_302600_NS6detail15normal_iteratorINS9_10device_ptrIxEEEESE_SE_xNS9_10multipliesIxEENS9_8equal_toIxEExEE10hipError_tPvRmT2_T3_T4_T5_mT6_T7_P12ihipStream_tbENKUlT_T0_E_clISt17integral_constantIbLb0EESZ_EEDaSU_SV_EUlSU_E_NS1_11comp_targetILNS1_3genE10ELNS1_11target_archE1200ELNS1_3gpuE4ELNS1_3repE0EEENS1_30default_config_static_selectorELNS0_4arch9wavefront6targetE0EEEvT1_,comdat
.Lfunc_end53:
	.size	_ZN7rocprim17ROCPRIM_400000_NS6detail17trampoline_kernelINS0_14default_configENS1_27scan_by_key_config_selectorIxxEEZZNS1_16scan_by_key_implILNS1_25lookback_scan_determinismE0ELb0ES3_N6thrust23THRUST_200600_302600_NS6detail15normal_iteratorINS9_10device_ptrIxEEEESE_SE_xNS9_10multipliesIxEENS9_8equal_toIxEExEE10hipError_tPvRmT2_T3_T4_T5_mT6_T7_P12ihipStream_tbENKUlT_T0_E_clISt17integral_constantIbLb0EESZ_EEDaSU_SV_EUlSU_E_NS1_11comp_targetILNS1_3genE10ELNS1_11target_archE1200ELNS1_3gpuE4ELNS1_3repE0EEENS1_30default_config_static_selectorELNS0_4arch9wavefront6targetE0EEEvT1_, .Lfunc_end53-_ZN7rocprim17ROCPRIM_400000_NS6detail17trampoline_kernelINS0_14default_configENS1_27scan_by_key_config_selectorIxxEEZZNS1_16scan_by_key_implILNS1_25lookback_scan_determinismE0ELb0ES3_N6thrust23THRUST_200600_302600_NS6detail15normal_iteratorINS9_10device_ptrIxEEEESE_SE_xNS9_10multipliesIxEENS9_8equal_toIxEExEE10hipError_tPvRmT2_T3_T4_T5_mT6_T7_P12ihipStream_tbENKUlT_T0_E_clISt17integral_constantIbLb0EESZ_EEDaSU_SV_EUlSU_E_NS1_11comp_targetILNS1_3genE10ELNS1_11target_archE1200ELNS1_3gpuE4ELNS1_3repE0EEENS1_30default_config_static_selectorELNS0_4arch9wavefront6targetE0EEEvT1_
                                        ; -- End function
	.set _ZN7rocprim17ROCPRIM_400000_NS6detail17trampoline_kernelINS0_14default_configENS1_27scan_by_key_config_selectorIxxEEZZNS1_16scan_by_key_implILNS1_25lookback_scan_determinismE0ELb0ES3_N6thrust23THRUST_200600_302600_NS6detail15normal_iteratorINS9_10device_ptrIxEEEESE_SE_xNS9_10multipliesIxEENS9_8equal_toIxEExEE10hipError_tPvRmT2_T3_T4_T5_mT6_T7_P12ihipStream_tbENKUlT_T0_E_clISt17integral_constantIbLb0EESZ_EEDaSU_SV_EUlSU_E_NS1_11comp_targetILNS1_3genE10ELNS1_11target_archE1200ELNS1_3gpuE4ELNS1_3repE0EEENS1_30default_config_static_selectorELNS0_4arch9wavefront6targetE0EEEvT1_.num_vgpr, 0
	.set _ZN7rocprim17ROCPRIM_400000_NS6detail17trampoline_kernelINS0_14default_configENS1_27scan_by_key_config_selectorIxxEEZZNS1_16scan_by_key_implILNS1_25lookback_scan_determinismE0ELb0ES3_N6thrust23THRUST_200600_302600_NS6detail15normal_iteratorINS9_10device_ptrIxEEEESE_SE_xNS9_10multipliesIxEENS9_8equal_toIxEExEE10hipError_tPvRmT2_T3_T4_T5_mT6_T7_P12ihipStream_tbENKUlT_T0_E_clISt17integral_constantIbLb0EESZ_EEDaSU_SV_EUlSU_E_NS1_11comp_targetILNS1_3genE10ELNS1_11target_archE1200ELNS1_3gpuE4ELNS1_3repE0EEENS1_30default_config_static_selectorELNS0_4arch9wavefront6targetE0EEEvT1_.num_agpr, 0
	.set _ZN7rocprim17ROCPRIM_400000_NS6detail17trampoline_kernelINS0_14default_configENS1_27scan_by_key_config_selectorIxxEEZZNS1_16scan_by_key_implILNS1_25lookback_scan_determinismE0ELb0ES3_N6thrust23THRUST_200600_302600_NS6detail15normal_iteratorINS9_10device_ptrIxEEEESE_SE_xNS9_10multipliesIxEENS9_8equal_toIxEExEE10hipError_tPvRmT2_T3_T4_T5_mT6_T7_P12ihipStream_tbENKUlT_T0_E_clISt17integral_constantIbLb0EESZ_EEDaSU_SV_EUlSU_E_NS1_11comp_targetILNS1_3genE10ELNS1_11target_archE1200ELNS1_3gpuE4ELNS1_3repE0EEENS1_30default_config_static_selectorELNS0_4arch9wavefront6targetE0EEEvT1_.numbered_sgpr, 0
	.set _ZN7rocprim17ROCPRIM_400000_NS6detail17trampoline_kernelINS0_14default_configENS1_27scan_by_key_config_selectorIxxEEZZNS1_16scan_by_key_implILNS1_25lookback_scan_determinismE0ELb0ES3_N6thrust23THRUST_200600_302600_NS6detail15normal_iteratorINS9_10device_ptrIxEEEESE_SE_xNS9_10multipliesIxEENS9_8equal_toIxEExEE10hipError_tPvRmT2_T3_T4_T5_mT6_T7_P12ihipStream_tbENKUlT_T0_E_clISt17integral_constantIbLb0EESZ_EEDaSU_SV_EUlSU_E_NS1_11comp_targetILNS1_3genE10ELNS1_11target_archE1200ELNS1_3gpuE4ELNS1_3repE0EEENS1_30default_config_static_selectorELNS0_4arch9wavefront6targetE0EEEvT1_.num_named_barrier, 0
	.set _ZN7rocprim17ROCPRIM_400000_NS6detail17trampoline_kernelINS0_14default_configENS1_27scan_by_key_config_selectorIxxEEZZNS1_16scan_by_key_implILNS1_25lookback_scan_determinismE0ELb0ES3_N6thrust23THRUST_200600_302600_NS6detail15normal_iteratorINS9_10device_ptrIxEEEESE_SE_xNS9_10multipliesIxEENS9_8equal_toIxEExEE10hipError_tPvRmT2_T3_T4_T5_mT6_T7_P12ihipStream_tbENKUlT_T0_E_clISt17integral_constantIbLb0EESZ_EEDaSU_SV_EUlSU_E_NS1_11comp_targetILNS1_3genE10ELNS1_11target_archE1200ELNS1_3gpuE4ELNS1_3repE0EEENS1_30default_config_static_selectorELNS0_4arch9wavefront6targetE0EEEvT1_.private_seg_size, 0
	.set _ZN7rocprim17ROCPRIM_400000_NS6detail17trampoline_kernelINS0_14default_configENS1_27scan_by_key_config_selectorIxxEEZZNS1_16scan_by_key_implILNS1_25lookback_scan_determinismE0ELb0ES3_N6thrust23THRUST_200600_302600_NS6detail15normal_iteratorINS9_10device_ptrIxEEEESE_SE_xNS9_10multipliesIxEENS9_8equal_toIxEExEE10hipError_tPvRmT2_T3_T4_T5_mT6_T7_P12ihipStream_tbENKUlT_T0_E_clISt17integral_constantIbLb0EESZ_EEDaSU_SV_EUlSU_E_NS1_11comp_targetILNS1_3genE10ELNS1_11target_archE1200ELNS1_3gpuE4ELNS1_3repE0EEENS1_30default_config_static_selectorELNS0_4arch9wavefront6targetE0EEEvT1_.uses_vcc, 0
	.set _ZN7rocprim17ROCPRIM_400000_NS6detail17trampoline_kernelINS0_14default_configENS1_27scan_by_key_config_selectorIxxEEZZNS1_16scan_by_key_implILNS1_25lookback_scan_determinismE0ELb0ES3_N6thrust23THRUST_200600_302600_NS6detail15normal_iteratorINS9_10device_ptrIxEEEESE_SE_xNS9_10multipliesIxEENS9_8equal_toIxEExEE10hipError_tPvRmT2_T3_T4_T5_mT6_T7_P12ihipStream_tbENKUlT_T0_E_clISt17integral_constantIbLb0EESZ_EEDaSU_SV_EUlSU_E_NS1_11comp_targetILNS1_3genE10ELNS1_11target_archE1200ELNS1_3gpuE4ELNS1_3repE0EEENS1_30default_config_static_selectorELNS0_4arch9wavefront6targetE0EEEvT1_.uses_flat_scratch, 0
	.set _ZN7rocprim17ROCPRIM_400000_NS6detail17trampoline_kernelINS0_14default_configENS1_27scan_by_key_config_selectorIxxEEZZNS1_16scan_by_key_implILNS1_25lookback_scan_determinismE0ELb0ES3_N6thrust23THRUST_200600_302600_NS6detail15normal_iteratorINS9_10device_ptrIxEEEESE_SE_xNS9_10multipliesIxEENS9_8equal_toIxEExEE10hipError_tPvRmT2_T3_T4_T5_mT6_T7_P12ihipStream_tbENKUlT_T0_E_clISt17integral_constantIbLb0EESZ_EEDaSU_SV_EUlSU_E_NS1_11comp_targetILNS1_3genE10ELNS1_11target_archE1200ELNS1_3gpuE4ELNS1_3repE0EEENS1_30default_config_static_selectorELNS0_4arch9wavefront6targetE0EEEvT1_.has_dyn_sized_stack, 0
	.set _ZN7rocprim17ROCPRIM_400000_NS6detail17trampoline_kernelINS0_14default_configENS1_27scan_by_key_config_selectorIxxEEZZNS1_16scan_by_key_implILNS1_25lookback_scan_determinismE0ELb0ES3_N6thrust23THRUST_200600_302600_NS6detail15normal_iteratorINS9_10device_ptrIxEEEESE_SE_xNS9_10multipliesIxEENS9_8equal_toIxEExEE10hipError_tPvRmT2_T3_T4_T5_mT6_T7_P12ihipStream_tbENKUlT_T0_E_clISt17integral_constantIbLb0EESZ_EEDaSU_SV_EUlSU_E_NS1_11comp_targetILNS1_3genE10ELNS1_11target_archE1200ELNS1_3gpuE4ELNS1_3repE0EEENS1_30default_config_static_selectorELNS0_4arch9wavefront6targetE0EEEvT1_.has_recursion, 0
	.set _ZN7rocprim17ROCPRIM_400000_NS6detail17trampoline_kernelINS0_14default_configENS1_27scan_by_key_config_selectorIxxEEZZNS1_16scan_by_key_implILNS1_25lookback_scan_determinismE0ELb0ES3_N6thrust23THRUST_200600_302600_NS6detail15normal_iteratorINS9_10device_ptrIxEEEESE_SE_xNS9_10multipliesIxEENS9_8equal_toIxEExEE10hipError_tPvRmT2_T3_T4_T5_mT6_T7_P12ihipStream_tbENKUlT_T0_E_clISt17integral_constantIbLb0EESZ_EEDaSU_SV_EUlSU_E_NS1_11comp_targetILNS1_3genE10ELNS1_11target_archE1200ELNS1_3gpuE4ELNS1_3repE0EEENS1_30default_config_static_selectorELNS0_4arch9wavefront6targetE0EEEvT1_.has_indirect_call, 0
	.section	.AMDGPU.csdata,"",@progbits
; Kernel info:
; codeLenInByte = 0
; TotalNumSgprs: 0
; NumVgprs: 0
; ScratchSize: 0
; MemoryBound: 0
; FloatMode: 240
; IeeeMode: 1
; LDSByteSize: 0 bytes/workgroup (compile time only)
; SGPRBlocks: 0
; VGPRBlocks: 0
; NumSGPRsForWavesPerEU: 1
; NumVGPRsForWavesPerEU: 1
; Occupancy: 16
; WaveLimiterHint : 0
; COMPUTE_PGM_RSRC2:SCRATCH_EN: 0
; COMPUTE_PGM_RSRC2:USER_SGPR: 6
; COMPUTE_PGM_RSRC2:TRAP_HANDLER: 0
; COMPUTE_PGM_RSRC2:TGID_X_EN: 1
; COMPUTE_PGM_RSRC2:TGID_Y_EN: 0
; COMPUTE_PGM_RSRC2:TGID_Z_EN: 0
; COMPUTE_PGM_RSRC2:TIDIG_COMP_CNT: 0
	.section	.text._ZN7rocprim17ROCPRIM_400000_NS6detail17trampoline_kernelINS0_14default_configENS1_27scan_by_key_config_selectorIxxEEZZNS1_16scan_by_key_implILNS1_25lookback_scan_determinismE0ELb0ES3_N6thrust23THRUST_200600_302600_NS6detail15normal_iteratorINS9_10device_ptrIxEEEESE_SE_xNS9_10multipliesIxEENS9_8equal_toIxEExEE10hipError_tPvRmT2_T3_T4_T5_mT6_T7_P12ihipStream_tbENKUlT_T0_E_clISt17integral_constantIbLb0EESZ_EEDaSU_SV_EUlSU_E_NS1_11comp_targetILNS1_3genE9ELNS1_11target_archE1100ELNS1_3gpuE3ELNS1_3repE0EEENS1_30default_config_static_selectorELNS0_4arch9wavefront6targetE0EEEvT1_,"axG",@progbits,_ZN7rocprim17ROCPRIM_400000_NS6detail17trampoline_kernelINS0_14default_configENS1_27scan_by_key_config_selectorIxxEEZZNS1_16scan_by_key_implILNS1_25lookback_scan_determinismE0ELb0ES3_N6thrust23THRUST_200600_302600_NS6detail15normal_iteratorINS9_10device_ptrIxEEEESE_SE_xNS9_10multipliesIxEENS9_8equal_toIxEExEE10hipError_tPvRmT2_T3_T4_T5_mT6_T7_P12ihipStream_tbENKUlT_T0_E_clISt17integral_constantIbLb0EESZ_EEDaSU_SV_EUlSU_E_NS1_11comp_targetILNS1_3genE9ELNS1_11target_archE1100ELNS1_3gpuE3ELNS1_3repE0EEENS1_30default_config_static_selectorELNS0_4arch9wavefront6targetE0EEEvT1_,comdat
	.protected	_ZN7rocprim17ROCPRIM_400000_NS6detail17trampoline_kernelINS0_14default_configENS1_27scan_by_key_config_selectorIxxEEZZNS1_16scan_by_key_implILNS1_25lookback_scan_determinismE0ELb0ES3_N6thrust23THRUST_200600_302600_NS6detail15normal_iteratorINS9_10device_ptrIxEEEESE_SE_xNS9_10multipliesIxEENS9_8equal_toIxEExEE10hipError_tPvRmT2_T3_T4_T5_mT6_T7_P12ihipStream_tbENKUlT_T0_E_clISt17integral_constantIbLb0EESZ_EEDaSU_SV_EUlSU_E_NS1_11comp_targetILNS1_3genE9ELNS1_11target_archE1100ELNS1_3gpuE3ELNS1_3repE0EEENS1_30default_config_static_selectorELNS0_4arch9wavefront6targetE0EEEvT1_ ; -- Begin function _ZN7rocprim17ROCPRIM_400000_NS6detail17trampoline_kernelINS0_14default_configENS1_27scan_by_key_config_selectorIxxEEZZNS1_16scan_by_key_implILNS1_25lookback_scan_determinismE0ELb0ES3_N6thrust23THRUST_200600_302600_NS6detail15normal_iteratorINS9_10device_ptrIxEEEESE_SE_xNS9_10multipliesIxEENS9_8equal_toIxEExEE10hipError_tPvRmT2_T3_T4_T5_mT6_T7_P12ihipStream_tbENKUlT_T0_E_clISt17integral_constantIbLb0EESZ_EEDaSU_SV_EUlSU_E_NS1_11comp_targetILNS1_3genE9ELNS1_11target_archE1100ELNS1_3gpuE3ELNS1_3repE0EEENS1_30default_config_static_selectorELNS0_4arch9wavefront6targetE0EEEvT1_
	.globl	_ZN7rocprim17ROCPRIM_400000_NS6detail17trampoline_kernelINS0_14default_configENS1_27scan_by_key_config_selectorIxxEEZZNS1_16scan_by_key_implILNS1_25lookback_scan_determinismE0ELb0ES3_N6thrust23THRUST_200600_302600_NS6detail15normal_iteratorINS9_10device_ptrIxEEEESE_SE_xNS9_10multipliesIxEENS9_8equal_toIxEExEE10hipError_tPvRmT2_T3_T4_T5_mT6_T7_P12ihipStream_tbENKUlT_T0_E_clISt17integral_constantIbLb0EESZ_EEDaSU_SV_EUlSU_E_NS1_11comp_targetILNS1_3genE9ELNS1_11target_archE1100ELNS1_3gpuE3ELNS1_3repE0EEENS1_30default_config_static_selectorELNS0_4arch9wavefront6targetE0EEEvT1_
	.p2align	8
	.type	_ZN7rocprim17ROCPRIM_400000_NS6detail17trampoline_kernelINS0_14default_configENS1_27scan_by_key_config_selectorIxxEEZZNS1_16scan_by_key_implILNS1_25lookback_scan_determinismE0ELb0ES3_N6thrust23THRUST_200600_302600_NS6detail15normal_iteratorINS9_10device_ptrIxEEEESE_SE_xNS9_10multipliesIxEENS9_8equal_toIxEExEE10hipError_tPvRmT2_T3_T4_T5_mT6_T7_P12ihipStream_tbENKUlT_T0_E_clISt17integral_constantIbLb0EESZ_EEDaSU_SV_EUlSU_E_NS1_11comp_targetILNS1_3genE9ELNS1_11target_archE1100ELNS1_3gpuE3ELNS1_3repE0EEENS1_30default_config_static_selectorELNS0_4arch9wavefront6targetE0EEEvT1_,@function
_ZN7rocprim17ROCPRIM_400000_NS6detail17trampoline_kernelINS0_14default_configENS1_27scan_by_key_config_selectorIxxEEZZNS1_16scan_by_key_implILNS1_25lookback_scan_determinismE0ELb0ES3_N6thrust23THRUST_200600_302600_NS6detail15normal_iteratorINS9_10device_ptrIxEEEESE_SE_xNS9_10multipliesIxEENS9_8equal_toIxEExEE10hipError_tPvRmT2_T3_T4_T5_mT6_T7_P12ihipStream_tbENKUlT_T0_E_clISt17integral_constantIbLb0EESZ_EEDaSU_SV_EUlSU_E_NS1_11comp_targetILNS1_3genE9ELNS1_11target_archE1100ELNS1_3gpuE3ELNS1_3repE0EEENS1_30default_config_static_selectorELNS0_4arch9wavefront6targetE0EEEvT1_: ; @_ZN7rocprim17ROCPRIM_400000_NS6detail17trampoline_kernelINS0_14default_configENS1_27scan_by_key_config_selectorIxxEEZZNS1_16scan_by_key_implILNS1_25lookback_scan_determinismE0ELb0ES3_N6thrust23THRUST_200600_302600_NS6detail15normal_iteratorINS9_10device_ptrIxEEEESE_SE_xNS9_10multipliesIxEENS9_8equal_toIxEExEE10hipError_tPvRmT2_T3_T4_T5_mT6_T7_P12ihipStream_tbENKUlT_T0_E_clISt17integral_constantIbLb0EESZ_EEDaSU_SV_EUlSU_E_NS1_11comp_targetILNS1_3genE9ELNS1_11target_archE1100ELNS1_3gpuE3ELNS1_3repE0EEENS1_30default_config_static_selectorELNS0_4arch9wavefront6targetE0EEEvT1_
; %bb.0:
	.section	.rodata,"a",@progbits
	.p2align	6, 0x0
	.amdhsa_kernel _ZN7rocprim17ROCPRIM_400000_NS6detail17trampoline_kernelINS0_14default_configENS1_27scan_by_key_config_selectorIxxEEZZNS1_16scan_by_key_implILNS1_25lookback_scan_determinismE0ELb0ES3_N6thrust23THRUST_200600_302600_NS6detail15normal_iteratorINS9_10device_ptrIxEEEESE_SE_xNS9_10multipliesIxEENS9_8equal_toIxEExEE10hipError_tPvRmT2_T3_T4_T5_mT6_T7_P12ihipStream_tbENKUlT_T0_E_clISt17integral_constantIbLb0EESZ_EEDaSU_SV_EUlSU_E_NS1_11comp_targetILNS1_3genE9ELNS1_11target_archE1100ELNS1_3gpuE3ELNS1_3repE0EEENS1_30default_config_static_selectorELNS0_4arch9wavefront6targetE0EEEvT1_
		.amdhsa_group_segment_fixed_size 0
		.amdhsa_private_segment_fixed_size 0
		.amdhsa_kernarg_size 136
		.amdhsa_user_sgpr_count 6
		.amdhsa_user_sgpr_private_segment_buffer 1
		.amdhsa_user_sgpr_dispatch_ptr 0
		.amdhsa_user_sgpr_queue_ptr 0
		.amdhsa_user_sgpr_kernarg_segment_ptr 1
		.amdhsa_user_sgpr_dispatch_id 0
		.amdhsa_user_sgpr_flat_scratch_init 0
		.amdhsa_user_sgpr_private_segment_size 0
		.amdhsa_wavefront_size32 1
		.amdhsa_uses_dynamic_stack 0
		.amdhsa_system_sgpr_private_segment_wavefront_offset 0
		.amdhsa_system_sgpr_workgroup_id_x 1
		.amdhsa_system_sgpr_workgroup_id_y 0
		.amdhsa_system_sgpr_workgroup_id_z 0
		.amdhsa_system_sgpr_workgroup_info 0
		.amdhsa_system_vgpr_workitem_id 0
		.amdhsa_next_free_vgpr 1
		.amdhsa_next_free_sgpr 1
		.amdhsa_reserve_vcc 0
		.amdhsa_reserve_flat_scratch 0
		.amdhsa_float_round_mode_32 0
		.amdhsa_float_round_mode_16_64 0
		.amdhsa_float_denorm_mode_32 3
		.amdhsa_float_denorm_mode_16_64 3
		.amdhsa_dx10_clamp 1
		.amdhsa_ieee_mode 1
		.amdhsa_fp16_overflow 0
		.amdhsa_workgroup_processor_mode 1
		.amdhsa_memory_ordered 1
		.amdhsa_forward_progress 1
		.amdhsa_shared_vgpr_count 0
		.amdhsa_exception_fp_ieee_invalid_op 0
		.amdhsa_exception_fp_denorm_src 0
		.amdhsa_exception_fp_ieee_div_zero 0
		.amdhsa_exception_fp_ieee_overflow 0
		.amdhsa_exception_fp_ieee_underflow 0
		.amdhsa_exception_fp_ieee_inexact 0
		.amdhsa_exception_int_div_zero 0
	.end_amdhsa_kernel
	.section	.text._ZN7rocprim17ROCPRIM_400000_NS6detail17trampoline_kernelINS0_14default_configENS1_27scan_by_key_config_selectorIxxEEZZNS1_16scan_by_key_implILNS1_25lookback_scan_determinismE0ELb0ES3_N6thrust23THRUST_200600_302600_NS6detail15normal_iteratorINS9_10device_ptrIxEEEESE_SE_xNS9_10multipliesIxEENS9_8equal_toIxEExEE10hipError_tPvRmT2_T3_T4_T5_mT6_T7_P12ihipStream_tbENKUlT_T0_E_clISt17integral_constantIbLb0EESZ_EEDaSU_SV_EUlSU_E_NS1_11comp_targetILNS1_3genE9ELNS1_11target_archE1100ELNS1_3gpuE3ELNS1_3repE0EEENS1_30default_config_static_selectorELNS0_4arch9wavefront6targetE0EEEvT1_,"axG",@progbits,_ZN7rocprim17ROCPRIM_400000_NS6detail17trampoline_kernelINS0_14default_configENS1_27scan_by_key_config_selectorIxxEEZZNS1_16scan_by_key_implILNS1_25lookback_scan_determinismE0ELb0ES3_N6thrust23THRUST_200600_302600_NS6detail15normal_iteratorINS9_10device_ptrIxEEEESE_SE_xNS9_10multipliesIxEENS9_8equal_toIxEExEE10hipError_tPvRmT2_T3_T4_T5_mT6_T7_P12ihipStream_tbENKUlT_T0_E_clISt17integral_constantIbLb0EESZ_EEDaSU_SV_EUlSU_E_NS1_11comp_targetILNS1_3genE9ELNS1_11target_archE1100ELNS1_3gpuE3ELNS1_3repE0EEENS1_30default_config_static_selectorELNS0_4arch9wavefront6targetE0EEEvT1_,comdat
.Lfunc_end54:
	.size	_ZN7rocprim17ROCPRIM_400000_NS6detail17trampoline_kernelINS0_14default_configENS1_27scan_by_key_config_selectorIxxEEZZNS1_16scan_by_key_implILNS1_25lookback_scan_determinismE0ELb0ES3_N6thrust23THRUST_200600_302600_NS6detail15normal_iteratorINS9_10device_ptrIxEEEESE_SE_xNS9_10multipliesIxEENS9_8equal_toIxEExEE10hipError_tPvRmT2_T3_T4_T5_mT6_T7_P12ihipStream_tbENKUlT_T0_E_clISt17integral_constantIbLb0EESZ_EEDaSU_SV_EUlSU_E_NS1_11comp_targetILNS1_3genE9ELNS1_11target_archE1100ELNS1_3gpuE3ELNS1_3repE0EEENS1_30default_config_static_selectorELNS0_4arch9wavefront6targetE0EEEvT1_, .Lfunc_end54-_ZN7rocprim17ROCPRIM_400000_NS6detail17trampoline_kernelINS0_14default_configENS1_27scan_by_key_config_selectorIxxEEZZNS1_16scan_by_key_implILNS1_25lookback_scan_determinismE0ELb0ES3_N6thrust23THRUST_200600_302600_NS6detail15normal_iteratorINS9_10device_ptrIxEEEESE_SE_xNS9_10multipliesIxEENS9_8equal_toIxEExEE10hipError_tPvRmT2_T3_T4_T5_mT6_T7_P12ihipStream_tbENKUlT_T0_E_clISt17integral_constantIbLb0EESZ_EEDaSU_SV_EUlSU_E_NS1_11comp_targetILNS1_3genE9ELNS1_11target_archE1100ELNS1_3gpuE3ELNS1_3repE0EEENS1_30default_config_static_selectorELNS0_4arch9wavefront6targetE0EEEvT1_
                                        ; -- End function
	.set _ZN7rocprim17ROCPRIM_400000_NS6detail17trampoline_kernelINS0_14default_configENS1_27scan_by_key_config_selectorIxxEEZZNS1_16scan_by_key_implILNS1_25lookback_scan_determinismE0ELb0ES3_N6thrust23THRUST_200600_302600_NS6detail15normal_iteratorINS9_10device_ptrIxEEEESE_SE_xNS9_10multipliesIxEENS9_8equal_toIxEExEE10hipError_tPvRmT2_T3_T4_T5_mT6_T7_P12ihipStream_tbENKUlT_T0_E_clISt17integral_constantIbLb0EESZ_EEDaSU_SV_EUlSU_E_NS1_11comp_targetILNS1_3genE9ELNS1_11target_archE1100ELNS1_3gpuE3ELNS1_3repE0EEENS1_30default_config_static_selectorELNS0_4arch9wavefront6targetE0EEEvT1_.num_vgpr, 0
	.set _ZN7rocprim17ROCPRIM_400000_NS6detail17trampoline_kernelINS0_14default_configENS1_27scan_by_key_config_selectorIxxEEZZNS1_16scan_by_key_implILNS1_25lookback_scan_determinismE0ELb0ES3_N6thrust23THRUST_200600_302600_NS6detail15normal_iteratorINS9_10device_ptrIxEEEESE_SE_xNS9_10multipliesIxEENS9_8equal_toIxEExEE10hipError_tPvRmT2_T3_T4_T5_mT6_T7_P12ihipStream_tbENKUlT_T0_E_clISt17integral_constantIbLb0EESZ_EEDaSU_SV_EUlSU_E_NS1_11comp_targetILNS1_3genE9ELNS1_11target_archE1100ELNS1_3gpuE3ELNS1_3repE0EEENS1_30default_config_static_selectorELNS0_4arch9wavefront6targetE0EEEvT1_.num_agpr, 0
	.set _ZN7rocprim17ROCPRIM_400000_NS6detail17trampoline_kernelINS0_14default_configENS1_27scan_by_key_config_selectorIxxEEZZNS1_16scan_by_key_implILNS1_25lookback_scan_determinismE0ELb0ES3_N6thrust23THRUST_200600_302600_NS6detail15normal_iteratorINS9_10device_ptrIxEEEESE_SE_xNS9_10multipliesIxEENS9_8equal_toIxEExEE10hipError_tPvRmT2_T3_T4_T5_mT6_T7_P12ihipStream_tbENKUlT_T0_E_clISt17integral_constantIbLb0EESZ_EEDaSU_SV_EUlSU_E_NS1_11comp_targetILNS1_3genE9ELNS1_11target_archE1100ELNS1_3gpuE3ELNS1_3repE0EEENS1_30default_config_static_selectorELNS0_4arch9wavefront6targetE0EEEvT1_.numbered_sgpr, 0
	.set _ZN7rocprim17ROCPRIM_400000_NS6detail17trampoline_kernelINS0_14default_configENS1_27scan_by_key_config_selectorIxxEEZZNS1_16scan_by_key_implILNS1_25lookback_scan_determinismE0ELb0ES3_N6thrust23THRUST_200600_302600_NS6detail15normal_iteratorINS9_10device_ptrIxEEEESE_SE_xNS9_10multipliesIxEENS9_8equal_toIxEExEE10hipError_tPvRmT2_T3_T4_T5_mT6_T7_P12ihipStream_tbENKUlT_T0_E_clISt17integral_constantIbLb0EESZ_EEDaSU_SV_EUlSU_E_NS1_11comp_targetILNS1_3genE9ELNS1_11target_archE1100ELNS1_3gpuE3ELNS1_3repE0EEENS1_30default_config_static_selectorELNS0_4arch9wavefront6targetE0EEEvT1_.num_named_barrier, 0
	.set _ZN7rocprim17ROCPRIM_400000_NS6detail17trampoline_kernelINS0_14default_configENS1_27scan_by_key_config_selectorIxxEEZZNS1_16scan_by_key_implILNS1_25lookback_scan_determinismE0ELb0ES3_N6thrust23THRUST_200600_302600_NS6detail15normal_iteratorINS9_10device_ptrIxEEEESE_SE_xNS9_10multipliesIxEENS9_8equal_toIxEExEE10hipError_tPvRmT2_T3_T4_T5_mT6_T7_P12ihipStream_tbENKUlT_T0_E_clISt17integral_constantIbLb0EESZ_EEDaSU_SV_EUlSU_E_NS1_11comp_targetILNS1_3genE9ELNS1_11target_archE1100ELNS1_3gpuE3ELNS1_3repE0EEENS1_30default_config_static_selectorELNS0_4arch9wavefront6targetE0EEEvT1_.private_seg_size, 0
	.set _ZN7rocprim17ROCPRIM_400000_NS6detail17trampoline_kernelINS0_14default_configENS1_27scan_by_key_config_selectorIxxEEZZNS1_16scan_by_key_implILNS1_25lookback_scan_determinismE0ELb0ES3_N6thrust23THRUST_200600_302600_NS6detail15normal_iteratorINS9_10device_ptrIxEEEESE_SE_xNS9_10multipliesIxEENS9_8equal_toIxEExEE10hipError_tPvRmT2_T3_T4_T5_mT6_T7_P12ihipStream_tbENKUlT_T0_E_clISt17integral_constantIbLb0EESZ_EEDaSU_SV_EUlSU_E_NS1_11comp_targetILNS1_3genE9ELNS1_11target_archE1100ELNS1_3gpuE3ELNS1_3repE0EEENS1_30default_config_static_selectorELNS0_4arch9wavefront6targetE0EEEvT1_.uses_vcc, 0
	.set _ZN7rocprim17ROCPRIM_400000_NS6detail17trampoline_kernelINS0_14default_configENS1_27scan_by_key_config_selectorIxxEEZZNS1_16scan_by_key_implILNS1_25lookback_scan_determinismE0ELb0ES3_N6thrust23THRUST_200600_302600_NS6detail15normal_iteratorINS9_10device_ptrIxEEEESE_SE_xNS9_10multipliesIxEENS9_8equal_toIxEExEE10hipError_tPvRmT2_T3_T4_T5_mT6_T7_P12ihipStream_tbENKUlT_T0_E_clISt17integral_constantIbLb0EESZ_EEDaSU_SV_EUlSU_E_NS1_11comp_targetILNS1_3genE9ELNS1_11target_archE1100ELNS1_3gpuE3ELNS1_3repE0EEENS1_30default_config_static_selectorELNS0_4arch9wavefront6targetE0EEEvT1_.uses_flat_scratch, 0
	.set _ZN7rocprim17ROCPRIM_400000_NS6detail17trampoline_kernelINS0_14default_configENS1_27scan_by_key_config_selectorIxxEEZZNS1_16scan_by_key_implILNS1_25lookback_scan_determinismE0ELb0ES3_N6thrust23THRUST_200600_302600_NS6detail15normal_iteratorINS9_10device_ptrIxEEEESE_SE_xNS9_10multipliesIxEENS9_8equal_toIxEExEE10hipError_tPvRmT2_T3_T4_T5_mT6_T7_P12ihipStream_tbENKUlT_T0_E_clISt17integral_constantIbLb0EESZ_EEDaSU_SV_EUlSU_E_NS1_11comp_targetILNS1_3genE9ELNS1_11target_archE1100ELNS1_3gpuE3ELNS1_3repE0EEENS1_30default_config_static_selectorELNS0_4arch9wavefront6targetE0EEEvT1_.has_dyn_sized_stack, 0
	.set _ZN7rocprim17ROCPRIM_400000_NS6detail17trampoline_kernelINS0_14default_configENS1_27scan_by_key_config_selectorIxxEEZZNS1_16scan_by_key_implILNS1_25lookback_scan_determinismE0ELb0ES3_N6thrust23THRUST_200600_302600_NS6detail15normal_iteratorINS9_10device_ptrIxEEEESE_SE_xNS9_10multipliesIxEENS9_8equal_toIxEExEE10hipError_tPvRmT2_T3_T4_T5_mT6_T7_P12ihipStream_tbENKUlT_T0_E_clISt17integral_constantIbLb0EESZ_EEDaSU_SV_EUlSU_E_NS1_11comp_targetILNS1_3genE9ELNS1_11target_archE1100ELNS1_3gpuE3ELNS1_3repE0EEENS1_30default_config_static_selectorELNS0_4arch9wavefront6targetE0EEEvT1_.has_recursion, 0
	.set _ZN7rocprim17ROCPRIM_400000_NS6detail17trampoline_kernelINS0_14default_configENS1_27scan_by_key_config_selectorIxxEEZZNS1_16scan_by_key_implILNS1_25lookback_scan_determinismE0ELb0ES3_N6thrust23THRUST_200600_302600_NS6detail15normal_iteratorINS9_10device_ptrIxEEEESE_SE_xNS9_10multipliesIxEENS9_8equal_toIxEExEE10hipError_tPvRmT2_T3_T4_T5_mT6_T7_P12ihipStream_tbENKUlT_T0_E_clISt17integral_constantIbLb0EESZ_EEDaSU_SV_EUlSU_E_NS1_11comp_targetILNS1_3genE9ELNS1_11target_archE1100ELNS1_3gpuE3ELNS1_3repE0EEENS1_30default_config_static_selectorELNS0_4arch9wavefront6targetE0EEEvT1_.has_indirect_call, 0
	.section	.AMDGPU.csdata,"",@progbits
; Kernel info:
; codeLenInByte = 0
; TotalNumSgprs: 0
; NumVgprs: 0
; ScratchSize: 0
; MemoryBound: 0
; FloatMode: 240
; IeeeMode: 1
; LDSByteSize: 0 bytes/workgroup (compile time only)
; SGPRBlocks: 0
; VGPRBlocks: 0
; NumSGPRsForWavesPerEU: 1
; NumVGPRsForWavesPerEU: 1
; Occupancy: 16
; WaveLimiterHint : 0
; COMPUTE_PGM_RSRC2:SCRATCH_EN: 0
; COMPUTE_PGM_RSRC2:USER_SGPR: 6
; COMPUTE_PGM_RSRC2:TRAP_HANDLER: 0
; COMPUTE_PGM_RSRC2:TGID_X_EN: 1
; COMPUTE_PGM_RSRC2:TGID_Y_EN: 0
; COMPUTE_PGM_RSRC2:TGID_Z_EN: 0
; COMPUTE_PGM_RSRC2:TIDIG_COMP_CNT: 0
	.section	.text._ZN7rocprim17ROCPRIM_400000_NS6detail17trampoline_kernelINS0_14default_configENS1_27scan_by_key_config_selectorIxxEEZZNS1_16scan_by_key_implILNS1_25lookback_scan_determinismE0ELb0ES3_N6thrust23THRUST_200600_302600_NS6detail15normal_iteratorINS9_10device_ptrIxEEEESE_SE_xNS9_10multipliesIxEENS9_8equal_toIxEExEE10hipError_tPvRmT2_T3_T4_T5_mT6_T7_P12ihipStream_tbENKUlT_T0_E_clISt17integral_constantIbLb0EESZ_EEDaSU_SV_EUlSU_E_NS1_11comp_targetILNS1_3genE8ELNS1_11target_archE1030ELNS1_3gpuE2ELNS1_3repE0EEENS1_30default_config_static_selectorELNS0_4arch9wavefront6targetE0EEEvT1_,"axG",@progbits,_ZN7rocprim17ROCPRIM_400000_NS6detail17trampoline_kernelINS0_14default_configENS1_27scan_by_key_config_selectorIxxEEZZNS1_16scan_by_key_implILNS1_25lookback_scan_determinismE0ELb0ES3_N6thrust23THRUST_200600_302600_NS6detail15normal_iteratorINS9_10device_ptrIxEEEESE_SE_xNS9_10multipliesIxEENS9_8equal_toIxEExEE10hipError_tPvRmT2_T3_T4_T5_mT6_T7_P12ihipStream_tbENKUlT_T0_E_clISt17integral_constantIbLb0EESZ_EEDaSU_SV_EUlSU_E_NS1_11comp_targetILNS1_3genE8ELNS1_11target_archE1030ELNS1_3gpuE2ELNS1_3repE0EEENS1_30default_config_static_selectorELNS0_4arch9wavefront6targetE0EEEvT1_,comdat
	.protected	_ZN7rocprim17ROCPRIM_400000_NS6detail17trampoline_kernelINS0_14default_configENS1_27scan_by_key_config_selectorIxxEEZZNS1_16scan_by_key_implILNS1_25lookback_scan_determinismE0ELb0ES3_N6thrust23THRUST_200600_302600_NS6detail15normal_iteratorINS9_10device_ptrIxEEEESE_SE_xNS9_10multipliesIxEENS9_8equal_toIxEExEE10hipError_tPvRmT2_T3_T4_T5_mT6_T7_P12ihipStream_tbENKUlT_T0_E_clISt17integral_constantIbLb0EESZ_EEDaSU_SV_EUlSU_E_NS1_11comp_targetILNS1_3genE8ELNS1_11target_archE1030ELNS1_3gpuE2ELNS1_3repE0EEENS1_30default_config_static_selectorELNS0_4arch9wavefront6targetE0EEEvT1_ ; -- Begin function _ZN7rocprim17ROCPRIM_400000_NS6detail17trampoline_kernelINS0_14default_configENS1_27scan_by_key_config_selectorIxxEEZZNS1_16scan_by_key_implILNS1_25lookback_scan_determinismE0ELb0ES3_N6thrust23THRUST_200600_302600_NS6detail15normal_iteratorINS9_10device_ptrIxEEEESE_SE_xNS9_10multipliesIxEENS9_8equal_toIxEExEE10hipError_tPvRmT2_T3_T4_T5_mT6_T7_P12ihipStream_tbENKUlT_T0_E_clISt17integral_constantIbLb0EESZ_EEDaSU_SV_EUlSU_E_NS1_11comp_targetILNS1_3genE8ELNS1_11target_archE1030ELNS1_3gpuE2ELNS1_3repE0EEENS1_30default_config_static_selectorELNS0_4arch9wavefront6targetE0EEEvT1_
	.globl	_ZN7rocprim17ROCPRIM_400000_NS6detail17trampoline_kernelINS0_14default_configENS1_27scan_by_key_config_selectorIxxEEZZNS1_16scan_by_key_implILNS1_25lookback_scan_determinismE0ELb0ES3_N6thrust23THRUST_200600_302600_NS6detail15normal_iteratorINS9_10device_ptrIxEEEESE_SE_xNS9_10multipliesIxEENS9_8equal_toIxEExEE10hipError_tPvRmT2_T3_T4_T5_mT6_T7_P12ihipStream_tbENKUlT_T0_E_clISt17integral_constantIbLb0EESZ_EEDaSU_SV_EUlSU_E_NS1_11comp_targetILNS1_3genE8ELNS1_11target_archE1030ELNS1_3gpuE2ELNS1_3repE0EEENS1_30default_config_static_selectorELNS0_4arch9wavefront6targetE0EEEvT1_
	.p2align	8
	.type	_ZN7rocprim17ROCPRIM_400000_NS6detail17trampoline_kernelINS0_14default_configENS1_27scan_by_key_config_selectorIxxEEZZNS1_16scan_by_key_implILNS1_25lookback_scan_determinismE0ELb0ES3_N6thrust23THRUST_200600_302600_NS6detail15normal_iteratorINS9_10device_ptrIxEEEESE_SE_xNS9_10multipliesIxEENS9_8equal_toIxEExEE10hipError_tPvRmT2_T3_T4_T5_mT6_T7_P12ihipStream_tbENKUlT_T0_E_clISt17integral_constantIbLb0EESZ_EEDaSU_SV_EUlSU_E_NS1_11comp_targetILNS1_3genE8ELNS1_11target_archE1030ELNS1_3gpuE2ELNS1_3repE0EEENS1_30default_config_static_selectorELNS0_4arch9wavefront6targetE0EEEvT1_,@function
_ZN7rocprim17ROCPRIM_400000_NS6detail17trampoline_kernelINS0_14default_configENS1_27scan_by_key_config_selectorIxxEEZZNS1_16scan_by_key_implILNS1_25lookback_scan_determinismE0ELb0ES3_N6thrust23THRUST_200600_302600_NS6detail15normal_iteratorINS9_10device_ptrIxEEEESE_SE_xNS9_10multipliesIxEENS9_8equal_toIxEExEE10hipError_tPvRmT2_T3_T4_T5_mT6_T7_P12ihipStream_tbENKUlT_T0_E_clISt17integral_constantIbLb0EESZ_EEDaSU_SV_EUlSU_E_NS1_11comp_targetILNS1_3genE8ELNS1_11target_archE1030ELNS1_3gpuE2ELNS1_3repE0EEENS1_30default_config_static_selectorELNS0_4arch9wavefront6targetE0EEEvT1_: ; @_ZN7rocprim17ROCPRIM_400000_NS6detail17trampoline_kernelINS0_14default_configENS1_27scan_by_key_config_selectorIxxEEZZNS1_16scan_by_key_implILNS1_25lookback_scan_determinismE0ELb0ES3_N6thrust23THRUST_200600_302600_NS6detail15normal_iteratorINS9_10device_ptrIxEEEESE_SE_xNS9_10multipliesIxEENS9_8equal_toIxEExEE10hipError_tPvRmT2_T3_T4_T5_mT6_T7_P12ihipStream_tbENKUlT_T0_E_clISt17integral_constantIbLb0EESZ_EEDaSU_SV_EUlSU_E_NS1_11comp_targetILNS1_3genE8ELNS1_11target_archE1030ELNS1_3gpuE2ELNS1_3repE0EEENS1_30default_config_static_selectorELNS0_4arch9wavefront6targetE0EEEvT1_
; %bb.0:
	s_clause 0x4
	s_load_dwordx8 s[12:19], s[4:5], 0x0
	s_load_dwordx2 s[34:35], s[4:5], 0x50
	s_load_dword s2, s[4:5], 0x58
	s_load_dwordx8 s[36:43], s[4:5], 0x60
	s_load_dwordx8 s[20:27], s[4:5], 0x30
	s_mov_b32 s1, 0
	s_waitcnt lgkmcnt(0)
	s_barrier
	buffer_gl0_inv
	s_lshl_b64 s[28:29], s[14:15], 3
	s_add_u32 s4, s12, s28
	s_mul_i32 s0, s35, s2
	s_mul_hi_u32 s3, s34, s2
	s_addc_u32 s5, s13, s29
	s_add_u32 s7, s16, s28
	s_addc_u32 s8, s17, s29
	s_add_i32 s3, s3, s0
	s_cmp_lg_u64 s[40:41], 0
	s_mul_i32 s0, s6, 0xd00
	s_cselect_b32 s44, -1, 0
	s_lshl_b64 s[30:31], s[0:1], 3
	s_mul_i32 s0, s34, s2
	s_add_u32 s14, s4, s30
	s_addc_u32 s15, s5, s31
	s_add_u32 s40, s7, s30
	s_addc_u32 s41, s8, s31
	;; [unrolled: 2-line block ×3, first 2 shown]
	s_add_u32 s2, s36, -1
	s_addc_u32 s3, s37, -1
	s_mul_i32 s33, s2, 0xfffff300
	v_cmp_ge_u64_e64 s27, s[16:17], s[2:3]
	s_and_b32 vcc_lo, exec_lo, s27
	s_cbranch_vccz .LBB55_72
; %bb.1:
	v_mov_b32_e32 v1, s14
	v_mov_b32_e32 v2, s15
	s_add_i32 s45, s33, s26
	v_cmp_gt_u32_e64 s0, s45, v0
	flat_load_dwordx2 v[1:2], v[1:2]
	s_waitcnt vmcnt(0) lgkmcnt(0)
	v_mov_b32_e32 v4, v2
	v_mov_b32_e32 v3, v1
	s_and_saveexec_b32 s1, s0
	s_cbranch_execz .LBB55_3
; %bb.2:
	v_lshlrev_b32_e32 v3, 3, v0
	v_add_co_u32 v3, s2, s14, v3
	v_add_co_ci_u32_e64 v4, null, s15, 0, s2
	flat_load_dwordx2 v[3:4], v[3:4]
.LBB55_3:
	s_or_b32 exec_lo, exec_lo, s1
	v_or_b32_e32 v5, 0x100, v0
	v_cmp_gt_u32_e64 s1, s45, v5
	v_lshlrev_b32_e32 v27, 3, v5
	v_mov_b32_e32 v6, v2
	v_mov_b32_e32 v5, v1
	s_and_saveexec_b32 s2, s1
	s_cbranch_execz .LBB55_5
; %bb.4:
	v_add_co_u32 v5, s3, s14, v27
	v_add_co_ci_u32_e64 v6, null, s15, 0, s3
	flat_load_dwordx2 v[5:6], v[5:6]
.LBB55_5:
	s_or_b32 exec_lo, exec_lo, s2
	v_or_b32_e32 v7, 0x200, v0
	v_cmp_gt_u32_e64 s2, s45, v7
	v_lshlrev_b32_e32 v28, 3, v7
	v_mov_b32_e32 v8, v2
	v_mov_b32_e32 v7, v1
	s_and_saveexec_b32 s3, s2
	s_cbranch_execz .LBB55_7
; %bb.6:
	v_add_co_u32 v7, s4, s14, v28
	v_add_co_ci_u32_e64 v8, null, s15, 0, s4
	flat_load_dwordx2 v[7:8], v[7:8]
.LBB55_7:
	;; [unrolled: 13-line block ×11, first 2 shown]
	s_or_b32 exec_lo, exec_lo, s13
	v_or_b32_e32 v38, 0xc00, v0
	v_cmp_gt_u32_e64 s13, s45, v38
	v_lshlrev_b32_e32 v38, 3, v38
	s_and_saveexec_b32 s36, s13
	s_cbranch_execz .LBB55_27
; %bb.26:
	v_add_co_u32 v1, s37, s14, v38
	v_add_co_ci_u32_e64 v2, null, s15, 0, s37
	flat_load_dwordx2 v[1:2], v[1:2]
.LBB55_27:
	s_or_b32 exec_lo, exec_lo, s36
	v_lshlrev_b32_e32 v39, 3, v0
	s_cmp_eq_u64 s[16:17], 0
	s_mov_b64 s[36:37], s[14:15]
	s_waitcnt vmcnt(0) lgkmcnt(0)
	ds_write2st64_b64 v39, v[3:4], v[5:6] offset1:4
	ds_write2st64_b64 v39, v[7:8], v[9:10] offset0:8 offset1:12
	ds_write2st64_b64 v39, v[11:12], v[13:14] offset0:16 offset1:20
	;; [unrolled: 1-line block ×5, first 2 shown]
	v_mad_u32_u24 v101, 0x60, v0, v39
	ds_write_b64 v39, v[1:2] offset:24576
	s_waitcnt lgkmcnt(0)
	s_barrier
	buffer_gl0_inv
	ds_read2_b64 v[65:68], v101 offset0:2 offset1:3
	ds_read2_b64 v[57:60], v101 offset0:3 offset1:4
	ds_read2_b64 v[69:72], v101 offset1:1
	ds_read2_b64 v[73:76], v101 offset0:1 offset1:2
	ds_read2_b64 v[49:52], v101 offset0:7 offset1:8
	;; [unrolled: 1-line block ×5, first 2 shown]
	s_cbranch_scc1 .LBB55_31
; %bb.28:
	s_andn2_b32 vcc_lo, exec_lo, s44
	s_cbranch_vccnz .LBB55_239
; %bb.29:
	s_lshl_b64 s[36:37], s[16:17], 3
	s_add_u32 s36, s42, s36
	s_addc_u32 s37, s43, s37
	s_add_u32 s36, s36, -8
	s_addc_u32 s37, s37, -1
	s_cbranch_execnz .LBB55_31
.LBB55_30:
	s_add_u32 s36, s14, -8
	s_addc_u32 s37, s15, -1
.LBB55_31:
	v_mov_b32_e32 v1, s36
	v_mov_b32_e32 v2, s37
	s_mov_b32 s36, exec_lo
	flat_load_dwordx2 v[11:12], v[1:2]
	v_mad_i32_i24 v1, 0xffffffa0, v0, v101
	s_waitcnt lgkmcnt(1)
	ds_write_b64 v1, v[47:48] offset:26624
	s_waitcnt vmcnt(0) lgkmcnt(0)
	s_barrier
	buffer_gl0_inv
	v_cmpx_ne_u32_e32 0, v0
; %bb.32:
	v_mul_i32_i24_e32 v1, 0xffffffa0, v0
	v_add_nc_u32_e32 v1, v101, v1
	ds_read_b64 v[11:12], v1 offset:26616
; %bb.33:
	s_or_b32 exec_lo, exec_lo, s36
	s_waitcnt lgkmcnt(0)
	s_barrier
	buffer_gl0_inv
                                        ; implicit-def: $vgpr1_vgpr2
	s_and_saveexec_b32 s36, s0
	s_cbranch_execnz .LBB55_227
; %bb.34:
	s_or_b32 exec_lo, exec_lo, s36
                                        ; implicit-def: $vgpr3_vgpr4
	s_and_saveexec_b32 s0, s1
	s_cbranch_execnz .LBB55_228
.LBB55_35:
	s_or_b32 exec_lo, exec_lo, s0
                                        ; implicit-def: $vgpr5_vgpr6
	s_and_saveexec_b32 s0, s2
	s_cbranch_execnz .LBB55_229
.LBB55_36:
	s_or_b32 exec_lo, exec_lo, s0
                                        ; implicit-def: $vgpr7_vgpr8
	s_and_saveexec_b32 s0, s3
	s_cbranch_execnz .LBB55_230
.LBB55_37:
	s_or_b32 exec_lo, exec_lo, s0
                                        ; implicit-def: $vgpr9_vgpr10
	s_and_saveexec_b32 s0, s4
	s_cbranch_execnz .LBB55_231
.LBB55_38:
	s_or_b32 exec_lo, exec_lo, s0
                                        ; implicit-def: $vgpr13_vgpr14
	s_and_saveexec_b32 s0, s5
	s_cbranch_execnz .LBB55_232
.LBB55_39:
	s_or_b32 exec_lo, exec_lo, s0
                                        ; implicit-def: $vgpr15_vgpr16
	s_and_saveexec_b32 s0, s7
	s_cbranch_execnz .LBB55_233
.LBB55_40:
	s_or_b32 exec_lo, exec_lo, s0
                                        ; implicit-def: $vgpr17_vgpr18
	s_and_saveexec_b32 s0, s8
	s_cbranch_execnz .LBB55_234
.LBB55_41:
	s_or_b32 exec_lo, exec_lo, s0
                                        ; implicit-def: $vgpr19_vgpr20
	s_and_saveexec_b32 s0, s9
	s_cbranch_execnz .LBB55_235
.LBB55_42:
	s_or_b32 exec_lo, exec_lo, s0
                                        ; implicit-def: $vgpr21_vgpr22
	s_and_saveexec_b32 s0, s10
	s_cbranch_execnz .LBB55_236
.LBB55_43:
	s_or_b32 exec_lo, exec_lo, s0
                                        ; implicit-def: $vgpr23_vgpr24
	s_and_saveexec_b32 s0, s11
	s_cbranch_execnz .LBB55_237
.LBB55_44:
	s_or_b32 exec_lo, exec_lo, s0
                                        ; implicit-def: $vgpr25_vgpr26
	s_and_saveexec_b32 s0, s12
	s_cbranch_execnz .LBB55_238
.LBB55_45:
	s_or_b32 exec_lo, exec_lo, s0
                                        ; implicit-def: $vgpr27_vgpr28
	s_and_saveexec_b32 s0, s13
	s_cbranch_execz .LBB55_47
.LBB55_46:
	v_add_co_u32 v27, s1, s40, v38
	v_add_co_ci_u32_e64 v28, null, s41, 0, s1
	flat_load_dwordx2 v[27:28], v[27:28]
.LBB55_47:
	s_or_b32 exec_lo, exec_lo, s0
	v_mul_u32_u24_e32 v104, 13, v0
	s_waitcnt vmcnt(0) lgkmcnt(0)
	ds_write2st64_b64 v39, v[1:2], v[3:4] offset1:4
	ds_write2st64_b64 v39, v[5:6], v[7:8] offset0:8 offset1:12
	ds_write2st64_b64 v39, v[9:10], v[13:14] offset0:16 offset1:20
	;; [unrolled: 1-line block ×5, first 2 shown]
	ds_write_b64 v39, v[27:28] offset:24576
	v_mov_b32_e32 v5, 0
	v_mov_b32_e32 v29, 0
	;; [unrolled: 1-line block ×22, first 2 shown]
	v_cmp_gt_u32_e32 vcc_lo, s45, v104
	v_mov_b32_e32 v99, 0
	v_mov_b32_e32 v6, 0
	;; [unrolled: 1-line block ×45, first 2 shown]
	s_mov_b32 s4, 0
	s_mov_b32 s1, 0
	s_waitcnt lgkmcnt(0)
	s_barrier
	buffer_gl0_inv
                                        ; implicit-def: $sgpr5
                                        ; implicit-def: $vgpr35_vgpr36
	s_and_saveexec_b32 s7, vcc_lo
	s_cbranch_execz .LBB55_71
; %bb.48:
	ds_read_b64 v[1:2], v101
	v_add_nc_u32_e32 v3, 1, v104
	v_mov_b32_e32 v5, 0
	v_mov_b32_e32 v29, 0
	;; [unrolled: 1-line block ×4, first 2 shown]
	v_cmp_gt_u32_e64 s0, s45, v3
	v_mov_b32_e32 v31, 0
	v_mov_b32_e32 v39, 0
	;; [unrolled: 1-line block ×59, first 2 shown]
	v_cmp_ne_u64_e32 vcc_lo, v[11:12], v[69:70]
                                        ; implicit-def: $sgpr5
                                        ; implicit-def: $vgpr35_vgpr36
	s_and_saveexec_b32 s8, s0
	s_cbranch_execz .LBB55_70
; %bb.49:
	ds_read2_b64 v[9:12], v101 offset0:1 offset1:2
	v_cmp_ne_u64_e64 s0, v[71:72], v[75:76]
	v_cmp_ne_u64_e64 s2, v[69:70], v[73:74]
	v_add_nc_u32_e32 v5, 2, v104
	v_cmp_ne_u64_e64 s1, v[67:68], v[59:60]
	v_mov_b32_e32 v29, 0
	v_mov_b32_e32 v27, 0
	v_cndmask_b32_e64 v3, 0, 1, s0
	v_cmp_ne_u64_e64 s0, v[65:66], v[57:58]
	v_cndmask_b32_e64 v4, 0, 1, s2
	v_cmp_gt_u32_e64 s2, s45, v5
	v_mov_b32_e32 v5, 0
	v_mov_b32_e32 v33, 0
	;; [unrolled: 1-line block ×17, first 2 shown]
	v_lshlrev_b16 v3, 8, v3
	v_mov_b32_e32 v99, 0
	v_mov_b32_e32 v6, 0
	;; [unrolled: 1-line block ×38, first 2 shown]
	s_mov_b32 s3, 0
                                        ; implicit-def: $sgpr5
                                        ; implicit-def: $vgpr35_vgpr36
	s_and_saveexec_b32 s9, s2
	s_cbranch_execz .LBB55_69
; %bb.50:
	v_cndmask_b32_e64 v7, 0, 1, s1
	v_cndmask_b32_e64 v8, 0, 1, s0
	v_add_nc_u32_e32 v13, 3, v104
	v_mov_b32_e32 v5, 0
	v_mov_b32_e32 v29, 0
	v_lshlrev_b16 v7, 8, v7
	v_mov_b32_e32 v27, 0
	v_mov_b32_e32 v33, 0
	v_mov_b32_e32 v31, 0
	v_mov_b32_e32 v39, 0
	v_or_b32_e32 v53, v8, v7
	v_mov_b32_e32 v37, 0
	v_mov_b32_e32 v55, 0
	v_cmp_gt_u32_e64 s0, s45, v13
	v_mov_b32_e32 v77, 0
	v_lshlrev_b32_e32 v54, 16, v53
	v_mov_b32_e32 v25, 0
	v_mov_b32_e32 v79, 0
	;; [unrolled: 1-line block ×4, first 2 shown]
	v_or_b32_sdwa v7, v3, v54 dst_sel:DWORD dst_unused:UNUSED_PAD src0_sel:WORD_0 src1_sel:DWORD
	v_mov_b32_e32 v17, 0
	v_mov_b32_e32 v19, 0
	;; [unrolled: 1-line block ×4, first 2 shown]
	v_lshrrev_b32_e32 v93, 8, v7
	v_mov_b32_e32 v7, 0
	v_mov_b32_e32 v6, 0
	;; [unrolled: 1-line block ×34, first 2 shown]
	s_mov_b32 s1, 0
                                        ; implicit-def: $sgpr5
                                        ; implicit-def: $vgpr35_vgpr36
	s_and_saveexec_b32 s10, s0
	s_cbranch_execz .LBB55_68
; %bb.51:
	ds_read2_b64 v[13:16], v101 offset0:3 offset1:4
	v_add_nc_u32_e32 v7, 4, v104
	v_mov_b32_e32 v5, 0
	v_mov_b32_e32 v29, 0
	;; [unrolled: 1-line block ×4, first 2 shown]
	v_cmp_gt_u32_e64 s0, s45, v7
	v_mov_b32_e32 v31, 0
	v_mov_b32_e32 v39, 0
	;; [unrolled: 1-line block ×41, first 2 shown]
                                        ; implicit-def: $sgpr5
                                        ; implicit-def: $vgpr35_vgpr36
	s_and_saveexec_b32 s11, s0
	s_cbranch_execz .LBB55_67
; %bb.52:
	v_add_nc_u32_e32 v7, 5, v104
	v_mov_b32_e32 v5, 0
	v_mov_b32_e32 v29, 0
	;; [unrolled: 1-line block ×4, first 2 shown]
	v_cmp_gt_u32_e64 s0, s45, v7
	v_mov_b32_e32 v31, 0
	v_mov_b32_e32 v39, 0
	;; [unrolled: 1-line block ×34, first 2 shown]
                                        ; implicit-def: $sgpr5
                                        ; implicit-def: $vgpr35_vgpr36
	s_and_saveexec_b32 s12, s0
	s_cbranch_execz .LBB55_66
; %bb.53:
	ds_read2_b64 v[17:20], v101 offset0:5 offset1:6
	v_cmp_ne_u64_e64 s0, v[61:62], v[63:64]
	v_cmp_ne_u64_e64 s2, v[59:60], v[61:62]
	v_add_nc_u32_e32 v6, 6, v104
	v_cmp_ne_u64_e64 s1, v[49:50], v[51:52]
	v_mov_b32_e32 v29, 0
	v_mov_b32_e32 v27, 0
	v_cndmask_b32_e64 v5, 0, 1, s0
	v_cmp_ne_u64_e64 s0, v[63:64], v[49:50]
	v_cndmask_b32_e64 v38, 0, 1, s2
	v_cmp_gt_u32_e64 s2, s45, v6
	v_mov_b32_e32 v33, 0
	v_lshlrev_b16 v37, 8, v5
	v_mov_b32_e32 v5, 0
	v_mov_b32_e32 v31, 0
	;; [unrolled: 1-line block ×30, first 2 shown]
                                        ; implicit-def: $sgpr5
                                        ; implicit-def: $vgpr35_vgpr36
	s_and_saveexec_b32 s13, s2
	s_cbranch_execz .LBB55_65
; %bb.54:
	v_cndmask_b32_e64 v5, 0, 1, s1
	v_cndmask_b32_e64 v7, 0, 1, s0
	v_mov_b32_e32 v29, 0
	v_mov_b32_e32 v27, 0
	;; [unrolled: 1-line block ×3, first 2 shown]
	v_lshlrev_b16 v8, 8, v5
	v_mov_b32_e32 v5, 0
	v_mov_b32_e32 v77, 0
	;; [unrolled: 1-line block ×4, first 2 shown]
	v_or_b32_e32 v31, v7, v8
	v_mov_b32_e32 v7, 0
	v_mov_b32_e32 v21, 0
	v_add_nc_u32_e32 v23, 7, v104
	v_mov_b32_e32 v98, 0
	v_lshlrev_b32_e32 v32, 16, v31
	v_mov_b32_e32 v6, 0
	v_mov_b32_e32 v97, 0
	;; [unrolled: 1-line block ×4, first 2 shown]
	v_or_b32_sdwa v24, v37, v32 dst_sel:DWORD dst_unused:UNUSED_PAD src0_sel:WORD_0 src1_sel:DWORD
	v_mov_b32_e32 v30, 0
	v_mov_b32_e32 v28, 0
	;; [unrolled: 1-line block ×11, first 2 shown]
	v_lshrrev_b32_e32 v95, 8, v24
	v_mov_b32_e32 v83, 0
	s_mov_b32 s1, 0
	s_mov_b32 s36, exec_lo
                                        ; implicit-def: $sgpr5
                                        ; implicit-def: $vgpr35_vgpr36
	v_cmpx_gt_u32_e64 s45, v23
	s_cbranch_execz .LBB55_64
; %bb.55:
	ds_read2_b64 v[21:24], v101 offset0:7 offset1:8
	v_add_nc_u32_e32 v7, 8, v104
	v_mov_b32_e32 v5, 0
	v_mov_b32_e32 v29, 0
	;; [unrolled: 1-line block ×4, first 2 shown]
	v_cmp_gt_u32_e64 s0, s45, v7
	v_mov_b32_e32 v7, 0
	v_mov_b32_e32 v25, 0
	;; [unrolled: 1-line block ×16, first 2 shown]
                                        ; implicit-def: $sgpr5
                                        ; implicit-def: $vgpr35_vgpr36
	s_and_saveexec_b32 s37, s0
	s_cbranch_execz .LBB55_63
; %bb.56:
	v_add_nc_u32_e32 v7, 9, v104
	v_mov_b32_e32 v5, 0
	v_mov_b32_e32 v29, 0
	;; [unrolled: 1-line block ×4, first 2 shown]
	v_cmp_gt_u32_e64 s0, s45, v7
	v_mov_b32_e32 v7, 0
	v_mov_b32_e32 v6, 0
	;; [unrolled: 1-line block ×10, first 2 shown]
                                        ; implicit-def: $sgpr5
                                        ; implicit-def: $vgpr35_vgpr36
	s_and_saveexec_b32 s46, s0
	s_cbranch_execz .LBB55_62
; %bb.57:
	ds_read2_b64 v[25:28], v101 offset0:9 offset1:10
	v_add_nc_u32_e32 v5, 10, v104
	v_cmp_ne_u64_e64 s0, v[51:52], v[41:42]
	v_mov_b32_e32 v7, 0
	v_mov_b32_e32 v77, 0
	;; [unrolled: 1-line block ×3, first 2 shown]
	v_cmp_gt_u32_e64 s1, s45, v5
	v_mov_b32_e32 v5, 0
	v_mov_b32_e32 v6, 0
	;; [unrolled: 1-line block ×5, first 2 shown]
	s_mov_b32 s2, 0
                                        ; implicit-def: $sgpr5
                                        ; implicit-def: $vgpr35_vgpr36
	s_and_saveexec_b32 s47, s1
	s_cbranch_execz .LBB55_61
; %bb.58:
	v_cmp_ne_u64_e64 s1, v[41:42], v[43:44]
	v_mov_b32_e32 v7, 0
	v_add_nc_u32_e32 v5, 11, v104
	v_mov_b32_e32 v8, 0
	v_mov_b32_e32 v81, 0
	s_mov_b32 s48, exec_lo
                                        ; implicit-def: $sgpr5
                                        ; implicit-def: $vgpr35_vgpr36
	v_cmpx_gt_u32_e64 s45, v5
	s_xor_b32 s48, exec_lo, s48
	s_cbranch_execz .LBB55_60
; %bb.59:
	ds_read2_b64 v[33:36], v101 offset0:11 offset1:12
	v_add_nc_u32_e32 v5, 12, v104
	v_cmp_ne_u64_e64 s3, v[43:44], v[45:46]
	v_cmp_ne_u64_e64 s5, v[45:46], v[47:48]
	v_cmp_gt_u32_e64 s2, s45, v5
	v_cndmask_b32_e64 v81, 0, 1, s3
	s_and_b32 s3, s2, exec_lo
	s_waitcnt lgkmcnt(0)
	v_mov_b32_e32 v7, v33
	v_mov_b32_e32 v8, v34
.LBB55_60:
	s_or_b32 exec_lo, exec_lo, s48
	s_waitcnt lgkmcnt(0)
	v_mov_b32_e32 v5, v27
	v_mov_b32_e32 v78, v28
	v_cndmask_b32_e64 v94, 0, 1, s1
	v_mov_b32_e32 v6, v28
	v_mov_b32_e32 v77, v27
	s_and_b32 s2, s3, exec_lo
.LBB55_61:
	s_or_b32 exec_lo, exec_lo, s47
	v_cndmask_b32_e64 v96, 0, 1, s0
	s_waitcnt lgkmcnt(0)
	v_mov_b32_e32 v30, v26
	v_mov_b32_e32 v29, v25
	s_and_b32 s1, s2, exec_lo
	v_mov_b32_e32 v83, v96
.LBB55_62:
	s_or_b32 exec_lo, exec_lo, s46
	s_waitcnt lgkmcnt(0)
	v_mov_b32_e32 v28, v24
	v_mov_b32_e32 v80, v24
	v_lshrrev_b32_e32 v97, 24, v32
	v_mov_b32_e32 v27, v23
	v_mov_b32_e32 v82, v94
	;; [unrolled: 1-line block ×3, first 2 shown]
	s_and_b32 s1, s1, exec_lo
.LBB55_63:
	s_or_b32 exec_lo, exec_lo, s37
	s_waitcnt lgkmcnt(0)
	v_mov_b32_e32 v34, v22
	v_mov_b32_e32 v98, v31
	;; [unrolled: 1-line block ×4, first 2 shown]
	s_and_b32 s1, s1, exec_lo
.LBB55_64:
	s_or_b32 exec_lo, exec_lo, s36
	s_waitcnt lgkmcnt(0)
	v_mov_b32_e32 v32, v20
	v_mov_b32_e32 v24, v20
	;; [unrolled: 1-line block ×6, first 2 shown]
	s_and_b32 s3, s1, exec_lo
.LBB55_65:
	s_or_b32 exec_lo, exec_lo, s13
	s_waitcnt lgkmcnt(0)
	v_mov_b32_e32 v40, v18
	v_or_b32_e32 v99, v38, v37
	v_mov_b32_e32 v39, v17
	s_and_b32 s1, s3, exec_lo
.LBB55_66:
	s_or_b32 exec_lo, exec_lo, s12
	v_lshrrev_b32_e32 v100, 24, v54
	s_waitcnt lgkmcnt(0)
	v_mov_b32_e32 v38, v16
	v_mov_b32_e32 v20, v16
	;; [unrolled: 1-line block ×6, first 2 shown]
	s_and_b32 s1, s1, exec_lo
.LBB55_67:
	s_or_b32 exec_lo, exec_lo, s11
	s_waitcnt lgkmcnt(0)
	v_mov_b32_e32 v56, v14
	v_mov_b32_e32 v102, v53
	;; [unrolled: 1-line block ×4, first 2 shown]
	s_and_b32 s1, s1, exec_lo
.LBB55_68:
	s_or_b32 exec_lo, exec_lo, s10
	s_waitcnt lgkmcnt(0)
	v_mov_b32_e32 v54, v12
	v_mov_b32_e32 v16, v12
	;; [unrolled: 1-line block ×5, first 2 shown]
	s_and_b32 s3, s1, exec_lo
.LBB55_69:
	s_or_b32 exec_lo, exec_lo, s9
	v_or_b32_e32 v103, v4, v3
	s_waitcnt lgkmcnt(0)
	v_mov_b32_e32 v3, v9
	v_mov_b32_e32 v4, v10
	s_and_b32 s1, s3, exec_lo
	v_mov_b32_e32 v92, v103
.LBB55_70:
	s_or_b32 exec_lo, exec_lo, s8
	v_cndmask_b32_e64 v105, 0, 1, vcc_lo
	s_and_b32 s1, s1, exec_lo
	v_mov_b32_e32 v87, v105
.LBB55_71:
	s_or_b32 exec_lo, exec_lo, s7
	v_lshlrev_b32_e32 v57, 3, v0
	s_and_b32 vcc_lo, exec_lo, s4
	s_cbranch_vccnz .LBB55_73
	s_branch .LBB55_81
.LBB55_72:
                                        ; implicit-def: $sgpr5
                                        ; implicit-def: $vgpr99
                                        ; implicit-def: $vgpr95
                                        ; implicit-def: $vgpr98
                                        ; implicit-def: $vgpr97
                                        ; implicit-def: $vgpr103
                                        ; implicit-def: $vgpr93
                                        ; implicit-def: $vgpr102
                                        ; implicit-def: $vgpr100
                                        ; implicit-def: $vgpr35_vgpr36
                                        ; implicit-def: $vgpr94
                                        ; implicit-def: $vgpr5_vgpr6
                                        ; implicit-def: $vgpr96
                                        ; implicit-def: $vgpr29_vgpr30
                                        ; implicit-def: $vgpr33_vgpr34
                                        ; implicit-def: $vgpr39_vgpr40
                                        ; implicit-def: $vgpr55_vgpr56
                                        ; implicit-def: $vgpr3_vgpr4
                                        ; implicit-def: $vgpr105
                                        ; implicit-def: $vgpr88
                                        ; implicit-def: $vgpr86
                                        ; implicit-def: $vgpr85
                                        ; implicit-def: $vgpr84
                                        ; implicit-def: $vgpr92
                                        ; implicit-def: $vgpr91
                                        ; implicit-def: $vgpr90
                                        ; implicit-def: $vgpr89
                                        ; implicit-def: $vgpr81
                                        ; implicit-def: $vgpr82
                                        ; implicit-def: $vgpr77_vgpr78
                                        ; implicit-def: $vgpr83
                                        ; implicit-def: $vgpr25_vgpr26
                                        ; implicit-def: $vgpr79_vgpr80
                                        ; implicit-def: $vgpr21_vgpr22
                                        ; implicit-def: $vgpr23_vgpr24
                                        ; implicit-def: $vgpr17_vgpr18
                                        ; implicit-def: $vgpr19_vgpr20
                                        ; implicit-def: $vgpr13_vgpr14
                                        ; implicit-def: $vgpr15_vgpr16
                                        ; implicit-def: $vgpr9_vgpr10
                                        ; implicit-def: $vgpr87
	v_lshlrev_b32_e32 v57, 3, v0
	s_cbranch_execz .LBB55_81
.LBB55_73:
	s_waitcnt lgkmcnt(0)
	v_add_co_u32 v1, s0, s14, v57
	v_add_co_ci_u32_e64 v2, null, s15, 0, s0
	v_mad_u32_u24 v35, 0x60, v0, v57
	v_add_co_u32 v3, vcc_lo, 0x800, v1
	v_add_co_ci_u32_e64 v4, null, 0, v2, vcc_lo
	v_add_co_u32 v5, vcc_lo, 0x1000, v1
	v_add_co_ci_u32_e64 v6, null, 0, v2, vcc_lo
	;; [unrolled: 2-line block ×10, first 2 shown]
	v_add_co_u32 v25, vcc_lo, 0x5800, v1
	s_clause 0x7
	flat_load_dwordx2 v[17:18], v[1:2]
	flat_load_dwordx2 v[3:4], v[3:4]
	;; [unrolled: 1-line block ×8, first 2 shown]
	v_add_co_ci_u32_e64 v26, null, 0, v2, vcc_lo
	v_add_co_u32 v1, vcc_lo, 0x6000, v1
	v_add_co_ci_u32_e64 v2, null, 0, v2, vcc_lo
	s_clause 0x4
	flat_load_dwordx2 v[19:20], v[19:20]
	flat_load_dwordx2 v[21:22], v[21:22]
	;; [unrolled: 1-line block ×5, first 2 shown]
	s_cmp_eq_u64 s[16:17], 0
	s_waitcnt vmcnt(11) lgkmcnt(11)
	ds_write2st64_b64 v57, v[17:18], v[3:4] offset1:4
	s_waitcnt vmcnt(9) lgkmcnt(10)
	ds_write2st64_b64 v57, v[5:6], v[7:8] offset0:8 offset1:12
	s_waitcnt vmcnt(7) lgkmcnt(9)
	ds_write2st64_b64 v57, v[9:10], v[11:12] offset0:16 offset1:20
	;; [unrolled: 2-line block ×5, first 2 shown]
	s_waitcnt vmcnt(0) lgkmcnt(6)
	ds_write_b64 v57, v[1:2] offset:24576
	s_waitcnt lgkmcnt(0)
	s_barrier
	buffer_gl0_inv
	ds_read2_b64 v[1:4], v35 offset0:2 offset1:3
	ds_read2_b64 v[9:12], v35 offset0:3 offset1:4
	ds_read2_b64 v[5:8], v35 offset1:1
	ds_read2_b64 v[13:16], v35 offset0:1 offset1:2
	ds_read2_b64 v[17:20], v35 offset0:7 offset1:8
	;; [unrolled: 1-line block ×5, first 2 shown]
	s_cbranch_scc1 .LBB55_78
; %bb.74:
	s_andn2_b32 vcc_lo, exec_lo, s44
	s_cbranch_vccnz .LBB55_240
; %bb.75:
	s_lshl_b64 s[0:1], s[16:17], 3
	s_add_u32 s0, s42, s0
	s_addc_u32 s1, s43, s1
	s_add_u32 s0, s0, -8
	s_addc_u32 s1, s1, -1
	s_cbranch_execnz .LBB55_77
.LBB55_76:
	s_add_u32 s0, s14, -8
	s_addc_u32 s1, s15, -1
.LBB55_77:
	s_mov_b64 s[14:15], s[0:1]
.LBB55_78:
	v_mov_b32_e32 v34, s15
	v_mov_b32_e32 v33, s14
	v_mad_i32_i24 v36, 0xffffffa0, v0, v35
	s_mov_b32 s0, exec_lo
	flat_load_dwordx2 v[33:34], v[33:34]
	s_waitcnt lgkmcnt(1)
	ds_write_b64 v36, v[31:32] offset:26624
	s_waitcnt vmcnt(0) lgkmcnt(0)
	s_barrier
	buffer_gl0_inv
	v_cmpx_ne_u32_e32 0, v0
; %bb.79:
	v_mul_i32_i24_e32 v33, 0xffffffa0, v0
	v_add_nc_u32_e32 v33, v35, v33
	ds_read_b64 v[33:34], v33 offset:26616
; %bb.80:
	s_or_b32 exec_lo, exec_lo, s0
	v_add_co_u32 v36, s0, s40, v57
	v_add_co_ci_u32_e64 v37, null, s41, 0, s0
	s_waitcnt lgkmcnt(0)
	v_add_co_u32 v38, vcc_lo, 0x800, v36
	v_add_co_ci_u32_e64 v39, null, 0, v37, vcc_lo
	v_add_co_u32 v40, vcc_lo, 0x1000, v36
	v_add_co_ci_u32_e64 v41, null, 0, v37, vcc_lo
	;; [unrolled: 2-line block ×10, first 2 shown]
	v_add_co_u32 v62, vcc_lo, 0x5800, v36
	s_barrier
	buffer_gl0_inv
	s_clause 0x7
	flat_load_dwordx2 v[52:53], v[36:37]
	flat_load_dwordx2 v[38:39], v[38:39]
	flat_load_dwordx2 v[40:41], v[40:41]
	flat_load_dwordx2 v[42:43], v[42:43]
	flat_load_dwordx2 v[44:45], v[44:45]
	flat_load_dwordx2 v[46:47], v[46:47]
	flat_load_dwordx2 v[48:49], v[48:49]
	flat_load_dwordx2 v[50:51], v[50:51]
	v_add_co_ci_u32_e64 v63, null, 0, v37, vcc_lo
	v_add_co_u32 v36, vcc_lo, 0x6000, v36
	v_add_co_ci_u32_e64 v37, null, 0, v37, vcc_lo
	s_clause 0x4
	flat_load_dwordx2 v[54:55], v[54:55]
	flat_load_dwordx2 v[58:59], v[58:59]
	;; [unrolled: 1-line block ×5, first 2 shown]
	v_cmp_ne_u64_e32 vcc_lo, v[27:28], v[29:30]
	v_cmp_ne_u64_e64 s5, v[29:30], v[31:32]
	s_mov_b32 s1, -1
	s_waitcnt vmcnt(11) lgkmcnt(11)
	ds_write2st64_b64 v57, v[52:53], v[38:39] offset1:4
	s_waitcnt vmcnt(9) lgkmcnt(10)
	ds_write2st64_b64 v57, v[40:41], v[42:43] offset0:8 offset1:12
	s_waitcnt vmcnt(7) lgkmcnt(9)
	ds_write2st64_b64 v57, v[44:45], v[46:47] offset0:16 offset1:20
	;; [unrolled: 2-line block ×5, first 2 shown]
	s_waitcnt vmcnt(0) lgkmcnt(6)
	ds_write_b64 v57, v[36:37] offset:24576
	v_cndmask_b32_e64 v81, 0, 1, vcc_lo
	v_cmp_ne_u64_e32 vcc_lo, v[25:26], v[27:28]
	s_waitcnt lgkmcnt(0)
	s_barrier
	buffer_gl0_inv
	v_cndmask_b32_e64 v94, 0, 1, vcc_lo
	v_cmp_ne_u64_e32 vcc_lo, v[19:20], v[25:26]
	v_mov_b32_e32 v82, v94
	v_cndmask_b32_e64 v96, 0, 1, vcc_lo
	v_cmp_ne_u64_e32 vcc_lo, v[21:22], v[23:24]
	v_mov_b32_e32 v83, v96
	v_cndmask_b32_e64 v25, 0, 1, vcc_lo
	v_cmp_ne_u64_e32 vcc_lo, v[11:12], v[21:22]
	v_cndmask_b32_e64 v21, 0, 1, vcc_lo
	v_cmp_ne_u64_e32 vcc_lo, v[17:18], v[19:20]
	;; [unrolled: 2-line block ×7, first 2 shown]
	v_lshlrev_b16 v2, 8, v19
	v_lshlrev_b16 v10, 8, v7
	;; [unrolled: 1-line block ×4, first 2 shown]
	v_cndmask_b32_e64 v1, 0, 1, vcc_lo
	v_cmp_ne_u64_e32 vcc_lo, v[33:34], v[5:6]
	v_or_b32_e32 v98, v17, v2
	v_or_b32_e32 v103, v8, v10
	ds_read2_b64 v[27:30], v35 offset0:8 offset1:9
	ds_read2_b64 v[5:8], v35 offset0:10 offset1:11
	v_or_b32_e32 v102, v1, v3
	ds_read2_b64 v[37:40], v35 offset0:4 offset1:5
	ds_read2_b64 v[31:34], v35 offset0:6 offset1:7
	ds_read2_b64 v[1:4], v35 offset1:1
	ds_read2_b64 v[53:56], v35 offset0:2 offset1:3
	v_lshlrev_b32_e32 v11, 16, v98
	ds_read_b64 v[35:36], v35 offset:96
	v_lshlrev_b32_e32 v12, 16, v102
	v_or_b32_e32 v99, v21, v9
	v_cndmask_b32_e64 v105, 0, 1, vcc_lo
	v_or_b32_sdwa v9, v9, v11 dst_sel:DWORD dst_unused:UNUSED_PAD src0_sel:WORD_0 src1_sel:DWORD
	v_lshrrev_b32_e32 v97, 24, v11
	v_or_b32_sdwa v10, v10, v12 dst_sel:DWORD dst_unused:UNUSED_PAD src0_sel:WORD_0 src1_sel:DWORD
	v_lshrrev_b32_e32 v100, 24, v12
	v_mov_b32_e32 v88, v99
	v_lshrrev_b32_e32 v95, 8, v9
	v_mov_b32_e32 v85, v98
	;; [unrolled: 2-line block ×3, first 2 shown]
	v_mov_b32_e32 v90, v102
	s_waitcnt lgkmcnt(6)
	v_mov_b32_e32 v25, v29
	s_waitcnt lgkmcnt(5)
	v_mov_b32_e32 v78, v6
	v_mov_b32_e32 v80, v28
	s_waitcnt lgkmcnt(3)
	v_mov_b32_e32 v21, v33
	v_mov_b32_e32 v23, v31
	;; [unrolled: 1-line block ×4, first 2 shown]
	s_waitcnt lgkmcnt(1)
	v_mov_b32_e32 v13, v55
	v_mov_b32_e32 v15, v53
	;; [unrolled: 1-line block ×18, first 2 shown]
.LBB55_81:
	v_mov_b32_e32 v11, 0
	v_mov_b32_e32 v12, 0
	;; [unrolled: 1-line block ×3, first 2 shown]
	s_and_saveexec_b32 s0, s1
	s_cbranch_execz .LBB55_83
; %bb.82:
	v_mov_b32_e32 v10, v4
	v_mov_b32_e32 v15, v53
	;; [unrolled: 1-line block ×10, first 2 shown]
	s_waitcnt lgkmcnt(0)
	v_mov_b32_e32 v11, v35
	v_cndmask_b32_e64 v58, 0, 1, s5
	v_mov_b32_e32 v87, v105
	v_mov_b32_e32 v9, v3
	;; [unrolled: 1-line block ×22, first 2 shown]
.LBB55_83:
	s_or_b32 exec_lo, exec_lo, s0
	v_and_b32_e32 v61, 1, v88
	v_and_b32_e32 v62, 1, v84
	;; [unrolled: 1-line block ×5, first 2 shown]
	v_or_b32_e32 v55, v89, v90
	v_or_b32_e32 v54, v85, v86
	;; [unrolled: 1-line block ×3, first 2 shown]
	v_cmp_eq_u32_e64 s16, 1, v61
	v_cmp_eq_u32_e64 s14, 1, v62
	;; [unrolled: 1-line block ×3, first 2 shown]
	v_cmp_eq_u16_e64 s0, 0, v58
	v_cmp_eq_u32_e64 s13, 1, v59
	v_mbcnt_lo_u32_b32 v53, -1, 0
	s_cmp_lg_u32 s6, 0
	v_cmp_eq_u32_e32 vcc_lo, 1, v60
	s_waitcnt lgkmcnt(0)
	s_barrier
	buffer_gl0_inv
	s_cbranch_scc0 .LBB55_141
; %bb.84:
	v_mov_b32_e32 v5, 0
	v_or_b32_e32 v28, v92, v87
	v_cmp_eq_u16_sdwa s12, v92, v5 src0_sel:BYTE_0 src1_sel:DWORD
	v_cmp_eq_u16_sdwa s11, v91, v5 src0_sel:BYTE_0 src1_sel:DWORD
	;; [unrolled: 1-line block ×5, first 2 shown]
	v_cndmask_b32_e64 v3, 1, v1, s12
	v_cndmask_b32_e64 v6, 0, v2, s12
	v_cmp_eq_u16_sdwa s7, v86, v5 src0_sel:BYTE_0 src1_sel:DWORD
	v_cmp_eq_u16_sdwa s5, v85, v5 src0_sel:BYTE_0 src1_sel:DWORD
	;; [unrolled: 1-line block ×3, first 2 shown]
	v_mul_lo_u32 v27, v3, v10
	v_mad_u64_u32 v[3:4], null, v3, v9, 0
	v_mul_lo_u32 v6, v6, v9
	v_cmp_eq_u16_sdwa s3, v83, v5 src0_sel:BYTE_0 src1_sel:DWORD
	v_cmp_eq_u16_sdwa s2, v82, v5 src0_sel:BYTE_0 src1_sel:DWORD
	;; [unrolled: 1-line block ×3, first 2 shown]
	v_cmp_ne_u16_sdwa s40, v56, v5 src0_sel:BYTE_0 src1_sel:DWORD
	v_cmp_ne_u16_sdwa s17, v55, v5 src0_sel:BYTE_0 src1_sel:DWORD
	v_cndmask_b32_e64 v3, 1, v3, s11
	v_cmp_ne_u16_sdwa s36, v28, v5 src0_sel:BYTE_0 src1_sel:DWORD
	v_add3_u32 v4, v4, v27, v6
	v_cmp_ne_u16_sdwa s37, v54, v5 src0_sel:BYTE_0 src1_sel:DWORD
	s_or_b32 s15, s40, s15
	v_mul_lo_u32 v27, v3, v16
	s_or_b32 s13, s13, s15
	v_cndmask_b32_e64 v4, 0, v4, s11
	s_or_b32 s14, s37, s14
	s_or_b32 s16, s17, s16
	;; [unrolled: 1-line block ×3, first 2 shown]
	s_or_b32 s14, s36, vcc_lo
	v_mul_lo_u32 v6, v4, v15
	v_mad_u64_u32 v[3:4], null, v3, v15, 0
	s_or_b32 s13, s13, s16
	v_and_b32_e32 v28, 15, v53
	s_or_b32 s14, s13, s14
	s_mov_b32 s13, exec_lo
	v_add3_u32 v4, v4, v27, v6
	v_cndmask_b32_e64 v3, 1, v3, s10
	v_cndmask_b32_e64 v4, 0, v4, s10
	v_mul_lo_u32 v27, v3, v14
	v_mul_lo_u32 v6, v4, v13
	v_mad_u64_u32 v[3:4], null, v3, v13, 0
	v_add3_u32 v4, v4, v27, v6
	v_cndmask_b32_e64 v3, 1, v3, s9
	v_cndmask_b32_e64 v4, 0, v4, s9
	v_mul_lo_u32 v27, v3, v20
	v_mul_lo_u32 v6, v4, v19
	v_mad_u64_u32 v[3:4], null, v3, v19, 0
	;; [unrolled: 6-line block ×9, first 2 shown]
	v_add3_u32 v4, v4, v27, v6
	v_cndmask_b32_e64 v3, 1, v3, s0
	v_cndmask_b32_e64 v27, 0, 1, s14
	;; [unrolled: 1-line block ×3, first 2 shown]
	v_mul_lo_u32 v6, v3, v12
	v_mad_u64_u32 v[3:4], null, v3, v11, 0
	v_mov_b32_dpp v29, v27 row_shr:1 row_mask:0xf bank_mask:0xf
	v_mul_lo_u32 v5, v5, v11
	v_mov_b32_dpp v30, v3 row_shr:1 row_mask:0xf bank_mask:0xf
	v_add3_u32 v4, v4, v6, v5
	v_mov_b32_e32 v6, v4
	v_mov_b32_dpp v31, v4 row_shr:1 row_mask:0xf bank_mask:0xf
	v_mov_b32_e32 v5, v3
	v_cmpx_ne_u32_e32 0, v28
	s_cbranch_execz .LBB55_86
; %bb.85:
	v_cndmask_b32_e64 v5, v31, 0, s14
	v_cndmask_b32_e64 v6, v30, 1, s14
	v_and_or_b32 v27, v29, 1, v27
	v_mul_lo_u32 v30, v5, v3
	v_mul_lo_u32 v4, v6, v4
	v_mad_u64_u32 v[5:6], null, v6, v3, 0
	v_add3_u32 v6, v6, v4, v30
	v_mov_b32_e32 v3, v5
	v_mov_b32_e32 v4, v6
.LBB55_86:
	s_or_b32 exec_lo, exec_lo, s13
	v_mov_b32_dpp v30, v3 row_shr:2 row_mask:0xf bank_mask:0xf
	v_mov_b32_dpp v31, v4 row_shr:2 row_mask:0xf bank_mask:0xf
	v_mov_b32_dpp v29, v27 row_shr:2 row_mask:0xf bank_mask:0xf
	s_mov_b32 s13, exec_lo
	v_cmpx_lt_u32_e32 1, v28
	s_cbranch_execz .LBB55_88
; %bb.87:
	v_cmp_eq_u16_e32 vcc_lo, 0, v27
	v_or_b32_e32 v27, v29, v27
	v_cndmask_b32_e32 v3, 1, v30, vcc_lo
	v_cndmask_b32_e32 v30, 0, v31, vcc_lo
	v_and_b32_e32 v27, 1, v27
	v_mul_lo_u32 v6, v3, v6
	v_mad_u64_u32 v[3:4], null, v3, v5, 0
	v_mul_lo_u32 v5, v30, v5
	v_add3_u32 v4, v4, v6, v5
	v_mov_b32_e32 v6, v4
	v_mov_b32_e32 v5, v3
.LBB55_88:
	s_or_b32 exec_lo, exec_lo, s13
	v_mov_b32_dpp v30, v3 row_shr:4 row_mask:0xf bank_mask:0xf
	v_mov_b32_dpp v31, v4 row_shr:4 row_mask:0xf bank_mask:0xf
	v_mov_b32_dpp v29, v27 row_shr:4 row_mask:0xf bank_mask:0xf
	s_mov_b32 s13, exec_lo
	v_cmpx_lt_u32_e32 3, v28
	s_cbranch_execz .LBB55_90
; %bb.89:
	v_cmp_eq_u16_e32 vcc_lo, 0, v27
	v_or_b32_e32 v27, v29, v27
	v_cndmask_b32_e32 v3, 1, v30, vcc_lo
	v_cndmask_b32_e32 v30, 0, v31, vcc_lo
	v_and_b32_e32 v27, 1, v27
	v_mul_lo_u32 v6, v3, v6
	v_mad_u64_u32 v[3:4], null, v3, v5, 0
	v_mul_lo_u32 v5, v30, v5
	v_add3_u32 v4, v4, v6, v5
	v_mov_b32_e32 v6, v4
	v_mov_b32_e32 v5, v3
.LBB55_90:
	;; [unrolled: 20-line block ×3, first 2 shown]
	s_or_b32 exec_lo, exec_lo, s13
	ds_swizzle_b32 v28, v3 offset:swizzle(BROADCAST,32,15)
	ds_swizzle_b32 v4, v4 offset:swizzle(BROADCAST,32,15)
	;; [unrolled: 1-line block ×3, first 2 shown]
	v_and_b32_e32 v29, 16, v53
	v_cmp_ne_u32_e32 vcc_lo, 0, v29
	v_mov_b32_e32 v29, v27
	s_and_saveexec_b32 s14, vcc_lo
	s_cbranch_execz .LBB55_94
; %bb.93:
	v_cmp_eq_u16_e32 vcc_lo, 0, v27
	v_and_b32_e32 v27, 1, v27
	s_waitcnt lgkmcnt(0)
	v_and_b32_e32 v3, 1, v3
	v_cndmask_b32_e32 v28, 1, v28, vcc_lo
	v_cndmask_b32_e32 v4, 0, v4, vcc_lo
	v_cmp_eq_u32_e32 vcc_lo, 1, v27
	v_cmp_eq_u32_e64 s13, 1, v3
	v_mul_lo_u32 v6, v28, v6
	v_mad_u64_u32 v[30:31], null, v28, v5, 0
	v_mul_lo_u32 v4, v4, v5
	s_or_b32 s13, vcc_lo, s13
	v_cndmask_b32_e64 v27, 0, 1, s13
	v_cndmask_b32_e64 v29, 0, 1, s13
	v_add3_u32 v31, v31, v6, v4
	v_mov_b32_e32 v5, v30
	v_mov_b32_e32 v6, v31
.LBB55_94:
	s_or_b32 exec_lo, exec_lo, s14
	s_waitcnt lgkmcnt(1)
	v_lshrrev_b32_e32 v4, 5, v0
	s_waitcnt lgkmcnt(0)
	v_or_b32_e32 v3, 31, v0
	s_mov_b32 s13, exec_lo
	v_lshlrev_b32_e32 v30, 4, v4
	v_cmpx_eq_u32_e64 v0, v3
	s_cbranch_execz .LBB55_96
; %bb.95:
	ds_write_b64 v30, v[5:6]
	ds_write_b8 v30, v27 offset:8
.LBB55_96:
	s_or_b32 exec_lo, exec_lo, s13
	s_mov_b32 s14, exec_lo
	s_waitcnt lgkmcnt(0)
	s_barrier
	buffer_gl0_inv
	v_cmpx_gt_u32_e32 8, v0
	s_cbranch_execz .LBB55_104
; %bb.97:
	v_lshlrev_b32_e32 v31, 4, v0
	v_and_b32_e32 v32, 7, v53
	s_mov_b32 s13, exec_lo
	ds_read_b64 v[3:4], v31
	ds_read_b32 v35, v31 offset:8
	s_waitcnt lgkmcnt(1)
	v_mov_b32_dpp v38, v3 row_shr:1 row_mask:0xf bank_mask:0xf
	v_mov_b32_dpp v39, v4 row_shr:1 row_mask:0xf bank_mask:0xf
	s_waitcnt lgkmcnt(0)
	v_and_b32_e32 v34, 0xffffff00, v35
	v_mov_b32_dpp v37, v35 row_shr:1 row_mask:0xf bank_mask:0xf
	v_mov_b32_e32 v36, v35
	v_mov_b32_e32 v33, v35
	;; [unrolled: 1-line block ×4, first 2 shown]
	v_cmpx_ne_u32_e32 0, v32
	s_cbranch_execz .LBB55_99
; %bb.98:
	v_mov_b32_e32 v27, 0
	v_cmp_eq_u16_sdwa vcc_lo, v35, v27 src0_sel:BYTE_0 src1_sel:DWORD
	v_or_b32_e32 v35, v37, v35
	v_cndmask_b32_e32 v27, 1, v38, vcc_lo
	v_cndmask_b32_e32 v33, 0, v39, vcc_lo
	v_and_b32_e32 v36, 1, v35
	v_mul_lo_u32 v4, v27, v4
	v_mad_u64_u32 v[27:28], null, v27, v3, 0
	v_mul_lo_u32 v3, v33, v3
	v_and_b32_e32 v33, 1, v35
	v_or_b32_e32 v35, v33, v34
	v_add3_u32 v28, v28, v4, v3
	v_mov_b32_e32 v3, v27
	v_mov_b32_e32 v4, v28
.LBB55_99:
	s_or_b32 exec_lo, exec_lo, s13
	v_mov_b32_dpp v39, v27 row_shr:2 row_mask:0xf bank_mask:0xf
	v_mov_b32_dpp v37, v28 row_shr:2 row_mask:0xf bank_mask:0xf
	;; [unrolled: 1-line block ×3, first 2 shown]
	s_mov_b32 s15, exec_lo
	v_cmpx_lt_u32_e32 1, v32
	s_cbranch_execz .LBB55_101
; %bb.100:
	v_mov_b32_e32 v27, 0
	v_and_b32_e32 v35, 1, v38
	v_cmp_eq_u16_sdwa vcc_lo, v33, v27 src0_sel:BYTE_0 src1_sel:DWORD
	v_and_b32_e32 v33, 1, v33
	v_cmp_eq_u32_e64 s13, 1, v35
	v_cndmask_b32_e32 v27, 1, v39, vcc_lo
	v_cndmask_b32_e32 v36, 0, v37, vcc_lo
	v_cmp_eq_u32_e32 vcc_lo, 1, v33
	v_mul_lo_u32 v4, v27, v4
	v_mad_u64_u32 v[27:28], null, v27, v3, 0
	v_mul_lo_u32 v3, v36, v3
	s_or_b32 s13, vcc_lo, s13
	v_cndmask_b32_e64 v36, 0, 1, s13
	v_cndmask_b32_e64 v33, 0, 1, s13
	v_add3_u32 v28, v28, v4, v3
	v_mov_b32_e32 v3, v27
	v_or_b32_e32 v35, v34, v33
	v_mov_b32_e32 v33, v36
	v_mov_b32_e32 v4, v28
.LBB55_101:
	s_or_b32 exec_lo, exec_lo, s15
	v_mov_b32_dpp v34, v27 row_shr:4 row_mask:0xf bank_mask:0xf
	v_mov_b32_dpp v28, v28 row_shr:4 row_mask:0xf bank_mask:0xf
	;; [unrolled: 1-line block ×3, first 2 shown]
	s_mov_b32 s15, exec_lo
	v_cmpx_lt_u32_e32 3, v32
	s_cbranch_execz .LBB55_103
; %bb.102:
	v_mov_b32_e32 v32, 0
	v_and_b32_e32 v27, 1, v27
	v_cmp_eq_u16_sdwa vcc_lo, v33, v32 src0_sel:BYTE_0 src1_sel:DWORD
	v_cmp_eq_u32_e64 s13, 1, v27
	v_cndmask_b32_e32 v32, 1, v34, vcc_lo
	v_cndmask_b32_e32 v28, 0, v28, vcc_lo
	v_mul_lo_u32 v4, v32, v4
	v_mad_u64_u32 v[34:35], null, v32, v3, 0
	v_mul_lo_u32 v3, v28, v3
	v_and_b32_e32 v28, 1, v33
	v_cmp_eq_u32_e32 vcc_lo, 1, v28
	v_add3_u32 v35, v35, v4, v3
	v_mov_b32_e32 v3, v34
	s_or_b32 s13, vcc_lo, s13
	v_cndmask_b32_e64 v36, 0, 1, s13
	v_mov_b32_e32 v4, v35
.LBB55_103:
	s_or_b32 exec_lo, exec_lo, s15
	ds_write_b64 v31, v[3:4]
	ds_write_b8 v31, v36 offset:8
.LBB55_104:
	s_or_b32 exec_lo, exec_lo, s14
	v_mov_b32_e32 v3, 0
	v_mov_b32_e32 v4, 0
	;; [unrolled: 1-line block ×3, first 2 shown]
	s_mov_b32 s14, exec_lo
	v_cmp_gt_u32_e32 vcc_lo, 32, v0
	s_waitcnt lgkmcnt(0)
	s_barrier
	buffer_gl0_inv
	v_cmpx_lt_u32_e32 31, v0
	s_cbranch_execz .LBB55_106
; %bb.105:
	v_add_nc_u32_e32 v3, -16, v30
	v_add_nc_u32_e32 v27, -8, v30
	v_cmp_eq_u32_e64 s13, 0, v29
	ds_read_b64 v[3:4], v3
	ds_read_u8 v27, v27
	s_waitcnt lgkmcnt(1)
	v_cndmask_b32_e64 v28, 1, v3, s13
	v_cndmask_b32_e64 v30, 0, v4, s13
	s_waitcnt lgkmcnt(0)
	v_and_b32_e32 v35, 1, v27
	v_mul_lo_u32 v31, v28, v6
	v_mul_lo_u32 v30, v30, v5
	v_mad_u64_u32 v[5:6], null, v28, v5, 0
	v_or_b32_e32 v28, v27, v29
	v_and_b32_e32 v29, 1, v28
	v_add3_u32 v6, v6, v31, v30
.LBB55_106:
	s_or_b32 exec_lo, exec_lo, s14
	v_sub_co_u32 v27, s13, v53, 1
	v_cmp_gt_i32_e64 s14, 0, v27
	v_cndmask_b32_e64 v27, v27, v53, s14
	v_lshlrev_b32_e32 v27, 2, v27
	ds_bpermute_b32 v37, v27, v5
	ds_bpermute_b32 v38, v27, v6
	;; [unrolled: 1-line block ×3, first 2 shown]
	s_and_saveexec_b32 s15, vcc_lo
	s_cbranch_execz .LBB55_146
; %bb.107:
	v_mov_b32_e32 v29, 0
	ds_read_b64 v[5:6], v29 offset:112
	ds_read_u8 v39, v29 offset:120
	s_and_saveexec_b32 s14, s13
	s_cbranch_execz .LBB55_109
; %bb.108:
	s_add_i32 s16, s6, 32
	s_mov_b32 s17, 0
	v_mov_b32_e32 v27, 1
	s_lshl_b64 s[36:37], s[16:17], 4
	v_mov_b32_e32 v28, s16
	s_add_u32 s36, s20, s36
	s_addc_u32 s37, s21, s37
	s_waitcnt lgkmcnt(1)
	global_store_dwordx2 v29, v[5:6], s[36:37]
	s_waitcnt lgkmcnt(0)
	global_store_byte v29, v39, s[36:37] offset:8
	s_waitcnt_vscnt null, 0x0
	buffer_gl1_inv
	buffer_gl0_inv
	global_store_byte v28, v27, s[24:25]
.LBB55_109:
	s_or_b32 exec_lo, exec_lo, s14
	v_xad_u32 v27, v53, -1, s6
	s_mov_b32 s16, 0
	s_mov_b32 s14, exec_lo
	v_add_nc_u32_e32 v28, 32, v27
	global_load_ubyte v40, v28, s[24:25] glc dlc
	s_waitcnt vmcnt(0)
	v_cmpx_eq_u16_e32 0, v40
	s_cbranch_execz .LBB55_113
; %bb.110:
	v_add_co_u32 v30, s17, s24, v28
	v_add_co_ci_u32_e64 v31, null, s25, 0, s17
.LBB55_111:                             ; =>This Inner Loop Header: Depth=1
	global_load_ubyte v40, v[30:31], off glc dlc
	s_waitcnt vmcnt(0)
	v_cmp_ne_u16_e32 vcc_lo, 0, v40
	s_or_b32 s16, vcc_lo, s16
	s_andn2_b32 exec_lo, exec_lo, s16
	s_cbranch_execnz .LBB55_111
; %bb.112:
	s_or_b32 exec_lo, exec_lo, s16
.LBB55_113:
	s_or_b32 exec_lo, exec_lo, s14
	v_cmp_eq_u16_e32 vcc_lo, 1, v40
	v_mov_b32_e32 v31, s20
	v_mov_b32_e32 v30, s21
	v_lshlrev_b64 v[28:29], 4, v[28:29]
	s_waitcnt lgkmcnt(0)
	s_waitcnt_vscnt null, 0x0
	buffer_gl1_inv
	buffer_gl0_inv
	v_lshlrev_b32_e64 v42, v53, -1
	v_cndmask_b32_e32 v31, s22, v31, vcc_lo
	v_cndmask_b32_e32 v30, s23, v30, vcc_lo
	s_mov_b32 s14, exec_lo
	v_add_co_u32 v28, vcc_lo, v31, v28
	v_add_co_ci_u32_e64 v29, null, v30, v29, vcc_lo
	v_cmp_ne_u32_e32 vcc_lo, 31, v53
	s_clause 0x1
	global_load_ubyte v33, v[28:29], off offset:8
	global_load_dwordx2 v[31:32], v[28:29], off
	v_add_co_ci_u32_e64 v28, null, 0, v53, vcc_lo
	v_cmp_eq_u16_e32 vcc_lo, 2, v40
	v_lshlrev_b32_e32 v41, 2, v28
	v_and_or_b32 v28, vcc_lo, v42, 0x80000000
	v_ffbl_b32_e32 v30, v28
	s_waitcnt vmcnt(1)
	v_and_b32_e32 v34, 1, v33
	s_waitcnt vmcnt(0)
	ds_bpermute_b32 v44, v41, v31
	ds_bpermute_b32 v45, v41, v32
	v_mov_b32_e32 v29, v32
	v_mov_b32_e32 v28, v31
	ds_bpermute_b32 v43, v41, v34
	v_cmpx_lt_u32_e64 v53, v30
	s_cbranch_execz .LBB55_115
; %bb.114:
	v_mov_b32_e32 v28, 0
	v_cmp_eq_u16_sdwa vcc_lo, v33, v28 src0_sel:BYTE_0 src1_sel:DWORD
	s_waitcnt lgkmcnt(2)
	v_cndmask_b32_e32 v28, 1, v44, vcc_lo
	s_waitcnt lgkmcnt(1)
	v_cndmask_b32_e32 v34, 0, v45, vcc_lo
	v_mul_lo_u32 v32, v28, v32
	v_mad_u64_u32 v[28:29], null, v28, v31, 0
	v_mul_lo_u32 v31, v34, v31
	s_waitcnt lgkmcnt(0)
	v_and_b32_e32 v34, 1, v43
	v_or_b32_e32 v33, v34, v33
	v_add3_u32 v29, v29, v32, v31
	v_and_b32_e32 v34, 0xff, v33
	v_mov_b32_e32 v32, v29
	v_mov_b32_e32 v31, v28
.LBB55_115:
	s_or_b32 exec_lo, exec_lo, s14
	v_cmp_gt_u32_e32 vcc_lo, 30, v53
	s_waitcnt lgkmcnt(2)
	v_add_nc_u32_e32 v44, 2, v53
	s_mov_b32 s16, exec_lo
	s_waitcnt lgkmcnt(0)
	v_cndmask_b32_e64 v43, 0, 2, vcc_lo
	v_add_lshl_u32 v43, v43, v53, 2
	ds_bpermute_b32 v46, v43, v28
	ds_bpermute_b32 v47, v43, v29
	ds_bpermute_b32 v45, v43, v34
	v_cmpx_le_u32_e64 v44, v30
	s_cbranch_execz .LBB55_117
; %bb.116:
	v_mov_b32_e32 v28, 0
	v_cmp_eq_u16_sdwa vcc_lo, v33, v28 src0_sel:BYTE_0 src1_sel:DWORD
	v_and_b32_e32 v33, 1, v33
	s_waitcnt lgkmcnt(2)
	v_cndmask_b32_e32 v28, 1, v46, vcc_lo
	s_waitcnt lgkmcnt(1)
	v_cndmask_b32_e32 v34, 0, v47, vcc_lo
	v_cmp_eq_u32_e32 vcc_lo, 1, v33
	v_mul_lo_u32 v32, v28, v32
	v_mad_u64_u32 v[28:29], null, v28, v31, 0
	v_mul_lo_u32 v31, v34, v31
	s_waitcnt lgkmcnt(0)
	v_and_b32_e32 v34, 1, v45
	v_cmp_eq_u32_e64 s14, 1, v34
	v_add3_u32 v29, v29, v32, v31
	s_or_b32 s14, vcc_lo, s14
	v_mov_b32_e32 v32, v29
	v_cndmask_b32_e64 v33, 0, 1, s14
	v_cndmask_b32_e64 v34, 0, 1, s14
	v_mov_b32_e32 v31, v28
.LBB55_117:
	s_or_b32 exec_lo, exec_lo, s16
	v_cmp_gt_u32_e32 vcc_lo, 28, v53
	s_waitcnt lgkmcnt(2)
	v_add_nc_u32_e32 v46, 4, v53
	s_mov_b32 s16, exec_lo
	s_waitcnt lgkmcnt(0)
	v_cndmask_b32_e64 v45, 0, 4, vcc_lo
	v_add_lshl_u32 v45, v45, v53, 2
	ds_bpermute_b32 v48, v45, v28
	ds_bpermute_b32 v49, v45, v29
	ds_bpermute_b32 v47, v45, v34
	v_cmpx_le_u32_e64 v46, v30
	s_cbranch_execz .LBB55_119
; %bb.118:
	v_mov_b32_e32 v28, 0
	v_cmp_eq_u16_sdwa vcc_lo, v33, v28 src0_sel:BYTE_0 src1_sel:DWORD
	v_and_b32_e32 v33, 1, v33
	s_waitcnt lgkmcnt(2)
	v_cndmask_b32_e32 v28, 1, v48, vcc_lo
	s_waitcnt lgkmcnt(1)
	v_cndmask_b32_e32 v34, 0, v49, vcc_lo
	v_cmp_eq_u32_e32 vcc_lo, 1, v33
	v_mul_lo_u32 v32, v28, v32
	v_mad_u64_u32 v[28:29], null, v28, v31, 0
	v_mul_lo_u32 v31, v34, v31
	s_waitcnt lgkmcnt(0)
	v_and_b32_e32 v34, 1, v47
	v_cmp_eq_u32_e64 s14, 1, v34
	v_add3_u32 v29, v29, v32, v31
	s_or_b32 s14, vcc_lo, s14
	v_mov_b32_e32 v32, v29
	v_cndmask_b32_e64 v33, 0, 1, s14
	v_cndmask_b32_e64 v34, 0, 1, s14
	v_mov_b32_e32 v31, v28
.LBB55_119:
	;; [unrolled: 35-line block ×3, first 2 shown]
	s_or_b32 exec_lo, exec_lo, s16
	s_waitcnt lgkmcnt(2)
	v_lshl_or_b32 v50, v53, 2, 64
	s_waitcnt lgkmcnt(1)
	v_add_nc_u32_e32 v51, 16, v53
	s_mov_b32 s16, exec_lo
	s_waitcnt lgkmcnt(0)
	ds_bpermute_b32 v49, v50, v28
	ds_bpermute_b32 v29, v50, v29
	;; [unrolled: 1-line block ×3, first 2 shown]
	v_cmpx_le_u32_e64 v51, v30
	s_cbranch_execz .LBB55_123
; %bb.122:
	v_mov_b32_e32 v30, 0
	s_waitcnt lgkmcnt(0)
	v_and_b32_e32 v28, 1, v28
	v_cmp_eq_u16_sdwa vcc_lo, v33, v30 src0_sel:BYTE_0 src1_sel:DWORD
	v_and_b32_e32 v33, 1, v33
	v_cmp_eq_u32_e64 s14, 1, v28
	v_cndmask_b32_e32 v30, 1, v49, vcc_lo
	v_cndmask_b32_e32 v34, 0, v29, vcc_lo
	v_cmp_eq_u32_e32 vcc_lo, 1, v33
	v_mul_lo_u32 v32, v30, v32
	v_mad_u64_u32 v[29:30], null, v30, v31, 0
	v_mul_lo_u32 v31, v34, v31
	s_or_b32 s14, vcc_lo, s14
	v_cndmask_b32_e64 v33, 0, 1, s14
	v_add3_u32 v30, v30, v32, v31
	v_mov_b32_e32 v32, v30
	v_mov_b32_e32 v31, v29
.LBB55_123:
	s_or_b32 exec_lo, exec_lo, s16
	s_waitcnt lgkmcnt(0)
	v_mov_b32_e32 v28, 0
	v_mov_b32_e32 v52, 2
	s_branch .LBB55_126
.LBB55_124:                             ;   in Loop: Header=BB55_126 Depth=1
	s_or_b32 exec_lo, exec_lo, s17
	v_cmp_eq_u16_sdwa vcc_lo, v49, v28 src0_sel:BYTE_0 src1_sel:DWORD
	s_waitcnt lgkmcnt(1)
	v_and_b32_e32 v34, 1, v49
	v_subrev_nc_u32_e32 v27, 32, v27
	v_cndmask_b32_e32 v31, 1, v31, vcc_lo
	s_waitcnt lgkmcnt(0)
	v_cndmask_b32_e32 v33, 0, v32, vcc_lo
	v_cmp_eq_u32_e32 vcc_lo, 1, v34
	v_mul_lo_u32 v64, v31, v30
	v_mad_u64_u32 v[31:32], null, v31, v29, 0
	v_mul_lo_u32 v33, v33, v29
	s_or_b32 s14, vcc_lo, s16
	v_add3_u32 v32, v32, v64, v33
	v_cndmask_b32_e64 v33, 0, 1, s14
	s_mov_b32 s14, 0
.LBB55_125:                             ;   in Loop: Header=BB55_126 Depth=1
	s_and_b32 vcc_lo, exec_lo, s14
	s_cbranch_vccnz .LBB55_142
.LBB55_126:                             ; =>This Loop Header: Depth=1
                                        ;     Child Loop BB55_129 Depth 2
	v_cmp_ne_u16_sdwa s14, v40, v52 src0_sel:BYTE_0 src1_sel:DWORD
	v_mov_b32_e32 v29, v31
	v_mov_b32_e32 v49, v33
	;; [unrolled: 1-line block ×3, first 2 shown]
                                        ; implicit-def: $vgpr33
                                        ; implicit-def: $vgpr31_vgpr32
                                        ; implicit-def: $vgpr40
	s_cmp_lg_u32 s14, exec_lo
	s_mov_b32 s14, -1
	s_cbranch_scc1 .LBB55_125
; %bb.127:                              ;   in Loop: Header=BB55_126 Depth=1
	global_load_ubyte v40, v27, s[24:25] glc dlc
	s_mov_b32 s14, exec_lo
	s_waitcnt vmcnt(0)
	v_cmpx_eq_u16_e32 0, v40
	s_cbranch_execz .LBB55_131
; %bb.128:                              ;   in Loop: Header=BB55_126 Depth=1
	v_add_co_u32 v31, s16, s24, v27
	v_add_co_ci_u32_e64 v32, null, s25, 0, s16
	s_mov_b32 s16, 0
.LBB55_129:                             ;   Parent Loop BB55_126 Depth=1
                                        ; =>  This Inner Loop Header: Depth=2
	global_load_ubyte v40, v[31:32], off glc dlc
	s_waitcnt vmcnt(0)
	v_cmp_ne_u16_e32 vcc_lo, 0, v40
	s_or_b32 s16, vcc_lo, s16
	s_andn2_b32 exec_lo, exec_lo, s16
	s_cbranch_execnz .LBB55_129
; %bb.130:                              ;   in Loop: Header=BB55_126 Depth=1
	s_or_b32 exec_lo, exec_lo, s16
.LBB55_131:                             ;   in Loop: Header=BB55_126 Depth=1
	s_or_b32 exec_lo, exec_lo, s14
	v_cmp_eq_u16_e32 vcc_lo, 1, v40
	v_mov_b32_e32 v34, s20
	v_mov_b32_e32 v33, s21
	v_lshlrev_b64 v[31:32], 4, v[27:28]
	buffer_gl1_inv
	buffer_gl0_inv
	s_mov_b32 s14, exec_lo
	v_cndmask_b32_e32 v34, s22, v34, vcc_lo
	v_cndmask_b32_e32 v33, s23, v33, vcc_lo
	v_add_co_u32 v31, vcc_lo, v34, v31
	v_add_co_ci_u32_e64 v32, null, v33, v32, vcc_lo
	v_cmp_eq_u16_e32 vcc_lo, 2, v40
	s_clause 0x1
	global_load_ubyte v64, v[31:32], off offset:8
	global_load_dwordx2 v[31:32], v[31:32], off
	v_and_or_b32 v33, vcc_lo, v42, 0x80000000
	v_ffbl_b32_e32 v65, v33
	s_waitcnt vmcnt(1)
	v_and_b32_e32 v66, 1, v64
	s_waitcnt vmcnt(0)
	ds_bpermute_b32 v68, v41, v31
	ds_bpermute_b32 v69, v41, v32
	v_mov_b32_e32 v34, v32
	v_mov_b32_e32 v33, v31
	ds_bpermute_b32 v67, v41, v66
	v_cmpx_lt_u32_e64 v53, v65
	s_cbranch_execz .LBB55_133
; %bb.132:                              ;   in Loop: Header=BB55_126 Depth=1
	v_cmp_eq_u16_sdwa vcc_lo, v64, v28 src0_sel:BYTE_0 src1_sel:DWORD
	s_waitcnt lgkmcnt(2)
	v_cndmask_b32_e32 v33, 1, v68, vcc_lo
	s_waitcnt lgkmcnt(1)
	v_cndmask_b32_e32 v66, 0, v69, vcc_lo
	v_mul_lo_u32 v32, v33, v32
	v_mad_u64_u32 v[33:34], null, v33, v31, 0
	v_mul_lo_u32 v31, v66, v31
	s_waitcnt lgkmcnt(0)
	v_and_b32_e32 v66, 1, v67
	v_or_b32_e32 v64, v66, v64
	v_add3_u32 v34, v34, v32, v31
	v_mov_b32_e32 v31, v33
	v_and_b32_e32 v66, 0xff, v64
	v_mov_b32_e32 v32, v34
.LBB55_133:                             ;   in Loop: Header=BB55_126 Depth=1
	s_or_b32 exec_lo, exec_lo, s14
	s_waitcnt lgkmcnt(2)
	ds_bpermute_b32 v68, v43, v33
	s_waitcnt lgkmcnt(2)
	ds_bpermute_b32 v69, v43, v34
	;; [unrolled: 2-line block ×3, first 2 shown]
	v_and_b32_e32 v70, 1, v64
	s_mov_b32 s14, exec_lo
	v_cmp_eq_u32_e64 s16, 1, v70
	v_cmpx_le_u32_e64 v44, v65
	s_cbranch_execz .LBB55_135
; %bb.134:                              ;   in Loop: Header=BB55_126 Depth=1
	v_cmp_eq_u16_sdwa vcc_lo, v64, v28 src0_sel:BYTE_0 src1_sel:DWORD
	s_waitcnt lgkmcnt(0)
	v_and_b32_e32 v66, 1, v67
	v_cndmask_b32_e32 v33, 1, v68, vcc_lo
	v_cndmask_b32_e32 v64, 0, v69, vcc_lo
	v_cmp_eq_u32_e32 vcc_lo, 1, v66
	v_mul_lo_u32 v32, v33, v32
	v_mad_u64_u32 v[33:34], null, v33, v31, 0
	v_mul_lo_u32 v31, v64, v31
	s_or_b32 s17, s16, vcc_lo
	s_andn2_b32 s16, s16, exec_lo
	v_cndmask_b32_e64 v64, 0, 1, s17
	v_cndmask_b32_e64 v66, 0, 1, s17
	s_and_b32 s17, s17, exec_lo
	s_or_b32 s16, s16, s17
	v_add3_u32 v34, v34, v32, v31
	v_mov_b32_e32 v31, v33
	v_mov_b32_e32 v32, v34
.LBB55_135:                             ;   in Loop: Header=BB55_126 Depth=1
	s_or_b32 exec_lo, exec_lo, s14
	s_waitcnt lgkmcnt(2)
	ds_bpermute_b32 v68, v45, v33
	s_waitcnt lgkmcnt(2)
	ds_bpermute_b32 v69, v45, v34
	;; [unrolled: 2-line block ×3, first 2 shown]
	s_mov_b32 s17, exec_lo
	v_cmpx_le_u32_e64 v46, v65
	s_cbranch_execz .LBB55_137
; %bb.136:                              ;   in Loop: Header=BB55_126 Depth=1
	v_cmp_eq_u16_sdwa vcc_lo, v64, v28 src0_sel:BYTE_0 src1_sel:DWORD
	v_and_b32_e32 v64, 1, v64
	s_waitcnt lgkmcnt(0)
	v_and_b32_e32 v67, 1, v67
	s_andn2_b32 s16, s16, exec_lo
	v_cndmask_b32_e32 v33, 1, v68, vcc_lo
	v_cndmask_b32_e32 v66, 0, v69, vcc_lo
	v_cmp_eq_u32_e32 vcc_lo, 1, v64
	v_cmp_eq_u32_e64 s14, 1, v67
	v_mul_lo_u32 v32, v33, v32
	v_mad_u64_u32 v[33:34], null, v33, v31, 0
	v_mul_lo_u32 v31, v66, v31
	s_or_b32 s14, vcc_lo, s14
	v_cndmask_b32_e64 v64, 0, 1, s14
	v_cndmask_b32_e64 v66, 0, 1, s14
	s_and_b32 s14, s14, exec_lo
	s_or_b32 s16, s16, s14
	v_add3_u32 v34, v34, v32, v31
	v_mov_b32_e32 v31, v33
	v_mov_b32_e32 v32, v34
.LBB55_137:                             ;   in Loop: Header=BB55_126 Depth=1
	s_or_b32 exec_lo, exec_lo, s17
	s_waitcnt lgkmcnt(2)
	ds_bpermute_b32 v68, v47, v33
	s_waitcnt lgkmcnt(2)
	ds_bpermute_b32 v69, v47, v34
	;; [unrolled: 2-line block ×3, first 2 shown]
	s_mov_b32 s17, exec_lo
	v_cmpx_le_u32_e64 v48, v65
	s_cbranch_execz .LBB55_139
; %bb.138:                              ;   in Loop: Header=BB55_126 Depth=1
	v_cmp_eq_u16_sdwa vcc_lo, v64, v28 src0_sel:BYTE_0 src1_sel:DWORD
	v_and_b32_e32 v64, 1, v64
	s_waitcnt lgkmcnt(0)
	v_and_b32_e32 v67, 1, v67
	s_andn2_b32 s16, s16, exec_lo
	v_cndmask_b32_e32 v33, 1, v68, vcc_lo
	v_cndmask_b32_e32 v66, 0, v69, vcc_lo
	v_cmp_eq_u32_e32 vcc_lo, 1, v64
	v_cmp_eq_u32_e64 s14, 1, v67
	v_mul_lo_u32 v32, v33, v32
	v_mad_u64_u32 v[33:34], null, v33, v31, 0
	v_mul_lo_u32 v31, v66, v31
	s_or_b32 s14, vcc_lo, s14
	v_cndmask_b32_e64 v64, 0, 1, s14
	v_cndmask_b32_e64 v66, 0, 1, s14
	s_and_b32 s14, s14, exec_lo
	s_or_b32 s16, s16, s14
	v_add3_u32 v34, v34, v32, v31
	v_mov_b32_e32 v31, v33
	v_mov_b32_e32 v32, v34
.LBB55_139:                             ;   in Loop: Header=BB55_126 Depth=1
	s_or_b32 exec_lo, exec_lo, s17
	s_waitcnt lgkmcnt(0)
	ds_bpermute_b32 v67, v50, v33
	ds_bpermute_b32 v34, v50, v34
	ds_bpermute_b32 v33, v50, v66
	s_mov_b32 s17, exec_lo
	v_cmpx_le_u32_e64 v51, v65
	s_cbranch_execz .LBB55_124
; %bb.140:                              ;   in Loop: Header=BB55_126 Depth=1
	v_cmp_eq_u16_sdwa vcc_lo, v64, v28 src0_sel:BYTE_0 src1_sel:DWORD
	s_waitcnt lgkmcnt(0)
	v_and_b32_e32 v33, 1, v33
	s_andn2_b32 s16, s16, exec_lo
	v_cndmask_b32_e32 v65, 1, v67, vcc_lo
	v_cndmask_b32_e32 v34, 0, v34, vcc_lo
	v_cmp_eq_u32_e64 s14, 1, v33
	v_mul_lo_u32 v32, v65, v32
	v_mad_u64_u32 v[65:66], null, v65, v31, 0
	v_mul_lo_u32 v31, v34, v31
	v_and_b32_e32 v34, 1, v64
	v_cmp_eq_u32_e32 vcc_lo, 1, v34
	v_add3_u32 v66, v66, v32, v31
	v_mov_b32_e32 v31, v65
	s_or_b32 s14, vcc_lo, s14
	v_mov_b32_e32 v32, v66
	s_and_b32 s14, s14, exec_lo
	s_or_b32 s16, s16, s14
	s_branch .LBB55_124
.LBB55_141:
                                        ; implicit-def: $vgpr49_vgpr50
                                        ; implicit-def: $vgpr47_vgpr48
                                        ; implicit-def: $vgpr43_vgpr44
                                        ; implicit-def: $vgpr39_vgpr40
                                        ; implicit-def: $vgpr35_vgpr36
                                        ; implicit-def: $vgpr31_vgpr32
                                        ; implicit-def: $vgpr27_vgpr28
                                        ; implicit-def: $vgpr45_vgpr46
                                        ; implicit-def: $vgpr41_vgpr42
                                        ; implicit-def: $vgpr37_vgpr38
                                        ; implicit-def: $vgpr33_vgpr34
                                        ; implicit-def: $vgpr29_vgpr30
                                        ; implicit-def: $vgpr51_vgpr52
	s_cbranch_execnz .LBB55_149
	s_branch .LBB55_178
.LBB55_142:
	s_and_saveexec_b32 s14, s13
	s_cbranch_execz .LBB55_144
; %bb.143:
	v_mov_b32_e32 v31, 0
	s_mov_b32 s17, 0
	s_add_i32 s16, s6, 32
	v_mov_b32_e32 v33, 2
	s_lshl_b64 s[20:21], s[16:17], 4
	v_cmp_eq_u32_sdwa vcc_lo, v39, v31 src0_sel:BYTE_0 src1_sel:DWORD
	v_mov_b32_e32 v34, s16
	s_add_u32 s16, s22, s20
	s_addc_u32 s17, s23, s21
	v_cndmask_b32_e32 v27, 1, v29, vcc_lo
	v_cndmask_b32_e32 v32, 0, v30, vcc_lo
	v_mul_lo_u32 v6, v27, v6
	v_mad_u64_u32 v[27:28], null, v27, v5, 0
	v_mul_lo_u32 v5, v32, v5
	v_or_b32_e32 v32, v39, v49
	v_and_b32_e32 v32, 1, v32
	v_add3_u32 v28, v28, v6, v5
	global_store_byte v31, v32, s[16:17] offset:8
	global_store_dwordx2 v31, v[27:28], s[16:17]
	s_waitcnt_vscnt null, 0x0
	buffer_gl1_inv
	buffer_gl0_inv
	global_store_byte v34, v33, s[24:25]
.LBB55_144:
	s_or_b32 exec_lo, exec_lo, s14
	v_cmp_eq_u32_e32 vcc_lo, 0, v0
	s_and_b32 exec_lo, exec_lo, vcc_lo
	s_cbranch_execz .LBB55_146
; %bb.145:
	v_mov_b32_e32 v5, 0
	ds_write_b64 v5, v[29:30] offset:112
	ds_write_b8 v5, v49 offset:120
.LBB55_146:
	s_or_b32 exec_lo, exec_lo, s15
	v_mov_b32_e32 v29, 0
	s_waitcnt lgkmcnt(0)
	s_waitcnt_vscnt null, 0x0
	s_barrier
	buffer_gl0_inv
	v_mov_b32_e32 v28, v2
	ds_read_b64 v[5:6], v29 offset:112
	v_mov_b32_e32 v30, v87
	v_mov_b32_e32 v27, v1
	s_mov_b32 s14, 0
	s_mov_b32 s15, exec_lo
	v_cmpx_ne_u32_e32 0, v0
	s_cbranch_execz .LBB55_148
; %bb.147:
	v_cndmask_b32_e64 v4, v38, v4, s13
	v_cndmask_b32_e64 v3, v37, v3, s13
	v_cmp_eq_u16_sdwa vcc_lo, v87, v29 src0_sel:BYTE_0 src1_sel:DWORD
	v_cndmask_b32_e64 v27, v36, v35, s13
	v_and_b32_e32 v28, 1, v87
	v_cndmask_b32_e32 v3, 1, v3, vcc_lo
	v_cndmask_b32_e32 v4, 0, v4, vcc_lo
	v_and_b32_e32 v30, 1, v27
	v_cmp_eq_u32_e32 vcc_lo, 1, v28
	v_mul_lo_u32 v31, v3, v2
	v_mul_lo_u32 v4, v4, v1
	v_mad_u64_u32 v[27:28], null, v3, v1, 0
	v_cmp_eq_u32_e64 s6, 1, v30
	s_or_b32 s6, vcc_lo, s6
	v_add3_u32 v28, v28, v31, v4
	v_cndmask_b32_e64 v30, 0, 1, s6
.LBB55_148:
	s_or_b32 exec_lo, exec_lo, s15
	v_cmp_eq_u16_sdwa vcc_lo, v30, v29 src0_sel:BYTE_0 src1_sel:DWORD
	s_waitcnt lgkmcnt(0)
	v_cndmask_b32_e32 v3, 1, v5, vcc_lo
	v_cndmask_b32_e32 v4, 0, v6, vcc_lo
	v_mul_lo_u32 v5, v3, v28
	v_mad_u64_u32 v[51:52], null, v3, v27, 0
	v_mul_lo_u32 v3, v4, v27
	v_add3_u32 v52, v52, v5, v3
	v_cndmask_b32_e64 v3, 1, v51, s12
	v_cndmask_b32_e64 v4, 0, v52, s12
	v_mul_lo_u32 v5, v3, v10
	v_mad_u64_u32 v[27:28], null, v3, v9, 0
	v_mul_lo_u32 v3, v4, v9
	v_add3_u32 v28, v28, v5, v3
	v_cndmask_b32_e64 v3, 1, v27, s11
	v_cndmask_b32_e64 v4, 0, v28, s11
	;; [unrolled: 6-line block ×12, first 2 shown]
	v_mul_lo_u32 v5, v3, v12
	v_mad_u64_u32 v[49:50], null, v3, v11, 0
	v_mul_lo_u32 v4, v4, v11
	v_add3_u32 v50, v50, v5, v4
	s_and_b32 vcc_lo, exec_lo, s14
	s_cbranch_vccz .LBB55_178
.LBB55_149:
	s_cmp_lg_u64 s[34:35], 0
	v_cmp_eq_u32_e32 vcc_lo, 0, v0
	s_cselect_b32 s0, -1, 0
	s_cmp_lg_u64 s[38:39], 0
	v_cmp_ne_u32_e64 s7, 0, v0
	s_cselect_b32 s1, -1, 0
	s_and_b32 s0, s0, s1
	s_and_b32 s0, vcc_lo, s0
	s_and_saveexec_b32 s1, s0
	s_cbranch_execz .LBB55_151
; %bb.150:
	v_mov_b32_e32 v5, 0
	s_clause 0x1
	global_load_dwordx2 v[3:4], v5, s[38:39]
	global_load_ubyte v6, v5, s[38:39] offset:8
	v_cmp_eq_u16_sdwa s0, v87, v5 src0_sel:BYTE_0 src1_sel:DWORD
	s_waitcnt vmcnt(1)
	v_cndmask_b32_e64 v3, 1, v3, s0
	v_cndmask_b32_e64 v4, 0, v4, s0
	v_mul_lo_u32 v5, v3, v2
	v_mul_lo_u32 v4, v4, v1
	v_mad_u64_u32 v[1:2], null, v3, v1, 0
	s_waitcnt vmcnt(0)
	v_or_b32_e32 v3, v87, v6
	v_and_b32_e32 v87, 1, v3
	v_add3_u32 v2, v2, v5, v4
.LBB55_151:
	s_or_b32 exec_lo, exec_lo, s1
	v_mov_b32_e32 v3, 0
	v_cmp_eq_u16_e64 s6, 0, v58
	v_cmp_eq_u32_e64 s16, 1, v63
	v_cmp_eq_u32_e64 s15, 1, v62
	;; [unrolled: 1-line block ×3, first 2 shown]
	v_cmp_eq_u16_sdwa s12, v92, v3 src0_sel:BYTE_0 src1_sel:DWORD
	v_cmp_eq_u16_sdwa s11, v91, v3 src0_sel:BYTE_0 src1_sel:DWORD
	;; [unrolled: 1-line block ×5, first 2 shown]
	v_cndmask_b32_e64 v4, 1, v1, s12
	v_cndmask_b32_e64 v5, 0, v2, s12
	v_cmp_eq_u16_sdwa s5, v86, v3 src0_sel:BYTE_0 src1_sel:DWORD
	v_cmp_eq_u16_sdwa s4, v85, v3 src0_sel:BYTE_0 src1_sel:DWORD
	;; [unrolled: 1-line block ×3, first 2 shown]
	v_mul_lo_u32 v6, v4, v10
	v_mad_u64_u32 v[27:28], null, v4, v9, 0
	v_mul_lo_u32 v4, v5, v9
	v_cmp_eq_u16_sdwa s2, v83, v3 src0_sel:BYTE_0 src1_sel:DWORD
	v_cmp_eq_u16_sdwa s1, v82, v3 src0_sel:BYTE_0 src1_sel:DWORD
	;; [unrolled: 1-line block ×3, first 2 shown]
	v_cmp_ne_u16_sdwa s34, v56, v3 src0_sel:BYTE_0 src1_sel:DWORD
	v_cmp_ne_u16_sdwa s21, v55, v3 src0_sel:BYTE_0 src1_sel:DWORD
	v_cndmask_b32_e64 v5, 1, v27, s11
	v_cmp_ne_u16_sdwa s35, v54, v3 src0_sel:BYTE_0 src1_sel:DWORD
	v_add3_u32 v28, v28, v6, v4
	v_cmp_eq_u32_e64 s14, 1, v61
	s_or_b32 s16, s34, s16
	v_mul_lo_u32 v6, v5, v16
	v_mad_u64_u32 v[29:30], null, v5, v15, 0
	v_cndmask_b32_e64 v4, 0, v28, s11
	v_cmp_eq_u32_e64 s13, 1, v60
	s_or_b32 s15, s35, s15
	s_or_b32 s16, s17, s16
	;; [unrolled: 1-line block ×3, first 2 shown]
	v_mul_lo_u32 v4, v4, v15
	v_cndmask_b32_e64 v5, 1, v29, s10
	s_or_b32 s15, s16, s15
	v_and_b32_e32 v52, 15, v53
	s_or_b32 s14, s15, s14
	v_mad_u64_u32 v[31:32], null, v5, v13, 0
	v_add3_u32 v30, v30, v6, v4
	v_mul_lo_u32 v6, v5, v14
	v_cndmask_b32_e64 v4, 0, v30, s10
	v_cndmask_b32_e64 v5, 1, v31, s9
	v_mul_lo_u32 v4, v4, v13
	v_mad_u64_u32 v[33:34], null, v5, v19, 0
	v_add3_u32 v32, v32, v6, v4
	v_mul_lo_u32 v6, v5, v20
	v_cndmask_b32_e64 v5, 1, v33, s8
	v_cndmask_b32_e64 v4, 0, v32, s9
	v_mad_u64_u32 v[35:36], null, v5, v17, 0
	v_mul_lo_u32 v4, v4, v19
	v_add3_u32 v34, v34, v6, v4
	v_mul_lo_u32 v6, v5, v18
	v_cndmask_b32_e64 v5, 1, v35, s5
	v_cndmask_b32_e64 v4, 0, v34, s8
	v_mad_u64_u32 v[37:38], null, v5, v23, 0
	v_mul_lo_u32 v4, v4, v17
	;; [unrolled: 6-line block ×6, first 2 shown]
	v_add3_u32 v44, v44, v6, v4
	v_mul_lo_u32 v6, v5, v78
	v_cndmask_b32_e64 v5, 1, v45, s0
	v_cndmask_b32_e64 v4, 0, v44, s1
	v_mul_lo_u32 v49, v5, v8
	v_mad_u64_u32 v[47:48], null, v5, v7, 0
	v_mul_lo_u32 v4, v4, v77
	v_add3_u32 v46, v46, v6, v4
	v_or_b32_e32 v6, v87, v92
	v_cndmask_b32_e64 v4, 0, v46, s0
	v_cmp_ne_u16_sdwa s20, v6, v3 src0_sel:BYTE_0 src1_sel:DWORD
	v_mul_lo_u32 v4, v4, v7
	s_or_b32 s13, s20, s13
	s_or_b32 s15, s14, s13
	s_mov_b32 s14, exec_lo
	v_cndmask_b32_e64 v51, 0, 1, s15
	v_add3_u32 v48, v48, v49, v4
	v_cndmask_b32_e64 v4, 1, v47, s6
	v_mov_b32_dpp v54, v51 row_shr:1 row_mask:0xf bank_mask:0xf
	v_cndmask_b32_e64 v3, 0, v48, s6
	v_mul_lo_u32 v5, v4, v12
	v_mad_u64_u32 v[49:50], null, v4, v11, 0
	v_mul_lo_u32 v3, v3, v11
	v_mov_b32_dpp v55, v49 row_shr:1 row_mask:0xf bank_mask:0xf
	v_add3_u32 v50, v50, v5, v3
	v_mov_b32_e32 v3, v49
	v_mov_b32_e32 v5, v49
	v_mov_b32_dpp v56, v50 row_shr:1 row_mask:0xf bank_mask:0xf
	v_mov_b32_e32 v4, v50
	v_mov_b32_e32 v6, v50
	v_cmpx_ne_u32_e32 0, v52
	s_cbranch_execz .LBB55_153
; %bb.152:
	v_cndmask_b32_e64 v3, v56, 0, s15
	v_cndmask_b32_e64 v4, v55, 1, s15
	v_and_or_b32 v51, v54, 1, v51
	v_mul_lo_u32 v5, v49, v3
	v_mul_lo_u32 v6, v50, v4
	v_mad_u64_u32 v[3:4], null, v49, v4, 0
	v_add3_u32 v4, v4, v5, v6
	v_mov_b32_e32 v5, v3
	v_mov_b32_e32 v6, v4
.LBB55_153:
	s_or_b32 exec_lo, exec_lo, s14
	v_mov_b32_dpp v55, v5 row_shr:2 row_mask:0xf bank_mask:0xf
	v_mov_b32_dpp v56, v6 row_shr:2 row_mask:0xf bank_mask:0xf
	v_mov_b32_dpp v54, v51 row_shr:2 row_mask:0xf bank_mask:0xf
	s_mov_b32 s14, exec_lo
	v_cmpx_lt_u32_e32 1, v52
	s_cbranch_execz .LBB55_155
; %bb.154:
	v_cmp_eq_u16_e64 s13, 0, v51
	v_or_b32_e32 v51, v54, v51
	v_cndmask_b32_e64 v5, 1, v55, s13
	v_cndmask_b32_e64 v55, 0, v56, s13
	v_and_b32_e32 v51, 1, v51
	v_mul_lo_u32 v4, v5, v4
	v_mad_u64_u32 v[5:6], null, v5, v3, 0
	v_mul_lo_u32 v3, v55, v3
	v_add3_u32 v6, v6, v4, v3
	v_mov_b32_e32 v3, v5
	v_mov_b32_e32 v4, v6
.LBB55_155:
	s_or_b32 exec_lo, exec_lo, s14
	v_mov_b32_dpp v55, v5 row_shr:4 row_mask:0xf bank_mask:0xf
	v_mov_b32_dpp v56, v6 row_shr:4 row_mask:0xf bank_mask:0xf
	v_mov_b32_dpp v54, v51 row_shr:4 row_mask:0xf bank_mask:0xf
	s_mov_b32 s14, exec_lo
	v_cmpx_lt_u32_e32 3, v52
	s_cbranch_execz .LBB55_157
; %bb.156:
	v_cmp_eq_u16_e64 s13, 0, v51
	v_or_b32_e32 v51, v54, v51
	v_cndmask_b32_e64 v5, 1, v55, s13
	v_cndmask_b32_e64 v55, 0, v56, s13
	v_and_b32_e32 v51, 1, v51
	v_mul_lo_u32 v4, v5, v4
	v_mad_u64_u32 v[5:6], null, v5, v3, 0
	v_mul_lo_u32 v3, v55, v3
	v_add3_u32 v6, v6, v4, v3
	v_mov_b32_e32 v3, v5
	v_mov_b32_e32 v4, v6
.LBB55_157:
	;; [unrolled: 20-line block ×3, first 2 shown]
	s_or_b32 exec_lo, exec_lo, s14
	ds_swizzle_b32 v52, v5 offset:swizzle(BROADCAST,32,15)
	ds_swizzle_b32 v6, v6 offset:swizzle(BROADCAST,32,15)
	;; [unrolled: 1-line block ×3, first 2 shown]
	v_and_b32_e32 v54, 16, v53
	v_cmp_ne_u32_e64 s13, 0, v54
	v_mov_b32_e32 v54, v51
	s_and_saveexec_b32 s15, s13
	s_cbranch_execz .LBB55_161
; %bb.160:
	v_cmp_eq_u16_e64 s13, 0, v51
	v_and_b32_e32 v51, 1, v51
	s_waitcnt lgkmcnt(0)
	v_and_b32_e32 v5, 1, v5
	v_cndmask_b32_e64 v52, 1, v52, s13
	v_cndmask_b32_e64 v6, 0, v6, s13
	v_cmp_eq_u32_e64 s13, 1, v51
	v_cmp_eq_u32_e64 s14, 1, v5
	v_mul_lo_u32 v4, v52, v4
	v_mad_u64_u32 v[55:56], null, v52, v3, 0
	v_mul_lo_u32 v3, v6, v3
	s_or_b32 s13, s13, s14
	v_cndmask_b32_e64 v51, 0, 1, s13
	v_cndmask_b32_e64 v54, 0, 1, s13
	v_add3_u32 v56, v56, v4, v3
	v_mov_b32_e32 v3, v55
	v_mov_b32_e32 v4, v56
.LBB55_161:
	s_or_b32 exec_lo, exec_lo, s15
	s_waitcnt lgkmcnt(0)
	v_or_b32_e32 v5, 31, v0
	v_lshrrev_b32_e32 v55, 5, v0
	s_mov_b32 s14, exec_lo
	v_cmpx_eq_u32_e64 v0, v5
	s_cbranch_execz .LBB55_163
; %bb.162:
	v_lshlrev_b32_e32 v5, 4, v55
	ds_write_b64 v5, v[3:4]
	ds_write_b8 v5, v51 offset:8
.LBB55_163:
	s_or_b32 exec_lo, exec_lo, s14
	s_mov_b32 s15, exec_lo
	s_waitcnt lgkmcnt(0)
	s_barrier
	buffer_gl0_inv
	v_cmpx_gt_u32_e32 8, v0
	s_cbranch_execz .LBB55_171
; %bb.164:
	v_lshlrev_b32_e32 v56, 4, v0
	v_and_b32_e32 v58, 7, v53
	s_mov_b32 s14, exec_lo
	ds_read_b64 v[5:6], v56
	ds_read_b32 v61, v56 offset:8
	s_waitcnt lgkmcnt(1)
	v_mov_b32_dpp v64, v5 row_shr:1 row_mask:0xf bank_mask:0xf
	v_mov_b32_dpp v65, v6 row_shr:1 row_mask:0xf bank_mask:0xf
	s_waitcnt lgkmcnt(0)
	v_and_b32_e32 v60, 0xffffff00, v61
	v_mov_b32_dpp v63, v61 row_shr:1 row_mask:0xf bank_mask:0xf
	v_mov_b32_e32 v62, v61
	v_mov_b32_e32 v59, v61
	;; [unrolled: 1-line block ×4, first 2 shown]
	v_cmpx_ne_u32_e32 0, v58
	s_cbranch_execz .LBB55_166
; %bb.165:
	v_mov_b32_e32 v51, 0
	v_cmp_eq_u16_sdwa s13, v61, v51 src0_sel:BYTE_0 src1_sel:DWORD
	v_or_b32_e32 v61, v63, v61
	v_cndmask_b32_e64 v51, 1, v64, s13
	v_cndmask_b32_e64 v59, 0, v65, s13
	v_and_b32_e32 v62, 1, v61
	v_mul_lo_u32 v6, v51, v6
	v_mad_u64_u32 v[51:52], null, v51, v5, 0
	v_mul_lo_u32 v5, v59, v5
	v_and_b32_e32 v59, 1, v61
	v_or_b32_e32 v61, v59, v60
	v_add3_u32 v52, v52, v6, v5
	v_mov_b32_e32 v5, v51
	v_mov_b32_e32 v6, v52
.LBB55_166:
	s_or_b32 exec_lo, exec_lo, s14
	v_mov_b32_dpp v65, v51 row_shr:2 row_mask:0xf bank_mask:0xf
	v_mov_b32_dpp v63, v52 row_shr:2 row_mask:0xf bank_mask:0xf
	;; [unrolled: 1-line block ×3, first 2 shown]
	s_mov_b32 s16, exec_lo
	v_cmpx_lt_u32_e32 1, v58
	s_cbranch_execz .LBB55_168
; %bb.167:
	v_mov_b32_e32 v51, 0
	v_and_b32_e32 v61, 1, v64
	v_cmp_eq_u16_sdwa s13, v59, v51 src0_sel:BYTE_0 src1_sel:DWORD
	v_and_b32_e32 v59, 1, v59
	v_cmp_eq_u32_e64 s14, 1, v61
	v_cndmask_b32_e64 v51, 1, v65, s13
	v_cndmask_b32_e64 v62, 0, v63, s13
	v_cmp_eq_u32_e64 s13, 1, v59
	v_mul_lo_u32 v6, v51, v6
	v_mad_u64_u32 v[51:52], null, v51, v5, 0
	v_mul_lo_u32 v5, v62, v5
	s_or_b32 s13, s13, s14
	v_cndmask_b32_e64 v62, 0, 1, s13
	v_cndmask_b32_e64 v59, 0, 1, s13
	v_add3_u32 v52, v52, v6, v5
	v_mov_b32_e32 v5, v51
	v_or_b32_e32 v61, v60, v59
	v_mov_b32_e32 v59, v62
	v_mov_b32_e32 v6, v52
.LBB55_168:
	s_or_b32 exec_lo, exec_lo, s16
	v_mov_b32_dpp v60, v51 row_shr:4 row_mask:0xf bank_mask:0xf
	v_mov_b32_dpp v52, v52 row_shr:4 row_mask:0xf bank_mask:0xf
	;; [unrolled: 1-line block ×3, first 2 shown]
	s_mov_b32 s16, exec_lo
	v_cmpx_lt_u32_e32 3, v58
	s_cbranch_execz .LBB55_170
; %bb.169:
	v_mov_b32_e32 v58, 0
	v_and_b32_e32 v51, 1, v51
	v_cmp_eq_u16_sdwa s13, v59, v58 src0_sel:BYTE_0 src1_sel:DWORD
	v_cmp_eq_u32_e64 s14, 1, v51
	v_cndmask_b32_e64 v58, 1, v60, s13
	v_cndmask_b32_e64 v52, 0, v52, s13
	v_mul_lo_u32 v6, v58, v6
	v_mad_u64_u32 v[60:61], null, v58, v5, 0
	v_mul_lo_u32 v5, v52, v5
	v_and_b32_e32 v52, 1, v59
	v_cmp_eq_u32_e64 s13, 1, v52
	v_add3_u32 v61, v61, v6, v5
	v_mov_b32_e32 v5, v60
	s_or_b32 s13, s13, s14
	v_cndmask_b32_e64 v62, 0, 1, s13
	v_mov_b32_e32 v6, v61
.LBB55_170:
	s_or_b32 exec_lo, exec_lo, s16
	ds_write_b64 v56, v[5:6]
	ds_write_b8 v56, v62 offset:8
.LBB55_171:
	s_or_b32 exec_lo, exec_lo, s15
	v_mov_b32_e32 v5, 0
	v_mov_b32_e32 v6, 0
	s_mov_b32 s14, exec_lo
	s_waitcnt lgkmcnt(0)
	s_barrier
	buffer_gl0_inv
	v_cmpx_lt_u32_e32 31, v0
	s_cbranch_execz .LBB55_173
; %bb.172:
	v_lshl_add_u32 v5, v55, 4, -16
	v_cmp_eq_u32_e64 s13, 0, v54
	ds_read_b64 v[5:6], v5
	s_waitcnt lgkmcnt(0)
	v_cndmask_b32_e64 v51, 1, v5, s13
	v_cndmask_b32_e64 v52, 0, v6, s13
	v_mul_lo_u32 v54, v51, v4
	v_mul_lo_u32 v52, v52, v3
	v_mad_u64_u32 v[3:4], null, v51, v3, 0
	v_add3_u32 v4, v4, v54, v52
.LBB55_173:
	s_or_b32 exec_lo, exec_lo, s14
	v_add_nc_u32_e32 v51, -1, v53
	v_cmp_gt_i32_e64 s13, 0, v51
	v_cndmask_b32_e64 v51, v51, v53, s13
	v_lshlrev_b32_e32 v51, 2, v51
	ds_bpermute_b32 v3, v51, v3
	ds_bpermute_b32 v4, v51, v4
	s_and_saveexec_b32 s13, s7
	s_cbranch_execz .LBB55_175
; %bb.174:
	v_cmp_eq_u32_e64 s7, 0, v53
	v_mov_b32_e32 v27, 0
	;;#ASMSTART
	;;#ASMEND
	s_waitcnt lgkmcnt(0)
	v_cndmask_b32_e64 v4, v4, v6, s7
	v_cndmask_b32_e64 v3, v3, v5, s7
	v_cmp_eq_u16_sdwa s7, v87, v27 src0_sel:BYTE_0 src1_sel:DWORD
	v_cndmask_b32_e64 v3, 1, v3, s7
	v_cndmask_b32_e64 v4, 0, v4, s7
	v_mul_lo_u32 v5, v3, v2
	v_mul_lo_u32 v4, v4, v1
	v_mad_u64_u32 v[1:2], null, v3, v1, 0
	v_add3_u32 v2, v2, v5, v4
	v_cndmask_b32_e64 v3, 1, v1, s12
	v_cndmask_b32_e64 v4, 0, v2, s12
	v_mul_lo_u32 v5, v3, v10
	v_mad_u64_u32 v[27:28], null, v3, v9, 0
	v_mul_lo_u32 v3, v4, v9
	v_add3_u32 v28, v28, v5, v3
	v_cndmask_b32_e64 v3, 1, v27, s11
	v_cndmask_b32_e64 v4, 0, v28, s11
	v_mul_lo_u32 v5, v3, v16
	v_mad_u64_u32 v[29:30], null, v3, v15, 0
	v_mul_lo_u32 v3, v4, v15
	v_add3_u32 v30, v30, v5, v3
	v_cndmask_b32_e64 v3, 1, v29, s10
	v_cndmask_b32_e64 v4, 0, v30, s10
	v_mul_lo_u32 v5, v3, v14
	v_mad_u64_u32 v[31:32], null, v3, v13, 0
	v_mul_lo_u32 v3, v4, v13
	v_add3_u32 v32, v32, v5, v3
	v_cndmask_b32_e64 v3, 1, v31, s9
	v_cndmask_b32_e64 v4, 0, v32, s9
	v_mul_lo_u32 v5, v3, v20
	v_mad_u64_u32 v[33:34], null, v3, v19, 0
	v_mul_lo_u32 v3, v4, v19
	v_add3_u32 v34, v34, v5, v3
	v_cndmask_b32_e64 v3, 1, v33, s8
	v_cndmask_b32_e64 v4, 0, v34, s8
	v_mul_lo_u32 v5, v3, v18
	v_mad_u64_u32 v[35:36], null, v3, v17, 0
	v_mul_lo_u32 v3, v4, v17
	v_add3_u32 v36, v36, v5, v3
	v_cndmask_b32_e64 v3, 1, v35, s5
	v_cndmask_b32_e64 v4, 0, v36, s5
	v_mul_lo_u32 v5, v3, v24
	v_mad_u64_u32 v[37:38], null, v3, v23, 0
	v_mul_lo_u32 v3, v4, v23
	v_add3_u32 v38, v38, v5, v3
	v_cndmask_b32_e64 v3, 1, v37, s4
	v_cndmask_b32_e64 v4, 0, v38, s4
	v_mul_lo_u32 v5, v3, v22
	v_mad_u64_u32 v[39:40], null, v3, v21, 0
	v_mul_lo_u32 v3, v4, v21
	v_add3_u32 v40, v40, v5, v3
	v_cndmask_b32_e64 v3, 1, v39, s3
	v_cndmask_b32_e64 v4, 0, v40, s3
	v_mul_lo_u32 v5, v3, v80
	v_mad_u64_u32 v[41:42], null, v3, v79, 0
	v_mul_lo_u32 v3, v4, v79
	v_add3_u32 v42, v42, v5, v3
	v_cndmask_b32_e64 v3, 1, v41, s2
	v_cndmask_b32_e64 v4, 0, v42, s2
	v_mul_lo_u32 v5, v3, v26
	v_mad_u64_u32 v[43:44], null, v3, v25, 0
	v_mul_lo_u32 v3, v4, v25
	v_add3_u32 v44, v44, v5, v3
	v_cndmask_b32_e64 v3, 1, v43, s1
	v_cndmask_b32_e64 v4, 0, v44, s1
	v_mul_lo_u32 v5, v3, v78
	v_mad_u64_u32 v[45:46], null, v3, v77, 0
	v_mul_lo_u32 v3, v4, v77
	v_add3_u32 v46, v46, v5, v3
	v_cndmask_b32_e64 v3, 1, v45, s0
	v_cndmask_b32_e64 v4, 0, v46, s0
	v_mul_lo_u32 v5, v3, v8
	v_mad_u64_u32 v[47:48], null, v3, v7, 0
	v_mul_lo_u32 v3, v4, v7
	v_add3_u32 v48, v48, v5, v3
	v_cndmask_b32_e64 v3, 1, v47, s6
	v_cndmask_b32_e64 v4, 0, v48, s6
	v_mul_lo_u32 v5, v3, v12
	v_mad_u64_u32 v[49:50], null, v3, v11, 0
	v_mul_lo_u32 v4, v4, v11
	v_add3_u32 v50, v50, v5, v4
.LBB55_175:
	s_or_b32 exec_lo, exec_lo, s13
	s_and_saveexec_b32 s0, vcc_lo
	s_cbranch_execz .LBB55_177
; %bb.176:
	v_mov_b32_e32 v5, 0
	v_mov_b32_e32 v7, 2
	s_waitcnt lgkmcnt(0)
	ds_read_b64 v[3:4], v5 offset:112
	ds_read_u8 v6, v5 offset:120
	s_waitcnt lgkmcnt(1)
	global_store_dwordx2 v5, v[3:4], s[22:23] offset:512
	s_waitcnt lgkmcnt(0)
	global_store_byte v5, v6, s[22:23] offset:520
	s_waitcnt_vscnt null, 0x0
	buffer_gl1_inv
	buffer_gl0_inv
	global_store_byte v5, v7, s[24:25] offset:32
.LBB55_177:
	s_or_b32 exec_lo, exec_lo, s0
	v_mov_b32_e32 v52, v2
	v_mov_b32_e32 v51, v1
.LBB55_178:
	s_add_u32 s0, s18, s28
	s_addc_u32 s1, s19, s29
	s_add_u32 s0, s0, s30
	s_addc_u32 s1, s1, s31
	s_and_b32 vcc_lo, exec_lo, s27
	s_cbranch_vccz .LBB55_222
; %bb.179:
	v_mul_u32_u24_e32 v1, 13, v0
	s_add_i32 s33, s33, s26
	s_mov_b32 s2, exec_lo
	v_cmpx_gt_u32_e64 s33, v1
	s_cbranch_execz .LBB55_197
; %bb.180:
	v_add_nc_u32_e32 v2, 1, v1
	s_mov_b32 s3, exec_lo
	v_cmpx_gt_u32_e64 s33, v2
	s_cbranch_execz .LBB55_196
; %bb.181:
	v_add_nc_u32_e32 v2, 2, v1
	;; [unrolled: 5-line block ×8, first 2 shown]
	s_mov_b32 s10, exec_lo
	v_cmpx_gt_u32_e64 s33, v2
; %bb.188:
	v_add_nc_u32_e32 v2, 9, v1
	s_mov_b32 s11, exec_lo
	v_cmpx_gt_u32_e64 s33, v2
	s_or_b32 exec_lo, exec_lo, s11
; %bb.189:
	s_or_b32 exec_lo, exec_lo, s10
.LBB55_190:
	s_or_b32 exec_lo, exec_lo, s9
.LBB55_191:
	s_or_b32 exec_lo, exec_lo, s8
.LBB55_192:
	s_or_b32 exec_lo, exec_lo, s7
.LBB55_193:
	s_or_b32 exec_lo, exec_lo, s6
.LBB55_194:
	s_or_b32 exec_lo, exec_lo, s5
.LBB55_195:
	s_or_b32 exec_lo, exec_lo, s4
.LBB55_196:
	s_or_b32 exec_lo, exec_lo, s3
.LBB55_197:
	s_or_b32 exec_lo, exec_lo, s2
	v_lshlrev_b32_e32 v53, 3, v1
	s_waitcnt lgkmcnt(0)
	s_waitcnt_vscnt null, 0x0
	s_barrier
	buffer_gl0_inv
	v_add_co_u32 v25, s2, s0, v57
	v_mad_i32_i24 v1, 0xffffffa0, v0, v53
	ds_write2_b64 v53, v[51:52], v[27:28] offset1:1
	ds_write2_b64 v53, v[29:30], v[31:32] offset0:2 offset1:3
	ds_write2_b64 v53, v[33:34], v[35:36] offset0:4 offset1:5
	ds_write2_b64 v53, v[37:38], v[39:40] offset0:6 offset1:7
	ds_write2_b64 v53, v[41:42], v[43:44] offset0:8 offset1:9
	ds_write2_b64 v53, v[45:46], v[47:48] offset0:10 offset1:11
	ds_write_b64 v53, v[49:50] offset:96
	s_waitcnt lgkmcnt(0)
	s_barrier
	buffer_gl0_inv
	ds_read2st64_b64 v[21:24], v1 offset0:4 offset1:8
	ds_read2st64_b64 v[17:20], v1 offset0:12 offset1:16
	ds_read2st64_b64 v[13:16], v1 offset0:20 offset1:24
	ds_read2st64_b64 v[9:12], v1 offset0:28 offset1:32
	ds_read2st64_b64 v[5:8], v1 offset0:36 offset1:40
	ds_read2st64_b64 v[1:4], v1 offset0:44 offset1:48
	v_add_co_ci_u32_e64 v26, null, s1, 0, s2
	s_mov_b32 s2, exec_lo
	v_cmpx_gt_u32_e64 s33, v0
	s_cbranch_execz .LBB55_199
; %bb.198:
	v_mul_i32_i24_e32 v54, 0xffffffa0, v0
	v_add_nc_u32_e32 v53, v53, v54
	ds_read_b64 v[53:54], v53
	s_waitcnt lgkmcnt(0)
	flat_store_dwordx2 v[25:26], v[53:54]
.LBB55_199:
	s_or_b32 exec_lo, exec_lo, s2
	v_or_b32_e32 v53, 0x100, v0
	s_mov_b32 s2, exec_lo
	v_cmpx_gt_u32_e64 s33, v53
	s_cbranch_execz .LBB55_201
; %bb.200:
	v_add_co_u32 v53, vcc_lo, 0x800, v25
	v_add_co_ci_u32_e64 v54, null, 0, v26, vcc_lo
	s_waitcnt lgkmcnt(5)
	flat_store_dwordx2 v[53:54], v[21:22]
.LBB55_201:
	s_or_b32 exec_lo, exec_lo, s2
	s_waitcnt lgkmcnt(5)
	v_or_b32_e32 v21, 0x200, v0
	s_mov_b32 s2, exec_lo
	v_cmpx_gt_u32_e64 s33, v21
	s_cbranch_execz .LBB55_203
; %bb.202:
	v_add_co_u32 v21, vcc_lo, 0x1000, v25
	v_add_co_ci_u32_e64 v22, null, 0, v26, vcc_lo
	flat_store_dwordx2 v[21:22], v[23:24]
.LBB55_203:
	s_or_b32 exec_lo, exec_lo, s2
	v_or_b32_e32 v21, 0x300, v0
	s_mov_b32 s2, exec_lo
	v_cmpx_gt_u32_e64 s33, v21
	s_cbranch_execz .LBB55_205
; %bb.204:
	v_add_co_u32 v21, vcc_lo, 0x1800, v25
	v_add_co_ci_u32_e64 v22, null, 0, v26, vcc_lo
	s_waitcnt lgkmcnt(4)
	flat_store_dwordx2 v[21:22], v[17:18]
.LBB55_205:
	s_or_b32 exec_lo, exec_lo, s2
	s_waitcnt lgkmcnt(4)
	v_or_b32_e32 v17, 0x400, v0
	s_mov_b32 s2, exec_lo
	v_cmpx_gt_u32_e64 s33, v17
	s_cbranch_execz .LBB55_207
; %bb.206:
	v_add_co_u32 v17, vcc_lo, 0x2000, v25
	v_add_co_ci_u32_e64 v18, null, 0, v26, vcc_lo
	flat_store_dwordx2 v[17:18], v[19:20]
.LBB55_207:
	;; [unrolled: 22-line block ×5, first 2 shown]
	s_or_b32 exec_lo, exec_lo, s2
	v_or_b32_e32 v5, 0xb00, v0
	s_mov_b32 s2, exec_lo
	v_cmpx_gt_u32_e64 s33, v5
	s_cbranch_execz .LBB55_221
; %bb.220:
	v_add_co_u32 v5, vcc_lo, 0x5800, v25
	v_add_co_ci_u32_e64 v6, null, 0, v26, vcc_lo
	s_waitcnt lgkmcnt(0)
	flat_store_dwordx2 v[5:6], v[1:2]
.LBB55_221:
	s_or_b32 exec_lo, exec_lo, s2
	s_waitcnt lgkmcnt(0)
	v_or_b32_e32 v1, 0xc00, v0
	v_cmp_gt_u32_e64 s2, s33, v1
	s_branch .LBB55_224
.LBB55_222:
	s_mov_b32 s2, 0
                                        ; implicit-def: $vgpr3_vgpr4
	s_cbranch_execz .LBB55_224
; %bb.223:
	v_mul_i32_i24_e32 v2, 0xffffffa0, v0
	v_mul_u32_u24_e32 v1, 0x68, v0
	s_waitcnt lgkmcnt(0)
	s_waitcnt_vscnt null, 0x0
	s_barrier
	buffer_gl0_inv
	v_mad_u32_u24 v3, 0x68, v0, v2
	ds_write2_b64 v1, v[51:52], v[27:28] offset1:1
	ds_write2_b64 v1, v[29:30], v[31:32] offset0:2 offset1:3
	ds_write2_b64 v1, v[33:34], v[35:36] offset0:4 offset1:5
	;; [unrolled: 1-line block ×5, first 2 shown]
	ds_write_b64 v1, v[49:50] offset:96
	s_waitcnt lgkmcnt(0)
	s_barrier
	buffer_gl0_inv
	ds_read2st64_b64 v[5:8], v3 offset1:4
	ds_read2st64_b64 v[9:12], v3 offset0:8 offset1:12
	ds_read2st64_b64 v[13:16], v3 offset0:16 offset1:20
	;; [unrolled: 1-line block ×3, first 2 shown]
	v_add_co_u32 v1, s3, s0, v57
	v_add_co_ci_u32_e64 v2, null, s1, 0, s3
	ds_read2st64_b64 v[21:24], v3 offset0:32 offset1:36
	v_add_co_u32 v29, vcc_lo, 0x800, v1
	v_add_co_ci_u32_e64 v30, null, 0, v2, vcc_lo
	v_add_co_u32 v31, vcc_lo, 0x1000, v1
	v_add_co_ci_u32_e64 v32, null, 0, v2, vcc_lo
	ds_read2st64_b64 v[25:28], v3 offset0:40 offset1:44
	ds_read_b64 v[3:4], v3 offset:24576
	s_or_b32 s2, s2, exec_lo
	s_waitcnt lgkmcnt(6)
	flat_store_dwordx2 v[1:2], v[5:6]
	flat_store_dwordx2 v[29:30], v[7:8]
	s_waitcnt lgkmcnt(7)
	flat_store_dwordx2 v[31:32], v[9:10]
	v_add_co_u32 v5, vcc_lo, 0x1800, v1
	v_add_co_ci_u32_e64 v6, null, 0, v2, vcc_lo
	v_add_co_u32 v7, vcc_lo, 0x2000, v1
	v_add_co_ci_u32_e64 v8, null, 0, v2, vcc_lo
	;; [unrolled: 2-line block ×5, first 2 shown]
	flat_store_dwordx2 v[5:6], v[11:12]
	s_waitcnt lgkmcnt(8)
	flat_store_dwordx2 v[7:8], v[13:14]
	flat_store_dwordx2 v[9:10], v[15:16]
	s_waitcnt lgkmcnt(9)
	flat_store_dwordx2 v[29:30], v[17:18]
	flat_store_dwordx2 v[31:32], v[19:20]
	v_add_co_u32 v5, vcc_lo, 0x4000, v1
	v_add_co_ci_u32_e64 v6, null, 0, v2, vcc_lo
	v_add_co_u32 v7, vcc_lo, 0x4800, v1
	v_add_co_ci_u32_e64 v8, null, 0, v2, vcc_lo
	;; [unrolled: 2-line block ×4, first 2 shown]
	s_waitcnt lgkmcnt(10)
	flat_store_dwordx2 v[5:6], v[21:22]
	flat_store_dwordx2 v[7:8], v[23:24]
	s_waitcnt lgkmcnt(11)
	flat_store_dwordx2 v[9:10], v[25:26]
	flat_store_dwordx2 v[1:2], v[27:28]
.LBB55_224:
	s_and_saveexec_b32 s3, s2
	s_cbranch_execnz .LBB55_226
; %bb.225:
	s_endpgm
.LBB55_226:
	v_lshlrev_b32_e32 v0, 3, v0
	v_add_co_u32 v0, s0, s0, v0
	v_add_co_ci_u32_e64 v1, null, s1, 0, s0
	v_add_co_u32 v0, vcc_lo, 0x6000, v0
	v_add_co_ci_u32_e64 v1, null, 0, v1, vcc_lo
	s_waitcnt lgkmcnt(0)
	flat_store_dwordx2 v[0:1], v[3:4]
	s_endpgm
.LBB55_227:
	v_add_co_u32 v1, s0, s40, v39
	v_add_co_ci_u32_e64 v2, null, s41, 0, s0
	flat_load_dwordx2 v[1:2], v[1:2]
	s_or_b32 exec_lo, exec_lo, s36
                                        ; implicit-def: $vgpr3_vgpr4
	s_and_saveexec_b32 s0, s1
	s_cbranch_execz .LBB55_35
.LBB55_228:
	v_add_co_u32 v3, s1, s40, v27
	v_add_co_ci_u32_e64 v4, null, s41, 0, s1
	flat_load_dwordx2 v[3:4], v[3:4]
	s_or_b32 exec_lo, exec_lo, s0
                                        ; implicit-def: $vgpr5_vgpr6
	s_and_saveexec_b32 s0, s2
	s_cbranch_execz .LBB55_36
.LBB55_229:
	v_add_co_u32 v5, s1, s40, v28
	v_add_co_ci_u32_e64 v6, null, s41, 0, s1
	flat_load_dwordx2 v[5:6], v[5:6]
	s_or_b32 exec_lo, exec_lo, s0
                                        ; implicit-def: $vgpr7_vgpr8
	s_and_saveexec_b32 s0, s3
	s_cbranch_execz .LBB55_37
.LBB55_230:
	v_add_co_u32 v7, s1, s40, v29
	v_add_co_ci_u32_e64 v8, null, s41, 0, s1
	flat_load_dwordx2 v[7:8], v[7:8]
	s_or_b32 exec_lo, exec_lo, s0
                                        ; implicit-def: $vgpr9_vgpr10
	s_and_saveexec_b32 s0, s4
	s_cbranch_execz .LBB55_38
.LBB55_231:
	v_add_co_u32 v9, s1, s40, v30
	v_add_co_ci_u32_e64 v10, null, s41, 0, s1
	flat_load_dwordx2 v[9:10], v[9:10]
	s_or_b32 exec_lo, exec_lo, s0
                                        ; implicit-def: $vgpr13_vgpr14
	s_and_saveexec_b32 s0, s5
	s_cbranch_execz .LBB55_39
.LBB55_232:
	v_add_co_u32 v13, s1, s40, v31
	v_add_co_ci_u32_e64 v14, null, s41, 0, s1
	flat_load_dwordx2 v[13:14], v[13:14]
	s_or_b32 exec_lo, exec_lo, s0
                                        ; implicit-def: $vgpr15_vgpr16
	s_and_saveexec_b32 s0, s7
	s_cbranch_execz .LBB55_40
.LBB55_233:
	v_add_co_u32 v15, s1, s40, v32
	v_add_co_ci_u32_e64 v16, null, s41, 0, s1
	flat_load_dwordx2 v[15:16], v[15:16]
	s_or_b32 exec_lo, exec_lo, s0
                                        ; implicit-def: $vgpr17_vgpr18
	s_and_saveexec_b32 s0, s8
	s_cbranch_execz .LBB55_41
.LBB55_234:
	v_add_co_u32 v17, s1, s40, v33
	v_add_co_ci_u32_e64 v18, null, s41, 0, s1
	flat_load_dwordx2 v[17:18], v[17:18]
	s_or_b32 exec_lo, exec_lo, s0
                                        ; implicit-def: $vgpr19_vgpr20
	s_and_saveexec_b32 s0, s9
	s_cbranch_execz .LBB55_42
.LBB55_235:
	v_add_co_u32 v19, s1, s40, v34
	v_add_co_ci_u32_e64 v20, null, s41, 0, s1
	flat_load_dwordx2 v[19:20], v[19:20]
	s_or_b32 exec_lo, exec_lo, s0
                                        ; implicit-def: $vgpr21_vgpr22
	s_and_saveexec_b32 s0, s10
	s_cbranch_execz .LBB55_43
.LBB55_236:
	v_add_co_u32 v21, s1, s40, v35
	v_add_co_ci_u32_e64 v22, null, s41, 0, s1
	flat_load_dwordx2 v[21:22], v[21:22]
	s_or_b32 exec_lo, exec_lo, s0
                                        ; implicit-def: $vgpr23_vgpr24
	s_and_saveexec_b32 s0, s11
	s_cbranch_execz .LBB55_44
.LBB55_237:
	v_add_co_u32 v23, s1, s40, v36
	v_add_co_ci_u32_e64 v24, null, s41, 0, s1
	flat_load_dwordx2 v[23:24], v[23:24]
	s_or_b32 exec_lo, exec_lo, s0
                                        ; implicit-def: $vgpr25_vgpr26
	s_and_saveexec_b32 s0, s12
	s_cbranch_execz .LBB55_45
.LBB55_238:
	v_add_co_u32 v25, s1, s40, v37
	v_add_co_ci_u32_e64 v26, null, s41, 0, s1
	flat_load_dwordx2 v[25:26], v[25:26]
	s_or_b32 exec_lo, exec_lo, s0
                                        ; implicit-def: $vgpr27_vgpr28
	s_and_saveexec_b32 s0, s13
	s_cbranch_execnz .LBB55_46
	s_branch .LBB55_47
.LBB55_239:
                                        ; implicit-def: $sgpr36_sgpr37
	s_branch .LBB55_30
.LBB55_240:
                                        ; implicit-def: $sgpr0_sgpr1
	s_branch .LBB55_76
	.section	.rodata,"a",@progbits
	.p2align	6, 0x0
	.amdhsa_kernel _ZN7rocprim17ROCPRIM_400000_NS6detail17trampoline_kernelINS0_14default_configENS1_27scan_by_key_config_selectorIxxEEZZNS1_16scan_by_key_implILNS1_25lookback_scan_determinismE0ELb0ES3_N6thrust23THRUST_200600_302600_NS6detail15normal_iteratorINS9_10device_ptrIxEEEESE_SE_xNS9_10multipliesIxEENS9_8equal_toIxEExEE10hipError_tPvRmT2_T3_T4_T5_mT6_T7_P12ihipStream_tbENKUlT_T0_E_clISt17integral_constantIbLb0EESZ_EEDaSU_SV_EUlSU_E_NS1_11comp_targetILNS1_3genE8ELNS1_11target_archE1030ELNS1_3gpuE2ELNS1_3repE0EEENS1_30default_config_static_selectorELNS0_4arch9wavefront6targetE0EEEvT1_
		.amdhsa_group_segment_fixed_size 30720
		.amdhsa_private_segment_fixed_size 0
		.amdhsa_kernarg_size 136
		.amdhsa_user_sgpr_count 6
		.amdhsa_user_sgpr_private_segment_buffer 1
		.amdhsa_user_sgpr_dispatch_ptr 0
		.amdhsa_user_sgpr_queue_ptr 0
		.amdhsa_user_sgpr_kernarg_segment_ptr 1
		.amdhsa_user_sgpr_dispatch_id 0
		.amdhsa_user_sgpr_flat_scratch_init 0
		.amdhsa_user_sgpr_private_segment_size 0
		.amdhsa_wavefront_size32 1
		.amdhsa_uses_dynamic_stack 0
		.amdhsa_system_sgpr_private_segment_wavefront_offset 0
		.amdhsa_system_sgpr_workgroup_id_x 1
		.amdhsa_system_sgpr_workgroup_id_y 0
		.amdhsa_system_sgpr_workgroup_id_z 0
		.amdhsa_system_sgpr_workgroup_info 0
		.amdhsa_system_vgpr_workitem_id 0
		.amdhsa_next_free_vgpr 113
		.amdhsa_next_free_sgpr 49
		.amdhsa_reserve_vcc 1
		.amdhsa_reserve_flat_scratch 1
		.amdhsa_float_round_mode_32 0
		.amdhsa_float_round_mode_16_64 0
		.amdhsa_float_denorm_mode_32 3
		.amdhsa_float_denorm_mode_16_64 3
		.amdhsa_dx10_clamp 1
		.amdhsa_ieee_mode 1
		.amdhsa_fp16_overflow 0
		.amdhsa_workgroup_processor_mode 1
		.amdhsa_memory_ordered 1
		.amdhsa_forward_progress 1
		.amdhsa_shared_vgpr_count 0
		.amdhsa_exception_fp_ieee_invalid_op 0
		.amdhsa_exception_fp_denorm_src 0
		.amdhsa_exception_fp_ieee_div_zero 0
		.amdhsa_exception_fp_ieee_overflow 0
		.amdhsa_exception_fp_ieee_underflow 0
		.amdhsa_exception_fp_ieee_inexact 0
		.amdhsa_exception_int_div_zero 0
	.end_amdhsa_kernel
	.section	.text._ZN7rocprim17ROCPRIM_400000_NS6detail17trampoline_kernelINS0_14default_configENS1_27scan_by_key_config_selectorIxxEEZZNS1_16scan_by_key_implILNS1_25lookback_scan_determinismE0ELb0ES3_N6thrust23THRUST_200600_302600_NS6detail15normal_iteratorINS9_10device_ptrIxEEEESE_SE_xNS9_10multipliesIxEENS9_8equal_toIxEExEE10hipError_tPvRmT2_T3_T4_T5_mT6_T7_P12ihipStream_tbENKUlT_T0_E_clISt17integral_constantIbLb0EESZ_EEDaSU_SV_EUlSU_E_NS1_11comp_targetILNS1_3genE8ELNS1_11target_archE1030ELNS1_3gpuE2ELNS1_3repE0EEENS1_30default_config_static_selectorELNS0_4arch9wavefront6targetE0EEEvT1_,"axG",@progbits,_ZN7rocprim17ROCPRIM_400000_NS6detail17trampoline_kernelINS0_14default_configENS1_27scan_by_key_config_selectorIxxEEZZNS1_16scan_by_key_implILNS1_25lookback_scan_determinismE0ELb0ES3_N6thrust23THRUST_200600_302600_NS6detail15normal_iteratorINS9_10device_ptrIxEEEESE_SE_xNS9_10multipliesIxEENS9_8equal_toIxEExEE10hipError_tPvRmT2_T3_T4_T5_mT6_T7_P12ihipStream_tbENKUlT_T0_E_clISt17integral_constantIbLb0EESZ_EEDaSU_SV_EUlSU_E_NS1_11comp_targetILNS1_3genE8ELNS1_11target_archE1030ELNS1_3gpuE2ELNS1_3repE0EEENS1_30default_config_static_selectorELNS0_4arch9wavefront6targetE0EEEvT1_,comdat
.Lfunc_end55:
	.size	_ZN7rocprim17ROCPRIM_400000_NS6detail17trampoline_kernelINS0_14default_configENS1_27scan_by_key_config_selectorIxxEEZZNS1_16scan_by_key_implILNS1_25lookback_scan_determinismE0ELb0ES3_N6thrust23THRUST_200600_302600_NS6detail15normal_iteratorINS9_10device_ptrIxEEEESE_SE_xNS9_10multipliesIxEENS9_8equal_toIxEExEE10hipError_tPvRmT2_T3_T4_T5_mT6_T7_P12ihipStream_tbENKUlT_T0_E_clISt17integral_constantIbLb0EESZ_EEDaSU_SV_EUlSU_E_NS1_11comp_targetILNS1_3genE8ELNS1_11target_archE1030ELNS1_3gpuE2ELNS1_3repE0EEENS1_30default_config_static_selectorELNS0_4arch9wavefront6targetE0EEEvT1_, .Lfunc_end55-_ZN7rocprim17ROCPRIM_400000_NS6detail17trampoline_kernelINS0_14default_configENS1_27scan_by_key_config_selectorIxxEEZZNS1_16scan_by_key_implILNS1_25lookback_scan_determinismE0ELb0ES3_N6thrust23THRUST_200600_302600_NS6detail15normal_iteratorINS9_10device_ptrIxEEEESE_SE_xNS9_10multipliesIxEENS9_8equal_toIxEExEE10hipError_tPvRmT2_T3_T4_T5_mT6_T7_P12ihipStream_tbENKUlT_T0_E_clISt17integral_constantIbLb0EESZ_EEDaSU_SV_EUlSU_E_NS1_11comp_targetILNS1_3genE8ELNS1_11target_archE1030ELNS1_3gpuE2ELNS1_3repE0EEENS1_30default_config_static_selectorELNS0_4arch9wavefront6targetE0EEEvT1_
                                        ; -- End function
	.set _ZN7rocprim17ROCPRIM_400000_NS6detail17trampoline_kernelINS0_14default_configENS1_27scan_by_key_config_selectorIxxEEZZNS1_16scan_by_key_implILNS1_25lookback_scan_determinismE0ELb0ES3_N6thrust23THRUST_200600_302600_NS6detail15normal_iteratorINS9_10device_ptrIxEEEESE_SE_xNS9_10multipliesIxEENS9_8equal_toIxEExEE10hipError_tPvRmT2_T3_T4_T5_mT6_T7_P12ihipStream_tbENKUlT_T0_E_clISt17integral_constantIbLb0EESZ_EEDaSU_SV_EUlSU_E_NS1_11comp_targetILNS1_3genE8ELNS1_11target_archE1030ELNS1_3gpuE2ELNS1_3repE0EEENS1_30default_config_static_selectorELNS0_4arch9wavefront6targetE0EEEvT1_.num_vgpr, 106
	.set _ZN7rocprim17ROCPRIM_400000_NS6detail17trampoline_kernelINS0_14default_configENS1_27scan_by_key_config_selectorIxxEEZZNS1_16scan_by_key_implILNS1_25lookback_scan_determinismE0ELb0ES3_N6thrust23THRUST_200600_302600_NS6detail15normal_iteratorINS9_10device_ptrIxEEEESE_SE_xNS9_10multipliesIxEENS9_8equal_toIxEExEE10hipError_tPvRmT2_T3_T4_T5_mT6_T7_P12ihipStream_tbENKUlT_T0_E_clISt17integral_constantIbLb0EESZ_EEDaSU_SV_EUlSU_E_NS1_11comp_targetILNS1_3genE8ELNS1_11target_archE1030ELNS1_3gpuE2ELNS1_3repE0EEENS1_30default_config_static_selectorELNS0_4arch9wavefront6targetE0EEEvT1_.num_agpr, 0
	.set _ZN7rocprim17ROCPRIM_400000_NS6detail17trampoline_kernelINS0_14default_configENS1_27scan_by_key_config_selectorIxxEEZZNS1_16scan_by_key_implILNS1_25lookback_scan_determinismE0ELb0ES3_N6thrust23THRUST_200600_302600_NS6detail15normal_iteratorINS9_10device_ptrIxEEEESE_SE_xNS9_10multipliesIxEENS9_8equal_toIxEExEE10hipError_tPvRmT2_T3_T4_T5_mT6_T7_P12ihipStream_tbENKUlT_T0_E_clISt17integral_constantIbLb0EESZ_EEDaSU_SV_EUlSU_E_NS1_11comp_targetILNS1_3genE8ELNS1_11target_archE1030ELNS1_3gpuE2ELNS1_3repE0EEENS1_30default_config_static_selectorELNS0_4arch9wavefront6targetE0EEEvT1_.numbered_sgpr, 49
	.set _ZN7rocprim17ROCPRIM_400000_NS6detail17trampoline_kernelINS0_14default_configENS1_27scan_by_key_config_selectorIxxEEZZNS1_16scan_by_key_implILNS1_25lookback_scan_determinismE0ELb0ES3_N6thrust23THRUST_200600_302600_NS6detail15normal_iteratorINS9_10device_ptrIxEEEESE_SE_xNS9_10multipliesIxEENS9_8equal_toIxEExEE10hipError_tPvRmT2_T3_T4_T5_mT6_T7_P12ihipStream_tbENKUlT_T0_E_clISt17integral_constantIbLb0EESZ_EEDaSU_SV_EUlSU_E_NS1_11comp_targetILNS1_3genE8ELNS1_11target_archE1030ELNS1_3gpuE2ELNS1_3repE0EEENS1_30default_config_static_selectorELNS0_4arch9wavefront6targetE0EEEvT1_.num_named_barrier, 0
	.set _ZN7rocprim17ROCPRIM_400000_NS6detail17trampoline_kernelINS0_14default_configENS1_27scan_by_key_config_selectorIxxEEZZNS1_16scan_by_key_implILNS1_25lookback_scan_determinismE0ELb0ES3_N6thrust23THRUST_200600_302600_NS6detail15normal_iteratorINS9_10device_ptrIxEEEESE_SE_xNS9_10multipliesIxEENS9_8equal_toIxEExEE10hipError_tPvRmT2_T3_T4_T5_mT6_T7_P12ihipStream_tbENKUlT_T0_E_clISt17integral_constantIbLb0EESZ_EEDaSU_SV_EUlSU_E_NS1_11comp_targetILNS1_3genE8ELNS1_11target_archE1030ELNS1_3gpuE2ELNS1_3repE0EEENS1_30default_config_static_selectorELNS0_4arch9wavefront6targetE0EEEvT1_.private_seg_size, 0
	.set _ZN7rocprim17ROCPRIM_400000_NS6detail17trampoline_kernelINS0_14default_configENS1_27scan_by_key_config_selectorIxxEEZZNS1_16scan_by_key_implILNS1_25lookback_scan_determinismE0ELb0ES3_N6thrust23THRUST_200600_302600_NS6detail15normal_iteratorINS9_10device_ptrIxEEEESE_SE_xNS9_10multipliesIxEENS9_8equal_toIxEExEE10hipError_tPvRmT2_T3_T4_T5_mT6_T7_P12ihipStream_tbENKUlT_T0_E_clISt17integral_constantIbLb0EESZ_EEDaSU_SV_EUlSU_E_NS1_11comp_targetILNS1_3genE8ELNS1_11target_archE1030ELNS1_3gpuE2ELNS1_3repE0EEENS1_30default_config_static_selectorELNS0_4arch9wavefront6targetE0EEEvT1_.uses_vcc, 1
	.set _ZN7rocprim17ROCPRIM_400000_NS6detail17trampoline_kernelINS0_14default_configENS1_27scan_by_key_config_selectorIxxEEZZNS1_16scan_by_key_implILNS1_25lookback_scan_determinismE0ELb0ES3_N6thrust23THRUST_200600_302600_NS6detail15normal_iteratorINS9_10device_ptrIxEEEESE_SE_xNS9_10multipliesIxEENS9_8equal_toIxEExEE10hipError_tPvRmT2_T3_T4_T5_mT6_T7_P12ihipStream_tbENKUlT_T0_E_clISt17integral_constantIbLb0EESZ_EEDaSU_SV_EUlSU_E_NS1_11comp_targetILNS1_3genE8ELNS1_11target_archE1030ELNS1_3gpuE2ELNS1_3repE0EEENS1_30default_config_static_selectorELNS0_4arch9wavefront6targetE0EEEvT1_.uses_flat_scratch, 1
	.set _ZN7rocprim17ROCPRIM_400000_NS6detail17trampoline_kernelINS0_14default_configENS1_27scan_by_key_config_selectorIxxEEZZNS1_16scan_by_key_implILNS1_25lookback_scan_determinismE0ELb0ES3_N6thrust23THRUST_200600_302600_NS6detail15normal_iteratorINS9_10device_ptrIxEEEESE_SE_xNS9_10multipliesIxEENS9_8equal_toIxEExEE10hipError_tPvRmT2_T3_T4_T5_mT6_T7_P12ihipStream_tbENKUlT_T0_E_clISt17integral_constantIbLb0EESZ_EEDaSU_SV_EUlSU_E_NS1_11comp_targetILNS1_3genE8ELNS1_11target_archE1030ELNS1_3gpuE2ELNS1_3repE0EEENS1_30default_config_static_selectorELNS0_4arch9wavefront6targetE0EEEvT1_.has_dyn_sized_stack, 0
	.set _ZN7rocprim17ROCPRIM_400000_NS6detail17trampoline_kernelINS0_14default_configENS1_27scan_by_key_config_selectorIxxEEZZNS1_16scan_by_key_implILNS1_25lookback_scan_determinismE0ELb0ES3_N6thrust23THRUST_200600_302600_NS6detail15normal_iteratorINS9_10device_ptrIxEEEESE_SE_xNS9_10multipliesIxEENS9_8equal_toIxEExEE10hipError_tPvRmT2_T3_T4_T5_mT6_T7_P12ihipStream_tbENKUlT_T0_E_clISt17integral_constantIbLb0EESZ_EEDaSU_SV_EUlSU_E_NS1_11comp_targetILNS1_3genE8ELNS1_11target_archE1030ELNS1_3gpuE2ELNS1_3repE0EEENS1_30default_config_static_selectorELNS0_4arch9wavefront6targetE0EEEvT1_.has_recursion, 0
	.set _ZN7rocprim17ROCPRIM_400000_NS6detail17trampoline_kernelINS0_14default_configENS1_27scan_by_key_config_selectorIxxEEZZNS1_16scan_by_key_implILNS1_25lookback_scan_determinismE0ELb0ES3_N6thrust23THRUST_200600_302600_NS6detail15normal_iteratorINS9_10device_ptrIxEEEESE_SE_xNS9_10multipliesIxEENS9_8equal_toIxEExEE10hipError_tPvRmT2_T3_T4_T5_mT6_T7_P12ihipStream_tbENKUlT_T0_E_clISt17integral_constantIbLb0EESZ_EEDaSU_SV_EUlSU_E_NS1_11comp_targetILNS1_3genE8ELNS1_11target_archE1030ELNS1_3gpuE2ELNS1_3repE0EEENS1_30default_config_static_selectorELNS0_4arch9wavefront6targetE0EEEvT1_.has_indirect_call, 0
	.section	.AMDGPU.csdata,"",@progbits
; Kernel info:
; codeLenInByte = 16828
; TotalNumSgprs: 51
; NumVgprs: 106
; ScratchSize: 0
; MemoryBound: 0
; FloatMode: 240
; IeeeMode: 1
; LDSByteSize: 30720 bytes/workgroup (compile time only)
; SGPRBlocks: 0
; VGPRBlocks: 14
; NumSGPRsForWavesPerEU: 51
; NumVGPRsForWavesPerEU: 113
; Occupancy: 8
; WaveLimiterHint : 1
; COMPUTE_PGM_RSRC2:SCRATCH_EN: 0
; COMPUTE_PGM_RSRC2:USER_SGPR: 6
; COMPUTE_PGM_RSRC2:TRAP_HANDLER: 0
; COMPUTE_PGM_RSRC2:TGID_X_EN: 1
; COMPUTE_PGM_RSRC2:TGID_Y_EN: 0
; COMPUTE_PGM_RSRC2:TGID_Z_EN: 0
; COMPUTE_PGM_RSRC2:TIDIG_COMP_CNT: 0
	.section	.text._ZN7rocprim17ROCPRIM_400000_NS6detail17trampoline_kernelINS0_14default_configENS1_27scan_by_key_config_selectorIxxEEZZNS1_16scan_by_key_implILNS1_25lookback_scan_determinismE0ELb0ES3_N6thrust23THRUST_200600_302600_NS6detail15normal_iteratorINS9_10device_ptrIxEEEESE_SE_xNS9_10multipliesIxEENS9_8equal_toIxEExEE10hipError_tPvRmT2_T3_T4_T5_mT6_T7_P12ihipStream_tbENKUlT_T0_E_clISt17integral_constantIbLb1EESZ_EEDaSU_SV_EUlSU_E_NS1_11comp_targetILNS1_3genE0ELNS1_11target_archE4294967295ELNS1_3gpuE0ELNS1_3repE0EEENS1_30default_config_static_selectorELNS0_4arch9wavefront6targetE0EEEvT1_,"axG",@progbits,_ZN7rocprim17ROCPRIM_400000_NS6detail17trampoline_kernelINS0_14default_configENS1_27scan_by_key_config_selectorIxxEEZZNS1_16scan_by_key_implILNS1_25lookback_scan_determinismE0ELb0ES3_N6thrust23THRUST_200600_302600_NS6detail15normal_iteratorINS9_10device_ptrIxEEEESE_SE_xNS9_10multipliesIxEENS9_8equal_toIxEExEE10hipError_tPvRmT2_T3_T4_T5_mT6_T7_P12ihipStream_tbENKUlT_T0_E_clISt17integral_constantIbLb1EESZ_EEDaSU_SV_EUlSU_E_NS1_11comp_targetILNS1_3genE0ELNS1_11target_archE4294967295ELNS1_3gpuE0ELNS1_3repE0EEENS1_30default_config_static_selectorELNS0_4arch9wavefront6targetE0EEEvT1_,comdat
	.protected	_ZN7rocprim17ROCPRIM_400000_NS6detail17trampoline_kernelINS0_14default_configENS1_27scan_by_key_config_selectorIxxEEZZNS1_16scan_by_key_implILNS1_25lookback_scan_determinismE0ELb0ES3_N6thrust23THRUST_200600_302600_NS6detail15normal_iteratorINS9_10device_ptrIxEEEESE_SE_xNS9_10multipliesIxEENS9_8equal_toIxEExEE10hipError_tPvRmT2_T3_T4_T5_mT6_T7_P12ihipStream_tbENKUlT_T0_E_clISt17integral_constantIbLb1EESZ_EEDaSU_SV_EUlSU_E_NS1_11comp_targetILNS1_3genE0ELNS1_11target_archE4294967295ELNS1_3gpuE0ELNS1_3repE0EEENS1_30default_config_static_selectorELNS0_4arch9wavefront6targetE0EEEvT1_ ; -- Begin function _ZN7rocprim17ROCPRIM_400000_NS6detail17trampoline_kernelINS0_14default_configENS1_27scan_by_key_config_selectorIxxEEZZNS1_16scan_by_key_implILNS1_25lookback_scan_determinismE0ELb0ES3_N6thrust23THRUST_200600_302600_NS6detail15normal_iteratorINS9_10device_ptrIxEEEESE_SE_xNS9_10multipliesIxEENS9_8equal_toIxEExEE10hipError_tPvRmT2_T3_T4_T5_mT6_T7_P12ihipStream_tbENKUlT_T0_E_clISt17integral_constantIbLb1EESZ_EEDaSU_SV_EUlSU_E_NS1_11comp_targetILNS1_3genE0ELNS1_11target_archE4294967295ELNS1_3gpuE0ELNS1_3repE0EEENS1_30default_config_static_selectorELNS0_4arch9wavefront6targetE0EEEvT1_
	.globl	_ZN7rocprim17ROCPRIM_400000_NS6detail17trampoline_kernelINS0_14default_configENS1_27scan_by_key_config_selectorIxxEEZZNS1_16scan_by_key_implILNS1_25lookback_scan_determinismE0ELb0ES3_N6thrust23THRUST_200600_302600_NS6detail15normal_iteratorINS9_10device_ptrIxEEEESE_SE_xNS9_10multipliesIxEENS9_8equal_toIxEExEE10hipError_tPvRmT2_T3_T4_T5_mT6_T7_P12ihipStream_tbENKUlT_T0_E_clISt17integral_constantIbLb1EESZ_EEDaSU_SV_EUlSU_E_NS1_11comp_targetILNS1_3genE0ELNS1_11target_archE4294967295ELNS1_3gpuE0ELNS1_3repE0EEENS1_30default_config_static_selectorELNS0_4arch9wavefront6targetE0EEEvT1_
	.p2align	8
	.type	_ZN7rocprim17ROCPRIM_400000_NS6detail17trampoline_kernelINS0_14default_configENS1_27scan_by_key_config_selectorIxxEEZZNS1_16scan_by_key_implILNS1_25lookback_scan_determinismE0ELb0ES3_N6thrust23THRUST_200600_302600_NS6detail15normal_iteratorINS9_10device_ptrIxEEEESE_SE_xNS9_10multipliesIxEENS9_8equal_toIxEExEE10hipError_tPvRmT2_T3_T4_T5_mT6_T7_P12ihipStream_tbENKUlT_T0_E_clISt17integral_constantIbLb1EESZ_EEDaSU_SV_EUlSU_E_NS1_11comp_targetILNS1_3genE0ELNS1_11target_archE4294967295ELNS1_3gpuE0ELNS1_3repE0EEENS1_30default_config_static_selectorELNS0_4arch9wavefront6targetE0EEEvT1_,@function
_ZN7rocprim17ROCPRIM_400000_NS6detail17trampoline_kernelINS0_14default_configENS1_27scan_by_key_config_selectorIxxEEZZNS1_16scan_by_key_implILNS1_25lookback_scan_determinismE0ELb0ES3_N6thrust23THRUST_200600_302600_NS6detail15normal_iteratorINS9_10device_ptrIxEEEESE_SE_xNS9_10multipliesIxEENS9_8equal_toIxEExEE10hipError_tPvRmT2_T3_T4_T5_mT6_T7_P12ihipStream_tbENKUlT_T0_E_clISt17integral_constantIbLb1EESZ_EEDaSU_SV_EUlSU_E_NS1_11comp_targetILNS1_3genE0ELNS1_11target_archE4294967295ELNS1_3gpuE0ELNS1_3repE0EEENS1_30default_config_static_selectorELNS0_4arch9wavefront6targetE0EEEvT1_: ; @_ZN7rocprim17ROCPRIM_400000_NS6detail17trampoline_kernelINS0_14default_configENS1_27scan_by_key_config_selectorIxxEEZZNS1_16scan_by_key_implILNS1_25lookback_scan_determinismE0ELb0ES3_N6thrust23THRUST_200600_302600_NS6detail15normal_iteratorINS9_10device_ptrIxEEEESE_SE_xNS9_10multipliesIxEENS9_8equal_toIxEExEE10hipError_tPvRmT2_T3_T4_T5_mT6_T7_P12ihipStream_tbENKUlT_T0_E_clISt17integral_constantIbLb1EESZ_EEDaSU_SV_EUlSU_E_NS1_11comp_targetILNS1_3genE0ELNS1_11target_archE4294967295ELNS1_3gpuE0ELNS1_3repE0EEENS1_30default_config_static_selectorELNS0_4arch9wavefront6targetE0EEEvT1_
; %bb.0:
	.section	.rodata,"a",@progbits
	.p2align	6, 0x0
	.amdhsa_kernel _ZN7rocprim17ROCPRIM_400000_NS6detail17trampoline_kernelINS0_14default_configENS1_27scan_by_key_config_selectorIxxEEZZNS1_16scan_by_key_implILNS1_25lookback_scan_determinismE0ELb0ES3_N6thrust23THRUST_200600_302600_NS6detail15normal_iteratorINS9_10device_ptrIxEEEESE_SE_xNS9_10multipliesIxEENS9_8equal_toIxEExEE10hipError_tPvRmT2_T3_T4_T5_mT6_T7_P12ihipStream_tbENKUlT_T0_E_clISt17integral_constantIbLb1EESZ_EEDaSU_SV_EUlSU_E_NS1_11comp_targetILNS1_3genE0ELNS1_11target_archE4294967295ELNS1_3gpuE0ELNS1_3repE0EEENS1_30default_config_static_selectorELNS0_4arch9wavefront6targetE0EEEvT1_
		.amdhsa_group_segment_fixed_size 0
		.amdhsa_private_segment_fixed_size 0
		.amdhsa_kernarg_size 136
		.amdhsa_user_sgpr_count 6
		.amdhsa_user_sgpr_private_segment_buffer 1
		.amdhsa_user_sgpr_dispatch_ptr 0
		.amdhsa_user_sgpr_queue_ptr 0
		.amdhsa_user_sgpr_kernarg_segment_ptr 1
		.amdhsa_user_sgpr_dispatch_id 0
		.amdhsa_user_sgpr_flat_scratch_init 0
		.amdhsa_user_sgpr_private_segment_size 0
		.amdhsa_wavefront_size32 1
		.amdhsa_uses_dynamic_stack 0
		.amdhsa_system_sgpr_private_segment_wavefront_offset 0
		.amdhsa_system_sgpr_workgroup_id_x 1
		.amdhsa_system_sgpr_workgroup_id_y 0
		.amdhsa_system_sgpr_workgroup_id_z 0
		.amdhsa_system_sgpr_workgroup_info 0
		.amdhsa_system_vgpr_workitem_id 0
		.amdhsa_next_free_vgpr 1
		.amdhsa_next_free_sgpr 1
		.amdhsa_reserve_vcc 0
		.amdhsa_reserve_flat_scratch 0
		.amdhsa_float_round_mode_32 0
		.amdhsa_float_round_mode_16_64 0
		.amdhsa_float_denorm_mode_32 3
		.amdhsa_float_denorm_mode_16_64 3
		.amdhsa_dx10_clamp 1
		.amdhsa_ieee_mode 1
		.amdhsa_fp16_overflow 0
		.amdhsa_workgroup_processor_mode 1
		.amdhsa_memory_ordered 1
		.amdhsa_forward_progress 1
		.amdhsa_shared_vgpr_count 0
		.amdhsa_exception_fp_ieee_invalid_op 0
		.amdhsa_exception_fp_denorm_src 0
		.amdhsa_exception_fp_ieee_div_zero 0
		.amdhsa_exception_fp_ieee_overflow 0
		.amdhsa_exception_fp_ieee_underflow 0
		.amdhsa_exception_fp_ieee_inexact 0
		.amdhsa_exception_int_div_zero 0
	.end_amdhsa_kernel
	.section	.text._ZN7rocprim17ROCPRIM_400000_NS6detail17trampoline_kernelINS0_14default_configENS1_27scan_by_key_config_selectorIxxEEZZNS1_16scan_by_key_implILNS1_25lookback_scan_determinismE0ELb0ES3_N6thrust23THRUST_200600_302600_NS6detail15normal_iteratorINS9_10device_ptrIxEEEESE_SE_xNS9_10multipliesIxEENS9_8equal_toIxEExEE10hipError_tPvRmT2_T3_T4_T5_mT6_T7_P12ihipStream_tbENKUlT_T0_E_clISt17integral_constantIbLb1EESZ_EEDaSU_SV_EUlSU_E_NS1_11comp_targetILNS1_3genE0ELNS1_11target_archE4294967295ELNS1_3gpuE0ELNS1_3repE0EEENS1_30default_config_static_selectorELNS0_4arch9wavefront6targetE0EEEvT1_,"axG",@progbits,_ZN7rocprim17ROCPRIM_400000_NS6detail17trampoline_kernelINS0_14default_configENS1_27scan_by_key_config_selectorIxxEEZZNS1_16scan_by_key_implILNS1_25lookback_scan_determinismE0ELb0ES3_N6thrust23THRUST_200600_302600_NS6detail15normal_iteratorINS9_10device_ptrIxEEEESE_SE_xNS9_10multipliesIxEENS9_8equal_toIxEExEE10hipError_tPvRmT2_T3_T4_T5_mT6_T7_P12ihipStream_tbENKUlT_T0_E_clISt17integral_constantIbLb1EESZ_EEDaSU_SV_EUlSU_E_NS1_11comp_targetILNS1_3genE0ELNS1_11target_archE4294967295ELNS1_3gpuE0ELNS1_3repE0EEENS1_30default_config_static_selectorELNS0_4arch9wavefront6targetE0EEEvT1_,comdat
.Lfunc_end56:
	.size	_ZN7rocprim17ROCPRIM_400000_NS6detail17trampoline_kernelINS0_14default_configENS1_27scan_by_key_config_selectorIxxEEZZNS1_16scan_by_key_implILNS1_25lookback_scan_determinismE0ELb0ES3_N6thrust23THRUST_200600_302600_NS6detail15normal_iteratorINS9_10device_ptrIxEEEESE_SE_xNS9_10multipliesIxEENS9_8equal_toIxEExEE10hipError_tPvRmT2_T3_T4_T5_mT6_T7_P12ihipStream_tbENKUlT_T0_E_clISt17integral_constantIbLb1EESZ_EEDaSU_SV_EUlSU_E_NS1_11comp_targetILNS1_3genE0ELNS1_11target_archE4294967295ELNS1_3gpuE0ELNS1_3repE0EEENS1_30default_config_static_selectorELNS0_4arch9wavefront6targetE0EEEvT1_, .Lfunc_end56-_ZN7rocprim17ROCPRIM_400000_NS6detail17trampoline_kernelINS0_14default_configENS1_27scan_by_key_config_selectorIxxEEZZNS1_16scan_by_key_implILNS1_25lookback_scan_determinismE0ELb0ES3_N6thrust23THRUST_200600_302600_NS6detail15normal_iteratorINS9_10device_ptrIxEEEESE_SE_xNS9_10multipliesIxEENS9_8equal_toIxEExEE10hipError_tPvRmT2_T3_T4_T5_mT6_T7_P12ihipStream_tbENKUlT_T0_E_clISt17integral_constantIbLb1EESZ_EEDaSU_SV_EUlSU_E_NS1_11comp_targetILNS1_3genE0ELNS1_11target_archE4294967295ELNS1_3gpuE0ELNS1_3repE0EEENS1_30default_config_static_selectorELNS0_4arch9wavefront6targetE0EEEvT1_
                                        ; -- End function
	.set _ZN7rocprim17ROCPRIM_400000_NS6detail17trampoline_kernelINS0_14default_configENS1_27scan_by_key_config_selectorIxxEEZZNS1_16scan_by_key_implILNS1_25lookback_scan_determinismE0ELb0ES3_N6thrust23THRUST_200600_302600_NS6detail15normal_iteratorINS9_10device_ptrIxEEEESE_SE_xNS9_10multipliesIxEENS9_8equal_toIxEExEE10hipError_tPvRmT2_T3_T4_T5_mT6_T7_P12ihipStream_tbENKUlT_T0_E_clISt17integral_constantIbLb1EESZ_EEDaSU_SV_EUlSU_E_NS1_11comp_targetILNS1_3genE0ELNS1_11target_archE4294967295ELNS1_3gpuE0ELNS1_3repE0EEENS1_30default_config_static_selectorELNS0_4arch9wavefront6targetE0EEEvT1_.num_vgpr, 0
	.set _ZN7rocprim17ROCPRIM_400000_NS6detail17trampoline_kernelINS0_14default_configENS1_27scan_by_key_config_selectorIxxEEZZNS1_16scan_by_key_implILNS1_25lookback_scan_determinismE0ELb0ES3_N6thrust23THRUST_200600_302600_NS6detail15normal_iteratorINS9_10device_ptrIxEEEESE_SE_xNS9_10multipliesIxEENS9_8equal_toIxEExEE10hipError_tPvRmT2_T3_T4_T5_mT6_T7_P12ihipStream_tbENKUlT_T0_E_clISt17integral_constantIbLb1EESZ_EEDaSU_SV_EUlSU_E_NS1_11comp_targetILNS1_3genE0ELNS1_11target_archE4294967295ELNS1_3gpuE0ELNS1_3repE0EEENS1_30default_config_static_selectorELNS0_4arch9wavefront6targetE0EEEvT1_.num_agpr, 0
	.set _ZN7rocprim17ROCPRIM_400000_NS6detail17trampoline_kernelINS0_14default_configENS1_27scan_by_key_config_selectorIxxEEZZNS1_16scan_by_key_implILNS1_25lookback_scan_determinismE0ELb0ES3_N6thrust23THRUST_200600_302600_NS6detail15normal_iteratorINS9_10device_ptrIxEEEESE_SE_xNS9_10multipliesIxEENS9_8equal_toIxEExEE10hipError_tPvRmT2_T3_T4_T5_mT6_T7_P12ihipStream_tbENKUlT_T0_E_clISt17integral_constantIbLb1EESZ_EEDaSU_SV_EUlSU_E_NS1_11comp_targetILNS1_3genE0ELNS1_11target_archE4294967295ELNS1_3gpuE0ELNS1_3repE0EEENS1_30default_config_static_selectorELNS0_4arch9wavefront6targetE0EEEvT1_.numbered_sgpr, 0
	.set _ZN7rocprim17ROCPRIM_400000_NS6detail17trampoline_kernelINS0_14default_configENS1_27scan_by_key_config_selectorIxxEEZZNS1_16scan_by_key_implILNS1_25lookback_scan_determinismE0ELb0ES3_N6thrust23THRUST_200600_302600_NS6detail15normal_iteratorINS9_10device_ptrIxEEEESE_SE_xNS9_10multipliesIxEENS9_8equal_toIxEExEE10hipError_tPvRmT2_T3_T4_T5_mT6_T7_P12ihipStream_tbENKUlT_T0_E_clISt17integral_constantIbLb1EESZ_EEDaSU_SV_EUlSU_E_NS1_11comp_targetILNS1_3genE0ELNS1_11target_archE4294967295ELNS1_3gpuE0ELNS1_3repE0EEENS1_30default_config_static_selectorELNS0_4arch9wavefront6targetE0EEEvT1_.num_named_barrier, 0
	.set _ZN7rocprim17ROCPRIM_400000_NS6detail17trampoline_kernelINS0_14default_configENS1_27scan_by_key_config_selectorIxxEEZZNS1_16scan_by_key_implILNS1_25lookback_scan_determinismE0ELb0ES3_N6thrust23THRUST_200600_302600_NS6detail15normal_iteratorINS9_10device_ptrIxEEEESE_SE_xNS9_10multipliesIxEENS9_8equal_toIxEExEE10hipError_tPvRmT2_T3_T4_T5_mT6_T7_P12ihipStream_tbENKUlT_T0_E_clISt17integral_constantIbLb1EESZ_EEDaSU_SV_EUlSU_E_NS1_11comp_targetILNS1_3genE0ELNS1_11target_archE4294967295ELNS1_3gpuE0ELNS1_3repE0EEENS1_30default_config_static_selectorELNS0_4arch9wavefront6targetE0EEEvT1_.private_seg_size, 0
	.set _ZN7rocprim17ROCPRIM_400000_NS6detail17trampoline_kernelINS0_14default_configENS1_27scan_by_key_config_selectorIxxEEZZNS1_16scan_by_key_implILNS1_25lookback_scan_determinismE0ELb0ES3_N6thrust23THRUST_200600_302600_NS6detail15normal_iteratorINS9_10device_ptrIxEEEESE_SE_xNS9_10multipliesIxEENS9_8equal_toIxEExEE10hipError_tPvRmT2_T3_T4_T5_mT6_T7_P12ihipStream_tbENKUlT_T0_E_clISt17integral_constantIbLb1EESZ_EEDaSU_SV_EUlSU_E_NS1_11comp_targetILNS1_3genE0ELNS1_11target_archE4294967295ELNS1_3gpuE0ELNS1_3repE0EEENS1_30default_config_static_selectorELNS0_4arch9wavefront6targetE0EEEvT1_.uses_vcc, 0
	.set _ZN7rocprim17ROCPRIM_400000_NS6detail17trampoline_kernelINS0_14default_configENS1_27scan_by_key_config_selectorIxxEEZZNS1_16scan_by_key_implILNS1_25lookback_scan_determinismE0ELb0ES3_N6thrust23THRUST_200600_302600_NS6detail15normal_iteratorINS9_10device_ptrIxEEEESE_SE_xNS9_10multipliesIxEENS9_8equal_toIxEExEE10hipError_tPvRmT2_T3_T4_T5_mT6_T7_P12ihipStream_tbENKUlT_T0_E_clISt17integral_constantIbLb1EESZ_EEDaSU_SV_EUlSU_E_NS1_11comp_targetILNS1_3genE0ELNS1_11target_archE4294967295ELNS1_3gpuE0ELNS1_3repE0EEENS1_30default_config_static_selectorELNS0_4arch9wavefront6targetE0EEEvT1_.uses_flat_scratch, 0
	.set _ZN7rocprim17ROCPRIM_400000_NS6detail17trampoline_kernelINS0_14default_configENS1_27scan_by_key_config_selectorIxxEEZZNS1_16scan_by_key_implILNS1_25lookback_scan_determinismE0ELb0ES3_N6thrust23THRUST_200600_302600_NS6detail15normal_iteratorINS9_10device_ptrIxEEEESE_SE_xNS9_10multipliesIxEENS9_8equal_toIxEExEE10hipError_tPvRmT2_T3_T4_T5_mT6_T7_P12ihipStream_tbENKUlT_T0_E_clISt17integral_constantIbLb1EESZ_EEDaSU_SV_EUlSU_E_NS1_11comp_targetILNS1_3genE0ELNS1_11target_archE4294967295ELNS1_3gpuE0ELNS1_3repE0EEENS1_30default_config_static_selectorELNS0_4arch9wavefront6targetE0EEEvT1_.has_dyn_sized_stack, 0
	.set _ZN7rocprim17ROCPRIM_400000_NS6detail17trampoline_kernelINS0_14default_configENS1_27scan_by_key_config_selectorIxxEEZZNS1_16scan_by_key_implILNS1_25lookback_scan_determinismE0ELb0ES3_N6thrust23THRUST_200600_302600_NS6detail15normal_iteratorINS9_10device_ptrIxEEEESE_SE_xNS9_10multipliesIxEENS9_8equal_toIxEExEE10hipError_tPvRmT2_T3_T4_T5_mT6_T7_P12ihipStream_tbENKUlT_T0_E_clISt17integral_constantIbLb1EESZ_EEDaSU_SV_EUlSU_E_NS1_11comp_targetILNS1_3genE0ELNS1_11target_archE4294967295ELNS1_3gpuE0ELNS1_3repE0EEENS1_30default_config_static_selectorELNS0_4arch9wavefront6targetE0EEEvT1_.has_recursion, 0
	.set _ZN7rocprim17ROCPRIM_400000_NS6detail17trampoline_kernelINS0_14default_configENS1_27scan_by_key_config_selectorIxxEEZZNS1_16scan_by_key_implILNS1_25lookback_scan_determinismE0ELb0ES3_N6thrust23THRUST_200600_302600_NS6detail15normal_iteratorINS9_10device_ptrIxEEEESE_SE_xNS9_10multipliesIxEENS9_8equal_toIxEExEE10hipError_tPvRmT2_T3_T4_T5_mT6_T7_P12ihipStream_tbENKUlT_T0_E_clISt17integral_constantIbLb1EESZ_EEDaSU_SV_EUlSU_E_NS1_11comp_targetILNS1_3genE0ELNS1_11target_archE4294967295ELNS1_3gpuE0ELNS1_3repE0EEENS1_30default_config_static_selectorELNS0_4arch9wavefront6targetE0EEEvT1_.has_indirect_call, 0
	.section	.AMDGPU.csdata,"",@progbits
; Kernel info:
; codeLenInByte = 0
; TotalNumSgprs: 0
; NumVgprs: 0
; ScratchSize: 0
; MemoryBound: 0
; FloatMode: 240
; IeeeMode: 1
; LDSByteSize: 0 bytes/workgroup (compile time only)
; SGPRBlocks: 0
; VGPRBlocks: 0
; NumSGPRsForWavesPerEU: 1
; NumVGPRsForWavesPerEU: 1
; Occupancy: 16
; WaveLimiterHint : 0
; COMPUTE_PGM_RSRC2:SCRATCH_EN: 0
; COMPUTE_PGM_RSRC2:USER_SGPR: 6
; COMPUTE_PGM_RSRC2:TRAP_HANDLER: 0
; COMPUTE_PGM_RSRC2:TGID_X_EN: 1
; COMPUTE_PGM_RSRC2:TGID_Y_EN: 0
; COMPUTE_PGM_RSRC2:TGID_Z_EN: 0
; COMPUTE_PGM_RSRC2:TIDIG_COMP_CNT: 0
	.section	.text._ZN7rocprim17ROCPRIM_400000_NS6detail17trampoline_kernelINS0_14default_configENS1_27scan_by_key_config_selectorIxxEEZZNS1_16scan_by_key_implILNS1_25lookback_scan_determinismE0ELb0ES3_N6thrust23THRUST_200600_302600_NS6detail15normal_iteratorINS9_10device_ptrIxEEEESE_SE_xNS9_10multipliesIxEENS9_8equal_toIxEExEE10hipError_tPvRmT2_T3_T4_T5_mT6_T7_P12ihipStream_tbENKUlT_T0_E_clISt17integral_constantIbLb1EESZ_EEDaSU_SV_EUlSU_E_NS1_11comp_targetILNS1_3genE10ELNS1_11target_archE1201ELNS1_3gpuE5ELNS1_3repE0EEENS1_30default_config_static_selectorELNS0_4arch9wavefront6targetE0EEEvT1_,"axG",@progbits,_ZN7rocprim17ROCPRIM_400000_NS6detail17trampoline_kernelINS0_14default_configENS1_27scan_by_key_config_selectorIxxEEZZNS1_16scan_by_key_implILNS1_25lookback_scan_determinismE0ELb0ES3_N6thrust23THRUST_200600_302600_NS6detail15normal_iteratorINS9_10device_ptrIxEEEESE_SE_xNS9_10multipliesIxEENS9_8equal_toIxEExEE10hipError_tPvRmT2_T3_T4_T5_mT6_T7_P12ihipStream_tbENKUlT_T0_E_clISt17integral_constantIbLb1EESZ_EEDaSU_SV_EUlSU_E_NS1_11comp_targetILNS1_3genE10ELNS1_11target_archE1201ELNS1_3gpuE5ELNS1_3repE0EEENS1_30default_config_static_selectorELNS0_4arch9wavefront6targetE0EEEvT1_,comdat
	.protected	_ZN7rocprim17ROCPRIM_400000_NS6detail17trampoline_kernelINS0_14default_configENS1_27scan_by_key_config_selectorIxxEEZZNS1_16scan_by_key_implILNS1_25lookback_scan_determinismE0ELb0ES3_N6thrust23THRUST_200600_302600_NS6detail15normal_iteratorINS9_10device_ptrIxEEEESE_SE_xNS9_10multipliesIxEENS9_8equal_toIxEExEE10hipError_tPvRmT2_T3_T4_T5_mT6_T7_P12ihipStream_tbENKUlT_T0_E_clISt17integral_constantIbLb1EESZ_EEDaSU_SV_EUlSU_E_NS1_11comp_targetILNS1_3genE10ELNS1_11target_archE1201ELNS1_3gpuE5ELNS1_3repE0EEENS1_30default_config_static_selectorELNS0_4arch9wavefront6targetE0EEEvT1_ ; -- Begin function _ZN7rocprim17ROCPRIM_400000_NS6detail17trampoline_kernelINS0_14default_configENS1_27scan_by_key_config_selectorIxxEEZZNS1_16scan_by_key_implILNS1_25lookback_scan_determinismE0ELb0ES3_N6thrust23THRUST_200600_302600_NS6detail15normal_iteratorINS9_10device_ptrIxEEEESE_SE_xNS9_10multipliesIxEENS9_8equal_toIxEExEE10hipError_tPvRmT2_T3_T4_T5_mT6_T7_P12ihipStream_tbENKUlT_T0_E_clISt17integral_constantIbLb1EESZ_EEDaSU_SV_EUlSU_E_NS1_11comp_targetILNS1_3genE10ELNS1_11target_archE1201ELNS1_3gpuE5ELNS1_3repE0EEENS1_30default_config_static_selectorELNS0_4arch9wavefront6targetE0EEEvT1_
	.globl	_ZN7rocprim17ROCPRIM_400000_NS6detail17trampoline_kernelINS0_14default_configENS1_27scan_by_key_config_selectorIxxEEZZNS1_16scan_by_key_implILNS1_25lookback_scan_determinismE0ELb0ES3_N6thrust23THRUST_200600_302600_NS6detail15normal_iteratorINS9_10device_ptrIxEEEESE_SE_xNS9_10multipliesIxEENS9_8equal_toIxEExEE10hipError_tPvRmT2_T3_T4_T5_mT6_T7_P12ihipStream_tbENKUlT_T0_E_clISt17integral_constantIbLb1EESZ_EEDaSU_SV_EUlSU_E_NS1_11comp_targetILNS1_3genE10ELNS1_11target_archE1201ELNS1_3gpuE5ELNS1_3repE0EEENS1_30default_config_static_selectorELNS0_4arch9wavefront6targetE0EEEvT1_
	.p2align	8
	.type	_ZN7rocprim17ROCPRIM_400000_NS6detail17trampoline_kernelINS0_14default_configENS1_27scan_by_key_config_selectorIxxEEZZNS1_16scan_by_key_implILNS1_25lookback_scan_determinismE0ELb0ES3_N6thrust23THRUST_200600_302600_NS6detail15normal_iteratorINS9_10device_ptrIxEEEESE_SE_xNS9_10multipliesIxEENS9_8equal_toIxEExEE10hipError_tPvRmT2_T3_T4_T5_mT6_T7_P12ihipStream_tbENKUlT_T0_E_clISt17integral_constantIbLb1EESZ_EEDaSU_SV_EUlSU_E_NS1_11comp_targetILNS1_3genE10ELNS1_11target_archE1201ELNS1_3gpuE5ELNS1_3repE0EEENS1_30default_config_static_selectorELNS0_4arch9wavefront6targetE0EEEvT1_,@function
_ZN7rocprim17ROCPRIM_400000_NS6detail17trampoline_kernelINS0_14default_configENS1_27scan_by_key_config_selectorIxxEEZZNS1_16scan_by_key_implILNS1_25lookback_scan_determinismE0ELb0ES3_N6thrust23THRUST_200600_302600_NS6detail15normal_iteratorINS9_10device_ptrIxEEEESE_SE_xNS9_10multipliesIxEENS9_8equal_toIxEExEE10hipError_tPvRmT2_T3_T4_T5_mT6_T7_P12ihipStream_tbENKUlT_T0_E_clISt17integral_constantIbLb1EESZ_EEDaSU_SV_EUlSU_E_NS1_11comp_targetILNS1_3genE10ELNS1_11target_archE1201ELNS1_3gpuE5ELNS1_3repE0EEENS1_30default_config_static_selectorELNS0_4arch9wavefront6targetE0EEEvT1_: ; @_ZN7rocprim17ROCPRIM_400000_NS6detail17trampoline_kernelINS0_14default_configENS1_27scan_by_key_config_selectorIxxEEZZNS1_16scan_by_key_implILNS1_25lookback_scan_determinismE0ELb0ES3_N6thrust23THRUST_200600_302600_NS6detail15normal_iteratorINS9_10device_ptrIxEEEESE_SE_xNS9_10multipliesIxEENS9_8equal_toIxEExEE10hipError_tPvRmT2_T3_T4_T5_mT6_T7_P12ihipStream_tbENKUlT_T0_E_clISt17integral_constantIbLb1EESZ_EEDaSU_SV_EUlSU_E_NS1_11comp_targetILNS1_3genE10ELNS1_11target_archE1201ELNS1_3gpuE5ELNS1_3repE0EEENS1_30default_config_static_selectorELNS0_4arch9wavefront6targetE0EEEvT1_
; %bb.0:
	.section	.rodata,"a",@progbits
	.p2align	6, 0x0
	.amdhsa_kernel _ZN7rocprim17ROCPRIM_400000_NS6detail17trampoline_kernelINS0_14default_configENS1_27scan_by_key_config_selectorIxxEEZZNS1_16scan_by_key_implILNS1_25lookback_scan_determinismE0ELb0ES3_N6thrust23THRUST_200600_302600_NS6detail15normal_iteratorINS9_10device_ptrIxEEEESE_SE_xNS9_10multipliesIxEENS9_8equal_toIxEExEE10hipError_tPvRmT2_T3_T4_T5_mT6_T7_P12ihipStream_tbENKUlT_T0_E_clISt17integral_constantIbLb1EESZ_EEDaSU_SV_EUlSU_E_NS1_11comp_targetILNS1_3genE10ELNS1_11target_archE1201ELNS1_3gpuE5ELNS1_3repE0EEENS1_30default_config_static_selectorELNS0_4arch9wavefront6targetE0EEEvT1_
		.amdhsa_group_segment_fixed_size 0
		.amdhsa_private_segment_fixed_size 0
		.amdhsa_kernarg_size 136
		.amdhsa_user_sgpr_count 6
		.amdhsa_user_sgpr_private_segment_buffer 1
		.amdhsa_user_sgpr_dispatch_ptr 0
		.amdhsa_user_sgpr_queue_ptr 0
		.amdhsa_user_sgpr_kernarg_segment_ptr 1
		.amdhsa_user_sgpr_dispatch_id 0
		.amdhsa_user_sgpr_flat_scratch_init 0
		.amdhsa_user_sgpr_private_segment_size 0
		.amdhsa_wavefront_size32 1
		.amdhsa_uses_dynamic_stack 0
		.amdhsa_system_sgpr_private_segment_wavefront_offset 0
		.amdhsa_system_sgpr_workgroup_id_x 1
		.amdhsa_system_sgpr_workgroup_id_y 0
		.amdhsa_system_sgpr_workgroup_id_z 0
		.amdhsa_system_sgpr_workgroup_info 0
		.amdhsa_system_vgpr_workitem_id 0
		.amdhsa_next_free_vgpr 1
		.amdhsa_next_free_sgpr 1
		.amdhsa_reserve_vcc 0
		.amdhsa_reserve_flat_scratch 0
		.amdhsa_float_round_mode_32 0
		.amdhsa_float_round_mode_16_64 0
		.amdhsa_float_denorm_mode_32 3
		.amdhsa_float_denorm_mode_16_64 3
		.amdhsa_dx10_clamp 1
		.amdhsa_ieee_mode 1
		.amdhsa_fp16_overflow 0
		.amdhsa_workgroup_processor_mode 1
		.amdhsa_memory_ordered 1
		.amdhsa_forward_progress 1
		.amdhsa_shared_vgpr_count 0
		.amdhsa_exception_fp_ieee_invalid_op 0
		.amdhsa_exception_fp_denorm_src 0
		.amdhsa_exception_fp_ieee_div_zero 0
		.amdhsa_exception_fp_ieee_overflow 0
		.amdhsa_exception_fp_ieee_underflow 0
		.amdhsa_exception_fp_ieee_inexact 0
		.amdhsa_exception_int_div_zero 0
	.end_amdhsa_kernel
	.section	.text._ZN7rocprim17ROCPRIM_400000_NS6detail17trampoline_kernelINS0_14default_configENS1_27scan_by_key_config_selectorIxxEEZZNS1_16scan_by_key_implILNS1_25lookback_scan_determinismE0ELb0ES3_N6thrust23THRUST_200600_302600_NS6detail15normal_iteratorINS9_10device_ptrIxEEEESE_SE_xNS9_10multipliesIxEENS9_8equal_toIxEExEE10hipError_tPvRmT2_T3_T4_T5_mT6_T7_P12ihipStream_tbENKUlT_T0_E_clISt17integral_constantIbLb1EESZ_EEDaSU_SV_EUlSU_E_NS1_11comp_targetILNS1_3genE10ELNS1_11target_archE1201ELNS1_3gpuE5ELNS1_3repE0EEENS1_30default_config_static_selectorELNS0_4arch9wavefront6targetE0EEEvT1_,"axG",@progbits,_ZN7rocprim17ROCPRIM_400000_NS6detail17trampoline_kernelINS0_14default_configENS1_27scan_by_key_config_selectorIxxEEZZNS1_16scan_by_key_implILNS1_25lookback_scan_determinismE0ELb0ES3_N6thrust23THRUST_200600_302600_NS6detail15normal_iteratorINS9_10device_ptrIxEEEESE_SE_xNS9_10multipliesIxEENS9_8equal_toIxEExEE10hipError_tPvRmT2_T3_T4_T5_mT6_T7_P12ihipStream_tbENKUlT_T0_E_clISt17integral_constantIbLb1EESZ_EEDaSU_SV_EUlSU_E_NS1_11comp_targetILNS1_3genE10ELNS1_11target_archE1201ELNS1_3gpuE5ELNS1_3repE0EEENS1_30default_config_static_selectorELNS0_4arch9wavefront6targetE0EEEvT1_,comdat
.Lfunc_end57:
	.size	_ZN7rocprim17ROCPRIM_400000_NS6detail17trampoline_kernelINS0_14default_configENS1_27scan_by_key_config_selectorIxxEEZZNS1_16scan_by_key_implILNS1_25lookback_scan_determinismE0ELb0ES3_N6thrust23THRUST_200600_302600_NS6detail15normal_iteratorINS9_10device_ptrIxEEEESE_SE_xNS9_10multipliesIxEENS9_8equal_toIxEExEE10hipError_tPvRmT2_T3_T4_T5_mT6_T7_P12ihipStream_tbENKUlT_T0_E_clISt17integral_constantIbLb1EESZ_EEDaSU_SV_EUlSU_E_NS1_11comp_targetILNS1_3genE10ELNS1_11target_archE1201ELNS1_3gpuE5ELNS1_3repE0EEENS1_30default_config_static_selectorELNS0_4arch9wavefront6targetE0EEEvT1_, .Lfunc_end57-_ZN7rocprim17ROCPRIM_400000_NS6detail17trampoline_kernelINS0_14default_configENS1_27scan_by_key_config_selectorIxxEEZZNS1_16scan_by_key_implILNS1_25lookback_scan_determinismE0ELb0ES3_N6thrust23THRUST_200600_302600_NS6detail15normal_iteratorINS9_10device_ptrIxEEEESE_SE_xNS9_10multipliesIxEENS9_8equal_toIxEExEE10hipError_tPvRmT2_T3_T4_T5_mT6_T7_P12ihipStream_tbENKUlT_T0_E_clISt17integral_constantIbLb1EESZ_EEDaSU_SV_EUlSU_E_NS1_11comp_targetILNS1_3genE10ELNS1_11target_archE1201ELNS1_3gpuE5ELNS1_3repE0EEENS1_30default_config_static_selectorELNS0_4arch9wavefront6targetE0EEEvT1_
                                        ; -- End function
	.set _ZN7rocprim17ROCPRIM_400000_NS6detail17trampoline_kernelINS0_14default_configENS1_27scan_by_key_config_selectorIxxEEZZNS1_16scan_by_key_implILNS1_25lookback_scan_determinismE0ELb0ES3_N6thrust23THRUST_200600_302600_NS6detail15normal_iteratorINS9_10device_ptrIxEEEESE_SE_xNS9_10multipliesIxEENS9_8equal_toIxEExEE10hipError_tPvRmT2_T3_T4_T5_mT6_T7_P12ihipStream_tbENKUlT_T0_E_clISt17integral_constantIbLb1EESZ_EEDaSU_SV_EUlSU_E_NS1_11comp_targetILNS1_3genE10ELNS1_11target_archE1201ELNS1_3gpuE5ELNS1_3repE0EEENS1_30default_config_static_selectorELNS0_4arch9wavefront6targetE0EEEvT1_.num_vgpr, 0
	.set _ZN7rocprim17ROCPRIM_400000_NS6detail17trampoline_kernelINS0_14default_configENS1_27scan_by_key_config_selectorIxxEEZZNS1_16scan_by_key_implILNS1_25lookback_scan_determinismE0ELb0ES3_N6thrust23THRUST_200600_302600_NS6detail15normal_iteratorINS9_10device_ptrIxEEEESE_SE_xNS9_10multipliesIxEENS9_8equal_toIxEExEE10hipError_tPvRmT2_T3_T4_T5_mT6_T7_P12ihipStream_tbENKUlT_T0_E_clISt17integral_constantIbLb1EESZ_EEDaSU_SV_EUlSU_E_NS1_11comp_targetILNS1_3genE10ELNS1_11target_archE1201ELNS1_3gpuE5ELNS1_3repE0EEENS1_30default_config_static_selectorELNS0_4arch9wavefront6targetE0EEEvT1_.num_agpr, 0
	.set _ZN7rocprim17ROCPRIM_400000_NS6detail17trampoline_kernelINS0_14default_configENS1_27scan_by_key_config_selectorIxxEEZZNS1_16scan_by_key_implILNS1_25lookback_scan_determinismE0ELb0ES3_N6thrust23THRUST_200600_302600_NS6detail15normal_iteratorINS9_10device_ptrIxEEEESE_SE_xNS9_10multipliesIxEENS9_8equal_toIxEExEE10hipError_tPvRmT2_T3_T4_T5_mT6_T7_P12ihipStream_tbENKUlT_T0_E_clISt17integral_constantIbLb1EESZ_EEDaSU_SV_EUlSU_E_NS1_11comp_targetILNS1_3genE10ELNS1_11target_archE1201ELNS1_3gpuE5ELNS1_3repE0EEENS1_30default_config_static_selectorELNS0_4arch9wavefront6targetE0EEEvT1_.numbered_sgpr, 0
	.set _ZN7rocprim17ROCPRIM_400000_NS6detail17trampoline_kernelINS0_14default_configENS1_27scan_by_key_config_selectorIxxEEZZNS1_16scan_by_key_implILNS1_25lookback_scan_determinismE0ELb0ES3_N6thrust23THRUST_200600_302600_NS6detail15normal_iteratorINS9_10device_ptrIxEEEESE_SE_xNS9_10multipliesIxEENS9_8equal_toIxEExEE10hipError_tPvRmT2_T3_T4_T5_mT6_T7_P12ihipStream_tbENKUlT_T0_E_clISt17integral_constantIbLb1EESZ_EEDaSU_SV_EUlSU_E_NS1_11comp_targetILNS1_3genE10ELNS1_11target_archE1201ELNS1_3gpuE5ELNS1_3repE0EEENS1_30default_config_static_selectorELNS0_4arch9wavefront6targetE0EEEvT1_.num_named_barrier, 0
	.set _ZN7rocprim17ROCPRIM_400000_NS6detail17trampoline_kernelINS0_14default_configENS1_27scan_by_key_config_selectorIxxEEZZNS1_16scan_by_key_implILNS1_25lookback_scan_determinismE0ELb0ES3_N6thrust23THRUST_200600_302600_NS6detail15normal_iteratorINS9_10device_ptrIxEEEESE_SE_xNS9_10multipliesIxEENS9_8equal_toIxEExEE10hipError_tPvRmT2_T3_T4_T5_mT6_T7_P12ihipStream_tbENKUlT_T0_E_clISt17integral_constantIbLb1EESZ_EEDaSU_SV_EUlSU_E_NS1_11comp_targetILNS1_3genE10ELNS1_11target_archE1201ELNS1_3gpuE5ELNS1_3repE0EEENS1_30default_config_static_selectorELNS0_4arch9wavefront6targetE0EEEvT1_.private_seg_size, 0
	.set _ZN7rocprim17ROCPRIM_400000_NS6detail17trampoline_kernelINS0_14default_configENS1_27scan_by_key_config_selectorIxxEEZZNS1_16scan_by_key_implILNS1_25lookback_scan_determinismE0ELb0ES3_N6thrust23THRUST_200600_302600_NS6detail15normal_iteratorINS9_10device_ptrIxEEEESE_SE_xNS9_10multipliesIxEENS9_8equal_toIxEExEE10hipError_tPvRmT2_T3_T4_T5_mT6_T7_P12ihipStream_tbENKUlT_T0_E_clISt17integral_constantIbLb1EESZ_EEDaSU_SV_EUlSU_E_NS1_11comp_targetILNS1_3genE10ELNS1_11target_archE1201ELNS1_3gpuE5ELNS1_3repE0EEENS1_30default_config_static_selectorELNS0_4arch9wavefront6targetE0EEEvT1_.uses_vcc, 0
	.set _ZN7rocprim17ROCPRIM_400000_NS6detail17trampoline_kernelINS0_14default_configENS1_27scan_by_key_config_selectorIxxEEZZNS1_16scan_by_key_implILNS1_25lookback_scan_determinismE0ELb0ES3_N6thrust23THRUST_200600_302600_NS6detail15normal_iteratorINS9_10device_ptrIxEEEESE_SE_xNS9_10multipliesIxEENS9_8equal_toIxEExEE10hipError_tPvRmT2_T3_T4_T5_mT6_T7_P12ihipStream_tbENKUlT_T0_E_clISt17integral_constantIbLb1EESZ_EEDaSU_SV_EUlSU_E_NS1_11comp_targetILNS1_3genE10ELNS1_11target_archE1201ELNS1_3gpuE5ELNS1_3repE0EEENS1_30default_config_static_selectorELNS0_4arch9wavefront6targetE0EEEvT1_.uses_flat_scratch, 0
	.set _ZN7rocprim17ROCPRIM_400000_NS6detail17trampoline_kernelINS0_14default_configENS1_27scan_by_key_config_selectorIxxEEZZNS1_16scan_by_key_implILNS1_25lookback_scan_determinismE0ELb0ES3_N6thrust23THRUST_200600_302600_NS6detail15normal_iteratorINS9_10device_ptrIxEEEESE_SE_xNS9_10multipliesIxEENS9_8equal_toIxEExEE10hipError_tPvRmT2_T3_T4_T5_mT6_T7_P12ihipStream_tbENKUlT_T0_E_clISt17integral_constantIbLb1EESZ_EEDaSU_SV_EUlSU_E_NS1_11comp_targetILNS1_3genE10ELNS1_11target_archE1201ELNS1_3gpuE5ELNS1_3repE0EEENS1_30default_config_static_selectorELNS0_4arch9wavefront6targetE0EEEvT1_.has_dyn_sized_stack, 0
	.set _ZN7rocprim17ROCPRIM_400000_NS6detail17trampoline_kernelINS0_14default_configENS1_27scan_by_key_config_selectorIxxEEZZNS1_16scan_by_key_implILNS1_25lookback_scan_determinismE0ELb0ES3_N6thrust23THRUST_200600_302600_NS6detail15normal_iteratorINS9_10device_ptrIxEEEESE_SE_xNS9_10multipliesIxEENS9_8equal_toIxEExEE10hipError_tPvRmT2_T3_T4_T5_mT6_T7_P12ihipStream_tbENKUlT_T0_E_clISt17integral_constantIbLb1EESZ_EEDaSU_SV_EUlSU_E_NS1_11comp_targetILNS1_3genE10ELNS1_11target_archE1201ELNS1_3gpuE5ELNS1_3repE0EEENS1_30default_config_static_selectorELNS0_4arch9wavefront6targetE0EEEvT1_.has_recursion, 0
	.set _ZN7rocprim17ROCPRIM_400000_NS6detail17trampoline_kernelINS0_14default_configENS1_27scan_by_key_config_selectorIxxEEZZNS1_16scan_by_key_implILNS1_25lookback_scan_determinismE0ELb0ES3_N6thrust23THRUST_200600_302600_NS6detail15normal_iteratorINS9_10device_ptrIxEEEESE_SE_xNS9_10multipliesIxEENS9_8equal_toIxEExEE10hipError_tPvRmT2_T3_T4_T5_mT6_T7_P12ihipStream_tbENKUlT_T0_E_clISt17integral_constantIbLb1EESZ_EEDaSU_SV_EUlSU_E_NS1_11comp_targetILNS1_3genE10ELNS1_11target_archE1201ELNS1_3gpuE5ELNS1_3repE0EEENS1_30default_config_static_selectorELNS0_4arch9wavefront6targetE0EEEvT1_.has_indirect_call, 0
	.section	.AMDGPU.csdata,"",@progbits
; Kernel info:
; codeLenInByte = 0
; TotalNumSgprs: 0
; NumVgprs: 0
; ScratchSize: 0
; MemoryBound: 0
; FloatMode: 240
; IeeeMode: 1
; LDSByteSize: 0 bytes/workgroup (compile time only)
; SGPRBlocks: 0
; VGPRBlocks: 0
; NumSGPRsForWavesPerEU: 1
; NumVGPRsForWavesPerEU: 1
; Occupancy: 16
; WaveLimiterHint : 0
; COMPUTE_PGM_RSRC2:SCRATCH_EN: 0
; COMPUTE_PGM_RSRC2:USER_SGPR: 6
; COMPUTE_PGM_RSRC2:TRAP_HANDLER: 0
; COMPUTE_PGM_RSRC2:TGID_X_EN: 1
; COMPUTE_PGM_RSRC2:TGID_Y_EN: 0
; COMPUTE_PGM_RSRC2:TGID_Z_EN: 0
; COMPUTE_PGM_RSRC2:TIDIG_COMP_CNT: 0
	.section	.text._ZN7rocprim17ROCPRIM_400000_NS6detail17trampoline_kernelINS0_14default_configENS1_27scan_by_key_config_selectorIxxEEZZNS1_16scan_by_key_implILNS1_25lookback_scan_determinismE0ELb0ES3_N6thrust23THRUST_200600_302600_NS6detail15normal_iteratorINS9_10device_ptrIxEEEESE_SE_xNS9_10multipliesIxEENS9_8equal_toIxEExEE10hipError_tPvRmT2_T3_T4_T5_mT6_T7_P12ihipStream_tbENKUlT_T0_E_clISt17integral_constantIbLb1EESZ_EEDaSU_SV_EUlSU_E_NS1_11comp_targetILNS1_3genE5ELNS1_11target_archE942ELNS1_3gpuE9ELNS1_3repE0EEENS1_30default_config_static_selectorELNS0_4arch9wavefront6targetE0EEEvT1_,"axG",@progbits,_ZN7rocprim17ROCPRIM_400000_NS6detail17trampoline_kernelINS0_14default_configENS1_27scan_by_key_config_selectorIxxEEZZNS1_16scan_by_key_implILNS1_25lookback_scan_determinismE0ELb0ES3_N6thrust23THRUST_200600_302600_NS6detail15normal_iteratorINS9_10device_ptrIxEEEESE_SE_xNS9_10multipliesIxEENS9_8equal_toIxEExEE10hipError_tPvRmT2_T3_T4_T5_mT6_T7_P12ihipStream_tbENKUlT_T0_E_clISt17integral_constantIbLb1EESZ_EEDaSU_SV_EUlSU_E_NS1_11comp_targetILNS1_3genE5ELNS1_11target_archE942ELNS1_3gpuE9ELNS1_3repE0EEENS1_30default_config_static_selectorELNS0_4arch9wavefront6targetE0EEEvT1_,comdat
	.protected	_ZN7rocprim17ROCPRIM_400000_NS6detail17trampoline_kernelINS0_14default_configENS1_27scan_by_key_config_selectorIxxEEZZNS1_16scan_by_key_implILNS1_25lookback_scan_determinismE0ELb0ES3_N6thrust23THRUST_200600_302600_NS6detail15normal_iteratorINS9_10device_ptrIxEEEESE_SE_xNS9_10multipliesIxEENS9_8equal_toIxEExEE10hipError_tPvRmT2_T3_T4_T5_mT6_T7_P12ihipStream_tbENKUlT_T0_E_clISt17integral_constantIbLb1EESZ_EEDaSU_SV_EUlSU_E_NS1_11comp_targetILNS1_3genE5ELNS1_11target_archE942ELNS1_3gpuE9ELNS1_3repE0EEENS1_30default_config_static_selectorELNS0_4arch9wavefront6targetE0EEEvT1_ ; -- Begin function _ZN7rocprim17ROCPRIM_400000_NS6detail17trampoline_kernelINS0_14default_configENS1_27scan_by_key_config_selectorIxxEEZZNS1_16scan_by_key_implILNS1_25lookback_scan_determinismE0ELb0ES3_N6thrust23THRUST_200600_302600_NS6detail15normal_iteratorINS9_10device_ptrIxEEEESE_SE_xNS9_10multipliesIxEENS9_8equal_toIxEExEE10hipError_tPvRmT2_T3_T4_T5_mT6_T7_P12ihipStream_tbENKUlT_T0_E_clISt17integral_constantIbLb1EESZ_EEDaSU_SV_EUlSU_E_NS1_11comp_targetILNS1_3genE5ELNS1_11target_archE942ELNS1_3gpuE9ELNS1_3repE0EEENS1_30default_config_static_selectorELNS0_4arch9wavefront6targetE0EEEvT1_
	.globl	_ZN7rocprim17ROCPRIM_400000_NS6detail17trampoline_kernelINS0_14default_configENS1_27scan_by_key_config_selectorIxxEEZZNS1_16scan_by_key_implILNS1_25lookback_scan_determinismE0ELb0ES3_N6thrust23THRUST_200600_302600_NS6detail15normal_iteratorINS9_10device_ptrIxEEEESE_SE_xNS9_10multipliesIxEENS9_8equal_toIxEExEE10hipError_tPvRmT2_T3_T4_T5_mT6_T7_P12ihipStream_tbENKUlT_T0_E_clISt17integral_constantIbLb1EESZ_EEDaSU_SV_EUlSU_E_NS1_11comp_targetILNS1_3genE5ELNS1_11target_archE942ELNS1_3gpuE9ELNS1_3repE0EEENS1_30default_config_static_selectorELNS0_4arch9wavefront6targetE0EEEvT1_
	.p2align	8
	.type	_ZN7rocprim17ROCPRIM_400000_NS6detail17trampoline_kernelINS0_14default_configENS1_27scan_by_key_config_selectorIxxEEZZNS1_16scan_by_key_implILNS1_25lookback_scan_determinismE0ELb0ES3_N6thrust23THRUST_200600_302600_NS6detail15normal_iteratorINS9_10device_ptrIxEEEESE_SE_xNS9_10multipliesIxEENS9_8equal_toIxEExEE10hipError_tPvRmT2_T3_T4_T5_mT6_T7_P12ihipStream_tbENKUlT_T0_E_clISt17integral_constantIbLb1EESZ_EEDaSU_SV_EUlSU_E_NS1_11comp_targetILNS1_3genE5ELNS1_11target_archE942ELNS1_3gpuE9ELNS1_3repE0EEENS1_30default_config_static_selectorELNS0_4arch9wavefront6targetE0EEEvT1_,@function
_ZN7rocprim17ROCPRIM_400000_NS6detail17trampoline_kernelINS0_14default_configENS1_27scan_by_key_config_selectorIxxEEZZNS1_16scan_by_key_implILNS1_25lookback_scan_determinismE0ELb0ES3_N6thrust23THRUST_200600_302600_NS6detail15normal_iteratorINS9_10device_ptrIxEEEESE_SE_xNS9_10multipliesIxEENS9_8equal_toIxEExEE10hipError_tPvRmT2_T3_T4_T5_mT6_T7_P12ihipStream_tbENKUlT_T0_E_clISt17integral_constantIbLb1EESZ_EEDaSU_SV_EUlSU_E_NS1_11comp_targetILNS1_3genE5ELNS1_11target_archE942ELNS1_3gpuE9ELNS1_3repE0EEENS1_30default_config_static_selectorELNS0_4arch9wavefront6targetE0EEEvT1_: ; @_ZN7rocprim17ROCPRIM_400000_NS6detail17trampoline_kernelINS0_14default_configENS1_27scan_by_key_config_selectorIxxEEZZNS1_16scan_by_key_implILNS1_25lookback_scan_determinismE0ELb0ES3_N6thrust23THRUST_200600_302600_NS6detail15normal_iteratorINS9_10device_ptrIxEEEESE_SE_xNS9_10multipliesIxEENS9_8equal_toIxEExEE10hipError_tPvRmT2_T3_T4_T5_mT6_T7_P12ihipStream_tbENKUlT_T0_E_clISt17integral_constantIbLb1EESZ_EEDaSU_SV_EUlSU_E_NS1_11comp_targetILNS1_3genE5ELNS1_11target_archE942ELNS1_3gpuE9ELNS1_3repE0EEENS1_30default_config_static_selectorELNS0_4arch9wavefront6targetE0EEEvT1_
; %bb.0:
	.section	.rodata,"a",@progbits
	.p2align	6, 0x0
	.amdhsa_kernel _ZN7rocprim17ROCPRIM_400000_NS6detail17trampoline_kernelINS0_14default_configENS1_27scan_by_key_config_selectorIxxEEZZNS1_16scan_by_key_implILNS1_25lookback_scan_determinismE0ELb0ES3_N6thrust23THRUST_200600_302600_NS6detail15normal_iteratorINS9_10device_ptrIxEEEESE_SE_xNS9_10multipliesIxEENS9_8equal_toIxEExEE10hipError_tPvRmT2_T3_T4_T5_mT6_T7_P12ihipStream_tbENKUlT_T0_E_clISt17integral_constantIbLb1EESZ_EEDaSU_SV_EUlSU_E_NS1_11comp_targetILNS1_3genE5ELNS1_11target_archE942ELNS1_3gpuE9ELNS1_3repE0EEENS1_30default_config_static_selectorELNS0_4arch9wavefront6targetE0EEEvT1_
		.amdhsa_group_segment_fixed_size 0
		.amdhsa_private_segment_fixed_size 0
		.amdhsa_kernarg_size 136
		.amdhsa_user_sgpr_count 6
		.amdhsa_user_sgpr_private_segment_buffer 1
		.amdhsa_user_sgpr_dispatch_ptr 0
		.amdhsa_user_sgpr_queue_ptr 0
		.amdhsa_user_sgpr_kernarg_segment_ptr 1
		.amdhsa_user_sgpr_dispatch_id 0
		.amdhsa_user_sgpr_flat_scratch_init 0
		.amdhsa_user_sgpr_private_segment_size 0
		.amdhsa_wavefront_size32 1
		.amdhsa_uses_dynamic_stack 0
		.amdhsa_system_sgpr_private_segment_wavefront_offset 0
		.amdhsa_system_sgpr_workgroup_id_x 1
		.amdhsa_system_sgpr_workgroup_id_y 0
		.amdhsa_system_sgpr_workgroup_id_z 0
		.amdhsa_system_sgpr_workgroup_info 0
		.amdhsa_system_vgpr_workitem_id 0
		.amdhsa_next_free_vgpr 1
		.amdhsa_next_free_sgpr 1
		.amdhsa_reserve_vcc 0
		.amdhsa_reserve_flat_scratch 0
		.amdhsa_float_round_mode_32 0
		.amdhsa_float_round_mode_16_64 0
		.amdhsa_float_denorm_mode_32 3
		.amdhsa_float_denorm_mode_16_64 3
		.amdhsa_dx10_clamp 1
		.amdhsa_ieee_mode 1
		.amdhsa_fp16_overflow 0
		.amdhsa_workgroup_processor_mode 1
		.amdhsa_memory_ordered 1
		.amdhsa_forward_progress 1
		.amdhsa_shared_vgpr_count 0
		.amdhsa_exception_fp_ieee_invalid_op 0
		.amdhsa_exception_fp_denorm_src 0
		.amdhsa_exception_fp_ieee_div_zero 0
		.amdhsa_exception_fp_ieee_overflow 0
		.amdhsa_exception_fp_ieee_underflow 0
		.amdhsa_exception_fp_ieee_inexact 0
		.amdhsa_exception_int_div_zero 0
	.end_amdhsa_kernel
	.section	.text._ZN7rocprim17ROCPRIM_400000_NS6detail17trampoline_kernelINS0_14default_configENS1_27scan_by_key_config_selectorIxxEEZZNS1_16scan_by_key_implILNS1_25lookback_scan_determinismE0ELb0ES3_N6thrust23THRUST_200600_302600_NS6detail15normal_iteratorINS9_10device_ptrIxEEEESE_SE_xNS9_10multipliesIxEENS9_8equal_toIxEExEE10hipError_tPvRmT2_T3_T4_T5_mT6_T7_P12ihipStream_tbENKUlT_T0_E_clISt17integral_constantIbLb1EESZ_EEDaSU_SV_EUlSU_E_NS1_11comp_targetILNS1_3genE5ELNS1_11target_archE942ELNS1_3gpuE9ELNS1_3repE0EEENS1_30default_config_static_selectorELNS0_4arch9wavefront6targetE0EEEvT1_,"axG",@progbits,_ZN7rocprim17ROCPRIM_400000_NS6detail17trampoline_kernelINS0_14default_configENS1_27scan_by_key_config_selectorIxxEEZZNS1_16scan_by_key_implILNS1_25lookback_scan_determinismE0ELb0ES3_N6thrust23THRUST_200600_302600_NS6detail15normal_iteratorINS9_10device_ptrIxEEEESE_SE_xNS9_10multipliesIxEENS9_8equal_toIxEExEE10hipError_tPvRmT2_T3_T4_T5_mT6_T7_P12ihipStream_tbENKUlT_T0_E_clISt17integral_constantIbLb1EESZ_EEDaSU_SV_EUlSU_E_NS1_11comp_targetILNS1_3genE5ELNS1_11target_archE942ELNS1_3gpuE9ELNS1_3repE0EEENS1_30default_config_static_selectorELNS0_4arch9wavefront6targetE0EEEvT1_,comdat
.Lfunc_end58:
	.size	_ZN7rocprim17ROCPRIM_400000_NS6detail17trampoline_kernelINS0_14default_configENS1_27scan_by_key_config_selectorIxxEEZZNS1_16scan_by_key_implILNS1_25lookback_scan_determinismE0ELb0ES3_N6thrust23THRUST_200600_302600_NS6detail15normal_iteratorINS9_10device_ptrIxEEEESE_SE_xNS9_10multipliesIxEENS9_8equal_toIxEExEE10hipError_tPvRmT2_T3_T4_T5_mT6_T7_P12ihipStream_tbENKUlT_T0_E_clISt17integral_constantIbLb1EESZ_EEDaSU_SV_EUlSU_E_NS1_11comp_targetILNS1_3genE5ELNS1_11target_archE942ELNS1_3gpuE9ELNS1_3repE0EEENS1_30default_config_static_selectorELNS0_4arch9wavefront6targetE0EEEvT1_, .Lfunc_end58-_ZN7rocprim17ROCPRIM_400000_NS6detail17trampoline_kernelINS0_14default_configENS1_27scan_by_key_config_selectorIxxEEZZNS1_16scan_by_key_implILNS1_25lookback_scan_determinismE0ELb0ES3_N6thrust23THRUST_200600_302600_NS6detail15normal_iteratorINS9_10device_ptrIxEEEESE_SE_xNS9_10multipliesIxEENS9_8equal_toIxEExEE10hipError_tPvRmT2_T3_T4_T5_mT6_T7_P12ihipStream_tbENKUlT_T0_E_clISt17integral_constantIbLb1EESZ_EEDaSU_SV_EUlSU_E_NS1_11comp_targetILNS1_3genE5ELNS1_11target_archE942ELNS1_3gpuE9ELNS1_3repE0EEENS1_30default_config_static_selectorELNS0_4arch9wavefront6targetE0EEEvT1_
                                        ; -- End function
	.set _ZN7rocprim17ROCPRIM_400000_NS6detail17trampoline_kernelINS0_14default_configENS1_27scan_by_key_config_selectorIxxEEZZNS1_16scan_by_key_implILNS1_25lookback_scan_determinismE0ELb0ES3_N6thrust23THRUST_200600_302600_NS6detail15normal_iteratorINS9_10device_ptrIxEEEESE_SE_xNS9_10multipliesIxEENS9_8equal_toIxEExEE10hipError_tPvRmT2_T3_T4_T5_mT6_T7_P12ihipStream_tbENKUlT_T0_E_clISt17integral_constantIbLb1EESZ_EEDaSU_SV_EUlSU_E_NS1_11comp_targetILNS1_3genE5ELNS1_11target_archE942ELNS1_3gpuE9ELNS1_3repE0EEENS1_30default_config_static_selectorELNS0_4arch9wavefront6targetE0EEEvT1_.num_vgpr, 0
	.set _ZN7rocprim17ROCPRIM_400000_NS6detail17trampoline_kernelINS0_14default_configENS1_27scan_by_key_config_selectorIxxEEZZNS1_16scan_by_key_implILNS1_25lookback_scan_determinismE0ELb0ES3_N6thrust23THRUST_200600_302600_NS6detail15normal_iteratorINS9_10device_ptrIxEEEESE_SE_xNS9_10multipliesIxEENS9_8equal_toIxEExEE10hipError_tPvRmT2_T3_T4_T5_mT6_T7_P12ihipStream_tbENKUlT_T0_E_clISt17integral_constantIbLb1EESZ_EEDaSU_SV_EUlSU_E_NS1_11comp_targetILNS1_3genE5ELNS1_11target_archE942ELNS1_3gpuE9ELNS1_3repE0EEENS1_30default_config_static_selectorELNS0_4arch9wavefront6targetE0EEEvT1_.num_agpr, 0
	.set _ZN7rocprim17ROCPRIM_400000_NS6detail17trampoline_kernelINS0_14default_configENS1_27scan_by_key_config_selectorIxxEEZZNS1_16scan_by_key_implILNS1_25lookback_scan_determinismE0ELb0ES3_N6thrust23THRUST_200600_302600_NS6detail15normal_iteratorINS9_10device_ptrIxEEEESE_SE_xNS9_10multipliesIxEENS9_8equal_toIxEExEE10hipError_tPvRmT2_T3_T4_T5_mT6_T7_P12ihipStream_tbENKUlT_T0_E_clISt17integral_constantIbLb1EESZ_EEDaSU_SV_EUlSU_E_NS1_11comp_targetILNS1_3genE5ELNS1_11target_archE942ELNS1_3gpuE9ELNS1_3repE0EEENS1_30default_config_static_selectorELNS0_4arch9wavefront6targetE0EEEvT1_.numbered_sgpr, 0
	.set _ZN7rocprim17ROCPRIM_400000_NS6detail17trampoline_kernelINS0_14default_configENS1_27scan_by_key_config_selectorIxxEEZZNS1_16scan_by_key_implILNS1_25lookback_scan_determinismE0ELb0ES3_N6thrust23THRUST_200600_302600_NS6detail15normal_iteratorINS9_10device_ptrIxEEEESE_SE_xNS9_10multipliesIxEENS9_8equal_toIxEExEE10hipError_tPvRmT2_T3_T4_T5_mT6_T7_P12ihipStream_tbENKUlT_T0_E_clISt17integral_constantIbLb1EESZ_EEDaSU_SV_EUlSU_E_NS1_11comp_targetILNS1_3genE5ELNS1_11target_archE942ELNS1_3gpuE9ELNS1_3repE0EEENS1_30default_config_static_selectorELNS0_4arch9wavefront6targetE0EEEvT1_.num_named_barrier, 0
	.set _ZN7rocprim17ROCPRIM_400000_NS6detail17trampoline_kernelINS0_14default_configENS1_27scan_by_key_config_selectorIxxEEZZNS1_16scan_by_key_implILNS1_25lookback_scan_determinismE0ELb0ES3_N6thrust23THRUST_200600_302600_NS6detail15normal_iteratorINS9_10device_ptrIxEEEESE_SE_xNS9_10multipliesIxEENS9_8equal_toIxEExEE10hipError_tPvRmT2_T3_T4_T5_mT6_T7_P12ihipStream_tbENKUlT_T0_E_clISt17integral_constantIbLb1EESZ_EEDaSU_SV_EUlSU_E_NS1_11comp_targetILNS1_3genE5ELNS1_11target_archE942ELNS1_3gpuE9ELNS1_3repE0EEENS1_30default_config_static_selectorELNS0_4arch9wavefront6targetE0EEEvT1_.private_seg_size, 0
	.set _ZN7rocprim17ROCPRIM_400000_NS6detail17trampoline_kernelINS0_14default_configENS1_27scan_by_key_config_selectorIxxEEZZNS1_16scan_by_key_implILNS1_25lookback_scan_determinismE0ELb0ES3_N6thrust23THRUST_200600_302600_NS6detail15normal_iteratorINS9_10device_ptrIxEEEESE_SE_xNS9_10multipliesIxEENS9_8equal_toIxEExEE10hipError_tPvRmT2_T3_T4_T5_mT6_T7_P12ihipStream_tbENKUlT_T0_E_clISt17integral_constantIbLb1EESZ_EEDaSU_SV_EUlSU_E_NS1_11comp_targetILNS1_3genE5ELNS1_11target_archE942ELNS1_3gpuE9ELNS1_3repE0EEENS1_30default_config_static_selectorELNS0_4arch9wavefront6targetE0EEEvT1_.uses_vcc, 0
	.set _ZN7rocprim17ROCPRIM_400000_NS6detail17trampoline_kernelINS0_14default_configENS1_27scan_by_key_config_selectorIxxEEZZNS1_16scan_by_key_implILNS1_25lookback_scan_determinismE0ELb0ES3_N6thrust23THRUST_200600_302600_NS6detail15normal_iteratorINS9_10device_ptrIxEEEESE_SE_xNS9_10multipliesIxEENS9_8equal_toIxEExEE10hipError_tPvRmT2_T3_T4_T5_mT6_T7_P12ihipStream_tbENKUlT_T0_E_clISt17integral_constantIbLb1EESZ_EEDaSU_SV_EUlSU_E_NS1_11comp_targetILNS1_3genE5ELNS1_11target_archE942ELNS1_3gpuE9ELNS1_3repE0EEENS1_30default_config_static_selectorELNS0_4arch9wavefront6targetE0EEEvT1_.uses_flat_scratch, 0
	.set _ZN7rocprim17ROCPRIM_400000_NS6detail17trampoline_kernelINS0_14default_configENS1_27scan_by_key_config_selectorIxxEEZZNS1_16scan_by_key_implILNS1_25lookback_scan_determinismE0ELb0ES3_N6thrust23THRUST_200600_302600_NS6detail15normal_iteratorINS9_10device_ptrIxEEEESE_SE_xNS9_10multipliesIxEENS9_8equal_toIxEExEE10hipError_tPvRmT2_T3_T4_T5_mT6_T7_P12ihipStream_tbENKUlT_T0_E_clISt17integral_constantIbLb1EESZ_EEDaSU_SV_EUlSU_E_NS1_11comp_targetILNS1_3genE5ELNS1_11target_archE942ELNS1_3gpuE9ELNS1_3repE0EEENS1_30default_config_static_selectorELNS0_4arch9wavefront6targetE0EEEvT1_.has_dyn_sized_stack, 0
	.set _ZN7rocprim17ROCPRIM_400000_NS6detail17trampoline_kernelINS0_14default_configENS1_27scan_by_key_config_selectorIxxEEZZNS1_16scan_by_key_implILNS1_25lookback_scan_determinismE0ELb0ES3_N6thrust23THRUST_200600_302600_NS6detail15normal_iteratorINS9_10device_ptrIxEEEESE_SE_xNS9_10multipliesIxEENS9_8equal_toIxEExEE10hipError_tPvRmT2_T3_T4_T5_mT6_T7_P12ihipStream_tbENKUlT_T0_E_clISt17integral_constantIbLb1EESZ_EEDaSU_SV_EUlSU_E_NS1_11comp_targetILNS1_3genE5ELNS1_11target_archE942ELNS1_3gpuE9ELNS1_3repE0EEENS1_30default_config_static_selectorELNS0_4arch9wavefront6targetE0EEEvT1_.has_recursion, 0
	.set _ZN7rocprim17ROCPRIM_400000_NS6detail17trampoline_kernelINS0_14default_configENS1_27scan_by_key_config_selectorIxxEEZZNS1_16scan_by_key_implILNS1_25lookback_scan_determinismE0ELb0ES3_N6thrust23THRUST_200600_302600_NS6detail15normal_iteratorINS9_10device_ptrIxEEEESE_SE_xNS9_10multipliesIxEENS9_8equal_toIxEExEE10hipError_tPvRmT2_T3_T4_T5_mT6_T7_P12ihipStream_tbENKUlT_T0_E_clISt17integral_constantIbLb1EESZ_EEDaSU_SV_EUlSU_E_NS1_11comp_targetILNS1_3genE5ELNS1_11target_archE942ELNS1_3gpuE9ELNS1_3repE0EEENS1_30default_config_static_selectorELNS0_4arch9wavefront6targetE0EEEvT1_.has_indirect_call, 0
	.section	.AMDGPU.csdata,"",@progbits
; Kernel info:
; codeLenInByte = 0
; TotalNumSgprs: 0
; NumVgprs: 0
; ScratchSize: 0
; MemoryBound: 0
; FloatMode: 240
; IeeeMode: 1
; LDSByteSize: 0 bytes/workgroup (compile time only)
; SGPRBlocks: 0
; VGPRBlocks: 0
; NumSGPRsForWavesPerEU: 1
; NumVGPRsForWavesPerEU: 1
; Occupancy: 16
; WaveLimiterHint : 0
; COMPUTE_PGM_RSRC2:SCRATCH_EN: 0
; COMPUTE_PGM_RSRC2:USER_SGPR: 6
; COMPUTE_PGM_RSRC2:TRAP_HANDLER: 0
; COMPUTE_PGM_RSRC2:TGID_X_EN: 1
; COMPUTE_PGM_RSRC2:TGID_Y_EN: 0
; COMPUTE_PGM_RSRC2:TGID_Z_EN: 0
; COMPUTE_PGM_RSRC2:TIDIG_COMP_CNT: 0
	.section	.text._ZN7rocprim17ROCPRIM_400000_NS6detail17trampoline_kernelINS0_14default_configENS1_27scan_by_key_config_selectorIxxEEZZNS1_16scan_by_key_implILNS1_25lookback_scan_determinismE0ELb0ES3_N6thrust23THRUST_200600_302600_NS6detail15normal_iteratorINS9_10device_ptrIxEEEESE_SE_xNS9_10multipliesIxEENS9_8equal_toIxEExEE10hipError_tPvRmT2_T3_T4_T5_mT6_T7_P12ihipStream_tbENKUlT_T0_E_clISt17integral_constantIbLb1EESZ_EEDaSU_SV_EUlSU_E_NS1_11comp_targetILNS1_3genE4ELNS1_11target_archE910ELNS1_3gpuE8ELNS1_3repE0EEENS1_30default_config_static_selectorELNS0_4arch9wavefront6targetE0EEEvT1_,"axG",@progbits,_ZN7rocprim17ROCPRIM_400000_NS6detail17trampoline_kernelINS0_14default_configENS1_27scan_by_key_config_selectorIxxEEZZNS1_16scan_by_key_implILNS1_25lookback_scan_determinismE0ELb0ES3_N6thrust23THRUST_200600_302600_NS6detail15normal_iteratorINS9_10device_ptrIxEEEESE_SE_xNS9_10multipliesIxEENS9_8equal_toIxEExEE10hipError_tPvRmT2_T3_T4_T5_mT6_T7_P12ihipStream_tbENKUlT_T0_E_clISt17integral_constantIbLb1EESZ_EEDaSU_SV_EUlSU_E_NS1_11comp_targetILNS1_3genE4ELNS1_11target_archE910ELNS1_3gpuE8ELNS1_3repE0EEENS1_30default_config_static_selectorELNS0_4arch9wavefront6targetE0EEEvT1_,comdat
	.protected	_ZN7rocprim17ROCPRIM_400000_NS6detail17trampoline_kernelINS0_14default_configENS1_27scan_by_key_config_selectorIxxEEZZNS1_16scan_by_key_implILNS1_25lookback_scan_determinismE0ELb0ES3_N6thrust23THRUST_200600_302600_NS6detail15normal_iteratorINS9_10device_ptrIxEEEESE_SE_xNS9_10multipliesIxEENS9_8equal_toIxEExEE10hipError_tPvRmT2_T3_T4_T5_mT6_T7_P12ihipStream_tbENKUlT_T0_E_clISt17integral_constantIbLb1EESZ_EEDaSU_SV_EUlSU_E_NS1_11comp_targetILNS1_3genE4ELNS1_11target_archE910ELNS1_3gpuE8ELNS1_3repE0EEENS1_30default_config_static_selectorELNS0_4arch9wavefront6targetE0EEEvT1_ ; -- Begin function _ZN7rocprim17ROCPRIM_400000_NS6detail17trampoline_kernelINS0_14default_configENS1_27scan_by_key_config_selectorIxxEEZZNS1_16scan_by_key_implILNS1_25lookback_scan_determinismE0ELb0ES3_N6thrust23THRUST_200600_302600_NS6detail15normal_iteratorINS9_10device_ptrIxEEEESE_SE_xNS9_10multipliesIxEENS9_8equal_toIxEExEE10hipError_tPvRmT2_T3_T4_T5_mT6_T7_P12ihipStream_tbENKUlT_T0_E_clISt17integral_constantIbLb1EESZ_EEDaSU_SV_EUlSU_E_NS1_11comp_targetILNS1_3genE4ELNS1_11target_archE910ELNS1_3gpuE8ELNS1_3repE0EEENS1_30default_config_static_selectorELNS0_4arch9wavefront6targetE0EEEvT1_
	.globl	_ZN7rocprim17ROCPRIM_400000_NS6detail17trampoline_kernelINS0_14default_configENS1_27scan_by_key_config_selectorIxxEEZZNS1_16scan_by_key_implILNS1_25lookback_scan_determinismE0ELb0ES3_N6thrust23THRUST_200600_302600_NS6detail15normal_iteratorINS9_10device_ptrIxEEEESE_SE_xNS9_10multipliesIxEENS9_8equal_toIxEExEE10hipError_tPvRmT2_T3_T4_T5_mT6_T7_P12ihipStream_tbENKUlT_T0_E_clISt17integral_constantIbLb1EESZ_EEDaSU_SV_EUlSU_E_NS1_11comp_targetILNS1_3genE4ELNS1_11target_archE910ELNS1_3gpuE8ELNS1_3repE0EEENS1_30default_config_static_selectorELNS0_4arch9wavefront6targetE0EEEvT1_
	.p2align	8
	.type	_ZN7rocprim17ROCPRIM_400000_NS6detail17trampoline_kernelINS0_14default_configENS1_27scan_by_key_config_selectorIxxEEZZNS1_16scan_by_key_implILNS1_25lookback_scan_determinismE0ELb0ES3_N6thrust23THRUST_200600_302600_NS6detail15normal_iteratorINS9_10device_ptrIxEEEESE_SE_xNS9_10multipliesIxEENS9_8equal_toIxEExEE10hipError_tPvRmT2_T3_T4_T5_mT6_T7_P12ihipStream_tbENKUlT_T0_E_clISt17integral_constantIbLb1EESZ_EEDaSU_SV_EUlSU_E_NS1_11comp_targetILNS1_3genE4ELNS1_11target_archE910ELNS1_3gpuE8ELNS1_3repE0EEENS1_30default_config_static_selectorELNS0_4arch9wavefront6targetE0EEEvT1_,@function
_ZN7rocprim17ROCPRIM_400000_NS6detail17trampoline_kernelINS0_14default_configENS1_27scan_by_key_config_selectorIxxEEZZNS1_16scan_by_key_implILNS1_25lookback_scan_determinismE0ELb0ES3_N6thrust23THRUST_200600_302600_NS6detail15normal_iteratorINS9_10device_ptrIxEEEESE_SE_xNS9_10multipliesIxEENS9_8equal_toIxEExEE10hipError_tPvRmT2_T3_T4_T5_mT6_T7_P12ihipStream_tbENKUlT_T0_E_clISt17integral_constantIbLb1EESZ_EEDaSU_SV_EUlSU_E_NS1_11comp_targetILNS1_3genE4ELNS1_11target_archE910ELNS1_3gpuE8ELNS1_3repE0EEENS1_30default_config_static_selectorELNS0_4arch9wavefront6targetE0EEEvT1_: ; @_ZN7rocprim17ROCPRIM_400000_NS6detail17trampoline_kernelINS0_14default_configENS1_27scan_by_key_config_selectorIxxEEZZNS1_16scan_by_key_implILNS1_25lookback_scan_determinismE0ELb0ES3_N6thrust23THRUST_200600_302600_NS6detail15normal_iteratorINS9_10device_ptrIxEEEESE_SE_xNS9_10multipliesIxEENS9_8equal_toIxEExEE10hipError_tPvRmT2_T3_T4_T5_mT6_T7_P12ihipStream_tbENKUlT_T0_E_clISt17integral_constantIbLb1EESZ_EEDaSU_SV_EUlSU_E_NS1_11comp_targetILNS1_3genE4ELNS1_11target_archE910ELNS1_3gpuE8ELNS1_3repE0EEENS1_30default_config_static_selectorELNS0_4arch9wavefront6targetE0EEEvT1_
; %bb.0:
	.section	.rodata,"a",@progbits
	.p2align	6, 0x0
	.amdhsa_kernel _ZN7rocprim17ROCPRIM_400000_NS6detail17trampoline_kernelINS0_14default_configENS1_27scan_by_key_config_selectorIxxEEZZNS1_16scan_by_key_implILNS1_25lookback_scan_determinismE0ELb0ES3_N6thrust23THRUST_200600_302600_NS6detail15normal_iteratorINS9_10device_ptrIxEEEESE_SE_xNS9_10multipliesIxEENS9_8equal_toIxEExEE10hipError_tPvRmT2_T3_T4_T5_mT6_T7_P12ihipStream_tbENKUlT_T0_E_clISt17integral_constantIbLb1EESZ_EEDaSU_SV_EUlSU_E_NS1_11comp_targetILNS1_3genE4ELNS1_11target_archE910ELNS1_3gpuE8ELNS1_3repE0EEENS1_30default_config_static_selectorELNS0_4arch9wavefront6targetE0EEEvT1_
		.amdhsa_group_segment_fixed_size 0
		.amdhsa_private_segment_fixed_size 0
		.amdhsa_kernarg_size 136
		.amdhsa_user_sgpr_count 6
		.amdhsa_user_sgpr_private_segment_buffer 1
		.amdhsa_user_sgpr_dispatch_ptr 0
		.amdhsa_user_sgpr_queue_ptr 0
		.amdhsa_user_sgpr_kernarg_segment_ptr 1
		.amdhsa_user_sgpr_dispatch_id 0
		.amdhsa_user_sgpr_flat_scratch_init 0
		.amdhsa_user_sgpr_private_segment_size 0
		.amdhsa_wavefront_size32 1
		.amdhsa_uses_dynamic_stack 0
		.amdhsa_system_sgpr_private_segment_wavefront_offset 0
		.amdhsa_system_sgpr_workgroup_id_x 1
		.amdhsa_system_sgpr_workgroup_id_y 0
		.amdhsa_system_sgpr_workgroup_id_z 0
		.amdhsa_system_sgpr_workgroup_info 0
		.amdhsa_system_vgpr_workitem_id 0
		.amdhsa_next_free_vgpr 1
		.amdhsa_next_free_sgpr 1
		.amdhsa_reserve_vcc 0
		.amdhsa_reserve_flat_scratch 0
		.amdhsa_float_round_mode_32 0
		.amdhsa_float_round_mode_16_64 0
		.amdhsa_float_denorm_mode_32 3
		.amdhsa_float_denorm_mode_16_64 3
		.amdhsa_dx10_clamp 1
		.amdhsa_ieee_mode 1
		.amdhsa_fp16_overflow 0
		.amdhsa_workgroup_processor_mode 1
		.amdhsa_memory_ordered 1
		.amdhsa_forward_progress 1
		.amdhsa_shared_vgpr_count 0
		.amdhsa_exception_fp_ieee_invalid_op 0
		.amdhsa_exception_fp_denorm_src 0
		.amdhsa_exception_fp_ieee_div_zero 0
		.amdhsa_exception_fp_ieee_overflow 0
		.amdhsa_exception_fp_ieee_underflow 0
		.amdhsa_exception_fp_ieee_inexact 0
		.amdhsa_exception_int_div_zero 0
	.end_amdhsa_kernel
	.section	.text._ZN7rocprim17ROCPRIM_400000_NS6detail17trampoline_kernelINS0_14default_configENS1_27scan_by_key_config_selectorIxxEEZZNS1_16scan_by_key_implILNS1_25lookback_scan_determinismE0ELb0ES3_N6thrust23THRUST_200600_302600_NS6detail15normal_iteratorINS9_10device_ptrIxEEEESE_SE_xNS9_10multipliesIxEENS9_8equal_toIxEExEE10hipError_tPvRmT2_T3_T4_T5_mT6_T7_P12ihipStream_tbENKUlT_T0_E_clISt17integral_constantIbLb1EESZ_EEDaSU_SV_EUlSU_E_NS1_11comp_targetILNS1_3genE4ELNS1_11target_archE910ELNS1_3gpuE8ELNS1_3repE0EEENS1_30default_config_static_selectorELNS0_4arch9wavefront6targetE0EEEvT1_,"axG",@progbits,_ZN7rocprim17ROCPRIM_400000_NS6detail17trampoline_kernelINS0_14default_configENS1_27scan_by_key_config_selectorIxxEEZZNS1_16scan_by_key_implILNS1_25lookback_scan_determinismE0ELb0ES3_N6thrust23THRUST_200600_302600_NS6detail15normal_iteratorINS9_10device_ptrIxEEEESE_SE_xNS9_10multipliesIxEENS9_8equal_toIxEExEE10hipError_tPvRmT2_T3_T4_T5_mT6_T7_P12ihipStream_tbENKUlT_T0_E_clISt17integral_constantIbLb1EESZ_EEDaSU_SV_EUlSU_E_NS1_11comp_targetILNS1_3genE4ELNS1_11target_archE910ELNS1_3gpuE8ELNS1_3repE0EEENS1_30default_config_static_selectorELNS0_4arch9wavefront6targetE0EEEvT1_,comdat
.Lfunc_end59:
	.size	_ZN7rocprim17ROCPRIM_400000_NS6detail17trampoline_kernelINS0_14default_configENS1_27scan_by_key_config_selectorIxxEEZZNS1_16scan_by_key_implILNS1_25lookback_scan_determinismE0ELb0ES3_N6thrust23THRUST_200600_302600_NS6detail15normal_iteratorINS9_10device_ptrIxEEEESE_SE_xNS9_10multipliesIxEENS9_8equal_toIxEExEE10hipError_tPvRmT2_T3_T4_T5_mT6_T7_P12ihipStream_tbENKUlT_T0_E_clISt17integral_constantIbLb1EESZ_EEDaSU_SV_EUlSU_E_NS1_11comp_targetILNS1_3genE4ELNS1_11target_archE910ELNS1_3gpuE8ELNS1_3repE0EEENS1_30default_config_static_selectorELNS0_4arch9wavefront6targetE0EEEvT1_, .Lfunc_end59-_ZN7rocprim17ROCPRIM_400000_NS6detail17trampoline_kernelINS0_14default_configENS1_27scan_by_key_config_selectorIxxEEZZNS1_16scan_by_key_implILNS1_25lookback_scan_determinismE0ELb0ES3_N6thrust23THRUST_200600_302600_NS6detail15normal_iteratorINS9_10device_ptrIxEEEESE_SE_xNS9_10multipliesIxEENS9_8equal_toIxEExEE10hipError_tPvRmT2_T3_T4_T5_mT6_T7_P12ihipStream_tbENKUlT_T0_E_clISt17integral_constantIbLb1EESZ_EEDaSU_SV_EUlSU_E_NS1_11comp_targetILNS1_3genE4ELNS1_11target_archE910ELNS1_3gpuE8ELNS1_3repE0EEENS1_30default_config_static_selectorELNS0_4arch9wavefront6targetE0EEEvT1_
                                        ; -- End function
	.set _ZN7rocprim17ROCPRIM_400000_NS6detail17trampoline_kernelINS0_14default_configENS1_27scan_by_key_config_selectorIxxEEZZNS1_16scan_by_key_implILNS1_25lookback_scan_determinismE0ELb0ES3_N6thrust23THRUST_200600_302600_NS6detail15normal_iteratorINS9_10device_ptrIxEEEESE_SE_xNS9_10multipliesIxEENS9_8equal_toIxEExEE10hipError_tPvRmT2_T3_T4_T5_mT6_T7_P12ihipStream_tbENKUlT_T0_E_clISt17integral_constantIbLb1EESZ_EEDaSU_SV_EUlSU_E_NS1_11comp_targetILNS1_3genE4ELNS1_11target_archE910ELNS1_3gpuE8ELNS1_3repE0EEENS1_30default_config_static_selectorELNS0_4arch9wavefront6targetE0EEEvT1_.num_vgpr, 0
	.set _ZN7rocprim17ROCPRIM_400000_NS6detail17trampoline_kernelINS0_14default_configENS1_27scan_by_key_config_selectorIxxEEZZNS1_16scan_by_key_implILNS1_25lookback_scan_determinismE0ELb0ES3_N6thrust23THRUST_200600_302600_NS6detail15normal_iteratorINS9_10device_ptrIxEEEESE_SE_xNS9_10multipliesIxEENS9_8equal_toIxEExEE10hipError_tPvRmT2_T3_T4_T5_mT6_T7_P12ihipStream_tbENKUlT_T0_E_clISt17integral_constantIbLb1EESZ_EEDaSU_SV_EUlSU_E_NS1_11comp_targetILNS1_3genE4ELNS1_11target_archE910ELNS1_3gpuE8ELNS1_3repE0EEENS1_30default_config_static_selectorELNS0_4arch9wavefront6targetE0EEEvT1_.num_agpr, 0
	.set _ZN7rocprim17ROCPRIM_400000_NS6detail17trampoline_kernelINS0_14default_configENS1_27scan_by_key_config_selectorIxxEEZZNS1_16scan_by_key_implILNS1_25lookback_scan_determinismE0ELb0ES3_N6thrust23THRUST_200600_302600_NS6detail15normal_iteratorINS9_10device_ptrIxEEEESE_SE_xNS9_10multipliesIxEENS9_8equal_toIxEExEE10hipError_tPvRmT2_T3_T4_T5_mT6_T7_P12ihipStream_tbENKUlT_T0_E_clISt17integral_constantIbLb1EESZ_EEDaSU_SV_EUlSU_E_NS1_11comp_targetILNS1_3genE4ELNS1_11target_archE910ELNS1_3gpuE8ELNS1_3repE0EEENS1_30default_config_static_selectorELNS0_4arch9wavefront6targetE0EEEvT1_.numbered_sgpr, 0
	.set _ZN7rocprim17ROCPRIM_400000_NS6detail17trampoline_kernelINS0_14default_configENS1_27scan_by_key_config_selectorIxxEEZZNS1_16scan_by_key_implILNS1_25lookback_scan_determinismE0ELb0ES3_N6thrust23THRUST_200600_302600_NS6detail15normal_iteratorINS9_10device_ptrIxEEEESE_SE_xNS9_10multipliesIxEENS9_8equal_toIxEExEE10hipError_tPvRmT2_T3_T4_T5_mT6_T7_P12ihipStream_tbENKUlT_T0_E_clISt17integral_constantIbLb1EESZ_EEDaSU_SV_EUlSU_E_NS1_11comp_targetILNS1_3genE4ELNS1_11target_archE910ELNS1_3gpuE8ELNS1_3repE0EEENS1_30default_config_static_selectorELNS0_4arch9wavefront6targetE0EEEvT1_.num_named_barrier, 0
	.set _ZN7rocprim17ROCPRIM_400000_NS6detail17trampoline_kernelINS0_14default_configENS1_27scan_by_key_config_selectorIxxEEZZNS1_16scan_by_key_implILNS1_25lookback_scan_determinismE0ELb0ES3_N6thrust23THRUST_200600_302600_NS6detail15normal_iteratorINS9_10device_ptrIxEEEESE_SE_xNS9_10multipliesIxEENS9_8equal_toIxEExEE10hipError_tPvRmT2_T3_T4_T5_mT6_T7_P12ihipStream_tbENKUlT_T0_E_clISt17integral_constantIbLb1EESZ_EEDaSU_SV_EUlSU_E_NS1_11comp_targetILNS1_3genE4ELNS1_11target_archE910ELNS1_3gpuE8ELNS1_3repE0EEENS1_30default_config_static_selectorELNS0_4arch9wavefront6targetE0EEEvT1_.private_seg_size, 0
	.set _ZN7rocprim17ROCPRIM_400000_NS6detail17trampoline_kernelINS0_14default_configENS1_27scan_by_key_config_selectorIxxEEZZNS1_16scan_by_key_implILNS1_25lookback_scan_determinismE0ELb0ES3_N6thrust23THRUST_200600_302600_NS6detail15normal_iteratorINS9_10device_ptrIxEEEESE_SE_xNS9_10multipliesIxEENS9_8equal_toIxEExEE10hipError_tPvRmT2_T3_T4_T5_mT6_T7_P12ihipStream_tbENKUlT_T0_E_clISt17integral_constantIbLb1EESZ_EEDaSU_SV_EUlSU_E_NS1_11comp_targetILNS1_3genE4ELNS1_11target_archE910ELNS1_3gpuE8ELNS1_3repE0EEENS1_30default_config_static_selectorELNS0_4arch9wavefront6targetE0EEEvT1_.uses_vcc, 0
	.set _ZN7rocprim17ROCPRIM_400000_NS6detail17trampoline_kernelINS0_14default_configENS1_27scan_by_key_config_selectorIxxEEZZNS1_16scan_by_key_implILNS1_25lookback_scan_determinismE0ELb0ES3_N6thrust23THRUST_200600_302600_NS6detail15normal_iteratorINS9_10device_ptrIxEEEESE_SE_xNS9_10multipliesIxEENS9_8equal_toIxEExEE10hipError_tPvRmT2_T3_T4_T5_mT6_T7_P12ihipStream_tbENKUlT_T0_E_clISt17integral_constantIbLb1EESZ_EEDaSU_SV_EUlSU_E_NS1_11comp_targetILNS1_3genE4ELNS1_11target_archE910ELNS1_3gpuE8ELNS1_3repE0EEENS1_30default_config_static_selectorELNS0_4arch9wavefront6targetE0EEEvT1_.uses_flat_scratch, 0
	.set _ZN7rocprim17ROCPRIM_400000_NS6detail17trampoline_kernelINS0_14default_configENS1_27scan_by_key_config_selectorIxxEEZZNS1_16scan_by_key_implILNS1_25lookback_scan_determinismE0ELb0ES3_N6thrust23THRUST_200600_302600_NS6detail15normal_iteratorINS9_10device_ptrIxEEEESE_SE_xNS9_10multipliesIxEENS9_8equal_toIxEExEE10hipError_tPvRmT2_T3_T4_T5_mT6_T7_P12ihipStream_tbENKUlT_T0_E_clISt17integral_constantIbLb1EESZ_EEDaSU_SV_EUlSU_E_NS1_11comp_targetILNS1_3genE4ELNS1_11target_archE910ELNS1_3gpuE8ELNS1_3repE0EEENS1_30default_config_static_selectorELNS0_4arch9wavefront6targetE0EEEvT1_.has_dyn_sized_stack, 0
	.set _ZN7rocprim17ROCPRIM_400000_NS6detail17trampoline_kernelINS0_14default_configENS1_27scan_by_key_config_selectorIxxEEZZNS1_16scan_by_key_implILNS1_25lookback_scan_determinismE0ELb0ES3_N6thrust23THRUST_200600_302600_NS6detail15normal_iteratorINS9_10device_ptrIxEEEESE_SE_xNS9_10multipliesIxEENS9_8equal_toIxEExEE10hipError_tPvRmT2_T3_T4_T5_mT6_T7_P12ihipStream_tbENKUlT_T0_E_clISt17integral_constantIbLb1EESZ_EEDaSU_SV_EUlSU_E_NS1_11comp_targetILNS1_3genE4ELNS1_11target_archE910ELNS1_3gpuE8ELNS1_3repE0EEENS1_30default_config_static_selectorELNS0_4arch9wavefront6targetE0EEEvT1_.has_recursion, 0
	.set _ZN7rocprim17ROCPRIM_400000_NS6detail17trampoline_kernelINS0_14default_configENS1_27scan_by_key_config_selectorIxxEEZZNS1_16scan_by_key_implILNS1_25lookback_scan_determinismE0ELb0ES3_N6thrust23THRUST_200600_302600_NS6detail15normal_iteratorINS9_10device_ptrIxEEEESE_SE_xNS9_10multipliesIxEENS9_8equal_toIxEExEE10hipError_tPvRmT2_T3_T4_T5_mT6_T7_P12ihipStream_tbENKUlT_T0_E_clISt17integral_constantIbLb1EESZ_EEDaSU_SV_EUlSU_E_NS1_11comp_targetILNS1_3genE4ELNS1_11target_archE910ELNS1_3gpuE8ELNS1_3repE0EEENS1_30default_config_static_selectorELNS0_4arch9wavefront6targetE0EEEvT1_.has_indirect_call, 0
	.section	.AMDGPU.csdata,"",@progbits
; Kernel info:
; codeLenInByte = 0
; TotalNumSgprs: 0
; NumVgprs: 0
; ScratchSize: 0
; MemoryBound: 0
; FloatMode: 240
; IeeeMode: 1
; LDSByteSize: 0 bytes/workgroup (compile time only)
; SGPRBlocks: 0
; VGPRBlocks: 0
; NumSGPRsForWavesPerEU: 1
; NumVGPRsForWavesPerEU: 1
; Occupancy: 16
; WaveLimiterHint : 0
; COMPUTE_PGM_RSRC2:SCRATCH_EN: 0
; COMPUTE_PGM_RSRC2:USER_SGPR: 6
; COMPUTE_PGM_RSRC2:TRAP_HANDLER: 0
; COMPUTE_PGM_RSRC2:TGID_X_EN: 1
; COMPUTE_PGM_RSRC2:TGID_Y_EN: 0
; COMPUTE_PGM_RSRC2:TGID_Z_EN: 0
; COMPUTE_PGM_RSRC2:TIDIG_COMP_CNT: 0
	.section	.text._ZN7rocprim17ROCPRIM_400000_NS6detail17trampoline_kernelINS0_14default_configENS1_27scan_by_key_config_selectorIxxEEZZNS1_16scan_by_key_implILNS1_25lookback_scan_determinismE0ELb0ES3_N6thrust23THRUST_200600_302600_NS6detail15normal_iteratorINS9_10device_ptrIxEEEESE_SE_xNS9_10multipliesIxEENS9_8equal_toIxEExEE10hipError_tPvRmT2_T3_T4_T5_mT6_T7_P12ihipStream_tbENKUlT_T0_E_clISt17integral_constantIbLb1EESZ_EEDaSU_SV_EUlSU_E_NS1_11comp_targetILNS1_3genE3ELNS1_11target_archE908ELNS1_3gpuE7ELNS1_3repE0EEENS1_30default_config_static_selectorELNS0_4arch9wavefront6targetE0EEEvT1_,"axG",@progbits,_ZN7rocprim17ROCPRIM_400000_NS6detail17trampoline_kernelINS0_14default_configENS1_27scan_by_key_config_selectorIxxEEZZNS1_16scan_by_key_implILNS1_25lookback_scan_determinismE0ELb0ES3_N6thrust23THRUST_200600_302600_NS6detail15normal_iteratorINS9_10device_ptrIxEEEESE_SE_xNS9_10multipliesIxEENS9_8equal_toIxEExEE10hipError_tPvRmT2_T3_T4_T5_mT6_T7_P12ihipStream_tbENKUlT_T0_E_clISt17integral_constantIbLb1EESZ_EEDaSU_SV_EUlSU_E_NS1_11comp_targetILNS1_3genE3ELNS1_11target_archE908ELNS1_3gpuE7ELNS1_3repE0EEENS1_30default_config_static_selectorELNS0_4arch9wavefront6targetE0EEEvT1_,comdat
	.protected	_ZN7rocprim17ROCPRIM_400000_NS6detail17trampoline_kernelINS0_14default_configENS1_27scan_by_key_config_selectorIxxEEZZNS1_16scan_by_key_implILNS1_25lookback_scan_determinismE0ELb0ES3_N6thrust23THRUST_200600_302600_NS6detail15normal_iteratorINS9_10device_ptrIxEEEESE_SE_xNS9_10multipliesIxEENS9_8equal_toIxEExEE10hipError_tPvRmT2_T3_T4_T5_mT6_T7_P12ihipStream_tbENKUlT_T0_E_clISt17integral_constantIbLb1EESZ_EEDaSU_SV_EUlSU_E_NS1_11comp_targetILNS1_3genE3ELNS1_11target_archE908ELNS1_3gpuE7ELNS1_3repE0EEENS1_30default_config_static_selectorELNS0_4arch9wavefront6targetE0EEEvT1_ ; -- Begin function _ZN7rocprim17ROCPRIM_400000_NS6detail17trampoline_kernelINS0_14default_configENS1_27scan_by_key_config_selectorIxxEEZZNS1_16scan_by_key_implILNS1_25lookback_scan_determinismE0ELb0ES3_N6thrust23THRUST_200600_302600_NS6detail15normal_iteratorINS9_10device_ptrIxEEEESE_SE_xNS9_10multipliesIxEENS9_8equal_toIxEExEE10hipError_tPvRmT2_T3_T4_T5_mT6_T7_P12ihipStream_tbENKUlT_T0_E_clISt17integral_constantIbLb1EESZ_EEDaSU_SV_EUlSU_E_NS1_11comp_targetILNS1_3genE3ELNS1_11target_archE908ELNS1_3gpuE7ELNS1_3repE0EEENS1_30default_config_static_selectorELNS0_4arch9wavefront6targetE0EEEvT1_
	.globl	_ZN7rocprim17ROCPRIM_400000_NS6detail17trampoline_kernelINS0_14default_configENS1_27scan_by_key_config_selectorIxxEEZZNS1_16scan_by_key_implILNS1_25lookback_scan_determinismE0ELb0ES3_N6thrust23THRUST_200600_302600_NS6detail15normal_iteratorINS9_10device_ptrIxEEEESE_SE_xNS9_10multipliesIxEENS9_8equal_toIxEExEE10hipError_tPvRmT2_T3_T4_T5_mT6_T7_P12ihipStream_tbENKUlT_T0_E_clISt17integral_constantIbLb1EESZ_EEDaSU_SV_EUlSU_E_NS1_11comp_targetILNS1_3genE3ELNS1_11target_archE908ELNS1_3gpuE7ELNS1_3repE0EEENS1_30default_config_static_selectorELNS0_4arch9wavefront6targetE0EEEvT1_
	.p2align	8
	.type	_ZN7rocprim17ROCPRIM_400000_NS6detail17trampoline_kernelINS0_14default_configENS1_27scan_by_key_config_selectorIxxEEZZNS1_16scan_by_key_implILNS1_25lookback_scan_determinismE0ELb0ES3_N6thrust23THRUST_200600_302600_NS6detail15normal_iteratorINS9_10device_ptrIxEEEESE_SE_xNS9_10multipliesIxEENS9_8equal_toIxEExEE10hipError_tPvRmT2_T3_T4_T5_mT6_T7_P12ihipStream_tbENKUlT_T0_E_clISt17integral_constantIbLb1EESZ_EEDaSU_SV_EUlSU_E_NS1_11comp_targetILNS1_3genE3ELNS1_11target_archE908ELNS1_3gpuE7ELNS1_3repE0EEENS1_30default_config_static_selectorELNS0_4arch9wavefront6targetE0EEEvT1_,@function
_ZN7rocprim17ROCPRIM_400000_NS6detail17trampoline_kernelINS0_14default_configENS1_27scan_by_key_config_selectorIxxEEZZNS1_16scan_by_key_implILNS1_25lookback_scan_determinismE0ELb0ES3_N6thrust23THRUST_200600_302600_NS6detail15normal_iteratorINS9_10device_ptrIxEEEESE_SE_xNS9_10multipliesIxEENS9_8equal_toIxEExEE10hipError_tPvRmT2_T3_T4_T5_mT6_T7_P12ihipStream_tbENKUlT_T0_E_clISt17integral_constantIbLb1EESZ_EEDaSU_SV_EUlSU_E_NS1_11comp_targetILNS1_3genE3ELNS1_11target_archE908ELNS1_3gpuE7ELNS1_3repE0EEENS1_30default_config_static_selectorELNS0_4arch9wavefront6targetE0EEEvT1_: ; @_ZN7rocprim17ROCPRIM_400000_NS6detail17trampoline_kernelINS0_14default_configENS1_27scan_by_key_config_selectorIxxEEZZNS1_16scan_by_key_implILNS1_25lookback_scan_determinismE0ELb0ES3_N6thrust23THRUST_200600_302600_NS6detail15normal_iteratorINS9_10device_ptrIxEEEESE_SE_xNS9_10multipliesIxEENS9_8equal_toIxEExEE10hipError_tPvRmT2_T3_T4_T5_mT6_T7_P12ihipStream_tbENKUlT_T0_E_clISt17integral_constantIbLb1EESZ_EEDaSU_SV_EUlSU_E_NS1_11comp_targetILNS1_3genE3ELNS1_11target_archE908ELNS1_3gpuE7ELNS1_3repE0EEENS1_30default_config_static_selectorELNS0_4arch9wavefront6targetE0EEEvT1_
; %bb.0:
	.section	.rodata,"a",@progbits
	.p2align	6, 0x0
	.amdhsa_kernel _ZN7rocprim17ROCPRIM_400000_NS6detail17trampoline_kernelINS0_14default_configENS1_27scan_by_key_config_selectorIxxEEZZNS1_16scan_by_key_implILNS1_25lookback_scan_determinismE0ELb0ES3_N6thrust23THRUST_200600_302600_NS6detail15normal_iteratorINS9_10device_ptrIxEEEESE_SE_xNS9_10multipliesIxEENS9_8equal_toIxEExEE10hipError_tPvRmT2_T3_T4_T5_mT6_T7_P12ihipStream_tbENKUlT_T0_E_clISt17integral_constantIbLb1EESZ_EEDaSU_SV_EUlSU_E_NS1_11comp_targetILNS1_3genE3ELNS1_11target_archE908ELNS1_3gpuE7ELNS1_3repE0EEENS1_30default_config_static_selectorELNS0_4arch9wavefront6targetE0EEEvT1_
		.amdhsa_group_segment_fixed_size 0
		.amdhsa_private_segment_fixed_size 0
		.amdhsa_kernarg_size 136
		.amdhsa_user_sgpr_count 6
		.amdhsa_user_sgpr_private_segment_buffer 1
		.amdhsa_user_sgpr_dispatch_ptr 0
		.amdhsa_user_sgpr_queue_ptr 0
		.amdhsa_user_sgpr_kernarg_segment_ptr 1
		.amdhsa_user_sgpr_dispatch_id 0
		.amdhsa_user_sgpr_flat_scratch_init 0
		.amdhsa_user_sgpr_private_segment_size 0
		.amdhsa_wavefront_size32 1
		.amdhsa_uses_dynamic_stack 0
		.amdhsa_system_sgpr_private_segment_wavefront_offset 0
		.amdhsa_system_sgpr_workgroup_id_x 1
		.amdhsa_system_sgpr_workgroup_id_y 0
		.amdhsa_system_sgpr_workgroup_id_z 0
		.amdhsa_system_sgpr_workgroup_info 0
		.amdhsa_system_vgpr_workitem_id 0
		.amdhsa_next_free_vgpr 1
		.amdhsa_next_free_sgpr 1
		.amdhsa_reserve_vcc 0
		.amdhsa_reserve_flat_scratch 0
		.amdhsa_float_round_mode_32 0
		.amdhsa_float_round_mode_16_64 0
		.amdhsa_float_denorm_mode_32 3
		.amdhsa_float_denorm_mode_16_64 3
		.amdhsa_dx10_clamp 1
		.amdhsa_ieee_mode 1
		.amdhsa_fp16_overflow 0
		.amdhsa_workgroup_processor_mode 1
		.amdhsa_memory_ordered 1
		.amdhsa_forward_progress 1
		.amdhsa_shared_vgpr_count 0
		.amdhsa_exception_fp_ieee_invalid_op 0
		.amdhsa_exception_fp_denorm_src 0
		.amdhsa_exception_fp_ieee_div_zero 0
		.amdhsa_exception_fp_ieee_overflow 0
		.amdhsa_exception_fp_ieee_underflow 0
		.amdhsa_exception_fp_ieee_inexact 0
		.amdhsa_exception_int_div_zero 0
	.end_amdhsa_kernel
	.section	.text._ZN7rocprim17ROCPRIM_400000_NS6detail17trampoline_kernelINS0_14default_configENS1_27scan_by_key_config_selectorIxxEEZZNS1_16scan_by_key_implILNS1_25lookback_scan_determinismE0ELb0ES3_N6thrust23THRUST_200600_302600_NS6detail15normal_iteratorINS9_10device_ptrIxEEEESE_SE_xNS9_10multipliesIxEENS9_8equal_toIxEExEE10hipError_tPvRmT2_T3_T4_T5_mT6_T7_P12ihipStream_tbENKUlT_T0_E_clISt17integral_constantIbLb1EESZ_EEDaSU_SV_EUlSU_E_NS1_11comp_targetILNS1_3genE3ELNS1_11target_archE908ELNS1_3gpuE7ELNS1_3repE0EEENS1_30default_config_static_selectorELNS0_4arch9wavefront6targetE0EEEvT1_,"axG",@progbits,_ZN7rocprim17ROCPRIM_400000_NS6detail17trampoline_kernelINS0_14default_configENS1_27scan_by_key_config_selectorIxxEEZZNS1_16scan_by_key_implILNS1_25lookback_scan_determinismE0ELb0ES3_N6thrust23THRUST_200600_302600_NS6detail15normal_iteratorINS9_10device_ptrIxEEEESE_SE_xNS9_10multipliesIxEENS9_8equal_toIxEExEE10hipError_tPvRmT2_T3_T4_T5_mT6_T7_P12ihipStream_tbENKUlT_T0_E_clISt17integral_constantIbLb1EESZ_EEDaSU_SV_EUlSU_E_NS1_11comp_targetILNS1_3genE3ELNS1_11target_archE908ELNS1_3gpuE7ELNS1_3repE0EEENS1_30default_config_static_selectorELNS0_4arch9wavefront6targetE0EEEvT1_,comdat
.Lfunc_end60:
	.size	_ZN7rocprim17ROCPRIM_400000_NS6detail17trampoline_kernelINS0_14default_configENS1_27scan_by_key_config_selectorIxxEEZZNS1_16scan_by_key_implILNS1_25lookback_scan_determinismE0ELb0ES3_N6thrust23THRUST_200600_302600_NS6detail15normal_iteratorINS9_10device_ptrIxEEEESE_SE_xNS9_10multipliesIxEENS9_8equal_toIxEExEE10hipError_tPvRmT2_T3_T4_T5_mT6_T7_P12ihipStream_tbENKUlT_T0_E_clISt17integral_constantIbLb1EESZ_EEDaSU_SV_EUlSU_E_NS1_11comp_targetILNS1_3genE3ELNS1_11target_archE908ELNS1_3gpuE7ELNS1_3repE0EEENS1_30default_config_static_selectorELNS0_4arch9wavefront6targetE0EEEvT1_, .Lfunc_end60-_ZN7rocprim17ROCPRIM_400000_NS6detail17trampoline_kernelINS0_14default_configENS1_27scan_by_key_config_selectorIxxEEZZNS1_16scan_by_key_implILNS1_25lookback_scan_determinismE0ELb0ES3_N6thrust23THRUST_200600_302600_NS6detail15normal_iteratorINS9_10device_ptrIxEEEESE_SE_xNS9_10multipliesIxEENS9_8equal_toIxEExEE10hipError_tPvRmT2_T3_T4_T5_mT6_T7_P12ihipStream_tbENKUlT_T0_E_clISt17integral_constantIbLb1EESZ_EEDaSU_SV_EUlSU_E_NS1_11comp_targetILNS1_3genE3ELNS1_11target_archE908ELNS1_3gpuE7ELNS1_3repE0EEENS1_30default_config_static_selectorELNS0_4arch9wavefront6targetE0EEEvT1_
                                        ; -- End function
	.set _ZN7rocprim17ROCPRIM_400000_NS6detail17trampoline_kernelINS0_14default_configENS1_27scan_by_key_config_selectorIxxEEZZNS1_16scan_by_key_implILNS1_25lookback_scan_determinismE0ELb0ES3_N6thrust23THRUST_200600_302600_NS6detail15normal_iteratorINS9_10device_ptrIxEEEESE_SE_xNS9_10multipliesIxEENS9_8equal_toIxEExEE10hipError_tPvRmT2_T3_T4_T5_mT6_T7_P12ihipStream_tbENKUlT_T0_E_clISt17integral_constantIbLb1EESZ_EEDaSU_SV_EUlSU_E_NS1_11comp_targetILNS1_3genE3ELNS1_11target_archE908ELNS1_3gpuE7ELNS1_3repE0EEENS1_30default_config_static_selectorELNS0_4arch9wavefront6targetE0EEEvT1_.num_vgpr, 0
	.set _ZN7rocprim17ROCPRIM_400000_NS6detail17trampoline_kernelINS0_14default_configENS1_27scan_by_key_config_selectorIxxEEZZNS1_16scan_by_key_implILNS1_25lookback_scan_determinismE0ELb0ES3_N6thrust23THRUST_200600_302600_NS6detail15normal_iteratorINS9_10device_ptrIxEEEESE_SE_xNS9_10multipliesIxEENS9_8equal_toIxEExEE10hipError_tPvRmT2_T3_T4_T5_mT6_T7_P12ihipStream_tbENKUlT_T0_E_clISt17integral_constantIbLb1EESZ_EEDaSU_SV_EUlSU_E_NS1_11comp_targetILNS1_3genE3ELNS1_11target_archE908ELNS1_3gpuE7ELNS1_3repE0EEENS1_30default_config_static_selectorELNS0_4arch9wavefront6targetE0EEEvT1_.num_agpr, 0
	.set _ZN7rocprim17ROCPRIM_400000_NS6detail17trampoline_kernelINS0_14default_configENS1_27scan_by_key_config_selectorIxxEEZZNS1_16scan_by_key_implILNS1_25lookback_scan_determinismE0ELb0ES3_N6thrust23THRUST_200600_302600_NS6detail15normal_iteratorINS9_10device_ptrIxEEEESE_SE_xNS9_10multipliesIxEENS9_8equal_toIxEExEE10hipError_tPvRmT2_T3_T4_T5_mT6_T7_P12ihipStream_tbENKUlT_T0_E_clISt17integral_constantIbLb1EESZ_EEDaSU_SV_EUlSU_E_NS1_11comp_targetILNS1_3genE3ELNS1_11target_archE908ELNS1_3gpuE7ELNS1_3repE0EEENS1_30default_config_static_selectorELNS0_4arch9wavefront6targetE0EEEvT1_.numbered_sgpr, 0
	.set _ZN7rocprim17ROCPRIM_400000_NS6detail17trampoline_kernelINS0_14default_configENS1_27scan_by_key_config_selectorIxxEEZZNS1_16scan_by_key_implILNS1_25lookback_scan_determinismE0ELb0ES3_N6thrust23THRUST_200600_302600_NS6detail15normal_iteratorINS9_10device_ptrIxEEEESE_SE_xNS9_10multipliesIxEENS9_8equal_toIxEExEE10hipError_tPvRmT2_T3_T4_T5_mT6_T7_P12ihipStream_tbENKUlT_T0_E_clISt17integral_constantIbLb1EESZ_EEDaSU_SV_EUlSU_E_NS1_11comp_targetILNS1_3genE3ELNS1_11target_archE908ELNS1_3gpuE7ELNS1_3repE0EEENS1_30default_config_static_selectorELNS0_4arch9wavefront6targetE0EEEvT1_.num_named_barrier, 0
	.set _ZN7rocprim17ROCPRIM_400000_NS6detail17trampoline_kernelINS0_14default_configENS1_27scan_by_key_config_selectorIxxEEZZNS1_16scan_by_key_implILNS1_25lookback_scan_determinismE0ELb0ES3_N6thrust23THRUST_200600_302600_NS6detail15normal_iteratorINS9_10device_ptrIxEEEESE_SE_xNS9_10multipliesIxEENS9_8equal_toIxEExEE10hipError_tPvRmT2_T3_T4_T5_mT6_T7_P12ihipStream_tbENKUlT_T0_E_clISt17integral_constantIbLb1EESZ_EEDaSU_SV_EUlSU_E_NS1_11comp_targetILNS1_3genE3ELNS1_11target_archE908ELNS1_3gpuE7ELNS1_3repE0EEENS1_30default_config_static_selectorELNS0_4arch9wavefront6targetE0EEEvT1_.private_seg_size, 0
	.set _ZN7rocprim17ROCPRIM_400000_NS6detail17trampoline_kernelINS0_14default_configENS1_27scan_by_key_config_selectorIxxEEZZNS1_16scan_by_key_implILNS1_25lookback_scan_determinismE0ELb0ES3_N6thrust23THRUST_200600_302600_NS6detail15normal_iteratorINS9_10device_ptrIxEEEESE_SE_xNS9_10multipliesIxEENS9_8equal_toIxEExEE10hipError_tPvRmT2_T3_T4_T5_mT6_T7_P12ihipStream_tbENKUlT_T0_E_clISt17integral_constantIbLb1EESZ_EEDaSU_SV_EUlSU_E_NS1_11comp_targetILNS1_3genE3ELNS1_11target_archE908ELNS1_3gpuE7ELNS1_3repE0EEENS1_30default_config_static_selectorELNS0_4arch9wavefront6targetE0EEEvT1_.uses_vcc, 0
	.set _ZN7rocprim17ROCPRIM_400000_NS6detail17trampoline_kernelINS0_14default_configENS1_27scan_by_key_config_selectorIxxEEZZNS1_16scan_by_key_implILNS1_25lookback_scan_determinismE0ELb0ES3_N6thrust23THRUST_200600_302600_NS6detail15normal_iteratorINS9_10device_ptrIxEEEESE_SE_xNS9_10multipliesIxEENS9_8equal_toIxEExEE10hipError_tPvRmT2_T3_T4_T5_mT6_T7_P12ihipStream_tbENKUlT_T0_E_clISt17integral_constantIbLb1EESZ_EEDaSU_SV_EUlSU_E_NS1_11comp_targetILNS1_3genE3ELNS1_11target_archE908ELNS1_3gpuE7ELNS1_3repE0EEENS1_30default_config_static_selectorELNS0_4arch9wavefront6targetE0EEEvT1_.uses_flat_scratch, 0
	.set _ZN7rocprim17ROCPRIM_400000_NS6detail17trampoline_kernelINS0_14default_configENS1_27scan_by_key_config_selectorIxxEEZZNS1_16scan_by_key_implILNS1_25lookback_scan_determinismE0ELb0ES3_N6thrust23THRUST_200600_302600_NS6detail15normal_iteratorINS9_10device_ptrIxEEEESE_SE_xNS9_10multipliesIxEENS9_8equal_toIxEExEE10hipError_tPvRmT2_T3_T4_T5_mT6_T7_P12ihipStream_tbENKUlT_T0_E_clISt17integral_constantIbLb1EESZ_EEDaSU_SV_EUlSU_E_NS1_11comp_targetILNS1_3genE3ELNS1_11target_archE908ELNS1_3gpuE7ELNS1_3repE0EEENS1_30default_config_static_selectorELNS0_4arch9wavefront6targetE0EEEvT1_.has_dyn_sized_stack, 0
	.set _ZN7rocprim17ROCPRIM_400000_NS6detail17trampoline_kernelINS0_14default_configENS1_27scan_by_key_config_selectorIxxEEZZNS1_16scan_by_key_implILNS1_25lookback_scan_determinismE0ELb0ES3_N6thrust23THRUST_200600_302600_NS6detail15normal_iteratorINS9_10device_ptrIxEEEESE_SE_xNS9_10multipliesIxEENS9_8equal_toIxEExEE10hipError_tPvRmT2_T3_T4_T5_mT6_T7_P12ihipStream_tbENKUlT_T0_E_clISt17integral_constantIbLb1EESZ_EEDaSU_SV_EUlSU_E_NS1_11comp_targetILNS1_3genE3ELNS1_11target_archE908ELNS1_3gpuE7ELNS1_3repE0EEENS1_30default_config_static_selectorELNS0_4arch9wavefront6targetE0EEEvT1_.has_recursion, 0
	.set _ZN7rocprim17ROCPRIM_400000_NS6detail17trampoline_kernelINS0_14default_configENS1_27scan_by_key_config_selectorIxxEEZZNS1_16scan_by_key_implILNS1_25lookback_scan_determinismE0ELb0ES3_N6thrust23THRUST_200600_302600_NS6detail15normal_iteratorINS9_10device_ptrIxEEEESE_SE_xNS9_10multipliesIxEENS9_8equal_toIxEExEE10hipError_tPvRmT2_T3_T4_T5_mT6_T7_P12ihipStream_tbENKUlT_T0_E_clISt17integral_constantIbLb1EESZ_EEDaSU_SV_EUlSU_E_NS1_11comp_targetILNS1_3genE3ELNS1_11target_archE908ELNS1_3gpuE7ELNS1_3repE0EEENS1_30default_config_static_selectorELNS0_4arch9wavefront6targetE0EEEvT1_.has_indirect_call, 0
	.section	.AMDGPU.csdata,"",@progbits
; Kernel info:
; codeLenInByte = 0
; TotalNumSgprs: 0
; NumVgprs: 0
; ScratchSize: 0
; MemoryBound: 0
; FloatMode: 240
; IeeeMode: 1
; LDSByteSize: 0 bytes/workgroup (compile time only)
; SGPRBlocks: 0
; VGPRBlocks: 0
; NumSGPRsForWavesPerEU: 1
; NumVGPRsForWavesPerEU: 1
; Occupancy: 16
; WaveLimiterHint : 0
; COMPUTE_PGM_RSRC2:SCRATCH_EN: 0
; COMPUTE_PGM_RSRC2:USER_SGPR: 6
; COMPUTE_PGM_RSRC2:TRAP_HANDLER: 0
; COMPUTE_PGM_RSRC2:TGID_X_EN: 1
; COMPUTE_PGM_RSRC2:TGID_Y_EN: 0
; COMPUTE_PGM_RSRC2:TGID_Z_EN: 0
; COMPUTE_PGM_RSRC2:TIDIG_COMP_CNT: 0
	.section	.text._ZN7rocprim17ROCPRIM_400000_NS6detail17trampoline_kernelINS0_14default_configENS1_27scan_by_key_config_selectorIxxEEZZNS1_16scan_by_key_implILNS1_25lookback_scan_determinismE0ELb0ES3_N6thrust23THRUST_200600_302600_NS6detail15normal_iteratorINS9_10device_ptrIxEEEESE_SE_xNS9_10multipliesIxEENS9_8equal_toIxEExEE10hipError_tPvRmT2_T3_T4_T5_mT6_T7_P12ihipStream_tbENKUlT_T0_E_clISt17integral_constantIbLb1EESZ_EEDaSU_SV_EUlSU_E_NS1_11comp_targetILNS1_3genE2ELNS1_11target_archE906ELNS1_3gpuE6ELNS1_3repE0EEENS1_30default_config_static_selectorELNS0_4arch9wavefront6targetE0EEEvT1_,"axG",@progbits,_ZN7rocprim17ROCPRIM_400000_NS6detail17trampoline_kernelINS0_14default_configENS1_27scan_by_key_config_selectorIxxEEZZNS1_16scan_by_key_implILNS1_25lookback_scan_determinismE0ELb0ES3_N6thrust23THRUST_200600_302600_NS6detail15normal_iteratorINS9_10device_ptrIxEEEESE_SE_xNS9_10multipliesIxEENS9_8equal_toIxEExEE10hipError_tPvRmT2_T3_T4_T5_mT6_T7_P12ihipStream_tbENKUlT_T0_E_clISt17integral_constantIbLb1EESZ_EEDaSU_SV_EUlSU_E_NS1_11comp_targetILNS1_3genE2ELNS1_11target_archE906ELNS1_3gpuE6ELNS1_3repE0EEENS1_30default_config_static_selectorELNS0_4arch9wavefront6targetE0EEEvT1_,comdat
	.protected	_ZN7rocprim17ROCPRIM_400000_NS6detail17trampoline_kernelINS0_14default_configENS1_27scan_by_key_config_selectorIxxEEZZNS1_16scan_by_key_implILNS1_25lookback_scan_determinismE0ELb0ES3_N6thrust23THRUST_200600_302600_NS6detail15normal_iteratorINS9_10device_ptrIxEEEESE_SE_xNS9_10multipliesIxEENS9_8equal_toIxEExEE10hipError_tPvRmT2_T3_T4_T5_mT6_T7_P12ihipStream_tbENKUlT_T0_E_clISt17integral_constantIbLb1EESZ_EEDaSU_SV_EUlSU_E_NS1_11comp_targetILNS1_3genE2ELNS1_11target_archE906ELNS1_3gpuE6ELNS1_3repE0EEENS1_30default_config_static_selectorELNS0_4arch9wavefront6targetE0EEEvT1_ ; -- Begin function _ZN7rocprim17ROCPRIM_400000_NS6detail17trampoline_kernelINS0_14default_configENS1_27scan_by_key_config_selectorIxxEEZZNS1_16scan_by_key_implILNS1_25lookback_scan_determinismE0ELb0ES3_N6thrust23THRUST_200600_302600_NS6detail15normal_iteratorINS9_10device_ptrIxEEEESE_SE_xNS9_10multipliesIxEENS9_8equal_toIxEExEE10hipError_tPvRmT2_T3_T4_T5_mT6_T7_P12ihipStream_tbENKUlT_T0_E_clISt17integral_constantIbLb1EESZ_EEDaSU_SV_EUlSU_E_NS1_11comp_targetILNS1_3genE2ELNS1_11target_archE906ELNS1_3gpuE6ELNS1_3repE0EEENS1_30default_config_static_selectorELNS0_4arch9wavefront6targetE0EEEvT1_
	.globl	_ZN7rocprim17ROCPRIM_400000_NS6detail17trampoline_kernelINS0_14default_configENS1_27scan_by_key_config_selectorIxxEEZZNS1_16scan_by_key_implILNS1_25lookback_scan_determinismE0ELb0ES3_N6thrust23THRUST_200600_302600_NS6detail15normal_iteratorINS9_10device_ptrIxEEEESE_SE_xNS9_10multipliesIxEENS9_8equal_toIxEExEE10hipError_tPvRmT2_T3_T4_T5_mT6_T7_P12ihipStream_tbENKUlT_T0_E_clISt17integral_constantIbLb1EESZ_EEDaSU_SV_EUlSU_E_NS1_11comp_targetILNS1_3genE2ELNS1_11target_archE906ELNS1_3gpuE6ELNS1_3repE0EEENS1_30default_config_static_selectorELNS0_4arch9wavefront6targetE0EEEvT1_
	.p2align	8
	.type	_ZN7rocprim17ROCPRIM_400000_NS6detail17trampoline_kernelINS0_14default_configENS1_27scan_by_key_config_selectorIxxEEZZNS1_16scan_by_key_implILNS1_25lookback_scan_determinismE0ELb0ES3_N6thrust23THRUST_200600_302600_NS6detail15normal_iteratorINS9_10device_ptrIxEEEESE_SE_xNS9_10multipliesIxEENS9_8equal_toIxEExEE10hipError_tPvRmT2_T3_T4_T5_mT6_T7_P12ihipStream_tbENKUlT_T0_E_clISt17integral_constantIbLb1EESZ_EEDaSU_SV_EUlSU_E_NS1_11comp_targetILNS1_3genE2ELNS1_11target_archE906ELNS1_3gpuE6ELNS1_3repE0EEENS1_30default_config_static_selectorELNS0_4arch9wavefront6targetE0EEEvT1_,@function
_ZN7rocprim17ROCPRIM_400000_NS6detail17trampoline_kernelINS0_14default_configENS1_27scan_by_key_config_selectorIxxEEZZNS1_16scan_by_key_implILNS1_25lookback_scan_determinismE0ELb0ES3_N6thrust23THRUST_200600_302600_NS6detail15normal_iteratorINS9_10device_ptrIxEEEESE_SE_xNS9_10multipliesIxEENS9_8equal_toIxEExEE10hipError_tPvRmT2_T3_T4_T5_mT6_T7_P12ihipStream_tbENKUlT_T0_E_clISt17integral_constantIbLb1EESZ_EEDaSU_SV_EUlSU_E_NS1_11comp_targetILNS1_3genE2ELNS1_11target_archE906ELNS1_3gpuE6ELNS1_3repE0EEENS1_30default_config_static_selectorELNS0_4arch9wavefront6targetE0EEEvT1_: ; @_ZN7rocprim17ROCPRIM_400000_NS6detail17trampoline_kernelINS0_14default_configENS1_27scan_by_key_config_selectorIxxEEZZNS1_16scan_by_key_implILNS1_25lookback_scan_determinismE0ELb0ES3_N6thrust23THRUST_200600_302600_NS6detail15normal_iteratorINS9_10device_ptrIxEEEESE_SE_xNS9_10multipliesIxEENS9_8equal_toIxEExEE10hipError_tPvRmT2_T3_T4_T5_mT6_T7_P12ihipStream_tbENKUlT_T0_E_clISt17integral_constantIbLb1EESZ_EEDaSU_SV_EUlSU_E_NS1_11comp_targetILNS1_3genE2ELNS1_11target_archE906ELNS1_3gpuE6ELNS1_3repE0EEENS1_30default_config_static_selectorELNS0_4arch9wavefront6targetE0EEEvT1_
; %bb.0:
	.section	.rodata,"a",@progbits
	.p2align	6, 0x0
	.amdhsa_kernel _ZN7rocprim17ROCPRIM_400000_NS6detail17trampoline_kernelINS0_14default_configENS1_27scan_by_key_config_selectorIxxEEZZNS1_16scan_by_key_implILNS1_25lookback_scan_determinismE0ELb0ES3_N6thrust23THRUST_200600_302600_NS6detail15normal_iteratorINS9_10device_ptrIxEEEESE_SE_xNS9_10multipliesIxEENS9_8equal_toIxEExEE10hipError_tPvRmT2_T3_T4_T5_mT6_T7_P12ihipStream_tbENKUlT_T0_E_clISt17integral_constantIbLb1EESZ_EEDaSU_SV_EUlSU_E_NS1_11comp_targetILNS1_3genE2ELNS1_11target_archE906ELNS1_3gpuE6ELNS1_3repE0EEENS1_30default_config_static_selectorELNS0_4arch9wavefront6targetE0EEEvT1_
		.amdhsa_group_segment_fixed_size 0
		.amdhsa_private_segment_fixed_size 0
		.amdhsa_kernarg_size 136
		.amdhsa_user_sgpr_count 6
		.amdhsa_user_sgpr_private_segment_buffer 1
		.amdhsa_user_sgpr_dispatch_ptr 0
		.amdhsa_user_sgpr_queue_ptr 0
		.amdhsa_user_sgpr_kernarg_segment_ptr 1
		.amdhsa_user_sgpr_dispatch_id 0
		.amdhsa_user_sgpr_flat_scratch_init 0
		.amdhsa_user_sgpr_private_segment_size 0
		.amdhsa_wavefront_size32 1
		.amdhsa_uses_dynamic_stack 0
		.amdhsa_system_sgpr_private_segment_wavefront_offset 0
		.amdhsa_system_sgpr_workgroup_id_x 1
		.amdhsa_system_sgpr_workgroup_id_y 0
		.amdhsa_system_sgpr_workgroup_id_z 0
		.amdhsa_system_sgpr_workgroup_info 0
		.amdhsa_system_vgpr_workitem_id 0
		.amdhsa_next_free_vgpr 1
		.amdhsa_next_free_sgpr 1
		.amdhsa_reserve_vcc 0
		.amdhsa_reserve_flat_scratch 0
		.amdhsa_float_round_mode_32 0
		.amdhsa_float_round_mode_16_64 0
		.amdhsa_float_denorm_mode_32 3
		.amdhsa_float_denorm_mode_16_64 3
		.amdhsa_dx10_clamp 1
		.amdhsa_ieee_mode 1
		.amdhsa_fp16_overflow 0
		.amdhsa_workgroup_processor_mode 1
		.amdhsa_memory_ordered 1
		.amdhsa_forward_progress 1
		.amdhsa_shared_vgpr_count 0
		.amdhsa_exception_fp_ieee_invalid_op 0
		.amdhsa_exception_fp_denorm_src 0
		.amdhsa_exception_fp_ieee_div_zero 0
		.amdhsa_exception_fp_ieee_overflow 0
		.amdhsa_exception_fp_ieee_underflow 0
		.amdhsa_exception_fp_ieee_inexact 0
		.amdhsa_exception_int_div_zero 0
	.end_amdhsa_kernel
	.section	.text._ZN7rocprim17ROCPRIM_400000_NS6detail17trampoline_kernelINS0_14default_configENS1_27scan_by_key_config_selectorIxxEEZZNS1_16scan_by_key_implILNS1_25lookback_scan_determinismE0ELb0ES3_N6thrust23THRUST_200600_302600_NS6detail15normal_iteratorINS9_10device_ptrIxEEEESE_SE_xNS9_10multipliesIxEENS9_8equal_toIxEExEE10hipError_tPvRmT2_T3_T4_T5_mT6_T7_P12ihipStream_tbENKUlT_T0_E_clISt17integral_constantIbLb1EESZ_EEDaSU_SV_EUlSU_E_NS1_11comp_targetILNS1_3genE2ELNS1_11target_archE906ELNS1_3gpuE6ELNS1_3repE0EEENS1_30default_config_static_selectorELNS0_4arch9wavefront6targetE0EEEvT1_,"axG",@progbits,_ZN7rocprim17ROCPRIM_400000_NS6detail17trampoline_kernelINS0_14default_configENS1_27scan_by_key_config_selectorIxxEEZZNS1_16scan_by_key_implILNS1_25lookback_scan_determinismE0ELb0ES3_N6thrust23THRUST_200600_302600_NS6detail15normal_iteratorINS9_10device_ptrIxEEEESE_SE_xNS9_10multipliesIxEENS9_8equal_toIxEExEE10hipError_tPvRmT2_T3_T4_T5_mT6_T7_P12ihipStream_tbENKUlT_T0_E_clISt17integral_constantIbLb1EESZ_EEDaSU_SV_EUlSU_E_NS1_11comp_targetILNS1_3genE2ELNS1_11target_archE906ELNS1_3gpuE6ELNS1_3repE0EEENS1_30default_config_static_selectorELNS0_4arch9wavefront6targetE0EEEvT1_,comdat
.Lfunc_end61:
	.size	_ZN7rocprim17ROCPRIM_400000_NS6detail17trampoline_kernelINS0_14default_configENS1_27scan_by_key_config_selectorIxxEEZZNS1_16scan_by_key_implILNS1_25lookback_scan_determinismE0ELb0ES3_N6thrust23THRUST_200600_302600_NS6detail15normal_iteratorINS9_10device_ptrIxEEEESE_SE_xNS9_10multipliesIxEENS9_8equal_toIxEExEE10hipError_tPvRmT2_T3_T4_T5_mT6_T7_P12ihipStream_tbENKUlT_T0_E_clISt17integral_constantIbLb1EESZ_EEDaSU_SV_EUlSU_E_NS1_11comp_targetILNS1_3genE2ELNS1_11target_archE906ELNS1_3gpuE6ELNS1_3repE0EEENS1_30default_config_static_selectorELNS0_4arch9wavefront6targetE0EEEvT1_, .Lfunc_end61-_ZN7rocprim17ROCPRIM_400000_NS6detail17trampoline_kernelINS0_14default_configENS1_27scan_by_key_config_selectorIxxEEZZNS1_16scan_by_key_implILNS1_25lookback_scan_determinismE0ELb0ES3_N6thrust23THRUST_200600_302600_NS6detail15normal_iteratorINS9_10device_ptrIxEEEESE_SE_xNS9_10multipliesIxEENS9_8equal_toIxEExEE10hipError_tPvRmT2_T3_T4_T5_mT6_T7_P12ihipStream_tbENKUlT_T0_E_clISt17integral_constantIbLb1EESZ_EEDaSU_SV_EUlSU_E_NS1_11comp_targetILNS1_3genE2ELNS1_11target_archE906ELNS1_3gpuE6ELNS1_3repE0EEENS1_30default_config_static_selectorELNS0_4arch9wavefront6targetE0EEEvT1_
                                        ; -- End function
	.set _ZN7rocprim17ROCPRIM_400000_NS6detail17trampoline_kernelINS0_14default_configENS1_27scan_by_key_config_selectorIxxEEZZNS1_16scan_by_key_implILNS1_25lookback_scan_determinismE0ELb0ES3_N6thrust23THRUST_200600_302600_NS6detail15normal_iteratorINS9_10device_ptrIxEEEESE_SE_xNS9_10multipliesIxEENS9_8equal_toIxEExEE10hipError_tPvRmT2_T3_T4_T5_mT6_T7_P12ihipStream_tbENKUlT_T0_E_clISt17integral_constantIbLb1EESZ_EEDaSU_SV_EUlSU_E_NS1_11comp_targetILNS1_3genE2ELNS1_11target_archE906ELNS1_3gpuE6ELNS1_3repE0EEENS1_30default_config_static_selectorELNS0_4arch9wavefront6targetE0EEEvT1_.num_vgpr, 0
	.set _ZN7rocprim17ROCPRIM_400000_NS6detail17trampoline_kernelINS0_14default_configENS1_27scan_by_key_config_selectorIxxEEZZNS1_16scan_by_key_implILNS1_25lookback_scan_determinismE0ELb0ES3_N6thrust23THRUST_200600_302600_NS6detail15normal_iteratorINS9_10device_ptrIxEEEESE_SE_xNS9_10multipliesIxEENS9_8equal_toIxEExEE10hipError_tPvRmT2_T3_T4_T5_mT6_T7_P12ihipStream_tbENKUlT_T0_E_clISt17integral_constantIbLb1EESZ_EEDaSU_SV_EUlSU_E_NS1_11comp_targetILNS1_3genE2ELNS1_11target_archE906ELNS1_3gpuE6ELNS1_3repE0EEENS1_30default_config_static_selectorELNS0_4arch9wavefront6targetE0EEEvT1_.num_agpr, 0
	.set _ZN7rocprim17ROCPRIM_400000_NS6detail17trampoline_kernelINS0_14default_configENS1_27scan_by_key_config_selectorIxxEEZZNS1_16scan_by_key_implILNS1_25lookback_scan_determinismE0ELb0ES3_N6thrust23THRUST_200600_302600_NS6detail15normal_iteratorINS9_10device_ptrIxEEEESE_SE_xNS9_10multipliesIxEENS9_8equal_toIxEExEE10hipError_tPvRmT2_T3_T4_T5_mT6_T7_P12ihipStream_tbENKUlT_T0_E_clISt17integral_constantIbLb1EESZ_EEDaSU_SV_EUlSU_E_NS1_11comp_targetILNS1_3genE2ELNS1_11target_archE906ELNS1_3gpuE6ELNS1_3repE0EEENS1_30default_config_static_selectorELNS0_4arch9wavefront6targetE0EEEvT1_.numbered_sgpr, 0
	.set _ZN7rocprim17ROCPRIM_400000_NS6detail17trampoline_kernelINS0_14default_configENS1_27scan_by_key_config_selectorIxxEEZZNS1_16scan_by_key_implILNS1_25lookback_scan_determinismE0ELb0ES3_N6thrust23THRUST_200600_302600_NS6detail15normal_iteratorINS9_10device_ptrIxEEEESE_SE_xNS9_10multipliesIxEENS9_8equal_toIxEExEE10hipError_tPvRmT2_T3_T4_T5_mT6_T7_P12ihipStream_tbENKUlT_T0_E_clISt17integral_constantIbLb1EESZ_EEDaSU_SV_EUlSU_E_NS1_11comp_targetILNS1_3genE2ELNS1_11target_archE906ELNS1_3gpuE6ELNS1_3repE0EEENS1_30default_config_static_selectorELNS0_4arch9wavefront6targetE0EEEvT1_.num_named_barrier, 0
	.set _ZN7rocprim17ROCPRIM_400000_NS6detail17trampoline_kernelINS0_14default_configENS1_27scan_by_key_config_selectorIxxEEZZNS1_16scan_by_key_implILNS1_25lookback_scan_determinismE0ELb0ES3_N6thrust23THRUST_200600_302600_NS6detail15normal_iteratorINS9_10device_ptrIxEEEESE_SE_xNS9_10multipliesIxEENS9_8equal_toIxEExEE10hipError_tPvRmT2_T3_T4_T5_mT6_T7_P12ihipStream_tbENKUlT_T0_E_clISt17integral_constantIbLb1EESZ_EEDaSU_SV_EUlSU_E_NS1_11comp_targetILNS1_3genE2ELNS1_11target_archE906ELNS1_3gpuE6ELNS1_3repE0EEENS1_30default_config_static_selectorELNS0_4arch9wavefront6targetE0EEEvT1_.private_seg_size, 0
	.set _ZN7rocprim17ROCPRIM_400000_NS6detail17trampoline_kernelINS0_14default_configENS1_27scan_by_key_config_selectorIxxEEZZNS1_16scan_by_key_implILNS1_25lookback_scan_determinismE0ELb0ES3_N6thrust23THRUST_200600_302600_NS6detail15normal_iteratorINS9_10device_ptrIxEEEESE_SE_xNS9_10multipliesIxEENS9_8equal_toIxEExEE10hipError_tPvRmT2_T3_T4_T5_mT6_T7_P12ihipStream_tbENKUlT_T0_E_clISt17integral_constantIbLb1EESZ_EEDaSU_SV_EUlSU_E_NS1_11comp_targetILNS1_3genE2ELNS1_11target_archE906ELNS1_3gpuE6ELNS1_3repE0EEENS1_30default_config_static_selectorELNS0_4arch9wavefront6targetE0EEEvT1_.uses_vcc, 0
	.set _ZN7rocprim17ROCPRIM_400000_NS6detail17trampoline_kernelINS0_14default_configENS1_27scan_by_key_config_selectorIxxEEZZNS1_16scan_by_key_implILNS1_25lookback_scan_determinismE0ELb0ES3_N6thrust23THRUST_200600_302600_NS6detail15normal_iteratorINS9_10device_ptrIxEEEESE_SE_xNS9_10multipliesIxEENS9_8equal_toIxEExEE10hipError_tPvRmT2_T3_T4_T5_mT6_T7_P12ihipStream_tbENKUlT_T0_E_clISt17integral_constantIbLb1EESZ_EEDaSU_SV_EUlSU_E_NS1_11comp_targetILNS1_3genE2ELNS1_11target_archE906ELNS1_3gpuE6ELNS1_3repE0EEENS1_30default_config_static_selectorELNS0_4arch9wavefront6targetE0EEEvT1_.uses_flat_scratch, 0
	.set _ZN7rocprim17ROCPRIM_400000_NS6detail17trampoline_kernelINS0_14default_configENS1_27scan_by_key_config_selectorIxxEEZZNS1_16scan_by_key_implILNS1_25lookback_scan_determinismE0ELb0ES3_N6thrust23THRUST_200600_302600_NS6detail15normal_iteratorINS9_10device_ptrIxEEEESE_SE_xNS9_10multipliesIxEENS9_8equal_toIxEExEE10hipError_tPvRmT2_T3_T4_T5_mT6_T7_P12ihipStream_tbENKUlT_T0_E_clISt17integral_constantIbLb1EESZ_EEDaSU_SV_EUlSU_E_NS1_11comp_targetILNS1_3genE2ELNS1_11target_archE906ELNS1_3gpuE6ELNS1_3repE0EEENS1_30default_config_static_selectorELNS0_4arch9wavefront6targetE0EEEvT1_.has_dyn_sized_stack, 0
	.set _ZN7rocprim17ROCPRIM_400000_NS6detail17trampoline_kernelINS0_14default_configENS1_27scan_by_key_config_selectorIxxEEZZNS1_16scan_by_key_implILNS1_25lookback_scan_determinismE0ELb0ES3_N6thrust23THRUST_200600_302600_NS6detail15normal_iteratorINS9_10device_ptrIxEEEESE_SE_xNS9_10multipliesIxEENS9_8equal_toIxEExEE10hipError_tPvRmT2_T3_T4_T5_mT6_T7_P12ihipStream_tbENKUlT_T0_E_clISt17integral_constantIbLb1EESZ_EEDaSU_SV_EUlSU_E_NS1_11comp_targetILNS1_3genE2ELNS1_11target_archE906ELNS1_3gpuE6ELNS1_3repE0EEENS1_30default_config_static_selectorELNS0_4arch9wavefront6targetE0EEEvT1_.has_recursion, 0
	.set _ZN7rocprim17ROCPRIM_400000_NS6detail17trampoline_kernelINS0_14default_configENS1_27scan_by_key_config_selectorIxxEEZZNS1_16scan_by_key_implILNS1_25lookback_scan_determinismE0ELb0ES3_N6thrust23THRUST_200600_302600_NS6detail15normal_iteratorINS9_10device_ptrIxEEEESE_SE_xNS9_10multipliesIxEENS9_8equal_toIxEExEE10hipError_tPvRmT2_T3_T4_T5_mT6_T7_P12ihipStream_tbENKUlT_T0_E_clISt17integral_constantIbLb1EESZ_EEDaSU_SV_EUlSU_E_NS1_11comp_targetILNS1_3genE2ELNS1_11target_archE906ELNS1_3gpuE6ELNS1_3repE0EEENS1_30default_config_static_selectorELNS0_4arch9wavefront6targetE0EEEvT1_.has_indirect_call, 0
	.section	.AMDGPU.csdata,"",@progbits
; Kernel info:
; codeLenInByte = 0
; TotalNumSgprs: 0
; NumVgprs: 0
; ScratchSize: 0
; MemoryBound: 0
; FloatMode: 240
; IeeeMode: 1
; LDSByteSize: 0 bytes/workgroup (compile time only)
; SGPRBlocks: 0
; VGPRBlocks: 0
; NumSGPRsForWavesPerEU: 1
; NumVGPRsForWavesPerEU: 1
; Occupancy: 16
; WaveLimiterHint : 0
; COMPUTE_PGM_RSRC2:SCRATCH_EN: 0
; COMPUTE_PGM_RSRC2:USER_SGPR: 6
; COMPUTE_PGM_RSRC2:TRAP_HANDLER: 0
; COMPUTE_PGM_RSRC2:TGID_X_EN: 1
; COMPUTE_PGM_RSRC2:TGID_Y_EN: 0
; COMPUTE_PGM_RSRC2:TGID_Z_EN: 0
; COMPUTE_PGM_RSRC2:TIDIG_COMP_CNT: 0
	.section	.text._ZN7rocprim17ROCPRIM_400000_NS6detail17trampoline_kernelINS0_14default_configENS1_27scan_by_key_config_selectorIxxEEZZNS1_16scan_by_key_implILNS1_25lookback_scan_determinismE0ELb0ES3_N6thrust23THRUST_200600_302600_NS6detail15normal_iteratorINS9_10device_ptrIxEEEESE_SE_xNS9_10multipliesIxEENS9_8equal_toIxEExEE10hipError_tPvRmT2_T3_T4_T5_mT6_T7_P12ihipStream_tbENKUlT_T0_E_clISt17integral_constantIbLb1EESZ_EEDaSU_SV_EUlSU_E_NS1_11comp_targetILNS1_3genE10ELNS1_11target_archE1200ELNS1_3gpuE4ELNS1_3repE0EEENS1_30default_config_static_selectorELNS0_4arch9wavefront6targetE0EEEvT1_,"axG",@progbits,_ZN7rocprim17ROCPRIM_400000_NS6detail17trampoline_kernelINS0_14default_configENS1_27scan_by_key_config_selectorIxxEEZZNS1_16scan_by_key_implILNS1_25lookback_scan_determinismE0ELb0ES3_N6thrust23THRUST_200600_302600_NS6detail15normal_iteratorINS9_10device_ptrIxEEEESE_SE_xNS9_10multipliesIxEENS9_8equal_toIxEExEE10hipError_tPvRmT2_T3_T4_T5_mT6_T7_P12ihipStream_tbENKUlT_T0_E_clISt17integral_constantIbLb1EESZ_EEDaSU_SV_EUlSU_E_NS1_11comp_targetILNS1_3genE10ELNS1_11target_archE1200ELNS1_3gpuE4ELNS1_3repE0EEENS1_30default_config_static_selectorELNS0_4arch9wavefront6targetE0EEEvT1_,comdat
	.protected	_ZN7rocprim17ROCPRIM_400000_NS6detail17trampoline_kernelINS0_14default_configENS1_27scan_by_key_config_selectorIxxEEZZNS1_16scan_by_key_implILNS1_25lookback_scan_determinismE0ELb0ES3_N6thrust23THRUST_200600_302600_NS6detail15normal_iteratorINS9_10device_ptrIxEEEESE_SE_xNS9_10multipliesIxEENS9_8equal_toIxEExEE10hipError_tPvRmT2_T3_T4_T5_mT6_T7_P12ihipStream_tbENKUlT_T0_E_clISt17integral_constantIbLb1EESZ_EEDaSU_SV_EUlSU_E_NS1_11comp_targetILNS1_3genE10ELNS1_11target_archE1200ELNS1_3gpuE4ELNS1_3repE0EEENS1_30default_config_static_selectorELNS0_4arch9wavefront6targetE0EEEvT1_ ; -- Begin function _ZN7rocprim17ROCPRIM_400000_NS6detail17trampoline_kernelINS0_14default_configENS1_27scan_by_key_config_selectorIxxEEZZNS1_16scan_by_key_implILNS1_25lookback_scan_determinismE0ELb0ES3_N6thrust23THRUST_200600_302600_NS6detail15normal_iteratorINS9_10device_ptrIxEEEESE_SE_xNS9_10multipliesIxEENS9_8equal_toIxEExEE10hipError_tPvRmT2_T3_T4_T5_mT6_T7_P12ihipStream_tbENKUlT_T0_E_clISt17integral_constantIbLb1EESZ_EEDaSU_SV_EUlSU_E_NS1_11comp_targetILNS1_3genE10ELNS1_11target_archE1200ELNS1_3gpuE4ELNS1_3repE0EEENS1_30default_config_static_selectorELNS0_4arch9wavefront6targetE0EEEvT1_
	.globl	_ZN7rocprim17ROCPRIM_400000_NS6detail17trampoline_kernelINS0_14default_configENS1_27scan_by_key_config_selectorIxxEEZZNS1_16scan_by_key_implILNS1_25lookback_scan_determinismE0ELb0ES3_N6thrust23THRUST_200600_302600_NS6detail15normal_iteratorINS9_10device_ptrIxEEEESE_SE_xNS9_10multipliesIxEENS9_8equal_toIxEExEE10hipError_tPvRmT2_T3_T4_T5_mT6_T7_P12ihipStream_tbENKUlT_T0_E_clISt17integral_constantIbLb1EESZ_EEDaSU_SV_EUlSU_E_NS1_11comp_targetILNS1_3genE10ELNS1_11target_archE1200ELNS1_3gpuE4ELNS1_3repE0EEENS1_30default_config_static_selectorELNS0_4arch9wavefront6targetE0EEEvT1_
	.p2align	8
	.type	_ZN7rocprim17ROCPRIM_400000_NS6detail17trampoline_kernelINS0_14default_configENS1_27scan_by_key_config_selectorIxxEEZZNS1_16scan_by_key_implILNS1_25lookback_scan_determinismE0ELb0ES3_N6thrust23THRUST_200600_302600_NS6detail15normal_iteratorINS9_10device_ptrIxEEEESE_SE_xNS9_10multipliesIxEENS9_8equal_toIxEExEE10hipError_tPvRmT2_T3_T4_T5_mT6_T7_P12ihipStream_tbENKUlT_T0_E_clISt17integral_constantIbLb1EESZ_EEDaSU_SV_EUlSU_E_NS1_11comp_targetILNS1_3genE10ELNS1_11target_archE1200ELNS1_3gpuE4ELNS1_3repE0EEENS1_30default_config_static_selectorELNS0_4arch9wavefront6targetE0EEEvT1_,@function
_ZN7rocprim17ROCPRIM_400000_NS6detail17trampoline_kernelINS0_14default_configENS1_27scan_by_key_config_selectorIxxEEZZNS1_16scan_by_key_implILNS1_25lookback_scan_determinismE0ELb0ES3_N6thrust23THRUST_200600_302600_NS6detail15normal_iteratorINS9_10device_ptrIxEEEESE_SE_xNS9_10multipliesIxEENS9_8equal_toIxEExEE10hipError_tPvRmT2_T3_T4_T5_mT6_T7_P12ihipStream_tbENKUlT_T0_E_clISt17integral_constantIbLb1EESZ_EEDaSU_SV_EUlSU_E_NS1_11comp_targetILNS1_3genE10ELNS1_11target_archE1200ELNS1_3gpuE4ELNS1_3repE0EEENS1_30default_config_static_selectorELNS0_4arch9wavefront6targetE0EEEvT1_: ; @_ZN7rocprim17ROCPRIM_400000_NS6detail17trampoline_kernelINS0_14default_configENS1_27scan_by_key_config_selectorIxxEEZZNS1_16scan_by_key_implILNS1_25lookback_scan_determinismE0ELb0ES3_N6thrust23THRUST_200600_302600_NS6detail15normal_iteratorINS9_10device_ptrIxEEEESE_SE_xNS9_10multipliesIxEENS9_8equal_toIxEExEE10hipError_tPvRmT2_T3_T4_T5_mT6_T7_P12ihipStream_tbENKUlT_T0_E_clISt17integral_constantIbLb1EESZ_EEDaSU_SV_EUlSU_E_NS1_11comp_targetILNS1_3genE10ELNS1_11target_archE1200ELNS1_3gpuE4ELNS1_3repE0EEENS1_30default_config_static_selectorELNS0_4arch9wavefront6targetE0EEEvT1_
; %bb.0:
	.section	.rodata,"a",@progbits
	.p2align	6, 0x0
	.amdhsa_kernel _ZN7rocprim17ROCPRIM_400000_NS6detail17trampoline_kernelINS0_14default_configENS1_27scan_by_key_config_selectorIxxEEZZNS1_16scan_by_key_implILNS1_25lookback_scan_determinismE0ELb0ES3_N6thrust23THRUST_200600_302600_NS6detail15normal_iteratorINS9_10device_ptrIxEEEESE_SE_xNS9_10multipliesIxEENS9_8equal_toIxEExEE10hipError_tPvRmT2_T3_T4_T5_mT6_T7_P12ihipStream_tbENKUlT_T0_E_clISt17integral_constantIbLb1EESZ_EEDaSU_SV_EUlSU_E_NS1_11comp_targetILNS1_3genE10ELNS1_11target_archE1200ELNS1_3gpuE4ELNS1_3repE0EEENS1_30default_config_static_selectorELNS0_4arch9wavefront6targetE0EEEvT1_
		.amdhsa_group_segment_fixed_size 0
		.amdhsa_private_segment_fixed_size 0
		.amdhsa_kernarg_size 136
		.amdhsa_user_sgpr_count 6
		.amdhsa_user_sgpr_private_segment_buffer 1
		.amdhsa_user_sgpr_dispatch_ptr 0
		.amdhsa_user_sgpr_queue_ptr 0
		.amdhsa_user_sgpr_kernarg_segment_ptr 1
		.amdhsa_user_sgpr_dispatch_id 0
		.amdhsa_user_sgpr_flat_scratch_init 0
		.amdhsa_user_sgpr_private_segment_size 0
		.amdhsa_wavefront_size32 1
		.amdhsa_uses_dynamic_stack 0
		.amdhsa_system_sgpr_private_segment_wavefront_offset 0
		.amdhsa_system_sgpr_workgroup_id_x 1
		.amdhsa_system_sgpr_workgroup_id_y 0
		.amdhsa_system_sgpr_workgroup_id_z 0
		.amdhsa_system_sgpr_workgroup_info 0
		.amdhsa_system_vgpr_workitem_id 0
		.amdhsa_next_free_vgpr 1
		.amdhsa_next_free_sgpr 1
		.amdhsa_reserve_vcc 0
		.amdhsa_reserve_flat_scratch 0
		.amdhsa_float_round_mode_32 0
		.amdhsa_float_round_mode_16_64 0
		.amdhsa_float_denorm_mode_32 3
		.amdhsa_float_denorm_mode_16_64 3
		.amdhsa_dx10_clamp 1
		.amdhsa_ieee_mode 1
		.amdhsa_fp16_overflow 0
		.amdhsa_workgroup_processor_mode 1
		.amdhsa_memory_ordered 1
		.amdhsa_forward_progress 1
		.amdhsa_shared_vgpr_count 0
		.amdhsa_exception_fp_ieee_invalid_op 0
		.amdhsa_exception_fp_denorm_src 0
		.amdhsa_exception_fp_ieee_div_zero 0
		.amdhsa_exception_fp_ieee_overflow 0
		.amdhsa_exception_fp_ieee_underflow 0
		.amdhsa_exception_fp_ieee_inexact 0
		.amdhsa_exception_int_div_zero 0
	.end_amdhsa_kernel
	.section	.text._ZN7rocprim17ROCPRIM_400000_NS6detail17trampoline_kernelINS0_14default_configENS1_27scan_by_key_config_selectorIxxEEZZNS1_16scan_by_key_implILNS1_25lookback_scan_determinismE0ELb0ES3_N6thrust23THRUST_200600_302600_NS6detail15normal_iteratorINS9_10device_ptrIxEEEESE_SE_xNS9_10multipliesIxEENS9_8equal_toIxEExEE10hipError_tPvRmT2_T3_T4_T5_mT6_T7_P12ihipStream_tbENKUlT_T0_E_clISt17integral_constantIbLb1EESZ_EEDaSU_SV_EUlSU_E_NS1_11comp_targetILNS1_3genE10ELNS1_11target_archE1200ELNS1_3gpuE4ELNS1_3repE0EEENS1_30default_config_static_selectorELNS0_4arch9wavefront6targetE0EEEvT1_,"axG",@progbits,_ZN7rocprim17ROCPRIM_400000_NS6detail17trampoline_kernelINS0_14default_configENS1_27scan_by_key_config_selectorIxxEEZZNS1_16scan_by_key_implILNS1_25lookback_scan_determinismE0ELb0ES3_N6thrust23THRUST_200600_302600_NS6detail15normal_iteratorINS9_10device_ptrIxEEEESE_SE_xNS9_10multipliesIxEENS9_8equal_toIxEExEE10hipError_tPvRmT2_T3_T4_T5_mT6_T7_P12ihipStream_tbENKUlT_T0_E_clISt17integral_constantIbLb1EESZ_EEDaSU_SV_EUlSU_E_NS1_11comp_targetILNS1_3genE10ELNS1_11target_archE1200ELNS1_3gpuE4ELNS1_3repE0EEENS1_30default_config_static_selectorELNS0_4arch9wavefront6targetE0EEEvT1_,comdat
.Lfunc_end62:
	.size	_ZN7rocprim17ROCPRIM_400000_NS6detail17trampoline_kernelINS0_14default_configENS1_27scan_by_key_config_selectorIxxEEZZNS1_16scan_by_key_implILNS1_25lookback_scan_determinismE0ELb0ES3_N6thrust23THRUST_200600_302600_NS6detail15normal_iteratorINS9_10device_ptrIxEEEESE_SE_xNS9_10multipliesIxEENS9_8equal_toIxEExEE10hipError_tPvRmT2_T3_T4_T5_mT6_T7_P12ihipStream_tbENKUlT_T0_E_clISt17integral_constantIbLb1EESZ_EEDaSU_SV_EUlSU_E_NS1_11comp_targetILNS1_3genE10ELNS1_11target_archE1200ELNS1_3gpuE4ELNS1_3repE0EEENS1_30default_config_static_selectorELNS0_4arch9wavefront6targetE0EEEvT1_, .Lfunc_end62-_ZN7rocprim17ROCPRIM_400000_NS6detail17trampoline_kernelINS0_14default_configENS1_27scan_by_key_config_selectorIxxEEZZNS1_16scan_by_key_implILNS1_25lookback_scan_determinismE0ELb0ES3_N6thrust23THRUST_200600_302600_NS6detail15normal_iteratorINS9_10device_ptrIxEEEESE_SE_xNS9_10multipliesIxEENS9_8equal_toIxEExEE10hipError_tPvRmT2_T3_T4_T5_mT6_T7_P12ihipStream_tbENKUlT_T0_E_clISt17integral_constantIbLb1EESZ_EEDaSU_SV_EUlSU_E_NS1_11comp_targetILNS1_3genE10ELNS1_11target_archE1200ELNS1_3gpuE4ELNS1_3repE0EEENS1_30default_config_static_selectorELNS0_4arch9wavefront6targetE0EEEvT1_
                                        ; -- End function
	.set _ZN7rocprim17ROCPRIM_400000_NS6detail17trampoline_kernelINS0_14default_configENS1_27scan_by_key_config_selectorIxxEEZZNS1_16scan_by_key_implILNS1_25lookback_scan_determinismE0ELb0ES3_N6thrust23THRUST_200600_302600_NS6detail15normal_iteratorINS9_10device_ptrIxEEEESE_SE_xNS9_10multipliesIxEENS9_8equal_toIxEExEE10hipError_tPvRmT2_T3_T4_T5_mT6_T7_P12ihipStream_tbENKUlT_T0_E_clISt17integral_constantIbLb1EESZ_EEDaSU_SV_EUlSU_E_NS1_11comp_targetILNS1_3genE10ELNS1_11target_archE1200ELNS1_3gpuE4ELNS1_3repE0EEENS1_30default_config_static_selectorELNS0_4arch9wavefront6targetE0EEEvT1_.num_vgpr, 0
	.set _ZN7rocprim17ROCPRIM_400000_NS6detail17trampoline_kernelINS0_14default_configENS1_27scan_by_key_config_selectorIxxEEZZNS1_16scan_by_key_implILNS1_25lookback_scan_determinismE0ELb0ES3_N6thrust23THRUST_200600_302600_NS6detail15normal_iteratorINS9_10device_ptrIxEEEESE_SE_xNS9_10multipliesIxEENS9_8equal_toIxEExEE10hipError_tPvRmT2_T3_T4_T5_mT6_T7_P12ihipStream_tbENKUlT_T0_E_clISt17integral_constantIbLb1EESZ_EEDaSU_SV_EUlSU_E_NS1_11comp_targetILNS1_3genE10ELNS1_11target_archE1200ELNS1_3gpuE4ELNS1_3repE0EEENS1_30default_config_static_selectorELNS0_4arch9wavefront6targetE0EEEvT1_.num_agpr, 0
	.set _ZN7rocprim17ROCPRIM_400000_NS6detail17trampoline_kernelINS0_14default_configENS1_27scan_by_key_config_selectorIxxEEZZNS1_16scan_by_key_implILNS1_25lookback_scan_determinismE0ELb0ES3_N6thrust23THRUST_200600_302600_NS6detail15normal_iteratorINS9_10device_ptrIxEEEESE_SE_xNS9_10multipliesIxEENS9_8equal_toIxEExEE10hipError_tPvRmT2_T3_T4_T5_mT6_T7_P12ihipStream_tbENKUlT_T0_E_clISt17integral_constantIbLb1EESZ_EEDaSU_SV_EUlSU_E_NS1_11comp_targetILNS1_3genE10ELNS1_11target_archE1200ELNS1_3gpuE4ELNS1_3repE0EEENS1_30default_config_static_selectorELNS0_4arch9wavefront6targetE0EEEvT1_.numbered_sgpr, 0
	.set _ZN7rocprim17ROCPRIM_400000_NS6detail17trampoline_kernelINS0_14default_configENS1_27scan_by_key_config_selectorIxxEEZZNS1_16scan_by_key_implILNS1_25lookback_scan_determinismE0ELb0ES3_N6thrust23THRUST_200600_302600_NS6detail15normal_iteratorINS9_10device_ptrIxEEEESE_SE_xNS9_10multipliesIxEENS9_8equal_toIxEExEE10hipError_tPvRmT2_T3_T4_T5_mT6_T7_P12ihipStream_tbENKUlT_T0_E_clISt17integral_constantIbLb1EESZ_EEDaSU_SV_EUlSU_E_NS1_11comp_targetILNS1_3genE10ELNS1_11target_archE1200ELNS1_3gpuE4ELNS1_3repE0EEENS1_30default_config_static_selectorELNS0_4arch9wavefront6targetE0EEEvT1_.num_named_barrier, 0
	.set _ZN7rocprim17ROCPRIM_400000_NS6detail17trampoline_kernelINS0_14default_configENS1_27scan_by_key_config_selectorIxxEEZZNS1_16scan_by_key_implILNS1_25lookback_scan_determinismE0ELb0ES3_N6thrust23THRUST_200600_302600_NS6detail15normal_iteratorINS9_10device_ptrIxEEEESE_SE_xNS9_10multipliesIxEENS9_8equal_toIxEExEE10hipError_tPvRmT2_T3_T4_T5_mT6_T7_P12ihipStream_tbENKUlT_T0_E_clISt17integral_constantIbLb1EESZ_EEDaSU_SV_EUlSU_E_NS1_11comp_targetILNS1_3genE10ELNS1_11target_archE1200ELNS1_3gpuE4ELNS1_3repE0EEENS1_30default_config_static_selectorELNS0_4arch9wavefront6targetE0EEEvT1_.private_seg_size, 0
	.set _ZN7rocprim17ROCPRIM_400000_NS6detail17trampoline_kernelINS0_14default_configENS1_27scan_by_key_config_selectorIxxEEZZNS1_16scan_by_key_implILNS1_25lookback_scan_determinismE0ELb0ES3_N6thrust23THRUST_200600_302600_NS6detail15normal_iteratorINS9_10device_ptrIxEEEESE_SE_xNS9_10multipliesIxEENS9_8equal_toIxEExEE10hipError_tPvRmT2_T3_T4_T5_mT6_T7_P12ihipStream_tbENKUlT_T0_E_clISt17integral_constantIbLb1EESZ_EEDaSU_SV_EUlSU_E_NS1_11comp_targetILNS1_3genE10ELNS1_11target_archE1200ELNS1_3gpuE4ELNS1_3repE0EEENS1_30default_config_static_selectorELNS0_4arch9wavefront6targetE0EEEvT1_.uses_vcc, 0
	.set _ZN7rocprim17ROCPRIM_400000_NS6detail17trampoline_kernelINS0_14default_configENS1_27scan_by_key_config_selectorIxxEEZZNS1_16scan_by_key_implILNS1_25lookback_scan_determinismE0ELb0ES3_N6thrust23THRUST_200600_302600_NS6detail15normal_iteratorINS9_10device_ptrIxEEEESE_SE_xNS9_10multipliesIxEENS9_8equal_toIxEExEE10hipError_tPvRmT2_T3_T4_T5_mT6_T7_P12ihipStream_tbENKUlT_T0_E_clISt17integral_constantIbLb1EESZ_EEDaSU_SV_EUlSU_E_NS1_11comp_targetILNS1_3genE10ELNS1_11target_archE1200ELNS1_3gpuE4ELNS1_3repE0EEENS1_30default_config_static_selectorELNS0_4arch9wavefront6targetE0EEEvT1_.uses_flat_scratch, 0
	.set _ZN7rocprim17ROCPRIM_400000_NS6detail17trampoline_kernelINS0_14default_configENS1_27scan_by_key_config_selectorIxxEEZZNS1_16scan_by_key_implILNS1_25lookback_scan_determinismE0ELb0ES3_N6thrust23THRUST_200600_302600_NS6detail15normal_iteratorINS9_10device_ptrIxEEEESE_SE_xNS9_10multipliesIxEENS9_8equal_toIxEExEE10hipError_tPvRmT2_T3_T4_T5_mT6_T7_P12ihipStream_tbENKUlT_T0_E_clISt17integral_constantIbLb1EESZ_EEDaSU_SV_EUlSU_E_NS1_11comp_targetILNS1_3genE10ELNS1_11target_archE1200ELNS1_3gpuE4ELNS1_3repE0EEENS1_30default_config_static_selectorELNS0_4arch9wavefront6targetE0EEEvT1_.has_dyn_sized_stack, 0
	.set _ZN7rocprim17ROCPRIM_400000_NS6detail17trampoline_kernelINS0_14default_configENS1_27scan_by_key_config_selectorIxxEEZZNS1_16scan_by_key_implILNS1_25lookback_scan_determinismE0ELb0ES3_N6thrust23THRUST_200600_302600_NS6detail15normal_iteratorINS9_10device_ptrIxEEEESE_SE_xNS9_10multipliesIxEENS9_8equal_toIxEExEE10hipError_tPvRmT2_T3_T4_T5_mT6_T7_P12ihipStream_tbENKUlT_T0_E_clISt17integral_constantIbLb1EESZ_EEDaSU_SV_EUlSU_E_NS1_11comp_targetILNS1_3genE10ELNS1_11target_archE1200ELNS1_3gpuE4ELNS1_3repE0EEENS1_30default_config_static_selectorELNS0_4arch9wavefront6targetE0EEEvT1_.has_recursion, 0
	.set _ZN7rocprim17ROCPRIM_400000_NS6detail17trampoline_kernelINS0_14default_configENS1_27scan_by_key_config_selectorIxxEEZZNS1_16scan_by_key_implILNS1_25lookback_scan_determinismE0ELb0ES3_N6thrust23THRUST_200600_302600_NS6detail15normal_iteratorINS9_10device_ptrIxEEEESE_SE_xNS9_10multipliesIxEENS9_8equal_toIxEExEE10hipError_tPvRmT2_T3_T4_T5_mT6_T7_P12ihipStream_tbENKUlT_T0_E_clISt17integral_constantIbLb1EESZ_EEDaSU_SV_EUlSU_E_NS1_11comp_targetILNS1_3genE10ELNS1_11target_archE1200ELNS1_3gpuE4ELNS1_3repE0EEENS1_30default_config_static_selectorELNS0_4arch9wavefront6targetE0EEEvT1_.has_indirect_call, 0
	.section	.AMDGPU.csdata,"",@progbits
; Kernel info:
; codeLenInByte = 0
; TotalNumSgprs: 0
; NumVgprs: 0
; ScratchSize: 0
; MemoryBound: 0
; FloatMode: 240
; IeeeMode: 1
; LDSByteSize: 0 bytes/workgroup (compile time only)
; SGPRBlocks: 0
; VGPRBlocks: 0
; NumSGPRsForWavesPerEU: 1
; NumVGPRsForWavesPerEU: 1
; Occupancy: 16
; WaveLimiterHint : 0
; COMPUTE_PGM_RSRC2:SCRATCH_EN: 0
; COMPUTE_PGM_RSRC2:USER_SGPR: 6
; COMPUTE_PGM_RSRC2:TRAP_HANDLER: 0
; COMPUTE_PGM_RSRC2:TGID_X_EN: 1
; COMPUTE_PGM_RSRC2:TGID_Y_EN: 0
; COMPUTE_PGM_RSRC2:TGID_Z_EN: 0
; COMPUTE_PGM_RSRC2:TIDIG_COMP_CNT: 0
	.section	.text._ZN7rocprim17ROCPRIM_400000_NS6detail17trampoline_kernelINS0_14default_configENS1_27scan_by_key_config_selectorIxxEEZZNS1_16scan_by_key_implILNS1_25lookback_scan_determinismE0ELb0ES3_N6thrust23THRUST_200600_302600_NS6detail15normal_iteratorINS9_10device_ptrIxEEEESE_SE_xNS9_10multipliesIxEENS9_8equal_toIxEExEE10hipError_tPvRmT2_T3_T4_T5_mT6_T7_P12ihipStream_tbENKUlT_T0_E_clISt17integral_constantIbLb1EESZ_EEDaSU_SV_EUlSU_E_NS1_11comp_targetILNS1_3genE9ELNS1_11target_archE1100ELNS1_3gpuE3ELNS1_3repE0EEENS1_30default_config_static_selectorELNS0_4arch9wavefront6targetE0EEEvT1_,"axG",@progbits,_ZN7rocprim17ROCPRIM_400000_NS6detail17trampoline_kernelINS0_14default_configENS1_27scan_by_key_config_selectorIxxEEZZNS1_16scan_by_key_implILNS1_25lookback_scan_determinismE0ELb0ES3_N6thrust23THRUST_200600_302600_NS6detail15normal_iteratorINS9_10device_ptrIxEEEESE_SE_xNS9_10multipliesIxEENS9_8equal_toIxEExEE10hipError_tPvRmT2_T3_T4_T5_mT6_T7_P12ihipStream_tbENKUlT_T0_E_clISt17integral_constantIbLb1EESZ_EEDaSU_SV_EUlSU_E_NS1_11comp_targetILNS1_3genE9ELNS1_11target_archE1100ELNS1_3gpuE3ELNS1_3repE0EEENS1_30default_config_static_selectorELNS0_4arch9wavefront6targetE0EEEvT1_,comdat
	.protected	_ZN7rocprim17ROCPRIM_400000_NS6detail17trampoline_kernelINS0_14default_configENS1_27scan_by_key_config_selectorIxxEEZZNS1_16scan_by_key_implILNS1_25lookback_scan_determinismE0ELb0ES3_N6thrust23THRUST_200600_302600_NS6detail15normal_iteratorINS9_10device_ptrIxEEEESE_SE_xNS9_10multipliesIxEENS9_8equal_toIxEExEE10hipError_tPvRmT2_T3_T4_T5_mT6_T7_P12ihipStream_tbENKUlT_T0_E_clISt17integral_constantIbLb1EESZ_EEDaSU_SV_EUlSU_E_NS1_11comp_targetILNS1_3genE9ELNS1_11target_archE1100ELNS1_3gpuE3ELNS1_3repE0EEENS1_30default_config_static_selectorELNS0_4arch9wavefront6targetE0EEEvT1_ ; -- Begin function _ZN7rocprim17ROCPRIM_400000_NS6detail17trampoline_kernelINS0_14default_configENS1_27scan_by_key_config_selectorIxxEEZZNS1_16scan_by_key_implILNS1_25lookback_scan_determinismE0ELb0ES3_N6thrust23THRUST_200600_302600_NS6detail15normal_iteratorINS9_10device_ptrIxEEEESE_SE_xNS9_10multipliesIxEENS9_8equal_toIxEExEE10hipError_tPvRmT2_T3_T4_T5_mT6_T7_P12ihipStream_tbENKUlT_T0_E_clISt17integral_constantIbLb1EESZ_EEDaSU_SV_EUlSU_E_NS1_11comp_targetILNS1_3genE9ELNS1_11target_archE1100ELNS1_3gpuE3ELNS1_3repE0EEENS1_30default_config_static_selectorELNS0_4arch9wavefront6targetE0EEEvT1_
	.globl	_ZN7rocprim17ROCPRIM_400000_NS6detail17trampoline_kernelINS0_14default_configENS1_27scan_by_key_config_selectorIxxEEZZNS1_16scan_by_key_implILNS1_25lookback_scan_determinismE0ELb0ES3_N6thrust23THRUST_200600_302600_NS6detail15normal_iteratorINS9_10device_ptrIxEEEESE_SE_xNS9_10multipliesIxEENS9_8equal_toIxEExEE10hipError_tPvRmT2_T3_T4_T5_mT6_T7_P12ihipStream_tbENKUlT_T0_E_clISt17integral_constantIbLb1EESZ_EEDaSU_SV_EUlSU_E_NS1_11comp_targetILNS1_3genE9ELNS1_11target_archE1100ELNS1_3gpuE3ELNS1_3repE0EEENS1_30default_config_static_selectorELNS0_4arch9wavefront6targetE0EEEvT1_
	.p2align	8
	.type	_ZN7rocprim17ROCPRIM_400000_NS6detail17trampoline_kernelINS0_14default_configENS1_27scan_by_key_config_selectorIxxEEZZNS1_16scan_by_key_implILNS1_25lookback_scan_determinismE0ELb0ES3_N6thrust23THRUST_200600_302600_NS6detail15normal_iteratorINS9_10device_ptrIxEEEESE_SE_xNS9_10multipliesIxEENS9_8equal_toIxEExEE10hipError_tPvRmT2_T3_T4_T5_mT6_T7_P12ihipStream_tbENKUlT_T0_E_clISt17integral_constantIbLb1EESZ_EEDaSU_SV_EUlSU_E_NS1_11comp_targetILNS1_3genE9ELNS1_11target_archE1100ELNS1_3gpuE3ELNS1_3repE0EEENS1_30default_config_static_selectorELNS0_4arch9wavefront6targetE0EEEvT1_,@function
_ZN7rocprim17ROCPRIM_400000_NS6detail17trampoline_kernelINS0_14default_configENS1_27scan_by_key_config_selectorIxxEEZZNS1_16scan_by_key_implILNS1_25lookback_scan_determinismE0ELb0ES3_N6thrust23THRUST_200600_302600_NS6detail15normal_iteratorINS9_10device_ptrIxEEEESE_SE_xNS9_10multipliesIxEENS9_8equal_toIxEExEE10hipError_tPvRmT2_T3_T4_T5_mT6_T7_P12ihipStream_tbENKUlT_T0_E_clISt17integral_constantIbLb1EESZ_EEDaSU_SV_EUlSU_E_NS1_11comp_targetILNS1_3genE9ELNS1_11target_archE1100ELNS1_3gpuE3ELNS1_3repE0EEENS1_30default_config_static_selectorELNS0_4arch9wavefront6targetE0EEEvT1_: ; @_ZN7rocprim17ROCPRIM_400000_NS6detail17trampoline_kernelINS0_14default_configENS1_27scan_by_key_config_selectorIxxEEZZNS1_16scan_by_key_implILNS1_25lookback_scan_determinismE0ELb0ES3_N6thrust23THRUST_200600_302600_NS6detail15normal_iteratorINS9_10device_ptrIxEEEESE_SE_xNS9_10multipliesIxEENS9_8equal_toIxEExEE10hipError_tPvRmT2_T3_T4_T5_mT6_T7_P12ihipStream_tbENKUlT_T0_E_clISt17integral_constantIbLb1EESZ_EEDaSU_SV_EUlSU_E_NS1_11comp_targetILNS1_3genE9ELNS1_11target_archE1100ELNS1_3gpuE3ELNS1_3repE0EEENS1_30default_config_static_selectorELNS0_4arch9wavefront6targetE0EEEvT1_
; %bb.0:
	.section	.rodata,"a",@progbits
	.p2align	6, 0x0
	.amdhsa_kernel _ZN7rocprim17ROCPRIM_400000_NS6detail17trampoline_kernelINS0_14default_configENS1_27scan_by_key_config_selectorIxxEEZZNS1_16scan_by_key_implILNS1_25lookback_scan_determinismE0ELb0ES3_N6thrust23THRUST_200600_302600_NS6detail15normal_iteratorINS9_10device_ptrIxEEEESE_SE_xNS9_10multipliesIxEENS9_8equal_toIxEExEE10hipError_tPvRmT2_T3_T4_T5_mT6_T7_P12ihipStream_tbENKUlT_T0_E_clISt17integral_constantIbLb1EESZ_EEDaSU_SV_EUlSU_E_NS1_11comp_targetILNS1_3genE9ELNS1_11target_archE1100ELNS1_3gpuE3ELNS1_3repE0EEENS1_30default_config_static_selectorELNS0_4arch9wavefront6targetE0EEEvT1_
		.amdhsa_group_segment_fixed_size 0
		.amdhsa_private_segment_fixed_size 0
		.amdhsa_kernarg_size 136
		.amdhsa_user_sgpr_count 6
		.amdhsa_user_sgpr_private_segment_buffer 1
		.amdhsa_user_sgpr_dispatch_ptr 0
		.amdhsa_user_sgpr_queue_ptr 0
		.amdhsa_user_sgpr_kernarg_segment_ptr 1
		.amdhsa_user_sgpr_dispatch_id 0
		.amdhsa_user_sgpr_flat_scratch_init 0
		.amdhsa_user_sgpr_private_segment_size 0
		.amdhsa_wavefront_size32 1
		.amdhsa_uses_dynamic_stack 0
		.amdhsa_system_sgpr_private_segment_wavefront_offset 0
		.amdhsa_system_sgpr_workgroup_id_x 1
		.amdhsa_system_sgpr_workgroup_id_y 0
		.amdhsa_system_sgpr_workgroup_id_z 0
		.amdhsa_system_sgpr_workgroup_info 0
		.amdhsa_system_vgpr_workitem_id 0
		.amdhsa_next_free_vgpr 1
		.amdhsa_next_free_sgpr 1
		.amdhsa_reserve_vcc 0
		.amdhsa_reserve_flat_scratch 0
		.amdhsa_float_round_mode_32 0
		.amdhsa_float_round_mode_16_64 0
		.amdhsa_float_denorm_mode_32 3
		.amdhsa_float_denorm_mode_16_64 3
		.amdhsa_dx10_clamp 1
		.amdhsa_ieee_mode 1
		.amdhsa_fp16_overflow 0
		.amdhsa_workgroup_processor_mode 1
		.amdhsa_memory_ordered 1
		.amdhsa_forward_progress 1
		.amdhsa_shared_vgpr_count 0
		.amdhsa_exception_fp_ieee_invalid_op 0
		.amdhsa_exception_fp_denorm_src 0
		.amdhsa_exception_fp_ieee_div_zero 0
		.amdhsa_exception_fp_ieee_overflow 0
		.amdhsa_exception_fp_ieee_underflow 0
		.amdhsa_exception_fp_ieee_inexact 0
		.amdhsa_exception_int_div_zero 0
	.end_amdhsa_kernel
	.section	.text._ZN7rocprim17ROCPRIM_400000_NS6detail17trampoline_kernelINS0_14default_configENS1_27scan_by_key_config_selectorIxxEEZZNS1_16scan_by_key_implILNS1_25lookback_scan_determinismE0ELb0ES3_N6thrust23THRUST_200600_302600_NS6detail15normal_iteratorINS9_10device_ptrIxEEEESE_SE_xNS9_10multipliesIxEENS9_8equal_toIxEExEE10hipError_tPvRmT2_T3_T4_T5_mT6_T7_P12ihipStream_tbENKUlT_T0_E_clISt17integral_constantIbLb1EESZ_EEDaSU_SV_EUlSU_E_NS1_11comp_targetILNS1_3genE9ELNS1_11target_archE1100ELNS1_3gpuE3ELNS1_3repE0EEENS1_30default_config_static_selectorELNS0_4arch9wavefront6targetE0EEEvT1_,"axG",@progbits,_ZN7rocprim17ROCPRIM_400000_NS6detail17trampoline_kernelINS0_14default_configENS1_27scan_by_key_config_selectorIxxEEZZNS1_16scan_by_key_implILNS1_25lookback_scan_determinismE0ELb0ES3_N6thrust23THRUST_200600_302600_NS6detail15normal_iteratorINS9_10device_ptrIxEEEESE_SE_xNS9_10multipliesIxEENS9_8equal_toIxEExEE10hipError_tPvRmT2_T3_T4_T5_mT6_T7_P12ihipStream_tbENKUlT_T0_E_clISt17integral_constantIbLb1EESZ_EEDaSU_SV_EUlSU_E_NS1_11comp_targetILNS1_3genE9ELNS1_11target_archE1100ELNS1_3gpuE3ELNS1_3repE0EEENS1_30default_config_static_selectorELNS0_4arch9wavefront6targetE0EEEvT1_,comdat
.Lfunc_end63:
	.size	_ZN7rocprim17ROCPRIM_400000_NS6detail17trampoline_kernelINS0_14default_configENS1_27scan_by_key_config_selectorIxxEEZZNS1_16scan_by_key_implILNS1_25lookback_scan_determinismE0ELb0ES3_N6thrust23THRUST_200600_302600_NS6detail15normal_iteratorINS9_10device_ptrIxEEEESE_SE_xNS9_10multipliesIxEENS9_8equal_toIxEExEE10hipError_tPvRmT2_T3_T4_T5_mT6_T7_P12ihipStream_tbENKUlT_T0_E_clISt17integral_constantIbLb1EESZ_EEDaSU_SV_EUlSU_E_NS1_11comp_targetILNS1_3genE9ELNS1_11target_archE1100ELNS1_3gpuE3ELNS1_3repE0EEENS1_30default_config_static_selectorELNS0_4arch9wavefront6targetE0EEEvT1_, .Lfunc_end63-_ZN7rocprim17ROCPRIM_400000_NS6detail17trampoline_kernelINS0_14default_configENS1_27scan_by_key_config_selectorIxxEEZZNS1_16scan_by_key_implILNS1_25lookback_scan_determinismE0ELb0ES3_N6thrust23THRUST_200600_302600_NS6detail15normal_iteratorINS9_10device_ptrIxEEEESE_SE_xNS9_10multipliesIxEENS9_8equal_toIxEExEE10hipError_tPvRmT2_T3_T4_T5_mT6_T7_P12ihipStream_tbENKUlT_T0_E_clISt17integral_constantIbLb1EESZ_EEDaSU_SV_EUlSU_E_NS1_11comp_targetILNS1_3genE9ELNS1_11target_archE1100ELNS1_3gpuE3ELNS1_3repE0EEENS1_30default_config_static_selectorELNS0_4arch9wavefront6targetE0EEEvT1_
                                        ; -- End function
	.set _ZN7rocprim17ROCPRIM_400000_NS6detail17trampoline_kernelINS0_14default_configENS1_27scan_by_key_config_selectorIxxEEZZNS1_16scan_by_key_implILNS1_25lookback_scan_determinismE0ELb0ES3_N6thrust23THRUST_200600_302600_NS6detail15normal_iteratorINS9_10device_ptrIxEEEESE_SE_xNS9_10multipliesIxEENS9_8equal_toIxEExEE10hipError_tPvRmT2_T3_T4_T5_mT6_T7_P12ihipStream_tbENKUlT_T0_E_clISt17integral_constantIbLb1EESZ_EEDaSU_SV_EUlSU_E_NS1_11comp_targetILNS1_3genE9ELNS1_11target_archE1100ELNS1_3gpuE3ELNS1_3repE0EEENS1_30default_config_static_selectorELNS0_4arch9wavefront6targetE0EEEvT1_.num_vgpr, 0
	.set _ZN7rocprim17ROCPRIM_400000_NS6detail17trampoline_kernelINS0_14default_configENS1_27scan_by_key_config_selectorIxxEEZZNS1_16scan_by_key_implILNS1_25lookback_scan_determinismE0ELb0ES3_N6thrust23THRUST_200600_302600_NS6detail15normal_iteratorINS9_10device_ptrIxEEEESE_SE_xNS9_10multipliesIxEENS9_8equal_toIxEExEE10hipError_tPvRmT2_T3_T4_T5_mT6_T7_P12ihipStream_tbENKUlT_T0_E_clISt17integral_constantIbLb1EESZ_EEDaSU_SV_EUlSU_E_NS1_11comp_targetILNS1_3genE9ELNS1_11target_archE1100ELNS1_3gpuE3ELNS1_3repE0EEENS1_30default_config_static_selectorELNS0_4arch9wavefront6targetE0EEEvT1_.num_agpr, 0
	.set _ZN7rocprim17ROCPRIM_400000_NS6detail17trampoline_kernelINS0_14default_configENS1_27scan_by_key_config_selectorIxxEEZZNS1_16scan_by_key_implILNS1_25lookback_scan_determinismE0ELb0ES3_N6thrust23THRUST_200600_302600_NS6detail15normal_iteratorINS9_10device_ptrIxEEEESE_SE_xNS9_10multipliesIxEENS9_8equal_toIxEExEE10hipError_tPvRmT2_T3_T4_T5_mT6_T7_P12ihipStream_tbENKUlT_T0_E_clISt17integral_constantIbLb1EESZ_EEDaSU_SV_EUlSU_E_NS1_11comp_targetILNS1_3genE9ELNS1_11target_archE1100ELNS1_3gpuE3ELNS1_3repE0EEENS1_30default_config_static_selectorELNS0_4arch9wavefront6targetE0EEEvT1_.numbered_sgpr, 0
	.set _ZN7rocprim17ROCPRIM_400000_NS6detail17trampoline_kernelINS0_14default_configENS1_27scan_by_key_config_selectorIxxEEZZNS1_16scan_by_key_implILNS1_25lookback_scan_determinismE0ELb0ES3_N6thrust23THRUST_200600_302600_NS6detail15normal_iteratorINS9_10device_ptrIxEEEESE_SE_xNS9_10multipliesIxEENS9_8equal_toIxEExEE10hipError_tPvRmT2_T3_T4_T5_mT6_T7_P12ihipStream_tbENKUlT_T0_E_clISt17integral_constantIbLb1EESZ_EEDaSU_SV_EUlSU_E_NS1_11comp_targetILNS1_3genE9ELNS1_11target_archE1100ELNS1_3gpuE3ELNS1_3repE0EEENS1_30default_config_static_selectorELNS0_4arch9wavefront6targetE0EEEvT1_.num_named_barrier, 0
	.set _ZN7rocprim17ROCPRIM_400000_NS6detail17trampoline_kernelINS0_14default_configENS1_27scan_by_key_config_selectorIxxEEZZNS1_16scan_by_key_implILNS1_25lookback_scan_determinismE0ELb0ES3_N6thrust23THRUST_200600_302600_NS6detail15normal_iteratorINS9_10device_ptrIxEEEESE_SE_xNS9_10multipliesIxEENS9_8equal_toIxEExEE10hipError_tPvRmT2_T3_T4_T5_mT6_T7_P12ihipStream_tbENKUlT_T0_E_clISt17integral_constantIbLb1EESZ_EEDaSU_SV_EUlSU_E_NS1_11comp_targetILNS1_3genE9ELNS1_11target_archE1100ELNS1_3gpuE3ELNS1_3repE0EEENS1_30default_config_static_selectorELNS0_4arch9wavefront6targetE0EEEvT1_.private_seg_size, 0
	.set _ZN7rocprim17ROCPRIM_400000_NS6detail17trampoline_kernelINS0_14default_configENS1_27scan_by_key_config_selectorIxxEEZZNS1_16scan_by_key_implILNS1_25lookback_scan_determinismE0ELb0ES3_N6thrust23THRUST_200600_302600_NS6detail15normal_iteratorINS9_10device_ptrIxEEEESE_SE_xNS9_10multipliesIxEENS9_8equal_toIxEExEE10hipError_tPvRmT2_T3_T4_T5_mT6_T7_P12ihipStream_tbENKUlT_T0_E_clISt17integral_constantIbLb1EESZ_EEDaSU_SV_EUlSU_E_NS1_11comp_targetILNS1_3genE9ELNS1_11target_archE1100ELNS1_3gpuE3ELNS1_3repE0EEENS1_30default_config_static_selectorELNS0_4arch9wavefront6targetE0EEEvT1_.uses_vcc, 0
	.set _ZN7rocprim17ROCPRIM_400000_NS6detail17trampoline_kernelINS0_14default_configENS1_27scan_by_key_config_selectorIxxEEZZNS1_16scan_by_key_implILNS1_25lookback_scan_determinismE0ELb0ES3_N6thrust23THRUST_200600_302600_NS6detail15normal_iteratorINS9_10device_ptrIxEEEESE_SE_xNS9_10multipliesIxEENS9_8equal_toIxEExEE10hipError_tPvRmT2_T3_T4_T5_mT6_T7_P12ihipStream_tbENKUlT_T0_E_clISt17integral_constantIbLb1EESZ_EEDaSU_SV_EUlSU_E_NS1_11comp_targetILNS1_3genE9ELNS1_11target_archE1100ELNS1_3gpuE3ELNS1_3repE0EEENS1_30default_config_static_selectorELNS0_4arch9wavefront6targetE0EEEvT1_.uses_flat_scratch, 0
	.set _ZN7rocprim17ROCPRIM_400000_NS6detail17trampoline_kernelINS0_14default_configENS1_27scan_by_key_config_selectorIxxEEZZNS1_16scan_by_key_implILNS1_25lookback_scan_determinismE0ELb0ES3_N6thrust23THRUST_200600_302600_NS6detail15normal_iteratorINS9_10device_ptrIxEEEESE_SE_xNS9_10multipliesIxEENS9_8equal_toIxEExEE10hipError_tPvRmT2_T3_T4_T5_mT6_T7_P12ihipStream_tbENKUlT_T0_E_clISt17integral_constantIbLb1EESZ_EEDaSU_SV_EUlSU_E_NS1_11comp_targetILNS1_3genE9ELNS1_11target_archE1100ELNS1_3gpuE3ELNS1_3repE0EEENS1_30default_config_static_selectorELNS0_4arch9wavefront6targetE0EEEvT1_.has_dyn_sized_stack, 0
	.set _ZN7rocprim17ROCPRIM_400000_NS6detail17trampoline_kernelINS0_14default_configENS1_27scan_by_key_config_selectorIxxEEZZNS1_16scan_by_key_implILNS1_25lookback_scan_determinismE0ELb0ES3_N6thrust23THRUST_200600_302600_NS6detail15normal_iteratorINS9_10device_ptrIxEEEESE_SE_xNS9_10multipliesIxEENS9_8equal_toIxEExEE10hipError_tPvRmT2_T3_T4_T5_mT6_T7_P12ihipStream_tbENKUlT_T0_E_clISt17integral_constantIbLb1EESZ_EEDaSU_SV_EUlSU_E_NS1_11comp_targetILNS1_3genE9ELNS1_11target_archE1100ELNS1_3gpuE3ELNS1_3repE0EEENS1_30default_config_static_selectorELNS0_4arch9wavefront6targetE0EEEvT1_.has_recursion, 0
	.set _ZN7rocprim17ROCPRIM_400000_NS6detail17trampoline_kernelINS0_14default_configENS1_27scan_by_key_config_selectorIxxEEZZNS1_16scan_by_key_implILNS1_25lookback_scan_determinismE0ELb0ES3_N6thrust23THRUST_200600_302600_NS6detail15normal_iteratorINS9_10device_ptrIxEEEESE_SE_xNS9_10multipliesIxEENS9_8equal_toIxEExEE10hipError_tPvRmT2_T3_T4_T5_mT6_T7_P12ihipStream_tbENKUlT_T0_E_clISt17integral_constantIbLb1EESZ_EEDaSU_SV_EUlSU_E_NS1_11comp_targetILNS1_3genE9ELNS1_11target_archE1100ELNS1_3gpuE3ELNS1_3repE0EEENS1_30default_config_static_selectorELNS0_4arch9wavefront6targetE0EEEvT1_.has_indirect_call, 0
	.section	.AMDGPU.csdata,"",@progbits
; Kernel info:
; codeLenInByte = 0
; TotalNumSgprs: 0
; NumVgprs: 0
; ScratchSize: 0
; MemoryBound: 0
; FloatMode: 240
; IeeeMode: 1
; LDSByteSize: 0 bytes/workgroup (compile time only)
; SGPRBlocks: 0
; VGPRBlocks: 0
; NumSGPRsForWavesPerEU: 1
; NumVGPRsForWavesPerEU: 1
; Occupancy: 16
; WaveLimiterHint : 0
; COMPUTE_PGM_RSRC2:SCRATCH_EN: 0
; COMPUTE_PGM_RSRC2:USER_SGPR: 6
; COMPUTE_PGM_RSRC2:TRAP_HANDLER: 0
; COMPUTE_PGM_RSRC2:TGID_X_EN: 1
; COMPUTE_PGM_RSRC2:TGID_Y_EN: 0
; COMPUTE_PGM_RSRC2:TGID_Z_EN: 0
; COMPUTE_PGM_RSRC2:TIDIG_COMP_CNT: 0
	.section	.text._ZN7rocprim17ROCPRIM_400000_NS6detail17trampoline_kernelINS0_14default_configENS1_27scan_by_key_config_selectorIxxEEZZNS1_16scan_by_key_implILNS1_25lookback_scan_determinismE0ELb0ES3_N6thrust23THRUST_200600_302600_NS6detail15normal_iteratorINS9_10device_ptrIxEEEESE_SE_xNS9_10multipliesIxEENS9_8equal_toIxEExEE10hipError_tPvRmT2_T3_T4_T5_mT6_T7_P12ihipStream_tbENKUlT_T0_E_clISt17integral_constantIbLb1EESZ_EEDaSU_SV_EUlSU_E_NS1_11comp_targetILNS1_3genE8ELNS1_11target_archE1030ELNS1_3gpuE2ELNS1_3repE0EEENS1_30default_config_static_selectorELNS0_4arch9wavefront6targetE0EEEvT1_,"axG",@progbits,_ZN7rocprim17ROCPRIM_400000_NS6detail17trampoline_kernelINS0_14default_configENS1_27scan_by_key_config_selectorIxxEEZZNS1_16scan_by_key_implILNS1_25lookback_scan_determinismE0ELb0ES3_N6thrust23THRUST_200600_302600_NS6detail15normal_iteratorINS9_10device_ptrIxEEEESE_SE_xNS9_10multipliesIxEENS9_8equal_toIxEExEE10hipError_tPvRmT2_T3_T4_T5_mT6_T7_P12ihipStream_tbENKUlT_T0_E_clISt17integral_constantIbLb1EESZ_EEDaSU_SV_EUlSU_E_NS1_11comp_targetILNS1_3genE8ELNS1_11target_archE1030ELNS1_3gpuE2ELNS1_3repE0EEENS1_30default_config_static_selectorELNS0_4arch9wavefront6targetE0EEEvT1_,comdat
	.protected	_ZN7rocprim17ROCPRIM_400000_NS6detail17trampoline_kernelINS0_14default_configENS1_27scan_by_key_config_selectorIxxEEZZNS1_16scan_by_key_implILNS1_25lookback_scan_determinismE0ELb0ES3_N6thrust23THRUST_200600_302600_NS6detail15normal_iteratorINS9_10device_ptrIxEEEESE_SE_xNS9_10multipliesIxEENS9_8equal_toIxEExEE10hipError_tPvRmT2_T3_T4_T5_mT6_T7_P12ihipStream_tbENKUlT_T0_E_clISt17integral_constantIbLb1EESZ_EEDaSU_SV_EUlSU_E_NS1_11comp_targetILNS1_3genE8ELNS1_11target_archE1030ELNS1_3gpuE2ELNS1_3repE0EEENS1_30default_config_static_selectorELNS0_4arch9wavefront6targetE0EEEvT1_ ; -- Begin function _ZN7rocprim17ROCPRIM_400000_NS6detail17trampoline_kernelINS0_14default_configENS1_27scan_by_key_config_selectorIxxEEZZNS1_16scan_by_key_implILNS1_25lookback_scan_determinismE0ELb0ES3_N6thrust23THRUST_200600_302600_NS6detail15normal_iteratorINS9_10device_ptrIxEEEESE_SE_xNS9_10multipliesIxEENS9_8equal_toIxEExEE10hipError_tPvRmT2_T3_T4_T5_mT6_T7_P12ihipStream_tbENKUlT_T0_E_clISt17integral_constantIbLb1EESZ_EEDaSU_SV_EUlSU_E_NS1_11comp_targetILNS1_3genE8ELNS1_11target_archE1030ELNS1_3gpuE2ELNS1_3repE0EEENS1_30default_config_static_selectorELNS0_4arch9wavefront6targetE0EEEvT1_
	.globl	_ZN7rocprim17ROCPRIM_400000_NS6detail17trampoline_kernelINS0_14default_configENS1_27scan_by_key_config_selectorIxxEEZZNS1_16scan_by_key_implILNS1_25lookback_scan_determinismE0ELb0ES3_N6thrust23THRUST_200600_302600_NS6detail15normal_iteratorINS9_10device_ptrIxEEEESE_SE_xNS9_10multipliesIxEENS9_8equal_toIxEExEE10hipError_tPvRmT2_T3_T4_T5_mT6_T7_P12ihipStream_tbENKUlT_T0_E_clISt17integral_constantIbLb1EESZ_EEDaSU_SV_EUlSU_E_NS1_11comp_targetILNS1_3genE8ELNS1_11target_archE1030ELNS1_3gpuE2ELNS1_3repE0EEENS1_30default_config_static_selectorELNS0_4arch9wavefront6targetE0EEEvT1_
	.p2align	8
	.type	_ZN7rocprim17ROCPRIM_400000_NS6detail17trampoline_kernelINS0_14default_configENS1_27scan_by_key_config_selectorIxxEEZZNS1_16scan_by_key_implILNS1_25lookback_scan_determinismE0ELb0ES3_N6thrust23THRUST_200600_302600_NS6detail15normal_iteratorINS9_10device_ptrIxEEEESE_SE_xNS9_10multipliesIxEENS9_8equal_toIxEExEE10hipError_tPvRmT2_T3_T4_T5_mT6_T7_P12ihipStream_tbENKUlT_T0_E_clISt17integral_constantIbLb1EESZ_EEDaSU_SV_EUlSU_E_NS1_11comp_targetILNS1_3genE8ELNS1_11target_archE1030ELNS1_3gpuE2ELNS1_3repE0EEENS1_30default_config_static_selectorELNS0_4arch9wavefront6targetE0EEEvT1_,@function
_ZN7rocprim17ROCPRIM_400000_NS6detail17trampoline_kernelINS0_14default_configENS1_27scan_by_key_config_selectorIxxEEZZNS1_16scan_by_key_implILNS1_25lookback_scan_determinismE0ELb0ES3_N6thrust23THRUST_200600_302600_NS6detail15normal_iteratorINS9_10device_ptrIxEEEESE_SE_xNS9_10multipliesIxEENS9_8equal_toIxEExEE10hipError_tPvRmT2_T3_T4_T5_mT6_T7_P12ihipStream_tbENKUlT_T0_E_clISt17integral_constantIbLb1EESZ_EEDaSU_SV_EUlSU_E_NS1_11comp_targetILNS1_3genE8ELNS1_11target_archE1030ELNS1_3gpuE2ELNS1_3repE0EEENS1_30default_config_static_selectorELNS0_4arch9wavefront6targetE0EEEvT1_: ; @_ZN7rocprim17ROCPRIM_400000_NS6detail17trampoline_kernelINS0_14default_configENS1_27scan_by_key_config_selectorIxxEEZZNS1_16scan_by_key_implILNS1_25lookback_scan_determinismE0ELb0ES3_N6thrust23THRUST_200600_302600_NS6detail15normal_iteratorINS9_10device_ptrIxEEEESE_SE_xNS9_10multipliesIxEENS9_8equal_toIxEExEE10hipError_tPvRmT2_T3_T4_T5_mT6_T7_P12ihipStream_tbENKUlT_T0_E_clISt17integral_constantIbLb1EESZ_EEDaSU_SV_EUlSU_E_NS1_11comp_targetILNS1_3genE8ELNS1_11target_archE1030ELNS1_3gpuE2ELNS1_3repE0EEENS1_30default_config_static_selectorELNS0_4arch9wavefront6targetE0EEEvT1_
; %bb.0:
	s_endpgm
	.section	.rodata,"a",@progbits
	.p2align	6, 0x0
	.amdhsa_kernel _ZN7rocprim17ROCPRIM_400000_NS6detail17trampoline_kernelINS0_14default_configENS1_27scan_by_key_config_selectorIxxEEZZNS1_16scan_by_key_implILNS1_25lookback_scan_determinismE0ELb0ES3_N6thrust23THRUST_200600_302600_NS6detail15normal_iteratorINS9_10device_ptrIxEEEESE_SE_xNS9_10multipliesIxEENS9_8equal_toIxEExEE10hipError_tPvRmT2_T3_T4_T5_mT6_T7_P12ihipStream_tbENKUlT_T0_E_clISt17integral_constantIbLb1EESZ_EEDaSU_SV_EUlSU_E_NS1_11comp_targetILNS1_3genE8ELNS1_11target_archE1030ELNS1_3gpuE2ELNS1_3repE0EEENS1_30default_config_static_selectorELNS0_4arch9wavefront6targetE0EEEvT1_
		.amdhsa_group_segment_fixed_size 0
		.amdhsa_private_segment_fixed_size 0
		.amdhsa_kernarg_size 136
		.amdhsa_user_sgpr_count 6
		.amdhsa_user_sgpr_private_segment_buffer 1
		.amdhsa_user_sgpr_dispatch_ptr 0
		.amdhsa_user_sgpr_queue_ptr 0
		.amdhsa_user_sgpr_kernarg_segment_ptr 1
		.amdhsa_user_sgpr_dispatch_id 0
		.amdhsa_user_sgpr_flat_scratch_init 0
		.amdhsa_user_sgpr_private_segment_size 0
		.amdhsa_wavefront_size32 1
		.amdhsa_uses_dynamic_stack 0
		.amdhsa_system_sgpr_private_segment_wavefront_offset 0
		.amdhsa_system_sgpr_workgroup_id_x 1
		.amdhsa_system_sgpr_workgroup_id_y 0
		.amdhsa_system_sgpr_workgroup_id_z 0
		.amdhsa_system_sgpr_workgroup_info 0
		.amdhsa_system_vgpr_workitem_id 0
		.amdhsa_next_free_vgpr 1
		.amdhsa_next_free_sgpr 1
		.amdhsa_reserve_vcc 0
		.amdhsa_reserve_flat_scratch 0
		.amdhsa_float_round_mode_32 0
		.amdhsa_float_round_mode_16_64 0
		.amdhsa_float_denorm_mode_32 3
		.amdhsa_float_denorm_mode_16_64 3
		.amdhsa_dx10_clamp 1
		.amdhsa_ieee_mode 1
		.amdhsa_fp16_overflow 0
		.amdhsa_workgroup_processor_mode 1
		.amdhsa_memory_ordered 1
		.amdhsa_forward_progress 1
		.amdhsa_shared_vgpr_count 0
		.amdhsa_exception_fp_ieee_invalid_op 0
		.amdhsa_exception_fp_denorm_src 0
		.amdhsa_exception_fp_ieee_div_zero 0
		.amdhsa_exception_fp_ieee_overflow 0
		.amdhsa_exception_fp_ieee_underflow 0
		.amdhsa_exception_fp_ieee_inexact 0
		.amdhsa_exception_int_div_zero 0
	.end_amdhsa_kernel
	.section	.text._ZN7rocprim17ROCPRIM_400000_NS6detail17trampoline_kernelINS0_14default_configENS1_27scan_by_key_config_selectorIxxEEZZNS1_16scan_by_key_implILNS1_25lookback_scan_determinismE0ELb0ES3_N6thrust23THRUST_200600_302600_NS6detail15normal_iteratorINS9_10device_ptrIxEEEESE_SE_xNS9_10multipliesIxEENS9_8equal_toIxEExEE10hipError_tPvRmT2_T3_T4_T5_mT6_T7_P12ihipStream_tbENKUlT_T0_E_clISt17integral_constantIbLb1EESZ_EEDaSU_SV_EUlSU_E_NS1_11comp_targetILNS1_3genE8ELNS1_11target_archE1030ELNS1_3gpuE2ELNS1_3repE0EEENS1_30default_config_static_selectorELNS0_4arch9wavefront6targetE0EEEvT1_,"axG",@progbits,_ZN7rocprim17ROCPRIM_400000_NS6detail17trampoline_kernelINS0_14default_configENS1_27scan_by_key_config_selectorIxxEEZZNS1_16scan_by_key_implILNS1_25lookback_scan_determinismE0ELb0ES3_N6thrust23THRUST_200600_302600_NS6detail15normal_iteratorINS9_10device_ptrIxEEEESE_SE_xNS9_10multipliesIxEENS9_8equal_toIxEExEE10hipError_tPvRmT2_T3_T4_T5_mT6_T7_P12ihipStream_tbENKUlT_T0_E_clISt17integral_constantIbLb1EESZ_EEDaSU_SV_EUlSU_E_NS1_11comp_targetILNS1_3genE8ELNS1_11target_archE1030ELNS1_3gpuE2ELNS1_3repE0EEENS1_30default_config_static_selectorELNS0_4arch9wavefront6targetE0EEEvT1_,comdat
.Lfunc_end64:
	.size	_ZN7rocprim17ROCPRIM_400000_NS6detail17trampoline_kernelINS0_14default_configENS1_27scan_by_key_config_selectorIxxEEZZNS1_16scan_by_key_implILNS1_25lookback_scan_determinismE0ELb0ES3_N6thrust23THRUST_200600_302600_NS6detail15normal_iteratorINS9_10device_ptrIxEEEESE_SE_xNS9_10multipliesIxEENS9_8equal_toIxEExEE10hipError_tPvRmT2_T3_T4_T5_mT6_T7_P12ihipStream_tbENKUlT_T0_E_clISt17integral_constantIbLb1EESZ_EEDaSU_SV_EUlSU_E_NS1_11comp_targetILNS1_3genE8ELNS1_11target_archE1030ELNS1_3gpuE2ELNS1_3repE0EEENS1_30default_config_static_selectorELNS0_4arch9wavefront6targetE0EEEvT1_, .Lfunc_end64-_ZN7rocprim17ROCPRIM_400000_NS6detail17trampoline_kernelINS0_14default_configENS1_27scan_by_key_config_selectorIxxEEZZNS1_16scan_by_key_implILNS1_25lookback_scan_determinismE0ELb0ES3_N6thrust23THRUST_200600_302600_NS6detail15normal_iteratorINS9_10device_ptrIxEEEESE_SE_xNS9_10multipliesIxEENS9_8equal_toIxEExEE10hipError_tPvRmT2_T3_T4_T5_mT6_T7_P12ihipStream_tbENKUlT_T0_E_clISt17integral_constantIbLb1EESZ_EEDaSU_SV_EUlSU_E_NS1_11comp_targetILNS1_3genE8ELNS1_11target_archE1030ELNS1_3gpuE2ELNS1_3repE0EEENS1_30default_config_static_selectorELNS0_4arch9wavefront6targetE0EEEvT1_
                                        ; -- End function
	.set _ZN7rocprim17ROCPRIM_400000_NS6detail17trampoline_kernelINS0_14default_configENS1_27scan_by_key_config_selectorIxxEEZZNS1_16scan_by_key_implILNS1_25lookback_scan_determinismE0ELb0ES3_N6thrust23THRUST_200600_302600_NS6detail15normal_iteratorINS9_10device_ptrIxEEEESE_SE_xNS9_10multipliesIxEENS9_8equal_toIxEExEE10hipError_tPvRmT2_T3_T4_T5_mT6_T7_P12ihipStream_tbENKUlT_T0_E_clISt17integral_constantIbLb1EESZ_EEDaSU_SV_EUlSU_E_NS1_11comp_targetILNS1_3genE8ELNS1_11target_archE1030ELNS1_3gpuE2ELNS1_3repE0EEENS1_30default_config_static_selectorELNS0_4arch9wavefront6targetE0EEEvT1_.num_vgpr, 0
	.set _ZN7rocprim17ROCPRIM_400000_NS6detail17trampoline_kernelINS0_14default_configENS1_27scan_by_key_config_selectorIxxEEZZNS1_16scan_by_key_implILNS1_25lookback_scan_determinismE0ELb0ES3_N6thrust23THRUST_200600_302600_NS6detail15normal_iteratorINS9_10device_ptrIxEEEESE_SE_xNS9_10multipliesIxEENS9_8equal_toIxEExEE10hipError_tPvRmT2_T3_T4_T5_mT6_T7_P12ihipStream_tbENKUlT_T0_E_clISt17integral_constantIbLb1EESZ_EEDaSU_SV_EUlSU_E_NS1_11comp_targetILNS1_3genE8ELNS1_11target_archE1030ELNS1_3gpuE2ELNS1_3repE0EEENS1_30default_config_static_selectorELNS0_4arch9wavefront6targetE0EEEvT1_.num_agpr, 0
	.set _ZN7rocprim17ROCPRIM_400000_NS6detail17trampoline_kernelINS0_14default_configENS1_27scan_by_key_config_selectorIxxEEZZNS1_16scan_by_key_implILNS1_25lookback_scan_determinismE0ELb0ES3_N6thrust23THRUST_200600_302600_NS6detail15normal_iteratorINS9_10device_ptrIxEEEESE_SE_xNS9_10multipliesIxEENS9_8equal_toIxEExEE10hipError_tPvRmT2_T3_T4_T5_mT6_T7_P12ihipStream_tbENKUlT_T0_E_clISt17integral_constantIbLb1EESZ_EEDaSU_SV_EUlSU_E_NS1_11comp_targetILNS1_3genE8ELNS1_11target_archE1030ELNS1_3gpuE2ELNS1_3repE0EEENS1_30default_config_static_selectorELNS0_4arch9wavefront6targetE0EEEvT1_.numbered_sgpr, 0
	.set _ZN7rocprim17ROCPRIM_400000_NS6detail17trampoline_kernelINS0_14default_configENS1_27scan_by_key_config_selectorIxxEEZZNS1_16scan_by_key_implILNS1_25lookback_scan_determinismE0ELb0ES3_N6thrust23THRUST_200600_302600_NS6detail15normal_iteratorINS9_10device_ptrIxEEEESE_SE_xNS9_10multipliesIxEENS9_8equal_toIxEExEE10hipError_tPvRmT2_T3_T4_T5_mT6_T7_P12ihipStream_tbENKUlT_T0_E_clISt17integral_constantIbLb1EESZ_EEDaSU_SV_EUlSU_E_NS1_11comp_targetILNS1_3genE8ELNS1_11target_archE1030ELNS1_3gpuE2ELNS1_3repE0EEENS1_30default_config_static_selectorELNS0_4arch9wavefront6targetE0EEEvT1_.num_named_barrier, 0
	.set _ZN7rocprim17ROCPRIM_400000_NS6detail17trampoline_kernelINS0_14default_configENS1_27scan_by_key_config_selectorIxxEEZZNS1_16scan_by_key_implILNS1_25lookback_scan_determinismE0ELb0ES3_N6thrust23THRUST_200600_302600_NS6detail15normal_iteratorINS9_10device_ptrIxEEEESE_SE_xNS9_10multipliesIxEENS9_8equal_toIxEExEE10hipError_tPvRmT2_T3_T4_T5_mT6_T7_P12ihipStream_tbENKUlT_T0_E_clISt17integral_constantIbLb1EESZ_EEDaSU_SV_EUlSU_E_NS1_11comp_targetILNS1_3genE8ELNS1_11target_archE1030ELNS1_3gpuE2ELNS1_3repE0EEENS1_30default_config_static_selectorELNS0_4arch9wavefront6targetE0EEEvT1_.private_seg_size, 0
	.set _ZN7rocprim17ROCPRIM_400000_NS6detail17trampoline_kernelINS0_14default_configENS1_27scan_by_key_config_selectorIxxEEZZNS1_16scan_by_key_implILNS1_25lookback_scan_determinismE0ELb0ES3_N6thrust23THRUST_200600_302600_NS6detail15normal_iteratorINS9_10device_ptrIxEEEESE_SE_xNS9_10multipliesIxEENS9_8equal_toIxEExEE10hipError_tPvRmT2_T3_T4_T5_mT6_T7_P12ihipStream_tbENKUlT_T0_E_clISt17integral_constantIbLb1EESZ_EEDaSU_SV_EUlSU_E_NS1_11comp_targetILNS1_3genE8ELNS1_11target_archE1030ELNS1_3gpuE2ELNS1_3repE0EEENS1_30default_config_static_selectorELNS0_4arch9wavefront6targetE0EEEvT1_.uses_vcc, 0
	.set _ZN7rocprim17ROCPRIM_400000_NS6detail17trampoline_kernelINS0_14default_configENS1_27scan_by_key_config_selectorIxxEEZZNS1_16scan_by_key_implILNS1_25lookback_scan_determinismE0ELb0ES3_N6thrust23THRUST_200600_302600_NS6detail15normal_iteratorINS9_10device_ptrIxEEEESE_SE_xNS9_10multipliesIxEENS9_8equal_toIxEExEE10hipError_tPvRmT2_T3_T4_T5_mT6_T7_P12ihipStream_tbENKUlT_T0_E_clISt17integral_constantIbLb1EESZ_EEDaSU_SV_EUlSU_E_NS1_11comp_targetILNS1_3genE8ELNS1_11target_archE1030ELNS1_3gpuE2ELNS1_3repE0EEENS1_30default_config_static_selectorELNS0_4arch9wavefront6targetE0EEEvT1_.uses_flat_scratch, 0
	.set _ZN7rocprim17ROCPRIM_400000_NS6detail17trampoline_kernelINS0_14default_configENS1_27scan_by_key_config_selectorIxxEEZZNS1_16scan_by_key_implILNS1_25lookback_scan_determinismE0ELb0ES3_N6thrust23THRUST_200600_302600_NS6detail15normal_iteratorINS9_10device_ptrIxEEEESE_SE_xNS9_10multipliesIxEENS9_8equal_toIxEExEE10hipError_tPvRmT2_T3_T4_T5_mT6_T7_P12ihipStream_tbENKUlT_T0_E_clISt17integral_constantIbLb1EESZ_EEDaSU_SV_EUlSU_E_NS1_11comp_targetILNS1_3genE8ELNS1_11target_archE1030ELNS1_3gpuE2ELNS1_3repE0EEENS1_30default_config_static_selectorELNS0_4arch9wavefront6targetE0EEEvT1_.has_dyn_sized_stack, 0
	.set _ZN7rocprim17ROCPRIM_400000_NS6detail17trampoline_kernelINS0_14default_configENS1_27scan_by_key_config_selectorIxxEEZZNS1_16scan_by_key_implILNS1_25lookback_scan_determinismE0ELb0ES3_N6thrust23THRUST_200600_302600_NS6detail15normal_iteratorINS9_10device_ptrIxEEEESE_SE_xNS9_10multipliesIxEENS9_8equal_toIxEExEE10hipError_tPvRmT2_T3_T4_T5_mT6_T7_P12ihipStream_tbENKUlT_T0_E_clISt17integral_constantIbLb1EESZ_EEDaSU_SV_EUlSU_E_NS1_11comp_targetILNS1_3genE8ELNS1_11target_archE1030ELNS1_3gpuE2ELNS1_3repE0EEENS1_30default_config_static_selectorELNS0_4arch9wavefront6targetE0EEEvT1_.has_recursion, 0
	.set _ZN7rocprim17ROCPRIM_400000_NS6detail17trampoline_kernelINS0_14default_configENS1_27scan_by_key_config_selectorIxxEEZZNS1_16scan_by_key_implILNS1_25lookback_scan_determinismE0ELb0ES3_N6thrust23THRUST_200600_302600_NS6detail15normal_iteratorINS9_10device_ptrIxEEEESE_SE_xNS9_10multipliesIxEENS9_8equal_toIxEExEE10hipError_tPvRmT2_T3_T4_T5_mT6_T7_P12ihipStream_tbENKUlT_T0_E_clISt17integral_constantIbLb1EESZ_EEDaSU_SV_EUlSU_E_NS1_11comp_targetILNS1_3genE8ELNS1_11target_archE1030ELNS1_3gpuE2ELNS1_3repE0EEENS1_30default_config_static_selectorELNS0_4arch9wavefront6targetE0EEEvT1_.has_indirect_call, 0
	.section	.AMDGPU.csdata,"",@progbits
; Kernel info:
; codeLenInByte = 4
; TotalNumSgprs: 0
; NumVgprs: 0
; ScratchSize: 0
; MemoryBound: 0
; FloatMode: 240
; IeeeMode: 1
; LDSByteSize: 0 bytes/workgroup (compile time only)
; SGPRBlocks: 0
; VGPRBlocks: 0
; NumSGPRsForWavesPerEU: 1
; NumVGPRsForWavesPerEU: 1
; Occupancy: 16
; WaveLimiterHint : 0
; COMPUTE_PGM_RSRC2:SCRATCH_EN: 0
; COMPUTE_PGM_RSRC2:USER_SGPR: 6
; COMPUTE_PGM_RSRC2:TRAP_HANDLER: 0
; COMPUTE_PGM_RSRC2:TGID_X_EN: 1
; COMPUTE_PGM_RSRC2:TGID_Y_EN: 0
; COMPUTE_PGM_RSRC2:TGID_Z_EN: 0
; COMPUTE_PGM_RSRC2:TIDIG_COMP_CNT: 0
	.section	.text._ZN7rocprim17ROCPRIM_400000_NS6detail17trampoline_kernelINS0_14default_configENS1_27scan_by_key_config_selectorIxxEEZZNS1_16scan_by_key_implILNS1_25lookback_scan_determinismE0ELb0ES3_N6thrust23THRUST_200600_302600_NS6detail15normal_iteratorINS9_10device_ptrIxEEEESE_SE_xNS9_10multipliesIxEENS9_8equal_toIxEExEE10hipError_tPvRmT2_T3_T4_T5_mT6_T7_P12ihipStream_tbENKUlT_T0_E_clISt17integral_constantIbLb1EESY_IbLb0EEEEDaSU_SV_EUlSU_E_NS1_11comp_targetILNS1_3genE0ELNS1_11target_archE4294967295ELNS1_3gpuE0ELNS1_3repE0EEENS1_30default_config_static_selectorELNS0_4arch9wavefront6targetE0EEEvT1_,"axG",@progbits,_ZN7rocprim17ROCPRIM_400000_NS6detail17trampoline_kernelINS0_14default_configENS1_27scan_by_key_config_selectorIxxEEZZNS1_16scan_by_key_implILNS1_25lookback_scan_determinismE0ELb0ES3_N6thrust23THRUST_200600_302600_NS6detail15normal_iteratorINS9_10device_ptrIxEEEESE_SE_xNS9_10multipliesIxEENS9_8equal_toIxEExEE10hipError_tPvRmT2_T3_T4_T5_mT6_T7_P12ihipStream_tbENKUlT_T0_E_clISt17integral_constantIbLb1EESY_IbLb0EEEEDaSU_SV_EUlSU_E_NS1_11comp_targetILNS1_3genE0ELNS1_11target_archE4294967295ELNS1_3gpuE0ELNS1_3repE0EEENS1_30default_config_static_selectorELNS0_4arch9wavefront6targetE0EEEvT1_,comdat
	.protected	_ZN7rocprim17ROCPRIM_400000_NS6detail17trampoline_kernelINS0_14default_configENS1_27scan_by_key_config_selectorIxxEEZZNS1_16scan_by_key_implILNS1_25lookback_scan_determinismE0ELb0ES3_N6thrust23THRUST_200600_302600_NS6detail15normal_iteratorINS9_10device_ptrIxEEEESE_SE_xNS9_10multipliesIxEENS9_8equal_toIxEExEE10hipError_tPvRmT2_T3_T4_T5_mT6_T7_P12ihipStream_tbENKUlT_T0_E_clISt17integral_constantIbLb1EESY_IbLb0EEEEDaSU_SV_EUlSU_E_NS1_11comp_targetILNS1_3genE0ELNS1_11target_archE4294967295ELNS1_3gpuE0ELNS1_3repE0EEENS1_30default_config_static_selectorELNS0_4arch9wavefront6targetE0EEEvT1_ ; -- Begin function _ZN7rocprim17ROCPRIM_400000_NS6detail17trampoline_kernelINS0_14default_configENS1_27scan_by_key_config_selectorIxxEEZZNS1_16scan_by_key_implILNS1_25lookback_scan_determinismE0ELb0ES3_N6thrust23THRUST_200600_302600_NS6detail15normal_iteratorINS9_10device_ptrIxEEEESE_SE_xNS9_10multipliesIxEENS9_8equal_toIxEExEE10hipError_tPvRmT2_T3_T4_T5_mT6_T7_P12ihipStream_tbENKUlT_T0_E_clISt17integral_constantIbLb1EESY_IbLb0EEEEDaSU_SV_EUlSU_E_NS1_11comp_targetILNS1_3genE0ELNS1_11target_archE4294967295ELNS1_3gpuE0ELNS1_3repE0EEENS1_30default_config_static_selectorELNS0_4arch9wavefront6targetE0EEEvT1_
	.globl	_ZN7rocprim17ROCPRIM_400000_NS6detail17trampoline_kernelINS0_14default_configENS1_27scan_by_key_config_selectorIxxEEZZNS1_16scan_by_key_implILNS1_25lookback_scan_determinismE0ELb0ES3_N6thrust23THRUST_200600_302600_NS6detail15normal_iteratorINS9_10device_ptrIxEEEESE_SE_xNS9_10multipliesIxEENS9_8equal_toIxEExEE10hipError_tPvRmT2_T3_T4_T5_mT6_T7_P12ihipStream_tbENKUlT_T0_E_clISt17integral_constantIbLb1EESY_IbLb0EEEEDaSU_SV_EUlSU_E_NS1_11comp_targetILNS1_3genE0ELNS1_11target_archE4294967295ELNS1_3gpuE0ELNS1_3repE0EEENS1_30default_config_static_selectorELNS0_4arch9wavefront6targetE0EEEvT1_
	.p2align	8
	.type	_ZN7rocprim17ROCPRIM_400000_NS6detail17trampoline_kernelINS0_14default_configENS1_27scan_by_key_config_selectorIxxEEZZNS1_16scan_by_key_implILNS1_25lookback_scan_determinismE0ELb0ES3_N6thrust23THRUST_200600_302600_NS6detail15normal_iteratorINS9_10device_ptrIxEEEESE_SE_xNS9_10multipliesIxEENS9_8equal_toIxEExEE10hipError_tPvRmT2_T3_T4_T5_mT6_T7_P12ihipStream_tbENKUlT_T0_E_clISt17integral_constantIbLb1EESY_IbLb0EEEEDaSU_SV_EUlSU_E_NS1_11comp_targetILNS1_3genE0ELNS1_11target_archE4294967295ELNS1_3gpuE0ELNS1_3repE0EEENS1_30default_config_static_selectorELNS0_4arch9wavefront6targetE0EEEvT1_,@function
_ZN7rocprim17ROCPRIM_400000_NS6detail17trampoline_kernelINS0_14default_configENS1_27scan_by_key_config_selectorIxxEEZZNS1_16scan_by_key_implILNS1_25lookback_scan_determinismE0ELb0ES3_N6thrust23THRUST_200600_302600_NS6detail15normal_iteratorINS9_10device_ptrIxEEEESE_SE_xNS9_10multipliesIxEENS9_8equal_toIxEExEE10hipError_tPvRmT2_T3_T4_T5_mT6_T7_P12ihipStream_tbENKUlT_T0_E_clISt17integral_constantIbLb1EESY_IbLb0EEEEDaSU_SV_EUlSU_E_NS1_11comp_targetILNS1_3genE0ELNS1_11target_archE4294967295ELNS1_3gpuE0ELNS1_3repE0EEENS1_30default_config_static_selectorELNS0_4arch9wavefront6targetE0EEEvT1_: ; @_ZN7rocprim17ROCPRIM_400000_NS6detail17trampoline_kernelINS0_14default_configENS1_27scan_by_key_config_selectorIxxEEZZNS1_16scan_by_key_implILNS1_25lookback_scan_determinismE0ELb0ES3_N6thrust23THRUST_200600_302600_NS6detail15normal_iteratorINS9_10device_ptrIxEEEESE_SE_xNS9_10multipliesIxEENS9_8equal_toIxEExEE10hipError_tPvRmT2_T3_T4_T5_mT6_T7_P12ihipStream_tbENKUlT_T0_E_clISt17integral_constantIbLb1EESY_IbLb0EEEEDaSU_SV_EUlSU_E_NS1_11comp_targetILNS1_3genE0ELNS1_11target_archE4294967295ELNS1_3gpuE0ELNS1_3repE0EEENS1_30default_config_static_selectorELNS0_4arch9wavefront6targetE0EEEvT1_
; %bb.0:
	.section	.rodata,"a",@progbits
	.p2align	6, 0x0
	.amdhsa_kernel _ZN7rocprim17ROCPRIM_400000_NS6detail17trampoline_kernelINS0_14default_configENS1_27scan_by_key_config_selectorIxxEEZZNS1_16scan_by_key_implILNS1_25lookback_scan_determinismE0ELb0ES3_N6thrust23THRUST_200600_302600_NS6detail15normal_iteratorINS9_10device_ptrIxEEEESE_SE_xNS9_10multipliesIxEENS9_8equal_toIxEExEE10hipError_tPvRmT2_T3_T4_T5_mT6_T7_P12ihipStream_tbENKUlT_T0_E_clISt17integral_constantIbLb1EESY_IbLb0EEEEDaSU_SV_EUlSU_E_NS1_11comp_targetILNS1_3genE0ELNS1_11target_archE4294967295ELNS1_3gpuE0ELNS1_3repE0EEENS1_30default_config_static_selectorELNS0_4arch9wavefront6targetE0EEEvT1_
		.amdhsa_group_segment_fixed_size 0
		.amdhsa_private_segment_fixed_size 0
		.amdhsa_kernarg_size 136
		.amdhsa_user_sgpr_count 6
		.amdhsa_user_sgpr_private_segment_buffer 1
		.amdhsa_user_sgpr_dispatch_ptr 0
		.amdhsa_user_sgpr_queue_ptr 0
		.amdhsa_user_sgpr_kernarg_segment_ptr 1
		.amdhsa_user_sgpr_dispatch_id 0
		.amdhsa_user_sgpr_flat_scratch_init 0
		.amdhsa_user_sgpr_private_segment_size 0
		.amdhsa_wavefront_size32 1
		.amdhsa_uses_dynamic_stack 0
		.amdhsa_system_sgpr_private_segment_wavefront_offset 0
		.amdhsa_system_sgpr_workgroup_id_x 1
		.amdhsa_system_sgpr_workgroup_id_y 0
		.amdhsa_system_sgpr_workgroup_id_z 0
		.amdhsa_system_sgpr_workgroup_info 0
		.amdhsa_system_vgpr_workitem_id 0
		.amdhsa_next_free_vgpr 1
		.amdhsa_next_free_sgpr 1
		.amdhsa_reserve_vcc 0
		.amdhsa_reserve_flat_scratch 0
		.amdhsa_float_round_mode_32 0
		.amdhsa_float_round_mode_16_64 0
		.amdhsa_float_denorm_mode_32 3
		.amdhsa_float_denorm_mode_16_64 3
		.amdhsa_dx10_clamp 1
		.amdhsa_ieee_mode 1
		.amdhsa_fp16_overflow 0
		.amdhsa_workgroup_processor_mode 1
		.amdhsa_memory_ordered 1
		.amdhsa_forward_progress 1
		.amdhsa_shared_vgpr_count 0
		.amdhsa_exception_fp_ieee_invalid_op 0
		.amdhsa_exception_fp_denorm_src 0
		.amdhsa_exception_fp_ieee_div_zero 0
		.amdhsa_exception_fp_ieee_overflow 0
		.amdhsa_exception_fp_ieee_underflow 0
		.amdhsa_exception_fp_ieee_inexact 0
		.amdhsa_exception_int_div_zero 0
	.end_amdhsa_kernel
	.section	.text._ZN7rocprim17ROCPRIM_400000_NS6detail17trampoline_kernelINS0_14default_configENS1_27scan_by_key_config_selectorIxxEEZZNS1_16scan_by_key_implILNS1_25lookback_scan_determinismE0ELb0ES3_N6thrust23THRUST_200600_302600_NS6detail15normal_iteratorINS9_10device_ptrIxEEEESE_SE_xNS9_10multipliesIxEENS9_8equal_toIxEExEE10hipError_tPvRmT2_T3_T4_T5_mT6_T7_P12ihipStream_tbENKUlT_T0_E_clISt17integral_constantIbLb1EESY_IbLb0EEEEDaSU_SV_EUlSU_E_NS1_11comp_targetILNS1_3genE0ELNS1_11target_archE4294967295ELNS1_3gpuE0ELNS1_3repE0EEENS1_30default_config_static_selectorELNS0_4arch9wavefront6targetE0EEEvT1_,"axG",@progbits,_ZN7rocprim17ROCPRIM_400000_NS6detail17trampoline_kernelINS0_14default_configENS1_27scan_by_key_config_selectorIxxEEZZNS1_16scan_by_key_implILNS1_25lookback_scan_determinismE0ELb0ES3_N6thrust23THRUST_200600_302600_NS6detail15normal_iteratorINS9_10device_ptrIxEEEESE_SE_xNS9_10multipliesIxEENS9_8equal_toIxEExEE10hipError_tPvRmT2_T3_T4_T5_mT6_T7_P12ihipStream_tbENKUlT_T0_E_clISt17integral_constantIbLb1EESY_IbLb0EEEEDaSU_SV_EUlSU_E_NS1_11comp_targetILNS1_3genE0ELNS1_11target_archE4294967295ELNS1_3gpuE0ELNS1_3repE0EEENS1_30default_config_static_selectorELNS0_4arch9wavefront6targetE0EEEvT1_,comdat
.Lfunc_end65:
	.size	_ZN7rocprim17ROCPRIM_400000_NS6detail17trampoline_kernelINS0_14default_configENS1_27scan_by_key_config_selectorIxxEEZZNS1_16scan_by_key_implILNS1_25lookback_scan_determinismE0ELb0ES3_N6thrust23THRUST_200600_302600_NS6detail15normal_iteratorINS9_10device_ptrIxEEEESE_SE_xNS9_10multipliesIxEENS9_8equal_toIxEExEE10hipError_tPvRmT2_T3_T4_T5_mT6_T7_P12ihipStream_tbENKUlT_T0_E_clISt17integral_constantIbLb1EESY_IbLb0EEEEDaSU_SV_EUlSU_E_NS1_11comp_targetILNS1_3genE0ELNS1_11target_archE4294967295ELNS1_3gpuE0ELNS1_3repE0EEENS1_30default_config_static_selectorELNS0_4arch9wavefront6targetE0EEEvT1_, .Lfunc_end65-_ZN7rocprim17ROCPRIM_400000_NS6detail17trampoline_kernelINS0_14default_configENS1_27scan_by_key_config_selectorIxxEEZZNS1_16scan_by_key_implILNS1_25lookback_scan_determinismE0ELb0ES3_N6thrust23THRUST_200600_302600_NS6detail15normal_iteratorINS9_10device_ptrIxEEEESE_SE_xNS9_10multipliesIxEENS9_8equal_toIxEExEE10hipError_tPvRmT2_T3_T4_T5_mT6_T7_P12ihipStream_tbENKUlT_T0_E_clISt17integral_constantIbLb1EESY_IbLb0EEEEDaSU_SV_EUlSU_E_NS1_11comp_targetILNS1_3genE0ELNS1_11target_archE4294967295ELNS1_3gpuE0ELNS1_3repE0EEENS1_30default_config_static_selectorELNS0_4arch9wavefront6targetE0EEEvT1_
                                        ; -- End function
	.set _ZN7rocprim17ROCPRIM_400000_NS6detail17trampoline_kernelINS0_14default_configENS1_27scan_by_key_config_selectorIxxEEZZNS1_16scan_by_key_implILNS1_25lookback_scan_determinismE0ELb0ES3_N6thrust23THRUST_200600_302600_NS6detail15normal_iteratorINS9_10device_ptrIxEEEESE_SE_xNS9_10multipliesIxEENS9_8equal_toIxEExEE10hipError_tPvRmT2_T3_T4_T5_mT6_T7_P12ihipStream_tbENKUlT_T0_E_clISt17integral_constantIbLb1EESY_IbLb0EEEEDaSU_SV_EUlSU_E_NS1_11comp_targetILNS1_3genE0ELNS1_11target_archE4294967295ELNS1_3gpuE0ELNS1_3repE0EEENS1_30default_config_static_selectorELNS0_4arch9wavefront6targetE0EEEvT1_.num_vgpr, 0
	.set _ZN7rocprim17ROCPRIM_400000_NS6detail17trampoline_kernelINS0_14default_configENS1_27scan_by_key_config_selectorIxxEEZZNS1_16scan_by_key_implILNS1_25lookback_scan_determinismE0ELb0ES3_N6thrust23THRUST_200600_302600_NS6detail15normal_iteratorINS9_10device_ptrIxEEEESE_SE_xNS9_10multipliesIxEENS9_8equal_toIxEExEE10hipError_tPvRmT2_T3_T4_T5_mT6_T7_P12ihipStream_tbENKUlT_T0_E_clISt17integral_constantIbLb1EESY_IbLb0EEEEDaSU_SV_EUlSU_E_NS1_11comp_targetILNS1_3genE0ELNS1_11target_archE4294967295ELNS1_3gpuE0ELNS1_3repE0EEENS1_30default_config_static_selectorELNS0_4arch9wavefront6targetE0EEEvT1_.num_agpr, 0
	.set _ZN7rocprim17ROCPRIM_400000_NS6detail17trampoline_kernelINS0_14default_configENS1_27scan_by_key_config_selectorIxxEEZZNS1_16scan_by_key_implILNS1_25lookback_scan_determinismE0ELb0ES3_N6thrust23THRUST_200600_302600_NS6detail15normal_iteratorINS9_10device_ptrIxEEEESE_SE_xNS9_10multipliesIxEENS9_8equal_toIxEExEE10hipError_tPvRmT2_T3_T4_T5_mT6_T7_P12ihipStream_tbENKUlT_T0_E_clISt17integral_constantIbLb1EESY_IbLb0EEEEDaSU_SV_EUlSU_E_NS1_11comp_targetILNS1_3genE0ELNS1_11target_archE4294967295ELNS1_3gpuE0ELNS1_3repE0EEENS1_30default_config_static_selectorELNS0_4arch9wavefront6targetE0EEEvT1_.numbered_sgpr, 0
	.set _ZN7rocprim17ROCPRIM_400000_NS6detail17trampoline_kernelINS0_14default_configENS1_27scan_by_key_config_selectorIxxEEZZNS1_16scan_by_key_implILNS1_25lookback_scan_determinismE0ELb0ES3_N6thrust23THRUST_200600_302600_NS6detail15normal_iteratorINS9_10device_ptrIxEEEESE_SE_xNS9_10multipliesIxEENS9_8equal_toIxEExEE10hipError_tPvRmT2_T3_T4_T5_mT6_T7_P12ihipStream_tbENKUlT_T0_E_clISt17integral_constantIbLb1EESY_IbLb0EEEEDaSU_SV_EUlSU_E_NS1_11comp_targetILNS1_3genE0ELNS1_11target_archE4294967295ELNS1_3gpuE0ELNS1_3repE0EEENS1_30default_config_static_selectorELNS0_4arch9wavefront6targetE0EEEvT1_.num_named_barrier, 0
	.set _ZN7rocprim17ROCPRIM_400000_NS6detail17trampoline_kernelINS0_14default_configENS1_27scan_by_key_config_selectorIxxEEZZNS1_16scan_by_key_implILNS1_25lookback_scan_determinismE0ELb0ES3_N6thrust23THRUST_200600_302600_NS6detail15normal_iteratorINS9_10device_ptrIxEEEESE_SE_xNS9_10multipliesIxEENS9_8equal_toIxEExEE10hipError_tPvRmT2_T3_T4_T5_mT6_T7_P12ihipStream_tbENKUlT_T0_E_clISt17integral_constantIbLb1EESY_IbLb0EEEEDaSU_SV_EUlSU_E_NS1_11comp_targetILNS1_3genE0ELNS1_11target_archE4294967295ELNS1_3gpuE0ELNS1_3repE0EEENS1_30default_config_static_selectorELNS0_4arch9wavefront6targetE0EEEvT1_.private_seg_size, 0
	.set _ZN7rocprim17ROCPRIM_400000_NS6detail17trampoline_kernelINS0_14default_configENS1_27scan_by_key_config_selectorIxxEEZZNS1_16scan_by_key_implILNS1_25lookback_scan_determinismE0ELb0ES3_N6thrust23THRUST_200600_302600_NS6detail15normal_iteratorINS9_10device_ptrIxEEEESE_SE_xNS9_10multipliesIxEENS9_8equal_toIxEExEE10hipError_tPvRmT2_T3_T4_T5_mT6_T7_P12ihipStream_tbENKUlT_T0_E_clISt17integral_constantIbLb1EESY_IbLb0EEEEDaSU_SV_EUlSU_E_NS1_11comp_targetILNS1_3genE0ELNS1_11target_archE4294967295ELNS1_3gpuE0ELNS1_3repE0EEENS1_30default_config_static_selectorELNS0_4arch9wavefront6targetE0EEEvT1_.uses_vcc, 0
	.set _ZN7rocprim17ROCPRIM_400000_NS6detail17trampoline_kernelINS0_14default_configENS1_27scan_by_key_config_selectorIxxEEZZNS1_16scan_by_key_implILNS1_25lookback_scan_determinismE0ELb0ES3_N6thrust23THRUST_200600_302600_NS6detail15normal_iteratorINS9_10device_ptrIxEEEESE_SE_xNS9_10multipliesIxEENS9_8equal_toIxEExEE10hipError_tPvRmT2_T3_T4_T5_mT6_T7_P12ihipStream_tbENKUlT_T0_E_clISt17integral_constantIbLb1EESY_IbLb0EEEEDaSU_SV_EUlSU_E_NS1_11comp_targetILNS1_3genE0ELNS1_11target_archE4294967295ELNS1_3gpuE0ELNS1_3repE0EEENS1_30default_config_static_selectorELNS0_4arch9wavefront6targetE0EEEvT1_.uses_flat_scratch, 0
	.set _ZN7rocprim17ROCPRIM_400000_NS6detail17trampoline_kernelINS0_14default_configENS1_27scan_by_key_config_selectorIxxEEZZNS1_16scan_by_key_implILNS1_25lookback_scan_determinismE0ELb0ES3_N6thrust23THRUST_200600_302600_NS6detail15normal_iteratorINS9_10device_ptrIxEEEESE_SE_xNS9_10multipliesIxEENS9_8equal_toIxEExEE10hipError_tPvRmT2_T3_T4_T5_mT6_T7_P12ihipStream_tbENKUlT_T0_E_clISt17integral_constantIbLb1EESY_IbLb0EEEEDaSU_SV_EUlSU_E_NS1_11comp_targetILNS1_3genE0ELNS1_11target_archE4294967295ELNS1_3gpuE0ELNS1_3repE0EEENS1_30default_config_static_selectorELNS0_4arch9wavefront6targetE0EEEvT1_.has_dyn_sized_stack, 0
	.set _ZN7rocprim17ROCPRIM_400000_NS6detail17trampoline_kernelINS0_14default_configENS1_27scan_by_key_config_selectorIxxEEZZNS1_16scan_by_key_implILNS1_25lookback_scan_determinismE0ELb0ES3_N6thrust23THRUST_200600_302600_NS6detail15normal_iteratorINS9_10device_ptrIxEEEESE_SE_xNS9_10multipliesIxEENS9_8equal_toIxEExEE10hipError_tPvRmT2_T3_T4_T5_mT6_T7_P12ihipStream_tbENKUlT_T0_E_clISt17integral_constantIbLb1EESY_IbLb0EEEEDaSU_SV_EUlSU_E_NS1_11comp_targetILNS1_3genE0ELNS1_11target_archE4294967295ELNS1_3gpuE0ELNS1_3repE0EEENS1_30default_config_static_selectorELNS0_4arch9wavefront6targetE0EEEvT1_.has_recursion, 0
	.set _ZN7rocprim17ROCPRIM_400000_NS6detail17trampoline_kernelINS0_14default_configENS1_27scan_by_key_config_selectorIxxEEZZNS1_16scan_by_key_implILNS1_25lookback_scan_determinismE0ELb0ES3_N6thrust23THRUST_200600_302600_NS6detail15normal_iteratorINS9_10device_ptrIxEEEESE_SE_xNS9_10multipliesIxEENS9_8equal_toIxEExEE10hipError_tPvRmT2_T3_T4_T5_mT6_T7_P12ihipStream_tbENKUlT_T0_E_clISt17integral_constantIbLb1EESY_IbLb0EEEEDaSU_SV_EUlSU_E_NS1_11comp_targetILNS1_3genE0ELNS1_11target_archE4294967295ELNS1_3gpuE0ELNS1_3repE0EEENS1_30default_config_static_selectorELNS0_4arch9wavefront6targetE0EEEvT1_.has_indirect_call, 0
	.section	.AMDGPU.csdata,"",@progbits
; Kernel info:
; codeLenInByte = 0
; TotalNumSgprs: 0
; NumVgprs: 0
; ScratchSize: 0
; MemoryBound: 0
; FloatMode: 240
; IeeeMode: 1
; LDSByteSize: 0 bytes/workgroup (compile time only)
; SGPRBlocks: 0
; VGPRBlocks: 0
; NumSGPRsForWavesPerEU: 1
; NumVGPRsForWavesPerEU: 1
; Occupancy: 16
; WaveLimiterHint : 0
; COMPUTE_PGM_RSRC2:SCRATCH_EN: 0
; COMPUTE_PGM_RSRC2:USER_SGPR: 6
; COMPUTE_PGM_RSRC2:TRAP_HANDLER: 0
; COMPUTE_PGM_RSRC2:TGID_X_EN: 1
; COMPUTE_PGM_RSRC2:TGID_Y_EN: 0
; COMPUTE_PGM_RSRC2:TGID_Z_EN: 0
; COMPUTE_PGM_RSRC2:TIDIG_COMP_CNT: 0
	.section	.text._ZN7rocprim17ROCPRIM_400000_NS6detail17trampoline_kernelINS0_14default_configENS1_27scan_by_key_config_selectorIxxEEZZNS1_16scan_by_key_implILNS1_25lookback_scan_determinismE0ELb0ES3_N6thrust23THRUST_200600_302600_NS6detail15normal_iteratorINS9_10device_ptrIxEEEESE_SE_xNS9_10multipliesIxEENS9_8equal_toIxEExEE10hipError_tPvRmT2_T3_T4_T5_mT6_T7_P12ihipStream_tbENKUlT_T0_E_clISt17integral_constantIbLb1EESY_IbLb0EEEEDaSU_SV_EUlSU_E_NS1_11comp_targetILNS1_3genE10ELNS1_11target_archE1201ELNS1_3gpuE5ELNS1_3repE0EEENS1_30default_config_static_selectorELNS0_4arch9wavefront6targetE0EEEvT1_,"axG",@progbits,_ZN7rocprim17ROCPRIM_400000_NS6detail17trampoline_kernelINS0_14default_configENS1_27scan_by_key_config_selectorIxxEEZZNS1_16scan_by_key_implILNS1_25lookback_scan_determinismE0ELb0ES3_N6thrust23THRUST_200600_302600_NS6detail15normal_iteratorINS9_10device_ptrIxEEEESE_SE_xNS9_10multipliesIxEENS9_8equal_toIxEExEE10hipError_tPvRmT2_T3_T4_T5_mT6_T7_P12ihipStream_tbENKUlT_T0_E_clISt17integral_constantIbLb1EESY_IbLb0EEEEDaSU_SV_EUlSU_E_NS1_11comp_targetILNS1_3genE10ELNS1_11target_archE1201ELNS1_3gpuE5ELNS1_3repE0EEENS1_30default_config_static_selectorELNS0_4arch9wavefront6targetE0EEEvT1_,comdat
	.protected	_ZN7rocprim17ROCPRIM_400000_NS6detail17trampoline_kernelINS0_14default_configENS1_27scan_by_key_config_selectorIxxEEZZNS1_16scan_by_key_implILNS1_25lookback_scan_determinismE0ELb0ES3_N6thrust23THRUST_200600_302600_NS6detail15normal_iteratorINS9_10device_ptrIxEEEESE_SE_xNS9_10multipliesIxEENS9_8equal_toIxEExEE10hipError_tPvRmT2_T3_T4_T5_mT6_T7_P12ihipStream_tbENKUlT_T0_E_clISt17integral_constantIbLb1EESY_IbLb0EEEEDaSU_SV_EUlSU_E_NS1_11comp_targetILNS1_3genE10ELNS1_11target_archE1201ELNS1_3gpuE5ELNS1_3repE0EEENS1_30default_config_static_selectorELNS0_4arch9wavefront6targetE0EEEvT1_ ; -- Begin function _ZN7rocprim17ROCPRIM_400000_NS6detail17trampoline_kernelINS0_14default_configENS1_27scan_by_key_config_selectorIxxEEZZNS1_16scan_by_key_implILNS1_25lookback_scan_determinismE0ELb0ES3_N6thrust23THRUST_200600_302600_NS6detail15normal_iteratorINS9_10device_ptrIxEEEESE_SE_xNS9_10multipliesIxEENS9_8equal_toIxEExEE10hipError_tPvRmT2_T3_T4_T5_mT6_T7_P12ihipStream_tbENKUlT_T0_E_clISt17integral_constantIbLb1EESY_IbLb0EEEEDaSU_SV_EUlSU_E_NS1_11comp_targetILNS1_3genE10ELNS1_11target_archE1201ELNS1_3gpuE5ELNS1_3repE0EEENS1_30default_config_static_selectorELNS0_4arch9wavefront6targetE0EEEvT1_
	.globl	_ZN7rocprim17ROCPRIM_400000_NS6detail17trampoline_kernelINS0_14default_configENS1_27scan_by_key_config_selectorIxxEEZZNS1_16scan_by_key_implILNS1_25lookback_scan_determinismE0ELb0ES3_N6thrust23THRUST_200600_302600_NS6detail15normal_iteratorINS9_10device_ptrIxEEEESE_SE_xNS9_10multipliesIxEENS9_8equal_toIxEExEE10hipError_tPvRmT2_T3_T4_T5_mT6_T7_P12ihipStream_tbENKUlT_T0_E_clISt17integral_constantIbLb1EESY_IbLb0EEEEDaSU_SV_EUlSU_E_NS1_11comp_targetILNS1_3genE10ELNS1_11target_archE1201ELNS1_3gpuE5ELNS1_3repE0EEENS1_30default_config_static_selectorELNS0_4arch9wavefront6targetE0EEEvT1_
	.p2align	8
	.type	_ZN7rocprim17ROCPRIM_400000_NS6detail17trampoline_kernelINS0_14default_configENS1_27scan_by_key_config_selectorIxxEEZZNS1_16scan_by_key_implILNS1_25lookback_scan_determinismE0ELb0ES3_N6thrust23THRUST_200600_302600_NS6detail15normal_iteratorINS9_10device_ptrIxEEEESE_SE_xNS9_10multipliesIxEENS9_8equal_toIxEExEE10hipError_tPvRmT2_T3_T4_T5_mT6_T7_P12ihipStream_tbENKUlT_T0_E_clISt17integral_constantIbLb1EESY_IbLb0EEEEDaSU_SV_EUlSU_E_NS1_11comp_targetILNS1_3genE10ELNS1_11target_archE1201ELNS1_3gpuE5ELNS1_3repE0EEENS1_30default_config_static_selectorELNS0_4arch9wavefront6targetE0EEEvT1_,@function
_ZN7rocprim17ROCPRIM_400000_NS6detail17trampoline_kernelINS0_14default_configENS1_27scan_by_key_config_selectorIxxEEZZNS1_16scan_by_key_implILNS1_25lookback_scan_determinismE0ELb0ES3_N6thrust23THRUST_200600_302600_NS6detail15normal_iteratorINS9_10device_ptrIxEEEESE_SE_xNS9_10multipliesIxEENS9_8equal_toIxEExEE10hipError_tPvRmT2_T3_T4_T5_mT6_T7_P12ihipStream_tbENKUlT_T0_E_clISt17integral_constantIbLb1EESY_IbLb0EEEEDaSU_SV_EUlSU_E_NS1_11comp_targetILNS1_3genE10ELNS1_11target_archE1201ELNS1_3gpuE5ELNS1_3repE0EEENS1_30default_config_static_selectorELNS0_4arch9wavefront6targetE0EEEvT1_: ; @_ZN7rocprim17ROCPRIM_400000_NS6detail17trampoline_kernelINS0_14default_configENS1_27scan_by_key_config_selectorIxxEEZZNS1_16scan_by_key_implILNS1_25lookback_scan_determinismE0ELb0ES3_N6thrust23THRUST_200600_302600_NS6detail15normal_iteratorINS9_10device_ptrIxEEEESE_SE_xNS9_10multipliesIxEENS9_8equal_toIxEExEE10hipError_tPvRmT2_T3_T4_T5_mT6_T7_P12ihipStream_tbENKUlT_T0_E_clISt17integral_constantIbLb1EESY_IbLb0EEEEDaSU_SV_EUlSU_E_NS1_11comp_targetILNS1_3genE10ELNS1_11target_archE1201ELNS1_3gpuE5ELNS1_3repE0EEENS1_30default_config_static_selectorELNS0_4arch9wavefront6targetE0EEEvT1_
; %bb.0:
	.section	.rodata,"a",@progbits
	.p2align	6, 0x0
	.amdhsa_kernel _ZN7rocprim17ROCPRIM_400000_NS6detail17trampoline_kernelINS0_14default_configENS1_27scan_by_key_config_selectorIxxEEZZNS1_16scan_by_key_implILNS1_25lookback_scan_determinismE0ELb0ES3_N6thrust23THRUST_200600_302600_NS6detail15normal_iteratorINS9_10device_ptrIxEEEESE_SE_xNS9_10multipliesIxEENS9_8equal_toIxEExEE10hipError_tPvRmT2_T3_T4_T5_mT6_T7_P12ihipStream_tbENKUlT_T0_E_clISt17integral_constantIbLb1EESY_IbLb0EEEEDaSU_SV_EUlSU_E_NS1_11comp_targetILNS1_3genE10ELNS1_11target_archE1201ELNS1_3gpuE5ELNS1_3repE0EEENS1_30default_config_static_selectorELNS0_4arch9wavefront6targetE0EEEvT1_
		.amdhsa_group_segment_fixed_size 0
		.amdhsa_private_segment_fixed_size 0
		.amdhsa_kernarg_size 136
		.amdhsa_user_sgpr_count 6
		.amdhsa_user_sgpr_private_segment_buffer 1
		.amdhsa_user_sgpr_dispatch_ptr 0
		.amdhsa_user_sgpr_queue_ptr 0
		.amdhsa_user_sgpr_kernarg_segment_ptr 1
		.amdhsa_user_sgpr_dispatch_id 0
		.amdhsa_user_sgpr_flat_scratch_init 0
		.amdhsa_user_sgpr_private_segment_size 0
		.amdhsa_wavefront_size32 1
		.amdhsa_uses_dynamic_stack 0
		.amdhsa_system_sgpr_private_segment_wavefront_offset 0
		.amdhsa_system_sgpr_workgroup_id_x 1
		.amdhsa_system_sgpr_workgroup_id_y 0
		.amdhsa_system_sgpr_workgroup_id_z 0
		.amdhsa_system_sgpr_workgroup_info 0
		.amdhsa_system_vgpr_workitem_id 0
		.amdhsa_next_free_vgpr 1
		.amdhsa_next_free_sgpr 1
		.amdhsa_reserve_vcc 0
		.amdhsa_reserve_flat_scratch 0
		.amdhsa_float_round_mode_32 0
		.amdhsa_float_round_mode_16_64 0
		.amdhsa_float_denorm_mode_32 3
		.amdhsa_float_denorm_mode_16_64 3
		.amdhsa_dx10_clamp 1
		.amdhsa_ieee_mode 1
		.amdhsa_fp16_overflow 0
		.amdhsa_workgroup_processor_mode 1
		.amdhsa_memory_ordered 1
		.amdhsa_forward_progress 1
		.amdhsa_shared_vgpr_count 0
		.amdhsa_exception_fp_ieee_invalid_op 0
		.amdhsa_exception_fp_denorm_src 0
		.amdhsa_exception_fp_ieee_div_zero 0
		.amdhsa_exception_fp_ieee_overflow 0
		.amdhsa_exception_fp_ieee_underflow 0
		.amdhsa_exception_fp_ieee_inexact 0
		.amdhsa_exception_int_div_zero 0
	.end_amdhsa_kernel
	.section	.text._ZN7rocprim17ROCPRIM_400000_NS6detail17trampoline_kernelINS0_14default_configENS1_27scan_by_key_config_selectorIxxEEZZNS1_16scan_by_key_implILNS1_25lookback_scan_determinismE0ELb0ES3_N6thrust23THRUST_200600_302600_NS6detail15normal_iteratorINS9_10device_ptrIxEEEESE_SE_xNS9_10multipliesIxEENS9_8equal_toIxEExEE10hipError_tPvRmT2_T3_T4_T5_mT6_T7_P12ihipStream_tbENKUlT_T0_E_clISt17integral_constantIbLb1EESY_IbLb0EEEEDaSU_SV_EUlSU_E_NS1_11comp_targetILNS1_3genE10ELNS1_11target_archE1201ELNS1_3gpuE5ELNS1_3repE0EEENS1_30default_config_static_selectorELNS0_4arch9wavefront6targetE0EEEvT1_,"axG",@progbits,_ZN7rocprim17ROCPRIM_400000_NS6detail17trampoline_kernelINS0_14default_configENS1_27scan_by_key_config_selectorIxxEEZZNS1_16scan_by_key_implILNS1_25lookback_scan_determinismE0ELb0ES3_N6thrust23THRUST_200600_302600_NS6detail15normal_iteratorINS9_10device_ptrIxEEEESE_SE_xNS9_10multipliesIxEENS9_8equal_toIxEExEE10hipError_tPvRmT2_T3_T4_T5_mT6_T7_P12ihipStream_tbENKUlT_T0_E_clISt17integral_constantIbLb1EESY_IbLb0EEEEDaSU_SV_EUlSU_E_NS1_11comp_targetILNS1_3genE10ELNS1_11target_archE1201ELNS1_3gpuE5ELNS1_3repE0EEENS1_30default_config_static_selectorELNS0_4arch9wavefront6targetE0EEEvT1_,comdat
.Lfunc_end66:
	.size	_ZN7rocprim17ROCPRIM_400000_NS6detail17trampoline_kernelINS0_14default_configENS1_27scan_by_key_config_selectorIxxEEZZNS1_16scan_by_key_implILNS1_25lookback_scan_determinismE0ELb0ES3_N6thrust23THRUST_200600_302600_NS6detail15normal_iteratorINS9_10device_ptrIxEEEESE_SE_xNS9_10multipliesIxEENS9_8equal_toIxEExEE10hipError_tPvRmT2_T3_T4_T5_mT6_T7_P12ihipStream_tbENKUlT_T0_E_clISt17integral_constantIbLb1EESY_IbLb0EEEEDaSU_SV_EUlSU_E_NS1_11comp_targetILNS1_3genE10ELNS1_11target_archE1201ELNS1_3gpuE5ELNS1_3repE0EEENS1_30default_config_static_selectorELNS0_4arch9wavefront6targetE0EEEvT1_, .Lfunc_end66-_ZN7rocprim17ROCPRIM_400000_NS6detail17trampoline_kernelINS0_14default_configENS1_27scan_by_key_config_selectorIxxEEZZNS1_16scan_by_key_implILNS1_25lookback_scan_determinismE0ELb0ES3_N6thrust23THRUST_200600_302600_NS6detail15normal_iteratorINS9_10device_ptrIxEEEESE_SE_xNS9_10multipliesIxEENS9_8equal_toIxEExEE10hipError_tPvRmT2_T3_T4_T5_mT6_T7_P12ihipStream_tbENKUlT_T0_E_clISt17integral_constantIbLb1EESY_IbLb0EEEEDaSU_SV_EUlSU_E_NS1_11comp_targetILNS1_3genE10ELNS1_11target_archE1201ELNS1_3gpuE5ELNS1_3repE0EEENS1_30default_config_static_selectorELNS0_4arch9wavefront6targetE0EEEvT1_
                                        ; -- End function
	.set _ZN7rocprim17ROCPRIM_400000_NS6detail17trampoline_kernelINS0_14default_configENS1_27scan_by_key_config_selectorIxxEEZZNS1_16scan_by_key_implILNS1_25lookback_scan_determinismE0ELb0ES3_N6thrust23THRUST_200600_302600_NS6detail15normal_iteratorINS9_10device_ptrIxEEEESE_SE_xNS9_10multipliesIxEENS9_8equal_toIxEExEE10hipError_tPvRmT2_T3_T4_T5_mT6_T7_P12ihipStream_tbENKUlT_T0_E_clISt17integral_constantIbLb1EESY_IbLb0EEEEDaSU_SV_EUlSU_E_NS1_11comp_targetILNS1_3genE10ELNS1_11target_archE1201ELNS1_3gpuE5ELNS1_3repE0EEENS1_30default_config_static_selectorELNS0_4arch9wavefront6targetE0EEEvT1_.num_vgpr, 0
	.set _ZN7rocprim17ROCPRIM_400000_NS6detail17trampoline_kernelINS0_14default_configENS1_27scan_by_key_config_selectorIxxEEZZNS1_16scan_by_key_implILNS1_25lookback_scan_determinismE0ELb0ES3_N6thrust23THRUST_200600_302600_NS6detail15normal_iteratorINS9_10device_ptrIxEEEESE_SE_xNS9_10multipliesIxEENS9_8equal_toIxEExEE10hipError_tPvRmT2_T3_T4_T5_mT6_T7_P12ihipStream_tbENKUlT_T0_E_clISt17integral_constantIbLb1EESY_IbLb0EEEEDaSU_SV_EUlSU_E_NS1_11comp_targetILNS1_3genE10ELNS1_11target_archE1201ELNS1_3gpuE5ELNS1_3repE0EEENS1_30default_config_static_selectorELNS0_4arch9wavefront6targetE0EEEvT1_.num_agpr, 0
	.set _ZN7rocprim17ROCPRIM_400000_NS6detail17trampoline_kernelINS0_14default_configENS1_27scan_by_key_config_selectorIxxEEZZNS1_16scan_by_key_implILNS1_25lookback_scan_determinismE0ELb0ES3_N6thrust23THRUST_200600_302600_NS6detail15normal_iteratorINS9_10device_ptrIxEEEESE_SE_xNS9_10multipliesIxEENS9_8equal_toIxEExEE10hipError_tPvRmT2_T3_T4_T5_mT6_T7_P12ihipStream_tbENKUlT_T0_E_clISt17integral_constantIbLb1EESY_IbLb0EEEEDaSU_SV_EUlSU_E_NS1_11comp_targetILNS1_3genE10ELNS1_11target_archE1201ELNS1_3gpuE5ELNS1_3repE0EEENS1_30default_config_static_selectorELNS0_4arch9wavefront6targetE0EEEvT1_.numbered_sgpr, 0
	.set _ZN7rocprim17ROCPRIM_400000_NS6detail17trampoline_kernelINS0_14default_configENS1_27scan_by_key_config_selectorIxxEEZZNS1_16scan_by_key_implILNS1_25lookback_scan_determinismE0ELb0ES3_N6thrust23THRUST_200600_302600_NS6detail15normal_iteratorINS9_10device_ptrIxEEEESE_SE_xNS9_10multipliesIxEENS9_8equal_toIxEExEE10hipError_tPvRmT2_T3_T4_T5_mT6_T7_P12ihipStream_tbENKUlT_T0_E_clISt17integral_constantIbLb1EESY_IbLb0EEEEDaSU_SV_EUlSU_E_NS1_11comp_targetILNS1_3genE10ELNS1_11target_archE1201ELNS1_3gpuE5ELNS1_3repE0EEENS1_30default_config_static_selectorELNS0_4arch9wavefront6targetE0EEEvT1_.num_named_barrier, 0
	.set _ZN7rocprim17ROCPRIM_400000_NS6detail17trampoline_kernelINS0_14default_configENS1_27scan_by_key_config_selectorIxxEEZZNS1_16scan_by_key_implILNS1_25lookback_scan_determinismE0ELb0ES3_N6thrust23THRUST_200600_302600_NS6detail15normal_iteratorINS9_10device_ptrIxEEEESE_SE_xNS9_10multipliesIxEENS9_8equal_toIxEExEE10hipError_tPvRmT2_T3_T4_T5_mT6_T7_P12ihipStream_tbENKUlT_T0_E_clISt17integral_constantIbLb1EESY_IbLb0EEEEDaSU_SV_EUlSU_E_NS1_11comp_targetILNS1_3genE10ELNS1_11target_archE1201ELNS1_3gpuE5ELNS1_3repE0EEENS1_30default_config_static_selectorELNS0_4arch9wavefront6targetE0EEEvT1_.private_seg_size, 0
	.set _ZN7rocprim17ROCPRIM_400000_NS6detail17trampoline_kernelINS0_14default_configENS1_27scan_by_key_config_selectorIxxEEZZNS1_16scan_by_key_implILNS1_25lookback_scan_determinismE0ELb0ES3_N6thrust23THRUST_200600_302600_NS6detail15normal_iteratorINS9_10device_ptrIxEEEESE_SE_xNS9_10multipliesIxEENS9_8equal_toIxEExEE10hipError_tPvRmT2_T3_T4_T5_mT6_T7_P12ihipStream_tbENKUlT_T0_E_clISt17integral_constantIbLb1EESY_IbLb0EEEEDaSU_SV_EUlSU_E_NS1_11comp_targetILNS1_3genE10ELNS1_11target_archE1201ELNS1_3gpuE5ELNS1_3repE0EEENS1_30default_config_static_selectorELNS0_4arch9wavefront6targetE0EEEvT1_.uses_vcc, 0
	.set _ZN7rocprim17ROCPRIM_400000_NS6detail17trampoline_kernelINS0_14default_configENS1_27scan_by_key_config_selectorIxxEEZZNS1_16scan_by_key_implILNS1_25lookback_scan_determinismE0ELb0ES3_N6thrust23THRUST_200600_302600_NS6detail15normal_iteratorINS9_10device_ptrIxEEEESE_SE_xNS9_10multipliesIxEENS9_8equal_toIxEExEE10hipError_tPvRmT2_T3_T4_T5_mT6_T7_P12ihipStream_tbENKUlT_T0_E_clISt17integral_constantIbLb1EESY_IbLb0EEEEDaSU_SV_EUlSU_E_NS1_11comp_targetILNS1_3genE10ELNS1_11target_archE1201ELNS1_3gpuE5ELNS1_3repE0EEENS1_30default_config_static_selectorELNS0_4arch9wavefront6targetE0EEEvT1_.uses_flat_scratch, 0
	.set _ZN7rocprim17ROCPRIM_400000_NS6detail17trampoline_kernelINS0_14default_configENS1_27scan_by_key_config_selectorIxxEEZZNS1_16scan_by_key_implILNS1_25lookback_scan_determinismE0ELb0ES3_N6thrust23THRUST_200600_302600_NS6detail15normal_iteratorINS9_10device_ptrIxEEEESE_SE_xNS9_10multipliesIxEENS9_8equal_toIxEExEE10hipError_tPvRmT2_T3_T4_T5_mT6_T7_P12ihipStream_tbENKUlT_T0_E_clISt17integral_constantIbLb1EESY_IbLb0EEEEDaSU_SV_EUlSU_E_NS1_11comp_targetILNS1_3genE10ELNS1_11target_archE1201ELNS1_3gpuE5ELNS1_3repE0EEENS1_30default_config_static_selectorELNS0_4arch9wavefront6targetE0EEEvT1_.has_dyn_sized_stack, 0
	.set _ZN7rocprim17ROCPRIM_400000_NS6detail17trampoline_kernelINS0_14default_configENS1_27scan_by_key_config_selectorIxxEEZZNS1_16scan_by_key_implILNS1_25lookback_scan_determinismE0ELb0ES3_N6thrust23THRUST_200600_302600_NS6detail15normal_iteratorINS9_10device_ptrIxEEEESE_SE_xNS9_10multipliesIxEENS9_8equal_toIxEExEE10hipError_tPvRmT2_T3_T4_T5_mT6_T7_P12ihipStream_tbENKUlT_T0_E_clISt17integral_constantIbLb1EESY_IbLb0EEEEDaSU_SV_EUlSU_E_NS1_11comp_targetILNS1_3genE10ELNS1_11target_archE1201ELNS1_3gpuE5ELNS1_3repE0EEENS1_30default_config_static_selectorELNS0_4arch9wavefront6targetE0EEEvT1_.has_recursion, 0
	.set _ZN7rocprim17ROCPRIM_400000_NS6detail17trampoline_kernelINS0_14default_configENS1_27scan_by_key_config_selectorIxxEEZZNS1_16scan_by_key_implILNS1_25lookback_scan_determinismE0ELb0ES3_N6thrust23THRUST_200600_302600_NS6detail15normal_iteratorINS9_10device_ptrIxEEEESE_SE_xNS9_10multipliesIxEENS9_8equal_toIxEExEE10hipError_tPvRmT2_T3_T4_T5_mT6_T7_P12ihipStream_tbENKUlT_T0_E_clISt17integral_constantIbLb1EESY_IbLb0EEEEDaSU_SV_EUlSU_E_NS1_11comp_targetILNS1_3genE10ELNS1_11target_archE1201ELNS1_3gpuE5ELNS1_3repE0EEENS1_30default_config_static_selectorELNS0_4arch9wavefront6targetE0EEEvT1_.has_indirect_call, 0
	.section	.AMDGPU.csdata,"",@progbits
; Kernel info:
; codeLenInByte = 0
; TotalNumSgprs: 0
; NumVgprs: 0
; ScratchSize: 0
; MemoryBound: 0
; FloatMode: 240
; IeeeMode: 1
; LDSByteSize: 0 bytes/workgroup (compile time only)
; SGPRBlocks: 0
; VGPRBlocks: 0
; NumSGPRsForWavesPerEU: 1
; NumVGPRsForWavesPerEU: 1
; Occupancy: 16
; WaveLimiterHint : 0
; COMPUTE_PGM_RSRC2:SCRATCH_EN: 0
; COMPUTE_PGM_RSRC2:USER_SGPR: 6
; COMPUTE_PGM_RSRC2:TRAP_HANDLER: 0
; COMPUTE_PGM_RSRC2:TGID_X_EN: 1
; COMPUTE_PGM_RSRC2:TGID_Y_EN: 0
; COMPUTE_PGM_RSRC2:TGID_Z_EN: 0
; COMPUTE_PGM_RSRC2:TIDIG_COMP_CNT: 0
	.section	.text._ZN7rocprim17ROCPRIM_400000_NS6detail17trampoline_kernelINS0_14default_configENS1_27scan_by_key_config_selectorIxxEEZZNS1_16scan_by_key_implILNS1_25lookback_scan_determinismE0ELb0ES3_N6thrust23THRUST_200600_302600_NS6detail15normal_iteratorINS9_10device_ptrIxEEEESE_SE_xNS9_10multipliesIxEENS9_8equal_toIxEExEE10hipError_tPvRmT2_T3_T4_T5_mT6_T7_P12ihipStream_tbENKUlT_T0_E_clISt17integral_constantIbLb1EESY_IbLb0EEEEDaSU_SV_EUlSU_E_NS1_11comp_targetILNS1_3genE5ELNS1_11target_archE942ELNS1_3gpuE9ELNS1_3repE0EEENS1_30default_config_static_selectorELNS0_4arch9wavefront6targetE0EEEvT1_,"axG",@progbits,_ZN7rocprim17ROCPRIM_400000_NS6detail17trampoline_kernelINS0_14default_configENS1_27scan_by_key_config_selectorIxxEEZZNS1_16scan_by_key_implILNS1_25lookback_scan_determinismE0ELb0ES3_N6thrust23THRUST_200600_302600_NS6detail15normal_iteratorINS9_10device_ptrIxEEEESE_SE_xNS9_10multipliesIxEENS9_8equal_toIxEExEE10hipError_tPvRmT2_T3_T4_T5_mT6_T7_P12ihipStream_tbENKUlT_T0_E_clISt17integral_constantIbLb1EESY_IbLb0EEEEDaSU_SV_EUlSU_E_NS1_11comp_targetILNS1_3genE5ELNS1_11target_archE942ELNS1_3gpuE9ELNS1_3repE0EEENS1_30default_config_static_selectorELNS0_4arch9wavefront6targetE0EEEvT1_,comdat
	.protected	_ZN7rocprim17ROCPRIM_400000_NS6detail17trampoline_kernelINS0_14default_configENS1_27scan_by_key_config_selectorIxxEEZZNS1_16scan_by_key_implILNS1_25lookback_scan_determinismE0ELb0ES3_N6thrust23THRUST_200600_302600_NS6detail15normal_iteratorINS9_10device_ptrIxEEEESE_SE_xNS9_10multipliesIxEENS9_8equal_toIxEExEE10hipError_tPvRmT2_T3_T4_T5_mT6_T7_P12ihipStream_tbENKUlT_T0_E_clISt17integral_constantIbLb1EESY_IbLb0EEEEDaSU_SV_EUlSU_E_NS1_11comp_targetILNS1_3genE5ELNS1_11target_archE942ELNS1_3gpuE9ELNS1_3repE0EEENS1_30default_config_static_selectorELNS0_4arch9wavefront6targetE0EEEvT1_ ; -- Begin function _ZN7rocprim17ROCPRIM_400000_NS6detail17trampoline_kernelINS0_14default_configENS1_27scan_by_key_config_selectorIxxEEZZNS1_16scan_by_key_implILNS1_25lookback_scan_determinismE0ELb0ES3_N6thrust23THRUST_200600_302600_NS6detail15normal_iteratorINS9_10device_ptrIxEEEESE_SE_xNS9_10multipliesIxEENS9_8equal_toIxEExEE10hipError_tPvRmT2_T3_T4_T5_mT6_T7_P12ihipStream_tbENKUlT_T0_E_clISt17integral_constantIbLb1EESY_IbLb0EEEEDaSU_SV_EUlSU_E_NS1_11comp_targetILNS1_3genE5ELNS1_11target_archE942ELNS1_3gpuE9ELNS1_3repE0EEENS1_30default_config_static_selectorELNS0_4arch9wavefront6targetE0EEEvT1_
	.globl	_ZN7rocprim17ROCPRIM_400000_NS6detail17trampoline_kernelINS0_14default_configENS1_27scan_by_key_config_selectorIxxEEZZNS1_16scan_by_key_implILNS1_25lookback_scan_determinismE0ELb0ES3_N6thrust23THRUST_200600_302600_NS6detail15normal_iteratorINS9_10device_ptrIxEEEESE_SE_xNS9_10multipliesIxEENS9_8equal_toIxEExEE10hipError_tPvRmT2_T3_T4_T5_mT6_T7_P12ihipStream_tbENKUlT_T0_E_clISt17integral_constantIbLb1EESY_IbLb0EEEEDaSU_SV_EUlSU_E_NS1_11comp_targetILNS1_3genE5ELNS1_11target_archE942ELNS1_3gpuE9ELNS1_3repE0EEENS1_30default_config_static_selectorELNS0_4arch9wavefront6targetE0EEEvT1_
	.p2align	8
	.type	_ZN7rocprim17ROCPRIM_400000_NS6detail17trampoline_kernelINS0_14default_configENS1_27scan_by_key_config_selectorIxxEEZZNS1_16scan_by_key_implILNS1_25lookback_scan_determinismE0ELb0ES3_N6thrust23THRUST_200600_302600_NS6detail15normal_iteratorINS9_10device_ptrIxEEEESE_SE_xNS9_10multipliesIxEENS9_8equal_toIxEExEE10hipError_tPvRmT2_T3_T4_T5_mT6_T7_P12ihipStream_tbENKUlT_T0_E_clISt17integral_constantIbLb1EESY_IbLb0EEEEDaSU_SV_EUlSU_E_NS1_11comp_targetILNS1_3genE5ELNS1_11target_archE942ELNS1_3gpuE9ELNS1_3repE0EEENS1_30default_config_static_selectorELNS0_4arch9wavefront6targetE0EEEvT1_,@function
_ZN7rocprim17ROCPRIM_400000_NS6detail17trampoline_kernelINS0_14default_configENS1_27scan_by_key_config_selectorIxxEEZZNS1_16scan_by_key_implILNS1_25lookback_scan_determinismE0ELb0ES3_N6thrust23THRUST_200600_302600_NS6detail15normal_iteratorINS9_10device_ptrIxEEEESE_SE_xNS9_10multipliesIxEENS9_8equal_toIxEExEE10hipError_tPvRmT2_T3_T4_T5_mT6_T7_P12ihipStream_tbENKUlT_T0_E_clISt17integral_constantIbLb1EESY_IbLb0EEEEDaSU_SV_EUlSU_E_NS1_11comp_targetILNS1_3genE5ELNS1_11target_archE942ELNS1_3gpuE9ELNS1_3repE0EEENS1_30default_config_static_selectorELNS0_4arch9wavefront6targetE0EEEvT1_: ; @_ZN7rocprim17ROCPRIM_400000_NS6detail17trampoline_kernelINS0_14default_configENS1_27scan_by_key_config_selectorIxxEEZZNS1_16scan_by_key_implILNS1_25lookback_scan_determinismE0ELb0ES3_N6thrust23THRUST_200600_302600_NS6detail15normal_iteratorINS9_10device_ptrIxEEEESE_SE_xNS9_10multipliesIxEENS9_8equal_toIxEExEE10hipError_tPvRmT2_T3_T4_T5_mT6_T7_P12ihipStream_tbENKUlT_T0_E_clISt17integral_constantIbLb1EESY_IbLb0EEEEDaSU_SV_EUlSU_E_NS1_11comp_targetILNS1_3genE5ELNS1_11target_archE942ELNS1_3gpuE9ELNS1_3repE0EEENS1_30default_config_static_selectorELNS0_4arch9wavefront6targetE0EEEvT1_
; %bb.0:
	.section	.rodata,"a",@progbits
	.p2align	6, 0x0
	.amdhsa_kernel _ZN7rocprim17ROCPRIM_400000_NS6detail17trampoline_kernelINS0_14default_configENS1_27scan_by_key_config_selectorIxxEEZZNS1_16scan_by_key_implILNS1_25lookback_scan_determinismE0ELb0ES3_N6thrust23THRUST_200600_302600_NS6detail15normal_iteratorINS9_10device_ptrIxEEEESE_SE_xNS9_10multipliesIxEENS9_8equal_toIxEExEE10hipError_tPvRmT2_T3_T4_T5_mT6_T7_P12ihipStream_tbENKUlT_T0_E_clISt17integral_constantIbLb1EESY_IbLb0EEEEDaSU_SV_EUlSU_E_NS1_11comp_targetILNS1_3genE5ELNS1_11target_archE942ELNS1_3gpuE9ELNS1_3repE0EEENS1_30default_config_static_selectorELNS0_4arch9wavefront6targetE0EEEvT1_
		.amdhsa_group_segment_fixed_size 0
		.amdhsa_private_segment_fixed_size 0
		.amdhsa_kernarg_size 136
		.amdhsa_user_sgpr_count 6
		.amdhsa_user_sgpr_private_segment_buffer 1
		.amdhsa_user_sgpr_dispatch_ptr 0
		.amdhsa_user_sgpr_queue_ptr 0
		.amdhsa_user_sgpr_kernarg_segment_ptr 1
		.amdhsa_user_sgpr_dispatch_id 0
		.amdhsa_user_sgpr_flat_scratch_init 0
		.amdhsa_user_sgpr_private_segment_size 0
		.amdhsa_wavefront_size32 1
		.amdhsa_uses_dynamic_stack 0
		.amdhsa_system_sgpr_private_segment_wavefront_offset 0
		.amdhsa_system_sgpr_workgroup_id_x 1
		.amdhsa_system_sgpr_workgroup_id_y 0
		.amdhsa_system_sgpr_workgroup_id_z 0
		.amdhsa_system_sgpr_workgroup_info 0
		.amdhsa_system_vgpr_workitem_id 0
		.amdhsa_next_free_vgpr 1
		.amdhsa_next_free_sgpr 1
		.amdhsa_reserve_vcc 0
		.amdhsa_reserve_flat_scratch 0
		.amdhsa_float_round_mode_32 0
		.amdhsa_float_round_mode_16_64 0
		.amdhsa_float_denorm_mode_32 3
		.amdhsa_float_denorm_mode_16_64 3
		.amdhsa_dx10_clamp 1
		.amdhsa_ieee_mode 1
		.amdhsa_fp16_overflow 0
		.amdhsa_workgroup_processor_mode 1
		.amdhsa_memory_ordered 1
		.amdhsa_forward_progress 1
		.amdhsa_shared_vgpr_count 0
		.amdhsa_exception_fp_ieee_invalid_op 0
		.amdhsa_exception_fp_denorm_src 0
		.amdhsa_exception_fp_ieee_div_zero 0
		.amdhsa_exception_fp_ieee_overflow 0
		.amdhsa_exception_fp_ieee_underflow 0
		.amdhsa_exception_fp_ieee_inexact 0
		.amdhsa_exception_int_div_zero 0
	.end_amdhsa_kernel
	.section	.text._ZN7rocprim17ROCPRIM_400000_NS6detail17trampoline_kernelINS0_14default_configENS1_27scan_by_key_config_selectorIxxEEZZNS1_16scan_by_key_implILNS1_25lookback_scan_determinismE0ELb0ES3_N6thrust23THRUST_200600_302600_NS6detail15normal_iteratorINS9_10device_ptrIxEEEESE_SE_xNS9_10multipliesIxEENS9_8equal_toIxEExEE10hipError_tPvRmT2_T3_T4_T5_mT6_T7_P12ihipStream_tbENKUlT_T0_E_clISt17integral_constantIbLb1EESY_IbLb0EEEEDaSU_SV_EUlSU_E_NS1_11comp_targetILNS1_3genE5ELNS1_11target_archE942ELNS1_3gpuE9ELNS1_3repE0EEENS1_30default_config_static_selectorELNS0_4arch9wavefront6targetE0EEEvT1_,"axG",@progbits,_ZN7rocprim17ROCPRIM_400000_NS6detail17trampoline_kernelINS0_14default_configENS1_27scan_by_key_config_selectorIxxEEZZNS1_16scan_by_key_implILNS1_25lookback_scan_determinismE0ELb0ES3_N6thrust23THRUST_200600_302600_NS6detail15normal_iteratorINS9_10device_ptrIxEEEESE_SE_xNS9_10multipliesIxEENS9_8equal_toIxEExEE10hipError_tPvRmT2_T3_T4_T5_mT6_T7_P12ihipStream_tbENKUlT_T0_E_clISt17integral_constantIbLb1EESY_IbLb0EEEEDaSU_SV_EUlSU_E_NS1_11comp_targetILNS1_3genE5ELNS1_11target_archE942ELNS1_3gpuE9ELNS1_3repE0EEENS1_30default_config_static_selectorELNS0_4arch9wavefront6targetE0EEEvT1_,comdat
.Lfunc_end67:
	.size	_ZN7rocprim17ROCPRIM_400000_NS6detail17trampoline_kernelINS0_14default_configENS1_27scan_by_key_config_selectorIxxEEZZNS1_16scan_by_key_implILNS1_25lookback_scan_determinismE0ELb0ES3_N6thrust23THRUST_200600_302600_NS6detail15normal_iteratorINS9_10device_ptrIxEEEESE_SE_xNS9_10multipliesIxEENS9_8equal_toIxEExEE10hipError_tPvRmT2_T3_T4_T5_mT6_T7_P12ihipStream_tbENKUlT_T0_E_clISt17integral_constantIbLb1EESY_IbLb0EEEEDaSU_SV_EUlSU_E_NS1_11comp_targetILNS1_3genE5ELNS1_11target_archE942ELNS1_3gpuE9ELNS1_3repE0EEENS1_30default_config_static_selectorELNS0_4arch9wavefront6targetE0EEEvT1_, .Lfunc_end67-_ZN7rocprim17ROCPRIM_400000_NS6detail17trampoline_kernelINS0_14default_configENS1_27scan_by_key_config_selectorIxxEEZZNS1_16scan_by_key_implILNS1_25lookback_scan_determinismE0ELb0ES3_N6thrust23THRUST_200600_302600_NS6detail15normal_iteratorINS9_10device_ptrIxEEEESE_SE_xNS9_10multipliesIxEENS9_8equal_toIxEExEE10hipError_tPvRmT2_T3_T4_T5_mT6_T7_P12ihipStream_tbENKUlT_T0_E_clISt17integral_constantIbLb1EESY_IbLb0EEEEDaSU_SV_EUlSU_E_NS1_11comp_targetILNS1_3genE5ELNS1_11target_archE942ELNS1_3gpuE9ELNS1_3repE0EEENS1_30default_config_static_selectorELNS0_4arch9wavefront6targetE0EEEvT1_
                                        ; -- End function
	.set _ZN7rocprim17ROCPRIM_400000_NS6detail17trampoline_kernelINS0_14default_configENS1_27scan_by_key_config_selectorIxxEEZZNS1_16scan_by_key_implILNS1_25lookback_scan_determinismE0ELb0ES3_N6thrust23THRUST_200600_302600_NS6detail15normal_iteratorINS9_10device_ptrIxEEEESE_SE_xNS9_10multipliesIxEENS9_8equal_toIxEExEE10hipError_tPvRmT2_T3_T4_T5_mT6_T7_P12ihipStream_tbENKUlT_T0_E_clISt17integral_constantIbLb1EESY_IbLb0EEEEDaSU_SV_EUlSU_E_NS1_11comp_targetILNS1_3genE5ELNS1_11target_archE942ELNS1_3gpuE9ELNS1_3repE0EEENS1_30default_config_static_selectorELNS0_4arch9wavefront6targetE0EEEvT1_.num_vgpr, 0
	.set _ZN7rocprim17ROCPRIM_400000_NS6detail17trampoline_kernelINS0_14default_configENS1_27scan_by_key_config_selectorIxxEEZZNS1_16scan_by_key_implILNS1_25lookback_scan_determinismE0ELb0ES3_N6thrust23THRUST_200600_302600_NS6detail15normal_iteratorINS9_10device_ptrIxEEEESE_SE_xNS9_10multipliesIxEENS9_8equal_toIxEExEE10hipError_tPvRmT2_T3_T4_T5_mT6_T7_P12ihipStream_tbENKUlT_T0_E_clISt17integral_constantIbLb1EESY_IbLb0EEEEDaSU_SV_EUlSU_E_NS1_11comp_targetILNS1_3genE5ELNS1_11target_archE942ELNS1_3gpuE9ELNS1_3repE0EEENS1_30default_config_static_selectorELNS0_4arch9wavefront6targetE0EEEvT1_.num_agpr, 0
	.set _ZN7rocprim17ROCPRIM_400000_NS6detail17trampoline_kernelINS0_14default_configENS1_27scan_by_key_config_selectorIxxEEZZNS1_16scan_by_key_implILNS1_25lookback_scan_determinismE0ELb0ES3_N6thrust23THRUST_200600_302600_NS6detail15normal_iteratorINS9_10device_ptrIxEEEESE_SE_xNS9_10multipliesIxEENS9_8equal_toIxEExEE10hipError_tPvRmT2_T3_T4_T5_mT6_T7_P12ihipStream_tbENKUlT_T0_E_clISt17integral_constantIbLb1EESY_IbLb0EEEEDaSU_SV_EUlSU_E_NS1_11comp_targetILNS1_3genE5ELNS1_11target_archE942ELNS1_3gpuE9ELNS1_3repE0EEENS1_30default_config_static_selectorELNS0_4arch9wavefront6targetE0EEEvT1_.numbered_sgpr, 0
	.set _ZN7rocprim17ROCPRIM_400000_NS6detail17trampoline_kernelINS0_14default_configENS1_27scan_by_key_config_selectorIxxEEZZNS1_16scan_by_key_implILNS1_25lookback_scan_determinismE0ELb0ES3_N6thrust23THRUST_200600_302600_NS6detail15normal_iteratorINS9_10device_ptrIxEEEESE_SE_xNS9_10multipliesIxEENS9_8equal_toIxEExEE10hipError_tPvRmT2_T3_T4_T5_mT6_T7_P12ihipStream_tbENKUlT_T0_E_clISt17integral_constantIbLb1EESY_IbLb0EEEEDaSU_SV_EUlSU_E_NS1_11comp_targetILNS1_3genE5ELNS1_11target_archE942ELNS1_3gpuE9ELNS1_3repE0EEENS1_30default_config_static_selectorELNS0_4arch9wavefront6targetE0EEEvT1_.num_named_barrier, 0
	.set _ZN7rocprim17ROCPRIM_400000_NS6detail17trampoline_kernelINS0_14default_configENS1_27scan_by_key_config_selectorIxxEEZZNS1_16scan_by_key_implILNS1_25lookback_scan_determinismE0ELb0ES3_N6thrust23THRUST_200600_302600_NS6detail15normal_iteratorINS9_10device_ptrIxEEEESE_SE_xNS9_10multipliesIxEENS9_8equal_toIxEExEE10hipError_tPvRmT2_T3_T4_T5_mT6_T7_P12ihipStream_tbENKUlT_T0_E_clISt17integral_constantIbLb1EESY_IbLb0EEEEDaSU_SV_EUlSU_E_NS1_11comp_targetILNS1_3genE5ELNS1_11target_archE942ELNS1_3gpuE9ELNS1_3repE0EEENS1_30default_config_static_selectorELNS0_4arch9wavefront6targetE0EEEvT1_.private_seg_size, 0
	.set _ZN7rocprim17ROCPRIM_400000_NS6detail17trampoline_kernelINS0_14default_configENS1_27scan_by_key_config_selectorIxxEEZZNS1_16scan_by_key_implILNS1_25lookback_scan_determinismE0ELb0ES3_N6thrust23THRUST_200600_302600_NS6detail15normal_iteratorINS9_10device_ptrIxEEEESE_SE_xNS9_10multipliesIxEENS9_8equal_toIxEExEE10hipError_tPvRmT2_T3_T4_T5_mT6_T7_P12ihipStream_tbENKUlT_T0_E_clISt17integral_constantIbLb1EESY_IbLb0EEEEDaSU_SV_EUlSU_E_NS1_11comp_targetILNS1_3genE5ELNS1_11target_archE942ELNS1_3gpuE9ELNS1_3repE0EEENS1_30default_config_static_selectorELNS0_4arch9wavefront6targetE0EEEvT1_.uses_vcc, 0
	.set _ZN7rocprim17ROCPRIM_400000_NS6detail17trampoline_kernelINS0_14default_configENS1_27scan_by_key_config_selectorIxxEEZZNS1_16scan_by_key_implILNS1_25lookback_scan_determinismE0ELb0ES3_N6thrust23THRUST_200600_302600_NS6detail15normal_iteratorINS9_10device_ptrIxEEEESE_SE_xNS9_10multipliesIxEENS9_8equal_toIxEExEE10hipError_tPvRmT2_T3_T4_T5_mT6_T7_P12ihipStream_tbENKUlT_T0_E_clISt17integral_constantIbLb1EESY_IbLb0EEEEDaSU_SV_EUlSU_E_NS1_11comp_targetILNS1_3genE5ELNS1_11target_archE942ELNS1_3gpuE9ELNS1_3repE0EEENS1_30default_config_static_selectorELNS0_4arch9wavefront6targetE0EEEvT1_.uses_flat_scratch, 0
	.set _ZN7rocprim17ROCPRIM_400000_NS6detail17trampoline_kernelINS0_14default_configENS1_27scan_by_key_config_selectorIxxEEZZNS1_16scan_by_key_implILNS1_25lookback_scan_determinismE0ELb0ES3_N6thrust23THRUST_200600_302600_NS6detail15normal_iteratorINS9_10device_ptrIxEEEESE_SE_xNS9_10multipliesIxEENS9_8equal_toIxEExEE10hipError_tPvRmT2_T3_T4_T5_mT6_T7_P12ihipStream_tbENKUlT_T0_E_clISt17integral_constantIbLb1EESY_IbLb0EEEEDaSU_SV_EUlSU_E_NS1_11comp_targetILNS1_3genE5ELNS1_11target_archE942ELNS1_3gpuE9ELNS1_3repE0EEENS1_30default_config_static_selectorELNS0_4arch9wavefront6targetE0EEEvT1_.has_dyn_sized_stack, 0
	.set _ZN7rocprim17ROCPRIM_400000_NS6detail17trampoline_kernelINS0_14default_configENS1_27scan_by_key_config_selectorIxxEEZZNS1_16scan_by_key_implILNS1_25lookback_scan_determinismE0ELb0ES3_N6thrust23THRUST_200600_302600_NS6detail15normal_iteratorINS9_10device_ptrIxEEEESE_SE_xNS9_10multipliesIxEENS9_8equal_toIxEExEE10hipError_tPvRmT2_T3_T4_T5_mT6_T7_P12ihipStream_tbENKUlT_T0_E_clISt17integral_constantIbLb1EESY_IbLb0EEEEDaSU_SV_EUlSU_E_NS1_11comp_targetILNS1_3genE5ELNS1_11target_archE942ELNS1_3gpuE9ELNS1_3repE0EEENS1_30default_config_static_selectorELNS0_4arch9wavefront6targetE0EEEvT1_.has_recursion, 0
	.set _ZN7rocprim17ROCPRIM_400000_NS6detail17trampoline_kernelINS0_14default_configENS1_27scan_by_key_config_selectorIxxEEZZNS1_16scan_by_key_implILNS1_25lookback_scan_determinismE0ELb0ES3_N6thrust23THRUST_200600_302600_NS6detail15normal_iteratorINS9_10device_ptrIxEEEESE_SE_xNS9_10multipliesIxEENS9_8equal_toIxEExEE10hipError_tPvRmT2_T3_T4_T5_mT6_T7_P12ihipStream_tbENKUlT_T0_E_clISt17integral_constantIbLb1EESY_IbLb0EEEEDaSU_SV_EUlSU_E_NS1_11comp_targetILNS1_3genE5ELNS1_11target_archE942ELNS1_3gpuE9ELNS1_3repE0EEENS1_30default_config_static_selectorELNS0_4arch9wavefront6targetE0EEEvT1_.has_indirect_call, 0
	.section	.AMDGPU.csdata,"",@progbits
; Kernel info:
; codeLenInByte = 0
; TotalNumSgprs: 0
; NumVgprs: 0
; ScratchSize: 0
; MemoryBound: 0
; FloatMode: 240
; IeeeMode: 1
; LDSByteSize: 0 bytes/workgroup (compile time only)
; SGPRBlocks: 0
; VGPRBlocks: 0
; NumSGPRsForWavesPerEU: 1
; NumVGPRsForWavesPerEU: 1
; Occupancy: 16
; WaveLimiterHint : 0
; COMPUTE_PGM_RSRC2:SCRATCH_EN: 0
; COMPUTE_PGM_RSRC2:USER_SGPR: 6
; COMPUTE_PGM_RSRC2:TRAP_HANDLER: 0
; COMPUTE_PGM_RSRC2:TGID_X_EN: 1
; COMPUTE_PGM_RSRC2:TGID_Y_EN: 0
; COMPUTE_PGM_RSRC2:TGID_Z_EN: 0
; COMPUTE_PGM_RSRC2:TIDIG_COMP_CNT: 0
	.section	.text._ZN7rocprim17ROCPRIM_400000_NS6detail17trampoline_kernelINS0_14default_configENS1_27scan_by_key_config_selectorIxxEEZZNS1_16scan_by_key_implILNS1_25lookback_scan_determinismE0ELb0ES3_N6thrust23THRUST_200600_302600_NS6detail15normal_iteratorINS9_10device_ptrIxEEEESE_SE_xNS9_10multipliesIxEENS9_8equal_toIxEExEE10hipError_tPvRmT2_T3_T4_T5_mT6_T7_P12ihipStream_tbENKUlT_T0_E_clISt17integral_constantIbLb1EESY_IbLb0EEEEDaSU_SV_EUlSU_E_NS1_11comp_targetILNS1_3genE4ELNS1_11target_archE910ELNS1_3gpuE8ELNS1_3repE0EEENS1_30default_config_static_selectorELNS0_4arch9wavefront6targetE0EEEvT1_,"axG",@progbits,_ZN7rocprim17ROCPRIM_400000_NS6detail17trampoline_kernelINS0_14default_configENS1_27scan_by_key_config_selectorIxxEEZZNS1_16scan_by_key_implILNS1_25lookback_scan_determinismE0ELb0ES3_N6thrust23THRUST_200600_302600_NS6detail15normal_iteratorINS9_10device_ptrIxEEEESE_SE_xNS9_10multipliesIxEENS9_8equal_toIxEExEE10hipError_tPvRmT2_T3_T4_T5_mT6_T7_P12ihipStream_tbENKUlT_T0_E_clISt17integral_constantIbLb1EESY_IbLb0EEEEDaSU_SV_EUlSU_E_NS1_11comp_targetILNS1_3genE4ELNS1_11target_archE910ELNS1_3gpuE8ELNS1_3repE0EEENS1_30default_config_static_selectorELNS0_4arch9wavefront6targetE0EEEvT1_,comdat
	.protected	_ZN7rocprim17ROCPRIM_400000_NS6detail17trampoline_kernelINS0_14default_configENS1_27scan_by_key_config_selectorIxxEEZZNS1_16scan_by_key_implILNS1_25lookback_scan_determinismE0ELb0ES3_N6thrust23THRUST_200600_302600_NS6detail15normal_iteratorINS9_10device_ptrIxEEEESE_SE_xNS9_10multipliesIxEENS9_8equal_toIxEExEE10hipError_tPvRmT2_T3_T4_T5_mT6_T7_P12ihipStream_tbENKUlT_T0_E_clISt17integral_constantIbLb1EESY_IbLb0EEEEDaSU_SV_EUlSU_E_NS1_11comp_targetILNS1_3genE4ELNS1_11target_archE910ELNS1_3gpuE8ELNS1_3repE0EEENS1_30default_config_static_selectorELNS0_4arch9wavefront6targetE0EEEvT1_ ; -- Begin function _ZN7rocprim17ROCPRIM_400000_NS6detail17trampoline_kernelINS0_14default_configENS1_27scan_by_key_config_selectorIxxEEZZNS1_16scan_by_key_implILNS1_25lookback_scan_determinismE0ELb0ES3_N6thrust23THRUST_200600_302600_NS6detail15normal_iteratorINS9_10device_ptrIxEEEESE_SE_xNS9_10multipliesIxEENS9_8equal_toIxEExEE10hipError_tPvRmT2_T3_T4_T5_mT6_T7_P12ihipStream_tbENKUlT_T0_E_clISt17integral_constantIbLb1EESY_IbLb0EEEEDaSU_SV_EUlSU_E_NS1_11comp_targetILNS1_3genE4ELNS1_11target_archE910ELNS1_3gpuE8ELNS1_3repE0EEENS1_30default_config_static_selectorELNS0_4arch9wavefront6targetE0EEEvT1_
	.globl	_ZN7rocprim17ROCPRIM_400000_NS6detail17trampoline_kernelINS0_14default_configENS1_27scan_by_key_config_selectorIxxEEZZNS1_16scan_by_key_implILNS1_25lookback_scan_determinismE0ELb0ES3_N6thrust23THRUST_200600_302600_NS6detail15normal_iteratorINS9_10device_ptrIxEEEESE_SE_xNS9_10multipliesIxEENS9_8equal_toIxEExEE10hipError_tPvRmT2_T3_T4_T5_mT6_T7_P12ihipStream_tbENKUlT_T0_E_clISt17integral_constantIbLb1EESY_IbLb0EEEEDaSU_SV_EUlSU_E_NS1_11comp_targetILNS1_3genE4ELNS1_11target_archE910ELNS1_3gpuE8ELNS1_3repE0EEENS1_30default_config_static_selectorELNS0_4arch9wavefront6targetE0EEEvT1_
	.p2align	8
	.type	_ZN7rocprim17ROCPRIM_400000_NS6detail17trampoline_kernelINS0_14default_configENS1_27scan_by_key_config_selectorIxxEEZZNS1_16scan_by_key_implILNS1_25lookback_scan_determinismE0ELb0ES3_N6thrust23THRUST_200600_302600_NS6detail15normal_iteratorINS9_10device_ptrIxEEEESE_SE_xNS9_10multipliesIxEENS9_8equal_toIxEExEE10hipError_tPvRmT2_T3_T4_T5_mT6_T7_P12ihipStream_tbENKUlT_T0_E_clISt17integral_constantIbLb1EESY_IbLb0EEEEDaSU_SV_EUlSU_E_NS1_11comp_targetILNS1_3genE4ELNS1_11target_archE910ELNS1_3gpuE8ELNS1_3repE0EEENS1_30default_config_static_selectorELNS0_4arch9wavefront6targetE0EEEvT1_,@function
_ZN7rocprim17ROCPRIM_400000_NS6detail17trampoline_kernelINS0_14default_configENS1_27scan_by_key_config_selectorIxxEEZZNS1_16scan_by_key_implILNS1_25lookback_scan_determinismE0ELb0ES3_N6thrust23THRUST_200600_302600_NS6detail15normal_iteratorINS9_10device_ptrIxEEEESE_SE_xNS9_10multipliesIxEENS9_8equal_toIxEExEE10hipError_tPvRmT2_T3_T4_T5_mT6_T7_P12ihipStream_tbENKUlT_T0_E_clISt17integral_constantIbLb1EESY_IbLb0EEEEDaSU_SV_EUlSU_E_NS1_11comp_targetILNS1_3genE4ELNS1_11target_archE910ELNS1_3gpuE8ELNS1_3repE0EEENS1_30default_config_static_selectorELNS0_4arch9wavefront6targetE0EEEvT1_: ; @_ZN7rocprim17ROCPRIM_400000_NS6detail17trampoline_kernelINS0_14default_configENS1_27scan_by_key_config_selectorIxxEEZZNS1_16scan_by_key_implILNS1_25lookback_scan_determinismE0ELb0ES3_N6thrust23THRUST_200600_302600_NS6detail15normal_iteratorINS9_10device_ptrIxEEEESE_SE_xNS9_10multipliesIxEENS9_8equal_toIxEExEE10hipError_tPvRmT2_T3_T4_T5_mT6_T7_P12ihipStream_tbENKUlT_T0_E_clISt17integral_constantIbLb1EESY_IbLb0EEEEDaSU_SV_EUlSU_E_NS1_11comp_targetILNS1_3genE4ELNS1_11target_archE910ELNS1_3gpuE8ELNS1_3repE0EEENS1_30default_config_static_selectorELNS0_4arch9wavefront6targetE0EEEvT1_
; %bb.0:
	.section	.rodata,"a",@progbits
	.p2align	6, 0x0
	.amdhsa_kernel _ZN7rocprim17ROCPRIM_400000_NS6detail17trampoline_kernelINS0_14default_configENS1_27scan_by_key_config_selectorIxxEEZZNS1_16scan_by_key_implILNS1_25lookback_scan_determinismE0ELb0ES3_N6thrust23THRUST_200600_302600_NS6detail15normal_iteratorINS9_10device_ptrIxEEEESE_SE_xNS9_10multipliesIxEENS9_8equal_toIxEExEE10hipError_tPvRmT2_T3_T4_T5_mT6_T7_P12ihipStream_tbENKUlT_T0_E_clISt17integral_constantIbLb1EESY_IbLb0EEEEDaSU_SV_EUlSU_E_NS1_11comp_targetILNS1_3genE4ELNS1_11target_archE910ELNS1_3gpuE8ELNS1_3repE0EEENS1_30default_config_static_selectorELNS0_4arch9wavefront6targetE0EEEvT1_
		.amdhsa_group_segment_fixed_size 0
		.amdhsa_private_segment_fixed_size 0
		.amdhsa_kernarg_size 136
		.amdhsa_user_sgpr_count 6
		.amdhsa_user_sgpr_private_segment_buffer 1
		.amdhsa_user_sgpr_dispatch_ptr 0
		.amdhsa_user_sgpr_queue_ptr 0
		.amdhsa_user_sgpr_kernarg_segment_ptr 1
		.amdhsa_user_sgpr_dispatch_id 0
		.amdhsa_user_sgpr_flat_scratch_init 0
		.amdhsa_user_sgpr_private_segment_size 0
		.amdhsa_wavefront_size32 1
		.amdhsa_uses_dynamic_stack 0
		.amdhsa_system_sgpr_private_segment_wavefront_offset 0
		.amdhsa_system_sgpr_workgroup_id_x 1
		.amdhsa_system_sgpr_workgroup_id_y 0
		.amdhsa_system_sgpr_workgroup_id_z 0
		.amdhsa_system_sgpr_workgroup_info 0
		.amdhsa_system_vgpr_workitem_id 0
		.amdhsa_next_free_vgpr 1
		.amdhsa_next_free_sgpr 1
		.amdhsa_reserve_vcc 0
		.amdhsa_reserve_flat_scratch 0
		.amdhsa_float_round_mode_32 0
		.amdhsa_float_round_mode_16_64 0
		.amdhsa_float_denorm_mode_32 3
		.amdhsa_float_denorm_mode_16_64 3
		.amdhsa_dx10_clamp 1
		.amdhsa_ieee_mode 1
		.amdhsa_fp16_overflow 0
		.amdhsa_workgroup_processor_mode 1
		.amdhsa_memory_ordered 1
		.amdhsa_forward_progress 1
		.amdhsa_shared_vgpr_count 0
		.amdhsa_exception_fp_ieee_invalid_op 0
		.amdhsa_exception_fp_denorm_src 0
		.amdhsa_exception_fp_ieee_div_zero 0
		.amdhsa_exception_fp_ieee_overflow 0
		.amdhsa_exception_fp_ieee_underflow 0
		.amdhsa_exception_fp_ieee_inexact 0
		.amdhsa_exception_int_div_zero 0
	.end_amdhsa_kernel
	.section	.text._ZN7rocprim17ROCPRIM_400000_NS6detail17trampoline_kernelINS0_14default_configENS1_27scan_by_key_config_selectorIxxEEZZNS1_16scan_by_key_implILNS1_25lookback_scan_determinismE0ELb0ES3_N6thrust23THRUST_200600_302600_NS6detail15normal_iteratorINS9_10device_ptrIxEEEESE_SE_xNS9_10multipliesIxEENS9_8equal_toIxEExEE10hipError_tPvRmT2_T3_T4_T5_mT6_T7_P12ihipStream_tbENKUlT_T0_E_clISt17integral_constantIbLb1EESY_IbLb0EEEEDaSU_SV_EUlSU_E_NS1_11comp_targetILNS1_3genE4ELNS1_11target_archE910ELNS1_3gpuE8ELNS1_3repE0EEENS1_30default_config_static_selectorELNS0_4arch9wavefront6targetE0EEEvT1_,"axG",@progbits,_ZN7rocprim17ROCPRIM_400000_NS6detail17trampoline_kernelINS0_14default_configENS1_27scan_by_key_config_selectorIxxEEZZNS1_16scan_by_key_implILNS1_25lookback_scan_determinismE0ELb0ES3_N6thrust23THRUST_200600_302600_NS6detail15normal_iteratorINS9_10device_ptrIxEEEESE_SE_xNS9_10multipliesIxEENS9_8equal_toIxEExEE10hipError_tPvRmT2_T3_T4_T5_mT6_T7_P12ihipStream_tbENKUlT_T0_E_clISt17integral_constantIbLb1EESY_IbLb0EEEEDaSU_SV_EUlSU_E_NS1_11comp_targetILNS1_3genE4ELNS1_11target_archE910ELNS1_3gpuE8ELNS1_3repE0EEENS1_30default_config_static_selectorELNS0_4arch9wavefront6targetE0EEEvT1_,comdat
.Lfunc_end68:
	.size	_ZN7rocprim17ROCPRIM_400000_NS6detail17trampoline_kernelINS0_14default_configENS1_27scan_by_key_config_selectorIxxEEZZNS1_16scan_by_key_implILNS1_25lookback_scan_determinismE0ELb0ES3_N6thrust23THRUST_200600_302600_NS6detail15normal_iteratorINS9_10device_ptrIxEEEESE_SE_xNS9_10multipliesIxEENS9_8equal_toIxEExEE10hipError_tPvRmT2_T3_T4_T5_mT6_T7_P12ihipStream_tbENKUlT_T0_E_clISt17integral_constantIbLb1EESY_IbLb0EEEEDaSU_SV_EUlSU_E_NS1_11comp_targetILNS1_3genE4ELNS1_11target_archE910ELNS1_3gpuE8ELNS1_3repE0EEENS1_30default_config_static_selectorELNS0_4arch9wavefront6targetE0EEEvT1_, .Lfunc_end68-_ZN7rocprim17ROCPRIM_400000_NS6detail17trampoline_kernelINS0_14default_configENS1_27scan_by_key_config_selectorIxxEEZZNS1_16scan_by_key_implILNS1_25lookback_scan_determinismE0ELb0ES3_N6thrust23THRUST_200600_302600_NS6detail15normal_iteratorINS9_10device_ptrIxEEEESE_SE_xNS9_10multipliesIxEENS9_8equal_toIxEExEE10hipError_tPvRmT2_T3_T4_T5_mT6_T7_P12ihipStream_tbENKUlT_T0_E_clISt17integral_constantIbLb1EESY_IbLb0EEEEDaSU_SV_EUlSU_E_NS1_11comp_targetILNS1_3genE4ELNS1_11target_archE910ELNS1_3gpuE8ELNS1_3repE0EEENS1_30default_config_static_selectorELNS0_4arch9wavefront6targetE0EEEvT1_
                                        ; -- End function
	.set _ZN7rocprim17ROCPRIM_400000_NS6detail17trampoline_kernelINS0_14default_configENS1_27scan_by_key_config_selectorIxxEEZZNS1_16scan_by_key_implILNS1_25lookback_scan_determinismE0ELb0ES3_N6thrust23THRUST_200600_302600_NS6detail15normal_iteratorINS9_10device_ptrIxEEEESE_SE_xNS9_10multipliesIxEENS9_8equal_toIxEExEE10hipError_tPvRmT2_T3_T4_T5_mT6_T7_P12ihipStream_tbENKUlT_T0_E_clISt17integral_constantIbLb1EESY_IbLb0EEEEDaSU_SV_EUlSU_E_NS1_11comp_targetILNS1_3genE4ELNS1_11target_archE910ELNS1_3gpuE8ELNS1_3repE0EEENS1_30default_config_static_selectorELNS0_4arch9wavefront6targetE0EEEvT1_.num_vgpr, 0
	.set _ZN7rocprim17ROCPRIM_400000_NS6detail17trampoline_kernelINS0_14default_configENS1_27scan_by_key_config_selectorIxxEEZZNS1_16scan_by_key_implILNS1_25lookback_scan_determinismE0ELb0ES3_N6thrust23THRUST_200600_302600_NS6detail15normal_iteratorINS9_10device_ptrIxEEEESE_SE_xNS9_10multipliesIxEENS9_8equal_toIxEExEE10hipError_tPvRmT2_T3_T4_T5_mT6_T7_P12ihipStream_tbENKUlT_T0_E_clISt17integral_constantIbLb1EESY_IbLb0EEEEDaSU_SV_EUlSU_E_NS1_11comp_targetILNS1_3genE4ELNS1_11target_archE910ELNS1_3gpuE8ELNS1_3repE0EEENS1_30default_config_static_selectorELNS0_4arch9wavefront6targetE0EEEvT1_.num_agpr, 0
	.set _ZN7rocprim17ROCPRIM_400000_NS6detail17trampoline_kernelINS0_14default_configENS1_27scan_by_key_config_selectorIxxEEZZNS1_16scan_by_key_implILNS1_25lookback_scan_determinismE0ELb0ES3_N6thrust23THRUST_200600_302600_NS6detail15normal_iteratorINS9_10device_ptrIxEEEESE_SE_xNS9_10multipliesIxEENS9_8equal_toIxEExEE10hipError_tPvRmT2_T3_T4_T5_mT6_T7_P12ihipStream_tbENKUlT_T0_E_clISt17integral_constantIbLb1EESY_IbLb0EEEEDaSU_SV_EUlSU_E_NS1_11comp_targetILNS1_3genE4ELNS1_11target_archE910ELNS1_3gpuE8ELNS1_3repE0EEENS1_30default_config_static_selectorELNS0_4arch9wavefront6targetE0EEEvT1_.numbered_sgpr, 0
	.set _ZN7rocprim17ROCPRIM_400000_NS6detail17trampoline_kernelINS0_14default_configENS1_27scan_by_key_config_selectorIxxEEZZNS1_16scan_by_key_implILNS1_25lookback_scan_determinismE0ELb0ES3_N6thrust23THRUST_200600_302600_NS6detail15normal_iteratorINS9_10device_ptrIxEEEESE_SE_xNS9_10multipliesIxEENS9_8equal_toIxEExEE10hipError_tPvRmT2_T3_T4_T5_mT6_T7_P12ihipStream_tbENKUlT_T0_E_clISt17integral_constantIbLb1EESY_IbLb0EEEEDaSU_SV_EUlSU_E_NS1_11comp_targetILNS1_3genE4ELNS1_11target_archE910ELNS1_3gpuE8ELNS1_3repE0EEENS1_30default_config_static_selectorELNS0_4arch9wavefront6targetE0EEEvT1_.num_named_barrier, 0
	.set _ZN7rocprim17ROCPRIM_400000_NS6detail17trampoline_kernelINS0_14default_configENS1_27scan_by_key_config_selectorIxxEEZZNS1_16scan_by_key_implILNS1_25lookback_scan_determinismE0ELb0ES3_N6thrust23THRUST_200600_302600_NS6detail15normal_iteratorINS9_10device_ptrIxEEEESE_SE_xNS9_10multipliesIxEENS9_8equal_toIxEExEE10hipError_tPvRmT2_T3_T4_T5_mT6_T7_P12ihipStream_tbENKUlT_T0_E_clISt17integral_constantIbLb1EESY_IbLb0EEEEDaSU_SV_EUlSU_E_NS1_11comp_targetILNS1_3genE4ELNS1_11target_archE910ELNS1_3gpuE8ELNS1_3repE0EEENS1_30default_config_static_selectorELNS0_4arch9wavefront6targetE0EEEvT1_.private_seg_size, 0
	.set _ZN7rocprim17ROCPRIM_400000_NS6detail17trampoline_kernelINS0_14default_configENS1_27scan_by_key_config_selectorIxxEEZZNS1_16scan_by_key_implILNS1_25lookback_scan_determinismE0ELb0ES3_N6thrust23THRUST_200600_302600_NS6detail15normal_iteratorINS9_10device_ptrIxEEEESE_SE_xNS9_10multipliesIxEENS9_8equal_toIxEExEE10hipError_tPvRmT2_T3_T4_T5_mT6_T7_P12ihipStream_tbENKUlT_T0_E_clISt17integral_constantIbLb1EESY_IbLb0EEEEDaSU_SV_EUlSU_E_NS1_11comp_targetILNS1_3genE4ELNS1_11target_archE910ELNS1_3gpuE8ELNS1_3repE0EEENS1_30default_config_static_selectorELNS0_4arch9wavefront6targetE0EEEvT1_.uses_vcc, 0
	.set _ZN7rocprim17ROCPRIM_400000_NS6detail17trampoline_kernelINS0_14default_configENS1_27scan_by_key_config_selectorIxxEEZZNS1_16scan_by_key_implILNS1_25lookback_scan_determinismE0ELb0ES3_N6thrust23THRUST_200600_302600_NS6detail15normal_iteratorINS9_10device_ptrIxEEEESE_SE_xNS9_10multipliesIxEENS9_8equal_toIxEExEE10hipError_tPvRmT2_T3_T4_T5_mT6_T7_P12ihipStream_tbENKUlT_T0_E_clISt17integral_constantIbLb1EESY_IbLb0EEEEDaSU_SV_EUlSU_E_NS1_11comp_targetILNS1_3genE4ELNS1_11target_archE910ELNS1_3gpuE8ELNS1_3repE0EEENS1_30default_config_static_selectorELNS0_4arch9wavefront6targetE0EEEvT1_.uses_flat_scratch, 0
	.set _ZN7rocprim17ROCPRIM_400000_NS6detail17trampoline_kernelINS0_14default_configENS1_27scan_by_key_config_selectorIxxEEZZNS1_16scan_by_key_implILNS1_25lookback_scan_determinismE0ELb0ES3_N6thrust23THRUST_200600_302600_NS6detail15normal_iteratorINS9_10device_ptrIxEEEESE_SE_xNS9_10multipliesIxEENS9_8equal_toIxEExEE10hipError_tPvRmT2_T3_T4_T5_mT6_T7_P12ihipStream_tbENKUlT_T0_E_clISt17integral_constantIbLb1EESY_IbLb0EEEEDaSU_SV_EUlSU_E_NS1_11comp_targetILNS1_3genE4ELNS1_11target_archE910ELNS1_3gpuE8ELNS1_3repE0EEENS1_30default_config_static_selectorELNS0_4arch9wavefront6targetE0EEEvT1_.has_dyn_sized_stack, 0
	.set _ZN7rocprim17ROCPRIM_400000_NS6detail17trampoline_kernelINS0_14default_configENS1_27scan_by_key_config_selectorIxxEEZZNS1_16scan_by_key_implILNS1_25lookback_scan_determinismE0ELb0ES3_N6thrust23THRUST_200600_302600_NS6detail15normal_iteratorINS9_10device_ptrIxEEEESE_SE_xNS9_10multipliesIxEENS9_8equal_toIxEExEE10hipError_tPvRmT2_T3_T4_T5_mT6_T7_P12ihipStream_tbENKUlT_T0_E_clISt17integral_constantIbLb1EESY_IbLb0EEEEDaSU_SV_EUlSU_E_NS1_11comp_targetILNS1_3genE4ELNS1_11target_archE910ELNS1_3gpuE8ELNS1_3repE0EEENS1_30default_config_static_selectorELNS0_4arch9wavefront6targetE0EEEvT1_.has_recursion, 0
	.set _ZN7rocprim17ROCPRIM_400000_NS6detail17trampoline_kernelINS0_14default_configENS1_27scan_by_key_config_selectorIxxEEZZNS1_16scan_by_key_implILNS1_25lookback_scan_determinismE0ELb0ES3_N6thrust23THRUST_200600_302600_NS6detail15normal_iteratorINS9_10device_ptrIxEEEESE_SE_xNS9_10multipliesIxEENS9_8equal_toIxEExEE10hipError_tPvRmT2_T3_T4_T5_mT6_T7_P12ihipStream_tbENKUlT_T0_E_clISt17integral_constantIbLb1EESY_IbLb0EEEEDaSU_SV_EUlSU_E_NS1_11comp_targetILNS1_3genE4ELNS1_11target_archE910ELNS1_3gpuE8ELNS1_3repE0EEENS1_30default_config_static_selectorELNS0_4arch9wavefront6targetE0EEEvT1_.has_indirect_call, 0
	.section	.AMDGPU.csdata,"",@progbits
; Kernel info:
; codeLenInByte = 0
; TotalNumSgprs: 0
; NumVgprs: 0
; ScratchSize: 0
; MemoryBound: 0
; FloatMode: 240
; IeeeMode: 1
; LDSByteSize: 0 bytes/workgroup (compile time only)
; SGPRBlocks: 0
; VGPRBlocks: 0
; NumSGPRsForWavesPerEU: 1
; NumVGPRsForWavesPerEU: 1
; Occupancy: 16
; WaveLimiterHint : 0
; COMPUTE_PGM_RSRC2:SCRATCH_EN: 0
; COMPUTE_PGM_RSRC2:USER_SGPR: 6
; COMPUTE_PGM_RSRC2:TRAP_HANDLER: 0
; COMPUTE_PGM_RSRC2:TGID_X_EN: 1
; COMPUTE_PGM_RSRC2:TGID_Y_EN: 0
; COMPUTE_PGM_RSRC2:TGID_Z_EN: 0
; COMPUTE_PGM_RSRC2:TIDIG_COMP_CNT: 0
	.section	.text._ZN7rocprim17ROCPRIM_400000_NS6detail17trampoline_kernelINS0_14default_configENS1_27scan_by_key_config_selectorIxxEEZZNS1_16scan_by_key_implILNS1_25lookback_scan_determinismE0ELb0ES3_N6thrust23THRUST_200600_302600_NS6detail15normal_iteratorINS9_10device_ptrIxEEEESE_SE_xNS9_10multipliesIxEENS9_8equal_toIxEExEE10hipError_tPvRmT2_T3_T4_T5_mT6_T7_P12ihipStream_tbENKUlT_T0_E_clISt17integral_constantIbLb1EESY_IbLb0EEEEDaSU_SV_EUlSU_E_NS1_11comp_targetILNS1_3genE3ELNS1_11target_archE908ELNS1_3gpuE7ELNS1_3repE0EEENS1_30default_config_static_selectorELNS0_4arch9wavefront6targetE0EEEvT1_,"axG",@progbits,_ZN7rocprim17ROCPRIM_400000_NS6detail17trampoline_kernelINS0_14default_configENS1_27scan_by_key_config_selectorIxxEEZZNS1_16scan_by_key_implILNS1_25lookback_scan_determinismE0ELb0ES3_N6thrust23THRUST_200600_302600_NS6detail15normal_iteratorINS9_10device_ptrIxEEEESE_SE_xNS9_10multipliesIxEENS9_8equal_toIxEExEE10hipError_tPvRmT2_T3_T4_T5_mT6_T7_P12ihipStream_tbENKUlT_T0_E_clISt17integral_constantIbLb1EESY_IbLb0EEEEDaSU_SV_EUlSU_E_NS1_11comp_targetILNS1_3genE3ELNS1_11target_archE908ELNS1_3gpuE7ELNS1_3repE0EEENS1_30default_config_static_selectorELNS0_4arch9wavefront6targetE0EEEvT1_,comdat
	.protected	_ZN7rocprim17ROCPRIM_400000_NS6detail17trampoline_kernelINS0_14default_configENS1_27scan_by_key_config_selectorIxxEEZZNS1_16scan_by_key_implILNS1_25lookback_scan_determinismE0ELb0ES3_N6thrust23THRUST_200600_302600_NS6detail15normal_iteratorINS9_10device_ptrIxEEEESE_SE_xNS9_10multipliesIxEENS9_8equal_toIxEExEE10hipError_tPvRmT2_T3_T4_T5_mT6_T7_P12ihipStream_tbENKUlT_T0_E_clISt17integral_constantIbLb1EESY_IbLb0EEEEDaSU_SV_EUlSU_E_NS1_11comp_targetILNS1_3genE3ELNS1_11target_archE908ELNS1_3gpuE7ELNS1_3repE0EEENS1_30default_config_static_selectorELNS0_4arch9wavefront6targetE0EEEvT1_ ; -- Begin function _ZN7rocprim17ROCPRIM_400000_NS6detail17trampoline_kernelINS0_14default_configENS1_27scan_by_key_config_selectorIxxEEZZNS1_16scan_by_key_implILNS1_25lookback_scan_determinismE0ELb0ES3_N6thrust23THRUST_200600_302600_NS6detail15normal_iteratorINS9_10device_ptrIxEEEESE_SE_xNS9_10multipliesIxEENS9_8equal_toIxEExEE10hipError_tPvRmT2_T3_T4_T5_mT6_T7_P12ihipStream_tbENKUlT_T0_E_clISt17integral_constantIbLb1EESY_IbLb0EEEEDaSU_SV_EUlSU_E_NS1_11comp_targetILNS1_3genE3ELNS1_11target_archE908ELNS1_3gpuE7ELNS1_3repE0EEENS1_30default_config_static_selectorELNS0_4arch9wavefront6targetE0EEEvT1_
	.globl	_ZN7rocprim17ROCPRIM_400000_NS6detail17trampoline_kernelINS0_14default_configENS1_27scan_by_key_config_selectorIxxEEZZNS1_16scan_by_key_implILNS1_25lookback_scan_determinismE0ELb0ES3_N6thrust23THRUST_200600_302600_NS6detail15normal_iteratorINS9_10device_ptrIxEEEESE_SE_xNS9_10multipliesIxEENS9_8equal_toIxEExEE10hipError_tPvRmT2_T3_T4_T5_mT6_T7_P12ihipStream_tbENKUlT_T0_E_clISt17integral_constantIbLb1EESY_IbLb0EEEEDaSU_SV_EUlSU_E_NS1_11comp_targetILNS1_3genE3ELNS1_11target_archE908ELNS1_3gpuE7ELNS1_3repE0EEENS1_30default_config_static_selectorELNS0_4arch9wavefront6targetE0EEEvT1_
	.p2align	8
	.type	_ZN7rocprim17ROCPRIM_400000_NS6detail17trampoline_kernelINS0_14default_configENS1_27scan_by_key_config_selectorIxxEEZZNS1_16scan_by_key_implILNS1_25lookback_scan_determinismE0ELb0ES3_N6thrust23THRUST_200600_302600_NS6detail15normal_iteratorINS9_10device_ptrIxEEEESE_SE_xNS9_10multipliesIxEENS9_8equal_toIxEExEE10hipError_tPvRmT2_T3_T4_T5_mT6_T7_P12ihipStream_tbENKUlT_T0_E_clISt17integral_constantIbLb1EESY_IbLb0EEEEDaSU_SV_EUlSU_E_NS1_11comp_targetILNS1_3genE3ELNS1_11target_archE908ELNS1_3gpuE7ELNS1_3repE0EEENS1_30default_config_static_selectorELNS0_4arch9wavefront6targetE0EEEvT1_,@function
_ZN7rocprim17ROCPRIM_400000_NS6detail17trampoline_kernelINS0_14default_configENS1_27scan_by_key_config_selectorIxxEEZZNS1_16scan_by_key_implILNS1_25lookback_scan_determinismE0ELb0ES3_N6thrust23THRUST_200600_302600_NS6detail15normal_iteratorINS9_10device_ptrIxEEEESE_SE_xNS9_10multipliesIxEENS9_8equal_toIxEExEE10hipError_tPvRmT2_T3_T4_T5_mT6_T7_P12ihipStream_tbENKUlT_T0_E_clISt17integral_constantIbLb1EESY_IbLb0EEEEDaSU_SV_EUlSU_E_NS1_11comp_targetILNS1_3genE3ELNS1_11target_archE908ELNS1_3gpuE7ELNS1_3repE0EEENS1_30default_config_static_selectorELNS0_4arch9wavefront6targetE0EEEvT1_: ; @_ZN7rocprim17ROCPRIM_400000_NS6detail17trampoline_kernelINS0_14default_configENS1_27scan_by_key_config_selectorIxxEEZZNS1_16scan_by_key_implILNS1_25lookback_scan_determinismE0ELb0ES3_N6thrust23THRUST_200600_302600_NS6detail15normal_iteratorINS9_10device_ptrIxEEEESE_SE_xNS9_10multipliesIxEENS9_8equal_toIxEExEE10hipError_tPvRmT2_T3_T4_T5_mT6_T7_P12ihipStream_tbENKUlT_T0_E_clISt17integral_constantIbLb1EESY_IbLb0EEEEDaSU_SV_EUlSU_E_NS1_11comp_targetILNS1_3genE3ELNS1_11target_archE908ELNS1_3gpuE7ELNS1_3repE0EEENS1_30default_config_static_selectorELNS0_4arch9wavefront6targetE0EEEvT1_
; %bb.0:
	.section	.rodata,"a",@progbits
	.p2align	6, 0x0
	.amdhsa_kernel _ZN7rocprim17ROCPRIM_400000_NS6detail17trampoline_kernelINS0_14default_configENS1_27scan_by_key_config_selectorIxxEEZZNS1_16scan_by_key_implILNS1_25lookback_scan_determinismE0ELb0ES3_N6thrust23THRUST_200600_302600_NS6detail15normal_iteratorINS9_10device_ptrIxEEEESE_SE_xNS9_10multipliesIxEENS9_8equal_toIxEExEE10hipError_tPvRmT2_T3_T4_T5_mT6_T7_P12ihipStream_tbENKUlT_T0_E_clISt17integral_constantIbLb1EESY_IbLb0EEEEDaSU_SV_EUlSU_E_NS1_11comp_targetILNS1_3genE3ELNS1_11target_archE908ELNS1_3gpuE7ELNS1_3repE0EEENS1_30default_config_static_selectorELNS0_4arch9wavefront6targetE0EEEvT1_
		.amdhsa_group_segment_fixed_size 0
		.amdhsa_private_segment_fixed_size 0
		.amdhsa_kernarg_size 136
		.amdhsa_user_sgpr_count 6
		.amdhsa_user_sgpr_private_segment_buffer 1
		.amdhsa_user_sgpr_dispatch_ptr 0
		.amdhsa_user_sgpr_queue_ptr 0
		.amdhsa_user_sgpr_kernarg_segment_ptr 1
		.amdhsa_user_sgpr_dispatch_id 0
		.amdhsa_user_sgpr_flat_scratch_init 0
		.amdhsa_user_sgpr_private_segment_size 0
		.amdhsa_wavefront_size32 1
		.amdhsa_uses_dynamic_stack 0
		.amdhsa_system_sgpr_private_segment_wavefront_offset 0
		.amdhsa_system_sgpr_workgroup_id_x 1
		.amdhsa_system_sgpr_workgroup_id_y 0
		.amdhsa_system_sgpr_workgroup_id_z 0
		.amdhsa_system_sgpr_workgroup_info 0
		.amdhsa_system_vgpr_workitem_id 0
		.amdhsa_next_free_vgpr 1
		.amdhsa_next_free_sgpr 1
		.amdhsa_reserve_vcc 0
		.amdhsa_reserve_flat_scratch 0
		.amdhsa_float_round_mode_32 0
		.amdhsa_float_round_mode_16_64 0
		.amdhsa_float_denorm_mode_32 3
		.amdhsa_float_denorm_mode_16_64 3
		.amdhsa_dx10_clamp 1
		.amdhsa_ieee_mode 1
		.amdhsa_fp16_overflow 0
		.amdhsa_workgroup_processor_mode 1
		.amdhsa_memory_ordered 1
		.amdhsa_forward_progress 1
		.amdhsa_shared_vgpr_count 0
		.amdhsa_exception_fp_ieee_invalid_op 0
		.amdhsa_exception_fp_denorm_src 0
		.amdhsa_exception_fp_ieee_div_zero 0
		.amdhsa_exception_fp_ieee_overflow 0
		.amdhsa_exception_fp_ieee_underflow 0
		.amdhsa_exception_fp_ieee_inexact 0
		.amdhsa_exception_int_div_zero 0
	.end_amdhsa_kernel
	.section	.text._ZN7rocprim17ROCPRIM_400000_NS6detail17trampoline_kernelINS0_14default_configENS1_27scan_by_key_config_selectorIxxEEZZNS1_16scan_by_key_implILNS1_25lookback_scan_determinismE0ELb0ES3_N6thrust23THRUST_200600_302600_NS6detail15normal_iteratorINS9_10device_ptrIxEEEESE_SE_xNS9_10multipliesIxEENS9_8equal_toIxEExEE10hipError_tPvRmT2_T3_T4_T5_mT6_T7_P12ihipStream_tbENKUlT_T0_E_clISt17integral_constantIbLb1EESY_IbLb0EEEEDaSU_SV_EUlSU_E_NS1_11comp_targetILNS1_3genE3ELNS1_11target_archE908ELNS1_3gpuE7ELNS1_3repE0EEENS1_30default_config_static_selectorELNS0_4arch9wavefront6targetE0EEEvT1_,"axG",@progbits,_ZN7rocprim17ROCPRIM_400000_NS6detail17trampoline_kernelINS0_14default_configENS1_27scan_by_key_config_selectorIxxEEZZNS1_16scan_by_key_implILNS1_25lookback_scan_determinismE0ELb0ES3_N6thrust23THRUST_200600_302600_NS6detail15normal_iteratorINS9_10device_ptrIxEEEESE_SE_xNS9_10multipliesIxEENS9_8equal_toIxEExEE10hipError_tPvRmT2_T3_T4_T5_mT6_T7_P12ihipStream_tbENKUlT_T0_E_clISt17integral_constantIbLb1EESY_IbLb0EEEEDaSU_SV_EUlSU_E_NS1_11comp_targetILNS1_3genE3ELNS1_11target_archE908ELNS1_3gpuE7ELNS1_3repE0EEENS1_30default_config_static_selectorELNS0_4arch9wavefront6targetE0EEEvT1_,comdat
.Lfunc_end69:
	.size	_ZN7rocprim17ROCPRIM_400000_NS6detail17trampoline_kernelINS0_14default_configENS1_27scan_by_key_config_selectorIxxEEZZNS1_16scan_by_key_implILNS1_25lookback_scan_determinismE0ELb0ES3_N6thrust23THRUST_200600_302600_NS6detail15normal_iteratorINS9_10device_ptrIxEEEESE_SE_xNS9_10multipliesIxEENS9_8equal_toIxEExEE10hipError_tPvRmT2_T3_T4_T5_mT6_T7_P12ihipStream_tbENKUlT_T0_E_clISt17integral_constantIbLb1EESY_IbLb0EEEEDaSU_SV_EUlSU_E_NS1_11comp_targetILNS1_3genE3ELNS1_11target_archE908ELNS1_3gpuE7ELNS1_3repE0EEENS1_30default_config_static_selectorELNS0_4arch9wavefront6targetE0EEEvT1_, .Lfunc_end69-_ZN7rocprim17ROCPRIM_400000_NS6detail17trampoline_kernelINS0_14default_configENS1_27scan_by_key_config_selectorIxxEEZZNS1_16scan_by_key_implILNS1_25lookback_scan_determinismE0ELb0ES3_N6thrust23THRUST_200600_302600_NS6detail15normal_iteratorINS9_10device_ptrIxEEEESE_SE_xNS9_10multipliesIxEENS9_8equal_toIxEExEE10hipError_tPvRmT2_T3_T4_T5_mT6_T7_P12ihipStream_tbENKUlT_T0_E_clISt17integral_constantIbLb1EESY_IbLb0EEEEDaSU_SV_EUlSU_E_NS1_11comp_targetILNS1_3genE3ELNS1_11target_archE908ELNS1_3gpuE7ELNS1_3repE0EEENS1_30default_config_static_selectorELNS0_4arch9wavefront6targetE0EEEvT1_
                                        ; -- End function
	.set _ZN7rocprim17ROCPRIM_400000_NS6detail17trampoline_kernelINS0_14default_configENS1_27scan_by_key_config_selectorIxxEEZZNS1_16scan_by_key_implILNS1_25lookback_scan_determinismE0ELb0ES3_N6thrust23THRUST_200600_302600_NS6detail15normal_iteratorINS9_10device_ptrIxEEEESE_SE_xNS9_10multipliesIxEENS9_8equal_toIxEExEE10hipError_tPvRmT2_T3_T4_T5_mT6_T7_P12ihipStream_tbENKUlT_T0_E_clISt17integral_constantIbLb1EESY_IbLb0EEEEDaSU_SV_EUlSU_E_NS1_11comp_targetILNS1_3genE3ELNS1_11target_archE908ELNS1_3gpuE7ELNS1_3repE0EEENS1_30default_config_static_selectorELNS0_4arch9wavefront6targetE0EEEvT1_.num_vgpr, 0
	.set _ZN7rocprim17ROCPRIM_400000_NS6detail17trampoline_kernelINS0_14default_configENS1_27scan_by_key_config_selectorIxxEEZZNS1_16scan_by_key_implILNS1_25lookback_scan_determinismE0ELb0ES3_N6thrust23THRUST_200600_302600_NS6detail15normal_iteratorINS9_10device_ptrIxEEEESE_SE_xNS9_10multipliesIxEENS9_8equal_toIxEExEE10hipError_tPvRmT2_T3_T4_T5_mT6_T7_P12ihipStream_tbENKUlT_T0_E_clISt17integral_constantIbLb1EESY_IbLb0EEEEDaSU_SV_EUlSU_E_NS1_11comp_targetILNS1_3genE3ELNS1_11target_archE908ELNS1_3gpuE7ELNS1_3repE0EEENS1_30default_config_static_selectorELNS0_4arch9wavefront6targetE0EEEvT1_.num_agpr, 0
	.set _ZN7rocprim17ROCPRIM_400000_NS6detail17trampoline_kernelINS0_14default_configENS1_27scan_by_key_config_selectorIxxEEZZNS1_16scan_by_key_implILNS1_25lookback_scan_determinismE0ELb0ES3_N6thrust23THRUST_200600_302600_NS6detail15normal_iteratorINS9_10device_ptrIxEEEESE_SE_xNS9_10multipliesIxEENS9_8equal_toIxEExEE10hipError_tPvRmT2_T3_T4_T5_mT6_T7_P12ihipStream_tbENKUlT_T0_E_clISt17integral_constantIbLb1EESY_IbLb0EEEEDaSU_SV_EUlSU_E_NS1_11comp_targetILNS1_3genE3ELNS1_11target_archE908ELNS1_3gpuE7ELNS1_3repE0EEENS1_30default_config_static_selectorELNS0_4arch9wavefront6targetE0EEEvT1_.numbered_sgpr, 0
	.set _ZN7rocprim17ROCPRIM_400000_NS6detail17trampoline_kernelINS0_14default_configENS1_27scan_by_key_config_selectorIxxEEZZNS1_16scan_by_key_implILNS1_25lookback_scan_determinismE0ELb0ES3_N6thrust23THRUST_200600_302600_NS6detail15normal_iteratorINS9_10device_ptrIxEEEESE_SE_xNS9_10multipliesIxEENS9_8equal_toIxEExEE10hipError_tPvRmT2_T3_T4_T5_mT6_T7_P12ihipStream_tbENKUlT_T0_E_clISt17integral_constantIbLb1EESY_IbLb0EEEEDaSU_SV_EUlSU_E_NS1_11comp_targetILNS1_3genE3ELNS1_11target_archE908ELNS1_3gpuE7ELNS1_3repE0EEENS1_30default_config_static_selectorELNS0_4arch9wavefront6targetE0EEEvT1_.num_named_barrier, 0
	.set _ZN7rocprim17ROCPRIM_400000_NS6detail17trampoline_kernelINS0_14default_configENS1_27scan_by_key_config_selectorIxxEEZZNS1_16scan_by_key_implILNS1_25lookback_scan_determinismE0ELb0ES3_N6thrust23THRUST_200600_302600_NS6detail15normal_iteratorINS9_10device_ptrIxEEEESE_SE_xNS9_10multipliesIxEENS9_8equal_toIxEExEE10hipError_tPvRmT2_T3_T4_T5_mT6_T7_P12ihipStream_tbENKUlT_T0_E_clISt17integral_constantIbLb1EESY_IbLb0EEEEDaSU_SV_EUlSU_E_NS1_11comp_targetILNS1_3genE3ELNS1_11target_archE908ELNS1_3gpuE7ELNS1_3repE0EEENS1_30default_config_static_selectorELNS0_4arch9wavefront6targetE0EEEvT1_.private_seg_size, 0
	.set _ZN7rocprim17ROCPRIM_400000_NS6detail17trampoline_kernelINS0_14default_configENS1_27scan_by_key_config_selectorIxxEEZZNS1_16scan_by_key_implILNS1_25lookback_scan_determinismE0ELb0ES3_N6thrust23THRUST_200600_302600_NS6detail15normal_iteratorINS9_10device_ptrIxEEEESE_SE_xNS9_10multipliesIxEENS9_8equal_toIxEExEE10hipError_tPvRmT2_T3_T4_T5_mT6_T7_P12ihipStream_tbENKUlT_T0_E_clISt17integral_constantIbLb1EESY_IbLb0EEEEDaSU_SV_EUlSU_E_NS1_11comp_targetILNS1_3genE3ELNS1_11target_archE908ELNS1_3gpuE7ELNS1_3repE0EEENS1_30default_config_static_selectorELNS0_4arch9wavefront6targetE0EEEvT1_.uses_vcc, 0
	.set _ZN7rocprim17ROCPRIM_400000_NS6detail17trampoline_kernelINS0_14default_configENS1_27scan_by_key_config_selectorIxxEEZZNS1_16scan_by_key_implILNS1_25lookback_scan_determinismE0ELb0ES3_N6thrust23THRUST_200600_302600_NS6detail15normal_iteratorINS9_10device_ptrIxEEEESE_SE_xNS9_10multipliesIxEENS9_8equal_toIxEExEE10hipError_tPvRmT2_T3_T4_T5_mT6_T7_P12ihipStream_tbENKUlT_T0_E_clISt17integral_constantIbLb1EESY_IbLb0EEEEDaSU_SV_EUlSU_E_NS1_11comp_targetILNS1_3genE3ELNS1_11target_archE908ELNS1_3gpuE7ELNS1_3repE0EEENS1_30default_config_static_selectorELNS0_4arch9wavefront6targetE0EEEvT1_.uses_flat_scratch, 0
	.set _ZN7rocprim17ROCPRIM_400000_NS6detail17trampoline_kernelINS0_14default_configENS1_27scan_by_key_config_selectorIxxEEZZNS1_16scan_by_key_implILNS1_25lookback_scan_determinismE0ELb0ES3_N6thrust23THRUST_200600_302600_NS6detail15normal_iteratorINS9_10device_ptrIxEEEESE_SE_xNS9_10multipliesIxEENS9_8equal_toIxEExEE10hipError_tPvRmT2_T3_T4_T5_mT6_T7_P12ihipStream_tbENKUlT_T0_E_clISt17integral_constantIbLb1EESY_IbLb0EEEEDaSU_SV_EUlSU_E_NS1_11comp_targetILNS1_3genE3ELNS1_11target_archE908ELNS1_3gpuE7ELNS1_3repE0EEENS1_30default_config_static_selectorELNS0_4arch9wavefront6targetE0EEEvT1_.has_dyn_sized_stack, 0
	.set _ZN7rocprim17ROCPRIM_400000_NS6detail17trampoline_kernelINS0_14default_configENS1_27scan_by_key_config_selectorIxxEEZZNS1_16scan_by_key_implILNS1_25lookback_scan_determinismE0ELb0ES3_N6thrust23THRUST_200600_302600_NS6detail15normal_iteratorINS9_10device_ptrIxEEEESE_SE_xNS9_10multipliesIxEENS9_8equal_toIxEExEE10hipError_tPvRmT2_T3_T4_T5_mT6_T7_P12ihipStream_tbENKUlT_T0_E_clISt17integral_constantIbLb1EESY_IbLb0EEEEDaSU_SV_EUlSU_E_NS1_11comp_targetILNS1_3genE3ELNS1_11target_archE908ELNS1_3gpuE7ELNS1_3repE0EEENS1_30default_config_static_selectorELNS0_4arch9wavefront6targetE0EEEvT1_.has_recursion, 0
	.set _ZN7rocprim17ROCPRIM_400000_NS6detail17trampoline_kernelINS0_14default_configENS1_27scan_by_key_config_selectorIxxEEZZNS1_16scan_by_key_implILNS1_25lookback_scan_determinismE0ELb0ES3_N6thrust23THRUST_200600_302600_NS6detail15normal_iteratorINS9_10device_ptrIxEEEESE_SE_xNS9_10multipliesIxEENS9_8equal_toIxEExEE10hipError_tPvRmT2_T3_T4_T5_mT6_T7_P12ihipStream_tbENKUlT_T0_E_clISt17integral_constantIbLb1EESY_IbLb0EEEEDaSU_SV_EUlSU_E_NS1_11comp_targetILNS1_3genE3ELNS1_11target_archE908ELNS1_3gpuE7ELNS1_3repE0EEENS1_30default_config_static_selectorELNS0_4arch9wavefront6targetE0EEEvT1_.has_indirect_call, 0
	.section	.AMDGPU.csdata,"",@progbits
; Kernel info:
; codeLenInByte = 0
; TotalNumSgprs: 0
; NumVgprs: 0
; ScratchSize: 0
; MemoryBound: 0
; FloatMode: 240
; IeeeMode: 1
; LDSByteSize: 0 bytes/workgroup (compile time only)
; SGPRBlocks: 0
; VGPRBlocks: 0
; NumSGPRsForWavesPerEU: 1
; NumVGPRsForWavesPerEU: 1
; Occupancy: 16
; WaveLimiterHint : 0
; COMPUTE_PGM_RSRC2:SCRATCH_EN: 0
; COMPUTE_PGM_RSRC2:USER_SGPR: 6
; COMPUTE_PGM_RSRC2:TRAP_HANDLER: 0
; COMPUTE_PGM_RSRC2:TGID_X_EN: 1
; COMPUTE_PGM_RSRC2:TGID_Y_EN: 0
; COMPUTE_PGM_RSRC2:TGID_Z_EN: 0
; COMPUTE_PGM_RSRC2:TIDIG_COMP_CNT: 0
	.section	.text._ZN7rocprim17ROCPRIM_400000_NS6detail17trampoline_kernelINS0_14default_configENS1_27scan_by_key_config_selectorIxxEEZZNS1_16scan_by_key_implILNS1_25lookback_scan_determinismE0ELb0ES3_N6thrust23THRUST_200600_302600_NS6detail15normal_iteratorINS9_10device_ptrIxEEEESE_SE_xNS9_10multipliesIxEENS9_8equal_toIxEExEE10hipError_tPvRmT2_T3_T4_T5_mT6_T7_P12ihipStream_tbENKUlT_T0_E_clISt17integral_constantIbLb1EESY_IbLb0EEEEDaSU_SV_EUlSU_E_NS1_11comp_targetILNS1_3genE2ELNS1_11target_archE906ELNS1_3gpuE6ELNS1_3repE0EEENS1_30default_config_static_selectorELNS0_4arch9wavefront6targetE0EEEvT1_,"axG",@progbits,_ZN7rocprim17ROCPRIM_400000_NS6detail17trampoline_kernelINS0_14default_configENS1_27scan_by_key_config_selectorIxxEEZZNS1_16scan_by_key_implILNS1_25lookback_scan_determinismE0ELb0ES3_N6thrust23THRUST_200600_302600_NS6detail15normal_iteratorINS9_10device_ptrIxEEEESE_SE_xNS9_10multipliesIxEENS9_8equal_toIxEExEE10hipError_tPvRmT2_T3_T4_T5_mT6_T7_P12ihipStream_tbENKUlT_T0_E_clISt17integral_constantIbLb1EESY_IbLb0EEEEDaSU_SV_EUlSU_E_NS1_11comp_targetILNS1_3genE2ELNS1_11target_archE906ELNS1_3gpuE6ELNS1_3repE0EEENS1_30default_config_static_selectorELNS0_4arch9wavefront6targetE0EEEvT1_,comdat
	.protected	_ZN7rocprim17ROCPRIM_400000_NS6detail17trampoline_kernelINS0_14default_configENS1_27scan_by_key_config_selectorIxxEEZZNS1_16scan_by_key_implILNS1_25lookback_scan_determinismE0ELb0ES3_N6thrust23THRUST_200600_302600_NS6detail15normal_iteratorINS9_10device_ptrIxEEEESE_SE_xNS9_10multipliesIxEENS9_8equal_toIxEExEE10hipError_tPvRmT2_T3_T4_T5_mT6_T7_P12ihipStream_tbENKUlT_T0_E_clISt17integral_constantIbLb1EESY_IbLb0EEEEDaSU_SV_EUlSU_E_NS1_11comp_targetILNS1_3genE2ELNS1_11target_archE906ELNS1_3gpuE6ELNS1_3repE0EEENS1_30default_config_static_selectorELNS0_4arch9wavefront6targetE0EEEvT1_ ; -- Begin function _ZN7rocprim17ROCPRIM_400000_NS6detail17trampoline_kernelINS0_14default_configENS1_27scan_by_key_config_selectorIxxEEZZNS1_16scan_by_key_implILNS1_25lookback_scan_determinismE0ELb0ES3_N6thrust23THRUST_200600_302600_NS6detail15normal_iteratorINS9_10device_ptrIxEEEESE_SE_xNS9_10multipliesIxEENS9_8equal_toIxEExEE10hipError_tPvRmT2_T3_T4_T5_mT6_T7_P12ihipStream_tbENKUlT_T0_E_clISt17integral_constantIbLb1EESY_IbLb0EEEEDaSU_SV_EUlSU_E_NS1_11comp_targetILNS1_3genE2ELNS1_11target_archE906ELNS1_3gpuE6ELNS1_3repE0EEENS1_30default_config_static_selectorELNS0_4arch9wavefront6targetE0EEEvT1_
	.globl	_ZN7rocprim17ROCPRIM_400000_NS6detail17trampoline_kernelINS0_14default_configENS1_27scan_by_key_config_selectorIxxEEZZNS1_16scan_by_key_implILNS1_25lookback_scan_determinismE0ELb0ES3_N6thrust23THRUST_200600_302600_NS6detail15normal_iteratorINS9_10device_ptrIxEEEESE_SE_xNS9_10multipliesIxEENS9_8equal_toIxEExEE10hipError_tPvRmT2_T3_T4_T5_mT6_T7_P12ihipStream_tbENKUlT_T0_E_clISt17integral_constantIbLb1EESY_IbLb0EEEEDaSU_SV_EUlSU_E_NS1_11comp_targetILNS1_3genE2ELNS1_11target_archE906ELNS1_3gpuE6ELNS1_3repE0EEENS1_30default_config_static_selectorELNS0_4arch9wavefront6targetE0EEEvT1_
	.p2align	8
	.type	_ZN7rocprim17ROCPRIM_400000_NS6detail17trampoline_kernelINS0_14default_configENS1_27scan_by_key_config_selectorIxxEEZZNS1_16scan_by_key_implILNS1_25lookback_scan_determinismE0ELb0ES3_N6thrust23THRUST_200600_302600_NS6detail15normal_iteratorINS9_10device_ptrIxEEEESE_SE_xNS9_10multipliesIxEENS9_8equal_toIxEExEE10hipError_tPvRmT2_T3_T4_T5_mT6_T7_P12ihipStream_tbENKUlT_T0_E_clISt17integral_constantIbLb1EESY_IbLb0EEEEDaSU_SV_EUlSU_E_NS1_11comp_targetILNS1_3genE2ELNS1_11target_archE906ELNS1_3gpuE6ELNS1_3repE0EEENS1_30default_config_static_selectorELNS0_4arch9wavefront6targetE0EEEvT1_,@function
_ZN7rocprim17ROCPRIM_400000_NS6detail17trampoline_kernelINS0_14default_configENS1_27scan_by_key_config_selectorIxxEEZZNS1_16scan_by_key_implILNS1_25lookback_scan_determinismE0ELb0ES3_N6thrust23THRUST_200600_302600_NS6detail15normal_iteratorINS9_10device_ptrIxEEEESE_SE_xNS9_10multipliesIxEENS9_8equal_toIxEExEE10hipError_tPvRmT2_T3_T4_T5_mT6_T7_P12ihipStream_tbENKUlT_T0_E_clISt17integral_constantIbLb1EESY_IbLb0EEEEDaSU_SV_EUlSU_E_NS1_11comp_targetILNS1_3genE2ELNS1_11target_archE906ELNS1_3gpuE6ELNS1_3repE0EEENS1_30default_config_static_selectorELNS0_4arch9wavefront6targetE0EEEvT1_: ; @_ZN7rocprim17ROCPRIM_400000_NS6detail17trampoline_kernelINS0_14default_configENS1_27scan_by_key_config_selectorIxxEEZZNS1_16scan_by_key_implILNS1_25lookback_scan_determinismE0ELb0ES3_N6thrust23THRUST_200600_302600_NS6detail15normal_iteratorINS9_10device_ptrIxEEEESE_SE_xNS9_10multipliesIxEENS9_8equal_toIxEExEE10hipError_tPvRmT2_T3_T4_T5_mT6_T7_P12ihipStream_tbENKUlT_T0_E_clISt17integral_constantIbLb1EESY_IbLb0EEEEDaSU_SV_EUlSU_E_NS1_11comp_targetILNS1_3genE2ELNS1_11target_archE906ELNS1_3gpuE6ELNS1_3repE0EEENS1_30default_config_static_selectorELNS0_4arch9wavefront6targetE0EEEvT1_
; %bb.0:
	.section	.rodata,"a",@progbits
	.p2align	6, 0x0
	.amdhsa_kernel _ZN7rocprim17ROCPRIM_400000_NS6detail17trampoline_kernelINS0_14default_configENS1_27scan_by_key_config_selectorIxxEEZZNS1_16scan_by_key_implILNS1_25lookback_scan_determinismE0ELb0ES3_N6thrust23THRUST_200600_302600_NS6detail15normal_iteratorINS9_10device_ptrIxEEEESE_SE_xNS9_10multipliesIxEENS9_8equal_toIxEExEE10hipError_tPvRmT2_T3_T4_T5_mT6_T7_P12ihipStream_tbENKUlT_T0_E_clISt17integral_constantIbLb1EESY_IbLb0EEEEDaSU_SV_EUlSU_E_NS1_11comp_targetILNS1_3genE2ELNS1_11target_archE906ELNS1_3gpuE6ELNS1_3repE0EEENS1_30default_config_static_selectorELNS0_4arch9wavefront6targetE0EEEvT1_
		.amdhsa_group_segment_fixed_size 0
		.amdhsa_private_segment_fixed_size 0
		.amdhsa_kernarg_size 136
		.amdhsa_user_sgpr_count 6
		.amdhsa_user_sgpr_private_segment_buffer 1
		.amdhsa_user_sgpr_dispatch_ptr 0
		.amdhsa_user_sgpr_queue_ptr 0
		.amdhsa_user_sgpr_kernarg_segment_ptr 1
		.amdhsa_user_sgpr_dispatch_id 0
		.amdhsa_user_sgpr_flat_scratch_init 0
		.amdhsa_user_sgpr_private_segment_size 0
		.amdhsa_wavefront_size32 1
		.amdhsa_uses_dynamic_stack 0
		.amdhsa_system_sgpr_private_segment_wavefront_offset 0
		.amdhsa_system_sgpr_workgroup_id_x 1
		.amdhsa_system_sgpr_workgroup_id_y 0
		.amdhsa_system_sgpr_workgroup_id_z 0
		.amdhsa_system_sgpr_workgroup_info 0
		.amdhsa_system_vgpr_workitem_id 0
		.amdhsa_next_free_vgpr 1
		.amdhsa_next_free_sgpr 1
		.amdhsa_reserve_vcc 0
		.amdhsa_reserve_flat_scratch 0
		.amdhsa_float_round_mode_32 0
		.amdhsa_float_round_mode_16_64 0
		.amdhsa_float_denorm_mode_32 3
		.amdhsa_float_denorm_mode_16_64 3
		.amdhsa_dx10_clamp 1
		.amdhsa_ieee_mode 1
		.amdhsa_fp16_overflow 0
		.amdhsa_workgroup_processor_mode 1
		.amdhsa_memory_ordered 1
		.amdhsa_forward_progress 1
		.amdhsa_shared_vgpr_count 0
		.amdhsa_exception_fp_ieee_invalid_op 0
		.amdhsa_exception_fp_denorm_src 0
		.amdhsa_exception_fp_ieee_div_zero 0
		.amdhsa_exception_fp_ieee_overflow 0
		.amdhsa_exception_fp_ieee_underflow 0
		.amdhsa_exception_fp_ieee_inexact 0
		.amdhsa_exception_int_div_zero 0
	.end_amdhsa_kernel
	.section	.text._ZN7rocprim17ROCPRIM_400000_NS6detail17trampoline_kernelINS0_14default_configENS1_27scan_by_key_config_selectorIxxEEZZNS1_16scan_by_key_implILNS1_25lookback_scan_determinismE0ELb0ES3_N6thrust23THRUST_200600_302600_NS6detail15normal_iteratorINS9_10device_ptrIxEEEESE_SE_xNS9_10multipliesIxEENS9_8equal_toIxEExEE10hipError_tPvRmT2_T3_T4_T5_mT6_T7_P12ihipStream_tbENKUlT_T0_E_clISt17integral_constantIbLb1EESY_IbLb0EEEEDaSU_SV_EUlSU_E_NS1_11comp_targetILNS1_3genE2ELNS1_11target_archE906ELNS1_3gpuE6ELNS1_3repE0EEENS1_30default_config_static_selectorELNS0_4arch9wavefront6targetE0EEEvT1_,"axG",@progbits,_ZN7rocprim17ROCPRIM_400000_NS6detail17trampoline_kernelINS0_14default_configENS1_27scan_by_key_config_selectorIxxEEZZNS1_16scan_by_key_implILNS1_25lookback_scan_determinismE0ELb0ES3_N6thrust23THRUST_200600_302600_NS6detail15normal_iteratorINS9_10device_ptrIxEEEESE_SE_xNS9_10multipliesIxEENS9_8equal_toIxEExEE10hipError_tPvRmT2_T3_T4_T5_mT6_T7_P12ihipStream_tbENKUlT_T0_E_clISt17integral_constantIbLb1EESY_IbLb0EEEEDaSU_SV_EUlSU_E_NS1_11comp_targetILNS1_3genE2ELNS1_11target_archE906ELNS1_3gpuE6ELNS1_3repE0EEENS1_30default_config_static_selectorELNS0_4arch9wavefront6targetE0EEEvT1_,comdat
.Lfunc_end70:
	.size	_ZN7rocprim17ROCPRIM_400000_NS6detail17trampoline_kernelINS0_14default_configENS1_27scan_by_key_config_selectorIxxEEZZNS1_16scan_by_key_implILNS1_25lookback_scan_determinismE0ELb0ES3_N6thrust23THRUST_200600_302600_NS6detail15normal_iteratorINS9_10device_ptrIxEEEESE_SE_xNS9_10multipliesIxEENS9_8equal_toIxEExEE10hipError_tPvRmT2_T3_T4_T5_mT6_T7_P12ihipStream_tbENKUlT_T0_E_clISt17integral_constantIbLb1EESY_IbLb0EEEEDaSU_SV_EUlSU_E_NS1_11comp_targetILNS1_3genE2ELNS1_11target_archE906ELNS1_3gpuE6ELNS1_3repE0EEENS1_30default_config_static_selectorELNS0_4arch9wavefront6targetE0EEEvT1_, .Lfunc_end70-_ZN7rocprim17ROCPRIM_400000_NS6detail17trampoline_kernelINS0_14default_configENS1_27scan_by_key_config_selectorIxxEEZZNS1_16scan_by_key_implILNS1_25lookback_scan_determinismE0ELb0ES3_N6thrust23THRUST_200600_302600_NS6detail15normal_iteratorINS9_10device_ptrIxEEEESE_SE_xNS9_10multipliesIxEENS9_8equal_toIxEExEE10hipError_tPvRmT2_T3_T4_T5_mT6_T7_P12ihipStream_tbENKUlT_T0_E_clISt17integral_constantIbLb1EESY_IbLb0EEEEDaSU_SV_EUlSU_E_NS1_11comp_targetILNS1_3genE2ELNS1_11target_archE906ELNS1_3gpuE6ELNS1_3repE0EEENS1_30default_config_static_selectorELNS0_4arch9wavefront6targetE0EEEvT1_
                                        ; -- End function
	.set _ZN7rocprim17ROCPRIM_400000_NS6detail17trampoline_kernelINS0_14default_configENS1_27scan_by_key_config_selectorIxxEEZZNS1_16scan_by_key_implILNS1_25lookback_scan_determinismE0ELb0ES3_N6thrust23THRUST_200600_302600_NS6detail15normal_iteratorINS9_10device_ptrIxEEEESE_SE_xNS9_10multipliesIxEENS9_8equal_toIxEExEE10hipError_tPvRmT2_T3_T4_T5_mT6_T7_P12ihipStream_tbENKUlT_T0_E_clISt17integral_constantIbLb1EESY_IbLb0EEEEDaSU_SV_EUlSU_E_NS1_11comp_targetILNS1_3genE2ELNS1_11target_archE906ELNS1_3gpuE6ELNS1_3repE0EEENS1_30default_config_static_selectorELNS0_4arch9wavefront6targetE0EEEvT1_.num_vgpr, 0
	.set _ZN7rocprim17ROCPRIM_400000_NS6detail17trampoline_kernelINS0_14default_configENS1_27scan_by_key_config_selectorIxxEEZZNS1_16scan_by_key_implILNS1_25lookback_scan_determinismE0ELb0ES3_N6thrust23THRUST_200600_302600_NS6detail15normal_iteratorINS9_10device_ptrIxEEEESE_SE_xNS9_10multipliesIxEENS9_8equal_toIxEExEE10hipError_tPvRmT2_T3_T4_T5_mT6_T7_P12ihipStream_tbENKUlT_T0_E_clISt17integral_constantIbLb1EESY_IbLb0EEEEDaSU_SV_EUlSU_E_NS1_11comp_targetILNS1_3genE2ELNS1_11target_archE906ELNS1_3gpuE6ELNS1_3repE0EEENS1_30default_config_static_selectorELNS0_4arch9wavefront6targetE0EEEvT1_.num_agpr, 0
	.set _ZN7rocprim17ROCPRIM_400000_NS6detail17trampoline_kernelINS0_14default_configENS1_27scan_by_key_config_selectorIxxEEZZNS1_16scan_by_key_implILNS1_25lookback_scan_determinismE0ELb0ES3_N6thrust23THRUST_200600_302600_NS6detail15normal_iteratorINS9_10device_ptrIxEEEESE_SE_xNS9_10multipliesIxEENS9_8equal_toIxEExEE10hipError_tPvRmT2_T3_T4_T5_mT6_T7_P12ihipStream_tbENKUlT_T0_E_clISt17integral_constantIbLb1EESY_IbLb0EEEEDaSU_SV_EUlSU_E_NS1_11comp_targetILNS1_3genE2ELNS1_11target_archE906ELNS1_3gpuE6ELNS1_3repE0EEENS1_30default_config_static_selectorELNS0_4arch9wavefront6targetE0EEEvT1_.numbered_sgpr, 0
	.set _ZN7rocprim17ROCPRIM_400000_NS6detail17trampoline_kernelINS0_14default_configENS1_27scan_by_key_config_selectorIxxEEZZNS1_16scan_by_key_implILNS1_25lookback_scan_determinismE0ELb0ES3_N6thrust23THRUST_200600_302600_NS6detail15normal_iteratorINS9_10device_ptrIxEEEESE_SE_xNS9_10multipliesIxEENS9_8equal_toIxEExEE10hipError_tPvRmT2_T3_T4_T5_mT6_T7_P12ihipStream_tbENKUlT_T0_E_clISt17integral_constantIbLb1EESY_IbLb0EEEEDaSU_SV_EUlSU_E_NS1_11comp_targetILNS1_3genE2ELNS1_11target_archE906ELNS1_3gpuE6ELNS1_3repE0EEENS1_30default_config_static_selectorELNS0_4arch9wavefront6targetE0EEEvT1_.num_named_barrier, 0
	.set _ZN7rocprim17ROCPRIM_400000_NS6detail17trampoline_kernelINS0_14default_configENS1_27scan_by_key_config_selectorIxxEEZZNS1_16scan_by_key_implILNS1_25lookback_scan_determinismE0ELb0ES3_N6thrust23THRUST_200600_302600_NS6detail15normal_iteratorINS9_10device_ptrIxEEEESE_SE_xNS9_10multipliesIxEENS9_8equal_toIxEExEE10hipError_tPvRmT2_T3_T4_T5_mT6_T7_P12ihipStream_tbENKUlT_T0_E_clISt17integral_constantIbLb1EESY_IbLb0EEEEDaSU_SV_EUlSU_E_NS1_11comp_targetILNS1_3genE2ELNS1_11target_archE906ELNS1_3gpuE6ELNS1_3repE0EEENS1_30default_config_static_selectorELNS0_4arch9wavefront6targetE0EEEvT1_.private_seg_size, 0
	.set _ZN7rocprim17ROCPRIM_400000_NS6detail17trampoline_kernelINS0_14default_configENS1_27scan_by_key_config_selectorIxxEEZZNS1_16scan_by_key_implILNS1_25lookback_scan_determinismE0ELb0ES3_N6thrust23THRUST_200600_302600_NS6detail15normal_iteratorINS9_10device_ptrIxEEEESE_SE_xNS9_10multipliesIxEENS9_8equal_toIxEExEE10hipError_tPvRmT2_T3_T4_T5_mT6_T7_P12ihipStream_tbENKUlT_T0_E_clISt17integral_constantIbLb1EESY_IbLb0EEEEDaSU_SV_EUlSU_E_NS1_11comp_targetILNS1_3genE2ELNS1_11target_archE906ELNS1_3gpuE6ELNS1_3repE0EEENS1_30default_config_static_selectorELNS0_4arch9wavefront6targetE0EEEvT1_.uses_vcc, 0
	.set _ZN7rocprim17ROCPRIM_400000_NS6detail17trampoline_kernelINS0_14default_configENS1_27scan_by_key_config_selectorIxxEEZZNS1_16scan_by_key_implILNS1_25lookback_scan_determinismE0ELb0ES3_N6thrust23THRUST_200600_302600_NS6detail15normal_iteratorINS9_10device_ptrIxEEEESE_SE_xNS9_10multipliesIxEENS9_8equal_toIxEExEE10hipError_tPvRmT2_T3_T4_T5_mT6_T7_P12ihipStream_tbENKUlT_T0_E_clISt17integral_constantIbLb1EESY_IbLb0EEEEDaSU_SV_EUlSU_E_NS1_11comp_targetILNS1_3genE2ELNS1_11target_archE906ELNS1_3gpuE6ELNS1_3repE0EEENS1_30default_config_static_selectorELNS0_4arch9wavefront6targetE0EEEvT1_.uses_flat_scratch, 0
	.set _ZN7rocprim17ROCPRIM_400000_NS6detail17trampoline_kernelINS0_14default_configENS1_27scan_by_key_config_selectorIxxEEZZNS1_16scan_by_key_implILNS1_25lookback_scan_determinismE0ELb0ES3_N6thrust23THRUST_200600_302600_NS6detail15normal_iteratorINS9_10device_ptrIxEEEESE_SE_xNS9_10multipliesIxEENS9_8equal_toIxEExEE10hipError_tPvRmT2_T3_T4_T5_mT6_T7_P12ihipStream_tbENKUlT_T0_E_clISt17integral_constantIbLb1EESY_IbLb0EEEEDaSU_SV_EUlSU_E_NS1_11comp_targetILNS1_3genE2ELNS1_11target_archE906ELNS1_3gpuE6ELNS1_3repE0EEENS1_30default_config_static_selectorELNS0_4arch9wavefront6targetE0EEEvT1_.has_dyn_sized_stack, 0
	.set _ZN7rocprim17ROCPRIM_400000_NS6detail17trampoline_kernelINS0_14default_configENS1_27scan_by_key_config_selectorIxxEEZZNS1_16scan_by_key_implILNS1_25lookback_scan_determinismE0ELb0ES3_N6thrust23THRUST_200600_302600_NS6detail15normal_iteratorINS9_10device_ptrIxEEEESE_SE_xNS9_10multipliesIxEENS9_8equal_toIxEExEE10hipError_tPvRmT2_T3_T4_T5_mT6_T7_P12ihipStream_tbENKUlT_T0_E_clISt17integral_constantIbLb1EESY_IbLb0EEEEDaSU_SV_EUlSU_E_NS1_11comp_targetILNS1_3genE2ELNS1_11target_archE906ELNS1_3gpuE6ELNS1_3repE0EEENS1_30default_config_static_selectorELNS0_4arch9wavefront6targetE0EEEvT1_.has_recursion, 0
	.set _ZN7rocprim17ROCPRIM_400000_NS6detail17trampoline_kernelINS0_14default_configENS1_27scan_by_key_config_selectorIxxEEZZNS1_16scan_by_key_implILNS1_25lookback_scan_determinismE0ELb0ES3_N6thrust23THRUST_200600_302600_NS6detail15normal_iteratorINS9_10device_ptrIxEEEESE_SE_xNS9_10multipliesIxEENS9_8equal_toIxEExEE10hipError_tPvRmT2_T3_T4_T5_mT6_T7_P12ihipStream_tbENKUlT_T0_E_clISt17integral_constantIbLb1EESY_IbLb0EEEEDaSU_SV_EUlSU_E_NS1_11comp_targetILNS1_3genE2ELNS1_11target_archE906ELNS1_3gpuE6ELNS1_3repE0EEENS1_30default_config_static_selectorELNS0_4arch9wavefront6targetE0EEEvT1_.has_indirect_call, 0
	.section	.AMDGPU.csdata,"",@progbits
; Kernel info:
; codeLenInByte = 0
; TotalNumSgprs: 0
; NumVgprs: 0
; ScratchSize: 0
; MemoryBound: 0
; FloatMode: 240
; IeeeMode: 1
; LDSByteSize: 0 bytes/workgroup (compile time only)
; SGPRBlocks: 0
; VGPRBlocks: 0
; NumSGPRsForWavesPerEU: 1
; NumVGPRsForWavesPerEU: 1
; Occupancy: 16
; WaveLimiterHint : 0
; COMPUTE_PGM_RSRC2:SCRATCH_EN: 0
; COMPUTE_PGM_RSRC2:USER_SGPR: 6
; COMPUTE_PGM_RSRC2:TRAP_HANDLER: 0
; COMPUTE_PGM_RSRC2:TGID_X_EN: 1
; COMPUTE_PGM_RSRC2:TGID_Y_EN: 0
; COMPUTE_PGM_RSRC2:TGID_Z_EN: 0
; COMPUTE_PGM_RSRC2:TIDIG_COMP_CNT: 0
	.section	.text._ZN7rocprim17ROCPRIM_400000_NS6detail17trampoline_kernelINS0_14default_configENS1_27scan_by_key_config_selectorIxxEEZZNS1_16scan_by_key_implILNS1_25lookback_scan_determinismE0ELb0ES3_N6thrust23THRUST_200600_302600_NS6detail15normal_iteratorINS9_10device_ptrIxEEEESE_SE_xNS9_10multipliesIxEENS9_8equal_toIxEExEE10hipError_tPvRmT2_T3_T4_T5_mT6_T7_P12ihipStream_tbENKUlT_T0_E_clISt17integral_constantIbLb1EESY_IbLb0EEEEDaSU_SV_EUlSU_E_NS1_11comp_targetILNS1_3genE10ELNS1_11target_archE1200ELNS1_3gpuE4ELNS1_3repE0EEENS1_30default_config_static_selectorELNS0_4arch9wavefront6targetE0EEEvT1_,"axG",@progbits,_ZN7rocprim17ROCPRIM_400000_NS6detail17trampoline_kernelINS0_14default_configENS1_27scan_by_key_config_selectorIxxEEZZNS1_16scan_by_key_implILNS1_25lookback_scan_determinismE0ELb0ES3_N6thrust23THRUST_200600_302600_NS6detail15normal_iteratorINS9_10device_ptrIxEEEESE_SE_xNS9_10multipliesIxEENS9_8equal_toIxEExEE10hipError_tPvRmT2_T3_T4_T5_mT6_T7_P12ihipStream_tbENKUlT_T0_E_clISt17integral_constantIbLb1EESY_IbLb0EEEEDaSU_SV_EUlSU_E_NS1_11comp_targetILNS1_3genE10ELNS1_11target_archE1200ELNS1_3gpuE4ELNS1_3repE0EEENS1_30default_config_static_selectorELNS0_4arch9wavefront6targetE0EEEvT1_,comdat
	.protected	_ZN7rocprim17ROCPRIM_400000_NS6detail17trampoline_kernelINS0_14default_configENS1_27scan_by_key_config_selectorIxxEEZZNS1_16scan_by_key_implILNS1_25lookback_scan_determinismE0ELb0ES3_N6thrust23THRUST_200600_302600_NS6detail15normal_iteratorINS9_10device_ptrIxEEEESE_SE_xNS9_10multipliesIxEENS9_8equal_toIxEExEE10hipError_tPvRmT2_T3_T4_T5_mT6_T7_P12ihipStream_tbENKUlT_T0_E_clISt17integral_constantIbLb1EESY_IbLb0EEEEDaSU_SV_EUlSU_E_NS1_11comp_targetILNS1_3genE10ELNS1_11target_archE1200ELNS1_3gpuE4ELNS1_3repE0EEENS1_30default_config_static_selectorELNS0_4arch9wavefront6targetE0EEEvT1_ ; -- Begin function _ZN7rocprim17ROCPRIM_400000_NS6detail17trampoline_kernelINS0_14default_configENS1_27scan_by_key_config_selectorIxxEEZZNS1_16scan_by_key_implILNS1_25lookback_scan_determinismE0ELb0ES3_N6thrust23THRUST_200600_302600_NS6detail15normal_iteratorINS9_10device_ptrIxEEEESE_SE_xNS9_10multipliesIxEENS9_8equal_toIxEExEE10hipError_tPvRmT2_T3_T4_T5_mT6_T7_P12ihipStream_tbENKUlT_T0_E_clISt17integral_constantIbLb1EESY_IbLb0EEEEDaSU_SV_EUlSU_E_NS1_11comp_targetILNS1_3genE10ELNS1_11target_archE1200ELNS1_3gpuE4ELNS1_3repE0EEENS1_30default_config_static_selectorELNS0_4arch9wavefront6targetE0EEEvT1_
	.globl	_ZN7rocprim17ROCPRIM_400000_NS6detail17trampoline_kernelINS0_14default_configENS1_27scan_by_key_config_selectorIxxEEZZNS1_16scan_by_key_implILNS1_25lookback_scan_determinismE0ELb0ES3_N6thrust23THRUST_200600_302600_NS6detail15normal_iteratorINS9_10device_ptrIxEEEESE_SE_xNS9_10multipliesIxEENS9_8equal_toIxEExEE10hipError_tPvRmT2_T3_T4_T5_mT6_T7_P12ihipStream_tbENKUlT_T0_E_clISt17integral_constantIbLb1EESY_IbLb0EEEEDaSU_SV_EUlSU_E_NS1_11comp_targetILNS1_3genE10ELNS1_11target_archE1200ELNS1_3gpuE4ELNS1_3repE0EEENS1_30default_config_static_selectorELNS0_4arch9wavefront6targetE0EEEvT1_
	.p2align	8
	.type	_ZN7rocprim17ROCPRIM_400000_NS6detail17trampoline_kernelINS0_14default_configENS1_27scan_by_key_config_selectorIxxEEZZNS1_16scan_by_key_implILNS1_25lookback_scan_determinismE0ELb0ES3_N6thrust23THRUST_200600_302600_NS6detail15normal_iteratorINS9_10device_ptrIxEEEESE_SE_xNS9_10multipliesIxEENS9_8equal_toIxEExEE10hipError_tPvRmT2_T3_T4_T5_mT6_T7_P12ihipStream_tbENKUlT_T0_E_clISt17integral_constantIbLb1EESY_IbLb0EEEEDaSU_SV_EUlSU_E_NS1_11comp_targetILNS1_3genE10ELNS1_11target_archE1200ELNS1_3gpuE4ELNS1_3repE0EEENS1_30default_config_static_selectorELNS0_4arch9wavefront6targetE0EEEvT1_,@function
_ZN7rocprim17ROCPRIM_400000_NS6detail17trampoline_kernelINS0_14default_configENS1_27scan_by_key_config_selectorIxxEEZZNS1_16scan_by_key_implILNS1_25lookback_scan_determinismE0ELb0ES3_N6thrust23THRUST_200600_302600_NS6detail15normal_iteratorINS9_10device_ptrIxEEEESE_SE_xNS9_10multipliesIxEENS9_8equal_toIxEExEE10hipError_tPvRmT2_T3_T4_T5_mT6_T7_P12ihipStream_tbENKUlT_T0_E_clISt17integral_constantIbLb1EESY_IbLb0EEEEDaSU_SV_EUlSU_E_NS1_11comp_targetILNS1_3genE10ELNS1_11target_archE1200ELNS1_3gpuE4ELNS1_3repE0EEENS1_30default_config_static_selectorELNS0_4arch9wavefront6targetE0EEEvT1_: ; @_ZN7rocprim17ROCPRIM_400000_NS6detail17trampoline_kernelINS0_14default_configENS1_27scan_by_key_config_selectorIxxEEZZNS1_16scan_by_key_implILNS1_25lookback_scan_determinismE0ELb0ES3_N6thrust23THRUST_200600_302600_NS6detail15normal_iteratorINS9_10device_ptrIxEEEESE_SE_xNS9_10multipliesIxEENS9_8equal_toIxEExEE10hipError_tPvRmT2_T3_T4_T5_mT6_T7_P12ihipStream_tbENKUlT_T0_E_clISt17integral_constantIbLb1EESY_IbLb0EEEEDaSU_SV_EUlSU_E_NS1_11comp_targetILNS1_3genE10ELNS1_11target_archE1200ELNS1_3gpuE4ELNS1_3repE0EEENS1_30default_config_static_selectorELNS0_4arch9wavefront6targetE0EEEvT1_
; %bb.0:
	.section	.rodata,"a",@progbits
	.p2align	6, 0x0
	.amdhsa_kernel _ZN7rocprim17ROCPRIM_400000_NS6detail17trampoline_kernelINS0_14default_configENS1_27scan_by_key_config_selectorIxxEEZZNS1_16scan_by_key_implILNS1_25lookback_scan_determinismE0ELb0ES3_N6thrust23THRUST_200600_302600_NS6detail15normal_iteratorINS9_10device_ptrIxEEEESE_SE_xNS9_10multipliesIxEENS9_8equal_toIxEExEE10hipError_tPvRmT2_T3_T4_T5_mT6_T7_P12ihipStream_tbENKUlT_T0_E_clISt17integral_constantIbLb1EESY_IbLb0EEEEDaSU_SV_EUlSU_E_NS1_11comp_targetILNS1_3genE10ELNS1_11target_archE1200ELNS1_3gpuE4ELNS1_3repE0EEENS1_30default_config_static_selectorELNS0_4arch9wavefront6targetE0EEEvT1_
		.amdhsa_group_segment_fixed_size 0
		.amdhsa_private_segment_fixed_size 0
		.amdhsa_kernarg_size 136
		.amdhsa_user_sgpr_count 6
		.amdhsa_user_sgpr_private_segment_buffer 1
		.amdhsa_user_sgpr_dispatch_ptr 0
		.amdhsa_user_sgpr_queue_ptr 0
		.amdhsa_user_sgpr_kernarg_segment_ptr 1
		.amdhsa_user_sgpr_dispatch_id 0
		.amdhsa_user_sgpr_flat_scratch_init 0
		.amdhsa_user_sgpr_private_segment_size 0
		.amdhsa_wavefront_size32 1
		.amdhsa_uses_dynamic_stack 0
		.amdhsa_system_sgpr_private_segment_wavefront_offset 0
		.amdhsa_system_sgpr_workgroup_id_x 1
		.amdhsa_system_sgpr_workgroup_id_y 0
		.amdhsa_system_sgpr_workgroup_id_z 0
		.amdhsa_system_sgpr_workgroup_info 0
		.amdhsa_system_vgpr_workitem_id 0
		.amdhsa_next_free_vgpr 1
		.amdhsa_next_free_sgpr 1
		.amdhsa_reserve_vcc 0
		.amdhsa_reserve_flat_scratch 0
		.amdhsa_float_round_mode_32 0
		.amdhsa_float_round_mode_16_64 0
		.amdhsa_float_denorm_mode_32 3
		.amdhsa_float_denorm_mode_16_64 3
		.amdhsa_dx10_clamp 1
		.amdhsa_ieee_mode 1
		.amdhsa_fp16_overflow 0
		.amdhsa_workgroup_processor_mode 1
		.amdhsa_memory_ordered 1
		.amdhsa_forward_progress 1
		.amdhsa_shared_vgpr_count 0
		.amdhsa_exception_fp_ieee_invalid_op 0
		.amdhsa_exception_fp_denorm_src 0
		.amdhsa_exception_fp_ieee_div_zero 0
		.amdhsa_exception_fp_ieee_overflow 0
		.amdhsa_exception_fp_ieee_underflow 0
		.amdhsa_exception_fp_ieee_inexact 0
		.amdhsa_exception_int_div_zero 0
	.end_amdhsa_kernel
	.section	.text._ZN7rocprim17ROCPRIM_400000_NS6detail17trampoline_kernelINS0_14default_configENS1_27scan_by_key_config_selectorIxxEEZZNS1_16scan_by_key_implILNS1_25lookback_scan_determinismE0ELb0ES3_N6thrust23THRUST_200600_302600_NS6detail15normal_iteratorINS9_10device_ptrIxEEEESE_SE_xNS9_10multipliesIxEENS9_8equal_toIxEExEE10hipError_tPvRmT2_T3_T4_T5_mT6_T7_P12ihipStream_tbENKUlT_T0_E_clISt17integral_constantIbLb1EESY_IbLb0EEEEDaSU_SV_EUlSU_E_NS1_11comp_targetILNS1_3genE10ELNS1_11target_archE1200ELNS1_3gpuE4ELNS1_3repE0EEENS1_30default_config_static_selectorELNS0_4arch9wavefront6targetE0EEEvT1_,"axG",@progbits,_ZN7rocprim17ROCPRIM_400000_NS6detail17trampoline_kernelINS0_14default_configENS1_27scan_by_key_config_selectorIxxEEZZNS1_16scan_by_key_implILNS1_25lookback_scan_determinismE0ELb0ES3_N6thrust23THRUST_200600_302600_NS6detail15normal_iteratorINS9_10device_ptrIxEEEESE_SE_xNS9_10multipliesIxEENS9_8equal_toIxEExEE10hipError_tPvRmT2_T3_T4_T5_mT6_T7_P12ihipStream_tbENKUlT_T0_E_clISt17integral_constantIbLb1EESY_IbLb0EEEEDaSU_SV_EUlSU_E_NS1_11comp_targetILNS1_3genE10ELNS1_11target_archE1200ELNS1_3gpuE4ELNS1_3repE0EEENS1_30default_config_static_selectorELNS0_4arch9wavefront6targetE0EEEvT1_,comdat
.Lfunc_end71:
	.size	_ZN7rocprim17ROCPRIM_400000_NS6detail17trampoline_kernelINS0_14default_configENS1_27scan_by_key_config_selectorIxxEEZZNS1_16scan_by_key_implILNS1_25lookback_scan_determinismE0ELb0ES3_N6thrust23THRUST_200600_302600_NS6detail15normal_iteratorINS9_10device_ptrIxEEEESE_SE_xNS9_10multipliesIxEENS9_8equal_toIxEExEE10hipError_tPvRmT2_T3_T4_T5_mT6_T7_P12ihipStream_tbENKUlT_T0_E_clISt17integral_constantIbLb1EESY_IbLb0EEEEDaSU_SV_EUlSU_E_NS1_11comp_targetILNS1_3genE10ELNS1_11target_archE1200ELNS1_3gpuE4ELNS1_3repE0EEENS1_30default_config_static_selectorELNS0_4arch9wavefront6targetE0EEEvT1_, .Lfunc_end71-_ZN7rocprim17ROCPRIM_400000_NS6detail17trampoline_kernelINS0_14default_configENS1_27scan_by_key_config_selectorIxxEEZZNS1_16scan_by_key_implILNS1_25lookback_scan_determinismE0ELb0ES3_N6thrust23THRUST_200600_302600_NS6detail15normal_iteratorINS9_10device_ptrIxEEEESE_SE_xNS9_10multipliesIxEENS9_8equal_toIxEExEE10hipError_tPvRmT2_T3_T4_T5_mT6_T7_P12ihipStream_tbENKUlT_T0_E_clISt17integral_constantIbLb1EESY_IbLb0EEEEDaSU_SV_EUlSU_E_NS1_11comp_targetILNS1_3genE10ELNS1_11target_archE1200ELNS1_3gpuE4ELNS1_3repE0EEENS1_30default_config_static_selectorELNS0_4arch9wavefront6targetE0EEEvT1_
                                        ; -- End function
	.set _ZN7rocprim17ROCPRIM_400000_NS6detail17trampoline_kernelINS0_14default_configENS1_27scan_by_key_config_selectorIxxEEZZNS1_16scan_by_key_implILNS1_25lookback_scan_determinismE0ELb0ES3_N6thrust23THRUST_200600_302600_NS6detail15normal_iteratorINS9_10device_ptrIxEEEESE_SE_xNS9_10multipliesIxEENS9_8equal_toIxEExEE10hipError_tPvRmT2_T3_T4_T5_mT6_T7_P12ihipStream_tbENKUlT_T0_E_clISt17integral_constantIbLb1EESY_IbLb0EEEEDaSU_SV_EUlSU_E_NS1_11comp_targetILNS1_3genE10ELNS1_11target_archE1200ELNS1_3gpuE4ELNS1_3repE0EEENS1_30default_config_static_selectorELNS0_4arch9wavefront6targetE0EEEvT1_.num_vgpr, 0
	.set _ZN7rocprim17ROCPRIM_400000_NS6detail17trampoline_kernelINS0_14default_configENS1_27scan_by_key_config_selectorIxxEEZZNS1_16scan_by_key_implILNS1_25lookback_scan_determinismE0ELb0ES3_N6thrust23THRUST_200600_302600_NS6detail15normal_iteratorINS9_10device_ptrIxEEEESE_SE_xNS9_10multipliesIxEENS9_8equal_toIxEExEE10hipError_tPvRmT2_T3_T4_T5_mT6_T7_P12ihipStream_tbENKUlT_T0_E_clISt17integral_constantIbLb1EESY_IbLb0EEEEDaSU_SV_EUlSU_E_NS1_11comp_targetILNS1_3genE10ELNS1_11target_archE1200ELNS1_3gpuE4ELNS1_3repE0EEENS1_30default_config_static_selectorELNS0_4arch9wavefront6targetE0EEEvT1_.num_agpr, 0
	.set _ZN7rocprim17ROCPRIM_400000_NS6detail17trampoline_kernelINS0_14default_configENS1_27scan_by_key_config_selectorIxxEEZZNS1_16scan_by_key_implILNS1_25lookback_scan_determinismE0ELb0ES3_N6thrust23THRUST_200600_302600_NS6detail15normal_iteratorINS9_10device_ptrIxEEEESE_SE_xNS9_10multipliesIxEENS9_8equal_toIxEExEE10hipError_tPvRmT2_T3_T4_T5_mT6_T7_P12ihipStream_tbENKUlT_T0_E_clISt17integral_constantIbLb1EESY_IbLb0EEEEDaSU_SV_EUlSU_E_NS1_11comp_targetILNS1_3genE10ELNS1_11target_archE1200ELNS1_3gpuE4ELNS1_3repE0EEENS1_30default_config_static_selectorELNS0_4arch9wavefront6targetE0EEEvT1_.numbered_sgpr, 0
	.set _ZN7rocprim17ROCPRIM_400000_NS6detail17trampoline_kernelINS0_14default_configENS1_27scan_by_key_config_selectorIxxEEZZNS1_16scan_by_key_implILNS1_25lookback_scan_determinismE0ELb0ES3_N6thrust23THRUST_200600_302600_NS6detail15normal_iteratorINS9_10device_ptrIxEEEESE_SE_xNS9_10multipliesIxEENS9_8equal_toIxEExEE10hipError_tPvRmT2_T3_T4_T5_mT6_T7_P12ihipStream_tbENKUlT_T0_E_clISt17integral_constantIbLb1EESY_IbLb0EEEEDaSU_SV_EUlSU_E_NS1_11comp_targetILNS1_3genE10ELNS1_11target_archE1200ELNS1_3gpuE4ELNS1_3repE0EEENS1_30default_config_static_selectorELNS0_4arch9wavefront6targetE0EEEvT1_.num_named_barrier, 0
	.set _ZN7rocprim17ROCPRIM_400000_NS6detail17trampoline_kernelINS0_14default_configENS1_27scan_by_key_config_selectorIxxEEZZNS1_16scan_by_key_implILNS1_25lookback_scan_determinismE0ELb0ES3_N6thrust23THRUST_200600_302600_NS6detail15normal_iteratorINS9_10device_ptrIxEEEESE_SE_xNS9_10multipliesIxEENS9_8equal_toIxEExEE10hipError_tPvRmT2_T3_T4_T5_mT6_T7_P12ihipStream_tbENKUlT_T0_E_clISt17integral_constantIbLb1EESY_IbLb0EEEEDaSU_SV_EUlSU_E_NS1_11comp_targetILNS1_3genE10ELNS1_11target_archE1200ELNS1_3gpuE4ELNS1_3repE0EEENS1_30default_config_static_selectorELNS0_4arch9wavefront6targetE0EEEvT1_.private_seg_size, 0
	.set _ZN7rocprim17ROCPRIM_400000_NS6detail17trampoline_kernelINS0_14default_configENS1_27scan_by_key_config_selectorIxxEEZZNS1_16scan_by_key_implILNS1_25lookback_scan_determinismE0ELb0ES3_N6thrust23THRUST_200600_302600_NS6detail15normal_iteratorINS9_10device_ptrIxEEEESE_SE_xNS9_10multipliesIxEENS9_8equal_toIxEExEE10hipError_tPvRmT2_T3_T4_T5_mT6_T7_P12ihipStream_tbENKUlT_T0_E_clISt17integral_constantIbLb1EESY_IbLb0EEEEDaSU_SV_EUlSU_E_NS1_11comp_targetILNS1_3genE10ELNS1_11target_archE1200ELNS1_3gpuE4ELNS1_3repE0EEENS1_30default_config_static_selectorELNS0_4arch9wavefront6targetE0EEEvT1_.uses_vcc, 0
	.set _ZN7rocprim17ROCPRIM_400000_NS6detail17trampoline_kernelINS0_14default_configENS1_27scan_by_key_config_selectorIxxEEZZNS1_16scan_by_key_implILNS1_25lookback_scan_determinismE0ELb0ES3_N6thrust23THRUST_200600_302600_NS6detail15normal_iteratorINS9_10device_ptrIxEEEESE_SE_xNS9_10multipliesIxEENS9_8equal_toIxEExEE10hipError_tPvRmT2_T3_T4_T5_mT6_T7_P12ihipStream_tbENKUlT_T0_E_clISt17integral_constantIbLb1EESY_IbLb0EEEEDaSU_SV_EUlSU_E_NS1_11comp_targetILNS1_3genE10ELNS1_11target_archE1200ELNS1_3gpuE4ELNS1_3repE0EEENS1_30default_config_static_selectorELNS0_4arch9wavefront6targetE0EEEvT1_.uses_flat_scratch, 0
	.set _ZN7rocprim17ROCPRIM_400000_NS6detail17trampoline_kernelINS0_14default_configENS1_27scan_by_key_config_selectorIxxEEZZNS1_16scan_by_key_implILNS1_25lookback_scan_determinismE0ELb0ES3_N6thrust23THRUST_200600_302600_NS6detail15normal_iteratorINS9_10device_ptrIxEEEESE_SE_xNS9_10multipliesIxEENS9_8equal_toIxEExEE10hipError_tPvRmT2_T3_T4_T5_mT6_T7_P12ihipStream_tbENKUlT_T0_E_clISt17integral_constantIbLb1EESY_IbLb0EEEEDaSU_SV_EUlSU_E_NS1_11comp_targetILNS1_3genE10ELNS1_11target_archE1200ELNS1_3gpuE4ELNS1_3repE0EEENS1_30default_config_static_selectorELNS0_4arch9wavefront6targetE0EEEvT1_.has_dyn_sized_stack, 0
	.set _ZN7rocprim17ROCPRIM_400000_NS6detail17trampoline_kernelINS0_14default_configENS1_27scan_by_key_config_selectorIxxEEZZNS1_16scan_by_key_implILNS1_25lookback_scan_determinismE0ELb0ES3_N6thrust23THRUST_200600_302600_NS6detail15normal_iteratorINS9_10device_ptrIxEEEESE_SE_xNS9_10multipliesIxEENS9_8equal_toIxEExEE10hipError_tPvRmT2_T3_T4_T5_mT6_T7_P12ihipStream_tbENKUlT_T0_E_clISt17integral_constantIbLb1EESY_IbLb0EEEEDaSU_SV_EUlSU_E_NS1_11comp_targetILNS1_3genE10ELNS1_11target_archE1200ELNS1_3gpuE4ELNS1_3repE0EEENS1_30default_config_static_selectorELNS0_4arch9wavefront6targetE0EEEvT1_.has_recursion, 0
	.set _ZN7rocprim17ROCPRIM_400000_NS6detail17trampoline_kernelINS0_14default_configENS1_27scan_by_key_config_selectorIxxEEZZNS1_16scan_by_key_implILNS1_25lookback_scan_determinismE0ELb0ES3_N6thrust23THRUST_200600_302600_NS6detail15normal_iteratorINS9_10device_ptrIxEEEESE_SE_xNS9_10multipliesIxEENS9_8equal_toIxEExEE10hipError_tPvRmT2_T3_T4_T5_mT6_T7_P12ihipStream_tbENKUlT_T0_E_clISt17integral_constantIbLb1EESY_IbLb0EEEEDaSU_SV_EUlSU_E_NS1_11comp_targetILNS1_3genE10ELNS1_11target_archE1200ELNS1_3gpuE4ELNS1_3repE0EEENS1_30default_config_static_selectorELNS0_4arch9wavefront6targetE0EEEvT1_.has_indirect_call, 0
	.section	.AMDGPU.csdata,"",@progbits
; Kernel info:
; codeLenInByte = 0
; TotalNumSgprs: 0
; NumVgprs: 0
; ScratchSize: 0
; MemoryBound: 0
; FloatMode: 240
; IeeeMode: 1
; LDSByteSize: 0 bytes/workgroup (compile time only)
; SGPRBlocks: 0
; VGPRBlocks: 0
; NumSGPRsForWavesPerEU: 1
; NumVGPRsForWavesPerEU: 1
; Occupancy: 16
; WaveLimiterHint : 0
; COMPUTE_PGM_RSRC2:SCRATCH_EN: 0
; COMPUTE_PGM_RSRC2:USER_SGPR: 6
; COMPUTE_PGM_RSRC2:TRAP_HANDLER: 0
; COMPUTE_PGM_RSRC2:TGID_X_EN: 1
; COMPUTE_PGM_RSRC2:TGID_Y_EN: 0
; COMPUTE_PGM_RSRC2:TGID_Z_EN: 0
; COMPUTE_PGM_RSRC2:TIDIG_COMP_CNT: 0
	.section	.text._ZN7rocprim17ROCPRIM_400000_NS6detail17trampoline_kernelINS0_14default_configENS1_27scan_by_key_config_selectorIxxEEZZNS1_16scan_by_key_implILNS1_25lookback_scan_determinismE0ELb0ES3_N6thrust23THRUST_200600_302600_NS6detail15normal_iteratorINS9_10device_ptrIxEEEESE_SE_xNS9_10multipliesIxEENS9_8equal_toIxEExEE10hipError_tPvRmT2_T3_T4_T5_mT6_T7_P12ihipStream_tbENKUlT_T0_E_clISt17integral_constantIbLb1EESY_IbLb0EEEEDaSU_SV_EUlSU_E_NS1_11comp_targetILNS1_3genE9ELNS1_11target_archE1100ELNS1_3gpuE3ELNS1_3repE0EEENS1_30default_config_static_selectorELNS0_4arch9wavefront6targetE0EEEvT1_,"axG",@progbits,_ZN7rocprim17ROCPRIM_400000_NS6detail17trampoline_kernelINS0_14default_configENS1_27scan_by_key_config_selectorIxxEEZZNS1_16scan_by_key_implILNS1_25lookback_scan_determinismE0ELb0ES3_N6thrust23THRUST_200600_302600_NS6detail15normal_iteratorINS9_10device_ptrIxEEEESE_SE_xNS9_10multipliesIxEENS9_8equal_toIxEExEE10hipError_tPvRmT2_T3_T4_T5_mT6_T7_P12ihipStream_tbENKUlT_T0_E_clISt17integral_constantIbLb1EESY_IbLb0EEEEDaSU_SV_EUlSU_E_NS1_11comp_targetILNS1_3genE9ELNS1_11target_archE1100ELNS1_3gpuE3ELNS1_3repE0EEENS1_30default_config_static_selectorELNS0_4arch9wavefront6targetE0EEEvT1_,comdat
	.protected	_ZN7rocprim17ROCPRIM_400000_NS6detail17trampoline_kernelINS0_14default_configENS1_27scan_by_key_config_selectorIxxEEZZNS1_16scan_by_key_implILNS1_25lookback_scan_determinismE0ELb0ES3_N6thrust23THRUST_200600_302600_NS6detail15normal_iteratorINS9_10device_ptrIxEEEESE_SE_xNS9_10multipliesIxEENS9_8equal_toIxEExEE10hipError_tPvRmT2_T3_T4_T5_mT6_T7_P12ihipStream_tbENKUlT_T0_E_clISt17integral_constantIbLb1EESY_IbLb0EEEEDaSU_SV_EUlSU_E_NS1_11comp_targetILNS1_3genE9ELNS1_11target_archE1100ELNS1_3gpuE3ELNS1_3repE0EEENS1_30default_config_static_selectorELNS0_4arch9wavefront6targetE0EEEvT1_ ; -- Begin function _ZN7rocprim17ROCPRIM_400000_NS6detail17trampoline_kernelINS0_14default_configENS1_27scan_by_key_config_selectorIxxEEZZNS1_16scan_by_key_implILNS1_25lookback_scan_determinismE0ELb0ES3_N6thrust23THRUST_200600_302600_NS6detail15normal_iteratorINS9_10device_ptrIxEEEESE_SE_xNS9_10multipliesIxEENS9_8equal_toIxEExEE10hipError_tPvRmT2_T3_T4_T5_mT6_T7_P12ihipStream_tbENKUlT_T0_E_clISt17integral_constantIbLb1EESY_IbLb0EEEEDaSU_SV_EUlSU_E_NS1_11comp_targetILNS1_3genE9ELNS1_11target_archE1100ELNS1_3gpuE3ELNS1_3repE0EEENS1_30default_config_static_selectorELNS0_4arch9wavefront6targetE0EEEvT1_
	.globl	_ZN7rocprim17ROCPRIM_400000_NS6detail17trampoline_kernelINS0_14default_configENS1_27scan_by_key_config_selectorIxxEEZZNS1_16scan_by_key_implILNS1_25lookback_scan_determinismE0ELb0ES3_N6thrust23THRUST_200600_302600_NS6detail15normal_iteratorINS9_10device_ptrIxEEEESE_SE_xNS9_10multipliesIxEENS9_8equal_toIxEExEE10hipError_tPvRmT2_T3_T4_T5_mT6_T7_P12ihipStream_tbENKUlT_T0_E_clISt17integral_constantIbLb1EESY_IbLb0EEEEDaSU_SV_EUlSU_E_NS1_11comp_targetILNS1_3genE9ELNS1_11target_archE1100ELNS1_3gpuE3ELNS1_3repE0EEENS1_30default_config_static_selectorELNS0_4arch9wavefront6targetE0EEEvT1_
	.p2align	8
	.type	_ZN7rocprim17ROCPRIM_400000_NS6detail17trampoline_kernelINS0_14default_configENS1_27scan_by_key_config_selectorIxxEEZZNS1_16scan_by_key_implILNS1_25lookback_scan_determinismE0ELb0ES3_N6thrust23THRUST_200600_302600_NS6detail15normal_iteratorINS9_10device_ptrIxEEEESE_SE_xNS9_10multipliesIxEENS9_8equal_toIxEExEE10hipError_tPvRmT2_T3_T4_T5_mT6_T7_P12ihipStream_tbENKUlT_T0_E_clISt17integral_constantIbLb1EESY_IbLb0EEEEDaSU_SV_EUlSU_E_NS1_11comp_targetILNS1_3genE9ELNS1_11target_archE1100ELNS1_3gpuE3ELNS1_3repE0EEENS1_30default_config_static_selectorELNS0_4arch9wavefront6targetE0EEEvT1_,@function
_ZN7rocprim17ROCPRIM_400000_NS6detail17trampoline_kernelINS0_14default_configENS1_27scan_by_key_config_selectorIxxEEZZNS1_16scan_by_key_implILNS1_25lookback_scan_determinismE0ELb0ES3_N6thrust23THRUST_200600_302600_NS6detail15normal_iteratorINS9_10device_ptrIxEEEESE_SE_xNS9_10multipliesIxEENS9_8equal_toIxEExEE10hipError_tPvRmT2_T3_T4_T5_mT6_T7_P12ihipStream_tbENKUlT_T0_E_clISt17integral_constantIbLb1EESY_IbLb0EEEEDaSU_SV_EUlSU_E_NS1_11comp_targetILNS1_3genE9ELNS1_11target_archE1100ELNS1_3gpuE3ELNS1_3repE0EEENS1_30default_config_static_selectorELNS0_4arch9wavefront6targetE0EEEvT1_: ; @_ZN7rocprim17ROCPRIM_400000_NS6detail17trampoline_kernelINS0_14default_configENS1_27scan_by_key_config_selectorIxxEEZZNS1_16scan_by_key_implILNS1_25lookback_scan_determinismE0ELb0ES3_N6thrust23THRUST_200600_302600_NS6detail15normal_iteratorINS9_10device_ptrIxEEEESE_SE_xNS9_10multipliesIxEENS9_8equal_toIxEExEE10hipError_tPvRmT2_T3_T4_T5_mT6_T7_P12ihipStream_tbENKUlT_T0_E_clISt17integral_constantIbLb1EESY_IbLb0EEEEDaSU_SV_EUlSU_E_NS1_11comp_targetILNS1_3genE9ELNS1_11target_archE1100ELNS1_3gpuE3ELNS1_3repE0EEENS1_30default_config_static_selectorELNS0_4arch9wavefront6targetE0EEEvT1_
; %bb.0:
	.section	.rodata,"a",@progbits
	.p2align	6, 0x0
	.amdhsa_kernel _ZN7rocprim17ROCPRIM_400000_NS6detail17trampoline_kernelINS0_14default_configENS1_27scan_by_key_config_selectorIxxEEZZNS1_16scan_by_key_implILNS1_25lookback_scan_determinismE0ELb0ES3_N6thrust23THRUST_200600_302600_NS6detail15normal_iteratorINS9_10device_ptrIxEEEESE_SE_xNS9_10multipliesIxEENS9_8equal_toIxEExEE10hipError_tPvRmT2_T3_T4_T5_mT6_T7_P12ihipStream_tbENKUlT_T0_E_clISt17integral_constantIbLb1EESY_IbLb0EEEEDaSU_SV_EUlSU_E_NS1_11comp_targetILNS1_3genE9ELNS1_11target_archE1100ELNS1_3gpuE3ELNS1_3repE0EEENS1_30default_config_static_selectorELNS0_4arch9wavefront6targetE0EEEvT1_
		.amdhsa_group_segment_fixed_size 0
		.amdhsa_private_segment_fixed_size 0
		.amdhsa_kernarg_size 136
		.amdhsa_user_sgpr_count 6
		.amdhsa_user_sgpr_private_segment_buffer 1
		.amdhsa_user_sgpr_dispatch_ptr 0
		.amdhsa_user_sgpr_queue_ptr 0
		.amdhsa_user_sgpr_kernarg_segment_ptr 1
		.amdhsa_user_sgpr_dispatch_id 0
		.amdhsa_user_sgpr_flat_scratch_init 0
		.amdhsa_user_sgpr_private_segment_size 0
		.amdhsa_wavefront_size32 1
		.amdhsa_uses_dynamic_stack 0
		.amdhsa_system_sgpr_private_segment_wavefront_offset 0
		.amdhsa_system_sgpr_workgroup_id_x 1
		.amdhsa_system_sgpr_workgroup_id_y 0
		.amdhsa_system_sgpr_workgroup_id_z 0
		.amdhsa_system_sgpr_workgroup_info 0
		.amdhsa_system_vgpr_workitem_id 0
		.amdhsa_next_free_vgpr 1
		.amdhsa_next_free_sgpr 1
		.amdhsa_reserve_vcc 0
		.amdhsa_reserve_flat_scratch 0
		.amdhsa_float_round_mode_32 0
		.amdhsa_float_round_mode_16_64 0
		.amdhsa_float_denorm_mode_32 3
		.amdhsa_float_denorm_mode_16_64 3
		.amdhsa_dx10_clamp 1
		.amdhsa_ieee_mode 1
		.amdhsa_fp16_overflow 0
		.amdhsa_workgroup_processor_mode 1
		.amdhsa_memory_ordered 1
		.amdhsa_forward_progress 1
		.amdhsa_shared_vgpr_count 0
		.amdhsa_exception_fp_ieee_invalid_op 0
		.amdhsa_exception_fp_denorm_src 0
		.amdhsa_exception_fp_ieee_div_zero 0
		.amdhsa_exception_fp_ieee_overflow 0
		.amdhsa_exception_fp_ieee_underflow 0
		.amdhsa_exception_fp_ieee_inexact 0
		.amdhsa_exception_int_div_zero 0
	.end_amdhsa_kernel
	.section	.text._ZN7rocprim17ROCPRIM_400000_NS6detail17trampoline_kernelINS0_14default_configENS1_27scan_by_key_config_selectorIxxEEZZNS1_16scan_by_key_implILNS1_25lookback_scan_determinismE0ELb0ES3_N6thrust23THRUST_200600_302600_NS6detail15normal_iteratorINS9_10device_ptrIxEEEESE_SE_xNS9_10multipliesIxEENS9_8equal_toIxEExEE10hipError_tPvRmT2_T3_T4_T5_mT6_T7_P12ihipStream_tbENKUlT_T0_E_clISt17integral_constantIbLb1EESY_IbLb0EEEEDaSU_SV_EUlSU_E_NS1_11comp_targetILNS1_3genE9ELNS1_11target_archE1100ELNS1_3gpuE3ELNS1_3repE0EEENS1_30default_config_static_selectorELNS0_4arch9wavefront6targetE0EEEvT1_,"axG",@progbits,_ZN7rocprim17ROCPRIM_400000_NS6detail17trampoline_kernelINS0_14default_configENS1_27scan_by_key_config_selectorIxxEEZZNS1_16scan_by_key_implILNS1_25lookback_scan_determinismE0ELb0ES3_N6thrust23THRUST_200600_302600_NS6detail15normal_iteratorINS9_10device_ptrIxEEEESE_SE_xNS9_10multipliesIxEENS9_8equal_toIxEExEE10hipError_tPvRmT2_T3_T4_T5_mT6_T7_P12ihipStream_tbENKUlT_T0_E_clISt17integral_constantIbLb1EESY_IbLb0EEEEDaSU_SV_EUlSU_E_NS1_11comp_targetILNS1_3genE9ELNS1_11target_archE1100ELNS1_3gpuE3ELNS1_3repE0EEENS1_30default_config_static_selectorELNS0_4arch9wavefront6targetE0EEEvT1_,comdat
.Lfunc_end72:
	.size	_ZN7rocprim17ROCPRIM_400000_NS6detail17trampoline_kernelINS0_14default_configENS1_27scan_by_key_config_selectorIxxEEZZNS1_16scan_by_key_implILNS1_25lookback_scan_determinismE0ELb0ES3_N6thrust23THRUST_200600_302600_NS6detail15normal_iteratorINS9_10device_ptrIxEEEESE_SE_xNS9_10multipliesIxEENS9_8equal_toIxEExEE10hipError_tPvRmT2_T3_T4_T5_mT6_T7_P12ihipStream_tbENKUlT_T0_E_clISt17integral_constantIbLb1EESY_IbLb0EEEEDaSU_SV_EUlSU_E_NS1_11comp_targetILNS1_3genE9ELNS1_11target_archE1100ELNS1_3gpuE3ELNS1_3repE0EEENS1_30default_config_static_selectorELNS0_4arch9wavefront6targetE0EEEvT1_, .Lfunc_end72-_ZN7rocprim17ROCPRIM_400000_NS6detail17trampoline_kernelINS0_14default_configENS1_27scan_by_key_config_selectorIxxEEZZNS1_16scan_by_key_implILNS1_25lookback_scan_determinismE0ELb0ES3_N6thrust23THRUST_200600_302600_NS6detail15normal_iteratorINS9_10device_ptrIxEEEESE_SE_xNS9_10multipliesIxEENS9_8equal_toIxEExEE10hipError_tPvRmT2_T3_T4_T5_mT6_T7_P12ihipStream_tbENKUlT_T0_E_clISt17integral_constantIbLb1EESY_IbLb0EEEEDaSU_SV_EUlSU_E_NS1_11comp_targetILNS1_3genE9ELNS1_11target_archE1100ELNS1_3gpuE3ELNS1_3repE0EEENS1_30default_config_static_selectorELNS0_4arch9wavefront6targetE0EEEvT1_
                                        ; -- End function
	.set _ZN7rocprim17ROCPRIM_400000_NS6detail17trampoline_kernelINS0_14default_configENS1_27scan_by_key_config_selectorIxxEEZZNS1_16scan_by_key_implILNS1_25lookback_scan_determinismE0ELb0ES3_N6thrust23THRUST_200600_302600_NS6detail15normal_iteratorINS9_10device_ptrIxEEEESE_SE_xNS9_10multipliesIxEENS9_8equal_toIxEExEE10hipError_tPvRmT2_T3_T4_T5_mT6_T7_P12ihipStream_tbENKUlT_T0_E_clISt17integral_constantIbLb1EESY_IbLb0EEEEDaSU_SV_EUlSU_E_NS1_11comp_targetILNS1_3genE9ELNS1_11target_archE1100ELNS1_3gpuE3ELNS1_3repE0EEENS1_30default_config_static_selectorELNS0_4arch9wavefront6targetE0EEEvT1_.num_vgpr, 0
	.set _ZN7rocprim17ROCPRIM_400000_NS6detail17trampoline_kernelINS0_14default_configENS1_27scan_by_key_config_selectorIxxEEZZNS1_16scan_by_key_implILNS1_25lookback_scan_determinismE0ELb0ES3_N6thrust23THRUST_200600_302600_NS6detail15normal_iteratorINS9_10device_ptrIxEEEESE_SE_xNS9_10multipliesIxEENS9_8equal_toIxEExEE10hipError_tPvRmT2_T3_T4_T5_mT6_T7_P12ihipStream_tbENKUlT_T0_E_clISt17integral_constantIbLb1EESY_IbLb0EEEEDaSU_SV_EUlSU_E_NS1_11comp_targetILNS1_3genE9ELNS1_11target_archE1100ELNS1_3gpuE3ELNS1_3repE0EEENS1_30default_config_static_selectorELNS0_4arch9wavefront6targetE0EEEvT1_.num_agpr, 0
	.set _ZN7rocprim17ROCPRIM_400000_NS6detail17trampoline_kernelINS0_14default_configENS1_27scan_by_key_config_selectorIxxEEZZNS1_16scan_by_key_implILNS1_25lookback_scan_determinismE0ELb0ES3_N6thrust23THRUST_200600_302600_NS6detail15normal_iteratorINS9_10device_ptrIxEEEESE_SE_xNS9_10multipliesIxEENS9_8equal_toIxEExEE10hipError_tPvRmT2_T3_T4_T5_mT6_T7_P12ihipStream_tbENKUlT_T0_E_clISt17integral_constantIbLb1EESY_IbLb0EEEEDaSU_SV_EUlSU_E_NS1_11comp_targetILNS1_3genE9ELNS1_11target_archE1100ELNS1_3gpuE3ELNS1_3repE0EEENS1_30default_config_static_selectorELNS0_4arch9wavefront6targetE0EEEvT1_.numbered_sgpr, 0
	.set _ZN7rocprim17ROCPRIM_400000_NS6detail17trampoline_kernelINS0_14default_configENS1_27scan_by_key_config_selectorIxxEEZZNS1_16scan_by_key_implILNS1_25lookback_scan_determinismE0ELb0ES3_N6thrust23THRUST_200600_302600_NS6detail15normal_iteratorINS9_10device_ptrIxEEEESE_SE_xNS9_10multipliesIxEENS9_8equal_toIxEExEE10hipError_tPvRmT2_T3_T4_T5_mT6_T7_P12ihipStream_tbENKUlT_T0_E_clISt17integral_constantIbLb1EESY_IbLb0EEEEDaSU_SV_EUlSU_E_NS1_11comp_targetILNS1_3genE9ELNS1_11target_archE1100ELNS1_3gpuE3ELNS1_3repE0EEENS1_30default_config_static_selectorELNS0_4arch9wavefront6targetE0EEEvT1_.num_named_barrier, 0
	.set _ZN7rocprim17ROCPRIM_400000_NS6detail17trampoline_kernelINS0_14default_configENS1_27scan_by_key_config_selectorIxxEEZZNS1_16scan_by_key_implILNS1_25lookback_scan_determinismE0ELb0ES3_N6thrust23THRUST_200600_302600_NS6detail15normal_iteratorINS9_10device_ptrIxEEEESE_SE_xNS9_10multipliesIxEENS9_8equal_toIxEExEE10hipError_tPvRmT2_T3_T4_T5_mT6_T7_P12ihipStream_tbENKUlT_T0_E_clISt17integral_constantIbLb1EESY_IbLb0EEEEDaSU_SV_EUlSU_E_NS1_11comp_targetILNS1_3genE9ELNS1_11target_archE1100ELNS1_3gpuE3ELNS1_3repE0EEENS1_30default_config_static_selectorELNS0_4arch9wavefront6targetE0EEEvT1_.private_seg_size, 0
	.set _ZN7rocprim17ROCPRIM_400000_NS6detail17trampoline_kernelINS0_14default_configENS1_27scan_by_key_config_selectorIxxEEZZNS1_16scan_by_key_implILNS1_25lookback_scan_determinismE0ELb0ES3_N6thrust23THRUST_200600_302600_NS6detail15normal_iteratorINS9_10device_ptrIxEEEESE_SE_xNS9_10multipliesIxEENS9_8equal_toIxEExEE10hipError_tPvRmT2_T3_T4_T5_mT6_T7_P12ihipStream_tbENKUlT_T0_E_clISt17integral_constantIbLb1EESY_IbLb0EEEEDaSU_SV_EUlSU_E_NS1_11comp_targetILNS1_3genE9ELNS1_11target_archE1100ELNS1_3gpuE3ELNS1_3repE0EEENS1_30default_config_static_selectorELNS0_4arch9wavefront6targetE0EEEvT1_.uses_vcc, 0
	.set _ZN7rocprim17ROCPRIM_400000_NS6detail17trampoline_kernelINS0_14default_configENS1_27scan_by_key_config_selectorIxxEEZZNS1_16scan_by_key_implILNS1_25lookback_scan_determinismE0ELb0ES3_N6thrust23THRUST_200600_302600_NS6detail15normal_iteratorINS9_10device_ptrIxEEEESE_SE_xNS9_10multipliesIxEENS9_8equal_toIxEExEE10hipError_tPvRmT2_T3_T4_T5_mT6_T7_P12ihipStream_tbENKUlT_T0_E_clISt17integral_constantIbLb1EESY_IbLb0EEEEDaSU_SV_EUlSU_E_NS1_11comp_targetILNS1_3genE9ELNS1_11target_archE1100ELNS1_3gpuE3ELNS1_3repE0EEENS1_30default_config_static_selectorELNS0_4arch9wavefront6targetE0EEEvT1_.uses_flat_scratch, 0
	.set _ZN7rocprim17ROCPRIM_400000_NS6detail17trampoline_kernelINS0_14default_configENS1_27scan_by_key_config_selectorIxxEEZZNS1_16scan_by_key_implILNS1_25lookback_scan_determinismE0ELb0ES3_N6thrust23THRUST_200600_302600_NS6detail15normal_iteratorINS9_10device_ptrIxEEEESE_SE_xNS9_10multipliesIxEENS9_8equal_toIxEExEE10hipError_tPvRmT2_T3_T4_T5_mT6_T7_P12ihipStream_tbENKUlT_T0_E_clISt17integral_constantIbLb1EESY_IbLb0EEEEDaSU_SV_EUlSU_E_NS1_11comp_targetILNS1_3genE9ELNS1_11target_archE1100ELNS1_3gpuE3ELNS1_3repE0EEENS1_30default_config_static_selectorELNS0_4arch9wavefront6targetE0EEEvT1_.has_dyn_sized_stack, 0
	.set _ZN7rocprim17ROCPRIM_400000_NS6detail17trampoline_kernelINS0_14default_configENS1_27scan_by_key_config_selectorIxxEEZZNS1_16scan_by_key_implILNS1_25lookback_scan_determinismE0ELb0ES3_N6thrust23THRUST_200600_302600_NS6detail15normal_iteratorINS9_10device_ptrIxEEEESE_SE_xNS9_10multipliesIxEENS9_8equal_toIxEExEE10hipError_tPvRmT2_T3_T4_T5_mT6_T7_P12ihipStream_tbENKUlT_T0_E_clISt17integral_constantIbLb1EESY_IbLb0EEEEDaSU_SV_EUlSU_E_NS1_11comp_targetILNS1_3genE9ELNS1_11target_archE1100ELNS1_3gpuE3ELNS1_3repE0EEENS1_30default_config_static_selectorELNS0_4arch9wavefront6targetE0EEEvT1_.has_recursion, 0
	.set _ZN7rocprim17ROCPRIM_400000_NS6detail17trampoline_kernelINS0_14default_configENS1_27scan_by_key_config_selectorIxxEEZZNS1_16scan_by_key_implILNS1_25lookback_scan_determinismE0ELb0ES3_N6thrust23THRUST_200600_302600_NS6detail15normal_iteratorINS9_10device_ptrIxEEEESE_SE_xNS9_10multipliesIxEENS9_8equal_toIxEExEE10hipError_tPvRmT2_T3_T4_T5_mT6_T7_P12ihipStream_tbENKUlT_T0_E_clISt17integral_constantIbLb1EESY_IbLb0EEEEDaSU_SV_EUlSU_E_NS1_11comp_targetILNS1_3genE9ELNS1_11target_archE1100ELNS1_3gpuE3ELNS1_3repE0EEENS1_30default_config_static_selectorELNS0_4arch9wavefront6targetE0EEEvT1_.has_indirect_call, 0
	.section	.AMDGPU.csdata,"",@progbits
; Kernel info:
; codeLenInByte = 0
; TotalNumSgprs: 0
; NumVgprs: 0
; ScratchSize: 0
; MemoryBound: 0
; FloatMode: 240
; IeeeMode: 1
; LDSByteSize: 0 bytes/workgroup (compile time only)
; SGPRBlocks: 0
; VGPRBlocks: 0
; NumSGPRsForWavesPerEU: 1
; NumVGPRsForWavesPerEU: 1
; Occupancy: 16
; WaveLimiterHint : 0
; COMPUTE_PGM_RSRC2:SCRATCH_EN: 0
; COMPUTE_PGM_RSRC2:USER_SGPR: 6
; COMPUTE_PGM_RSRC2:TRAP_HANDLER: 0
; COMPUTE_PGM_RSRC2:TGID_X_EN: 1
; COMPUTE_PGM_RSRC2:TGID_Y_EN: 0
; COMPUTE_PGM_RSRC2:TGID_Z_EN: 0
; COMPUTE_PGM_RSRC2:TIDIG_COMP_CNT: 0
	.section	.text._ZN7rocprim17ROCPRIM_400000_NS6detail17trampoline_kernelINS0_14default_configENS1_27scan_by_key_config_selectorIxxEEZZNS1_16scan_by_key_implILNS1_25lookback_scan_determinismE0ELb0ES3_N6thrust23THRUST_200600_302600_NS6detail15normal_iteratorINS9_10device_ptrIxEEEESE_SE_xNS9_10multipliesIxEENS9_8equal_toIxEExEE10hipError_tPvRmT2_T3_T4_T5_mT6_T7_P12ihipStream_tbENKUlT_T0_E_clISt17integral_constantIbLb1EESY_IbLb0EEEEDaSU_SV_EUlSU_E_NS1_11comp_targetILNS1_3genE8ELNS1_11target_archE1030ELNS1_3gpuE2ELNS1_3repE0EEENS1_30default_config_static_selectorELNS0_4arch9wavefront6targetE0EEEvT1_,"axG",@progbits,_ZN7rocprim17ROCPRIM_400000_NS6detail17trampoline_kernelINS0_14default_configENS1_27scan_by_key_config_selectorIxxEEZZNS1_16scan_by_key_implILNS1_25lookback_scan_determinismE0ELb0ES3_N6thrust23THRUST_200600_302600_NS6detail15normal_iteratorINS9_10device_ptrIxEEEESE_SE_xNS9_10multipliesIxEENS9_8equal_toIxEExEE10hipError_tPvRmT2_T3_T4_T5_mT6_T7_P12ihipStream_tbENKUlT_T0_E_clISt17integral_constantIbLb1EESY_IbLb0EEEEDaSU_SV_EUlSU_E_NS1_11comp_targetILNS1_3genE8ELNS1_11target_archE1030ELNS1_3gpuE2ELNS1_3repE0EEENS1_30default_config_static_selectorELNS0_4arch9wavefront6targetE0EEEvT1_,comdat
	.protected	_ZN7rocprim17ROCPRIM_400000_NS6detail17trampoline_kernelINS0_14default_configENS1_27scan_by_key_config_selectorIxxEEZZNS1_16scan_by_key_implILNS1_25lookback_scan_determinismE0ELb0ES3_N6thrust23THRUST_200600_302600_NS6detail15normal_iteratorINS9_10device_ptrIxEEEESE_SE_xNS9_10multipliesIxEENS9_8equal_toIxEExEE10hipError_tPvRmT2_T3_T4_T5_mT6_T7_P12ihipStream_tbENKUlT_T0_E_clISt17integral_constantIbLb1EESY_IbLb0EEEEDaSU_SV_EUlSU_E_NS1_11comp_targetILNS1_3genE8ELNS1_11target_archE1030ELNS1_3gpuE2ELNS1_3repE0EEENS1_30default_config_static_selectorELNS0_4arch9wavefront6targetE0EEEvT1_ ; -- Begin function _ZN7rocprim17ROCPRIM_400000_NS6detail17trampoline_kernelINS0_14default_configENS1_27scan_by_key_config_selectorIxxEEZZNS1_16scan_by_key_implILNS1_25lookback_scan_determinismE0ELb0ES3_N6thrust23THRUST_200600_302600_NS6detail15normal_iteratorINS9_10device_ptrIxEEEESE_SE_xNS9_10multipliesIxEENS9_8equal_toIxEExEE10hipError_tPvRmT2_T3_T4_T5_mT6_T7_P12ihipStream_tbENKUlT_T0_E_clISt17integral_constantIbLb1EESY_IbLb0EEEEDaSU_SV_EUlSU_E_NS1_11comp_targetILNS1_3genE8ELNS1_11target_archE1030ELNS1_3gpuE2ELNS1_3repE0EEENS1_30default_config_static_selectorELNS0_4arch9wavefront6targetE0EEEvT1_
	.globl	_ZN7rocprim17ROCPRIM_400000_NS6detail17trampoline_kernelINS0_14default_configENS1_27scan_by_key_config_selectorIxxEEZZNS1_16scan_by_key_implILNS1_25lookback_scan_determinismE0ELb0ES3_N6thrust23THRUST_200600_302600_NS6detail15normal_iteratorINS9_10device_ptrIxEEEESE_SE_xNS9_10multipliesIxEENS9_8equal_toIxEExEE10hipError_tPvRmT2_T3_T4_T5_mT6_T7_P12ihipStream_tbENKUlT_T0_E_clISt17integral_constantIbLb1EESY_IbLb0EEEEDaSU_SV_EUlSU_E_NS1_11comp_targetILNS1_3genE8ELNS1_11target_archE1030ELNS1_3gpuE2ELNS1_3repE0EEENS1_30default_config_static_selectorELNS0_4arch9wavefront6targetE0EEEvT1_
	.p2align	8
	.type	_ZN7rocprim17ROCPRIM_400000_NS6detail17trampoline_kernelINS0_14default_configENS1_27scan_by_key_config_selectorIxxEEZZNS1_16scan_by_key_implILNS1_25lookback_scan_determinismE0ELb0ES3_N6thrust23THRUST_200600_302600_NS6detail15normal_iteratorINS9_10device_ptrIxEEEESE_SE_xNS9_10multipliesIxEENS9_8equal_toIxEExEE10hipError_tPvRmT2_T3_T4_T5_mT6_T7_P12ihipStream_tbENKUlT_T0_E_clISt17integral_constantIbLb1EESY_IbLb0EEEEDaSU_SV_EUlSU_E_NS1_11comp_targetILNS1_3genE8ELNS1_11target_archE1030ELNS1_3gpuE2ELNS1_3repE0EEENS1_30default_config_static_selectorELNS0_4arch9wavefront6targetE0EEEvT1_,@function
_ZN7rocprim17ROCPRIM_400000_NS6detail17trampoline_kernelINS0_14default_configENS1_27scan_by_key_config_selectorIxxEEZZNS1_16scan_by_key_implILNS1_25lookback_scan_determinismE0ELb0ES3_N6thrust23THRUST_200600_302600_NS6detail15normal_iteratorINS9_10device_ptrIxEEEESE_SE_xNS9_10multipliesIxEENS9_8equal_toIxEExEE10hipError_tPvRmT2_T3_T4_T5_mT6_T7_P12ihipStream_tbENKUlT_T0_E_clISt17integral_constantIbLb1EESY_IbLb0EEEEDaSU_SV_EUlSU_E_NS1_11comp_targetILNS1_3genE8ELNS1_11target_archE1030ELNS1_3gpuE2ELNS1_3repE0EEENS1_30default_config_static_selectorELNS0_4arch9wavefront6targetE0EEEvT1_: ; @_ZN7rocprim17ROCPRIM_400000_NS6detail17trampoline_kernelINS0_14default_configENS1_27scan_by_key_config_selectorIxxEEZZNS1_16scan_by_key_implILNS1_25lookback_scan_determinismE0ELb0ES3_N6thrust23THRUST_200600_302600_NS6detail15normal_iteratorINS9_10device_ptrIxEEEESE_SE_xNS9_10multipliesIxEENS9_8equal_toIxEExEE10hipError_tPvRmT2_T3_T4_T5_mT6_T7_P12ihipStream_tbENKUlT_T0_E_clISt17integral_constantIbLb1EESY_IbLb0EEEEDaSU_SV_EUlSU_E_NS1_11comp_targetILNS1_3genE8ELNS1_11target_archE1030ELNS1_3gpuE2ELNS1_3repE0EEENS1_30default_config_static_selectorELNS0_4arch9wavefront6targetE0EEEvT1_
; %bb.0:
	s_endpgm
	.section	.rodata,"a",@progbits
	.p2align	6, 0x0
	.amdhsa_kernel _ZN7rocprim17ROCPRIM_400000_NS6detail17trampoline_kernelINS0_14default_configENS1_27scan_by_key_config_selectorIxxEEZZNS1_16scan_by_key_implILNS1_25lookback_scan_determinismE0ELb0ES3_N6thrust23THRUST_200600_302600_NS6detail15normal_iteratorINS9_10device_ptrIxEEEESE_SE_xNS9_10multipliesIxEENS9_8equal_toIxEExEE10hipError_tPvRmT2_T3_T4_T5_mT6_T7_P12ihipStream_tbENKUlT_T0_E_clISt17integral_constantIbLb1EESY_IbLb0EEEEDaSU_SV_EUlSU_E_NS1_11comp_targetILNS1_3genE8ELNS1_11target_archE1030ELNS1_3gpuE2ELNS1_3repE0EEENS1_30default_config_static_selectorELNS0_4arch9wavefront6targetE0EEEvT1_
		.amdhsa_group_segment_fixed_size 0
		.amdhsa_private_segment_fixed_size 0
		.amdhsa_kernarg_size 136
		.amdhsa_user_sgpr_count 6
		.amdhsa_user_sgpr_private_segment_buffer 1
		.amdhsa_user_sgpr_dispatch_ptr 0
		.amdhsa_user_sgpr_queue_ptr 0
		.amdhsa_user_sgpr_kernarg_segment_ptr 1
		.amdhsa_user_sgpr_dispatch_id 0
		.amdhsa_user_sgpr_flat_scratch_init 0
		.amdhsa_user_sgpr_private_segment_size 0
		.amdhsa_wavefront_size32 1
		.amdhsa_uses_dynamic_stack 0
		.amdhsa_system_sgpr_private_segment_wavefront_offset 0
		.amdhsa_system_sgpr_workgroup_id_x 1
		.amdhsa_system_sgpr_workgroup_id_y 0
		.amdhsa_system_sgpr_workgroup_id_z 0
		.amdhsa_system_sgpr_workgroup_info 0
		.amdhsa_system_vgpr_workitem_id 0
		.amdhsa_next_free_vgpr 1
		.amdhsa_next_free_sgpr 1
		.amdhsa_reserve_vcc 0
		.amdhsa_reserve_flat_scratch 0
		.amdhsa_float_round_mode_32 0
		.amdhsa_float_round_mode_16_64 0
		.amdhsa_float_denorm_mode_32 3
		.amdhsa_float_denorm_mode_16_64 3
		.amdhsa_dx10_clamp 1
		.amdhsa_ieee_mode 1
		.amdhsa_fp16_overflow 0
		.amdhsa_workgroup_processor_mode 1
		.amdhsa_memory_ordered 1
		.amdhsa_forward_progress 1
		.amdhsa_shared_vgpr_count 0
		.amdhsa_exception_fp_ieee_invalid_op 0
		.amdhsa_exception_fp_denorm_src 0
		.amdhsa_exception_fp_ieee_div_zero 0
		.amdhsa_exception_fp_ieee_overflow 0
		.amdhsa_exception_fp_ieee_underflow 0
		.amdhsa_exception_fp_ieee_inexact 0
		.amdhsa_exception_int_div_zero 0
	.end_amdhsa_kernel
	.section	.text._ZN7rocprim17ROCPRIM_400000_NS6detail17trampoline_kernelINS0_14default_configENS1_27scan_by_key_config_selectorIxxEEZZNS1_16scan_by_key_implILNS1_25lookback_scan_determinismE0ELb0ES3_N6thrust23THRUST_200600_302600_NS6detail15normal_iteratorINS9_10device_ptrIxEEEESE_SE_xNS9_10multipliesIxEENS9_8equal_toIxEExEE10hipError_tPvRmT2_T3_T4_T5_mT6_T7_P12ihipStream_tbENKUlT_T0_E_clISt17integral_constantIbLb1EESY_IbLb0EEEEDaSU_SV_EUlSU_E_NS1_11comp_targetILNS1_3genE8ELNS1_11target_archE1030ELNS1_3gpuE2ELNS1_3repE0EEENS1_30default_config_static_selectorELNS0_4arch9wavefront6targetE0EEEvT1_,"axG",@progbits,_ZN7rocprim17ROCPRIM_400000_NS6detail17trampoline_kernelINS0_14default_configENS1_27scan_by_key_config_selectorIxxEEZZNS1_16scan_by_key_implILNS1_25lookback_scan_determinismE0ELb0ES3_N6thrust23THRUST_200600_302600_NS6detail15normal_iteratorINS9_10device_ptrIxEEEESE_SE_xNS9_10multipliesIxEENS9_8equal_toIxEExEE10hipError_tPvRmT2_T3_T4_T5_mT6_T7_P12ihipStream_tbENKUlT_T0_E_clISt17integral_constantIbLb1EESY_IbLb0EEEEDaSU_SV_EUlSU_E_NS1_11comp_targetILNS1_3genE8ELNS1_11target_archE1030ELNS1_3gpuE2ELNS1_3repE0EEENS1_30default_config_static_selectorELNS0_4arch9wavefront6targetE0EEEvT1_,comdat
.Lfunc_end73:
	.size	_ZN7rocprim17ROCPRIM_400000_NS6detail17trampoline_kernelINS0_14default_configENS1_27scan_by_key_config_selectorIxxEEZZNS1_16scan_by_key_implILNS1_25lookback_scan_determinismE0ELb0ES3_N6thrust23THRUST_200600_302600_NS6detail15normal_iteratorINS9_10device_ptrIxEEEESE_SE_xNS9_10multipliesIxEENS9_8equal_toIxEExEE10hipError_tPvRmT2_T3_T4_T5_mT6_T7_P12ihipStream_tbENKUlT_T0_E_clISt17integral_constantIbLb1EESY_IbLb0EEEEDaSU_SV_EUlSU_E_NS1_11comp_targetILNS1_3genE8ELNS1_11target_archE1030ELNS1_3gpuE2ELNS1_3repE0EEENS1_30default_config_static_selectorELNS0_4arch9wavefront6targetE0EEEvT1_, .Lfunc_end73-_ZN7rocprim17ROCPRIM_400000_NS6detail17trampoline_kernelINS0_14default_configENS1_27scan_by_key_config_selectorIxxEEZZNS1_16scan_by_key_implILNS1_25lookback_scan_determinismE0ELb0ES3_N6thrust23THRUST_200600_302600_NS6detail15normal_iteratorINS9_10device_ptrIxEEEESE_SE_xNS9_10multipliesIxEENS9_8equal_toIxEExEE10hipError_tPvRmT2_T3_T4_T5_mT6_T7_P12ihipStream_tbENKUlT_T0_E_clISt17integral_constantIbLb1EESY_IbLb0EEEEDaSU_SV_EUlSU_E_NS1_11comp_targetILNS1_3genE8ELNS1_11target_archE1030ELNS1_3gpuE2ELNS1_3repE0EEENS1_30default_config_static_selectorELNS0_4arch9wavefront6targetE0EEEvT1_
                                        ; -- End function
	.set _ZN7rocprim17ROCPRIM_400000_NS6detail17trampoline_kernelINS0_14default_configENS1_27scan_by_key_config_selectorIxxEEZZNS1_16scan_by_key_implILNS1_25lookback_scan_determinismE0ELb0ES3_N6thrust23THRUST_200600_302600_NS6detail15normal_iteratorINS9_10device_ptrIxEEEESE_SE_xNS9_10multipliesIxEENS9_8equal_toIxEExEE10hipError_tPvRmT2_T3_T4_T5_mT6_T7_P12ihipStream_tbENKUlT_T0_E_clISt17integral_constantIbLb1EESY_IbLb0EEEEDaSU_SV_EUlSU_E_NS1_11comp_targetILNS1_3genE8ELNS1_11target_archE1030ELNS1_3gpuE2ELNS1_3repE0EEENS1_30default_config_static_selectorELNS0_4arch9wavefront6targetE0EEEvT1_.num_vgpr, 0
	.set _ZN7rocprim17ROCPRIM_400000_NS6detail17trampoline_kernelINS0_14default_configENS1_27scan_by_key_config_selectorIxxEEZZNS1_16scan_by_key_implILNS1_25lookback_scan_determinismE0ELb0ES3_N6thrust23THRUST_200600_302600_NS6detail15normal_iteratorINS9_10device_ptrIxEEEESE_SE_xNS9_10multipliesIxEENS9_8equal_toIxEExEE10hipError_tPvRmT2_T3_T4_T5_mT6_T7_P12ihipStream_tbENKUlT_T0_E_clISt17integral_constantIbLb1EESY_IbLb0EEEEDaSU_SV_EUlSU_E_NS1_11comp_targetILNS1_3genE8ELNS1_11target_archE1030ELNS1_3gpuE2ELNS1_3repE0EEENS1_30default_config_static_selectorELNS0_4arch9wavefront6targetE0EEEvT1_.num_agpr, 0
	.set _ZN7rocprim17ROCPRIM_400000_NS6detail17trampoline_kernelINS0_14default_configENS1_27scan_by_key_config_selectorIxxEEZZNS1_16scan_by_key_implILNS1_25lookback_scan_determinismE0ELb0ES3_N6thrust23THRUST_200600_302600_NS6detail15normal_iteratorINS9_10device_ptrIxEEEESE_SE_xNS9_10multipliesIxEENS9_8equal_toIxEExEE10hipError_tPvRmT2_T3_T4_T5_mT6_T7_P12ihipStream_tbENKUlT_T0_E_clISt17integral_constantIbLb1EESY_IbLb0EEEEDaSU_SV_EUlSU_E_NS1_11comp_targetILNS1_3genE8ELNS1_11target_archE1030ELNS1_3gpuE2ELNS1_3repE0EEENS1_30default_config_static_selectorELNS0_4arch9wavefront6targetE0EEEvT1_.numbered_sgpr, 0
	.set _ZN7rocprim17ROCPRIM_400000_NS6detail17trampoline_kernelINS0_14default_configENS1_27scan_by_key_config_selectorIxxEEZZNS1_16scan_by_key_implILNS1_25lookback_scan_determinismE0ELb0ES3_N6thrust23THRUST_200600_302600_NS6detail15normal_iteratorINS9_10device_ptrIxEEEESE_SE_xNS9_10multipliesIxEENS9_8equal_toIxEExEE10hipError_tPvRmT2_T3_T4_T5_mT6_T7_P12ihipStream_tbENKUlT_T0_E_clISt17integral_constantIbLb1EESY_IbLb0EEEEDaSU_SV_EUlSU_E_NS1_11comp_targetILNS1_3genE8ELNS1_11target_archE1030ELNS1_3gpuE2ELNS1_3repE0EEENS1_30default_config_static_selectorELNS0_4arch9wavefront6targetE0EEEvT1_.num_named_barrier, 0
	.set _ZN7rocprim17ROCPRIM_400000_NS6detail17trampoline_kernelINS0_14default_configENS1_27scan_by_key_config_selectorIxxEEZZNS1_16scan_by_key_implILNS1_25lookback_scan_determinismE0ELb0ES3_N6thrust23THRUST_200600_302600_NS6detail15normal_iteratorINS9_10device_ptrIxEEEESE_SE_xNS9_10multipliesIxEENS9_8equal_toIxEExEE10hipError_tPvRmT2_T3_T4_T5_mT6_T7_P12ihipStream_tbENKUlT_T0_E_clISt17integral_constantIbLb1EESY_IbLb0EEEEDaSU_SV_EUlSU_E_NS1_11comp_targetILNS1_3genE8ELNS1_11target_archE1030ELNS1_3gpuE2ELNS1_3repE0EEENS1_30default_config_static_selectorELNS0_4arch9wavefront6targetE0EEEvT1_.private_seg_size, 0
	.set _ZN7rocprim17ROCPRIM_400000_NS6detail17trampoline_kernelINS0_14default_configENS1_27scan_by_key_config_selectorIxxEEZZNS1_16scan_by_key_implILNS1_25lookback_scan_determinismE0ELb0ES3_N6thrust23THRUST_200600_302600_NS6detail15normal_iteratorINS9_10device_ptrIxEEEESE_SE_xNS9_10multipliesIxEENS9_8equal_toIxEExEE10hipError_tPvRmT2_T3_T4_T5_mT6_T7_P12ihipStream_tbENKUlT_T0_E_clISt17integral_constantIbLb1EESY_IbLb0EEEEDaSU_SV_EUlSU_E_NS1_11comp_targetILNS1_3genE8ELNS1_11target_archE1030ELNS1_3gpuE2ELNS1_3repE0EEENS1_30default_config_static_selectorELNS0_4arch9wavefront6targetE0EEEvT1_.uses_vcc, 0
	.set _ZN7rocprim17ROCPRIM_400000_NS6detail17trampoline_kernelINS0_14default_configENS1_27scan_by_key_config_selectorIxxEEZZNS1_16scan_by_key_implILNS1_25lookback_scan_determinismE0ELb0ES3_N6thrust23THRUST_200600_302600_NS6detail15normal_iteratorINS9_10device_ptrIxEEEESE_SE_xNS9_10multipliesIxEENS9_8equal_toIxEExEE10hipError_tPvRmT2_T3_T4_T5_mT6_T7_P12ihipStream_tbENKUlT_T0_E_clISt17integral_constantIbLb1EESY_IbLb0EEEEDaSU_SV_EUlSU_E_NS1_11comp_targetILNS1_3genE8ELNS1_11target_archE1030ELNS1_3gpuE2ELNS1_3repE0EEENS1_30default_config_static_selectorELNS0_4arch9wavefront6targetE0EEEvT1_.uses_flat_scratch, 0
	.set _ZN7rocprim17ROCPRIM_400000_NS6detail17trampoline_kernelINS0_14default_configENS1_27scan_by_key_config_selectorIxxEEZZNS1_16scan_by_key_implILNS1_25lookback_scan_determinismE0ELb0ES3_N6thrust23THRUST_200600_302600_NS6detail15normal_iteratorINS9_10device_ptrIxEEEESE_SE_xNS9_10multipliesIxEENS9_8equal_toIxEExEE10hipError_tPvRmT2_T3_T4_T5_mT6_T7_P12ihipStream_tbENKUlT_T0_E_clISt17integral_constantIbLb1EESY_IbLb0EEEEDaSU_SV_EUlSU_E_NS1_11comp_targetILNS1_3genE8ELNS1_11target_archE1030ELNS1_3gpuE2ELNS1_3repE0EEENS1_30default_config_static_selectorELNS0_4arch9wavefront6targetE0EEEvT1_.has_dyn_sized_stack, 0
	.set _ZN7rocprim17ROCPRIM_400000_NS6detail17trampoline_kernelINS0_14default_configENS1_27scan_by_key_config_selectorIxxEEZZNS1_16scan_by_key_implILNS1_25lookback_scan_determinismE0ELb0ES3_N6thrust23THRUST_200600_302600_NS6detail15normal_iteratorINS9_10device_ptrIxEEEESE_SE_xNS9_10multipliesIxEENS9_8equal_toIxEExEE10hipError_tPvRmT2_T3_T4_T5_mT6_T7_P12ihipStream_tbENKUlT_T0_E_clISt17integral_constantIbLb1EESY_IbLb0EEEEDaSU_SV_EUlSU_E_NS1_11comp_targetILNS1_3genE8ELNS1_11target_archE1030ELNS1_3gpuE2ELNS1_3repE0EEENS1_30default_config_static_selectorELNS0_4arch9wavefront6targetE0EEEvT1_.has_recursion, 0
	.set _ZN7rocprim17ROCPRIM_400000_NS6detail17trampoline_kernelINS0_14default_configENS1_27scan_by_key_config_selectorIxxEEZZNS1_16scan_by_key_implILNS1_25lookback_scan_determinismE0ELb0ES3_N6thrust23THRUST_200600_302600_NS6detail15normal_iteratorINS9_10device_ptrIxEEEESE_SE_xNS9_10multipliesIxEENS9_8equal_toIxEExEE10hipError_tPvRmT2_T3_T4_T5_mT6_T7_P12ihipStream_tbENKUlT_T0_E_clISt17integral_constantIbLb1EESY_IbLb0EEEEDaSU_SV_EUlSU_E_NS1_11comp_targetILNS1_3genE8ELNS1_11target_archE1030ELNS1_3gpuE2ELNS1_3repE0EEENS1_30default_config_static_selectorELNS0_4arch9wavefront6targetE0EEEvT1_.has_indirect_call, 0
	.section	.AMDGPU.csdata,"",@progbits
; Kernel info:
; codeLenInByte = 4
; TotalNumSgprs: 0
; NumVgprs: 0
; ScratchSize: 0
; MemoryBound: 0
; FloatMode: 240
; IeeeMode: 1
; LDSByteSize: 0 bytes/workgroup (compile time only)
; SGPRBlocks: 0
; VGPRBlocks: 0
; NumSGPRsForWavesPerEU: 1
; NumVGPRsForWavesPerEU: 1
; Occupancy: 16
; WaveLimiterHint : 0
; COMPUTE_PGM_RSRC2:SCRATCH_EN: 0
; COMPUTE_PGM_RSRC2:USER_SGPR: 6
; COMPUTE_PGM_RSRC2:TRAP_HANDLER: 0
; COMPUTE_PGM_RSRC2:TGID_X_EN: 1
; COMPUTE_PGM_RSRC2:TGID_Y_EN: 0
; COMPUTE_PGM_RSRC2:TGID_Z_EN: 0
; COMPUTE_PGM_RSRC2:TIDIG_COMP_CNT: 0
	.section	.text._ZN7rocprim17ROCPRIM_400000_NS6detail17trampoline_kernelINS0_14default_configENS1_27scan_by_key_config_selectorIxxEEZZNS1_16scan_by_key_implILNS1_25lookback_scan_determinismE0ELb0ES3_N6thrust23THRUST_200600_302600_NS6detail15normal_iteratorINS9_10device_ptrIxEEEESE_SE_xNS9_10multipliesIxEENS9_8equal_toIxEExEE10hipError_tPvRmT2_T3_T4_T5_mT6_T7_P12ihipStream_tbENKUlT_T0_E_clISt17integral_constantIbLb0EESY_IbLb1EEEEDaSU_SV_EUlSU_E_NS1_11comp_targetILNS1_3genE0ELNS1_11target_archE4294967295ELNS1_3gpuE0ELNS1_3repE0EEENS1_30default_config_static_selectorELNS0_4arch9wavefront6targetE0EEEvT1_,"axG",@progbits,_ZN7rocprim17ROCPRIM_400000_NS6detail17trampoline_kernelINS0_14default_configENS1_27scan_by_key_config_selectorIxxEEZZNS1_16scan_by_key_implILNS1_25lookback_scan_determinismE0ELb0ES3_N6thrust23THRUST_200600_302600_NS6detail15normal_iteratorINS9_10device_ptrIxEEEESE_SE_xNS9_10multipliesIxEENS9_8equal_toIxEExEE10hipError_tPvRmT2_T3_T4_T5_mT6_T7_P12ihipStream_tbENKUlT_T0_E_clISt17integral_constantIbLb0EESY_IbLb1EEEEDaSU_SV_EUlSU_E_NS1_11comp_targetILNS1_3genE0ELNS1_11target_archE4294967295ELNS1_3gpuE0ELNS1_3repE0EEENS1_30default_config_static_selectorELNS0_4arch9wavefront6targetE0EEEvT1_,comdat
	.protected	_ZN7rocprim17ROCPRIM_400000_NS6detail17trampoline_kernelINS0_14default_configENS1_27scan_by_key_config_selectorIxxEEZZNS1_16scan_by_key_implILNS1_25lookback_scan_determinismE0ELb0ES3_N6thrust23THRUST_200600_302600_NS6detail15normal_iteratorINS9_10device_ptrIxEEEESE_SE_xNS9_10multipliesIxEENS9_8equal_toIxEExEE10hipError_tPvRmT2_T3_T4_T5_mT6_T7_P12ihipStream_tbENKUlT_T0_E_clISt17integral_constantIbLb0EESY_IbLb1EEEEDaSU_SV_EUlSU_E_NS1_11comp_targetILNS1_3genE0ELNS1_11target_archE4294967295ELNS1_3gpuE0ELNS1_3repE0EEENS1_30default_config_static_selectorELNS0_4arch9wavefront6targetE0EEEvT1_ ; -- Begin function _ZN7rocprim17ROCPRIM_400000_NS6detail17trampoline_kernelINS0_14default_configENS1_27scan_by_key_config_selectorIxxEEZZNS1_16scan_by_key_implILNS1_25lookback_scan_determinismE0ELb0ES3_N6thrust23THRUST_200600_302600_NS6detail15normal_iteratorINS9_10device_ptrIxEEEESE_SE_xNS9_10multipliesIxEENS9_8equal_toIxEExEE10hipError_tPvRmT2_T3_T4_T5_mT6_T7_P12ihipStream_tbENKUlT_T0_E_clISt17integral_constantIbLb0EESY_IbLb1EEEEDaSU_SV_EUlSU_E_NS1_11comp_targetILNS1_3genE0ELNS1_11target_archE4294967295ELNS1_3gpuE0ELNS1_3repE0EEENS1_30default_config_static_selectorELNS0_4arch9wavefront6targetE0EEEvT1_
	.globl	_ZN7rocprim17ROCPRIM_400000_NS6detail17trampoline_kernelINS0_14default_configENS1_27scan_by_key_config_selectorIxxEEZZNS1_16scan_by_key_implILNS1_25lookback_scan_determinismE0ELb0ES3_N6thrust23THRUST_200600_302600_NS6detail15normal_iteratorINS9_10device_ptrIxEEEESE_SE_xNS9_10multipliesIxEENS9_8equal_toIxEExEE10hipError_tPvRmT2_T3_T4_T5_mT6_T7_P12ihipStream_tbENKUlT_T0_E_clISt17integral_constantIbLb0EESY_IbLb1EEEEDaSU_SV_EUlSU_E_NS1_11comp_targetILNS1_3genE0ELNS1_11target_archE4294967295ELNS1_3gpuE0ELNS1_3repE0EEENS1_30default_config_static_selectorELNS0_4arch9wavefront6targetE0EEEvT1_
	.p2align	8
	.type	_ZN7rocprim17ROCPRIM_400000_NS6detail17trampoline_kernelINS0_14default_configENS1_27scan_by_key_config_selectorIxxEEZZNS1_16scan_by_key_implILNS1_25lookback_scan_determinismE0ELb0ES3_N6thrust23THRUST_200600_302600_NS6detail15normal_iteratorINS9_10device_ptrIxEEEESE_SE_xNS9_10multipliesIxEENS9_8equal_toIxEExEE10hipError_tPvRmT2_T3_T4_T5_mT6_T7_P12ihipStream_tbENKUlT_T0_E_clISt17integral_constantIbLb0EESY_IbLb1EEEEDaSU_SV_EUlSU_E_NS1_11comp_targetILNS1_3genE0ELNS1_11target_archE4294967295ELNS1_3gpuE0ELNS1_3repE0EEENS1_30default_config_static_selectorELNS0_4arch9wavefront6targetE0EEEvT1_,@function
_ZN7rocprim17ROCPRIM_400000_NS6detail17trampoline_kernelINS0_14default_configENS1_27scan_by_key_config_selectorIxxEEZZNS1_16scan_by_key_implILNS1_25lookback_scan_determinismE0ELb0ES3_N6thrust23THRUST_200600_302600_NS6detail15normal_iteratorINS9_10device_ptrIxEEEESE_SE_xNS9_10multipliesIxEENS9_8equal_toIxEExEE10hipError_tPvRmT2_T3_T4_T5_mT6_T7_P12ihipStream_tbENKUlT_T0_E_clISt17integral_constantIbLb0EESY_IbLb1EEEEDaSU_SV_EUlSU_E_NS1_11comp_targetILNS1_3genE0ELNS1_11target_archE4294967295ELNS1_3gpuE0ELNS1_3repE0EEENS1_30default_config_static_selectorELNS0_4arch9wavefront6targetE0EEEvT1_: ; @_ZN7rocprim17ROCPRIM_400000_NS6detail17trampoline_kernelINS0_14default_configENS1_27scan_by_key_config_selectorIxxEEZZNS1_16scan_by_key_implILNS1_25lookback_scan_determinismE0ELb0ES3_N6thrust23THRUST_200600_302600_NS6detail15normal_iteratorINS9_10device_ptrIxEEEESE_SE_xNS9_10multipliesIxEENS9_8equal_toIxEExEE10hipError_tPvRmT2_T3_T4_T5_mT6_T7_P12ihipStream_tbENKUlT_T0_E_clISt17integral_constantIbLb0EESY_IbLb1EEEEDaSU_SV_EUlSU_E_NS1_11comp_targetILNS1_3genE0ELNS1_11target_archE4294967295ELNS1_3gpuE0ELNS1_3repE0EEENS1_30default_config_static_selectorELNS0_4arch9wavefront6targetE0EEEvT1_
; %bb.0:
	.section	.rodata,"a",@progbits
	.p2align	6, 0x0
	.amdhsa_kernel _ZN7rocprim17ROCPRIM_400000_NS6detail17trampoline_kernelINS0_14default_configENS1_27scan_by_key_config_selectorIxxEEZZNS1_16scan_by_key_implILNS1_25lookback_scan_determinismE0ELb0ES3_N6thrust23THRUST_200600_302600_NS6detail15normal_iteratorINS9_10device_ptrIxEEEESE_SE_xNS9_10multipliesIxEENS9_8equal_toIxEExEE10hipError_tPvRmT2_T3_T4_T5_mT6_T7_P12ihipStream_tbENKUlT_T0_E_clISt17integral_constantIbLb0EESY_IbLb1EEEEDaSU_SV_EUlSU_E_NS1_11comp_targetILNS1_3genE0ELNS1_11target_archE4294967295ELNS1_3gpuE0ELNS1_3repE0EEENS1_30default_config_static_selectorELNS0_4arch9wavefront6targetE0EEEvT1_
		.amdhsa_group_segment_fixed_size 0
		.amdhsa_private_segment_fixed_size 0
		.amdhsa_kernarg_size 136
		.amdhsa_user_sgpr_count 6
		.amdhsa_user_sgpr_private_segment_buffer 1
		.amdhsa_user_sgpr_dispatch_ptr 0
		.amdhsa_user_sgpr_queue_ptr 0
		.amdhsa_user_sgpr_kernarg_segment_ptr 1
		.amdhsa_user_sgpr_dispatch_id 0
		.amdhsa_user_sgpr_flat_scratch_init 0
		.amdhsa_user_sgpr_private_segment_size 0
		.amdhsa_wavefront_size32 1
		.amdhsa_uses_dynamic_stack 0
		.amdhsa_system_sgpr_private_segment_wavefront_offset 0
		.amdhsa_system_sgpr_workgroup_id_x 1
		.amdhsa_system_sgpr_workgroup_id_y 0
		.amdhsa_system_sgpr_workgroup_id_z 0
		.amdhsa_system_sgpr_workgroup_info 0
		.amdhsa_system_vgpr_workitem_id 0
		.amdhsa_next_free_vgpr 1
		.amdhsa_next_free_sgpr 1
		.amdhsa_reserve_vcc 0
		.amdhsa_reserve_flat_scratch 0
		.amdhsa_float_round_mode_32 0
		.amdhsa_float_round_mode_16_64 0
		.amdhsa_float_denorm_mode_32 3
		.amdhsa_float_denorm_mode_16_64 3
		.amdhsa_dx10_clamp 1
		.amdhsa_ieee_mode 1
		.amdhsa_fp16_overflow 0
		.amdhsa_workgroup_processor_mode 1
		.amdhsa_memory_ordered 1
		.amdhsa_forward_progress 1
		.amdhsa_shared_vgpr_count 0
		.amdhsa_exception_fp_ieee_invalid_op 0
		.amdhsa_exception_fp_denorm_src 0
		.amdhsa_exception_fp_ieee_div_zero 0
		.amdhsa_exception_fp_ieee_overflow 0
		.amdhsa_exception_fp_ieee_underflow 0
		.amdhsa_exception_fp_ieee_inexact 0
		.amdhsa_exception_int_div_zero 0
	.end_amdhsa_kernel
	.section	.text._ZN7rocprim17ROCPRIM_400000_NS6detail17trampoline_kernelINS0_14default_configENS1_27scan_by_key_config_selectorIxxEEZZNS1_16scan_by_key_implILNS1_25lookback_scan_determinismE0ELb0ES3_N6thrust23THRUST_200600_302600_NS6detail15normal_iteratorINS9_10device_ptrIxEEEESE_SE_xNS9_10multipliesIxEENS9_8equal_toIxEExEE10hipError_tPvRmT2_T3_T4_T5_mT6_T7_P12ihipStream_tbENKUlT_T0_E_clISt17integral_constantIbLb0EESY_IbLb1EEEEDaSU_SV_EUlSU_E_NS1_11comp_targetILNS1_3genE0ELNS1_11target_archE4294967295ELNS1_3gpuE0ELNS1_3repE0EEENS1_30default_config_static_selectorELNS0_4arch9wavefront6targetE0EEEvT1_,"axG",@progbits,_ZN7rocprim17ROCPRIM_400000_NS6detail17trampoline_kernelINS0_14default_configENS1_27scan_by_key_config_selectorIxxEEZZNS1_16scan_by_key_implILNS1_25lookback_scan_determinismE0ELb0ES3_N6thrust23THRUST_200600_302600_NS6detail15normal_iteratorINS9_10device_ptrIxEEEESE_SE_xNS9_10multipliesIxEENS9_8equal_toIxEExEE10hipError_tPvRmT2_T3_T4_T5_mT6_T7_P12ihipStream_tbENKUlT_T0_E_clISt17integral_constantIbLb0EESY_IbLb1EEEEDaSU_SV_EUlSU_E_NS1_11comp_targetILNS1_3genE0ELNS1_11target_archE4294967295ELNS1_3gpuE0ELNS1_3repE0EEENS1_30default_config_static_selectorELNS0_4arch9wavefront6targetE0EEEvT1_,comdat
.Lfunc_end74:
	.size	_ZN7rocprim17ROCPRIM_400000_NS6detail17trampoline_kernelINS0_14default_configENS1_27scan_by_key_config_selectorIxxEEZZNS1_16scan_by_key_implILNS1_25lookback_scan_determinismE0ELb0ES3_N6thrust23THRUST_200600_302600_NS6detail15normal_iteratorINS9_10device_ptrIxEEEESE_SE_xNS9_10multipliesIxEENS9_8equal_toIxEExEE10hipError_tPvRmT2_T3_T4_T5_mT6_T7_P12ihipStream_tbENKUlT_T0_E_clISt17integral_constantIbLb0EESY_IbLb1EEEEDaSU_SV_EUlSU_E_NS1_11comp_targetILNS1_3genE0ELNS1_11target_archE4294967295ELNS1_3gpuE0ELNS1_3repE0EEENS1_30default_config_static_selectorELNS0_4arch9wavefront6targetE0EEEvT1_, .Lfunc_end74-_ZN7rocprim17ROCPRIM_400000_NS6detail17trampoline_kernelINS0_14default_configENS1_27scan_by_key_config_selectorIxxEEZZNS1_16scan_by_key_implILNS1_25lookback_scan_determinismE0ELb0ES3_N6thrust23THRUST_200600_302600_NS6detail15normal_iteratorINS9_10device_ptrIxEEEESE_SE_xNS9_10multipliesIxEENS9_8equal_toIxEExEE10hipError_tPvRmT2_T3_T4_T5_mT6_T7_P12ihipStream_tbENKUlT_T0_E_clISt17integral_constantIbLb0EESY_IbLb1EEEEDaSU_SV_EUlSU_E_NS1_11comp_targetILNS1_3genE0ELNS1_11target_archE4294967295ELNS1_3gpuE0ELNS1_3repE0EEENS1_30default_config_static_selectorELNS0_4arch9wavefront6targetE0EEEvT1_
                                        ; -- End function
	.set _ZN7rocprim17ROCPRIM_400000_NS6detail17trampoline_kernelINS0_14default_configENS1_27scan_by_key_config_selectorIxxEEZZNS1_16scan_by_key_implILNS1_25lookback_scan_determinismE0ELb0ES3_N6thrust23THRUST_200600_302600_NS6detail15normal_iteratorINS9_10device_ptrIxEEEESE_SE_xNS9_10multipliesIxEENS9_8equal_toIxEExEE10hipError_tPvRmT2_T3_T4_T5_mT6_T7_P12ihipStream_tbENKUlT_T0_E_clISt17integral_constantIbLb0EESY_IbLb1EEEEDaSU_SV_EUlSU_E_NS1_11comp_targetILNS1_3genE0ELNS1_11target_archE4294967295ELNS1_3gpuE0ELNS1_3repE0EEENS1_30default_config_static_selectorELNS0_4arch9wavefront6targetE0EEEvT1_.num_vgpr, 0
	.set _ZN7rocprim17ROCPRIM_400000_NS6detail17trampoline_kernelINS0_14default_configENS1_27scan_by_key_config_selectorIxxEEZZNS1_16scan_by_key_implILNS1_25lookback_scan_determinismE0ELb0ES3_N6thrust23THRUST_200600_302600_NS6detail15normal_iteratorINS9_10device_ptrIxEEEESE_SE_xNS9_10multipliesIxEENS9_8equal_toIxEExEE10hipError_tPvRmT2_T3_T4_T5_mT6_T7_P12ihipStream_tbENKUlT_T0_E_clISt17integral_constantIbLb0EESY_IbLb1EEEEDaSU_SV_EUlSU_E_NS1_11comp_targetILNS1_3genE0ELNS1_11target_archE4294967295ELNS1_3gpuE0ELNS1_3repE0EEENS1_30default_config_static_selectorELNS0_4arch9wavefront6targetE0EEEvT1_.num_agpr, 0
	.set _ZN7rocprim17ROCPRIM_400000_NS6detail17trampoline_kernelINS0_14default_configENS1_27scan_by_key_config_selectorIxxEEZZNS1_16scan_by_key_implILNS1_25lookback_scan_determinismE0ELb0ES3_N6thrust23THRUST_200600_302600_NS6detail15normal_iteratorINS9_10device_ptrIxEEEESE_SE_xNS9_10multipliesIxEENS9_8equal_toIxEExEE10hipError_tPvRmT2_T3_T4_T5_mT6_T7_P12ihipStream_tbENKUlT_T0_E_clISt17integral_constantIbLb0EESY_IbLb1EEEEDaSU_SV_EUlSU_E_NS1_11comp_targetILNS1_3genE0ELNS1_11target_archE4294967295ELNS1_3gpuE0ELNS1_3repE0EEENS1_30default_config_static_selectorELNS0_4arch9wavefront6targetE0EEEvT1_.numbered_sgpr, 0
	.set _ZN7rocprim17ROCPRIM_400000_NS6detail17trampoline_kernelINS0_14default_configENS1_27scan_by_key_config_selectorIxxEEZZNS1_16scan_by_key_implILNS1_25lookback_scan_determinismE0ELb0ES3_N6thrust23THRUST_200600_302600_NS6detail15normal_iteratorINS9_10device_ptrIxEEEESE_SE_xNS9_10multipliesIxEENS9_8equal_toIxEExEE10hipError_tPvRmT2_T3_T4_T5_mT6_T7_P12ihipStream_tbENKUlT_T0_E_clISt17integral_constantIbLb0EESY_IbLb1EEEEDaSU_SV_EUlSU_E_NS1_11comp_targetILNS1_3genE0ELNS1_11target_archE4294967295ELNS1_3gpuE0ELNS1_3repE0EEENS1_30default_config_static_selectorELNS0_4arch9wavefront6targetE0EEEvT1_.num_named_barrier, 0
	.set _ZN7rocprim17ROCPRIM_400000_NS6detail17trampoline_kernelINS0_14default_configENS1_27scan_by_key_config_selectorIxxEEZZNS1_16scan_by_key_implILNS1_25lookback_scan_determinismE0ELb0ES3_N6thrust23THRUST_200600_302600_NS6detail15normal_iteratorINS9_10device_ptrIxEEEESE_SE_xNS9_10multipliesIxEENS9_8equal_toIxEExEE10hipError_tPvRmT2_T3_T4_T5_mT6_T7_P12ihipStream_tbENKUlT_T0_E_clISt17integral_constantIbLb0EESY_IbLb1EEEEDaSU_SV_EUlSU_E_NS1_11comp_targetILNS1_3genE0ELNS1_11target_archE4294967295ELNS1_3gpuE0ELNS1_3repE0EEENS1_30default_config_static_selectorELNS0_4arch9wavefront6targetE0EEEvT1_.private_seg_size, 0
	.set _ZN7rocprim17ROCPRIM_400000_NS6detail17trampoline_kernelINS0_14default_configENS1_27scan_by_key_config_selectorIxxEEZZNS1_16scan_by_key_implILNS1_25lookback_scan_determinismE0ELb0ES3_N6thrust23THRUST_200600_302600_NS6detail15normal_iteratorINS9_10device_ptrIxEEEESE_SE_xNS9_10multipliesIxEENS9_8equal_toIxEExEE10hipError_tPvRmT2_T3_T4_T5_mT6_T7_P12ihipStream_tbENKUlT_T0_E_clISt17integral_constantIbLb0EESY_IbLb1EEEEDaSU_SV_EUlSU_E_NS1_11comp_targetILNS1_3genE0ELNS1_11target_archE4294967295ELNS1_3gpuE0ELNS1_3repE0EEENS1_30default_config_static_selectorELNS0_4arch9wavefront6targetE0EEEvT1_.uses_vcc, 0
	.set _ZN7rocprim17ROCPRIM_400000_NS6detail17trampoline_kernelINS0_14default_configENS1_27scan_by_key_config_selectorIxxEEZZNS1_16scan_by_key_implILNS1_25lookback_scan_determinismE0ELb0ES3_N6thrust23THRUST_200600_302600_NS6detail15normal_iteratorINS9_10device_ptrIxEEEESE_SE_xNS9_10multipliesIxEENS9_8equal_toIxEExEE10hipError_tPvRmT2_T3_T4_T5_mT6_T7_P12ihipStream_tbENKUlT_T0_E_clISt17integral_constantIbLb0EESY_IbLb1EEEEDaSU_SV_EUlSU_E_NS1_11comp_targetILNS1_3genE0ELNS1_11target_archE4294967295ELNS1_3gpuE0ELNS1_3repE0EEENS1_30default_config_static_selectorELNS0_4arch9wavefront6targetE0EEEvT1_.uses_flat_scratch, 0
	.set _ZN7rocprim17ROCPRIM_400000_NS6detail17trampoline_kernelINS0_14default_configENS1_27scan_by_key_config_selectorIxxEEZZNS1_16scan_by_key_implILNS1_25lookback_scan_determinismE0ELb0ES3_N6thrust23THRUST_200600_302600_NS6detail15normal_iteratorINS9_10device_ptrIxEEEESE_SE_xNS9_10multipliesIxEENS9_8equal_toIxEExEE10hipError_tPvRmT2_T3_T4_T5_mT6_T7_P12ihipStream_tbENKUlT_T0_E_clISt17integral_constantIbLb0EESY_IbLb1EEEEDaSU_SV_EUlSU_E_NS1_11comp_targetILNS1_3genE0ELNS1_11target_archE4294967295ELNS1_3gpuE0ELNS1_3repE0EEENS1_30default_config_static_selectorELNS0_4arch9wavefront6targetE0EEEvT1_.has_dyn_sized_stack, 0
	.set _ZN7rocprim17ROCPRIM_400000_NS6detail17trampoline_kernelINS0_14default_configENS1_27scan_by_key_config_selectorIxxEEZZNS1_16scan_by_key_implILNS1_25lookback_scan_determinismE0ELb0ES3_N6thrust23THRUST_200600_302600_NS6detail15normal_iteratorINS9_10device_ptrIxEEEESE_SE_xNS9_10multipliesIxEENS9_8equal_toIxEExEE10hipError_tPvRmT2_T3_T4_T5_mT6_T7_P12ihipStream_tbENKUlT_T0_E_clISt17integral_constantIbLb0EESY_IbLb1EEEEDaSU_SV_EUlSU_E_NS1_11comp_targetILNS1_3genE0ELNS1_11target_archE4294967295ELNS1_3gpuE0ELNS1_3repE0EEENS1_30default_config_static_selectorELNS0_4arch9wavefront6targetE0EEEvT1_.has_recursion, 0
	.set _ZN7rocprim17ROCPRIM_400000_NS6detail17trampoline_kernelINS0_14default_configENS1_27scan_by_key_config_selectorIxxEEZZNS1_16scan_by_key_implILNS1_25lookback_scan_determinismE0ELb0ES3_N6thrust23THRUST_200600_302600_NS6detail15normal_iteratorINS9_10device_ptrIxEEEESE_SE_xNS9_10multipliesIxEENS9_8equal_toIxEExEE10hipError_tPvRmT2_T3_T4_T5_mT6_T7_P12ihipStream_tbENKUlT_T0_E_clISt17integral_constantIbLb0EESY_IbLb1EEEEDaSU_SV_EUlSU_E_NS1_11comp_targetILNS1_3genE0ELNS1_11target_archE4294967295ELNS1_3gpuE0ELNS1_3repE0EEENS1_30default_config_static_selectorELNS0_4arch9wavefront6targetE0EEEvT1_.has_indirect_call, 0
	.section	.AMDGPU.csdata,"",@progbits
; Kernel info:
; codeLenInByte = 0
; TotalNumSgprs: 0
; NumVgprs: 0
; ScratchSize: 0
; MemoryBound: 0
; FloatMode: 240
; IeeeMode: 1
; LDSByteSize: 0 bytes/workgroup (compile time only)
; SGPRBlocks: 0
; VGPRBlocks: 0
; NumSGPRsForWavesPerEU: 1
; NumVGPRsForWavesPerEU: 1
; Occupancy: 16
; WaveLimiterHint : 0
; COMPUTE_PGM_RSRC2:SCRATCH_EN: 0
; COMPUTE_PGM_RSRC2:USER_SGPR: 6
; COMPUTE_PGM_RSRC2:TRAP_HANDLER: 0
; COMPUTE_PGM_RSRC2:TGID_X_EN: 1
; COMPUTE_PGM_RSRC2:TGID_Y_EN: 0
; COMPUTE_PGM_RSRC2:TGID_Z_EN: 0
; COMPUTE_PGM_RSRC2:TIDIG_COMP_CNT: 0
	.section	.text._ZN7rocprim17ROCPRIM_400000_NS6detail17trampoline_kernelINS0_14default_configENS1_27scan_by_key_config_selectorIxxEEZZNS1_16scan_by_key_implILNS1_25lookback_scan_determinismE0ELb0ES3_N6thrust23THRUST_200600_302600_NS6detail15normal_iteratorINS9_10device_ptrIxEEEESE_SE_xNS9_10multipliesIxEENS9_8equal_toIxEExEE10hipError_tPvRmT2_T3_T4_T5_mT6_T7_P12ihipStream_tbENKUlT_T0_E_clISt17integral_constantIbLb0EESY_IbLb1EEEEDaSU_SV_EUlSU_E_NS1_11comp_targetILNS1_3genE10ELNS1_11target_archE1201ELNS1_3gpuE5ELNS1_3repE0EEENS1_30default_config_static_selectorELNS0_4arch9wavefront6targetE0EEEvT1_,"axG",@progbits,_ZN7rocprim17ROCPRIM_400000_NS6detail17trampoline_kernelINS0_14default_configENS1_27scan_by_key_config_selectorIxxEEZZNS1_16scan_by_key_implILNS1_25lookback_scan_determinismE0ELb0ES3_N6thrust23THRUST_200600_302600_NS6detail15normal_iteratorINS9_10device_ptrIxEEEESE_SE_xNS9_10multipliesIxEENS9_8equal_toIxEExEE10hipError_tPvRmT2_T3_T4_T5_mT6_T7_P12ihipStream_tbENKUlT_T0_E_clISt17integral_constantIbLb0EESY_IbLb1EEEEDaSU_SV_EUlSU_E_NS1_11comp_targetILNS1_3genE10ELNS1_11target_archE1201ELNS1_3gpuE5ELNS1_3repE0EEENS1_30default_config_static_selectorELNS0_4arch9wavefront6targetE0EEEvT1_,comdat
	.protected	_ZN7rocprim17ROCPRIM_400000_NS6detail17trampoline_kernelINS0_14default_configENS1_27scan_by_key_config_selectorIxxEEZZNS1_16scan_by_key_implILNS1_25lookback_scan_determinismE0ELb0ES3_N6thrust23THRUST_200600_302600_NS6detail15normal_iteratorINS9_10device_ptrIxEEEESE_SE_xNS9_10multipliesIxEENS9_8equal_toIxEExEE10hipError_tPvRmT2_T3_T4_T5_mT6_T7_P12ihipStream_tbENKUlT_T0_E_clISt17integral_constantIbLb0EESY_IbLb1EEEEDaSU_SV_EUlSU_E_NS1_11comp_targetILNS1_3genE10ELNS1_11target_archE1201ELNS1_3gpuE5ELNS1_3repE0EEENS1_30default_config_static_selectorELNS0_4arch9wavefront6targetE0EEEvT1_ ; -- Begin function _ZN7rocprim17ROCPRIM_400000_NS6detail17trampoline_kernelINS0_14default_configENS1_27scan_by_key_config_selectorIxxEEZZNS1_16scan_by_key_implILNS1_25lookback_scan_determinismE0ELb0ES3_N6thrust23THRUST_200600_302600_NS6detail15normal_iteratorINS9_10device_ptrIxEEEESE_SE_xNS9_10multipliesIxEENS9_8equal_toIxEExEE10hipError_tPvRmT2_T3_T4_T5_mT6_T7_P12ihipStream_tbENKUlT_T0_E_clISt17integral_constantIbLb0EESY_IbLb1EEEEDaSU_SV_EUlSU_E_NS1_11comp_targetILNS1_3genE10ELNS1_11target_archE1201ELNS1_3gpuE5ELNS1_3repE0EEENS1_30default_config_static_selectorELNS0_4arch9wavefront6targetE0EEEvT1_
	.globl	_ZN7rocprim17ROCPRIM_400000_NS6detail17trampoline_kernelINS0_14default_configENS1_27scan_by_key_config_selectorIxxEEZZNS1_16scan_by_key_implILNS1_25lookback_scan_determinismE0ELb0ES3_N6thrust23THRUST_200600_302600_NS6detail15normal_iteratorINS9_10device_ptrIxEEEESE_SE_xNS9_10multipliesIxEENS9_8equal_toIxEExEE10hipError_tPvRmT2_T3_T4_T5_mT6_T7_P12ihipStream_tbENKUlT_T0_E_clISt17integral_constantIbLb0EESY_IbLb1EEEEDaSU_SV_EUlSU_E_NS1_11comp_targetILNS1_3genE10ELNS1_11target_archE1201ELNS1_3gpuE5ELNS1_3repE0EEENS1_30default_config_static_selectorELNS0_4arch9wavefront6targetE0EEEvT1_
	.p2align	8
	.type	_ZN7rocprim17ROCPRIM_400000_NS6detail17trampoline_kernelINS0_14default_configENS1_27scan_by_key_config_selectorIxxEEZZNS1_16scan_by_key_implILNS1_25lookback_scan_determinismE0ELb0ES3_N6thrust23THRUST_200600_302600_NS6detail15normal_iteratorINS9_10device_ptrIxEEEESE_SE_xNS9_10multipliesIxEENS9_8equal_toIxEExEE10hipError_tPvRmT2_T3_T4_T5_mT6_T7_P12ihipStream_tbENKUlT_T0_E_clISt17integral_constantIbLb0EESY_IbLb1EEEEDaSU_SV_EUlSU_E_NS1_11comp_targetILNS1_3genE10ELNS1_11target_archE1201ELNS1_3gpuE5ELNS1_3repE0EEENS1_30default_config_static_selectorELNS0_4arch9wavefront6targetE0EEEvT1_,@function
_ZN7rocprim17ROCPRIM_400000_NS6detail17trampoline_kernelINS0_14default_configENS1_27scan_by_key_config_selectorIxxEEZZNS1_16scan_by_key_implILNS1_25lookback_scan_determinismE0ELb0ES3_N6thrust23THRUST_200600_302600_NS6detail15normal_iteratorINS9_10device_ptrIxEEEESE_SE_xNS9_10multipliesIxEENS9_8equal_toIxEExEE10hipError_tPvRmT2_T3_T4_T5_mT6_T7_P12ihipStream_tbENKUlT_T0_E_clISt17integral_constantIbLb0EESY_IbLb1EEEEDaSU_SV_EUlSU_E_NS1_11comp_targetILNS1_3genE10ELNS1_11target_archE1201ELNS1_3gpuE5ELNS1_3repE0EEENS1_30default_config_static_selectorELNS0_4arch9wavefront6targetE0EEEvT1_: ; @_ZN7rocprim17ROCPRIM_400000_NS6detail17trampoline_kernelINS0_14default_configENS1_27scan_by_key_config_selectorIxxEEZZNS1_16scan_by_key_implILNS1_25lookback_scan_determinismE0ELb0ES3_N6thrust23THRUST_200600_302600_NS6detail15normal_iteratorINS9_10device_ptrIxEEEESE_SE_xNS9_10multipliesIxEENS9_8equal_toIxEExEE10hipError_tPvRmT2_T3_T4_T5_mT6_T7_P12ihipStream_tbENKUlT_T0_E_clISt17integral_constantIbLb0EESY_IbLb1EEEEDaSU_SV_EUlSU_E_NS1_11comp_targetILNS1_3genE10ELNS1_11target_archE1201ELNS1_3gpuE5ELNS1_3repE0EEENS1_30default_config_static_selectorELNS0_4arch9wavefront6targetE0EEEvT1_
; %bb.0:
	.section	.rodata,"a",@progbits
	.p2align	6, 0x0
	.amdhsa_kernel _ZN7rocprim17ROCPRIM_400000_NS6detail17trampoline_kernelINS0_14default_configENS1_27scan_by_key_config_selectorIxxEEZZNS1_16scan_by_key_implILNS1_25lookback_scan_determinismE0ELb0ES3_N6thrust23THRUST_200600_302600_NS6detail15normal_iteratorINS9_10device_ptrIxEEEESE_SE_xNS9_10multipliesIxEENS9_8equal_toIxEExEE10hipError_tPvRmT2_T3_T4_T5_mT6_T7_P12ihipStream_tbENKUlT_T0_E_clISt17integral_constantIbLb0EESY_IbLb1EEEEDaSU_SV_EUlSU_E_NS1_11comp_targetILNS1_3genE10ELNS1_11target_archE1201ELNS1_3gpuE5ELNS1_3repE0EEENS1_30default_config_static_selectorELNS0_4arch9wavefront6targetE0EEEvT1_
		.amdhsa_group_segment_fixed_size 0
		.amdhsa_private_segment_fixed_size 0
		.amdhsa_kernarg_size 136
		.amdhsa_user_sgpr_count 6
		.amdhsa_user_sgpr_private_segment_buffer 1
		.amdhsa_user_sgpr_dispatch_ptr 0
		.amdhsa_user_sgpr_queue_ptr 0
		.amdhsa_user_sgpr_kernarg_segment_ptr 1
		.amdhsa_user_sgpr_dispatch_id 0
		.amdhsa_user_sgpr_flat_scratch_init 0
		.amdhsa_user_sgpr_private_segment_size 0
		.amdhsa_wavefront_size32 1
		.amdhsa_uses_dynamic_stack 0
		.amdhsa_system_sgpr_private_segment_wavefront_offset 0
		.amdhsa_system_sgpr_workgroup_id_x 1
		.amdhsa_system_sgpr_workgroup_id_y 0
		.amdhsa_system_sgpr_workgroup_id_z 0
		.amdhsa_system_sgpr_workgroup_info 0
		.amdhsa_system_vgpr_workitem_id 0
		.amdhsa_next_free_vgpr 1
		.amdhsa_next_free_sgpr 1
		.amdhsa_reserve_vcc 0
		.amdhsa_reserve_flat_scratch 0
		.amdhsa_float_round_mode_32 0
		.amdhsa_float_round_mode_16_64 0
		.amdhsa_float_denorm_mode_32 3
		.amdhsa_float_denorm_mode_16_64 3
		.amdhsa_dx10_clamp 1
		.amdhsa_ieee_mode 1
		.amdhsa_fp16_overflow 0
		.amdhsa_workgroup_processor_mode 1
		.amdhsa_memory_ordered 1
		.amdhsa_forward_progress 1
		.amdhsa_shared_vgpr_count 0
		.amdhsa_exception_fp_ieee_invalid_op 0
		.amdhsa_exception_fp_denorm_src 0
		.amdhsa_exception_fp_ieee_div_zero 0
		.amdhsa_exception_fp_ieee_overflow 0
		.amdhsa_exception_fp_ieee_underflow 0
		.amdhsa_exception_fp_ieee_inexact 0
		.amdhsa_exception_int_div_zero 0
	.end_amdhsa_kernel
	.section	.text._ZN7rocprim17ROCPRIM_400000_NS6detail17trampoline_kernelINS0_14default_configENS1_27scan_by_key_config_selectorIxxEEZZNS1_16scan_by_key_implILNS1_25lookback_scan_determinismE0ELb0ES3_N6thrust23THRUST_200600_302600_NS6detail15normal_iteratorINS9_10device_ptrIxEEEESE_SE_xNS9_10multipliesIxEENS9_8equal_toIxEExEE10hipError_tPvRmT2_T3_T4_T5_mT6_T7_P12ihipStream_tbENKUlT_T0_E_clISt17integral_constantIbLb0EESY_IbLb1EEEEDaSU_SV_EUlSU_E_NS1_11comp_targetILNS1_3genE10ELNS1_11target_archE1201ELNS1_3gpuE5ELNS1_3repE0EEENS1_30default_config_static_selectorELNS0_4arch9wavefront6targetE0EEEvT1_,"axG",@progbits,_ZN7rocprim17ROCPRIM_400000_NS6detail17trampoline_kernelINS0_14default_configENS1_27scan_by_key_config_selectorIxxEEZZNS1_16scan_by_key_implILNS1_25lookback_scan_determinismE0ELb0ES3_N6thrust23THRUST_200600_302600_NS6detail15normal_iteratorINS9_10device_ptrIxEEEESE_SE_xNS9_10multipliesIxEENS9_8equal_toIxEExEE10hipError_tPvRmT2_T3_T4_T5_mT6_T7_P12ihipStream_tbENKUlT_T0_E_clISt17integral_constantIbLb0EESY_IbLb1EEEEDaSU_SV_EUlSU_E_NS1_11comp_targetILNS1_3genE10ELNS1_11target_archE1201ELNS1_3gpuE5ELNS1_3repE0EEENS1_30default_config_static_selectorELNS0_4arch9wavefront6targetE0EEEvT1_,comdat
.Lfunc_end75:
	.size	_ZN7rocprim17ROCPRIM_400000_NS6detail17trampoline_kernelINS0_14default_configENS1_27scan_by_key_config_selectorIxxEEZZNS1_16scan_by_key_implILNS1_25lookback_scan_determinismE0ELb0ES3_N6thrust23THRUST_200600_302600_NS6detail15normal_iteratorINS9_10device_ptrIxEEEESE_SE_xNS9_10multipliesIxEENS9_8equal_toIxEExEE10hipError_tPvRmT2_T3_T4_T5_mT6_T7_P12ihipStream_tbENKUlT_T0_E_clISt17integral_constantIbLb0EESY_IbLb1EEEEDaSU_SV_EUlSU_E_NS1_11comp_targetILNS1_3genE10ELNS1_11target_archE1201ELNS1_3gpuE5ELNS1_3repE0EEENS1_30default_config_static_selectorELNS0_4arch9wavefront6targetE0EEEvT1_, .Lfunc_end75-_ZN7rocprim17ROCPRIM_400000_NS6detail17trampoline_kernelINS0_14default_configENS1_27scan_by_key_config_selectorIxxEEZZNS1_16scan_by_key_implILNS1_25lookback_scan_determinismE0ELb0ES3_N6thrust23THRUST_200600_302600_NS6detail15normal_iteratorINS9_10device_ptrIxEEEESE_SE_xNS9_10multipliesIxEENS9_8equal_toIxEExEE10hipError_tPvRmT2_T3_T4_T5_mT6_T7_P12ihipStream_tbENKUlT_T0_E_clISt17integral_constantIbLb0EESY_IbLb1EEEEDaSU_SV_EUlSU_E_NS1_11comp_targetILNS1_3genE10ELNS1_11target_archE1201ELNS1_3gpuE5ELNS1_3repE0EEENS1_30default_config_static_selectorELNS0_4arch9wavefront6targetE0EEEvT1_
                                        ; -- End function
	.set _ZN7rocprim17ROCPRIM_400000_NS6detail17trampoline_kernelINS0_14default_configENS1_27scan_by_key_config_selectorIxxEEZZNS1_16scan_by_key_implILNS1_25lookback_scan_determinismE0ELb0ES3_N6thrust23THRUST_200600_302600_NS6detail15normal_iteratorINS9_10device_ptrIxEEEESE_SE_xNS9_10multipliesIxEENS9_8equal_toIxEExEE10hipError_tPvRmT2_T3_T4_T5_mT6_T7_P12ihipStream_tbENKUlT_T0_E_clISt17integral_constantIbLb0EESY_IbLb1EEEEDaSU_SV_EUlSU_E_NS1_11comp_targetILNS1_3genE10ELNS1_11target_archE1201ELNS1_3gpuE5ELNS1_3repE0EEENS1_30default_config_static_selectorELNS0_4arch9wavefront6targetE0EEEvT1_.num_vgpr, 0
	.set _ZN7rocprim17ROCPRIM_400000_NS6detail17trampoline_kernelINS0_14default_configENS1_27scan_by_key_config_selectorIxxEEZZNS1_16scan_by_key_implILNS1_25lookback_scan_determinismE0ELb0ES3_N6thrust23THRUST_200600_302600_NS6detail15normal_iteratorINS9_10device_ptrIxEEEESE_SE_xNS9_10multipliesIxEENS9_8equal_toIxEExEE10hipError_tPvRmT2_T3_T4_T5_mT6_T7_P12ihipStream_tbENKUlT_T0_E_clISt17integral_constantIbLb0EESY_IbLb1EEEEDaSU_SV_EUlSU_E_NS1_11comp_targetILNS1_3genE10ELNS1_11target_archE1201ELNS1_3gpuE5ELNS1_3repE0EEENS1_30default_config_static_selectorELNS0_4arch9wavefront6targetE0EEEvT1_.num_agpr, 0
	.set _ZN7rocprim17ROCPRIM_400000_NS6detail17trampoline_kernelINS0_14default_configENS1_27scan_by_key_config_selectorIxxEEZZNS1_16scan_by_key_implILNS1_25lookback_scan_determinismE0ELb0ES3_N6thrust23THRUST_200600_302600_NS6detail15normal_iteratorINS9_10device_ptrIxEEEESE_SE_xNS9_10multipliesIxEENS9_8equal_toIxEExEE10hipError_tPvRmT2_T3_T4_T5_mT6_T7_P12ihipStream_tbENKUlT_T0_E_clISt17integral_constantIbLb0EESY_IbLb1EEEEDaSU_SV_EUlSU_E_NS1_11comp_targetILNS1_3genE10ELNS1_11target_archE1201ELNS1_3gpuE5ELNS1_3repE0EEENS1_30default_config_static_selectorELNS0_4arch9wavefront6targetE0EEEvT1_.numbered_sgpr, 0
	.set _ZN7rocprim17ROCPRIM_400000_NS6detail17trampoline_kernelINS0_14default_configENS1_27scan_by_key_config_selectorIxxEEZZNS1_16scan_by_key_implILNS1_25lookback_scan_determinismE0ELb0ES3_N6thrust23THRUST_200600_302600_NS6detail15normal_iteratorINS9_10device_ptrIxEEEESE_SE_xNS9_10multipliesIxEENS9_8equal_toIxEExEE10hipError_tPvRmT2_T3_T4_T5_mT6_T7_P12ihipStream_tbENKUlT_T0_E_clISt17integral_constantIbLb0EESY_IbLb1EEEEDaSU_SV_EUlSU_E_NS1_11comp_targetILNS1_3genE10ELNS1_11target_archE1201ELNS1_3gpuE5ELNS1_3repE0EEENS1_30default_config_static_selectorELNS0_4arch9wavefront6targetE0EEEvT1_.num_named_barrier, 0
	.set _ZN7rocprim17ROCPRIM_400000_NS6detail17trampoline_kernelINS0_14default_configENS1_27scan_by_key_config_selectorIxxEEZZNS1_16scan_by_key_implILNS1_25lookback_scan_determinismE0ELb0ES3_N6thrust23THRUST_200600_302600_NS6detail15normal_iteratorINS9_10device_ptrIxEEEESE_SE_xNS9_10multipliesIxEENS9_8equal_toIxEExEE10hipError_tPvRmT2_T3_T4_T5_mT6_T7_P12ihipStream_tbENKUlT_T0_E_clISt17integral_constantIbLb0EESY_IbLb1EEEEDaSU_SV_EUlSU_E_NS1_11comp_targetILNS1_3genE10ELNS1_11target_archE1201ELNS1_3gpuE5ELNS1_3repE0EEENS1_30default_config_static_selectorELNS0_4arch9wavefront6targetE0EEEvT1_.private_seg_size, 0
	.set _ZN7rocprim17ROCPRIM_400000_NS6detail17trampoline_kernelINS0_14default_configENS1_27scan_by_key_config_selectorIxxEEZZNS1_16scan_by_key_implILNS1_25lookback_scan_determinismE0ELb0ES3_N6thrust23THRUST_200600_302600_NS6detail15normal_iteratorINS9_10device_ptrIxEEEESE_SE_xNS9_10multipliesIxEENS9_8equal_toIxEExEE10hipError_tPvRmT2_T3_T4_T5_mT6_T7_P12ihipStream_tbENKUlT_T0_E_clISt17integral_constantIbLb0EESY_IbLb1EEEEDaSU_SV_EUlSU_E_NS1_11comp_targetILNS1_3genE10ELNS1_11target_archE1201ELNS1_3gpuE5ELNS1_3repE0EEENS1_30default_config_static_selectorELNS0_4arch9wavefront6targetE0EEEvT1_.uses_vcc, 0
	.set _ZN7rocprim17ROCPRIM_400000_NS6detail17trampoline_kernelINS0_14default_configENS1_27scan_by_key_config_selectorIxxEEZZNS1_16scan_by_key_implILNS1_25lookback_scan_determinismE0ELb0ES3_N6thrust23THRUST_200600_302600_NS6detail15normal_iteratorINS9_10device_ptrIxEEEESE_SE_xNS9_10multipliesIxEENS9_8equal_toIxEExEE10hipError_tPvRmT2_T3_T4_T5_mT6_T7_P12ihipStream_tbENKUlT_T0_E_clISt17integral_constantIbLb0EESY_IbLb1EEEEDaSU_SV_EUlSU_E_NS1_11comp_targetILNS1_3genE10ELNS1_11target_archE1201ELNS1_3gpuE5ELNS1_3repE0EEENS1_30default_config_static_selectorELNS0_4arch9wavefront6targetE0EEEvT1_.uses_flat_scratch, 0
	.set _ZN7rocprim17ROCPRIM_400000_NS6detail17trampoline_kernelINS0_14default_configENS1_27scan_by_key_config_selectorIxxEEZZNS1_16scan_by_key_implILNS1_25lookback_scan_determinismE0ELb0ES3_N6thrust23THRUST_200600_302600_NS6detail15normal_iteratorINS9_10device_ptrIxEEEESE_SE_xNS9_10multipliesIxEENS9_8equal_toIxEExEE10hipError_tPvRmT2_T3_T4_T5_mT6_T7_P12ihipStream_tbENKUlT_T0_E_clISt17integral_constantIbLb0EESY_IbLb1EEEEDaSU_SV_EUlSU_E_NS1_11comp_targetILNS1_3genE10ELNS1_11target_archE1201ELNS1_3gpuE5ELNS1_3repE0EEENS1_30default_config_static_selectorELNS0_4arch9wavefront6targetE0EEEvT1_.has_dyn_sized_stack, 0
	.set _ZN7rocprim17ROCPRIM_400000_NS6detail17trampoline_kernelINS0_14default_configENS1_27scan_by_key_config_selectorIxxEEZZNS1_16scan_by_key_implILNS1_25lookback_scan_determinismE0ELb0ES3_N6thrust23THRUST_200600_302600_NS6detail15normal_iteratorINS9_10device_ptrIxEEEESE_SE_xNS9_10multipliesIxEENS9_8equal_toIxEExEE10hipError_tPvRmT2_T3_T4_T5_mT6_T7_P12ihipStream_tbENKUlT_T0_E_clISt17integral_constantIbLb0EESY_IbLb1EEEEDaSU_SV_EUlSU_E_NS1_11comp_targetILNS1_3genE10ELNS1_11target_archE1201ELNS1_3gpuE5ELNS1_3repE0EEENS1_30default_config_static_selectorELNS0_4arch9wavefront6targetE0EEEvT1_.has_recursion, 0
	.set _ZN7rocprim17ROCPRIM_400000_NS6detail17trampoline_kernelINS0_14default_configENS1_27scan_by_key_config_selectorIxxEEZZNS1_16scan_by_key_implILNS1_25lookback_scan_determinismE0ELb0ES3_N6thrust23THRUST_200600_302600_NS6detail15normal_iteratorINS9_10device_ptrIxEEEESE_SE_xNS9_10multipliesIxEENS9_8equal_toIxEExEE10hipError_tPvRmT2_T3_T4_T5_mT6_T7_P12ihipStream_tbENKUlT_T0_E_clISt17integral_constantIbLb0EESY_IbLb1EEEEDaSU_SV_EUlSU_E_NS1_11comp_targetILNS1_3genE10ELNS1_11target_archE1201ELNS1_3gpuE5ELNS1_3repE0EEENS1_30default_config_static_selectorELNS0_4arch9wavefront6targetE0EEEvT1_.has_indirect_call, 0
	.section	.AMDGPU.csdata,"",@progbits
; Kernel info:
; codeLenInByte = 0
; TotalNumSgprs: 0
; NumVgprs: 0
; ScratchSize: 0
; MemoryBound: 0
; FloatMode: 240
; IeeeMode: 1
; LDSByteSize: 0 bytes/workgroup (compile time only)
; SGPRBlocks: 0
; VGPRBlocks: 0
; NumSGPRsForWavesPerEU: 1
; NumVGPRsForWavesPerEU: 1
; Occupancy: 16
; WaveLimiterHint : 0
; COMPUTE_PGM_RSRC2:SCRATCH_EN: 0
; COMPUTE_PGM_RSRC2:USER_SGPR: 6
; COMPUTE_PGM_RSRC2:TRAP_HANDLER: 0
; COMPUTE_PGM_RSRC2:TGID_X_EN: 1
; COMPUTE_PGM_RSRC2:TGID_Y_EN: 0
; COMPUTE_PGM_RSRC2:TGID_Z_EN: 0
; COMPUTE_PGM_RSRC2:TIDIG_COMP_CNT: 0
	.section	.text._ZN7rocprim17ROCPRIM_400000_NS6detail17trampoline_kernelINS0_14default_configENS1_27scan_by_key_config_selectorIxxEEZZNS1_16scan_by_key_implILNS1_25lookback_scan_determinismE0ELb0ES3_N6thrust23THRUST_200600_302600_NS6detail15normal_iteratorINS9_10device_ptrIxEEEESE_SE_xNS9_10multipliesIxEENS9_8equal_toIxEExEE10hipError_tPvRmT2_T3_T4_T5_mT6_T7_P12ihipStream_tbENKUlT_T0_E_clISt17integral_constantIbLb0EESY_IbLb1EEEEDaSU_SV_EUlSU_E_NS1_11comp_targetILNS1_3genE5ELNS1_11target_archE942ELNS1_3gpuE9ELNS1_3repE0EEENS1_30default_config_static_selectorELNS0_4arch9wavefront6targetE0EEEvT1_,"axG",@progbits,_ZN7rocprim17ROCPRIM_400000_NS6detail17trampoline_kernelINS0_14default_configENS1_27scan_by_key_config_selectorIxxEEZZNS1_16scan_by_key_implILNS1_25lookback_scan_determinismE0ELb0ES3_N6thrust23THRUST_200600_302600_NS6detail15normal_iteratorINS9_10device_ptrIxEEEESE_SE_xNS9_10multipliesIxEENS9_8equal_toIxEExEE10hipError_tPvRmT2_T3_T4_T5_mT6_T7_P12ihipStream_tbENKUlT_T0_E_clISt17integral_constantIbLb0EESY_IbLb1EEEEDaSU_SV_EUlSU_E_NS1_11comp_targetILNS1_3genE5ELNS1_11target_archE942ELNS1_3gpuE9ELNS1_3repE0EEENS1_30default_config_static_selectorELNS0_4arch9wavefront6targetE0EEEvT1_,comdat
	.protected	_ZN7rocprim17ROCPRIM_400000_NS6detail17trampoline_kernelINS0_14default_configENS1_27scan_by_key_config_selectorIxxEEZZNS1_16scan_by_key_implILNS1_25lookback_scan_determinismE0ELb0ES3_N6thrust23THRUST_200600_302600_NS6detail15normal_iteratorINS9_10device_ptrIxEEEESE_SE_xNS9_10multipliesIxEENS9_8equal_toIxEExEE10hipError_tPvRmT2_T3_T4_T5_mT6_T7_P12ihipStream_tbENKUlT_T0_E_clISt17integral_constantIbLb0EESY_IbLb1EEEEDaSU_SV_EUlSU_E_NS1_11comp_targetILNS1_3genE5ELNS1_11target_archE942ELNS1_3gpuE9ELNS1_3repE0EEENS1_30default_config_static_selectorELNS0_4arch9wavefront6targetE0EEEvT1_ ; -- Begin function _ZN7rocprim17ROCPRIM_400000_NS6detail17trampoline_kernelINS0_14default_configENS1_27scan_by_key_config_selectorIxxEEZZNS1_16scan_by_key_implILNS1_25lookback_scan_determinismE0ELb0ES3_N6thrust23THRUST_200600_302600_NS6detail15normal_iteratorINS9_10device_ptrIxEEEESE_SE_xNS9_10multipliesIxEENS9_8equal_toIxEExEE10hipError_tPvRmT2_T3_T4_T5_mT6_T7_P12ihipStream_tbENKUlT_T0_E_clISt17integral_constantIbLb0EESY_IbLb1EEEEDaSU_SV_EUlSU_E_NS1_11comp_targetILNS1_3genE5ELNS1_11target_archE942ELNS1_3gpuE9ELNS1_3repE0EEENS1_30default_config_static_selectorELNS0_4arch9wavefront6targetE0EEEvT1_
	.globl	_ZN7rocprim17ROCPRIM_400000_NS6detail17trampoline_kernelINS0_14default_configENS1_27scan_by_key_config_selectorIxxEEZZNS1_16scan_by_key_implILNS1_25lookback_scan_determinismE0ELb0ES3_N6thrust23THRUST_200600_302600_NS6detail15normal_iteratorINS9_10device_ptrIxEEEESE_SE_xNS9_10multipliesIxEENS9_8equal_toIxEExEE10hipError_tPvRmT2_T3_T4_T5_mT6_T7_P12ihipStream_tbENKUlT_T0_E_clISt17integral_constantIbLb0EESY_IbLb1EEEEDaSU_SV_EUlSU_E_NS1_11comp_targetILNS1_3genE5ELNS1_11target_archE942ELNS1_3gpuE9ELNS1_3repE0EEENS1_30default_config_static_selectorELNS0_4arch9wavefront6targetE0EEEvT1_
	.p2align	8
	.type	_ZN7rocprim17ROCPRIM_400000_NS6detail17trampoline_kernelINS0_14default_configENS1_27scan_by_key_config_selectorIxxEEZZNS1_16scan_by_key_implILNS1_25lookback_scan_determinismE0ELb0ES3_N6thrust23THRUST_200600_302600_NS6detail15normal_iteratorINS9_10device_ptrIxEEEESE_SE_xNS9_10multipliesIxEENS9_8equal_toIxEExEE10hipError_tPvRmT2_T3_T4_T5_mT6_T7_P12ihipStream_tbENKUlT_T0_E_clISt17integral_constantIbLb0EESY_IbLb1EEEEDaSU_SV_EUlSU_E_NS1_11comp_targetILNS1_3genE5ELNS1_11target_archE942ELNS1_3gpuE9ELNS1_3repE0EEENS1_30default_config_static_selectorELNS0_4arch9wavefront6targetE0EEEvT1_,@function
_ZN7rocprim17ROCPRIM_400000_NS6detail17trampoline_kernelINS0_14default_configENS1_27scan_by_key_config_selectorIxxEEZZNS1_16scan_by_key_implILNS1_25lookback_scan_determinismE0ELb0ES3_N6thrust23THRUST_200600_302600_NS6detail15normal_iteratorINS9_10device_ptrIxEEEESE_SE_xNS9_10multipliesIxEENS9_8equal_toIxEExEE10hipError_tPvRmT2_T3_T4_T5_mT6_T7_P12ihipStream_tbENKUlT_T0_E_clISt17integral_constantIbLb0EESY_IbLb1EEEEDaSU_SV_EUlSU_E_NS1_11comp_targetILNS1_3genE5ELNS1_11target_archE942ELNS1_3gpuE9ELNS1_3repE0EEENS1_30default_config_static_selectorELNS0_4arch9wavefront6targetE0EEEvT1_: ; @_ZN7rocprim17ROCPRIM_400000_NS6detail17trampoline_kernelINS0_14default_configENS1_27scan_by_key_config_selectorIxxEEZZNS1_16scan_by_key_implILNS1_25lookback_scan_determinismE0ELb0ES3_N6thrust23THRUST_200600_302600_NS6detail15normal_iteratorINS9_10device_ptrIxEEEESE_SE_xNS9_10multipliesIxEENS9_8equal_toIxEExEE10hipError_tPvRmT2_T3_T4_T5_mT6_T7_P12ihipStream_tbENKUlT_T0_E_clISt17integral_constantIbLb0EESY_IbLb1EEEEDaSU_SV_EUlSU_E_NS1_11comp_targetILNS1_3genE5ELNS1_11target_archE942ELNS1_3gpuE9ELNS1_3repE0EEENS1_30default_config_static_selectorELNS0_4arch9wavefront6targetE0EEEvT1_
; %bb.0:
	.section	.rodata,"a",@progbits
	.p2align	6, 0x0
	.amdhsa_kernel _ZN7rocprim17ROCPRIM_400000_NS6detail17trampoline_kernelINS0_14default_configENS1_27scan_by_key_config_selectorIxxEEZZNS1_16scan_by_key_implILNS1_25lookback_scan_determinismE0ELb0ES3_N6thrust23THRUST_200600_302600_NS6detail15normal_iteratorINS9_10device_ptrIxEEEESE_SE_xNS9_10multipliesIxEENS9_8equal_toIxEExEE10hipError_tPvRmT2_T3_T4_T5_mT6_T7_P12ihipStream_tbENKUlT_T0_E_clISt17integral_constantIbLb0EESY_IbLb1EEEEDaSU_SV_EUlSU_E_NS1_11comp_targetILNS1_3genE5ELNS1_11target_archE942ELNS1_3gpuE9ELNS1_3repE0EEENS1_30default_config_static_selectorELNS0_4arch9wavefront6targetE0EEEvT1_
		.amdhsa_group_segment_fixed_size 0
		.amdhsa_private_segment_fixed_size 0
		.amdhsa_kernarg_size 136
		.amdhsa_user_sgpr_count 6
		.amdhsa_user_sgpr_private_segment_buffer 1
		.amdhsa_user_sgpr_dispatch_ptr 0
		.amdhsa_user_sgpr_queue_ptr 0
		.amdhsa_user_sgpr_kernarg_segment_ptr 1
		.amdhsa_user_sgpr_dispatch_id 0
		.amdhsa_user_sgpr_flat_scratch_init 0
		.amdhsa_user_sgpr_private_segment_size 0
		.amdhsa_wavefront_size32 1
		.amdhsa_uses_dynamic_stack 0
		.amdhsa_system_sgpr_private_segment_wavefront_offset 0
		.amdhsa_system_sgpr_workgroup_id_x 1
		.amdhsa_system_sgpr_workgroup_id_y 0
		.amdhsa_system_sgpr_workgroup_id_z 0
		.amdhsa_system_sgpr_workgroup_info 0
		.amdhsa_system_vgpr_workitem_id 0
		.amdhsa_next_free_vgpr 1
		.amdhsa_next_free_sgpr 1
		.amdhsa_reserve_vcc 0
		.amdhsa_reserve_flat_scratch 0
		.amdhsa_float_round_mode_32 0
		.amdhsa_float_round_mode_16_64 0
		.amdhsa_float_denorm_mode_32 3
		.amdhsa_float_denorm_mode_16_64 3
		.amdhsa_dx10_clamp 1
		.amdhsa_ieee_mode 1
		.amdhsa_fp16_overflow 0
		.amdhsa_workgroup_processor_mode 1
		.amdhsa_memory_ordered 1
		.amdhsa_forward_progress 1
		.amdhsa_shared_vgpr_count 0
		.amdhsa_exception_fp_ieee_invalid_op 0
		.amdhsa_exception_fp_denorm_src 0
		.amdhsa_exception_fp_ieee_div_zero 0
		.amdhsa_exception_fp_ieee_overflow 0
		.amdhsa_exception_fp_ieee_underflow 0
		.amdhsa_exception_fp_ieee_inexact 0
		.amdhsa_exception_int_div_zero 0
	.end_amdhsa_kernel
	.section	.text._ZN7rocprim17ROCPRIM_400000_NS6detail17trampoline_kernelINS0_14default_configENS1_27scan_by_key_config_selectorIxxEEZZNS1_16scan_by_key_implILNS1_25lookback_scan_determinismE0ELb0ES3_N6thrust23THRUST_200600_302600_NS6detail15normal_iteratorINS9_10device_ptrIxEEEESE_SE_xNS9_10multipliesIxEENS9_8equal_toIxEExEE10hipError_tPvRmT2_T3_T4_T5_mT6_T7_P12ihipStream_tbENKUlT_T0_E_clISt17integral_constantIbLb0EESY_IbLb1EEEEDaSU_SV_EUlSU_E_NS1_11comp_targetILNS1_3genE5ELNS1_11target_archE942ELNS1_3gpuE9ELNS1_3repE0EEENS1_30default_config_static_selectorELNS0_4arch9wavefront6targetE0EEEvT1_,"axG",@progbits,_ZN7rocprim17ROCPRIM_400000_NS6detail17trampoline_kernelINS0_14default_configENS1_27scan_by_key_config_selectorIxxEEZZNS1_16scan_by_key_implILNS1_25lookback_scan_determinismE0ELb0ES3_N6thrust23THRUST_200600_302600_NS6detail15normal_iteratorINS9_10device_ptrIxEEEESE_SE_xNS9_10multipliesIxEENS9_8equal_toIxEExEE10hipError_tPvRmT2_T3_T4_T5_mT6_T7_P12ihipStream_tbENKUlT_T0_E_clISt17integral_constantIbLb0EESY_IbLb1EEEEDaSU_SV_EUlSU_E_NS1_11comp_targetILNS1_3genE5ELNS1_11target_archE942ELNS1_3gpuE9ELNS1_3repE0EEENS1_30default_config_static_selectorELNS0_4arch9wavefront6targetE0EEEvT1_,comdat
.Lfunc_end76:
	.size	_ZN7rocprim17ROCPRIM_400000_NS6detail17trampoline_kernelINS0_14default_configENS1_27scan_by_key_config_selectorIxxEEZZNS1_16scan_by_key_implILNS1_25lookback_scan_determinismE0ELb0ES3_N6thrust23THRUST_200600_302600_NS6detail15normal_iteratorINS9_10device_ptrIxEEEESE_SE_xNS9_10multipliesIxEENS9_8equal_toIxEExEE10hipError_tPvRmT2_T3_T4_T5_mT6_T7_P12ihipStream_tbENKUlT_T0_E_clISt17integral_constantIbLb0EESY_IbLb1EEEEDaSU_SV_EUlSU_E_NS1_11comp_targetILNS1_3genE5ELNS1_11target_archE942ELNS1_3gpuE9ELNS1_3repE0EEENS1_30default_config_static_selectorELNS0_4arch9wavefront6targetE0EEEvT1_, .Lfunc_end76-_ZN7rocprim17ROCPRIM_400000_NS6detail17trampoline_kernelINS0_14default_configENS1_27scan_by_key_config_selectorIxxEEZZNS1_16scan_by_key_implILNS1_25lookback_scan_determinismE0ELb0ES3_N6thrust23THRUST_200600_302600_NS6detail15normal_iteratorINS9_10device_ptrIxEEEESE_SE_xNS9_10multipliesIxEENS9_8equal_toIxEExEE10hipError_tPvRmT2_T3_T4_T5_mT6_T7_P12ihipStream_tbENKUlT_T0_E_clISt17integral_constantIbLb0EESY_IbLb1EEEEDaSU_SV_EUlSU_E_NS1_11comp_targetILNS1_3genE5ELNS1_11target_archE942ELNS1_3gpuE9ELNS1_3repE0EEENS1_30default_config_static_selectorELNS0_4arch9wavefront6targetE0EEEvT1_
                                        ; -- End function
	.set _ZN7rocprim17ROCPRIM_400000_NS6detail17trampoline_kernelINS0_14default_configENS1_27scan_by_key_config_selectorIxxEEZZNS1_16scan_by_key_implILNS1_25lookback_scan_determinismE0ELb0ES3_N6thrust23THRUST_200600_302600_NS6detail15normal_iteratorINS9_10device_ptrIxEEEESE_SE_xNS9_10multipliesIxEENS9_8equal_toIxEExEE10hipError_tPvRmT2_T3_T4_T5_mT6_T7_P12ihipStream_tbENKUlT_T0_E_clISt17integral_constantIbLb0EESY_IbLb1EEEEDaSU_SV_EUlSU_E_NS1_11comp_targetILNS1_3genE5ELNS1_11target_archE942ELNS1_3gpuE9ELNS1_3repE0EEENS1_30default_config_static_selectorELNS0_4arch9wavefront6targetE0EEEvT1_.num_vgpr, 0
	.set _ZN7rocprim17ROCPRIM_400000_NS6detail17trampoline_kernelINS0_14default_configENS1_27scan_by_key_config_selectorIxxEEZZNS1_16scan_by_key_implILNS1_25lookback_scan_determinismE0ELb0ES3_N6thrust23THRUST_200600_302600_NS6detail15normal_iteratorINS9_10device_ptrIxEEEESE_SE_xNS9_10multipliesIxEENS9_8equal_toIxEExEE10hipError_tPvRmT2_T3_T4_T5_mT6_T7_P12ihipStream_tbENKUlT_T0_E_clISt17integral_constantIbLb0EESY_IbLb1EEEEDaSU_SV_EUlSU_E_NS1_11comp_targetILNS1_3genE5ELNS1_11target_archE942ELNS1_3gpuE9ELNS1_3repE0EEENS1_30default_config_static_selectorELNS0_4arch9wavefront6targetE0EEEvT1_.num_agpr, 0
	.set _ZN7rocprim17ROCPRIM_400000_NS6detail17trampoline_kernelINS0_14default_configENS1_27scan_by_key_config_selectorIxxEEZZNS1_16scan_by_key_implILNS1_25lookback_scan_determinismE0ELb0ES3_N6thrust23THRUST_200600_302600_NS6detail15normal_iteratorINS9_10device_ptrIxEEEESE_SE_xNS9_10multipliesIxEENS9_8equal_toIxEExEE10hipError_tPvRmT2_T3_T4_T5_mT6_T7_P12ihipStream_tbENKUlT_T0_E_clISt17integral_constantIbLb0EESY_IbLb1EEEEDaSU_SV_EUlSU_E_NS1_11comp_targetILNS1_3genE5ELNS1_11target_archE942ELNS1_3gpuE9ELNS1_3repE0EEENS1_30default_config_static_selectorELNS0_4arch9wavefront6targetE0EEEvT1_.numbered_sgpr, 0
	.set _ZN7rocprim17ROCPRIM_400000_NS6detail17trampoline_kernelINS0_14default_configENS1_27scan_by_key_config_selectorIxxEEZZNS1_16scan_by_key_implILNS1_25lookback_scan_determinismE0ELb0ES3_N6thrust23THRUST_200600_302600_NS6detail15normal_iteratorINS9_10device_ptrIxEEEESE_SE_xNS9_10multipliesIxEENS9_8equal_toIxEExEE10hipError_tPvRmT2_T3_T4_T5_mT6_T7_P12ihipStream_tbENKUlT_T0_E_clISt17integral_constantIbLb0EESY_IbLb1EEEEDaSU_SV_EUlSU_E_NS1_11comp_targetILNS1_3genE5ELNS1_11target_archE942ELNS1_3gpuE9ELNS1_3repE0EEENS1_30default_config_static_selectorELNS0_4arch9wavefront6targetE0EEEvT1_.num_named_barrier, 0
	.set _ZN7rocprim17ROCPRIM_400000_NS6detail17trampoline_kernelINS0_14default_configENS1_27scan_by_key_config_selectorIxxEEZZNS1_16scan_by_key_implILNS1_25lookback_scan_determinismE0ELb0ES3_N6thrust23THRUST_200600_302600_NS6detail15normal_iteratorINS9_10device_ptrIxEEEESE_SE_xNS9_10multipliesIxEENS9_8equal_toIxEExEE10hipError_tPvRmT2_T3_T4_T5_mT6_T7_P12ihipStream_tbENKUlT_T0_E_clISt17integral_constantIbLb0EESY_IbLb1EEEEDaSU_SV_EUlSU_E_NS1_11comp_targetILNS1_3genE5ELNS1_11target_archE942ELNS1_3gpuE9ELNS1_3repE0EEENS1_30default_config_static_selectorELNS0_4arch9wavefront6targetE0EEEvT1_.private_seg_size, 0
	.set _ZN7rocprim17ROCPRIM_400000_NS6detail17trampoline_kernelINS0_14default_configENS1_27scan_by_key_config_selectorIxxEEZZNS1_16scan_by_key_implILNS1_25lookback_scan_determinismE0ELb0ES3_N6thrust23THRUST_200600_302600_NS6detail15normal_iteratorINS9_10device_ptrIxEEEESE_SE_xNS9_10multipliesIxEENS9_8equal_toIxEExEE10hipError_tPvRmT2_T3_T4_T5_mT6_T7_P12ihipStream_tbENKUlT_T0_E_clISt17integral_constantIbLb0EESY_IbLb1EEEEDaSU_SV_EUlSU_E_NS1_11comp_targetILNS1_3genE5ELNS1_11target_archE942ELNS1_3gpuE9ELNS1_3repE0EEENS1_30default_config_static_selectorELNS0_4arch9wavefront6targetE0EEEvT1_.uses_vcc, 0
	.set _ZN7rocprim17ROCPRIM_400000_NS6detail17trampoline_kernelINS0_14default_configENS1_27scan_by_key_config_selectorIxxEEZZNS1_16scan_by_key_implILNS1_25lookback_scan_determinismE0ELb0ES3_N6thrust23THRUST_200600_302600_NS6detail15normal_iteratorINS9_10device_ptrIxEEEESE_SE_xNS9_10multipliesIxEENS9_8equal_toIxEExEE10hipError_tPvRmT2_T3_T4_T5_mT6_T7_P12ihipStream_tbENKUlT_T0_E_clISt17integral_constantIbLb0EESY_IbLb1EEEEDaSU_SV_EUlSU_E_NS1_11comp_targetILNS1_3genE5ELNS1_11target_archE942ELNS1_3gpuE9ELNS1_3repE0EEENS1_30default_config_static_selectorELNS0_4arch9wavefront6targetE0EEEvT1_.uses_flat_scratch, 0
	.set _ZN7rocprim17ROCPRIM_400000_NS6detail17trampoline_kernelINS0_14default_configENS1_27scan_by_key_config_selectorIxxEEZZNS1_16scan_by_key_implILNS1_25lookback_scan_determinismE0ELb0ES3_N6thrust23THRUST_200600_302600_NS6detail15normal_iteratorINS9_10device_ptrIxEEEESE_SE_xNS9_10multipliesIxEENS9_8equal_toIxEExEE10hipError_tPvRmT2_T3_T4_T5_mT6_T7_P12ihipStream_tbENKUlT_T0_E_clISt17integral_constantIbLb0EESY_IbLb1EEEEDaSU_SV_EUlSU_E_NS1_11comp_targetILNS1_3genE5ELNS1_11target_archE942ELNS1_3gpuE9ELNS1_3repE0EEENS1_30default_config_static_selectorELNS0_4arch9wavefront6targetE0EEEvT1_.has_dyn_sized_stack, 0
	.set _ZN7rocprim17ROCPRIM_400000_NS6detail17trampoline_kernelINS0_14default_configENS1_27scan_by_key_config_selectorIxxEEZZNS1_16scan_by_key_implILNS1_25lookback_scan_determinismE0ELb0ES3_N6thrust23THRUST_200600_302600_NS6detail15normal_iteratorINS9_10device_ptrIxEEEESE_SE_xNS9_10multipliesIxEENS9_8equal_toIxEExEE10hipError_tPvRmT2_T3_T4_T5_mT6_T7_P12ihipStream_tbENKUlT_T0_E_clISt17integral_constantIbLb0EESY_IbLb1EEEEDaSU_SV_EUlSU_E_NS1_11comp_targetILNS1_3genE5ELNS1_11target_archE942ELNS1_3gpuE9ELNS1_3repE0EEENS1_30default_config_static_selectorELNS0_4arch9wavefront6targetE0EEEvT1_.has_recursion, 0
	.set _ZN7rocprim17ROCPRIM_400000_NS6detail17trampoline_kernelINS0_14default_configENS1_27scan_by_key_config_selectorIxxEEZZNS1_16scan_by_key_implILNS1_25lookback_scan_determinismE0ELb0ES3_N6thrust23THRUST_200600_302600_NS6detail15normal_iteratorINS9_10device_ptrIxEEEESE_SE_xNS9_10multipliesIxEENS9_8equal_toIxEExEE10hipError_tPvRmT2_T3_T4_T5_mT6_T7_P12ihipStream_tbENKUlT_T0_E_clISt17integral_constantIbLb0EESY_IbLb1EEEEDaSU_SV_EUlSU_E_NS1_11comp_targetILNS1_3genE5ELNS1_11target_archE942ELNS1_3gpuE9ELNS1_3repE0EEENS1_30default_config_static_selectorELNS0_4arch9wavefront6targetE0EEEvT1_.has_indirect_call, 0
	.section	.AMDGPU.csdata,"",@progbits
; Kernel info:
; codeLenInByte = 0
; TotalNumSgprs: 0
; NumVgprs: 0
; ScratchSize: 0
; MemoryBound: 0
; FloatMode: 240
; IeeeMode: 1
; LDSByteSize: 0 bytes/workgroup (compile time only)
; SGPRBlocks: 0
; VGPRBlocks: 0
; NumSGPRsForWavesPerEU: 1
; NumVGPRsForWavesPerEU: 1
; Occupancy: 16
; WaveLimiterHint : 0
; COMPUTE_PGM_RSRC2:SCRATCH_EN: 0
; COMPUTE_PGM_RSRC2:USER_SGPR: 6
; COMPUTE_PGM_RSRC2:TRAP_HANDLER: 0
; COMPUTE_PGM_RSRC2:TGID_X_EN: 1
; COMPUTE_PGM_RSRC2:TGID_Y_EN: 0
; COMPUTE_PGM_RSRC2:TGID_Z_EN: 0
; COMPUTE_PGM_RSRC2:TIDIG_COMP_CNT: 0
	.section	.text._ZN7rocprim17ROCPRIM_400000_NS6detail17trampoline_kernelINS0_14default_configENS1_27scan_by_key_config_selectorIxxEEZZNS1_16scan_by_key_implILNS1_25lookback_scan_determinismE0ELb0ES3_N6thrust23THRUST_200600_302600_NS6detail15normal_iteratorINS9_10device_ptrIxEEEESE_SE_xNS9_10multipliesIxEENS9_8equal_toIxEExEE10hipError_tPvRmT2_T3_T4_T5_mT6_T7_P12ihipStream_tbENKUlT_T0_E_clISt17integral_constantIbLb0EESY_IbLb1EEEEDaSU_SV_EUlSU_E_NS1_11comp_targetILNS1_3genE4ELNS1_11target_archE910ELNS1_3gpuE8ELNS1_3repE0EEENS1_30default_config_static_selectorELNS0_4arch9wavefront6targetE0EEEvT1_,"axG",@progbits,_ZN7rocprim17ROCPRIM_400000_NS6detail17trampoline_kernelINS0_14default_configENS1_27scan_by_key_config_selectorIxxEEZZNS1_16scan_by_key_implILNS1_25lookback_scan_determinismE0ELb0ES3_N6thrust23THRUST_200600_302600_NS6detail15normal_iteratorINS9_10device_ptrIxEEEESE_SE_xNS9_10multipliesIxEENS9_8equal_toIxEExEE10hipError_tPvRmT2_T3_T4_T5_mT6_T7_P12ihipStream_tbENKUlT_T0_E_clISt17integral_constantIbLb0EESY_IbLb1EEEEDaSU_SV_EUlSU_E_NS1_11comp_targetILNS1_3genE4ELNS1_11target_archE910ELNS1_3gpuE8ELNS1_3repE0EEENS1_30default_config_static_selectorELNS0_4arch9wavefront6targetE0EEEvT1_,comdat
	.protected	_ZN7rocprim17ROCPRIM_400000_NS6detail17trampoline_kernelINS0_14default_configENS1_27scan_by_key_config_selectorIxxEEZZNS1_16scan_by_key_implILNS1_25lookback_scan_determinismE0ELb0ES3_N6thrust23THRUST_200600_302600_NS6detail15normal_iteratorINS9_10device_ptrIxEEEESE_SE_xNS9_10multipliesIxEENS9_8equal_toIxEExEE10hipError_tPvRmT2_T3_T4_T5_mT6_T7_P12ihipStream_tbENKUlT_T0_E_clISt17integral_constantIbLb0EESY_IbLb1EEEEDaSU_SV_EUlSU_E_NS1_11comp_targetILNS1_3genE4ELNS1_11target_archE910ELNS1_3gpuE8ELNS1_3repE0EEENS1_30default_config_static_selectorELNS0_4arch9wavefront6targetE0EEEvT1_ ; -- Begin function _ZN7rocprim17ROCPRIM_400000_NS6detail17trampoline_kernelINS0_14default_configENS1_27scan_by_key_config_selectorIxxEEZZNS1_16scan_by_key_implILNS1_25lookback_scan_determinismE0ELb0ES3_N6thrust23THRUST_200600_302600_NS6detail15normal_iteratorINS9_10device_ptrIxEEEESE_SE_xNS9_10multipliesIxEENS9_8equal_toIxEExEE10hipError_tPvRmT2_T3_T4_T5_mT6_T7_P12ihipStream_tbENKUlT_T0_E_clISt17integral_constantIbLb0EESY_IbLb1EEEEDaSU_SV_EUlSU_E_NS1_11comp_targetILNS1_3genE4ELNS1_11target_archE910ELNS1_3gpuE8ELNS1_3repE0EEENS1_30default_config_static_selectorELNS0_4arch9wavefront6targetE0EEEvT1_
	.globl	_ZN7rocprim17ROCPRIM_400000_NS6detail17trampoline_kernelINS0_14default_configENS1_27scan_by_key_config_selectorIxxEEZZNS1_16scan_by_key_implILNS1_25lookback_scan_determinismE0ELb0ES3_N6thrust23THRUST_200600_302600_NS6detail15normal_iteratorINS9_10device_ptrIxEEEESE_SE_xNS9_10multipliesIxEENS9_8equal_toIxEExEE10hipError_tPvRmT2_T3_T4_T5_mT6_T7_P12ihipStream_tbENKUlT_T0_E_clISt17integral_constantIbLb0EESY_IbLb1EEEEDaSU_SV_EUlSU_E_NS1_11comp_targetILNS1_3genE4ELNS1_11target_archE910ELNS1_3gpuE8ELNS1_3repE0EEENS1_30default_config_static_selectorELNS0_4arch9wavefront6targetE0EEEvT1_
	.p2align	8
	.type	_ZN7rocprim17ROCPRIM_400000_NS6detail17trampoline_kernelINS0_14default_configENS1_27scan_by_key_config_selectorIxxEEZZNS1_16scan_by_key_implILNS1_25lookback_scan_determinismE0ELb0ES3_N6thrust23THRUST_200600_302600_NS6detail15normal_iteratorINS9_10device_ptrIxEEEESE_SE_xNS9_10multipliesIxEENS9_8equal_toIxEExEE10hipError_tPvRmT2_T3_T4_T5_mT6_T7_P12ihipStream_tbENKUlT_T0_E_clISt17integral_constantIbLb0EESY_IbLb1EEEEDaSU_SV_EUlSU_E_NS1_11comp_targetILNS1_3genE4ELNS1_11target_archE910ELNS1_3gpuE8ELNS1_3repE0EEENS1_30default_config_static_selectorELNS0_4arch9wavefront6targetE0EEEvT1_,@function
_ZN7rocprim17ROCPRIM_400000_NS6detail17trampoline_kernelINS0_14default_configENS1_27scan_by_key_config_selectorIxxEEZZNS1_16scan_by_key_implILNS1_25lookback_scan_determinismE0ELb0ES3_N6thrust23THRUST_200600_302600_NS6detail15normal_iteratorINS9_10device_ptrIxEEEESE_SE_xNS9_10multipliesIxEENS9_8equal_toIxEExEE10hipError_tPvRmT2_T3_T4_T5_mT6_T7_P12ihipStream_tbENKUlT_T0_E_clISt17integral_constantIbLb0EESY_IbLb1EEEEDaSU_SV_EUlSU_E_NS1_11comp_targetILNS1_3genE4ELNS1_11target_archE910ELNS1_3gpuE8ELNS1_3repE0EEENS1_30default_config_static_selectorELNS0_4arch9wavefront6targetE0EEEvT1_: ; @_ZN7rocprim17ROCPRIM_400000_NS6detail17trampoline_kernelINS0_14default_configENS1_27scan_by_key_config_selectorIxxEEZZNS1_16scan_by_key_implILNS1_25lookback_scan_determinismE0ELb0ES3_N6thrust23THRUST_200600_302600_NS6detail15normal_iteratorINS9_10device_ptrIxEEEESE_SE_xNS9_10multipliesIxEENS9_8equal_toIxEExEE10hipError_tPvRmT2_T3_T4_T5_mT6_T7_P12ihipStream_tbENKUlT_T0_E_clISt17integral_constantIbLb0EESY_IbLb1EEEEDaSU_SV_EUlSU_E_NS1_11comp_targetILNS1_3genE4ELNS1_11target_archE910ELNS1_3gpuE8ELNS1_3repE0EEENS1_30default_config_static_selectorELNS0_4arch9wavefront6targetE0EEEvT1_
; %bb.0:
	.section	.rodata,"a",@progbits
	.p2align	6, 0x0
	.amdhsa_kernel _ZN7rocprim17ROCPRIM_400000_NS6detail17trampoline_kernelINS0_14default_configENS1_27scan_by_key_config_selectorIxxEEZZNS1_16scan_by_key_implILNS1_25lookback_scan_determinismE0ELb0ES3_N6thrust23THRUST_200600_302600_NS6detail15normal_iteratorINS9_10device_ptrIxEEEESE_SE_xNS9_10multipliesIxEENS9_8equal_toIxEExEE10hipError_tPvRmT2_T3_T4_T5_mT6_T7_P12ihipStream_tbENKUlT_T0_E_clISt17integral_constantIbLb0EESY_IbLb1EEEEDaSU_SV_EUlSU_E_NS1_11comp_targetILNS1_3genE4ELNS1_11target_archE910ELNS1_3gpuE8ELNS1_3repE0EEENS1_30default_config_static_selectorELNS0_4arch9wavefront6targetE0EEEvT1_
		.amdhsa_group_segment_fixed_size 0
		.amdhsa_private_segment_fixed_size 0
		.amdhsa_kernarg_size 136
		.amdhsa_user_sgpr_count 6
		.amdhsa_user_sgpr_private_segment_buffer 1
		.amdhsa_user_sgpr_dispatch_ptr 0
		.amdhsa_user_sgpr_queue_ptr 0
		.amdhsa_user_sgpr_kernarg_segment_ptr 1
		.amdhsa_user_sgpr_dispatch_id 0
		.amdhsa_user_sgpr_flat_scratch_init 0
		.amdhsa_user_sgpr_private_segment_size 0
		.amdhsa_wavefront_size32 1
		.amdhsa_uses_dynamic_stack 0
		.amdhsa_system_sgpr_private_segment_wavefront_offset 0
		.amdhsa_system_sgpr_workgroup_id_x 1
		.amdhsa_system_sgpr_workgroup_id_y 0
		.amdhsa_system_sgpr_workgroup_id_z 0
		.amdhsa_system_sgpr_workgroup_info 0
		.amdhsa_system_vgpr_workitem_id 0
		.amdhsa_next_free_vgpr 1
		.amdhsa_next_free_sgpr 1
		.amdhsa_reserve_vcc 0
		.amdhsa_reserve_flat_scratch 0
		.amdhsa_float_round_mode_32 0
		.amdhsa_float_round_mode_16_64 0
		.amdhsa_float_denorm_mode_32 3
		.amdhsa_float_denorm_mode_16_64 3
		.amdhsa_dx10_clamp 1
		.amdhsa_ieee_mode 1
		.amdhsa_fp16_overflow 0
		.amdhsa_workgroup_processor_mode 1
		.amdhsa_memory_ordered 1
		.amdhsa_forward_progress 1
		.amdhsa_shared_vgpr_count 0
		.amdhsa_exception_fp_ieee_invalid_op 0
		.amdhsa_exception_fp_denorm_src 0
		.amdhsa_exception_fp_ieee_div_zero 0
		.amdhsa_exception_fp_ieee_overflow 0
		.amdhsa_exception_fp_ieee_underflow 0
		.amdhsa_exception_fp_ieee_inexact 0
		.amdhsa_exception_int_div_zero 0
	.end_amdhsa_kernel
	.section	.text._ZN7rocprim17ROCPRIM_400000_NS6detail17trampoline_kernelINS0_14default_configENS1_27scan_by_key_config_selectorIxxEEZZNS1_16scan_by_key_implILNS1_25lookback_scan_determinismE0ELb0ES3_N6thrust23THRUST_200600_302600_NS6detail15normal_iteratorINS9_10device_ptrIxEEEESE_SE_xNS9_10multipliesIxEENS9_8equal_toIxEExEE10hipError_tPvRmT2_T3_T4_T5_mT6_T7_P12ihipStream_tbENKUlT_T0_E_clISt17integral_constantIbLb0EESY_IbLb1EEEEDaSU_SV_EUlSU_E_NS1_11comp_targetILNS1_3genE4ELNS1_11target_archE910ELNS1_3gpuE8ELNS1_3repE0EEENS1_30default_config_static_selectorELNS0_4arch9wavefront6targetE0EEEvT1_,"axG",@progbits,_ZN7rocprim17ROCPRIM_400000_NS6detail17trampoline_kernelINS0_14default_configENS1_27scan_by_key_config_selectorIxxEEZZNS1_16scan_by_key_implILNS1_25lookback_scan_determinismE0ELb0ES3_N6thrust23THRUST_200600_302600_NS6detail15normal_iteratorINS9_10device_ptrIxEEEESE_SE_xNS9_10multipliesIxEENS9_8equal_toIxEExEE10hipError_tPvRmT2_T3_T4_T5_mT6_T7_P12ihipStream_tbENKUlT_T0_E_clISt17integral_constantIbLb0EESY_IbLb1EEEEDaSU_SV_EUlSU_E_NS1_11comp_targetILNS1_3genE4ELNS1_11target_archE910ELNS1_3gpuE8ELNS1_3repE0EEENS1_30default_config_static_selectorELNS0_4arch9wavefront6targetE0EEEvT1_,comdat
.Lfunc_end77:
	.size	_ZN7rocprim17ROCPRIM_400000_NS6detail17trampoline_kernelINS0_14default_configENS1_27scan_by_key_config_selectorIxxEEZZNS1_16scan_by_key_implILNS1_25lookback_scan_determinismE0ELb0ES3_N6thrust23THRUST_200600_302600_NS6detail15normal_iteratorINS9_10device_ptrIxEEEESE_SE_xNS9_10multipliesIxEENS9_8equal_toIxEExEE10hipError_tPvRmT2_T3_T4_T5_mT6_T7_P12ihipStream_tbENKUlT_T0_E_clISt17integral_constantIbLb0EESY_IbLb1EEEEDaSU_SV_EUlSU_E_NS1_11comp_targetILNS1_3genE4ELNS1_11target_archE910ELNS1_3gpuE8ELNS1_3repE0EEENS1_30default_config_static_selectorELNS0_4arch9wavefront6targetE0EEEvT1_, .Lfunc_end77-_ZN7rocprim17ROCPRIM_400000_NS6detail17trampoline_kernelINS0_14default_configENS1_27scan_by_key_config_selectorIxxEEZZNS1_16scan_by_key_implILNS1_25lookback_scan_determinismE0ELb0ES3_N6thrust23THRUST_200600_302600_NS6detail15normal_iteratorINS9_10device_ptrIxEEEESE_SE_xNS9_10multipliesIxEENS9_8equal_toIxEExEE10hipError_tPvRmT2_T3_T4_T5_mT6_T7_P12ihipStream_tbENKUlT_T0_E_clISt17integral_constantIbLb0EESY_IbLb1EEEEDaSU_SV_EUlSU_E_NS1_11comp_targetILNS1_3genE4ELNS1_11target_archE910ELNS1_3gpuE8ELNS1_3repE0EEENS1_30default_config_static_selectorELNS0_4arch9wavefront6targetE0EEEvT1_
                                        ; -- End function
	.set _ZN7rocprim17ROCPRIM_400000_NS6detail17trampoline_kernelINS0_14default_configENS1_27scan_by_key_config_selectorIxxEEZZNS1_16scan_by_key_implILNS1_25lookback_scan_determinismE0ELb0ES3_N6thrust23THRUST_200600_302600_NS6detail15normal_iteratorINS9_10device_ptrIxEEEESE_SE_xNS9_10multipliesIxEENS9_8equal_toIxEExEE10hipError_tPvRmT2_T3_T4_T5_mT6_T7_P12ihipStream_tbENKUlT_T0_E_clISt17integral_constantIbLb0EESY_IbLb1EEEEDaSU_SV_EUlSU_E_NS1_11comp_targetILNS1_3genE4ELNS1_11target_archE910ELNS1_3gpuE8ELNS1_3repE0EEENS1_30default_config_static_selectorELNS0_4arch9wavefront6targetE0EEEvT1_.num_vgpr, 0
	.set _ZN7rocprim17ROCPRIM_400000_NS6detail17trampoline_kernelINS0_14default_configENS1_27scan_by_key_config_selectorIxxEEZZNS1_16scan_by_key_implILNS1_25lookback_scan_determinismE0ELb0ES3_N6thrust23THRUST_200600_302600_NS6detail15normal_iteratorINS9_10device_ptrIxEEEESE_SE_xNS9_10multipliesIxEENS9_8equal_toIxEExEE10hipError_tPvRmT2_T3_T4_T5_mT6_T7_P12ihipStream_tbENKUlT_T0_E_clISt17integral_constantIbLb0EESY_IbLb1EEEEDaSU_SV_EUlSU_E_NS1_11comp_targetILNS1_3genE4ELNS1_11target_archE910ELNS1_3gpuE8ELNS1_3repE0EEENS1_30default_config_static_selectorELNS0_4arch9wavefront6targetE0EEEvT1_.num_agpr, 0
	.set _ZN7rocprim17ROCPRIM_400000_NS6detail17trampoline_kernelINS0_14default_configENS1_27scan_by_key_config_selectorIxxEEZZNS1_16scan_by_key_implILNS1_25lookback_scan_determinismE0ELb0ES3_N6thrust23THRUST_200600_302600_NS6detail15normal_iteratorINS9_10device_ptrIxEEEESE_SE_xNS9_10multipliesIxEENS9_8equal_toIxEExEE10hipError_tPvRmT2_T3_T4_T5_mT6_T7_P12ihipStream_tbENKUlT_T0_E_clISt17integral_constantIbLb0EESY_IbLb1EEEEDaSU_SV_EUlSU_E_NS1_11comp_targetILNS1_3genE4ELNS1_11target_archE910ELNS1_3gpuE8ELNS1_3repE0EEENS1_30default_config_static_selectorELNS0_4arch9wavefront6targetE0EEEvT1_.numbered_sgpr, 0
	.set _ZN7rocprim17ROCPRIM_400000_NS6detail17trampoline_kernelINS0_14default_configENS1_27scan_by_key_config_selectorIxxEEZZNS1_16scan_by_key_implILNS1_25lookback_scan_determinismE0ELb0ES3_N6thrust23THRUST_200600_302600_NS6detail15normal_iteratorINS9_10device_ptrIxEEEESE_SE_xNS9_10multipliesIxEENS9_8equal_toIxEExEE10hipError_tPvRmT2_T3_T4_T5_mT6_T7_P12ihipStream_tbENKUlT_T0_E_clISt17integral_constantIbLb0EESY_IbLb1EEEEDaSU_SV_EUlSU_E_NS1_11comp_targetILNS1_3genE4ELNS1_11target_archE910ELNS1_3gpuE8ELNS1_3repE0EEENS1_30default_config_static_selectorELNS0_4arch9wavefront6targetE0EEEvT1_.num_named_barrier, 0
	.set _ZN7rocprim17ROCPRIM_400000_NS6detail17trampoline_kernelINS0_14default_configENS1_27scan_by_key_config_selectorIxxEEZZNS1_16scan_by_key_implILNS1_25lookback_scan_determinismE0ELb0ES3_N6thrust23THRUST_200600_302600_NS6detail15normal_iteratorINS9_10device_ptrIxEEEESE_SE_xNS9_10multipliesIxEENS9_8equal_toIxEExEE10hipError_tPvRmT2_T3_T4_T5_mT6_T7_P12ihipStream_tbENKUlT_T0_E_clISt17integral_constantIbLb0EESY_IbLb1EEEEDaSU_SV_EUlSU_E_NS1_11comp_targetILNS1_3genE4ELNS1_11target_archE910ELNS1_3gpuE8ELNS1_3repE0EEENS1_30default_config_static_selectorELNS0_4arch9wavefront6targetE0EEEvT1_.private_seg_size, 0
	.set _ZN7rocprim17ROCPRIM_400000_NS6detail17trampoline_kernelINS0_14default_configENS1_27scan_by_key_config_selectorIxxEEZZNS1_16scan_by_key_implILNS1_25lookback_scan_determinismE0ELb0ES3_N6thrust23THRUST_200600_302600_NS6detail15normal_iteratorINS9_10device_ptrIxEEEESE_SE_xNS9_10multipliesIxEENS9_8equal_toIxEExEE10hipError_tPvRmT2_T3_T4_T5_mT6_T7_P12ihipStream_tbENKUlT_T0_E_clISt17integral_constantIbLb0EESY_IbLb1EEEEDaSU_SV_EUlSU_E_NS1_11comp_targetILNS1_3genE4ELNS1_11target_archE910ELNS1_3gpuE8ELNS1_3repE0EEENS1_30default_config_static_selectorELNS0_4arch9wavefront6targetE0EEEvT1_.uses_vcc, 0
	.set _ZN7rocprim17ROCPRIM_400000_NS6detail17trampoline_kernelINS0_14default_configENS1_27scan_by_key_config_selectorIxxEEZZNS1_16scan_by_key_implILNS1_25lookback_scan_determinismE0ELb0ES3_N6thrust23THRUST_200600_302600_NS6detail15normal_iteratorINS9_10device_ptrIxEEEESE_SE_xNS9_10multipliesIxEENS9_8equal_toIxEExEE10hipError_tPvRmT2_T3_T4_T5_mT6_T7_P12ihipStream_tbENKUlT_T0_E_clISt17integral_constantIbLb0EESY_IbLb1EEEEDaSU_SV_EUlSU_E_NS1_11comp_targetILNS1_3genE4ELNS1_11target_archE910ELNS1_3gpuE8ELNS1_3repE0EEENS1_30default_config_static_selectorELNS0_4arch9wavefront6targetE0EEEvT1_.uses_flat_scratch, 0
	.set _ZN7rocprim17ROCPRIM_400000_NS6detail17trampoline_kernelINS0_14default_configENS1_27scan_by_key_config_selectorIxxEEZZNS1_16scan_by_key_implILNS1_25lookback_scan_determinismE0ELb0ES3_N6thrust23THRUST_200600_302600_NS6detail15normal_iteratorINS9_10device_ptrIxEEEESE_SE_xNS9_10multipliesIxEENS9_8equal_toIxEExEE10hipError_tPvRmT2_T3_T4_T5_mT6_T7_P12ihipStream_tbENKUlT_T0_E_clISt17integral_constantIbLb0EESY_IbLb1EEEEDaSU_SV_EUlSU_E_NS1_11comp_targetILNS1_3genE4ELNS1_11target_archE910ELNS1_3gpuE8ELNS1_3repE0EEENS1_30default_config_static_selectorELNS0_4arch9wavefront6targetE0EEEvT1_.has_dyn_sized_stack, 0
	.set _ZN7rocprim17ROCPRIM_400000_NS6detail17trampoline_kernelINS0_14default_configENS1_27scan_by_key_config_selectorIxxEEZZNS1_16scan_by_key_implILNS1_25lookback_scan_determinismE0ELb0ES3_N6thrust23THRUST_200600_302600_NS6detail15normal_iteratorINS9_10device_ptrIxEEEESE_SE_xNS9_10multipliesIxEENS9_8equal_toIxEExEE10hipError_tPvRmT2_T3_T4_T5_mT6_T7_P12ihipStream_tbENKUlT_T0_E_clISt17integral_constantIbLb0EESY_IbLb1EEEEDaSU_SV_EUlSU_E_NS1_11comp_targetILNS1_3genE4ELNS1_11target_archE910ELNS1_3gpuE8ELNS1_3repE0EEENS1_30default_config_static_selectorELNS0_4arch9wavefront6targetE0EEEvT1_.has_recursion, 0
	.set _ZN7rocprim17ROCPRIM_400000_NS6detail17trampoline_kernelINS0_14default_configENS1_27scan_by_key_config_selectorIxxEEZZNS1_16scan_by_key_implILNS1_25lookback_scan_determinismE0ELb0ES3_N6thrust23THRUST_200600_302600_NS6detail15normal_iteratorINS9_10device_ptrIxEEEESE_SE_xNS9_10multipliesIxEENS9_8equal_toIxEExEE10hipError_tPvRmT2_T3_T4_T5_mT6_T7_P12ihipStream_tbENKUlT_T0_E_clISt17integral_constantIbLb0EESY_IbLb1EEEEDaSU_SV_EUlSU_E_NS1_11comp_targetILNS1_3genE4ELNS1_11target_archE910ELNS1_3gpuE8ELNS1_3repE0EEENS1_30default_config_static_selectorELNS0_4arch9wavefront6targetE0EEEvT1_.has_indirect_call, 0
	.section	.AMDGPU.csdata,"",@progbits
; Kernel info:
; codeLenInByte = 0
; TotalNumSgprs: 0
; NumVgprs: 0
; ScratchSize: 0
; MemoryBound: 0
; FloatMode: 240
; IeeeMode: 1
; LDSByteSize: 0 bytes/workgroup (compile time only)
; SGPRBlocks: 0
; VGPRBlocks: 0
; NumSGPRsForWavesPerEU: 1
; NumVGPRsForWavesPerEU: 1
; Occupancy: 16
; WaveLimiterHint : 0
; COMPUTE_PGM_RSRC2:SCRATCH_EN: 0
; COMPUTE_PGM_RSRC2:USER_SGPR: 6
; COMPUTE_PGM_RSRC2:TRAP_HANDLER: 0
; COMPUTE_PGM_RSRC2:TGID_X_EN: 1
; COMPUTE_PGM_RSRC2:TGID_Y_EN: 0
; COMPUTE_PGM_RSRC2:TGID_Z_EN: 0
; COMPUTE_PGM_RSRC2:TIDIG_COMP_CNT: 0
	.section	.text._ZN7rocprim17ROCPRIM_400000_NS6detail17trampoline_kernelINS0_14default_configENS1_27scan_by_key_config_selectorIxxEEZZNS1_16scan_by_key_implILNS1_25lookback_scan_determinismE0ELb0ES3_N6thrust23THRUST_200600_302600_NS6detail15normal_iteratorINS9_10device_ptrIxEEEESE_SE_xNS9_10multipliesIxEENS9_8equal_toIxEExEE10hipError_tPvRmT2_T3_T4_T5_mT6_T7_P12ihipStream_tbENKUlT_T0_E_clISt17integral_constantIbLb0EESY_IbLb1EEEEDaSU_SV_EUlSU_E_NS1_11comp_targetILNS1_3genE3ELNS1_11target_archE908ELNS1_3gpuE7ELNS1_3repE0EEENS1_30default_config_static_selectorELNS0_4arch9wavefront6targetE0EEEvT1_,"axG",@progbits,_ZN7rocprim17ROCPRIM_400000_NS6detail17trampoline_kernelINS0_14default_configENS1_27scan_by_key_config_selectorIxxEEZZNS1_16scan_by_key_implILNS1_25lookback_scan_determinismE0ELb0ES3_N6thrust23THRUST_200600_302600_NS6detail15normal_iteratorINS9_10device_ptrIxEEEESE_SE_xNS9_10multipliesIxEENS9_8equal_toIxEExEE10hipError_tPvRmT2_T3_T4_T5_mT6_T7_P12ihipStream_tbENKUlT_T0_E_clISt17integral_constantIbLb0EESY_IbLb1EEEEDaSU_SV_EUlSU_E_NS1_11comp_targetILNS1_3genE3ELNS1_11target_archE908ELNS1_3gpuE7ELNS1_3repE0EEENS1_30default_config_static_selectorELNS0_4arch9wavefront6targetE0EEEvT1_,comdat
	.protected	_ZN7rocprim17ROCPRIM_400000_NS6detail17trampoline_kernelINS0_14default_configENS1_27scan_by_key_config_selectorIxxEEZZNS1_16scan_by_key_implILNS1_25lookback_scan_determinismE0ELb0ES3_N6thrust23THRUST_200600_302600_NS6detail15normal_iteratorINS9_10device_ptrIxEEEESE_SE_xNS9_10multipliesIxEENS9_8equal_toIxEExEE10hipError_tPvRmT2_T3_T4_T5_mT6_T7_P12ihipStream_tbENKUlT_T0_E_clISt17integral_constantIbLb0EESY_IbLb1EEEEDaSU_SV_EUlSU_E_NS1_11comp_targetILNS1_3genE3ELNS1_11target_archE908ELNS1_3gpuE7ELNS1_3repE0EEENS1_30default_config_static_selectorELNS0_4arch9wavefront6targetE0EEEvT1_ ; -- Begin function _ZN7rocprim17ROCPRIM_400000_NS6detail17trampoline_kernelINS0_14default_configENS1_27scan_by_key_config_selectorIxxEEZZNS1_16scan_by_key_implILNS1_25lookback_scan_determinismE0ELb0ES3_N6thrust23THRUST_200600_302600_NS6detail15normal_iteratorINS9_10device_ptrIxEEEESE_SE_xNS9_10multipliesIxEENS9_8equal_toIxEExEE10hipError_tPvRmT2_T3_T4_T5_mT6_T7_P12ihipStream_tbENKUlT_T0_E_clISt17integral_constantIbLb0EESY_IbLb1EEEEDaSU_SV_EUlSU_E_NS1_11comp_targetILNS1_3genE3ELNS1_11target_archE908ELNS1_3gpuE7ELNS1_3repE0EEENS1_30default_config_static_selectorELNS0_4arch9wavefront6targetE0EEEvT1_
	.globl	_ZN7rocprim17ROCPRIM_400000_NS6detail17trampoline_kernelINS0_14default_configENS1_27scan_by_key_config_selectorIxxEEZZNS1_16scan_by_key_implILNS1_25lookback_scan_determinismE0ELb0ES3_N6thrust23THRUST_200600_302600_NS6detail15normal_iteratorINS9_10device_ptrIxEEEESE_SE_xNS9_10multipliesIxEENS9_8equal_toIxEExEE10hipError_tPvRmT2_T3_T4_T5_mT6_T7_P12ihipStream_tbENKUlT_T0_E_clISt17integral_constantIbLb0EESY_IbLb1EEEEDaSU_SV_EUlSU_E_NS1_11comp_targetILNS1_3genE3ELNS1_11target_archE908ELNS1_3gpuE7ELNS1_3repE0EEENS1_30default_config_static_selectorELNS0_4arch9wavefront6targetE0EEEvT1_
	.p2align	8
	.type	_ZN7rocprim17ROCPRIM_400000_NS6detail17trampoline_kernelINS0_14default_configENS1_27scan_by_key_config_selectorIxxEEZZNS1_16scan_by_key_implILNS1_25lookback_scan_determinismE0ELb0ES3_N6thrust23THRUST_200600_302600_NS6detail15normal_iteratorINS9_10device_ptrIxEEEESE_SE_xNS9_10multipliesIxEENS9_8equal_toIxEExEE10hipError_tPvRmT2_T3_T4_T5_mT6_T7_P12ihipStream_tbENKUlT_T0_E_clISt17integral_constantIbLb0EESY_IbLb1EEEEDaSU_SV_EUlSU_E_NS1_11comp_targetILNS1_3genE3ELNS1_11target_archE908ELNS1_3gpuE7ELNS1_3repE0EEENS1_30default_config_static_selectorELNS0_4arch9wavefront6targetE0EEEvT1_,@function
_ZN7rocprim17ROCPRIM_400000_NS6detail17trampoline_kernelINS0_14default_configENS1_27scan_by_key_config_selectorIxxEEZZNS1_16scan_by_key_implILNS1_25lookback_scan_determinismE0ELb0ES3_N6thrust23THRUST_200600_302600_NS6detail15normal_iteratorINS9_10device_ptrIxEEEESE_SE_xNS9_10multipliesIxEENS9_8equal_toIxEExEE10hipError_tPvRmT2_T3_T4_T5_mT6_T7_P12ihipStream_tbENKUlT_T0_E_clISt17integral_constantIbLb0EESY_IbLb1EEEEDaSU_SV_EUlSU_E_NS1_11comp_targetILNS1_3genE3ELNS1_11target_archE908ELNS1_3gpuE7ELNS1_3repE0EEENS1_30default_config_static_selectorELNS0_4arch9wavefront6targetE0EEEvT1_: ; @_ZN7rocprim17ROCPRIM_400000_NS6detail17trampoline_kernelINS0_14default_configENS1_27scan_by_key_config_selectorIxxEEZZNS1_16scan_by_key_implILNS1_25lookback_scan_determinismE0ELb0ES3_N6thrust23THRUST_200600_302600_NS6detail15normal_iteratorINS9_10device_ptrIxEEEESE_SE_xNS9_10multipliesIxEENS9_8equal_toIxEExEE10hipError_tPvRmT2_T3_T4_T5_mT6_T7_P12ihipStream_tbENKUlT_T0_E_clISt17integral_constantIbLb0EESY_IbLb1EEEEDaSU_SV_EUlSU_E_NS1_11comp_targetILNS1_3genE3ELNS1_11target_archE908ELNS1_3gpuE7ELNS1_3repE0EEENS1_30default_config_static_selectorELNS0_4arch9wavefront6targetE0EEEvT1_
; %bb.0:
	.section	.rodata,"a",@progbits
	.p2align	6, 0x0
	.amdhsa_kernel _ZN7rocprim17ROCPRIM_400000_NS6detail17trampoline_kernelINS0_14default_configENS1_27scan_by_key_config_selectorIxxEEZZNS1_16scan_by_key_implILNS1_25lookback_scan_determinismE0ELb0ES3_N6thrust23THRUST_200600_302600_NS6detail15normal_iteratorINS9_10device_ptrIxEEEESE_SE_xNS9_10multipliesIxEENS9_8equal_toIxEExEE10hipError_tPvRmT2_T3_T4_T5_mT6_T7_P12ihipStream_tbENKUlT_T0_E_clISt17integral_constantIbLb0EESY_IbLb1EEEEDaSU_SV_EUlSU_E_NS1_11comp_targetILNS1_3genE3ELNS1_11target_archE908ELNS1_3gpuE7ELNS1_3repE0EEENS1_30default_config_static_selectorELNS0_4arch9wavefront6targetE0EEEvT1_
		.amdhsa_group_segment_fixed_size 0
		.amdhsa_private_segment_fixed_size 0
		.amdhsa_kernarg_size 136
		.amdhsa_user_sgpr_count 6
		.amdhsa_user_sgpr_private_segment_buffer 1
		.amdhsa_user_sgpr_dispatch_ptr 0
		.amdhsa_user_sgpr_queue_ptr 0
		.amdhsa_user_sgpr_kernarg_segment_ptr 1
		.amdhsa_user_sgpr_dispatch_id 0
		.amdhsa_user_sgpr_flat_scratch_init 0
		.amdhsa_user_sgpr_private_segment_size 0
		.amdhsa_wavefront_size32 1
		.amdhsa_uses_dynamic_stack 0
		.amdhsa_system_sgpr_private_segment_wavefront_offset 0
		.amdhsa_system_sgpr_workgroup_id_x 1
		.amdhsa_system_sgpr_workgroup_id_y 0
		.amdhsa_system_sgpr_workgroup_id_z 0
		.amdhsa_system_sgpr_workgroup_info 0
		.amdhsa_system_vgpr_workitem_id 0
		.amdhsa_next_free_vgpr 1
		.amdhsa_next_free_sgpr 1
		.amdhsa_reserve_vcc 0
		.amdhsa_reserve_flat_scratch 0
		.amdhsa_float_round_mode_32 0
		.amdhsa_float_round_mode_16_64 0
		.amdhsa_float_denorm_mode_32 3
		.amdhsa_float_denorm_mode_16_64 3
		.amdhsa_dx10_clamp 1
		.amdhsa_ieee_mode 1
		.amdhsa_fp16_overflow 0
		.amdhsa_workgroup_processor_mode 1
		.amdhsa_memory_ordered 1
		.amdhsa_forward_progress 1
		.amdhsa_shared_vgpr_count 0
		.amdhsa_exception_fp_ieee_invalid_op 0
		.amdhsa_exception_fp_denorm_src 0
		.amdhsa_exception_fp_ieee_div_zero 0
		.amdhsa_exception_fp_ieee_overflow 0
		.amdhsa_exception_fp_ieee_underflow 0
		.amdhsa_exception_fp_ieee_inexact 0
		.amdhsa_exception_int_div_zero 0
	.end_amdhsa_kernel
	.section	.text._ZN7rocprim17ROCPRIM_400000_NS6detail17trampoline_kernelINS0_14default_configENS1_27scan_by_key_config_selectorIxxEEZZNS1_16scan_by_key_implILNS1_25lookback_scan_determinismE0ELb0ES3_N6thrust23THRUST_200600_302600_NS6detail15normal_iteratorINS9_10device_ptrIxEEEESE_SE_xNS9_10multipliesIxEENS9_8equal_toIxEExEE10hipError_tPvRmT2_T3_T4_T5_mT6_T7_P12ihipStream_tbENKUlT_T0_E_clISt17integral_constantIbLb0EESY_IbLb1EEEEDaSU_SV_EUlSU_E_NS1_11comp_targetILNS1_3genE3ELNS1_11target_archE908ELNS1_3gpuE7ELNS1_3repE0EEENS1_30default_config_static_selectorELNS0_4arch9wavefront6targetE0EEEvT1_,"axG",@progbits,_ZN7rocprim17ROCPRIM_400000_NS6detail17trampoline_kernelINS0_14default_configENS1_27scan_by_key_config_selectorIxxEEZZNS1_16scan_by_key_implILNS1_25lookback_scan_determinismE0ELb0ES3_N6thrust23THRUST_200600_302600_NS6detail15normal_iteratorINS9_10device_ptrIxEEEESE_SE_xNS9_10multipliesIxEENS9_8equal_toIxEExEE10hipError_tPvRmT2_T3_T4_T5_mT6_T7_P12ihipStream_tbENKUlT_T0_E_clISt17integral_constantIbLb0EESY_IbLb1EEEEDaSU_SV_EUlSU_E_NS1_11comp_targetILNS1_3genE3ELNS1_11target_archE908ELNS1_3gpuE7ELNS1_3repE0EEENS1_30default_config_static_selectorELNS0_4arch9wavefront6targetE0EEEvT1_,comdat
.Lfunc_end78:
	.size	_ZN7rocprim17ROCPRIM_400000_NS6detail17trampoline_kernelINS0_14default_configENS1_27scan_by_key_config_selectorIxxEEZZNS1_16scan_by_key_implILNS1_25lookback_scan_determinismE0ELb0ES3_N6thrust23THRUST_200600_302600_NS6detail15normal_iteratorINS9_10device_ptrIxEEEESE_SE_xNS9_10multipliesIxEENS9_8equal_toIxEExEE10hipError_tPvRmT2_T3_T4_T5_mT6_T7_P12ihipStream_tbENKUlT_T0_E_clISt17integral_constantIbLb0EESY_IbLb1EEEEDaSU_SV_EUlSU_E_NS1_11comp_targetILNS1_3genE3ELNS1_11target_archE908ELNS1_3gpuE7ELNS1_3repE0EEENS1_30default_config_static_selectorELNS0_4arch9wavefront6targetE0EEEvT1_, .Lfunc_end78-_ZN7rocprim17ROCPRIM_400000_NS6detail17trampoline_kernelINS0_14default_configENS1_27scan_by_key_config_selectorIxxEEZZNS1_16scan_by_key_implILNS1_25lookback_scan_determinismE0ELb0ES3_N6thrust23THRUST_200600_302600_NS6detail15normal_iteratorINS9_10device_ptrIxEEEESE_SE_xNS9_10multipliesIxEENS9_8equal_toIxEExEE10hipError_tPvRmT2_T3_T4_T5_mT6_T7_P12ihipStream_tbENKUlT_T0_E_clISt17integral_constantIbLb0EESY_IbLb1EEEEDaSU_SV_EUlSU_E_NS1_11comp_targetILNS1_3genE3ELNS1_11target_archE908ELNS1_3gpuE7ELNS1_3repE0EEENS1_30default_config_static_selectorELNS0_4arch9wavefront6targetE0EEEvT1_
                                        ; -- End function
	.set _ZN7rocprim17ROCPRIM_400000_NS6detail17trampoline_kernelINS0_14default_configENS1_27scan_by_key_config_selectorIxxEEZZNS1_16scan_by_key_implILNS1_25lookback_scan_determinismE0ELb0ES3_N6thrust23THRUST_200600_302600_NS6detail15normal_iteratorINS9_10device_ptrIxEEEESE_SE_xNS9_10multipliesIxEENS9_8equal_toIxEExEE10hipError_tPvRmT2_T3_T4_T5_mT6_T7_P12ihipStream_tbENKUlT_T0_E_clISt17integral_constantIbLb0EESY_IbLb1EEEEDaSU_SV_EUlSU_E_NS1_11comp_targetILNS1_3genE3ELNS1_11target_archE908ELNS1_3gpuE7ELNS1_3repE0EEENS1_30default_config_static_selectorELNS0_4arch9wavefront6targetE0EEEvT1_.num_vgpr, 0
	.set _ZN7rocprim17ROCPRIM_400000_NS6detail17trampoline_kernelINS0_14default_configENS1_27scan_by_key_config_selectorIxxEEZZNS1_16scan_by_key_implILNS1_25lookback_scan_determinismE0ELb0ES3_N6thrust23THRUST_200600_302600_NS6detail15normal_iteratorINS9_10device_ptrIxEEEESE_SE_xNS9_10multipliesIxEENS9_8equal_toIxEExEE10hipError_tPvRmT2_T3_T4_T5_mT6_T7_P12ihipStream_tbENKUlT_T0_E_clISt17integral_constantIbLb0EESY_IbLb1EEEEDaSU_SV_EUlSU_E_NS1_11comp_targetILNS1_3genE3ELNS1_11target_archE908ELNS1_3gpuE7ELNS1_3repE0EEENS1_30default_config_static_selectorELNS0_4arch9wavefront6targetE0EEEvT1_.num_agpr, 0
	.set _ZN7rocprim17ROCPRIM_400000_NS6detail17trampoline_kernelINS0_14default_configENS1_27scan_by_key_config_selectorIxxEEZZNS1_16scan_by_key_implILNS1_25lookback_scan_determinismE0ELb0ES3_N6thrust23THRUST_200600_302600_NS6detail15normal_iteratorINS9_10device_ptrIxEEEESE_SE_xNS9_10multipliesIxEENS9_8equal_toIxEExEE10hipError_tPvRmT2_T3_T4_T5_mT6_T7_P12ihipStream_tbENKUlT_T0_E_clISt17integral_constantIbLb0EESY_IbLb1EEEEDaSU_SV_EUlSU_E_NS1_11comp_targetILNS1_3genE3ELNS1_11target_archE908ELNS1_3gpuE7ELNS1_3repE0EEENS1_30default_config_static_selectorELNS0_4arch9wavefront6targetE0EEEvT1_.numbered_sgpr, 0
	.set _ZN7rocprim17ROCPRIM_400000_NS6detail17trampoline_kernelINS0_14default_configENS1_27scan_by_key_config_selectorIxxEEZZNS1_16scan_by_key_implILNS1_25lookback_scan_determinismE0ELb0ES3_N6thrust23THRUST_200600_302600_NS6detail15normal_iteratorINS9_10device_ptrIxEEEESE_SE_xNS9_10multipliesIxEENS9_8equal_toIxEExEE10hipError_tPvRmT2_T3_T4_T5_mT6_T7_P12ihipStream_tbENKUlT_T0_E_clISt17integral_constantIbLb0EESY_IbLb1EEEEDaSU_SV_EUlSU_E_NS1_11comp_targetILNS1_3genE3ELNS1_11target_archE908ELNS1_3gpuE7ELNS1_3repE0EEENS1_30default_config_static_selectorELNS0_4arch9wavefront6targetE0EEEvT1_.num_named_barrier, 0
	.set _ZN7rocprim17ROCPRIM_400000_NS6detail17trampoline_kernelINS0_14default_configENS1_27scan_by_key_config_selectorIxxEEZZNS1_16scan_by_key_implILNS1_25lookback_scan_determinismE0ELb0ES3_N6thrust23THRUST_200600_302600_NS6detail15normal_iteratorINS9_10device_ptrIxEEEESE_SE_xNS9_10multipliesIxEENS9_8equal_toIxEExEE10hipError_tPvRmT2_T3_T4_T5_mT6_T7_P12ihipStream_tbENKUlT_T0_E_clISt17integral_constantIbLb0EESY_IbLb1EEEEDaSU_SV_EUlSU_E_NS1_11comp_targetILNS1_3genE3ELNS1_11target_archE908ELNS1_3gpuE7ELNS1_3repE0EEENS1_30default_config_static_selectorELNS0_4arch9wavefront6targetE0EEEvT1_.private_seg_size, 0
	.set _ZN7rocprim17ROCPRIM_400000_NS6detail17trampoline_kernelINS0_14default_configENS1_27scan_by_key_config_selectorIxxEEZZNS1_16scan_by_key_implILNS1_25lookback_scan_determinismE0ELb0ES3_N6thrust23THRUST_200600_302600_NS6detail15normal_iteratorINS9_10device_ptrIxEEEESE_SE_xNS9_10multipliesIxEENS9_8equal_toIxEExEE10hipError_tPvRmT2_T3_T4_T5_mT6_T7_P12ihipStream_tbENKUlT_T0_E_clISt17integral_constantIbLb0EESY_IbLb1EEEEDaSU_SV_EUlSU_E_NS1_11comp_targetILNS1_3genE3ELNS1_11target_archE908ELNS1_3gpuE7ELNS1_3repE0EEENS1_30default_config_static_selectorELNS0_4arch9wavefront6targetE0EEEvT1_.uses_vcc, 0
	.set _ZN7rocprim17ROCPRIM_400000_NS6detail17trampoline_kernelINS0_14default_configENS1_27scan_by_key_config_selectorIxxEEZZNS1_16scan_by_key_implILNS1_25lookback_scan_determinismE0ELb0ES3_N6thrust23THRUST_200600_302600_NS6detail15normal_iteratorINS9_10device_ptrIxEEEESE_SE_xNS9_10multipliesIxEENS9_8equal_toIxEExEE10hipError_tPvRmT2_T3_T4_T5_mT6_T7_P12ihipStream_tbENKUlT_T0_E_clISt17integral_constantIbLb0EESY_IbLb1EEEEDaSU_SV_EUlSU_E_NS1_11comp_targetILNS1_3genE3ELNS1_11target_archE908ELNS1_3gpuE7ELNS1_3repE0EEENS1_30default_config_static_selectorELNS0_4arch9wavefront6targetE0EEEvT1_.uses_flat_scratch, 0
	.set _ZN7rocprim17ROCPRIM_400000_NS6detail17trampoline_kernelINS0_14default_configENS1_27scan_by_key_config_selectorIxxEEZZNS1_16scan_by_key_implILNS1_25lookback_scan_determinismE0ELb0ES3_N6thrust23THRUST_200600_302600_NS6detail15normal_iteratorINS9_10device_ptrIxEEEESE_SE_xNS9_10multipliesIxEENS9_8equal_toIxEExEE10hipError_tPvRmT2_T3_T4_T5_mT6_T7_P12ihipStream_tbENKUlT_T0_E_clISt17integral_constantIbLb0EESY_IbLb1EEEEDaSU_SV_EUlSU_E_NS1_11comp_targetILNS1_3genE3ELNS1_11target_archE908ELNS1_3gpuE7ELNS1_3repE0EEENS1_30default_config_static_selectorELNS0_4arch9wavefront6targetE0EEEvT1_.has_dyn_sized_stack, 0
	.set _ZN7rocprim17ROCPRIM_400000_NS6detail17trampoline_kernelINS0_14default_configENS1_27scan_by_key_config_selectorIxxEEZZNS1_16scan_by_key_implILNS1_25lookback_scan_determinismE0ELb0ES3_N6thrust23THRUST_200600_302600_NS6detail15normal_iteratorINS9_10device_ptrIxEEEESE_SE_xNS9_10multipliesIxEENS9_8equal_toIxEExEE10hipError_tPvRmT2_T3_T4_T5_mT6_T7_P12ihipStream_tbENKUlT_T0_E_clISt17integral_constantIbLb0EESY_IbLb1EEEEDaSU_SV_EUlSU_E_NS1_11comp_targetILNS1_3genE3ELNS1_11target_archE908ELNS1_3gpuE7ELNS1_3repE0EEENS1_30default_config_static_selectorELNS0_4arch9wavefront6targetE0EEEvT1_.has_recursion, 0
	.set _ZN7rocprim17ROCPRIM_400000_NS6detail17trampoline_kernelINS0_14default_configENS1_27scan_by_key_config_selectorIxxEEZZNS1_16scan_by_key_implILNS1_25lookback_scan_determinismE0ELb0ES3_N6thrust23THRUST_200600_302600_NS6detail15normal_iteratorINS9_10device_ptrIxEEEESE_SE_xNS9_10multipliesIxEENS9_8equal_toIxEExEE10hipError_tPvRmT2_T3_T4_T5_mT6_T7_P12ihipStream_tbENKUlT_T0_E_clISt17integral_constantIbLb0EESY_IbLb1EEEEDaSU_SV_EUlSU_E_NS1_11comp_targetILNS1_3genE3ELNS1_11target_archE908ELNS1_3gpuE7ELNS1_3repE0EEENS1_30default_config_static_selectorELNS0_4arch9wavefront6targetE0EEEvT1_.has_indirect_call, 0
	.section	.AMDGPU.csdata,"",@progbits
; Kernel info:
; codeLenInByte = 0
; TotalNumSgprs: 0
; NumVgprs: 0
; ScratchSize: 0
; MemoryBound: 0
; FloatMode: 240
; IeeeMode: 1
; LDSByteSize: 0 bytes/workgroup (compile time only)
; SGPRBlocks: 0
; VGPRBlocks: 0
; NumSGPRsForWavesPerEU: 1
; NumVGPRsForWavesPerEU: 1
; Occupancy: 16
; WaveLimiterHint : 0
; COMPUTE_PGM_RSRC2:SCRATCH_EN: 0
; COMPUTE_PGM_RSRC2:USER_SGPR: 6
; COMPUTE_PGM_RSRC2:TRAP_HANDLER: 0
; COMPUTE_PGM_RSRC2:TGID_X_EN: 1
; COMPUTE_PGM_RSRC2:TGID_Y_EN: 0
; COMPUTE_PGM_RSRC2:TGID_Z_EN: 0
; COMPUTE_PGM_RSRC2:TIDIG_COMP_CNT: 0
	.section	.text._ZN7rocprim17ROCPRIM_400000_NS6detail17trampoline_kernelINS0_14default_configENS1_27scan_by_key_config_selectorIxxEEZZNS1_16scan_by_key_implILNS1_25lookback_scan_determinismE0ELb0ES3_N6thrust23THRUST_200600_302600_NS6detail15normal_iteratorINS9_10device_ptrIxEEEESE_SE_xNS9_10multipliesIxEENS9_8equal_toIxEExEE10hipError_tPvRmT2_T3_T4_T5_mT6_T7_P12ihipStream_tbENKUlT_T0_E_clISt17integral_constantIbLb0EESY_IbLb1EEEEDaSU_SV_EUlSU_E_NS1_11comp_targetILNS1_3genE2ELNS1_11target_archE906ELNS1_3gpuE6ELNS1_3repE0EEENS1_30default_config_static_selectorELNS0_4arch9wavefront6targetE0EEEvT1_,"axG",@progbits,_ZN7rocprim17ROCPRIM_400000_NS6detail17trampoline_kernelINS0_14default_configENS1_27scan_by_key_config_selectorIxxEEZZNS1_16scan_by_key_implILNS1_25lookback_scan_determinismE0ELb0ES3_N6thrust23THRUST_200600_302600_NS6detail15normal_iteratorINS9_10device_ptrIxEEEESE_SE_xNS9_10multipliesIxEENS9_8equal_toIxEExEE10hipError_tPvRmT2_T3_T4_T5_mT6_T7_P12ihipStream_tbENKUlT_T0_E_clISt17integral_constantIbLb0EESY_IbLb1EEEEDaSU_SV_EUlSU_E_NS1_11comp_targetILNS1_3genE2ELNS1_11target_archE906ELNS1_3gpuE6ELNS1_3repE0EEENS1_30default_config_static_selectorELNS0_4arch9wavefront6targetE0EEEvT1_,comdat
	.protected	_ZN7rocprim17ROCPRIM_400000_NS6detail17trampoline_kernelINS0_14default_configENS1_27scan_by_key_config_selectorIxxEEZZNS1_16scan_by_key_implILNS1_25lookback_scan_determinismE0ELb0ES3_N6thrust23THRUST_200600_302600_NS6detail15normal_iteratorINS9_10device_ptrIxEEEESE_SE_xNS9_10multipliesIxEENS9_8equal_toIxEExEE10hipError_tPvRmT2_T3_T4_T5_mT6_T7_P12ihipStream_tbENKUlT_T0_E_clISt17integral_constantIbLb0EESY_IbLb1EEEEDaSU_SV_EUlSU_E_NS1_11comp_targetILNS1_3genE2ELNS1_11target_archE906ELNS1_3gpuE6ELNS1_3repE0EEENS1_30default_config_static_selectorELNS0_4arch9wavefront6targetE0EEEvT1_ ; -- Begin function _ZN7rocprim17ROCPRIM_400000_NS6detail17trampoline_kernelINS0_14default_configENS1_27scan_by_key_config_selectorIxxEEZZNS1_16scan_by_key_implILNS1_25lookback_scan_determinismE0ELb0ES3_N6thrust23THRUST_200600_302600_NS6detail15normal_iteratorINS9_10device_ptrIxEEEESE_SE_xNS9_10multipliesIxEENS9_8equal_toIxEExEE10hipError_tPvRmT2_T3_T4_T5_mT6_T7_P12ihipStream_tbENKUlT_T0_E_clISt17integral_constantIbLb0EESY_IbLb1EEEEDaSU_SV_EUlSU_E_NS1_11comp_targetILNS1_3genE2ELNS1_11target_archE906ELNS1_3gpuE6ELNS1_3repE0EEENS1_30default_config_static_selectorELNS0_4arch9wavefront6targetE0EEEvT1_
	.globl	_ZN7rocprim17ROCPRIM_400000_NS6detail17trampoline_kernelINS0_14default_configENS1_27scan_by_key_config_selectorIxxEEZZNS1_16scan_by_key_implILNS1_25lookback_scan_determinismE0ELb0ES3_N6thrust23THRUST_200600_302600_NS6detail15normal_iteratorINS9_10device_ptrIxEEEESE_SE_xNS9_10multipliesIxEENS9_8equal_toIxEExEE10hipError_tPvRmT2_T3_T4_T5_mT6_T7_P12ihipStream_tbENKUlT_T0_E_clISt17integral_constantIbLb0EESY_IbLb1EEEEDaSU_SV_EUlSU_E_NS1_11comp_targetILNS1_3genE2ELNS1_11target_archE906ELNS1_3gpuE6ELNS1_3repE0EEENS1_30default_config_static_selectorELNS0_4arch9wavefront6targetE0EEEvT1_
	.p2align	8
	.type	_ZN7rocprim17ROCPRIM_400000_NS6detail17trampoline_kernelINS0_14default_configENS1_27scan_by_key_config_selectorIxxEEZZNS1_16scan_by_key_implILNS1_25lookback_scan_determinismE0ELb0ES3_N6thrust23THRUST_200600_302600_NS6detail15normal_iteratorINS9_10device_ptrIxEEEESE_SE_xNS9_10multipliesIxEENS9_8equal_toIxEExEE10hipError_tPvRmT2_T3_T4_T5_mT6_T7_P12ihipStream_tbENKUlT_T0_E_clISt17integral_constantIbLb0EESY_IbLb1EEEEDaSU_SV_EUlSU_E_NS1_11comp_targetILNS1_3genE2ELNS1_11target_archE906ELNS1_3gpuE6ELNS1_3repE0EEENS1_30default_config_static_selectorELNS0_4arch9wavefront6targetE0EEEvT1_,@function
_ZN7rocprim17ROCPRIM_400000_NS6detail17trampoline_kernelINS0_14default_configENS1_27scan_by_key_config_selectorIxxEEZZNS1_16scan_by_key_implILNS1_25lookback_scan_determinismE0ELb0ES3_N6thrust23THRUST_200600_302600_NS6detail15normal_iteratorINS9_10device_ptrIxEEEESE_SE_xNS9_10multipliesIxEENS9_8equal_toIxEExEE10hipError_tPvRmT2_T3_T4_T5_mT6_T7_P12ihipStream_tbENKUlT_T0_E_clISt17integral_constantIbLb0EESY_IbLb1EEEEDaSU_SV_EUlSU_E_NS1_11comp_targetILNS1_3genE2ELNS1_11target_archE906ELNS1_3gpuE6ELNS1_3repE0EEENS1_30default_config_static_selectorELNS0_4arch9wavefront6targetE0EEEvT1_: ; @_ZN7rocprim17ROCPRIM_400000_NS6detail17trampoline_kernelINS0_14default_configENS1_27scan_by_key_config_selectorIxxEEZZNS1_16scan_by_key_implILNS1_25lookback_scan_determinismE0ELb0ES3_N6thrust23THRUST_200600_302600_NS6detail15normal_iteratorINS9_10device_ptrIxEEEESE_SE_xNS9_10multipliesIxEENS9_8equal_toIxEExEE10hipError_tPvRmT2_T3_T4_T5_mT6_T7_P12ihipStream_tbENKUlT_T0_E_clISt17integral_constantIbLb0EESY_IbLb1EEEEDaSU_SV_EUlSU_E_NS1_11comp_targetILNS1_3genE2ELNS1_11target_archE906ELNS1_3gpuE6ELNS1_3repE0EEENS1_30default_config_static_selectorELNS0_4arch9wavefront6targetE0EEEvT1_
; %bb.0:
	.section	.rodata,"a",@progbits
	.p2align	6, 0x0
	.amdhsa_kernel _ZN7rocprim17ROCPRIM_400000_NS6detail17trampoline_kernelINS0_14default_configENS1_27scan_by_key_config_selectorIxxEEZZNS1_16scan_by_key_implILNS1_25lookback_scan_determinismE0ELb0ES3_N6thrust23THRUST_200600_302600_NS6detail15normal_iteratorINS9_10device_ptrIxEEEESE_SE_xNS9_10multipliesIxEENS9_8equal_toIxEExEE10hipError_tPvRmT2_T3_T4_T5_mT6_T7_P12ihipStream_tbENKUlT_T0_E_clISt17integral_constantIbLb0EESY_IbLb1EEEEDaSU_SV_EUlSU_E_NS1_11comp_targetILNS1_3genE2ELNS1_11target_archE906ELNS1_3gpuE6ELNS1_3repE0EEENS1_30default_config_static_selectorELNS0_4arch9wavefront6targetE0EEEvT1_
		.amdhsa_group_segment_fixed_size 0
		.amdhsa_private_segment_fixed_size 0
		.amdhsa_kernarg_size 136
		.amdhsa_user_sgpr_count 6
		.amdhsa_user_sgpr_private_segment_buffer 1
		.amdhsa_user_sgpr_dispatch_ptr 0
		.amdhsa_user_sgpr_queue_ptr 0
		.amdhsa_user_sgpr_kernarg_segment_ptr 1
		.amdhsa_user_sgpr_dispatch_id 0
		.amdhsa_user_sgpr_flat_scratch_init 0
		.amdhsa_user_sgpr_private_segment_size 0
		.amdhsa_wavefront_size32 1
		.amdhsa_uses_dynamic_stack 0
		.amdhsa_system_sgpr_private_segment_wavefront_offset 0
		.amdhsa_system_sgpr_workgroup_id_x 1
		.amdhsa_system_sgpr_workgroup_id_y 0
		.amdhsa_system_sgpr_workgroup_id_z 0
		.amdhsa_system_sgpr_workgroup_info 0
		.amdhsa_system_vgpr_workitem_id 0
		.amdhsa_next_free_vgpr 1
		.amdhsa_next_free_sgpr 1
		.amdhsa_reserve_vcc 0
		.amdhsa_reserve_flat_scratch 0
		.amdhsa_float_round_mode_32 0
		.amdhsa_float_round_mode_16_64 0
		.amdhsa_float_denorm_mode_32 3
		.amdhsa_float_denorm_mode_16_64 3
		.amdhsa_dx10_clamp 1
		.amdhsa_ieee_mode 1
		.amdhsa_fp16_overflow 0
		.amdhsa_workgroup_processor_mode 1
		.amdhsa_memory_ordered 1
		.amdhsa_forward_progress 1
		.amdhsa_shared_vgpr_count 0
		.amdhsa_exception_fp_ieee_invalid_op 0
		.amdhsa_exception_fp_denorm_src 0
		.amdhsa_exception_fp_ieee_div_zero 0
		.amdhsa_exception_fp_ieee_overflow 0
		.amdhsa_exception_fp_ieee_underflow 0
		.amdhsa_exception_fp_ieee_inexact 0
		.amdhsa_exception_int_div_zero 0
	.end_amdhsa_kernel
	.section	.text._ZN7rocprim17ROCPRIM_400000_NS6detail17trampoline_kernelINS0_14default_configENS1_27scan_by_key_config_selectorIxxEEZZNS1_16scan_by_key_implILNS1_25lookback_scan_determinismE0ELb0ES3_N6thrust23THRUST_200600_302600_NS6detail15normal_iteratorINS9_10device_ptrIxEEEESE_SE_xNS9_10multipliesIxEENS9_8equal_toIxEExEE10hipError_tPvRmT2_T3_T4_T5_mT6_T7_P12ihipStream_tbENKUlT_T0_E_clISt17integral_constantIbLb0EESY_IbLb1EEEEDaSU_SV_EUlSU_E_NS1_11comp_targetILNS1_3genE2ELNS1_11target_archE906ELNS1_3gpuE6ELNS1_3repE0EEENS1_30default_config_static_selectorELNS0_4arch9wavefront6targetE0EEEvT1_,"axG",@progbits,_ZN7rocprim17ROCPRIM_400000_NS6detail17trampoline_kernelINS0_14default_configENS1_27scan_by_key_config_selectorIxxEEZZNS1_16scan_by_key_implILNS1_25lookback_scan_determinismE0ELb0ES3_N6thrust23THRUST_200600_302600_NS6detail15normal_iteratorINS9_10device_ptrIxEEEESE_SE_xNS9_10multipliesIxEENS9_8equal_toIxEExEE10hipError_tPvRmT2_T3_T4_T5_mT6_T7_P12ihipStream_tbENKUlT_T0_E_clISt17integral_constantIbLb0EESY_IbLb1EEEEDaSU_SV_EUlSU_E_NS1_11comp_targetILNS1_3genE2ELNS1_11target_archE906ELNS1_3gpuE6ELNS1_3repE0EEENS1_30default_config_static_selectorELNS0_4arch9wavefront6targetE0EEEvT1_,comdat
.Lfunc_end79:
	.size	_ZN7rocprim17ROCPRIM_400000_NS6detail17trampoline_kernelINS0_14default_configENS1_27scan_by_key_config_selectorIxxEEZZNS1_16scan_by_key_implILNS1_25lookback_scan_determinismE0ELb0ES3_N6thrust23THRUST_200600_302600_NS6detail15normal_iteratorINS9_10device_ptrIxEEEESE_SE_xNS9_10multipliesIxEENS9_8equal_toIxEExEE10hipError_tPvRmT2_T3_T4_T5_mT6_T7_P12ihipStream_tbENKUlT_T0_E_clISt17integral_constantIbLb0EESY_IbLb1EEEEDaSU_SV_EUlSU_E_NS1_11comp_targetILNS1_3genE2ELNS1_11target_archE906ELNS1_3gpuE6ELNS1_3repE0EEENS1_30default_config_static_selectorELNS0_4arch9wavefront6targetE0EEEvT1_, .Lfunc_end79-_ZN7rocprim17ROCPRIM_400000_NS6detail17trampoline_kernelINS0_14default_configENS1_27scan_by_key_config_selectorIxxEEZZNS1_16scan_by_key_implILNS1_25lookback_scan_determinismE0ELb0ES3_N6thrust23THRUST_200600_302600_NS6detail15normal_iteratorINS9_10device_ptrIxEEEESE_SE_xNS9_10multipliesIxEENS9_8equal_toIxEExEE10hipError_tPvRmT2_T3_T4_T5_mT6_T7_P12ihipStream_tbENKUlT_T0_E_clISt17integral_constantIbLb0EESY_IbLb1EEEEDaSU_SV_EUlSU_E_NS1_11comp_targetILNS1_3genE2ELNS1_11target_archE906ELNS1_3gpuE6ELNS1_3repE0EEENS1_30default_config_static_selectorELNS0_4arch9wavefront6targetE0EEEvT1_
                                        ; -- End function
	.set _ZN7rocprim17ROCPRIM_400000_NS6detail17trampoline_kernelINS0_14default_configENS1_27scan_by_key_config_selectorIxxEEZZNS1_16scan_by_key_implILNS1_25lookback_scan_determinismE0ELb0ES3_N6thrust23THRUST_200600_302600_NS6detail15normal_iteratorINS9_10device_ptrIxEEEESE_SE_xNS9_10multipliesIxEENS9_8equal_toIxEExEE10hipError_tPvRmT2_T3_T4_T5_mT6_T7_P12ihipStream_tbENKUlT_T0_E_clISt17integral_constantIbLb0EESY_IbLb1EEEEDaSU_SV_EUlSU_E_NS1_11comp_targetILNS1_3genE2ELNS1_11target_archE906ELNS1_3gpuE6ELNS1_3repE0EEENS1_30default_config_static_selectorELNS0_4arch9wavefront6targetE0EEEvT1_.num_vgpr, 0
	.set _ZN7rocprim17ROCPRIM_400000_NS6detail17trampoline_kernelINS0_14default_configENS1_27scan_by_key_config_selectorIxxEEZZNS1_16scan_by_key_implILNS1_25lookback_scan_determinismE0ELb0ES3_N6thrust23THRUST_200600_302600_NS6detail15normal_iteratorINS9_10device_ptrIxEEEESE_SE_xNS9_10multipliesIxEENS9_8equal_toIxEExEE10hipError_tPvRmT2_T3_T4_T5_mT6_T7_P12ihipStream_tbENKUlT_T0_E_clISt17integral_constantIbLb0EESY_IbLb1EEEEDaSU_SV_EUlSU_E_NS1_11comp_targetILNS1_3genE2ELNS1_11target_archE906ELNS1_3gpuE6ELNS1_3repE0EEENS1_30default_config_static_selectorELNS0_4arch9wavefront6targetE0EEEvT1_.num_agpr, 0
	.set _ZN7rocprim17ROCPRIM_400000_NS6detail17trampoline_kernelINS0_14default_configENS1_27scan_by_key_config_selectorIxxEEZZNS1_16scan_by_key_implILNS1_25lookback_scan_determinismE0ELb0ES3_N6thrust23THRUST_200600_302600_NS6detail15normal_iteratorINS9_10device_ptrIxEEEESE_SE_xNS9_10multipliesIxEENS9_8equal_toIxEExEE10hipError_tPvRmT2_T3_T4_T5_mT6_T7_P12ihipStream_tbENKUlT_T0_E_clISt17integral_constantIbLb0EESY_IbLb1EEEEDaSU_SV_EUlSU_E_NS1_11comp_targetILNS1_3genE2ELNS1_11target_archE906ELNS1_3gpuE6ELNS1_3repE0EEENS1_30default_config_static_selectorELNS0_4arch9wavefront6targetE0EEEvT1_.numbered_sgpr, 0
	.set _ZN7rocprim17ROCPRIM_400000_NS6detail17trampoline_kernelINS0_14default_configENS1_27scan_by_key_config_selectorIxxEEZZNS1_16scan_by_key_implILNS1_25lookback_scan_determinismE0ELb0ES3_N6thrust23THRUST_200600_302600_NS6detail15normal_iteratorINS9_10device_ptrIxEEEESE_SE_xNS9_10multipliesIxEENS9_8equal_toIxEExEE10hipError_tPvRmT2_T3_T4_T5_mT6_T7_P12ihipStream_tbENKUlT_T0_E_clISt17integral_constantIbLb0EESY_IbLb1EEEEDaSU_SV_EUlSU_E_NS1_11comp_targetILNS1_3genE2ELNS1_11target_archE906ELNS1_3gpuE6ELNS1_3repE0EEENS1_30default_config_static_selectorELNS0_4arch9wavefront6targetE0EEEvT1_.num_named_barrier, 0
	.set _ZN7rocprim17ROCPRIM_400000_NS6detail17trampoline_kernelINS0_14default_configENS1_27scan_by_key_config_selectorIxxEEZZNS1_16scan_by_key_implILNS1_25lookback_scan_determinismE0ELb0ES3_N6thrust23THRUST_200600_302600_NS6detail15normal_iteratorINS9_10device_ptrIxEEEESE_SE_xNS9_10multipliesIxEENS9_8equal_toIxEExEE10hipError_tPvRmT2_T3_T4_T5_mT6_T7_P12ihipStream_tbENKUlT_T0_E_clISt17integral_constantIbLb0EESY_IbLb1EEEEDaSU_SV_EUlSU_E_NS1_11comp_targetILNS1_3genE2ELNS1_11target_archE906ELNS1_3gpuE6ELNS1_3repE0EEENS1_30default_config_static_selectorELNS0_4arch9wavefront6targetE0EEEvT1_.private_seg_size, 0
	.set _ZN7rocprim17ROCPRIM_400000_NS6detail17trampoline_kernelINS0_14default_configENS1_27scan_by_key_config_selectorIxxEEZZNS1_16scan_by_key_implILNS1_25lookback_scan_determinismE0ELb0ES3_N6thrust23THRUST_200600_302600_NS6detail15normal_iteratorINS9_10device_ptrIxEEEESE_SE_xNS9_10multipliesIxEENS9_8equal_toIxEExEE10hipError_tPvRmT2_T3_T4_T5_mT6_T7_P12ihipStream_tbENKUlT_T0_E_clISt17integral_constantIbLb0EESY_IbLb1EEEEDaSU_SV_EUlSU_E_NS1_11comp_targetILNS1_3genE2ELNS1_11target_archE906ELNS1_3gpuE6ELNS1_3repE0EEENS1_30default_config_static_selectorELNS0_4arch9wavefront6targetE0EEEvT1_.uses_vcc, 0
	.set _ZN7rocprim17ROCPRIM_400000_NS6detail17trampoline_kernelINS0_14default_configENS1_27scan_by_key_config_selectorIxxEEZZNS1_16scan_by_key_implILNS1_25lookback_scan_determinismE0ELb0ES3_N6thrust23THRUST_200600_302600_NS6detail15normal_iteratorINS9_10device_ptrIxEEEESE_SE_xNS9_10multipliesIxEENS9_8equal_toIxEExEE10hipError_tPvRmT2_T3_T4_T5_mT6_T7_P12ihipStream_tbENKUlT_T0_E_clISt17integral_constantIbLb0EESY_IbLb1EEEEDaSU_SV_EUlSU_E_NS1_11comp_targetILNS1_3genE2ELNS1_11target_archE906ELNS1_3gpuE6ELNS1_3repE0EEENS1_30default_config_static_selectorELNS0_4arch9wavefront6targetE0EEEvT1_.uses_flat_scratch, 0
	.set _ZN7rocprim17ROCPRIM_400000_NS6detail17trampoline_kernelINS0_14default_configENS1_27scan_by_key_config_selectorIxxEEZZNS1_16scan_by_key_implILNS1_25lookback_scan_determinismE0ELb0ES3_N6thrust23THRUST_200600_302600_NS6detail15normal_iteratorINS9_10device_ptrIxEEEESE_SE_xNS9_10multipliesIxEENS9_8equal_toIxEExEE10hipError_tPvRmT2_T3_T4_T5_mT6_T7_P12ihipStream_tbENKUlT_T0_E_clISt17integral_constantIbLb0EESY_IbLb1EEEEDaSU_SV_EUlSU_E_NS1_11comp_targetILNS1_3genE2ELNS1_11target_archE906ELNS1_3gpuE6ELNS1_3repE0EEENS1_30default_config_static_selectorELNS0_4arch9wavefront6targetE0EEEvT1_.has_dyn_sized_stack, 0
	.set _ZN7rocprim17ROCPRIM_400000_NS6detail17trampoline_kernelINS0_14default_configENS1_27scan_by_key_config_selectorIxxEEZZNS1_16scan_by_key_implILNS1_25lookback_scan_determinismE0ELb0ES3_N6thrust23THRUST_200600_302600_NS6detail15normal_iteratorINS9_10device_ptrIxEEEESE_SE_xNS9_10multipliesIxEENS9_8equal_toIxEExEE10hipError_tPvRmT2_T3_T4_T5_mT6_T7_P12ihipStream_tbENKUlT_T0_E_clISt17integral_constantIbLb0EESY_IbLb1EEEEDaSU_SV_EUlSU_E_NS1_11comp_targetILNS1_3genE2ELNS1_11target_archE906ELNS1_3gpuE6ELNS1_3repE0EEENS1_30default_config_static_selectorELNS0_4arch9wavefront6targetE0EEEvT1_.has_recursion, 0
	.set _ZN7rocprim17ROCPRIM_400000_NS6detail17trampoline_kernelINS0_14default_configENS1_27scan_by_key_config_selectorIxxEEZZNS1_16scan_by_key_implILNS1_25lookback_scan_determinismE0ELb0ES3_N6thrust23THRUST_200600_302600_NS6detail15normal_iteratorINS9_10device_ptrIxEEEESE_SE_xNS9_10multipliesIxEENS9_8equal_toIxEExEE10hipError_tPvRmT2_T3_T4_T5_mT6_T7_P12ihipStream_tbENKUlT_T0_E_clISt17integral_constantIbLb0EESY_IbLb1EEEEDaSU_SV_EUlSU_E_NS1_11comp_targetILNS1_3genE2ELNS1_11target_archE906ELNS1_3gpuE6ELNS1_3repE0EEENS1_30default_config_static_selectorELNS0_4arch9wavefront6targetE0EEEvT1_.has_indirect_call, 0
	.section	.AMDGPU.csdata,"",@progbits
; Kernel info:
; codeLenInByte = 0
; TotalNumSgprs: 0
; NumVgprs: 0
; ScratchSize: 0
; MemoryBound: 0
; FloatMode: 240
; IeeeMode: 1
; LDSByteSize: 0 bytes/workgroup (compile time only)
; SGPRBlocks: 0
; VGPRBlocks: 0
; NumSGPRsForWavesPerEU: 1
; NumVGPRsForWavesPerEU: 1
; Occupancy: 16
; WaveLimiterHint : 0
; COMPUTE_PGM_RSRC2:SCRATCH_EN: 0
; COMPUTE_PGM_RSRC2:USER_SGPR: 6
; COMPUTE_PGM_RSRC2:TRAP_HANDLER: 0
; COMPUTE_PGM_RSRC2:TGID_X_EN: 1
; COMPUTE_PGM_RSRC2:TGID_Y_EN: 0
; COMPUTE_PGM_RSRC2:TGID_Z_EN: 0
; COMPUTE_PGM_RSRC2:TIDIG_COMP_CNT: 0
	.section	.text._ZN7rocprim17ROCPRIM_400000_NS6detail17trampoline_kernelINS0_14default_configENS1_27scan_by_key_config_selectorIxxEEZZNS1_16scan_by_key_implILNS1_25lookback_scan_determinismE0ELb0ES3_N6thrust23THRUST_200600_302600_NS6detail15normal_iteratorINS9_10device_ptrIxEEEESE_SE_xNS9_10multipliesIxEENS9_8equal_toIxEExEE10hipError_tPvRmT2_T3_T4_T5_mT6_T7_P12ihipStream_tbENKUlT_T0_E_clISt17integral_constantIbLb0EESY_IbLb1EEEEDaSU_SV_EUlSU_E_NS1_11comp_targetILNS1_3genE10ELNS1_11target_archE1200ELNS1_3gpuE4ELNS1_3repE0EEENS1_30default_config_static_selectorELNS0_4arch9wavefront6targetE0EEEvT1_,"axG",@progbits,_ZN7rocprim17ROCPRIM_400000_NS6detail17trampoline_kernelINS0_14default_configENS1_27scan_by_key_config_selectorIxxEEZZNS1_16scan_by_key_implILNS1_25lookback_scan_determinismE0ELb0ES3_N6thrust23THRUST_200600_302600_NS6detail15normal_iteratorINS9_10device_ptrIxEEEESE_SE_xNS9_10multipliesIxEENS9_8equal_toIxEExEE10hipError_tPvRmT2_T3_T4_T5_mT6_T7_P12ihipStream_tbENKUlT_T0_E_clISt17integral_constantIbLb0EESY_IbLb1EEEEDaSU_SV_EUlSU_E_NS1_11comp_targetILNS1_3genE10ELNS1_11target_archE1200ELNS1_3gpuE4ELNS1_3repE0EEENS1_30default_config_static_selectorELNS0_4arch9wavefront6targetE0EEEvT1_,comdat
	.protected	_ZN7rocprim17ROCPRIM_400000_NS6detail17trampoline_kernelINS0_14default_configENS1_27scan_by_key_config_selectorIxxEEZZNS1_16scan_by_key_implILNS1_25lookback_scan_determinismE0ELb0ES3_N6thrust23THRUST_200600_302600_NS6detail15normal_iteratorINS9_10device_ptrIxEEEESE_SE_xNS9_10multipliesIxEENS9_8equal_toIxEExEE10hipError_tPvRmT2_T3_T4_T5_mT6_T7_P12ihipStream_tbENKUlT_T0_E_clISt17integral_constantIbLb0EESY_IbLb1EEEEDaSU_SV_EUlSU_E_NS1_11comp_targetILNS1_3genE10ELNS1_11target_archE1200ELNS1_3gpuE4ELNS1_3repE0EEENS1_30default_config_static_selectorELNS0_4arch9wavefront6targetE0EEEvT1_ ; -- Begin function _ZN7rocprim17ROCPRIM_400000_NS6detail17trampoline_kernelINS0_14default_configENS1_27scan_by_key_config_selectorIxxEEZZNS1_16scan_by_key_implILNS1_25lookback_scan_determinismE0ELb0ES3_N6thrust23THRUST_200600_302600_NS6detail15normal_iteratorINS9_10device_ptrIxEEEESE_SE_xNS9_10multipliesIxEENS9_8equal_toIxEExEE10hipError_tPvRmT2_T3_T4_T5_mT6_T7_P12ihipStream_tbENKUlT_T0_E_clISt17integral_constantIbLb0EESY_IbLb1EEEEDaSU_SV_EUlSU_E_NS1_11comp_targetILNS1_3genE10ELNS1_11target_archE1200ELNS1_3gpuE4ELNS1_3repE0EEENS1_30default_config_static_selectorELNS0_4arch9wavefront6targetE0EEEvT1_
	.globl	_ZN7rocprim17ROCPRIM_400000_NS6detail17trampoline_kernelINS0_14default_configENS1_27scan_by_key_config_selectorIxxEEZZNS1_16scan_by_key_implILNS1_25lookback_scan_determinismE0ELb0ES3_N6thrust23THRUST_200600_302600_NS6detail15normal_iteratorINS9_10device_ptrIxEEEESE_SE_xNS9_10multipliesIxEENS9_8equal_toIxEExEE10hipError_tPvRmT2_T3_T4_T5_mT6_T7_P12ihipStream_tbENKUlT_T0_E_clISt17integral_constantIbLb0EESY_IbLb1EEEEDaSU_SV_EUlSU_E_NS1_11comp_targetILNS1_3genE10ELNS1_11target_archE1200ELNS1_3gpuE4ELNS1_3repE0EEENS1_30default_config_static_selectorELNS0_4arch9wavefront6targetE0EEEvT1_
	.p2align	8
	.type	_ZN7rocprim17ROCPRIM_400000_NS6detail17trampoline_kernelINS0_14default_configENS1_27scan_by_key_config_selectorIxxEEZZNS1_16scan_by_key_implILNS1_25lookback_scan_determinismE0ELb0ES3_N6thrust23THRUST_200600_302600_NS6detail15normal_iteratorINS9_10device_ptrIxEEEESE_SE_xNS9_10multipliesIxEENS9_8equal_toIxEExEE10hipError_tPvRmT2_T3_T4_T5_mT6_T7_P12ihipStream_tbENKUlT_T0_E_clISt17integral_constantIbLb0EESY_IbLb1EEEEDaSU_SV_EUlSU_E_NS1_11comp_targetILNS1_3genE10ELNS1_11target_archE1200ELNS1_3gpuE4ELNS1_3repE0EEENS1_30default_config_static_selectorELNS0_4arch9wavefront6targetE0EEEvT1_,@function
_ZN7rocprim17ROCPRIM_400000_NS6detail17trampoline_kernelINS0_14default_configENS1_27scan_by_key_config_selectorIxxEEZZNS1_16scan_by_key_implILNS1_25lookback_scan_determinismE0ELb0ES3_N6thrust23THRUST_200600_302600_NS6detail15normal_iteratorINS9_10device_ptrIxEEEESE_SE_xNS9_10multipliesIxEENS9_8equal_toIxEExEE10hipError_tPvRmT2_T3_T4_T5_mT6_T7_P12ihipStream_tbENKUlT_T0_E_clISt17integral_constantIbLb0EESY_IbLb1EEEEDaSU_SV_EUlSU_E_NS1_11comp_targetILNS1_3genE10ELNS1_11target_archE1200ELNS1_3gpuE4ELNS1_3repE0EEENS1_30default_config_static_selectorELNS0_4arch9wavefront6targetE0EEEvT1_: ; @_ZN7rocprim17ROCPRIM_400000_NS6detail17trampoline_kernelINS0_14default_configENS1_27scan_by_key_config_selectorIxxEEZZNS1_16scan_by_key_implILNS1_25lookback_scan_determinismE0ELb0ES3_N6thrust23THRUST_200600_302600_NS6detail15normal_iteratorINS9_10device_ptrIxEEEESE_SE_xNS9_10multipliesIxEENS9_8equal_toIxEExEE10hipError_tPvRmT2_T3_T4_T5_mT6_T7_P12ihipStream_tbENKUlT_T0_E_clISt17integral_constantIbLb0EESY_IbLb1EEEEDaSU_SV_EUlSU_E_NS1_11comp_targetILNS1_3genE10ELNS1_11target_archE1200ELNS1_3gpuE4ELNS1_3repE0EEENS1_30default_config_static_selectorELNS0_4arch9wavefront6targetE0EEEvT1_
; %bb.0:
	.section	.rodata,"a",@progbits
	.p2align	6, 0x0
	.amdhsa_kernel _ZN7rocprim17ROCPRIM_400000_NS6detail17trampoline_kernelINS0_14default_configENS1_27scan_by_key_config_selectorIxxEEZZNS1_16scan_by_key_implILNS1_25lookback_scan_determinismE0ELb0ES3_N6thrust23THRUST_200600_302600_NS6detail15normal_iteratorINS9_10device_ptrIxEEEESE_SE_xNS9_10multipliesIxEENS9_8equal_toIxEExEE10hipError_tPvRmT2_T3_T4_T5_mT6_T7_P12ihipStream_tbENKUlT_T0_E_clISt17integral_constantIbLb0EESY_IbLb1EEEEDaSU_SV_EUlSU_E_NS1_11comp_targetILNS1_3genE10ELNS1_11target_archE1200ELNS1_3gpuE4ELNS1_3repE0EEENS1_30default_config_static_selectorELNS0_4arch9wavefront6targetE0EEEvT1_
		.amdhsa_group_segment_fixed_size 0
		.amdhsa_private_segment_fixed_size 0
		.amdhsa_kernarg_size 136
		.amdhsa_user_sgpr_count 6
		.amdhsa_user_sgpr_private_segment_buffer 1
		.amdhsa_user_sgpr_dispatch_ptr 0
		.amdhsa_user_sgpr_queue_ptr 0
		.amdhsa_user_sgpr_kernarg_segment_ptr 1
		.amdhsa_user_sgpr_dispatch_id 0
		.amdhsa_user_sgpr_flat_scratch_init 0
		.amdhsa_user_sgpr_private_segment_size 0
		.amdhsa_wavefront_size32 1
		.amdhsa_uses_dynamic_stack 0
		.amdhsa_system_sgpr_private_segment_wavefront_offset 0
		.amdhsa_system_sgpr_workgroup_id_x 1
		.amdhsa_system_sgpr_workgroup_id_y 0
		.amdhsa_system_sgpr_workgroup_id_z 0
		.amdhsa_system_sgpr_workgroup_info 0
		.amdhsa_system_vgpr_workitem_id 0
		.amdhsa_next_free_vgpr 1
		.amdhsa_next_free_sgpr 1
		.amdhsa_reserve_vcc 0
		.amdhsa_reserve_flat_scratch 0
		.amdhsa_float_round_mode_32 0
		.amdhsa_float_round_mode_16_64 0
		.amdhsa_float_denorm_mode_32 3
		.amdhsa_float_denorm_mode_16_64 3
		.amdhsa_dx10_clamp 1
		.amdhsa_ieee_mode 1
		.amdhsa_fp16_overflow 0
		.amdhsa_workgroup_processor_mode 1
		.amdhsa_memory_ordered 1
		.amdhsa_forward_progress 1
		.amdhsa_shared_vgpr_count 0
		.amdhsa_exception_fp_ieee_invalid_op 0
		.amdhsa_exception_fp_denorm_src 0
		.amdhsa_exception_fp_ieee_div_zero 0
		.amdhsa_exception_fp_ieee_overflow 0
		.amdhsa_exception_fp_ieee_underflow 0
		.amdhsa_exception_fp_ieee_inexact 0
		.amdhsa_exception_int_div_zero 0
	.end_amdhsa_kernel
	.section	.text._ZN7rocprim17ROCPRIM_400000_NS6detail17trampoline_kernelINS0_14default_configENS1_27scan_by_key_config_selectorIxxEEZZNS1_16scan_by_key_implILNS1_25lookback_scan_determinismE0ELb0ES3_N6thrust23THRUST_200600_302600_NS6detail15normal_iteratorINS9_10device_ptrIxEEEESE_SE_xNS9_10multipliesIxEENS9_8equal_toIxEExEE10hipError_tPvRmT2_T3_T4_T5_mT6_T7_P12ihipStream_tbENKUlT_T0_E_clISt17integral_constantIbLb0EESY_IbLb1EEEEDaSU_SV_EUlSU_E_NS1_11comp_targetILNS1_3genE10ELNS1_11target_archE1200ELNS1_3gpuE4ELNS1_3repE0EEENS1_30default_config_static_selectorELNS0_4arch9wavefront6targetE0EEEvT1_,"axG",@progbits,_ZN7rocprim17ROCPRIM_400000_NS6detail17trampoline_kernelINS0_14default_configENS1_27scan_by_key_config_selectorIxxEEZZNS1_16scan_by_key_implILNS1_25lookback_scan_determinismE0ELb0ES3_N6thrust23THRUST_200600_302600_NS6detail15normal_iteratorINS9_10device_ptrIxEEEESE_SE_xNS9_10multipliesIxEENS9_8equal_toIxEExEE10hipError_tPvRmT2_T3_T4_T5_mT6_T7_P12ihipStream_tbENKUlT_T0_E_clISt17integral_constantIbLb0EESY_IbLb1EEEEDaSU_SV_EUlSU_E_NS1_11comp_targetILNS1_3genE10ELNS1_11target_archE1200ELNS1_3gpuE4ELNS1_3repE0EEENS1_30default_config_static_selectorELNS0_4arch9wavefront6targetE0EEEvT1_,comdat
.Lfunc_end80:
	.size	_ZN7rocprim17ROCPRIM_400000_NS6detail17trampoline_kernelINS0_14default_configENS1_27scan_by_key_config_selectorIxxEEZZNS1_16scan_by_key_implILNS1_25lookback_scan_determinismE0ELb0ES3_N6thrust23THRUST_200600_302600_NS6detail15normal_iteratorINS9_10device_ptrIxEEEESE_SE_xNS9_10multipliesIxEENS9_8equal_toIxEExEE10hipError_tPvRmT2_T3_T4_T5_mT6_T7_P12ihipStream_tbENKUlT_T0_E_clISt17integral_constantIbLb0EESY_IbLb1EEEEDaSU_SV_EUlSU_E_NS1_11comp_targetILNS1_3genE10ELNS1_11target_archE1200ELNS1_3gpuE4ELNS1_3repE0EEENS1_30default_config_static_selectorELNS0_4arch9wavefront6targetE0EEEvT1_, .Lfunc_end80-_ZN7rocprim17ROCPRIM_400000_NS6detail17trampoline_kernelINS0_14default_configENS1_27scan_by_key_config_selectorIxxEEZZNS1_16scan_by_key_implILNS1_25lookback_scan_determinismE0ELb0ES3_N6thrust23THRUST_200600_302600_NS6detail15normal_iteratorINS9_10device_ptrIxEEEESE_SE_xNS9_10multipliesIxEENS9_8equal_toIxEExEE10hipError_tPvRmT2_T3_T4_T5_mT6_T7_P12ihipStream_tbENKUlT_T0_E_clISt17integral_constantIbLb0EESY_IbLb1EEEEDaSU_SV_EUlSU_E_NS1_11comp_targetILNS1_3genE10ELNS1_11target_archE1200ELNS1_3gpuE4ELNS1_3repE0EEENS1_30default_config_static_selectorELNS0_4arch9wavefront6targetE0EEEvT1_
                                        ; -- End function
	.set _ZN7rocprim17ROCPRIM_400000_NS6detail17trampoline_kernelINS0_14default_configENS1_27scan_by_key_config_selectorIxxEEZZNS1_16scan_by_key_implILNS1_25lookback_scan_determinismE0ELb0ES3_N6thrust23THRUST_200600_302600_NS6detail15normal_iteratorINS9_10device_ptrIxEEEESE_SE_xNS9_10multipliesIxEENS9_8equal_toIxEExEE10hipError_tPvRmT2_T3_T4_T5_mT6_T7_P12ihipStream_tbENKUlT_T0_E_clISt17integral_constantIbLb0EESY_IbLb1EEEEDaSU_SV_EUlSU_E_NS1_11comp_targetILNS1_3genE10ELNS1_11target_archE1200ELNS1_3gpuE4ELNS1_3repE0EEENS1_30default_config_static_selectorELNS0_4arch9wavefront6targetE0EEEvT1_.num_vgpr, 0
	.set _ZN7rocprim17ROCPRIM_400000_NS6detail17trampoline_kernelINS0_14default_configENS1_27scan_by_key_config_selectorIxxEEZZNS1_16scan_by_key_implILNS1_25lookback_scan_determinismE0ELb0ES3_N6thrust23THRUST_200600_302600_NS6detail15normal_iteratorINS9_10device_ptrIxEEEESE_SE_xNS9_10multipliesIxEENS9_8equal_toIxEExEE10hipError_tPvRmT2_T3_T4_T5_mT6_T7_P12ihipStream_tbENKUlT_T0_E_clISt17integral_constantIbLb0EESY_IbLb1EEEEDaSU_SV_EUlSU_E_NS1_11comp_targetILNS1_3genE10ELNS1_11target_archE1200ELNS1_3gpuE4ELNS1_3repE0EEENS1_30default_config_static_selectorELNS0_4arch9wavefront6targetE0EEEvT1_.num_agpr, 0
	.set _ZN7rocprim17ROCPRIM_400000_NS6detail17trampoline_kernelINS0_14default_configENS1_27scan_by_key_config_selectorIxxEEZZNS1_16scan_by_key_implILNS1_25lookback_scan_determinismE0ELb0ES3_N6thrust23THRUST_200600_302600_NS6detail15normal_iteratorINS9_10device_ptrIxEEEESE_SE_xNS9_10multipliesIxEENS9_8equal_toIxEExEE10hipError_tPvRmT2_T3_T4_T5_mT6_T7_P12ihipStream_tbENKUlT_T0_E_clISt17integral_constantIbLb0EESY_IbLb1EEEEDaSU_SV_EUlSU_E_NS1_11comp_targetILNS1_3genE10ELNS1_11target_archE1200ELNS1_3gpuE4ELNS1_3repE0EEENS1_30default_config_static_selectorELNS0_4arch9wavefront6targetE0EEEvT1_.numbered_sgpr, 0
	.set _ZN7rocprim17ROCPRIM_400000_NS6detail17trampoline_kernelINS0_14default_configENS1_27scan_by_key_config_selectorIxxEEZZNS1_16scan_by_key_implILNS1_25lookback_scan_determinismE0ELb0ES3_N6thrust23THRUST_200600_302600_NS6detail15normal_iteratorINS9_10device_ptrIxEEEESE_SE_xNS9_10multipliesIxEENS9_8equal_toIxEExEE10hipError_tPvRmT2_T3_T4_T5_mT6_T7_P12ihipStream_tbENKUlT_T0_E_clISt17integral_constantIbLb0EESY_IbLb1EEEEDaSU_SV_EUlSU_E_NS1_11comp_targetILNS1_3genE10ELNS1_11target_archE1200ELNS1_3gpuE4ELNS1_3repE0EEENS1_30default_config_static_selectorELNS0_4arch9wavefront6targetE0EEEvT1_.num_named_barrier, 0
	.set _ZN7rocprim17ROCPRIM_400000_NS6detail17trampoline_kernelINS0_14default_configENS1_27scan_by_key_config_selectorIxxEEZZNS1_16scan_by_key_implILNS1_25lookback_scan_determinismE0ELb0ES3_N6thrust23THRUST_200600_302600_NS6detail15normal_iteratorINS9_10device_ptrIxEEEESE_SE_xNS9_10multipliesIxEENS9_8equal_toIxEExEE10hipError_tPvRmT2_T3_T4_T5_mT6_T7_P12ihipStream_tbENKUlT_T0_E_clISt17integral_constantIbLb0EESY_IbLb1EEEEDaSU_SV_EUlSU_E_NS1_11comp_targetILNS1_3genE10ELNS1_11target_archE1200ELNS1_3gpuE4ELNS1_3repE0EEENS1_30default_config_static_selectorELNS0_4arch9wavefront6targetE0EEEvT1_.private_seg_size, 0
	.set _ZN7rocprim17ROCPRIM_400000_NS6detail17trampoline_kernelINS0_14default_configENS1_27scan_by_key_config_selectorIxxEEZZNS1_16scan_by_key_implILNS1_25lookback_scan_determinismE0ELb0ES3_N6thrust23THRUST_200600_302600_NS6detail15normal_iteratorINS9_10device_ptrIxEEEESE_SE_xNS9_10multipliesIxEENS9_8equal_toIxEExEE10hipError_tPvRmT2_T3_T4_T5_mT6_T7_P12ihipStream_tbENKUlT_T0_E_clISt17integral_constantIbLb0EESY_IbLb1EEEEDaSU_SV_EUlSU_E_NS1_11comp_targetILNS1_3genE10ELNS1_11target_archE1200ELNS1_3gpuE4ELNS1_3repE0EEENS1_30default_config_static_selectorELNS0_4arch9wavefront6targetE0EEEvT1_.uses_vcc, 0
	.set _ZN7rocprim17ROCPRIM_400000_NS6detail17trampoline_kernelINS0_14default_configENS1_27scan_by_key_config_selectorIxxEEZZNS1_16scan_by_key_implILNS1_25lookback_scan_determinismE0ELb0ES3_N6thrust23THRUST_200600_302600_NS6detail15normal_iteratorINS9_10device_ptrIxEEEESE_SE_xNS9_10multipliesIxEENS9_8equal_toIxEExEE10hipError_tPvRmT2_T3_T4_T5_mT6_T7_P12ihipStream_tbENKUlT_T0_E_clISt17integral_constantIbLb0EESY_IbLb1EEEEDaSU_SV_EUlSU_E_NS1_11comp_targetILNS1_3genE10ELNS1_11target_archE1200ELNS1_3gpuE4ELNS1_3repE0EEENS1_30default_config_static_selectorELNS0_4arch9wavefront6targetE0EEEvT1_.uses_flat_scratch, 0
	.set _ZN7rocprim17ROCPRIM_400000_NS6detail17trampoline_kernelINS0_14default_configENS1_27scan_by_key_config_selectorIxxEEZZNS1_16scan_by_key_implILNS1_25lookback_scan_determinismE0ELb0ES3_N6thrust23THRUST_200600_302600_NS6detail15normal_iteratorINS9_10device_ptrIxEEEESE_SE_xNS9_10multipliesIxEENS9_8equal_toIxEExEE10hipError_tPvRmT2_T3_T4_T5_mT6_T7_P12ihipStream_tbENKUlT_T0_E_clISt17integral_constantIbLb0EESY_IbLb1EEEEDaSU_SV_EUlSU_E_NS1_11comp_targetILNS1_3genE10ELNS1_11target_archE1200ELNS1_3gpuE4ELNS1_3repE0EEENS1_30default_config_static_selectorELNS0_4arch9wavefront6targetE0EEEvT1_.has_dyn_sized_stack, 0
	.set _ZN7rocprim17ROCPRIM_400000_NS6detail17trampoline_kernelINS0_14default_configENS1_27scan_by_key_config_selectorIxxEEZZNS1_16scan_by_key_implILNS1_25lookback_scan_determinismE0ELb0ES3_N6thrust23THRUST_200600_302600_NS6detail15normal_iteratorINS9_10device_ptrIxEEEESE_SE_xNS9_10multipliesIxEENS9_8equal_toIxEExEE10hipError_tPvRmT2_T3_T4_T5_mT6_T7_P12ihipStream_tbENKUlT_T0_E_clISt17integral_constantIbLb0EESY_IbLb1EEEEDaSU_SV_EUlSU_E_NS1_11comp_targetILNS1_3genE10ELNS1_11target_archE1200ELNS1_3gpuE4ELNS1_3repE0EEENS1_30default_config_static_selectorELNS0_4arch9wavefront6targetE0EEEvT1_.has_recursion, 0
	.set _ZN7rocprim17ROCPRIM_400000_NS6detail17trampoline_kernelINS0_14default_configENS1_27scan_by_key_config_selectorIxxEEZZNS1_16scan_by_key_implILNS1_25lookback_scan_determinismE0ELb0ES3_N6thrust23THRUST_200600_302600_NS6detail15normal_iteratorINS9_10device_ptrIxEEEESE_SE_xNS9_10multipliesIxEENS9_8equal_toIxEExEE10hipError_tPvRmT2_T3_T4_T5_mT6_T7_P12ihipStream_tbENKUlT_T0_E_clISt17integral_constantIbLb0EESY_IbLb1EEEEDaSU_SV_EUlSU_E_NS1_11comp_targetILNS1_3genE10ELNS1_11target_archE1200ELNS1_3gpuE4ELNS1_3repE0EEENS1_30default_config_static_selectorELNS0_4arch9wavefront6targetE0EEEvT1_.has_indirect_call, 0
	.section	.AMDGPU.csdata,"",@progbits
; Kernel info:
; codeLenInByte = 0
; TotalNumSgprs: 0
; NumVgprs: 0
; ScratchSize: 0
; MemoryBound: 0
; FloatMode: 240
; IeeeMode: 1
; LDSByteSize: 0 bytes/workgroup (compile time only)
; SGPRBlocks: 0
; VGPRBlocks: 0
; NumSGPRsForWavesPerEU: 1
; NumVGPRsForWavesPerEU: 1
; Occupancy: 16
; WaveLimiterHint : 0
; COMPUTE_PGM_RSRC2:SCRATCH_EN: 0
; COMPUTE_PGM_RSRC2:USER_SGPR: 6
; COMPUTE_PGM_RSRC2:TRAP_HANDLER: 0
; COMPUTE_PGM_RSRC2:TGID_X_EN: 1
; COMPUTE_PGM_RSRC2:TGID_Y_EN: 0
; COMPUTE_PGM_RSRC2:TGID_Z_EN: 0
; COMPUTE_PGM_RSRC2:TIDIG_COMP_CNT: 0
	.section	.text._ZN7rocprim17ROCPRIM_400000_NS6detail17trampoline_kernelINS0_14default_configENS1_27scan_by_key_config_selectorIxxEEZZNS1_16scan_by_key_implILNS1_25lookback_scan_determinismE0ELb0ES3_N6thrust23THRUST_200600_302600_NS6detail15normal_iteratorINS9_10device_ptrIxEEEESE_SE_xNS9_10multipliesIxEENS9_8equal_toIxEExEE10hipError_tPvRmT2_T3_T4_T5_mT6_T7_P12ihipStream_tbENKUlT_T0_E_clISt17integral_constantIbLb0EESY_IbLb1EEEEDaSU_SV_EUlSU_E_NS1_11comp_targetILNS1_3genE9ELNS1_11target_archE1100ELNS1_3gpuE3ELNS1_3repE0EEENS1_30default_config_static_selectorELNS0_4arch9wavefront6targetE0EEEvT1_,"axG",@progbits,_ZN7rocprim17ROCPRIM_400000_NS6detail17trampoline_kernelINS0_14default_configENS1_27scan_by_key_config_selectorIxxEEZZNS1_16scan_by_key_implILNS1_25lookback_scan_determinismE0ELb0ES3_N6thrust23THRUST_200600_302600_NS6detail15normal_iteratorINS9_10device_ptrIxEEEESE_SE_xNS9_10multipliesIxEENS9_8equal_toIxEExEE10hipError_tPvRmT2_T3_T4_T5_mT6_T7_P12ihipStream_tbENKUlT_T0_E_clISt17integral_constantIbLb0EESY_IbLb1EEEEDaSU_SV_EUlSU_E_NS1_11comp_targetILNS1_3genE9ELNS1_11target_archE1100ELNS1_3gpuE3ELNS1_3repE0EEENS1_30default_config_static_selectorELNS0_4arch9wavefront6targetE0EEEvT1_,comdat
	.protected	_ZN7rocprim17ROCPRIM_400000_NS6detail17trampoline_kernelINS0_14default_configENS1_27scan_by_key_config_selectorIxxEEZZNS1_16scan_by_key_implILNS1_25lookback_scan_determinismE0ELb0ES3_N6thrust23THRUST_200600_302600_NS6detail15normal_iteratorINS9_10device_ptrIxEEEESE_SE_xNS9_10multipliesIxEENS9_8equal_toIxEExEE10hipError_tPvRmT2_T3_T4_T5_mT6_T7_P12ihipStream_tbENKUlT_T0_E_clISt17integral_constantIbLb0EESY_IbLb1EEEEDaSU_SV_EUlSU_E_NS1_11comp_targetILNS1_3genE9ELNS1_11target_archE1100ELNS1_3gpuE3ELNS1_3repE0EEENS1_30default_config_static_selectorELNS0_4arch9wavefront6targetE0EEEvT1_ ; -- Begin function _ZN7rocprim17ROCPRIM_400000_NS6detail17trampoline_kernelINS0_14default_configENS1_27scan_by_key_config_selectorIxxEEZZNS1_16scan_by_key_implILNS1_25lookback_scan_determinismE0ELb0ES3_N6thrust23THRUST_200600_302600_NS6detail15normal_iteratorINS9_10device_ptrIxEEEESE_SE_xNS9_10multipliesIxEENS9_8equal_toIxEExEE10hipError_tPvRmT2_T3_T4_T5_mT6_T7_P12ihipStream_tbENKUlT_T0_E_clISt17integral_constantIbLb0EESY_IbLb1EEEEDaSU_SV_EUlSU_E_NS1_11comp_targetILNS1_3genE9ELNS1_11target_archE1100ELNS1_3gpuE3ELNS1_3repE0EEENS1_30default_config_static_selectorELNS0_4arch9wavefront6targetE0EEEvT1_
	.globl	_ZN7rocprim17ROCPRIM_400000_NS6detail17trampoline_kernelINS0_14default_configENS1_27scan_by_key_config_selectorIxxEEZZNS1_16scan_by_key_implILNS1_25lookback_scan_determinismE0ELb0ES3_N6thrust23THRUST_200600_302600_NS6detail15normal_iteratorINS9_10device_ptrIxEEEESE_SE_xNS9_10multipliesIxEENS9_8equal_toIxEExEE10hipError_tPvRmT2_T3_T4_T5_mT6_T7_P12ihipStream_tbENKUlT_T0_E_clISt17integral_constantIbLb0EESY_IbLb1EEEEDaSU_SV_EUlSU_E_NS1_11comp_targetILNS1_3genE9ELNS1_11target_archE1100ELNS1_3gpuE3ELNS1_3repE0EEENS1_30default_config_static_selectorELNS0_4arch9wavefront6targetE0EEEvT1_
	.p2align	8
	.type	_ZN7rocprim17ROCPRIM_400000_NS6detail17trampoline_kernelINS0_14default_configENS1_27scan_by_key_config_selectorIxxEEZZNS1_16scan_by_key_implILNS1_25lookback_scan_determinismE0ELb0ES3_N6thrust23THRUST_200600_302600_NS6detail15normal_iteratorINS9_10device_ptrIxEEEESE_SE_xNS9_10multipliesIxEENS9_8equal_toIxEExEE10hipError_tPvRmT2_T3_T4_T5_mT6_T7_P12ihipStream_tbENKUlT_T0_E_clISt17integral_constantIbLb0EESY_IbLb1EEEEDaSU_SV_EUlSU_E_NS1_11comp_targetILNS1_3genE9ELNS1_11target_archE1100ELNS1_3gpuE3ELNS1_3repE0EEENS1_30default_config_static_selectorELNS0_4arch9wavefront6targetE0EEEvT1_,@function
_ZN7rocprim17ROCPRIM_400000_NS6detail17trampoline_kernelINS0_14default_configENS1_27scan_by_key_config_selectorIxxEEZZNS1_16scan_by_key_implILNS1_25lookback_scan_determinismE0ELb0ES3_N6thrust23THRUST_200600_302600_NS6detail15normal_iteratorINS9_10device_ptrIxEEEESE_SE_xNS9_10multipliesIxEENS9_8equal_toIxEExEE10hipError_tPvRmT2_T3_T4_T5_mT6_T7_P12ihipStream_tbENKUlT_T0_E_clISt17integral_constantIbLb0EESY_IbLb1EEEEDaSU_SV_EUlSU_E_NS1_11comp_targetILNS1_3genE9ELNS1_11target_archE1100ELNS1_3gpuE3ELNS1_3repE0EEENS1_30default_config_static_selectorELNS0_4arch9wavefront6targetE0EEEvT1_: ; @_ZN7rocprim17ROCPRIM_400000_NS6detail17trampoline_kernelINS0_14default_configENS1_27scan_by_key_config_selectorIxxEEZZNS1_16scan_by_key_implILNS1_25lookback_scan_determinismE0ELb0ES3_N6thrust23THRUST_200600_302600_NS6detail15normal_iteratorINS9_10device_ptrIxEEEESE_SE_xNS9_10multipliesIxEENS9_8equal_toIxEExEE10hipError_tPvRmT2_T3_T4_T5_mT6_T7_P12ihipStream_tbENKUlT_T0_E_clISt17integral_constantIbLb0EESY_IbLb1EEEEDaSU_SV_EUlSU_E_NS1_11comp_targetILNS1_3genE9ELNS1_11target_archE1100ELNS1_3gpuE3ELNS1_3repE0EEENS1_30default_config_static_selectorELNS0_4arch9wavefront6targetE0EEEvT1_
; %bb.0:
	.section	.rodata,"a",@progbits
	.p2align	6, 0x0
	.amdhsa_kernel _ZN7rocprim17ROCPRIM_400000_NS6detail17trampoline_kernelINS0_14default_configENS1_27scan_by_key_config_selectorIxxEEZZNS1_16scan_by_key_implILNS1_25lookback_scan_determinismE0ELb0ES3_N6thrust23THRUST_200600_302600_NS6detail15normal_iteratorINS9_10device_ptrIxEEEESE_SE_xNS9_10multipliesIxEENS9_8equal_toIxEExEE10hipError_tPvRmT2_T3_T4_T5_mT6_T7_P12ihipStream_tbENKUlT_T0_E_clISt17integral_constantIbLb0EESY_IbLb1EEEEDaSU_SV_EUlSU_E_NS1_11comp_targetILNS1_3genE9ELNS1_11target_archE1100ELNS1_3gpuE3ELNS1_3repE0EEENS1_30default_config_static_selectorELNS0_4arch9wavefront6targetE0EEEvT1_
		.amdhsa_group_segment_fixed_size 0
		.amdhsa_private_segment_fixed_size 0
		.amdhsa_kernarg_size 136
		.amdhsa_user_sgpr_count 6
		.amdhsa_user_sgpr_private_segment_buffer 1
		.amdhsa_user_sgpr_dispatch_ptr 0
		.amdhsa_user_sgpr_queue_ptr 0
		.amdhsa_user_sgpr_kernarg_segment_ptr 1
		.amdhsa_user_sgpr_dispatch_id 0
		.amdhsa_user_sgpr_flat_scratch_init 0
		.amdhsa_user_sgpr_private_segment_size 0
		.amdhsa_wavefront_size32 1
		.amdhsa_uses_dynamic_stack 0
		.amdhsa_system_sgpr_private_segment_wavefront_offset 0
		.amdhsa_system_sgpr_workgroup_id_x 1
		.amdhsa_system_sgpr_workgroup_id_y 0
		.amdhsa_system_sgpr_workgroup_id_z 0
		.amdhsa_system_sgpr_workgroup_info 0
		.amdhsa_system_vgpr_workitem_id 0
		.amdhsa_next_free_vgpr 1
		.amdhsa_next_free_sgpr 1
		.amdhsa_reserve_vcc 0
		.amdhsa_reserve_flat_scratch 0
		.amdhsa_float_round_mode_32 0
		.amdhsa_float_round_mode_16_64 0
		.amdhsa_float_denorm_mode_32 3
		.amdhsa_float_denorm_mode_16_64 3
		.amdhsa_dx10_clamp 1
		.amdhsa_ieee_mode 1
		.amdhsa_fp16_overflow 0
		.amdhsa_workgroup_processor_mode 1
		.amdhsa_memory_ordered 1
		.amdhsa_forward_progress 1
		.amdhsa_shared_vgpr_count 0
		.amdhsa_exception_fp_ieee_invalid_op 0
		.amdhsa_exception_fp_denorm_src 0
		.amdhsa_exception_fp_ieee_div_zero 0
		.amdhsa_exception_fp_ieee_overflow 0
		.amdhsa_exception_fp_ieee_underflow 0
		.amdhsa_exception_fp_ieee_inexact 0
		.amdhsa_exception_int_div_zero 0
	.end_amdhsa_kernel
	.section	.text._ZN7rocprim17ROCPRIM_400000_NS6detail17trampoline_kernelINS0_14default_configENS1_27scan_by_key_config_selectorIxxEEZZNS1_16scan_by_key_implILNS1_25lookback_scan_determinismE0ELb0ES3_N6thrust23THRUST_200600_302600_NS6detail15normal_iteratorINS9_10device_ptrIxEEEESE_SE_xNS9_10multipliesIxEENS9_8equal_toIxEExEE10hipError_tPvRmT2_T3_T4_T5_mT6_T7_P12ihipStream_tbENKUlT_T0_E_clISt17integral_constantIbLb0EESY_IbLb1EEEEDaSU_SV_EUlSU_E_NS1_11comp_targetILNS1_3genE9ELNS1_11target_archE1100ELNS1_3gpuE3ELNS1_3repE0EEENS1_30default_config_static_selectorELNS0_4arch9wavefront6targetE0EEEvT1_,"axG",@progbits,_ZN7rocprim17ROCPRIM_400000_NS6detail17trampoline_kernelINS0_14default_configENS1_27scan_by_key_config_selectorIxxEEZZNS1_16scan_by_key_implILNS1_25lookback_scan_determinismE0ELb0ES3_N6thrust23THRUST_200600_302600_NS6detail15normal_iteratorINS9_10device_ptrIxEEEESE_SE_xNS9_10multipliesIxEENS9_8equal_toIxEExEE10hipError_tPvRmT2_T3_T4_T5_mT6_T7_P12ihipStream_tbENKUlT_T0_E_clISt17integral_constantIbLb0EESY_IbLb1EEEEDaSU_SV_EUlSU_E_NS1_11comp_targetILNS1_3genE9ELNS1_11target_archE1100ELNS1_3gpuE3ELNS1_3repE0EEENS1_30default_config_static_selectorELNS0_4arch9wavefront6targetE0EEEvT1_,comdat
.Lfunc_end81:
	.size	_ZN7rocprim17ROCPRIM_400000_NS6detail17trampoline_kernelINS0_14default_configENS1_27scan_by_key_config_selectorIxxEEZZNS1_16scan_by_key_implILNS1_25lookback_scan_determinismE0ELb0ES3_N6thrust23THRUST_200600_302600_NS6detail15normal_iteratorINS9_10device_ptrIxEEEESE_SE_xNS9_10multipliesIxEENS9_8equal_toIxEExEE10hipError_tPvRmT2_T3_T4_T5_mT6_T7_P12ihipStream_tbENKUlT_T0_E_clISt17integral_constantIbLb0EESY_IbLb1EEEEDaSU_SV_EUlSU_E_NS1_11comp_targetILNS1_3genE9ELNS1_11target_archE1100ELNS1_3gpuE3ELNS1_3repE0EEENS1_30default_config_static_selectorELNS0_4arch9wavefront6targetE0EEEvT1_, .Lfunc_end81-_ZN7rocprim17ROCPRIM_400000_NS6detail17trampoline_kernelINS0_14default_configENS1_27scan_by_key_config_selectorIxxEEZZNS1_16scan_by_key_implILNS1_25lookback_scan_determinismE0ELb0ES3_N6thrust23THRUST_200600_302600_NS6detail15normal_iteratorINS9_10device_ptrIxEEEESE_SE_xNS9_10multipliesIxEENS9_8equal_toIxEExEE10hipError_tPvRmT2_T3_T4_T5_mT6_T7_P12ihipStream_tbENKUlT_T0_E_clISt17integral_constantIbLb0EESY_IbLb1EEEEDaSU_SV_EUlSU_E_NS1_11comp_targetILNS1_3genE9ELNS1_11target_archE1100ELNS1_3gpuE3ELNS1_3repE0EEENS1_30default_config_static_selectorELNS0_4arch9wavefront6targetE0EEEvT1_
                                        ; -- End function
	.set _ZN7rocprim17ROCPRIM_400000_NS6detail17trampoline_kernelINS0_14default_configENS1_27scan_by_key_config_selectorIxxEEZZNS1_16scan_by_key_implILNS1_25lookback_scan_determinismE0ELb0ES3_N6thrust23THRUST_200600_302600_NS6detail15normal_iteratorINS9_10device_ptrIxEEEESE_SE_xNS9_10multipliesIxEENS9_8equal_toIxEExEE10hipError_tPvRmT2_T3_T4_T5_mT6_T7_P12ihipStream_tbENKUlT_T0_E_clISt17integral_constantIbLb0EESY_IbLb1EEEEDaSU_SV_EUlSU_E_NS1_11comp_targetILNS1_3genE9ELNS1_11target_archE1100ELNS1_3gpuE3ELNS1_3repE0EEENS1_30default_config_static_selectorELNS0_4arch9wavefront6targetE0EEEvT1_.num_vgpr, 0
	.set _ZN7rocprim17ROCPRIM_400000_NS6detail17trampoline_kernelINS0_14default_configENS1_27scan_by_key_config_selectorIxxEEZZNS1_16scan_by_key_implILNS1_25lookback_scan_determinismE0ELb0ES3_N6thrust23THRUST_200600_302600_NS6detail15normal_iteratorINS9_10device_ptrIxEEEESE_SE_xNS9_10multipliesIxEENS9_8equal_toIxEExEE10hipError_tPvRmT2_T3_T4_T5_mT6_T7_P12ihipStream_tbENKUlT_T0_E_clISt17integral_constantIbLb0EESY_IbLb1EEEEDaSU_SV_EUlSU_E_NS1_11comp_targetILNS1_3genE9ELNS1_11target_archE1100ELNS1_3gpuE3ELNS1_3repE0EEENS1_30default_config_static_selectorELNS0_4arch9wavefront6targetE0EEEvT1_.num_agpr, 0
	.set _ZN7rocprim17ROCPRIM_400000_NS6detail17trampoline_kernelINS0_14default_configENS1_27scan_by_key_config_selectorIxxEEZZNS1_16scan_by_key_implILNS1_25lookback_scan_determinismE0ELb0ES3_N6thrust23THRUST_200600_302600_NS6detail15normal_iteratorINS9_10device_ptrIxEEEESE_SE_xNS9_10multipliesIxEENS9_8equal_toIxEExEE10hipError_tPvRmT2_T3_T4_T5_mT6_T7_P12ihipStream_tbENKUlT_T0_E_clISt17integral_constantIbLb0EESY_IbLb1EEEEDaSU_SV_EUlSU_E_NS1_11comp_targetILNS1_3genE9ELNS1_11target_archE1100ELNS1_3gpuE3ELNS1_3repE0EEENS1_30default_config_static_selectorELNS0_4arch9wavefront6targetE0EEEvT1_.numbered_sgpr, 0
	.set _ZN7rocprim17ROCPRIM_400000_NS6detail17trampoline_kernelINS0_14default_configENS1_27scan_by_key_config_selectorIxxEEZZNS1_16scan_by_key_implILNS1_25lookback_scan_determinismE0ELb0ES3_N6thrust23THRUST_200600_302600_NS6detail15normal_iteratorINS9_10device_ptrIxEEEESE_SE_xNS9_10multipliesIxEENS9_8equal_toIxEExEE10hipError_tPvRmT2_T3_T4_T5_mT6_T7_P12ihipStream_tbENKUlT_T0_E_clISt17integral_constantIbLb0EESY_IbLb1EEEEDaSU_SV_EUlSU_E_NS1_11comp_targetILNS1_3genE9ELNS1_11target_archE1100ELNS1_3gpuE3ELNS1_3repE0EEENS1_30default_config_static_selectorELNS0_4arch9wavefront6targetE0EEEvT1_.num_named_barrier, 0
	.set _ZN7rocprim17ROCPRIM_400000_NS6detail17trampoline_kernelINS0_14default_configENS1_27scan_by_key_config_selectorIxxEEZZNS1_16scan_by_key_implILNS1_25lookback_scan_determinismE0ELb0ES3_N6thrust23THRUST_200600_302600_NS6detail15normal_iteratorINS9_10device_ptrIxEEEESE_SE_xNS9_10multipliesIxEENS9_8equal_toIxEExEE10hipError_tPvRmT2_T3_T4_T5_mT6_T7_P12ihipStream_tbENKUlT_T0_E_clISt17integral_constantIbLb0EESY_IbLb1EEEEDaSU_SV_EUlSU_E_NS1_11comp_targetILNS1_3genE9ELNS1_11target_archE1100ELNS1_3gpuE3ELNS1_3repE0EEENS1_30default_config_static_selectorELNS0_4arch9wavefront6targetE0EEEvT1_.private_seg_size, 0
	.set _ZN7rocprim17ROCPRIM_400000_NS6detail17trampoline_kernelINS0_14default_configENS1_27scan_by_key_config_selectorIxxEEZZNS1_16scan_by_key_implILNS1_25lookback_scan_determinismE0ELb0ES3_N6thrust23THRUST_200600_302600_NS6detail15normal_iteratorINS9_10device_ptrIxEEEESE_SE_xNS9_10multipliesIxEENS9_8equal_toIxEExEE10hipError_tPvRmT2_T3_T4_T5_mT6_T7_P12ihipStream_tbENKUlT_T0_E_clISt17integral_constantIbLb0EESY_IbLb1EEEEDaSU_SV_EUlSU_E_NS1_11comp_targetILNS1_3genE9ELNS1_11target_archE1100ELNS1_3gpuE3ELNS1_3repE0EEENS1_30default_config_static_selectorELNS0_4arch9wavefront6targetE0EEEvT1_.uses_vcc, 0
	.set _ZN7rocprim17ROCPRIM_400000_NS6detail17trampoline_kernelINS0_14default_configENS1_27scan_by_key_config_selectorIxxEEZZNS1_16scan_by_key_implILNS1_25lookback_scan_determinismE0ELb0ES3_N6thrust23THRUST_200600_302600_NS6detail15normal_iteratorINS9_10device_ptrIxEEEESE_SE_xNS9_10multipliesIxEENS9_8equal_toIxEExEE10hipError_tPvRmT2_T3_T4_T5_mT6_T7_P12ihipStream_tbENKUlT_T0_E_clISt17integral_constantIbLb0EESY_IbLb1EEEEDaSU_SV_EUlSU_E_NS1_11comp_targetILNS1_3genE9ELNS1_11target_archE1100ELNS1_3gpuE3ELNS1_3repE0EEENS1_30default_config_static_selectorELNS0_4arch9wavefront6targetE0EEEvT1_.uses_flat_scratch, 0
	.set _ZN7rocprim17ROCPRIM_400000_NS6detail17trampoline_kernelINS0_14default_configENS1_27scan_by_key_config_selectorIxxEEZZNS1_16scan_by_key_implILNS1_25lookback_scan_determinismE0ELb0ES3_N6thrust23THRUST_200600_302600_NS6detail15normal_iteratorINS9_10device_ptrIxEEEESE_SE_xNS9_10multipliesIxEENS9_8equal_toIxEExEE10hipError_tPvRmT2_T3_T4_T5_mT6_T7_P12ihipStream_tbENKUlT_T0_E_clISt17integral_constantIbLb0EESY_IbLb1EEEEDaSU_SV_EUlSU_E_NS1_11comp_targetILNS1_3genE9ELNS1_11target_archE1100ELNS1_3gpuE3ELNS1_3repE0EEENS1_30default_config_static_selectorELNS0_4arch9wavefront6targetE0EEEvT1_.has_dyn_sized_stack, 0
	.set _ZN7rocprim17ROCPRIM_400000_NS6detail17trampoline_kernelINS0_14default_configENS1_27scan_by_key_config_selectorIxxEEZZNS1_16scan_by_key_implILNS1_25lookback_scan_determinismE0ELb0ES3_N6thrust23THRUST_200600_302600_NS6detail15normal_iteratorINS9_10device_ptrIxEEEESE_SE_xNS9_10multipliesIxEENS9_8equal_toIxEExEE10hipError_tPvRmT2_T3_T4_T5_mT6_T7_P12ihipStream_tbENKUlT_T0_E_clISt17integral_constantIbLb0EESY_IbLb1EEEEDaSU_SV_EUlSU_E_NS1_11comp_targetILNS1_3genE9ELNS1_11target_archE1100ELNS1_3gpuE3ELNS1_3repE0EEENS1_30default_config_static_selectorELNS0_4arch9wavefront6targetE0EEEvT1_.has_recursion, 0
	.set _ZN7rocprim17ROCPRIM_400000_NS6detail17trampoline_kernelINS0_14default_configENS1_27scan_by_key_config_selectorIxxEEZZNS1_16scan_by_key_implILNS1_25lookback_scan_determinismE0ELb0ES3_N6thrust23THRUST_200600_302600_NS6detail15normal_iteratorINS9_10device_ptrIxEEEESE_SE_xNS9_10multipliesIxEENS9_8equal_toIxEExEE10hipError_tPvRmT2_T3_T4_T5_mT6_T7_P12ihipStream_tbENKUlT_T0_E_clISt17integral_constantIbLb0EESY_IbLb1EEEEDaSU_SV_EUlSU_E_NS1_11comp_targetILNS1_3genE9ELNS1_11target_archE1100ELNS1_3gpuE3ELNS1_3repE0EEENS1_30default_config_static_selectorELNS0_4arch9wavefront6targetE0EEEvT1_.has_indirect_call, 0
	.section	.AMDGPU.csdata,"",@progbits
; Kernel info:
; codeLenInByte = 0
; TotalNumSgprs: 0
; NumVgprs: 0
; ScratchSize: 0
; MemoryBound: 0
; FloatMode: 240
; IeeeMode: 1
; LDSByteSize: 0 bytes/workgroup (compile time only)
; SGPRBlocks: 0
; VGPRBlocks: 0
; NumSGPRsForWavesPerEU: 1
; NumVGPRsForWavesPerEU: 1
; Occupancy: 16
; WaveLimiterHint : 0
; COMPUTE_PGM_RSRC2:SCRATCH_EN: 0
; COMPUTE_PGM_RSRC2:USER_SGPR: 6
; COMPUTE_PGM_RSRC2:TRAP_HANDLER: 0
; COMPUTE_PGM_RSRC2:TGID_X_EN: 1
; COMPUTE_PGM_RSRC2:TGID_Y_EN: 0
; COMPUTE_PGM_RSRC2:TGID_Z_EN: 0
; COMPUTE_PGM_RSRC2:TIDIG_COMP_CNT: 0
	.section	.text._ZN7rocprim17ROCPRIM_400000_NS6detail17trampoline_kernelINS0_14default_configENS1_27scan_by_key_config_selectorIxxEEZZNS1_16scan_by_key_implILNS1_25lookback_scan_determinismE0ELb0ES3_N6thrust23THRUST_200600_302600_NS6detail15normal_iteratorINS9_10device_ptrIxEEEESE_SE_xNS9_10multipliesIxEENS9_8equal_toIxEExEE10hipError_tPvRmT2_T3_T4_T5_mT6_T7_P12ihipStream_tbENKUlT_T0_E_clISt17integral_constantIbLb0EESY_IbLb1EEEEDaSU_SV_EUlSU_E_NS1_11comp_targetILNS1_3genE8ELNS1_11target_archE1030ELNS1_3gpuE2ELNS1_3repE0EEENS1_30default_config_static_selectorELNS0_4arch9wavefront6targetE0EEEvT1_,"axG",@progbits,_ZN7rocprim17ROCPRIM_400000_NS6detail17trampoline_kernelINS0_14default_configENS1_27scan_by_key_config_selectorIxxEEZZNS1_16scan_by_key_implILNS1_25lookback_scan_determinismE0ELb0ES3_N6thrust23THRUST_200600_302600_NS6detail15normal_iteratorINS9_10device_ptrIxEEEESE_SE_xNS9_10multipliesIxEENS9_8equal_toIxEExEE10hipError_tPvRmT2_T3_T4_T5_mT6_T7_P12ihipStream_tbENKUlT_T0_E_clISt17integral_constantIbLb0EESY_IbLb1EEEEDaSU_SV_EUlSU_E_NS1_11comp_targetILNS1_3genE8ELNS1_11target_archE1030ELNS1_3gpuE2ELNS1_3repE0EEENS1_30default_config_static_selectorELNS0_4arch9wavefront6targetE0EEEvT1_,comdat
	.protected	_ZN7rocprim17ROCPRIM_400000_NS6detail17trampoline_kernelINS0_14default_configENS1_27scan_by_key_config_selectorIxxEEZZNS1_16scan_by_key_implILNS1_25lookback_scan_determinismE0ELb0ES3_N6thrust23THRUST_200600_302600_NS6detail15normal_iteratorINS9_10device_ptrIxEEEESE_SE_xNS9_10multipliesIxEENS9_8equal_toIxEExEE10hipError_tPvRmT2_T3_T4_T5_mT6_T7_P12ihipStream_tbENKUlT_T0_E_clISt17integral_constantIbLb0EESY_IbLb1EEEEDaSU_SV_EUlSU_E_NS1_11comp_targetILNS1_3genE8ELNS1_11target_archE1030ELNS1_3gpuE2ELNS1_3repE0EEENS1_30default_config_static_selectorELNS0_4arch9wavefront6targetE0EEEvT1_ ; -- Begin function _ZN7rocprim17ROCPRIM_400000_NS6detail17trampoline_kernelINS0_14default_configENS1_27scan_by_key_config_selectorIxxEEZZNS1_16scan_by_key_implILNS1_25lookback_scan_determinismE0ELb0ES3_N6thrust23THRUST_200600_302600_NS6detail15normal_iteratorINS9_10device_ptrIxEEEESE_SE_xNS9_10multipliesIxEENS9_8equal_toIxEExEE10hipError_tPvRmT2_T3_T4_T5_mT6_T7_P12ihipStream_tbENKUlT_T0_E_clISt17integral_constantIbLb0EESY_IbLb1EEEEDaSU_SV_EUlSU_E_NS1_11comp_targetILNS1_3genE8ELNS1_11target_archE1030ELNS1_3gpuE2ELNS1_3repE0EEENS1_30default_config_static_selectorELNS0_4arch9wavefront6targetE0EEEvT1_
	.globl	_ZN7rocprim17ROCPRIM_400000_NS6detail17trampoline_kernelINS0_14default_configENS1_27scan_by_key_config_selectorIxxEEZZNS1_16scan_by_key_implILNS1_25lookback_scan_determinismE0ELb0ES3_N6thrust23THRUST_200600_302600_NS6detail15normal_iteratorINS9_10device_ptrIxEEEESE_SE_xNS9_10multipliesIxEENS9_8equal_toIxEExEE10hipError_tPvRmT2_T3_T4_T5_mT6_T7_P12ihipStream_tbENKUlT_T0_E_clISt17integral_constantIbLb0EESY_IbLb1EEEEDaSU_SV_EUlSU_E_NS1_11comp_targetILNS1_3genE8ELNS1_11target_archE1030ELNS1_3gpuE2ELNS1_3repE0EEENS1_30default_config_static_selectorELNS0_4arch9wavefront6targetE0EEEvT1_
	.p2align	8
	.type	_ZN7rocprim17ROCPRIM_400000_NS6detail17trampoline_kernelINS0_14default_configENS1_27scan_by_key_config_selectorIxxEEZZNS1_16scan_by_key_implILNS1_25lookback_scan_determinismE0ELb0ES3_N6thrust23THRUST_200600_302600_NS6detail15normal_iteratorINS9_10device_ptrIxEEEESE_SE_xNS9_10multipliesIxEENS9_8equal_toIxEExEE10hipError_tPvRmT2_T3_T4_T5_mT6_T7_P12ihipStream_tbENKUlT_T0_E_clISt17integral_constantIbLb0EESY_IbLb1EEEEDaSU_SV_EUlSU_E_NS1_11comp_targetILNS1_3genE8ELNS1_11target_archE1030ELNS1_3gpuE2ELNS1_3repE0EEENS1_30default_config_static_selectorELNS0_4arch9wavefront6targetE0EEEvT1_,@function
_ZN7rocprim17ROCPRIM_400000_NS6detail17trampoline_kernelINS0_14default_configENS1_27scan_by_key_config_selectorIxxEEZZNS1_16scan_by_key_implILNS1_25lookback_scan_determinismE0ELb0ES3_N6thrust23THRUST_200600_302600_NS6detail15normal_iteratorINS9_10device_ptrIxEEEESE_SE_xNS9_10multipliesIxEENS9_8equal_toIxEExEE10hipError_tPvRmT2_T3_T4_T5_mT6_T7_P12ihipStream_tbENKUlT_T0_E_clISt17integral_constantIbLb0EESY_IbLb1EEEEDaSU_SV_EUlSU_E_NS1_11comp_targetILNS1_3genE8ELNS1_11target_archE1030ELNS1_3gpuE2ELNS1_3repE0EEENS1_30default_config_static_selectorELNS0_4arch9wavefront6targetE0EEEvT1_: ; @_ZN7rocprim17ROCPRIM_400000_NS6detail17trampoline_kernelINS0_14default_configENS1_27scan_by_key_config_selectorIxxEEZZNS1_16scan_by_key_implILNS1_25lookback_scan_determinismE0ELb0ES3_N6thrust23THRUST_200600_302600_NS6detail15normal_iteratorINS9_10device_ptrIxEEEESE_SE_xNS9_10multipliesIxEENS9_8equal_toIxEExEE10hipError_tPvRmT2_T3_T4_T5_mT6_T7_P12ihipStream_tbENKUlT_T0_E_clISt17integral_constantIbLb0EESY_IbLb1EEEEDaSU_SV_EUlSU_E_NS1_11comp_targetILNS1_3genE8ELNS1_11target_archE1030ELNS1_3gpuE2ELNS1_3repE0EEENS1_30default_config_static_selectorELNS0_4arch9wavefront6targetE0EEEvT1_
; %bb.0:
	s_clause 0x1
	s_load_dwordx8 s[20:27], s[4:5], 0x30
	s_load_dwordx2 s[34:35], s[4:5], 0x50
	v_cmp_ne_u32_e64 s1, 0, v0
	v_cmp_eq_u32_e64 s0, 0, v0
	s_and_saveexec_b32 s2, s0
	s_cbranch_execz .LBB82_4
; %bb.1:
	s_mov_b32 s6, exec_lo
	s_mov_b32 s3, exec_lo
	v_mbcnt_lo_u32_b32 v1, s6, 0
                                        ; implicit-def: $vgpr2
	v_cmpx_eq_u32_e32 0, v1
	s_cbranch_execz .LBB82_3
; %bb.2:
	s_load_dwordx2 s[8:9], s[4:5], 0x80
	s_bcnt1_i32_b32 s6, s6
	v_mov_b32_e32 v2, 0
	v_mov_b32_e32 v3, s6
	s_waitcnt lgkmcnt(0)
	global_atomic_add v2, v2, v3, s[8:9] glc
.LBB82_3:
	s_or_b32 exec_lo, exec_lo, s3
	s_waitcnt vmcnt(0)
	v_readfirstlane_b32 s3, v2
	v_mov_b32_e32 v2, 0
	v_add_nc_u32_e32 v1, s3, v1
	ds_write_b32 v2, v1
.LBB82_4:
	s_or_b32 exec_lo, exec_lo, s2
	v_mov_b32_e32 v1, 0
	s_clause 0x2
	s_load_dwordx8 s[12:19], s[4:5], 0x0
	s_load_dword s6, s[4:5], 0x58
	s_load_dwordx8 s[36:43], s[4:5], 0x60
	s_waitcnt lgkmcnt(0)
	s_barrier
	buffer_gl0_inv
	ds_read_b32 v1, v1
	s_waitcnt lgkmcnt(0)
	s_barrier
	buffer_gl0_inv
	s_barrier
	buffer_gl0_inv
	s_lshl_b64 s[28:29], s[14:15], 3
	s_mul_i32 s2, s35, s6
	s_add_u32 s4, s12, s28
	s_addc_u32 s5, s13, s29
	s_mul_hi_u32 s3, s34, s6
	s_add_u32 s7, s16, s28
	v_readfirstlane_b32 s44, v1
	s_addc_u32 s8, s17, s29
	s_add_i32 s9, s3, s2
	s_cmp_lg_u64 s[40:41], 0
	s_mov_b32 s3, 0
	s_mul_i32 s2, s44, 0xd00
	s_cselect_b32 s46, -1, 0
	s_lshl_b64 s[30:31], s[2:3], 3
	s_mul_i32 s2, s34, s6
	s_add_u32 s16, s4, s30
	s_addc_u32 s17, s5, s31
	s_add_u32 s15, s7, s30
	s_addc_u32 s45, s8, s31
	;; [unrolled: 2-line block ×3, first 2 shown]
	s_add_u32 s4, s36, -1
	s_addc_u32 s5, s37, -1
	s_mul_i32 s33, s4, 0xfffff300
	v_cmp_ge_u64_e64 s27, s[40:41], s[4:5]
	s_and_b32 vcc_lo, exec_lo, s27
	s_cbranch_vccz .LBB82_76
; %bb.5:
	v_mov_b32_e32 v1, s16
	v_mov_b32_e32 v2, s17
	s_add_i32 s47, s33, s26
	v_cmp_gt_u32_e64 s2, s47, v0
	flat_load_dwordx2 v[1:2], v[1:2]
	s_waitcnt vmcnt(0) lgkmcnt(0)
	v_mov_b32_e32 v4, v2
	v_mov_b32_e32 v3, v1
	s_and_saveexec_b32 s3, s2
	s_cbranch_execz .LBB82_7
; %bb.6:
	v_lshlrev_b32_e32 v3, 3, v0
	v_add_co_u32 v3, s4, s16, v3
	v_add_co_ci_u32_e64 v4, null, s17, 0, s4
	flat_load_dwordx2 v[3:4], v[3:4]
.LBB82_7:
	s_or_b32 exec_lo, exec_lo, s3
	v_or_b32_e32 v5, 0x100, v0
	v_cmp_gt_u32_e64 s3, s47, v5
	v_lshlrev_b32_e32 v27, 3, v5
	v_mov_b32_e32 v6, v2
	v_mov_b32_e32 v5, v1
	s_and_saveexec_b32 s4, s3
	s_cbranch_execz .LBB82_9
; %bb.8:
	v_add_co_u32 v5, s5, s16, v27
	v_add_co_ci_u32_e64 v6, null, s17, 0, s5
	flat_load_dwordx2 v[5:6], v[5:6]
.LBB82_9:
	s_or_b32 exec_lo, exec_lo, s4
	v_or_b32_e32 v7, 0x200, v0
	v_cmp_gt_u32_e64 s4, s47, v7
	v_lshlrev_b32_e32 v28, 3, v7
	v_mov_b32_e32 v8, v2
	v_mov_b32_e32 v7, v1
	s_and_saveexec_b32 s5, s4
	s_cbranch_execz .LBB82_11
; %bb.10:
	v_add_co_u32 v7, s6, s16, v28
	v_add_co_ci_u32_e64 v8, null, s17, 0, s6
	flat_load_dwordx2 v[7:8], v[7:8]
.LBB82_11:
	s_or_b32 exec_lo, exec_lo, s5
	v_or_b32_e32 v9, 0x300, v0
	v_cmp_gt_u32_e64 s5, s47, v9
	v_lshlrev_b32_e32 v29, 3, v9
	v_mov_b32_e32 v10, v2
	v_mov_b32_e32 v9, v1
	s_and_saveexec_b32 s6, s5
	s_cbranch_execz .LBB82_13
; %bb.12:
	v_add_co_u32 v9, s7, s16, v29
	v_add_co_ci_u32_e64 v10, null, s17, 0, s7
	flat_load_dwordx2 v[9:10], v[9:10]
.LBB82_13:
	s_or_b32 exec_lo, exec_lo, s6
	v_or_b32_e32 v11, 0x400, v0
	v_cmp_gt_u32_e64 s6, s47, v11
	v_lshlrev_b32_e32 v30, 3, v11
	v_mov_b32_e32 v12, v2
	v_mov_b32_e32 v11, v1
	s_and_saveexec_b32 s7, s6
	s_cbranch_execz .LBB82_15
; %bb.14:
	v_add_co_u32 v11, s8, s16, v30
	v_add_co_ci_u32_e64 v12, null, s17, 0, s8
	flat_load_dwordx2 v[11:12], v[11:12]
.LBB82_15:
	s_or_b32 exec_lo, exec_lo, s7
	v_or_b32_e32 v13, 0x500, v0
	v_cmp_gt_u32_e64 s7, s47, v13
	v_lshlrev_b32_e32 v31, 3, v13
	v_mov_b32_e32 v14, v2
	v_mov_b32_e32 v13, v1
	s_and_saveexec_b32 s8, s7
	s_cbranch_execz .LBB82_17
; %bb.16:
	v_add_co_u32 v13, s9, s16, v31
	v_add_co_ci_u32_e64 v14, null, s17, 0, s9
	flat_load_dwordx2 v[13:14], v[13:14]
.LBB82_17:
	s_or_b32 exec_lo, exec_lo, s8
	v_or_b32_e32 v15, 0x600, v0
	v_cmp_gt_u32_e64 s8, s47, v15
	v_lshlrev_b32_e32 v32, 3, v15
	v_mov_b32_e32 v16, v2
	v_mov_b32_e32 v15, v1
	s_and_saveexec_b32 s9, s8
	s_cbranch_execz .LBB82_19
; %bb.18:
	v_add_co_u32 v15, s10, s16, v32
	v_add_co_ci_u32_e64 v16, null, s17, 0, s10
	flat_load_dwordx2 v[15:16], v[15:16]
.LBB82_19:
	s_or_b32 exec_lo, exec_lo, s9
	v_or_b32_e32 v17, 0x700, v0
	v_cmp_gt_u32_e64 s9, s47, v17
	v_lshlrev_b32_e32 v33, 3, v17
	v_mov_b32_e32 v18, v2
	v_mov_b32_e32 v17, v1
	s_and_saveexec_b32 s10, s9
	s_cbranch_execz .LBB82_21
; %bb.20:
	v_add_co_u32 v17, s11, s16, v33
	v_add_co_ci_u32_e64 v18, null, s17, 0, s11
	flat_load_dwordx2 v[17:18], v[17:18]
.LBB82_21:
	s_or_b32 exec_lo, exec_lo, s10
	v_or_b32_e32 v19, 0x800, v0
	v_cmp_gt_u32_e64 s10, s47, v19
	v_lshlrev_b32_e32 v34, 3, v19
	v_mov_b32_e32 v20, v2
	v_mov_b32_e32 v19, v1
	s_and_saveexec_b32 s11, s10
	s_cbranch_execz .LBB82_23
; %bb.22:
	v_add_co_u32 v19, s12, s16, v34
	v_add_co_ci_u32_e64 v20, null, s17, 0, s12
	flat_load_dwordx2 v[19:20], v[19:20]
.LBB82_23:
	s_or_b32 exec_lo, exec_lo, s11
	v_or_b32_e32 v21, 0x900, v0
	v_cmp_gt_u32_e64 s11, s47, v21
	v_lshlrev_b32_e32 v35, 3, v21
	v_mov_b32_e32 v22, v2
	v_mov_b32_e32 v21, v1
	s_and_saveexec_b32 s12, s11
	s_cbranch_execz .LBB82_25
; %bb.24:
	v_add_co_u32 v21, s13, s16, v35
	v_add_co_ci_u32_e64 v22, null, s17, 0, s13
	flat_load_dwordx2 v[21:22], v[21:22]
.LBB82_25:
	s_or_b32 exec_lo, exec_lo, s12
	v_or_b32_e32 v23, 0xa00, v0
	v_cmp_gt_u32_e64 s12, s47, v23
	v_lshlrev_b32_e32 v36, 3, v23
	v_mov_b32_e32 v24, v2
	v_mov_b32_e32 v23, v1
	s_and_saveexec_b32 s13, s12
	s_cbranch_execz .LBB82_27
; %bb.26:
	v_add_co_u32 v23, s14, s16, v36
	v_add_co_ci_u32_e64 v24, null, s17, 0, s14
	flat_load_dwordx2 v[23:24], v[23:24]
.LBB82_27:
	s_or_b32 exec_lo, exec_lo, s13
	v_or_b32_e32 v25, 0xb00, v0
	v_cmp_gt_u32_e64 s13, s47, v25
	v_lshlrev_b32_e32 v37, 3, v25
	v_mov_b32_e32 v26, v2
	v_mov_b32_e32 v25, v1
	s_and_saveexec_b32 s14, s13
	s_cbranch_execz .LBB82_29
; %bb.28:
	v_add_co_u32 v25, s36, s16, v37
	v_add_co_ci_u32_e64 v26, null, s17, 0, s36
	flat_load_dwordx2 v[25:26], v[25:26]
.LBB82_29:
	s_or_b32 exec_lo, exec_lo, s14
	v_or_b32_e32 v38, 0xc00, v0
	v_cmp_gt_u32_e64 s14, s47, v38
	v_lshlrev_b32_e32 v38, 3, v38
	s_and_saveexec_b32 s36, s14
	s_cbranch_execz .LBB82_31
; %bb.30:
	v_add_co_u32 v1, s37, s16, v38
	v_add_co_ci_u32_e64 v2, null, s17, 0, s37
	flat_load_dwordx2 v[1:2], v[1:2]
.LBB82_31:
	s_or_b32 exec_lo, exec_lo, s36
	v_lshlrev_b32_e32 v39, 3, v0
	s_cmp_eq_u64 s[40:41], 0
	s_mov_b64 s[36:37], s[16:17]
	s_waitcnt vmcnt(0) lgkmcnt(0)
	ds_write2st64_b64 v39, v[3:4], v[5:6] offset1:4
	ds_write2st64_b64 v39, v[7:8], v[9:10] offset0:8 offset1:12
	ds_write2st64_b64 v39, v[11:12], v[13:14] offset0:16 offset1:20
	;; [unrolled: 1-line block ×5, first 2 shown]
	v_mad_u32_u24 v101, 0x60, v0, v39
	ds_write_b64 v39, v[1:2] offset:24576
	s_waitcnt lgkmcnt(0)
	s_barrier
	buffer_gl0_inv
	ds_read2_b64 v[65:68], v101 offset0:2 offset1:3
	ds_read2_b64 v[57:60], v101 offset0:3 offset1:4
	ds_read2_b64 v[69:72], v101 offset1:1
	ds_read2_b64 v[73:76], v101 offset0:1 offset1:2
	ds_read2_b64 v[49:52], v101 offset0:7 offset1:8
	ds_read2_b64 v[61:64], v101 offset0:5 offset1:6
	ds_read2_b64 v[41:44], v101 offset0:9 offset1:10
	ds_read2_b64 v[45:48], v101 offset0:11 offset1:12
	s_cbranch_scc1 .LBB82_35
; %bb.32:
	s_andn2_b32 vcc_lo, exec_lo, s46
	s_cbranch_vccnz .LBB82_243
; %bb.33:
	s_lshl_b64 s[36:37], s[40:41], 3
	s_add_u32 s36, s42, s36
	s_addc_u32 s37, s43, s37
	s_add_u32 s36, s36, -8
	s_addc_u32 s37, s37, -1
	s_cbranch_execnz .LBB82_35
.LBB82_34:
	s_add_u32 s36, s16, -8
	s_addc_u32 s37, s17, -1
.LBB82_35:
	v_mov_b32_e32 v1, s36
	v_mov_b32_e32 v2, s37
	flat_load_dwordx2 v[11:12], v[1:2]
	v_mad_i32_i24 v1, 0xffffffa0, v0, v101
	s_waitcnt lgkmcnt(1)
	ds_write_b64 v1, v[47:48] offset:26624
	s_waitcnt vmcnt(0) lgkmcnt(0)
	s_barrier
	buffer_gl0_inv
	s_and_saveexec_b32 s36, s1
; %bb.36:
	v_mul_i32_i24_e32 v1, 0xffffffa0, v0
	v_add_nc_u32_e32 v1, v101, v1
	ds_read_b64 v[11:12], v1 offset:26616
; %bb.37:
	s_or_b32 exec_lo, exec_lo, s36
	s_waitcnt lgkmcnt(0)
	s_barrier
	buffer_gl0_inv
                                        ; implicit-def: $vgpr1_vgpr2
	s_and_saveexec_b32 s36, s2
	s_cbranch_execnz .LBB82_231
; %bb.38:
	s_or_b32 exec_lo, exec_lo, s36
                                        ; implicit-def: $vgpr3_vgpr4
	s_and_saveexec_b32 s2, s3
	s_cbranch_execnz .LBB82_232
.LBB82_39:
	s_or_b32 exec_lo, exec_lo, s2
                                        ; implicit-def: $vgpr5_vgpr6
	s_and_saveexec_b32 s2, s4
	s_cbranch_execnz .LBB82_233
.LBB82_40:
	s_or_b32 exec_lo, exec_lo, s2
                                        ; implicit-def: $vgpr7_vgpr8
	s_and_saveexec_b32 s2, s5
	s_cbranch_execnz .LBB82_234
.LBB82_41:
	s_or_b32 exec_lo, exec_lo, s2
                                        ; implicit-def: $vgpr9_vgpr10
	s_and_saveexec_b32 s2, s6
	s_cbranch_execnz .LBB82_235
.LBB82_42:
	s_or_b32 exec_lo, exec_lo, s2
                                        ; implicit-def: $vgpr13_vgpr14
	s_and_saveexec_b32 s2, s7
	s_cbranch_execnz .LBB82_236
.LBB82_43:
	s_or_b32 exec_lo, exec_lo, s2
                                        ; implicit-def: $vgpr15_vgpr16
	s_and_saveexec_b32 s2, s8
	s_cbranch_execnz .LBB82_237
.LBB82_44:
	s_or_b32 exec_lo, exec_lo, s2
                                        ; implicit-def: $vgpr17_vgpr18
	s_and_saveexec_b32 s2, s9
	s_cbranch_execnz .LBB82_238
.LBB82_45:
	s_or_b32 exec_lo, exec_lo, s2
                                        ; implicit-def: $vgpr19_vgpr20
	s_and_saveexec_b32 s2, s10
	s_cbranch_execnz .LBB82_239
.LBB82_46:
	s_or_b32 exec_lo, exec_lo, s2
                                        ; implicit-def: $vgpr21_vgpr22
	s_and_saveexec_b32 s2, s11
	s_cbranch_execnz .LBB82_240
.LBB82_47:
	s_or_b32 exec_lo, exec_lo, s2
                                        ; implicit-def: $vgpr23_vgpr24
	s_and_saveexec_b32 s2, s12
	s_cbranch_execnz .LBB82_241
.LBB82_48:
	s_or_b32 exec_lo, exec_lo, s2
                                        ; implicit-def: $vgpr25_vgpr26
	s_and_saveexec_b32 s2, s13
	s_cbranch_execnz .LBB82_242
.LBB82_49:
	s_or_b32 exec_lo, exec_lo, s2
                                        ; implicit-def: $vgpr27_vgpr28
	s_and_saveexec_b32 s2, s14
	s_cbranch_execz .LBB82_51
.LBB82_50:
	v_add_co_u32 v27, s3, s15, v38
	v_add_co_ci_u32_e64 v28, null, s45, 0, s3
	flat_load_dwordx2 v[27:28], v[27:28]
.LBB82_51:
	s_or_b32 exec_lo, exec_lo, s2
	v_mul_u32_u24_e32 v104, 13, v0
	s_waitcnt vmcnt(0) lgkmcnt(0)
	ds_write2st64_b64 v39, v[1:2], v[3:4] offset1:4
	ds_write2st64_b64 v39, v[5:6], v[7:8] offset0:8 offset1:12
	ds_write2st64_b64 v39, v[9:10], v[13:14] offset0:16 offset1:20
	;; [unrolled: 1-line block ×5, first 2 shown]
	ds_write_b64 v39, v[27:28] offset:24576
	v_mov_b32_e32 v5, 0
	v_mov_b32_e32 v29, 0
	v_mov_b32_e32 v27, 0
	v_mov_b32_e32 v33, 0
	v_mov_b32_e32 v31, 0
	v_mov_b32_e32 v39, 0
	v_mov_b32_e32 v37, 0
	v_mov_b32_e32 v55, 0
	v_mov_b32_e32 v53, 0
	v_mov_b32_e32 v3, 0
	v_mov_b32_e32 v1, 0
	v_mov_b32_e32 v7, 0
	v_mov_b32_e32 v77, 0
	v_mov_b32_e32 v25, 0
	v_mov_b32_e32 v79, 0
	v_mov_b32_e32 v21, 0
	v_mov_b32_e32 v23, 0
	v_mov_b32_e32 v17, 0
	v_mov_b32_e32 v19, 0
	v_mov_b32_e32 v13, 0
	v_mov_b32_e32 v15, 0
	v_mov_b32_e32 v9, 0
	v_cmp_gt_u32_e32 vcc_lo, s47, v104
	v_mov_b32_e32 v99, 0
	v_mov_b32_e32 v6, 0
	;; [unrolled: 1-line block ×45, first 2 shown]
	s_mov_b32 s6, 0
	s_mov_b32 s3, 0
	s_waitcnt lgkmcnt(0)
	s_barrier
	buffer_gl0_inv
                                        ; implicit-def: $sgpr7
                                        ; implicit-def: $vgpr35_vgpr36
	s_and_saveexec_b32 s8, vcc_lo
	s_cbranch_execz .LBB82_75
; %bb.52:
	ds_read_b64 v[1:2], v101
	v_add_nc_u32_e32 v3, 1, v104
	v_mov_b32_e32 v5, 0
	v_mov_b32_e32 v29, 0
	;; [unrolled: 1-line block ×4, first 2 shown]
	v_cmp_gt_u32_e64 s2, s47, v3
	v_mov_b32_e32 v31, 0
	v_mov_b32_e32 v39, 0
	v_mov_b32_e32 v37, 0
	v_mov_b32_e32 v55, 0
	v_mov_b32_e32 v53, 0
	v_mov_b32_e32 v3, 0
	v_mov_b32_e32 v7, 0
	v_mov_b32_e32 v77, 0
	v_mov_b32_e32 v25, 0
	v_mov_b32_e32 v79, 0
	v_mov_b32_e32 v21, 0
	v_mov_b32_e32 v23, 0
	v_mov_b32_e32 v17, 0
	v_mov_b32_e32 v19, 0
	v_mov_b32_e32 v13, 0
	v_mov_b32_e32 v15, 0
	v_mov_b32_e32 v9, 0
	v_mov_b32_e32 v99, 0
	v_mov_b32_e32 v6, 0
	v_mov_b32_e32 v95, 0
	v_mov_b32_e32 v98, 0
	v_mov_b32_e32 v97, 0
	v_mov_b32_e32 v103, 0
	v_mov_b32_e32 v93, 0
	v_mov_b32_e32 v102, 0
	v_mov_b32_e32 v100, 0
	v_mov_b32_e32 v94, 0
	v_mov_b32_e32 v96, 0
	v_mov_b32_e32 v30, 0
	v_mov_b32_e32 v28, 0
	v_mov_b32_e32 v34, 0
	v_mov_b32_e32 v32, 0
	v_mov_b32_e32 v40, 0
	v_mov_b32_e32 v38, 0
	v_mov_b32_e32 v56, 0
	v_mov_b32_e32 v54, 0
	v_mov_b32_e32 v4, 0
	v_mov_b32_e32 v88, 0
	v_mov_b32_e32 v86, 0
	v_mov_b32_e32 v85, 0
	v_mov_b32_e32 v84, 0
	v_mov_b32_e32 v92, 0
	v_mov_b32_e32 v91, 0
	v_mov_b32_e32 v90, 0
	v_mov_b32_e32 v89, 0
	v_mov_b32_e32 v81, 0
	v_mov_b32_e32 v8, 0
	v_mov_b32_e32 v82, 0
	v_mov_b32_e32 v78, 0
	v_mov_b32_e32 v26, 0
	v_mov_b32_e32 v80, 0
	v_mov_b32_e32 v22, 0
	v_mov_b32_e32 v24, 0
	v_mov_b32_e32 v18, 0
	v_mov_b32_e32 v20, 0
	v_mov_b32_e32 v14, 0
	v_mov_b32_e32 v16, 0
	v_mov_b32_e32 v10, 0
	v_mov_b32_e32 v83, 0
	v_cmp_ne_u64_e32 vcc_lo, v[11:12], v[69:70]
                                        ; implicit-def: $sgpr7
                                        ; implicit-def: $vgpr35_vgpr36
	s_and_saveexec_b32 s9, s2
	s_cbranch_execz .LBB82_74
; %bb.53:
	ds_read2_b64 v[9:12], v101 offset0:1 offset1:2
	v_cmp_ne_u64_e64 s2, v[71:72], v[75:76]
	v_cmp_ne_u64_e64 s4, v[69:70], v[73:74]
	v_add_nc_u32_e32 v5, 2, v104
	v_cmp_ne_u64_e64 s3, v[67:68], v[59:60]
	v_mov_b32_e32 v29, 0
	v_mov_b32_e32 v27, 0
	v_cndmask_b32_e64 v3, 0, 1, s2
	v_cmp_ne_u64_e64 s2, v[65:66], v[57:58]
	v_cndmask_b32_e64 v4, 0, 1, s4
	v_cmp_gt_u32_e64 s4, s47, v5
	v_mov_b32_e32 v5, 0
	v_mov_b32_e32 v33, 0
	;; [unrolled: 1-line block ×17, first 2 shown]
	v_lshlrev_b16 v3, 8, v3
	v_mov_b32_e32 v99, 0
	v_mov_b32_e32 v6, 0
	;; [unrolled: 1-line block ×38, first 2 shown]
	s_mov_b32 s5, 0
                                        ; implicit-def: $sgpr7
                                        ; implicit-def: $vgpr35_vgpr36
	s_and_saveexec_b32 s10, s4
	s_cbranch_execz .LBB82_73
; %bb.54:
	v_cndmask_b32_e64 v7, 0, 1, s3
	v_cndmask_b32_e64 v8, 0, 1, s2
	v_add_nc_u32_e32 v13, 3, v104
	v_mov_b32_e32 v5, 0
	v_mov_b32_e32 v29, 0
	v_lshlrev_b16 v7, 8, v7
	v_mov_b32_e32 v27, 0
	v_mov_b32_e32 v33, 0
	;; [unrolled: 1-line block ×4, first 2 shown]
	v_or_b32_e32 v53, v8, v7
	v_mov_b32_e32 v37, 0
	v_mov_b32_e32 v55, 0
	v_cmp_gt_u32_e64 s2, s47, v13
	v_mov_b32_e32 v77, 0
	v_lshlrev_b32_e32 v54, 16, v53
	v_mov_b32_e32 v25, 0
	v_mov_b32_e32 v79, 0
	v_mov_b32_e32 v21, 0
	v_mov_b32_e32 v23, 0
	v_or_b32_sdwa v7, v3, v54 dst_sel:DWORD dst_unused:UNUSED_PAD src0_sel:WORD_0 src1_sel:DWORD
	v_mov_b32_e32 v17, 0
	v_mov_b32_e32 v19, 0
	;; [unrolled: 1-line block ×4, first 2 shown]
	v_lshrrev_b32_e32 v93, 8, v7
	v_mov_b32_e32 v7, 0
	v_mov_b32_e32 v6, 0
	;; [unrolled: 1-line block ×34, first 2 shown]
	s_mov_b32 s3, 0
                                        ; implicit-def: $sgpr7
                                        ; implicit-def: $vgpr35_vgpr36
	s_and_saveexec_b32 s11, s2
	s_cbranch_execz .LBB82_72
; %bb.55:
	ds_read2_b64 v[13:16], v101 offset0:3 offset1:4
	v_add_nc_u32_e32 v7, 4, v104
	v_mov_b32_e32 v5, 0
	v_mov_b32_e32 v29, 0
	;; [unrolled: 1-line block ×4, first 2 shown]
	v_cmp_gt_u32_e64 s2, s47, v7
	v_mov_b32_e32 v31, 0
	v_mov_b32_e32 v39, 0
	;; [unrolled: 1-line block ×41, first 2 shown]
                                        ; implicit-def: $sgpr7
                                        ; implicit-def: $vgpr35_vgpr36
	s_and_saveexec_b32 s12, s2
	s_cbranch_execz .LBB82_71
; %bb.56:
	v_add_nc_u32_e32 v7, 5, v104
	v_mov_b32_e32 v5, 0
	v_mov_b32_e32 v29, 0
	;; [unrolled: 1-line block ×4, first 2 shown]
	v_cmp_gt_u32_e64 s2, s47, v7
	v_mov_b32_e32 v31, 0
	v_mov_b32_e32 v39, 0
	;; [unrolled: 1-line block ×34, first 2 shown]
                                        ; implicit-def: $sgpr7
                                        ; implicit-def: $vgpr35_vgpr36
	s_and_saveexec_b32 s13, s2
	s_cbranch_execz .LBB82_70
; %bb.57:
	ds_read2_b64 v[17:20], v101 offset0:5 offset1:6
	v_cmp_ne_u64_e64 s2, v[61:62], v[63:64]
	v_cmp_ne_u64_e64 s4, v[59:60], v[61:62]
	v_add_nc_u32_e32 v6, 6, v104
	v_cmp_ne_u64_e64 s3, v[49:50], v[51:52]
	v_mov_b32_e32 v29, 0
	v_mov_b32_e32 v27, 0
	v_cndmask_b32_e64 v5, 0, 1, s2
	v_cmp_ne_u64_e64 s2, v[63:64], v[49:50]
	v_cndmask_b32_e64 v38, 0, 1, s4
	v_cmp_gt_u32_e64 s4, s47, v6
	v_mov_b32_e32 v33, 0
	v_lshlrev_b16 v37, 8, v5
	v_mov_b32_e32 v5, 0
	v_mov_b32_e32 v31, 0
	;; [unrolled: 1-line block ×30, first 2 shown]
                                        ; implicit-def: $sgpr7
                                        ; implicit-def: $vgpr35_vgpr36
	s_and_saveexec_b32 s14, s4
	s_cbranch_execz .LBB82_69
; %bb.58:
	v_cndmask_b32_e64 v5, 0, 1, s3
	v_cndmask_b32_e64 v7, 0, 1, s2
	v_mov_b32_e32 v29, 0
	v_mov_b32_e32 v27, 0
	;; [unrolled: 1-line block ×3, first 2 shown]
	v_lshlrev_b16 v8, 8, v5
	v_mov_b32_e32 v5, 0
	v_mov_b32_e32 v77, 0
	;; [unrolled: 1-line block ×4, first 2 shown]
	v_or_b32_e32 v31, v7, v8
	v_mov_b32_e32 v7, 0
	v_mov_b32_e32 v21, 0
	v_add_nc_u32_e32 v23, 7, v104
	v_mov_b32_e32 v98, 0
	v_lshlrev_b32_e32 v32, 16, v31
	v_mov_b32_e32 v6, 0
	v_mov_b32_e32 v97, 0
	;; [unrolled: 1-line block ×4, first 2 shown]
	v_or_b32_sdwa v24, v37, v32 dst_sel:DWORD dst_unused:UNUSED_PAD src0_sel:WORD_0 src1_sel:DWORD
	v_mov_b32_e32 v30, 0
	v_mov_b32_e32 v28, 0
	;; [unrolled: 1-line block ×11, first 2 shown]
	v_lshrrev_b32_e32 v95, 8, v24
	v_mov_b32_e32 v83, 0
	s_mov_b32 s3, 0
	s_mov_b32 s36, exec_lo
                                        ; implicit-def: $sgpr7
                                        ; implicit-def: $vgpr35_vgpr36
	v_cmpx_gt_u32_e64 s47, v23
	s_cbranch_execz .LBB82_68
; %bb.59:
	ds_read2_b64 v[21:24], v101 offset0:7 offset1:8
	v_add_nc_u32_e32 v7, 8, v104
	v_mov_b32_e32 v5, 0
	v_mov_b32_e32 v29, 0
	;; [unrolled: 1-line block ×4, first 2 shown]
	v_cmp_gt_u32_e64 s2, s47, v7
	v_mov_b32_e32 v7, 0
	v_mov_b32_e32 v25, 0
	;; [unrolled: 1-line block ×16, first 2 shown]
                                        ; implicit-def: $sgpr7
                                        ; implicit-def: $vgpr35_vgpr36
	s_and_saveexec_b32 s37, s2
	s_cbranch_execz .LBB82_67
; %bb.60:
	v_add_nc_u32_e32 v7, 9, v104
	v_mov_b32_e32 v5, 0
	v_mov_b32_e32 v29, 0
	;; [unrolled: 1-line block ×4, first 2 shown]
	v_cmp_gt_u32_e64 s2, s47, v7
	v_mov_b32_e32 v7, 0
	v_mov_b32_e32 v6, 0
	v_mov_b32_e32 v94, 0
	v_mov_b32_e32 v96, 0
	v_mov_b32_e32 v30, 0
	v_mov_b32_e32 v81, 0
	v_mov_b32_e32 v8, 0
	v_mov_b32_e32 v78, 0
	v_mov_b32_e32 v26, 0
	v_mov_b32_e32 v83, 0
                                        ; implicit-def: $sgpr7
                                        ; implicit-def: $vgpr35_vgpr36
	s_and_saveexec_b32 s48, s2
	s_cbranch_execz .LBB82_66
; %bb.61:
	ds_read2_b64 v[25:28], v101 offset0:9 offset1:10
	v_add_nc_u32_e32 v5, 10, v104
	v_cmp_ne_u64_e64 s2, v[51:52], v[41:42]
	v_mov_b32_e32 v7, 0
	v_mov_b32_e32 v77, 0
	;; [unrolled: 1-line block ×3, first 2 shown]
	v_cmp_gt_u32_e64 s3, s47, v5
	v_mov_b32_e32 v5, 0
	v_mov_b32_e32 v6, 0
	;; [unrolled: 1-line block ×5, first 2 shown]
	s_mov_b32 s4, 0
                                        ; implicit-def: $sgpr7
                                        ; implicit-def: $vgpr35_vgpr36
	s_and_saveexec_b32 s49, s3
	s_cbranch_execz .LBB82_65
; %bb.62:
	v_cmp_ne_u64_e64 s3, v[41:42], v[43:44]
	v_mov_b32_e32 v7, 0
	v_add_nc_u32_e32 v5, 11, v104
	v_mov_b32_e32 v8, 0
	v_mov_b32_e32 v81, 0
	s_mov_b32 s50, exec_lo
                                        ; implicit-def: $sgpr7
                                        ; implicit-def: $vgpr35_vgpr36
	v_cmpx_gt_u32_e64 s47, v5
	s_xor_b32 s50, exec_lo, s50
	s_cbranch_execz .LBB82_64
; %bb.63:
	ds_read2_b64 v[33:36], v101 offset0:11 offset1:12
	v_add_nc_u32_e32 v5, 12, v104
	v_cmp_ne_u64_e64 s5, v[43:44], v[45:46]
	v_cmp_ne_u64_e64 s7, v[45:46], v[47:48]
	v_cmp_gt_u32_e64 s4, s47, v5
	v_cndmask_b32_e64 v81, 0, 1, s5
	s_and_b32 s5, s4, exec_lo
	s_waitcnt lgkmcnt(0)
	v_mov_b32_e32 v7, v33
	v_mov_b32_e32 v8, v34
.LBB82_64:
	s_or_b32 exec_lo, exec_lo, s50
	s_waitcnt lgkmcnt(0)
	v_mov_b32_e32 v5, v27
	v_mov_b32_e32 v78, v28
	v_cndmask_b32_e64 v94, 0, 1, s3
	v_mov_b32_e32 v6, v28
	v_mov_b32_e32 v77, v27
	s_and_b32 s4, s5, exec_lo
.LBB82_65:
	s_or_b32 exec_lo, exec_lo, s49
	v_cndmask_b32_e64 v96, 0, 1, s2
	s_waitcnt lgkmcnt(0)
	v_mov_b32_e32 v30, v26
	v_mov_b32_e32 v29, v25
	s_and_b32 s3, s4, exec_lo
	v_mov_b32_e32 v83, v96
.LBB82_66:
	s_or_b32 exec_lo, exec_lo, s48
	s_waitcnt lgkmcnt(0)
	v_mov_b32_e32 v28, v24
	v_mov_b32_e32 v80, v24
	v_lshrrev_b32_e32 v97, 24, v32
	v_mov_b32_e32 v27, v23
	v_mov_b32_e32 v82, v94
	;; [unrolled: 1-line block ×3, first 2 shown]
	s_and_b32 s3, s3, exec_lo
.LBB82_67:
	s_or_b32 exec_lo, exec_lo, s37
	s_waitcnt lgkmcnt(0)
	v_mov_b32_e32 v34, v22
	v_mov_b32_e32 v98, v31
	;; [unrolled: 1-line block ×4, first 2 shown]
	s_and_b32 s3, s3, exec_lo
.LBB82_68:
	s_or_b32 exec_lo, exec_lo, s36
	s_waitcnt lgkmcnt(0)
	v_mov_b32_e32 v32, v20
	v_mov_b32_e32 v24, v20
	v_mov_b32_e32 v31, v19
	v_mov_b32_e32 v86, v95
	v_mov_b32_e32 v85, v98
	v_mov_b32_e32 v23, v19
	s_and_b32 s5, s3, exec_lo
.LBB82_69:
	s_or_b32 exec_lo, exec_lo, s14
	s_waitcnt lgkmcnt(0)
	v_mov_b32_e32 v40, v18
	v_or_b32_e32 v99, v38, v37
	v_mov_b32_e32 v39, v17
	s_and_b32 s3, s5, exec_lo
.LBB82_70:
	s_or_b32 exec_lo, exec_lo, s13
	v_lshrrev_b32_e32 v100, 24, v54
	s_waitcnt lgkmcnt(0)
	v_mov_b32_e32 v38, v16
	v_mov_b32_e32 v20, v16
	;; [unrolled: 1-line block ×6, first 2 shown]
	s_and_b32 s3, s3, exec_lo
.LBB82_71:
	s_or_b32 exec_lo, exec_lo, s12
	s_waitcnt lgkmcnt(0)
	v_mov_b32_e32 v56, v14
	v_mov_b32_e32 v102, v53
	;; [unrolled: 1-line block ×4, first 2 shown]
	s_and_b32 s3, s3, exec_lo
.LBB82_72:
	s_or_b32 exec_lo, exec_lo, s11
	s_waitcnt lgkmcnt(0)
	v_mov_b32_e32 v54, v12
	v_mov_b32_e32 v16, v12
	;; [unrolled: 1-line block ×5, first 2 shown]
	s_and_b32 s5, s3, exec_lo
.LBB82_73:
	s_or_b32 exec_lo, exec_lo, s10
	v_or_b32_e32 v103, v4, v3
	s_waitcnt lgkmcnt(0)
	v_mov_b32_e32 v3, v9
	v_mov_b32_e32 v4, v10
	s_and_b32 s3, s5, exec_lo
	v_mov_b32_e32 v92, v103
.LBB82_74:
	s_or_b32 exec_lo, exec_lo, s9
	v_cndmask_b32_e64 v105, 0, 1, vcc_lo
	s_and_b32 s3, s3, exec_lo
	v_mov_b32_e32 v87, v105
.LBB82_75:
	s_or_b32 exec_lo, exec_lo, s8
	v_lshlrev_b32_e32 v57, 3, v0
	s_and_b32 vcc_lo, exec_lo, s6
	s_cbranch_vccnz .LBB82_77
	s_branch .LBB82_85
.LBB82_76:
                                        ; implicit-def: $sgpr7
                                        ; implicit-def: $vgpr99
                                        ; implicit-def: $vgpr95
                                        ; implicit-def: $vgpr98
                                        ; implicit-def: $vgpr97
                                        ; implicit-def: $vgpr103
                                        ; implicit-def: $vgpr93
                                        ; implicit-def: $vgpr102
                                        ; implicit-def: $vgpr100
                                        ; implicit-def: $vgpr35_vgpr36
                                        ; implicit-def: $vgpr94
                                        ; implicit-def: $vgpr5_vgpr6
                                        ; implicit-def: $vgpr96
                                        ; implicit-def: $vgpr29_vgpr30
                                        ; implicit-def: $vgpr33_vgpr34
                                        ; implicit-def: $vgpr39_vgpr40
                                        ; implicit-def: $vgpr55_vgpr56
                                        ; implicit-def: $vgpr3_vgpr4
                                        ; implicit-def: $vgpr105
                                        ; implicit-def: $vgpr88
                                        ; implicit-def: $vgpr86
                                        ; implicit-def: $vgpr85
                                        ; implicit-def: $vgpr84
                                        ; implicit-def: $vgpr92
                                        ; implicit-def: $vgpr91
                                        ; implicit-def: $vgpr90
                                        ; implicit-def: $vgpr89
                                        ; implicit-def: $vgpr81
                                        ; implicit-def: $vgpr82
                                        ; implicit-def: $vgpr77_vgpr78
                                        ; implicit-def: $vgpr83
                                        ; implicit-def: $vgpr25_vgpr26
                                        ; implicit-def: $vgpr79_vgpr80
                                        ; implicit-def: $vgpr21_vgpr22
                                        ; implicit-def: $vgpr23_vgpr24
                                        ; implicit-def: $vgpr17_vgpr18
                                        ; implicit-def: $vgpr19_vgpr20
                                        ; implicit-def: $vgpr13_vgpr14
                                        ; implicit-def: $vgpr15_vgpr16
                                        ; implicit-def: $vgpr9_vgpr10
                                        ; implicit-def: $vgpr87
	v_lshlrev_b32_e32 v57, 3, v0
	s_cbranch_execz .LBB82_85
.LBB82_77:
	s_waitcnt lgkmcnt(0)
	v_add_co_u32 v1, s2, s16, v57
	v_add_co_ci_u32_e64 v2, null, s17, 0, s2
	v_mad_u32_u24 v35, 0x60, v0, v57
	v_add_co_u32 v3, vcc_lo, 0x800, v1
	v_add_co_ci_u32_e64 v4, null, 0, v2, vcc_lo
	v_add_co_u32 v5, vcc_lo, 0x1000, v1
	v_add_co_ci_u32_e64 v6, null, 0, v2, vcc_lo
	v_add_co_u32 v7, vcc_lo, 0x1800, v1
	v_add_co_ci_u32_e64 v8, null, 0, v2, vcc_lo
	v_add_co_u32 v9, vcc_lo, 0x2000, v1
	v_add_co_ci_u32_e64 v10, null, 0, v2, vcc_lo
	v_add_co_u32 v11, vcc_lo, 0x2800, v1
	v_add_co_ci_u32_e64 v12, null, 0, v2, vcc_lo
	v_add_co_u32 v13, vcc_lo, 0x3000, v1
	v_add_co_ci_u32_e64 v14, null, 0, v2, vcc_lo
	v_add_co_u32 v15, vcc_lo, 0x3800, v1
	v_add_co_ci_u32_e64 v16, null, 0, v2, vcc_lo
	v_add_co_u32 v19, vcc_lo, 0x4000, v1
	v_add_co_ci_u32_e64 v20, null, 0, v2, vcc_lo
	v_add_co_u32 v21, vcc_lo, 0x4800, v1
	v_add_co_ci_u32_e64 v22, null, 0, v2, vcc_lo
	v_add_co_u32 v23, vcc_lo, 0x5000, v1
	v_add_co_ci_u32_e64 v24, null, 0, v2, vcc_lo
	v_add_co_u32 v25, vcc_lo, 0x5800, v1
	s_clause 0x7
	flat_load_dwordx2 v[17:18], v[1:2]
	flat_load_dwordx2 v[3:4], v[3:4]
	;; [unrolled: 1-line block ×8, first 2 shown]
	v_add_co_ci_u32_e64 v26, null, 0, v2, vcc_lo
	v_add_co_u32 v1, vcc_lo, 0x6000, v1
	v_add_co_ci_u32_e64 v2, null, 0, v2, vcc_lo
	s_clause 0x4
	flat_load_dwordx2 v[19:20], v[19:20]
	flat_load_dwordx2 v[21:22], v[21:22]
	;; [unrolled: 1-line block ×5, first 2 shown]
	s_cmp_eq_u64 s[40:41], 0
	s_waitcnt vmcnt(11) lgkmcnt(11)
	ds_write2st64_b64 v57, v[17:18], v[3:4] offset1:4
	s_waitcnt vmcnt(9) lgkmcnt(10)
	ds_write2st64_b64 v57, v[5:6], v[7:8] offset0:8 offset1:12
	s_waitcnt vmcnt(7) lgkmcnt(9)
	ds_write2st64_b64 v57, v[9:10], v[11:12] offset0:16 offset1:20
	;; [unrolled: 2-line block ×5, first 2 shown]
	s_waitcnt vmcnt(0) lgkmcnt(6)
	ds_write_b64 v57, v[1:2] offset:24576
	s_waitcnt lgkmcnt(0)
	s_barrier
	buffer_gl0_inv
	ds_read2_b64 v[1:4], v35 offset0:2 offset1:3
	ds_read2_b64 v[9:12], v35 offset0:3 offset1:4
	ds_read2_b64 v[5:8], v35 offset1:1
	ds_read2_b64 v[13:16], v35 offset0:1 offset1:2
	ds_read2_b64 v[17:20], v35 offset0:7 offset1:8
	;; [unrolled: 1-line block ×5, first 2 shown]
	s_cbranch_scc1 .LBB82_82
; %bb.78:
	s_andn2_b32 vcc_lo, exec_lo, s46
	s_cbranch_vccnz .LBB82_244
; %bb.79:
	s_lshl_b64 s[2:3], s[40:41], 3
	s_add_u32 s2, s42, s2
	s_addc_u32 s3, s43, s3
	s_add_u32 s2, s2, -8
	s_addc_u32 s3, s3, -1
	s_cbranch_execnz .LBB82_81
.LBB82_80:
	s_add_u32 s2, s16, -8
	s_addc_u32 s3, s17, -1
.LBB82_81:
	s_mov_b64 s[16:17], s[2:3]
.LBB82_82:
	v_mov_b32_e32 v34, s17
	v_mov_b32_e32 v33, s16
	v_mad_i32_i24 v36, 0xffffffa0, v0, v35
	flat_load_dwordx2 v[33:34], v[33:34]
	s_waitcnt lgkmcnt(1)
	ds_write_b64 v36, v[31:32] offset:26624
	s_waitcnt vmcnt(0) lgkmcnt(0)
	s_barrier
	buffer_gl0_inv
	s_and_saveexec_b32 s2, s1
; %bb.83:
	v_mul_i32_i24_e32 v33, 0xffffffa0, v0
	v_add_nc_u32_e32 v33, v35, v33
	ds_read_b64 v[33:34], v33 offset:26616
; %bb.84:
	s_or_b32 exec_lo, exec_lo, s2
	v_add_co_u32 v36, s2, s15, v57
	v_add_co_ci_u32_e64 v37, null, s45, 0, s2
	s_waitcnt lgkmcnt(0)
	v_add_co_u32 v38, vcc_lo, 0x800, v36
	v_add_co_ci_u32_e64 v39, null, 0, v37, vcc_lo
	v_add_co_u32 v40, vcc_lo, 0x1000, v36
	v_add_co_ci_u32_e64 v41, null, 0, v37, vcc_lo
	;; [unrolled: 2-line block ×10, first 2 shown]
	v_add_co_u32 v62, vcc_lo, 0x5800, v36
	s_barrier
	buffer_gl0_inv
	s_clause 0x7
	flat_load_dwordx2 v[52:53], v[36:37]
	flat_load_dwordx2 v[38:39], v[38:39]
	;; [unrolled: 1-line block ×8, first 2 shown]
	v_add_co_ci_u32_e64 v63, null, 0, v37, vcc_lo
	v_add_co_u32 v36, vcc_lo, 0x6000, v36
	v_add_co_ci_u32_e64 v37, null, 0, v37, vcc_lo
	s_clause 0x4
	flat_load_dwordx2 v[54:55], v[54:55]
	flat_load_dwordx2 v[58:59], v[58:59]
	;; [unrolled: 1-line block ×5, first 2 shown]
	v_cmp_ne_u64_e32 vcc_lo, v[27:28], v[29:30]
	v_cmp_ne_u64_e64 s7, v[29:30], v[31:32]
	s_mov_b32 s3, -1
	s_waitcnt vmcnt(11) lgkmcnt(11)
	ds_write2st64_b64 v57, v[52:53], v[38:39] offset1:4
	s_waitcnt vmcnt(9) lgkmcnt(10)
	ds_write2st64_b64 v57, v[40:41], v[42:43] offset0:8 offset1:12
	s_waitcnt vmcnt(7) lgkmcnt(9)
	ds_write2st64_b64 v57, v[44:45], v[46:47] offset0:16 offset1:20
	;; [unrolled: 2-line block ×5, first 2 shown]
	s_waitcnt vmcnt(0) lgkmcnt(6)
	ds_write_b64 v57, v[36:37] offset:24576
	v_cndmask_b32_e64 v81, 0, 1, vcc_lo
	v_cmp_ne_u64_e32 vcc_lo, v[25:26], v[27:28]
	s_waitcnt lgkmcnt(0)
	s_barrier
	buffer_gl0_inv
	v_cndmask_b32_e64 v94, 0, 1, vcc_lo
	v_cmp_ne_u64_e32 vcc_lo, v[19:20], v[25:26]
	v_mov_b32_e32 v82, v94
	v_cndmask_b32_e64 v96, 0, 1, vcc_lo
	v_cmp_ne_u64_e32 vcc_lo, v[21:22], v[23:24]
	v_mov_b32_e32 v83, v96
	v_cndmask_b32_e64 v25, 0, 1, vcc_lo
	v_cmp_ne_u64_e32 vcc_lo, v[11:12], v[21:22]
	v_cndmask_b32_e64 v21, 0, 1, vcc_lo
	v_cmp_ne_u64_e32 vcc_lo, v[17:18], v[19:20]
	v_cndmask_b32_e64 v19, 0, 1, vcc_lo
	v_cmp_ne_u64_e32 vcc_lo, v[23:24], v[17:18]
	v_cndmask_b32_e64 v17, 0, 1, vcc_lo
	v_cmp_ne_u64_e32 vcc_lo, v[7:8], v[15:16]
	v_cndmask_b32_e64 v7, 0, 1, vcc_lo
	v_cmp_ne_u64_e32 vcc_lo, v[5:6], v[13:14]
	v_cndmask_b32_e64 v8, 0, 1, vcc_lo
	v_cmp_ne_u64_e32 vcc_lo, v[3:4], v[11:12]
	v_cndmask_b32_e64 v3, 0, 1, vcc_lo
	v_cmp_ne_u64_e32 vcc_lo, v[1:2], v[9:10]
	v_lshlrev_b16 v2, 8, v19
	v_lshlrev_b16 v10, 8, v7
	;; [unrolled: 1-line block ×4, first 2 shown]
	v_cndmask_b32_e64 v1, 0, 1, vcc_lo
	v_cmp_ne_u64_e32 vcc_lo, v[33:34], v[5:6]
	v_or_b32_e32 v98, v17, v2
	v_or_b32_e32 v103, v8, v10
	ds_read2_b64 v[27:30], v35 offset0:8 offset1:9
	ds_read2_b64 v[5:8], v35 offset0:10 offset1:11
	v_or_b32_e32 v102, v1, v3
	ds_read2_b64 v[37:40], v35 offset0:4 offset1:5
	ds_read2_b64 v[31:34], v35 offset0:6 offset1:7
	ds_read2_b64 v[1:4], v35 offset1:1
	ds_read2_b64 v[53:56], v35 offset0:2 offset1:3
	v_lshlrev_b32_e32 v11, 16, v98
	ds_read_b64 v[35:36], v35 offset:96
	v_lshlrev_b32_e32 v12, 16, v102
	v_or_b32_e32 v99, v21, v9
	v_cndmask_b32_e64 v105, 0, 1, vcc_lo
	v_or_b32_sdwa v9, v9, v11 dst_sel:DWORD dst_unused:UNUSED_PAD src0_sel:WORD_0 src1_sel:DWORD
	v_lshrrev_b32_e32 v97, 24, v11
	v_or_b32_sdwa v10, v10, v12 dst_sel:DWORD dst_unused:UNUSED_PAD src0_sel:WORD_0 src1_sel:DWORD
	v_lshrrev_b32_e32 v100, 24, v12
	v_mov_b32_e32 v88, v99
	v_lshrrev_b32_e32 v95, 8, v9
	v_mov_b32_e32 v85, v98
	;; [unrolled: 2-line block ×3, first 2 shown]
	v_mov_b32_e32 v90, v102
	s_waitcnt lgkmcnt(6)
	v_mov_b32_e32 v25, v29
	s_waitcnt lgkmcnt(5)
	v_mov_b32_e32 v78, v6
	v_mov_b32_e32 v80, v28
	s_waitcnt lgkmcnt(3)
	v_mov_b32_e32 v21, v33
	v_mov_b32_e32 v23, v31
	;; [unrolled: 1-line block ×4, first 2 shown]
	s_waitcnt lgkmcnt(1)
	v_mov_b32_e32 v13, v55
	v_mov_b32_e32 v15, v53
	;; [unrolled: 1-line block ×18, first 2 shown]
.LBB82_85:
	v_mov_b32_e32 v11, 0
	v_mov_b32_e32 v12, 0
	;; [unrolled: 1-line block ×3, first 2 shown]
	s_and_saveexec_b32 s2, s3
	s_cbranch_execz .LBB82_87
; %bb.86:
	v_mov_b32_e32 v10, v4
	v_mov_b32_e32 v15, v53
	;; [unrolled: 1-line block ×10, first 2 shown]
	s_waitcnt lgkmcnt(0)
	v_mov_b32_e32 v11, v35
	v_cndmask_b32_e64 v58, 0, 1, s7
	v_mov_b32_e32 v87, v105
	v_mov_b32_e32 v9, v3
	;; [unrolled: 1-line block ×22, first 2 shown]
.LBB82_87:
	s_or_b32 exec_lo, exec_lo, s2
	v_and_b32_e32 v61, 1, v88
	v_and_b32_e32 v62, 1, v84
	v_and_b32_e32 v63, 1, v81
	v_and_b32_e32 v59, 1, v58
	v_and_b32_e32 v60, 1, v91
	v_or_b32_e32 v55, v89, v90
	v_or_b32_e32 v54, v85, v86
	;; [unrolled: 1-line block ×3, first 2 shown]
	v_cmp_eq_u32_e64 s17, 1, v61
	v_cmp_eq_u32_e64 s15, 1, v62
	;; [unrolled: 1-line block ×3, first 2 shown]
	v_cmp_eq_u16_e64 s2, 0, v58
	v_cmp_eq_u32_e64 s14, 1, v59
	v_mbcnt_lo_u32_b32 v53, -1, 0
	s_cmp_lg_u32 s44, 0
	v_cmp_eq_u32_e32 vcc_lo, 1, v60
	s_waitcnt lgkmcnt(0)
	s_barrier
	buffer_gl0_inv
	s_cbranch_scc0 .LBB82_145
; %bb.88:
	v_mov_b32_e32 v5, 0
	v_or_b32_e32 v28, v92, v87
	v_cmp_eq_u16_sdwa s13, v92, v5 src0_sel:BYTE_0 src1_sel:DWORD
	v_cmp_eq_u16_sdwa s12, v91, v5 src0_sel:BYTE_0 src1_sel:DWORD
	;; [unrolled: 1-line block ×5, first 2 shown]
	v_cndmask_b32_e64 v3, 1, v1, s13
	v_cndmask_b32_e64 v6, 0, v2, s13
	v_cmp_eq_u16_sdwa s8, v86, v5 src0_sel:BYTE_0 src1_sel:DWORD
	v_cmp_eq_u16_sdwa s7, v85, v5 src0_sel:BYTE_0 src1_sel:DWORD
	;; [unrolled: 1-line block ×3, first 2 shown]
	v_mul_lo_u32 v27, v3, v10
	v_mad_u64_u32 v[3:4], null, v3, v9, 0
	v_mul_lo_u32 v6, v6, v9
	v_cmp_eq_u16_sdwa s5, v83, v5 src0_sel:BYTE_0 src1_sel:DWORD
	v_cmp_eq_u16_sdwa s4, v82, v5 src0_sel:BYTE_0 src1_sel:DWORD
	;; [unrolled: 1-line block ×3, first 2 shown]
	v_cmp_ne_u16_sdwa s41, v56, v5 src0_sel:BYTE_0 src1_sel:DWORD
	v_cmp_ne_u16_sdwa s36, v55, v5 src0_sel:BYTE_0 src1_sel:DWORD
	v_cndmask_b32_e64 v3, 1, v3, s12
	v_cmp_ne_u16_sdwa s37, v28, v5 src0_sel:BYTE_0 src1_sel:DWORD
	v_add3_u32 v4, v4, v27, v6
	v_cmp_ne_u16_sdwa s40, v54, v5 src0_sel:BYTE_0 src1_sel:DWORD
	s_or_b32 s16, s41, s16
	v_mul_lo_u32 v27, v3, v16
	s_or_b32 s14, s14, s16
	v_cndmask_b32_e64 v4, 0, v4, s12
	s_or_b32 s15, s40, s15
	s_or_b32 s17, s36, s17
	s_or_b32 s14, s14, s15
	s_or_b32 s15, s37, vcc_lo
	v_mul_lo_u32 v6, v4, v15
	v_mad_u64_u32 v[3:4], null, v3, v15, 0
	s_or_b32 s14, s14, s17
	v_and_b32_e32 v28, 15, v53
	s_or_b32 s15, s14, s15
	s_mov_b32 s14, exec_lo
	v_add3_u32 v4, v4, v27, v6
	v_cndmask_b32_e64 v3, 1, v3, s11
	v_cndmask_b32_e64 v4, 0, v4, s11
	v_mul_lo_u32 v27, v3, v14
	v_mul_lo_u32 v6, v4, v13
	v_mad_u64_u32 v[3:4], null, v3, v13, 0
	v_add3_u32 v4, v4, v27, v6
	v_cndmask_b32_e64 v3, 1, v3, s10
	v_cndmask_b32_e64 v4, 0, v4, s10
	v_mul_lo_u32 v27, v3, v20
	v_mul_lo_u32 v6, v4, v19
	v_mad_u64_u32 v[3:4], null, v3, v19, 0
	;; [unrolled: 6-line block ×9, first 2 shown]
	v_add3_u32 v4, v4, v27, v6
	v_cndmask_b32_e64 v3, 1, v3, s2
	v_cndmask_b32_e64 v27, 0, 1, s15
	;; [unrolled: 1-line block ×3, first 2 shown]
	v_mul_lo_u32 v6, v3, v12
	v_mad_u64_u32 v[3:4], null, v3, v11, 0
	v_mov_b32_dpp v29, v27 row_shr:1 row_mask:0xf bank_mask:0xf
	v_mul_lo_u32 v5, v5, v11
	v_mov_b32_dpp v30, v3 row_shr:1 row_mask:0xf bank_mask:0xf
	v_add3_u32 v4, v4, v6, v5
	v_mov_b32_e32 v6, v4
	v_mov_b32_dpp v31, v4 row_shr:1 row_mask:0xf bank_mask:0xf
	v_mov_b32_e32 v5, v3
	v_cmpx_ne_u32_e32 0, v28
	s_cbranch_execz .LBB82_90
; %bb.89:
	v_cndmask_b32_e64 v5, v31, 0, s15
	v_cndmask_b32_e64 v6, v30, 1, s15
	v_and_or_b32 v27, v29, 1, v27
	v_mul_lo_u32 v30, v5, v3
	v_mul_lo_u32 v4, v6, v4
	v_mad_u64_u32 v[5:6], null, v6, v3, 0
	v_add3_u32 v6, v6, v4, v30
	v_mov_b32_e32 v3, v5
	v_mov_b32_e32 v4, v6
.LBB82_90:
	s_or_b32 exec_lo, exec_lo, s14
	v_mov_b32_dpp v30, v3 row_shr:2 row_mask:0xf bank_mask:0xf
	v_mov_b32_dpp v31, v4 row_shr:2 row_mask:0xf bank_mask:0xf
	v_mov_b32_dpp v29, v27 row_shr:2 row_mask:0xf bank_mask:0xf
	s_mov_b32 s14, exec_lo
	v_cmpx_lt_u32_e32 1, v28
	s_cbranch_execz .LBB82_92
; %bb.91:
	v_cmp_eq_u16_e32 vcc_lo, 0, v27
	v_or_b32_e32 v27, v29, v27
	v_cndmask_b32_e32 v3, 1, v30, vcc_lo
	v_cndmask_b32_e32 v30, 0, v31, vcc_lo
	v_and_b32_e32 v27, 1, v27
	v_mul_lo_u32 v6, v3, v6
	v_mad_u64_u32 v[3:4], null, v3, v5, 0
	v_mul_lo_u32 v5, v30, v5
	v_add3_u32 v4, v4, v6, v5
	v_mov_b32_e32 v6, v4
	v_mov_b32_e32 v5, v3
.LBB82_92:
	s_or_b32 exec_lo, exec_lo, s14
	v_mov_b32_dpp v30, v3 row_shr:4 row_mask:0xf bank_mask:0xf
	v_mov_b32_dpp v31, v4 row_shr:4 row_mask:0xf bank_mask:0xf
	v_mov_b32_dpp v29, v27 row_shr:4 row_mask:0xf bank_mask:0xf
	s_mov_b32 s14, exec_lo
	v_cmpx_lt_u32_e32 3, v28
	s_cbranch_execz .LBB82_94
; %bb.93:
	v_cmp_eq_u16_e32 vcc_lo, 0, v27
	v_or_b32_e32 v27, v29, v27
	v_cndmask_b32_e32 v3, 1, v30, vcc_lo
	v_cndmask_b32_e32 v30, 0, v31, vcc_lo
	v_and_b32_e32 v27, 1, v27
	v_mul_lo_u32 v6, v3, v6
	v_mad_u64_u32 v[3:4], null, v3, v5, 0
	v_mul_lo_u32 v5, v30, v5
	v_add3_u32 v4, v4, v6, v5
	v_mov_b32_e32 v6, v4
	v_mov_b32_e32 v5, v3
.LBB82_94:
	;; [unrolled: 20-line block ×3, first 2 shown]
	s_or_b32 exec_lo, exec_lo, s14
	ds_swizzle_b32 v28, v3 offset:swizzle(BROADCAST,32,15)
	ds_swizzle_b32 v4, v4 offset:swizzle(BROADCAST,32,15)
	;; [unrolled: 1-line block ×3, first 2 shown]
	v_and_b32_e32 v29, 16, v53
	v_cmp_ne_u32_e32 vcc_lo, 0, v29
	v_mov_b32_e32 v29, v27
	s_and_saveexec_b32 s15, vcc_lo
	s_cbranch_execz .LBB82_98
; %bb.97:
	v_cmp_eq_u16_e32 vcc_lo, 0, v27
	v_and_b32_e32 v27, 1, v27
	s_waitcnt lgkmcnt(0)
	v_and_b32_e32 v3, 1, v3
	v_cndmask_b32_e32 v28, 1, v28, vcc_lo
	v_cndmask_b32_e32 v4, 0, v4, vcc_lo
	v_cmp_eq_u32_e32 vcc_lo, 1, v27
	v_cmp_eq_u32_e64 s14, 1, v3
	v_mul_lo_u32 v6, v28, v6
	v_mad_u64_u32 v[30:31], null, v28, v5, 0
	v_mul_lo_u32 v4, v4, v5
	s_or_b32 s14, vcc_lo, s14
	v_cndmask_b32_e64 v27, 0, 1, s14
	v_cndmask_b32_e64 v29, 0, 1, s14
	v_add3_u32 v31, v31, v6, v4
	v_mov_b32_e32 v5, v30
	v_mov_b32_e32 v6, v31
.LBB82_98:
	s_or_b32 exec_lo, exec_lo, s15
	s_waitcnt lgkmcnt(1)
	v_lshrrev_b32_e32 v4, 5, v0
	s_waitcnt lgkmcnt(0)
	v_or_b32_e32 v3, 31, v0
	s_mov_b32 s14, exec_lo
	v_lshlrev_b32_e32 v30, 4, v4
	v_cmpx_eq_u32_e64 v0, v3
	s_cbranch_execz .LBB82_100
; %bb.99:
	ds_write_b64 v30, v[5:6]
	ds_write_b8 v30, v27 offset:8
.LBB82_100:
	s_or_b32 exec_lo, exec_lo, s14
	s_mov_b32 s15, exec_lo
	s_waitcnt lgkmcnt(0)
	s_barrier
	buffer_gl0_inv
	v_cmpx_gt_u32_e32 8, v0
	s_cbranch_execz .LBB82_108
; %bb.101:
	v_lshlrev_b32_e32 v31, 4, v0
	v_and_b32_e32 v32, 7, v53
	s_mov_b32 s14, exec_lo
	ds_read_b64 v[3:4], v31
	ds_read_b32 v35, v31 offset:8
	s_waitcnt lgkmcnt(1)
	v_mov_b32_dpp v38, v3 row_shr:1 row_mask:0xf bank_mask:0xf
	v_mov_b32_dpp v39, v4 row_shr:1 row_mask:0xf bank_mask:0xf
	s_waitcnt lgkmcnt(0)
	v_and_b32_e32 v34, 0xffffff00, v35
	v_mov_b32_dpp v37, v35 row_shr:1 row_mask:0xf bank_mask:0xf
	v_mov_b32_e32 v36, v35
	v_mov_b32_e32 v33, v35
	;; [unrolled: 1-line block ×4, first 2 shown]
	v_cmpx_ne_u32_e32 0, v32
	s_cbranch_execz .LBB82_103
; %bb.102:
	v_mov_b32_e32 v27, 0
	v_cmp_eq_u16_sdwa vcc_lo, v35, v27 src0_sel:BYTE_0 src1_sel:DWORD
	v_or_b32_e32 v35, v37, v35
	v_cndmask_b32_e32 v27, 1, v38, vcc_lo
	v_cndmask_b32_e32 v33, 0, v39, vcc_lo
	v_and_b32_e32 v36, 1, v35
	v_mul_lo_u32 v4, v27, v4
	v_mad_u64_u32 v[27:28], null, v27, v3, 0
	v_mul_lo_u32 v3, v33, v3
	v_and_b32_e32 v33, 1, v35
	v_or_b32_e32 v35, v33, v34
	v_add3_u32 v28, v28, v4, v3
	v_mov_b32_e32 v3, v27
	v_mov_b32_e32 v4, v28
.LBB82_103:
	s_or_b32 exec_lo, exec_lo, s14
	v_mov_b32_dpp v39, v27 row_shr:2 row_mask:0xf bank_mask:0xf
	v_mov_b32_dpp v37, v28 row_shr:2 row_mask:0xf bank_mask:0xf
	;; [unrolled: 1-line block ×3, first 2 shown]
	s_mov_b32 s16, exec_lo
	v_cmpx_lt_u32_e32 1, v32
	s_cbranch_execz .LBB82_105
; %bb.104:
	v_mov_b32_e32 v27, 0
	v_and_b32_e32 v35, 1, v38
	v_cmp_eq_u16_sdwa vcc_lo, v33, v27 src0_sel:BYTE_0 src1_sel:DWORD
	v_and_b32_e32 v33, 1, v33
	v_cmp_eq_u32_e64 s14, 1, v35
	v_cndmask_b32_e32 v27, 1, v39, vcc_lo
	v_cndmask_b32_e32 v36, 0, v37, vcc_lo
	v_cmp_eq_u32_e32 vcc_lo, 1, v33
	v_mul_lo_u32 v4, v27, v4
	v_mad_u64_u32 v[27:28], null, v27, v3, 0
	v_mul_lo_u32 v3, v36, v3
	s_or_b32 s14, vcc_lo, s14
	v_cndmask_b32_e64 v36, 0, 1, s14
	v_cndmask_b32_e64 v33, 0, 1, s14
	v_add3_u32 v28, v28, v4, v3
	v_mov_b32_e32 v3, v27
	v_or_b32_e32 v35, v34, v33
	v_mov_b32_e32 v33, v36
	v_mov_b32_e32 v4, v28
.LBB82_105:
	s_or_b32 exec_lo, exec_lo, s16
	v_mov_b32_dpp v34, v27 row_shr:4 row_mask:0xf bank_mask:0xf
	v_mov_b32_dpp v28, v28 row_shr:4 row_mask:0xf bank_mask:0xf
	;; [unrolled: 1-line block ×3, first 2 shown]
	s_mov_b32 s16, exec_lo
	v_cmpx_lt_u32_e32 3, v32
	s_cbranch_execz .LBB82_107
; %bb.106:
	v_mov_b32_e32 v32, 0
	v_and_b32_e32 v27, 1, v27
	v_cmp_eq_u16_sdwa vcc_lo, v33, v32 src0_sel:BYTE_0 src1_sel:DWORD
	v_cmp_eq_u32_e64 s14, 1, v27
	v_cndmask_b32_e32 v32, 1, v34, vcc_lo
	v_cndmask_b32_e32 v28, 0, v28, vcc_lo
	v_mul_lo_u32 v4, v32, v4
	v_mad_u64_u32 v[34:35], null, v32, v3, 0
	v_mul_lo_u32 v3, v28, v3
	v_and_b32_e32 v28, 1, v33
	v_cmp_eq_u32_e32 vcc_lo, 1, v28
	v_add3_u32 v35, v35, v4, v3
	v_mov_b32_e32 v3, v34
	s_or_b32 s14, vcc_lo, s14
	v_cndmask_b32_e64 v36, 0, 1, s14
	v_mov_b32_e32 v4, v35
.LBB82_107:
	s_or_b32 exec_lo, exec_lo, s16
	ds_write_b64 v31, v[3:4]
	ds_write_b8 v31, v36 offset:8
.LBB82_108:
	s_or_b32 exec_lo, exec_lo, s15
	v_mov_b32_e32 v3, 0
	v_mov_b32_e32 v4, 0
	;; [unrolled: 1-line block ×3, first 2 shown]
	s_mov_b32 s15, exec_lo
	v_cmp_gt_u32_e32 vcc_lo, 32, v0
	s_waitcnt lgkmcnt(0)
	s_barrier
	buffer_gl0_inv
	v_cmpx_lt_u32_e32 31, v0
	s_cbranch_execz .LBB82_110
; %bb.109:
	v_add_nc_u32_e32 v3, -16, v30
	v_add_nc_u32_e32 v27, -8, v30
	v_cmp_eq_u32_e64 s14, 0, v29
	ds_read_b64 v[3:4], v3
	ds_read_u8 v27, v27
	s_waitcnt lgkmcnt(1)
	v_cndmask_b32_e64 v28, 1, v3, s14
	v_cndmask_b32_e64 v30, 0, v4, s14
	s_waitcnt lgkmcnt(0)
	v_and_b32_e32 v35, 1, v27
	v_mul_lo_u32 v31, v28, v6
	v_mul_lo_u32 v30, v30, v5
	v_mad_u64_u32 v[5:6], null, v28, v5, 0
	v_or_b32_e32 v28, v27, v29
	v_and_b32_e32 v29, 1, v28
	v_add3_u32 v6, v6, v31, v30
.LBB82_110:
	s_or_b32 exec_lo, exec_lo, s15
	v_sub_co_u32 v27, s14, v53, 1
	v_cmp_gt_i32_e64 s15, 0, v27
	v_cndmask_b32_e64 v27, v27, v53, s15
	v_lshlrev_b32_e32 v27, 2, v27
	ds_bpermute_b32 v37, v27, v5
	ds_bpermute_b32 v38, v27, v6
	;; [unrolled: 1-line block ×3, first 2 shown]
	s_and_saveexec_b32 s16, vcc_lo
	s_cbranch_execz .LBB82_150
; %bb.111:
	v_mov_b32_e32 v29, 0
	ds_read_b64 v[5:6], v29 offset:112
	ds_read_u8 v39, v29 offset:120
	s_and_saveexec_b32 s15, s14
	s_cbranch_execz .LBB82_113
; %bb.112:
	s_add_i32 s36, s44, 32
	s_mov_b32 s37, 0
	v_mov_b32_e32 v27, 1
	s_lshl_b64 s[40:41], s[36:37], 4
	v_mov_b32_e32 v28, s36
	s_add_u32 s40, s20, s40
	s_addc_u32 s41, s21, s41
	s_waitcnt lgkmcnt(1)
	global_store_dwordx2 v29, v[5:6], s[40:41]
	s_waitcnt lgkmcnt(0)
	global_store_byte v29, v39, s[40:41] offset:8
	s_waitcnt_vscnt null, 0x0
	buffer_gl1_inv
	buffer_gl0_inv
	global_store_byte v28, v27, s[24:25]
.LBB82_113:
	s_or_b32 exec_lo, exec_lo, s15
	v_xad_u32 v27, v53, -1, s44
	s_mov_b32 s17, 0
	s_mov_b32 s15, exec_lo
	v_add_nc_u32_e32 v28, 32, v27
	global_load_ubyte v40, v28, s[24:25] glc dlc
	s_waitcnt vmcnt(0)
	v_cmpx_eq_u16_e32 0, v40
	s_cbranch_execz .LBB82_117
; %bb.114:
	v_add_co_u32 v30, s36, s24, v28
	v_add_co_ci_u32_e64 v31, null, s25, 0, s36
.LBB82_115:                             ; =>This Inner Loop Header: Depth=1
	global_load_ubyte v40, v[30:31], off glc dlc
	s_waitcnt vmcnt(0)
	v_cmp_ne_u16_e32 vcc_lo, 0, v40
	s_or_b32 s17, vcc_lo, s17
	s_andn2_b32 exec_lo, exec_lo, s17
	s_cbranch_execnz .LBB82_115
; %bb.116:
	s_or_b32 exec_lo, exec_lo, s17
.LBB82_117:
	s_or_b32 exec_lo, exec_lo, s15
	v_cmp_eq_u16_e32 vcc_lo, 1, v40
	v_mov_b32_e32 v31, s20
	v_mov_b32_e32 v30, s21
	v_lshlrev_b64 v[28:29], 4, v[28:29]
	s_waitcnt lgkmcnt(0)
	s_waitcnt_vscnt null, 0x0
	buffer_gl1_inv
	buffer_gl0_inv
	v_lshlrev_b32_e64 v42, v53, -1
	v_cndmask_b32_e32 v31, s22, v31, vcc_lo
	v_cndmask_b32_e32 v30, s23, v30, vcc_lo
	s_mov_b32 s15, exec_lo
	v_add_co_u32 v28, vcc_lo, v31, v28
	v_add_co_ci_u32_e64 v29, null, v30, v29, vcc_lo
	v_cmp_ne_u32_e32 vcc_lo, 31, v53
	s_clause 0x1
	global_load_ubyte v33, v[28:29], off offset:8
	global_load_dwordx2 v[31:32], v[28:29], off
	v_add_co_ci_u32_e64 v28, null, 0, v53, vcc_lo
	v_cmp_eq_u16_e32 vcc_lo, 2, v40
	v_lshlrev_b32_e32 v41, 2, v28
	v_and_or_b32 v28, vcc_lo, v42, 0x80000000
	v_ffbl_b32_e32 v30, v28
	s_waitcnt vmcnt(1)
	v_and_b32_e32 v34, 1, v33
	s_waitcnt vmcnt(0)
	ds_bpermute_b32 v44, v41, v31
	ds_bpermute_b32 v45, v41, v32
	v_mov_b32_e32 v29, v32
	v_mov_b32_e32 v28, v31
	ds_bpermute_b32 v43, v41, v34
	v_cmpx_lt_u32_e64 v53, v30
	s_cbranch_execz .LBB82_119
; %bb.118:
	v_mov_b32_e32 v28, 0
	v_cmp_eq_u16_sdwa vcc_lo, v33, v28 src0_sel:BYTE_0 src1_sel:DWORD
	s_waitcnt lgkmcnt(2)
	v_cndmask_b32_e32 v28, 1, v44, vcc_lo
	s_waitcnt lgkmcnt(1)
	v_cndmask_b32_e32 v34, 0, v45, vcc_lo
	v_mul_lo_u32 v32, v28, v32
	v_mad_u64_u32 v[28:29], null, v28, v31, 0
	v_mul_lo_u32 v31, v34, v31
	s_waitcnt lgkmcnt(0)
	v_and_b32_e32 v34, 1, v43
	v_or_b32_e32 v33, v34, v33
	v_add3_u32 v29, v29, v32, v31
	v_and_b32_e32 v34, 0xff, v33
	v_mov_b32_e32 v32, v29
	v_mov_b32_e32 v31, v28
.LBB82_119:
	s_or_b32 exec_lo, exec_lo, s15
	v_cmp_gt_u32_e32 vcc_lo, 30, v53
	s_waitcnt lgkmcnt(2)
	v_add_nc_u32_e32 v44, 2, v53
	s_mov_b32 s17, exec_lo
	s_waitcnt lgkmcnt(0)
	v_cndmask_b32_e64 v43, 0, 2, vcc_lo
	v_add_lshl_u32 v43, v43, v53, 2
	ds_bpermute_b32 v46, v43, v28
	ds_bpermute_b32 v47, v43, v29
	ds_bpermute_b32 v45, v43, v34
	v_cmpx_le_u32_e64 v44, v30
	s_cbranch_execz .LBB82_121
; %bb.120:
	v_mov_b32_e32 v28, 0
	v_cmp_eq_u16_sdwa vcc_lo, v33, v28 src0_sel:BYTE_0 src1_sel:DWORD
	v_and_b32_e32 v33, 1, v33
	s_waitcnt lgkmcnt(2)
	v_cndmask_b32_e32 v28, 1, v46, vcc_lo
	s_waitcnt lgkmcnt(1)
	v_cndmask_b32_e32 v34, 0, v47, vcc_lo
	v_cmp_eq_u32_e32 vcc_lo, 1, v33
	v_mul_lo_u32 v32, v28, v32
	v_mad_u64_u32 v[28:29], null, v28, v31, 0
	v_mul_lo_u32 v31, v34, v31
	s_waitcnt lgkmcnt(0)
	v_and_b32_e32 v34, 1, v45
	v_cmp_eq_u32_e64 s15, 1, v34
	v_add3_u32 v29, v29, v32, v31
	s_or_b32 s15, vcc_lo, s15
	v_mov_b32_e32 v32, v29
	v_cndmask_b32_e64 v33, 0, 1, s15
	v_cndmask_b32_e64 v34, 0, 1, s15
	v_mov_b32_e32 v31, v28
.LBB82_121:
	s_or_b32 exec_lo, exec_lo, s17
	v_cmp_gt_u32_e32 vcc_lo, 28, v53
	s_waitcnt lgkmcnt(2)
	v_add_nc_u32_e32 v46, 4, v53
	s_mov_b32 s17, exec_lo
	s_waitcnt lgkmcnt(0)
	v_cndmask_b32_e64 v45, 0, 4, vcc_lo
	v_add_lshl_u32 v45, v45, v53, 2
	ds_bpermute_b32 v48, v45, v28
	ds_bpermute_b32 v49, v45, v29
	ds_bpermute_b32 v47, v45, v34
	v_cmpx_le_u32_e64 v46, v30
	s_cbranch_execz .LBB82_123
; %bb.122:
	v_mov_b32_e32 v28, 0
	v_cmp_eq_u16_sdwa vcc_lo, v33, v28 src0_sel:BYTE_0 src1_sel:DWORD
	v_and_b32_e32 v33, 1, v33
	s_waitcnt lgkmcnt(2)
	v_cndmask_b32_e32 v28, 1, v48, vcc_lo
	s_waitcnt lgkmcnt(1)
	v_cndmask_b32_e32 v34, 0, v49, vcc_lo
	v_cmp_eq_u32_e32 vcc_lo, 1, v33
	v_mul_lo_u32 v32, v28, v32
	v_mad_u64_u32 v[28:29], null, v28, v31, 0
	v_mul_lo_u32 v31, v34, v31
	s_waitcnt lgkmcnt(0)
	v_and_b32_e32 v34, 1, v47
	v_cmp_eq_u32_e64 s15, 1, v34
	v_add3_u32 v29, v29, v32, v31
	s_or_b32 s15, vcc_lo, s15
	v_mov_b32_e32 v32, v29
	v_cndmask_b32_e64 v33, 0, 1, s15
	v_cndmask_b32_e64 v34, 0, 1, s15
	v_mov_b32_e32 v31, v28
.LBB82_123:
	;; [unrolled: 35-line block ×3, first 2 shown]
	s_or_b32 exec_lo, exec_lo, s17
	s_waitcnt lgkmcnt(2)
	v_lshl_or_b32 v50, v53, 2, 64
	s_waitcnt lgkmcnt(1)
	v_add_nc_u32_e32 v51, 16, v53
	s_mov_b32 s17, exec_lo
	s_waitcnt lgkmcnt(0)
	ds_bpermute_b32 v49, v50, v28
	ds_bpermute_b32 v29, v50, v29
	;; [unrolled: 1-line block ×3, first 2 shown]
	v_cmpx_le_u32_e64 v51, v30
	s_cbranch_execz .LBB82_127
; %bb.126:
	v_mov_b32_e32 v30, 0
	s_waitcnt lgkmcnt(0)
	v_and_b32_e32 v28, 1, v28
	v_cmp_eq_u16_sdwa vcc_lo, v33, v30 src0_sel:BYTE_0 src1_sel:DWORD
	v_and_b32_e32 v33, 1, v33
	v_cmp_eq_u32_e64 s15, 1, v28
	v_cndmask_b32_e32 v30, 1, v49, vcc_lo
	v_cndmask_b32_e32 v34, 0, v29, vcc_lo
	v_cmp_eq_u32_e32 vcc_lo, 1, v33
	v_mul_lo_u32 v32, v30, v32
	v_mad_u64_u32 v[29:30], null, v30, v31, 0
	v_mul_lo_u32 v31, v34, v31
	s_or_b32 s15, vcc_lo, s15
	v_cndmask_b32_e64 v33, 0, 1, s15
	v_add3_u32 v30, v30, v32, v31
	v_mov_b32_e32 v32, v30
	v_mov_b32_e32 v31, v29
.LBB82_127:
	s_or_b32 exec_lo, exec_lo, s17
	s_waitcnt lgkmcnt(0)
	v_mov_b32_e32 v28, 0
	v_mov_b32_e32 v52, 2
	s_branch .LBB82_130
.LBB82_128:                             ;   in Loop: Header=BB82_130 Depth=1
	s_or_b32 exec_lo, exec_lo, s36
	v_cmp_eq_u16_sdwa vcc_lo, v49, v28 src0_sel:BYTE_0 src1_sel:DWORD
	s_waitcnt lgkmcnt(1)
	v_and_b32_e32 v34, 1, v49
	v_subrev_nc_u32_e32 v27, 32, v27
	v_cndmask_b32_e32 v31, 1, v31, vcc_lo
	s_waitcnt lgkmcnt(0)
	v_cndmask_b32_e32 v33, 0, v32, vcc_lo
	v_cmp_eq_u32_e32 vcc_lo, 1, v34
	v_mul_lo_u32 v64, v31, v30
	v_mad_u64_u32 v[31:32], null, v31, v29, 0
	v_mul_lo_u32 v33, v33, v29
	s_or_b32 s15, vcc_lo, s17
	v_add3_u32 v32, v32, v64, v33
	v_cndmask_b32_e64 v33, 0, 1, s15
	s_mov_b32 s15, 0
.LBB82_129:                             ;   in Loop: Header=BB82_130 Depth=1
	s_and_b32 vcc_lo, exec_lo, s15
	s_cbranch_vccnz .LBB82_146
.LBB82_130:                             ; =>This Loop Header: Depth=1
                                        ;     Child Loop BB82_133 Depth 2
	v_cmp_ne_u16_sdwa s15, v40, v52 src0_sel:BYTE_0 src1_sel:DWORD
	v_mov_b32_e32 v29, v31
	v_mov_b32_e32 v49, v33
	;; [unrolled: 1-line block ×3, first 2 shown]
                                        ; implicit-def: $vgpr33
                                        ; implicit-def: $vgpr31_vgpr32
                                        ; implicit-def: $vgpr40
	s_cmp_lg_u32 s15, exec_lo
	s_mov_b32 s15, -1
	s_cbranch_scc1 .LBB82_129
; %bb.131:                              ;   in Loop: Header=BB82_130 Depth=1
	global_load_ubyte v40, v27, s[24:25] glc dlc
	s_mov_b32 s15, exec_lo
	s_waitcnt vmcnt(0)
	v_cmpx_eq_u16_e32 0, v40
	s_cbranch_execz .LBB82_135
; %bb.132:                              ;   in Loop: Header=BB82_130 Depth=1
	v_add_co_u32 v31, s17, s24, v27
	v_add_co_ci_u32_e64 v32, null, s25, 0, s17
	s_mov_b32 s17, 0
.LBB82_133:                             ;   Parent Loop BB82_130 Depth=1
                                        ; =>  This Inner Loop Header: Depth=2
	global_load_ubyte v40, v[31:32], off glc dlc
	s_waitcnt vmcnt(0)
	v_cmp_ne_u16_e32 vcc_lo, 0, v40
	s_or_b32 s17, vcc_lo, s17
	s_andn2_b32 exec_lo, exec_lo, s17
	s_cbranch_execnz .LBB82_133
; %bb.134:                              ;   in Loop: Header=BB82_130 Depth=1
	s_or_b32 exec_lo, exec_lo, s17
.LBB82_135:                             ;   in Loop: Header=BB82_130 Depth=1
	s_or_b32 exec_lo, exec_lo, s15
	v_cmp_eq_u16_e32 vcc_lo, 1, v40
	v_mov_b32_e32 v34, s20
	v_mov_b32_e32 v33, s21
	v_lshlrev_b64 v[31:32], 4, v[27:28]
	buffer_gl1_inv
	buffer_gl0_inv
	s_mov_b32 s15, exec_lo
	v_cndmask_b32_e32 v34, s22, v34, vcc_lo
	v_cndmask_b32_e32 v33, s23, v33, vcc_lo
	v_add_co_u32 v31, vcc_lo, v34, v31
	v_add_co_ci_u32_e64 v32, null, v33, v32, vcc_lo
	v_cmp_eq_u16_e32 vcc_lo, 2, v40
	s_clause 0x1
	global_load_ubyte v64, v[31:32], off offset:8
	global_load_dwordx2 v[31:32], v[31:32], off
	v_and_or_b32 v33, vcc_lo, v42, 0x80000000
	v_ffbl_b32_e32 v65, v33
	s_waitcnt vmcnt(1)
	v_and_b32_e32 v66, 1, v64
	s_waitcnt vmcnt(0)
	ds_bpermute_b32 v68, v41, v31
	ds_bpermute_b32 v69, v41, v32
	v_mov_b32_e32 v34, v32
	v_mov_b32_e32 v33, v31
	ds_bpermute_b32 v67, v41, v66
	v_cmpx_lt_u32_e64 v53, v65
	s_cbranch_execz .LBB82_137
; %bb.136:                              ;   in Loop: Header=BB82_130 Depth=1
	v_cmp_eq_u16_sdwa vcc_lo, v64, v28 src0_sel:BYTE_0 src1_sel:DWORD
	s_waitcnt lgkmcnt(2)
	v_cndmask_b32_e32 v33, 1, v68, vcc_lo
	s_waitcnt lgkmcnt(1)
	v_cndmask_b32_e32 v66, 0, v69, vcc_lo
	v_mul_lo_u32 v32, v33, v32
	v_mad_u64_u32 v[33:34], null, v33, v31, 0
	v_mul_lo_u32 v31, v66, v31
	s_waitcnt lgkmcnt(0)
	v_and_b32_e32 v66, 1, v67
	v_or_b32_e32 v64, v66, v64
	v_add3_u32 v34, v34, v32, v31
	v_mov_b32_e32 v31, v33
	v_and_b32_e32 v66, 0xff, v64
	v_mov_b32_e32 v32, v34
.LBB82_137:                             ;   in Loop: Header=BB82_130 Depth=1
	s_or_b32 exec_lo, exec_lo, s15
	s_waitcnt lgkmcnt(2)
	ds_bpermute_b32 v68, v43, v33
	s_waitcnt lgkmcnt(2)
	ds_bpermute_b32 v69, v43, v34
	;; [unrolled: 2-line block ×3, first 2 shown]
	v_and_b32_e32 v70, 1, v64
	s_mov_b32 s15, exec_lo
	v_cmp_eq_u32_e64 s17, 1, v70
	v_cmpx_le_u32_e64 v44, v65
	s_cbranch_execz .LBB82_139
; %bb.138:                              ;   in Loop: Header=BB82_130 Depth=1
	v_cmp_eq_u16_sdwa vcc_lo, v64, v28 src0_sel:BYTE_0 src1_sel:DWORD
	s_waitcnt lgkmcnt(0)
	v_and_b32_e32 v66, 1, v67
	v_cndmask_b32_e32 v33, 1, v68, vcc_lo
	v_cndmask_b32_e32 v64, 0, v69, vcc_lo
	v_cmp_eq_u32_e32 vcc_lo, 1, v66
	v_mul_lo_u32 v32, v33, v32
	v_mad_u64_u32 v[33:34], null, v33, v31, 0
	v_mul_lo_u32 v31, v64, v31
	s_or_b32 s36, s17, vcc_lo
	s_andn2_b32 s17, s17, exec_lo
	v_cndmask_b32_e64 v64, 0, 1, s36
	v_cndmask_b32_e64 v66, 0, 1, s36
	s_and_b32 s36, s36, exec_lo
	s_or_b32 s17, s17, s36
	v_add3_u32 v34, v34, v32, v31
	v_mov_b32_e32 v31, v33
	v_mov_b32_e32 v32, v34
.LBB82_139:                             ;   in Loop: Header=BB82_130 Depth=1
	s_or_b32 exec_lo, exec_lo, s15
	s_waitcnt lgkmcnt(2)
	ds_bpermute_b32 v68, v45, v33
	s_waitcnt lgkmcnt(2)
	ds_bpermute_b32 v69, v45, v34
	;; [unrolled: 2-line block ×3, first 2 shown]
	s_mov_b32 s36, exec_lo
	v_cmpx_le_u32_e64 v46, v65
	s_cbranch_execz .LBB82_141
; %bb.140:                              ;   in Loop: Header=BB82_130 Depth=1
	v_cmp_eq_u16_sdwa vcc_lo, v64, v28 src0_sel:BYTE_0 src1_sel:DWORD
	v_and_b32_e32 v64, 1, v64
	s_waitcnt lgkmcnt(0)
	v_and_b32_e32 v67, 1, v67
	s_andn2_b32 s17, s17, exec_lo
	v_cndmask_b32_e32 v33, 1, v68, vcc_lo
	v_cndmask_b32_e32 v66, 0, v69, vcc_lo
	v_cmp_eq_u32_e32 vcc_lo, 1, v64
	v_cmp_eq_u32_e64 s15, 1, v67
	v_mul_lo_u32 v32, v33, v32
	v_mad_u64_u32 v[33:34], null, v33, v31, 0
	v_mul_lo_u32 v31, v66, v31
	s_or_b32 s15, vcc_lo, s15
	v_cndmask_b32_e64 v64, 0, 1, s15
	v_cndmask_b32_e64 v66, 0, 1, s15
	s_and_b32 s15, s15, exec_lo
	s_or_b32 s17, s17, s15
	v_add3_u32 v34, v34, v32, v31
	v_mov_b32_e32 v31, v33
	v_mov_b32_e32 v32, v34
.LBB82_141:                             ;   in Loop: Header=BB82_130 Depth=1
	s_or_b32 exec_lo, exec_lo, s36
	s_waitcnt lgkmcnt(2)
	ds_bpermute_b32 v68, v47, v33
	s_waitcnt lgkmcnt(2)
	ds_bpermute_b32 v69, v47, v34
	;; [unrolled: 2-line block ×3, first 2 shown]
	s_mov_b32 s36, exec_lo
	v_cmpx_le_u32_e64 v48, v65
	s_cbranch_execz .LBB82_143
; %bb.142:                              ;   in Loop: Header=BB82_130 Depth=1
	v_cmp_eq_u16_sdwa vcc_lo, v64, v28 src0_sel:BYTE_0 src1_sel:DWORD
	v_and_b32_e32 v64, 1, v64
	s_waitcnt lgkmcnt(0)
	v_and_b32_e32 v67, 1, v67
	s_andn2_b32 s17, s17, exec_lo
	v_cndmask_b32_e32 v33, 1, v68, vcc_lo
	v_cndmask_b32_e32 v66, 0, v69, vcc_lo
	v_cmp_eq_u32_e32 vcc_lo, 1, v64
	v_cmp_eq_u32_e64 s15, 1, v67
	v_mul_lo_u32 v32, v33, v32
	v_mad_u64_u32 v[33:34], null, v33, v31, 0
	v_mul_lo_u32 v31, v66, v31
	s_or_b32 s15, vcc_lo, s15
	v_cndmask_b32_e64 v64, 0, 1, s15
	v_cndmask_b32_e64 v66, 0, 1, s15
	s_and_b32 s15, s15, exec_lo
	s_or_b32 s17, s17, s15
	v_add3_u32 v34, v34, v32, v31
	v_mov_b32_e32 v31, v33
	v_mov_b32_e32 v32, v34
.LBB82_143:                             ;   in Loop: Header=BB82_130 Depth=1
	s_or_b32 exec_lo, exec_lo, s36
	s_waitcnt lgkmcnt(0)
	ds_bpermute_b32 v67, v50, v33
	ds_bpermute_b32 v34, v50, v34
	;; [unrolled: 1-line block ×3, first 2 shown]
	s_mov_b32 s36, exec_lo
	v_cmpx_le_u32_e64 v51, v65
	s_cbranch_execz .LBB82_128
; %bb.144:                              ;   in Loop: Header=BB82_130 Depth=1
	v_cmp_eq_u16_sdwa vcc_lo, v64, v28 src0_sel:BYTE_0 src1_sel:DWORD
	s_waitcnt lgkmcnt(0)
	v_and_b32_e32 v33, 1, v33
	s_andn2_b32 s17, s17, exec_lo
	v_cndmask_b32_e32 v65, 1, v67, vcc_lo
	v_cndmask_b32_e32 v34, 0, v34, vcc_lo
	v_cmp_eq_u32_e64 s15, 1, v33
	v_mul_lo_u32 v32, v65, v32
	v_mad_u64_u32 v[65:66], null, v65, v31, 0
	v_mul_lo_u32 v31, v34, v31
	v_and_b32_e32 v34, 1, v64
	v_cmp_eq_u32_e32 vcc_lo, 1, v34
	v_add3_u32 v66, v66, v32, v31
	v_mov_b32_e32 v31, v65
	s_or_b32 s15, vcc_lo, s15
	v_mov_b32_e32 v32, v66
	s_and_b32 s15, s15, exec_lo
	s_or_b32 s17, s17, s15
	s_branch .LBB82_128
.LBB82_145:
                                        ; implicit-def: $vgpr49_vgpr50
                                        ; implicit-def: $vgpr47_vgpr48
                                        ; implicit-def: $vgpr43_vgpr44
                                        ; implicit-def: $vgpr39_vgpr40
                                        ; implicit-def: $vgpr35_vgpr36
                                        ; implicit-def: $vgpr31_vgpr32
                                        ; implicit-def: $vgpr27_vgpr28
                                        ; implicit-def: $vgpr45_vgpr46
                                        ; implicit-def: $vgpr41_vgpr42
                                        ; implicit-def: $vgpr37_vgpr38
                                        ; implicit-def: $vgpr33_vgpr34
                                        ; implicit-def: $vgpr29_vgpr30
                                        ; implicit-def: $vgpr51_vgpr52
	s_cbranch_execnz .LBB82_153
	s_branch .LBB82_182
.LBB82_146:
	s_and_saveexec_b32 s15, s14
	s_cbranch_execz .LBB82_148
; %bb.147:
	v_mov_b32_e32 v31, 0
	s_mov_b32 s21, 0
	s_add_i32 s20, s44, 32
	v_mov_b32_e32 v33, 2
	s_lshl_b64 s[36:37], s[20:21], 4
	v_cmp_eq_u32_sdwa vcc_lo, v39, v31 src0_sel:BYTE_0 src1_sel:DWORD
	v_mov_b32_e32 v34, s20
	s_add_u32 s20, s22, s36
	s_addc_u32 s21, s23, s37
	v_cndmask_b32_e32 v27, 1, v29, vcc_lo
	v_cndmask_b32_e32 v32, 0, v30, vcc_lo
	v_mul_lo_u32 v6, v27, v6
	v_mad_u64_u32 v[27:28], null, v27, v5, 0
	v_mul_lo_u32 v5, v32, v5
	v_or_b32_e32 v32, v39, v49
	v_and_b32_e32 v32, 1, v32
	v_add3_u32 v28, v28, v6, v5
	global_store_byte v31, v32, s[20:21] offset:8
	global_store_dwordx2 v31, v[27:28], s[20:21]
	s_waitcnt_vscnt null, 0x0
	buffer_gl1_inv
	buffer_gl0_inv
	global_store_byte v34, v33, s[24:25]
.LBB82_148:
	s_or_b32 exec_lo, exec_lo, s15
	s_and_b32 exec_lo, exec_lo, s0
	s_cbranch_execz .LBB82_150
; %bb.149:
	v_mov_b32_e32 v5, 0
	ds_write_b64 v5, v[29:30] offset:112
	ds_write_b8 v5, v49 offset:120
.LBB82_150:
	s_or_b32 exec_lo, exec_lo, s16
	v_mov_b32_e32 v29, 0
	s_waitcnt lgkmcnt(0)
	s_waitcnt_vscnt null, 0x0
	s_barrier
	buffer_gl0_inv
	v_mov_b32_e32 v28, v2
	ds_read_b64 v[5:6], v29 offset:112
	v_mov_b32_e32 v30, v87
	v_mov_b32_e32 v27, v1
	s_and_saveexec_b32 s15, s1
	s_cbranch_execz .LBB82_152
; %bb.151:
	v_cndmask_b32_e64 v4, v38, v4, s14
	v_cndmask_b32_e64 v3, v37, v3, s14
	v_cmp_eq_u16_sdwa vcc_lo, v87, v29 src0_sel:BYTE_0 src1_sel:DWORD
	v_cndmask_b32_e64 v27, v36, v35, s14
	v_and_b32_e32 v28, 1, v87
	v_cndmask_b32_e32 v3, 1, v3, vcc_lo
	v_cndmask_b32_e32 v4, 0, v4, vcc_lo
	v_and_b32_e32 v30, 1, v27
	v_cmp_eq_u32_e32 vcc_lo, 1, v28
	v_mul_lo_u32 v31, v3, v2
	v_mul_lo_u32 v4, v4, v1
	v_mad_u64_u32 v[27:28], null, v3, v1, 0
	v_cmp_eq_u32_e64 s14, 1, v30
	s_or_b32 s14, vcc_lo, s14
	v_add3_u32 v28, v28, v31, v4
	v_cndmask_b32_e64 v30, 0, 1, s14
.LBB82_152:
	s_or_b32 exec_lo, exec_lo, s15
	v_cmp_eq_u16_sdwa vcc_lo, v30, v29 src0_sel:BYTE_0 src1_sel:DWORD
	s_waitcnt lgkmcnt(0)
	v_cndmask_b32_e32 v3, 1, v5, vcc_lo
	v_cndmask_b32_e32 v4, 0, v6, vcc_lo
	v_mul_lo_u32 v5, v3, v28
	v_mad_u64_u32 v[51:52], null, v3, v27, 0
	v_mul_lo_u32 v3, v4, v27
	v_add3_u32 v52, v52, v5, v3
	v_cndmask_b32_e64 v3, 1, v51, s13
	v_cndmask_b32_e64 v4, 0, v52, s13
	v_mul_lo_u32 v5, v3, v10
	v_mad_u64_u32 v[27:28], null, v3, v9, 0
	v_mul_lo_u32 v3, v4, v9
	v_add3_u32 v28, v28, v5, v3
	v_cndmask_b32_e64 v3, 1, v27, s12
	v_cndmask_b32_e64 v4, 0, v28, s12
	;; [unrolled: 6-line block ×12, first 2 shown]
	v_mul_lo_u32 v5, v3, v12
	v_mad_u64_u32 v[49:50], null, v3, v11, 0
	v_mul_lo_u32 v4, v4, v11
	v_add3_u32 v50, v50, v5, v4
	s_branch .LBB82_182
.LBB82_153:
	s_cmp_lg_u64 s[34:35], 0
	s_cselect_b32 s2, -1, 0
	s_cmp_lg_u64 s[38:39], 0
	s_cselect_b32 s3, -1, 0
	s_and_b32 s2, s2, s3
	s_and_b32 s3, s0, s2
	s_and_saveexec_b32 s2, s3
	s_cbranch_execz .LBB82_155
; %bb.154:
	v_mov_b32_e32 v5, 0
	s_clause 0x1
	global_load_dwordx2 v[3:4], v5, s[38:39]
	global_load_ubyte v6, v5, s[38:39] offset:8
	v_cmp_eq_u16_sdwa vcc_lo, v87, v5 src0_sel:BYTE_0 src1_sel:DWORD
	s_waitcnt vmcnt(1)
	v_cndmask_b32_e32 v3, 1, v3, vcc_lo
	v_cndmask_b32_e32 v4, 0, v4, vcc_lo
	v_mul_lo_u32 v5, v3, v2
	v_mul_lo_u32 v4, v4, v1
	v_mad_u64_u32 v[1:2], null, v3, v1, 0
	s_waitcnt vmcnt(0)
	v_or_b32_e32 v3, v87, v6
	v_and_b32_e32 v87, 1, v3
	v_add3_u32 v2, v2, v5, v4
.LBB82_155:
	s_or_b32 exec_lo, exec_lo, s2
	v_mov_b32_e32 v3, 0
	v_cmp_eq_u16_e64 s7, 0, v58
	v_cmp_eq_u32_e64 s16, 1, v63
	v_cmp_eq_u32_e64 s15, 1, v62
	;; [unrolled: 1-line block ×3, first 2 shown]
	v_cmp_eq_u16_sdwa s12, v92, v3 src0_sel:BYTE_0 src1_sel:DWORD
	v_cmp_eq_u16_sdwa s11, v91, v3 src0_sel:BYTE_0 src1_sel:DWORD
	;; [unrolled: 1-line block ×5, first 2 shown]
	v_cndmask_b32_e64 v4, 1, v1, s12
	v_cndmask_b32_e64 v5, 0, v2, s12
	v_cmp_eq_u16_sdwa s6, v86, v3 src0_sel:BYTE_0 src1_sel:DWORD
	v_cmp_eq_u16_sdwa s5, v85, v3 src0_sel:BYTE_0 src1_sel:DWORD
	;; [unrolled: 1-line block ×3, first 2 shown]
	v_mul_lo_u32 v6, v4, v10
	v_mad_u64_u32 v[27:28], null, v4, v9, 0
	v_mul_lo_u32 v4, v5, v9
	v_cmp_eq_u16_sdwa s3, v83, v3 src0_sel:BYTE_0 src1_sel:DWORD
	v_cmp_eq_u16_sdwa s2, v82, v3 src0_sel:BYTE_0 src1_sel:DWORD
	v_cmp_eq_u16_sdwa vcc_lo, v81, v3 src0_sel:BYTE_0 src1_sel:DWORD
	v_cmp_ne_u16_sdwa s34, v56, v3 src0_sel:BYTE_0 src1_sel:DWORD
	v_cmp_ne_u16_sdwa s21, v55, v3 src0_sel:BYTE_0 src1_sel:DWORD
	v_cndmask_b32_e64 v5, 1, v27, s11
	v_cmp_ne_u16_sdwa s35, v54, v3 src0_sel:BYTE_0 src1_sel:DWORD
	v_add3_u32 v28, v28, v6, v4
	v_cmp_eq_u32_e64 s14, 1, v61
	s_or_b32 s16, s34, s16
	v_mul_lo_u32 v6, v5, v16
	v_mad_u64_u32 v[29:30], null, v5, v15, 0
	v_cndmask_b32_e64 v4, 0, v28, s11
	v_cmp_eq_u32_e64 s13, 1, v60
	s_or_b32 s15, s35, s15
	s_or_b32 s16, s17, s16
	;; [unrolled: 1-line block ×3, first 2 shown]
	v_mul_lo_u32 v4, v4, v15
	v_cndmask_b32_e64 v5, 1, v29, s10
	s_or_b32 s15, s16, s15
	v_and_b32_e32 v52, 15, v53
	s_or_b32 s14, s15, s14
	v_mad_u64_u32 v[31:32], null, v5, v13, 0
	v_add3_u32 v30, v30, v6, v4
	v_mul_lo_u32 v6, v5, v14
	v_cndmask_b32_e64 v4, 0, v30, s10
	v_cndmask_b32_e64 v5, 1, v31, s9
	v_mul_lo_u32 v4, v4, v13
	v_mad_u64_u32 v[33:34], null, v5, v19, 0
	v_add3_u32 v32, v32, v6, v4
	v_mul_lo_u32 v6, v5, v20
	v_cndmask_b32_e64 v5, 1, v33, s8
	v_cndmask_b32_e64 v4, 0, v32, s9
	v_mad_u64_u32 v[35:36], null, v5, v17, 0
	v_mul_lo_u32 v4, v4, v19
	v_add3_u32 v34, v34, v6, v4
	v_mul_lo_u32 v6, v5, v18
	v_cndmask_b32_e64 v5, 1, v35, s6
	v_cndmask_b32_e64 v4, 0, v34, s8
	v_mad_u64_u32 v[37:38], null, v5, v23, 0
	v_mul_lo_u32 v4, v4, v17
	;; [unrolled: 6-line block ×6, first 2 shown]
	v_add3_u32 v44, v44, v6, v4
	v_mul_lo_u32 v6, v5, v78
	v_cndmask_b32_e32 v5, 1, v45, vcc_lo
	v_cndmask_b32_e64 v4, 0, v44, s2
	v_mul_lo_u32 v49, v5, v8
	v_mad_u64_u32 v[47:48], null, v5, v7, 0
	v_mul_lo_u32 v4, v4, v77
	v_add3_u32 v46, v46, v6, v4
	v_or_b32_e32 v6, v87, v92
	v_cndmask_b32_e32 v4, 0, v46, vcc_lo
	v_cmp_ne_u16_sdwa s20, v6, v3 src0_sel:BYTE_0 src1_sel:DWORD
	v_mul_lo_u32 v4, v4, v7
	s_or_b32 s13, s20, s13
	s_or_b32 s15, s14, s13
	s_mov_b32 s14, exec_lo
	v_cndmask_b32_e64 v51, 0, 1, s15
	v_add3_u32 v48, v48, v49, v4
	v_cndmask_b32_e64 v4, 1, v47, s7
	v_mov_b32_dpp v54, v51 row_shr:1 row_mask:0xf bank_mask:0xf
	v_cndmask_b32_e64 v3, 0, v48, s7
	v_mul_lo_u32 v5, v4, v12
	v_mad_u64_u32 v[49:50], null, v4, v11, 0
	v_mul_lo_u32 v3, v3, v11
	v_mov_b32_dpp v55, v49 row_shr:1 row_mask:0xf bank_mask:0xf
	v_add3_u32 v50, v50, v5, v3
	v_mov_b32_e32 v3, v49
	v_mov_b32_e32 v5, v49
	v_mov_b32_dpp v56, v50 row_shr:1 row_mask:0xf bank_mask:0xf
	v_mov_b32_e32 v4, v50
	v_mov_b32_e32 v6, v50
	v_cmpx_ne_u32_e32 0, v52
	s_cbranch_execz .LBB82_157
; %bb.156:
	v_cndmask_b32_e64 v3, v56, 0, s15
	v_cndmask_b32_e64 v4, v55, 1, s15
	v_and_or_b32 v51, v54, 1, v51
	v_mul_lo_u32 v5, v49, v3
	v_mul_lo_u32 v6, v50, v4
	v_mad_u64_u32 v[3:4], null, v49, v4, 0
	v_add3_u32 v4, v4, v5, v6
	v_mov_b32_e32 v5, v3
	v_mov_b32_e32 v6, v4
.LBB82_157:
	s_or_b32 exec_lo, exec_lo, s14
	v_mov_b32_dpp v55, v5 row_shr:2 row_mask:0xf bank_mask:0xf
	v_mov_b32_dpp v56, v6 row_shr:2 row_mask:0xf bank_mask:0xf
	v_mov_b32_dpp v54, v51 row_shr:2 row_mask:0xf bank_mask:0xf
	s_mov_b32 s14, exec_lo
	v_cmpx_lt_u32_e32 1, v52
	s_cbranch_execz .LBB82_159
; %bb.158:
	v_cmp_eq_u16_e64 s13, 0, v51
	v_or_b32_e32 v51, v54, v51
	v_cndmask_b32_e64 v5, 1, v55, s13
	v_cndmask_b32_e64 v55, 0, v56, s13
	v_and_b32_e32 v51, 1, v51
	v_mul_lo_u32 v4, v5, v4
	v_mad_u64_u32 v[5:6], null, v5, v3, 0
	v_mul_lo_u32 v3, v55, v3
	v_add3_u32 v6, v6, v4, v3
	v_mov_b32_e32 v3, v5
	v_mov_b32_e32 v4, v6
.LBB82_159:
	s_or_b32 exec_lo, exec_lo, s14
	v_mov_b32_dpp v55, v5 row_shr:4 row_mask:0xf bank_mask:0xf
	v_mov_b32_dpp v56, v6 row_shr:4 row_mask:0xf bank_mask:0xf
	v_mov_b32_dpp v54, v51 row_shr:4 row_mask:0xf bank_mask:0xf
	s_mov_b32 s14, exec_lo
	v_cmpx_lt_u32_e32 3, v52
	s_cbranch_execz .LBB82_161
; %bb.160:
	v_cmp_eq_u16_e64 s13, 0, v51
	v_or_b32_e32 v51, v54, v51
	v_cndmask_b32_e64 v5, 1, v55, s13
	v_cndmask_b32_e64 v55, 0, v56, s13
	v_and_b32_e32 v51, 1, v51
	v_mul_lo_u32 v4, v5, v4
	v_mad_u64_u32 v[5:6], null, v5, v3, 0
	v_mul_lo_u32 v3, v55, v3
	v_add3_u32 v6, v6, v4, v3
	v_mov_b32_e32 v3, v5
	v_mov_b32_e32 v4, v6
.LBB82_161:
	;; [unrolled: 20-line block ×3, first 2 shown]
	s_or_b32 exec_lo, exec_lo, s14
	ds_swizzle_b32 v52, v5 offset:swizzle(BROADCAST,32,15)
	ds_swizzle_b32 v6, v6 offset:swizzle(BROADCAST,32,15)
	;; [unrolled: 1-line block ×3, first 2 shown]
	v_and_b32_e32 v54, 16, v53
	v_cmp_ne_u32_e64 s13, 0, v54
	v_mov_b32_e32 v54, v51
	s_and_saveexec_b32 s15, s13
	s_cbranch_execz .LBB82_165
; %bb.164:
	v_cmp_eq_u16_e64 s13, 0, v51
	v_and_b32_e32 v51, 1, v51
	s_waitcnt lgkmcnt(0)
	v_and_b32_e32 v5, 1, v5
	v_cndmask_b32_e64 v52, 1, v52, s13
	v_cndmask_b32_e64 v6, 0, v6, s13
	v_cmp_eq_u32_e64 s13, 1, v51
	v_cmp_eq_u32_e64 s14, 1, v5
	v_mul_lo_u32 v4, v52, v4
	v_mad_u64_u32 v[55:56], null, v52, v3, 0
	v_mul_lo_u32 v3, v6, v3
	s_or_b32 s13, s13, s14
	v_cndmask_b32_e64 v51, 0, 1, s13
	v_cndmask_b32_e64 v54, 0, 1, s13
	v_add3_u32 v56, v56, v4, v3
	v_mov_b32_e32 v3, v55
	v_mov_b32_e32 v4, v56
.LBB82_165:
	s_or_b32 exec_lo, exec_lo, s15
	s_waitcnt lgkmcnt(0)
	v_or_b32_e32 v5, 31, v0
	v_lshrrev_b32_e32 v55, 5, v0
	s_mov_b32 s14, exec_lo
	v_cmpx_eq_u32_e64 v0, v5
	s_cbranch_execz .LBB82_167
; %bb.166:
	v_lshlrev_b32_e32 v5, 4, v55
	ds_write_b64 v5, v[3:4]
	ds_write_b8 v5, v51 offset:8
.LBB82_167:
	s_or_b32 exec_lo, exec_lo, s14
	s_mov_b32 s15, exec_lo
	s_waitcnt lgkmcnt(0)
	s_barrier
	buffer_gl0_inv
	v_cmpx_gt_u32_e32 8, v0
	s_cbranch_execz .LBB82_175
; %bb.168:
	v_lshlrev_b32_e32 v56, 4, v0
	v_and_b32_e32 v58, 7, v53
	s_mov_b32 s14, exec_lo
	ds_read_b64 v[5:6], v56
	ds_read_b32 v61, v56 offset:8
	s_waitcnt lgkmcnt(1)
	v_mov_b32_dpp v64, v5 row_shr:1 row_mask:0xf bank_mask:0xf
	v_mov_b32_dpp v65, v6 row_shr:1 row_mask:0xf bank_mask:0xf
	s_waitcnt lgkmcnt(0)
	v_and_b32_e32 v60, 0xffffff00, v61
	v_mov_b32_dpp v63, v61 row_shr:1 row_mask:0xf bank_mask:0xf
	v_mov_b32_e32 v62, v61
	v_mov_b32_e32 v59, v61
	;; [unrolled: 1-line block ×4, first 2 shown]
	v_cmpx_ne_u32_e32 0, v58
	s_cbranch_execz .LBB82_170
; %bb.169:
	v_mov_b32_e32 v51, 0
	v_cmp_eq_u16_sdwa s13, v61, v51 src0_sel:BYTE_0 src1_sel:DWORD
	v_or_b32_e32 v61, v63, v61
	v_cndmask_b32_e64 v51, 1, v64, s13
	v_cndmask_b32_e64 v59, 0, v65, s13
	v_and_b32_e32 v62, 1, v61
	v_mul_lo_u32 v6, v51, v6
	v_mad_u64_u32 v[51:52], null, v51, v5, 0
	v_mul_lo_u32 v5, v59, v5
	v_and_b32_e32 v59, 1, v61
	v_or_b32_e32 v61, v59, v60
	v_add3_u32 v52, v52, v6, v5
	v_mov_b32_e32 v5, v51
	v_mov_b32_e32 v6, v52
.LBB82_170:
	s_or_b32 exec_lo, exec_lo, s14
	v_mov_b32_dpp v65, v51 row_shr:2 row_mask:0xf bank_mask:0xf
	v_mov_b32_dpp v63, v52 row_shr:2 row_mask:0xf bank_mask:0xf
	;; [unrolled: 1-line block ×3, first 2 shown]
	s_mov_b32 s16, exec_lo
	v_cmpx_lt_u32_e32 1, v58
	s_cbranch_execz .LBB82_172
; %bb.171:
	v_mov_b32_e32 v51, 0
	v_and_b32_e32 v61, 1, v64
	v_cmp_eq_u16_sdwa s13, v59, v51 src0_sel:BYTE_0 src1_sel:DWORD
	v_and_b32_e32 v59, 1, v59
	v_cmp_eq_u32_e64 s14, 1, v61
	v_cndmask_b32_e64 v51, 1, v65, s13
	v_cndmask_b32_e64 v62, 0, v63, s13
	v_cmp_eq_u32_e64 s13, 1, v59
	v_mul_lo_u32 v6, v51, v6
	v_mad_u64_u32 v[51:52], null, v51, v5, 0
	v_mul_lo_u32 v5, v62, v5
	s_or_b32 s13, s13, s14
	v_cndmask_b32_e64 v62, 0, 1, s13
	v_cndmask_b32_e64 v59, 0, 1, s13
	v_add3_u32 v52, v52, v6, v5
	v_mov_b32_e32 v5, v51
	v_or_b32_e32 v61, v60, v59
	v_mov_b32_e32 v59, v62
	v_mov_b32_e32 v6, v52
.LBB82_172:
	s_or_b32 exec_lo, exec_lo, s16
	v_mov_b32_dpp v60, v51 row_shr:4 row_mask:0xf bank_mask:0xf
	v_mov_b32_dpp v52, v52 row_shr:4 row_mask:0xf bank_mask:0xf
	;; [unrolled: 1-line block ×3, first 2 shown]
	s_mov_b32 s16, exec_lo
	v_cmpx_lt_u32_e32 3, v58
	s_cbranch_execz .LBB82_174
; %bb.173:
	v_mov_b32_e32 v58, 0
	v_and_b32_e32 v51, 1, v51
	v_cmp_eq_u16_sdwa s13, v59, v58 src0_sel:BYTE_0 src1_sel:DWORD
	v_cmp_eq_u32_e64 s14, 1, v51
	v_cndmask_b32_e64 v58, 1, v60, s13
	v_cndmask_b32_e64 v52, 0, v52, s13
	v_mul_lo_u32 v6, v58, v6
	v_mad_u64_u32 v[60:61], null, v58, v5, 0
	v_mul_lo_u32 v5, v52, v5
	v_and_b32_e32 v52, 1, v59
	v_cmp_eq_u32_e64 s13, 1, v52
	v_add3_u32 v61, v61, v6, v5
	v_mov_b32_e32 v5, v60
	s_or_b32 s13, s13, s14
	v_cndmask_b32_e64 v62, 0, 1, s13
	v_mov_b32_e32 v6, v61
.LBB82_174:
	s_or_b32 exec_lo, exec_lo, s16
	ds_write_b64 v56, v[5:6]
	ds_write_b8 v56, v62 offset:8
.LBB82_175:
	s_or_b32 exec_lo, exec_lo, s15
	v_mov_b32_e32 v5, 0
	v_mov_b32_e32 v6, 0
	s_mov_b32 s14, exec_lo
	s_waitcnt lgkmcnt(0)
	s_barrier
	buffer_gl0_inv
	v_cmpx_lt_u32_e32 31, v0
	s_cbranch_execz .LBB82_177
; %bb.176:
	v_lshl_add_u32 v5, v55, 4, -16
	v_cmp_eq_u32_e64 s13, 0, v54
	ds_read_b64 v[5:6], v5
	s_waitcnt lgkmcnt(0)
	v_cndmask_b32_e64 v51, 1, v5, s13
	v_cndmask_b32_e64 v52, 0, v6, s13
	v_mul_lo_u32 v54, v51, v4
	v_mul_lo_u32 v52, v52, v3
	v_mad_u64_u32 v[3:4], null, v51, v3, 0
	v_add3_u32 v4, v4, v54, v52
.LBB82_177:
	s_or_b32 exec_lo, exec_lo, s14
	v_add_nc_u32_e32 v51, -1, v53
	v_cmp_gt_i32_e64 s13, 0, v51
	v_cndmask_b32_e64 v51, v51, v53, s13
	v_lshlrev_b32_e32 v51, 2, v51
	ds_bpermute_b32 v3, v51, v3
	ds_bpermute_b32 v4, v51, v4
	s_and_saveexec_b32 s13, s1
	s_cbranch_execz .LBB82_179
; %bb.178:
	v_cmp_eq_u32_e64 s1, 0, v53
	v_mov_b32_e32 v27, 0
	;;#ASMSTART
	;;#ASMEND
	s_waitcnt lgkmcnt(0)
	v_cndmask_b32_e64 v4, v4, v6, s1
	v_cndmask_b32_e64 v3, v3, v5, s1
	v_cmp_eq_u16_sdwa s1, v87, v27 src0_sel:BYTE_0 src1_sel:DWORD
	v_cndmask_b32_e64 v3, 1, v3, s1
	v_cndmask_b32_e64 v4, 0, v4, s1
	v_mul_lo_u32 v5, v3, v2
	v_mul_lo_u32 v4, v4, v1
	v_mad_u64_u32 v[1:2], null, v3, v1, 0
	v_add3_u32 v2, v2, v5, v4
	v_cndmask_b32_e64 v3, 1, v1, s12
	v_cndmask_b32_e64 v4, 0, v2, s12
	v_mul_lo_u32 v5, v3, v10
	v_mad_u64_u32 v[27:28], null, v3, v9, 0
	v_mul_lo_u32 v3, v4, v9
	v_add3_u32 v28, v28, v5, v3
	v_cndmask_b32_e64 v3, 1, v27, s11
	v_cndmask_b32_e64 v4, 0, v28, s11
	v_mul_lo_u32 v5, v3, v16
	v_mad_u64_u32 v[29:30], null, v3, v15, 0
	v_mul_lo_u32 v3, v4, v15
	;; [unrolled: 6-line block ×10, first 2 shown]
	v_add3_u32 v46, v46, v5, v3
	v_cndmask_b32_e32 v3, 1, v45, vcc_lo
	v_cndmask_b32_e32 v4, 0, v46, vcc_lo
	v_mul_lo_u32 v5, v3, v8
	v_mad_u64_u32 v[47:48], null, v3, v7, 0
	v_mul_lo_u32 v3, v4, v7
	v_add3_u32 v48, v48, v5, v3
	v_cndmask_b32_e64 v3, 1, v47, s7
	v_cndmask_b32_e64 v4, 0, v48, s7
	v_mul_lo_u32 v5, v3, v12
	v_mad_u64_u32 v[49:50], null, v3, v11, 0
	v_mul_lo_u32 v4, v4, v11
	v_add3_u32 v50, v50, v5, v4
.LBB82_179:
	s_or_b32 exec_lo, exec_lo, s13
	s_and_saveexec_b32 s1, s0
	s_cbranch_execz .LBB82_181
; %bb.180:
	v_mov_b32_e32 v5, 0
	v_mov_b32_e32 v7, 2
	s_waitcnt lgkmcnt(0)
	ds_read_b64 v[3:4], v5 offset:112
	ds_read_u8 v6, v5 offset:120
	s_waitcnt lgkmcnt(1)
	global_store_dwordx2 v5, v[3:4], s[22:23] offset:512
	s_waitcnt lgkmcnt(0)
	global_store_byte v5, v6, s[22:23] offset:520
	s_waitcnt_vscnt null, 0x0
	buffer_gl1_inv
	buffer_gl0_inv
	global_store_byte v5, v7, s[24:25] offset:32
.LBB82_181:
	s_or_b32 exec_lo, exec_lo, s1
	v_mov_b32_e32 v52, v2
	v_mov_b32_e32 v51, v1
.LBB82_182:
	s_add_u32 s0, s18, s28
	s_addc_u32 s1, s19, s29
	s_add_u32 s0, s0, s30
	s_addc_u32 s1, s1, s31
	s_and_b32 vcc_lo, exec_lo, s27
	s_cbranch_vccz .LBB82_226
; %bb.183:
	v_mul_u32_u24_e32 v1, 13, v0
	s_add_i32 s33, s33, s26
	s_mov_b32 s2, exec_lo
	v_cmpx_gt_u32_e64 s33, v1
	s_cbranch_execz .LBB82_201
; %bb.184:
	v_add_nc_u32_e32 v2, 1, v1
	s_mov_b32 s3, exec_lo
	v_cmpx_gt_u32_e64 s33, v2
	s_cbranch_execz .LBB82_200
; %bb.185:
	v_add_nc_u32_e32 v2, 2, v1
	;; [unrolled: 5-line block ×8, first 2 shown]
	s_mov_b32 s10, exec_lo
	v_cmpx_gt_u32_e64 s33, v2
; %bb.192:
	v_add_nc_u32_e32 v2, 9, v1
	s_mov_b32 s11, exec_lo
	v_cmpx_gt_u32_e64 s33, v2
	s_or_b32 exec_lo, exec_lo, s11
; %bb.193:
	s_or_b32 exec_lo, exec_lo, s10
.LBB82_194:
	s_or_b32 exec_lo, exec_lo, s9
.LBB82_195:
	s_or_b32 exec_lo, exec_lo, s8
.LBB82_196:
	s_or_b32 exec_lo, exec_lo, s7
.LBB82_197:
	s_or_b32 exec_lo, exec_lo, s6
.LBB82_198:
	s_or_b32 exec_lo, exec_lo, s5
.LBB82_199:
	s_or_b32 exec_lo, exec_lo, s4
.LBB82_200:
	s_or_b32 exec_lo, exec_lo, s3
.LBB82_201:
	s_or_b32 exec_lo, exec_lo, s2
	v_lshlrev_b32_e32 v53, 3, v1
	s_waitcnt lgkmcnt(0)
	s_waitcnt_vscnt null, 0x0
	s_barrier
	buffer_gl0_inv
	v_add_co_u32 v25, s2, s0, v57
	v_mad_i32_i24 v1, 0xffffffa0, v0, v53
	ds_write2_b64 v53, v[51:52], v[27:28] offset1:1
	ds_write2_b64 v53, v[29:30], v[31:32] offset0:2 offset1:3
	ds_write2_b64 v53, v[33:34], v[35:36] offset0:4 offset1:5
	ds_write2_b64 v53, v[37:38], v[39:40] offset0:6 offset1:7
	ds_write2_b64 v53, v[41:42], v[43:44] offset0:8 offset1:9
	ds_write2_b64 v53, v[45:46], v[47:48] offset0:10 offset1:11
	ds_write_b64 v53, v[49:50] offset:96
	s_waitcnt lgkmcnt(0)
	s_barrier
	buffer_gl0_inv
	ds_read2st64_b64 v[21:24], v1 offset0:4 offset1:8
	ds_read2st64_b64 v[17:20], v1 offset0:12 offset1:16
	;; [unrolled: 1-line block ×6, first 2 shown]
	v_add_co_ci_u32_e64 v26, null, s1, 0, s2
	s_mov_b32 s2, exec_lo
	v_cmpx_gt_u32_e64 s33, v0
	s_cbranch_execz .LBB82_203
; %bb.202:
	v_mul_i32_i24_e32 v54, 0xffffffa0, v0
	v_add_nc_u32_e32 v53, v53, v54
	ds_read_b64 v[53:54], v53
	s_waitcnt lgkmcnt(0)
	flat_store_dwordx2 v[25:26], v[53:54]
.LBB82_203:
	s_or_b32 exec_lo, exec_lo, s2
	v_or_b32_e32 v53, 0x100, v0
	s_mov_b32 s2, exec_lo
	v_cmpx_gt_u32_e64 s33, v53
	s_cbranch_execz .LBB82_205
; %bb.204:
	v_add_co_u32 v53, vcc_lo, 0x800, v25
	v_add_co_ci_u32_e64 v54, null, 0, v26, vcc_lo
	s_waitcnt lgkmcnt(5)
	flat_store_dwordx2 v[53:54], v[21:22]
.LBB82_205:
	s_or_b32 exec_lo, exec_lo, s2
	s_waitcnt lgkmcnt(5)
	v_or_b32_e32 v21, 0x200, v0
	s_mov_b32 s2, exec_lo
	v_cmpx_gt_u32_e64 s33, v21
	s_cbranch_execz .LBB82_207
; %bb.206:
	v_add_co_u32 v21, vcc_lo, 0x1000, v25
	v_add_co_ci_u32_e64 v22, null, 0, v26, vcc_lo
	flat_store_dwordx2 v[21:22], v[23:24]
.LBB82_207:
	s_or_b32 exec_lo, exec_lo, s2
	v_or_b32_e32 v21, 0x300, v0
	s_mov_b32 s2, exec_lo
	v_cmpx_gt_u32_e64 s33, v21
	s_cbranch_execz .LBB82_209
; %bb.208:
	v_add_co_u32 v21, vcc_lo, 0x1800, v25
	v_add_co_ci_u32_e64 v22, null, 0, v26, vcc_lo
	s_waitcnt lgkmcnt(4)
	flat_store_dwordx2 v[21:22], v[17:18]
.LBB82_209:
	s_or_b32 exec_lo, exec_lo, s2
	s_waitcnt lgkmcnt(4)
	v_or_b32_e32 v17, 0x400, v0
	s_mov_b32 s2, exec_lo
	v_cmpx_gt_u32_e64 s33, v17
	s_cbranch_execz .LBB82_211
; %bb.210:
	v_add_co_u32 v17, vcc_lo, 0x2000, v25
	v_add_co_ci_u32_e64 v18, null, 0, v26, vcc_lo
	flat_store_dwordx2 v[17:18], v[19:20]
.LBB82_211:
	;; [unrolled: 22-line block ×5, first 2 shown]
	s_or_b32 exec_lo, exec_lo, s2
	v_or_b32_e32 v5, 0xb00, v0
	s_mov_b32 s2, exec_lo
	v_cmpx_gt_u32_e64 s33, v5
	s_cbranch_execz .LBB82_225
; %bb.224:
	v_add_co_u32 v5, vcc_lo, 0x5800, v25
	v_add_co_ci_u32_e64 v6, null, 0, v26, vcc_lo
	s_waitcnt lgkmcnt(0)
	flat_store_dwordx2 v[5:6], v[1:2]
.LBB82_225:
	s_or_b32 exec_lo, exec_lo, s2
	s_waitcnt lgkmcnt(0)
	v_or_b32_e32 v1, 0xc00, v0
	v_cmp_gt_u32_e64 s2, s33, v1
	s_branch .LBB82_228
.LBB82_226:
	s_mov_b32 s2, 0
                                        ; implicit-def: $vgpr3_vgpr4
	s_cbranch_execz .LBB82_228
; %bb.227:
	v_mul_i32_i24_e32 v2, 0xffffffa0, v0
	v_mul_u32_u24_e32 v1, 0x68, v0
	s_waitcnt lgkmcnt(0)
	s_waitcnt_vscnt null, 0x0
	s_barrier
	buffer_gl0_inv
	v_mad_u32_u24 v3, 0x68, v0, v2
	ds_write2_b64 v1, v[51:52], v[27:28] offset1:1
	ds_write2_b64 v1, v[29:30], v[31:32] offset0:2 offset1:3
	ds_write2_b64 v1, v[33:34], v[35:36] offset0:4 offset1:5
	;; [unrolled: 1-line block ×5, first 2 shown]
	ds_write_b64 v1, v[49:50] offset:96
	s_waitcnt lgkmcnt(0)
	s_barrier
	buffer_gl0_inv
	ds_read2st64_b64 v[5:8], v3 offset1:4
	ds_read2st64_b64 v[9:12], v3 offset0:8 offset1:12
	ds_read2st64_b64 v[13:16], v3 offset0:16 offset1:20
	;; [unrolled: 1-line block ×3, first 2 shown]
	v_add_co_u32 v1, s3, s0, v57
	v_add_co_ci_u32_e64 v2, null, s1, 0, s3
	ds_read2st64_b64 v[21:24], v3 offset0:32 offset1:36
	v_add_co_u32 v29, vcc_lo, 0x800, v1
	v_add_co_ci_u32_e64 v30, null, 0, v2, vcc_lo
	v_add_co_u32 v31, vcc_lo, 0x1000, v1
	v_add_co_ci_u32_e64 v32, null, 0, v2, vcc_lo
	ds_read2st64_b64 v[25:28], v3 offset0:40 offset1:44
	ds_read_b64 v[3:4], v3 offset:24576
	s_or_b32 s2, s2, exec_lo
	s_waitcnt lgkmcnt(6)
	flat_store_dwordx2 v[1:2], v[5:6]
	flat_store_dwordx2 v[29:30], v[7:8]
	s_waitcnt lgkmcnt(7)
	flat_store_dwordx2 v[31:32], v[9:10]
	v_add_co_u32 v5, vcc_lo, 0x1800, v1
	v_add_co_ci_u32_e64 v6, null, 0, v2, vcc_lo
	v_add_co_u32 v7, vcc_lo, 0x2000, v1
	v_add_co_ci_u32_e64 v8, null, 0, v2, vcc_lo
	;; [unrolled: 2-line block ×5, first 2 shown]
	flat_store_dwordx2 v[5:6], v[11:12]
	s_waitcnt lgkmcnt(8)
	flat_store_dwordx2 v[7:8], v[13:14]
	flat_store_dwordx2 v[9:10], v[15:16]
	s_waitcnt lgkmcnt(9)
	flat_store_dwordx2 v[29:30], v[17:18]
	flat_store_dwordx2 v[31:32], v[19:20]
	v_add_co_u32 v5, vcc_lo, 0x4000, v1
	v_add_co_ci_u32_e64 v6, null, 0, v2, vcc_lo
	v_add_co_u32 v7, vcc_lo, 0x4800, v1
	v_add_co_ci_u32_e64 v8, null, 0, v2, vcc_lo
	;; [unrolled: 2-line block ×4, first 2 shown]
	s_waitcnt lgkmcnt(10)
	flat_store_dwordx2 v[5:6], v[21:22]
	flat_store_dwordx2 v[7:8], v[23:24]
	s_waitcnt lgkmcnt(11)
	flat_store_dwordx2 v[9:10], v[25:26]
	flat_store_dwordx2 v[1:2], v[27:28]
.LBB82_228:
	s_and_saveexec_b32 s3, s2
	s_cbranch_execnz .LBB82_230
; %bb.229:
	s_endpgm
.LBB82_230:
	v_lshlrev_b32_e32 v0, 3, v0
	v_add_co_u32 v0, s0, s0, v0
	v_add_co_ci_u32_e64 v1, null, s1, 0, s0
	v_add_co_u32 v0, vcc_lo, 0x6000, v0
	v_add_co_ci_u32_e64 v1, null, 0, v1, vcc_lo
	s_waitcnt lgkmcnt(0)
	flat_store_dwordx2 v[0:1], v[3:4]
	s_endpgm
.LBB82_231:
	v_add_co_u32 v1, s2, s15, v39
	v_add_co_ci_u32_e64 v2, null, s45, 0, s2
	flat_load_dwordx2 v[1:2], v[1:2]
	s_or_b32 exec_lo, exec_lo, s36
                                        ; implicit-def: $vgpr3_vgpr4
	s_and_saveexec_b32 s2, s3
	s_cbranch_execz .LBB82_39
.LBB82_232:
	v_add_co_u32 v3, s3, s15, v27
	v_add_co_ci_u32_e64 v4, null, s45, 0, s3
	flat_load_dwordx2 v[3:4], v[3:4]
	s_or_b32 exec_lo, exec_lo, s2
                                        ; implicit-def: $vgpr5_vgpr6
	s_and_saveexec_b32 s2, s4
	s_cbranch_execz .LBB82_40
.LBB82_233:
	v_add_co_u32 v5, s3, s15, v28
	v_add_co_ci_u32_e64 v6, null, s45, 0, s3
	flat_load_dwordx2 v[5:6], v[5:6]
	s_or_b32 exec_lo, exec_lo, s2
                                        ; implicit-def: $vgpr7_vgpr8
	s_and_saveexec_b32 s2, s5
	s_cbranch_execz .LBB82_41
.LBB82_234:
	v_add_co_u32 v7, s3, s15, v29
	v_add_co_ci_u32_e64 v8, null, s45, 0, s3
	flat_load_dwordx2 v[7:8], v[7:8]
	s_or_b32 exec_lo, exec_lo, s2
                                        ; implicit-def: $vgpr9_vgpr10
	s_and_saveexec_b32 s2, s6
	s_cbranch_execz .LBB82_42
.LBB82_235:
	v_add_co_u32 v9, s3, s15, v30
	v_add_co_ci_u32_e64 v10, null, s45, 0, s3
	flat_load_dwordx2 v[9:10], v[9:10]
	s_or_b32 exec_lo, exec_lo, s2
                                        ; implicit-def: $vgpr13_vgpr14
	s_and_saveexec_b32 s2, s7
	s_cbranch_execz .LBB82_43
.LBB82_236:
	v_add_co_u32 v13, s3, s15, v31
	v_add_co_ci_u32_e64 v14, null, s45, 0, s3
	flat_load_dwordx2 v[13:14], v[13:14]
	s_or_b32 exec_lo, exec_lo, s2
                                        ; implicit-def: $vgpr15_vgpr16
	s_and_saveexec_b32 s2, s8
	s_cbranch_execz .LBB82_44
.LBB82_237:
	v_add_co_u32 v15, s3, s15, v32
	v_add_co_ci_u32_e64 v16, null, s45, 0, s3
	flat_load_dwordx2 v[15:16], v[15:16]
	s_or_b32 exec_lo, exec_lo, s2
                                        ; implicit-def: $vgpr17_vgpr18
	s_and_saveexec_b32 s2, s9
	s_cbranch_execz .LBB82_45
.LBB82_238:
	v_add_co_u32 v17, s3, s15, v33
	v_add_co_ci_u32_e64 v18, null, s45, 0, s3
	flat_load_dwordx2 v[17:18], v[17:18]
	s_or_b32 exec_lo, exec_lo, s2
                                        ; implicit-def: $vgpr19_vgpr20
	s_and_saveexec_b32 s2, s10
	s_cbranch_execz .LBB82_46
.LBB82_239:
	v_add_co_u32 v19, s3, s15, v34
	v_add_co_ci_u32_e64 v20, null, s45, 0, s3
	flat_load_dwordx2 v[19:20], v[19:20]
	s_or_b32 exec_lo, exec_lo, s2
                                        ; implicit-def: $vgpr21_vgpr22
	s_and_saveexec_b32 s2, s11
	s_cbranch_execz .LBB82_47
.LBB82_240:
	v_add_co_u32 v21, s3, s15, v35
	v_add_co_ci_u32_e64 v22, null, s45, 0, s3
	flat_load_dwordx2 v[21:22], v[21:22]
	s_or_b32 exec_lo, exec_lo, s2
                                        ; implicit-def: $vgpr23_vgpr24
	s_and_saveexec_b32 s2, s12
	s_cbranch_execz .LBB82_48
.LBB82_241:
	v_add_co_u32 v23, s3, s15, v36
	v_add_co_ci_u32_e64 v24, null, s45, 0, s3
	flat_load_dwordx2 v[23:24], v[23:24]
	s_or_b32 exec_lo, exec_lo, s2
                                        ; implicit-def: $vgpr25_vgpr26
	s_and_saveexec_b32 s2, s13
	s_cbranch_execz .LBB82_49
.LBB82_242:
	v_add_co_u32 v25, s3, s15, v37
	v_add_co_ci_u32_e64 v26, null, s45, 0, s3
	flat_load_dwordx2 v[25:26], v[25:26]
	s_or_b32 exec_lo, exec_lo, s2
                                        ; implicit-def: $vgpr27_vgpr28
	s_and_saveexec_b32 s2, s14
	s_cbranch_execnz .LBB82_50
	s_branch .LBB82_51
.LBB82_243:
                                        ; implicit-def: $sgpr36_sgpr37
	s_branch .LBB82_34
.LBB82_244:
                                        ; implicit-def: $sgpr2_sgpr3
	s_branch .LBB82_80
	.section	.rodata,"a",@progbits
	.p2align	6, 0x0
	.amdhsa_kernel _ZN7rocprim17ROCPRIM_400000_NS6detail17trampoline_kernelINS0_14default_configENS1_27scan_by_key_config_selectorIxxEEZZNS1_16scan_by_key_implILNS1_25lookback_scan_determinismE0ELb0ES3_N6thrust23THRUST_200600_302600_NS6detail15normal_iteratorINS9_10device_ptrIxEEEESE_SE_xNS9_10multipliesIxEENS9_8equal_toIxEExEE10hipError_tPvRmT2_T3_T4_T5_mT6_T7_P12ihipStream_tbENKUlT_T0_E_clISt17integral_constantIbLb0EESY_IbLb1EEEEDaSU_SV_EUlSU_E_NS1_11comp_targetILNS1_3genE8ELNS1_11target_archE1030ELNS1_3gpuE2ELNS1_3repE0EEENS1_30default_config_static_selectorELNS0_4arch9wavefront6targetE0EEEvT1_
		.amdhsa_group_segment_fixed_size 30720
		.amdhsa_private_segment_fixed_size 0
		.amdhsa_kernarg_size 136
		.amdhsa_user_sgpr_count 6
		.amdhsa_user_sgpr_private_segment_buffer 1
		.amdhsa_user_sgpr_dispatch_ptr 0
		.amdhsa_user_sgpr_queue_ptr 0
		.amdhsa_user_sgpr_kernarg_segment_ptr 1
		.amdhsa_user_sgpr_dispatch_id 0
		.amdhsa_user_sgpr_flat_scratch_init 0
		.amdhsa_user_sgpr_private_segment_size 0
		.amdhsa_wavefront_size32 1
		.amdhsa_uses_dynamic_stack 0
		.amdhsa_system_sgpr_private_segment_wavefront_offset 0
		.amdhsa_system_sgpr_workgroup_id_x 1
		.amdhsa_system_sgpr_workgroup_id_y 0
		.amdhsa_system_sgpr_workgroup_id_z 0
		.amdhsa_system_sgpr_workgroup_info 0
		.amdhsa_system_vgpr_workitem_id 0
		.amdhsa_next_free_vgpr 113
		.amdhsa_next_free_sgpr 51
		.amdhsa_reserve_vcc 1
		.amdhsa_reserve_flat_scratch 1
		.amdhsa_float_round_mode_32 0
		.amdhsa_float_round_mode_16_64 0
		.amdhsa_float_denorm_mode_32 3
		.amdhsa_float_denorm_mode_16_64 3
		.amdhsa_dx10_clamp 1
		.amdhsa_ieee_mode 1
		.amdhsa_fp16_overflow 0
		.amdhsa_workgroup_processor_mode 1
		.amdhsa_memory_ordered 1
		.amdhsa_forward_progress 1
		.amdhsa_shared_vgpr_count 0
		.amdhsa_exception_fp_ieee_invalid_op 0
		.amdhsa_exception_fp_denorm_src 0
		.amdhsa_exception_fp_ieee_div_zero 0
		.amdhsa_exception_fp_ieee_overflow 0
		.amdhsa_exception_fp_ieee_underflow 0
		.amdhsa_exception_fp_ieee_inexact 0
		.amdhsa_exception_int_div_zero 0
	.end_amdhsa_kernel
	.section	.text._ZN7rocprim17ROCPRIM_400000_NS6detail17trampoline_kernelINS0_14default_configENS1_27scan_by_key_config_selectorIxxEEZZNS1_16scan_by_key_implILNS1_25lookback_scan_determinismE0ELb0ES3_N6thrust23THRUST_200600_302600_NS6detail15normal_iteratorINS9_10device_ptrIxEEEESE_SE_xNS9_10multipliesIxEENS9_8equal_toIxEExEE10hipError_tPvRmT2_T3_T4_T5_mT6_T7_P12ihipStream_tbENKUlT_T0_E_clISt17integral_constantIbLb0EESY_IbLb1EEEEDaSU_SV_EUlSU_E_NS1_11comp_targetILNS1_3genE8ELNS1_11target_archE1030ELNS1_3gpuE2ELNS1_3repE0EEENS1_30default_config_static_selectorELNS0_4arch9wavefront6targetE0EEEvT1_,"axG",@progbits,_ZN7rocprim17ROCPRIM_400000_NS6detail17trampoline_kernelINS0_14default_configENS1_27scan_by_key_config_selectorIxxEEZZNS1_16scan_by_key_implILNS1_25lookback_scan_determinismE0ELb0ES3_N6thrust23THRUST_200600_302600_NS6detail15normal_iteratorINS9_10device_ptrIxEEEESE_SE_xNS9_10multipliesIxEENS9_8equal_toIxEExEE10hipError_tPvRmT2_T3_T4_T5_mT6_T7_P12ihipStream_tbENKUlT_T0_E_clISt17integral_constantIbLb0EESY_IbLb1EEEEDaSU_SV_EUlSU_E_NS1_11comp_targetILNS1_3genE8ELNS1_11target_archE1030ELNS1_3gpuE2ELNS1_3repE0EEENS1_30default_config_static_selectorELNS0_4arch9wavefront6targetE0EEEvT1_,comdat
.Lfunc_end82:
	.size	_ZN7rocprim17ROCPRIM_400000_NS6detail17trampoline_kernelINS0_14default_configENS1_27scan_by_key_config_selectorIxxEEZZNS1_16scan_by_key_implILNS1_25lookback_scan_determinismE0ELb0ES3_N6thrust23THRUST_200600_302600_NS6detail15normal_iteratorINS9_10device_ptrIxEEEESE_SE_xNS9_10multipliesIxEENS9_8equal_toIxEExEE10hipError_tPvRmT2_T3_T4_T5_mT6_T7_P12ihipStream_tbENKUlT_T0_E_clISt17integral_constantIbLb0EESY_IbLb1EEEEDaSU_SV_EUlSU_E_NS1_11comp_targetILNS1_3genE8ELNS1_11target_archE1030ELNS1_3gpuE2ELNS1_3repE0EEENS1_30default_config_static_selectorELNS0_4arch9wavefront6targetE0EEEvT1_, .Lfunc_end82-_ZN7rocprim17ROCPRIM_400000_NS6detail17trampoline_kernelINS0_14default_configENS1_27scan_by_key_config_selectorIxxEEZZNS1_16scan_by_key_implILNS1_25lookback_scan_determinismE0ELb0ES3_N6thrust23THRUST_200600_302600_NS6detail15normal_iteratorINS9_10device_ptrIxEEEESE_SE_xNS9_10multipliesIxEENS9_8equal_toIxEExEE10hipError_tPvRmT2_T3_T4_T5_mT6_T7_P12ihipStream_tbENKUlT_T0_E_clISt17integral_constantIbLb0EESY_IbLb1EEEEDaSU_SV_EUlSU_E_NS1_11comp_targetILNS1_3genE8ELNS1_11target_archE1030ELNS1_3gpuE2ELNS1_3repE0EEENS1_30default_config_static_selectorELNS0_4arch9wavefront6targetE0EEEvT1_
                                        ; -- End function
	.set _ZN7rocprim17ROCPRIM_400000_NS6detail17trampoline_kernelINS0_14default_configENS1_27scan_by_key_config_selectorIxxEEZZNS1_16scan_by_key_implILNS1_25lookback_scan_determinismE0ELb0ES3_N6thrust23THRUST_200600_302600_NS6detail15normal_iteratorINS9_10device_ptrIxEEEESE_SE_xNS9_10multipliesIxEENS9_8equal_toIxEExEE10hipError_tPvRmT2_T3_T4_T5_mT6_T7_P12ihipStream_tbENKUlT_T0_E_clISt17integral_constantIbLb0EESY_IbLb1EEEEDaSU_SV_EUlSU_E_NS1_11comp_targetILNS1_3genE8ELNS1_11target_archE1030ELNS1_3gpuE2ELNS1_3repE0EEENS1_30default_config_static_selectorELNS0_4arch9wavefront6targetE0EEEvT1_.num_vgpr, 106
	.set _ZN7rocprim17ROCPRIM_400000_NS6detail17trampoline_kernelINS0_14default_configENS1_27scan_by_key_config_selectorIxxEEZZNS1_16scan_by_key_implILNS1_25lookback_scan_determinismE0ELb0ES3_N6thrust23THRUST_200600_302600_NS6detail15normal_iteratorINS9_10device_ptrIxEEEESE_SE_xNS9_10multipliesIxEENS9_8equal_toIxEExEE10hipError_tPvRmT2_T3_T4_T5_mT6_T7_P12ihipStream_tbENKUlT_T0_E_clISt17integral_constantIbLb0EESY_IbLb1EEEEDaSU_SV_EUlSU_E_NS1_11comp_targetILNS1_3genE8ELNS1_11target_archE1030ELNS1_3gpuE2ELNS1_3repE0EEENS1_30default_config_static_selectorELNS0_4arch9wavefront6targetE0EEEvT1_.num_agpr, 0
	.set _ZN7rocprim17ROCPRIM_400000_NS6detail17trampoline_kernelINS0_14default_configENS1_27scan_by_key_config_selectorIxxEEZZNS1_16scan_by_key_implILNS1_25lookback_scan_determinismE0ELb0ES3_N6thrust23THRUST_200600_302600_NS6detail15normal_iteratorINS9_10device_ptrIxEEEESE_SE_xNS9_10multipliesIxEENS9_8equal_toIxEExEE10hipError_tPvRmT2_T3_T4_T5_mT6_T7_P12ihipStream_tbENKUlT_T0_E_clISt17integral_constantIbLb0EESY_IbLb1EEEEDaSU_SV_EUlSU_E_NS1_11comp_targetILNS1_3genE8ELNS1_11target_archE1030ELNS1_3gpuE2ELNS1_3repE0EEENS1_30default_config_static_selectorELNS0_4arch9wavefront6targetE0EEEvT1_.numbered_sgpr, 51
	.set _ZN7rocprim17ROCPRIM_400000_NS6detail17trampoline_kernelINS0_14default_configENS1_27scan_by_key_config_selectorIxxEEZZNS1_16scan_by_key_implILNS1_25lookback_scan_determinismE0ELb0ES3_N6thrust23THRUST_200600_302600_NS6detail15normal_iteratorINS9_10device_ptrIxEEEESE_SE_xNS9_10multipliesIxEENS9_8equal_toIxEExEE10hipError_tPvRmT2_T3_T4_T5_mT6_T7_P12ihipStream_tbENKUlT_T0_E_clISt17integral_constantIbLb0EESY_IbLb1EEEEDaSU_SV_EUlSU_E_NS1_11comp_targetILNS1_3genE8ELNS1_11target_archE1030ELNS1_3gpuE2ELNS1_3repE0EEENS1_30default_config_static_selectorELNS0_4arch9wavefront6targetE0EEEvT1_.num_named_barrier, 0
	.set _ZN7rocprim17ROCPRIM_400000_NS6detail17trampoline_kernelINS0_14default_configENS1_27scan_by_key_config_selectorIxxEEZZNS1_16scan_by_key_implILNS1_25lookback_scan_determinismE0ELb0ES3_N6thrust23THRUST_200600_302600_NS6detail15normal_iteratorINS9_10device_ptrIxEEEESE_SE_xNS9_10multipliesIxEENS9_8equal_toIxEExEE10hipError_tPvRmT2_T3_T4_T5_mT6_T7_P12ihipStream_tbENKUlT_T0_E_clISt17integral_constantIbLb0EESY_IbLb1EEEEDaSU_SV_EUlSU_E_NS1_11comp_targetILNS1_3genE8ELNS1_11target_archE1030ELNS1_3gpuE2ELNS1_3repE0EEENS1_30default_config_static_selectorELNS0_4arch9wavefront6targetE0EEEvT1_.private_seg_size, 0
	.set _ZN7rocprim17ROCPRIM_400000_NS6detail17trampoline_kernelINS0_14default_configENS1_27scan_by_key_config_selectorIxxEEZZNS1_16scan_by_key_implILNS1_25lookback_scan_determinismE0ELb0ES3_N6thrust23THRUST_200600_302600_NS6detail15normal_iteratorINS9_10device_ptrIxEEEESE_SE_xNS9_10multipliesIxEENS9_8equal_toIxEExEE10hipError_tPvRmT2_T3_T4_T5_mT6_T7_P12ihipStream_tbENKUlT_T0_E_clISt17integral_constantIbLb0EESY_IbLb1EEEEDaSU_SV_EUlSU_E_NS1_11comp_targetILNS1_3genE8ELNS1_11target_archE1030ELNS1_3gpuE2ELNS1_3repE0EEENS1_30default_config_static_selectorELNS0_4arch9wavefront6targetE0EEEvT1_.uses_vcc, 1
	.set _ZN7rocprim17ROCPRIM_400000_NS6detail17trampoline_kernelINS0_14default_configENS1_27scan_by_key_config_selectorIxxEEZZNS1_16scan_by_key_implILNS1_25lookback_scan_determinismE0ELb0ES3_N6thrust23THRUST_200600_302600_NS6detail15normal_iteratorINS9_10device_ptrIxEEEESE_SE_xNS9_10multipliesIxEENS9_8equal_toIxEExEE10hipError_tPvRmT2_T3_T4_T5_mT6_T7_P12ihipStream_tbENKUlT_T0_E_clISt17integral_constantIbLb0EESY_IbLb1EEEEDaSU_SV_EUlSU_E_NS1_11comp_targetILNS1_3genE8ELNS1_11target_archE1030ELNS1_3gpuE2ELNS1_3repE0EEENS1_30default_config_static_selectorELNS0_4arch9wavefront6targetE0EEEvT1_.uses_flat_scratch, 1
	.set _ZN7rocprim17ROCPRIM_400000_NS6detail17trampoline_kernelINS0_14default_configENS1_27scan_by_key_config_selectorIxxEEZZNS1_16scan_by_key_implILNS1_25lookback_scan_determinismE0ELb0ES3_N6thrust23THRUST_200600_302600_NS6detail15normal_iteratorINS9_10device_ptrIxEEEESE_SE_xNS9_10multipliesIxEENS9_8equal_toIxEExEE10hipError_tPvRmT2_T3_T4_T5_mT6_T7_P12ihipStream_tbENKUlT_T0_E_clISt17integral_constantIbLb0EESY_IbLb1EEEEDaSU_SV_EUlSU_E_NS1_11comp_targetILNS1_3genE8ELNS1_11target_archE1030ELNS1_3gpuE2ELNS1_3repE0EEENS1_30default_config_static_selectorELNS0_4arch9wavefront6targetE0EEEvT1_.has_dyn_sized_stack, 0
	.set _ZN7rocprim17ROCPRIM_400000_NS6detail17trampoline_kernelINS0_14default_configENS1_27scan_by_key_config_selectorIxxEEZZNS1_16scan_by_key_implILNS1_25lookback_scan_determinismE0ELb0ES3_N6thrust23THRUST_200600_302600_NS6detail15normal_iteratorINS9_10device_ptrIxEEEESE_SE_xNS9_10multipliesIxEENS9_8equal_toIxEExEE10hipError_tPvRmT2_T3_T4_T5_mT6_T7_P12ihipStream_tbENKUlT_T0_E_clISt17integral_constantIbLb0EESY_IbLb1EEEEDaSU_SV_EUlSU_E_NS1_11comp_targetILNS1_3genE8ELNS1_11target_archE1030ELNS1_3gpuE2ELNS1_3repE0EEENS1_30default_config_static_selectorELNS0_4arch9wavefront6targetE0EEEvT1_.has_recursion, 0
	.set _ZN7rocprim17ROCPRIM_400000_NS6detail17trampoline_kernelINS0_14default_configENS1_27scan_by_key_config_selectorIxxEEZZNS1_16scan_by_key_implILNS1_25lookback_scan_determinismE0ELb0ES3_N6thrust23THRUST_200600_302600_NS6detail15normal_iteratorINS9_10device_ptrIxEEEESE_SE_xNS9_10multipliesIxEENS9_8equal_toIxEExEE10hipError_tPvRmT2_T3_T4_T5_mT6_T7_P12ihipStream_tbENKUlT_T0_E_clISt17integral_constantIbLb0EESY_IbLb1EEEEDaSU_SV_EUlSU_E_NS1_11comp_targetILNS1_3genE8ELNS1_11target_archE1030ELNS1_3gpuE2ELNS1_3repE0EEENS1_30default_config_static_selectorELNS0_4arch9wavefront6targetE0EEEvT1_.has_indirect_call, 0
	.section	.AMDGPU.csdata,"",@progbits
; Kernel info:
; codeLenInByte = 16928
; TotalNumSgprs: 53
; NumVgprs: 106
; ScratchSize: 0
; MemoryBound: 0
; FloatMode: 240
; IeeeMode: 1
; LDSByteSize: 30720 bytes/workgroup (compile time only)
; SGPRBlocks: 0
; VGPRBlocks: 14
; NumSGPRsForWavesPerEU: 53
; NumVGPRsForWavesPerEU: 113
; Occupancy: 8
; WaveLimiterHint : 1
; COMPUTE_PGM_RSRC2:SCRATCH_EN: 0
; COMPUTE_PGM_RSRC2:USER_SGPR: 6
; COMPUTE_PGM_RSRC2:TRAP_HANDLER: 0
; COMPUTE_PGM_RSRC2:TGID_X_EN: 1
; COMPUTE_PGM_RSRC2:TGID_Y_EN: 0
; COMPUTE_PGM_RSRC2:TGID_Z_EN: 0
; COMPUTE_PGM_RSRC2:TIDIG_COMP_CNT: 0
	.section	.text._ZN7rocprim17ROCPRIM_400000_NS6detail17trampoline_kernelINS0_14default_configENS1_27scan_by_key_config_selectorIxxEEZZNS1_16scan_by_key_implILNS1_25lookback_scan_determinismE0ELb0ES3_N6thrust23THRUST_200600_302600_NS6detail15normal_iteratorINS9_10device_ptrIxEEEESE_SE_xNS9_4plusIvEENS9_8equal_toIxEExEE10hipError_tPvRmT2_T3_T4_T5_mT6_T7_P12ihipStream_tbENKUlT_T0_E_clISt17integral_constantIbLb0EESZ_EEDaSU_SV_EUlSU_E_NS1_11comp_targetILNS1_3genE0ELNS1_11target_archE4294967295ELNS1_3gpuE0ELNS1_3repE0EEENS1_30default_config_static_selectorELNS0_4arch9wavefront6targetE0EEEvT1_,"axG",@progbits,_ZN7rocprim17ROCPRIM_400000_NS6detail17trampoline_kernelINS0_14default_configENS1_27scan_by_key_config_selectorIxxEEZZNS1_16scan_by_key_implILNS1_25lookback_scan_determinismE0ELb0ES3_N6thrust23THRUST_200600_302600_NS6detail15normal_iteratorINS9_10device_ptrIxEEEESE_SE_xNS9_4plusIvEENS9_8equal_toIxEExEE10hipError_tPvRmT2_T3_T4_T5_mT6_T7_P12ihipStream_tbENKUlT_T0_E_clISt17integral_constantIbLb0EESZ_EEDaSU_SV_EUlSU_E_NS1_11comp_targetILNS1_3genE0ELNS1_11target_archE4294967295ELNS1_3gpuE0ELNS1_3repE0EEENS1_30default_config_static_selectorELNS0_4arch9wavefront6targetE0EEEvT1_,comdat
	.protected	_ZN7rocprim17ROCPRIM_400000_NS6detail17trampoline_kernelINS0_14default_configENS1_27scan_by_key_config_selectorIxxEEZZNS1_16scan_by_key_implILNS1_25lookback_scan_determinismE0ELb0ES3_N6thrust23THRUST_200600_302600_NS6detail15normal_iteratorINS9_10device_ptrIxEEEESE_SE_xNS9_4plusIvEENS9_8equal_toIxEExEE10hipError_tPvRmT2_T3_T4_T5_mT6_T7_P12ihipStream_tbENKUlT_T0_E_clISt17integral_constantIbLb0EESZ_EEDaSU_SV_EUlSU_E_NS1_11comp_targetILNS1_3genE0ELNS1_11target_archE4294967295ELNS1_3gpuE0ELNS1_3repE0EEENS1_30default_config_static_selectorELNS0_4arch9wavefront6targetE0EEEvT1_ ; -- Begin function _ZN7rocprim17ROCPRIM_400000_NS6detail17trampoline_kernelINS0_14default_configENS1_27scan_by_key_config_selectorIxxEEZZNS1_16scan_by_key_implILNS1_25lookback_scan_determinismE0ELb0ES3_N6thrust23THRUST_200600_302600_NS6detail15normal_iteratorINS9_10device_ptrIxEEEESE_SE_xNS9_4plusIvEENS9_8equal_toIxEExEE10hipError_tPvRmT2_T3_T4_T5_mT6_T7_P12ihipStream_tbENKUlT_T0_E_clISt17integral_constantIbLb0EESZ_EEDaSU_SV_EUlSU_E_NS1_11comp_targetILNS1_3genE0ELNS1_11target_archE4294967295ELNS1_3gpuE0ELNS1_3repE0EEENS1_30default_config_static_selectorELNS0_4arch9wavefront6targetE0EEEvT1_
	.globl	_ZN7rocprim17ROCPRIM_400000_NS6detail17trampoline_kernelINS0_14default_configENS1_27scan_by_key_config_selectorIxxEEZZNS1_16scan_by_key_implILNS1_25lookback_scan_determinismE0ELb0ES3_N6thrust23THRUST_200600_302600_NS6detail15normal_iteratorINS9_10device_ptrIxEEEESE_SE_xNS9_4plusIvEENS9_8equal_toIxEExEE10hipError_tPvRmT2_T3_T4_T5_mT6_T7_P12ihipStream_tbENKUlT_T0_E_clISt17integral_constantIbLb0EESZ_EEDaSU_SV_EUlSU_E_NS1_11comp_targetILNS1_3genE0ELNS1_11target_archE4294967295ELNS1_3gpuE0ELNS1_3repE0EEENS1_30default_config_static_selectorELNS0_4arch9wavefront6targetE0EEEvT1_
	.p2align	8
	.type	_ZN7rocprim17ROCPRIM_400000_NS6detail17trampoline_kernelINS0_14default_configENS1_27scan_by_key_config_selectorIxxEEZZNS1_16scan_by_key_implILNS1_25lookback_scan_determinismE0ELb0ES3_N6thrust23THRUST_200600_302600_NS6detail15normal_iteratorINS9_10device_ptrIxEEEESE_SE_xNS9_4plusIvEENS9_8equal_toIxEExEE10hipError_tPvRmT2_T3_T4_T5_mT6_T7_P12ihipStream_tbENKUlT_T0_E_clISt17integral_constantIbLb0EESZ_EEDaSU_SV_EUlSU_E_NS1_11comp_targetILNS1_3genE0ELNS1_11target_archE4294967295ELNS1_3gpuE0ELNS1_3repE0EEENS1_30default_config_static_selectorELNS0_4arch9wavefront6targetE0EEEvT1_,@function
_ZN7rocprim17ROCPRIM_400000_NS6detail17trampoline_kernelINS0_14default_configENS1_27scan_by_key_config_selectorIxxEEZZNS1_16scan_by_key_implILNS1_25lookback_scan_determinismE0ELb0ES3_N6thrust23THRUST_200600_302600_NS6detail15normal_iteratorINS9_10device_ptrIxEEEESE_SE_xNS9_4plusIvEENS9_8equal_toIxEExEE10hipError_tPvRmT2_T3_T4_T5_mT6_T7_P12ihipStream_tbENKUlT_T0_E_clISt17integral_constantIbLb0EESZ_EEDaSU_SV_EUlSU_E_NS1_11comp_targetILNS1_3genE0ELNS1_11target_archE4294967295ELNS1_3gpuE0ELNS1_3repE0EEENS1_30default_config_static_selectorELNS0_4arch9wavefront6targetE0EEEvT1_: ; @_ZN7rocprim17ROCPRIM_400000_NS6detail17trampoline_kernelINS0_14default_configENS1_27scan_by_key_config_selectorIxxEEZZNS1_16scan_by_key_implILNS1_25lookback_scan_determinismE0ELb0ES3_N6thrust23THRUST_200600_302600_NS6detail15normal_iteratorINS9_10device_ptrIxEEEESE_SE_xNS9_4plusIvEENS9_8equal_toIxEExEE10hipError_tPvRmT2_T3_T4_T5_mT6_T7_P12ihipStream_tbENKUlT_T0_E_clISt17integral_constantIbLb0EESZ_EEDaSU_SV_EUlSU_E_NS1_11comp_targetILNS1_3genE0ELNS1_11target_archE4294967295ELNS1_3gpuE0ELNS1_3repE0EEENS1_30default_config_static_selectorELNS0_4arch9wavefront6targetE0EEEvT1_
; %bb.0:
	.section	.rodata,"a",@progbits
	.p2align	6, 0x0
	.amdhsa_kernel _ZN7rocprim17ROCPRIM_400000_NS6detail17trampoline_kernelINS0_14default_configENS1_27scan_by_key_config_selectorIxxEEZZNS1_16scan_by_key_implILNS1_25lookback_scan_determinismE0ELb0ES3_N6thrust23THRUST_200600_302600_NS6detail15normal_iteratorINS9_10device_ptrIxEEEESE_SE_xNS9_4plusIvEENS9_8equal_toIxEExEE10hipError_tPvRmT2_T3_T4_T5_mT6_T7_P12ihipStream_tbENKUlT_T0_E_clISt17integral_constantIbLb0EESZ_EEDaSU_SV_EUlSU_E_NS1_11comp_targetILNS1_3genE0ELNS1_11target_archE4294967295ELNS1_3gpuE0ELNS1_3repE0EEENS1_30default_config_static_selectorELNS0_4arch9wavefront6targetE0EEEvT1_
		.amdhsa_group_segment_fixed_size 0
		.amdhsa_private_segment_fixed_size 0
		.amdhsa_kernarg_size 136
		.amdhsa_user_sgpr_count 6
		.amdhsa_user_sgpr_private_segment_buffer 1
		.amdhsa_user_sgpr_dispatch_ptr 0
		.amdhsa_user_sgpr_queue_ptr 0
		.amdhsa_user_sgpr_kernarg_segment_ptr 1
		.amdhsa_user_sgpr_dispatch_id 0
		.amdhsa_user_sgpr_flat_scratch_init 0
		.amdhsa_user_sgpr_private_segment_size 0
		.amdhsa_wavefront_size32 1
		.amdhsa_uses_dynamic_stack 0
		.amdhsa_system_sgpr_private_segment_wavefront_offset 0
		.amdhsa_system_sgpr_workgroup_id_x 1
		.amdhsa_system_sgpr_workgroup_id_y 0
		.amdhsa_system_sgpr_workgroup_id_z 0
		.amdhsa_system_sgpr_workgroup_info 0
		.amdhsa_system_vgpr_workitem_id 0
		.amdhsa_next_free_vgpr 1
		.amdhsa_next_free_sgpr 1
		.amdhsa_reserve_vcc 0
		.amdhsa_reserve_flat_scratch 0
		.amdhsa_float_round_mode_32 0
		.amdhsa_float_round_mode_16_64 0
		.amdhsa_float_denorm_mode_32 3
		.amdhsa_float_denorm_mode_16_64 3
		.amdhsa_dx10_clamp 1
		.amdhsa_ieee_mode 1
		.amdhsa_fp16_overflow 0
		.amdhsa_workgroup_processor_mode 1
		.amdhsa_memory_ordered 1
		.amdhsa_forward_progress 1
		.amdhsa_shared_vgpr_count 0
		.amdhsa_exception_fp_ieee_invalid_op 0
		.amdhsa_exception_fp_denorm_src 0
		.amdhsa_exception_fp_ieee_div_zero 0
		.amdhsa_exception_fp_ieee_overflow 0
		.amdhsa_exception_fp_ieee_underflow 0
		.amdhsa_exception_fp_ieee_inexact 0
		.amdhsa_exception_int_div_zero 0
	.end_amdhsa_kernel
	.section	.text._ZN7rocprim17ROCPRIM_400000_NS6detail17trampoline_kernelINS0_14default_configENS1_27scan_by_key_config_selectorIxxEEZZNS1_16scan_by_key_implILNS1_25lookback_scan_determinismE0ELb0ES3_N6thrust23THRUST_200600_302600_NS6detail15normal_iteratorINS9_10device_ptrIxEEEESE_SE_xNS9_4plusIvEENS9_8equal_toIxEExEE10hipError_tPvRmT2_T3_T4_T5_mT6_T7_P12ihipStream_tbENKUlT_T0_E_clISt17integral_constantIbLb0EESZ_EEDaSU_SV_EUlSU_E_NS1_11comp_targetILNS1_3genE0ELNS1_11target_archE4294967295ELNS1_3gpuE0ELNS1_3repE0EEENS1_30default_config_static_selectorELNS0_4arch9wavefront6targetE0EEEvT1_,"axG",@progbits,_ZN7rocprim17ROCPRIM_400000_NS6detail17trampoline_kernelINS0_14default_configENS1_27scan_by_key_config_selectorIxxEEZZNS1_16scan_by_key_implILNS1_25lookback_scan_determinismE0ELb0ES3_N6thrust23THRUST_200600_302600_NS6detail15normal_iteratorINS9_10device_ptrIxEEEESE_SE_xNS9_4plusIvEENS9_8equal_toIxEExEE10hipError_tPvRmT2_T3_T4_T5_mT6_T7_P12ihipStream_tbENKUlT_T0_E_clISt17integral_constantIbLb0EESZ_EEDaSU_SV_EUlSU_E_NS1_11comp_targetILNS1_3genE0ELNS1_11target_archE4294967295ELNS1_3gpuE0ELNS1_3repE0EEENS1_30default_config_static_selectorELNS0_4arch9wavefront6targetE0EEEvT1_,comdat
.Lfunc_end83:
	.size	_ZN7rocprim17ROCPRIM_400000_NS6detail17trampoline_kernelINS0_14default_configENS1_27scan_by_key_config_selectorIxxEEZZNS1_16scan_by_key_implILNS1_25lookback_scan_determinismE0ELb0ES3_N6thrust23THRUST_200600_302600_NS6detail15normal_iteratorINS9_10device_ptrIxEEEESE_SE_xNS9_4plusIvEENS9_8equal_toIxEExEE10hipError_tPvRmT2_T3_T4_T5_mT6_T7_P12ihipStream_tbENKUlT_T0_E_clISt17integral_constantIbLb0EESZ_EEDaSU_SV_EUlSU_E_NS1_11comp_targetILNS1_3genE0ELNS1_11target_archE4294967295ELNS1_3gpuE0ELNS1_3repE0EEENS1_30default_config_static_selectorELNS0_4arch9wavefront6targetE0EEEvT1_, .Lfunc_end83-_ZN7rocprim17ROCPRIM_400000_NS6detail17trampoline_kernelINS0_14default_configENS1_27scan_by_key_config_selectorIxxEEZZNS1_16scan_by_key_implILNS1_25lookback_scan_determinismE0ELb0ES3_N6thrust23THRUST_200600_302600_NS6detail15normal_iteratorINS9_10device_ptrIxEEEESE_SE_xNS9_4plusIvEENS9_8equal_toIxEExEE10hipError_tPvRmT2_T3_T4_T5_mT6_T7_P12ihipStream_tbENKUlT_T0_E_clISt17integral_constantIbLb0EESZ_EEDaSU_SV_EUlSU_E_NS1_11comp_targetILNS1_3genE0ELNS1_11target_archE4294967295ELNS1_3gpuE0ELNS1_3repE0EEENS1_30default_config_static_selectorELNS0_4arch9wavefront6targetE0EEEvT1_
                                        ; -- End function
	.set _ZN7rocprim17ROCPRIM_400000_NS6detail17trampoline_kernelINS0_14default_configENS1_27scan_by_key_config_selectorIxxEEZZNS1_16scan_by_key_implILNS1_25lookback_scan_determinismE0ELb0ES3_N6thrust23THRUST_200600_302600_NS6detail15normal_iteratorINS9_10device_ptrIxEEEESE_SE_xNS9_4plusIvEENS9_8equal_toIxEExEE10hipError_tPvRmT2_T3_T4_T5_mT6_T7_P12ihipStream_tbENKUlT_T0_E_clISt17integral_constantIbLb0EESZ_EEDaSU_SV_EUlSU_E_NS1_11comp_targetILNS1_3genE0ELNS1_11target_archE4294967295ELNS1_3gpuE0ELNS1_3repE0EEENS1_30default_config_static_selectorELNS0_4arch9wavefront6targetE0EEEvT1_.num_vgpr, 0
	.set _ZN7rocprim17ROCPRIM_400000_NS6detail17trampoline_kernelINS0_14default_configENS1_27scan_by_key_config_selectorIxxEEZZNS1_16scan_by_key_implILNS1_25lookback_scan_determinismE0ELb0ES3_N6thrust23THRUST_200600_302600_NS6detail15normal_iteratorINS9_10device_ptrIxEEEESE_SE_xNS9_4plusIvEENS9_8equal_toIxEExEE10hipError_tPvRmT2_T3_T4_T5_mT6_T7_P12ihipStream_tbENKUlT_T0_E_clISt17integral_constantIbLb0EESZ_EEDaSU_SV_EUlSU_E_NS1_11comp_targetILNS1_3genE0ELNS1_11target_archE4294967295ELNS1_3gpuE0ELNS1_3repE0EEENS1_30default_config_static_selectorELNS0_4arch9wavefront6targetE0EEEvT1_.num_agpr, 0
	.set _ZN7rocprim17ROCPRIM_400000_NS6detail17trampoline_kernelINS0_14default_configENS1_27scan_by_key_config_selectorIxxEEZZNS1_16scan_by_key_implILNS1_25lookback_scan_determinismE0ELb0ES3_N6thrust23THRUST_200600_302600_NS6detail15normal_iteratorINS9_10device_ptrIxEEEESE_SE_xNS9_4plusIvEENS9_8equal_toIxEExEE10hipError_tPvRmT2_T3_T4_T5_mT6_T7_P12ihipStream_tbENKUlT_T0_E_clISt17integral_constantIbLb0EESZ_EEDaSU_SV_EUlSU_E_NS1_11comp_targetILNS1_3genE0ELNS1_11target_archE4294967295ELNS1_3gpuE0ELNS1_3repE0EEENS1_30default_config_static_selectorELNS0_4arch9wavefront6targetE0EEEvT1_.numbered_sgpr, 0
	.set _ZN7rocprim17ROCPRIM_400000_NS6detail17trampoline_kernelINS0_14default_configENS1_27scan_by_key_config_selectorIxxEEZZNS1_16scan_by_key_implILNS1_25lookback_scan_determinismE0ELb0ES3_N6thrust23THRUST_200600_302600_NS6detail15normal_iteratorINS9_10device_ptrIxEEEESE_SE_xNS9_4plusIvEENS9_8equal_toIxEExEE10hipError_tPvRmT2_T3_T4_T5_mT6_T7_P12ihipStream_tbENKUlT_T0_E_clISt17integral_constantIbLb0EESZ_EEDaSU_SV_EUlSU_E_NS1_11comp_targetILNS1_3genE0ELNS1_11target_archE4294967295ELNS1_3gpuE0ELNS1_3repE0EEENS1_30default_config_static_selectorELNS0_4arch9wavefront6targetE0EEEvT1_.num_named_barrier, 0
	.set _ZN7rocprim17ROCPRIM_400000_NS6detail17trampoline_kernelINS0_14default_configENS1_27scan_by_key_config_selectorIxxEEZZNS1_16scan_by_key_implILNS1_25lookback_scan_determinismE0ELb0ES3_N6thrust23THRUST_200600_302600_NS6detail15normal_iteratorINS9_10device_ptrIxEEEESE_SE_xNS9_4plusIvEENS9_8equal_toIxEExEE10hipError_tPvRmT2_T3_T4_T5_mT6_T7_P12ihipStream_tbENKUlT_T0_E_clISt17integral_constantIbLb0EESZ_EEDaSU_SV_EUlSU_E_NS1_11comp_targetILNS1_3genE0ELNS1_11target_archE4294967295ELNS1_3gpuE0ELNS1_3repE0EEENS1_30default_config_static_selectorELNS0_4arch9wavefront6targetE0EEEvT1_.private_seg_size, 0
	.set _ZN7rocprim17ROCPRIM_400000_NS6detail17trampoline_kernelINS0_14default_configENS1_27scan_by_key_config_selectorIxxEEZZNS1_16scan_by_key_implILNS1_25lookback_scan_determinismE0ELb0ES3_N6thrust23THRUST_200600_302600_NS6detail15normal_iteratorINS9_10device_ptrIxEEEESE_SE_xNS9_4plusIvEENS9_8equal_toIxEExEE10hipError_tPvRmT2_T3_T4_T5_mT6_T7_P12ihipStream_tbENKUlT_T0_E_clISt17integral_constantIbLb0EESZ_EEDaSU_SV_EUlSU_E_NS1_11comp_targetILNS1_3genE0ELNS1_11target_archE4294967295ELNS1_3gpuE0ELNS1_3repE0EEENS1_30default_config_static_selectorELNS0_4arch9wavefront6targetE0EEEvT1_.uses_vcc, 0
	.set _ZN7rocprim17ROCPRIM_400000_NS6detail17trampoline_kernelINS0_14default_configENS1_27scan_by_key_config_selectorIxxEEZZNS1_16scan_by_key_implILNS1_25lookback_scan_determinismE0ELb0ES3_N6thrust23THRUST_200600_302600_NS6detail15normal_iteratorINS9_10device_ptrIxEEEESE_SE_xNS9_4plusIvEENS9_8equal_toIxEExEE10hipError_tPvRmT2_T3_T4_T5_mT6_T7_P12ihipStream_tbENKUlT_T0_E_clISt17integral_constantIbLb0EESZ_EEDaSU_SV_EUlSU_E_NS1_11comp_targetILNS1_3genE0ELNS1_11target_archE4294967295ELNS1_3gpuE0ELNS1_3repE0EEENS1_30default_config_static_selectorELNS0_4arch9wavefront6targetE0EEEvT1_.uses_flat_scratch, 0
	.set _ZN7rocprim17ROCPRIM_400000_NS6detail17trampoline_kernelINS0_14default_configENS1_27scan_by_key_config_selectorIxxEEZZNS1_16scan_by_key_implILNS1_25lookback_scan_determinismE0ELb0ES3_N6thrust23THRUST_200600_302600_NS6detail15normal_iteratorINS9_10device_ptrIxEEEESE_SE_xNS9_4plusIvEENS9_8equal_toIxEExEE10hipError_tPvRmT2_T3_T4_T5_mT6_T7_P12ihipStream_tbENKUlT_T0_E_clISt17integral_constantIbLb0EESZ_EEDaSU_SV_EUlSU_E_NS1_11comp_targetILNS1_3genE0ELNS1_11target_archE4294967295ELNS1_3gpuE0ELNS1_3repE0EEENS1_30default_config_static_selectorELNS0_4arch9wavefront6targetE0EEEvT1_.has_dyn_sized_stack, 0
	.set _ZN7rocprim17ROCPRIM_400000_NS6detail17trampoline_kernelINS0_14default_configENS1_27scan_by_key_config_selectorIxxEEZZNS1_16scan_by_key_implILNS1_25lookback_scan_determinismE0ELb0ES3_N6thrust23THRUST_200600_302600_NS6detail15normal_iteratorINS9_10device_ptrIxEEEESE_SE_xNS9_4plusIvEENS9_8equal_toIxEExEE10hipError_tPvRmT2_T3_T4_T5_mT6_T7_P12ihipStream_tbENKUlT_T0_E_clISt17integral_constantIbLb0EESZ_EEDaSU_SV_EUlSU_E_NS1_11comp_targetILNS1_3genE0ELNS1_11target_archE4294967295ELNS1_3gpuE0ELNS1_3repE0EEENS1_30default_config_static_selectorELNS0_4arch9wavefront6targetE0EEEvT1_.has_recursion, 0
	.set _ZN7rocprim17ROCPRIM_400000_NS6detail17trampoline_kernelINS0_14default_configENS1_27scan_by_key_config_selectorIxxEEZZNS1_16scan_by_key_implILNS1_25lookback_scan_determinismE0ELb0ES3_N6thrust23THRUST_200600_302600_NS6detail15normal_iteratorINS9_10device_ptrIxEEEESE_SE_xNS9_4plusIvEENS9_8equal_toIxEExEE10hipError_tPvRmT2_T3_T4_T5_mT6_T7_P12ihipStream_tbENKUlT_T0_E_clISt17integral_constantIbLb0EESZ_EEDaSU_SV_EUlSU_E_NS1_11comp_targetILNS1_3genE0ELNS1_11target_archE4294967295ELNS1_3gpuE0ELNS1_3repE0EEENS1_30default_config_static_selectorELNS0_4arch9wavefront6targetE0EEEvT1_.has_indirect_call, 0
	.section	.AMDGPU.csdata,"",@progbits
; Kernel info:
; codeLenInByte = 0
; TotalNumSgprs: 0
; NumVgprs: 0
; ScratchSize: 0
; MemoryBound: 0
; FloatMode: 240
; IeeeMode: 1
; LDSByteSize: 0 bytes/workgroup (compile time only)
; SGPRBlocks: 0
; VGPRBlocks: 0
; NumSGPRsForWavesPerEU: 1
; NumVGPRsForWavesPerEU: 1
; Occupancy: 16
; WaveLimiterHint : 0
; COMPUTE_PGM_RSRC2:SCRATCH_EN: 0
; COMPUTE_PGM_RSRC2:USER_SGPR: 6
; COMPUTE_PGM_RSRC2:TRAP_HANDLER: 0
; COMPUTE_PGM_RSRC2:TGID_X_EN: 1
; COMPUTE_PGM_RSRC2:TGID_Y_EN: 0
; COMPUTE_PGM_RSRC2:TGID_Z_EN: 0
; COMPUTE_PGM_RSRC2:TIDIG_COMP_CNT: 0
	.section	.text._ZN7rocprim17ROCPRIM_400000_NS6detail17trampoline_kernelINS0_14default_configENS1_27scan_by_key_config_selectorIxxEEZZNS1_16scan_by_key_implILNS1_25lookback_scan_determinismE0ELb0ES3_N6thrust23THRUST_200600_302600_NS6detail15normal_iteratorINS9_10device_ptrIxEEEESE_SE_xNS9_4plusIvEENS9_8equal_toIxEExEE10hipError_tPvRmT2_T3_T4_T5_mT6_T7_P12ihipStream_tbENKUlT_T0_E_clISt17integral_constantIbLb0EESZ_EEDaSU_SV_EUlSU_E_NS1_11comp_targetILNS1_3genE10ELNS1_11target_archE1201ELNS1_3gpuE5ELNS1_3repE0EEENS1_30default_config_static_selectorELNS0_4arch9wavefront6targetE0EEEvT1_,"axG",@progbits,_ZN7rocprim17ROCPRIM_400000_NS6detail17trampoline_kernelINS0_14default_configENS1_27scan_by_key_config_selectorIxxEEZZNS1_16scan_by_key_implILNS1_25lookback_scan_determinismE0ELb0ES3_N6thrust23THRUST_200600_302600_NS6detail15normal_iteratorINS9_10device_ptrIxEEEESE_SE_xNS9_4plusIvEENS9_8equal_toIxEExEE10hipError_tPvRmT2_T3_T4_T5_mT6_T7_P12ihipStream_tbENKUlT_T0_E_clISt17integral_constantIbLb0EESZ_EEDaSU_SV_EUlSU_E_NS1_11comp_targetILNS1_3genE10ELNS1_11target_archE1201ELNS1_3gpuE5ELNS1_3repE0EEENS1_30default_config_static_selectorELNS0_4arch9wavefront6targetE0EEEvT1_,comdat
	.protected	_ZN7rocprim17ROCPRIM_400000_NS6detail17trampoline_kernelINS0_14default_configENS1_27scan_by_key_config_selectorIxxEEZZNS1_16scan_by_key_implILNS1_25lookback_scan_determinismE0ELb0ES3_N6thrust23THRUST_200600_302600_NS6detail15normal_iteratorINS9_10device_ptrIxEEEESE_SE_xNS9_4plusIvEENS9_8equal_toIxEExEE10hipError_tPvRmT2_T3_T4_T5_mT6_T7_P12ihipStream_tbENKUlT_T0_E_clISt17integral_constantIbLb0EESZ_EEDaSU_SV_EUlSU_E_NS1_11comp_targetILNS1_3genE10ELNS1_11target_archE1201ELNS1_3gpuE5ELNS1_3repE0EEENS1_30default_config_static_selectorELNS0_4arch9wavefront6targetE0EEEvT1_ ; -- Begin function _ZN7rocprim17ROCPRIM_400000_NS6detail17trampoline_kernelINS0_14default_configENS1_27scan_by_key_config_selectorIxxEEZZNS1_16scan_by_key_implILNS1_25lookback_scan_determinismE0ELb0ES3_N6thrust23THRUST_200600_302600_NS6detail15normal_iteratorINS9_10device_ptrIxEEEESE_SE_xNS9_4plusIvEENS9_8equal_toIxEExEE10hipError_tPvRmT2_T3_T4_T5_mT6_T7_P12ihipStream_tbENKUlT_T0_E_clISt17integral_constantIbLb0EESZ_EEDaSU_SV_EUlSU_E_NS1_11comp_targetILNS1_3genE10ELNS1_11target_archE1201ELNS1_3gpuE5ELNS1_3repE0EEENS1_30default_config_static_selectorELNS0_4arch9wavefront6targetE0EEEvT1_
	.globl	_ZN7rocprim17ROCPRIM_400000_NS6detail17trampoline_kernelINS0_14default_configENS1_27scan_by_key_config_selectorIxxEEZZNS1_16scan_by_key_implILNS1_25lookback_scan_determinismE0ELb0ES3_N6thrust23THRUST_200600_302600_NS6detail15normal_iteratorINS9_10device_ptrIxEEEESE_SE_xNS9_4plusIvEENS9_8equal_toIxEExEE10hipError_tPvRmT2_T3_T4_T5_mT6_T7_P12ihipStream_tbENKUlT_T0_E_clISt17integral_constantIbLb0EESZ_EEDaSU_SV_EUlSU_E_NS1_11comp_targetILNS1_3genE10ELNS1_11target_archE1201ELNS1_3gpuE5ELNS1_3repE0EEENS1_30default_config_static_selectorELNS0_4arch9wavefront6targetE0EEEvT1_
	.p2align	8
	.type	_ZN7rocprim17ROCPRIM_400000_NS6detail17trampoline_kernelINS0_14default_configENS1_27scan_by_key_config_selectorIxxEEZZNS1_16scan_by_key_implILNS1_25lookback_scan_determinismE0ELb0ES3_N6thrust23THRUST_200600_302600_NS6detail15normal_iteratorINS9_10device_ptrIxEEEESE_SE_xNS9_4plusIvEENS9_8equal_toIxEExEE10hipError_tPvRmT2_T3_T4_T5_mT6_T7_P12ihipStream_tbENKUlT_T0_E_clISt17integral_constantIbLb0EESZ_EEDaSU_SV_EUlSU_E_NS1_11comp_targetILNS1_3genE10ELNS1_11target_archE1201ELNS1_3gpuE5ELNS1_3repE0EEENS1_30default_config_static_selectorELNS0_4arch9wavefront6targetE0EEEvT1_,@function
_ZN7rocprim17ROCPRIM_400000_NS6detail17trampoline_kernelINS0_14default_configENS1_27scan_by_key_config_selectorIxxEEZZNS1_16scan_by_key_implILNS1_25lookback_scan_determinismE0ELb0ES3_N6thrust23THRUST_200600_302600_NS6detail15normal_iteratorINS9_10device_ptrIxEEEESE_SE_xNS9_4plusIvEENS9_8equal_toIxEExEE10hipError_tPvRmT2_T3_T4_T5_mT6_T7_P12ihipStream_tbENKUlT_T0_E_clISt17integral_constantIbLb0EESZ_EEDaSU_SV_EUlSU_E_NS1_11comp_targetILNS1_3genE10ELNS1_11target_archE1201ELNS1_3gpuE5ELNS1_3repE0EEENS1_30default_config_static_selectorELNS0_4arch9wavefront6targetE0EEEvT1_: ; @_ZN7rocprim17ROCPRIM_400000_NS6detail17trampoline_kernelINS0_14default_configENS1_27scan_by_key_config_selectorIxxEEZZNS1_16scan_by_key_implILNS1_25lookback_scan_determinismE0ELb0ES3_N6thrust23THRUST_200600_302600_NS6detail15normal_iteratorINS9_10device_ptrIxEEEESE_SE_xNS9_4plusIvEENS9_8equal_toIxEExEE10hipError_tPvRmT2_T3_T4_T5_mT6_T7_P12ihipStream_tbENKUlT_T0_E_clISt17integral_constantIbLb0EESZ_EEDaSU_SV_EUlSU_E_NS1_11comp_targetILNS1_3genE10ELNS1_11target_archE1201ELNS1_3gpuE5ELNS1_3repE0EEENS1_30default_config_static_selectorELNS0_4arch9wavefront6targetE0EEEvT1_
; %bb.0:
	.section	.rodata,"a",@progbits
	.p2align	6, 0x0
	.amdhsa_kernel _ZN7rocprim17ROCPRIM_400000_NS6detail17trampoline_kernelINS0_14default_configENS1_27scan_by_key_config_selectorIxxEEZZNS1_16scan_by_key_implILNS1_25lookback_scan_determinismE0ELb0ES3_N6thrust23THRUST_200600_302600_NS6detail15normal_iteratorINS9_10device_ptrIxEEEESE_SE_xNS9_4plusIvEENS9_8equal_toIxEExEE10hipError_tPvRmT2_T3_T4_T5_mT6_T7_P12ihipStream_tbENKUlT_T0_E_clISt17integral_constantIbLb0EESZ_EEDaSU_SV_EUlSU_E_NS1_11comp_targetILNS1_3genE10ELNS1_11target_archE1201ELNS1_3gpuE5ELNS1_3repE0EEENS1_30default_config_static_selectorELNS0_4arch9wavefront6targetE0EEEvT1_
		.amdhsa_group_segment_fixed_size 0
		.amdhsa_private_segment_fixed_size 0
		.amdhsa_kernarg_size 136
		.amdhsa_user_sgpr_count 6
		.amdhsa_user_sgpr_private_segment_buffer 1
		.amdhsa_user_sgpr_dispatch_ptr 0
		.amdhsa_user_sgpr_queue_ptr 0
		.amdhsa_user_sgpr_kernarg_segment_ptr 1
		.amdhsa_user_sgpr_dispatch_id 0
		.amdhsa_user_sgpr_flat_scratch_init 0
		.amdhsa_user_sgpr_private_segment_size 0
		.amdhsa_wavefront_size32 1
		.amdhsa_uses_dynamic_stack 0
		.amdhsa_system_sgpr_private_segment_wavefront_offset 0
		.amdhsa_system_sgpr_workgroup_id_x 1
		.amdhsa_system_sgpr_workgroup_id_y 0
		.amdhsa_system_sgpr_workgroup_id_z 0
		.amdhsa_system_sgpr_workgroup_info 0
		.amdhsa_system_vgpr_workitem_id 0
		.amdhsa_next_free_vgpr 1
		.amdhsa_next_free_sgpr 1
		.amdhsa_reserve_vcc 0
		.amdhsa_reserve_flat_scratch 0
		.amdhsa_float_round_mode_32 0
		.amdhsa_float_round_mode_16_64 0
		.amdhsa_float_denorm_mode_32 3
		.amdhsa_float_denorm_mode_16_64 3
		.amdhsa_dx10_clamp 1
		.amdhsa_ieee_mode 1
		.amdhsa_fp16_overflow 0
		.amdhsa_workgroup_processor_mode 1
		.amdhsa_memory_ordered 1
		.amdhsa_forward_progress 1
		.amdhsa_shared_vgpr_count 0
		.amdhsa_exception_fp_ieee_invalid_op 0
		.amdhsa_exception_fp_denorm_src 0
		.amdhsa_exception_fp_ieee_div_zero 0
		.amdhsa_exception_fp_ieee_overflow 0
		.amdhsa_exception_fp_ieee_underflow 0
		.amdhsa_exception_fp_ieee_inexact 0
		.amdhsa_exception_int_div_zero 0
	.end_amdhsa_kernel
	.section	.text._ZN7rocprim17ROCPRIM_400000_NS6detail17trampoline_kernelINS0_14default_configENS1_27scan_by_key_config_selectorIxxEEZZNS1_16scan_by_key_implILNS1_25lookback_scan_determinismE0ELb0ES3_N6thrust23THRUST_200600_302600_NS6detail15normal_iteratorINS9_10device_ptrIxEEEESE_SE_xNS9_4plusIvEENS9_8equal_toIxEExEE10hipError_tPvRmT2_T3_T4_T5_mT6_T7_P12ihipStream_tbENKUlT_T0_E_clISt17integral_constantIbLb0EESZ_EEDaSU_SV_EUlSU_E_NS1_11comp_targetILNS1_3genE10ELNS1_11target_archE1201ELNS1_3gpuE5ELNS1_3repE0EEENS1_30default_config_static_selectorELNS0_4arch9wavefront6targetE0EEEvT1_,"axG",@progbits,_ZN7rocprim17ROCPRIM_400000_NS6detail17trampoline_kernelINS0_14default_configENS1_27scan_by_key_config_selectorIxxEEZZNS1_16scan_by_key_implILNS1_25lookback_scan_determinismE0ELb0ES3_N6thrust23THRUST_200600_302600_NS6detail15normal_iteratorINS9_10device_ptrIxEEEESE_SE_xNS9_4plusIvEENS9_8equal_toIxEExEE10hipError_tPvRmT2_T3_T4_T5_mT6_T7_P12ihipStream_tbENKUlT_T0_E_clISt17integral_constantIbLb0EESZ_EEDaSU_SV_EUlSU_E_NS1_11comp_targetILNS1_3genE10ELNS1_11target_archE1201ELNS1_3gpuE5ELNS1_3repE0EEENS1_30default_config_static_selectorELNS0_4arch9wavefront6targetE0EEEvT1_,comdat
.Lfunc_end84:
	.size	_ZN7rocprim17ROCPRIM_400000_NS6detail17trampoline_kernelINS0_14default_configENS1_27scan_by_key_config_selectorIxxEEZZNS1_16scan_by_key_implILNS1_25lookback_scan_determinismE0ELb0ES3_N6thrust23THRUST_200600_302600_NS6detail15normal_iteratorINS9_10device_ptrIxEEEESE_SE_xNS9_4plusIvEENS9_8equal_toIxEExEE10hipError_tPvRmT2_T3_T4_T5_mT6_T7_P12ihipStream_tbENKUlT_T0_E_clISt17integral_constantIbLb0EESZ_EEDaSU_SV_EUlSU_E_NS1_11comp_targetILNS1_3genE10ELNS1_11target_archE1201ELNS1_3gpuE5ELNS1_3repE0EEENS1_30default_config_static_selectorELNS0_4arch9wavefront6targetE0EEEvT1_, .Lfunc_end84-_ZN7rocprim17ROCPRIM_400000_NS6detail17trampoline_kernelINS0_14default_configENS1_27scan_by_key_config_selectorIxxEEZZNS1_16scan_by_key_implILNS1_25lookback_scan_determinismE0ELb0ES3_N6thrust23THRUST_200600_302600_NS6detail15normal_iteratorINS9_10device_ptrIxEEEESE_SE_xNS9_4plusIvEENS9_8equal_toIxEExEE10hipError_tPvRmT2_T3_T4_T5_mT6_T7_P12ihipStream_tbENKUlT_T0_E_clISt17integral_constantIbLb0EESZ_EEDaSU_SV_EUlSU_E_NS1_11comp_targetILNS1_3genE10ELNS1_11target_archE1201ELNS1_3gpuE5ELNS1_3repE0EEENS1_30default_config_static_selectorELNS0_4arch9wavefront6targetE0EEEvT1_
                                        ; -- End function
	.set _ZN7rocprim17ROCPRIM_400000_NS6detail17trampoline_kernelINS0_14default_configENS1_27scan_by_key_config_selectorIxxEEZZNS1_16scan_by_key_implILNS1_25lookback_scan_determinismE0ELb0ES3_N6thrust23THRUST_200600_302600_NS6detail15normal_iteratorINS9_10device_ptrIxEEEESE_SE_xNS9_4plusIvEENS9_8equal_toIxEExEE10hipError_tPvRmT2_T3_T4_T5_mT6_T7_P12ihipStream_tbENKUlT_T0_E_clISt17integral_constantIbLb0EESZ_EEDaSU_SV_EUlSU_E_NS1_11comp_targetILNS1_3genE10ELNS1_11target_archE1201ELNS1_3gpuE5ELNS1_3repE0EEENS1_30default_config_static_selectorELNS0_4arch9wavefront6targetE0EEEvT1_.num_vgpr, 0
	.set _ZN7rocprim17ROCPRIM_400000_NS6detail17trampoline_kernelINS0_14default_configENS1_27scan_by_key_config_selectorIxxEEZZNS1_16scan_by_key_implILNS1_25lookback_scan_determinismE0ELb0ES3_N6thrust23THRUST_200600_302600_NS6detail15normal_iteratorINS9_10device_ptrIxEEEESE_SE_xNS9_4plusIvEENS9_8equal_toIxEExEE10hipError_tPvRmT2_T3_T4_T5_mT6_T7_P12ihipStream_tbENKUlT_T0_E_clISt17integral_constantIbLb0EESZ_EEDaSU_SV_EUlSU_E_NS1_11comp_targetILNS1_3genE10ELNS1_11target_archE1201ELNS1_3gpuE5ELNS1_3repE0EEENS1_30default_config_static_selectorELNS0_4arch9wavefront6targetE0EEEvT1_.num_agpr, 0
	.set _ZN7rocprim17ROCPRIM_400000_NS6detail17trampoline_kernelINS0_14default_configENS1_27scan_by_key_config_selectorIxxEEZZNS1_16scan_by_key_implILNS1_25lookback_scan_determinismE0ELb0ES3_N6thrust23THRUST_200600_302600_NS6detail15normal_iteratorINS9_10device_ptrIxEEEESE_SE_xNS9_4plusIvEENS9_8equal_toIxEExEE10hipError_tPvRmT2_T3_T4_T5_mT6_T7_P12ihipStream_tbENKUlT_T0_E_clISt17integral_constantIbLb0EESZ_EEDaSU_SV_EUlSU_E_NS1_11comp_targetILNS1_3genE10ELNS1_11target_archE1201ELNS1_3gpuE5ELNS1_3repE0EEENS1_30default_config_static_selectorELNS0_4arch9wavefront6targetE0EEEvT1_.numbered_sgpr, 0
	.set _ZN7rocprim17ROCPRIM_400000_NS6detail17trampoline_kernelINS0_14default_configENS1_27scan_by_key_config_selectorIxxEEZZNS1_16scan_by_key_implILNS1_25lookback_scan_determinismE0ELb0ES3_N6thrust23THRUST_200600_302600_NS6detail15normal_iteratorINS9_10device_ptrIxEEEESE_SE_xNS9_4plusIvEENS9_8equal_toIxEExEE10hipError_tPvRmT2_T3_T4_T5_mT6_T7_P12ihipStream_tbENKUlT_T0_E_clISt17integral_constantIbLb0EESZ_EEDaSU_SV_EUlSU_E_NS1_11comp_targetILNS1_3genE10ELNS1_11target_archE1201ELNS1_3gpuE5ELNS1_3repE0EEENS1_30default_config_static_selectorELNS0_4arch9wavefront6targetE0EEEvT1_.num_named_barrier, 0
	.set _ZN7rocprim17ROCPRIM_400000_NS6detail17trampoline_kernelINS0_14default_configENS1_27scan_by_key_config_selectorIxxEEZZNS1_16scan_by_key_implILNS1_25lookback_scan_determinismE0ELb0ES3_N6thrust23THRUST_200600_302600_NS6detail15normal_iteratorINS9_10device_ptrIxEEEESE_SE_xNS9_4plusIvEENS9_8equal_toIxEExEE10hipError_tPvRmT2_T3_T4_T5_mT6_T7_P12ihipStream_tbENKUlT_T0_E_clISt17integral_constantIbLb0EESZ_EEDaSU_SV_EUlSU_E_NS1_11comp_targetILNS1_3genE10ELNS1_11target_archE1201ELNS1_3gpuE5ELNS1_3repE0EEENS1_30default_config_static_selectorELNS0_4arch9wavefront6targetE0EEEvT1_.private_seg_size, 0
	.set _ZN7rocprim17ROCPRIM_400000_NS6detail17trampoline_kernelINS0_14default_configENS1_27scan_by_key_config_selectorIxxEEZZNS1_16scan_by_key_implILNS1_25lookback_scan_determinismE0ELb0ES3_N6thrust23THRUST_200600_302600_NS6detail15normal_iteratorINS9_10device_ptrIxEEEESE_SE_xNS9_4plusIvEENS9_8equal_toIxEExEE10hipError_tPvRmT2_T3_T4_T5_mT6_T7_P12ihipStream_tbENKUlT_T0_E_clISt17integral_constantIbLb0EESZ_EEDaSU_SV_EUlSU_E_NS1_11comp_targetILNS1_3genE10ELNS1_11target_archE1201ELNS1_3gpuE5ELNS1_3repE0EEENS1_30default_config_static_selectorELNS0_4arch9wavefront6targetE0EEEvT1_.uses_vcc, 0
	.set _ZN7rocprim17ROCPRIM_400000_NS6detail17trampoline_kernelINS0_14default_configENS1_27scan_by_key_config_selectorIxxEEZZNS1_16scan_by_key_implILNS1_25lookback_scan_determinismE0ELb0ES3_N6thrust23THRUST_200600_302600_NS6detail15normal_iteratorINS9_10device_ptrIxEEEESE_SE_xNS9_4plusIvEENS9_8equal_toIxEExEE10hipError_tPvRmT2_T3_T4_T5_mT6_T7_P12ihipStream_tbENKUlT_T0_E_clISt17integral_constantIbLb0EESZ_EEDaSU_SV_EUlSU_E_NS1_11comp_targetILNS1_3genE10ELNS1_11target_archE1201ELNS1_3gpuE5ELNS1_3repE0EEENS1_30default_config_static_selectorELNS0_4arch9wavefront6targetE0EEEvT1_.uses_flat_scratch, 0
	.set _ZN7rocprim17ROCPRIM_400000_NS6detail17trampoline_kernelINS0_14default_configENS1_27scan_by_key_config_selectorIxxEEZZNS1_16scan_by_key_implILNS1_25lookback_scan_determinismE0ELb0ES3_N6thrust23THRUST_200600_302600_NS6detail15normal_iteratorINS9_10device_ptrIxEEEESE_SE_xNS9_4plusIvEENS9_8equal_toIxEExEE10hipError_tPvRmT2_T3_T4_T5_mT6_T7_P12ihipStream_tbENKUlT_T0_E_clISt17integral_constantIbLb0EESZ_EEDaSU_SV_EUlSU_E_NS1_11comp_targetILNS1_3genE10ELNS1_11target_archE1201ELNS1_3gpuE5ELNS1_3repE0EEENS1_30default_config_static_selectorELNS0_4arch9wavefront6targetE0EEEvT1_.has_dyn_sized_stack, 0
	.set _ZN7rocprim17ROCPRIM_400000_NS6detail17trampoline_kernelINS0_14default_configENS1_27scan_by_key_config_selectorIxxEEZZNS1_16scan_by_key_implILNS1_25lookback_scan_determinismE0ELb0ES3_N6thrust23THRUST_200600_302600_NS6detail15normal_iteratorINS9_10device_ptrIxEEEESE_SE_xNS9_4plusIvEENS9_8equal_toIxEExEE10hipError_tPvRmT2_T3_T4_T5_mT6_T7_P12ihipStream_tbENKUlT_T0_E_clISt17integral_constantIbLb0EESZ_EEDaSU_SV_EUlSU_E_NS1_11comp_targetILNS1_3genE10ELNS1_11target_archE1201ELNS1_3gpuE5ELNS1_3repE0EEENS1_30default_config_static_selectorELNS0_4arch9wavefront6targetE0EEEvT1_.has_recursion, 0
	.set _ZN7rocprim17ROCPRIM_400000_NS6detail17trampoline_kernelINS0_14default_configENS1_27scan_by_key_config_selectorIxxEEZZNS1_16scan_by_key_implILNS1_25lookback_scan_determinismE0ELb0ES3_N6thrust23THRUST_200600_302600_NS6detail15normal_iteratorINS9_10device_ptrIxEEEESE_SE_xNS9_4plusIvEENS9_8equal_toIxEExEE10hipError_tPvRmT2_T3_T4_T5_mT6_T7_P12ihipStream_tbENKUlT_T0_E_clISt17integral_constantIbLb0EESZ_EEDaSU_SV_EUlSU_E_NS1_11comp_targetILNS1_3genE10ELNS1_11target_archE1201ELNS1_3gpuE5ELNS1_3repE0EEENS1_30default_config_static_selectorELNS0_4arch9wavefront6targetE0EEEvT1_.has_indirect_call, 0
	.section	.AMDGPU.csdata,"",@progbits
; Kernel info:
; codeLenInByte = 0
; TotalNumSgprs: 0
; NumVgprs: 0
; ScratchSize: 0
; MemoryBound: 0
; FloatMode: 240
; IeeeMode: 1
; LDSByteSize: 0 bytes/workgroup (compile time only)
; SGPRBlocks: 0
; VGPRBlocks: 0
; NumSGPRsForWavesPerEU: 1
; NumVGPRsForWavesPerEU: 1
; Occupancy: 16
; WaveLimiterHint : 0
; COMPUTE_PGM_RSRC2:SCRATCH_EN: 0
; COMPUTE_PGM_RSRC2:USER_SGPR: 6
; COMPUTE_PGM_RSRC2:TRAP_HANDLER: 0
; COMPUTE_PGM_RSRC2:TGID_X_EN: 1
; COMPUTE_PGM_RSRC2:TGID_Y_EN: 0
; COMPUTE_PGM_RSRC2:TGID_Z_EN: 0
; COMPUTE_PGM_RSRC2:TIDIG_COMP_CNT: 0
	.section	.text._ZN7rocprim17ROCPRIM_400000_NS6detail17trampoline_kernelINS0_14default_configENS1_27scan_by_key_config_selectorIxxEEZZNS1_16scan_by_key_implILNS1_25lookback_scan_determinismE0ELb0ES3_N6thrust23THRUST_200600_302600_NS6detail15normal_iteratorINS9_10device_ptrIxEEEESE_SE_xNS9_4plusIvEENS9_8equal_toIxEExEE10hipError_tPvRmT2_T3_T4_T5_mT6_T7_P12ihipStream_tbENKUlT_T0_E_clISt17integral_constantIbLb0EESZ_EEDaSU_SV_EUlSU_E_NS1_11comp_targetILNS1_3genE5ELNS1_11target_archE942ELNS1_3gpuE9ELNS1_3repE0EEENS1_30default_config_static_selectorELNS0_4arch9wavefront6targetE0EEEvT1_,"axG",@progbits,_ZN7rocprim17ROCPRIM_400000_NS6detail17trampoline_kernelINS0_14default_configENS1_27scan_by_key_config_selectorIxxEEZZNS1_16scan_by_key_implILNS1_25lookback_scan_determinismE0ELb0ES3_N6thrust23THRUST_200600_302600_NS6detail15normal_iteratorINS9_10device_ptrIxEEEESE_SE_xNS9_4plusIvEENS9_8equal_toIxEExEE10hipError_tPvRmT2_T3_T4_T5_mT6_T7_P12ihipStream_tbENKUlT_T0_E_clISt17integral_constantIbLb0EESZ_EEDaSU_SV_EUlSU_E_NS1_11comp_targetILNS1_3genE5ELNS1_11target_archE942ELNS1_3gpuE9ELNS1_3repE0EEENS1_30default_config_static_selectorELNS0_4arch9wavefront6targetE0EEEvT1_,comdat
	.protected	_ZN7rocprim17ROCPRIM_400000_NS6detail17trampoline_kernelINS0_14default_configENS1_27scan_by_key_config_selectorIxxEEZZNS1_16scan_by_key_implILNS1_25lookback_scan_determinismE0ELb0ES3_N6thrust23THRUST_200600_302600_NS6detail15normal_iteratorINS9_10device_ptrIxEEEESE_SE_xNS9_4plusIvEENS9_8equal_toIxEExEE10hipError_tPvRmT2_T3_T4_T5_mT6_T7_P12ihipStream_tbENKUlT_T0_E_clISt17integral_constantIbLb0EESZ_EEDaSU_SV_EUlSU_E_NS1_11comp_targetILNS1_3genE5ELNS1_11target_archE942ELNS1_3gpuE9ELNS1_3repE0EEENS1_30default_config_static_selectorELNS0_4arch9wavefront6targetE0EEEvT1_ ; -- Begin function _ZN7rocprim17ROCPRIM_400000_NS6detail17trampoline_kernelINS0_14default_configENS1_27scan_by_key_config_selectorIxxEEZZNS1_16scan_by_key_implILNS1_25lookback_scan_determinismE0ELb0ES3_N6thrust23THRUST_200600_302600_NS6detail15normal_iteratorINS9_10device_ptrIxEEEESE_SE_xNS9_4plusIvEENS9_8equal_toIxEExEE10hipError_tPvRmT2_T3_T4_T5_mT6_T7_P12ihipStream_tbENKUlT_T0_E_clISt17integral_constantIbLb0EESZ_EEDaSU_SV_EUlSU_E_NS1_11comp_targetILNS1_3genE5ELNS1_11target_archE942ELNS1_3gpuE9ELNS1_3repE0EEENS1_30default_config_static_selectorELNS0_4arch9wavefront6targetE0EEEvT1_
	.globl	_ZN7rocprim17ROCPRIM_400000_NS6detail17trampoline_kernelINS0_14default_configENS1_27scan_by_key_config_selectorIxxEEZZNS1_16scan_by_key_implILNS1_25lookback_scan_determinismE0ELb0ES3_N6thrust23THRUST_200600_302600_NS6detail15normal_iteratorINS9_10device_ptrIxEEEESE_SE_xNS9_4plusIvEENS9_8equal_toIxEExEE10hipError_tPvRmT2_T3_T4_T5_mT6_T7_P12ihipStream_tbENKUlT_T0_E_clISt17integral_constantIbLb0EESZ_EEDaSU_SV_EUlSU_E_NS1_11comp_targetILNS1_3genE5ELNS1_11target_archE942ELNS1_3gpuE9ELNS1_3repE0EEENS1_30default_config_static_selectorELNS0_4arch9wavefront6targetE0EEEvT1_
	.p2align	8
	.type	_ZN7rocprim17ROCPRIM_400000_NS6detail17trampoline_kernelINS0_14default_configENS1_27scan_by_key_config_selectorIxxEEZZNS1_16scan_by_key_implILNS1_25lookback_scan_determinismE0ELb0ES3_N6thrust23THRUST_200600_302600_NS6detail15normal_iteratorINS9_10device_ptrIxEEEESE_SE_xNS9_4plusIvEENS9_8equal_toIxEExEE10hipError_tPvRmT2_T3_T4_T5_mT6_T7_P12ihipStream_tbENKUlT_T0_E_clISt17integral_constantIbLb0EESZ_EEDaSU_SV_EUlSU_E_NS1_11comp_targetILNS1_3genE5ELNS1_11target_archE942ELNS1_3gpuE9ELNS1_3repE0EEENS1_30default_config_static_selectorELNS0_4arch9wavefront6targetE0EEEvT1_,@function
_ZN7rocprim17ROCPRIM_400000_NS6detail17trampoline_kernelINS0_14default_configENS1_27scan_by_key_config_selectorIxxEEZZNS1_16scan_by_key_implILNS1_25lookback_scan_determinismE0ELb0ES3_N6thrust23THRUST_200600_302600_NS6detail15normal_iteratorINS9_10device_ptrIxEEEESE_SE_xNS9_4plusIvEENS9_8equal_toIxEExEE10hipError_tPvRmT2_T3_T4_T5_mT6_T7_P12ihipStream_tbENKUlT_T0_E_clISt17integral_constantIbLb0EESZ_EEDaSU_SV_EUlSU_E_NS1_11comp_targetILNS1_3genE5ELNS1_11target_archE942ELNS1_3gpuE9ELNS1_3repE0EEENS1_30default_config_static_selectorELNS0_4arch9wavefront6targetE0EEEvT1_: ; @_ZN7rocprim17ROCPRIM_400000_NS6detail17trampoline_kernelINS0_14default_configENS1_27scan_by_key_config_selectorIxxEEZZNS1_16scan_by_key_implILNS1_25lookback_scan_determinismE0ELb0ES3_N6thrust23THRUST_200600_302600_NS6detail15normal_iteratorINS9_10device_ptrIxEEEESE_SE_xNS9_4plusIvEENS9_8equal_toIxEExEE10hipError_tPvRmT2_T3_T4_T5_mT6_T7_P12ihipStream_tbENKUlT_T0_E_clISt17integral_constantIbLb0EESZ_EEDaSU_SV_EUlSU_E_NS1_11comp_targetILNS1_3genE5ELNS1_11target_archE942ELNS1_3gpuE9ELNS1_3repE0EEENS1_30default_config_static_selectorELNS0_4arch9wavefront6targetE0EEEvT1_
; %bb.0:
	.section	.rodata,"a",@progbits
	.p2align	6, 0x0
	.amdhsa_kernel _ZN7rocprim17ROCPRIM_400000_NS6detail17trampoline_kernelINS0_14default_configENS1_27scan_by_key_config_selectorIxxEEZZNS1_16scan_by_key_implILNS1_25lookback_scan_determinismE0ELb0ES3_N6thrust23THRUST_200600_302600_NS6detail15normal_iteratorINS9_10device_ptrIxEEEESE_SE_xNS9_4plusIvEENS9_8equal_toIxEExEE10hipError_tPvRmT2_T3_T4_T5_mT6_T7_P12ihipStream_tbENKUlT_T0_E_clISt17integral_constantIbLb0EESZ_EEDaSU_SV_EUlSU_E_NS1_11comp_targetILNS1_3genE5ELNS1_11target_archE942ELNS1_3gpuE9ELNS1_3repE0EEENS1_30default_config_static_selectorELNS0_4arch9wavefront6targetE0EEEvT1_
		.amdhsa_group_segment_fixed_size 0
		.amdhsa_private_segment_fixed_size 0
		.amdhsa_kernarg_size 136
		.amdhsa_user_sgpr_count 6
		.amdhsa_user_sgpr_private_segment_buffer 1
		.amdhsa_user_sgpr_dispatch_ptr 0
		.amdhsa_user_sgpr_queue_ptr 0
		.amdhsa_user_sgpr_kernarg_segment_ptr 1
		.amdhsa_user_sgpr_dispatch_id 0
		.amdhsa_user_sgpr_flat_scratch_init 0
		.amdhsa_user_sgpr_private_segment_size 0
		.amdhsa_wavefront_size32 1
		.amdhsa_uses_dynamic_stack 0
		.amdhsa_system_sgpr_private_segment_wavefront_offset 0
		.amdhsa_system_sgpr_workgroup_id_x 1
		.amdhsa_system_sgpr_workgroup_id_y 0
		.amdhsa_system_sgpr_workgroup_id_z 0
		.amdhsa_system_sgpr_workgroup_info 0
		.amdhsa_system_vgpr_workitem_id 0
		.amdhsa_next_free_vgpr 1
		.amdhsa_next_free_sgpr 1
		.amdhsa_reserve_vcc 0
		.amdhsa_reserve_flat_scratch 0
		.amdhsa_float_round_mode_32 0
		.amdhsa_float_round_mode_16_64 0
		.amdhsa_float_denorm_mode_32 3
		.amdhsa_float_denorm_mode_16_64 3
		.amdhsa_dx10_clamp 1
		.amdhsa_ieee_mode 1
		.amdhsa_fp16_overflow 0
		.amdhsa_workgroup_processor_mode 1
		.amdhsa_memory_ordered 1
		.amdhsa_forward_progress 1
		.amdhsa_shared_vgpr_count 0
		.amdhsa_exception_fp_ieee_invalid_op 0
		.amdhsa_exception_fp_denorm_src 0
		.amdhsa_exception_fp_ieee_div_zero 0
		.amdhsa_exception_fp_ieee_overflow 0
		.amdhsa_exception_fp_ieee_underflow 0
		.amdhsa_exception_fp_ieee_inexact 0
		.amdhsa_exception_int_div_zero 0
	.end_amdhsa_kernel
	.section	.text._ZN7rocprim17ROCPRIM_400000_NS6detail17trampoline_kernelINS0_14default_configENS1_27scan_by_key_config_selectorIxxEEZZNS1_16scan_by_key_implILNS1_25lookback_scan_determinismE0ELb0ES3_N6thrust23THRUST_200600_302600_NS6detail15normal_iteratorINS9_10device_ptrIxEEEESE_SE_xNS9_4plusIvEENS9_8equal_toIxEExEE10hipError_tPvRmT2_T3_T4_T5_mT6_T7_P12ihipStream_tbENKUlT_T0_E_clISt17integral_constantIbLb0EESZ_EEDaSU_SV_EUlSU_E_NS1_11comp_targetILNS1_3genE5ELNS1_11target_archE942ELNS1_3gpuE9ELNS1_3repE0EEENS1_30default_config_static_selectorELNS0_4arch9wavefront6targetE0EEEvT1_,"axG",@progbits,_ZN7rocprim17ROCPRIM_400000_NS6detail17trampoline_kernelINS0_14default_configENS1_27scan_by_key_config_selectorIxxEEZZNS1_16scan_by_key_implILNS1_25lookback_scan_determinismE0ELb0ES3_N6thrust23THRUST_200600_302600_NS6detail15normal_iteratorINS9_10device_ptrIxEEEESE_SE_xNS9_4plusIvEENS9_8equal_toIxEExEE10hipError_tPvRmT2_T3_T4_T5_mT6_T7_P12ihipStream_tbENKUlT_T0_E_clISt17integral_constantIbLb0EESZ_EEDaSU_SV_EUlSU_E_NS1_11comp_targetILNS1_3genE5ELNS1_11target_archE942ELNS1_3gpuE9ELNS1_3repE0EEENS1_30default_config_static_selectorELNS0_4arch9wavefront6targetE0EEEvT1_,comdat
.Lfunc_end85:
	.size	_ZN7rocprim17ROCPRIM_400000_NS6detail17trampoline_kernelINS0_14default_configENS1_27scan_by_key_config_selectorIxxEEZZNS1_16scan_by_key_implILNS1_25lookback_scan_determinismE0ELb0ES3_N6thrust23THRUST_200600_302600_NS6detail15normal_iteratorINS9_10device_ptrIxEEEESE_SE_xNS9_4plusIvEENS9_8equal_toIxEExEE10hipError_tPvRmT2_T3_T4_T5_mT6_T7_P12ihipStream_tbENKUlT_T0_E_clISt17integral_constantIbLb0EESZ_EEDaSU_SV_EUlSU_E_NS1_11comp_targetILNS1_3genE5ELNS1_11target_archE942ELNS1_3gpuE9ELNS1_3repE0EEENS1_30default_config_static_selectorELNS0_4arch9wavefront6targetE0EEEvT1_, .Lfunc_end85-_ZN7rocprim17ROCPRIM_400000_NS6detail17trampoline_kernelINS0_14default_configENS1_27scan_by_key_config_selectorIxxEEZZNS1_16scan_by_key_implILNS1_25lookback_scan_determinismE0ELb0ES3_N6thrust23THRUST_200600_302600_NS6detail15normal_iteratorINS9_10device_ptrIxEEEESE_SE_xNS9_4plusIvEENS9_8equal_toIxEExEE10hipError_tPvRmT2_T3_T4_T5_mT6_T7_P12ihipStream_tbENKUlT_T0_E_clISt17integral_constantIbLb0EESZ_EEDaSU_SV_EUlSU_E_NS1_11comp_targetILNS1_3genE5ELNS1_11target_archE942ELNS1_3gpuE9ELNS1_3repE0EEENS1_30default_config_static_selectorELNS0_4arch9wavefront6targetE0EEEvT1_
                                        ; -- End function
	.set _ZN7rocprim17ROCPRIM_400000_NS6detail17trampoline_kernelINS0_14default_configENS1_27scan_by_key_config_selectorIxxEEZZNS1_16scan_by_key_implILNS1_25lookback_scan_determinismE0ELb0ES3_N6thrust23THRUST_200600_302600_NS6detail15normal_iteratorINS9_10device_ptrIxEEEESE_SE_xNS9_4plusIvEENS9_8equal_toIxEExEE10hipError_tPvRmT2_T3_T4_T5_mT6_T7_P12ihipStream_tbENKUlT_T0_E_clISt17integral_constantIbLb0EESZ_EEDaSU_SV_EUlSU_E_NS1_11comp_targetILNS1_3genE5ELNS1_11target_archE942ELNS1_3gpuE9ELNS1_3repE0EEENS1_30default_config_static_selectorELNS0_4arch9wavefront6targetE0EEEvT1_.num_vgpr, 0
	.set _ZN7rocprim17ROCPRIM_400000_NS6detail17trampoline_kernelINS0_14default_configENS1_27scan_by_key_config_selectorIxxEEZZNS1_16scan_by_key_implILNS1_25lookback_scan_determinismE0ELb0ES3_N6thrust23THRUST_200600_302600_NS6detail15normal_iteratorINS9_10device_ptrIxEEEESE_SE_xNS9_4plusIvEENS9_8equal_toIxEExEE10hipError_tPvRmT2_T3_T4_T5_mT6_T7_P12ihipStream_tbENKUlT_T0_E_clISt17integral_constantIbLb0EESZ_EEDaSU_SV_EUlSU_E_NS1_11comp_targetILNS1_3genE5ELNS1_11target_archE942ELNS1_3gpuE9ELNS1_3repE0EEENS1_30default_config_static_selectorELNS0_4arch9wavefront6targetE0EEEvT1_.num_agpr, 0
	.set _ZN7rocprim17ROCPRIM_400000_NS6detail17trampoline_kernelINS0_14default_configENS1_27scan_by_key_config_selectorIxxEEZZNS1_16scan_by_key_implILNS1_25lookback_scan_determinismE0ELb0ES3_N6thrust23THRUST_200600_302600_NS6detail15normal_iteratorINS9_10device_ptrIxEEEESE_SE_xNS9_4plusIvEENS9_8equal_toIxEExEE10hipError_tPvRmT2_T3_T4_T5_mT6_T7_P12ihipStream_tbENKUlT_T0_E_clISt17integral_constantIbLb0EESZ_EEDaSU_SV_EUlSU_E_NS1_11comp_targetILNS1_3genE5ELNS1_11target_archE942ELNS1_3gpuE9ELNS1_3repE0EEENS1_30default_config_static_selectorELNS0_4arch9wavefront6targetE0EEEvT1_.numbered_sgpr, 0
	.set _ZN7rocprim17ROCPRIM_400000_NS6detail17trampoline_kernelINS0_14default_configENS1_27scan_by_key_config_selectorIxxEEZZNS1_16scan_by_key_implILNS1_25lookback_scan_determinismE0ELb0ES3_N6thrust23THRUST_200600_302600_NS6detail15normal_iteratorINS9_10device_ptrIxEEEESE_SE_xNS9_4plusIvEENS9_8equal_toIxEExEE10hipError_tPvRmT2_T3_T4_T5_mT6_T7_P12ihipStream_tbENKUlT_T0_E_clISt17integral_constantIbLb0EESZ_EEDaSU_SV_EUlSU_E_NS1_11comp_targetILNS1_3genE5ELNS1_11target_archE942ELNS1_3gpuE9ELNS1_3repE0EEENS1_30default_config_static_selectorELNS0_4arch9wavefront6targetE0EEEvT1_.num_named_barrier, 0
	.set _ZN7rocprim17ROCPRIM_400000_NS6detail17trampoline_kernelINS0_14default_configENS1_27scan_by_key_config_selectorIxxEEZZNS1_16scan_by_key_implILNS1_25lookback_scan_determinismE0ELb0ES3_N6thrust23THRUST_200600_302600_NS6detail15normal_iteratorINS9_10device_ptrIxEEEESE_SE_xNS9_4plusIvEENS9_8equal_toIxEExEE10hipError_tPvRmT2_T3_T4_T5_mT6_T7_P12ihipStream_tbENKUlT_T0_E_clISt17integral_constantIbLb0EESZ_EEDaSU_SV_EUlSU_E_NS1_11comp_targetILNS1_3genE5ELNS1_11target_archE942ELNS1_3gpuE9ELNS1_3repE0EEENS1_30default_config_static_selectorELNS0_4arch9wavefront6targetE0EEEvT1_.private_seg_size, 0
	.set _ZN7rocprim17ROCPRIM_400000_NS6detail17trampoline_kernelINS0_14default_configENS1_27scan_by_key_config_selectorIxxEEZZNS1_16scan_by_key_implILNS1_25lookback_scan_determinismE0ELb0ES3_N6thrust23THRUST_200600_302600_NS6detail15normal_iteratorINS9_10device_ptrIxEEEESE_SE_xNS9_4plusIvEENS9_8equal_toIxEExEE10hipError_tPvRmT2_T3_T4_T5_mT6_T7_P12ihipStream_tbENKUlT_T0_E_clISt17integral_constantIbLb0EESZ_EEDaSU_SV_EUlSU_E_NS1_11comp_targetILNS1_3genE5ELNS1_11target_archE942ELNS1_3gpuE9ELNS1_3repE0EEENS1_30default_config_static_selectorELNS0_4arch9wavefront6targetE0EEEvT1_.uses_vcc, 0
	.set _ZN7rocprim17ROCPRIM_400000_NS6detail17trampoline_kernelINS0_14default_configENS1_27scan_by_key_config_selectorIxxEEZZNS1_16scan_by_key_implILNS1_25lookback_scan_determinismE0ELb0ES3_N6thrust23THRUST_200600_302600_NS6detail15normal_iteratorINS9_10device_ptrIxEEEESE_SE_xNS9_4plusIvEENS9_8equal_toIxEExEE10hipError_tPvRmT2_T3_T4_T5_mT6_T7_P12ihipStream_tbENKUlT_T0_E_clISt17integral_constantIbLb0EESZ_EEDaSU_SV_EUlSU_E_NS1_11comp_targetILNS1_3genE5ELNS1_11target_archE942ELNS1_3gpuE9ELNS1_3repE0EEENS1_30default_config_static_selectorELNS0_4arch9wavefront6targetE0EEEvT1_.uses_flat_scratch, 0
	.set _ZN7rocprim17ROCPRIM_400000_NS6detail17trampoline_kernelINS0_14default_configENS1_27scan_by_key_config_selectorIxxEEZZNS1_16scan_by_key_implILNS1_25lookback_scan_determinismE0ELb0ES3_N6thrust23THRUST_200600_302600_NS6detail15normal_iteratorINS9_10device_ptrIxEEEESE_SE_xNS9_4plusIvEENS9_8equal_toIxEExEE10hipError_tPvRmT2_T3_T4_T5_mT6_T7_P12ihipStream_tbENKUlT_T0_E_clISt17integral_constantIbLb0EESZ_EEDaSU_SV_EUlSU_E_NS1_11comp_targetILNS1_3genE5ELNS1_11target_archE942ELNS1_3gpuE9ELNS1_3repE0EEENS1_30default_config_static_selectorELNS0_4arch9wavefront6targetE0EEEvT1_.has_dyn_sized_stack, 0
	.set _ZN7rocprim17ROCPRIM_400000_NS6detail17trampoline_kernelINS0_14default_configENS1_27scan_by_key_config_selectorIxxEEZZNS1_16scan_by_key_implILNS1_25lookback_scan_determinismE0ELb0ES3_N6thrust23THRUST_200600_302600_NS6detail15normal_iteratorINS9_10device_ptrIxEEEESE_SE_xNS9_4plusIvEENS9_8equal_toIxEExEE10hipError_tPvRmT2_T3_T4_T5_mT6_T7_P12ihipStream_tbENKUlT_T0_E_clISt17integral_constantIbLb0EESZ_EEDaSU_SV_EUlSU_E_NS1_11comp_targetILNS1_3genE5ELNS1_11target_archE942ELNS1_3gpuE9ELNS1_3repE0EEENS1_30default_config_static_selectorELNS0_4arch9wavefront6targetE0EEEvT1_.has_recursion, 0
	.set _ZN7rocprim17ROCPRIM_400000_NS6detail17trampoline_kernelINS0_14default_configENS1_27scan_by_key_config_selectorIxxEEZZNS1_16scan_by_key_implILNS1_25lookback_scan_determinismE0ELb0ES3_N6thrust23THRUST_200600_302600_NS6detail15normal_iteratorINS9_10device_ptrIxEEEESE_SE_xNS9_4plusIvEENS9_8equal_toIxEExEE10hipError_tPvRmT2_T3_T4_T5_mT6_T7_P12ihipStream_tbENKUlT_T0_E_clISt17integral_constantIbLb0EESZ_EEDaSU_SV_EUlSU_E_NS1_11comp_targetILNS1_3genE5ELNS1_11target_archE942ELNS1_3gpuE9ELNS1_3repE0EEENS1_30default_config_static_selectorELNS0_4arch9wavefront6targetE0EEEvT1_.has_indirect_call, 0
	.section	.AMDGPU.csdata,"",@progbits
; Kernel info:
; codeLenInByte = 0
; TotalNumSgprs: 0
; NumVgprs: 0
; ScratchSize: 0
; MemoryBound: 0
; FloatMode: 240
; IeeeMode: 1
; LDSByteSize: 0 bytes/workgroup (compile time only)
; SGPRBlocks: 0
; VGPRBlocks: 0
; NumSGPRsForWavesPerEU: 1
; NumVGPRsForWavesPerEU: 1
; Occupancy: 16
; WaveLimiterHint : 0
; COMPUTE_PGM_RSRC2:SCRATCH_EN: 0
; COMPUTE_PGM_RSRC2:USER_SGPR: 6
; COMPUTE_PGM_RSRC2:TRAP_HANDLER: 0
; COMPUTE_PGM_RSRC2:TGID_X_EN: 1
; COMPUTE_PGM_RSRC2:TGID_Y_EN: 0
; COMPUTE_PGM_RSRC2:TGID_Z_EN: 0
; COMPUTE_PGM_RSRC2:TIDIG_COMP_CNT: 0
	.section	.text._ZN7rocprim17ROCPRIM_400000_NS6detail17trampoline_kernelINS0_14default_configENS1_27scan_by_key_config_selectorIxxEEZZNS1_16scan_by_key_implILNS1_25lookback_scan_determinismE0ELb0ES3_N6thrust23THRUST_200600_302600_NS6detail15normal_iteratorINS9_10device_ptrIxEEEESE_SE_xNS9_4plusIvEENS9_8equal_toIxEExEE10hipError_tPvRmT2_T3_T4_T5_mT6_T7_P12ihipStream_tbENKUlT_T0_E_clISt17integral_constantIbLb0EESZ_EEDaSU_SV_EUlSU_E_NS1_11comp_targetILNS1_3genE4ELNS1_11target_archE910ELNS1_3gpuE8ELNS1_3repE0EEENS1_30default_config_static_selectorELNS0_4arch9wavefront6targetE0EEEvT1_,"axG",@progbits,_ZN7rocprim17ROCPRIM_400000_NS6detail17trampoline_kernelINS0_14default_configENS1_27scan_by_key_config_selectorIxxEEZZNS1_16scan_by_key_implILNS1_25lookback_scan_determinismE0ELb0ES3_N6thrust23THRUST_200600_302600_NS6detail15normal_iteratorINS9_10device_ptrIxEEEESE_SE_xNS9_4plusIvEENS9_8equal_toIxEExEE10hipError_tPvRmT2_T3_T4_T5_mT6_T7_P12ihipStream_tbENKUlT_T0_E_clISt17integral_constantIbLb0EESZ_EEDaSU_SV_EUlSU_E_NS1_11comp_targetILNS1_3genE4ELNS1_11target_archE910ELNS1_3gpuE8ELNS1_3repE0EEENS1_30default_config_static_selectorELNS0_4arch9wavefront6targetE0EEEvT1_,comdat
	.protected	_ZN7rocprim17ROCPRIM_400000_NS6detail17trampoline_kernelINS0_14default_configENS1_27scan_by_key_config_selectorIxxEEZZNS1_16scan_by_key_implILNS1_25lookback_scan_determinismE0ELb0ES3_N6thrust23THRUST_200600_302600_NS6detail15normal_iteratorINS9_10device_ptrIxEEEESE_SE_xNS9_4plusIvEENS9_8equal_toIxEExEE10hipError_tPvRmT2_T3_T4_T5_mT6_T7_P12ihipStream_tbENKUlT_T0_E_clISt17integral_constantIbLb0EESZ_EEDaSU_SV_EUlSU_E_NS1_11comp_targetILNS1_3genE4ELNS1_11target_archE910ELNS1_3gpuE8ELNS1_3repE0EEENS1_30default_config_static_selectorELNS0_4arch9wavefront6targetE0EEEvT1_ ; -- Begin function _ZN7rocprim17ROCPRIM_400000_NS6detail17trampoline_kernelINS0_14default_configENS1_27scan_by_key_config_selectorIxxEEZZNS1_16scan_by_key_implILNS1_25lookback_scan_determinismE0ELb0ES3_N6thrust23THRUST_200600_302600_NS6detail15normal_iteratorINS9_10device_ptrIxEEEESE_SE_xNS9_4plusIvEENS9_8equal_toIxEExEE10hipError_tPvRmT2_T3_T4_T5_mT6_T7_P12ihipStream_tbENKUlT_T0_E_clISt17integral_constantIbLb0EESZ_EEDaSU_SV_EUlSU_E_NS1_11comp_targetILNS1_3genE4ELNS1_11target_archE910ELNS1_3gpuE8ELNS1_3repE0EEENS1_30default_config_static_selectorELNS0_4arch9wavefront6targetE0EEEvT1_
	.globl	_ZN7rocprim17ROCPRIM_400000_NS6detail17trampoline_kernelINS0_14default_configENS1_27scan_by_key_config_selectorIxxEEZZNS1_16scan_by_key_implILNS1_25lookback_scan_determinismE0ELb0ES3_N6thrust23THRUST_200600_302600_NS6detail15normal_iteratorINS9_10device_ptrIxEEEESE_SE_xNS9_4plusIvEENS9_8equal_toIxEExEE10hipError_tPvRmT2_T3_T4_T5_mT6_T7_P12ihipStream_tbENKUlT_T0_E_clISt17integral_constantIbLb0EESZ_EEDaSU_SV_EUlSU_E_NS1_11comp_targetILNS1_3genE4ELNS1_11target_archE910ELNS1_3gpuE8ELNS1_3repE0EEENS1_30default_config_static_selectorELNS0_4arch9wavefront6targetE0EEEvT1_
	.p2align	8
	.type	_ZN7rocprim17ROCPRIM_400000_NS6detail17trampoline_kernelINS0_14default_configENS1_27scan_by_key_config_selectorIxxEEZZNS1_16scan_by_key_implILNS1_25lookback_scan_determinismE0ELb0ES3_N6thrust23THRUST_200600_302600_NS6detail15normal_iteratorINS9_10device_ptrIxEEEESE_SE_xNS9_4plusIvEENS9_8equal_toIxEExEE10hipError_tPvRmT2_T3_T4_T5_mT6_T7_P12ihipStream_tbENKUlT_T0_E_clISt17integral_constantIbLb0EESZ_EEDaSU_SV_EUlSU_E_NS1_11comp_targetILNS1_3genE4ELNS1_11target_archE910ELNS1_3gpuE8ELNS1_3repE0EEENS1_30default_config_static_selectorELNS0_4arch9wavefront6targetE0EEEvT1_,@function
_ZN7rocprim17ROCPRIM_400000_NS6detail17trampoline_kernelINS0_14default_configENS1_27scan_by_key_config_selectorIxxEEZZNS1_16scan_by_key_implILNS1_25lookback_scan_determinismE0ELb0ES3_N6thrust23THRUST_200600_302600_NS6detail15normal_iteratorINS9_10device_ptrIxEEEESE_SE_xNS9_4plusIvEENS9_8equal_toIxEExEE10hipError_tPvRmT2_T3_T4_T5_mT6_T7_P12ihipStream_tbENKUlT_T0_E_clISt17integral_constantIbLb0EESZ_EEDaSU_SV_EUlSU_E_NS1_11comp_targetILNS1_3genE4ELNS1_11target_archE910ELNS1_3gpuE8ELNS1_3repE0EEENS1_30default_config_static_selectorELNS0_4arch9wavefront6targetE0EEEvT1_: ; @_ZN7rocprim17ROCPRIM_400000_NS6detail17trampoline_kernelINS0_14default_configENS1_27scan_by_key_config_selectorIxxEEZZNS1_16scan_by_key_implILNS1_25lookback_scan_determinismE0ELb0ES3_N6thrust23THRUST_200600_302600_NS6detail15normal_iteratorINS9_10device_ptrIxEEEESE_SE_xNS9_4plusIvEENS9_8equal_toIxEExEE10hipError_tPvRmT2_T3_T4_T5_mT6_T7_P12ihipStream_tbENKUlT_T0_E_clISt17integral_constantIbLb0EESZ_EEDaSU_SV_EUlSU_E_NS1_11comp_targetILNS1_3genE4ELNS1_11target_archE910ELNS1_3gpuE8ELNS1_3repE0EEENS1_30default_config_static_selectorELNS0_4arch9wavefront6targetE0EEEvT1_
; %bb.0:
	.section	.rodata,"a",@progbits
	.p2align	6, 0x0
	.amdhsa_kernel _ZN7rocprim17ROCPRIM_400000_NS6detail17trampoline_kernelINS0_14default_configENS1_27scan_by_key_config_selectorIxxEEZZNS1_16scan_by_key_implILNS1_25lookback_scan_determinismE0ELb0ES3_N6thrust23THRUST_200600_302600_NS6detail15normal_iteratorINS9_10device_ptrIxEEEESE_SE_xNS9_4plusIvEENS9_8equal_toIxEExEE10hipError_tPvRmT2_T3_T4_T5_mT6_T7_P12ihipStream_tbENKUlT_T0_E_clISt17integral_constantIbLb0EESZ_EEDaSU_SV_EUlSU_E_NS1_11comp_targetILNS1_3genE4ELNS1_11target_archE910ELNS1_3gpuE8ELNS1_3repE0EEENS1_30default_config_static_selectorELNS0_4arch9wavefront6targetE0EEEvT1_
		.amdhsa_group_segment_fixed_size 0
		.amdhsa_private_segment_fixed_size 0
		.amdhsa_kernarg_size 136
		.amdhsa_user_sgpr_count 6
		.amdhsa_user_sgpr_private_segment_buffer 1
		.amdhsa_user_sgpr_dispatch_ptr 0
		.amdhsa_user_sgpr_queue_ptr 0
		.amdhsa_user_sgpr_kernarg_segment_ptr 1
		.amdhsa_user_sgpr_dispatch_id 0
		.amdhsa_user_sgpr_flat_scratch_init 0
		.amdhsa_user_sgpr_private_segment_size 0
		.amdhsa_wavefront_size32 1
		.amdhsa_uses_dynamic_stack 0
		.amdhsa_system_sgpr_private_segment_wavefront_offset 0
		.amdhsa_system_sgpr_workgroup_id_x 1
		.amdhsa_system_sgpr_workgroup_id_y 0
		.amdhsa_system_sgpr_workgroup_id_z 0
		.amdhsa_system_sgpr_workgroup_info 0
		.amdhsa_system_vgpr_workitem_id 0
		.amdhsa_next_free_vgpr 1
		.amdhsa_next_free_sgpr 1
		.amdhsa_reserve_vcc 0
		.amdhsa_reserve_flat_scratch 0
		.amdhsa_float_round_mode_32 0
		.amdhsa_float_round_mode_16_64 0
		.amdhsa_float_denorm_mode_32 3
		.amdhsa_float_denorm_mode_16_64 3
		.amdhsa_dx10_clamp 1
		.amdhsa_ieee_mode 1
		.amdhsa_fp16_overflow 0
		.amdhsa_workgroup_processor_mode 1
		.amdhsa_memory_ordered 1
		.amdhsa_forward_progress 1
		.amdhsa_shared_vgpr_count 0
		.amdhsa_exception_fp_ieee_invalid_op 0
		.amdhsa_exception_fp_denorm_src 0
		.amdhsa_exception_fp_ieee_div_zero 0
		.amdhsa_exception_fp_ieee_overflow 0
		.amdhsa_exception_fp_ieee_underflow 0
		.amdhsa_exception_fp_ieee_inexact 0
		.amdhsa_exception_int_div_zero 0
	.end_amdhsa_kernel
	.section	.text._ZN7rocprim17ROCPRIM_400000_NS6detail17trampoline_kernelINS0_14default_configENS1_27scan_by_key_config_selectorIxxEEZZNS1_16scan_by_key_implILNS1_25lookback_scan_determinismE0ELb0ES3_N6thrust23THRUST_200600_302600_NS6detail15normal_iteratorINS9_10device_ptrIxEEEESE_SE_xNS9_4plusIvEENS9_8equal_toIxEExEE10hipError_tPvRmT2_T3_T4_T5_mT6_T7_P12ihipStream_tbENKUlT_T0_E_clISt17integral_constantIbLb0EESZ_EEDaSU_SV_EUlSU_E_NS1_11comp_targetILNS1_3genE4ELNS1_11target_archE910ELNS1_3gpuE8ELNS1_3repE0EEENS1_30default_config_static_selectorELNS0_4arch9wavefront6targetE0EEEvT1_,"axG",@progbits,_ZN7rocprim17ROCPRIM_400000_NS6detail17trampoline_kernelINS0_14default_configENS1_27scan_by_key_config_selectorIxxEEZZNS1_16scan_by_key_implILNS1_25lookback_scan_determinismE0ELb0ES3_N6thrust23THRUST_200600_302600_NS6detail15normal_iteratorINS9_10device_ptrIxEEEESE_SE_xNS9_4plusIvEENS9_8equal_toIxEExEE10hipError_tPvRmT2_T3_T4_T5_mT6_T7_P12ihipStream_tbENKUlT_T0_E_clISt17integral_constantIbLb0EESZ_EEDaSU_SV_EUlSU_E_NS1_11comp_targetILNS1_3genE4ELNS1_11target_archE910ELNS1_3gpuE8ELNS1_3repE0EEENS1_30default_config_static_selectorELNS0_4arch9wavefront6targetE0EEEvT1_,comdat
.Lfunc_end86:
	.size	_ZN7rocprim17ROCPRIM_400000_NS6detail17trampoline_kernelINS0_14default_configENS1_27scan_by_key_config_selectorIxxEEZZNS1_16scan_by_key_implILNS1_25lookback_scan_determinismE0ELb0ES3_N6thrust23THRUST_200600_302600_NS6detail15normal_iteratorINS9_10device_ptrIxEEEESE_SE_xNS9_4plusIvEENS9_8equal_toIxEExEE10hipError_tPvRmT2_T3_T4_T5_mT6_T7_P12ihipStream_tbENKUlT_T0_E_clISt17integral_constantIbLb0EESZ_EEDaSU_SV_EUlSU_E_NS1_11comp_targetILNS1_3genE4ELNS1_11target_archE910ELNS1_3gpuE8ELNS1_3repE0EEENS1_30default_config_static_selectorELNS0_4arch9wavefront6targetE0EEEvT1_, .Lfunc_end86-_ZN7rocprim17ROCPRIM_400000_NS6detail17trampoline_kernelINS0_14default_configENS1_27scan_by_key_config_selectorIxxEEZZNS1_16scan_by_key_implILNS1_25lookback_scan_determinismE0ELb0ES3_N6thrust23THRUST_200600_302600_NS6detail15normal_iteratorINS9_10device_ptrIxEEEESE_SE_xNS9_4plusIvEENS9_8equal_toIxEExEE10hipError_tPvRmT2_T3_T4_T5_mT6_T7_P12ihipStream_tbENKUlT_T0_E_clISt17integral_constantIbLb0EESZ_EEDaSU_SV_EUlSU_E_NS1_11comp_targetILNS1_3genE4ELNS1_11target_archE910ELNS1_3gpuE8ELNS1_3repE0EEENS1_30default_config_static_selectorELNS0_4arch9wavefront6targetE0EEEvT1_
                                        ; -- End function
	.set _ZN7rocprim17ROCPRIM_400000_NS6detail17trampoline_kernelINS0_14default_configENS1_27scan_by_key_config_selectorIxxEEZZNS1_16scan_by_key_implILNS1_25lookback_scan_determinismE0ELb0ES3_N6thrust23THRUST_200600_302600_NS6detail15normal_iteratorINS9_10device_ptrIxEEEESE_SE_xNS9_4plusIvEENS9_8equal_toIxEExEE10hipError_tPvRmT2_T3_T4_T5_mT6_T7_P12ihipStream_tbENKUlT_T0_E_clISt17integral_constantIbLb0EESZ_EEDaSU_SV_EUlSU_E_NS1_11comp_targetILNS1_3genE4ELNS1_11target_archE910ELNS1_3gpuE8ELNS1_3repE0EEENS1_30default_config_static_selectorELNS0_4arch9wavefront6targetE0EEEvT1_.num_vgpr, 0
	.set _ZN7rocprim17ROCPRIM_400000_NS6detail17trampoline_kernelINS0_14default_configENS1_27scan_by_key_config_selectorIxxEEZZNS1_16scan_by_key_implILNS1_25lookback_scan_determinismE0ELb0ES3_N6thrust23THRUST_200600_302600_NS6detail15normal_iteratorINS9_10device_ptrIxEEEESE_SE_xNS9_4plusIvEENS9_8equal_toIxEExEE10hipError_tPvRmT2_T3_T4_T5_mT6_T7_P12ihipStream_tbENKUlT_T0_E_clISt17integral_constantIbLb0EESZ_EEDaSU_SV_EUlSU_E_NS1_11comp_targetILNS1_3genE4ELNS1_11target_archE910ELNS1_3gpuE8ELNS1_3repE0EEENS1_30default_config_static_selectorELNS0_4arch9wavefront6targetE0EEEvT1_.num_agpr, 0
	.set _ZN7rocprim17ROCPRIM_400000_NS6detail17trampoline_kernelINS0_14default_configENS1_27scan_by_key_config_selectorIxxEEZZNS1_16scan_by_key_implILNS1_25lookback_scan_determinismE0ELb0ES3_N6thrust23THRUST_200600_302600_NS6detail15normal_iteratorINS9_10device_ptrIxEEEESE_SE_xNS9_4plusIvEENS9_8equal_toIxEExEE10hipError_tPvRmT2_T3_T4_T5_mT6_T7_P12ihipStream_tbENKUlT_T0_E_clISt17integral_constantIbLb0EESZ_EEDaSU_SV_EUlSU_E_NS1_11comp_targetILNS1_3genE4ELNS1_11target_archE910ELNS1_3gpuE8ELNS1_3repE0EEENS1_30default_config_static_selectorELNS0_4arch9wavefront6targetE0EEEvT1_.numbered_sgpr, 0
	.set _ZN7rocprim17ROCPRIM_400000_NS6detail17trampoline_kernelINS0_14default_configENS1_27scan_by_key_config_selectorIxxEEZZNS1_16scan_by_key_implILNS1_25lookback_scan_determinismE0ELb0ES3_N6thrust23THRUST_200600_302600_NS6detail15normal_iteratorINS9_10device_ptrIxEEEESE_SE_xNS9_4plusIvEENS9_8equal_toIxEExEE10hipError_tPvRmT2_T3_T4_T5_mT6_T7_P12ihipStream_tbENKUlT_T0_E_clISt17integral_constantIbLb0EESZ_EEDaSU_SV_EUlSU_E_NS1_11comp_targetILNS1_3genE4ELNS1_11target_archE910ELNS1_3gpuE8ELNS1_3repE0EEENS1_30default_config_static_selectorELNS0_4arch9wavefront6targetE0EEEvT1_.num_named_barrier, 0
	.set _ZN7rocprim17ROCPRIM_400000_NS6detail17trampoline_kernelINS0_14default_configENS1_27scan_by_key_config_selectorIxxEEZZNS1_16scan_by_key_implILNS1_25lookback_scan_determinismE0ELb0ES3_N6thrust23THRUST_200600_302600_NS6detail15normal_iteratorINS9_10device_ptrIxEEEESE_SE_xNS9_4plusIvEENS9_8equal_toIxEExEE10hipError_tPvRmT2_T3_T4_T5_mT6_T7_P12ihipStream_tbENKUlT_T0_E_clISt17integral_constantIbLb0EESZ_EEDaSU_SV_EUlSU_E_NS1_11comp_targetILNS1_3genE4ELNS1_11target_archE910ELNS1_3gpuE8ELNS1_3repE0EEENS1_30default_config_static_selectorELNS0_4arch9wavefront6targetE0EEEvT1_.private_seg_size, 0
	.set _ZN7rocprim17ROCPRIM_400000_NS6detail17trampoline_kernelINS0_14default_configENS1_27scan_by_key_config_selectorIxxEEZZNS1_16scan_by_key_implILNS1_25lookback_scan_determinismE0ELb0ES3_N6thrust23THRUST_200600_302600_NS6detail15normal_iteratorINS9_10device_ptrIxEEEESE_SE_xNS9_4plusIvEENS9_8equal_toIxEExEE10hipError_tPvRmT2_T3_T4_T5_mT6_T7_P12ihipStream_tbENKUlT_T0_E_clISt17integral_constantIbLb0EESZ_EEDaSU_SV_EUlSU_E_NS1_11comp_targetILNS1_3genE4ELNS1_11target_archE910ELNS1_3gpuE8ELNS1_3repE0EEENS1_30default_config_static_selectorELNS0_4arch9wavefront6targetE0EEEvT1_.uses_vcc, 0
	.set _ZN7rocprim17ROCPRIM_400000_NS6detail17trampoline_kernelINS0_14default_configENS1_27scan_by_key_config_selectorIxxEEZZNS1_16scan_by_key_implILNS1_25lookback_scan_determinismE0ELb0ES3_N6thrust23THRUST_200600_302600_NS6detail15normal_iteratorINS9_10device_ptrIxEEEESE_SE_xNS9_4plusIvEENS9_8equal_toIxEExEE10hipError_tPvRmT2_T3_T4_T5_mT6_T7_P12ihipStream_tbENKUlT_T0_E_clISt17integral_constantIbLb0EESZ_EEDaSU_SV_EUlSU_E_NS1_11comp_targetILNS1_3genE4ELNS1_11target_archE910ELNS1_3gpuE8ELNS1_3repE0EEENS1_30default_config_static_selectorELNS0_4arch9wavefront6targetE0EEEvT1_.uses_flat_scratch, 0
	.set _ZN7rocprim17ROCPRIM_400000_NS6detail17trampoline_kernelINS0_14default_configENS1_27scan_by_key_config_selectorIxxEEZZNS1_16scan_by_key_implILNS1_25lookback_scan_determinismE0ELb0ES3_N6thrust23THRUST_200600_302600_NS6detail15normal_iteratorINS9_10device_ptrIxEEEESE_SE_xNS9_4plusIvEENS9_8equal_toIxEExEE10hipError_tPvRmT2_T3_T4_T5_mT6_T7_P12ihipStream_tbENKUlT_T0_E_clISt17integral_constantIbLb0EESZ_EEDaSU_SV_EUlSU_E_NS1_11comp_targetILNS1_3genE4ELNS1_11target_archE910ELNS1_3gpuE8ELNS1_3repE0EEENS1_30default_config_static_selectorELNS0_4arch9wavefront6targetE0EEEvT1_.has_dyn_sized_stack, 0
	.set _ZN7rocprim17ROCPRIM_400000_NS6detail17trampoline_kernelINS0_14default_configENS1_27scan_by_key_config_selectorIxxEEZZNS1_16scan_by_key_implILNS1_25lookback_scan_determinismE0ELb0ES3_N6thrust23THRUST_200600_302600_NS6detail15normal_iteratorINS9_10device_ptrIxEEEESE_SE_xNS9_4plusIvEENS9_8equal_toIxEExEE10hipError_tPvRmT2_T3_T4_T5_mT6_T7_P12ihipStream_tbENKUlT_T0_E_clISt17integral_constantIbLb0EESZ_EEDaSU_SV_EUlSU_E_NS1_11comp_targetILNS1_3genE4ELNS1_11target_archE910ELNS1_3gpuE8ELNS1_3repE0EEENS1_30default_config_static_selectorELNS0_4arch9wavefront6targetE0EEEvT1_.has_recursion, 0
	.set _ZN7rocprim17ROCPRIM_400000_NS6detail17trampoline_kernelINS0_14default_configENS1_27scan_by_key_config_selectorIxxEEZZNS1_16scan_by_key_implILNS1_25lookback_scan_determinismE0ELb0ES3_N6thrust23THRUST_200600_302600_NS6detail15normal_iteratorINS9_10device_ptrIxEEEESE_SE_xNS9_4plusIvEENS9_8equal_toIxEExEE10hipError_tPvRmT2_T3_T4_T5_mT6_T7_P12ihipStream_tbENKUlT_T0_E_clISt17integral_constantIbLb0EESZ_EEDaSU_SV_EUlSU_E_NS1_11comp_targetILNS1_3genE4ELNS1_11target_archE910ELNS1_3gpuE8ELNS1_3repE0EEENS1_30default_config_static_selectorELNS0_4arch9wavefront6targetE0EEEvT1_.has_indirect_call, 0
	.section	.AMDGPU.csdata,"",@progbits
; Kernel info:
; codeLenInByte = 0
; TotalNumSgprs: 0
; NumVgprs: 0
; ScratchSize: 0
; MemoryBound: 0
; FloatMode: 240
; IeeeMode: 1
; LDSByteSize: 0 bytes/workgroup (compile time only)
; SGPRBlocks: 0
; VGPRBlocks: 0
; NumSGPRsForWavesPerEU: 1
; NumVGPRsForWavesPerEU: 1
; Occupancy: 16
; WaveLimiterHint : 0
; COMPUTE_PGM_RSRC2:SCRATCH_EN: 0
; COMPUTE_PGM_RSRC2:USER_SGPR: 6
; COMPUTE_PGM_RSRC2:TRAP_HANDLER: 0
; COMPUTE_PGM_RSRC2:TGID_X_EN: 1
; COMPUTE_PGM_RSRC2:TGID_Y_EN: 0
; COMPUTE_PGM_RSRC2:TGID_Z_EN: 0
; COMPUTE_PGM_RSRC2:TIDIG_COMP_CNT: 0
	.section	.text._ZN7rocprim17ROCPRIM_400000_NS6detail17trampoline_kernelINS0_14default_configENS1_27scan_by_key_config_selectorIxxEEZZNS1_16scan_by_key_implILNS1_25lookback_scan_determinismE0ELb0ES3_N6thrust23THRUST_200600_302600_NS6detail15normal_iteratorINS9_10device_ptrIxEEEESE_SE_xNS9_4plusIvEENS9_8equal_toIxEExEE10hipError_tPvRmT2_T3_T4_T5_mT6_T7_P12ihipStream_tbENKUlT_T0_E_clISt17integral_constantIbLb0EESZ_EEDaSU_SV_EUlSU_E_NS1_11comp_targetILNS1_3genE3ELNS1_11target_archE908ELNS1_3gpuE7ELNS1_3repE0EEENS1_30default_config_static_selectorELNS0_4arch9wavefront6targetE0EEEvT1_,"axG",@progbits,_ZN7rocprim17ROCPRIM_400000_NS6detail17trampoline_kernelINS0_14default_configENS1_27scan_by_key_config_selectorIxxEEZZNS1_16scan_by_key_implILNS1_25lookback_scan_determinismE0ELb0ES3_N6thrust23THRUST_200600_302600_NS6detail15normal_iteratorINS9_10device_ptrIxEEEESE_SE_xNS9_4plusIvEENS9_8equal_toIxEExEE10hipError_tPvRmT2_T3_T4_T5_mT6_T7_P12ihipStream_tbENKUlT_T0_E_clISt17integral_constantIbLb0EESZ_EEDaSU_SV_EUlSU_E_NS1_11comp_targetILNS1_3genE3ELNS1_11target_archE908ELNS1_3gpuE7ELNS1_3repE0EEENS1_30default_config_static_selectorELNS0_4arch9wavefront6targetE0EEEvT1_,comdat
	.protected	_ZN7rocprim17ROCPRIM_400000_NS6detail17trampoline_kernelINS0_14default_configENS1_27scan_by_key_config_selectorIxxEEZZNS1_16scan_by_key_implILNS1_25lookback_scan_determinismE0ELb0ES3_N6thrust23THRUST_200600_302600_NS6detail15normal_iteratorINS9_10device_ptrIxEEEESE_SE_xNS9_4plusIvEENS9_8equal_toIxEExEE10hipError_tPvRmT2_T3_T4_T5_mT6_T7_P12ihipStream_tbENKUlT_T0_E_clISt17integral_constantIbLb0EESZ_EEDaSU_SV_EUlSU_E_NS1_11comp_targetILNS1_3genE3ELNS1_11target_archE908ELNS1_3gpuE7ELNS1_3repE0EEENS1_30default_config_static_selectorELNS0_4arch9wavefront6targetE0EEEvT1_ ; -- Begin function _ZN7rocprim17ROCPRIM_400000_NS6detail17trampoline_kernelINS0_14default_configENS1_27scan_by_key_config_selectorIxxEEZZNS1_16scan_by_key_implILNS1_25lookback_scan_determinismE0ELb0ES3_N6thrust23THRUST_200600_302600_NS6detail15normal_iteratorINS9_10device_ptrIxEEEESE_SE_xNS9_4plusIvEENS9_8equal_toIxEExEE10hipError_tPvRmT2_T3_T4_T5_mT6_T7_P12ihipStream_tbENKUlT_T0_E_clISt17integral_constantIbLb0EESZ_EEDaSU_SV_EUlSU_E_NS1_11comp_targetILNS1_3genE3ELNS1_11target_archE908ELNS1_3gpuE7ELNS1_3repE0EEENS1_30default_config_static_selectorELNS0_4arch9wavefront6targetE0EEEvT1_
	.globl	_ZN7rocprim17ROCPRIM_400000_NS6detail17trampoline_kernelINS0_14default_configENS1_27scan_by_key_config_selectorIxxEEZZNS1_16scan_by_key_implILNS1_25lookback_scan_determinismE0ELb0ES3_N6thrust23THRUST_200600_302600_NS6detail15normal_iteratorINS9_10device_ptrIxEEEESE_SE_xNS9_4plusIvEENS9_8equal_toIxEExEE10hipError_tPvRmT2_T3_T4_T5_mT6_T7_P12ihipStream_tbENKUlT_T0_E_clISt17integral_constantIbLb0EESZ_EEDaSU_SV_EUlSU_E_NS1_11comp_targetILNS1_3genE3ELNS1_11target_archE908ELNS1_3gpuE7ELNS1_3repE0EEENS1_30default_config_static_selectorELNS0_4arch9wavefront6targetE0EEEvT1_
	.p2align	8
	.type	_ZN7rocprim17ROCPRIM_400000_NS6detail17trampoline_kernelINS0_14default_configENS1_27scan_by_key_config_selectorIxxEEZZNS1_16scan_by_key_implILNS1_25lookback_scan_determinismE0ELb0ES3_N6thrust23THRUST_200600_302600_NS6detail15normal_iteratorINS9_10device_ptrIxEEEESE_SE_xNS9_4plusIvEENS9_8equal_toIxEExEE10hipError_tPvRmT2_T3_T4_T5_mT6_T7_P12ihipStream_tbENKUlT_T0_E_clISt17integral_constantIbLb0EESZ_EEDaSU_SV_EUlSU_E_NS1_11comp_targetILNS1_3genE3ELNS1_11target_archE908ELNS1_3gpuE7ELNS1_3repE0EEENS1_30default_config_static_selectorELNS0_4arch9wavefront6targetE0EEEvT1_,@function
_ZN7rocprim17ROCPRIM_400000_NS6detail17trampoline_kernelINS0_14default_configENS1_27scan_by_key_config_selectorIxxEEZZNS1_16scan_by_key_implILNS1_25lookback_scan_determinismE0ELb0ES3_N6thrust23THRUST_200600_302600_NS6detail15normal_iteratorINS9_10device_ptrIxEEEESE_SE_xNS9_4plusIvEENS9_8equal_toIxEExEE10hipError_tPvRmT2_T3_T4_T5_mT6_T7_P12ihipStream_tbENKUlT_T0_E_clISt17integral_constantIbLb0EESZ_EEDaSU_SV_EUlSU_E_NS1_11comp_targetILNS1_3genE3ELNS1_11target_archE908ELNS1_3gpuE7ELNS1_3repE0EEENS1_30default_config_static_selectorELNS0_4arch9wavefront6targetE0EEEvT1_: ; @_ZN7rocprim17ROCPRIM_400000_NS6detail17trampoline_kernelINS0_14default_configENS1_27scan_by_key_config_selectorIxxEEZZNS1_16scan_by_key_implILNS1_25lookback_scan_determinismE0ELb0ES3_N6thrust23THRUST_200600_302600_NS6detail15normal_iteratorINS9_10device_ptrIxEEEESE_SE_xNS9_4plusIvEENS9_8equal_toIxEExEE10hipError_tPvRmT2_T3_T4_T5_mT6_T7_P12ihipStream_tbENKUlT_T0_E_clISt17integral_constantIbLb0EESZ_EEDaSU_SV_EUlSU_E_NS1_11comp_targetILNS1_3genE3ELNS1_11target_archE908ELNS1_3gpuE7ELNS1_3repE0EEENS1_30default_config_static_selectorELNS0_4arch9wavefront6targetE0EEEvT1_
; %bb.0:
	.section	.rodata,"a",@progbits
	.p2align	6, 0x0
	.amdhsa_kernel _ZN7rocprim17ROCPRIM_400000_NS6detail17trampoline_kernelINS0_14default_configENS1_27scan_by_key_config_selectorIxxEEZZNS1_16scan_by_key_implILNS1_25lookback_scan_determinismE0ELb0ES3_N6thrust23THRUST_200600_302600_NS6detail15normal_iteratorINS9_10device_ptrIxEEEESE_SE_xNS9_4plusIvEENS9_8equal_toIxEExEE10hipError_tPvRmT2_T3_T4_T5_mT6_T7_P12ihipStream_tbENKUlT_T0_E_clISt17integral_constantIbLb0EESZ_EEDaSU_SV_EUlSU_E_NS1_11comp_targetILNS1_3genE3ELNS1_11target_archE908ELNS1_3gpuE7ELNS1_3repE0EEENS1_30default_config_static_selectorELNS0_4arch9wavefront6targetE0EEEvT1_
		.amdhsa_group_segment_fixed_size 0
		.amdhsa_private_segment_fixed_size 0
		.amdhsa_kernarg_size 136
		.amdhsa_user_sgpr_count 6
		.amdhsa_user_sgpr_private_segment_buffer 1
		.amdhsa_user_sgpr_dispatch_ptr 0
		.amdhsa_user_sgpr_queue_ptr 0
		.amdhsa_user_sgpr_kernarg_segment_ptr 1
		.amdhsa_user_sgpr_dispatch_id 0
		.amdhsa_user_sgpr_flat_scratch_init 0
		.amdhsa_user_sgpr_private_segment_size 0
		.amdhsa_wavefront_size32 1
		.amdhsa_uses_dynamic_stack 0
		.amdhsa_system_sgpr_private_segment_wavefront_offset 0
		.amdhsa_system_sgpr_workgroup_id_x 1
		.amdhsa_system_sgpr_workgroup_id_y 0
		.amdhsa_system_sgpr_workgroup_id_z 0
		.amdhsa_system_sgpr_workgroup_info 0
		.amdhsa_system_vgpr_workitem_id 0
		.amdhsa_next_free_vgpr 1
		.amdhsa_next_free_sgpr 1
		.amdhsa_reserve_vcc 0
		.amdhsa_reserve_flat_scratch 0
		.amdhsa_float_round_mode_32 0
		.amdhsa_float_round_mode_16_64 0
		.amdhsa_float_denorm_mode_32 3
		.amdhsa_float_denorm_mode_16_64 3
		.amdhsa_dx10_clamp 1
		.amdhsa_ieee_mode 1
		.amdhsa_fp16_overflow 0
		.amdhsa_workgroup_processor_mode 1
		.amdhsa_memory_ordered 1
		.amdhsa_forward_progress 1
		.amdhsa_shared_vgpr_count 0
		.amdhsa_exception_fp_ieee_invalid_op 0
		.amdhsa_exception_fp_denorm_src 0
		.amdhsa_exception_fp_ieee_div_zero 0
		.amdhsa_exception_fp_ieee_overflow 0
		.amdhsa_exception_fp_ieee_underflow 0
		.amdhsa_exception_fp_ieee_inexact 0
		.amdhsa_exception_int_div_zero 0
	.end_amdhsa_kernel
	.section	.text._ZN7rocprim17ROCPRIM_400000_NS6detail17trampoline_kernelINS0_14default_configENS1_27scan_by_key_config_selectorIxxEEZZNS1_16scan_by_key_implILNS1_25lookback_scan_determinismE0ELb0ES3_N6thrust23THRUST_200600_302600_NS6detail15normal_iteratorINS9_10device_ptrIxEEEESE_SE_xNS9_4plusIvEENS9_8equal_toIxEExEE10hipError_tPvRmT2_T3_T4_T5_mT6_T7_P12ihipStream_tbENKUlT_T0_E_clISt17integral_constantIbLb0EESZ_EEDaSU_SV_EUlSU_E_NS1_11comp_targetILNS1_3genE3ELNS1_11target_archE908ELNS1_3gpuE7ELNS1_3repE0EEENS1_30default_config_static_selectorELNS0_4arch9wavefront6targetE0EEEvT1_,"axG",@progbits,_ZN7rocprim17ROCPRIM_400000_NS6detail17trampoline_kernelINS0_14default_configENS1_27scan_by_key_config_selectorIxxEEZZNS1_16scan_by_key_implILNS1_25lookback_scan_determinismE0ELb0ES3_N6thrust23THRUST_200600_302600_NS6detail15normal_iteratorINS9_10device_ptrIxEEEESE_SE_xNS9_4plusIvEENS9_8equal_toIxEExEE10hipError_tPvRmT2_T3_T4_T5_mT6_T7_P12ihipStream_tbENKUlT_T0_E_clISt17integral_constantIbLb0EESZ_EEDaSU_SV_EUlSU_E_NS1_11comp_targetILNS1_3genE3ELNS1_11target_archE908ELNS1_3gpuE7ELNS1_3repE0EEENS1_30default_config_static_selectorELNS0_4arch9wavefront6targetE0EEEvT1_,comdat
.Lfunc_end87:
	.size	_ZN7rocprim17ROCPRIM_400000_NS6detail17trampoline_kernelINS0_14default_configENS1_27scan_by_key_config_selectorIxxEEZZNS1_16scan_by_key_implILNS1_25lookback_scan_determinismE0ELb0ES3_N6thrust23THRUST_200600_302600_NS6detail15normal_iteratorINS9_10device_ptrIxEEEESE_SE_xNS9_4plusIvEENS9_8equal_toIxEExEE10hipError_tPvRmT2_T3_T4_T5_mT6_T7_P12ihipStream_tbENKUlT_T0_E_clISt17integral_constantIbLb0EESZ_EEDaSU_SV_EUlSU_E_NS1_11comp_targetILNS1_3genE3ELNS1_11target_archE908ELNS1_3gpuE7ELNS1_3repE0EEENS1_30default_config_static_selectorELNS0_4arch9wavefront6targetE0EEEvT1_, .Lfunc_end87-_ZN7rocprim17ROCPRIM_400000_NS6detail17trampoline_kernelINS0_14default_configENS1_27scan_by_key_config_selectorIxxEEZZNS1_16scan_by_key_implILNS1_25lookback_scan_determinismE0ELb0ES3_N6thrust23THRUST_200600_302600_NS6detail15normal_iteratorINS9_10device_ptrIxEEEESE_SE_xNS9_4plusIvEENS9_8equal_toIxEExEE10hipError_tPvRmT2_T3_T4_T5_mT6_T7_P12ihipStream_tbENKUlT_T0_E_clISt17integral_constantIbLb0EESZ_EEDaSU_SV_EUlSU_E_NS1_11comp_targetILNS1_3genE3ELNS1_11target_archE908ELNS1_3gpuE7ELNS1_3repE0EEENS1_30default_config_static_selectorELNS0_4arch9wavefront6targetE0EEEvT1_
                                        ; -- End function
	.set _ZN7rocprim17ROCPRIM_400000_NS6detail17trampoline_kernelINS0_14default_configENS1_27scan_by_key_config_selectorIxxEEZZNS1_16scan_by_key_implILNS1_25lookback_scan_determinismE0ELb0ES3_N6thrust23THRUST_200600_302600_NS6detail15normal_iteratorINS9_10device_ptrIxEEEESE_SE_xNS9_4plusIvEENS9_8equal_toIxEExEE10hipError_tPvRmT2_T3_T4_T5_mT6_T7_P12ihipStream_tbENKUlT_T0_E_clISt17integral_constantIbLb0EESZ_EEDaSU_SV_EUlSU_E_NS1_11comp_targetILNS1_3genE3ELNS1_11target_archE908ELNS1_3gpuE7ELNS1_3repE0EEENS1_30default_config_static_selectorELNS0_4arch9wavefront6targetE0EEEvT1_.num_vgpr, 0
	.set _ZN7rocprim17ROCPRIM_400000_NS6detail17trampoline_kernelINS0_14default_configENS1_27scan_by_key_config_selectorIxxEEZZNS1_16scan_by_key_implILNS1_25lookback_scan_determinismE0ELb0ES3_N6thrust23THRUST_200600_302600_NS6detail15normal_iteratorINS9_10device_ptrIxEEEESE_SE_xNS9_4plusIvEENS9_8equal_toIxEExEE10hipError_tPvRmT2_T3_T4_T5_mT6_T7_P12ihipStream_tbENKUlT_T0_E_clISt17integral_constantIbLb0EESZ_EEDaSU_SV_EUlSU_E_NS1_11comp_targetILNS1_3genE3ELNS1_11target_archE908ELNS1_3gpuE7ELNS1_3repE0EEENS1_30default_config_static_selectorELNS0_4arch9wavefront6targetE0EEEvT1_.num_agpr, 0
	.set _ZN7rocprim17ROCPRIM_400000_NS6detail17trampoline_kernelINS0_14default_configENS1_27scan_by_key_config_selectorIxxEEZZNS1_16scan_by_key_implILNS1_25lookback_scan_determinismE0ELb0ES3_N6thrust23THRUST_200600_302600_NS6detail15normal_iteratorINS9_10device_ptrIxEEEESE_SE_xNS9_4plusIvEENS9_8equal_toIxEExEE10hipError_tPvRmT2_T3_T4_T5_mT6_T7_P12ihipStream_tbENKUlT_T0_E_clISt17integral_constantIbLb0EESZ_EEDaSU_SV_EUlSU_E_NS1_11comp_targetILNS1_3genE3ELNS1_11target_archE908ELNS1_3gpuE7ELNS1_3repE0EEENS1_30default_config_static_selectorELNS0_4arch9wavefront6targetE0EEEvT1_.numbered_sgpr, 0
	.set _ZN7rocprim17ROCPRIM_400000_NS6detail17trampoline_kernelINS0_14default_configENS1_27scan_by_key_config_selectorIxxEEZZNS1_16scan_by_key_implILNS1_25lookback_scan_determinismE0ELb0ES3_N6thrust23THRUST_200600_302600_NS6detail15normal_iteratorINS9_10device_ptrIxEEEESE_SE_xNS9_4plusIvEENS9_8equal_toIxEExEE10hipError_tPvRmT2_T3_T4_T5_mT6_T7_P12ihipStream_tbENKUlT_T0_E_clISt17integral_constantIbLb0EESZ_EEDaSU_SV_EUlSU_E_NS1_11comp_targetILNS1_3genE3ELNS1_11target_archE908ELNS1_3gpuE7ELNS1_3repE0EEENS1_30default_config_static_selectorELNS0_4arch9wavefront6targetE0EEEvT1_.num_named_barrier, 0
	.set _ZN7rocprim17ROCPRIM_400000_NS6detail17trampoline_kernelINS0_14default_configENS1_27scan_by_key_config_selectorIxxEEZZNS1_16scan_by_key_implILNS1_25lookback_scan_determinismE0ELb0ES3_N6thrust23THRUST_200600_302600_NS6detail15normal_iteratorINS9_10device_ptrIxEEEESE_SE_xNS9_4plusIvEENS9_8equal_toIxEExEE10hipError_tPvRmT2_T3_T4_T5_mT6_T7_P12ihipStream_tbENKUlT_T0_E_clISt17integral_constantIbLb0EESZ_EEDaSU_SV_EUlSU_E_NS1_11comp_targetILNS1_3genE3ELNS1_11target_archE908ELNS1_3gpuE7ELNS1_3repE0EEENS1_30default_config_static_selectorELNS0_4arch9wavefront6targetE0EEEvT1_.private_seg_size, 0
	.set _ZN7rocprim17ROCPRIM_400000_NS6detail17trampoline_kernelINS0_14default_configENS1_27scan_by_key_config_selectorIxxEEZZNS1_16scan_by_key_implILNS1_25lookback_scan_determinismE0ELb0ES3_N6thrust23THRUST_200600_302600_NS6detail15normal_iteratorINS9_10device_ptrIxEEEESE_SE_xNS9_4plusIvEENS9_8equal_toIxEExEE10hipError_tPvRmT2_T3_T4_T5_mT6_T7_P12ihipStream_tbENKUlT_T0_E_clISt17integral_constantIbLb0EESZ_EEDaSU_SV_EUlSU_E_NS1_11comp_targetILNS1_3genE3ELNS1_11target_archE908ELNS1_3gpuE7ELNS1_3repE0EEENS1_30default_config_static_selectorELNS0_4arch9wavefront6targetE0EEEvT1_.uses_vcc, 0
	.set _ZN7rocprim17ROCPRIM_400000_NS6detail17trampoline_kernelINS0_14default_configENS1_27scan_by_key_config_selectorIxxEEZZNS1_16scan_by_key_implILNS1_25lookback_scan_determinismE0ELb0ES3_N6thrust23THRUST_200600_302600_NS6detail15normal_iteratorINS9_10device_ptrIxEEEESE_SE_xNS9_4plusIvEENS9_8equal_toIxEExEE10hipError_tPvRmT2_T3_T4_T5_mT6_T7_P12ihipStream_tbENKUlT_T0_E_clISt17integral_constantIbLb0EESZ_EEDaSU_SV_EUlSU_E_NS1_11comp_targetILNS1_3genE3ELNS1_11target_archE908ELNS1_3gpuE7ELNS1_3repE0EEENS1_30default_config_static_selectorELNS0_4arch9wavefront6targetE0EEEvT1_.uses_flat_scratch, 0
	.set _ZN7rocprim17ROCPRIM_400000_NS6detail17trampoline_kernelINS0_14default_configENS1_27scan_by_key_config_selectorIxxEEZZNS1_16scan_by_key_implILNS1_25lookback_scan_determinismE0ELb0ES3_N6thrust23THRUST_200600_302600_NS6detail15normal_iteratorINS9_10device_ptrIxEEEESE_SE_xNS9_4plusIvEENS9_8equal_toIxEExEE10hipError_tPvRmT2_T3_T4_T5_mT6_T7_P12ihipStream_tbENKUlT_T0_E_clISt17integral_constantIbLb0EESZ_EEDaSU_SV_EUlSU_E_NS1_11comp_targetILNS1_3genE3ELNS1_11target_archE908ELNS1_3gpuE7ELNS1_3repE0EEENS1_30default_config_static_selectorELNS0_4arch9wavefront6targetE0EEEvT1_.has_dyn_sized_stack, 0
	.set _ZN7rocprim17ROCPRIM_400000_NS6detail17trampoline_kernelINS0_14default_configENS1_27scan_by_key_config_selectorIxxEEZZNS1_16scan_by_key_implILNS1_25lookback_scan_determinismE0ELb0ES3_N6thrust23THRUST_200600_302600_NS6detail15normal_iteratorINS9_10device_ptrIxEEEESE_SE_xNS9_4plusIvEENS9_8equal_toIxEExEE10hipError_tPvRmT2_T3_T4_T5_mT6_T7_P12ihipStream_tbENKUlT_T0_E_clISt17integral_constantIbLb0EESZ_EEDaSU_SV_EUlSU_E_NS1_11comp_targetILNS1_3genE3ELNS1_11target_archE908ELNS1_3gpuE7ELNS1_3repE0EEENS1_30default_config_static_selectorELNS0_4arch9wavefront6targetE0EEEvT1_.has_recursion, 0
	.set _ZN7rocprim17ROCPRIM_400000_NS6detail17trampoline_kernelINS0_14default_configENS1_27scan_by_key_config_selectorIxxEEZZNS1_16scan_by_key_implILNS1_25lookback_scan_determinismE0ELb0ES3_N6thrust23THRUST_200600_302600_NS6detail15normal_iteratorINS9_10device_ptrIxEEEESE_SE_xNS9_4plusIvEENS9_8equal_toIxEExEE10hipError_tPvRmT2_T3_T4_T5_mT6_T7_P12ihipStream_tbENKUlT_T0_E_clISt17integral_constantIbLb0EESZ_EEDaSU_SV_EUlSU_E_NS1_11comp_targetILNS1_3genE3ELNS1_11target_archE908ELNS1_3gpuE7ELNS1_3repE0EEENS1_30default_config_static_selectorELNS0_4arch9wavefront6targetE0EEEvT1_.has_indirect_call, 0
	.section	.AMDGPU.csdata,"",@progbits
; Kernel info:
; codeLenInByte = 0
; TotalNumSgprs: 0
; NumVgprs: 0
; ScratchSize: 0
; MemoryBound: 0
; FloatMode: 240
; IeeeMode: 1
; LDSByteSize: 0 bytes/workgroup (compile time only)
; SGPRBlocks: 0
; VGPRBlocks: 0
; NumSGPRsForWavesPerEU: 1
; NumVGPRsForWavesPerEU: 1
; Occupancy: 16
; WaveLimiterHint : 0
; COMPUTE_PGM_RSRC2:SCRATCH_EN: 0
; COMPUTE_PGM_RSRC2:USER_SGPR: 6
; COMPUTE_PGM_RSRC2:TRAP_HANDLER: 0
; COMPUTE_PGM_RSRC2:TGID_X_EN: 1
; COMPUTE_PGM_RSRC2:TGID_Y_EN: 0
; COMPUTE_PGM_RSRC2:TGID_Z_EN: 0
; COMPUTE_PGM_RSRC2:TIDIG_COMP_CNT: 0
	.section	.text._ZN7rocprim17ROCPRIM_400000_NS6detail17trampoline_kernelINS0_14default_configENS1_27scan_by_key_config_selectorIxxEEZZNS1_16scan_by_key_implILNS1_25lookback_scan_determinismE0ELb0ES3_N6thrust23THRUST_200600_302600_NS6detail15normal_iteratorINS9_10device_ptrIxEEEESE_SE_xNS9_4plusIvEENS9_8equal_toIxEExEE10hipError_tPvRmT2_T3_T4_T5_mT6_T7_P12ihipStream_tbENKUlT_T0_E_clISt17integral_constantIbLb0EESZ_EEDaSU_SV_EUlSU_E_NS1_11comp_targetILNS1_3genE2ELNS1_11target_archE906ELNS1_3gpuE6ELNS1_3repE0EEENS1_30default_config_static_selectorELNS0_4arch9wavefront6targetE0EEEvT1_,"axG",@progbits,_ZN7rocprim17ROCPRIM_400000_NS6detail17trampoline_kernelINS0_14default_configENS1_27scan_by_key_config_selectorIxxEEZZNS1_16scan_by_key_implILNS1_25lookback_scan_determinismE0ELb0ES3_N6thrust23THRUST_200600_302600_NS6detail15normal_iteratorINS9_10device_ptrIxEEEESE_SE_xNS9_4plusIvEENS9_8equal_toIxEExEE10hipError_tPvRmT2_T3_T4_T5_mT6_T7_P12ihipStream_tbENKUlT_T0_E_clISt17integral_constantIbLb0EESZ_EEDaSU_SV_EUlSU_E_NS1_11comp_targetILNS1_3genE2ELNS1_11target_archE906ELNS1_3gpuE6ELNS1_3repE0EEENS1_30default_config_static_selectorELNS0_4arch9wavefront6targetE0EEEvT1_,comdat
	.protected	_ZN7rocprim17ROCPRIM_400000_NS6detail17trampoline_kernelINS0_14default_configENS1_27scan_by_key_config_selectorIxxEEZZNS1_16scan_by_key_implILNS1_25lookback_scan_determinismE0ELb0ES3_N6thrust23THRUST_200600_302600_NS6detail15normal_iteratorINS9_10device_ptrIxEEEESE_SE_xNS9_4plusIvEENS9_8equal_toIxEExEE10hipError_tPvRmT2_T3_T4_T5_mT6_T7_P12ihipStream_tbENKUlT_T0_E_clISt17integral_constantIbLb0EESZ_EEDaSU_SV_EUlSU_E_NS1_11comp_targetILNS1_3genE2ELNS1_11target_archE906ELNS1_3gpuE6ELNS1_3repE0EEENS1_30default_config_static_selectorELNS0_4arch9wavefront6targetE0EEEvT1_ ; -- Begin function _ZN7rocprim17ROCPRIM_400000_NS6detail17trampoline_kernelINS0_14default_configENS1_27scan_by_key_config_selectorIxxEEZZNS1_16scan_by_key_implILNS1_25lookback_scan_determinismE0ELb0ES3_N6thrust23THRUST_200600_302600_NS6detail15normal_iteratorINS9_10device_ptrIxEEEESE_SE_xNS9_4plusIvEENS9_8equal_toIxEExEE10hipError_tPvRmT2_T3_T4_T5_mT6_T7_P12ihipStream_tbENKUlT_T0_E_clISt17integral_constantIbLb0EESZ_EEDaSU_SV_EUlSU_E_NS1_11comp_targetILNS1_3genE2ELNS1_11target_archE906ELNS1_3gpuE6ELNS1_3repE0EEENS1_30default_config_static_selectorELNS0_4arch9wavefront6targetE0EEEvT1_
	.globl	_ZN7rocprim17ROCPRIM_400000_NS6detail17trampoline_kernelINS0_14default_configENS1_27scan_by_key_config_selectorIxxEEZZNS1_16scan_by_key_implILNS1_25lookback_scan_determinismE0ELb0ES3_N6thrust23THRUST_200600_302600_NS6detail15normal_iteratorINS9_10device_ptrIxEEEESE_SE_xNS9_4plusIvEENS9_8equal_toIxEExEE10hipError_tPvRmT2_T3_T4_T5_mT6_T7_P12ihipStream_tbENKUlT_T0_E_clISt17integral_constantIbLb0EESZ_EEDaSU_SV_EUlSU_E_NS1_11comp_targetILNS1_3genE2ELNS1_11target_archE906ELNS1_3gpuE6ELNS1_3repE0EEENS1_30default_config_static_selectorELNS0_4arch9wavefront6targetE0EEEvT1_
	.p2align	8
	.type	_ZN7rocprim17ROCPRIM_400000_NS6detail17trampoline_kernelINS0_14default_configENS1_27scan_by_key_config_selectorIxxEEZZNS1_16scan_by_key_implILNS1_25lookback_scan_determinismE0ELb0ES3_N6thrust23THRUST_200600_302600_NS6detail15normal_iteratorINS9_10device_ptrIxEEEESE_SE_xNS9_4plusIvEENS9_8equal_toIxEExEE10hipError_tPvRmT2_T3_T4_T5_mT6_T7_P12ihipStream_tbENKUlT_T0_E_clISt17integral_constantIbLb0EESZ_EEDaSU_SV_EUlSU_E_NS1_11comp_targetILNS1_3genE2ELNS1_11target_archE906ELNS1_3gpuE6ELNS1_3repE0EEENS1_30default_config_static_selectorELNS0_4arch9wavefront6targetE0EEEvT1_,@function
_ZN7rocprim17ROCPRIM_400000_NS6detail17trampoline_kernelINS0_14default_configENS1_27scan_by_key_config_selectorIxxEEZZNS1_16scan_by_key_implILNS1_25lookback_scan_determinismE0ELb0ES3_N6thrust23THRUST_200600_302600_NS6detail15normal_iteratorINS9_10device_ptrIxEEEESE_SE_xNS9_4plusIvEENS9_8equal_toIxEExEE10hipError_tPvRmT2_T3_T4_T5_mT6_T7_P12ihipStream_tbENKUlT_T0_E_clISt17integral_constantIbLb0EESZ_EEDaSU_SV_EUlSU_E_NS1_11comp_targetILNS1_3genE2ELNS1_11target_archE906ELNS1_3gpuE6ELNS1_3repE0EEENS1_30default_config_static_selectorELNS0_4arch9wavefront6targetE0EEEvT1_: ; @_ZN7rocprim17ROCPRIM_400000_NS6detail17trampoline_kernelINS0_14default_configENS1_27scan_by_key_config_selectorIxxEEZZNS1_16scan_by_key_implILNS1_25lookback_scan_determinismE0ELb0ES3_N6thrust23THRUST_200600_302600_NS6detail15normal_iteratorINS9_10device_ptrIxEEEESE_SE_xNS9_4plusIvEENS9_8equal_toIxEExEE10hipError_tPvRmT2_T3_T4_T5_mT6_T7_P12ihipStream_tbENKUlT_T0_E_clISt17integral_constantIbLb0EESZ_EEDaSU_SV_EUlSU_E_NS1_11comp_targetILNS1_3genE2ELNS1_11target_archE906ELNS1_3gpuE6ELNS1_3repE0EEENS1_30default_config_static_selectorELNS0_4arch9wavefront6targetE0EEEvT1_
; %bb.0:
	.section	.rodata,"a",@progbits
	.p2align	6, 0x0
	.amdhsa_kernel _ZN7rocprim17ROCPRIM_400000_NS6detail17trampoline_kernelINS0_14default_configENS1_27scan_by_key_config_selectorIxxEEZZNS1_16scan_by_key_implILNS1_25lookback_scan_determinismE0ELb0ES3_N6thrust23THRUST_200600_302600_NS6detail15normal_iteratorINS9_10device_ptrIxEEEESE_SE_xNS9_4plusIvEENS9_8equal_toIxEExEE10hipError_tPvRmT2_T3_T4_T5_mT6_T7_P12ihipStream_tbENKUlT_T0_E_clISt17integral_constantIbLb0EESZ_EEDaSU_SV_EUlSU_E_NS1_11comp_targetILNS1_3genE2ELNS1_11target_archE906ELNS1_3gpuE6ELNS1_3repE0EEENS1_30default_config_static_selectorELNS0_4arch9wavefront6targetE0EEEvT1_
		.amdhsa_group_segment_fixed_size 0
		.amdhsa_private_segment_fixed_size 0
		.amdhsa_kernarg_size 136
		.amdhsa_user_sgpr_count 6
		.amdhsa_user_sgpr_private_segment_buffer 1
		.amdhsa_user_sgpr_dispatch_ptr 0
		.amdhsa_user_sgpr_queue_ptr 0
		.amdhsa_user_sgpr_kernarg_segment_ptr 1
		.amdhsa_user_sgpr_dispatch_id 0
		.amdhsa_user_sgpr_flat_scratch_init 0
		.amdhsa_user_sgpr_private_segment_size 0
		.amdhsa_wavefront_size32 1
		.amdhsa_uses_dynamic_stack 0
		.amdhsa_system_sgpr_private_segment_wavefront_offset 0
		.amdhsa_system_sgpr_workgroup_id_x 1
		.amdhsa_system_sgpr_workgroup_id_y 0
		.amdhsa_system_sgpr_workgroup_id_z 0
		.amdhsa_system_sgpr_workgroup_info 0
		.amdhsa_system_vgpr_workitem_id 0
		.amdhsa_next_free_vgpr 1
		.amdhsa_next_free_sgpr 1
		.amdhsa_reserve_vcc 0
		.amdhsa_reserve_flat_scratch 0
		.amdhsa_float_round_mode_32 0
		.amdhsa_float_round_mode_16_64 0
		.amdhsa_float_denorm_mode_32 3
		.amdhsa_float_denorm_mode_16_64 3
		.amdhsa_dx10_clamp 1
		.amdhsa_ieee_mode 1
		.amdhsa_fp16_overflow 0
		.amdhsa_workgroup_processor_mode 1
		.amdhsa_memory_ordered 1
		.amdhsa_forward_progress 1
		.amdhsa_shared_vgpr_count 0
		.amdhsa_exception_fp_ieee_invalid_op 0
		.amdhsa_exception_fp_denorm_src 0
		.amdhsa_exception_fp_ieee_div_zero 0
		.amdhsa_exception_fp_ieee_overflow 0
		.amdhsa_exception_fp_ieee_underflow 0
		.amdhsa_exception_fp_ieee_inexact 0
		.amdhsa_exception_int_div_zero 0
	.end_amdhsa_kernel
	.section	.text._ZN7rocprim17ROCPRIM_400000_NS6detail17trampoline_kernelINS0_14default_configENS1_27scan_by_key_config_selectorIxxEEZZNS1_16scan_by_key_implILNS1_25lookback_scan_determinismE0ELb0ES3_N6thrust23THRUST_200600_302600_NS6detail15normal_iteratorINS9_10device_ptrIxEEEESE_SE_xNS9_4plusIvEENS9_8equal_toIxEExEE10hipError_tPvRmT2_T3_T4_T5_mT6_T7_P12ihipStream_tbENKUlT_T0_E_clISt17integral_constantIbLb0EESZ_EEDaSU_SV_EUlSU_E_NS1_11comp_targetILNS1_3genE2ELNS1_11target_archE906ELNS1_3gpuE6ELNS1_3repE0EEENS1_30default_config_static_selectorELNS0_4arch9wavefront6targetE0EEEvT1_,"axG",@progbits,_ZN7rocprim17ROCPRIM_400000_NS6detail17trampoline_kernelINS0_14default_configENS1_27scan_by_key_config_selectorIxxEEZZNS1_16scan_by_key_implILNS1_25lookback_scan_determinismE0ELb0ES3_N6thrust23THRUST_200600_302600_NS6detail15normal_iteratorINS9_10device_ptrIxEEEESE_SE_xNS9_4plusIvEENS9_8equal_toIxEExEE10hipError_tPvRmT2_T3_T4_T5_mT6_T7_P12ihipStream_tbENKUlT_T0_E_clISt17integral_constantIbLb0EESZ_EEDaSU_SV_EUlSU_E_NS1_11comp_targetILNS1_3genE2ELNS1_11target_archE906ELNS1_3gpuE6ELNS1_3repE0EEENS1_30default_config_static_selectorELNS0_4arch9wavefront6targetE0EEEvT1_,comdat
.Lfunc_end88:
	.size	_ZN7rocprim17ROCPRIM_400000_NS6detail17trampoline_kernelINS0_14default_configENS1_27scan_by_key_config_selectorIxxEEZZNS1_16scan_by_key_implILNS1_25lookback_scan_determinismE0ELb0ES3_N6thrust23THRUST_200600_302600_NS6detail15normal_iteratorINS9_10device_ptrIxEEEESE_SE_xNS9_4plusIvEENS9_8equal_toIxEExEE10hipError_tPvRmT2_T3_T4_T5_mT6_T7_P12ihipStream_tbENKUlT_T0_E_clISt17integral_constantIbLb0EESZ_EEDaSU_SV_EUlSU_E_NS1_11comp_targetILNS1_3genE2ELNS1_11target_archE906ELNS1_3gpuE6ELNS1_3repE0EEENS1_30default_config_static_selectorELNS0_4arch9wavefront6targetE0EEEvT1_, .Lfunc_end88-_ZN7rocprim17ROCPRIM_400000_NS6detail17trampoline_kernelINS0_14default_configENS1_27scan_by_key_config_selectorIxxEEZZNS1_16scan_by_key_implILNS1_25lookback_scan_determinismE0ELb0ES3_N6thrust23THRUST_200600_302600_NS6detail15normal_iteratorINS9_10device_ptrIxEEEESE_SE_xNS9_4plusIvEENS9_8equal_toIxEExEE10hipError_tPvRmT2_T3_T4_T5_mT6_T7_P12ihipStream_tbENKUlT_T0_E_clISt17integral_constantIbLb0EESZ_EEDaSU_SV_EUlSU_E_NS1_11comp_targetILNS1_3genE2ELNS1_11target_archE906ELNS1_3gpuE6ELNS1_3repE0EEENS1_30default_config_static_selectorELNS0_4arch9wavefront6targetE0EEEvT1_
                                        ; -- End function
	.set _ZN7rocprim17ROCPRIM_400000_NS6detail17trampoline_kernelINS0_14default_configENS1_27scan_by_key_config_selectorIxxEEZZNS1_16scan_by_key_implILNS1_25lookback_scan_determinismE0ELb0ES3_N6thrust23THRUST_200600_302600_NS6detail15normal_iteratorINS9_10device_ptrIxEEEESE_SE_xNS9_4plusIvEENS9_8equal_toIxEExEE10hipError_tPvRmT2_T3_T4_T5_mT6_T7_P12ihipStream_tbENKUlT_T0_E_clISt17integral_constantIbLb0EESZ_EEDaSU_SV_EUlSU_E_NS1_11comp_targetILNS1_3genE2ELNS1_11target_archE906ELNS1_3gpuE6ELNS1_3repE0EEENS1_30default_config_static_selectorELNS0_4arch9wavefront6targetE0EEEvT1_.num_vgpr, 0
	.set _ZN7rocprim17ROCPRIM_400000_NS6detail17trampoline_kernelINS0_14default_configENS1_27scan_by_key_config_selectorIxxEEZZNS1_16scan_by_key_implILNS1_25lookback_scan_determinismE0ELb0ES3_N6thrust23THRUST_200600_302600_NS6detail15normal_iteratorINS9_10device_ptrIxEEEESE_SE_xNS9_4plusIvEENS9_8equal_toIxEExEE10hipError_tPvRmT2_T3_T4_T5_mT6_T7_P12ihipStream_tbENKUlT_T0_E_clISt17integral_constantIbLb0EESZ_EEDaSU_SV_EUlSU_E_NS1_11comp_targetILNS1_3genE2ELNS1_11target_archE906ELNS1_3gpuE6ELNS1_3repE0EEENS1_30default_config_static_selectorELNS0_4arch9wavefront6targetE0EEEvT1_.num_agpr, 0
	.set _ZN7rocprim17ROCPRIM_400000_NS6detail17trampoline_kernelINS0_14default_configENS1_27scan_by_key_config_selectorIxxEEZZNS1_16scan_by_key_implILNS1_25lookback_scan_determinismE0ELb0ES3_N6thrust23THRUST_200600_302600_NS6detail15normal_iteratorINS9_10device_ptrIxEEEESE_SE_xNS9_4plusIvEENS9_8equal_toIxEExEE10hipError_tPvRmT2_T3_T4_T5_mT6_T7_P12ihipStream_tbENKUlT_T0_E_clISt17integral_constantIbLb0EESZ_EEDaSU_SV_EUlSU_E_NS1_11comp_targetILNS1_3genE2ELNS1_11target_archE906ELNS1_3gpuE6ELNS1_3repE0EEENS1_30default_config_static_selectorELNS0_4arch9wavefront6targetE0EEEvT1_.numbered_sgpr, 0
	.set _ZN7rocprim17ROCPRIM_400000_NS6detail17trampoline_kernelINS0_14default_configENS1_27scan_by_key_config_selectorIxxEEZZNS1_16scan_by_key_implILNS1_25lookback_scan_determinismE0ELb0ES3_N6thrust23THRUST_200600_302600_NS6detail15normal_iteratorINS9_10device_ptrIxEEEESE_SE_xNS9_4plusIvEENS9_8equal_toIxEExEE10hipError_tPvRmT2_T3_T4_T5_mT6_T7_P12ihipStream_tbENKUlT_T0_E_clISt17integral_constantIbLb0EESZ_EEDaSU_SV_EUlSU_E_NS1_11comp_targetILNS1_3genE2ELNS1_11target_archE906ELNS1_3gpuE6ELNS1_3repE0EEENS1_30default_config_static_selectorELNS0_4arch9wavefront6targetE0EEEvT1_.num_named_barrier, 0
	.set _ZN7rocprim17ROCPRIM_400000_NS6detail17trampoline_kernelINS0_14default_configENS1_27scan_by_key_config_selectorIxxEEZZNS1_16scan_by_key_implILNS1_25lookback_scan_determinismE0ELb0ES3_N6thrust23THRUST_200600_302600_NS6detail15normal_iteratorINS9_10device_ptrIxEEEESE_SE_xNS9_4plusIvEENS9_8equal_toIxEExEE10hipError_tPvRmT2_T3_T4_T5_mT6_T7_P12ihipStream_tbENKUlT_T0_E_clISt17integral_constantIbLb0EESZ_EEDaSU_SV_EUlSU_E_NS1_11comp_targetILNS1_3genE2ELNS1_11target_archE906ELNS1_3gpuE6ELNS1_3repE0EEENS1_30default_config_static_selectorELNS0_4arch9wavefront6targetE0EEEvT1_.private_seg_size, 0
	.set _ZN7rocprim17ROCPRIM_400000_NS6detail17trampoline_kernelINS0_14default_configENS1_27scan_by_key_config_selectorIxxEEZZNS1_16scan_by_key_implILNS1_25lookback_scan_determinismE0ELb0ES3_N6thrust23THRUST_200600_302600_NS6detail15normal_iteratorINS9_10device_ptrIxEEEESE_SE_xNS9_4plusIvEENS9_8equal_toIxEExEE10hipError_tPvRmT2_T3_T4_T5_mT6_T7_P12ihipStream_tbENKUlT_T0_E_clISt17integral_constantIbLb0EESZ_EEDaSU_SV_EUlSU_E_NS1_11comp_targetILNS1_3genE2ELNS1_11target_archE906ELNS1_3gpuE6ELNS1_3repE0EEENS1_30default_config_static_selectorELNS0_4arch9wavefront6targetE0EEEvT1_.uses_vcc, 0
	.set _ZN7rocprim17ROCPRIM_400000_NS6detail17trampoline_kernelINS0_14default_configENS1_27scan_by_key_config_selectorIxxEEZZNS1_16scan_by_key_implILNS1_25lookback_scan_determinismE0ELb0ES3_N6thrust23THRUST_200600_302600_NS6detail15normal_iteratorINS9_10device_ptrIxEEEESE_SE_xNS9_4plusIvEENS9_8equal_toIxEExEE10hipError_tPvRmT2_T3_T4_T5_mT6_T7_P12ihipStream_tbENKUlT_T0_E_clISt17integral_constantIbLb0EESZ_EEDaSU_SV_EUlSU_E_NS1_11comp_targetILNS1_3genE2ELNS1_11target_archE906ELNS1_3gpuE6ELNS1_3repE0EEENS1_30default_config_static_selectorELNS0_4arch9wavefront6targetE0EEEvT1_.uses_flat_scratch, 0
	.set _ZN7rocprim17ROCPRIM_400000_NS6detail17trampoline_kernelINS0_14default_configENS1_27scan_by_key_config_selectorIxxEEZZNS1_16scan_by_key_implILNS1_25lookback_scan_determinismE0ELb0ES3_N6thrust23THRUST_200600_302600_NS6detail15normal_iteratorINS9_10device_ptrIxEEEESE_SE_xNS9_4plusIvEENS9_8equal_toIxEExEE10hipError_tPvRmT2_T3_T4_T5_mT6_T7_P12ihipStream_tbENKUlT_T0_E_clISt17integral_constantIbLb0EESZ_EEDaSU_SV_EUlSU_E_NS1_11comp_targetILNS1_3genE2ELNS1_11target_archE906ELNS1_3gpuE6ELNS1_3repE0EEENS1_30default_config_static_selectorELNS0_4arch9wavefront6targetE0EEEvT1_.has_dyn_sized_stack, 0
	.set _ZN7rocprim17ROCPRIM_400000_NS6detail17trampoline_kernelINS0_14default_configENS1_27scan_by_key_config_selectorIxxEEZZNS1_16scan_by_key_implILNS1_25lookback_scan_determinismE0ELb0ES3_N6thrust23THRUST_200600_302600_NS6detail15normal_iteratorINS9_10device_ptrIxEEEESE_SE_xNS9_4plusIvEENS9_8equal_toIxEExEE10hipError_tPvRmT2_T3_T4_T5_mT6_T7_P12ihipStream_tbENKUlT_T0_E_clISt17integral_constantIbLb0EESZ_EEDaSU_SV_EUlSU_E_NS1_11comp_targetILNS1_3genE2ELNS1_11target_archE906ELNS1_3gpuE6ELNS1_3repE0EEENS1_30default_config_static_selectorELNS0_4arch9wavefront6targetE0EEEvT1_.has_recursion, 0
	.set _ZN7rocprim17ROCPRIM_400000_NS6detail17trampoline_kernelINS0_14default_configENS1_27scan_by_key_config_selectorIxxEEZZNS1_16scan_by_key_implILNS1_25lookback_scan_determinismE0ELb0ES3_N6thrust23THRUST_200600_302600_NS6detail15normal_iteratorINS9_10device_ptrIxEEEESE_SE_xNS9_4plusIvEENS9_8equal_toIxEExEE10hipError_tPvRmT2_T3_T4_T5_mT6_T7_P12ihipStream_tbENKUlT_T0_E_clISt17integral_constantIbLb0EESZ_EEDaSU_SV_EUlSU_E_NS1_11comp_targetILNS1_3genE2ELNS1_11target_archE906ELNS1_3gpuE6ELNS1_3repE0EEENS1_30default_config_static_selectorELNS0_4arch9wavefront6targetE0EEEvT1_.has_indirect_call, 0
	.section	.AMDGPU.csdata,"",@progbits
; Kernel info:
; codeLenInByte = 0
; TotalNumSgprs: 0
; NumVgprs: 0
; ScratchSize: 0
; MemoryBound: 0
; FloatMode: 240
; IeeeMode: 1
; LDSByteSize: 0 bytes/workgroup (compile time only)
; SGPRBlocks: 0
; VGPRBlocks: 0
; NumSGPRsForWavesPerEU: 1
; NumVGPRsForWavesPerEU: 1
; Occupancy: 16
; WaveLimiterHint : 0
; COMPUTE_PGM_RSRC2:SCRATCH_EN: 0
; COMPUTE_PGM_RSRC2:USER_SGPR: 6
; COMPUTE_PGM_RSRC2:TRAP_HANDLER: 0
; COMPUTE_PGM_RSRC2:TGID_X_EN: 1
; COMPUTE_PGM_RSRC2:TGID_Y_EN: 0
; COMPUTE_PGM_RSRC2:TGID_Z_EN: 0
; COMPUTE_PGM_RSRC2:TIDIG_COMP_CNT: 0
	.section	.text._ZN7rocprim17ROCPRIM_400000_NS6detail17trampoline_kernelINS0_14default_configENS1_27scan_by_key_config_selectorIxxEEZZNS1_16scan_by_key_implILNS1_25lookback_scan_determinismE0ELb0ES3_N6thrust23THRUST_200600_302600_NS6detail15normal_iteratorINS9_10device_ptrIxEEEESE_SE_xNS9_4plusIvEENS9_8equal_toIxEExEE10hipError_tPvRmT2_T3_T4_T5_mT6_T7_P12ihipStream_tbENKUlT_T0_E_clISt17integral_constantIbLb0EESZ_EEDaSU_SV_EUlSU_E_NS1_11comp_targetILNS1_3genE10ELNS1_11target_archE1200ELNS1_3gpuE4ELNS1_3repE0EEENS1_30default_config_static_selectorELNS0_4arch9wavefront6targetE0EEEvT1_,"axG",@progbits,_ZN7rocprim17ROCPRIM_400000_NS6detail17trampoline_kernelINS0_14default_configENS1_27scan_by_key_config_selectorIxxEEZZNS1_16scan_by_key_implILNS1_25lookback_scan_determinismE0ELb0ES3_N6thrust23THRUST_200600_302600_NS6detail15normal_iteratorINS9_10device_ptrIxEEEESE_SE_xNS9_4plusIvEENS9_8equal_toIxEExEE10hipError_tPvRmT2_T3_T4_T5_mT6_T7_P12ihipStream_tbENKUlT_T0_E_clISt17integral_constantIbLb0EESZ_EEDaSU_SV_EUlSU_E_NS1_11comp_targetILNS1_3genE10ELNS1_11target_archE1200ELNS1_3gpuE4ELNS1_3repE0EEENS1_30default_config_static_selectorELNS0_4arch9wavefront6targetE0EEEvT1_,comdat
	.protected	_ZN7rocprim17ROCPRIM_400000_NS6detail17trampoline_kernelINS0_14default_configENS1_27scan_by_key_config_selectorIxxEEZZNS1_16scan_by_key_implILNS1_25lookback_scan_determinismE0ELb0ES3_N6thrust23THRUST_200600_302600_NS6detail15normal_iteratorINS9_10device_ptrIxEEEESE_SE_xNS9_4plusIvEENS9_8equal_toIxEExEE10hipError_tPvRmT2_T3_T4_T5_mT6_T7_P12ihipStream_tbENKUlT_T0_E_clISt17integral_constantIbLb0EESZ_EEDaSU_SV_EUlSU_E_NS1_11comp_targetILNS1_3genE10ELNS1_11target_archE1200ELNS1_3gpuE4ELNS1_3repE0EEENS1_30default_config_static_selectorELNS0_4arch9wavefront6targetE0EEEvT1_ ; -- Begin function _ZN7rocprim17ROCPRIM_400000_NS6detail17trampoline_kernelINS0_14default_configENS1_27scan_by_key_config_selectorIxxEEZZNS1_16scan_by_key_implILNS1_25lookback_scan_determinismE0ELb0ES3_N6thrust23THRUST_200600_302600_NS6detail15normal_iteratorINS9_10device_ptrIxEEEESE_SE_xNS9_4plusIvEENS9_8equal_toIxEExEE10hipError_tPvRmT2_T3_T4_T5_mT6_T7_P12ihipStream_tbENKUlT_T0_E_clISt17integral_constantIbLb0EESZ_EEDaSU_SV_EUlSU_E_NS1_11comp_targetILNS1_3genE10ELNS1_11target_archE1200ELNS1_3gpuE4ELNS1_3repE0EEENS1_30default_config_static_selectorELNS0_4arch9wavefront6targetE0EEEvT1_
	.globl	_ZN7rocprim17ROCPRIM_400000_NS6detail17trampoline_kernelINS0_14default_configENS1_27scan_by_key_config_selectorIxxEEZZNS1_16scan_by_key_implILNS1_25lookback_scan_determinismE0ELb0ES3_N6thrust23THRUST_200600_302600_NS6detail15normal_iteratorINS9_10device_ptrIxEEEESE_SE_xNS9_4plusIvEENS9_8equal_toIxEExEE10hipError_tPvRmT2_T3_T4_T5_mT6_T7_P12ihipStream_tbENKUlT_T0_E_clISt17integral_constantIbLb0EESZ_EEDaSU_SV_EUlSU_E_NS1_11comp_targetILNS1_3genE10ELNS1_11target_archE1200ELNS1_3gpuE4ELNS1_3repE0EEENS1_30default_config_static_selectorELNS0_4arch9wavefront6targetE0EEEvT1_
	.p2align	8
	.type	_ZN7rocprim17ROCPRIM_400000_NS6detail17trampoline_kernelINS0_14default_configENS1_27scan_by_key_config_selectorIxxEEZZNS1_16scan_by_key_implILNS1_25lookback_scan_determinismE0ELb0ES3_N6thrust23THRUST_200600_302600_NS6detail15normal_iteratorINS9_10device_ptrIxEEEESE_SE_xNS9_4plusIvEENS9_8equal_toIxEExEE10hipError_tPvRmT2_T3_T4_T5_mT6_T7_P12ihipStream_tbENKUlT_T0_E_clISt17integral_constantIbLb0EESZ_EEDaSU_SV_EUlSU_E_NS1_11comp_targetILNS1_3genE10ELNS1_11target_archE1200ELNS1_3gpuE4ELNS1_3repE0EEENS1_30default_config_static_selectorELNS0_4arch9wavefront6targetE0EEEvT1_,@function
_ZN7rocprim17ROCPRIM_400000_NS6detail17trampoline_kernelINS0_14default_configENS1_27scan_by_key_config_selectorIxxEEZZNS1_16scan_by_key_implILNS1_25lookback_scan_determinismE0ELb0ES3_N6thrust23THRUST_200600_302600_NS6detail15normal_iteratorINS9_10device_ptrIxEEEESE_SE_xNS9_4plusIvEENS9_8equal_toIxEExEE10hipError_tPvRmT2_T3_T4_T5_mT6_T7_P12ihipStream_tbENKUlT_T0_E_clISt17integral_constantIbLb0EESZ_EEDaSU_SV_EUlSU_E_NS1_11comp_targetILNS1_3genE10ELNS1_11target_archE1200ELNS1_3gpuE4ELNS1_3repE0EEENS1_30default_config_static_selectorELNS0_4arch9wavefront6targetE0EEEvT1_: ; @_ZN7rocprim17ROCPRIM_400000_NS6detail17trampoline_kernelINS0_14default_configENS1_27scan_by_key_config_selectorIxxEEZZNS1_16scan_by_key_implILNS1_25lookback_scan_determinismE0ELb0ES3_N6thrust23THRUST_200600_302600_NS6detail15normal_iteratorINS9_10device_ptrIxEEEESE_SE_xNS9_4plusIvEENS9_8equal_toIxEExEE10hipError_tPvRmT2_T3_T4_T5_mT6_T7_P12ihipStream_tbENKUlT_T0_E_clISt17integral_constantIbLb0EESZ_EEDaSU_SV_EUlSU_E_NS1_11comp_targetILNS1_3genE10ELNS1_11target_archE1200ELNS1_3gpuE4ELNS1_3repE0EEENS1_30default_config_static_selectorELNS0_4arch9wavefront6targetE0EEEvT1_
; %bb.0:
	.section	.rodata,"a",@progbits
	.p2align	6, 0x0
	.amdhsa_kernel _ZN7rocprim17ROCPRIM_400000_NS6detail17trampoline_kernelINS0_14default_configENS1_27scan_by_key_config_selectorIxxEEZZNS1_16scan_by_key_implILNS1_25lookback_scan_determinismE0ELb0ES3_N6thrust23THRUST_200600_302600_NS6detail15normal_iteratorINS9_10device_ptrIxEEEESE_SE_xNS9_4plusIvEENS9_8equal_toIxEExEE10hipError_tPvRmT2_T3_T4_T5_mT6_T7_P12ihipStream_tbENKUlT_T0_E_clISt17integral_constantIbLb0EESZ_EEDaSU_SV_EUlSU_E_NS1_11comp_targetILNS1_3genE10ELNS1_11target_archE1200ELNS1_3gpuE4ELNS1_3repE0EEENS1_30default_config_static_selectorELNS0_4arch9wavefront6targetE0EEEvT1_
		.amdhsa_group_segment_fixed_size 0
		.amdhsa_private_segment_fixed_size 0
		.amdhsa_kernarg_size 136
		.amdhsa_user_sgpr_count 6
		.amdhsa_user_sgpr_private_segment_buffer 1
		.amdhsa_user_sgpr_dispatch_ptr 0
		.amdhsa_user_sgpr_queue_ptr 0
		.amdhsa_user_sgpr_kernarg_segment_ptr 1
		.amdhsa_user_sgpr_dispatch_id 0
		.amdhsa_user_sgpr_flat_scratch_init 0
		.amdhsa_user_sgpr_private_segment_size 0
		.amdhsa_wavefront_size32 1
		.amdhsa_uses_dynamic_stack 0
		.amdhsa_system_sgpr_private_segment_wavefront_offset 0
		.amdhsa_system_sgpr_workgroup_id_x 1
		.amdhsa_system_sgpr_workgroup_id_y 0
		.amdhsa_system_sgpr_workgroup_id_z 0
		.amdhsa_system_sgpr_workgroup_info 0
		.amdhsa_system_vgpr_workitem_id 0
		.amdhsa_next_free_vgpr 1
		.amdhsa_next_free_sgpr 1
		.amdhsa_reserve_vcc 0
		.amdhsa_reserve_flat_scratch 0
		.amdhsa_float_round_mode_32 0
		.amdhsa_float_round_mode_16_64 0
		.amdhsa_float_denorm_mode_32 3
		.amdhsa_float_denorm_mode_16_64 3
		.amdhsa_dx10_clamp 1
		.amdhsa_ieee_mode 1
		.amdhsa_fp16_overflow 0
		.amdhsa_workgroup_processor_mode 1
		.amdhsa_memory_ordered 1
		.amdhsa_forward_progress 1
		.amdhsa_shared_vgpr_count 0
		.amdhsa_exception_fp_ieee_invalid_op 0
		.amdhsa_exception_fp_denorm_src 0
		.amdhsa_exception_fp_ieee_div_zero 0
		.amdhsa_exception_fp_ieee_overflow 0
		.amdhsa_exception_fp_ieee_underflow 0
		.amdhsa_exception_fp_ieee_inexact 0
		.amdhsa_exception_int_div_zero 0
	.end_amdhsa_kernel
	.section	.text._ZN7rocprim17ROCPRIM_400000_NS6detail17trampoline_kernelINS0_14default_configENS1_27scan_by_key_config_selectorIxxEEZZNS1_16scan_by_key_implILNS1_25lookback_scan_determinismE0ELb0ES3_N6thrust23THRUST_200600_302600_NS6detail15normal_iteratorINS9_10device_ptrIxEEEESE_SE_xNS9_4plusIvEENS9_8equal_toIxEExEE10hipError_tPvRmT2_T3_T4_T5_mT6_T7_P12ihipStream_tbENKUlT_T0_E_clISt17integral_constantIbLb0EESZ_EEDaSU_SV_EUlSU_E_NS1_11comp_targetILNS1_3genE10ELNS1_11target_archE1200ELNS1_3gpuE4ELNS1_3repE0EEENS1_30default_config_static_selectorELNS0_4arch9wavefront6targetE0EEEvT1_,"axG",@progbits,_ZN7rocprim17ROCPRIM_400000_NS6detail17trampoline_kernelINS0_14default_configENS1_27scan_by_key_config_selectorIxxEEZZNS1_16scan_by_key_implILNS1_25lookback_scan_determinismE0ELb0ES3_N6thrust23THRUST_200600_302600_NS6detail15normal_iteratorINS9_10device_ptrIxEEEESE_SE_xNS9_4plusIvEENS9_8equal_toIxEExEE10hipError_tPvRmT2_T3_T4_T5_mT6_T7_P12ihipStream_tbENKUlT_T0_E_clISt17integral_constantIbLb0EESZ_EEDaSU_SV_EUlSU_E_NS1_11comp_targetILNS1_3genE10ELNS1_11target_archE1200ELNS1_3gpuE4ELNS1_3repE0EEENS1_30default_config_static_selectorELNS0_4arch9wavefront6targetE0EEEvT1_,comdat
.Lfunc_end89:
	.size	_ZN7rocprim17ROCPRIM_400000_NS6detail17trampoline_kernelINS0_14default_configENS1_27scan_by_key_config_selectorIxxEEZZNS1_16scan_by_key_implILNS1_25lookback_scan_determinismE0ELb0ES3_N6thrust23THRUST_200600_302600_NS6detail15normal_iteratorINS9_10device_ptrIxEEEESE_SE_xNS9_4plusIvEENS9_8equal_toIxEExEE10hipError_tPvRmT2_T3_T4_T5_mT6_T7_P12ihipStream_tbENKUlT_T0_E_clISt17integral_constantIbLb0EESZ_EEDaSU_SV_EUlSU_E_NS1_11comp_targetILNS1_3genE10ELNS1_11target_archE1200ELNS1_3gpuE4ELNS1_3repE0EEENS1_30default_config_static_selectorELNS0_4arch9wavefront6targetE0EEEvT1_, .Lfunc_end89-_ZN7rocprim17ROCPRIM_400000_NS6detail17trampoline_kernelINS0_14default_configENS1_27scan_by_key_config_selectorIxxEEZZNS1_16scan_by_key_implILNS1_25lookback_scan_determinismE0ELb0ES3_N6thrust23THRUST_200600_302600_NS6detail15normal_iteratorINS9_10device_ptrIxEEEESE_SE_xNS9_4plusIvEENS9_8equal_toIxEExEE10hipError_tPvRmT2_T3_T4_T5_mT6_T7_P12ihipStream_tbENKUlT_T0_E_clISt17integral_constantIbLb0EESZ_EEDaSU_SV_EUlSU_E_NS1_11comp_targetILNS1_3genE10ELNS1_11target_archE1200ELNS1_3gpuE4ELNS1_3repE0EEENS1_30default_config_static_selectorELNS0_4arch9wavefront6targetE0EEEvT1_
                                        ; -- End function
	.set _ZN7rocprim17ROCPRIM_400000_NS6detail17trampoline_kernelINS0_14default_configENS1_27scan_by_key_config_selectorIxxEEZZNS1_16scan_by_key_implILNS1_25lookback_scan_determinismE0ELb0ES3_N6thrust23THRUST_200600_302600_NS6detail15normal_iteratorINS9_10device_ptrIxEEEESE_SE_xNS9_4plusIvEENS9_8equal_toIxEExEE10hipError_tPvRmT2_T3_T4_T5_mT6_T7_P12ihipStream_tbENKUlT_T0_E_clISt17integral_constantIbLb0EESZ_EEDaSU_SV_EUlSU_E_NS1_11comp_targetILNS1_3genE10ELNS1_11target_archE1200ELNS1_3gpuE4ELNS1_3repE0EEENS1_30default_config_static_selectorELNS0_4arch9wavefront6targetE0EEEvT1_.num_vgpr, 0
	.set _ZN7rocprim17ROCPRIM_400000_NS6detail17trampoline_kernelINS0_14default_configENS1_27scan_by_key_config_selectorIxxEEZZNS1_16scan_by_key_implILNS1_25lookback_scan_determinismE0ELb0ES3_N6thrust23THRUST_200600_302600_NS6detail15normal_iteratorINS9_10device_ptrIxEEEESE_SE_xNS9_4plusIvEENS9_8equal_toIxEExEE10hipError_tPvRmT2_T3_T4_T5_mT6_T7_P12ihipStream_tbENKUlT_T0_E_clISt17integral_constantIbLb0EESZ_EEDaSU_SV_EUlSU_E_NS1_11comp_targetILNS1_3genE10ELNS1_11target_archE1200ELNS1_3gpuE4ELNS1_3repE0EEENS1_30default_config_static_selectorELNS0_4arch9wavefront6targetE0EEEvT1_.num_agpr, 0
	.set _ZN7rocprim17ROCPRIM_400000_NS6detail17trampoline_kernelINS0_14default_configENS1_27scan_by_key_config_selectorIxxEEZZNS1_16scan_by_key_implILNS1_25lookback_scan_determinismE0ELb0ES3_N6thrust23THRUST_200600_302600_NS6detail15normal_iteratorINS9_10device_ptrIxEEEESE_SE_xNS9_4plusIvEENS9_8equal_toIxEExEE10hipError_tPvRmT2_T3_T4_T5_mT6_T7_P12ihipStream_tbENKUlT_T0_E_clISt17integral_constantIbLb0EESZ_EEDaSU_SV_EUlSU_E_NS1_11comp_targetILNS1_3genE10ELNS1_11target_archE1200ELNS1_3gpuE4ELNS1_3repE0EEENS1_30default_config_static_selectorELNS0_4arch9wavefront6targetE0EEEvT1_.numbered_sgpr, 0
	.set _ZN7rocprim17ROCPRIM_400000_NS6detail17trampoline_kernelINS0_14default_configENS1_27scan_by_key_config_selectorIxxEEZZNS1_16scan_by_key_implILNS1_25lookback_scan_determinismE0ELb0ES3_N6thrust23THRUST_200600_302600_NS6detail15normal_iteratorINS9_10device_ptrIxEEEESE_SE_xNS9_4plusIvEENS9_8equal_toIxEExEE10hipError_tPvRmT2_T3_T4_T5_mT6_T7_P12ihipStream_tbENKUlT_T0_E_clISt17integral_constantIbLb0EESZ_EEDaSU_SV_EUlSU_E_NS1_11comp_targetILNS1_3genE10ELNS1_11target_archE1200ELNS1_3gpuE4ELNS1_3repE0EEENS1_30default_config_static_selectorELNS0_4arch9wavefront6targetE0EEEvT1_.num_named_barrier, 0
	.set _ZN7rocprim17ROCPRIM_400000_NS6detail17trampoline_kernelINS0_14default_configENS1_27scan_by_key_config_selectorIxxEEZZNS1_16scan_by_key_implILNS1_25lookback_scan_determinismE0ELb0ES3_N6thrust23THRUST_200600_302600_NS6detail15normal_iteratorINS9_10device_ptrIxEEEESE_SE_xNS9_4plusIvEENS9_8equal_toIxEExEE10hipError_tPvRmT2_T3_T4_T5_mT6_T7_P12ihipStream_tbENKUlT_T0_E_clISt17integral_constantIbLb0EESZ_EEDaSU_SV_EUlSU_E_NS1_11comp_targetILNS1_3genE10ELNS1_11target_archE1200ELNS1_3gpuE4ELNS1_3repE0EEENS1_30default_config_static_selectorELNS0_4arch9wavefront6targetE0EEEvT1_.private_seg_size, 0
	.set _ZN7rocprim17ROCPRIM_400000_NS6detail17trampoline_kernelINS0_14default_configENS1_27scan_by_key_config_selectorIxxEEZZNS1_16scan_by_key_implILNS1_25lookback_scan_determinismE0ELb0ES3_N6thrust23THRUST_200600_302600_NS6detail15normal_iteratorINS9_10device_ptrIxEEEESE_SE_xNS9_4plusIvEENS9_8equal_toIxEExEE10hipError_tPvRmT2_T3_T4_T5_mT6_T7_P12ihipStream_tbENKUlT_T0_E_clISt17integral_constantIbLb0EESZ_EEDaSU_SV_EUlSU_E_NS1_11comp_targetILNS1_3genE10ELNS1_11target_archE1200ELNS1_3gpuE4ELNS1_3repE0EEENS1_30default_config_static_selectorELNS0_4arch9wavefront6targetE0EEEvT1_.uses_vcc, 0
	.set _ZN7rocprim17ROCPRIM_400000_NS6detail17trampoline_kernelINS0_14default_configENS1_27scan_by_key_config_selectorIxxEEZZNS1_16scan_by_key_implILNS1_25lookback_scan_determinismE0ELb0ES3_N6thrust23THRUST_200600_302600_NS6detail15normal_iteratorINS9_10device_ptrIxEEEESE_SE_xNS9_4plusIvEENS9_8equal_toIxEExEE10hipError_tPvRmT2_T3_T4_T5_mT6_T7_P12ihipStream_tbENKUlT_T0_E_clISt17integral_constantIbLb0EESZ_EEDaSU_SV_EUlSU_E_NS1_11comp_targetILNS1_3genE10ELNS1_11target_archE1200ELNS1_3gpuE4ELNS1_3repE0EEENS1_30default_config_static_selectorELNS0_4arch9wavefront6targetE0EEEvT1_.uses_flat_scratch, 0
	.set _ZN7rocprim17ROCPRIM_400000_NS6detail17trampoline_kernelINS0_14default_configENS1_27scan_by_key_config_selectorIxxEEZZNS1_16scan_by_key_implILNS1_25lookback_scan_determinismE0ELb0ES3_N6thrust23THRUST_200600_302600_NS6detail15normal_iteratorINS9_10device_ptrIxEEEESE_SE_xNS9_4plusIvEENS9_8equal_toIxEExEE10hipError_tPvRmT2_T3_T4_T5_mT6_T7_P12ihipStream_tbENKUlT_T0_E_clISt17integral_constantIbLb0EESZ_EEDaSU_SV_EUlSU_E_NS1_11comp_targetILNS1_3genE10ELNS1_11target_archE1200ELNS1_3gpuE4ELNS1_3repE0EEENS1_30default_config_static_selectorELNS0_4arch9wavefront6targetE0EEEvT1_.has_dyn_sized_stack, 0
	.set _ZN7rocprim17ROCPRIM_400000_NS6detail17trampoline_kernelINS0_14default_configENS1_27scan_by_key_config_selectorIxxEEZZNS1_16scan_by_key_implILNS1_25lookback_scan_determinismE0ELb0ES3_N6thrust23THRUST_200600_302600_NS6detail15normal_iteratorINS9_10device_ptrIxEEEESE_SE_xNS9_4plusIvEENS9_8equal_toIxEExEE10hipError_tPvRmT2_T3_T4_T5_mT6_T7_P12ihipStream_tbENKUlT_T0_E_clISt17integral_constantIbLb0EESZ_EEDaSU_SV_EUlSU_E_NS1_11comp_targetILNS1_3genE10ELNS1_11target_archE1200ELNS1_3gpuE4ELNS1_3repE0EEENS1_30default_config_static_selectorELNS0_4arch9wavefront6targetE0EEEvT1_.has_recursion, 0
	.set _ZN7rocprim17ROCPRIM_400000_NS6detail17trampoline_kernelINS0_14default_configENS1_27scan_by_key_config_selectorIxxEEZZNS1_16scan_by_key_implILNS1_25lookback_scan_determinismE0ELb0ES3_N6thrust23THRUST_200600_302600_NS6detail15normal_iteratorINS9_10device_ptrIxEEEESE_SE_xNS9_4plusIvEENS9_8equal_toIxEExEE10hipError_tPvRmT2_T3_T4_T5_mT6_T7_P12ihipStream_tbENKUlT_T0_E_clISt17integral_constantIbLb0EESZ_EEDaSU_SV_EUlSU_E_NS1_11comp_targetILNS1_3genE10ELNS1_11target_archE1200ELNS1_3gpuE4ELNS1_3repE0EEENS1_30default_config_static_selectorELNS0_4arch9wavefront6targetE0EEEvT1_.has_indirect_call, 0
	.section	.AMDGPU.csdata,"",@progbits
; Kernel info:
; codeLenInByte = 0
; TotalNumSgprs: 0
; NumVgprs: 0
; ScratchSize: 0
; MemoryBound: 0
; FloatMode: 240
; IeeeMode: 1
; LDSByteSize: 0 bytes/workgroup (compile time only)
; SGPRBlocks: 0
; VGPRBlocks: 0
; NumSGPRsForWavesPerEU: 1
; NumVGPRsForWavesPerEU: 1
; Occupancy: 16
; WaveLimiterHint : 0
; COMPUTE_PGM_RSRC2:SCRATCH_EN: 0
; COMPUTE_PGM_RSRC2:USER_SGPR: 6
; COMPUTE_PGM_RSRC2:TRAP_HANDLER: 0
; COMPUTE_PGM_RSRC2:TGID_X_EN: 1
; COMPUTE_PGM_RSRC2:TGID_Y_EN: 0
; COMPUTE_PGM_RSRC2:TGID_Z_EN: 0
; COMPUTE_PGM_RSRC2:TIDIG_COMP_CNT: 0
	.section	.text._ZN7rocprim17ROCPRIM_400000_NS6detail17trampoline_kernelINS0_14default_configENS1_27scan_by_key_config_selectorIxxEEZZNS1_16scan_by_key_implILNS1_25lookback_scan_determinismE0ELb0ES3_N6thrust23THRUST_200600_302600_NS6detail15normal_iteratorINS9_10device_ptrIxEEEESE_SE_xNS9_4plusIvEENS9_8equal_toIxEExEE10hipError_tPvRmT2_T3_T4_T5_mT6_T7_P12ihipStream_tbENKUlT_T0_E_clISt17integral_constantIbLb0EESZ_EEDaSU_SV_EUlSU_E_NS1_11comp_targetILNS1_3genE9ELNS1_11target_archE1100ELNS1_3gpuE3ELNS1_3repE0EEENS1_30default_config_static_selectorELNS0_4arch9wavefront6targetE0EEEvT1_,"axG",@progbits,_ZN7rocprim17ROCPRIM_400000_NS6detail17trampoline_kernelINS0_14default_configENS1_27scan_by_key_config_selectorIxxEEZZNS1_16scan_by_key_implILNS1_25lookback_scan_determinismE0ELb0ES3_N6thrust23THRUST_200600_302600_NS6detail15normal_iteratorINS9_10device_ptrIxEEEESE_SE_xNS9_4plusIvEENS9_8equal_toIxEExEE10hipError_tPvRmT2_T3_T4_T5_mT6_T7_P12ihipStream_tbENKUlT_T0_E_clISt17integral_constantIbLb0EESZ_EEDaSU_SV_EUlSU_E_NS1_11comp_targetILNS1_3genE9ELNS1_11target_archE1100ELNS1_3gpuE3ELNS1_3repE0EEENS1_30default_config_static_selectorELNS0_4arch9wavefront6targetE0EEEvT1_,comdat
	.protected	_ZN7rocprim17ROCPRIM_400000_NS6detail17trampoline_kernelINS0_14default_configENS1_27scan_by_key_config_selectorIxxEEZZNS1_16scan_by_key_implILNS1_25lookback_scan_determinismE0ELb0ES3_N6thrust23THRUST_200600_302600_NS6detail15normal_iteratorINS9_10device_ptrIxEEEESE_SE_xNS9_4plusIvEENS9_8equal_toIxEExEE10hipError_tPvRmT2_T3_T4_T5_mT6_T7_P12ihipStream_tbENKUlT_T0_E_clISt17integral_constantIbLb0EESZ_EEDaSU_SV_EUlSU_E_NS1_11comp_targetILNS1_3genE9ELNS1_11target_archE1100ELNS1_3gpuE3ELNS1_3repE0EEENS1_30default_config_static_selectorELNS0_4arch9wavefront6targetE0EEEvT1_ ; -- Begin function _ZN7rocprim17ROCPRIM_400000_NS6detail17trampoline_kernelINS0_14default_configENS1_27scan_by_key_config_selectorIxxEEZZNS1_16scan_by_key_implILNS1_25lookback_scan_determinismE0ELb0ES3_N6thrust23THRUST_200600_302600_NS6detail15normal_iteratorINS9_10device_ptrIxEEEESE_SE_xNS9_4plusIvEENS9_8equal_toIxEExEE10hipError_tPvRmT2_T3_T4_T5_mT6_T7_P12ihipStream_tbENKUlT_T0_E_clISt17integral_constantIbLb0EESZ_EEDaSU_SV_EUlSU_E_NS1_11comp_targetILNS1_3genE9ELNS1_11target_archE1100ELNS1_3gpuE3ELNS1_3repE0EEENS1_30default_config_static_selectorELNS0_4arch9wavefront6targetE0EEEvT1_
	.globl	_ZN7rocprim17ROCPRIM_400000_NS6detail17trampoline_kernelINS0_14default_configENS1_27scan_by_key_config_selectorIxxEEZZNS1_16scan_by_key_implILNS1_25lookback_scan_determinismE0ELb0ES3_N6thrust23THRUST_200600_302600_NS6detail15normal_iteratorINS9_10device_ptrIxEEEESE_SE_xNS9_4plusIvEENS9_8equal_toIxEExEE10hipError_tPvRmT2_T3_T4_T5_mT6_T7_P12ihipStream_tbENKUlT_T0_E_clISt17integral_constantIbLb0EESZ_EEDaSU_SV_EUlSU_E_NS1_11comp_targetILNS1_3genE9ELNS1_11target_archE1100ELNS1_3gpuE3ELNS1_3repE0EEENS1_30default_config_static_selectorELNS0_4arch9wavefront6targetE0EEEvT1_
	.p2align	8
	.type	_ZN7rocprim17ROCPRIM_400000_NS6detail17trampoline_kernelINS0_14default_configENS1_27scan_by_key_config_selectorIxxEEZZNS1_16scan_by_key_implILNS1_25lookback_scan_determinismE0ELb0ES3_N6thrust23THRUST_200600_302600_NS6detail15normal_iteratorINS9_10device_ptrIxEEEESE_SE_xNS9_4plusIvEENS9_8equal_toIxEExEE10hipError_tPvRmT2_T3_T4_T5_mT6_T7_P12ihipStream_tbENKUlT_T0_E_clISt17integral_constantIbLb0EESZ_EEDaSU_SV_EUlSU_E_NS1_11comp_targetILNS1_3genE9ELNS1_11target_archE1100ELNS1_3gpuE3ELNS1_3repE0EEENS1_30default_config_static_selectorELNS0_4arch9wavefront6targetE0EEEvT1_,@function
_ZN7rocprim17ROCPRIM_400000_NS6detail17trampoline_kernelINS0_14default_configENS1_27scan_by_key_config_selectorIxxEEZZNS1_16scan_by_key_implILNS1_25lookback_scan_determinismE0ELb0ES3_N6thrust23THRUST_200600_302600_NS6detail15normal_iteratorINS9_10device_ptrIxEEEESE_SE_xNS9_4plusIvEENS9_8equal_toIxEExEE10hipError_tPvRmT2_T3_T4_T5_mT6_T7_P12ihipStream_tbENKUlT_T0_E_clISt17integral_constantIbLb0EESZ_EEDaSU_SV_EUlSU_E_NS1_11comp_targetILNS1_3genE9ELNS1_11target_archE1100ELNS1_3gpuE3ELNS1_3repE0EEENS1_30default_config_static_selectorELNS0_4arch9wavefront6targetE0EEEvT1_: ; @_ZN7rocprim17ROCPRIM_400000_NS6detail17trampoline_kernelINS0_14default_configENS1_27scan_by_key_config_selectorIxxEEZZNS1_16scan_by_key_implILNS1_25lookback_scan_determinismE0ELb0ES3_N6thrust23THRUST_200600_302600_NS6detail15normal_iteratorINS9_10device_ptrIxEEEESE_SE_xNS9_4plusIvEENS9_8equal_toIxEExEE10hipError_tPvRmT2_T3_T4_T5_mT6_T7_P12ihipStream_tbENKUlT_T0_E_clISt17integral_constantIbLb0EESZ_EEDaSU_SV_EUlSU_E_NS1_11comp_targetILNS1_3genE9ELNS1_11target_archE1100ELNS1_3gpuE3ELNS1_3repE0EEENS1_30default_config_static_selectorELNS0_4arch9wavefront6targetE0EEEvT1_
; %bb.0:
	.section	.rodata,"a",@progbits
	.p2align	6, 0x0
	.amdhsa_kernel _ZN7rocprim17ROCPRIM_400000_NS6detail17trampoline_kernelINS0_14default_configENS1_27scan_by_key_config_selectorIxxEEZZNS1_16scan_by_key_implILNS1_25lookback_scan_determinismE0ELb0ES3_N6thrust23THRUST_200600_302600_NS6detail15normal_iteratorINS9_10device_ptrIxEEEESE_SE_xNS9_4plusIvEENS9_8equal_toIxEExEE10hipError_tPvRmT2_T3_T4_T5_mT6_T7_P12ihipStream_tbENKUlT_T0_E_clISt17integral_constantIbLb0EESZ_EEDaSU_SV_EUlSU_E_NS1_11comp_targetILNS1_3genE9ELNS1_11target_archE1100ELNS1_3gpuE3ELNS1_3repE0EEENS1_30default_config_static_selectorELNS0_4arch9wavefront6targetE0EEEvT1_
		.amdhsa_group_segment_fixed_size 0
		.amdhsa_private_segment_fixed_size 0
		.amdhsa_kernarg_size 136
		.amdhsa_user_sgpr_count 6
		.amdhsa_user_sgpr_private_segment_buffer 1
		.amdhsa_user_sgpr_dispatch_ptr 0
		.amdhsa_user_sgpr_queue_ptr 0
		.amdhsa_user_sgpr_kernarg_segment_ptr 1
		.amdhsa_user_sgpr_dispatch_id 0
		.amdhsa_user_sgpr_flat_scratch_init 0
		.amdhsa_user_sgpr_private_segment_size 0
		.amdhsa_wavefront_size32 1
		.amdhsa_uses_dynamic_stack 0
		.amdhsa_system_sgpr_private_segment_wavefront_offset 0
		.amdhsa_system_sgpr_workgroup_id_x 1
		.amdhsa_system_sgpr_workgroup_id_y 0
		.amdhsa_system_sgpr_workgroup_id_z 0
		.amdhsa_system_sgpr_workgroup_info 0
		.amdhsa_system_vgpr_workitem_id 0
		.amdhsa_next_free_vgpr 1
		.amdhsa_next_free_sgpr 1
		.amdhsa_reserve_vcc 0
		.amdhsa_reserve_flat_scratch 0
		.amdhsa_float_round_mode_32 0
		.amdhsa_float_round_mode_16_64 0
		.amdhsa_float_denorm_mode_32 3
		.amdhsa_float_denorm_mode_16_64 3
		.amdhsa_dx10_clamp 1
		.amdhsa_ieee_mode 1
		.amdhsa_fp16_overflow 0
		.amdhsa_workgroup_processor_mode 1
		.amdhsa_memory_ordered 1
		.amdhsa_forward_progress 1
		.amdhsa_shared_vgpr_count 0
		.amdhsa_exception_fp_ieee_invalid_op 0
		.amdhsa_exception_fp_denorm_src 0
		.amdhsa_exception_fp_ieee_div_zero 0
		.amdhsa_exception_fp_ieee_overflow 0
		.amdhsa_exception_fp_ieee_underflow 0
		.amdhsa_exception_fp_ieee_inexact 0
		.amdhsa_exception_int_div_zero 0
	.end_amdhsa_kernel
	.section	.text._ZN7rocprim17ROCPRIM_400000_NS6detail17trampoline_kernelINS0_14default_configENS1_27scan_by_key_config_selectorIxxEEZZNS1_16scan_by_key_implILNS1_25lookback_scan_determinismE0ELb0ES3_N6thrust23THRUST_200600_302600_NS6detail15normal_iteratorINS9_10device_ptrIxEEEESE_SE_xNS9_4plusIvEENS9_8equal_toIxEExEE10hipError_tPvRmT2_T3_T4_T5_mT6_T7_P12ihipStream_tbENKUlT_T0_E_clISt17integral_constantIbLb0EESZ_EEDaSU_SV_EUlSU_E_NS1_11comp_targetILNS1_3genE9ELNS1_11target_archE1100ELNS1_3gpuE3ELNS1_3repE0EEENS1_30default_config_static_selectorELNS0_4arch9wavefront6targetE0EEEvT1_,"axG",@progbits,_ZN7rocprim17ROCPRIM_400000_NS6detail17trampoline_kernelINS0_14default_configENS1_27scan_by_key_config_selectorIxxEEZZNS1_16scan_by_key_implILNS1_25lookback_scan_determinismE0ELb0ES3_N6thrust23THRUST_200600_302600_NS6detail15normal_iteratorINS9_10device_ptrIxEEEESE_SE_xNS9_4plusIvEENS9_8equal_toIxEExEE10hipError_tPvRmT2_T3_T4_T5_mT6_T7_P12ihipStream_tbENKUlT_T0_E_clISt17integral_constantIbLb0EESZ_EEDaSU_SV_EUlSU_E_NS1_11comp_targetILNS1_3genE9ELNS1_11target_archE1100ELNS1_3gpuE3ELNS1_3repE0EEENS1_30default_config_static_selectorELNS0_4arch9wavefront6targetE0EEEvT1_,comdat
.Lfunc_end90:
	.size	_ZN7rocprim17ROCPRIM_400000_NS6detail17trampoline_kernelINS0_14default_configENS1_27scan_by_key_config_selectorIxxEEZZNS1_16scan_by_key_implILNS1_25lookback_scan_determinismE0ELb0ES3_N6thrust23THRUST_200600_302600_NS6detail15normal_iteratorINS9_10device_ptrIxEEEESE_SE_xNS9_4plusIvEENS9_8equal_toIxEExEE10hipError_tPvRmT2_T3_T4_T5_mT6_T7_P12ihipStream_tbENKUlT_T0_E_clISt17integral_constantIbLb0EESZ_EEDaSU_SV_EUlSU_E_NS1_11comp_targetILNS1_3genE9ELNS1_11target_archE1100ELNS1_3gpuE3ELNS1_3repE0EEENS1_30default_config_static_selectorELNS0_4arch9wavefront6targetE0EEEvT1_, .Lfunc_end90-_ZN7rocprim17ROCPRIM_400000_NS6detail17trampoline_kernelINS0_14default_configENS1_27scan_by_key_config_selectorIxxEEZZNS1_16scan_by_key_implILNS1_25lookback_scan_determinismE0ELb0ES3_N6thrust23THRUST_200600_302600_NS6detail15normal_iteratorINS9_10device_ptrIxEEEESE_SE_xNS9_4plusIvEENS9_8equal_toIxEExEE10hipError_tPvRmT2_T3_T4_T5_mT6_T7_P12ihipStream_tbENKUlT_T0_E_clISt17integral_constantIbLb0EESZ_EEDaSU_SV_EUlSU_E_NS1_11comp_targetILNS1_3genE9ELNS1_11target_archE1100ELNS1_3gpuE3ELNS1_3repE0EEENS1_30default_config_static_selectorELNS0_4arch9wavefront6targetE0EEEvT1_
                                        ; -- End function
	.set _ZN7rocprim17ROCPRIM_400000_NS6detail17trampoline_kernelINS0_14default_configENS1_27scan_by_key_config_selectorIxxEEZZNS1_16scan_by_key_implILNS1_25lookback_scan_determinismE0ELb0ES3_N6thrust23THRUST_200600_302600_NS6detail15normal_iteratorINS9_10device_ptrIxEEEESE_SE_xNS9_4plusIvEENS9_8equal_toIxEExEE10hipError_tPvRmT2_T3_T4_T5_mT6_T7_P12ihipStream_tbENKUlT_T0_E_clISt17integral_constantIbLb0EESZ_EEDaSU_SV_EUlSU_E_NS1_11comp_targetILNS1_3genE9ELNS1_11target_archE1100ELNS1_3gpuE3ELNS1_3repE0EEENS1_30default_config_static_selectorELNS0_4arch9wavefront6targetE0EEEvT1_.num_vgpr, 0
	.set _ZN7rocprim17ROCPRIM_400000_NS6detail17trampoline_kernelINS0_14default_configENS1_27scan_by_key_config_selectorIxxEEZZNS1_16scan_by_key_implILNS1_25lookback_scan_determinismE0ELb0ES3_N6thrust23THRUST_200600_302600_NS6detail15normal_iteratorINS9_10device_ptrIxEEEESE_SE_xNS9_4plusIvEENS9_8equal_toIxEExEE10hipError_tPvRmT2_T3_T4_T5_mT6_T7_P12ihipStream_tbENKUlT_T0_E_clISt17integral_constantIbLb0EESZ_EEDaSU_SV_EUlSU_E_NS1_11comp_targetILNS1_3genE9ELNS1_11target_archE1100ELNS1_3gpuE3ELNS1_3repE0EEENS1_30default_config_static_selectorELNS0_4arch9wavefront6targetE0EEEvT1_.num_agpr, 0
	.set _ZN7rocprim17ROCPRIM_400000_NS6detail17trampoline_kernelINS0_14default_configENS1_27scan_by_key_config_selectorIxxEEZZNS1_16scan_by_key_implILNS1_25lookback_scan_determinismE0ELb0ES3_N6thrust23THRUST_200600_302600_NS6detail15normal_iteratorINS9_10device_ptrIxEEEESE_SE_xNS9_4plusIvEENS9_8equal_toIxEExEE10hipError_tPvRmT2_T3_T4_T5_mT6_T7_P12ihipStream_tbENKUlT_T0_E_clISt17integral_constantIbLb0EESZ_EEDaSU_SV_EUlSU_E_NS1_11comp_targetILNS1_3genE9ELNS1_11target_archE1100ELNS1_3gpuE3ELNS1_3repE0EEENS1_30default_config_static_selectorELNS0_4arch9wavefront6targetE0EEEvT1_.numbered_sgpr, 0
	.set _ZN7rocprim17ROCPRIM_400000_NS6detail17trampoline_kernelINS0_14default_configENS1_27scan_by_key_config_selectorIxxEEZZNS1_16scan_by_key_implILNS1_25lookback_scan_determinismE0ELb0ES3_N6thrust23THRUST_200600_302600_NS6detail15normal_iteratorINS9_10device_ptrIxEEEESE_SE_xNS9_4plusIvEENS9_8equal_toIxEExEE10hipError_tPvRmT2_T3_T4_T5_mT6_T7_P12ihipStream_tbENKUlT_T0_E_clISt17integral_constantIbLb0EESZ_EEDaSU_SV_EUlSU_E_NS1_11comp_targetILNS1_3genE9ELNS1_11target_archE1100ELNS1_3gpuE3ELNS1_3repE0EEENS1_30default_config_static_selectorELNS0_4arch9wavefront6targetE0EEEvT1_.num_named_barrier, 0
	.set _ZN7rocprim17ROCPRIM_400000_NS6detail17trampoline_kernelINS0_14default_configENS1_27scan_by_key_config_selectorIxxEEZZNS1_16scan_by_key_implILNS1_25lookback_scan_determinismE0ELb0ES3_N6thrust23THRUST_200600_302600_NS6detail15normal_iteratorINS9_10device_ptrIxEEEESE_SE_xNS9_4plusIvEENS9_8equal_toIxEExEE10hipError_tPvRmT2_T3_T4_T5_mT6_T7_P12ihipStream_tbENKUlT_T0_E_clISt17integral_constantIbLb0EESZ_EEDaSU_SV_EUlSU_E_NS1_11comp_targetILNS1_3genE9ELNS1_11target_archE1100ELNS1_3gpuE3ELNS1_3repE0EEENS1_30default_config_static_selectorELNS0_4arch9wavefront6targetE0EEEvT1_.private_seg_size, 0
	.set _ZN7rocprim17ROCPRIM_400000_NS6detail17trampoline_kernelINS0_14default_configENS1_27scan_by_key_config_selectorIxxEEZZNS1_16scan_by_key_implILNS1_25lookback_scan_determinismE0ELb0ES3_N6thrust23THRUST_200600_302600_NS6detail15normal_iteratorINS9_10device_ptrIxEEEESE_SE_xNS9_4plusIvEENS9_8equal_toIxEExEE10hipError_tPvRmT2_T3_T4_T5_mT6_T7_P12ihipStream_tbENKUlT_T0_E_clISt17integral_constantIbLb0EESZ_EEDaSU_SV_EUlSU_E_NS1_11comp_targetILNS1_3genE9ELNS1_11target_archE1100ELNS1_3gpuE3ELNS1_3repE0EEENS1_30default_config_static_selectorELNS0_4arch9wavefront6targetE0EEEvT1_.uses_vcc, 0
	.set _ZN7rocprim17ROCPRIM_400000_NS6detail17trampoline_kernelINS0_14default_configENS1_27scan_by_key_config_selectorIxxEEZZNS1_16scan_by_key_implILNS1_25lookback_scan_determinismE0ELb0ES3_N6thrust23THRUST_200600_302600_NS6detail15normal_iteratorINS9_10device_ptrIxEEEESE_SE_xNS9_4plusIvEENS9_8equal_toIxEExEE10hipError_tPvRmT2_T3_T4_T5_mT6_T7_P12ihipStream_tbENKUlT_T0_E_clISt17integral_constantIbLb0EESZ_EEDaSU_SV_EUlSU_E_NS1_11comp_targetILNS1_3genE9ELNS1_11target_archE1100ELNS1_3gpuE3ELNS1_3repE0EEENS1_30default_config_static_selectorELNS0_4arch9wavefront6targetE0EEEvT1_.uses_flat_scratch, 0
	.set _ZN7rocprim17ROCPRIM_400000_NS6detail17trampoline_kernelINS0_14default_configENS1_27scan_by_key_config_selectorIxxEEZZNS1_16scan_by_key_implILNS1_25lookback_scan_determinismE0ELb0ES3_N6thrust23THRUST_200600_302600_NS6detail15normal_iteratorINS9_10device_ptrIxEEEESE_SE_xNS9_4plusIvEENS9_8equal_toIxEExEE10hipError_tPvRmT2_T3_T4_T5_mT6_T7_P12ihipStream_tbENKUlT_T0_E_clISt17integral_constantIbLb0EESZ_EEDaSU_SV_EUlSU_E_NS1_11comp_targetILNS1_3genE9ELNS1_11target_archE1100ELNS1_3gpuE3ELNS1_3repE0EEENS1_30default_config_static_selectorELNS0_4arch9wavefront6targetE0EEEvT1_.has_dyn_sized_stack, 0
	.set _ZN7rocprim17ROCPRIM_400000_NS6detail17trampoline_kernelINS0_14default_configENS1_27scan_by_key_config_selectorIxxEEZZNS1_16scan_by_key_implILNS1_25lookback_scan_determinismE0ELb0ES3_N6thrust23THRUST_200600_302600_NS6detail15normal_iteratorINS9_10device_ptrIxEEEESE_SE_xNS9_4plusIvEENS9_8equal_toIxEExEE10hipError_tPvRmT2_T3_T4_T5_mT6_T7_P12ihipStream_tbENKUlT_T0_E_clISt17integral_constantIbLb0EESZ_EEDaSU_SV_EUlSU_E_NS1_11comp_targetILNS1_3genE9ELNS1_11target_archE1100ELNS1_3gpuE3ELNS1_3repE0EEENS1_30default_config_static_selectorELNS0_4arch9wavefront6targetE0EEEvT1_.has_recursion, 0
	.set _ZN7rocprim17ROCPRIM_400000_NS6detail17trampoline_kernelINS0_14default_configENS1_27scan_by_key_config_selectorIxxEEZZNS1_16scan_by_key_implILNS1_25lookback_scan_determinismE0ELb0ES3_N6thrust23THRUST_200600_302600_NS6detail15normal_iteratorINS9_10device_ptrIxEEEESE_SE_xNS9_4plusIvEENS9_8equal_toIxEExEE10hipError_tPvRmT2_T3_T4_T5_mT6_T7_P12ihipStream_tbENKUlT_T0_E_clISt17integral_constantIbLb0EESZ_EEDaSU_SV_EUlSU_E_NS1_11comp_targetILNS1_3genE9ELNS1_11target_archE1100ELNS1_3gpuE3ELNS1_3repE0EEENS1_30default_config_static_selectorELNS0_4arch9wavefront6targetE0EEEvT1_.has_indirect_call, 0
	.section	.AMDGPU.csdata,"",@progbits
; Kernel info:
; codeLenInByte = 0
; TotalNumSgprs: 0
; NumVgprs: 0
; ScratchSize: 0
; MemoryBound: 0
; FloatMode: 240
; IeeeMode: 1
; LDSByteSize: 0 bytes/workgroup (compile time only)
; SGPRBlocks: 0
; VGPRBlocks: 0
; NumSGPRsForWavesPerEU: 1
; NumVGPRsForWavesPerEU: 1
; Occupancy: 16
; WaveLimiterHint : 0
; COMPUTE_PGM_RSRC2:SCRATCH_EN: 0
; COMPUTE_PGM_RSRC2:USER_SGPR: 6
; COMPUTE_PGM_RSRC2:TRAP_HANDLER: 0
; COMPUTE_PGM_RSRC2:TGID_X_EN: 1
; COMPUTE_PGM_RSRC2:TGID_Y_EN: 0
; COMPUTE_PGM_RSRC2:TGID_Z_EN: 0
; COMPUTE_PGM_RSRC2:TIDIG_COMP_CNT: 0
	.section	.text._ZN7rocprim17ROCPRIM_400000_NS6detail17trampoline_kernelINS0_14default_configENS1_27scan_by_key_config_selectorIxxEEZZNS1_16scan_by_key_implILNS1_25lookback_scan_determinismE0ELb0ES3_N6thrust23THRUST_200600_302600_NS6detail15normal_iteratorINS9_10device_ptrIxEEEESE_SE_xNS9_4plusIvEENS9_8equal_toIxEExEE10hipError_tPvRmT2_T3_T4_T5_mT6_T7_P12ihipStream_tbENKUlT_T0_E_clISt17integral_constantIbLb0EESZ_EEDaSU_SV_EUlSU_E_NS1_11comp_targetILNS1_3genE8ELNS1_11target_archE1030ELNS1_3gpuE2ELNS1_3repE0EEENS1_30default_config_static_selectorELNS0_4arch9wavefront6targetE0EEEvT1_,"axG",@progbits,_ZN7rocprim17ROCPRIM_400000_NS6detail17trampoline_kernelINS0_14default_configENS1_27scan_by_key_config_selectorIxxEEZZNS1_16scan_by_key_implILNS1_25lookback_scan_determinismE0ELb0ES3_N6thrust23THRUST_200600_302600_NS6detail15normal_iteratorINS9_10device_ptrIxEEEESE_SE_xNS9_4plusIvEENS9_8equal_toIxEExEE10hipError_tPvRmT2_T3_T4_T5_mT6_T7_P12ihipStream_tbENKUlT_T0_E_clISt17integral_constantIbLb0EESZ_EEDaSU_SV_EUlSU_E_NS1_11comp_targetILNS1_3genE8ELNS1_11target_archE1030ELNS1_3gpuE2ELNS1_3repE0EEENS1_30default_config_static_selectorELNS0_4arch9wavefront6targetE0EEEvT1_,comdat
	.protected	_ZN7rocprim17ROCPRIM_400000_NS6detail17trampoline_kernelINS0_14default_configENS1_27scan_by_key_config_selectorIxxEEZZNS1_16scan_by_key_implILNS1_25lookback_scan_determinismE0ELb0ES3_N6thrust23THRUST_200600_302600_NS6detail15normal_iteratorINS9_10device_ptrIxEEEESE_SE_xNS9_4plusIvEENS9_8equal_toIxEExEE10hipError_tPvRmT2_T3_T4_T5_mT6_T7_P12ihipStream_tbENKUlT_T0_E_clISt17integral_constantIbLb0EESZ_EEDaSU_SV_EUlSU_E_NS1_11comp_targetILNS1_3genE8ELNS1_11target_archE1030ELNS1_3gpuE2ELNS1_3repE0EEENS1_30default_config_static_selectorELNS0_4arch9wavefront6targetE0EEEvT1_ ; -- Begin function _ZN7rocprim17ROCPRIM_400000_NS6detail17trampoline_kernelINS0_14default_configENS1_27scan_by_key_config_selectorIxxEEZZNS1_16scan_by_key_implILNS1_25lookback_scan_determinismE0ELb0ES3_N6thrust23THRUST_200600_302600_NS6detail15normal_iteratorINS9_10device_ptrIxEEEESE_SE_xNS9_4plusIvEENS9_8equal_toIxEExEE10hipError_tPvRmT2_T3_T4_T5_mT6_T7_P12ihipStream_tbENKUlT_T0_E_clISt17integral_constantIbLb0EESZ_EEDaSU_SV_EUlSU_E_NS1_11comp_targetILNS1_3genE8ELNS1_11target_archE1030ELNS1_3gpuE2ELNS1_3repE0EEENS1_30default_config_static_selectorELNS0_4arch9wavefront6targetE0EEEvT1_
	.globl	_ZN7rocprim17ROCPRIM_400000_NS6detail17trampoline_kernelINS0_14default_configENS1_27scan_by_key_config_selectorIxxEEZZNS1_16scan_by_key_implILNS1_25lookback_scan_determinismE0ELb0ES3_N6thrust23THRUST_200600_302600_NS6detail15normal_iteratorINS9_10device_ptrIxEEEESE_SE_xNS9_4plusIvEENS9_8equal_toIxEExEE10hipError_tPvRmT2_T3_T4_T5_mT6_T7_P12ihipStream_tbENKUlT_T0_E_clISt17integral_constantIbLb0EESZ_EEDaSU_SV_EUlSU_E_NS1_11comp_targetILNS1_3genE8ELNS1_11target_archE1030ELNS1_3gpuE2ELNS1_3repE0EEENS1_30default_config_static_selectorELNS0_4arch9wavefront6targetE0EEEvT1_
	.p2align	8
	.type	_ZN7rocprim17ROCPRIM_400000_NS6detail17trampoline_kernelINS0_14default_configENS1_27scan_by_key_config_selectorIxxEEZZNS1_16scan_by_key_implILNS1_25lookback_scan_determinismE0ELb0ES3_N6thrust23THRUST_200600_302600_NS6detail15normal_iteratorINS9_10device_ptrIxEEEESE_SE_xNS9_4plusIvEENS9_8equal_toIxEExEE10hipError_tPvRmT2_T3_T4_T5_mT6_T7_P12ihipStream_tbENKUlT_T0_E_clISt17integral_constantIbLb0EESZ_EEDaSU_SV_EUlSU_E_NS1_11comp_targetILNS1_3genE8ELNS1_11target_archE1030ELNS1_3gpuE2ELNS1_3repE0EEENS1_30default_config_static_selectorELNS0_4arch9wavefront6targetE0EEEvT1_,@function
_ZN7rocprim17ROCPRIM_400000_NS6detail17trampoline_kernelINS0_14default_configENS1_27scan_by_key_config_selectorIxxEEZZNS1_16scan_by_key_implILNS1_25lookback_scan_determinismE0ELb0ES3_N6thrust23THRUST_200600_302600_NS6detail15normal_iteratorINS9_10device_ptrIxEEEESE_SE_xNS9_4plusIvEENS9_8equal_toIxEExEE10hipError_tPvRmT2_T3_T4_T5_mT6_T7_P12ihipStream_tbENKUlT_T0_E_clISt17integral_constantIbLb0EESZ_EEDaSU_SV_EUlSU_E_NS1_11comp_targetILNS1_3genE8ELNS1_11target_archE1030ELNS1_3gpuE2ELNS1_3repE0EEENS1_30default_config_static_selectorELNS0_4arch9wavefront6targetE0EEEvT1_: ; @_ZN7rocprim17ROCPRIM_400000_NS6detail17trampoline_kernelINS0_14default_configENS1_27scan_by_key_config_selectorIxxEEZZNS1_16scan_by_key_implILNS1_25lookback_scan_determinismE0ELb0ES3_N6thrust23THRUST_200600_302600_NS6detail15normal_iteratorINS9_10device_ptrIxEEEESE_SE_xNS9_4plusIvEENS9_8equal_toIxEExEE10hipError_tPvRmT2_T3_T4_T5_mT6_T7_P12ihipStream_tbENKUlT_T0_E_clISt17integral_constantIbLb0EESZ_EEDaSU_SV_EUlSU_E_NS1_11comp_targetILNS1_3genE8ELNS1_11target_archE1030ELNS1_3gpuE2ELNS1_3repE0EEENS1_30default_config_static_selectorELNS0_4arch9wavefront6targetE0EEEvT1_
; %bb.0:
	s_clause 0x4
	s_load_dwordx8 s[12:19], s[4:5], 0x0
	s_load_dwordx2 s[34:35], s[4:5], 0x50
	s_load_dword s2, s[4:5], 0x58
	s_load_dwordx8 s[36:43], s[4:5], 0x60
	s_load_dwordx8 s[20:27], s[4:5], 0x30
	s_mov_b32 s1, 0
	s_waitcnt lgkmcnt(0)
	s_barrier
	buffer_gl0_inv
	s_lshl_b64 s[28:29], s[14:15], 3
	s_add_u32 s4, s12, s28
	s_mul_i32 s0, s35, s2
	s_mul_hi_u32 s3, s34, s2
	s_addc_u32 s5, s13, s29
	s_add_u32 s7, s16, s28
	s_addc_u32 s8, s17, s29
	s_add_i32 s3, s3, s0
	s_cmp_lg_u64 s[40:41], 0
	s_mul_i32 s0, s6, 0xd00
	s_cselect_b32 s44, -1, 0
	s_lshl_b64 s[30:31], s[0:1], 3
	s_mul_i32 s0, s34, s2
	s_add_u32 s14, s4, s30
	s_addc_u32 s15, s5, s31
	s_add_u32 s40, s7, s30
	s_addc_u32 s41, s8, s31
	;; [unrolled: 2-line block ×3, first 2 shown]
	s_add_u32 s2, s36, -1
	s_addc_u32 s3, s37, -1
	s_mul_i32 s33, s2, 0xfffff300
	v_cmp_ge_u64_e64 s27, s[16:17], s[2:3]
	s_and_b32 vcc_lo, exec_lo, s27
	s_cbranch_vccz .LBB91_72
; %bb.1:
	v_mov_b32_e32 v1, s14
	v_mov_b32_e32 v2, s15
	s_add_i32 s45, s33, s26
	v_cmp_gt_u32_e64 s0, s45, v0
	flat_load_dwordx2 v[1:2], v[1:2]
	s_waitcnt vmcnt(0) lgkmcnt(0)
	v_mov_b32_e32 v4, v2
	v_mov_b32_e32 v3, v1
	s_and_saveexec_b32 s1, s0
	s_cbranch_execz .LBB91_3
; %bb.2:
	v_lshlrev_b32_e32 v3, 3, v0
	v_add_co_u32 v3, s2, s14, v3
	v_add_co_ci_u32_e64 v4, null, s15, 0, s2
	flat_load_dwordx2 v[3:4], v[3:4]
.LBB91_3:
	s_or_b32 exec_lo, exec_lo, s1
	v_or_b32_e32 v5, 0x100, v0
	v_cmp_gt_u32_e64 s1, s45, v5
	v_lshlrev_b32_e32 v27, 3, v5
	v_mov_b32_e32 v6, v2
	v_mov_b32_e32 v5, v1
	s_and_saveexec_b32 s2, s1
	s_cbranch_execz .LBB91_5
; %bb.4:
	v_add_co_u32 v5, s3, s14, v27
	v_add_co_ci_u32_e64 v6, null, s15, 0, s3
	flat_load_dwordx2 v[5:6], v[5:6]
.LBB91_5:
	s_or_b32 exec_lo, exec_lo, s2
	v_or_b32_e32 v7, 0x200, v0
	v_cmp_gt_u32_e64 s2, s45, v7
	v_lshlrev_b32_e32 v28, 3, v7
	v_mov_b32_e32 v8, v2
	v_mov_b32_e32 v7, v1
	s_and_saveexec_b32 s3, s2
	s_cbranch_execz .LBB91_7
; %bb.6:
	v_add_co_u32 v7, s4, s14, v28
	v_add_co_ci_u32_e64 v8, null, s15, 0, s4
	flat_load_dwordx2 v[7:8], v[7:8]
.LBB91_7:
	;; [unrolled: 13-line block ×11, first 2 shown]
	s_or_b32 exec_lo, exec_lo, s13
	v_or_b32_e32 v38, 0xc00, v0
	v_cmp_gt_u32_e64 s13, s45, v38
	v_lshlrev_b32_e32 v38, 3, v38
	s_and_saveexec_b32 s36, s13
	s_cbranch_execz .LBB91_27
; %bb.26:
	v_add_co_u32 v1, s37, s14, v38
	v_add_co_ci_u32_e64 v2, null, s15, 0, s37
	flat_load_dwordx2 v[1:2], v[1:2]
.LBB91_27:
	s_or_b32 exec_lo, exec_lo, s36
	v_lshlrev_b32_e32 v39, 3, v0
	s_cmp_eq_u64 s[16:17], 0
	s_mov_b64 s[36:37], s[14:15]
	s_waitcnt vmcnt(0) lgkmcnt(0)
	ds_write2st64_b64 v39, v[3:4], v[5:6] offset1:4
	ds_write2st64_b64 v39, v[7:8], v[9:10] offset0:8 offset1:12
	ds_write2st64_b64 v39, v[11:12], v[13:14] offset0:16 offset1:20
	;; [unrolled: 1-line block ×5, first 2 shown]
	v_mad_u32_u24 v101, 0x60, v0, v39
	ds_write_b64 v39, v[1:2] offset:24576
	s_waitcnt lgkmcnt(0)
	s_barrier
	buffer_gl0_inv
	ds_read2_b64 v[65:68], v101 offset0:2 offset1:3
	ds_read2_b64 v[57:60], v101 offset0:3 offset1:4
	ds_read2_b64 v[69:72], v101 offset1:1
	ds_read2_b64 v[73:76], v101 offset0:1 offset1:2
	ds_read2_b64 v[49:52], v101 offset0:7 offset1:8
	;; [unrolled: 1-line block ×5, first 2 shown]
	s_cbranch_scc1 .LBB91_31
; %bb.28:
	s_andn2_b32 vcc_lo, exec_lo, s44
	s_cbranch_vccnz .LBB91_237
; %bb.29:
	s_lshl_b64 s[36:37], s[16:17], 3
	s_add_u32 s36, s42, s36
	s_addc_u32 s37, s43, s37
	s_add_u32 s36, s36, -8
	s_addc_u32 s37, s37, -1
	s_cbranch_execnz .LBB91_31
.LBB91_30:
	s_add_u32 s36, s14, -8
	s_addc_u32 s37, s15, -1
.LBB91_31:
	v_mov_b32_e32 v1, s36
	v_mov_b32_e32 v2, s37
	s_mov_b32 s36, exec_lo
	flat_load_dwordx2 v[11:12], v[1:2]
	v_mad_i32_i24 v1, 0xffffffa0, v0, v101
	s_waitcnt lgkmcnt(1)
	ds_write_b64 v1, v[47:48] offset:26624
	s_waitcnt vmcnt(0) lgkmcnt(0)
	s_barrier
	buffer_gl0_inv
	v_cmpx_ne_u32_e32 0, v0
; %bb.32:
	v_mul_i32_i24_e32 v1, 0xffffffa0, v0
	v_add_nc_u32_e32 v1, v101, v1
	ds_read_b64 v[11:12], v1 offset:26616
; %bb.33:
	s_or_b32 exec_lo, exec_lo, s36
	s_waitcnt lgkmcnt(0)
	s_barrier
	buffer_gl0_inv
                                        ; implicit-def: $vgpr1_vgpr2
	s_and_saveexec_b32 s36, s0
	s_cbranch_execnz .LBB91_225
; %bb.34:
	s_or_b32 exec_lo, exec_lo, s36
                                        ; implicit-def: $vgpr3_vgpr4
	s_and_saveexec_b32 s0, s1
	s_cbranch_execnz .LBB91_226
.LBB91_35:
	s_or_b32 exec_lo, exec_lo, s0
                                        ; implicit-def: $vgpr5_vgpr6
	s_and_saveexec_b32 s0, s2
	s_cbranch_execnz .LBB91_227
.LBB91_36:
	s_or_b32 exec_lo, exec_lo, s0
                                        ; implicit-def: $vgpr7_vgpr8
	s_and_saveexec_b32 s0, s3
	s_cbranch_execnz .LBB91_228
.LBB91_37:
	s_or_b32 exec_lo, exec_lo, s0
                                        ; implicit-def: $vgpr9_vgpr10
	s_and_saveexec_b32 s0, s4
	s_cbranch_execnz .LBB91_229
.LBB91_38:
	s_or_b32 exec_lo, exec_lo, s0
                                        ; implicit-def: $vgpr13_vgpr14
	s_and_saveexec_b32 s0, s5
	s_cbranch_execnz .LBB91_230
.LBB91_39:
	s_or_b32 exec_lo, exec_lo, s0
                                        ; implicit-def: $vgpr15_vgpr16
	s_and_saveexec_b32 s0, s7
	s_cbranch_execnz .LBB91_231
.LBB91_40:
	s_or_b32 exec_lo, exec_lo, s0
                                        ; implicit-def: $vgpr17_vgpr18
	s_and_saveexec_b32 s0, s8
	s_cbranch_execnz .LBB91_232
.LBB91_41:
	s_or_b32 exec_lo, exec_lo, s0
                                        ; implicit-def: $vgpr19_vgpr20
	s_and_saveexec_b32 s0, s9
	s_cbranch_execnz .LBB91_233
.LBB91_42:
	s_or_b32 exec_lo, exec_lo, s0
                                        ; implicit-def: $vgpr21_vgpr22
	s_and_saveexec_b32 s0, s10
	s_cbranch_execnz .LBB91_234
.LBB91_43:
	s_or_b32 exec_lo, exec_lo, s0
                                        ; implicit-def: $vgpr23_vgpr24
	s_and_saveexec_b32 s0, s11
	s_cbranch_execnz .LBB91_235
.LBB91_44:
	s_or_b32 exec_lo, exec_lo, s0
                                        ; implicit-def: $vgpr25_vgpr26
	s_and_saveexec_b32 s0, s12
	s_cbranch_execnz .LBB91_236
.LBB91_45:
	s_or_b32 exec_lo, exec_lo, s0
                                        ; implicit-def: $vgpr27_vgpr28
	s_and_saveexec_b32 s0, s13
	s_cbranch_execz .LBB91_47
.LBB91_46:
	v_add_co_u32 v27, s1, s40, v38
	v_add_co_ci_u32_e64 v28, null, s41, 0, s1
	flat_load_dwordx2 v[27:28], v[27:28]
.LBB91_47:
	s_or_b32 exec_lo, exec_lo, s0
	v_mul_u32_u24_e32 v104, 13, v0
	s_waitcnt vmcnt(0) lgkmcnt(0)
	ds_write2st64_b64 v39, v[1:2], v[3:4] offset1:4
	ds_write2st64_b64 v39, v[5:6], v[7:8] offset0:8 offset1:12
	ds_write2st64_b64 v39, v[9:10], v[13:14] offset0:16 offset1:20
	;; [unrolled: 1-line block ×5, first 2 shown]
	ds_write_b64 v39, v[27:28] offset:24576
	v_mov_b32_e32 v5, 0
	v_mov_b32_e32 v29, 0
	;; [unrolled: 1-line block ×22, first 2 shown]
	v_cmp_gt_u32_e32 vcc_lo, s45, v104
	v_mov_b32_e32 v99, 0
	v_mov_b32_e32 v6, 0
	;; [unrolled: 1-line block ×45, first 2 shown]
	s_mov_b32 s4, 0
	s_mov_b32 s1, 0
	s_waitcnt lgkmcnt(0)
	s_barrier
	buffer_gl0_inv
                                        ; implicit-def: $sgpr5
                                        ; implicit-def: $vgpr35_vgpr36
	s_and_saveexec_b32 s7, vcc_lo
	s_cbranch_execz .LBB91_71
; %bb.48:
	ds_read_b64 v[1:2], v101
	v_add_nc_u32_e32 v3, 1, v104
	v_mov_b32_e32 v5, 0
	v_mov_b32_e32 v29, 0
	;; [unrolled: 1-line block ×4, first 2 shown]
	v_cmp_gt_u32_e64 s0, s45, v3
	v_mov_b32_e32 v31, 0
	v_mov_b32_e32 v39, 0
	;; [unrolled: 1-line block ×59, first 2 shown]
	v_cmp_ne_u64_e32 vcc_lo, v[11:12], v[69:70]
                                        ; implicit-def: $sgpr5
                                        ; implicit-def: $vgpr35_vgpr36
	s_and_saveexec_b32 s8, s0
	s_cbranch_execz .LBB91_70
; %bb.49:
	ds_read2_b64 v[9:12], v101 offset0:1 offset1:2
	v_cmp_ne_u64_e64 s0, v[71:72], v[75:76]
	v_cmp_ne_u64_e64 s2, v[69:70], v[73:74]
	v_add_nc_u32_e32 v5, 2, v104
	v_cmp_ne_u64_e64 s1, v[67:68], v[59:60]
	v_mov_b32_e32 v29, 0
	v_mov_b32_e32 v27, 0
	v_cndmask_b32_e64 v3, 0, 1, s0
	v_cmp_ne_u64_e64 s0, v[65:66], v[57:58]
	v_cndmask_b32_e64 v4, 0, 1, s2
	v_cmp_gt_u32_e64 s2, s45, v5
	v_mov_b32_e32 v5, 0
	v_mov_b32_e32 v33, 0
	;; [unrolled: 1-line block ×17, first 2 shown]
	v_lshlrev_b16 v3, 8, v3
	v_mov_b32_e32 v99, 0
	v_mov_b32_e32 v6, 0
	;; [unrolled: 1-line block ×38, first 2 shown]
	s_mov_b32 s3, 0
                                        ; implicit-def: $sgpr5
                                        ; implicit-def: $vgpr35_vgpr36
	s_and_saveexec_b32 s9, s2
	s_cbranch_execz .LBB91_69
; %bb.50:
	v_cndmask_b32_e64 v7, 0, 1, s1
	v_cndmask_b32_e64 v8, 0, 1, s0
	v_add_nc_u32_e32 v13, 3, v104
	v_mov_b32_e32 v5, 0
	v_mov_b32_e32 v29, 0
	v_lshlrev_b16 v7, 8, v7
	v_mov_b32_e32 v27, 0
	v_mov_b32_e32 v33, 0
	;; [unrolled: 1-line block ×4, first 2 shown]
	v_or_b32_e32 v53, v8, v7
	v_mov_b32_e32 v37, 0
	v_mov_b32_e32 v55, 0
	v_cmp_gt_u32_e64 s0, s45, v13
	v_mov_b32_e32 v77, 0
	v_lshlrev_b32_e32 v54, 16, v53
	v_mov_b32_e32 v25, 0
	v_mov_b32_e32 v79, 0
	;; [unrolled: 1-line block ×4, first 2 shown]
	v_or_b32_sdwa v7, v3, v54 dst_sel:DWORD dst_unused:UNUSED_PAD src0_sel:WORD_0 src1_sel:DWORD
	v_mov_b32_e32 v17, 0
	v_mov_b32_e32 v19, 0
	;; [unrolled: 1-line block ×4, first 2 shown]
	v_lshrrev_b32_e32 v93, 8, v7
	v_mov_b32_e32 v7, 0
	v_mov_b32_e32 v6, 0
	;; [unrolled: 1-line block ×34, first 2 shown]
	s_mov_b32 s1, 0
                                        ; implicit-def: $sgpr5
                                        ; implicit-def: $vgpr35_vgpr36
	s_and_saveexec_b32 s10, s0
	s_cbranch_execz .LBB91_68
; %bb.51:
	ds_read2_b64 v[13:16], v101 offset0:3 offset1:4
	v_add_nc_u32_e32 v7, 4, v104
	v_mov_b32_e32 v5, 0
	v_mov_b32_e32 v29, 0
	v_mov_b32_e32 v27, 0
	v_mov_b32_e32 v33, 0
	v_cmp_gt_u32_e64 s0, s45, v7
	v_mov_b32_e32 v31, 0
	v_mov_b32_e32 v39, 0
	;; [unrolled: 1-line block ×41, first 2 shown]
                                        ; implicit-def: $sgpr5
                                        ; implicit-def: $vgpr35_vgpr36
	s_and_saveexec_b32 s11, s0
	s_cbranch_execz .LBB91_67
; %bb.52:
	v_add_nc_u32_e32 v7, 5, v104
	v_mov_b32_e32 v5, 0
	v_mov_b32_e32 v29, 0
	;; [unrolled: 1-line block ×4, first 2 shown]
	v_cmp_gt_u32_e64 s0, s45, v7
	v_mov_b32_e32 v31, 0
	v_mov_b32_e32 v39, 0
	;; [unrolled: 1-line block ×34, first 2 shown]
                                        ; implicit-def: $sgpr5
                                        ; implicit-def: $vgpr35_vgpr36
	s_and_saveexec_b32 s12, s0
	s_cbranch_execz .LBB91_66
; %bb.53:
	ds_read2_b64 v[17:20], v101 offset0:5 offset1:6
	v_cmp_ne_u64_e64 s0, v[61:62], v[63:64]
	v_cmp_ne_u64_e64 s2, v[59:60], v[61:62]
	v_add_nc_u32_e32 v6, 6, v104
	v_cmp_ne_u64_e64 s1, v[49:50], v[51:52]
	v_mov_b32_e32 v29, 0
	v_mov_b32_e32 v27, 0
	v_cndmask_b32_e64 v5, 0, 1, s0
	v_cmp_ne_u64_e64 s0, v[63:64], v[49:50]
	v_cndmask_b32_e64 v38, 0, 1, s2
	v_cmp_gt_u32_e64 s2, s45, v6
	v_mov_b32_e32 v33, 0
	v_lshlrev_b16 v37, 8, v5
	v_mov_b32_e32 v5, 0
	v_mov_b32_e32 v31, 0
	;; [unrolled: 1-line block ×30, first 2 shown]
                                        ; implicit-def: $sgpr5
                                        ; implicit-def: $vgpr35_vgpr36
	s_and_saveexec_b32 s13, s2
	s_cbranch_execz .LBB91_65
; %bb.54:
	v_cndmask_b32_e64 v5, 0, 1, s1
	v_cndmask_b32_e64 v7, 0, 1, s0
	v_mov_b32_e32 v29, 0
	v_mov_b32_e32 v27, 0
	;; [unrolled: 1-line block ×3, first 2 shown]
	v_lshlrev_b16 v8, 8, v5
	v_mov_b32_e32 v5, 0
	v_mov_b32_e32 v77, 0
	;; [unrolled: 1-line block ×4, first 2 shown]
	v_or_b32_e32 v31, v7, v8
	v_mov_b32_e32 v7, 0
	v_mov_b32_e32 v21, 0
	v_add_nc_u32_e32 v23, 7, v104
	v_mov_b32_e32 v98, 0
	v_lshlrev_b32_e32 v32, 16, v31
	v_mov_b32_e32 v6, 0
	v_mov_b32_e32 v97, 0
	v_mov_b32_e32 v94, 0
	v_mov_b32_e32 v96, 0
	v_or_b32_sdwa v24, v37, v32 dst_sel:DWORD dst_unused:UNUSED_PAD src0_sel:WORD_0 src1_sel:DWORD
	v_mov_b32_e32 v30, 0
	v_mov_b32_e32 v28, 0
	;; [unrolled: 1-line block ×11, first 2 shown]
	v_lshrrev_b32_e32 v95, 8, v24
	v_mov_b32_e32 v83, 0
	s_mov_b32 s1, 0
	s_mov_b32 s36, exec_lo
                                        ; implicit-def: $sgpr5
                                        ; implicit-def: $vgpr35_vgpr36
	v_cmpx_gt_u32_e64 s45, v23
	s_cbranch_execz .LBB91_64
; %bb.55:
	ds_read2_b64 v[21:24], v101 offset0:7 offset1:8
	v_add_nc_u32_e32 v7, 8, v104
	v_mov_b32_e32 v5, 0
	v_mov_b32_e32 v29, 0
	;; [unrolled: 1-line block ×4, first 2 shown]
	v_cmp_gt_u32_e64 s0, s45, v7
	v_mov_b32_e32 v7, 0
	v_mov_b32_e32 v25, 0
	;; [unrolled: 1-line block ×16, first 2 shown]
                                        ; implicit-def: $sgpr5
                                        ; implicit-def: $vgpr35_vgpr36
	s_and_saveexec_b32 s37, s0
	s_cbranch_execz .LBB91_63
; %bb.56:
	v_add_nc_u32_e32 v7, 9, v104
	v_mov_b32_e32 v5, 0
	v_mov_b32_e32 v29, 0
	;; [unrolled: 1-line block ×4, first 2 shown]
	v_cmp_gt_u32_e64 s0, s45, v7
	v_mov_b32_e32 v7, 0
	v_mov_b32_e32 v6, 0
	;; [unrolled: 1-line block ×10, first 2 shown]
                                        ; implicit-def: $sgpr5
                                        ; implicit-def: $vgpr35_vgpr36
	s_and_saveexec_b32 s46, s0
	s_cbranch_execz .LBB91_62
; %bb.57:
	ds_read2_b64 v[25:28], v101 offset0:9 offset1:10
	v_add_nc_u32_e32 v5, 10, v104
	v_cmp_ne_u64_e64 s0, v[51:52], v[41:42]
	v_mov_b32_e32 v7, 0
	v_mov_b32_e32 v77, 0
	;; [unrolled: 1-line block ×3, first 2 shown]
	v_cmp_gt_u32_e64 s1, s45, v5
	v_mov_b32_e32 v5, 0
	v_mov_b32_e32 v6, 0
	v_mov_b32_e32 v8, 0
	v_mov_b32_e32 v78, 0
	v_mov_b32_e32 v81, 0
	s_mov_b32 s2, 0
                                        ; implicit-def: $sgpr5
                                        ; implicit-def: $vgpr35_vgpr36
	s_and_saveexec_b32 s47, s1
	s_cbranch_execz .LBB91_61
; %bb.58:
	v_cmp_ne_u64_e64 s1, v[41:42], v[43:44]
	v_mov_b32_e32 v7, 0
	v_add_nc_u32_e32 v5, 11, v104
	v_mov_b32_e32 v8, 0
	v_mov_b32_e32 v81, 0
	s_mov_b32 s48, exec_lo
                                        ; implicit-def: $sgpr5
                                        ; implicit-def: $vgpr35_vgpr36
	v_cmpx_gt_u32_e64 s45, v5
	s_xor_b32 s48, exec_lo, s48
	s_cbranch_execz .LBB91_60
; %bb.59:
	ds_read2_b64 v[33:36], v101 offset0:11 offset1:12
	v_add_nc_u32_e32 v5, 12, v104
	v_cmp_ne_u64_e64 s3, v[43:44], v[45:46]
	v_cmp_ne_u64_e64 s5, v[45:46], v[47:48]
	v_cmp_gt_u32_e64 s2, s45, v5
	v_cndmask_b32_e64 v81, 0, 1, s3
	s_and_b32 s3, s2, exec_lo
	s_waitcnt lgkmcnt(0)
	v_mov_b32_e32 v7, v33
	v_mov_b32_e32 v8, v34
.LBB91_60:
	s_or_b32 exec_lo, exec_lo, s48
	s_waitcnt lgkmcnt(0)
	v_mov_b32_e32 v5, v27
	v_mov_b32_e32 v78, v28
	v_cndmask_b32_e64 v94, 0, 1, s1
	v_mov_b32_e32 v6, v28
	v_mov_b32_e32 v77, v27
	s_and_b32 s2, s3, exec_lo
.LBB91_61:
	s_or_b32 exec_lo, exec_lo, s47
	v_cndmask_b32_e64 v96, 0, 1, s0
	s_waitcnt lgkmcnt(0)
	v_mov_b32_e32 v30, v26
	v_mov_b32_e32 v29, v25
	s_and_b32 s1, s2, exec_lo
	v_mov_b32_e32 v83, v96
.LBB91_62:
	s_or_b32 exec_lo, exec_lo, s46
	s_waitcnt lgkmcnt(0)
	v_mov_b32_e32 v28, v24
	v_mov_b32_e32 v80, v24
	v_lshrrev_b32_e32 v97, 24, v32
	v_mov_b32_e32 v27, v23
	v_mov_b32_e32 v82, v94
	v_mov_b32_e32 v79, v23
	s_and_b32 s1, s1, exec_lo
.LBB91_63:
	s_or_b32 exec_lo, exec_lo, s37
	s_waitcnt lgkmcnt(0)
	v_mov_b32_e32 v34, v22
	v_mov_b32_e32 v98, v31
	;; [unrolled: 1-line block ×4, first 2 shown]
	s_and_b32 s1, s1, exec_lo
.LBB91_64:
	s_or_b32 exec_lo, exec_lo, s36
	s_waitcnt lgkmcnt(0)
	v_mov_b32_e32 v32, v20
	v_mov_b32_e32 v24, v20
	;; [unrolled: 1-line block ×6, first 2 shown]
	s_and_b32 s3, s1, exec_lo
.LBB91_65:
	s_or_b32 exec_lo, exec_lo, s13
	s_waitcnt lgkmcnt(0)
	v_mov_b32_e32 v40, v18
	v_or_b32_e32 v99, v38, v37
	v_mov_b32_e32 v39, v17
	s_and_b32 s1, s3, exec_lo
.LBB91_66:
	s_or_b32 exec_lo, exec_lo, s12
	v_lshrrev_b32_e32 v100, 24, v54
	s_waitcnt lgkmcnt(0)
	v_mov_b32_e32 v38, v16
	v_mov_b32_e32 v20, v16
	;; [unrolled: 1-line block ×6, first 2 shown]
	s_and_b32 s1, s1, exec_lo
.LBB91_67:
	s_or_b32 exec_lo, exec_lo, s11
	s_waitcnt lgkmcnt(0)
	v_mov_b32_e32 v56, v14
	v_mov_b32_e32 v102, v53
	;; [unrolled: 1-line block ×4, first 2 shown]
	s_and_b32 s1, s1, exec_lo
.LBB91_68:
	s_or_b32 exec_lo, exec_lo, s10
	s_waitcnt lgkmcnt(0)
	v_mov_b32_e32 v54, v12
	v_mov_b32_e32 v16, v12
	;; [unrolled: 1-line block ×5, first 2 shown]
	s_and_b32 s3, s1, exec_lo
.LBB91_69:
	s_or_b32 exec_lo, exec_lo, s9
	v_or_b32_e32 v103, v4, v3
	s_waitcnt lgkmcnt(0)
	v_mov_b32_e32 v3, v9
	v_mov_b32_e32 v4, v10
	s_and_b32 s1, s3, exec_lo
	v_mov_b32_e32 v92, v103
.LBB91_70:
	s_or_b32 exec_lo, exec_lo, s8
	v_cndmask_b32_e64 v105, 0, 1, vcc_lo
	s_and_b32 s1, s1, exec_lo
	v_mov_b32_e32 v87, v105
.LBB91_71:
	s_or_b32 exec_lo, exec_lo, s7
	v_lshlrev_b32_e32 v57, 3, v0
	s_and_b32 vcc_lo, exec_lo, s4
	s_cbranch_vccnz .LBB91_73
	s_branch .LBB91_81
.LBB91_72:
                                        ; implicit-def: $sgpr5
                                        ; implicit-def: $vgpr99
                                        ; implicit-def: $vgpr95
                                        ; implicit-def: $vgpr98
                                        ; implicit-def: $vgpr97
                                        ; implicit-def: $vgpr103
                                        ; implicit-def: $vgpr93
                                        ; implicit-def: $vgpr102
                                        ; implicit-def: $vgpr100
                                        ; implicit-def: $vgpr35_vgpr36
                                        ; implicit-def: $vgpr94
                                        ; implicit-def: $vgpr5_vgpr6
                                        ; implicit-def: $vgpr96
                                        ; implicit-def: $vgpr29_vgpr30
                                        ; implicit-def: $vgpr33_vgpr34
                                        ; implicit-def: $vgpr39_vgpr40
                                        ; implicit-def: $vgpr55_vgpr56
                                        ; implicit-def: $vgpr3_vgpr4
                                        ; implicit-def: $vgpr105
                                        ; implicit-def: $vgpr88
                                        ; implicit-def: $vgpr86
                                        ; implicit-def: $vgpr85
                                        ; implicit-def: $vgpr84
                                        ; implicit-def: $vgpr92
                                        ; implicit-def: $vgpr91
                                        ; implicit-def: $vgpr90
                                        ; implicit-def: $vgpr89
                                        ; implicit-def: $vgpr81
                                        ; implicit-def: $vgpr82
                                        ; implicit-def: $vgpr77_vgpr78
                                        ; implicit-def: $vgpr83
                                        ; implicit-def: $vgpr25_vgpr26
                                        ; implicit-def: $vgpr79_vgpr80
                                        ; implicit-def: $vgpr21_vgpr22
                                        ; implicit-def: $vgpr23_vgpr24
                                        ; implicit-def: $vgpr17_vgpr18
                                        ; implicit-def: $vgpr19_vgpr20
                                        ; implicit-def: $vgpr13_vgpr14
                                        ; implicit-def: $vgpr15_vgpr16
                                        ; implicit-def: $vgpr9_vgpr10
                                        ; implicit-def: $vgpr87
	v_lshlrev_b32_e32 v57, 3, v0
	s_cbranch_execz .LBB91_81
.LBB91_73:
	s_waitcnt lgkmcnt(0)
	v_add_co_u32 v1, s0, s14, v57
	v_add_co_ci_u32_e64 v2, null, s15, 0, s0
	v_mad_u32_u24 v35, 0x60, v0, v57
	v_add_co_u32 v3, vcc_lo, 0x800, v1
	v_add_co_ci_u32_e64 v4, null, 0, v2, vcc_lo
	v_add_co_u32 v5, vcc_lo, 0x1000, v1
	v_add_co_ci_u32_e64 v6, null, 0, v2, vcc_lo
	;; [unrolled: 2-line block ×10, first 2 shown]
	v_add_co_u32 v25, vcc_lo, 0x5800, v1
	s_clause 0x7
	flat_load_dwordx2 v[17:18], v[1:2]
	flat_load_dwordx2 v[3:4], v[3:4]
	;; [unrolled: 1-line block ×8, first 2 shown]
	v_add_co_ci_u32_e64 v26, null, 0, v2, vcc_lo
	v_add_co_u32 v1, vcc_lo, 0x6000, v1
	v_add_co_ci_u32_e64 v2, null, 0, v2, vcc_lo
	s_clause 0x4
	flat_load_dwordx2 v[19:20], v[19:20]
	flat_load_dwordx2 v[21:22], v[21:22]
	;; [unrolled: 1-line block ×5, first 2 shown]
	s_cmp_eq_u64 s[16:17], 0
	s_waitcnt vmcnt(11) lgkmcnt(11)
	ds_write2st64_b64 v57, v[17:18], v[3:4] offset1:4
	s_waitcnt vmcnt(9) lgkmcnt(10)
	ds_write2st64_b64 v57, v[5:6], v[7:8] offset0:8 offset1:12
	s_waitcnt vmcnt(7) lgkmcnt(9)
	ds_write2st64_b64 v57, v[9:10], v[11:12] offset0:16 offset1:20
	;; [unrolled: 2-line block ×5, first 2 shown]
	s_waitcnt vmcnt(0) lgkmcnt(6)
	ds_write_b64 v57, v[1:2] offset:24576
	s_waitcnt lgkmcnt(0)
	s_barrier
	buffer_gl0_inv
	ds_read2_b64 v[1:4], v35 offset0:2 offset1:3
	ds_read2_b64 v[9:12], v35 offset0:3 offset1:4
	ds_read2_b64 v[5:8], v35 offset1:1
	ds_read2_b64 v[13:16], v35 offset0:1 offset1:2
	ds_read2_b64 v[17:20], v35 offset0:7 offset1:8
	;; [unrolled: 1-line block ×5, first 2 shown]
	s_cbranch_scc1 .LBB91_78
; %bb.74:
	s_andn2_b32 vcc_lo, exec_lo, s44
	s_cbranch_vccnz .LBB91_238
; %bb.75:
	s_lshl_b64 s[0:1], s[16:17], 3
	s_add_u32 s0, s42, s0
	s_addc_u32 s1, s43, s1
	s_add_u32 s0, s0, -8
	s_addc_u32 s1, s1, -1
	s_cbranch_execnz .LBB91_77
.LBB91_76:
	s_add_u32 s0, s14, -8
	s_addc_u32 s1, s15, -1
.LBB91_77:
	s_mov_b64 s[14:15], s[0:1]
.LBB91_78:
	v_mov_b32_e32 v34, s15
	v_mov_b32_e32 v33, s14
	v_mad_i32_i24 v36, 0xffffffa0, v0, v35
	s_mov_b32 s0, exec_lo
	flat_load_dwordx2 v[33:34], v[33:34]
	s_waitcnt lgkmcnt(1)
	ds_write_b64 v36, v[31:32] offset:26624
	s_waitcnt vmcnt(0) lgkmcnt(0)
	s_barrier
	buffer_gl0_inv
	v_cmpx_ne_u32_e32 0, v0
; %bb.79:
	v_mul_i32_i24_e32 v33, 0xffffffa0, v0
	v_add_nc_u32_e32 v33, v35, v33
	ds_read_b64 v[33:34], v33 offset:26616
; %bb.80:
	s_or_b32 exec_lo, exec_lo, s0
	v_add_co_u32 v36, s0, s40, v57
	v_add_co_ci_u32_e64 v37, null, s41, 0, s0
	s_waitcnt lgkmcnt(0)
	v_add_co_u32 v38, vcc_lo, 0x800, v36
	v_add_co_ci_u32_e64 v39, null, 0, v37, vcc_lo
	v_add_co_u32 v40, vcc_lo, 0x1000, v36
	v_add_co_ci_u32_e64 v41, null, 0, v37, vcc_lo
	;; [unrolled: 2-line block ×10, first 2 shown]
	v_add_co_u32 v62, vcc_lo, 0x5800, v36
	s_barrier
	buffer_gl0_inv
	s_clause 0x7
	flat_load_dwordx2 v[52:53], v[36:37]
	flat_load_dwordx2 v[38:39], v[38:39]
	;; [unrolled: 1-line block ×8, first 2 shown]
	v_add_co_ci_u32_e64 v63, null, 0, v37, vcc_lo
	v_add_co_u32 v36, vcc_lo, 0x6000, v36
	v_add_co_ci_u32_e64 v37, null, 0, v37, vcc_lo
	s_clause 0x4
	flat_load_dwordx2 v[54:55], v[54:55]
	flat_load_dwordx2 v[58:59], v[58:59]
	;; [unrolled: 1-line block ×5, first 2 shown]
	v_cmp_ne_u64_e32 vcc_lo, v[27:28], v[29:30]
	v_cmp_ne_u64_e64 s5, v[29:30], v[31:32]
	s_mov_b32 s1, -1
	s_waitcnt vmcnt(11) lgkmcnt(11)
	ds_write2st64_b64 v57, v[52:53], v[38:39] offset1:4
	s_waitcnt vmcnt(9) lgkmcnt(10)
	ds_write2st64_b64 v57, v[40:41], v[42:43] offset0:8 offset1:12
	s_waitcnt vmcnt(7) lgkmcnt(9)
	ds_write2st64_b64 v57, v[44:45], v[46:47] offset0:16 offset1:20
	s_waitcnt vmcnt(5) lgkmcnt(8)
	ds_write2st64_b64 v57, v[48:49], v[50:51] offset0:24 offset1:28
	s_waitcnt vmcnt(3) lgkmcnt(7)
	ds_write2st64_b64 v57, v[54:55], v[58:59] offset0:32 offset1:36
	s_waitcnt vmcnt(1) lgkmcnt(6)
	ds_write2st64_b64 v57, v[60:61], v[62:63] offset0:40 offset1:44
	s_waitcnt vmcnt(0) lgkmcnt(6)
	ds_write_b64 v57, v[36:37] offset:24576
	v_cndmask_b32_e64 v81, 0, 1, vcc_lo
	v_cmp_ne_u64_e32 vcc_lo, v[25:26], v[27:28]
	s_waitcnt lgkmcnt(0)
	s_barrier
	buffer_gl0_inv
	v_cndmask_b32_e64 v94, 0, 1, vcc_lo
	v_cmp_ne_u64_e32 vcc_lo, v[19:20], v[25:26]
	v_mov_b32_e32 v82, v94
	v_cndmask_b32_e64 v96, 0, 1, vcc_lo
	v_cmp_ne_u64_e32 vcc_lo, v[21:22], v[23:24]
	v_mov_b32_e32 v83, v96
	v_cndmask_b32_e64 v25, 0, 1, vcc_lo
	v_cmp_ne_u64_e32 vcc_lo, v[11:12], v[21:22]
	v_cndmask_b32_e64 v21, 0, 1, vcc_lo
	v_cmp_ne_u64_e32 vcc_lo, v[17:18], v[19:20]
	;; [unrolled: 2-line block ×7, first 2 shown]
	v_lshlrev_b16 v2, 8, v19
	v_lshlrev_b16 v10, 8, v7
	;; [unrolled: 1-line block ×4, first 2 shown]
	v_cndmask_b32_e64 v1, 0, 1, vcc_lo
	v_cmp_ne_u64_e32 vcc_lo, v[33:34], v[5:6]
	v_or_b32_e32 v98, v17, v2
	v_or_b32_e32 v103, v8, v10
	ds_read2_b64 v[27:30], v35 offset0:8 offset1:9
	ds_read2_b64 v[5:8], v35 offset0:10 offset1:11
	v_or_b32_e32 v102, v1, v3
	ds_read2_b64 v[37:40], v35 offset0:4 offset1:5
	ds_read2_b64 v[31:34], v35 offset0:6 offset1:7
	ds_read2_b64 v[1:4], v35 offset1:1
	ds_read2_b64 v[53:56], v35 offset0:2 offset1:3
	v_lshlrev_b32_e32 v11, 16, v98
	ds_read_b64 v[35:36], v35 offset:96
	v_lshlrev_b32_e32 v12, 16, v102
	v_or_b32_e32 v99, v21, v9
	v_cndmask_b32_e64 v105, 0, 1, vcc_lo
	v_or_b32_sdwa v9, v9, v11 dst_sel:DWORD dst_unused:UNUSED_PAD src0_sel:WORD_0 src1_sel:DWORD
	v_lshrrev_b32_e32 v97, 24, v11
	v_or_b32_sdwa v10, v10, v12 dst_sel:DWORD dst_unused:UNUSED_PAD src0_sel:WORD_0 src1_sel:DWORD
	v_lshrrev_b32_e32 v100, 24, v12
	v_mov_b32_e32 v88, v99
	v_lshrrev_b32_e32 v95, 8, v9
	v_mov_b32_e32 v85, v98
	;; [unrolled: 2-line block ×3, first 2 shown]
	v_mov_b32_e32 v90, v102
	s_waitcnt lgkmcnt(6)
	v_mov_b32_e32 v25, v29
	s_waitcnt lgkmcnt(5)
	v_mov_b32_e32 v78, v6
	v_mov_b32_e32 v80, v28
	s_waitcnt lgkmcnt(3)
	v_mov_b32_e32 v21, v33
	v_mov_b32_e32 v23, v31
	v_mov_b32_e32 v17, v39
	v_mov_b32_e32 v19, v37
	s_waitcnt lgkmcnt(1)
	v_mov_b32_e32 v13, v55
	v_mov_b32_e32 v15, v53
	;; [unrolled: 1-line block ×18, first 2 shown]
.LBB91_81:
	v_mov_b32_e32 v11, 0
	v_mov_b32_e32 v12, 0
	;; [unrolled: 1-line block ×3, first 2 shown]
	s_and_saveexec_b32 s0, s1
	s_cbranch_execz .LBB91_83
; %bb.82:
	v_mov_b32_e32 v10, v4
	v_mov_b32_e32 v15, v53
	;; [unrolled: 1-line block ×10, first 2 shown]
	s_waitcnt lgkmcnt(0)
	v_mov_b32_e32 v11, v35
	v_cndmask_b32_e64 v58, 0, 1, s5
	v_mov_b32_e32 v87, v105
	v_mov_b32_e32 v9, v3
	;; [unrolled: 1-line block ×22, first 2 shown]
.LBB91_83:
	s_or_b32 exec_lo, exec_lo, s0
	v_and_b32_e32 v61, 1, v88
	v_and_b32_e32 v62, 1, v84
	;; [unrolled: 1-line block ×5, first 2 shown]
	v_or_b32_e32 v55, v89, v90
	v_or_b32_e32 v54, v85, v86
	;; [unrolled: 1-line block ×3, first 2 shown]
	v_cmp_eq_u32_e64 s16, 1, v61
	v_cmp_eq_u32_e64 s14, 1, v62
	;; [unrolled: 1-line block ×3, first 2 shown]
	v_cmp_eq_u16_e64 s0, 0, v58
	v_cmp_eq_u32_e64 s13, 1, v59
	v_mbcnt_lo_u32_b32 v53, -1, 0
	s_cmp_lg_u32 s6, 0
	v_cmp_eq_u32_e32 vcc_lo, 1, v63
	s_waitcnt lgkmcnt(0)
	s_barrier
	buffer_gl0_inv
	s_cbranch_scc0 .LBB91_141
; %bb.84:
	v_mov_b32_e32 v3, 0
	v_or_b32_e32 v6, v92, v87
	v_cmp_eq_u16_sdwa s11, v92, v3 src0_sel:BYTE_0 src1_sel:DWORD
	v_cmp_eq_u16_sdwa s12, v91, v3 src0_sel:BYTE_0 src1_sel:DWORD
	;; [unrolled: 1-line block ×5, first 2 shown]
	v_cndmask_b32_e64 v5, 0, v1, s11
	v_cndmask_b32_e64 v4, 0, v2, s11
	v_cmp_eq_u16_sdwa s7, v86, v3 src0_sel:BYTE_0 src1_sel:DWORD
	v_cmp_eq_u16_sdwa s5, v85, v3 src0_sel:BYTE_0 src1_sel:DWORD
	;; [unrolled: 1-line block ×3, first 2 shown]
	v_add_co_u32 v5, s1, v5, v9
	v_add_co_ci_u32_e64 v4, null, v4, v10, s1
	v_cmp_eq_u16_sdwa s2, v83, v3 src0_sel:BYTE_0 src1_sel:DWORD
	v_cndmask_b32_e64 v5, 0, v5, s12
	v_cmp_ne_u16_sdwa s37, v56, v3 src0_sel:BYTE_0 src1_sel:DWORD
	v_cndmask_b32_e64 v4, 0, v4, s12
	v_cmp_ne_u16_sdwa s17, v6, v3 src0_sel:BYTE_0 src1_sel:DWORD
	v_cmp_ne_u16_sdwa s36, v55, v3 src0_sel:BYTE_0 src1_sel:DWORD
	v_add_co_u32 v5, s1, v5, v15
	v_add_co_ci_u32_e64 v4, null, v4, v16, s1
	v_cmp_ne_u16_sdwa s40, v54, v3 src0_sel:BYTE_0 src1_sel:DWORD
	v_cndmask_b32_e64 v5, 0, v5, s10
	s_or_b32 s15, s37, s15
	v_cndmask_b32_e64 v4, 0, v4, s10
	s_or_b32 s15, s13, s15
	s_or_b32 s14, s40, s14
	v_add_co_u32 v5, s1, v5, v13
	v_add_co_ci_u32_e64 v4, null, v4, v14, s1
	s_or_b32 s16, s36, s16
	v_cndmask_b32_e64 v5, 0, v5, s9
	v_cndmask_b32_e64 v4, 0, v4, s9
	v_add_co_u32 v5, s1, v5, v19
	v_add_co_ci_u32_e64 v4, null, v4, v20, s1
	v_cndmask_b32_e64 v5, 0, v5, s8
	v_cndmask_b32_e64 v4, 0, v4, s8
	v_add_co_u32 v5, s1, v5, v17
	v_add_co_ci_u32_e64 v4, null, v4, v18, s1
	v_cndmask_b32_e64 v5, 0, v5, s7
	v_cndmask_b32_e64 v4, 0, v4, s7
	v_add_co_u32 v5, s1, v5, v23
	v_add_co_ci_u32_e64 v4, null, v4, v24, s1
	v_cndmask_b32_e64 v5, 0, v5, s5
	v_cndmask_b32_e64 v4, 0, v4, s5
	v_add_co_u32 v5, s1, v5, v21
	v_add_co_ci_u32_e64 v4, null, v4, v22, s1
	v_cndmask_b32_e64 v5, 0, v5, s4
	v_cndmask_b32_e64 v4, 0, v4, s4
	v_add_co_u32 v5, s1, v5, v79
	v_add_co_ci_u32_e64 v4, null, v4, v80, s1
	v_cndmask_b32_e64 v5, 0, v5, s2
	v_cndmask_b32_e64 v4, 0, v4, s2
	v_add_co_u32 v5, s1, v5, v25
	v_add_co_ci_u32_e64 v4, null, v4, v26, s1
	v_cmp_eq_u16_sdwa s1, v82, v3 src0_sel:BYTE_0 src1_sel:DWORD
	v_cndmask_b32_e64 v5, 0, v5, s1
	v_cndmask_b32_e64 v4, 0, v4, s1
	v_add_co_u32 v5, s3, v5, v77
	v_add_co_ci_u32_e64 v4, null, v4, v78, s3
	v_cmp_eq_u16_sdwa s3, v81, v3 src0_sel:BYTE_0 src1_sel:DWORD
	v_cndmask_b32_e64 v3, 0, v4, s3
	v_cndmask_b32_e64 v4, 0, v5, s3
	v_add_co_u32 v4, s13, v4, v7
	v_add_co_ci_u32_e64 v3, null, v3, v8, s13
	s_or_b32 s13, s15, s14
	v_cndmask_b32_e64 v4, 0, v4, s0
	s_or_b32 s14, s17, vcc_lo
	v_cndmask_b32_e64 v6, 0, v3, s0
	s_or_b32 s13, s13, s16
	s_or_b32 s13, s13, s14
	v_add_co_u32 v5, vcc_lo, v4, v11
	v_cndmask_b32_e64 v3, 0, 1, s13
	v_add_co_ci_u32_e64 v6, null, v6, v12, vcc_lo
	v_and_b32_e32 v4, 15, v53
	v_mov_b32_dpp v28, v5 row_shr:1 row_mask:0xf bank_mask:0xf
	v_mov_b32_dpp v27, v3 row_shr:1 row_mask:0xf bank_mask:0xf
	;; [unrolled: 1-line block ×3, first 2 shown]
	s_mov_b32 s14, exec_lo
	v_cmpx_ne_u32_e32 0, v4
; %bb.85:
	v_cndmask_b32_e64 v28, v28, 0, s13
	v_cndmask_b32_e64 v29, v29, 0, s13
	v_and_or_b32 v3, v27, 1, v3
	v_add_co_u32 v5, vcc_lo, v28, v5
	v_add_co_ci_u32_e64 v6, null, v29, v6, vcc_lo
; %bb.86:
	s_or_b32 exec_lo, exec_lo, s14
	v_mov_b32_dpp v28, v5 row_shr:2 row_mask:0xf bank_mask:0xf
	v_mov_b32_dpp v29, v6 row_shr:2 row_mask:0xf bank_mask:0xf
	v_mov_b32_dpp v27, v3 row_shr:2 row_mask:0xf bank_mask:0xf
	s_mov_b32 s13, exec_lo
	v_cmpx_lt_u32_e32 1, v4
	s_cbranch_execz .LBB91_88
; %bb.87:
	v_cmp_eq_u16_e32 vcc_lo, 0, v3
	v_or_b32_e32 v3, v27, v3
	v_cndmask_b32_e32 v28, 0, v28, vcc_lo
	v_cndmask_b32_e32 v29, 0, v29, vcc_lo
	v_and_b32_e32 v3, 1, v3
	v_add_co_u32 v5, vcc_lo, v28, v5
	v_add_co_ci_u32_e64 v6, null, v29, v6, vcc_lo
.LBB91_88:
	s_or_b32 exec_lo, exec_lo, s13
	v_mov_b32_dpp v28, v5 row_shr:4 row_mask:0xf bank_mask:0xf
	v_mov_b32_dpp v29, v6 row_shr:4 row_mask:0xf bank_mask:0xf
	v_mov_b32_dpp v27, v3 row_shr:4 row_mask:0xf bank_mask:0xf
	s_mov_b32 s13, exec_lo
	v_cmpx_lt_u32_e32 3, v4
	s_cbranch_execz .LBB91_90
; %bb.89:
	v_cmp_eq_u16_e32 vcc_lo, 0, v3
	v_or_b32_e32 v3, v27, v3
	v_cndmask_b32_e32 v28, 0, v28, vcc_lo
	v_cndmask_b32_e32 v29, 0, v29, vcc_lo
	v_and_b32_e32 v3, 1, v3
	v_add_co_u32 v5, vcc_lo, v28, v5
	v_add_co_ci_u32_e64 v6, null, v29, v6, vcc_lo
.LBB91_90:
	s_or_b32 exec_lo, exec_lo, s13
	v_mov_b32_dpp v28, v5 row_shr:8 row_mask:0xf bank_mask:0xf
	v_mov_b32_dpp v29, v6 row_shr:8 row_mask:0xf bank_mask:0xf
	v_mov_b32_dpp v27, v3 row_shr:8 row_mask:0xf bank_mask:0xf
	s_mov_b32 s13, exec_lo
	v_cmpx_lt_u32_e32 7, v4
	s_cbranch_execz .LBB91_92
; %bb.91:
	v_cmp_eq_u16_e32 vcc_lo, 0, v3
	v_or_b32_e32 v3, v27, v3
	v_cndmask_b32_e32 v28, 0, v28, vcc_lo
	v_cndmask_b32_e32 v4, 0, v29, vcc_lo
	v_and_b32_e32 v3, 1, v3
	v_add_co_u32 v5, vcc_lo, v28, v5
	v_add_co_ci_u32_e64 v6, null, v4, v6, vcc_lo
.LBB91_92:
	s_or_b32 exec_lo, exec_lo, s13
	ds_swizzle_b32 v4, v5 offset:swizzle(BROADCAST,32,15)
	ds_swizzle_b32 v28, v6 offset:swizzle(BROADCAST,32,15)
	;; [unrolled: 1-line block ×3, first 2 shown]
	v_and_b32_e32 v27, 16, v53
	v_cmp_ne_u32_e32 vcc_lo, 0, v27
	v_mov_b32_e32 v27, v3
	s_and_saveexec_b32 s15, vcc_lo
	s_cbranch_execz .LBB91_94
; %bb.93:
	v_cmp_eq_u16_e32 vcc_lo, 0, v3
	v_and_b32_e32 v3, 1, v3
	s_waitcnt lgkmcnt(0)
	v_and_b32_e32 v27, 1, v29
	v_cndmask_b32_e32 v28, 0, v28, vcc_lo
	v_cndmask_b32_e32 v4, 0, v4, vcc_lo
	v_cmp_eq_u32_e32 vcc_lo, 1, v3
	v_cmp_eq_u32_e64 s13, 1, v27
	v_add_co_u32 v5, s14, v4, v5
	s_or_b32 s13, vcc_lo, s13
	v_add_co_ci_u32_e64 v6, null, v28, v6, s14
	v_cndmask_b32_e64 v3, 0, 1, s13
	v_cndmask_b32_e64 v27, 0, 1, s13
.LBB91_94:
	s_or_b32 exec_lo, exec_lo, s15
	s_waitcnt lgkmcnt(1)
	v_lshrrev_b32_e32 v28, 5, v0
	v_or_b32_e32 v4, 31, v0
	s_mov_b32 s13, exec_lo
	v_lshlrev_b32_e32 v28, 4, v28
	v_cmpx_eq_u32_e64 v0, v4
	s_cbranch_execz .LBB91_96
; %bb.95:
	ds_write_b64 v28, v[5:6]
	ds_write_b8 v28, v3 offset:8
.LBB91_96:
	s_or_b32 exec_lo, exec_lo, s13
	s_mov_b32 s15, exec_lo
	s_waitcnt lgkmcnt(0)
	s_barrier
	buffer_gl0_inv
	v_cmpx_gt_u32_e32 8, v0
	s_cbranch_execz .LBB91_104
; %bb.97:
	v_lshlrev_b32_e32 v29, 4, v0
	v_and_b32_e32 v30, 7, v53
	s_mov_b32 s13, exec_lo
	ds_read_b64 v[3:4], v29
	ds_read_b32 v34, v29 offset:8
	s_waitcnt lgkmcnt(1)
	v_mov_b32_dpp v35, v3 row_shr:1 row_mask:0xf bank_mask:0xf
	v_mov_b32_dpp v36, v4 row_shr:1 row_mask:0xf bank_mask:0xf
	s_waitcnt lgkmcnt(0)
	v_and_b32_e32 v32, 0xffffff00, v34
	v_mov_b32_dpp v37, v34 row_shr:1 row_mask:0xf bank_mask:0xf
	v_mov_b32_e32 v33, v34
	v_mov_b32_e32 v31, v34
	v_cmpx_ne_u32_e32 0, v30
	s_cbranch_execz .LBB91_99
; %bb.98:
	v_mov_b32_e32 v31, 0
	v_cmp_eq_u16_sdwa vcc_lo, v34, v31 src0_sel:BYTE_0 src1_sel:DWORD
	v_or_b32_e32 v31, v37, v34
	v_cndmask_b32_e32 v35, 0, v35, vcc_lo
	v_cndmask_b32_e32 v34, 0, v36, vcc_lo
	v_and_b32_e32 v33, 1, v31
	v_and_b32_e32 v31, 1, v31
	v_add_co_u32 v3, vcc_lo, v35, v3
	v_add_co_ci_u32_e64 v4, null, v34, v4, vcc_lo
	v_or_b32_e32 v34, v31, v32
.LBB91_99:
	s_or_b32 exec_lo, exec_lo, s13
	v_mov_b32_dpp v35, v3 row_shr:2 row_mask:0xf bank_mask:0xf
	v_mov_b32_dpp v36, v4 row_shr:2 row_mask:0xf bank_mask:0xf
	;; [unrolled: 1-line block ×3, first 2 shown]
	s_mov_b32 s16, exec_lo
	v_cmpx_lt_u32_e32 1, v30
	s_cbranch_execz .LBB91_101
; %bb.100:
	v_mov_b32_e32 v33, 0
	v_and_b32_e32 v34, 1, v31
	v_and_b32_e32 v37, 1, v37
	v_cmp_eq_u16_sdwa vcc_lo, v31, v33 src0_sel:BYTE_0 src1_sel:DWORD
	v_cmp_eq_u32_e64 s13, 1, v34
	v_cmp_eq_u32_e64 s14, 1, v37
	v_cndmask_b32_e32 v34, 0, v35, vcc_lo
	v_cndmask_b32_e32 v31, 0, v36, vcc_lo
	s_or_b32 s13, s13, s14
	v_cndmask_b32_e64 v33, 0, 1, s13
	v_cndmask_b32_e64 v35, 0, 1, s13
	v_add_co_u32 v3, vcc_lo, v34, v3
	v_add_co_ci_u32_e64 v4, null, v31, v4, vcc_lo
	v_or_b32_e32 v34, v32, v35
	v_mov_b32_e32 v31, v33
.LBB91_101:
	s_or_b32 exec_lo, exec_lo, s16
	v_mov_b32_dpp v32, v3 row_shr:4 row_mask:0xf bank_mask:0xf
	v_mov_b32_dpp v35, v4 row_shr:4 row_mask:0xf bank_mask:0xf
	;; [unrolled: 1-line block ×3, first 2 shown]
	s_mov_b32 s16, exec_lo
	v_cmpx_lt_u32_e32 3, v30
	s_cbranch_execz .LBB91_103
; %bb.102:
	v_mov_b32_e32 v30, 0
	v_cmp_eq_u16_sdwa vcc_lo, v31, v30 src0_sel:BYTE_0 src1_sel:DWORD
	v_and_b32_e32 v30, 1, v31
	v_and_b32_e32 v31, 1, v34
	v_cndmask_b32_e32 v33, 0, v35, vcc_lo
	v_cndmask_b32_e32 v32, 0, v32, vcc_lo
	v_cmp_eq_u32_e32 vcc_lo, 1, v30
	v_cmp_eq_u32_e64 s13, 1, v31
	v_add_co_u32 v3, s14, v32, v3
	s_or_b32 s13, vcc_lo, s13
	v_add_co_ci_u32_e64 v4, null, v33, v4, s14
	v_cndmask_b32_e64 v33, 0, 1, s13
.LBB91_103:
	s_or_b32 exec_lo, exec_lo, s16
	ds_write_b64 v29, v[3:4]
	ds_write_b8 v29, v33 offset:8
.LBB91_104:
	s_or_b32 exec_lo, exec_lo, s15
	v_mov_b32_e32 v3, 0
	v_mov_b32_e32 v4, 0
	;; [unrolled: 1-line block ×3, first 2 shown]
	s_mov_b32 s14, exec_lo
	v_cmp_gt_u32_e32 vcc_lo, 32, v0
	s_waitcnt lgkmcnt(0)
	s_barrier
	buffer_gl0_inv
	v_cmpx_lt_u32_e32 31, v0
	s_cbranch_execz .LBB91_106
; %bb.105:
	v_add_nc_u32_e32 v3, -16, v28
	v_add_nc_u32_e32 v28, -8, v28
	v_cmp_eq_u32_e64 s13, 0, v27
	ds_read_b64 v[3:4], v3
	ds_read_u8 v28, v28
	s_waitcnt lgkmcnt(1)
	v_cndmask_b32_e64 v30, 0, v3, s13
	v_cndmask_b32_e64 v29, 0, v4, s13
	s_waitcnt lgkmcnt(0)
	v_or_b32_e32 v27, v28, v27
	v_and_b32_e32 v33, 1, v28
	v_add_co_u32 v5, s13, v30, v5
	v_add_co_ci_u32_e64 v6, null, v29, v6, s13
	v_and_b32_e32 v27, 1, v27
.LBB91_106:
	s_or_b32 exec_lo, exec_lo, s14
	v_sub_co_u32 v28, s13, v53, 1
	v_cmp_gt_i32_e64 s14, 0, v28
	v_cndmask_b32_e64 v28, v28, v53, s14
	v_lshlrev_b32_e32 v28, 2, v28
	ds_bpermute_b32 v34, v28, v5
	ds_bpermute_b32 v35, v28, v6
	;; [unrolled: 1-line block ×3, first 2 shown]
	s_and_saveexec_b32 s16, vcc_lo
	s_cbranch_execz .LBB91_146
; %bb.107:
	v_mov_b32_e32 v29, 0
	ds_read_b64 v[5:6], v29 offset:112
	ds_read_u8 v37, v29 offset:120
	s_and_saveexec_b32 s14, s13
	s_cbranch_execz .LBB91_109
; %bb.108:
	s_add_i32 s36, s6, 32
	s_mov_b32 s37, 0
	v_mov_b32_e32 v27, 1
	s_lshl_b64 s[40:41], s[36:37], 4
	v_mov_b32_e32 v28, s36
	s_add_u32 s40, s20, s40
	s_addc_u32 s41, s21, s41
	s_waitcnt lgkmcnt(1)
	global_store_dwordx2 v29, v[5:6], s[40:41]
	s_waitcnt lgkmcnt(0)
	global_store_byte v29, v37, s[40:41] offset:8
	s_waitcnt_vscnt null, 0x0
	buffer_gl1_inv
	buffer_gl0_inv
	global_store_byte v28, v27, s[24:25]
.LBB91_109:
	s_or_b32 exec_lo, exec_lo, s14
	v_xad_u32 v27, v53, -1, s6
	s_mov_b32 s15, 0
	s_mov_b32 s14, exec_lo
	v_add_nc_u32_e32 v28, 32, v27
	global_load_ubyte v38, v28, s[24:25] glc dlc
	s_waitcnt vmcnt(0)
	v_cmpx_eq_u16_e32 0, v38
	s_cbranch_execz .LBB91_113
; %bb.110:
	v_add_co_u32 v30, s17, s24, v28
	v_add_co_ci_u32_e64 v31, null, s25, 0, s17
.LBB91_111:                             ; =>This Inner Loop Header: Depth=1
	global_load_ubyte v38, v[30:31], off glc dlc
	s_waitcnt vmcnt(0)
	v_cmp_ne_u16_e32 vcc_lo, 0, v38
	s_or_b32 s15, vcc_lo, s15
	s_andn2_b32 exec_lo, exec_lo, s15
	s_cbranch_execnz .LBB91_111
; %bb.112:
	s_or_b32 exec_lo, exec_lo, s15
.LBB91_113:
	s_or_b32 exec_lo, exec_lo, s14
	v_cmp_eq_u16_e32 vcc_lo, 1, v38
	v_mov_b32_e32 v31, s20
	v_mov_b32_e32 v30, s21
	v_lshlrev_b64 v[28:29], 4, v[28:29]
	s_waitcnt lgkmcnt(0)
	s_waitcnt_vscnt null, 0x0
	buffer_gl1_inv
	buffer_gl0_inv
	v_lshlrev_b32_e64 v40, v53, -1
	v_cndmask_b32_e32 v31, s22, v31, vcc_lo
	v_cndmask_b32_e32 v30, s23, v30, vcc_lo
	s_mov_b32 s14, exec_lo
	v_add_co_u32 v28, vcc_lo, v31, v28
	v_add_co_ci_u32_e64 v29, null, v30, v29, vcc_lo
	v_cmp_ne_u32_e32 vcc_lo, 31, v53
	s_clause 0x1
	global_load_ubyte v51, v[28:29], off offset:8
	global_load_dwordx2 v[31:32], v[28:29], off
	v_add_co_ci_u32_e64 v28, null, 0, v53, vcc_lo
	v_cmp_eq_u16_e32 vcc_lo, 2, v38
	v_lshlrev_b32_e32 v39, 2, v28
	v_and_or_b32 v28, vcc_lo, v40, 0x80000000
	v_ffbl_b32_e32 v28, v28
	s_waitcnt vmcnt(1)
	v_and_b32_e32 v29, 1, v51
	s_waitcnt vmcnt(0)
	ds_bpermute_b32 v30, v39, v31
	ds_bpermute_b32 v41, v39, v32
	;; [unrolled: 1-line block ×3, first 2 shown]
	v_cmpx_lt_u32_e64 v53, v28
	s_cbranch_execz .LBB91_115
; %bb.114:
	v_mov_b32_e32 v29, 0
	v_cmp_eq_u16_sdwa vcc_lo, v51, v29 src0_sel:BYTE_0 src1_sel:DWORD
	s_waitcnt lgkmcnt(0)
	v_and_b32_e32 v29, 1, v42
	v_cndmask_b32_e32 v30, 0, v30, vcc_lo
	v_cndmask_b32_e32 v41, 0, v41, vcc_lo
	v_or_b32_e32 v51, v29, v51
	v_add_co_u32 v31, vcc_lo, v30, v31
	v_add_co_ci_u32_e64 v32, null, v41, v32, vcc_lo
	v_and_b32_e32 v29, 0xff, v51
.LBB91_115:
	s_or_b32 exec_lo, exec_lo, s14
	v_cmp_gt_u32_e32 vcc_lo, 30, v53
	s_waitcnt lgkmcnt(0)
	v_add_nc_u32_e32 v42, 2, v53
	s_mov_b32 s17, exec_lo
	v_cndmask_b32_e64 v30, 0, 2, vcc_lo
	v_add_lshl_u32 v41, v30, v53, 2
	ds_bpermute_b32 v30, v41, v31
	ds_bpermute_b32 v43, v41, v32
	ds_bpermute_b32 v44, v41, v29
	v_cmpx_le_u32_e64 v42, v28
	s_cbranch_execz .LBB91_117
; %bb.116:
	v_mov_b32_e32 v29, 0
	v_and_b32_e32 v45, 1, v51
	s_waitcnt lgkmcnt(0)
	v_and_b32_e32 v44, 1, v44
	v_cmp_eq_u16_sdwa vcc_lo, v51, v29 src0_sel:BYTE_0 src1_sel:DWORD
	v_cmp_eq_u32_e64 s14, 1, v45
	v_cmp_eq_u32_e64 s15, 1, v44
	v_cndmask_b32_e32 v30, 0, v30, vcc_lo
	v_cndmask_b32_e32 v29, 0, v43, vcc_lo
	s_or_b32 s14, s14, s15
	v_cndmask_b32_e64 v51, 0, 1, s14
	v_add_co_u32 v31, vcc_lo, v30, v31
	v_add_co_ci_u32_e64 v32, null, v29, v32, vcc_lo
	v_cndmask_b32_e64 v29, 0, 1, s14
.LBB91_117:
	s_or_b32 exec_lo, exec_lo, s17
	v_cmp_gt_u32_e32 vcc_lo, 28, v53
	s_waitcnt lgkmcnt(0)
	v_add_nc_u32_e32 v44, 4, v53
	s_mov_b32 s17, exec_lo
	v_cndmask_b32_e64 v30, 0, 4, vcc_lo
	v_add_lshl_u32 v43, v30, v53, 2
	ds_bpermute_b32 v30, v43, v31
	ds_bpermute_b32 v45, v43, v32
	ds_bpermute_b32 v46, v43, v29
	v_cmpx_le_u32_e64 v44, v28
	s_cbranch_execz .LBB91_119
; %bb.118:
	v_mov_b32_e32 v29, 0
	v_and_b32_e32 v47, 1, v51
	s_waitcnt lgkmcnt(0)
	v_and_b32_e32 v46, 1, v46
	v_cmp_eq_u16_sdwa vcc_lo, v51, v29 src0_sel:BYTE_0 src1_sel:DWORD
	v_cmp_eq_u32_e64 s14, 1, v47
	v_cmp_eq_u32_e64 s15, 1, v46
	v_cndmask_b32_e32 v30, 0, v30, vcc_lo
	v_cndmask_b32_e32 v29, 0, v45, vcc_lo
	s_or_b32 s14, s14, s15
	v_cndmask_b32_e64 v51, 0, 1, s14
	v_add_co_u32 v31, vcc_lo, v30, v31
	v_add_co_ci_u32_e64 v32, null, v29, v32, vcc_lo
	v_cndmask_b32_e64 v29, 0, 1, s14
.LBB91_119:
	;; [unrolled: 28-line block ×3, first 2 shown]
	s_or_b32 exec_lo, exec_lo, s17
	s_waitcnt lgkmcnt(0)
	v_lshl_or_b32 v48, v53, 2, 64
	v_add_nc_u32_e32 v49, 16, v53
	s_mov_b32 s17, exec_lo
	ds_bpermute_b32 v30, v48, v31
	ds_bpermute_b32 v47, v48, v32
	ds_bpermute_b32 v29, v48, v29
	v_cmpx_le_u32_e64 v49, v28
	s_cbranch_execz .LBB91_123
; %bb.122:
	v_mov_b32_e32 v28, 0
	s_waitcnt lgkmcnt(0)
	v_and_b32_e32 v29, 1, v29
	v_cmp_eq_u16_sdwa vcc_lo, v51, v28 src0_sel:BYTE_0 src1_sel:DWORD
	v_and_b32_e32 v28, 1, v51
	v_cmp_eq_u32_e64 s14, 1, v29
	v_cndmask_b32_e32 v47, 0, v47, vcc_lo
	v_cndmask_b32_e32 v30, 0, v30, vcc_lo
	v_cmp_eq_u32_e32 vcc_lo, 1, v28
	v_add_co_u32 v31, s15, v30, v31
	s_or_b32 s14, vcc_lo, s14
	v_add_co_ci_u32_e64 v32, null, v47, v32, s15
	v_cndmask_b32_e64 v51, 0, 1, s14
.LBB91_123:
	s_or_b32 exec_lo, exec_lo, s17
	v_mov_b32_e32 v28, 0
	v_mov_b32_e32 v50, 2
	s_branch .LBB91_126
.LBB91_124:                             ;   in Loop: Header=BB91_126 Depth=1
	s_or_b32 exec_lo, exec_lo, s36
	v_cmp_eq_u16_sdwa vcc_lo, v47, v28 src0_sel:BYTE_0 src1_sel:DWORD
	v_and_b32_e32 v51, 1, v47
	v_subrev_nc_u32_e32 v27, 32, v27
	v_cndmask_b32_e32 v31, 0, v31, vcc_lo
	v_cndmask_b32_e32 v32, 0, v32, vcc_lo
	v_cmp_eq_u32_e32 vcc_lo, 1, v51
	v_add_co_u32 v31, s14, v31, v29
	v_add_co_ci_u32_e64 v32, null, v32, v30, s14
	s_or_b32 s14, vcc_lo, s17
	v_cndmask_b32_e64 v51, 0, 1, s14
	s_mov_b32 s14, 0
.LBB91_125:                             ;   in Loop: Header=BB91_126 Depth=1
	s_and_b32 vcc_lo, exec_lo, s14
	s_cbranch_vccnz .LBB91_142
.LBB91_126:                             ; =>This Loop Header: Depth=1
                                        ;     Child Loop BB91_129 Depth 2
	v_cmp_ne_u16_sdwa s14, v38, v50 src0_sel:BYTE_0 src1_sel:DWORD
	s_waitcnt lgkmcnt(0)
	v_mov_b32_e32 v29, v31
	v_mov_b32_e32 v47, v51
	;; [unrolled: 1-line block ×3, first 2 shown]
                                        ; implicit-def: $vgpr51
                                        ; implicit-def: $vgpr31_vgpr32
                                        ; implicit-def: $vgpr38
	s_cmp_lg_u32 s14, exec_lo
	s_mov_b32 s14, -1
	s_cbranch_scc1 .LBB91_125
; %bb.127:                              ;   in Loop: Header=BB91_126 Depth=1
	global_load_ubyte v38, v27, s[24:25] glc dlc
	s_mov_b32 s14, exec_lo
	s_waitcnt vmcnt(0)
	v_cmpx_eq_u16_e32 0, v38
	s_cbranch_execz .LBB91_131
; %bb.128:                              ;   in Loop: Header=BB91_126 Depth=1
	v_add_co_u32 v31, s15, s24, v27
	v_add_co_ci_u32_e64 v32, null, s25, 0, s15
	s_mov_b32 s15, 0
.LBB91_129:                             ;   Parent Loop BB91_126 Depth=1
                                        ; =>  This Inner Loop Header: Depth=2
	global_load_ubyte v38, v[31:32], off glc dlc
	s_waitcnt vmcnt(0)
	v_cmp_ne_u16_e32 vcc_lo, 0, v38
	s_or_b32 s15, vcc_lo, s15
	s_andn2_b32 exec_lo, exec_lo, s15
	s_cbranch_execnz .LBB91_129
; %bb.130:                              ;   in Loop: Header=BB91_126 Depth=1
	s_or_b32 exec_lo, exec_lo, s15
.LBB91_131:                             ;   in Loop: Header=BB91_126 Depth=1
	s_or_b32 exec_lo, exec_lo, s14
	v_cmp_eq_u16_e32 vcc_lo, 1, v38
	v_mov_b32_e32 v52, s20
	v_mov_b32_e32 v51, s21
	v_lshlrev_b64 v[31:32], 4, v[27:28]
	buffer_gl1_inv
	buffer_gl0_inv
	s_mov_b32 s14, exec_lo
	v_cndmask_b32_e32 v52, s22, v52, vcc_lo
	v_cndmask_b32_e32 v51, s23, v51, vcc_lo
	v_add_co_u32 v31, vcc_lo, v52, v31
	v_add_co_ci_u32_e64 v32, null, v51, v32, vcc_lo
	v_cmp_eq_u16_e32 vcc_lo, 2, v38
	s_clause 0x1
	global_load_ubyte v52, v[31:32], off offset:8
	global_load_dwordx2 v[31:32], v[31:32], off
	v_and_or_b32 v51, vcc_lo, v40, 0x80000000
	v_ffbl_b32_e32 v51, v51
	s_waitcnt vmcnt(1)
	v_and_b32_e32 v64, 1, v52
	s_waitcnt vmcnt(0)
	ds_bpermute_b32 v65, v39, v31
	ds_bpermute_b32 v66, v39, v32
	;; [unrolled: 1-line block ×3, first 2 shown]
	v_cmpx_lt_u32_e64 v53, v51
	s_cbranch_execz .LBB91_133
; %bb.132:                              ;   in Loop: Header=BB91_126 Depth=1
	v_cmp_eq_u16_sdwa vcc_lo, v52, v28 src0_sel:BYTE_0 src1_sel:DWORD
	s_waitcnt lgkmcnt(0)
	v_and_b32_e32 v64, 1, v67
	v_cndmask_b32_e32 v65, 0, v65, vcc_lo
	v_cndmask_b32_e32 v66, 0, v66, vcc_lo
	v_or_b32_e32 v52, v64, v52
	v_add_co_u32 v31, vcc_lo, v65, v31
	v_add_co_ci_u32_e64 v32, null, v66, v32, vcc_lo
	v_and_b32_e32 v64, 0xff, v52
.LBB91_133:                             ;   in Loop: Header=BB91_126 Depth=1
	s_or_b32 exec_lo, exec_lo, s14
	s_waitcnt lgkmcnt(2)
	ds_bpermute_b32 v65, v41, v31
	s_waitcnt lgkmcnt(2)
	ds_bpermute_b32 v66, v41, v32
	;; [unrolled: 2-line block ×3, first 2 shown]
	v_and_b32_e32 v68, 1, v52
	s_mov_b32 s15, exec_lo
	v_cmp_eq_u32_e64 s17, 1, v68
	v_cmpx_le_u32_e64 v42, v51
	s_cbranch_execz .LBB91_135
; %bb.134:                              ;   in Loop: Header=BB91_126 Depth=1
	v_cmp_eq_u16_sdwa vcc_lo, v52, v28 src0_sel:BYTE_0 src1_sel:DWORD
	s_waitcnt lgkmcnt(0)
	v_and_b32_e32 v52, 1, v67
	v_cndmask_b32_e32 v65, 0, v65, vcc_lo
	v_cndmask_b32_e32 v64, 0, v66, vcc_lo
	v_cmp_eq_u32_e32 vcc_lo, 1, v52
	v_add_co_u32 v31, s14, v65, v31
	v_add_co_ci_u32_e64 v32, null, v64, v32, s14
	s_or_b32 s14, s17, vcc_lo
	s_andn2_b32 s17, s17, exec_lo
	v_cndmask_b32_e64 v52, 0, 1, s14
	v_cndmask_b32_e64 v64, 0, 1, s14
	s_and_b32 s14, s14, exec_lo
	s_or_b32 s17, s17, s14
.LBB91_135:                             ;   in Loop: Header=BB91_126 Depth=1
	s_or_b32 exec_lo, exec_lo, s15
	s_waitcnt lgkmcnt(2)
	ds_bpermute_b32 v65, v43, v31
	s_waitcnt lgkmcnt(2)
	ds_bpermute_b32 v66, v43, v32
	;; [unrolled: 2-line block ×3, first 2 shown]
	s_mov_b32 s36, exec_lo
	v_cmpx_le_u32_e64 v44, v51
	s_cbranch_execz .LBB91_137
; %bb.136:                              ;   in Loop: Header=BB91_126 Depth=1
	v_cmp_eq_u16_sdwa vcc_lo, v52, v28 src0_sel:BYTE_0 src1_sel:DWORD
	v_and_b32_e32 v52, 1, v52
	s_waitcnt lgkmcnt(0)
	v_and_b32_e32 v64, 1, v67
	v_cndmask_b32_e32 v66, 0, v66, vcc_lo
	v_cndmask_b32_e32 v65, 0, v65, vcc_lo
	v_cmp_eq_u32_e32 vcc_lo, 1, v52
	v_cmp_eq_u32_e64 s14, 1, v64
	v_add_co_u32 v31, s15, v65, v31
	s_or_b32 s14, vcc_lo, s14
	v_add_co_ci_u32_e64 v32, null, v66, v32, s15
	v_cndmask_b32_e64 v52, 0, 1, s14
	v_cndmask_b32_e64 v64, 0, 1, s14
	s_andn2_b32 s15, s17, exec_lo
	s_and_b32 s14, s14, exec_lo
	s_or_b32 s17, s15, s14
.LBB91_137:                             ;   in Loop: Header=BB91_126 Depth=1
	s_or_b32 exec_lo, exec_lo, s36
	s_waitcnt lgkmcnt(2)
	ds_bpermute_b32 v65, v45, v31
	s_waitcnt lgkmcnt(2)
	ds_bpermute_b32 v66, v45, v32
	;; [unrolled: 2-line block ×3, first 2 shown]
	s_mov_b32 s36, exec_lo
	v_cmpx_le_u32_e64 v46, v51
	s_cbranch_execz .LBB91_139
; %bb.138:                              ;   in Loop: Header=BB91_126 Depth=1
	v_cmp_eq_u16_sdwa vcc_lo, v52, v28 src0_sel:BYTE_0 src1_sel:DWORD
	v_and_b32_e32 v52, 1, v52
	s_waitcnt lgkmcnt(0)
	v_and_b32_e32 v64, 1, v67
	v_cndmask_b32_e32 v66, 0, v66, vcc_lo
	v_cndmask_b32_e32 v65, 0, v65, vcc_lo
	v_cmp_eq_u32_e32 vcc_lo, 1, v52
	v_cmp_eq_u32_e64 s14, 1, v64
	v_add_co_u32 v31, s15, v65, v31
	s_or_b32 s14, vcc_lo, s14
	v_add_co_ci_u32_e64 v32, null, v66, v32, s15
	v_cndmask_b32_e64 v52, 0, 1, s14
	v_cndmask_b32_e64 v64, 0, 1, s14
	s_andn2_b32 s15, s17, exec_lo
	s_and_b32 s14, s14, exec_lo
	s_or_b32 s17, s15, s14
.LBB91_139:                             ;   in Loop: Header=BB91_126 Depth=1
	s_or_b32 exec_lo, exec_lo, s36
	s_waitcnt lgkmcnt(2)
	ds_bpermute_b32 v65, v48, v31
	s_waitcnt lgkmcnt(2)
	ds_bpermute_b32 v66, v48, v32
	ds_bpermute_b32 v64, v48, v64
	s_mov_b32 s36, exec_lo
	v_cmpx_le_u32_e64 v49, v51
	s_cbranch_execz .LBB91_124
; %bb.140:                              ;   in Loop: Header=BB91_126 Depth=1
	v_cmp_eq_u16_sdwa vcc_lo, v52, v28 src0_sel:BYTE_0 src1_sel:DWORD
	v_and_b32_e32 v51, 1, v52
	s_waitcnt lgkmcnt(0)
	v_and_b32_e32 v52, 1, v64
	v_cndmask_b32_e32 v65, 0, v65, vcc_lo
	v_cndmask_b32_e32 v64, 0, v66, vcc_lo
	v_cmp_eq_u32_e32 vcc_lo, 1, v51
	v_cmp_eq_u32_e64 s14, 1, v52
	v_add_co_u32 v31, s15, v65, v31
	v_add_co_ci_u32_e64 v32, null, v64, v32, s15
	s_or_b32 s14, vcc_lo, s14
	s_andn2_b32 s15, s17, exec_lo
	s_and_b32 s14, s14, exec_lo
	s_or_b32 s17, s15, s14
	s_branch .LBB91_124
.LBB91_141:
                                        ; implicit-def: $vgpr49_vgpr50
                                        ; implicit-def: $vgpr47_vgpr48
                                        ; implicit-def: $vgpr43_vgpr44
                                        ; implicit-def: $vgpr39_vgpr40
                                        ; implicit-def: $vgpr35_vgpr36
                                        ; implicit-def: $vgpr31_vgpr32
                                        ; implicit-def: $vgpr27_vgpr28
                                        ; implicit-def: $vgpr45_vgpr46
                                        ; implicit-def: $vgpr41_vgpr42
                                        ; implicit-def: $vgpr37_vgpr38
                                        ; implicit-def: $vgpr33_vgpr34
                                        ; implicit-def: $vgpr29_vgpr30
                                        ; implicit-def: $vgpr51_vgpr52
	s_cbranch_execnz .LBB91_147
	s_branch .LBB91_176
.LBB91_142:
	s_and_saveexec_b32 s14, s13
	s_cbranch_execz .LBB91_144
; %bb.143:
	v_mov_b32_e32 v27, 0
	v_or_b32_e32 v28, v37, v47
	s_mov_b32 s21, 0
	s_add_i32 s20, s6, 32
	v_mov_b32_e32 v31, 2
	v_cmp_eq_u32_sdwa vcc_lo, v37, v27 src0_sel:BYTE_0 src1_sel:DWORD
	s_lshl_b64 s[36:37], s[20:21], 4
	v_mov_b32_e32 v38, s20
	v_and_b32_e32 v28, 1, v28
	s_add_u32 s20, s22, s36
	v_cndmask_b32_e32 v37, 0, v29, vcc_lo
	v_cndmask_b32_e32 v32, 0, v30, vcc_lo
	s_addc_u32 s21, s23, s37
	v_add_co_u32 v5, vcc_lo, v37, v5
	v_add_co_ci_u32_e64 v6, null, v32, v6, vcc_lo
	global_store_byte v27, v28, s[20:21] offset:8
	global_store_dwordx2 v27, v[5:6], s[20:21]
	s_waitcnt lgkmcnt(0)
	s_waitcnt_vscnt null, 0x0
	buffer_gl1_inv
	buffer_gl0_inv
	global_store_byte v38, v31, s[24:25]
.LBB91_144:
	s_or_b32 exec_lo, exec_lo, s14
	v_cmp_eq_u32_e32 vcc_lo, 0, v0
	s_and_b32 exec_lo, exec_lo, vcc_lo
	s_cbranch_execz .LBB91_146
; %bb.145:
	v_mov_b32_e32 v5, 0
	ds_write_b64 v5, v[29:30] offset:112
	ds_write_b8 v5, v47 offset:120
.LBB91_146:
	s_or_b32 exec_lo, exec_lo, s16
	s_waitcnt lgkmcnt(0)
	v_cndmask_b32_e64 v5, v36, v33, s13
	v_and_b32_e32 v28, 1, v87
	v_mov_b32_e32 v27, 0
	s_waitcnt_vscnt null, 0x0
	s_barrier
	v_and_b32_e32 v29, 1, v5
	v_cmp_eq_u32_e32 vcc_lo, 1, v28
	buffer_gl0_inv
	ds_read_b64 v[5:6], v27 offset:112
	v_cndmask_b32_e64 v3, v34, v3, s13
	v_cmp_eq_u32_e64 s6, 1, v29
	v_cndmask_b32_e64 v4, v35, v4, s13
	s_or_b32 s6, vcc_lo, s6
	v_cmp_eq_u16_sdwa vcc_lo, v87, v27 src0_sel:BYTE_0 src1_sel:DWORD
	v_cndmask_b32_e64 v28, 0, 1, s6
	v_cmp_eq_u32_e64 s6, 0, v0
	v_cndmask_b32_e32 v3, 0, v3, vcc_lo
	v_cndmask_b32_e32 v4, 0, v4, vcc_lo
	v_cndmask_b32_e64 v28, v28, v87, s6
	v_cndmask_b32_e64 v3, v3, 0, s6
	v_cndmask_b32_e64 v4, v4, 0, s6
	v_cmp_eq_u16_sdwa vcc_lo, v28, v27 src0_sel:BYTE_0 src1_sel:DWORD
	s_waitcnt lgkmcnt(0)
	v_cndmask_b32_e32 v6, 0, v6, vcc_lo
	v_cndmask_b32_e32 v5, 0, v5, vcc_lo
	v_add_co_u32 v3, vcc_lo, v3, v1
	v_add_co_ci_u32_e64 v4, null, v4, v2, vcc_lo
	v_add_co_u32 v51, vcc_lo, v3, v5
	v_add_co_ci_u32_e64 v52, null, v4, v6, vcc_lo
	v_cndmask_b32_e64 v3, 0, v51, s11
	v_cndmask_b32_e64 v4, 0, v52, s11
	v_add_co_u32 v27, vcc_lo, v3, v9
	v_add_co_ci_u32_e64 v28, null, v4, v10, vcc_lo
	v_cndmask_b32_e64 v3, 0, v27, s12
	v_cndmask_b32_e64 v4, 0, v28, s12
	;; [unrolled: 4-line block ×12, first 2 shown]
	v_add_co_u32 v49, vcc_lo, v3, v11
	v_add_co_ci_u32_e64 v50, null, v4, v12, vcc_lo
	s_branch .LBB91_176
.LBB91_147:
	s_cmp_lg_u64 s[34:35], 0
	v_cmp_eq_u32_e32 vcc_lo, 0, v0
	s_cselect_b32 s1, -1, 0
	s_cmp_lg_u64 s[38:39], 0
	v_cmp_ne_u32_e64 s0, 0, v0
	s_cselect_b32 s2, -1, 0
	s_and_b32 s1, s1, s2
	s_and_b32 s1, vcc_lo, s1
	s_and_saveexec_b32 s2, s1
	s_cbranch_execz .LBB91_149
; %bb.148:
	v_mov_b32_e32 v5, 0
	s_clause 0x1
	global_load_dwordx2 v[3:4], v5, s[38:39]
	global_load_ubyte v6, v5, s[38:39] offset:8
	v_cmp_eq_u16_sdwa s1, v87, v5 src0_sel:BYTE_0 src1_sel:DWORD
	s_waitcnt vmcnt(1)
	v_cndmask_b32_e64 v3, 0, v3, s1
	v_cndmask_b32_e64 v4, 0, v4, s1
	s_waitcnt vmcnt(0)
	v_or_b32_e32 v5, v87, v6
	v_add_co_u32 v1, s1, v3, v1
	v_add_co_ci_u32_e64 v2, null, v4, v2, s1
	v_and_b32_e32 v87, 1, v5
.LBB91_149:
	s_or_b32 exec_lo, exec_lo, s2
	v_mov_b32_e32 v3, 0
	v_or_b32_e32 v6, v87, v92
	v_cmp_eq_u32_e64 s12, 1, v61
	v_cmp_eq_u32_e64 s15, 1, v60
	;; [unrolled: 1-line block ×3, first 2 shown]
	v_cmp_eq_u16_sdwa s1, v92, v3 src0_sel:BYTE_0 src1_sel:DWORD
	v_cmp_ne_u16_sdwa s20, v55, v3 src0_sel:BYTE_0 src1_sel:DWORD
	v_cmp_ne_u16_sdwa s21, v56, v3 src0_sel:BYTE_0 src1_sel:DWORD
	;; [unrolled: 1-line block ×4, first 2 shown]
	v_cndmask_b32_e64 v5, 0, v1, s1
	v_cndmask_b32_e64 v4, 0, v2, s1
	s_or_b32 s20, s20, s12
	s_or_b32 s12, s21, s15
	v_cmp_eq_u32_e64 s14, 1, v62
	v_add_co_u32 v27, s2, v5, v9
	v_add_co_ci_u32_e64 v28, null, v4, v10, s2
	v_cmp_eq_u16_sdwa s2, v91, v3 src0_sel:BYTE_0 src1_sel:DWORD
	s_or_b32 s15, s16, s12
	v_cmp_eq_u32_e64 s13, 1, v63
	s_or_b32 s14, s34, s14
	v_and_b32_e32 v51, 15, v53
	v_cndmask_b32_e64 v5, 0, v27, s2
	v_cndmask_b32_e64 v4, 0, v28, s2
	s_or_b32 s14, s15, s14
	s_or_b32 s13, s17, s13
	;; [unrolled: 1-line block ×3, first 2 shown]
	v_add_co_u32 v29, s3, v5, v15
	v_add_co_ci_u32_e64 v30, null, v4, v16, s3
	v_cmp_eq_u16_sdwa s3, v90, v3 src0_sel:BYTE_0 src1_sel:DWORD
	s_or_b32 s14, s14, s13
	s_mov_b32 s15, exec_lo
	v_cndmask_b32_e64 v54, 0, 1, s14
	v_cndmask_b32_e64 v5, 0, v29, s3
	;; [unrolled: 1-line block ×3, first 2 shown]
	v_mov_b32_dpp v52, v54 row_shr:1 row_mask:0xf bank_mask:0xf
	v_add_co_u32 v31, s4, v5, v13
	v_add_co_ci_u32_e64 v32, null, v4, v14, s4
	v_cmp_eq_u16_sdwa s4, v89, v3 src0_sel:BYTE_0 src1_sel:DWORD
	v_cndmask_b32_e64 v5, 0, v31, s4
	v_cndmask_b32_e64 v4, 0, v32, s4
	v_add_co_u32 v33, s5, v5, v19
	v_add_co_ci_u32_e64 v34, null, v4, v20, s5
	v_cmp_eq_u16_sdwa s5, v88, v3 src0_sel:BYTE_0 src1_sel:DWORD
	v_cndmask_b32_e64 v5, 0, v33, s5
	v_cndmask_b32_e64 v4, 0, v34, s5
	;; [unrolled: 5-line block ×8, first 2 shown]
	v_add_co_u32 v47, s12, v4, v7
	v_add_co_ci_u32_e64 v48, null, v3, v8, s12
	v_cmp_eq_u16_e64 s12, 0, v58
	v_cndmask_b32_e64 v4, 0, v47, s12
	v_cndmask_b32_e64 v3, 0, v48, s12
	v_add_co_u32 v49, s13, v4, v11
	v_add_co_ci_u32_e64 v50, null, v3, v12, s13
	v_mov_b32_e32 v3, v49
	v_mov_b32_dpp v55, v49 row_shr:1 row_mask:0xf bank_mask:0xf
	v_mov_b32_dpp v56, v50 row_shr:1 row_mask:0xf bank_mask:0xf
	v_mov_b32_e32 v4, v50
	v_mov_b32_e32 v6, v50
	;; [unrolled: 1-line block ×3, first 2 shown]
	v_cmpx_ne_u32_e32 0, v51
	s_cbranch_execz .LBB91_151
; %bb.150:
	v_cndmask_b32_e64 v3, v55, 0, s14
	v_cndmask_b32_e64 v4, v56, 0, s14
	v_and_or_b32 v54, v52, 1, v54
	v_add_co_u32 v3, s13, v49, v3
	v_add_co_ci_u32_e64 v4, null, v50, v4, s13
	v_mov_b32_e32 v5, v3
	v_mov_b32_e32 v6, v4
.LBB91_151:
	s_or_b32 exec_lo, exec_lo, s15
	v_mov_b32_dpp v55, v5 row_shr:2 row_mask:0xf bank_mask:0xf
	v_mov_b32_dpp v56, v6 row_shr:2 row_mask:0xf bank_mask:0xf
	v_mov_b32_dpp v52, v54 row_shr:2 row_mask:0xf bank_mask:0xf
	s_mov_b32 s14, exec_lo
	v_cmpx_lt_u32_e32 1, v51
	s_cbranch_execz .LBB91_153
; %bb.152:
	v_cmp_eq_u16_e64 s13, 0, v54
	v_or_b32_e32 v52, v52, v54
	v_cndmask_b32_e64 v5, 0, v55, s13
	v_cndmask_b32_e64 v6, 0, v56, s13
	v_and_b32_e32 v54, 1, v52
	v_add_co_u32 v5, s13, v5, v3
	v_add_co_ci_u32_e64 v6, null, v6, v4, s13
	v_mov_b32_e32 v3, v5
	v_mov_b32_e32 v4, v6
.LBB91_153:
	s_or_b32 exec_lo, exec_lo, s14
	v_mov_b32_dpp v55, v5 row_shr:4 row_mask:0xf bank_mask:0xf
	v_mov_b32_dpp v56, v6 row_shr:4 row_mask:0xf bank_mask:0xf
	v_mov_b32_dpp v52, v54 row_shr:4 row_mask:0xf bank_mask:0xf
	s_mov_b32 s14, exec_lo
	v_cmpx_lt_u32_e32 3, v51
	s_cbranch_execz .LBB91_155
; %bb.154:
	v_cmp_eq_u16_e64 s13, 0, v54
	v_or_b32_e32 v52, v52, v54
	v_cndmask_b32_e64 v5, 0, v55, s13
	v_cndmask_b32_e64 v6, 0, v56, s13
	v_and_b32_e32 v54, 1, v52
	v_add_co_u32 v5, s13, v5, v3
	v_add_co_ci_u32_e64 v6, null, v6, v4, s13
	v_mov_b32_e32 v3, v5
	v_mov_b32_e32 v4, v6
.LBB91_155:
	;; [unrolled: 18-line block ×3, first 2 shown]
	s_or_b32 exec_lo, exec_lo, s14
	ds_swizzle_b32 v5, v5 offset:swizzle(BROADCAST,32,15)
	ds_swizzle_b32 v6, v6 offset:swizzle(BROADCAST,32,15)
	;; [unrolled: 1-line block ×3, first 2 shown]
	v_and_b32_e32 v51, 16, v53
	v_cmp_ne_u32_e64 s13, 0, v51
	v_mov_b32_e32 v51, v54
	s_and_saveexec_b32 s16, s13
	s_cbranch_execz .LBB91_159
; %bb.158:
	v_cmp_eq_u16_e64 s13, 0, v54
	v_and_b32_e32 v51, 1, v54
	s_waitcnt lgkmcnt(0)
	v_and_b32_e32 v52, 1, v52
	v_cndmask_b32_e64 v6, 0, v6, s13
	v_cndmask_b32_e64 v5, 0, v5, s13
	v_cmp_eq_u32_e64 s13, 1, v51
	v_cmp_eq_u32_e64 s14, 1, v52
	v_add_co_u32 v3, s15, v5, v3
	s_or_b32 s13, s13, s14
	v_add_co_ci_u32_e64 v4, null, v6, v4, s15
	v_cndmask_b32_e64 v54, 0, 1, s13
	v_cndmask_b32_e64 v51, 0, 1, s13
.LBB91_159:
	s_or_b32 exec_lo, exec_lo, s16
	s_waitcnt lgkmcnt(2)
	v_or_b32_e32 v5, 31, v0
	s_waitcnt lgkmcnt(0)
	v_lshrrev_b32_e32 v52, 5, v0
	s_mov_b32 s14, exec_lo
	v_cmpx_eq_u32_e64 v0, v5
	s_cbranch_execz .LBB91_161
; %bb.160:
	v_lshlrev_b32_e32 v5, 4, v52
	ds_write_b64 v5, v[3:4]
	ds_write_b8 v5, v54 offset:8
.LBB91_161:
	s_or_b32 exec_lo, exec_lo, s14
	s_mov_b32 s16, exec_lo
	s_waitcnt lgkmcnt(0)
	s_barrier
	buffer_gl0_inv
	v_cmpx_gt_u32_e32 8, v0
	s_cbranch_execz .LBB91_169
; %bb.162:
	v_lshlrev_b32_e32 v54, 4, v0
	v_and_b32_e32 v55, 7, v53
	s_mov_b32 s14, exec_lo
	ds_read_b64 v[5:6], v54
	ds_read_b32 v60, v54 offset:8
	s_waitcnt lgkmcnt(1)
	v_mov_b32_dpp v61, v5 row_shr:1 row_mask:0xf bank_mask:0xf
	v_mov_b32_dpp v62, v6 row_shr:1 row_mask:0xf bank_mask:0xf
	s_waitcnt lgkmcnt(0)
	v_and_b32_e32 v58, 0xffffff00, v60
	v_mov_b32_dpp v63, v60 row_shr:1 row_mask:0xf bank_mask:0xf
	v_mov_b32_e32 v59, v60
	v_mov_b32_e32 v56, v60
	v_cmpx_ne_u32_e32 0, v55
	s_cbranch_execz .LBB91_164
; %bb.163:
	v_mov_b32_e32 v56, 0
	v_cmp_eq_u16_sdwa s13, v60, v56 src0_sel:BYTE_0 src1_sel:DWORD
	v_or_b32_e32 v56, v63, v60
	v_cndmask_b32_e64 v61, 0, v61, s13
	v_cndmask_b32_e64 v60, 0, v62, s13
	v_and_b32_e32 v59, 1, v56
	v_and_b32_e32 v56, 1, v56
	v_add_co_u32 v5, s13, v61, v5
	v_add_co_ci_u32_e64 v6, null, v60, v6, s13
	v_or_b32_e32 v60, v56, v58
.LBB91_164:
	s_or_b32 exec_lo, exec_lo, s14
	v_mov_b32_dpp v61, v5 row_shr:2 row_mask:0xf bank_mask:0xf
	v_mov_b32_dpp v62, v6 row_shr:2 row_mask:0xf bank_mask:0xf
	;; [unrolled: 1-line block ×3, first 2 shown]
	s_mov_b32 s17, exec_lo
	v_cmpx_lt_u32_e32 1, v55
	s_cbranch_execz .LBB91_166
; %bb.165:
	v_mov_b32_e32 v59, 0
	v_and_b32_e32 v60, 1, v56
	v_and_b32_e32 v63, 1, v63
	v_cmp_eq_u16_sdwa s13, v56, v59 src0_sel:BYTE_0 src1_sel:DWORD
	v_cmp_eq_u32_e64 s14, 1, v60
	v_cmp_eq_u32_e64 s15, 1, v63
	v_cndmask_b32_e64 v56, 0, v62, s13
	v_cndmask_b32_e64 v60, 0, v61, s13
	s_or_b32 s13, s14, s15
	v_cndmask_b32_e64 v59, 0, 1, s13
	v_cndmask_b32_e64 v61, 0, 1, s13
	v_add_co_u32 v5, s13, v60, v5
	v_add_co_ci_u32_e64 v6, null, v56, v6, s13
	v_or_b32_e32 v60, v58, v61
	v_mov_b32_e32 v56, v59
.LBB91_166:
	s_or_b32 exec_lo, exec_lo, s17
	v_mov_b32_dpp v58, v5 row_shr:4 row_mask:0xf bank_mask:0xf
	v_mov_b32_dpp v61, v6 row_shr:4 row_mask:0xf bank_mask:0xf
	v_mov_b32_dpp v60, v60 row_shr:4 row_mask:0xf bank_mask:0xf
	s_mov_b32 s17, exec_lo
	v_cmpx_lt_u32_e32 3, v55
	s_cbranch_execz .LBB91_168
; %bb.167:
	v_mov_b32_e32 v55, 0
	v_cmp_eq_u16_sdwa s13, v56, v55 src0_sel:BYTE_0 src1_sel:DWORD
	v_and_b32_e32 v55, 1, v56
	v_and_b32_e32 v56, 1, v60
	v_cndmask_b32_e64 v59, 0, v61, s13
	v_cndmask_b32_e64 v58, 0, v58, s13
	v_cmp_eq_u32_e64 s13, 1, v55
	v_cmp_eq_u32_e64 s14, 1, v56
	v_add_co_u32 v5, s15, v58, v5
	s_or_b32 s13, s13, s14
	v_add_co_ci_u32_e64 v6, null, v59, v6, s15
	v_cndmask_b32_e64 v59, 0, 1, s13
.LBB91_168:
	s_or_b32 exec_lo, exec_lo, s17
	ds_write_b64 v54, v[5:6]
	ds_write_b8 v54, v59 offset:8
.LBB91_169:
	s_or_b32 exec_lo, exec_lo, s16
	v_mov_b32_e32 v5, 0
	v_mov_b32_e32 v6, 0
	s_mov_b32 s14, exec_lo
	s_waitcnt lgkmcnt(0)
	s_barrier
	buffer_gl0_inv
	v_cmpx_lt_u32_e32 31, v0
	s_cbranch_execz .LBB91_171
; %bb.170:
	v_lshl_add_u32 v5, v52, 4, -16
	v_cmp_eq_u32_e64 s13, 0, v51
	ds_read_b64 v[5:6], v5
	s_waitcnt lgkmcnt(0)
	v_cndmask_b32_e64 v52, 0, v5, s13
	v_cndmask_b32_e64 v51, 0, v6, s13
	v_add_co_u32 v3, s13, v52, v3
	v_add_co_ci_u32_e64 v4, null, v51, v4, s13
.LBB91_171:
	s_or_b32 exec_lo, exec_lo, s14
	v_add_nc_u32_e32 v51, -1, v53
	v_cmp_gt_i32_e64 s13, 0, v51
	v_cndmask_b32_e64 v51, v51, v53, s13
	v_lshlrev_b32_e32 v51, 2, v51
	ds_bpermute_b32 v3, v51, v3
	ds_bpermute_b32 v4, v51, v4
	s_and_saveexec_b32 s13, s0
	s_cbranch_execz .LBB91_173
; %bb.172:
	v_cmp_eq_u32_e64 s0, 0, v53
	v_mov_b32_e32 v27, 0
	;;#ASMSTART
	;;#ASMEND
	s_waitcnt lgkmcnt(1)
	v_cndmask_b32_e64 v3, v3, v5, s0
	s_waitcnt lgkmcnt(0)
	v_cndmask_b32_e64 v4, v4, v6, s0
	v_cmp_eq_u16_sdwa s0, v87, v27 src0_sel:BYTE_0 src1_sel:DWORD
	v_cndmask_b32_e64 v3, 0, v3, s0
	v_cndmask_b32_e64 v4, 0, v4, s0
	v_add_co_u32 v1, s0, v3, v1
	v_add_co_ci_u32_e64 v2, null, v4, v2, s0
	v_cndmask_b32_e64 v3, 0, v1, s1
	v_cndmask_b32_e64 v4, 0, v2, s1
	v_add_co_u32 v27, s0, v3, v9
	v_add_co_ci_u32_e64 v28, null, v4, v10, s0
	;; [unrolled: 4-line block ×13, first 2 shown]
.LBB91_173:
	s_or_b32 exec_lo, exec_lo, s13
	s_and_saveexec_b32 s0, vcc_lo
	s_cbranch_execz .LBB91_175
; %bb.174:
	v_mov_b32_e32 v5, 0
	v_mov_b32_e32 v7, 2
	s_waitcnt lgkmcnt(0)
	ds_read_b64 v[3:4], v5 offset:112
	ds_read_u8 v6, v5 offset:120
	s_waitcnt lgkmcnt(1)
	global_store_dwordx2 v5, v[3:4], s[22:23] offset:512
	s_waitcnt lgkmcnt(0)
	global_store_byte v5, v6, s[22:23] offset:520
	s_waitcnt_vscnt null, 0x0
	buffer_gl1_inv
	buffer_gl0_inv
	global_store_byte v5, v7, s[24:25] offset:32
.LBB91_175:
	s_or_b32 exec_lo, exec_lo, s0
	v_mov_b32_e32 v52, v2
	v_mov_b32_e32 v51, v1
.LBB91_176:
	s_add_u32 s0, s18, s28
	s_addc_u32 s1, s19, s29
	s_add_u32 s0, s0, s30
	s_addc_u32 s1, s1, s31
	s_and_b32 vcc_lo, exec_lo, s27
	s_cbranch_vccz .LBB91_220
; %bb.177:
	v_mul_u32_u24_e32 v1, 13, v0
	s_add_i32 s33, s33, s26
	s_mov_b32 s2, exec_lo
	v_cmpx_gt_u32_e64 s33, v1
	s_cbranch_execz .LBB91_195
; %bb.178:
	v_add_nc_u32_e32 v2, 1, v1
	s_mov_b32 s3, exec_lo
	v_cmpx_gt_u32_e64 s33, v2
	s_cbranch_execz .LBB91_194
; %bb.179:
	v_add_nc_u32_e32 v2, 2, v1
	;; [unrolled: 5-line block ×8, first 2 shown]
	s_mov_b32 s10, exec_lo
	v_cmpx_gt_u32_e64 s33, v2
; %bb.186:
	v_add_nc_u32_e32 v2, 9, v1
	s_mov_b32 s11, exec_lo
	v_cmpx_gt_u32_e64 s33, v2
	s_or_b32 exec_lo, exec_lo, s11
; %bb.187:
	s_or_b32 exec_lo, exec_lo, s10
.LBB91_188:
	s_or_b32 exec_lo, exec_lo, s9
.LBB91_189:
	s_or_b32 exec_lo, exec_lo, s8
.LBB91_190:
	s_or_b32 exec_lo, exec_lo, s7
.LBB91_191:
	s_or_b32 exec_lo, exec_lo, s6
.LBB91_192:
	s_or_b32 exec_lo, exec_lo, s5
.LBB91_193:
	s_or_b32 exec_lo, exec_lo, s4
.LBB91_194:
	s_or_b32 exec_lo, exec_lo, s3
.LBB91_195:
	s_or_b32 exec_lo, exec_lo, s2
	v_lshlrev_b32_e32 v53, 3, v1
	s_waitcnt lgkmcnt(0)
	s_waitcnt_vscnt null, 0x0
	s_barrier
	buffer_gl0_inv
	v_add_co_u32 v25, s2, s0, v57
	v_mad_i32_i24 v1, 0xffffffa0, v0, v53
	ds_write2_b64 v53, v[51:52], v[27:28] offset1:1
	ds_write2_b64 v53, v[29:30], v[31:32] offset0:2 offset1:3
	ds_write2_b64 v53, v[33:34], v[35:36] offset0:4 offset1:5
	;; [unrolled: 1-line block ×5, first 2 shown]
	ds_write_b64 v53, v[49:50] offset:96
	s_waitcnt lgkmcnt(0)
	s_barrier
	buffer_gl0_inv
	ds_read2st64_b64 v[21:24], v1 offset0:4 offset1:8
	ds_read2st64_b64 v[17:20], v1 offset0:12 offset1:16
	;; [unrolled: 1-line block ×6, first 2 shown]
	v_add_co_ci_u32_e64 v26, null, s1, 0, s2
	s_mov_b32 s2, exec_lo
	v_cmpx_gt_u32_e64 s33, v0
	s_cbranch_execz .LBB91_197
; %bb.196:
	v_mul_i32_i24_e32 v54, 0xffffffa0, v0
	v_add_nc_u32_e32 v53, v53, v54
	ds_read_b64 v[53:54], v53
	s_waitcnt lgkmcnt(0)
	flat_store_dwordx2 v[25:26], v[53:54]
.LBB91_197:
	s_or_b32 exec_lo, exec_lo, s2
	v_or_b32_e32 v53, 0x100, v0
	s_mov_b32 s2, exec_lo
	v_cmpx_gt_u32_e64 s33, v53
	s_cbranch_execz .LBB91_199
; %bb.198:
	v_add_co_u32 v53, vcc_lo, 0x800, v25
	v_add_co_ci_u32_e64 v54, null, 0, v26, vcc_lo
	s_waitcnt lgkmcnt(5)
	flat_store_dwordx2 v[53:54], v[21:22]
.LBB91_199:
	s_or_b32 exec_lo, exec_lo, s2
	s_waitcnt lgkmcnt(5)
	v_or_b32_e32 v21, 0x200, v0
	s_mov_b32 s2, exec_lo
	v_cmpx_gt_u32_e64 s33, v21
	s_cbranch_execz .LBB91_201
; %bb.200:
	v_add_co_u32 v21, vcc_lo, 0x1000, v25
	v_add_co_ci_u32_e64 v22, null, 0, v26, vcc_lo
	flat_store_dwordx2 v[21:22], v[23:24]
.LBB91_201:
	s_or_b32 exec_lo, exec_lo, s2
	v_or_b32_e32 v21, 0x300, v0
	s_mov_b32 s2, exec_lo
	v_cmpx_gt_u32_e64 s33, v21
	s_cbranch_execz .LBB91_203
; %bb.202:
	v_add_co_u32 v21, vcc_lo, 0x1800, v25
	v_add_co_ci_u32_e64 v22, null, 0, v26, vcc_lo
	s_waitcnt lgkmcnt(4)
	flat_store_dwordx2 v[21:22], v[17:18]
.LBB91_203:
	s_or_b32 exec_lo, exec_lo, s2
	s_waitcnt lgkmcnt(4)
	v_or_b32_e32 v17, 0x400, v0
	s_mov_b32 s2, exec_lo
	v_cmpx_gt_u32_e64 s33, v17
	s_cbranch_execz .LBB91_205
; %bb.204:
	v_add_co_u32 v17, vcc_lo, 0x2000, v25
	v_add_co_ci_u32_e64 v18, null, 0, v26, vcc_lo
	flat_store_dwordx2 v[17:18], v[19:20]
.LBB91_205:
	;; [unrolled: 22-line block ×5, first 2 shown]
	s_or_b32 exec_lo, exec_lo, s2
	v_or_b32_e32 v5, 0xb00, v0
	s_mov_b32 s2, exec_lo
	v_cmpx_gt_u32_e64 s33, v5
	s_cbranch_execz .LBB91_219
; %bb.218:
	v_add_co_u32 v5, vcc_lo, 0x5800, v25
	v_add_co_ci_u32_e64 v6, null, 0, v26, vcc_lo
	s_waitcnt lgkmcnt(0)
	flat_store_dwordx2 v[5:6], v[1:2]
.LBB91_219:
	s_or_b32 exec_lo, exec_lo, s2
	s_waitcnt lgkmcnt(0)
	v_or_b32_e32 v1, 0xc00, v0
	v_cmp_gt_u32_e64 s2, s33, v1
	s_branch .LBB91_222
.LBB91_220:
	s_mov_b32 s2, 0
                                        ; implicit-def: $vgpr3_vgpr4
	s_cbranch_execz .LBB91_222
; %bb.221:
	v_mul_i32_i24_e32 v2, 0xffffffa0, v0
	v_mul_u32_u24_e32 v1, 0x68, v0
	s_waitcnt lgkmcnt(0)
	s_waitcnt_vscnt null, 0x0
	s_barrier
	buffer_gl0_inv
	v_mad_u32_u24 v3, 0x68, v0, v2
	ds_write2_b64 v1, v[51:52], v[27:28] offset1:1
	ds_write2_b64 v1, v[29:30], v[31:32] offset0:2 offset1:3
	ds_write2_b64 v1, v[33:34], v[35:36] offset0:4 offset1:5
	;; [unrolled: 1-line block ×5, first 2 shown]
	ds_write_b64 v1, v[49:50] offset:96
	s_waitcnt lgkmcnt(0)
	s_barrier
	buffer_gl0_inv
	ds_read2st64_b64 v[5:8], v3 offset1:4
	ds_read2st64_b64 v[9:12], v3 offset0:8 offset1:12
	ds_read2st64_b64 v[13:16], v3 offset0:16 offset1:20
	;; [unrolled: 1-line block ×3, first 2 shown]
	v_add_co_u32 v1, s3, s0, v57
	v_add_co_ci_u32_e64 v2, null, s1, 0, s3
	ds_read2st64_b64 v[21:24], v3 offset0:32 offset1:36
	v_add_co_u32 v29, vcc_lo, 0x800, v1
	v_add_co_ci_u32_e64 v30, null, 0, v2, vcc_lo
	v_add_co_u32 v31, vcc_lo, 0x1000, v1
	v_add_co_ci_u32_e64 v32, null, 0, v2, vcc_lo
	ds_read2st64_b64 v[25:28], v3 offset0:40 offset1:44
	ds_read_b64 v[3:4], v3 offset:24576
	s_or_b32 s2, s2, exec_lo
	s_waitcnt lgkmcnt(6)
	flat_store_dwordx2 v[1:2], v[5:6]
	flat_store_dwordx2 v[29:30], v[7:8]
	s_waitcnt lgkmcnt(7)
	flat_store_dwordx2 v[31:32], v[9:10]
	v_add_co_u32 v5, vcc_lo, 0x1800, v1
	v_add_co_ci_u32_e64 v6, null, 0, v2, vcc_lo
	v_add_co_u32 v7, vcc_lo, 0x2000, v1
	v_add_co_ci_u32_e64 v8, null, 0, v2, vcc_lo
	;; [unrolled: 2-line block ×5, first 2 shown]
	flat_store_dwordx2 v[5:6], v[11:12]
	s_waitcnt lgkmcnt(8)
	flat_store_dwordx2 v[7:8], v[13:14]
	flat_store_dwordx2 v[9:10], v[15:16]
	s_waitcnt lgkmcnt(9)
	flat_store_dwordx2 v[29:30], v[17:18]
	flat_store_dwordx2 v[31:32], v[19:20]
	v_add_co_u32 v5, vcc_lo, 0x4000, v1
	v_add_co_ci_u32_e64 v6, null, 0, v2, vcc_lo
	v_add_co_u32 v7, vcc_lo, 0x4800, v1
	v_add_co_ci_u32_e64 v8, null, 0, v2, vcc_lo
	;; [unrolled: 2-line block ×4, first 2 shown]
	s_waitcnt lgkmcnt(10)
	flat_store_dwordx2 v[5:6], v[21:22]
	flat_store_dwordx2 v[7:8], v[23:24]
	s_waitcnt lgkmcnt(11)
	flat_store_dwordx2 v[9:10], v[25:26]
	flat_store_dwordx2 v[1:2], v[27:28]
.LBB91_222:
	s_and_saveexec_b32 s3, s2
	s_cbranch_execnz .LBB91_224
; %bb.223:
	s_endpgm
.LBB91_224:
	v_lshlrev_b32_e32 v0, 3, v0
	v_add_co_u32 v0, s0, s0, v0
	v_add_co_ci_u32_e64 v1, null, s1, 0, s0
	v_add_co_u32 v0, vcc_lo, 0x6000, v0
	v_add_co_ci_u32_e64 v1, null, 0, v1, vcc_lo
	s_waitcnt lgkmcnt(0)
	flat_store_dwordx2 v[0:1], v[3:4]
	s_endpgm
.LBB91_225:
	v_add_co_u32 v1, s0, s40, v39
	v_add_co_ci_u32_e64 v2, null, s41, 0, s0
	flat_load_dwordx2 v[1:2], v[1:2]
	s_or_b32 exec_lo, exec_lo, s36
                                        ; implicit-def: $vgpr3_vgpr4
	s_and_saveexec_b32 s0, s1
	s_cbranch_execz .LBB91_35
.LBB91_226:
	v_add_co_u32 v3, s1, s40, v27
	v_add_co_ci_u32_e64 v4, null, s41, 0, s1
	flat_load_dwordx2 v[3:4], v[3:4]
	s_or_b32 exec_lo, exec_lo, s0
                                        ; implicit-def: $vgpr5_vgpr6
	s_and_saveexec_b32 s0, s2
	s_cbranch_execz .LBB91_36
.LBB91_227:
	v_add_co_u32 v5, s1, s40, v28
	v_add_co_ci_u32_e64 v6, null, s41, 0, s1
	flat_load_dwordx2 v[5:6], v[5:6]
	s_or_b32 exec_lo, exec_lo, s0
                                        ; implicit-def: $vgpr7_vgpr8
	s_and_saveexec_b32 s0, s3
	s_cbranch_execz .LBB91_37
.LBB91_228:
	v_add_co_u32 v7, s1, s40, v29
	v_add_co_ci_u32_e64 v8, null, s41, 0, s1
	flat_load_dwordx2 v[7:8], v[7:8]
	s_or_b32 exec_lo, exec_lo, s0
                                        ; implicit-def: $vgpr9_vgpr10
	s_and_saveexec_b32 s0, s4
	s_cbranch_execz .LBB91_38
.LBB91_229:
	v_add_co_u32 v9, s1, s40, v30
	v_add_co_ci_u32_e64 v10, null, s41, 0, s1
	flat_load_dwordx2 v[9:10], v[9:10]
	s_or_b32 exec_lo, exec_lo, s0
                                        ; implicit-def: $vgpr13_vgpr14
	s_and_saveexec_b32 s0, s5
	s_cbranch_execz .LBB91_39
.LBB91_230:
	v_add_co_u32 v13, s1, s40, v31
	v_add_co_ci_u32_e64 v14, null, s41, 0, s1
	flat_load_dwordx2 v[13:14], v[13:14]
	s_or_b32 exec_lo, exec_lo, s0
                                        ; implicit-def: $vgpr15_vgpr16
	s_and_saveexec_b32 s0, s7
	s_cbranch_execz .LBB91_40
.LBB91_231:
	v_add_co_u32 v15, s1, s40, v32
	v_add_co_ci_u32_e64 v16, null, s41, 0, s1
	flat_load_dwordx2 v[15:16], v[15:16]
	s_or_b32 exec_lo, exec_lo, s0
                                        ; implicit-def: $vgpr17_vgpr18
	s_and_saveexec_b32 s0, s8
	s_cbranch_execz .LBB91_41
.LBB91_232:
	v_add_co_u32 v17, s1, s40, v33
	v_add_co_ci_u32_e64 v18, null, s41, 0, s1
	flat_load_dwordx2 v[17:18], v[17:18]
	s_or_b32 exec_lo, exec_lo, s0
                                        ; implicit-def: $vgpr19_vgpr20
	s_and_saveexec_b32 s0, s9
	s_cbranch_execz .LBB91_42
.LBB91_233:
	v_add_co_u32 v19, s1, s40, v34
	v_add_co_ci_u32_e64 v20, null, s41, 0, s1
	flat_load_dwordx2 v[19:20], v[19:20]
	s_or_b32 exec_lo, exec_lo, s0
                                        ; implicit-def: $vgpr21_vgpr22
	s_and_saveexec_b32 s0, s10
	s_cbranch_execz .LBB91_43
.LBB91_234:
	v_add_co_u32 v21, s1, s40, v35
	v_add_co_ci_u32_e64 v22, null, s41, 0, s1
	flat_load_dwordx2 v[21:22], v[21:22]
	s_or_b32 exec_lo, exec_lo, s0
                                        ; implicit-def: $vgpr23_vgpr24
	s_and_saveexec_b32 s0, s11
	s_cbranch_execz .LBB91_44
.LBB91_235:
	v_add_co_u32 v23, s1, s40, v36
	v_add_co_ci_u32_e64 v24, null, s41, 0, s1
	flat_load_dwordx2 v[23:24], v[23:24]
	s_or_b32 exec_lo, exec_lo, s0
                                        ; implicit-def: $vgpr25_vgpr26
	s_and_saveexec_b32 s0, s12
	s_cbranch_execz .LBB91_45
.LBB91_236:
	v_add_co_u32 v25, s1, s40, v37
	v_add_co_ci_u32_e64 v26, null, s41, 0, s1
	flat_load_dwordx2 v[25:26], v[25:26]
	s_or_b32 exec_lo, exec_lo, s0
                                        ; implicit-def: $vgpr27_vgpr28
	s_and_saveexec_b32 s0, s13
	s_cbranch_execnz .LBB91_46
	s_branch .LBB91_47
.LBB91_237:
                                        ; implicit-def: $sgpr36_sgpr37
	s_branch .LBB91_30
.LBB91_238:
                                        ; implicit-def: $sgpr0_sgpr1
	s_branch .LBB91_76
	.section	.rodata,"a",@progbits
	.p2align	6, 0x0
	.amdhsa_kernel _ZN7rocprim17ROCPRIM_400000_NS6detail17trampoline_kernelINS0_14default_configENS1_27scan_by_key_config_selectorIxxEEZZNS1_16scan_by_key_implILNS1_25lookback_scan_determinismE0ELb0ES3_N6thrust23THRUST_200600_302600_NS6detail15normal_iteratorINS9_10device_ptrIxEEEESE_SE_xNS9_4plusIvEENS9_8equal_toIxEExEE10hipError_tPvRmT2_T3_T4_T5_mT6_T7_P12ihipStream_tbENKUlT_T0_E_clISt17integral_constantIbLb0EESZ_EEDaSU_SV_EUlSU_E_NS1_11comp_targetILNS1_3genE8ELNS1_11target_archE1030ELNS1_3gpuE2ELNS1_3repE0EEENS1_30default_config_static_selectorELNS0_4arch9wavefront6targetE0EEEvT1_
		.amdhsa_group_segment_fixed_size 30720
		.amdhsa_private_segment_fixed_size 0
		.amdhsa_kernarg_size 136
		.amdhsa_user_sgpr_count 6
		.amdhsa_user_sgpr_private_segment_buffer 1
		.amdhsa_user_sgpr_dispatch_ptr 0
		.amdhsa_user_sgpr_queue_ptr 0
		.amdhsa_user_sgpr_kernarg_segment_ptr 1
		.amdhsa_user_sgpr_dispatch_id 0
		.amdhsa_user_sgpr_flat_scratch_init 0
		.amdhsa_user_sgpr_private_segment_size 0
		.amdhsa_wavefront_size32 1
		.amdhsa_uses_dynamic_stack 0
		.amdhsa_system_sgpr_private_segment_wavefront_offset 0
		.amdhsa_system_sgpr_workgroup_id_x 1
		.amdhsa_system_sgpr_workgroup_id_y 0
		.amdhsa_system_sgpr_workgroup_id_z 0
		.amdhsa_system_sgpr_workgroup_info 0
		.amdhsa_system_vgpr_workitem_id 0
		.amdhsa_next_free_vgpr 113
		.amdhsa_next_free_sgpr 49
		.amdhsa_reserve_vcc 1
		.amdhsa_reserve_flat_scratch 1
		.amdhsa_float_round_mode_32 0
		.amdhsa_float_round_mode_16_64 0
		.amdhsa_float_denorm_mode_32 3
		.amdhsa_float_denorm_mode_16_64 3
		.amdhsa_dx10_clamp 1
		.amdhsa_ieee_mode 1
		.amdhsa_fp16_overflow 0
		.amdhsa_workgroup_processor_mode 1
		.amdhsa_memory_ordered 1
		.amdhsa_forward_progress 1
		.amdhsa_shared_vgpr_count 0
		.amdhsa_exception_fp_ieee_invalid_op 0
		.amdhsa_exception_fp_denorm_src 0
		.amdhsa_exception_fp_ieee_div_zero 0
		.amdhsa_exception_fp_ieee_overflow 0
		.amdhsa_exception_fp_ieee_underflow 0
		.amdhsa_exception_fp_ieee_inexact 0
		.amdhsa_exception_int_div_zero 0
	.end_amdhsa_kernel
	.section	.text._ZN7rocprim17ROCPRIM_400000_NS6detail17trampoline_kernelINS0_14default_configENS1_27scan_by_key_config_selectorIxxEEZZNS1_16scan_by_key_implILNS1_25lookback_scan_determinismE0ELb0ES3_N6thrust23THRUST_200600_302600_NS6detail15normal_iteratorINS9_10device_ptrIxEEEESE_SE_xNS9_4plusIvEENS9_8equal_toIxEExEE10hipError_tPvRmT2_T3_T4_T5_mT6_T7_P12ihipStream_tbENKUlT_T0_E_clISt17integral_constantIbLb0EESZ_EEDaSU_SV_EUlSU_E_NS1_11comp_targetILNS1_3genE8ELNS1_11target_archE1030ELNS1_3gpuE2ELNS1_3repE0EEENS1_30default_config_static_selectorELNS0_4arch9wavefront6targetE0EEEvT1_,"axG",@progbits,_ZN7rocprim17ROCPRIM_400000_NS6detail17trampoline_kernelINS0_14default_configENS1_27scan_by_key_config_selectorIxxEEZZNS1_16scan_by_key_implILNS1_25lookback_scan_determinismE0ELb0ES3_N6thrust23THRUST_200600_302600_NS6detail15normal_iteratorINS9_10device_ptrIxEEEESE_SE_xNS9_4plusIvEENS9_8equal_toIxEExEE10hipError_tPvRmT2_T3_T4_T5_mT6_T7_P12ihipStream_tbENKUlT_T0_E_clISt17integral_constantIbLb0EESZ_EEDaSU_SV_EUlSU_E_NS1_11comp_targetILNS1_3genE8ELNS1_11target_archE1030ELNS1_3gpuE2ELNS1_3repE0EEENS1_30default_config_static_selectorELNS0_4arch9wavefront6targetE0EEEvT1_,comdat
.Lfunc_end91:
	.size	_ZN7rocprim17ROCPRIM_400000_NS6detail17trampoline_kernelINS0_14default_configENS1_27scan_by_key_config_selectorIxxEEZZNS1_16scan_by_key_implILNS1_25lookback_scan_determinismE0ELb0ES3_N6thrust23THRUST_200600_302600_NS6detail15normal_iteratorINS9_10device_ptrIxEEEESE_SE_xNS9_4plusIvEENS9_8equal_toIxEExEE10hipError_tPvRmT2_T3_T4_T5_mT6_T7_P12ihipStream_tbENKUlT_T0_E_clISt17integral_constantIbLb0EESZ_EEDaSU_SV_EUlSU_E_NS1_11comp_targetILNS1_3genE8ELNS1_11target_archE1030ELNS1_3gpuE2ELNS1_3repE0EEENS1_30default_config_static_selectorELNS0_4arch9wavefront6targetE0EEEvT1_, .Lfunc_end91-_ZN7rocprim17ROCPRIM_400000_NS6detail17trampoline_kernelINS0_14default_configENS1_27scan_by_key_config_selectorIxxEEZZNS1_16scan_by_key_implILNS1_25lookback_scan_determinismE0ELb0ES3_N6thrust23THRUST_200600_302600_NS6detail15normal_iteratorINS9_10device_ptrIxEEEESE_SE_xNS9_4plusIvEENS9_8equal_toIxEExEE10hipError_tPvRmT2_T3_T4_T5_mT6_T7_P12ihipStream_tbENKUlT_T0_E_clISt17integral_constantIbLb0EESZ_EEDaSU_SV_EUlSU_E_NS1_11comp_targetILNS1_3genE8ELNS1_11target_archE1030ELNS1_3gpuE2ELNS1_3repE0EEENS1_30default_config_static_selectorELNS0_4arch9wavefront6targetE0EEEvT1_
                                        ; -- End function
	.set _ZN7rocprim17ROCPRIM_400000_NS6detail17trampoline_kernelINS0_14default_configENS1_27scan_by_key_config_selectorIxxEEZZNS1_16scan_by_key_implILNS1_25lookback_scan_determinismE0ELb0ES3_N6thrust23THRUST_200600_302600_NS6detail15normal_iteratorINS9_10device_ptrIxEEEESE_SE_xNS9_4plusIvEENS9_8equal_toIxEExEE10hipError_tPvRmT2_T3_T4_T5_mT6_T7_P12ihipStream_tbENKUlT_T0_E_clISt17integral_constantIbLb0EESZ_EEDaSU_SV_EUlSU_E_NS1_11comp_targetILNS1_3genE8ELNS1_11target_archE1030ELNS1_3gpuE2ELNS1_3repE0EEENS1_30default_config_static_selectorELNS0_4arch9wavefront6targetE0EEEvT1_.num_vgpr, 106
	.set _ZN7rocprim17ROCPRIM_400000_NS6detail17trampoline_kernelINS0_14default_configENS1_27scan_by_key_config_selectorIxxEEZZNS1_16scan_by_key_implILNS1_25lookback_scan_determinismE0ELb0ES3_N6thrust23THRUST_200600_302600_NS6detail15normal_iteratorINS9_10device_ptrIxEEEESE_SE_xNS9_4plusIvEENS9_8equal_toIxEExEE10hipError_tPvRmT2_T3_T4_T5_mT6_T7_P12ihipStream_tbENKUlT_T0_E_clISt17integral_constantIbLb0EESZ_EEDaSU_SV_EUlSU_E_NS1_11comp_targetILNS1_3genE8ELNS1_11target_archE1030ELNS1_3gpuE2ELNS1_3repE0EEENS1_30default_config_static_selectorELNS0_4arch9wavefront6targetE0EEEvT1_.num_agpr, 0
	.set _ZN7rocprim17ROCPRIM_400000_NS6detail17trampoline_kernelINS0_14default_configENS1_27scan_by_key_config_selectorIxxEEZZNS1_16scan_by_key_implILNS1_25lookback_scan_determinismE0ELb0ES3_N6thrust23THRUST_200600_302600_NS6detail15normal_iteratorINS9_10device_ptrIxEEEESE_SE_xNS9_4plusIvEENS9_8equal_toIxEExEE10hipError_tPvRmT2_T3_T4_T5_mT6_T7_P12ihipStream_tbENKUlT_T0_E_clISt17integral_constantIbLb0EESZ_EEDaSU_SV_EUlSU_E_NS1_11comp_targetILNS1_3genE8ELNS1_11target_archE1030ELNS1_3gpuE2ELNS1_3repE0EEENS1_30default_config_static_selectorELNS0_4arch9wavefront6targetE0EEEvT1_.numbered_sgpr, 49
	.set _ZN7rocprim17ROCPRIM_400000_NS6detail17trampoline_kernelINS0_14default_configENS1_27scan_by_key_config_selectorIxxEEZZNS1_16scan_by_key_implILNS1_25lookback_scan_determinismE0ELb0ES3_N6thrust23THRUST_200600_302600_NS6detail15normal_iteratorINS9_10device_ptrIxEEEESE_SE_xNS9_4plusIvEENS9_8equal_toIxEExEE10hipError_tPvRmT2_T3_T4_T5_mT6_T7_P12ihipStream_tbENKUlT_T0_E_clISt17integral_constantIbLb0EESZ_EEDaSU_SV_EUlSU_E_NS1_11comp_targetILNS1_3genE8ELNS1_11target_archE1030ELNS1_3gpuE2ELNS1_3repE0EEENS1_30default_config_static_selectorELNS0_4arch9wavefront6targetE0EEEvT1_.num_named_barrier, 0
	.set _ZN7rocprim17ROCPRIM_400000_NS6detail17trampoline_kernelINS0_14default_configENS1_27scan_by_key_config_selectorIxxEEZZNS1_16scan_by_key_implILNS1_25lookback_scan_determinismE0ELb0ES3_N6thrust23THRUST_200600_302600_NS6detail15normal_iteratorINS9_10device_ptrIxEEEESE_SE_xNS9_4plusIvEENS9_8equal_toIxEExEE10hipError_tPvRmT2_T3_T4_T5_mT6_T7_P12ihipStream_tbENKUlT_T0_E_clISt17integral_constantIbLb0EESZ_EEDaSU_SV_EUlSU_E_NS1_11comp_targetILNS1_3genE8ELNS1_11target_archE1030ELNS1_3gpuE2ELNS1_3repE0EEENS1_30default_config_static_selectorELNS0_4arch9wavefront6targetE0EEEvT1_.private_seg_size, 0
	.set _ZN7rocprim17ROCPRIM_400000_NS6detail17trampoline_kernelINS0_14default_configENS1_27scan_by_key_config_selectorIxxEEZZNS1_16scan_by_key_implILNS1_25lookback_scan_determinismE0ELb0ES3_N6thrust23THRUST_200600_302600_NS6detail15normal_iteratorINS9_10device_ptrIxEEEESE_SE_xNS9_4plusIvEENS9_8equal_toIxEExEE10hipError_tPvRmT2_T3_T4_T5_mT6_T7_P12ihipStream_tbENKUlT_T0_E_clISt17integral_constantIbLb0EESZ_EEDaSU_SV_EUlSU_E_NS1_11comp_targetILNS1_3genE8ELNS1_11target_archE1030ELNS1_3gpuE2ELNS1_3repE0EEENS1_30default_config_static_selectorELNS0_4arch9wavefront6targetE0EEEvT1_.uses_vcc, 1
	.set _ZN7rocprim17ROCPRIM_400000_NS6detail17trampoline_kernelINS0_14default_configENS1_27scan_by_key_config_selectorIxxEEZZNS1_16scan_by_key_implILNS1_25lookback_scan_determinismE0ELb0ES3_N6thrust23THRUST_200600_302600_NS6detail15normal_iteratorINS9_10device_ptrIxEEEESE_SE_xNS9_4plusIvEENS9_8equal_toIxEExEE10hipError_tPvRmT2_T3_T4_T5_mT6_T7_P12ihipStream_tbENKUlT_T0_E_clISt17integral_constantIbLb0EESZ_EEDaSU_SV_EUlSU_E_NS1_11comp_targetILNS1_3genE8ELNS1_11target_archE1030ELNS1_3gpuE2ELNS1_3repE0EEENS1_30default_config_static_selectorELNS0_4arch9wavefront6targetE0EEEvT1_.uses_flat_scratch, 1
	.set _ZN7rocprim17ROCPRIM_400000_NS6detail17trampoline_kernelINS0_14default_configENS1_27scan_by_key_config_selectorIxxEEZZNS1_16scan_by_key_implILNS1_25lookback_scan_determinismE0ELb0ES3_N6thrust23THRUST_200600_302600_NS6detail15normal_iteratorINS9_10device_ptrIxEEEESE_SE_xNS9_4plusIvEENS9_8equal_toIxEExEE10hipError_tPvRmT2_T3_T4_T5_mT6_T7_P12ihipStream_tbENKUlT_T0_E_clISt17integral_constantIbLb0EESZ_EEDaSU_SV_EUlSU_E_NS1_11comp_targetILNS1_3genE8ELNS1_11target_archE1030ELNS1_3gpuE2ELNS1_3repE0EEENS1_30default_config_static_selectorELNS0_4arch9wavefront6targetE0EEEvT1_.has_dyn_sized_stack, 0
	.set _ZN7rocprim17ROCPRIM_400000_NS6detail17trampoline_kernelINS0_14default_configENS1_27scan_by_key_config_selectorIxxEEZZNS1_16scan_by_key_implILNS1_25lookback_scan_determinismE0ELb0ES3_N6thrust23THRUST_200600_302600_NS6detail15normal_iteratorINS9_10device_ptrIxEEEESE_SE_xNS9_4plusIvEENS9_8equal_toIxEExEE10hipError_tPvRmT2_T3_T4_T5_mT6_T7_P12ihipStream_tbENKUlT_T0_E_clISt17integral_constantIbLb0EESZ_EEDaSU_SV_EUlSU_E_NS1_11comp_targetILNS1_3genE8ELNS1_11target_archE1030ELNS1_3gpuE2ELNS1_3repE0EEENS1_30default_config_static_selectorELNS0_4arch9wavefront6targetE0EEEvT1_.has_recursion, 0
	.set _ZN7rocprim17ROCPRIM_400000_NS6detail17trampoline_kernelINS0_14default_configENS1_27scan_by_key_config_selectorIxxEEZZNS1_16scan_by_key_implILNS1_25lookback_scan_determinismE0ELb0ES3_N6thrust23THRUST_200600_302600_NS6detail15normal_iteratorINS9_10device_ptrIxEEEESE_SE_xNS9_4plusIvEENS9_8equal_toIxEExEE10hipError_tPvRmT2_T3_T4_T5_mT6_T7_P12ihipStream_tbENKUlT_T0_E_clISt17integral_constantIbLb0EESZ_EEDaSU_SV_EUlSU_E_NS1_11comp_targetILNS1_3genE8ELNS1_11target_archE1030ELNS1_3gpuE2ELNS1_3repE0EEENS1_30default_config_static_selectorELNS0_4arch9wavefront6targetE0EEEvT1_.has_indirect_call, 0
	.section	.AMDGPU.csdata,"",@progbits
; Kernel info:
; codeLenInByte = 15252
; TotalNumSgprs: 51
; NumVgprs: 106
; ScratchSize: 0
; MemoryBound: 0
; FloatMode: 240
; IeeeMode: 1
; LDSByteSize: 30720 bytes/workgroup (compile time only)
; SGPRBlocks: 0
; VGPRBlocks: 14
; NumSGPRsForWavesPerEU: 51
; NumVGPRsForWavesPerEU: 113
; Occupancy: 8
; WaveLimiterHint : 1
; COMPUTE_PGM_RSRC2:SCRATCH_EN: 0
; COMPUTE_PGM_RSRC2:USER_SGPR: 6
; COMPUTE_PGM_RSRC2:TRAP_HANDLER: 0
; COMPUTE_PGM_RSRC2:TGID_X_EN: 1
; COMPUTE_PGM_RSRC2:TGID_Y_EN: 0
; COMPUTE_PGM_RSRC2:TGID_Z_EN: 0
; COMPUTE_PGM_RSRC2:TIDIG_COMP_CNT: 0
	.section	.text._ZN7rocprim17ROCPRIM_400000_NS6detail17trampoline_kernelINS0_14default_configENS1_27scan_by_key_config_selectorIxxEEZZNS1_16scan_by_key_implILNS1_25lookback_scan_determinismE0ELb0ES3_N6thrust23THRUST_200600_302600_NS6detail15normal_iteratorINS9_10device_ptrIxEEEESE_SE_xNS9_4plusIvEENS9_8equal_toIxEExEE10hipError_tPvRmT2_T3_T4_T5_mT6_T7_P12ihipStream_tbENKUlT_T0_E_clISt17integral_constantIbLb1EESZ_EEDaSU_SV_EUlSU_E_NS1_11comp_targetILNS1_3genE0ELNS1_11target_archE4294967295ELNS1_3gpuE0ELNS1_3repE0EEENS1_30default_config_static_selectorELNS0_4arch9wavefront6targetE0EEEvT1_,"axG",@progbits,_ZN7rocprim17ROCPRIM_400000_NS6detail17trampoline_kernelINS0_14default_configENS1_27scan_by_key_config_selectorIxxEEZZNS1_16scan_by_key_implILNS1_25lookback_scan_determinismE0ELb0ES3_N6thrust23THRUST_200600_302600_NS6detail15normal_iteratorINS9_10device_ptrIxEEEESE_SE_xNS9_4plusIvEENS9_8equal_toIxEExEE10hipError_tPvRmT2_T3_T4_T5_mT6_T7_P12ihipStream_tbENKUlT_T0_E_clISt17integral_constantIbLb1EESZ_EEDaSU_SV_EUlSU_E_NS1_11comp_targetILNS1_3genE0ELNS1_11target_archE4294967295ELNS1_3gpuE0ELNS1_3repE0EEENS1_30default_config_static_selectorELNS0_4arch9wavefront6targetE0EEEvT1_,comdat
	.protected	_ZN7rocprim17ROCPRIM_400000_NS6detail17trampoline_kernelINS0_14default_configENS1_27scan_by_key_config_selectorIxxEEZZNS1_16scan_by_key_implILNS1_25lookback_scan_determinismE0ELb0ES3_N6thrust23THRUST_200600_302600_NS6detail15normal_iteratorINS9_10device_ptrIxEEEESE_SE_xNS9_4plusIvEENS9_8equal_toIxEExEE10hipError_tPvRmT2_T3_T4_T5_mT6_T7_P12ihipStream_tbENKUlT_T0_E_clISt17integral_constantIbLb1EESZ_EEDaSU_SV_EUlSU_E_NS1_11comp_targetILNS1_3genE0ELNS1_11target_archE4294967295ELNS1_3gpuE0ELNS1_3repE0EEENS1_30default_config_static_selectorELNS0_4arch9wavefront6targetE0EEEvT1_ ; -- Begin function _ZN7rocprim17ROCPRIM_400000_NS6detail17trampoline_kernelINS0_14default_configENS1_27scan_by_key_config_selectorIxxEEZZNS1_16scan_by_key_implILNS1_25lookback_scan_determinismE0ELb0ES3_N6thrust23THRUST_200600_302600_NS6detail15normal_iteratorINS9_10device_ptrIxEEEESE_SE_xNS9_4plusIvEENS9_8equal_toIxEExEE10hipError_tPvRmT2_T3_T4_T5_mT6_T7_P12ihipStream_tbENKUlT_T0_E_clISt17integral_constantIbLb1EESZ_EEDaSU_SV_EUlSU_E_NS1_11comp_targetILNS1_3genE0ELNS1_11target_archE4294967295ELNS1_3gpuE0ELNS1_3repE0EEENS1_30default_config_static_selectorELNS0_4arch9wavefront6targetE0EEEvT1_
	.globl	_ZN7rocprim17ROCPRIM_400000_NS6detail17trampoline_kernelINS0_14default_configENS1_27scan_by_key_config_selectorIxxEEZZNS1_16scan_by_key_implILNS1_25lookback_scan_determinismE0ELb0ES3_N6thrust23THRUST_200600_302600_NS6detail15normal_iteratorINS9_10device_ptrIxEEEESE_SE_xNS9_4plusIvEENS9_8equal_toIxEExEE10hipError_tPvRmT2_T3_T4_T5_mT6_T7_P12ihipStream_tbENKUlT_T0_E_clISt17integral_constantIbLb1EESZ_EEDaSU_SV_EUlSU_E_NS1_11comp_targetILNS1_3genE0ELNS1_11target_archE4294967295ELNS1_3gpuE0ELNS1_3repE0EEENS1_30default_config_static_selectorELNS0_4arch9wavefront6targetE0EEEvT1_
	.p2align	8
	.type	_ZN7rocprim17ROCPRIM_400000_NS6detail17trampoline_kernelINS0_14default_configENS1_27scan_by_key_config_selectorIxxEEZZNS1_16scan_by_key_implILNS1_25lookback_scan_determinismE0ELb0ES3_N6thrust23THRUST_200600_302600_NS6detail15normal_iteratorINS9_10device_ptrIxEEEESE_SE_xNS9_4plusIvEENS9_8equal_toIxEExEE10hipError_tPvRmT2_T3_T4_T5_mT6_T7_P12ihipStream_tbENKUlT_T0_E_clISt17integral_constantIbLb1EESZ_EEDaSU_SV_EUlSU_E_NS1_11comp_targetILNS1_3genE0ELNS1_11target_archE4294967295ELNS1_3gpuE0ELNS1_3repE0EEENS1_30default_config_static_selectorELNS0_4arch9wavefront6targetE0EEEvT1_,@function
_ZN7rocprim17ROCPRIM_400000_NS6detail17trampoline_kernelINS0_14default_configENS1_27scan_by_key_config_selectorIxxEEZZNS1_16scan_by_key_implILNS1_25lookback_scan_determinismE0ELb0ES3_N6thrust23THRUST_200600_302600_NS6detail15normal_iteratorINS9_10device_ptrIxEEEESE_SE_xNS9_4plusIvEENS9_8equal_toIxEExEE10hipError_tPvRmT2_T3_T4_T5_mT6_T7_P12ihipStream_tbENKUlT_T0_E_clISt17integral_constantIbLb1EESZ_EEDaSU_SV_EUlSU_E_NS1_11comp_targetILNS1_3genE0ELNS1_11target_archE4294967295ELNS1_3gpuE0ELNS1_3repE0EEENS1_30default_config_static_selectorELNS0_4arch9wavefront6targetE0EEEvT1_: ; @_ZN7rocprim17ROCPRIM_400000_NS6detail17trampoline_kernelINS0_14default_configENS1_27scan_by_key_config_selectorIxxEEZZNS1_16scan_by_key_implILNS1_25lookback_scan_determinismE0ELb0ES3_N6thrust23THRUST_200600_302600_NS6detail15normal_iteratorINS9_10device_ptrIxEEEESE_SE_xNS9_4plusIvEENS9_8equal_toIxEExEE10hipError_tPvRmT2_T3_T4_T5_mT6_T7_P12ihipStream_tbENKUlT_T0_E_clISt17integral_constantIbLb1EESZ_EEDaSU_SV_EUlSU_E_NS1_11comp_targetILNS1_3genE0ELNS1_11target_archE4294967295ELNS1_3gpuE0ELNS1_3repE0EEENS1_30default_config_static_selectorELNS0_4arch9wavefront6targetE0EEEvT1_
; %bb.0:
	.section	.rodata,"a",@progbits
	.p2align	6, 0x0
	.amdhsa_kernel _ZN7rocprim17ROCPRIM_400000_NS6detail17trampoline_kernelINS0_14default_configENS1_27scan_by_key_config_selectorIxxEEZZNS1_16scan_by_key_implILNS1_25lookback_scan_determinismE0ELb0ES3_N6thrust23THRUST_200600_302600_NS6detail15normal_iteratorINS9_10device_ptrIxEEEESE_SE_xNS9_4plusIvEENS9_8equal_toIxEExEE10hipError_tPvRmT2_T3_T4_T5_mT6_T7_P12ihipStream_tbENKUlT_T0_E_clISt17integral_constantIbLb1EESZ_EEDaSU_SV_EUlSU_E_NS1_11comp_targetILNS1_3genE0ELNS1_11target_archE4294967295ELNS1_3gpuE0ELNS1_3repE0EEENS1_30default_config_static_selectorELNS0_4arch9wavefront6targetE0EEEvT1_
		.amdhsa_group_segment_fixed_size 0
		.amdhsa_private_segment_fixed_size 0
		.amdhsa_kernarg_size 136
		.amdhsa_user_sgpr_count 6
		.amdhsa_user_sgpr_private_segment_buffer 1
		.amdhsa_user_sgpr_dispatch_ptr 0
		.amdhsa_user_sgpr_queue_ptr 0
		.amdhsa_user_sgpr_kernarg_segment_ptr 1
		.amdhsa_user_sgpr_dispatch_id 0
		.amdhsa_user_sgpr_flat_scratch_init 0
		.amdhsa_user_sgpr_private_segment_size 0
		.amdhsa_wavefront_size32 1
		.amdhsa_uses_dynamic_stack 0
		.amdhsa_system_sgpr_private_segment_wavefront_offset 0
		.amdhsa_system_sgpr_workgroup_id_x 1
		.amdhsa_system_sgpr_workgroup_id_y 0
		.amdhsa_system_sgpr_workgroup_id_z 0
		.amdhsa_system_sgpr_workgroup_info 0
		.amdhsa_system_vgpr_workitem_id 0
		.amdhsa_next_free_vgpr 1
		.amdhsa_next_free_sgpr 1
		.amdhsa_reserve_vcc 0
		.amdhsa_reserve_flat_scratch 0
		.amdhsa_float_round_mode_32 0
		.amdhsa_float_round_mode_16_64 0
		.amdhsa_float_denorm_mode_32 3
		.amdhsa_float_denorm_mode_16_64 3
		.amdhsa_dx10_clamp 1
		.amdhsa_ieee_mode 1
		.amdhsa_fp16_overflow 0
		.amdhsa_workgroup_processor_mode 1
		.amdhsa_memory_ordered 1
		.amdhsa_forward_progress 1
		.amdhsa_shared_vgpr_count 0
		.amdhsa_exception_fp_ieee_invalid_op 0
		.amdhsa_exception_fp_denorm_src 0
		.amdhsa_exception_fp_ieee_div_zero 0
		.amdhsa_exception_fp_ieee_overflow 0
		.amdhsa_exception_fp_ieee_underflow 0
		.amdhsa_exception_fp_ieee_inexact 0
		.amdhsa_exception_int_div_zero 0
	.end_amdhsa_kernel
	.section	.text._ZN7rocprim17ROCPRIM_400000_NS6detail17trampoline_kernelINS0_14default_configENS1_27scan_by_key_config_selectorIxxEEZZNS1_16scan_by_key_implILNS1_25lookback_scan_determinismE0ELb0ES3_N6thrust23THRUST_200600_302600_NS6detail15normal_iteratorINS9_10device_ptrIxEEEESE_SE_xNS9_4plusIvEENS9_8equal_toIxEExEE10hipError_tPvRmT2_T3_T4_T5_mT6_T7_P12ihipStream_tbENKUlT_T0_E_clISt17integral_constantIbLb1EESZ_EEDaSU_SV_EUlSU_E_NS1_11comp_targetILNS1_3genE0ELNS1_11target_archE4294967295ELNS1_3gpuE0ELNS1_3repE0EEENS1_30default_config_static_selectorELNS0_4arch9wavefront6targetE0EEEvT1_,"axG",@progbits,_ZN7rocprim17ROCPRIM_400000_NS6detail17trampoline_kernelINS0_14default_configENS1_27scan_by_key_config_selectorIxxEEZZNS1_16scan_by_key_implILNS1_25lookback_scan_determinismE0ELb0ES3_N6thrust23THRUST_200600_302600_NS6detail15normal_iteratorINS9_10device_ptrIxEEEESE_SE_xNS9_4plusIvEENS9_8equal_toIxEExEE10hipError_tPvRmT2_T3_T4_T5_mT6_T7_P12ihipStream_tbENKUlT_T0_E_clISt17integral_constantIbLb1EESZ_EEDaSU_SV_EUlSU_E_NS1_11comp_targetILNS1_3genE0ELNS1_11target_archE4294967295ELNS1_3gpuE0ELNS1_3repE0EEENS1_30default_config_static_selectorELNS0_4arch9wavefront6targetE0EEEvT1_,comdat
.Lfunc_end92:
	.size	_ZN7rocprim17ROCPRIM_400000_NS6detail17trampoline_kernelINS0_14default_configENS1_27scan_by_key_config_selectorIxxEEZZNS1_16scan_by_key_implILNS1_25lookback_scan_determinismE0ELb0ES3_N6thrust23THRUST_200600_302600_NS6detail15normal_iteratorINS9_10device_ptrIxEEEESE_SE_xNS9_4plusIvEENS9_8equal_toIxEExEE10hipError_tPvRmT2_T3_T4_T5_mT6_T7_P12ihipStream_tbENKUlT_T0_E_clISt17integral_constantIbLb1EESZ_EEDaSU_SV_EUlSU_E_NS1_11comp_targetILNS1_3genE0ELNS1_11target_archE4294967295ELNS1_3gpuE0ELNS1_3repE0EEENS1_30default_config_static_selectorELNS0_4arch9wavefront6targetE0EEEvT1_, .Lfunc_end92-_ZN7rocprim17ROCPRIM_400000_NS6detail17trampoline_kernelINS0_14default_configENS1_27scan_by_key_config_selectorIxxEEZZNS1_16scan_by_key_implILNS1_25lookback_scan_determinismE0ELb0ES3_N6thrust23THRUST_200600_302600_NS6detail15normal_iteratorINS9_10device_ptrIxEEEESE_SE_xNS9_4plusIvEENS9_8equal_toIxEExEE10hipError_tPvRmT2_T3_T4_T5_mT6_T7_P12ihipStream_tbENKUlT_T0_E_clISt17integral_constantIbLb1EESZ_EEDaSU_SV_EUlSU_E_NS1_11comp_targetILNS1_3genE0ELNS1_11target_archE4294967295ELNS1_3gpuE0ELNS1_3repE0EEENS1_30default_config_static_selectorELNS0_4arch9wavefront6targetE0EEEvT1_
                                        ; -- End function
	.set _ZN7rocprim17ROCPRIM_400000_NS6detail17trampoline_kernelINS0_14default_configENS1_27scan_by_key_config_selectorIxxEEZZNS1_16scan_by_key_implILNS1_25lookback_scan_determinismE0ELb0ES3_N6thrust23THRUST_200600_302600_NS6detail15normal_iteratorINS9_10device_ptrIxEEEESE_SE_xNS9_4plusIvEENS9_8equal_toIxEExEE10hipError_tPvRmT2_T3_T4_T5_mT6_T7_P12ihipStream_tbENKUlT_T0_E_clISt17integral_constantIbLb1EESZ_EEDaSU_SV_EUlSU_E_NS1_11comp_targetILNS1_3genE0ELNS1_11target_archE4294967295ELNS1_3gpuE0ELNS1_3repE0EEENS1_30default_config_static_selectorELNS0_4arch9wavefront6targetE0EEEvT1_.num_vgpr, 0
	.set _ZN7rocprim17ROCPRIM_400000_NS6detail17trampoline_kernelINS0_14default_configENS1_27scan_by_key_config_selectorIxxEEZZNS1_16scan_by_key_implILNS1_25lookback_scan_determinismE0ELb0ES3_N6thrust23THRUST_200600_302600_NS6detail15normal_iteratorINS9_10device_ptrIxEEEESE_SE_xNS9_4plusIvEENS9_8equal_toIxEExEE10hipError_tPvRmT2_T3_T4_T5_mT6_T7_P12ihipStream_tbENKUlT_T0_E_clISt17integral_constantIbLb1EESZ_EEDaSU_SV_EUlSU_E_NS1_11comp_targetILNS1_3genE0ELNS1_11target_archE4294967295ELNS1_3gpuE0ELNS1_3repE0EEENS1_30default_config_static_selectorELNS0_4arch9wavefront6targetE0EEEvT1_.num_agpr, 0
	.set _ZN7rocprim17ROCPRIM_400000_NS6detail17trampoline_kernelINS0_14default_configENS1_27scan_by_key_config_selectorIxxEEZZNS1_16scan_by_key_implILNS1_25lookback_scan_determinismE0ELb0ES3_N6thrust23THRUST_200600_302600_NS6detail15normal_iteratorINS9_10device_ptrIxEEEESE_SE_xNS9_4plusIvEENS9_8equal_toIxEExEE10hipError_tPvRmT2_T3_T4_T5_mT6_T7_P12ihipStream_tbENKUlT_T0_E_clISt17integral_constantIbLb1EESZ_EEDaSU_SV_EUlSU_E_NS1_11comp_targetILNS1_3genE0ELNS1_11target_archE4294967295ELNS1_3gpuE0ELNS1_3repE0EEENS1_30default_config_static_selectorELNS0_4arch9wavefront6targetE0EEEvT1_.numbered_sgpr, 0
	.set _ZN7rocprim17ROCPRIM_400000_NS6detail17trampoline_kernelINS0_14default_configENS1_27scan_by_key_config_selectorIxxEEZZNS1_16scan_by_key_implILNS1_25lookback_scan_determinismE0ELb0ES3_N6thrust23THRUST_200600_302600_NS6detail15normal_iteratorINS9_10device_ptrIxEEEESE_SE_xNS9_4plusIvEENS9_8equal_toIxEExEE10hipError_tPvRmT2_T3_T4_T5_mT6_T7_P12ihipStream_tbENKUlT_T0_E_clISt17integral_constantIbLb1EESZ_EEDaSU_SV_EUlSU_E_NS1_11comp_targetILNS1_3genE0ELNS1_11target_archE4294967295ELNS1_3gpuE0ELNS1_3repE0EEENS1_30default_config_static_selectorELNS0_4arch9wavefront6targetE0EEEvT1_.num_named_barrier, 0
	.set _ZN7rocprim17ROCPRIM_400000_NS6detail17trampoline_kernelINS0_14default_configENS1_27scan_by_key_config_selectorIxxEEZZNS1_16scan_by_key_implILNS1_25lookback_scan_determinismE0ELb0ES3_N6thrust23THRUST_200600_302600_NS6detail15normal_iteratorINS9_10device_ptrIxEEEESE_SE_xNS9_4plusIvEENS9_8equal_toIxEExEE10hipError_tPvRmT2_T3_T4_T5_mT6_T7_P12ihipStream_tbENKUlT_T0_E_clISt17integral_constantIbLb1EESZ_EEDaSU_SV_EUlSU_E_NS1_11comp_targetILNS1_3genE0ELNS1_11target_archE4294967295ELNS1_3gpuE0ELNS1_3repE0EEENS1_30default_config_static_selectorELNS0_4arch9wavefront6targetE0EEEvT1_.private_seg_size, 0
	.set _ZN7rocprim17ROCPRIM_400000_NS6detail17trampoline_kernelINS0_14default_configENS1_27scan_by_key_config_selectorIxxEEZZNS1_16scan_by_key_implILNS1_25lookback_scan_determinismE0ELb0ES3_N6thrust23THRUST_200600_302600_NS6detail15normal_iteratorINS9_10device_ptrIxEEEESE_SE_xNS9_4plusIvEENS9_8equal_toIxEExEE10hipError_tPvRmT2_T3_T4_T5_mT6_T7_P12ihipStream_tbENKUlT_T0_E_clISt17integral_constantIbLb1EESZ_EEDaSU_SV_EUlSU_E_NS1_11comp_targetILNS1_3genE0ELNS1_11target_archE4294967295ELNS1_3gpuE0ELNS1_3repE0EEENS1_30default_config_static_selectorELNS0_4arch9wavefront6targetE0EEEvT1_.uses_vcc, 0
	.set _ZN7rocprim17ROCPRIM_400000_NS6detail17trampoline_kernelINS0_14default_configENS1_27scan_by_key_config_selectorIxxEEZZNS1_16scan_by_key_implILNS1_25lookback_scan_determinismE0ELb0ES3_N6thrust23THRUST_200600_302600_NS6detail15normal_iteratorINS9_10device_ptrIxEEEESE_SE_xNS9_4plusIvEENS9_8equal_toIxEExEE10hipError_tPvRmT2_T3_T4_T5_mT6_T7_P12ihipStream_tbENKUlT_T0_E_clISt17integral_constantIbLb1EESZ_EEDaSU_SV_EUlSU_E_NS1_11comp_targetILNS1_3genE0ELNS1_11target_archE4294967295ELNS1_3gpuE0ELNS1_3repE0EEENS1_30default_config_static_selectorELNS0_4arch9wavefront6targetE0EEEvT1_.uses_flat_scratch, 0
	.set _ZN7rocprim17ROCPRIM_400000_NS6detail17trampoline_kernelINS0_14default_configENS1_27scan_by_key_config_selectorIxxEEZZNS1_16scan_by_key_implILNS1_25lookback_scan_determinismE0ELb0ES3_N6thrust23THRUST_200600_302600_NS6detail15normal_iteratorINS9_10device_ptrIxEEEESE_SE_xNS9_4plusIvEENS9_8equal_toIxEExEE10hipError_tPvRmT2_T3_T4_T5_mT6_T7_P12ihipStream_tbENKUlT_T0_E_clISt17integral_constantIbLb1EESZ_EEDaSU_SV_EUlSU_E_NS1_11comp_targetILNS1_3genE0ELNS1_11target_archE4294967295ELNS1_3gpuE0ELNS1_3repE0EEENS1_30default_config_static_selectorELNS0_4arch9wavefront6targetE0EEEvT1_.has_dyn_sized_stack, 0
	.set _ZN7rocprim17ROCPRIM_400000_NS6detail17trampoline_kernelINS0_14default_configENS1_27scan_by_key_config_selectorIxxEEZZNS1_16scan_by_key_implILNS1_25lookback_scan_determinismE0ELb0ES3_N6thrust23THRUST_200600_302600_NS6detail15normal_iteratorINS9_10device_ptrIxEEEESE_SE_xNS9_4plusIvEENS9_8equal_toIxEExEE10hipError_tPvRmT2_T3_T4_T5_mT6_T7_P12ihipStream_tbENKUlT_T0_E_clISt17integral_constantIbLb1EESZ_EEDaSU_SV_EUlSU_E_NS1_11comp_targetILNS1_3genE0ELNS1_11target_archE4294967295ELNS1_3gpuE0ELNS1_3repE0EEENS1_30default_config_static_selectorELNS0_4arch9wavefront6targetE0EEEvT1_.has_recursion, 0
	.set _ZN7rocprim17ROCPRIM_400000_NS6detail17trampoline_kernelINS0_14default_configENS1_27scan_by_key_config_selectorIxxEEZZNS1_16scan_by_key_implILNS1_25lookback_scan_determinismE0ELb0ES3_N6thrust23THRUST_200600_302600_NS6detail15normal_iteratorINS9_10device_ptrIxEEEESE_SE_xNS9_4plusIvEENS9_8equal_toIxEExEE10hipError_tPvRmT2_T3_T4_T5_mT6_T7_P12ihipStream_tbENKUlT_T0_E_clISt17integral_constantIbLb1EESZ_EEDaSU_SV_EUlSU_E_NS1_11comp_targetILNS1_3genE0ELNS1_11target_archE4294967295ELNS1_3gpuE0ELNS1_3repE0EEENS1_30default_config_static_selectorELNS0_4arch9wavefront6targetE0EEEvT1_.has_indirect_call, 0
	.section	.AMDGPU.csdata,"",@progbits
; Kernel info:
; codeLenInByte = 0
; TotalNumSgprs: 0
; NumVgprs: 0
; ScratchSize: 0
; MemoryBound: 0
; FloatMode: 240
; IeeeMode: 1
; LDSByteSize: 0 bytes/workgroup (compile time only)
; SGPRBlocks: 0
; VGPRBlocks: 0
; NumSGPRsForWavesPerEU: 1
; NumVGPRsForWavesPerEU: 1
; Occupancy: 16
; WaveLimiterHint : 0
; COMPUTE_PGM_RSRC2:SCRATCH_EN: 0
; COMPUTE_PGM_RSRC2:USER_SGPR: 6
; COMPUTE_PGM_RSRC2:TRAP_HANDLER: 0
; COMPUTE_PGM_RSRC2:TGID_X_EN: 1
; COMPUTE_PGM_RSRC2:TGID_Y_EN: 0
; COMPUTE_PGM_RSRC2:TGID_Z_EN: 0
; COMPUTE_PGM_RSRC2:TIDIG_COMP_CNT: 0
	.section	.text._ZN7rocprim17ROCPRIM_400000_NS6detail17trampoline_kernelINS0_14default_configENS1_27scan_by_key_config_selectorIxxEEZZNS1_16scan_by_key_implILNS1_25lookback_scan_determinismE0ELb0ES3_N6thrust23THRUST_200600_302600_NS6detail15normal_iteratorINS9_10device_ptrIxEEEESE_SE_xNS9_4plusIvEENS9_8equal_toIxEExEE10hipError_tPvRmT2_T3_T4_T5_mT6_T7_P12ihipStream_tbENKUlT_T0_E_clISt17integral_constantIbLb1EESZ_EEDaSU_SV_EUlSU_E_NS1_11comp_targetILNS1_3genE10ELNS1_11target_archE1201ELNS1_3gpuE5ELNS1_3repE0EEENS1_30default_config_static_selectorELNS0_4arch9wavefront6targetE0EEEvT1_,"axG",@progbits,_ZN7rocprim17ROCPRIM_400000_NS6detail17trampoline_kernelINS0_14default_configENS1_27scan_by_key_config_selectorIxxEEZZNS1_16scan_by_key_implILNS1_25lookback_scan_determinismE0ELb0ES3_N6thrust23THRUST_200600_302600_NS6detail15normal_iteratorINS9_10device_ptrIxEEEESE_SE_xNS9_4plusIvEENS9_8equal_toIxEExEE10hipError_tPvRmT2_T3_T4_T5_mT6_T7_P12ihipStream_tbENKUlT_T0_E_clISt17integral_constantIbLb1EESZ_EEDaSU_SV_EUlSU_E_NS1_11comp_targetILNS1_3genE10ELNS1_11target_archE1201ELNS1_3gpuE5ELNS1_3repE0EEENS1_30default_config_static_selectorELNS0_4arch9wavefront6targetE0EEEvT1_,comdat
	.protected	_ZN7rocprim17ROCPRIM_400000_NS6detail17trampoline_kernelINS0_14default_configENS1_27scan_by_key_config_selectorIxxEEZZNS1_16scan_by_key_implILNS1_25lookback_scan_determinismE0ELb0ES3_N6thrust23THRUST_200600_302600_NS6detail15normal_iteratorINS9_10device_ptrIxEEEESE_SE_xNS9_4plusIvEENS9_8equal_toIxEExEE10hipError_tPvRmT2_T3_T4_T5_mT6_T7_P12ihipStream_tbENKUlT_T0_E_clISt17integral_constantIbLb1EESZ_EEDaSU_SV_EUlSU_E_NS1_11comp_targetILNS1_3genE10ELNS1_11target_archE1201ELNS1_3gpuE5ELNS1_3repE0EEENS1_30default_config_static_selectorELNS0_4arch9wavefront6targetE0EEEvT1_ ; -- Begin function _ZN7rocprim17ROCPRIM_400000_NS6detail17trampoline_kernelINS0_14default_configENS1_27scan_by_key_config_selectorIxxEEZZNS1_16scan_by_key_implILNS1_25lookback_scan_determinismE0ELb0ES3_N6thrust23THRUST_200600_302600_NS6detail15normal_iteratorINS9_10device_ptrIxEEEESE_SE_xNS9_4plusIvEENS9_8equal_toIxEExEE10hipError_tPvRmT2_T3_T4_T5_mT6_T7_P12ihipStream_tbENKUlT_T0_E_clISt17integral_constantIbLb1EESZ_EEDaSU_SV_EUlSU_E_NS1_11comp_targetILNS1_3genE10ELNS1_11target_archE1201ELNS1_3gpuE5ELNS1_3repE0EEENS1_30default_config_static_selectorELNS0_4arch9wavefront6targetE0EEEvT1_
	.globl	_ZN7rocprim17ROCPRIM_400000_NS6detail17trampoline_kernelINS0_14default_configENS1_27scan_by_key_config_selectorIxxEEZZNS1_16scan_by_key_implILNS1_25lookback_scan_determinismE0ELb0ES3_N6thrust23THRUST_200600_302600_NS6detail15normal_iteratorINS9_10device_ptrIxEEEESE_SE_xNS9_4plusIvEENS9_8equal_toIxEExEE10hipError_tPvRmT2_T3_T4_T5_mT6_T7_P12ihipStream_tbENKUlT_T0_E_clISt17integral_constantIbLb1EESZ_EEDaSU_SV_EUlSU_E_NS1_11comp_targetILNS1_3genE10ELNS1_11target_archE1201ELNS1_3gpuE5ELNS1_3repE0EEENS1_30default_config_static_selectorELNS0_4arch9wavefront6targetE0EEEvT1_
	.p2align	8
	.type	_ZN7rocprim17ROCPRIM_400000_NS6detail17trampoline_kernelINS0_14default_configENS1_27scan_by_key_config_selectorIxxEEZZNS1_16scan_by_key_implILNS1_25lookback_scan_determinismE0ELb0ES3_N6thrust23THRUST_200600_302600_NS6detail15normal_iteratorINS9_10device_ptrIxEEEESE_SE_xNS9_4plusIvEENS9_8equal_toIxEExEE10hipError_tPvRmT2_T3_T4_T5_mT6_T7_P12ihipStream_tbENKUlT_T0_E_clISt17integral_constantIbLb1EESZ_EEDaSU_SV_EUlSU_E_NS1_11comp_targetILNS1_3genE10ELNS1_11target_archE1201ELNS1_3gpuE5ELNS1_3repE0EEENS1_30default_config_static_selectorELNS0_4arch9wavefront6targetE0EEEvT1_,@function
_ZN7rocprim17ROCPRIM_400000_NS6detail17trampoline_kernelINS0_14default_configENS1_27scan_by_key_config_selectorIxxEEZZNS1_16scan_by_key_implILNS1_25lookback_scan_determinismE0ELb0ES3_N6thrust23THRUST_200600_302600_NS6detail15normal_iteratorINS9_10device_ptrIxEEEESE_SE_xNS9_4plusIvEENS9_8equal_toIxEExEE10hipError_tPvRmT2_T3_T4_T5_mT6_T7_P12ihipStream_tbENKUlT_T0_E_clISt17integral_constantIbLb1EESZ_EEDaSU_SV_EUlSU_E_NS1_11comp_targetILNS1_3genE10ELNS1_11target_archE1201ELNS1_3gpuE5ELNS1_3repE0EEENS1_30default_config_static_selectorELNS0_4arch9wavefront6targetE0EEEvT1_: ; @_ZN7rocprim17ROCPRIM_400000_NS6detail17trampoline_kernelINS0_14default_configENS1_27scan_by_key_config_selectorIxxEEZZNS1_16scan_by_key_implILNS1_25lookback_scan_determinismE0ELb0ES3_N6thrust23THRUST_200600_302600_NS6detail15normal_iteratorINS9_10device_ptrIxEEEESE_SE_xNS9_4plusIvEENS9_8equal_toIxEExEE10hipError_tPvRmT2_T3_T4_T5_mT6_T7_P12ihipStream_tbENKUlT_T0_E_clISt17integral_constantIbLb1EESZ_EEDaSU_SV_EUlSU_E_NS1_11comp_targetILNS1_3genE10ELNS1_11target_archE1201ELNS1_3gpuE5ELNS1_3repE0EEENS1_30default_config_static_selectorELNS0_4arch9wavefront6targetE0EEEvT1_
; %bb.0:
	.section	.rodata,"a",@progbits
	.p2align	6, 0x0
	.amdhsa_kernel _ZN7rocprim17ROCPRIM_400000_NS6detail17trampoline_kernelINS0_14default_configENS1_27scan_by_key_config_selectorIxxEEZZNS1_16scan_by_key_implILNS1_25lookback_scan_determinismE0ELb0ES3_N6thrust23THRUST_200600_302600_NS6detail15normal_iteratorINS9_10device_ptrIxEEEESE_SE_xNS9_4plusIvEENS9_8equal_toIxEExEE10hipError_tPvRmT2_T3_T4_T5_mT6_T7_P12ihipStream_tbENKUlT_T0_E_clISt17integral_constantIbLb1EESZ_EEDaSU_SV_EUlSU_E_NS1_11comp_targetILNS1_3genE10ELNS1_11target_archE1201ELNS1_3gpuE5ELNS1_3repE0EEENS1_30default_config_static_selectorELNS0_4arch9wavefront6targetE0EEEvT1_
		.amdhsa_group_segment_fixed_size 0
		.amdhsa_private_segment_fixed_size 0
		.amdhsa_kernarg_size 136
		.amdhsa_user_sgpr_count 6
		.amdhsa_user_sgpr_private_segment_buffer 1
		.amdhsa_user_sgpr_dispatch_ptr 0
		.amdhsa_user_sgpr_queue_ptr 0
		.amdhsa_user_sgpr_kernarg_segment_ptr 1
		.amdhsa_user_sgpr_dispatch_id 0
		.amdhsa_user_sgpr_flat_scratch_init 0
		.amdhsa_user_sgpr_private_segment_size 0
		.amdhsa_wavefront_size32 1
		.amdhsa_uses_dynamic_stack 0
		.amdhsa_system_sgpr_private_segment_wavefront_offset 0
		.amdhsa_system_sgpr_workgroup_id_x 1
		.amdhsa_system_sgpr_workgroup_id_y 0
		.amdhsa_system_sgpr_workgroup_id_z 0
		.amdhsa_system_sgpr_workgroup_info 0
		.amdhsa_system_vgpr_workitem_id 0
		.amdhsa_next_free_vgpr 1
		.amdhsa_next_free_sgpr 1
		.amdhsa_reserve_vcc 0
		.amdhsa_reserve_flat_scratch 0
		.amdhsa_float_round_mode_32 0
		.amdhsa_float_round_mode_16_64 0
		.amdhsa_float_denorm_mode_32 3
		.amdhsa_float_denorm_mode_16_64 3
		.amdhsa_dx10_clamp 1
		.amdhsa_ieee_mode 1
		.amdhsa_fp16_overflow 0
		.amdhsa_workgroup_processor_mode 1
		.amdhsa_memory_ordered 1
		.amdhsa_forward_progress 1
		.amdhsa_shared_vgpr_count 0
		.amdhsa_exception_fp_ieee_invalid_op 0
		.amdhsa_exception_fp_denorm_src 0
		.amdhsa_exception_fp_ieee_div_zero 0
		.amdhsa_exception_fp_ieee_overflow 0
		.amdhsa_exception_fp_ieee_underflow 0
		.amdhsa_exception_fp_ieee_inexact 0
		.amdhsa_exception_int_div_zero 0
	.end_amdhsa_kernel
	.section	.text._ZN7rocprim17ROCPRIM_400000_NS6detail17trampoline_kernelINS0_14default_configENS1_27scan_by_key_config_selectorIxxEEZZNS1_16scan_by_key_implILNS1_25lookback_scan_determinismE0ELb0ES3_N6thrust23THRUST_200600_302600_NS6detail15normal_iteratorINS9_10device_ptrIxEEEESE_SE_xNS9_4plusIvEENS9_8equal_toIxEExEE10hipError_tPvRmT2_T3_T4_T5_mT6_T7_P12ihipStream_tbENKUlT_T0_E_clISt17integral_constantIbLb1EESZ_EEDaSU_SV_EUlSU_E_NS1_11comp_targetILNS1_3genE10ELNS1_11target_archE1201ELNS1_3gpuE5ELNS1_3repE0EEENS1_30default_config_static_selectorELNS0_4arch9wavefront6targetE0EEEvT1_,"axG",@progbits,_ZN7rocprim17ROCPRIM_400000_NS6detail17trampoline_kernelINS0_14default_configENS1_27scan_by_key_config_selectorIxxEEZZNS1_16scan_by_key_implILNS1_25lookback_scan_determinismE0ELb0ES3_N6thrust23THRUST_200600_302600_NS6detail15normal_iteratorINS9_10device_ptrIxEEEESE_SE_xNS9_4plusIvEENS9_8equal_toIxEExEE10hipError_tPvRmT2_T3_T4_T5_mT6_T7_P12ihipStream_tbENKUlT_T0_E_clISt17integral_constantIbLb1EESZ_EEDaSU_SV_EUlSU_E_NS1_11comp_targetILNS1_3genE10ELNS1_11target_archE1201ELNS1_3gpuE5ELNS1_3repE0EEENS1_30default_config_static_selectorELNS0_4arch9wavefront6targetE0EEEvT1_,comdat
.Lfunc_end93:
	.size	_ZN7rocprim17ROCPRIM_400000_NS6detail17trampoline_kernelINS0_14default_configENS1_27scan_by_key_config_selectorIxxEEZZNS1_16scan_by_key_implILNS1_25lookback_scan_determinismE0ELb0ES3_N6thrust23THRUST_200600_302600_NS6detail15normal_iteratorINS9_10device_ptrIxEEEESE_SE_xNS9_4plusIvEENS9_8equal_toIxEExEE10hipError_tPvRmT2_T3_T4_T5_mT6_T7_P12ihipStream_tbENKUlT_T0_E_clISt17integral_constantIbLb1EESZ_EEDaSU_SV_EUlSU_E_NS1_11comp_targetILNS1_3genE10ELNS1_11target_archE1201ELNS1_3gpuE5ELNS1_3repE0EEENS1_30default_config_static_selectorELNS0_4arch9wavefront6targetE0EEEvT1_, .Lfunc_end93-_ZN7rocprim17ROCPRIM_400000_NS6detail17trampoline_kernelINS0_14default_configENS1_27scan_by_key_config_selectorIxxEEZZNS1_16scan_by_key_implILNS1_25lookback_scan_determinismE0ELb0ES3_N6thrust23THRUST_200600_302600_NS6detail15normal_iteratorINS9_10device_ptrIxEEEESE_SE_xNS9_4plusIvEENS9_8equal_toIxEExEE10hipError_tPvRmT2_T3_T4_T5_mT6_T7_P12ihipStream_tbENKUlT_T0_E_clISt17integral_constantIbLb1EESZ_EEDaSU_SV_EUlSU_E_NS1_11comp_targetILNS1_3genE10ELNS1_11target_archE1201ELNS1_3gpuE5ELNS1_3repE0EEENS1_30default_config_static_selectorELNS0_4arch9wavefront6targetE0EEEvT1_
                                        ; -- End function
	.set _ZN7rocprim17ROCPRIM_400000_NS6detail17trampoline_kernelINS0_14default_configENS1_27scan_by_key_config_selectorIxxEEZZNS1_16scan_by_key_implILNS1_25lookback_scan_determinismE0ELb0ES3_N6thrust23THRUST_200600_302600_NS6detail15normal_iteratorINS9_10device_ptrIxEEEESE_SE_xNS9_4plusIvEENS9_8equal_toIxEExEE10hipError_tPvRmT2_T3_T4_T5_mT6_T7_P12ihipStream_tbENKUlT_T0_E_clISt17integral_constantIbLb1EESZ_EEDaSU_SV_EUlSU_E_NS1_11comp_targetILNS1_3genE10ELNS1_11target_archE1201ELNS1_3gpuE5ELNS1_3repE0EEENS1_30default_config_static_selectorELNS0_4arch9wavefront6targetE0EEEvT1_.num_vgpr, 0
	.set _ZN7rocprim17ROCPRIM_400000_NS6detail17trampoline_kernelINS0_14default_configENS1_27scan_by_key_config_selectorIxxEEZZNS1_16scan_by_key_implILNS1_25lookback_scan_determinismE0ELb0ES3_N6thrust23THRUST_200600_302600_NS6detail15normal_iteratorINS9_10device_ptrIxEEEESE_SE_xNS9_4plusIvEENS9_8equal_toIxEExEE10hipError_tPvRmT2_T3_T4_T5_mT6_T7_P12ihipStream_tbENKUlT_T0_E_clISt17integral_constantIbLb1EESZ_EEDaSU_SV_EUlSU_E_NS1_11comp_targetILNS1_3genE10ELNS1_11target_archE1201ELNS1_3gpuE5ELNS1_3repE0EEENS1_30default_config_static_selectorELNS0_4arch9wavefront6targetE0EEEvT1_.num_agpr, 0
	.set _ZN7rocprim17ROCPRIM_400000_NS6detail17trampoline_kernelINS0_14default_configENS1_27scan_by_key_config_selectorIxxEEZZNS1_16scan_by_key_implILNS1_25lookback_scan_determinismE0ELb0ES3_N6thrust23THRUST_200600_302600_NS6detail15normal_iteratorINS9_10device_ptrIxEEEESE_SE_xNS9_4plusIvEENS9_8equal_toIxEExEE10hipError_tPvRmT2_T3_T4_T5_mT6_T7_P12ihipStream_tbENKUlT_T0_E_clISt17integral_constantIbLb1EESZ_EEDaSU_SV_EUlSU_E_NS1_11comp_targetILNS1_3genE10ELNS1_11target_archE1201ELNS1_3gpuE5ELNS1_3repE0EEENS1_30default_config_static_selectorELNS0_4arch9wavefront6targetE0EEEvT1_.numbered_sgpr, 0
	.set _ZN7rocprim17ROCPRIM_400000_NS6detail17trampoline_kernelINS0_14default_configENS1_27scan_by_key_config_selectorIxxEEZZNS1_16scan_by_key_implILNS1_25lookback_scan_determinismE0ELb0ES3_N6thrust23THRUST_200600_302600_NS6detail15normal_iteratorINS9_10device_ptrIxEEEESE_SE_xNS9_4plusIvEENS9_8equal_toIxEExEE10hipError_tPvRmT2_T3_T4_T5_mT6_T7_P12ihipStream_tbENKUlT_T0_E_clISt17integral_constantIbLb1EESZ_EEDaSU_SV_EUlSU_E_NS1_11comp_targetILNS1_3genE10ELNS1_11target_archE1201ELNS1_3gpuE5ELNS1_3repE0EEENS1_30default_config_static_selectorELNS0_4arch9wavefront6targetE0EEEvT1_.num_named_barrier, 0
	.set _ZN7rocprim17ROCPRIM_400000_NS6detail17trampoline_kernelINS0_14default_configENS1_27scan_by_key_config_selectorIxxEEZZNS1_16scan_by_key_implILNS1_25lookback_scan_determinismE0ELb0ES3_N6thrust23THRUST_200600_302600_NS6detail15normal_iteratorINS9_10device_ptrIxEEEESE_SE_xNS9_4plusIvEENS9_8equal_toIxEExEE10hipError_tPvRmT2_T3_T4_T5_mT6_T7_P12ihipStream_tbENKUlT_T0_E_clISt17integral_constantIbLb1EESZ_EEDaSU_SV_EUlSU_E_NS1_11comp_targetILNS1_3genE10ELNS1_11target_archE1201ELNS1_3gpuE5ELNS1_3repE0EEENS1_30default_config_static_selectorELNS0_4arch9wavefront6targetE0EEEvT1_.private_seg_size, 0
	.set _ZN7rocprim17ROCPRIM_400000_NS6detail17trampoline_kernelINS0_14default_configENS1_27scan_by_key_config_selectorIxxEEZZNS1_16scan_by_key_implILNS1_25lookback_scan_determinismE0ELb0ES3_N6thrust23THRUST_200600_302600_NS6detail15normal_iteratorINS9_10device_ptrIxEEEESE_SE_xNS9_4plusIvEENS9_8equal_toIxEExEE10hipError_tPvRmT2_T3_T4_T5_mT6_T7_P12ihipStream_tbENKUlT_T0_E_clISt17integral_constantIbLb1EESZ_EEDaSU_SV_EUlSU_E_NS1_11comp_targetILNS1_3genE10ELNS1_11target_archE1201ELNS1_3gpuE5ELNS1_3repE0EEENS1_30default_config_static_selectorELNS0_4arch9wavefront6targetE0EEEvT1_.uses_vcc, 0
	.set _ZN7rocprim17ROCPRIM_400000_NS6detail17trampoline_kernelINS0_14default_configENS1_27scan_by_key_config_selectorIxxEEZZNS1_16scan_by_key_implILNS1_25lookback_scan_determinismE0ELb0ES3_N6thrust23THRUST_200600_302600_NS6detail15normal_iteratorINS9_10device_ptrIxEEEESE_SE_xNS9_4plusIvEENS9_8equal_toIxEExEE10hipError_tPvRmT2_T3_T4_T5_mT6_T7_P12ihipStream_tbENKUlT_T0_E_clISt17integral_constantIbLb1EESZ_EEDaSU_SV_EUlSU_E_NS1_11comp_targetILNS1_3genE10ELNS1_11target_archE1201ELNS1_3gpuE5ELNS1_3repE0EEENS1_30default_config_static_selectorELNS0_4arch9wavefront6targetE0EEEvT1_.uses_flat_scratch, 0
	.set _ZN7rocprim17ROCPRIM_400000_NS6detail17trampoline_kernelINS0_14default_configENS1_27scan_by_key_config_selectorIxxEEZZNS1_16scan_by_key_implILNS1_25lookback_scan_determinismE0ELb0ES3_N6thrust23THRUST_200600_302600_NS6detail15normal_iteratorINS9_10device_ptrIxEEEESE_SE_xNS9_4plusIvEENS9_8equal_toIxEExEE10hipError_tPvRmT2_T3_T4_T5_mT6_T7_P12ihipStream_tbENKUlT_T0_E_clISt17integral_constantIbLb1EESZ_EEDaSU_SV_EUlSU_E_NS1_11comp_targetILNS1_3genE10ELNS1_11target_archE1201ELNS1_3gpuE5ELNS1_3repE0EEENS1_30default_config_static_selectorELNS0_4arch9wavefront6targetE0EEEvT1_.has_dyn_sized_stack, 0
	.set _ZN7rocprim17ROCPRIM_400000_NS6detail17trampoline_kernelINS0_14default_configENS1_27scan_by_key_config_selectorIxxEEZZNS1_16scan_by_key_implILNS1_25lookback_scan_determinismE0ELb0ES3_N6thrust23THRUST_200600_302600_NS6detail15normal_iteratorINS9_10device_ptrIxEEEESE_SE_xNS9_4plusIvEENS9_8equal_toIxEExEE10hipError_tPvRmT2_T3_T4_T5_mT6_T7_P12ihipStream_tbENKUlT_T0_E_clISt17integral_constantIbLb1EESZ_EEDaSU_SV_EUlSU_E_NS1_11comp_targetILNS1_3genE10ELNS1_11target_archE1201ELNS1_3gpuE5ELNS1_3repE0EEENS1_30default_config_static_selectorELNS0_4arch9wavefront6targetE0EEEvT1_.has_recursion, 0
	.set _ZN7rocprim17ROCPRIM_400000_NS6detail17trampoline_kernelINS0_14default_configENS1_27scan_by_key_config_selectorIxxEEZZNS1_16scan_by_key_implILNS1_25lookback_scan_determinismE0ELb0ES3_N6thrust23THRUST_200600_302600_NS6detail15normal_iteratorINS9_10device_ptrIxEEEESE_SE_xNS9_4plusIvEENS9_8equal_toIxEExEE10hipError_tPvRmT2_T3_T4_T5_mT6_T7_P12ihipStream_tbENKUlT_T0_E_clISt17integral_constantIbLb1EESZ_EEDaSU_SV_EUlSU_E_NS1_11comp_targetILNS1_3genE10ELNS1_11target_archE1201ELNS1_3gpuE5ELNS1_3repE0EEENS1_30default_config_static_selectorELNS0_4arch9wavefront6targetE0EEEvT1_.has_indirect_call, 0
	.section	.AMDGPU.csdata,"",@progbits
; Kernel info:
; codeLenInByte = 0
; TotalNumSgprs: 0
; NumVgprs: 0
; ScratchSize: 0
; MemoryBound: 0
; FloatMode: 240
; IeeeMode: 1
; LDSByteSize: 0 bytes/workgroup (compile time only)
; SGPRBlocks: 0
; VGPRBlocks: 0
; NumSGPRsForWavesPerEU: 1
; NumVGPRsForWavesPerEU: 1
; Occupancy: 16
; WaveLimiterHint : 0
; COMPUTE_PGM_RSRC2:SCRATCH_EN: 0
; COMPUTE_PGM_RSRC2:USER_SGPR: 6
; COMPUTE_PGM_RSRC2:TRAP_HANDLER: 0
; COMPUTE_PGM_RSRC2:TGID_X_EN: 1
; COMPUTE_PGM_RSRC2:TGID_Y_EN: 0
; COMPUTE_PGM_RSRC2:TGID_Z_EN: 0
; COMPUTE_PGM_RSRC2:TIDIG_COMP_CNT: 0
	.section	.text._ZN7rocprim17ROCPRIM_400000_NS6detail17trampoline_kernelINS0_14default_configENS1_27scan_by_key_config_selectorIxxEEZZNS1_16scan_by_key_implILNS1_25lookback_scan_determinismE0ELb0ES3_N6thrust23THRUST_200600_302600_NS6detail15normal_iteratorINS9_10device_ptrIxEEEESE_SE_xNS9_4plusIvEENS9_8equal_toIxEExEE10hipError_tPvRmT2_T3_T4_T5_mT6_T7_P12ihipStream_tbENKUlT_T0_E_clISt17integral_constantIbLb1EESZ_EEDaSU_SV_EUlSU_E_NS1_11comp_targetILNS1_3genE5ELNS1_11target_archE942ELNS1_3gpuE9ELNS1_3repE0EEENS1_30default_config_static_selectorELNS0_4arch9wavefront6targetE0EEEvT1_,"axG",@progbits,_ZN7rocprim17ROCPRIM_400000_NS6detail17trampoline_kernelINS0_14default_configENS1_27scan_by_key_config_selectorIxxEEZZNS1_16scan_by_key_implILNS1_25lookback_scan_determinismE0ELb0ES3_N6thrust23THRUST_200600_302600_NS6detail15normal_iteratorINS9_10device_ptrIxEEEESE_SE_xNS9_4plusIvEENS9_8equal_toIxEExEE10hipError_tPvRmT2_T3_T4_T5_mT6_T7_P12ihipStream_tbENKUlT_T0_E_clISt17integral_constantIbLb1EESZ_EEDaSU_SV_EUlSU_E_NS1_11comp_targetILNS1_3genE5ELNS1_11target_archE942ELNS1_3gpuE9ELNS1_3repE0EEENS1_30default_config_static_selectorELNS0_4arch9wavefront6targetE0EEEvT1_,comdat
	.protected	_ZN7rocprim17ROCPRIM_400000_NS6detail17trampoline_kernelINS0_14default_configENS1_27scan_by_key_config_selectorIxxEEZZNS1_16scan_by_key_implILNS1_25lookback_scan_determinismE0ELb0ES3_N6thrust23THRUST_200600_302600_NS6detail15normal_iteratorINS9_10device_ptrIxEEEESE_SE_xNS9_4plusIvEENS9_8equal_toIxEExEE10hipError_tPvRmT2_T3_T4_T5_mT6_T7_P12ihipStream_tbENKUlT_T0_E_clISt17integral_constantIbLb1EESZ_EEDaSU_SV_EUlSU_E_NS1_11comp_targetILNS1_3genE5ELNS1_11target_archE942ELNS1_3gpuE9ELNS1_3repE0EEENS1_30default_config_static_selectorELNS0_4arch9wavefront6targetE0EEEvT1_ ; -- Begin function _ZN7rocprim17ROCPRIM_400000_NS6detail17trampoline_kernelINS0_14default_configENS1_27scan_by_key_config_selectorIxxEEZZNS1_16scan_by_key_implILNS1_25lookback_scan_determinismE0ELb0ES3_N6thrust23THRUST_200600_302600_NS6detail15normal_iteratorINS9_10device_ptrIxEEEESE_SE_xNS9_4plusIvEENS9_8equal_toIxEExEE10hipError_tPvRmT2_T3_T4_T5_mT6_T7_P12ihipStream_tbENKUlT_T0_E_clISt17integral_constantIbLb1EESZ_EEDaSU_SV_EUlSU_E_NS1_11comp_targetILNS1_3genE5ELNS1_11target_archE942ELNS1_3gpuE9ELNS1_3repE0EEENS1_30default_config_static_selectorELNS0_4arch9wavefront6targetE0EEEvT1_
	.globl	_ZN7rocprim17ROCPRIM_400000_NS6detail17trampoline_kernelINS0_14default_configENS1_27scan_by_key_config_selectorIxxEEZZNS1_16scan_by_key_implILNS1_25lookback_scan_determinismE0ELb0ES3_N6thrust23THRUST_200600_302600_NS6detail15normal_iteratorINS9_10device_ptrIxEEEESE_SE_xNS9_4plusIvEENS9_8equal_toIxEExEE10hipError_tPvRmT2_T3_T4_T5_mT6_T7_P12ihipStream_tbENKUlT_T0_E_clISt17integral_constantIbLb1EESZ_EEDaSU_SV_EUlSU_E_NS1_11comp_targetILNS1_3genE5ELNS1_11target_archE942ELNS1_3gpuE9ELNS1_3repE0EEENS1_30default_config_static_selectorELNS0_4arch9wavefront6targetE0EEEvT1_
	.p2align	8
	.type	_ZN7rocprim17ROCPRIM_400000_NS6detail17trampoline_kernelINS0_14default_configENS1_27scan_by_key_config_selectorIxxEEZZNS1_16scan_by_key_implILNS1_25lookback_scan_determinismE0ELb0ES3_N6thrust23THRUST_200600_302600_NS6detail15normal_iteratorINS9_10device_ptrIxEEEESE_SE_xNS9_4plusIvEENS9_8equal_toIxEExEE10hipError_tPvRmT2_T3_T4_T5_mT6_T7_P12ihipStream_tbENKUlT_T0_E_clISt17integral_constantIbLb1EESZ_EEDaSU_SV_EUlSU_E_NS1_11comp_targetILNS1_3genE5ELNS1_11target_archE942ELNS1_3gpuE9ELNS1_3repE0EEENS1_30default_config_static_selectorELNS0_4arch9wavefront6targetE0EEEvT1_,@function
_ZN7rocprim17ROCPRIM_400000_NS6detail17trampoline_kernelINS0_14default_configENS1_27scan_by_key_config_selectorIxxEEZZNS1_16scan_by_key_implILNS1_25lookback_scan_determinismE0ELb0ES3_N6thrust23THRUST_200600_302600_NS6detail15normal_iteratorINS9_10device_ptrIxEEEESE_SE_xNS9_4plusIvEENS9_8equal_toIxEExEE10hipError_tPvRmT2_T3_T4_T5_mT6_T7_P12ihipStream_tbENKUlT_T0_E_clISt17integral_constantIbLb1EESZ_EEDaSU_SV_EUlSU_E_NS1_11comp_targetILNS1_3genE5ELNS1_11target_archE942ELNS1_3gpuE9ELNS1_3repE0EEENS1_30default_config_static_selectorELNS0_4arch9wavefront6targetE0EEEvT1_: ; @_ZN7rocprim17ROCPRIM_400000_NS6detail17trampoline_kernelINS0_14default_configENS1_27scan_by_key_config_selectorIxxEEZZNS1_16scan_by_key_implILNS1_25lookback_scan_determinismE0ELb0ES3_N6thrust23THRUST_200600_302600_NS6detail15normal_iteratorINS9_10device_ptrIxEEEESE_SE_xNS9_4plusIvEENS9_8equal_toIxEExEE10hipError_tPvRmT2_T3_T4_T5_mT6_T7_P12ihipStream_tbENKUlT_T0_E_clISt17integral_constantIbLb1EESZ_EEDaSU_SV_EUlSU_E_NS1_11comp_targetILNS1_3genE5ELNS1_11target_archE942ELNS1_3gpuE9ELNS1_3repE0EEENS1_30default_config_static_selectorELNS0_4arch9wavefront6targetE0EEEvT1_
; %bb.0:
	.section	.rodata,"a",@progbits
	.p2align	6, 0x0
	.amdhsa_kernel _ZN7rocprim17ROCPRIM_400000_NS6detail17trampoline_kernelINS0_14default_configENS1_27scan_by_key_config_selectorIxxEEZZNS1_16scan_by_key_implILNS1_25lookback_scan_determinismE0ELb0ES3_N6thrust23THRUST_200600_302600_NS6detail15normal_iteratorINS9_10device_ptrIxEEEESE_SE_xNS9_4plusIvEENS9_8equal_toIxEExEE10hipError_tPvRmT2_T3_T4_T5_mT6_T7_P12ihipStream_tbENKUlT_T0_E_clISt17integral_constantIbLb1EESZ_EEDaSU_SV_EUlSU_E_NS1_11comp_targetILNS1_3genE5ELNS1_11target_archE942ELNS1_3gpuE9ELNS1_3repE0EEENS1_30default_config_static_selectorELNS0_4arch9wavefront6targetE0EEEvT1_
		.amdhsa_group_segment_fixed_size 0
		.amdhsa_private_segment_fixed_size 0
		.amdhsa_kernarg_size 136
		.amdhsa_user_sgpr_count 6
		.amdhsa_user_sgpr_private_segment_buffer 1
		.amdhsa_user_sgpr_dispatch_ptr 0
		.amdhsa_user_sgpr_queue_ptr 0
		.amdhsa_user_sgpr_kernarg_segment_ptr 1
		.amdhsa_user_sgpr_dispatch_id 0
		.amdhsa_user_sgpr_flat_scratch_init 0
		.amdhsa_user_sgpr_private_segment_size 0
		.amdhsa_wavefront_size32 1
		.amdhsa_uses_dynamic_stack 0
		.amdhsa_system_sgpr_private_segment_wavefront_offset 0
		.amdhsa_system_sgpr_workgroup_id_x 1
		.amdhsa_system_sgpr_workgroup_id_y 0
		.amdhsa_system_sgpr_workgroup_id_z 0
		.amdhsa_system_sgpr_workgroup_info 0
		.amdhsa_system_vgpr_workitem_id 0
		.amdhsa_next_free_vgpr 1
		.amdhsa_next_free_sgpr 1
		.amdhsa_reserve_vcc 0
		.amdhsa_reserve_flat_scratch 0
		.amdhsa_float_round_mode_32 0
		.amdhsa_float_round_mode_16_64 0
		.amdhsa_float_denorm_mode_32 3
		.amdhsa_float_denorm_mode_16_64 3
		.amdhsa_dx10_clamp 1
		.amdhsa_ieee_mode 1
		.amdhsa_fp16_overflow 0
		.amdhsa_workgroup_processor_mode 1
		.amdhsa_memory_ordered 1
		.amdhsa_forward_progress 1
		.amdhsa_shared_vgpr_count 0
		.amdhsa_exception_fp_ieee_invalid_op 0
		.amdhsa_exception_fp_denorm_src 0
		.amdhsa_exception_fp_ieee_div_zero 0
		.amdhsa_exception_fp_ieee_overflow 0
		.amdhsa_exception_fp_ieee_underflow 0
		.amdhsa_exception_fp_ieee_inexact 0
		.amdhsa_exception_int_div_zero 0
	.end_amdhsa_kernel
	.section	.text._ZN7rocprim17ROCPRIM_400000_NS6detail17trampoline_kernelINS0_14default_configENS1_27scan_by_key_config_selectorIxxEEZZNS1_16scan_by_key_implILNS1_25lookback_scan_determinismE0ELb0ES3_N6thrust23THRUST_200600_302600_NS6detail15normal_iteratorINS9_10device_ptrIxEEEESE_SE_xNS9_4plusIvEENS9_8equal_toIxEExEE10hipError_tPvRmT2_T3_T4_T5_mT6_T7_P12ihipStream_tbENKUlT_T0_E_clISt17integral_constantIbLb1EESZ_EEDaSU_SV_EUlSU_E_NS1_11comp_targetILNS1_3genE5ELNS1_11target_archE942ELNS1_3gpuE9ELNS1_3repE0EEENS1_30default_config_static_selectorELNS0_4arch9wavefront6targetE0EEEvT1_,"axG",@progbits,_ZN7rocprim17ROCPRIM_400000_NS6detail17trampoline_kernelINS0_14default_configENS1_27scan_by_key_config_selectorIxxEEZZNS1_16scan_by_key_implILNS1_25lookback_scan_determinismE0ELb0ES3_N6thrust23THRUST_200600_302600_NS6detail15normal_iteratorINS9_10device_ptrIxEEEESE_SE_xNS9_4plusIvEENS9_8equal_toIxEExEE10hipError_tPvRmT2_T3_T4_T5_mT6_T7_P12ihipStream_tbENKUlT_T0_E_clISt17integral_constantIbLb1EESZ_EEDaSU_SV_EUlSU_E_NS1_11comp_targetILNS1_3genE5ELNS1_11target_archE942ELNS1_3gpuE9ELNS1_3repE0EEENS1_30default_config_static_selectorELNS0_4arch9wavefront6targetE0EEEvT1_,comdat
.Lfunc_end94:
	.size	_ZN7rocprim17ROCPRIM_400000_NS6detail17trampoline_kernelINS0_14default_configENS1_27scan_by_key_config_selectorIxxEEZZNS1_16scan_by_key_implILNS1_25lookback_scan_determinismE0ELb0ES3_N6thrust23THRUST_200600_302600_NS6detail15normal_iteratorINS9_10device_ptrIxEEEESE_SE_xNS9_4plusIvEENS9_8equal_toIxEExEE10hipError_tPvRmT2_T3_T4_T5_mT6_T7_P12ihipStream_tbENKUlT_T0_E_clISt17integral_constantIbLb1EESZ_EEDaSU_SV_EUlSU_E_NS1_11comp_targetILNS1_3genE5ELNS1_11target_archE942ELNS1_3gpuE9ELNS1_3repE0EEENS1_30default_config_static_selectorELNS0_4arch9wavefront6targetE0EEEvT1_, .Lfunc_end94-_ZN7rocprim17ROCPRIM_400000_NS6detail17trampoline_kernelINS0_14default_configENS1_27scan_by_key_config_selectorIxxEEZZNS1_16scan_by_key_implILNS1_25lookback_scan_determinismE0ELb0ES3_N6thrust23THRUST_200600_302600_NS6detail15normal_iteratorINS9_10device_ptrIxEEEESE_SE_xNS9_4plusIvEENS9_8equal_toIxEExEE10hipError_tPvRmT2_T3_T4_T5_mT6_T7_P12ihipStream_tbENKUlT_T0_E_clISt17integral_constantIbLb1EESZ_EEDaSU_SV_EUlSU_E_NS1_11comp_targetILNS1_3genE5ELNS1_11target_archE942ELNS1_3gpuE9ELNS1_3repE0EEENS1_30default_config_static_selectorELNS0_4arch9wavefront6targetE0EEEvT1_
                                        ; -- End function
	.set _ZN7rocprim17ROCPRIM_400000_NS6detail17trampoline_kernelINS0_14default_configENS1_27scan_by_key_config_selectorIxxEEZZNS1_16scan_by_key_implILNS1_25lookback_scan_determinismE0ELb0ES3_N6thrust23THRUST_200600_302600_NS6detail15normal_iteratorINS9_10device_ptrIxEEEESE_SE_xNS9_4plusIvEENS9_8equal_toIxEExEE10hipError_tPvRmT2_T3_T4_T5_mT6_T7_P12ihipStream_tbENKUlT_T0_E_clISt17integral_constantIbLb1EESZ_EEDaSU_SV_EUlSU_E_NS1_11comp_targetILNS1_3genE5ELNS1_11target_archE942ELNS1_3gpuE9ELNS1_3repE0EEENS1_30default_config_static_selectorELNS0_4arch9wavefront6targetE0EEEvT1_.num_vgpr, 0
	.set _ZN7rocprim17ROCPRIM_400000_NS6detail17trampoline_kernelINS0_14default_configENS1_27scan_by_key_config_selectorIxxEEZZNS1_16scan_by_key_implILNS1_25lookback_scan_determinismE0ELb0ES3_N6thrust23THRUST_200600_302600_NS6detail15normal_iteratorINS9_10device_ptrIxEEEESE_SE_xNS9_4plusIvEENS9_8equal_toIxEExEE10hipError_tPvRmT2_T3_T4_T5_mT6_T7_P12ihipStream_tbENKUlT_T0_E_clISt17integral_constantIbLb1EESZ_EEDaSU_SV_EUlSU_E_NS1_11comp_targetILNS1_3genE5ELNS1_11target_archE942ELNS1_3gpuE9ELNS1_3repE0EEENS1_30default_config_static_selectorELNS0_4arch9wavefront6targetE0EEEvT1_.num_agpr, 0
	.set _ZN7rocprim17ROCPRIM_400000_NS6detail17trampoline_kernelINS0_14default_configENS1_27scan_by_key_config_selectorIxxEEZZNS1_16scan_by_key_implILNS1_25lookback_scan_determinismE0ELb0ES3_N6thrust23THRUST_200600_302600_NS6detail15normal_iteratorINS9_10device_ptrIxEEEESE_SE_xNS9_4plusIvEENS9_8equal_toIxEExEE10hipError_tPvRmT2_T3_T4_T5_mT6_T7_P12ihipStream_tbENKUlT_T0_E_clISt17integral_constantIbLb1EESZ_EEDaSU_SV_EUlSU_E_NS1_11comp_targetILNS1_3genE5ELNS1_11target_archE942ELNS1_3gpuE9ELNS1_3repE0EEENS1_30default_config_static_selectorELNS0_4arch9wavefront6targetE0EEEvT1_.numbered_sgpr, 0
	.set _ZN7rocprim17ROCPRIM_400000_NS6detail17trampoline_kernelINS0_14default_configENS1_27scan_by_key_config_selectorIxxEEZZNS1_16scan_by_key_implILNS1_25lookback_scan_determinismE0ELb0ES3_N6thrust23THRUST_200600_302600_NS6detail15normal_iteratorINS9_10device_ptrIxEEEESE_SE_xNS9_4plusIvEENS9_8equal_toIxEExEE10hipError_tPvRmT2_T3_T4_T5_mT6_T7_P12ihipStream_tbENKUlT_T0_E_clISt17integral_constantIbLb1EESZ_EEDaSU_SV_EUlSU_E_NS1_11comp_targetILNS1_3genE5ELNS1_11target_archE942ELNS1_3gpuE9ELNS1_3repE0EEENS1_30default_config_static_selectorELNS0_4arch9wavefront6targetE0EEEvT1_.num_named_barrier, 0
	.set _ZN7rocprim17ROCPRIM_400000_NS6detail17trampoline_kernelINS0_14default_configENS1_27scan_by_key_config_selectorIxxEEZZNS1_16scan_by_key_implILNS1_25lookback_scan_determinismE0ELb0ES3_N6thrust23THRUST_200600_302600_NS6detail15normal_iteratorINS9_10device_ptrIxEEEESE_SE_xNS9_4plusIvEENS9_8equal_toIxEExEE10hipError_tPvRmT2_T3_T4_T5_mT6_T7_P12ihipStream_tbENKUlT_T0_E_clISt17integral_constantIbLb1EESZ_EEDaSU_SV_EUlSU_E_NS1_11comp_targetILNS1_3genE5ELNS1_11target_archE942ELNS1_3gpuE9ELNS1_3repE0EEENS1_30default_config_static_selectorELNS0_4arch9wavefront6targetE0EEEvT1_.private_seg_size, 0
	.set _ZN7rocprim17ROCPRIM_400000_NS6detail17trampoline_kernelINS0_14default_configENS1_27scan_by_key_config_selectorIxxEEZZNS1_16scan_by_key_implILNS1_25lookback_scan_determinismE0ELb0ES3_N6thrust23THRUST_200600_302600_NS6detail15normal_iteratorINS9_10device_ptrIxEEEESE_SE_xNS9_4plusIvEENS9_8equal_toIxEExEE10hipError_tPvRmT2_T3_T4_T5_mT6_T7_P12ihipStream_tbENKUlT_T0_E_clISt17integral_constantIbLb1EESZ_EEDaSU_SV_EUlSU_E_NS1_11comp_targetILNS1_3genE5ELNS1_11target_archE942ELNS1_3gpuE9ELNS1_3repE0EEENS1_30default_config_static_selectorELNS0_4arch9wavefront6targetE0EEEvT1_.uses_vcc, 0
	.set _ZN7rocprim17ROCPRIM_400000_NS6detail17trampoline_kernelINS0_14default_configENS1_27scan_by_key_config_selectorIxxEEZZNS1_16scan_by_key_implILNS1_25lookback_scan_determinismE0ELb0ES3_N6thrust23THRUST_200600_302600_NS6detail15normal_iteratorINS9_10device_ptrIxEEEESE_SE_xNS9_4plusIvEENS9_8equal_toIxEExEE10hipError_tPvRmT2_T3_T4_T5_mT6_T7_P12ihipStream_tbENKUlT_T0_E_clISt17integral_constantIbLb1EESZ_EEDaSU_SV_EUlSU_E_NS1_11comp_targetILNS1_3genE5ELNS1_11target_archE942ELNS1_3gpuE9ELNS1_3repE0EEENS1_30default_config_static_selectorELNS0_4arch9wavefront6targetE0EEEvT1_.uses_flat_scratch, 0
	.set _ZN7rocprim17ROCPRIM_400000_NS6detail17trampoline_kernelINS0_14default_configENS1_27scan_by_key_config_selectorIxxEEZZNS1_16scan_by_key_implILNS1_25lookback_scan_determinismE0ELb0ES3_N6thrust23THRUST_200600_302600_NS6detail15normal_iteratorINS9_10device_ptrIxEEEESE_SE_xNS9_4plusIvEENS9_8equal_toIxEExEE10hipError_tPvRmT2_T3_T4_T5_mT6_T7_P12ihipStream_tbENKUlT_T0_E_clISt17integral_constantIbLb1EESZ_EEDaSU_SV_EUlSU_E_NS1_11comp_targetILNS1_3genE5ELNS1_11target_archE942ELNS1_3gpuE9ELNS1_3repE0EEENS1_30default_config_static_selectorELNS0_4arch9wavefront6targetE0EEEvT1_.has_dyn_sized_stack, 0
	.set _ZN7rocprim17ROCPRIM_400000_NS6detail17trampoline_kernelINS0_14default_configENS1_27scan_by_key_config_selectorIxxEEZZNS1_16scan_by_key_implILNS1_25lookback_scan_determinismE0ELb0ES3_N6thrust23THRUST_200600_302600_NS6detail15normal_iteratorINS9_10device_ptrIxEEEESE_SE_xNS9_4plusIvEENS9_8equal_toIxEExEE10hipError_tPvRmT2_T3_T4_T5_mT6_T7_P12ihipStream_tbENKUlT_T0_E_clISt17integral_constantIbLb1EESZ_EEDaSU_SV_EUlSU_E_NS1_11comp_targetILNS1_3genE5ELNS1_11target_archE942ELNS1_3gpuE9ELNS1_3repE0EEENS1_30default_config_static_selectorELNS0_4arch9wavefront6targetE0EEEvT1_.has_recursion, 0
	.set _ZN7rocprim17ROCPRIM_400000_NS6detail17trampoline_kernelINS0_14default_configENS1_27scan_by_key_config_selectorIxxEEZZNS1_16scan_by_key_implILNS1_25lookback_scan_determinismE0ELb0ES3_N6thrust23THRUST_200600_302600_NS6detail15normal_iteratorINS9_10device_ptrIxEEEESE_SE_xNS9_4plusIvEENS9_8equal_toIxEExEE10hipError_tPvRmT2_T3_T4_T5_mT6_T7_P12ihipStream_tbENKUlT_T0_E_clISt17integral_constantIbLb1EESZ_EEDaSU_SV_EUlSU_E_NS1_11comp_targetILNS1_3genE5ELNS1_11target_archE942ELNS1_3gpuE9ELNS1_3repE0EEENS1_30default_config_static_selectorELNS0_4arch9wavefront6targetE0EEEvT1_.has_indirect_call, 0
	.section	.AMDGPU.csdata,"",@progbits
; Kernel info:
; codeLenInByte = 0
; TotalNumSgprs: 0
; NumVgprs: 0
; ScratchSize: 0
; MemoryBound: 0
; FloatMode: 240
; IeeeMode: 1
; LDSByteSize: 0 bytes/workgroup (compile time only)
; SGPRBlocks: 0
; VGPRBlocks: 0
; NumSGPRsForWavesPerEU: 1
; NumVGPRsForWavesPerEU: 1
; Occupancy: 16
; WaveLimiterHint : 0
; COMPUTE_PGM_RSRC2:SCRATCH_EN: 0
; COMPUTE_PGM_RSRC2:USER_SGPR: 6
; COMPUTE_PGM_RSRC2:TRAP_HANDLER: 0
; COMPUTE_PGM_RSRC2:TGID_X_EN: 1
; COMPUTE_PGM_RSRC2:TGID_Y_EN: 0
; COMPUTE_PGM_RSRC2:TGID_Z_EN: 0
; COMPUTE_PGM_RSRC2:TIDIG_COMP_CNT: 0
	.section	.text._ZN7rocprim17ROCPRIM_400000_NS6detail17trampoline_kernelINS0_14default_configENS1_27scan_by_key_config_selectorIxxEEZZNS1_16scan_by_key_implILNS1_25lookback_scan_determinismE0ELb0ES3_N6thrust23THRUST_200600_302600_NS6detail15normal_iteratorINS9_10device_ptrIxEEEESE_SE_xNS9_4plusIvEENS9_8equal_toIxEExEE10hipError_tPvRmT2_T3_T4_T5_mT6_T7_P12ihipStream_tbENKUlT_T0_E_clISt17integral_constantIbLb1EESZ_EEDaSU_SV_EUlSU_E_NS1_11comp_targetILNS1_3genE4ELNS1_11target_archE910ELNS1_3gpuE8ELNS1_3repE0EEENS1_30default_config_static_selectorELNS0_4arch9wavefront6targetE0EEEvT1_,"axG",@progbits,_ZN7rocprim17ROCPRIM_400000_NS6detail17trampoline_kernelINS0_14default_configENS1_27scan_by_key_config_selectorIxxEEZZNS1_16scan_by_key_implILNS1_25lookback_scan_determinismE0ELb0ES3_N6thrust23THRUST_200600_302600_NS6detail15normal_iteratorINS9_10device_ptrIxEEEESE_SE_xNS9_4plusIvEENS9_8equal_toIxEExEE10hipError_tPvRmT2_T3_T4_T5_mT6_T7_P12ihipStream_tbENKUlT_T0_E_clISt17integral_constantIbLb1EESZ_EEDaSU_SV_EUlSU_E_NS1_11comp_targetILNS1_3genE4ELNS1_11target_archE910ELNS1_3gpuE8ELNS1_3repE0EEENS1_30default_config_static_selectorELNS0_4arch9wavefront6targetE0EEEvT1_,comdat
	.protected	_ZN7rocprim17ROCPRIM_400000_NS6detail17trampoline_kernelINS0_14default_configENS1_27scan_by_key_config_selectorIxxEEZZNS1_16scan_by_key_implILNS1_25lookback_scan_determinismE0ELb0ES3_N6thrust23THRUST_200600_302600_NS6detail15normal_iteratorINS9_10device_ptrIxEEEESE_SE_xNS9_4plusIvEENS9_8equal_toIxEExEE10hipError_tPvRmT2_T3_T4_T5_mT6_T7_P12ihipStream_tbENKUlT_T0_E_clISt17integral_constantIbLb1EESZ_EEDaSU_SV_EUlSU_E_NS1_11comp_targetILNS1_3genE4ELNS1_11target_archE910ELNS1_3gpuE8ELNS1_3repE0EEENS1_30default_config_static_selectorELNS0_4arch9wavefront6targetE0EEEvT1_ ; -- Begin function _ZN7rocprim17ROCPRIM_400000_NS6detail17trampoline_kernelINS0_14default_configENS1_27scan_by_key_config_selectorIxxEEZZNS1_16scan_by_key_implILNS1_25lookback_scan_determinismE0ELb0ES3_N6thrust23THRUST_200600_302600_NS6detail15normal_iteratorINS9_10device_ptrIxEEEESE_SE_xNS9_4plusIvEENS9_8equal_toIxEExEE10hipError_tPvRmT2_T3_T4_T5_mT6_T7_P12ihipStream_tbENKUlT_T0_E_clISt17integral_constantIbLb1EESZ_EEDaSU_SV_EUlSU_E_NS1_11comp_targetILNS1_3genE4ELNS1_11target_archE910ELNS1_3gpuE8ELNS1_3repE0EEENS1_30default_config_static_selectorELNS0_4arch9wavefront6targetE0EEEvT1_
	.globl	_ZN7rocprim17ROCPRIM_400000_NS6detail17trampoline_kernelINS0_14default_configENS1_27scan_by_key_config_selectorIxxEEZZNS1_16scan_by_key_implILNS1_25lookback_scan_determinismE0ELb0ES3_N6thrust23THRUST_200600_302600_NS6detail15normal_iteratorINS9_10device_ptrIxEEEESE_SE_xNS9_4plusIvEENS9_8equal_toIxEExEE10hipError_tPvRmT2_T3_T4_T5_mT6_T7_P12ihipStream_tbENKUlT_T0_E_clISt17integral_constantIbLb1EESZ_EEDaSU_SV_EUlSU_E_NS1_11comp_targetILNS1_3genE4ELNS1_11target_archE910ELNS1_3gpuE8ELNS1_3repE0EEENS1_30default_config_static_selectorELNS0_4arch9wavefront6targetE0EEEvT1_
	.p2align	8
	.type	_ZN7rocprim17ROCPRIM_400000_NS6detail17trampoline_kernelINS0_14default_configENS1_27scan_by_key_config_selectorIxxEEZZNS1_16scan_by_key_implILNS1_25lookback_scan_determinismE0ELb0ES3_N6thrust23THRUST_200600_302600_NS6detail15normal_iteratorINS9_10device_ptrIxEEEESE_SE_xNS9_4plusIvEENS9_8equal_toIxEExEE10hipError_tPvRmT2_T3_T4_T5_mT6_T7_P12ihipStream_tbENKUlT_T0_E_clISt17integral_constantIbLb1EESZ_EEDaSU_SV_EUlSU_E_NS1_11comp_targetILNS1_3genE4ELNS1_11target_archE910ELNS1_3gpuE8ELNS1_3repE0EEENS1_30default_config_static_selectorELNS0_4arch9wavefront6targetE0EEEvT1_,@function
_ZN7rocprim17ROCPRIM_400000_NS6detail17trampoline_kernelINS0_14default_configENS1_27scan_by_key_config_selectorIxxEEZZNS1_16scan_by_key_implILNS1_25lookback_scan_determinismE0ELb0ES3_N6thrust23THRUST_200600_302600_NS6detail15normal_iteratorINS9_10device_ptrIxEEEESE_SE_xNS9_4plusIvEENS9_8equal_toIxEExEE10hipError_tPvRmT2_T3_T4_T5_mT6_T7_P12ihipStream_tbENKUlT_T0_E_clISt17integral_constantIbLb1EESZ_EEDaSU_SV_EUlSU_E_NS1_11comp_targetILNS1_3genE4ELNS1_11target_archE910ELNS1_3gpuE8ELNS1_3repE0EEENS1_30default_config_static_selectorELNS0_4arch9wavefront6targetE0EEEvT1_: ; @_ZN7rocprim17ROCPRIM_400000_NS6detail17trampoline_kernelINS0_14default_configENS1_27scan_by_key_config_selectorIxxEEZZNS1_16scan_by_key_implILNS1_25lookback_scan_determinismE0ELb0ES3_N6thrust23THRUST_200600_302600_NS6detail15normal_iteratorINS9_10device_ptrIxEEEESE_SE_xNS9_4plusIvEENS9_8equal_toIxEExEE10hipError_tPvRmT2_T3_T4_T5_mT6_T7_P12ihipStream_tbENKUlT_T0_E_clISt17integral_constantIbLb1EESZ_EEDaSU_SV_EUlSU_E_NS1_11comp_targetILNS1_3genE4ELNS1_11target_archE910ELNS1_3gpuE8ELNS1_3repE0EEENS1_30default_config_static_selectorELNS0_4arch9wavefront6targetE0EEEvT1_
; %bb.0:
	.section	.rodata,"a",@progbits
	.p2align	6, 0x0
	.amdhsa_kernel _ZN7rocprim17ROCPRIM_400000_NS6detail17trampoline_kernelINS0_14default_configENS1_27scan_by_key_config_selectorIxxEEZZNS1_16scan_by_key_implILNS1_25lookback_scan_determinismE0ELb0ES3_N6thrust23THRUST_200600_302600_NS6detail15normal_iteratorINS9_10device_ptrIxEEEESE_SE_xNS9_4plusIvEENS9_8equal_toIxEExEE10hipError_tPvRmT2_T3_T4_T5_mT6_T7_P12ihipStream_tbENKUlT_T0_E_clISt17integral_constantIbLb1EESZ_EEDaSU_SV_EUlSU_E_NS1_11comp_targetILNS1_3genE4ELNS1_11target_archE910ELNS1_3gpuE8ELNS1_3repE0EEENS1_30default_config_static_selectorELNS0_4arch9wavefront6targetE0EEEvT1_
		.amdhsa_group_segment_fixed_size 0
		.amdhsa_private_segment_fixed_size 0
		.amdhsa_kernarg_size 136
		.amdhsa_user_sgpr_count 6
		.amdhsa_user_sgpr_private_segment_buffer 1
		.amdhsa_user_sgpr_dispatch_ptr 0
		.amdhsa_user_sgpr_queue_ptr 0
		.amdhsa_user_sgpr_kernarg_segment_ptr 1
		.amdhsa_user_sgpr_dispatch_id 0
		.amdhsa_user_sgpr_flat_scratch_init 0
		.amdhsa_user_sgpr_private_segment_size 0
		.amdhsa_wavefront_size32 1
		.amdhsa_uses_dynamic_stack 0
		.amdhsa_system_sgpr_private_segment_wavefront_offset 0
		.amdhsa_system_sgpr_workgroup_id_x 1
		.amdhsa_system_sgpr_workgroup_id_y 0
		.amdhsa_system_sgpr_workgroup_id_z 0
		.amdhsa_system_sgpr_workgroup_info 0
		.amdhsa_system_vgpr_workitem_id 0
		.amdhsa_next_free_vgpr 1
		.amdhsa_next_free_sgpr 1
		.amdhsa_reserve_vcc 0
		.amdhsa_reserve_flat_scratch 0
		.amdhsa_float_round_mode_32 0
		.amdhsa_float_round_mode_16_64 0
		.amdhsa_float_denorm_mode_32 3
		.amdhsa_float_denorm_mode_16_64 3
		.amdhsa_dx10_clamp 1
		.amdhsa_ieee_mode 1
		.amdhsa_fp16_overflow 0
		.amdhsa_workgroup_processor_mode 1
		.amdhsa_memory_ordered 1
		.amdhsa_forward_progress 1
		.amdhsa_shared_vgpr_count 0
		.amdhsa_exception_fp_ieee_invalid_op 0
		.amdhsa_exception_fp_denorm_src 0
		.amdhsa_exception_fp_ieee_div_zero 0
		.amdhsa_exception_fp_ieee_overflow 0
		.amdhsa_exception_fp_ieee_underflow 0
		.amdhsa_exception_fp_ieee_inexact 0
		.amdhsa_exception_int_div_zero 0
	.end_amdhsa_kernel
	.section	.text._ZN7rocprim17ROCPRIM_400000_NS6detail17trampoline_kernelINS0_14default_configENS1_27scan_by_key_config_selectorIxxEEZZNS1_16scan_by_key_implILNS1_25lookback_scan_determinismE0ELb0ES3_N6thrust23THRUST_200600_302600_NS6detail15normal_iteratorINS9_10device_ptrIxEEEESE_SE_xNS9_4plusIvEENS9_8equal_toIxEExEE10hipError_tPvRmT2_T3_T4_T5_mT6_T7_P12ihipStream_tbENKUlT_T0_E_clISt17integral_constantIbLb1EESZ_EEDaSU_SV_EUlSU_E_NS1_11comp_targetILNS1_3genE4ELNS1_11target_archE910ELNS1_3gpuE8ELNS1_3repE0EEENS1_30default_config_static_selectorELNS0_4arch9wavefront6targetE0EEEvT1_,"axG",@progbits,_ZN7rocprim17ROCPRIM_400000_NS6detail17trampoline_kernelINS0_14default_configENS1_27scan_by_key_config_selectorIxxEEZZNS1_16scan_by_key_implILNS1_25lookback_scan_determinismE0ELb0ES3_N6thrust23THRUST_200600_302600_NS6detail15normal_iteratorINS9_10device_ptrIxEEEESE_SE_xNS9_4plusIvEENS9_8equal_toIxEExEE10hipError_tPvRmT2_T3_T4_T5_mT6_T7_P12ihipStream_tbENKUlT_T0_E_clISt17integral_constantIbLb1EESZ_EEDaSU_SV_EUlSU_E_NS1_11comp_targetILNS1_3genE4ELNS1_11target_archE910ELNS1_3gpuE8ELNS1_3repE0EEENS1_30default_config_static_selectorELNS0_4arch9wavefront6targetE0EEEvT1_,comdat
.Lfunc_end95:
	.size	_ZN7rocprim17ROCPRIM_400000_NS6detail17trampoline_kernelINS0_14default_configENS1_27scan_by_key_config_selectorIxxEEZZNS1_16scan_by_key_implILNS1_25lookback_scan_determinismE0ELb0ES3_N6thrust23THRUST_200600_302600_NS6detail15normal_iteratorINS9_10device_ptrIxEEEESE_SE_xNS9_4plusIvEENS9_8equal_toIxEExEE10hipError_tPvRmT2_T3_T4_T5_mT6_T7_P12ihipStream_tbENKUlT_T0_E_clISt17integral_constantIbLb1EESZ_EEDaSU_SV_EUlSU_E_NS1_11comp_targetILNS1_3genE4ELNS1_11target_archE910ELNS1_3gpuE8ELNS1_3repE0EEENS1_30default_config_static_selectorELNS0_4arch9wavefront6targetE0EEEvT1_, .Lfunc_end95-_ZN7rocprim17ROCPRIM_400000_NS6detail17trampoline_kernelINS0_14default_configENS1_27scan_by_key_config_selectorIxxEEZZNS1_16scan_by_key_implILNS1_25lookback_scan_determinismE0ELb0ES3_N6thrust23THRUST_200600_302600_NS6detail15normal_iteratorINS9_10device_ptrIxEEEESE_SE_xNS9_4plusIvEENS9_8equal_toIxEExEE10hipError_tPvRmT2_T3_T4_T5_mT6_T7_P12ihipStream_tbENKUlT_T0_E_clISt17integral_constantIbLb1EESZ_EEDaSU_SV_EUlSU_E_NS1_11comp_targetILNS1_3genE4ELNS1_11target_archE910ELNS1_3gpuE8ELNS1_3repE0EEENS1_30default_config_static_selectorELNS0_4arch9wavefront6targetE0EEEvT1_
                                        ; -- End function
	.set _ZN7rocprim17ROCPRIM_400000_NS6detail17trampoline_kernelINS0_14default_configENS1_27scan_by_key_config_selectorIxxEEZZNS1_16scan_by_key_implILNS1_25lookback_scan_determinismE0ELb0ES3_N6thrust23THRUST_200600_302600_NS6detail15normal_iteratorINS9_10device_ptrIxEEEESE_SE_xNS9_4plusIvEENS9_8equal_toIxEExEE10hipError_tPvRmT2_T3_T4_T5_mT6_T7_P12ihipStream_tbENKUlT_T0_E_clISt17integral_constantIbLb1EESZ_EEDaSU_SV_EUlSU_E_NS1_11comp_targetILNS1_3genE4ELNS1_11target_archE910ELNS1_3gpuE8ELNS1_3repE0EEENS1_30default_config_static_selectorELNS0_4arch9wavefront6targetE0EEEvT1_.num_vgpr, 0
	.set _ZN7rocprim17ROCPRIM_400000_NS6detail17trampoline_kernelINS0_14default_configENS1_27scan_by_key_config_selectorIxxEEZZNS1_16scan_by_key_implILNS1_25lookback_scan_determinismE0ELb0ES3_N6thrust23THRUST_200600_302600_NS6detail15normal_iteratorINS9_10device_ptrIxEEEESE_SE_xNS9_4plusIvEENS9_8equal_toIxEExEE10hipError_tPvRmT2_T3_T4_T5_mT6_T7_P12ihipStream_tbENKUlT_T0_E_clISt17integral_constantIbLb1EESZ_EEDaSU_SV_EUlSU_E_NS1_11comp_targetILNS1_3genE4ELNS1_11target_archE910ELNS1_3gpuE8ELNS1_3repE0EEENS1_30default_config_static_selectorELNS0_4arch9wavefront6targetE0EEEvT1_.num_agpr, 0
	.set _ZN7rocprim17ROCPRIM_400000_NS6detail17trampoline_kernelINS0_14default_configENS1_27scan_by_key_config_selectorIxxEEZZNS1_16scan_by_key_implILNS1_25lookback_scan_determinismE0ELb0ES3_N6thrust23THRUST_200600_302600_NS6detail15normal_iteratorINS9_10device_ptrIxEEEESE_SE_xNS9_4plusIvEENS9_8equal_toIxEExEE10hipError_tPvRmT2_T3_T4_T5_mT6_T7_P12ihipStream_tbENKUlT_T0_E_clISt17integral_constantIbLb1EESZ_EEDaSU_SV_EUlSU_E_NS1_11comp_targetILNS1_3genE4ELNS1_11target_archE910ELNS1_3gpuE8ELNS1_3repE0EEENS1_30default_config_static_selectorELNS0_4arch9wavefront6targetE0EEEvT1_.numbered_sgpr, 0
	.set _ZN7rocprim17ROCPRIM_400000_NS6detail17trampoline_kernelINS0_14default_configENS1_27scan_by_key_config_selectorIxxEEZZNS1_16scan_by_key_implILNS1_25lookback_scan_determinismE0ELb0ES3_N6thrust23THRUST_200600_302600_NS6detail15normal_iteratorINS9_10device_ptrIxEEEESE_SE_xNS9_4plusIvEENS9_8equal_toIxEExEE10hipError_tPvRmT2_T3_T4_T5_mT6_T7_P12ihipStream_tbENKUlT_T0_E_clISt17integral_constantIbLb1EESZ_EEDaSU_SV_EUlSU_E_NS1_11comp_targetILNS1_3genE4ELNS1_11target_archE910ELNS1_3gpuE8ELNS1_3repE0EEENS1_30default_config_static_selectorELNS0_4arch9wavefront6targetE0EEEvT1_.num_named_barrier, 0
	.set _ZN7rocprim17ROCPRIM_400000_NS6detail17trampoline_kernelINS0_14default_configENS1_27scan_by_key_config_selectorIxxEEZZNS1_16scan_by_key_implILNS1_25lookback_scan_determinismE0ELb0ES3_N6thrust23THRUST_200600_302600_NS6detail15normal_iteratorINS9_10device_ptrIxEEEESE_SE_xNS9_4plusIvEENS9_8equal_toIxEExEE10hipError_tPvRmT2_T3_T4_T5_mT6_T7_P12ihipStream_tbENKUlT_T0_E_clISt17integral_constantIbLb1EESZ_EEDaSU_SV_EUlSU_E_NS1_11comp_targetILNS1_3genE4ELNS1_11target_archE910ELNS1_3gpuE8ELNS1_3repE0EEENS1_30default_config_static_selectorELNS0_4arch9wavefront6targetE0EEEvT1_.private_seg_size, 0
	.set _ZN7rocprim17ROCPRIM_400000_NS6detail17trampoline_kernelINS0_14default_configENS1_27scan_by_key_config_selectorIxxEEZZNS1_16scan_by_key_implILNS1_25lookback_scan_determinismE0ELb0ES3_N6thrust23THRUST_200600_302600_NS6detail15normal_iteratorINS9_10device_ptrIxEEEESE_SE_xNS9_4plusIvEENS9_8equal_toIxEExEE10hipError_tPvRmT2_T3_T4_T5_mT6_T7_P12ihipStream_tbENKUlT_T0_E_clISt17integral_constantIbLb1EESZ_EEDaSU_SV_EUlSU_E_NS1_11comp_targetILNS1_3genE4ELNS1_11target_archE910ELNS1_3gpuE8ELNS1_3repE0EEENS1_30default_config_static_selectorELNS0_4arch9wavefront6targetE0EEEvT1_.uses_vcc, 0
	.set _ZN7rocprim17ROCPRIM_400000_NS6detail17trampoline_kernelINS0_14default_configENS1_27scan_by_key_config_selectorIxxEEZZNS1_16scan_by_key_implILNS1_25lookback_scan_determinismE0ELb0ES3_N6thrust23THRUST_200600_302600_NS6detail15normal_iteratorINS9_10device_ptrIxEEEESE_SE_xNS9_4plusIvEENS9_8equal_toIxEExEE10hipError_tPvRmT2_T3_T4_T5_mT6_T7_P12ihipStream_tbENKUlT_T0_E_clISt17integral_constantIbLb1EESZ_EEDaSU_SV_EUlSU_E_NS1_11comp_targetILNS1_3genE4ELNS1_11target_archE910ELNS1_3gpuE8ELNS1_3repE0EEENS1_30default_config_static_selectorELNS0_4arch9wavefront6targetE0EEEvT1_.uses_flat_scratch, 0
	.set _ZN7rocprim17ROCPRIM_400000_NS6detail17trampoline_kernelINS0_14default_configENS1_27scan_by_key_config_selectorIxxEEZZNS1_16scan_by_key_implILNS1_25lookback_scan_determinismE0ELb0ES3_N6thrust23THRUST_200600_302600_NS6detail15normal_iteratorINS9_10device_ptrIxEEEESE_SE_xNS9_4plusIvEENS9_8equal_toIxEExEE10hipError_tPvRmT2_T3_T4_T5_mT6_T7_P12ihipStream_tbENKUlT_T0_E_clISt17integral_constantIbLb1EESZ_EEDaSU_SV_EUlSU_E_NS1_11comp_targetILNS1_3genE4ELNS1_11target_archE910ELNS1_3gpuE8ELNS1_3repE0EEENS1_30default_config_static_selectorELNS0_4arch9wavefront6targetE0EEEvT1_.has_dyn_sized_stack, 0
	.set _ZN7rocprim17ROCPRIM_400000_NS6detail17trampoline_kernelINS0_14default_configENS1_27scan_by_key_config_selectorIxxEEZZNS1_16scan_by_key_implILNS1_25lookback_scan_determinismE0ELb0ES3_N6thrust23THRUST_200600_302600_NS6detail15normal_iteratorINS9_10device_ptrIxEEEESE_SE_xNS9_4plusIvEENS9_8equal_toIxEExEE10hipError_tPvRmT2_T3_T4_T5_mT6_T7_P12ihipStream_tbENKUlT_T0_E_clISt17integral_constantIbLb1EESZ_EEDaSU_SV_EUlSU_E_NS1_11comp_targetILNS1_3genE4ELNS1_11target_archE910ELNS1_3gpuE8ELNS1_3repE0EEENS1_30default_config_static_selectorELNS0_4arch9wavefront6targetE0EEEvT1_.has_recursion, 0
	.set _ZN7rocprim17ROCPRIM_400000_NS6detail17trampoline_kernelINS0_14default_configENS1_27scan_by_key_config_selectorIxxEEZZNS1_16scan_by_key_implILNS1_25lookback_scan_determinismE0ELb0ES3_N6thrust23THRUST_200600_302600_NS6detail15normal_iteratorINS9_10device_ptrIxEEEESE_SE_xNS9_4plusIvEENS9_8equal_toIxEExEE10hipError_tPvRmT2_T3_T4_T5_mT6_T7_P12ihipStream_tbENKUlT_T0_E_clISt17integral_constantIbLb1EESZ_EEDaSU_SV_EUlSU_E_NS1_11comp_targetILNS1_3genE4ELNS1_11target_archE910ELNS1_3gpuE8ELNS1_3repE0EEENS1_30default_config_static_selectorELNS0_4arch9wavefront6targetE0EEEvT1_.has_indirect_call, 0
	.section	.AMDGPU.csdata,"",@progbits
; Kernel info:
; codeLenInByte = 0
; TotalNumSgprs: 0
; NumVgprs: 0
; ScratchSize: 0
; MemoryBound: 0
; FloatMode: 240
; IeeeMode: 1
; LDSByteSize: 0 bytes/workgroup (compile time only)
; SGPRBlocks: 0
; VGPRBlocks: 0
; NumSGPRsForWavesPerEU: 1
; NumVGPRsForWavesPerEU: 1
; Occupancy: 16
; WaveLimiterHint : 0
; COMPUTE_PGM_RSRC2:SCRATCH_EN: 0
; COMPUTE_PGM_RSRC2:USER_SGPR: 6
; COMPUTE_PGM_RSRC2:TRAP_HANDLER: 0
; COMPUTE_PGM_RSRC2:TGID_X_EN: 1
; COMPUTE_PGM_RSRC2:TGID_Y_EN: 0
; COMPUTE_PGM_RSRC2:TGID_Z_EN: 0
; COMPUTE_PGM_RSRC2:TIDIG_COMP_CNT: 0
	.section	.text._ZN7rocprim17ROCPRIM_400000_NS6detail17trampoline_kernelINS0_14default_configENS1_27scan_by_key_config_selectorIxxEEZZNS1_16scan_by_key_implILNS1_25lookback_scan_determinismE0ELb0ES3_N6thrust23THRUST_200600_302600_NS6detail15normal_iteratorINS9_10device_ptrIxEEEESE_SE_xNS9_4plusIvEENS9_8equal_toIxEExEE10hipError_tPvRmT2_T3_T4_T5_mT6_T7_P12ihipStream_tbENKUlT_T0_E_clISt17integral_constantIbLb1EESZ_EEDaSU_SV_EUlSU_E_NS1_11comp_targetILNS1_3genE3ELNS1_11target_archE908ELNS1_3gpuE7ELNS1_3repE0EEENS1_30default_config_static_selectorELNS0_4arch9wavefront6targetE0EEEvT1_,"axG",@progbits,_ZN7rocprim17ROCPRIM_400000_NS6detail17trampoline_kernelINS0_14default_configENS1_27scan_by_key_config_selectorIxxEEZZNS1_16scan_by_key_implILNS1_25lookback_scan_determinismE0ELb0ES3_N6thrust23THRUST_200600_302600_NS6detail15normal_iteratorINS9_10device_ptrIxEEEESE_SE_xNS9_4plusIvEENS9_8equal_toIxEExEE10hipError_tPvRmT2_T3_T4_T5_mT6_T7_P12ihipStream_tbENKUlT_T0_E_clISt17integral_constantIbLb1EESZ_EEDaSU_SV_EUlSU_E_NS1_11comp_targetILNS1_3genE3ELNS1_11target_archE908ELNS1_3gpuE7ELNS1_3repE0EEENS1_30default_config_static_selectorELNS0_4arch9wavefront6targetE0EEEvT1_,comdat
	.protected	_ZN7rocprim17ROCPRIM_400000_NS6detail17trampoline_kernelINS0_14default_configENS1_27scan_by_key_config_selectorIxxEEZZNS1_16scan_by_key_implILNS1_25lookback_scan_determinismE0ELb0ES3_N6thrust23THRUST_200600_302600_NS6detail15normal_iteratorINS9_10device_ptrIxEEEESE_SE_xNS9_4plusIvEENS9_8equal_toIxEExEE10hipError_tPvRmT2_T3_T4_T5_mT6_T7_P12ihipStream_tbENKUlT_T0_E_clISt17integral_constantIbLb1EESZ_EEDaSU_SV_EUlSU_E_NS1_11comp_targetILNS1_3genE3ELNS1_11target_archE908ELNS1_3gpuE7ELNS1_3repE0EEENS1_30default_config_static_selectorELNS0_4arch9wavefront6targetE0EEEvT1_ ; -- Begin function _ZN7rocprim17ROCPRIM_400000_NS6detail17trampoline_kernelINS0_14default_configENS1_27scan_by_key_config_selectorIxxEEZZNS1_16scan_by_key_implILNS1_25lookback_scan_determinismE0ELb0ES3_N6thrust23THRUST_200600_302600_NS6detail15normal_iteratorINS9_10device_ptrIxEEEESE_SE_xNS9_4plusIvEENS9_8equal_toIxEExEE10hipError_tPvRmT2_T3_T4_T5_mT6_T7_P12ihipStream_tbENKUlT_T0_E_clISt17integral_constantIbLb1EESZ_EEDaSU_SV_EUlSU_E_NS1_11comp_targetILNS1_3genE3ELNS1_11target_archE908ELNS1_3gpuE7ELNS1_3repE0EEENS1_30default_config_static_selectorELNS0_4arch9wavefront6targetE0EEEvT1_
	.globl	_ZN7rocprim17ROCPRIM_400000_NS6detail17trampoline_kernelINS0_14default_configENS1_27scan_by_key_config_selectorIxxEEZZNS1_16scan_by_key_implILNS1_25lookback_scan_determinismE0ELb0ES3_N6thrust23THRUST_200600_302600_NS6detail15normal_iteratorINS9_10device_ptrIxEEEESE_SE_xNS9_4plusIvEENS9_8equal_toIxEExEE10hipError_tPvRmT2_T3_T4_T5_mT6_T7_P12ihipStream_tbENKUlT_T0_E_clISt17integral_constantIbLb1EESZ_EEDaSU_SV_EUlSU_E_NS1_11comp_targetILNS1_3genE3ELNS1_11target_archE908ELNS1_3gpuE7ELNS1_3repE0EEENS1_30default_config_static_selectorELNS0_4arch9wavefront6targetE0EEEvT1_
	.p2align	8
	.type	_ZN7rocprim17ROCPRIM_400000_NS6detail17trampoline_kernelINS0_14default_configENS1_27scan_by_key_config_selectorIxxEEZZNS1_16scan_by_key_implILNS1_25lookback_scan_determinismE0ELb0ES3_N6thrust23THRUST_200600_302600_NS6detail15normal_iteratorINS9_10device_ptrIxEEEESE_SE_xNS9_4plusIvEENS9_8equal_toIxEExEE10hipError_tPvRmT2_T3_T4_T5_mT6_T7_P12ihipStream_tbENKUlT_T0_E_clISt17integral_constantIbLb1EESZ_EEDaSU_SV_EUlSU_E_NS1_11comp_targetILNS1_3genE3ELNS1_11target_archE908ELNS1_3gpuE7ELNS1_3repE0EEENS1_30default_config_static_selectorELNS0_4arch9wavefront6targetE0EEEvT1_,@function
_ZN7rocprim17ROCPRIM_400000_NS6detail17trampoline_kernelINS0_14default_configENS1_27scan_by_key_config_selectorIxxEEZZNS1_16scan_by_key_implILNS1_25lookback_scan_determinismE0ELb0ES3_N6thrust23THRUST_200600_302600_NS6detail15normal_iteratorINS9_10device_ptrIxEEEESE_SE_xNS9_4plusIvEENS9_8equal_toIxEExEE10hipError_tPvRmT2_T3_T4_T5_mT6_T7_P12ihipStream_tbENKUlT_T0_E_clISt17integral_constantIbLb1EESZ_EEDaSU_SV_EUlSU_E_NS1_11comp_targetILNS1_3genE3ELNS1_11target_archE908ELNS1_3gpuE7ELNS1_3repE0EEENS1_30default_config_static_selectorELNS0_4arch9wavefront6targetE0EEEvT1_: ; @_ZN7rocprim17ROCPRIM_400000_NS6detail17trampoline_kernelINS0_14default_configENS1_27scan_by_key_config_selectorIxxEEZZNS1_16scan_by_key_implILNS1_25lookback_scan_determinismE0ELb0ES3_N6thrust23THRUST_200600_302600_NS6detail15normal_iteratorINS9_10device_ptrIxEEEESE_SE_xNS9_4plusIvEENS9_8equal_toIxEExEE10hipError_tPvRmT2_T3_T4_T5_mT6_T7_P12ihipStream_tbENKUlT_T0_E_clISt17integral_constantIbLb1EESZ_EEDaSU_SV_EUlSU_E_NS1_11comp_targetILNS1_3genE3ELNS1_11target_archE908ELNS1_3gpuE7ELNS1_3repE0EEENS1_30default_config_static_selectorELNS0_4arch9wavefront6targetE0EEEvT1_
; %bb.0:
	.section	.rodata,"a",@progbits
	.p2align	6, 0x0
	.amdhsa_kernel _ZN7rocprim17ROCPRIM_400000_NS6detail17trampoline_kernelINS0_14default_configENS1_27scan_by_key_config_selectorIxxEEZZNS1_16scan_by_key_implILNS1_25lookback_scan_determinismE0ELb0ES3_N6thrust23THRUST_200600_302600_NS6detail15normal_iteratorINS9_10device_ptrIxEEEESE_SE_xNS9_4plusIvEENS9_8equal_toIxEExEE10hipError_tPvRmT2_T3_T4_T5_mT6_T7_P12ihipStream_tbENKUlT_T0_E_clISt17integral_constantIbLb1EESZ_EEDaSU_SV_EUlSU_E_NS1_11comp_targetILNS1_3genE3ELNS1_11target_archE908ELNS1_3gpuE7ELNS1_3repE0EEENS1_30default_config_static_selectorELNS0_4arch9wavefront6targetE0EEEvT1_
		.amdhsa_group_segment_fixed_size 0
		.amdhsa_private_segment_fixed_size 0
		.amdhsa_kernarg_size 136
		.amdhsa_user_sgpr_count 6
		.amdhsa_user_sgpr_private_segment_buffer 1
		.amdhsa_user_sgpr_dispatch_ptr 0
		.amdhsa_user_sgpr_queue_ptr 0
		.amdhsa_user_sgpr_kernarg_segment_ptr 1
		.amdhsa_user_sgpr_dispatch_id 0
		.amdhsa_user_sgpr_flat_scratch_init 0
		.amdhsa_user_sgpr_private_segment_size 0
		.amdhsa_wavefront_size32 1
		.amdhsa_uses_dynamic_stack 0
		.amdhsa_system_sgpr_private_segment_wavefront_offset 0
		.amdhsa_system_sgpr_workgroup_id_x 1
		.amdhsa_system_sgpr_workgroup_id_y 0
		.amdhsa_system_sgpr_workgroup_id_z 0
		.amdhsa_system_sgpr_workgroup_info 0
		.amdhsa_system_vgpr_workitem_id 0
		.amdhsa_next_free_vgpr 1
		.amdhsa_next_free_sgpr 1
		.amdhsa_reserve_vcc 0
		.amdhsa_reserve_flat_scratch 0
		.amdhsa_float_round_mode_32 0
		.amdhsa_float_round_mode_16_64 0
		.amdhsa_float_denorm_mode_32 3
		.amdhsa_float_denorm_mode_16_64 3
		.amdhsa_dx10_clamp 1
		.amdhsa_ieee_mode 1
		.amdhsa_fp16_overflow 0
		.amdhsa_workgroup_processor_mode 1
		.amdhsa_memory_ordered 1
		.amdhsa_forward_progress 1
		.amdhsa_shared_vgpr_count 0
		.amdhsa_exception_fp_ieee_invalid_op 0
		.amdhsa_exception_fp_denorm_src 0
		.amdhsa_exception_fp_ieee_div_zero 0
		.amdhsa_exception_fp_ieee_overflow 0
		.amdhsa_exception_fp_ieee_underflow 0
		.amdhsa_exception_fp_ieee_inexact 0
		.amdhsa_exception_int_div_zero 0
	.end_amdhsa_kernel
	.section	.text._ZN7rocprim17ROCPRIM_400000_NS6detail17trampoline_kernelINS0_14default_configENS1_27scan_by_key_config_selectorIxxEEZZNS1_16scan_by_key_implILNS1_25lookback_scan_determinismE0ELb0ES3_N6thrust23THRUST_200600_302600_NS6detail15normal_iteratorINS9_10device_ptrIxEEEESE_SE_xNS9_4plusIvEENS9_8equal_toIxEExEE10hipError_tPvRmT2_T3_T4_T5_mT6_T7_P12ihipStream_tbENKUlT_T0_E_clISt17integral_constantIbLb1EESZ_EEDaSU_SV_EUlSU_E_NS1_11comp_targetILNS1_3genE3ELNS1_11target_archE908ELNS1_3gpuE7ELNS1_3repE0EEENS1_30default_config_static_selectorELNS0_4arch9wavefront6targetE0EEEvT1_,"axG",@progbits,_ZN7rocprim17ROCPRIM_400000_NS6detail17trampoline_kernelINS0_14default_configENS1_27scan_by_key_config_selectorIxxEEZZNS1_16scan_by_key_implILNS1_25lookback_scan_determinismE0ELb0ES3_N6thrust23THRUST_200600_302600_NS6detail15normal_iteratorINS9_10device_ptrIxEEEESE_SE_xNS9_4plusIvEENS9_8equal_toIxEExEE10hipError_tPvRmT2_T3_T4_T5_mT6_T7_P12ihipStream_tbENKUlT_T0_E_clISt17integral_constantIbLb1EESZ_EEDaSU_SV_EUlSU_E_NS1_11comp_targetILNS1_3genE3ELNS1_11target_archE908ELNS1_3gpuE7ELNS1_3repE0EEENS1_30default_config_static_selectorELNS0_4arch9wavefront6targetE0EEEvT1_,comdat
.Lfunc_end96:
	.size	_ZN7rocprim17ROCPRIM_400000_NS6detail17trampoline_kernelINS0_14default_configENS1_27scan_by_key_config_selectorIxxEEZZNS1_16scan_by_key_implILNS1_25lookback_scan_determinismE0ELb0ES3_N6thrust23THRUST_200600_302600_NS6detail15normal_iteratorINS9_10device_ptrIxEEEESE_SE_xNS9_4plusIvEENS9_8equal_toIxEExEE10hipError_tPvRmT2_T3_T4_T5_mT6_T7_P12ihipStream_tbENKUlT_T0_E_clISt17integral_constantIbLb1EESZ_EEDaSU_SV_EUlSU_E_NS1_11comp_targetILNS1_3genE3ELNS1_11target_archE908ELNS1_3gpuE7ELNS1_3repE0EEENS1_30default_config_static_selectorELNS0_4arch9wavefront6targetE0EEEvT1_, .Lfunc_end96-_ZN7rocprim17ROCPRIM_400000_NS6detail17trampoline_kernelINS0_14default_configENS1_27scan_by_key_config_selectorIxxEEZZNS1_16scan_by_key_implILNS1_25lookback_scan_determinismE0ELb0ES3_N6thrust23THRUST_200600_302600_NS6detail15normal_iteratorINS9_10device_ptrIxEEEESE_SE_xNS9_4plusIvEENS9_8equal_toIxEExEE10hipError_tPvRmT2_T3_T4_T5_mT6_T7_P12ihipStream_tbENKUlT_T0_E_clISt17integral_constantIbLb1EESZ_EEDaSU_SV_EUlSU_E_NS1_11comp_targetILNS1_3genE3ELNS1_11target_archE908ELNS1_3gpuE7ELNS1_3repE0EEENS1_30default_config_static_selectorELNS0_4arch9wavefront6targetE0EEEvT1_
                                        ; -- End function
	.set _ZN7rocprim17ROCPRIM_400000_NS6detail17trampoline_kernelINS0_14default_configENS1_27scan_by_key_config_selectorIxxEEZZNS1_16scan_by_key_implILNS1_25lookback_scan_determinismE0ELb0ES3_N6thrust23THRUST_200600_302600_NS6detail15normal_iteratorINS9_10device_ptrIxEEEESE_SE_xNS9_4plusIvEENS9_8equal_toIxEExEE10hipError_tPvRmT2_T3_T4_T5_mT6_T7_P12ihipStream_tbENKUlT_T0_E_clISt17integral_constantIbLb1EESZ_EEDaSU_SV_EUlSU_E_NS1_11comp_targetILNS1_3genE3ELNS1_11target_archE908ELNS1_3gpuE7ELNS1_3repE0EEENS1_30default_config_static_selectorELNS0_4arch9wavefront6targetE0EEEvT1_.num_vgpr, 0
	.set _ZN7rocprim17ROCPRIM_400000_NS6detail17trampoline_kernelINS0_14default_configENS1_27scan_by_key_config_selectorIxxEEZZNS1_16scan_by_key_implILNS1_25lookback_scan_determinismE0ELb0ES3_N6thrust23THRUST_200600_302600_NS6detail15normal_iteratorINS9_10device_ptrIxEEEESE_SE_xNS9_4plusIvEENS9_8equal_toIxEExEE10hipError_tPvRmT2_T3_T4_T5_mT6_T7_P12ihipStream_tbENKUlT_T0_E_clISt17integral_constantIbLb1EESZ_EEDaSU_SV_EUlSU_E_NS1_11comp_targetILNS1_3genE3ELNS1_11target_archE908ELNS1_3gpuE7ELNS1_3repE0EEENS1_30default_config_static_selectorELNS0_4arch9wavefront6targetE0EEEvT1_.num_agpr, 0
	.set _ZN7rocprim17ROCPRIM_400000_NS6detail17trampoline_kernelINS0_14default_configENS1_27scan_by_key_config_selectorIxxEEZZNS1_16scan_by_key_implILNS1_25lookback_scan_determinismE0ELb0ES3_N6thrust23THRUST_200600_302600_NS6detail15normal_iteratorINS9_10device_ptrIxEEEESE_SE_xNS9_4plusIvEENS9_8equal_toIxEExEE10hipError_tPvRmT2_T3_T4_T5_mT6_T7_P12ihipStream_tbENKUlT_T0_E_clISt17integral_constantIbLb1EESZ_EEDaSU_SV_EUlSU_E_NS1_11comp_targetILNS1_3genE3ELNS1_11target_archE908ELNS1_3gpuE7ELNS1_3repE0EEENS1_30default_config_static_selectorELNS0_4arch9wavefront6targetE0EEEvT1_.numbered_sgpr, 0
	.set _ZN7rocprim17ROCPRIM_400000_NS6detail17trampoline_kernelINS0_14default_configENS1_27scan_by_key_config_selectorIxxEEZZNS1_16scan_by_key_implILNS1_25lookback_scan_determinismE0ELb0ES3_N6thrust23THRUST_200600_302600_NS6detail15normal_iteratorINS9_10device_ptrIxEEEESE_SE_xNS9_4plusIvEENS9_8equal_toIxEExEE10hipError_tPvRmT2_T3_T4_T5_mT6_T7_P12ihipStream_tbENKUlT_T0_E_clISt17integral_constantIbLb1EESZ_EEDaSU_SV_EUlSU_E_NS1_11comp_targetILNS1_3genE3ELNS1_11target_archE908ELNS1_3gpuE7ELNS1_3repE0EEENS1_30default_config_static_selectorELNS0_4arch9wavefront6targetE0EEEvT1_.num_named_barrier, 0
	.set _ZN7rocprim17ROCPRIM_400000_NS6detail17trampoline_kernelINS0_14default_configENS1_27scan_by_key_config_selectorIxxEEZZNS1_16scan_by_key_implILNS1_25lookback_scan_determinismE0ELb0ES3_N6thrust23THRUST_200600_302600_NS6detail15normal_iteratorINS9_10device_ptrIxEEEESE_SE_xNS9_4plusIvEENS9_8equal_toIxEExEE10hipError_tPvRmT2_T3_T4_T5_mT6_T7_P12ihipStream_tbENKUlT_T0_E_clISt17integral_constantIbLb1EESZ_EEDaSU_SV_EUlSU_E_NS1_11comp_targetILNS1_3genE3ELNS1_11target_archE908ELNS1_3gpuE7ELNS1_3repE0EEENS1_30default_config_static_selectorELNS0_4arch9wavefront6targetE0EEEvT1_.private_seg_size, 0
	.set _ZN7rocprim17ROCPRIM_400000_NS6detail17trampoline_kernelINS0_14default_configENS1_27scan_by_key_config_selectorIxxEEZZNS1_16scan_by_key_implILNS1_25lookback_scan_determinismE0ELb0ES3_N6thrust23THRUST_200600_302600_NS6detail15normal_iteratorINS9_10device_ptrIxEEEESE_SE_xNS9_4plusIvEENS9_8equal_toIxEExEE10hipError_tPvRmT2_T3_T4_T5_mT6_T7_P12ihipStream_tbENKUlT_T0_E_clISt17integral_constantIbLb1EESZ_EEDaSU_SV_EUlSU_E_NS1_11comp_targetILNS1_3genE3ELNS1_11target_archE908ELNS1_3gpuE7ELNS1_3repE0EEENS1_30default_config_static_selectorELNS0_4arch9wavefront6targetE0EEEvT1_.uses_vcc, 0
	.set _ZN7rocprim17ROCPRIM_400000_NS6detail17trampoline_kernelINS0_14default_configENS1_27scan_by_key_config_selectorIxxEEZZNS1_16scan_by_key_implILNS1_25lookback_scan_determinismE0ELb0ES3_N6thrust23THRUST_200600_302600_NS6detail15normal_iteratorINS9_10device_ptrIxEEEESE_SE_xNS9_4plusIvEENS9_8equal_toIxEExEE10hipError_tPvRmT2_T3_T4_T5_mT6_T7_P12ihipStream_tbENKUlT_T0_E_clISt17integral_constantIbLb1EESZ_EEDaSU_SV_EUlSU_E_NS1_11comp_targetILNS1_3genE3ELNS1_11target_archE908ELNS1_3gpuE7ELNS1_3repE0EEENS1_30default_config_static_selectorELNS0_4arch9wavefront6targetE0EEEvT1_.uses_flat_scratch, 0
	.set _ZN7rocprim17ROCPRIM_400000_NS6detail17trampoline_kernelINS0_14default_configENS1_27scan_by_key_config_selectorIxxEEZZNS1_16scan_by_key_implILNS1_25lookback_scan_determinismE0ELb0ES3_N6thrust23THRUST_200600_302600_NS6detail15normal_iteratorINS9_10device_ptrIxEEEESE_SE_xNS9_4plusIvEENS9_8equal_toIxEExEE10hipError_tPvRmT2_T3_T4_T5_mT6_T7_P12ihipStream_tbENKUlT_T0_E_clISt17integral_constantIbLb1EESZ_EEDaSU_SV_EUlSU_E_NS1_11comp_targetILNS1_3genE3ELNS1_11target_archE908ELNS1_3gpuE7ELNS1_3repE0EEENS1_30default_config_static_selectorELNS0_4arch9wavefront6targetE0EEEvT1_.has_dyn_sized_stack, 0
	.set _ZN7rocprim17ROCPRIM_400000_NS6detail17trampoline_kernelINS0_14default_configENS1_27scan_by_key_config_selectorIxxEEZZNS1_16scan_by_key_implILNS1_25lookback_scan_determinismE0ELb0ES3_N6thrust23THRUST_200600_302600_NS6detail15normal_iteratorINS9_10device_ptrIxEEEESE_SE_xNS9_4plusIvEENS9_8equal_toIxEExEE10hipError_tPvRmT2_T3_T4_T5_mT6_T7_P12ihipStream_tbENKUlT_T0_E_clISt17integral_constantIbLb1EESZ_EEDaSU_SV_EUlSU_E_NS1_11comp_targetILNS1_3genE3ELNS1_11target_archE908ELNS1_3gpuE7ELNS1_3repE0EEENS1_30default_config_static_selectorELNS0_4arch9wavefront6targetE0EEEvT1_.has_recursion, 0
	.set _ZN7rocprim17ROCPRIM_400000_NS6detail17trampoline_kernelINS0_14default_configENS1_27scan_by_key_config_selectorIxxEEZZNS1_16scan_by_key_implILNS1_25lookback_scan_determinismE0ELb0ES3_N6thrust23THRUST_200600_302600_NS6detail15normal_iteratorINS9_10device_ptrIxEEEESE_SE_xNS9_4plusIvEENS9_8equal_toIxEExEE10hipError_tPvRmT2_T3_T4_T5_mT6_T7_P12ihipStream_tbENKUlT_T0_E_clISt17integral_constantIbLb1EESZ_EEDaSU_SV_EUlSU_E_NS1_11comp_targetILNS1_3genE3ELNS1_11target_archE908ELNS1_3gpuE7ELNS1_3repE0EEENS1_30default_config_static_selectorELNS0_4arch9wavefront6targetE0EEEvT1_.has_indirect_call, 0
	.section	.AMDGPU.csdata,"",@progbits
; Kernel info:
; codeLenInByte = 0
; TotalNumSgprs: 0
; NumVgprs: 0
; ScratchSize: 0
; MemoryBound: 0
; FloatMode: 240
; IeeeMode: 1
; LDSByteSize: 0 bytes/workgroup (compile time only)
; SGPRBlocks: 0
; VGPRBlocks: 0
; NumSGPRsForWavesPerEU: 1
; NumVGPRsForWavesPerEU: 1
; Occupancy: 16
; WaveLimiterHint : 0
; COMPUTE_PGM_RSRC2:SCRATCH_EN: 0
; COMPUTE_PGM_RSRC2:USER_SGPR: 6
; COMPUTE_PGM_RSRC2:TRAP_HANDLER: 0
; COMPUTE_PGM_RSRC2:TGID_X_EN: 1
; COMPUTE_PGM_RSRC2:TGID_Y_EN: 0
; COMPUTE_PGM_RSRC2:TGID_Z_EN: 0
; COMPUTE_PGM_RSRC2:TIDIG_COMP_CNT: 0
	.section	.text._ZN7rocprim17ROCPRIM_400000_NS6detail17trampoline_kernelINS0_14default_configENS1_27scan_by_key_config_selectorIxxEEZZNS1_16scan_by_key_implILNS1_25lookback_scan_determinismE0ELb0ES3_N6thrust23THRUST_200600_302600_NS6detail15normal_iteratorINS9_10device_ptrIxEEEESE_SE_xNS9_4plusIvEENS9_8equal_toIxEExEE10hipError_tPvRmT2_T3_T4_T5_mT6_T7_P12ihipStream_tbENKUlT_T0_E_clISt17integral_constantIbLb1EESZ_EEDaSU_SV_EUlSU_E_NS1_11comp_targetILNS1_3genE2ELNS1_11target_archE906ELNS1_3gpuE6ELNS1_3repE0EEENS1_30default_config_static_selectorELNS0_4arch9wavefront6targetE0EEEvT1_,"axG",@progbits,_ZN7rocprim17ROCPRIM_400000_NS6detail17trampoline_kernelINS0_14default_configENS1_27scan_by_key_config_selectorIxxEEZZNS1_16scan_by_key_implILNS1_25lookback_scan_determinismE0ELb0ES3_N6thrust23THRUST_200600_302600_NS6detail15normal_iteratorINS9_10device_ptrIxEEEESE_SE_xNS9_4plusIvEENS9_8equal_toIxEExEE10hipError_tPvRmT2_T3_T4_T5_mT6_T7_P12ihipStream_tbENKUlT_T0_E_clISt17integral_constantIbLb1EESZ_EEDaSU_SV_EUlSU_E_NS1_11comp_targetILNS1_3genE2ELNS1_11target_archE906ELNS1_3gpuE6ELNS1_3repE0EEENS1_30default_config_static_selectorELNS0_4arch9wavefront6targetE0EEEvT1_,comdat
	.protected	_ZN7rocprim17ROCPRIM_400000_NS6detail17trampoline_kernelINS0_14default_configENS1_27scan_by_key_config_selectorIxxEEZZNS1_16scan_by_key_implILNS1_25lookback_scan_determinismE0ELb0ES3_N6thrust23THRUST_200600_302600_NS6detail15normal_iteratorINS9_10device_ptrIxEEEESE_SE_xNS9_4plusIvEENS9_8equal_toIxEExEE10hipError_tPvRmT2_T3_T4_T5_mT6_T7_P12ihipStream_tbENKUlT_T0_E_clISt17integral_constantIbLb1EESZ_EEDaSU_SV_EUlSU_E_NS1_11comp_targetILNS1_3genE2ELNS1_11target_archE906ELNS1_3gpuE6ELNS1_3repE0EEENS1_30default_config_static_selectorELNS0_4arch9wavefront6targetE0EEEvT1_ ; -- Begin function _ZN7rocprim17ROCPRIM_400000_NS6detail17trampoline_kernelINS0_14default_configENS1_27scan_by_key_config_selectorIxxEEZZNS1_16scan_by_key_implILNS1_25lookback_scan_determinismE0ELb0ES3_N6thrust23THRUST_200600_302600_NS6detail15normal_iteratorINS9_10device_ptrIxEEEESE_SE_xNS9_4plusIvEENS9_8equal_toIxEExEE10hipError_tPvRmT2_T3_T4_T5_mT6_T7_P12ihipStream_tbENKUlT_T0_E_clISt17integral_constantIbLb1EESZ_EEDaSU_SV_EUlSU_E_NS1_11comp_targetILNS1_3genE2ELNS1_11target_archE906ELNS1_3gpuE6ELNS1_3repE0EEENS1_30default_config_static_selectorELNS0_4arch9wavefront6targetE0EEEvT1_
	.globl	_ZN7rocprim17ROCPRIM_400000_NS6detail17trampoline_kernelINS0_14default_configENS1_27scan_by_key_config_selectorIxxEEZZNS1_16scan_by_key_implILNS1_25lookback_scan_determinismE0ELb0ES3_N6thrust23THRUST_200600_302600_NS6detail15normal_iteratorINS9_10device_ptrIxEEEESE_SE_xNS9_4plusIvEENS9_8equal_toIxEExEE10hipError_tPvRmT2_T3_T4_T5_mT6_T7_P12ihipStream_tbENKUlT_T0_E_clISt17integral_constantIbLb1EESZ_EEDaSU_SV_EUlSU_E_NS1_11comp_targetILNS1_3genE2ELNS1_11target_archE906ELNS1_3gpuE6ELNS1_3repE0EEENS1_30default_config_static_selectorELNS0_4arch9wavefront6targetE0EEEvT1_
	.p2align	8
	.type	_ZN7rocprim17ROCPRIM_400000_NS6detail17trampoline_kernelINS0_14default_configENS1_27scan_by_key_config_selectorIxxEEZZNS1_16scan_by_key_implILNS1_25lookback_scan_determinismE0ELb0ES3_N6thrust23THRUST_200600_302600_NS6detail15normal_iteratorINS9_10device_ptrIxEEEESE_SE_xNS9_4plusIvEENS9_8equal_toIxEExEE10hipError_tPvRmT2_T3_T4_T5_mT6_T7_P12ihipStream_tbENKUlT_T0_E_clISt17integral_constantIbLb1EESZ_EEDaSU_SV_EUlSU_E_NS1_11comp_targetILNS1_3genE2ELNS1_11target_archE906ELNS1_3gpuE6ELNS1_3repE0EEENS1_30default_config_static_selectorELNS0_4arch9wavefront6targetE0EEEvT1_,@function
_ZN7rocprim17ROCPRIM_400000_NS6detail17trampoline_kernelINS0_14default_configENS1_27scan_by_key_config_selectorIxxEEZZNS1_16scan_by_key_implILNS1_25lookback_scan_determinismE0ELb0ES3_N6thrust23THRUST_200600_302600_NS6detail15normal_iteratorINS9_10device_ptrIxEEEESE_SE_xNS9_4plusIvEENS9_8equal_toIxEExEE10hipError_tPvRmT2_T3_T4_T5_mT6_T7_P12ihipStream_tbENKUlT_T0_E_clISt17integral_constantIbLb1EESZ_EEDaSU_SV_EUlSU_E_NS1_11comp_targetILNS1_3genE2ELNS1_11target_archE906ELNS1_3gpuE6ELNS1_3repE0EEENS1_30default_config_static_selectorELNS0_4arch9wavefront6targetE0EEEvT1_: ; @_ZN7rocprim17ROCPRIM_400000_NS6detail17trampoline_kernelINS0_14default_configENS1_27scan_by_key_config_selectorIxxEEZZNS1_16scan_by_key_implILNS1_25lookback_scan_determinismE0ELb0ES3_N6thrust23THRUST_200600_302600_NS6detail15normal_iteratorINS9_10device_ptrIxEEEESE_SE_xNS9_4plusIvEENS9_8equal_toIxEExEE10hipError_tPvRmT2_T3_T4_T5_mT6_T7_P12ihipStream_tbENKUlT_T0_E_clISt17integral_constantIbLb1EESZ_EEDaSU_SV_EUlSU_E_NS1_11comp_targetILNS1_3genE2ELNS1_11target_archE906ELNS1_3gpuE6ELNS1_3repE0EEENS1_30default_config_static_selectorELNS0_4arch9wavefront6targetE0EEEvT1_
; %bb.0:
	.section	.rodata,"a",@progbits
	.p2align	6, 0x0
	.amdhsa_kernel _ZN7rocprim17ROCPRIM_400000_NS6detail17trampoline_kernelINS0_14default_configENS1_27scan_by_key_config_selectorIxxEEZZNS1_16scan_by_key_implILNS1_25lookback_scan_determinismE0ELb0ES3_N6thrust23THRUST_200600_302600_NS6detail15normal_iteratorINS9_10device_ptrIxEEEESE_SE_xNS9_4plusIvEENS9_8equal_toIxEExEE10hipError_tPvRmT2_T3_T4_T5_mT6_T7_P12ihipStream_tbENKUlT_T0_E_clISt17integral_constantIbLb1EESZ_EEDaSU_SV_EUlSU_E_NS1_11comp_targetILNS1_3genE2ELNS1_11target_archE906ELNS1_3gpuE6ELNS1_3repE0EEENS1_30default_config_static_selectorELNS0_4arch9wavefront6targetE0EEEvT1_
		.amdhsa_group_segment_fixed_size 0
		.amdhsa_private_segment_fixed_size 0
		.amdhsa_kernarg_size 136
		.amdhsa_user_sgpr_count 6
		.amdhsa_user_sgpr_private_segment_buffer 1
		.amdhsa_user_sgpr_dispatch_ptr 0
		.amdhsa_user_sgpr_queue_ptr 0
		.amdhsa_user_sgpr_kernarg_segment_ptr 1
		.amdhsa_user_sgpr_dispatch_id 0
		.amdhsa_user_sgpr_flat_scratch_init 0
		.amdhsa_user_sgpr_private_segment_size 0
		.amdhsa_wavefront_size32 1
		.amdhsa_uses_dynamic_stack 0
		.amdhsa_system_sgpr_private_segment_wavefront_offset 0
		.amdhsa_system_sgpr_workgroup_id_x 1
		.amdhsa_system_sgpr_workgroup_id_y 0
		.amdhsa_system_sgpr_workgroup_id_z 0
		.amdhsa_system_sgpr_workgroup_info 0
		.amdhsa_system_vgpr_workitem_id 0
		.amdhsa_next_free_vgpr 1
		.amdhsa_next_free_sgpr 1
		.amdhsa_reserve_vcc 0
		.amdhsa_reserve_flat_scratch 0
		.amdhsa_float_round_mode_32 0
		.amdhsa_float_round_mode_16_64 0
		.amdhsa_float_denorm_mode_32 3
		.amdhsa_float_denorm_mode_16_64 3
		.amdhsa_dx10_clamp 1
		.amdhsa_ieee_mode 1
		.amdhsa_fp16_overflow 0
		.amdhsa_workgroup_processor_mode 1
		.amdhsa_memory_ordered 1
		.amdhsa_forward_progress 1
		.amdhsa_shared_vgpr_count 0
		.amdhsa_exception_fp_ieee_invalid_op 0
		.amdhsa_exception_fp_denorm_src 0
		.amdhsa_exception_fp_ieee_div_zero 0
		.amdhsa_exception_fp_ieee_overflow 0
		.amdhsa_exception_fp_ieee_underflow 0
		.amdhsa_exception_fp_ieee_inexact 0
		.amdhsa_exception_int_div_zero 0
	.end_amdhsa_kernel
	.section	.text._ZN7rocprim17ROCPRIM_400000_NS6detail17trampoline_kernelINS0_14default_configENS1_27scan_by_key_config_selectorIxxEEZZNS1_16scan_by_key_implILNS1_25lookback_scan_determinismE0ELb0ES3_N6thrust23THRUST_200600_302600_NS6detail15normal_iteratorINS9_10device_ptrIxEEEESE_SE_xNS9_4plusIvEENS9_8equal_toIxEExEE10hipError_tPvRmT2_T3_T4_T5_mT6_T7_P12ihipStream_tbENKUlT_T0_E_clISt17integral_constantIbLb1EESZ_EEDaSU_SV_EUlSU_E_NS1_11comp_targetILNS1_3genE2ELNS1_11target_archE906ELNS1_3gpuE6ELNS1_3repE0EEENS1_30default_config_static_selectorELNS0_4arch9wavefront6targetE0EEEvT1_,"axG",@progbits,_ZN7rocprim17ROCPRIM_400000_NS6detail17trampoline_kernelINS0_14default_configENS1_27scan_by_key_config_selectorIxxEEZZNS1_16scan_by_key_implILNS1_25lookback_scan_determinismE0ELb0ES3_N6thrust23THRUST_200600_302600_NS6detail15normal_iteratorINS9_10device_ptrIxEEEESE_SE_xNS9_4plusIvEENS9_8equal_toIxEExEE10hipError_tPvRmT2_T3_T4_T5_mT6_T7_P12ihipStream_tbENKUlT_T0_E_clISt17integral_constantIbLb1EESZ_EEDaSU_SV_EUlSU_E_NS1_11comp_targetILNS1_3genE2ELNS1_11target_archE906ELNS1_3gpuE6ELNS1_3repE0EEENS1_30default_config_static_selectorELNS0_4arch9wavefront6targetE0EEEvT1_,comdat
.Lfunc_end97:
	.size	_ZN7rocprim17ROCPRIM_400000_NS6detail17trampoline_kernelINS0_14default_configENS1_27scan_by_key_config_selectorIxxEEZZNS1_16scan_by_key_implILNS1_25lookback_scan_determinismE0ELb0ES3_N6thrust23THRUST_200600_302600_NS6detail15normal_iteratorINS9_10device_ptrIxEEEESE_SE_xNS9_4plusIvEENS9_8equal_toIxEExEE10hipError_tPvRmT2_T3_T4_T5_mT6_T7_P12ihipStream_tbENKUlT_T0_E_clISt17integral_constantIbLb1EESZ_EEDaSU_SV_EUlSU_E_NS1_11comp_targetILNS1_3genE2ELNS1_11target_archE906ELNS1_3gpuE6ELNS1_3repE0EEENS1_30default_config_static_selectorELNS0_4arch9wavefront6targetE0EEEvT1_, .Lfunc_end97-_ZN7rocprim17ROCPRIM_400000_NS6detail17trampoline_kernelINS0_14default_configENS1_27scan_by_key_config_selectorIxxEEZZNS1_16scan_by_key_implILNS1_25lookback_scan_determinismE0ELb0ES3_N6thrust23THRUST_200600_302600_NS6detail15normal_iteratorINS9_10device_ptrIxEEEESE_SE_xNS9_4plusIvEENS9_8equal_toIxEExEE10hipError_tPvRmT2_T3_T4_T5_mT6_T7_P12ihipStream_tbENKUlT_T0_E_clISt17integral_constantIbLb1EESZ_EEDaSU_SV_EUlSU_E_NS1_11comp_targetILNS1_3genE2ELNS1_11target_archE906ELNS1_3gpuE6ELNS1_3repE0EEENS1_30default_config_static_selectorELNS0_4arch9wavefront6targetE0EEEvT1_
                                        ; -- End function
	.set _ZN7rocprim17ROCPRIM_400000_NS6detail17trampoline_kernelINS0_14default_configENS1_27scan_by_key_config_selectorIxxEEZZNS1_16scan_by_key_implILNS1_25lookback_scan_determinismE0ELb0ES3_N6thrust23THRUST_200600_302600_NS6detail15normal_iteratorINS9_10device_ptrIxEEEESE_SE_xNS9_4plusIvEENS9_8equal_toIxEExEE10hipError_tPvRmT2_T3_T4_T5_mT6_T7_P12ihipStream_tbENKUlT_T0_E_clISt17integral_constantIbLb1EESZ_EEDaSU_SV_EUlSU_E_NS1_11comp_targetILNS1_3genE2ELNS1_11target_archE906ELNS1_3gpuE6ELNS1_3repE0EEENS1_30default_config_static_selectorELNS0_4arch9wavefront6targetE0EEEvT1_.num_vgpr, 0
	.set _ZN7rocprim17ROCPRIM_400000_NS6detail17trampoline_kernelINS0_14default_configENS1_27scan_by_key_config_selectorIxxEEZZNS1_16scan_by_key_implILNS1_25lookback_scan_determinismE0ELb0ES3_N6thrust23THRUST_200600_302600_NS6detail15normal_iteratorINS9_10device_ptrIxEEEESE_SE_xNS9_4plusIvEENS9_8equal_toIxEExEE10hipError_tPvRmT2_T3_T4_T5_mT6_T7_P12ihipStream_tbENKUlT_T0_E_clISt17integral_constantIbLb1EESZ_EEDaSU_SV_EUlSU_E_NS1_11comp_targetILNS1_3genE2ELNS1_11target_archE906ELNS1_3gpuE6ELNS1_3repE0EEENS1_30default_config_static_selectorELNS0_4arch9wavefront6targetE0EEEvT1_.num_agpr, 0
	.set _ZN7rocprim17ROCPRIM_400000_NS6detail17trampoline_kernelINS0_14default_configENS1_27scan_by_key_config_selectorIxxEEZZNS1_16scan_by_key_implILNS1_25lookback_scan_determinismE0ELb0ES3_N6thrust23THRUST_200600_302600_NS6detail15normal_iteratorINS9_10device_ptrIxEEEESE_SE_xNS9_4plusIvEENS9_8equal_toIxEExEE10hipError_tPvRmT2_T3_T4_T5_mT6_T7_P12ihipStream_tbENKUlT_T0_E_clISt17integral_constantIbLb1EESZ_EEDaSU_SV_EUlSU_E_NS1_11comp_targetILNS1_3genE2ELNS1_11target_archE906ELNS1_3gpuE6ELNS1_3repE0EEENS1_30default_config_static_selectorELNS0_4arch9wavefront6targetE0EEEvT1_.numbered_sgpr, 0
	.set _ZN7rocprim17ROCPRIM_400000_NS6detail17trampoline_kernelINS0_14default_configENS1_27scan_by_key_config_selectorIxxEEZZNS1_16scan_by_key_implILNS1_25lookback_scan_determinismE0ELb0ES3_N6thrust23THRUST_200600_302600_NS6detail15normal_iteratorINS9_10device_ptrIxEEEESE_SE_xNS9_4plusIvEENS9_8equal_toIxEExEE10hipError_tPvRmT2_T3_T4_T5_mT6_T7_P12ihipStream_tbENKUlT_T0_E_clISt17integral_constantIbLb1EESZ_EEDaSU_SV_EUlSU_E_NS1_11comp_targetILNS1_3genE2ELNS1_11target_archE906ELNS1_3gpuE6ELNS1_3repE0EEENS1_30default_config_static_selectorELNS0_4arch9wavefront6targetE0EEEvT1_.num_named_barrier, 0
	.set _ZN7rocprim17ROCPRIM_400000_NS6detail17trampoline_kernelINS0_14default_configENS1_27scan_by_key_config_selectorIxxEEZZNS1_16scan_by_key_implILNS1_25lookback_scan_determinismE0ELb0ES3_N6thrust23THRUST_200600_302600_NS6detail15normal_iteratorINS9_10device_ptrIxEEEESE_SE_xNS9_4plusIvEENS9_8equal_toIxEExEE10hipError_tPvRmT2_T3_T4_T5_mT6_T7_P12ihipStream_tbENKUlT_T0_E_clISt17integral_constantIbLb1EESZ_EEDaSU_SV_EUlSU_E_NS1_11comp_targetILNS1_3genE2ELNS1_11target_archE906ELNS1_3gpuE6ELNS1_3repE0EEENS1_30default_config_static_selectorELNS0_4arch9wavefront6targetE0EEEvT1_.private_seg_size, 0
	.set _ZN7rocprim17ROCPRIM_400000_NS6detail17trampoline_kernelINS0_14default_configENS1_27scan_by_key_config_selectorIxxEEZZNS1_16scan_by_key_implILNS1_25lookback_scan_determinismE0ELb0ES3_N6thrust23THRUST_200600_302600_NS6detail15normal_iteratorINS9_10device_ptrIxEEEESE_SE_xNS9_4plusIvEENS9_8equal_toIxEExEE10hipError_tPvRmT2_T3_T4_T5_mT6_T7_P12ihipStream_tbENKUlT_T0_E_clISt17integral_constantIbLb1EESZ_EEDaSU_SV_EUlSU_E_NS1_11comp_targetILNS1_3genE2ELNS1_11target_archE906ELNS1_3gpuE6ELNS1_3repE0EEENS1_30default_config_static_selectorELNS0_4arch9wavefront6targetE0EEEvT1_.uses_vcc, 0
	.set _ZN7rocprim17ROCPRIM_400000_NS6detail17trampoline_kernelINS0_14default_configENS1_27scan_by_key_config_selectorIxxEEZZNS1_16scan_by_key_implILNS1_25lookback_scan_determinismE0ELb0ES3_N6thrust23THRUST_200600_302600_NS6detail15normal_iteratorINS9_10device_ptrIxEEEESE_SE_xNS9_4plusIvEENS9_8equal_toIxEExEE10hipError_tPvRmT2_T3_T4_T5_mT6_T7_P12ihipStream_tbENKUlT_T0_E_clISt17integral_constantIbLb1EESZ_EEDaSU_SV_EUlSU_E_NS1_11comp_targetILNS1_3genE2ELNS1_11target_archE906ELNS1_3gpuE6ELNS1_3repE0EEENS1_30default_config_static_selectorELNS0_4arch9wavefront6targetE0EEEvT1_.uses_flat_scratch, 0
	.set _ZN7rocprim17ROCPRIM_400000_NS6detail17trampoline_kernelINS0_14default_configENS1_27scan_by_key_config_selectorIxxEEZZNS1_16scan_by_key_implILNS1_25lookback_scan_determinismE0ELb0ES3_N6thrust23THRUST_200600_302600_NS6detail15normal_iteratorINS9_10device_ptrIxEEEESE_SE_xNS9_4plusIvEENS9_8equal_toIxEExEE10hipError_tPvRmT2_T3_T4_T5_mT6_T7_P12ihipStream_tbENKUlT_T0_E_clISt17integral_constantIbLb1EESZ_EEDaSU_SV_EUlSU_E_NS1_11comp_targetILNS1_3genE2ELNS1_11target_archE906ELNS1_3gpuE6ELNS1_3repE0EEENS1_30default_config_static_selectorELNS0_4arch9wavefront6targetE0EEEvT1_.has_dyn_sized_stack, 0
	.set _ZN7rocprim17ROCPRIM_400000_NS6detail17trampoline_kernelINS0_14default_configENS1_27scan_by_key_config_selectorIxxEEZZNS1_16scan_by_key_implILNS1_25lookback_scan_determinismE0ELb0ES3_N6thrust23THRUST_200600_302600_NS6detail15normal_iteratorINS9_10device_ptrIxEEEESE_SE_xNS9_4plusIvEENS9_8equal_toIxEExEE10hipError_tPvRmT2_T3_T4_T5_mT6_T7_P12ihipStream_tbENKUlT_T0_E_clISt17integral_constantIbLb1EESZ_EEDaSU_SV_EUlSU_E_NS1_11comp_targetILNS1_3genE2ELNS1_11target_archE906ELNS1_3gpuE6ELNS1_3repE0EEENS1_30default_config_static_selectorELNS0_4arch9wavefront6targetE0EEEvT1_.has_recursion, 0
	.set _ZN7rocprim17ROCPRIM_400000_NS6detail17trampoline_kernelINS0_14default_configENS1_27scan_by_key_config_selectorIxxEEZZNS1_16scan_by_key_implILNS1_25lookback_scan_determinismE0ELb0ES3_N6thrust23THRUST_200600_302600_NS6detail15normal_iteratorINS9_10device_ptrIxEEEESE_SE_xNS9_4plusIvEENS9_8equal_toIxEExEE10hipError_tPvRmT2_T3_T4_T5_mT6_T7_P12ihipStream_tbENKUlT_T0_E_clISt17integral_constantIbLb1EESZ_EEDaSU_SV_EUlSU_E_NS1_11comp_targetILNS1_3genE2ELNS1_11target_archE906ELNS1_3gpuE6ELNS1_3repE0EEENS1_30default_config_static_selectorELNS0_4arch9wavefront6targetE0EEEvT1_.has_indirect_call, 0
	.section	.AMDGPU.csdata,"",@progbits
; Kernel info:
; codeLenInByte = 0
; TotalNumSgprs: 0
; NumVgprs: 0
; ScratchSize: 0
; MemoryBound: 0
; FloatMode: 240
; IeeeMode: 1
; LDSByteSize: 0 bytes/workgroup (compile time only)
; SGPRBlocks: 0
; VGPRBlocks: 0
; NumSGPRsForWavesPerEU: 1
; NumVGPRsForWavesPerEU: 1
; Occupancy: 16
; WaveLimiterHint : 0
; COMPUTE_PGM_RSRC2:SCRATCH_EN: 0
; COMPUTE_PGM_RSRC2:USER_SGPR: 6
; COMPUTE_PGM_RSRC2:TRAP_HANDLER: 0
; COMPUTE_PGM_RSRC2:TGID_X_EN: 1
; COMPUTE_PGM_RSRC2:TGID_Y_EN: 0
; COMPUTE_PGM_RSRC2:TGID_Z_EN: 0
; COMPUTE_PGM_RSRC2:TIDIG_COMP_CNT: 0
	.section	.text._ZN7rocprim17ROCPRIM_400000_NS6detail17trampoline_kernelINS0_14default_configENS1_27scan_by_key_config_selectorIxxEEZZNS1_16scan_by_key_implILNS1_25lookback_scan_determinismE0ELb0ES3_N6thrust23THRUST_200600_302600_NS6detail15normal_iteratorINS9_10device_ptrIxEEEESE_SE_xNS9_4plusIvEENS9_8equal_toIxEExEE10hipError_tPvRmT2_T3_T4_T5_mT6_T7_P12ihipStream_tbENKUlT_T0_E_clISt17integral_constantIbLb1EESZ_EEDaSU_SV_EUlSU_E_NS1_11comp_targetILNS1_3genE10ELNS1_11target_archE1200ELNS1_3gpuE4ELNS1_3repE0EEENS1_30default_config_static_selectorELNS0_4arch9wavefront6targetE0EEEvT1_,"axG",@progbits,_ZN7rocprim17ROCPRIM_400000_NS6detail17trampoline_kernelINS0_14default_configENS1_27scan_by_key_config_selectorIxxEEZZNS1_16scan_by_key_implILNS1_25lookback_scan_determinismE0ELb0ES3_N6thrust23THRUST_200600_302600_NS6detail15normal_iteratorINS9_10device_ptrIxEEEESE_SE_xNS9_4plusIvEENS9_8equal_toIxEExEE10hipError_tPvRmT2_T3_T4_T5_mT6_T7_P12ihipStream_tbENKUlT_T0_E_clISt17integral_constantIbLb1EESZ_EEDaSU_SV_EUlSU_E_NS1_11comp_targetILNS1_3genE10ELNS1_11target_archE1200ELNS1_3gpuE4ELNS1_3repE0EEENS1_30default_config_static_selectorELNS0_4arch9wavefront6targetE0EEEvT1_,comdat
	.protected	_ZN7rocprim17ROCPRIM_400000_NS6detail17trampoline_kernelINS0_14default_configENS1_27scan_by_key_config_selectorIxxEEZZNS1_16scan_by_key_implILNS1_25lookback_scan_determinismE0ELb0ES3_N6thrust23THRUST_200600_302600_NS6detail15normal_iteratorINS9_10device_ptrIxEEEESE_SE_xNS9_4plusIvEENS9_8equal_toIxEExEE10hipError_tPvRmT2_T3_T4_T5_mT6_T7_P12ihipStream_tbENKUlT_T0_E_clISt17integral_constantIbLb1EESZ_EEDaSU_SV_EUlSU_E_NS1_11comp_targetILNS1_3genE10ELNS1_11target_archE1200ELNS1_3gpuE4ELNS1_3repE0EEENS1_30default_config_static_selectorELNS0_4arch9wavefront6targetE0EEEvT1_ ; -- Begin function _ZN7rocprim17ROCPRIM_400000_NS6detail17trampoline_kernelINS0_14default_configENS1_27scan_by_key_config_selectorIxxEEZZNS1_16scan_by_key_implILNS1_25lookback_scan_determinismE0ELb0ES3_N6thrust23THRUST_200600_302600_NS6detail15normal_iteratorINS9_10device_ptrIxEEEESE_SE_xNS9_4plusIvEENS9_8equal_toIxEExEE10hipError_tPvRmT2_T3_T4_T5_mT6_T7_P12ihipStream_tbENKUlT_T0_E_clISt17integral_constantIbLb1EESZ_EEDaSU_SV_EUlSU_E_NS1_11comp_targetILNS1_3genE10ELNS1_11target_archE1200ELNS1_3gpuE4ELNS1_3repE0EEENS1_30default_config_static_selectorELNS0_4arch9wavefront6targetE0EEEvT1_
	.globl	_ZN7rocprim17ROCPRIM_400000_NS6detail17trampoline_kernelINS0_14default_configENS1_27scan_by_key_config_selectorIxxEEZZNS1_16scan_by_key_implILNS1_25lookback_scan_determinismE0ELb0ES3_N6thrust23THRUST_200600_302600_NS6detail15normal_iteratorINS9_10device_ptrIxEEEESE_SE_xNS9_4plusIvEENS9_8equal_toIxEExEE10hipError_tPvRmT2_T3_T4_T5_mT6_T7_P12ihipStream_tbENKUlT_T0_E_clISt17integral_constantIbLb1EESZ_EEDaSU_SV_EUlSU_E_NS1_11comp_targetILNS1_3genE10ELNS1_11target_archE1200ELNS1_3gpuE4ELNS1_3repE0EEENS1_30default_config_static_selectorELNS0_4arch9wavefront6targetE0EEEvT1_
	.p2align	8
	.type	_ZN7rocprim17ROCPRIM_400000_NS6detail17trampoline_kernelINS0_14default_configENS1_27scan_by_key_config_selectorIxxEEZZNS1_16scan_by_key_implILNS1_25lookback_scan_determinismE0ELb0ES3_N6thrust23THRUST_200600_302600_NS6detail15normal_iteratorINS9_10device_ptrIxEEEESE_SE_xNS9_4plusIvEENS9_8equal_toIxEExEE10hipError_tPvRmT2_T3_T4_T5_mT6_T7_P12ihipStream_tbENKUlT_T0_E_clISt17integral_constantIbLb1EESZ_EEDaSU_SV_EUlSU_E_NS1_11comp_targetILNS1_3genE10ELNS1_11target_archE1200ELNS1_3gpuE4ELNS1_3repE0EEENS1_30default_config_static_selectorELNS0_4arch9wavefront6targetE0EEEvT1_,@function
_ZN7rocprim17ROCPRIM_400000_NS6detail17trampoline_kernelINS0_14default_configENS1_27scan_by_key_config_selectorIxxEEZZNS1_16scan_by_key_implILNS1_25lookback_scan_determinismE0ELb0ES3_N6thrust23THRUST_200600_302600_NS6detail15normal_iteratorINS9_10device_ptrIxEEEESE_SE_xNS9_4plusIvEENS9_8equal_toIxEExEE10hipError_tPvRmT2_T3_T4_T5_mT6_T7_P12ihipStream_tbENKUlT_T0_E_clISt17integral_constantIbLb1EESZ_EEDaSU_SV_EUlSU_E_NS1_11comp_targetILNS1_3genE10ELNS1_11target_archE1200ELNS1_3gpuE4ELNS1_3repE0EEENS1_30default_config_static_selectorELNS0_4arch9wavefront6targetE0EEEvT1_: ; @_ZN7rocprim17ROCPRIM_400000_NS6detail17trampoline_kernelINS0_14default_configENS1_27scan_by_key_config_selectorIxxEEZZNS1_16scan_by_key_implILNS1_25lookback_scan_determinismE0ELb0ES3_N6thrust23THRUST_200600_302600_NS6detail15normal_iteratorINS9_10device_ptrIxEEEESE_SE_xNS9_4plusIvEENS9_8equal_toIxEExEE10hipError_tPvRmT2_T3_T4_T5_mT6_T7_P12ihipStream_tbENKUlT_T0_E_clISt17integral_constantIbLb1EESZ_EEDaSU_SV_EUlSU_E_NS1_11comp_targetILNS1_3genE10ELNS1_11target_archE1200ELNS1_3gpuE4ELNS1_3repE0EEENS1_30default_config_static_selectorELNS0_4arch9wavefront6targetE0EEEvT1_
; %bb.0:
	.section	.rodata,"a",@progbits
	.p2align	6, 0x0
	.amdhsa_kernel _ZN7rocprim17ROCPRIM_400000_NS6detail17trampoline_kernelINS0_14default_configENS1_27scan_by_key_config_selectorIxxEEZZNS1_16scan_by_key_implILNS1_25lookback_scan_determinismE0ELb0ES3_N6thrust23THRUST_200600_302600_NS6detail15normal_iteratorINS9_10device_ptrIxEEEESE_SE_xNS9_4plusIvEENS9_8equal_toIxEExEE10hipError_tPvRmT2_T3_T4_T5_mT6_T7_P12ihipStream_tbENKUlT_T0_E_clISt17integral_constantIbLb1EESZ_EEDaSU_SV_EUlSU_E_NS1_11comp_targetILNS1_3genE10ELNS1_11target_archE1200ELNS1_3gpuE4ELNS1_3repE0EEENS1_30default_config_static_selectorELNS0_4arch9wavefront6targetE0EEEvT1_
		.amdhsa_group_segment_fixed_size 0
		.amdhsa_private_segment_fixed_size 0
		.amdhsa_kernarg_size 136
		.amdhsa_user_sgpr_count 6
		.amdhsa_user_sgpr_private_segment_buffer 1
		.amdhsa_user_sgpr_dispatch_ptr 0
		.amdhsa_user_sgpr_queue_ptr 0
		.amdhsa_user_sgpr_kernarg_segment_ptr 1
		.amdhsa_user_sgpr_dispatch_id 0
		.amdhsa_user_sgpr_flat_scratch_init 0
		.amdhsa_user_sgpr_private_segment_size 0
		.amdhsa_wavefront_size32 1
		.amdhsa_uses_dynamic_stack 0
		.amdhsa_system_sgpr_private_segment_wavefront_offset 0
		.amdhsa_system_sgpr_workgroup_id_x 1
		.amdhsa_system_sgpr_workgroup_id_y 0
		.amdhsa_system_sgpr_workgroup_id_z 0
		.amdhsa_system_sgpr_workgroup_info 0
		.amdhsa_system_vgpr_workitem_id 0
		.amdhsa_next_free_vgpr 1
		.amdhsa_next_free_sgpr 1
		.amdhsa_reserve_vcc 0
		.amdhsa_reserve_flat_scratch 0
		.amdhsa_float_round_mode_32 0
		.amdhsa_float_round_mode_16_64 0
		.amdhsa_float_denorm_mode_32 3
		.amdhsa_float_denorm_mode_16_64 3
		.amdhsa_dx10_clamp 1
		.amdhsa_ieee_mode 1
		.amdhsa_fp16_overflow 0
		.amdhsa_workgroup_processor_mode 1
		.amdhsa_memory_ordered 1
		.amdhsa_forward_progress 1
		.amdhsa_shared_vgpr_count 0
		.amdhsa_exception_fp_ieee_invalid_op 0
		.amdhsa_exception_fp_denorm_src 0
		.amdhsa_exception_fp_ieee_div_zero 0
		.amdhsa_exception_fp_ieee_overflow 0
		.amdhsa_exception_fp_ieee_underflow 0
		.amdhsa_exception_fp_ieee_inexact 0
		.amdhsa_exception_int_div_zero 0
	.end_amdhsa_kernel
	.section	.text._ZN7rocprim17ROCPRIM_400000_NS6detail17trampoline_kernelINS0_14default_configENS1_27scan_by_key_config_selectorIxxEEZZNS1_16scan_by_key_implILNS1_25lookback_scan_determinismE0ELb0ES3_N6thrust23THRUST_200600_302600_NS6detail15normal_iteratorINS9_10device_ptrIxEEEESE_SE_xNS9_4plusIvEENS9_8equal_toIxEExEE10hipError_tPvRmT2_T3_T4_T5_mT6_T7_P12ihipStream_tbENKUlT_T0_E_clISt17integral_constantIbLb1EESZ_EEDaSU_SV_EUlSU_E_NS1_11comp_targetILNS1_3genE10ELNS1_11target_archE1200ELNS1_3gpuE4ELNS1_3repE0EEENS1_30default_config_static_selectorELNS0_4arch9wavefront6targetE0EEEvT1_,"axG",@progbits,_ZN7rocprim17ROCPRIM_400000_NS6detail17trampoline_kernelINS0_14default_configENS1_27scan_by_key_config_selectorIxxEEZZNS1_16scan_by_key_implILNS1_25lookback_scan_determinismE0ELb0ES3_N6thrust23THRUST_200600_302600_NS6detail15normal_iteratorINS9_10device_ptrIxEEEESE_SE_xNS9_4plusIvEENS9_8equal_toIxEExEE10hipError_tPvRmT2_T3_T4_T5_mT6_T7_P12ihipStream_tbENKUlT_T0_E_clISt17integral_constantIbLb1EESZ_EEDaSU_SV_EUlSU_E_NS1_11comp_targetILNS1_3genE10ELNS1_11target_archE1200ELNS1_3gpuE4ELNS1_3repE0EEENS1_30default_config_static_selectorELNS0_4arch9wavefront6targetE0EEEvT1_,comdat
.Lfunc_end98:
	.size	_ZN7rocprim17ROCPRIM_400000_NS6detail17trampoline_kernelINS0_14default_configENS1_27scan_by_key_config_selectorIxxEEZZNS1_16scan_by_key_implILNS1_25lookback_scan_determinismE0ELb0ES3_N6thrust23THRUST_200600_302600_NS6detail15normal_iteratorINS9_10device_ptrIxEEEESE_SE_xNS9_4plusIvEENS9_8equal_toIxEExEE10hipError_tPvRmT2_T3_T4_T5_mT6_T7_P12ihipStream_tbENKUlT_T0_E_clISt17integral_constantIbLb1EESZ_EEDaSU_SV_EUlSU_E_NS1_11comp_targetILNS1_3genE10ELNS1_11target_archE1200ELNS1_3gpuE4ELNS1_3repE0EEENS1_30default_config_static_selectorELNS0_4arch9wavefront6targetE0EEEvT1_, .Lfunc_end98-_ZN7rocprim17ROCPRIM_400000_NS6detail17trampoline_kernelINS0_14default_configENS1_27scan_by_key_config_selectorIxxEEZZNS1_16scan_by_key_implILNS1_25lookback_scan_determinismE0ELb0ES3_N6thrust23THRUST_200600_302600_NS6detail15normal_iteratorINS9_10device_ptrIxEEEESE_SE_xNS9_4plusIvEENS9_8equal_toIxEExEE10hipError_tPvRmT2_T3_T4_T5_mT6_T7_P12ihipStream_tbENKUlT_T0_E_clISt17integral_constantIbLb1EESZ_EEDaSU_SV_EUlSU_E_NS1_11comp_targetILNS1_3genE10ELNS1_11target_archE1200ELNS1_3gpuE4ELNS1_3repE0EEENS1_30default_config_static_selectorELNS0_4arch9wavefront6targetE0EEEvT1_
                                        ; -- End function
	.set _ZN7rocprim17ROCPRIM_400000_NS6detail17trampoline_kernelINS0_14default_configENS1_27scan_by_key_config_selectorIxxEEZZNS1_16scan_by_key_implILNS1_25lookback_scan_determinismE0ELb0ES3_N6thrust23THRUST_200600_302600_NS6detail15normal_iteratorINS9_10device_ptrIxEEEESE_SE_xNS9_4plusIvEENS9_8equal_toIxEExEE10hipError_tPvRmT2_T3_T4_T5_mT6_T7_P12ihipStream_tbENKUlT_T0_E_clISt17integral_constantIbLb1EESZ_EEDaSU_SV_EUlSU_E_NS1_11comp_targetILNS1_3genE10ELNS1_11target_archE1200ELNS1_3gpuE4ELNS1_3repE0EEENS1_30default_config_static_selectorELNS0_4arch9wavefront6targetE0EEEvT1_.num_vgpr, 0
	.set _ZN7rocprim17ROCPRIM_400000_NS6detail17trampoline_kernelINS0_14default_configENS1_27scan_by_key_config_selectorIxxEEZZNS1_16scan_by_key_implILNS1_25lookback_scan_determinismE0ELb0ES3_N6thrust23THRUST_200600_302600_NS6detail15normal_iteratorINS9_10device_ptrIxEEEESE_SE_xNS9_4plusIvEENS9_8equal_toIxEExEE10hipError_tPvRmT2_T3_T4_T5_mT6_T7_P12ihipStream_tbENKUlT_T0_E_clISt17integral_constantIbLb1EESZ_EEDaSU_SV_EUlSU_E_NS1_11comp_targetILNS1_3genE10ELNS1_11target_archE1200ELNS1_3gpuE4ELNS1_3repE0EEENS1_30default_config_static_selectorELNS0_4arch9wavefront6targetE0EEEvT1_.num_agpr, 0
	.set _ZN7rocprim17ROCPRIM_400000_NS6detail17trampoline_kernelINS0_14default_configENS1_27scan_by_key_config_selectorIxxEEZZNS1_16scan_by_key_implILNS1_25lookback_scan_determinismE0ELb0ES3_N6thrust23THRUST_200600_302600_NS6detail15normal_iteratorINS9_10device_ptrIxEEEESE_SE_xNS9_4plusIvEENS9_8equal_toIxEExEE10hipError_tPvRmT2_T3_T4_T5_mT6_T7_P12ihipStream_tbENKUlT_T0_E_clISt17integral_constantIbLb1EESZ_EEDaSU_SV_EUlSU_E_NS1_11comp_targetILNS1_3genE10ELNS1_11target_archE1200ELNS1_3gpuE4ELNS1_3repE0EEENS1_30default_config_static_selectorELNS0_4arch9wavefront6targetE0EEEvT1_.numbered_sgpr, 0
	.set _ZN7rocprim17ROCPRIM_400000_NS6detail17trampoline_kernelINS0_14default_configENS1_27scan_by_key_config_selectorIxxEEZZNS1_16scan_by_key_implILNS1_25lookback_scan_determinismE0ELb0ES3_N6thrust23THRUST_200600_302600_NS6detail15normal_iteratorINS9_10device_ptrIxEEEESE_SE_xNS9_4plusIvEENS9_8equal_toIxEExEE10hipError_tPvRmT2_T3_T4_T5_mT6_T7_P12ihipStream_tbENKUlT_T0_E_clISt17integral_constantIbLb1EESZ_EEDaSU_SV_EUlSU_E_NS1_11comp_targetILNS1_3genE10ELNS1_11target_archE1200ELNS1_3gpuE4ELNS1_3repE0EEENS1_30default_config_static_selectorELNS0_4arch9wavefront6targetE0EEEvT1_.num_named_barrier, 0
	.set _ZN7rocprim17ROCPRIM_400000_NS6detail17trampoline_kernelINS0_14default_configENS1_27scan_by_key_config_selectorIxxEEZZNS1_16scan_by_key_implILNS1_25lookback_scan_determinismE0ELb0ES3_N6thrust23THRUST_200600_302600_NS6detail15normal_iteratorINS9_10device_ptrIxEEEESE_SE_xNS9_4plusIvEENS9_8equal_toIxEExEE10hipError_tPvRmT2_T3_T4_T5_mT6_T7_P12ihipStream_tbENKUlT_T0_E_clISt17integral_constantIbLb1EESZ_EEDaSU_SV_EUlSU_E_NS1_11comp_targetILNS1_3genE10ELNS1_11target_archE1200ELNS1_3gpuE4ELNS1_3repE0EEENS1_30default_config_static_selectorELNS0_4arch9wavefront6targetE0EEEvT1_.private_seg_size, 0
	.set _ZN7rocprim17ROCPRIM_400000_NS6detail17trampoline_kernelINS0_14default_configENS1_27scan_by_key_config_selectorIxxEEZZNS1_16scan_by_key_implILNS1_25lookback_scan_determinismE0ELb0ES3_N6thrust23THRUST_200600_302600_NS6detail15normal_iteratorINS9_10device_ptrIxEEEESE_SE_xNS9_4plusIvEENS9_8equal_toIxEExEE10hipError_tPvRmT2_T3_T4_T5_mT6_T7_P12ihipStream_tbENKUlT_T0_E_clISt17integral_constantIbLb1EESZ_EEDaSU_SV_EUlSU_E_NS1_11comp_targetILNS1_3genE10ELNS1_11target_archE1200ELNS1_3gpuE4ELNS1_3repE0EEENS1_30default_config_static_selectorELNS0_4arch9wavefront6targetE0EEEvT1_.uses_vcc, 0
	.set _ZN7rocprim17ROCPRIM_400000_NS6detail17trampoline_kernelINS0_14default_configENS1_27scan_by_key_config_selectorIxxEEZZNS1_16scan_by_key_implILNS1_25lookback_scan_determinismE0ELb0ES3_N6thrust23THRUST_200600_302600_NS6detail15normal_iteratorINS9_10device_ptrIxEEEESE_SE_xNS9_4plusIvEENS9_8equal_toIxEExEE10hipError_tPvRmT2_T3_T4_T5_mT6_T7_P12ihipStream_tbENKUlT_T0_E_clISt17integral_constantIbLb1EESZ_EEDaSU_SV_EUlSU_E_NS1_11comp_targetILNS1_3genE10ELNS1_11target_archE1200ELNS1_3gpuE4ELNS1_3repE0EEENS1_30default_config_static_selectorELNS0_4arch9wavefront6targetE0EEEvT1_.uses_flat_scratch, 0
	.set _ZN7rocprim17ROCPRIM_400000_NS6detail17trampoline_kernelINS0_14default_configENS1_27scan_by_key_config_selectorIxxEEZZNS1_16scan_by_key_implILNS1_25lookback_scan_determinismE0ELb0ES3_N6thrust23THRUST_200600_302600_NS6detail15normal_iteratorINS9_10device_ptrIxEEEESE_SE_xNS9_4plusIvEENS9_8equal_toIxEExEE10hipError_tPvRmT2_T3_T4_T5_mT6_T7_P12ihipStream_tbENKUlT_T0_E_clISt17integral_constantIbLb1EESZ_EEDaSU_SV_EUlSU_E_NS1_11comp_targetILNS1_3genE10ELNS1_11target_archE1200ELNS1_3gpuE4ELNS1_3repE0EEENS1_30default_config_static_selectorELNS0_4arch9wavefront6targetE0EEEvT1_.has_dyn_sized_stack, 0
	.set _ZN7rocprim17ROCPRIM_400000_NS6detail17trampoline_kernelINS0_14default_configENS1_27scan_by_key_config_selectorIxxEEZZNS1_16scan_by_key_implILNS1_25lookback_scan_determinismE0ELb0ES3_N6thrust23THRUST_200600_302600_NS6detail15normal_iteratorINS9_10device_ptrIxEEEESE_SE_xNS9_4plusIvEENS9_8equal_toIxEExEE10hipError_tPvRmT2_T3_T4_T5_mT6_T7_P12ihipStream_tbENKUlT_T0_E_clISt17integral_constantIbLb1EESZ_EEDaSU_SV_EUlSU_E_NS1_11comp_targetILNS1_3genE10ELNS1_11target_archE1200ELNS1_3gpuE4ELNS1_3repE0EEENS1_30default_config_static_selectorELNS0_4arch9wavefront6targetE0EEEvT1_.has_recursion, 0
	.set _ZN7rocprim17ROCPRIM_400000_NS6detail17trampoline_kernelINS0_14default_configENS1_27scan_by_key_config_selectorIxxEEZZNS1_16scan_by_key_implILNS1_25lookback_scan_determinismE0ELb0ES3_N6thrust23THRUST_200600_302600_NS6detail15normal_iteratorINS9_10device_ptrIxEEEESE_SE_xNS9_4plusIvEENS9_8equal_toIxEExEE10hipError_tPvRmT2_T3_T4_T5_mT6_T7_P12ihipStream_tbENKUlT_T0_E_clISt17integral_constantIbLb1EESZ_EEDaSU_SV_EUlSU_E_NS1_11comp_targetILNS1_3genE10ELNS1_11target_archE1200ELNS1_3gpuE4ELNS1_3repE0EEENS1_30default_config_static_selectorELNS0_4arch9wavefront6targetE0EEEvT1_.has_indirect_call, 0
	.section	.AMDGPU.csdata,"",@progbits
; Kernel info:
; codeLenInByte = 0
; TotalNumSgprs: 0
; NumVgprs: 0
; ScratchSize: 0
; MemoryBound: 0
; FloatMode: 240
; IeeeMode: 1
; LDSByteSize: 0 bytes/workgroup (compile time only)
; SGPRBlocks: 0
; VGPRBlocks: 0
; NumSGPRsForWavesPerEU: 1
; NumVGPRsForWavesPerEU: 1
; Occupancy: 16
; WaveLimiterHint : 0
; COMPUTE_PGM_RSRC2:SCRATCH_EN: 0
; COMPUTE_PGM_RSRC2:USER_SGPR: 6
; COMPUTE_PGM_RSRC2:TRAP_HANDLER: 0
; COMPUTE_PGM_RSRC2:TGID_X_EN: 1
; COMPUTE_PGM_RSRC2:TGID_Y_EN: 0
; COMPUTE_PGM_RSRC2:TGID_Z_EN: 0
; COMPUTE_PGM_RSRC2:TIDIG_COMP_CNT: 0
	.section	.text._ZN7rocprim17ROCPRIM_400000_NS6detail17trampoline_kernelINS0_14default_configENS1_27scan_by_key_config_selectorIxxEEZZNS1_16scan_by_key_implILNS1_25lookback_scan_determinismE0ELb0ES3_N6thrust23THRUST_200600_302600_NS6detail15normal_iteratorINS9_10device_ptrIxEEEESE_SE_xNS9_4plusIvEENS9_8equal_toIxEExEE10hipError_tPvRmT2_T3_T4_T5_mT6_T7_P12ihipStream_tbENKUlT_T0_E_clISt17integral_constantIbLb1EESZ_EEDaSU_SV_EUlSU_E_NS1_11comp_targetILNS1_3genE9ELNS1_11target_archE1100ELNS1_3gpuE3ELNS1_3repE0EEENS1_30default_config_static_selectorELNS0_4arch9wavefront6targetE0EEEvT1_,"axG",@progbits,_ZN7rocprim17ROCPRIM_400000_NS6detail17trampoline_kernelINS0_14default_configENS1_27scan_by_key_config_selectorIxxEEZZNS1_16scan_by_key_implILNS1_25lookback_scan_determinismE0ELb0ES3_N6thrust23THRUST_200600_302600_NS6detail15normal_iteratorINS9_10device_ptrIxEEEESE_SE_xNS9_4plusIvEENS9_8equal_toIxEExEE10hipError_tPvRmT2_T3_T4_T5_mT6_T7_P12ihipStream_tbENKUlT_T0_E_clISt17integral_constantIbLb1EESZ_EEDaSU_SV_EUlSU_E_NS1_11comp_targetILNS1_3genE9ELNS1_11target_archE1100ELNS1_3gpuE3ELNS1_3repE0EEENS1_30default_config_static_selectorELNS0_4arch9wavefront6targetE0EEEvT1_,comdat
	.protected	_ZN7rocprim17ROCPRIM_400000_NS6detail17trampoline_kernelINS0_14default_configENS1_27scan_by_key_config_selectorIxxEEZZNS1_16scan_by_key_implILNS1_25lookback_scan_determinismE0ELb0ES3_N6thrust23THRUST_200600_302600_NS6detail15normal_iteratorINS9_10device_ptrIxEEEESE_SE_xNS9_4plusIvEENS9_8equal_toIxEExEE10hipError_tPvRmT2_T3_T4_T5_mT6_T7_P12ihipStream_tbENKUlT_T0_E_clISt17integral_constantIbLb1EESZ_EEDaSU_SV_EUlSU_E_NS1_11comp_targetILNS1_3genE9ELNS1_11target_archE1100ELNS1_3gpuE3ELNS1_3repE0EEENS1_30default_config_static_selectorELNS0_4arch9wavefront6targetE0EEEvT1_ ; -- Begin function _ZN7rocprim17ROCPRIM_400000_NS6detail17trampoline_kernelINS0_14default_configENS1_27scan_by_key_config_selectorIxxEEZZNS1_16scan_by_key_implILNS1_25lookback_scan_determinismE0ELb0ES3_N6thrust23THRUST_200600_302600_NS6detail15normal_iteratorINS9_10device_ptrIxEEEESE_SE_xNS9_4plusIvEENS9_8equal_toIxEExEE10hipError_tPvRmT2_T3_T4_T5_mT6_T7_P12ihipStream_tbENKUlT_T0_E_clISt17integral_constantIbLb1EESZ_EEDaSU_SV_EUlSU_E_NS1_11comp_targetILNS1_3genE9ELNS1_11target_archE1100ELNS1_3gpuE3ELNS1_3repE0EEENS1_30default_config_static_selectorELNS0_4arch9wavefront6targetE0EEEvT1_
	.globl	_ZN7rocprim17ROCPRIM_400000_NS6detail17trampoline_kernelINS0_14default_configENS1_27scan_by_key_config_selectorIxxEEZZNS1_16scan_by_key_implILNS1_25lookback_scan_determinismE0ELb0ES3_N6thrust23THRUST_200600_302600_NS6detail15normal_iteratorINS9_10device_ptrIxEEEESE_SE_xNS9_4plusIvEENS9_8equal_toIxEExEE10hipError_tPvRmT2_T3_T4_T5_mT6_T7_P12ihipStream_tbENKUlT_T0_E_clISt17integral_constantIbLb1EESZ_EEDaSU_SV_EUlSU_E_NS1_11comp_targetILNS1_3genE9ELNS1_11target_archE1100ELNS1_3gpuE3ELNS1_3repE0EEENS1_30default_config_static_selectorELNS0_4arch9wavefront6targetE0EEEvT1_
	.p2align	8
	.type	_ZN7rocprim17ROCPRIM_400000_NS6detail17trampoline_kernelINS0_14default_configENS1_27scan_by_key_config_selectorIxxEEZZNS1_16scan_by_key_implILNS1_25lookback_scan_determinismE0ELb0ES3_N6thrust23THRUST_200600_302600_NS6detail15normal_iteratorINS9_10device_ptrIxEEEESE_SE_xNS9_4plusIvEENS9_8equal_toIxEExEE10hipError_tPvRmT2_T3_T4_T5_mT6_T7_P12ihipStream_tbENKUlT_T0_E_clISt17integral_constantIbLb1EESZ_EEDaSU_SV_EUlSU_E_NS1_11comp_targetILNS1_3genE9ELNS1_11target_archE1100ELNS1_3gpuE3ELNS1_3repE0EEENS1_30default_config_static_selectorELNS0_4arch9wavefront6targetE0EEEvT1_,@function
_ZN7rocprim17ROCPRIM_400000_NS6detail17trampoline_kernelINS0_14default_configENS1_27scan_by_key_config_selectorIxxEEZZNS1_16scan_by_key_implILNS1_25lookback_scan_determinismE0ELb0ES3_N6thrust23THRUST_200600_302600_NS6detail15normal_iteratorINS9_10device_ptrIxEEEESE_SE_xNS9_4plusIvEENS9_8equal_toIxEExEE10hipError_tPvRmT2_T3_T4_T5_mT6_T7_P12ihipStream_tbENKUlT_T0_E_clISt17integral_constantIbLb1EESZ_EEDaSU_SV_EUlSU_E_NS1_11comp_targetILNS1_3genE9ELNS1_11target_archE1100ELNS1_3gpuE3ELNS1_3repE0EEENS1_30default_config_static_selectorELNS0_4arch9wavefront6targetE0EEEvT1_: ; @_ZN7rocprim17ROCPRIM_400000_NS6detail17trampoline_kernelINS0_14default_configENS1_27scan_by_key_config_selectorIxxEEZZNS1_16scan_by_key_implILNS1_25lookback_scan_determinismE0ELb0ES3_N6thrust23THRUST_200600_302600_NS6detail15normal_iteratorINS9_10device_ptrIxEEEESE_SE_xNS9_4plusIvEENS9_8equal_toIxEExEE10hipError_tPvRmT2_T3_T4_T5_mT6_T7_P12ihipStream_tbENKUlT_T0_E_clISt17integral_constantIbLb1EESZ_EEDaSU_SV_EUlSU_E_NS1_11comp_targetILNS1_3genE9ELNS1_11target_archE1100ELNS1_3gpuE3ELNS1_3repE0EEENS1_30default_config_static_selectorELNS0_4arch9wavefront6targetE0EEEvT1_
; %bb.0:
	.section	.rodata,"a",@progbits
	.p2align	6, 0x0
	.amdhsa_kernel _ZN7rocprim17ROCPRIM_400000_NS6detail17trampoline_kernelINS0_14default_configENS1_27scan_by_key_config_selectorIxxEEZZNS1_16scan_by_key_implILNS1_25lookback_scan_determinismE0ELb0ES3_N6thrust23THRUST_200600_302600_NS6detail15normal_iteratorINS9_10device_ptrIxEEEESE_SE_xNS9_4plusIvEENS9_8equal_toIxEExEE10hipError_tPvRmT2_T3_T4_T5_mT6_T7_P12ihipStream_tbENKUlT_T0_E_clISt17integral_constantIbLb1EESZ_EEDaSU_SV_EUlSU_E_NS1_11comp_targetILNS1_3genE9ELNS1_11target_archE1100ELNS1_3gpuE3ELNS1_3repE0EEENS1_30default_config_static_selectorELNS0_4arch9wavefront6targetE0EEEvT1_
		.amdhsa_group_segment_fixed_size 0
		.amdhsa_private_segment_fixed_size 0
		.amdhsa_kernarg_size 136
		.amdhsa_user_sgpr_count 6
		.amdhsa_user_sgpr_private_segment_buffer 1
		.amdhsa_user_sgpr_dispatch_ptr 0
		.amdhsa_user_sgpr_queue_ptr 0
		.amdhsa_user_sgpr_kernarg_segment_ptr 1
		.amdhsa_user_sgpr_dispatch_id 0
		.amdhsa_user_sgpr_flat_scratch_init 0
		.amdhsa_user_sgpr_private_segment_size 0
		.amdhsa_wavefront_size32 1
		.amdhsa_uses_dynamic_stack 0
		.amdhsa_system_sgpr_private_segment_wavefront_offset 0
		.amdhsa_system_sgpr_workgroup_id_x 1
		.amdhsa_system_sgpr_workgroup_id_y 0
		.amdhsa_system_sgpr_workgroup_id_z 0
		.amdhsa_system_sgpr_workgroup_info 0
		.amdhsa_system_vgpr_workitem_id 0
		.amdhsa_next_free_vgpr 1
		.amdhsa_next_free_sgpr 1
		.amdhsa_reserve_vcc 0
		.amdhsa_reserve_flat_scratch 0
		.amdhsa_float_round_mode_32 0
		.amdhsa_float_round_mode_16_64 0
		.amdhsa_float_denorm_mode_32 3
		.amdhsa_float_denorm_mode_16_64 3
		.amdhsa_dx10_clamp 1
		.amdhsa_ieee_mode 1
		.amdhsa_fp16_overflow 0
		.amdhsa_workgroup_processor_mode 1
		.amdhsa_memory_ordered 1
		.amdhsa_forward_progress 1
		.amdhsa_shared_vgpr_count 0
		.amdhsa_exception_fp_ieee_invalid_op 0
		.amdhsa_exception_fp_denorm_src 0
		.amdhsa_exception_fp_ieee_div_zero 0
		.amdhsa_exception_fp_ieee_overflow 0
		.amdhsa_exception_fp_ieee_underflow 0
		.amdhsa_exception_fp_ieee_inexact 0
		.amdhsa_exception_int_div_zero 0
	.end_amdhsa_kernel
	.section	.text._ZN7rocprim17ROCPRIM_400000_NS6detail17trampoline_kernelINS0_14default_configENS1_27scan_by_key_config_selectorIxxEEZZNS1_16scan_by_key_implILNS1_25lookback_scan_determinismE0ELb0ES3_N6thrust23THRUST_200600_302600_NS6detail15normal_iteratorINS9_10device_ptrIxEEEESE_SE_xNS9_4plusIvEENS9_8equal_toIxEExEE10hipError_tPvRmT2_T3_T4_T5_mT6_T7_P12ihipStream_tbENKUlT_T0_E_clISt17integral_constantIbLb1EESZ_EEDaSU_SV_EUlSU_E_NS1_11comp_targetILNS1_3genE9ELNS1_11target_archE1100ELNS1_3gpuE3ELNS1_3repE0EEENS1_30default_config_static_selectorELNS0_4arch9wavefront6targetE0EEEvT1_,"axG",@progbits,_ZN7rocprim17ROCPRIM_400000_NS6detail17trampoline_kernelINS0_14default_configENS1_27scan_by_key_config_selectorIxxEEZZNS1_16scan_by_key_implILNS1_25lookback_scan_determinismE0ELb0ES3_N6thrust23THRUST_200600_302600_NS6detail15normal_iteratorINS9_10device_ptrIxEEEESE_SE_xNS9_4plusIvEENS9_8equal_toIxEExEE10hipError_tPvRmT2_T3_T4_T5_mT6_T7_P12ihipStream_tbENKUlT_T0_E_clISt17integral_constantIbLb1EESZ_EEDaSU_SV_EUlSU_E_NS1_11comp_targetILNS1_3genE9ELNS1_11target_archE1100ELNS1_3gpuE3ELNS1_3repE0EEENS1_30default_config_static_selectorELNS0_4arch9wavefront6targetE0EEEvT1_,comdat
.Lfunc_end99:
	.size	_ZN7rocprim17ROCPRIM_400000_NS6detail17trampoline_kernelINS0_14default_configENS1_27scan_by_key_config_selectorIxxEEZZNS1_16scan_by_key_implILNS1_25lookback_scan_determinismE0ELb0ES3_N6thrust23THRUST_200600_302600_NS6detail15normal_iteratorINS9_10device_ptrIxEEEESE_SE_xNS9_4plusIvEENS9_8equal_toIxEExEE10hipError_tPvRmT2_T3_T4_T5_mT6_T7_P12ihipStream_tbENKUlT_T0_E_clISt17integral_constantIbLb1EESZ_EEDaSU_SV_EUlSU_E_NS1_11comp_targetILNS1_3genE9ELNS1_11target_archE1100ELNS1_3gpuE3ELNS1_3repE0EEENS1_30default_config_static_selectorELNS0_4arch9wavefront6targetE0EEEvT1_, .Lfunc_end99-_ZN7rocprim17ROCPRIM_400000_NS6detail17trampoline_kernelINS0_14default_configENS1_27scan_by_key_config_selectorIxxEEZZNS1_16scan_by_key_implILNS1_25lookback_scan_determinismE0ELb0ES3_N6thrust23THRUST_200600_302600_NS6detail15normal_iteratorINS9_10device_ptrIxEEEESE_SE_xNS9_4plusIvEENS9_8equal_toIxEExEE10hipError_tPvRmT2_T3_T4_T5_mT6_T7_P12ihipStream_tbENKUlT_T0_E_clISt17integral_constantIbLb1EESZ_EEDaSU_SV_EUlSU_E_NS1_11comp_targetILNS1_3genE9ELNS1_11target_archE1100ELNS1_3gpuE3ELNS1_3repE0EEENS1_30default_config_static_selectorELNS0_4arch9wavefront6targetE0EEEvT1_
                                        ; -- End function
	.set _ZN7rocprim17ROCPRIM_400000_NS6detail17trampoline_kernelINS0_14default_configENS1_27scan_by_key_config_selectorIxxEEZZNS1_16scan_by_key_implILNS1_25lookback_scan_determinismE0ELb0ES3_N6thrust23THRUST_200600_302600_NS6detail15normal_iteratorINS9_10device_ptrIxEEEESE_SE_xNS9_4plusIvEENS9_8equal_toIxEExEE10hipError_tPvRmT2_T3_T4_T5_mT6_T7_P12ihipStream_tbENKUlT_T0_E_clISt17integral_constantIbLb1EESZ_EEDaSU_SV_EUlSU_E_NS1_11comp_targetILNS1_3genE9ELNS1_11target_archE1100ELNS1_3gpuE3ELNS1_3repE0EEENS1_30default_config_static_selectorELNS0_4arch9wavefront6targetE0EEEvT1_.num_vgpr, 0
	.set _ZN7rocprim17ROCPRIM_400000_NS6detail17trampoline_kernelINS0_14default_configENS1_27scan_by_key_config_selectorIxxEEZZNS1_16scan_by_key_implILNS1_25lookback_scan_determinismE0ELb0ES3_N6thrust23THRUST_200600_302600_NS6detail15normal_iteratorINS9_10device_ptrIxEEEESE_SE_xNS9_4plusIvEENS9_8equal_toIxEExEE10hipError_tPvRmT2_T3_T4_T5_mT6_T7_P12ihipStream_tbENKUlT_T0_E_clISt17integral_constantIbLb1EESZ_EEDaSU_SV_EUlSU_E_NS1_11comp_targetILNS1_3genE9ELNS1_11target_archE1100ELNS1_3gpuE3ELNS1_3repE0EEENS1_30default_config_static_selectorELNS0_4arch9wavefront6targetE0EEEvT1_.num_agpr, 0
	.set _ZN7rocprim17ROCPRIM_400000_NS6detail17trampoline_kernelINS0_14default_configENS1_27scan_by_key_config_selectorIxxEEZZNS1_16scan_by_key_implILNS1_25lookback_scan_determinismE0ELb0ES3_N6thrust23THRUST_200600_302600_NS6detail15normal_iteratorINS9_10device_ptrIxEEEESE_SE_xNS9_4plusIvEENS9_8equal_toIxEExEE10hipError_tPvRmT2_T3_T4_T5_mT6_T7_P12ihipStream_tbENKUlT_T0_E_clISt17integral_constantIbLb1EESZ_EEDaSU_SV_EUlSU_E_NS1_11comp_targetILNS1_3genE9ELNS1_11target_archE1100ELNS1_3gpuE3ELNS1_3repE0EEENS1_30default_config_static_selectorELNS0_4arch9wavefront6targetE0EEEvT1_.numbered_sgpr, 0
	.set _ZN7rocprim17ROCPRIM_400000_NS6detail17trampoline_kernelINS0_14default_configENS1_27scan_by_key_config_selectorIxxEEZZNS1_16scan_by_key_implILNS1_25lookback_scan_determinismE0ELb0ES3_N6thrust23THRUST_200600_302600_NS6detail15normal_iteratorINS9_10device_ptrIxEEEESE_SE_xNS9_4plusIvEENS9_8equal_toIxEExEE10hipError_tPvRmT2_T3_T4_T5_mT6_T7_P12ihipStream_tbENKUlT_T0_E_clISt17integral_constantIbLb1EESZ_EEDaSU_SV_EUlSU_E_NS1_11comp_targetILNS1_3genE9ELNS1_11target_archE1100ELNS1_3gpuE3ELNS1_3repE0EEENS1_30default_config_static_selectorELNS0_4arch9wavefront6targetE0EEEvT1_.num_named_barrier, 0
	.set _ZN7rocprim17ROCPRIM_400000_NS6detail17trampoline_kernelINS0_14default_configENS1_27scan_by_key_config_selectorIxxEEZZNS1_16scan_by_key_implILNS1_25lookback_scan_determinismE0ELb0ES3_N6thrust23THRUST_200600_302600_NS6detail15normal_iteratorINS9_10device_ptrIxEEEESE_SE_xNS9_4plusIvEENS9_8equal_toIxEExEE10hipError_tPvRmT2_T3_T4_T5_mT6_T7_P12ihipStream_tbENKUlT_T0_E_clISt17integral_constantIbLb1EESZ_EEDaSU_SV_EUlSU_E_NS1_11comp_targetILNS1_3genE9ELNS1_11target_archE1100ELNS1_3gpuE3ELNS1_3repE0EEENS1_30default_config_static_selectorELNS0_4arch9wavefront6targetE0EEEvT1_.private_seg_size, 0
	.set _ZN7rocprim17ROCPRIM_400000_NS6detail17trampoline_kernelINS0_14default_configENS1_27scan_by_key_config_selectorIxxEEZZNS1_16scan_by_key_implILNS1_25lookback_scan_determinismE0ELb0ES3_N6thrust23THRUST_200600_302600_NS6detail15normal_iteratorINS9_10device_ptrIxEEEESE_SE_xNS9_4plusIvEENS9_8equal_toIxEExEE10hipError_tPvRmT2_T3_T4_T5_mT6_T7_P12ihipStream_tbENKUlT_T0_E_clISt17integral_constantIbLb1EESZ_EEDaSU_SV_EUlSU_E_NS1_11comp_targetILNS1_3genE9ELNS1_11target_archE1100ELNS1_3gpuE3ELNS1_3repE0EEENS1_30default_config_static_selectorELNS0_4arch9wavefront6targetE0EEEvT1_.uses_vcc, 0
	.set _ZN7rocprim17ROCPRIM_400000_NS6detail17trampoline_kernelINS0_14default_configENS1_27scan_by_key_config_selectorIxxEEZZNS1_16scan_by_key_implILNS1_25lookback_scan_determinismE0ELb0ES3_N6thrust23THRUST_200600_302600_NS6detail15normal_iteratorINS9_10device_ptrIxEEEESE_SE_xNS9_4plusIvEENS9_8equal_toIxEExEE10hipError_tPvRmT2_T3_T4_T5_mT6_T7_P12ihipStream_tbENKUlT_T0_E_clISt17integral_constantIbLb1EESZ_EEDaSU_SV_EUlSU_E_NS1_11comp_targetILNS1_3genE9ELNS1_11target_archE1100ELNS1_3gpuE3ELNS1_3repE0EEENS1_30default_config_static_selectorELNS0_4arch9wavefront6targetE0EEEvT1_.uses_flat_scratch, 0
	.set _ZN7rocprim17ROCPRIM_400000_NS6detail17trampoline_kernelINS0_14default_configENS1_27scan_by_key_config_selectorIxxEEZZNS1_16scan_by_key_implILNS1_25lookback_scan_determinismE0ELb0ES3_N6thrust23THRUST_200600_302600_NS6detail15normal_iteratorINS9_10device_ptrIxEEEESE_SE_xNS9_4plusIvEENS9_8equal_toIxEExEE10hipError_tPvRmT2_T3_T4_T5_mT6_T7_P12ihipStream_tbENKUlT_T0_E_clISt17integral_constantIbLb1EESZ_EEDaSU_SV_EUlSU_E_NS1_11comp_targetILNS1_3genE9ELNS1_11target_archE1100ELNS1_3gpuE3ELNS1_3repE0EEENS1_30default_config_static_selectorELNS0_4arch9wavefront6targetE0EEEvT1_.has_dyn_sized_stack, 0
	.set _ZN7rocprim17ROCPRIM_400000_NS6detail17trampoline_kernelINS0_14default_configENS1_27scan_by_key_config_selectorIxxEEZZNS1_16scan_by_key_implILNS1_25lookback_scan_determinismE0ELb0ES3_N6thrust23THRUST_200600_302600_NS6detail15normal_iteratorINS9_10device_ptrIxEEEESE_SE_xNS9_4plusIvEENS9_8equal_toIxEExEE10hipError_tPvRmT2_T3_T4_T5_mT6_T7_P12ihipStream_tbENKUlT_T0_E_clISt17integral_constantIbLb1EESZ_EEDaSU_SV_EUlSU_E_NS1_11comp_targetILNS1_3genE9ELNS1_11target_archE1100ELNS1_3gpuE3ELNS1_3repE0EEENS1_30default_config_static_selectorELNS0_4arch9wavefront6targetE0EEEvT1_.has_recursion, 0
	.set _ZN7rocprim17ROCPRIM_400000_NS6detail17trampoline_kernelINS0_14default_configENS1_27scan_by_key_config_selectorIxxEEZZNS1_16scan_by_key_implILNS1_25lookback_scan_determinismE0ELb0ES3_N6thrust23THRUST_200600_302600_NS6detail15normal_iteratorINS9_10device_ptrIxEEEESE_SE_xNS9_4plusIvEENS9_8equal_toIxEExEE10hipError_tPvRmT2_T3_T4_T5_mT6_T7_P12ihipStream_tbENKUlT_T0_E_clISt17integral_constantIbLb1EESZ_EEDaSU_SV_EUlSU_E_NS1_11comp_targetILNS1_3genE9ELNS1_11target_archE1100ELNS1_3gpuE3ELNS1_3repE0EEENS1_30default_config_static_selectorELNS0_4arch9wavefront6targetE0EEEvT1_.has_indirect_call, 0
	.section	.AMDGPU.csdata,"",@progbits
; Kernel info:
; codeLenInByte = 0
; TotalNumSgprs: 0
; NumVgprs: 0
; ScratchSize: 0
; MemoryBound: 0
; FloatMode: 240
; IeeeMode: 1
; LDSByteSize: 0 bytes/workgroup (compile time only)
; SGPRBlocks: 0
; VGPRBlocks: 0
; NumSGPRsForWavesPerEU: 1
; NumVGPRsForWavesPerEU: 1
; Occupancy: 16
; WaveLimiterHint : 0
; COMPUTE_PGM_RSRC2:SCRATCH_EN: 0
; COMPUTE_PGM_RSRC2:USER_SGPR: 6
; COMPUTE_PGM_RSRC2:TRAP_HANDLER: 0
; COMPUTE_PGM_RSRC2:TGID_X_EN: 1
; COMPUTE_PGM_RSRC2:TGID_Y_EN: 0
; COMPUTE_PGM_RSRC2:TGID_Z_EN: 0
; COMPUTE_PGM_RSRC2:TIDIG_COMP_CNT: 0
	.section	.text._ZN7rocprim17ROCPRIM_400000_NS6detail17trampoline_kernelINS0_14default_configENS1_27scan_by_key_config_selectorIxxEEZZNS1_16scan_by_key_implILNS1_25lookback_scan_determinismE0ELb0ES3_N6thrust23THRUST_200600_302600_NS6detail15normal_iteratorINS9_10device_ptrIxEEEESE_SE_xNS9_4plusIvEENS9_8equal_toIxEExEE10hipError_tPvRmT2_T3_T4_T5_mT6_T7_P12ihipStream_tbENKUlT_T0_E_clISt17integral_constantIbLb1EESZ_EEDaSU_SV_EUlSU_E_NS1_11comp_targetILNS1_3genE8ELNS1_11target_archE1030ELNS1_3gpuE2ELNS1_3repE0EEENS1_30default_config_static_selectorELNS0_4arch9wavefront6targetE0EEEvT1_,"axG",@progbits,_ZN7rocprim17ROCPRIM_400000_NS6detail17trampoline_kernelINS0_14default_configENS1_27scan_by_key_config_selectorIxxEEZZNS1_16scan_by_key_implILNS1_25lookback_scan_determinismE0ELb0ES3_N6thrust23THRUST_200600_302600_NS6detail15normal_iteratorINS9_10device_ptrIxEEEESE_SE_xNS9_4plusIvEENS9_8equal_toIxEExEE10hipError_tPvRmT2_T3_T4_T5_mT6_T7_P12ihipStream_tbENKUlT_T0_E_clISt17integral_constantIbLb1EESZ_EEDaSU_SV_EUlSU_E_NS1_11comp_targetILNS1_3genE8ELNS1_11target_archE1030ELNS1_3gpuE2ELNS1_3repE0EEENS1_30default_config_static_selectorELNS0_4arch9wavefront6targetE0EEEvT1_,comdat
	.protected	_ZN7rocprim17ROCPRIM_400000_NS6detail17trampoline_kernelINS0_14default_configENS1_27scan_by_key_config_selectorIxxEEZZNS1_16scan_by_key_implILNS1_25lookback_scan_determinismE0ELb0ES3_N6thrust23THRUST_200600_302600_NS6detail15normal_iteratorINS9_10device_ptrIxEEEESE_SE_xNS9_4plusIvEENS9_8equal_toIxEExEE10hipError_tPvRmT2_T3_T4_T5_mT6_T7_P12ihipStream_tbENKUlT_T0_E_clISt17integral_constantIbLb1EESZ_EEDaSU_SV_EUlSU_E_NS1_11comp_targetILNS1_3genE8ELNS1_11target_archE1030ELNS1_3gpuE2ELNS1_3repE0EEENS1_30default_config_static_selectorELNS0_4arch9wavefront6targetE0EEEvT1_ ; -- Begin function _ZN7rocprim17ROCPRIM_400000_NS6detail17trampoline_kernelINS0_14default_configENS1_27scan_by_key_config_selectorIxxEEZZNS1_16scan_by_key_implILNS1_25lookback_scan_determinismE0ELb0ES3_N6thrust23THRUST_200600_302600_NS6detail15normal_iteratorINS9_10device_ptrIxEEEESE_SE_xNS9_4plusIvEENS9_8equal_toIxEExEE10hipError_tPvRmT2_T3_T4_T5_mT6_T7_P12ihipStream_tbENKUlT_T0_E_clISt17integral_constantIbLb1EESZ_EEDaSU_SV_EUlSU_E_NS1_11comp_targetILNS1_3genE8ELNS1_11target_archE1030ELNS1_3gpuE2ELNS1_3repE0EEENS1_30default_config_static_selectorELNS0_4arch9wavefront6targetE0EEEvT1_
	.globl	_ZN7rocprim17ROCPRIM_400000_NS6detail17trampoline_kernelINS0_14default_configENS1_27scan_by_key_config_selectorIxxEEZZNS1_16scan_by_key_implILNS1_25lookback_scan_determinismE0ELb0ES3_N6thrust23THRUST_200600_302600_NS6detail15normal_iteratorINS9_10device_ptrIxEEEESE_SE_xNS9_4plusIvEENS9_8equal_toIxEExEE10hipError_tPvRmT2_T3_T4_T5_mT6_T7_P12ihipStream_tbENKUlT_T0_E_clISt17integral_constantIbLb1EESZ_EEDaSU_SV_EUlSU_E_NS1_11comp_targetILNS1_3genE8ELNS1_11target_archE1030ELNS1_3gpuE2ELNS1_3repE0EEENS1_30default_config_static_selectorELNS0_4arch9wavefront6targetE0EEEvT1_
	.p2align	8
	.type	_ZN7rocprim17ROCPRIM_400000_NS6detail17trampoline_kernelINS0_14default_configENS1_27scan_by_key_config_selectorIxxEEZZNS1_16scan_by_key_implILNS1_25lookback_scan_determinismE0ELb0ES3_N6thrust23THRUST_200600_302600_NS6detail15normal_iteratorINS9_10device_ptrIxEEEESE_SE_xNS9_4plusIvEENS9_8equal_toIxEExEE10hipError_tPvRmT2_T3_T4_T5_mT6_T7_P12ihipStream_tbENKUlT_T0_E_clISt17integral_constantIbLb1EESZ_EEDaSU_SV_EUlSU_E_NS1_11comp_targetILNS1_3genE8ELNS1_11target_archE1030ELNS1_3gpuE2ELNS1_3repE0EEENS1_30default_config_static_selectorELNS0_4arch9wavefront6targetE0EEEvT1_,@function
_ZN7rocprim17ROCPRIM_400000_NS6detail17trampoline_kernelINS0_14default_configENS1_27scan_by_key_config_selectorIxxEEZZNS1_16scan_by_key_implILNS1_25lookback_scan_determinismE0ELb0ES3_N6thrust23THRUST_200600_302600_NS6detail15normal_iteratorINS9_10device_ptrIxEEEESE_SE_xNS9_4plusIvEENS9_8equal_toIxEExEE10hipError_tPvRmT2_T3_T4_T5_mT6_T7_P12ihipStream_tbENKUlT_T0_E_clISt17integral_constantIbLb1EESZ_EEDaSU_SV_EUlSU_E_NS1_11comp_targetILNS1_3genE8ELNS1_11target_archE1030ELNS1_3gpuE2ELNS1_3repE0EEENS1_30default_config_static_selectorELNS0_4arch9wavefront6targetE0EEEvT1_: ; @_ZN7rocprim17ROCPRIM_400000_NS6detail17trampoline_kernelINS0_14default_configENS1_27scan_by_key_config_selectorIxxEEZZNS1_16scan_by_key_implILNS1_25lookback_scan_determinismE0ELb0ES3_N6thrust23THRUST_200600_302600_NS6detail15normal_iteratorINS9_10device_ptrIxEEEESE_SE_xNS9_4plusIvEENS9_8equal_toIxEExEE10hipError_tPvRmT2_T3_T4_T5_mT6_T7_P12ihipStream_tbENKUlT_T0_E_clISt17integral_constantIbLb1EESZ_EEDaSU_SV_EUlSU_E_NS1_11comp_targetILNS1_3genE8ELNS1_11target_archE1030ELNS1_3gpuE2ELNS1_3repE0EEENS1_30default_config_static_selectorELNS0_4arch9wavefront6targetE0EEEvT1_
; %bb.0:
	s_endpgm
	.section	.rodata,"a",@progbits
	.p2align	6, 0x0
	.amdhsa_kernel _ZN7rocprim17ROCPRIM_400000_NS6detail17trampoline_kernelINS0_14default_configENS1_27scan_by_key_config_selectorIxxEEZZNS1_16scan_by_key_implILNS1_25lookback_scan_determinismE0ELb0ES3_N6thrust23THRUST_200600_302600_NS6detail15normal_iteratorINS9_10device_ptrIxEEEESE_SE_xNS9_4plusIvEENS9_8equal_toIxEExEE10hipError_tPvRmT2_T3_T4_T5_mT6_T7_P12ihipStream_tbENKUlT_T0_E_clISt17integral_constantIbLb1EESZ_EEDaSU_SV_EUlSU_E_NS1_11comp_targetILNS1_3genE8ELNS1_11target_archE1030ELNS1_3gpuE2ELNS1_3repE0EEENS1_30default_config_static_selectorELNS0_4arch9wavefront6targetE0EEEvT1_
		.amdhsa_group_segment_fixed_size 0
		.amdhsa_private_segment_fixed_size 0
		.amdhsa_kernarg_size 136
		.amdhsa_user_sgpr_count 6
		.amdhsa_user_sgpr_private_segment_buffer 1
		.amdhsa_user_sgpr_dispatch_ptr 0
		.amdhsa_user_sgpr_queue_ptr 0
		.amdhsa_user_sgpr_kernarg_segment_ptr 1
		.amdhsa_user_sgpr_dispatch_id 0
		.amdhsa_user_sgpr_flat_scratch_init 0
		.amdhsa_user_sgpr_private_segment_size 0
		.amdhsa_wavefront_size32 1
		.amdhsa_uses_dynamic_stack 0
		.amdhsa_system_sgpr_private_segment_wavefront_offset 0
		.amdhsa_system_sgpr_workgroup_id_x 1
		.amdhsa_system_sgpr_workgroup_id_y 0
		.amdhsa_system_sgpr_workgroup_id_z 0
		.amdhsa_system_sgpr_workgroup_info 0
		.amdhsa_system_vgpr_workitem_id 0
		.amdhsa_next_free_vgpr 1
		.amdhsa_next_free_sgpr 1
		.amdhsa_reserve_vcc 0
		.amdhsa_reserve_flat_scratch 0
		.amdhsa_float_round_mode_32 0
		.amdhsa_float_round_mode_16_64 0
		.amdhsa_float_denorm_mode_32 3
		.amdhsa_float_denorm_mode_16_64 3
		.amdhsa_dx10_clamp 1
		.amdhsa_ieee_mode 1
		.amdhsa_fp16_overflow 0
		.amdhsa_workgroup_processor_mode 1
		.amdhsa_memory_ordered 1
		.amdhsa_forward_progress 1
		.amdhsa_shared_vgpr_count 0
		.amdhsa_exception_fp_ieee_invalid_op 0
		.amdhsa_exception_fp_denorm_src 0
		.amdhsa_exception_fp_ieee_div_zero 0
		.amdhsa_exception_fp_ieee_overflow 0
		.amdhsa_exception_fp_ieee_underflow 0
		.amdhsa_exception_fp_ieee_inexact 0
		.amdhsa_exception_int_div_zero 0
	.end_amdhsa_kernel
	.section	.text._ZN7rocprim17ROCPRIM_400000_NS6detail17trampoline_kernelINS0_14default_configENS1_27scan_by_key_config_selectorIxxEEZZNS1_16scan_by_key_implILNS1_25lookback_scan_determinismE0ELb0ES3_N6thrust23THRUST_200600_302600_NS6detail15normal_iteratorINS9_10device_ptrIxEEEESE_SE_xNS9_4plusIvEENS9_8equal_toIxEExEE10hipError_tPvRmT2_T3_T4_T5_mT6_T7_P12ihipStream_tbENKUlT_T0_E_clISt17integral_constantIbLb1EESZ_EEDaSU_SV_EUlSU_E_NS1_11comp_targetILNS1_3genE8ELNS1_11target_archE1030ELNS1_3gpuE2ELNS1_3repE0EEENS1_30default_config_static_selectorELNS0_4arch9wavefront6targetE0EEEvT1_,"axG",@progbits,_ZN7rocprim17ROCPRIM_400000_NS6detail17trampoline_kernelINS0_14default_configENS1_27scan_by_key_config_selectorIxxEEZZNS1_16scan_by_key_implILNS1_25lookback_scan_determinismE0ELb0ES3_N6thrust23THRUST_200600_302600_NS6detail15normal_iteratorINS9_10device_ptrIxEEEESE_SE_xNS9_4plusIvEENS9_8equal_toIxEExEE10hipError_tPvRmT2_T3_T4_T5_mT6_T7_P12ihipStream_tbENKUlT_T0_E_clISt17integral_constantIbLb1EESZ_EEDaSU_SV_EUlSU_E_NS1_11comp_targetILNS1_3genE8ELNS1_11target_archE1030ELNS1_3gpuE2ELNS1_3repE0EEENS1_30default_config_static_selectorELNS0_4arch9wavefront6targetE0EEEvT1_,comdat
.Lfunc_end100:
	.size	_ZN7rocprim17ROCPRIM_400000_NS6detail17trampoline_kernelINS0_14default_configENS1_27scan_by_key_config_selectorIxxEEZZNS1_16scan_by_key_implILNS1_25lookback_scan_determinismE0ELb0ES3_N6thrust23THRUST_200600_302600_NS6detail15normal_iteratorINS9_10device_ptrIxEEEESE_SE_xNS9_4plusIvEENS9_8equal_toIxEExEE10hipError_tPvRmT2_T3_T4_T5_mT6_T7_P12ihipStream_tbENKUlT_T0_E_clISt17integral_constantIbLb1EESZ_EEDaSU_SV_EUlSU_E_NS1_11comp_targetILNS1_3genE8ELNS1_11target_archE1030ELNS1_3gpuE2ELNS1_3repE0EEENS1_30default_config_static_selectorELNS0_4arch9wavefront6targetE0EEEvT1_, .Lfunc_end100-_ZN7rocprim17ROCPRIM_400000_NS6detail17trampoline_kernelINS0_14default_configENS1_27scan_by_key_config_selectorIxxEEZZNS1_16scan_by_key_implILNS1_25lookback_scan_determinismE0ELb0ES3_N6thrust23THRUST_200600_302600_NS6detail15normal_iteratorINS9_10device_ptrIxEEEESE_SE_xNS9_4plusIvEENS9_8equal_toIxEExEE10hipError_tPvRmT2_T3_T4_T5_mT6_T7_P12ihipStream_tbENKUlT_T0_E_clISt17integral_constantIbLb1EESZ_EEDaSU_SV_EUlSU_E_NS1_11comp_targetILNS1_3genE8ELNS1_11target_archE1030ELNS1_3gpuE2ELNS1_3repE0EEENS1_30default_config_static_selectorELNS0_4arch9wavefront6targetE0EEEvT1_
                                        ; -- End function
	.set _ZN7rocprim17ROCPRIM_400000_NS6detail17trampoline_kernelINS0_14default_configENS1_27scan_by_key_config_selectorIxxEEZZNS1_16scan_by_key_implILNS1_25lookback_scan_determinismE0ELb0ES3_N6thrust23THRUST_200600_302600_NS6detail15normal_iteratorINS9_10device_ptrIxEEEESE_SE_xNS9_4plusIvEENS9_8equal_toIxEExEE10hipError_tPvRmT2_T3_T4_T5_mT6_T7_P12ihipStream_tbENKUlT_T0_E_clISt17integral_constantIbLb1EESZ_EEDaSU_SV_EUlSU_E_NS1_11comp_targetILNS1_3genE8ELNS1_11target_archE1030ELNS1_3gpuE2ELNS1_3repE0EEENS1_30default_config_static_selectorELNS0_4arch9wavefront6targetE0EEEvT1_.num_vgpr, 0
	.set _ZN7rocprim17ROCPRIM_400000_NS6detail17trampoline_kernelINS0_14default_configENS1_27scan_by_key_config_selectorIxxEEZZNS1_16scan_by_key_implILNS1_25lookback_scan_determinismE0ELb0ES3_N6thrust23THRUST_200600_302600_NS6detail15normal_iteratorINS9_10device_ptrIxEEEESE_SE_xNS9_4plusIvEENS9_8equal_toIxEExEE10hipError_tPvRmT2_T3_T4_T5_mT6_T7_P12ihipStream_tbENKUlT_T0_E_clISt17integral_constantIbLb1EESZ_EEDaSU_SV_EUlSU_E_NS1_11comp_targetILNS1_3genE8ELNS1_11target_archE1030ELNS1_3gpuE2ELNS1_3repE0EEENS1_30default_config_static_selectorELNS0_4arch9wavefront6targetE0EEEvT1_.num_agpr, 0
	.set _ZN7rocprim17ROCPRIM_400000_NS6detail17trampoline_kernelINS0_14default_configENS1_27scan_by_key_config_selectorIxxEEZZNS1_16scan_by_key_implILNS1_25lookback_scan_determinismE0ELb0ES3_N6thrust23THRUST_200600_302600_NS6detail15normal_iteratorINS9_10device_ptrIxEEEESE_SE_xNS9_4plusIvEENS9_8equal_toIxEExEE10hipError_tPvRmT2_T3_T4_T5_mT6_T7_P12ihipStream_tbENKUlT_T0_E_clISt17integral_constantIbLb1EESZ_EEDaSU_SV_EUlSU_E_NS1_11comp_targetILNS1_3genE8ELNS1_11target_archE1030ELNS1_3gpuE2ELNS1_3repE0EEENS1_30default_config_static_selectorELNS0_4arch9wavefront6targetE0EEEvT1_.numbered_sgpr, 0
	.set _ZN7rocprim17ROCPRIM_400000_NS6detail17trampoline_kernelINS0_14default_configENS1_27scan_by_key_config_selectorIxxEEZZNS1_16scan_by_key_implILNS1_25lookback_scan_determinismE0ELb0ES3_N6thrust23THRUST_200600_302600_NS6detail15normal_iteratorINS9_10device_ptrIxEEEESE_SE_xNS9_4plusIvEENS9_8equal_toIxEExEE10hipError_tPvRmT2_T3_T4_T5_mT6_T7_P12ihipStream_tbENKUlT_T0_E_clISt17integral_constantIbLb1EESZ_EEDaSU_SV_EUlSU_E_NS1_11comp_targetILNS1_3genE8ELNS1_11target_archE1030ELNS1_3gpuE2ELNS1_3repE0EEENS1_30default_config_static_selectorELNS0_4arch9wavefront6targetE0EEEvT1_.num_named_barrier, 0
	.set _ZN7rocprim17ROCPRIM_400000_NS6detail17trampoline_kernelINS0_14default_configENS1_27scan_by_key_config_selectorIxxEEZZNS1_16scan_by_key_implILNS1_25lookback_scan_determinismE0ELb0ES3_N6thrust23THRUST_200600_302600_NS6detail15normal_iteratorINS9_10device_ptrIxEEEESE_SE_xNS9_4plusIvEENS9_8equal_toIxEExEE10hipError_tPvRmT2_T3_T4_T5_mT6_T7_P12ihipStream_tbENKUlT_T0_E_clISt17integral_constantIbLb1EESZ_EEDaSU_SV_EUlSU_E_NS1_11comp_targetILNS1_3genE8ELNS1_11target_archE1030ELNS1_3gpuE2ELNS1_3repE0EEENS1_30default_config_static_selectorELNS0_4arch9wavefront6targetE0EEEvT1_.private_seg_size, 0
	.set _ZN7rocprim17ROCPRIM_400000_NS6detail17trampoline_kernelINS0_14default_configENS1_27scan_by_key_config_selectorIxxEEZZNS1_16scan_by_key_implILNS1_25lookback_scan_determinismE0ELb0ES3_N6thrust23THRUST_200600_302600_NS6detail15normal_iteratorINS9_10device_ptrIxEEEESE_SE_xNS9_4plusIvEENS9_8equal_toIxEExEE10hipError_tPvRmT2_T3_T4_T5_mT6_T7_P12ihipStream_tbENKUlT_T0_E_clISt17integral_constantIbLb1EESZ_EEDaSU_SV_EUlSU_E_NS1_11comp_targetILNS1_3genE8ELNS1_11target_archE1030ELNS1_3gpuE2ELNS1_3repE0EEENS1_30default_config_static_selectorELNS0_4arch9wavefront6targetE0EEEvT1_.uses_vcc, 0
	.set _ZN7rocprim17ROCPRIM_400000_NS6detail17trampoline_kernelINS0_14default_configENS1_27scan_by_key_config_selectorIxxEEZZNS1_16scan_by_key_implILNS1_25lookback_scan_determinismE0ELb0ES3_N6thrust23THRUST_200600_302600_NS6detail15normal_iteratorINS9_10device_ptrIxEEEESE_SE_xNS9_4plusIvEENS9_8equal_toIxEExEE10hipError_tPvRmT2_T3_T4_T5_mT6_T7_P12ihipStream_tbENKUlT_T0_E_clISt17integral_constantIbLb1EESZ_EEDaSU_SV_EUlSU_E_NS1_11comp_targetILNS1_3genE8ELNS1_11target_archE1030ELNS1_3gpuE2ELNS1_3repE0EEENS1_30default_config_static_selectorELNS0_4arch9wavefront6targetE0EEEvT1_.uses_flat_scratch, 0
	.set _ZN7rocprim17ROCPRIM_400000_NS6detail17trampoline_kernelINS0_14default_configENS1_27scan_by_key_config_selectorIxxEEZZNS1_16scan_by_key_implILNS1_25lookback_scan_determinismE0ELb0ES3_N6thrust23THRUST_200600_302600_NS6detail15normal_iteratorINS9_10device_ptrIxEEEESE_SE_xNS9_4plusIvEENS9_8equal_toIxEExEE10hipError_tPvRmT2_T3_T4_T5_mT6_T7_P12ihipStream_tbENKUlT_T0_E_clISt17integral_constantIbLb1EESZ_EEDaSU_SV_EUlSU_E_NS1_11comp_targetILNS1_3genE8ELNS1_11target_archE1030ELNS1_3gpuE2ELNS1_3repE0EEENS1_30default_config_static_selectorELNS0_4arch9wavefront6targetE0EEEvT1_.has_dyn_sized_stack, 0
	.set _ZN7rocprim17ROCPRIM_400000_NS6detail17trampoline_kernelINS0_14default_configENS1_27scan_by_key_config_selectorIxxEEZZNS1_16scan_by_key_implILNS1_25lookback_scan_determinismE0ELb0ES3_N6thrust23THRUST_200600_302600_NS6detail15normal_iteratorINS9_10device_ptrIxEEEESE_SE_xNS9_4plusIvEENS9_8equal_toIxEExEE10hipError_tPvRmT2_T3_T4_T5_mT6_T7_P12ihipStream_tbENKUlT_T0_E_clISt17integral_constantIbLb1EESZ_EEDaSU_SV_EUlSU_E_NS1_11comp_targetILNS1_3genE8ELNS1_11target_archE1030ELNS1_3gpuE2ELNS1_3repE0EEENS1_30default_config_static_selectorELNS0_4arch9wavefront6targetE0EEEvT1_.has_recursion, 0
	.set _ZN7rocprim17ROCPRIM_400000_NS6detail17trampoline_kernelINS0_14default_configENS1_27scan_by_key_config_selectorIxxEEZZNS1_16scan_by_key_implILNS1_25lookback_scan_determinismE0ELb0ES3_N6thrust23THRUST_200600_302600_NS6detail15normal_iteratorINS9_10device_ptrIxEEEESE_SE_xNS9_4plusIvEENS9_8equal_toIxEExEE10hipError_tPvRmT2_T3_T4_T5_mT6_T7_P12ihipStream_tbENKUlT_T0_E_clISt17integral_constantIbLb1EESZ_EEDaSU_SV_EUlSU_E_NS1_11comp_targetILNS1_3genE8ELNS1_11target_archE1030ELNS1_3gpuE2ELNS1_3repE0EEENS1_30default_config_static_selectorELNS0_4arch9wavefront6targetE0EEEvT1_.has_indirect_call, 0
	.section	.AMDGPU.csdata,"",@progbits
; Kernel info:
; codeLenInByte = 4
; TotalNumSgprs: 0
; NumVgprs: 0
; ScratchSize: 0
; MemoryBound: 0
; FloatMode: 240
; IeeeMode: 1
; LDSByteSize: 0 bytes/workgroup (compile time only)
; SGPRBlocks: 0
; VGPRBlocks: 0
; NumSGPRsForWavesPerEU: 1
; NumVGPRsForWavesPerEU: 1
; Occupancy: 16
; WaveLimiterHint : 0
; COMPUTE_PGM_RSRC2:SCRATCH_EN: 0
; COMPUTE_PGM_RSRC2:USER_SGPR: 6
; COMPUTE_PGM_RSRC2:TRAP_HANDLER: 0
; COMPUTE_PGM_RSRC2:TGID_X_EN: 1
; COMPUTE_PGM_RSRC2:TGID_Y_EN: 0
; COMPUTE_PGM_RSRC2:TGID_Z_EN: 0
; COMPUTE_PGM_RSRC2:TIDIG_COMP_CNT: 0
	.section	.text._ZN7rocprim17ROCPRIM_400000_NS6detail17trampoline_kernelINS0_14default_configENS1_27scan_by_key_config_selectorIxxEEZZNS1_16scan_by_key_implILNS1_25lookback_scan_determinismE0ELb0ES3_N6thrust23THRUST_200600_302600_NS6detail15normal_iteratorINS9_10device_ptrIxEEEESE_SE_xNS9_4plusIvEENS9_8equal_toIxEExEE10hipError_tPvRmT2_T3_T4_T5_mT6_T7_P12ihipStream_tbENKUlT_T0_E_clISt17integral_constantIbLb1EESY_IbLb0EEEEDaSU_SV_EUlSU_E_NS1_11comp_targetILNS1_3genE0ELNS1_11target_archE4294967295ELNS1_3gpuE0ELNS1_3repE0EEENS1_30default_config_static_selectorELNS0_4arch9wavefront6targetE0EEEvT1_,"axG",@progbits,_ZN7rocprim17ROCPRIM_400000_NS6detail17trampoline_kernelINS0_14default_configENS1_27scan_by_key_config_selectorIxxEEZZNS1_16scan_by_key_implILNS1_25lookback_scan_determinismE0ELb0ES3_N6thrust23THRUST_200600_302600_NS6detail15normal_iteratorINS9_10device_ptrIxEEEESE_SE_xNS9_4plusIvEENS9_8equal_toIxEExEE10hipError_tPvRmT2_T3_T4_T5_mT6_T7_P12ihipStream_tbENKUlT_T0_E_clISt17integral_constantIbLb1EESY_IbLb0EEEEDaSU_SV_EUlSU_E_NS1_11comp_targetILNS1_3genE0ELNS1_11target_archE4294967295ELNS1_3gpuE0ELNS1_3repE0EEENS1_30default_config_static_selectorELNS0_4arch9wavefront6targetE0EEEvT1_,comdat
	.protected	_ZN7rocprim17ROCPRIM_400000_NS6detail17trampoline_kernelINS0_14default_configENS1_27scan_by_key_config_selectorIxxEEZZNS1_16scan_by_key_implILNS1_25lookback_scan_determinismE0ELb0ES3_N6thrust23THRUST_200600_302600_NS6detail15normal_iteratorINS9_10device_ptrIxEEEESE_SE_xNS9_4plusIvEENS9_8equal_toIxEExEE10hipError_tPvRmT2_T3_T4_T5_mT6_T7_P12ihipStream_tbENKUlT_T0_E_clISt17integral_constantIbLb1EESY_IbLb0EEEEDaSU_SV_EUlSU_E_NS1_11comp_targetILNS1_3genE0ELNS1_11target_archE4294967295ELNS1_3gpuE0ELNS1_3repE0EEENS1_30default_config_static_selectorELNS0_4arch9wavefront6targetE0EEEvT1_ ; -- Begin function _ZN7rocprim17ROCPRIM_400000_NS6detail17trampoline_kernelINS0_14default_configENS1_27scan_by_key_config_selectorIxxEEZZNS1_16scan_by_key_implILNS1_25lookback_scan_determinismE0ELb0ES3_N6thrust23THRUST_200600_302600_NS6detail15normal_iteratorINS9_10device_ptrIxEEEESE_SE_xNS9_4plusIvEENS9_8equal_toIxEExEE10hipError_tPvRmT2_T3_T4_T5_mT6_T7_P12ihipStream_tbENKUlT_T0_E_clISt17integral_constantIbLb1EESY_IbLb0EEEEDaSU_SV_EUlSU_E_NS1_11comp_targetILNS1_3genE0ELNS1_11target_archE4294967295ELNS1_3gpuE0ELNS1_3repE0EEENS1_30default_config_static_selectorELNS0_4arch9wavefront6targetE0EEEvT1_
	.globl	_ZN7rocprim17ROCPRIM_400000_NS6detail17trampoline_kernelINS0_14default_configENS1_27scan_by_key_config_selectorIxxEEZZNS1_16scan_by_key_implILNS1_25lookback_scan_determinismE0ELb0ES3_N6thrust23THRUST_200600_302600_NS6detail15normal_iteratorINS9_10device_ptrIxEEEESE_SE_xNS9_4plusIvEENS9_8equal_toIxEExEE10hipError_tPvRmT2_T3_T4_T5_mT6_T7_P12ihipStream_tbENKUlT_T0_E_clISt17integral_constantIbLb1EESY_IbLb0EEEEDaSU_SV_EUlSU_E_NS1_11comp_targetILNS1_3genE0ELNS1_11target_archE4294967295ELNS1_3gpuE0ELNS1_3repE0EEENS1_30default_config_static_selectorELNS0_4arch9wavefront6targetE0EEEvT1_
	.p2align	8
	.type	_ZN7rocprim17ROCPRIM_400000_NS6detail17trampoline_kernelINS0_14default_configENS1_27scan_by_key_config_selectorIxxEEZZNS1_16scan_by_key_implILNS1_25lookback_scan_determinismE0ELb0ES3_N6thrust23THRUST_200600_302600_NS6detail15normal_iteratorINS9_10device_ptrIxEEEESE_SE_xNS9_4plusIvEENS9_8equal_toIxEExEE10hipError_tPvRmT2_T3_T4_T5_mT6_T7_P12ihipStream_tbENKUlT_T0_E_clISt17integral_constantIbLb1EESY_IbLb0EEEEDaSU_SV_EUlSU_E_NS1_11comp_targetILNS1_3genE0ELNS1_11target_archE4294967295ELNS1_3gpuE0ELNS1_3repE0EEENS1_30default_config_static_selectorELNS0_4arch9wavefront6targetE0EEEvT1_,@function
_ZN7rocprim17ROCPRIM_400000_NS6detail17trampoline_kernelINS0_14default_configENS1_27scan_by_key_config_selectorIxxEEZZNS1_16scan_by_key_implILNS1_25lookback_scan_determinismE0ELb0ES3_N6thrust23THRUST_200600_302600_NS6detail15normal_iteratorINS9_10device_ptrIxEEEESE_SE_xNS9_4plusIvEENS9_8equal_toIxEExEE10hipError_tPvRmT2_T3_T4_T5_mT6_T7_P12ihipStream_tbENKUlT_T0_E_clISt17integral_constantIbLb1EESY_IbLb0EEEEDaSU_SV_EUlSU_E_NS1_11comp_targetILNS1_3genE0ELNS1_11target_archE4294967295ELNS1_3gpuE0ELNS1_3repE0EEENS1_30default_config_static_selectorELNS0_4arch9wavefront6targetE0EEEvT1_: ; @_ZN7rocprim17ROCPRIM_400000_NS6detail17trampoline_kernelINS0_14default_configENS1_27scan_by_key_config_selectorIxxEEZZNS1_16scan_by_key_implILNS1_25lookback_scan_determinismE0ELb0ES3_N6thrust23THRUST_200600_302600_NS6detail15normal_iteratorINS9_10device_ptrIxEEEESE_SE_xNS9_4plusIvEENS9_8equal_toIxEExEE10hipError_tPvRmT2_T3_T4_T5_mT6_T7_P12ihipStream_tbENKUlT_T0_E_clISt17integral_constantIbLb1EESY_IbLb0EEEEDaSU_SV_EUlSU_E_NS1_11comp_targetILNS1_3genE0ELNS1_11target_archE4294967295ELNS1_3gpuE0ELNS1_3repE0EEENS1_30default_config_static_selectorELNS0_4arch9wavefront6targetE0EEEvT1_
; %bb.0:
	.section	.rodata,"a",@progbits
	.p2align	6, 0x0
	.amdhsa_kernel _ZN7rocprim17ROCPRIM_400000_NS6detail17trampoline_kernelINS0_14default_configENS1_27scan_by_key_config_selectorIxxEEZZNS1_16scan_by_key_implILNS1_25lookback_scan_determinismE0ELb0ES3_N6thrust23THRUST_200600_302600_NS6detail15normal_iteratorINS9_10device_ptrIxEEEESE_SE_xNS9_4plusIvEENS9_8equal_toIxEExEE10hipError_tPvRmT2_T3_T4_T5_mT6_T7_P12ihipStream_tbENKUlT_T0_E_clISt17integral_constantIbLb1EESY_IbLb0EEEEDaSU_SV_EUlSU_E_NS1_11comp_targetILNS1_3genE0ELNS1_11target_archE4294967295ELNS1_3gpuE0ELNS1_3repE0EEENS1_30default_config_static_selectorELNS0_4arch9wavefront6targetE0EEEvT1_
		.amdhsa_group_segment_fixed_size 0
		.amdhsa_private_segment_fixed_size 0
		.amdhsa_kernarg_size 136
		.amdhsa_user_sgpr_count 6
		.amdhsa_user_sgpr_private_segment_buffer 1
		.amdhsa_user_sgpr_dispatch_ptr 0
		.amdhsa_user_sgpr_queue_ptr 0
		.amdhsa_user_sgpr_kernarg_segment_ptr 1
		.amdhsa_user_sgpr_dispatch_id 0
		.amdhsa_user_sgpr_flat_scratch_init 0
		.amdhsa_user_sgpr_private_segment_size 0
		.amdhsa_wavefront_size32 1
		.amdhsa_uses_dynamic_stack 0
		.amdhsa_system_sgpr_private_segment_wavefront_offset 0
		.amdhsa_system_sgpr_workgroup_id_x 1
		.amdhsa_system_sgpr_workgroup_id_y 0
		.amdhsa_system_sgpr_workgroup_id_z 0
		.amdhsa_system_sgpr_workgroup_info 0
		.amdhsa_system_vgpr_workitem_id 0
		.amdhsa_next_free_vgpr 1
		.amdhsa_next_free_sgpr 1
		.amdhsa_reserve_vcc 0
		.amdhsa_reserve_flat_scratch 0
		.amdhsa_float_round_mode_32 0
		.amdhsa_float_round_mode_16_64 0
		.amdhsa_float_denorm_mode_32 3
		.amdhsa_float_denorm_mode_16_64 3
		.amdhsa_dx10_clamp 1
		.amdhsa_ieee_mode 1
		.amdhsa_fp16_overflow 0
		.amdhsa_workgroup_processor_mode 1
		.amdhsa_memory_ordered 1
		.amdhsa_forward_progress 1
		.amdhsa_shared_vgpr_count 0
		.amdhsa_exception_fp_ieee_invalid_op 0
		.amdhsa_exception_fp_denorm_src 0
		.amdhsa_exception_fp_ieee_div_zero 0
		.amdhsa_exception_fp_ieee_overflow 0
		.amdhsa_exception_fp_ieee_underflow 0
		.amdhsa_exception_fp_ieee_inexact 0
		.amdhsa_exception_int_div_zero 0
	.end_amdhsa_kernel
	.section	.text._ZN7rocprim17ROCPRIM_400000_NS6detail17trampoline_kernelINS0_14default_configENS1_27scan_by_key_config_selectorIxxEEZZNS1_16scan_by_key_implILNS1_25lookback_scan_determinismE0ELb0ES3_N6thrust23THRUST_200600_302600_NS6detail15normal_iteratorINS9_10device_ptrIxEEEESE_SE_xNS9_4plusIvEENS9_8equal_toIxEExEE10hipError_tPvRmT2_T3_T4_T5_mT6_T7_P12ihipStream_tbENKUlT_T0_E_clISt17integral_constantIbLb1EESY_IbLb0EEEEDaSU_SV_EUlSU_E_NS1_11comp_targetILNS1_3genE0ELNS1_11target_archE4294967295ELNS1_3gpuE0ELNS1_3repE0EEENS1_30default_config_static_selectorELNS0_4arch9wavefront6targetE0EEEvT1_,"axG",@progbits,_ZN7rocprim17ROCPRIM_400000_NS6detail17trampoline_kernelINS0_14default_configENS1_27scan_by_key_config_selectorIxxEEZZNS1_16scan_by_key_implILNS1_25lookback_scan_determinismE0ELb0ES3_N6thrust23THRUST_200600_302600_NS6detail15normal_iteratorINS9_10device_ptrIxEEEESE_SE_xNS9_4plusIvEENS9_8equal_toIxEExEE10hipError_tPvRmT2_T3_T4_T5_mT6_T7_P12ihipStream_tbENKUlT_T0_E_clISt17integral_constantIbLb1EESY_IbLb0EEEEDaSU_SV_EUlSU_E_NS1_11comp_targetILNS1_3genE0ELNS1_11target_archE4294967295ELNS1_3gpuE0ELNS1_3repE0EEENS1_30default_config_static_selectorELNS0_4arch9wavefront6targetE0EEEvT1_,comdat
.Lfunc_end101:
	.size	_ZN7rocprim17ROCPRIM_400000_NS6detail17trampoline_kernelINS0_14default_configENS1_27scan_by_key_config_selectorIxxEEZZNS1_16scan_by_key_implILNS1_25lookback_scan_determinismE0ELb0ES3_N6thrust23THRUST_200600_302600_NS6detail15normal_iteratorINS9_10device_ptrIxEEEESE_SE_xNS9_4plusIvEENS9_8equal_toIxEExEE10hipError_tPvRmT2_T3_T4_T5_mT6_T7_P12ihipStream_tbENKUlT_T0_E_clISt17integral_constantIbLb1EESY_IbLb0EEEEDaSU_SV_EUlSU_E_NS1_11comp_targetILNS1_3genE0ELNS1_11target_archE4294967295ELNS1_3gpuE0ELNS1_3repE0EEENS1_30default_config_static_selectorELNS0_4arch9wavefront6targetE0EEEvT1_, .Lfunc_end101-_ZN7rocprim17ROCPRIM_400000_NS6detail17trampoline_kernelINS0_14default_configENS1_27scan_by_key_config_selectorIxxEEZZNS1_16scan_by_key_implILNS1_25lookback_scan_determinismE0ELb0ES3_N6thrust23THRUST_200600_302600_NS6detail15normal_iteratorINS9_10device_ptrIxEEEESE_SE_xNS9_4plusIvEENS9_8equal_toIxEExEE10hipError_tPvRmT2_T3_T4_T5_mT6_T7_P12ihipStream_tbENKUlT_T0_E_clISt17integral_constantIbLb1EESY_IbLb0EEEEDaSU_SV_EUlSU_E_NS1_11comp_targetILNS1_3genE0ELNS1_11target_archE4294967295ELNS1_3gpuE0ELNS1_3repE0EEENS1_30default_config_static_selectorELNS0_4arch9wavefront6targetE0EEEvT1_
                                        ; -- End function
	.set _ZN7rocprim17ROCPRIM_400000_NS6detail17trampoline_kernelINS0_14default_configENS1_27scan_by_key_config_selectorIxxEEZZNS1_16scan_by_key_implILNS1_25lookback_scan_determinismE0ELb0ES3_N6thrust23THRUST_200600_302600_NS6detail15normal_iteratorINS9_10device_ptrIxEEEESE_SE_xNS9_4plusIvEENS9_8equal_toIxEExEE10hipError_tPvRmT2_T3_T4_T5_mT6_T7_P12ihipStream_tbENKUlT_T0_E_clISt17integral_constantIbLb1EESY_IbLb0EEEEDaSU_SV_EUlSU_E_NS1_11comp_targetILNS1_3genE0ELNS1_11target_archE4294967295ELNS1_3gpuE0ELNS1_3repE0EEENS1_30default_config_static_selectorELNS0_4arch9wavefront6targetE0EEEvT1_.num_vgpr, 0
	.set _ZN7rocprim17ROCPRIM_400000_NS6detail17trampoline_kernelINS0_14default_configENS1_27scan_by_key_config_selectorIxxEEZZNS1_16scan_by_key_implILNS1_25lookback_scan_determinismE0ELb0ES3_N6thrust23THRUST_200600_302600_NS6detail15normal_iteratorINS9_10device_ptrIxEEEESE_SE_xNS9_4plusIvEENS9_8equal_toIxEExEE10hipError_tPvRmT2_T3_T4_T5_mT6_T7_P12ihipStream_tbENKUlT_T0_E_clISt17integral_constantIbLb1EESY_IbLb0EEEEDaSU_SV_EUlSU_E_NS1_11comp_targetILNS1_3genE0ELNS1_11target_archE4294967295ELNS1_3gpuE0ELNS1_3repE0EEENS1_30default_config_static_selectorELNS0_4arch9wavefront6targetE0EEEvT1_.num_agpr, 0
	.set _ZN7rocprim17ROCPRIM_400000_NS6detail17trampoline_kernelINS0_14default_configENS1_27scan_by_key_config_selectorIxxEEZZNS1_16scan_by_key_implILNS1_25lookback_scan_determinismE0ELb0ES3_N6thrust23THRUST_200600_302600_NS6detail15normal_iteratorINS9_10device_ptrIxEEEESE_SE_xNS9_4plusIvEENS9_8equal_toIxEExEE10hipError_tPvRmT2_T3_T4_T5_mT6_T7_P12ihipStream_tbENKUlT_T0_E_clISt17integral_constantIbLb1EESY_IbLb0EEEEDaSU_SV_EUlSU_E_NS1_11comp_targetILNS1_3genE0ELNS1_11target_archE4294967295ELNS1_3gpuE0ELNS1_3repE0EEENS1_30default_config_static_selectorELNS0_4arch9wavefront6targetE0EEEvT1_.numbered_sgpr, 0
	.set _ZN7rocprim17ROCPRIM_400000_NS6detail17trampoline_kernelINS0_14default_configENS1_27scan_by_key_config_selectorIxxEEZZNS1_16scan_by_key_implILNS1_25lookback_scan_determinismE0ELb0ES3_N6thrust23THRUST_200600_302600_NS6detail15normal_iteratorINS9_10device_ptrIxEEEESE_SE_xNS9_4plusIvEENS9_8equal_toIxEExEE10hipError_tPvRmT2_T3_T4_T5_mT6_T7_P12ihipStream_tbENKUlT_T0_E_clISt17integral_constantIbLb1EESY_IbLb0EEEEDaSU_SV_EUlSU_E_NS1_11comp_targetILNS1_3genE0ELNS1_11target_archE4294967295ELNS1_3gpuE0ELNS1_3repE0EEENS1_30default_config_static_selectorELNS0_4arch9wavefront6targetE0EEEvT1_.num_named_barrier, 0
	.set _ZN7rocprim17ROCPRIM_400000_NS6detail17trampoline_kernelINS0_14default_configENS1_27scan_by_key_config_selectorIxxEEZZNS1_16scan_by_key_implILNS1_25lookback_scan_determinismE0ELb0ES3_N6thrust23THRUST_200600_302600_NS6detail15normal_iteratorINS9_10device_ptrIxEEEESE_SE_xNS9_4plusIvEENS9_8equal_toIxEExEE10hipError_tPvRmT2_T3_T4_T5_mT6_T7_P12ihipStream_tbENKUlT_T0_E_clISt17integral_constantIbLb1EESY_IbLb0EEEEDaSU_SV_EUlSU_E_NS1_11comp_targetILNS1_3genE0ELNS1_11target_archE4294967295ELNS1_3gpuE0ELNS1_3repE0EEENS1_30default_config_static_selectorELNS0_4arch9wavefront6targetE0EEEvT1_.private_seg_size, 0
	.set _ZN7rocprim17ROCPRIM_400000_NS6detail17trampoline_kernelINS0_14default_configENS1_27scan_by_key_config_selectorIxxEEZZNS1_16scan_by_key_implILNS1_25lookback_scan_determinismE0ELb0ES3_N6thrust23THRUST_200600_302600_NS6detail15normal_iteratorINS9_10device_ptrIxEEEESE_SE_xNS9_4plusIvEENS9_8equal_toIxEExEE10hipError_tPvRmT2_T3_T4_T5_mT6_T7_P12ihipStream_tbENKUlT_T0_E_clISt17integral_constantIbLb1EESY_IbLb0EEEEDaSU_SV_EUlSU_E_NS1_11comp_targetILNS1_3genE0ELNS1_11target_archE4294967295ELNS1_3gpuE0ELNS1_3repE0EEENS1_30default_config_static_selectorELNS0_4arch9wavefront6targetE0EEEvT1_.uses_vcc, 0
	.set _ZN7rocprim17ROCPRIM_400000_NS6detail17trampoline_kernelINS0_14default_configENS1_27scan_by_key_config_selectorIxxEEZZNS1_16scan_by_key_implILNS1_25lookback_scan_determinismE0ELb0ES3_N6thrust23THRUST_200600_302600_NS6detail15normal_iteratorINS9_10device_ptrIxEEEESE_SE_xNS9_4plusIvEENS9_8equal_toIxEExEE10hipError_tPvRmT2_T3_T4_T5_mT6_T7_P12ihipStream_tbENKUlT_T0_E_clISt17integral_constantIbLb1EESY_IbLb0EEEEDaSU_SV_EUlSU_E_NS1_11comp_targetILNS1_3genE0ELNS1_11target_archE4294967295ELNS1_3gpuE0ELNS1_3repE0EEENS1_30default_config_static_selectorELNS0_4arch9wavefront6targetE0EEEvT1_.uses_flat_scratch, 0
	.set _ZN7rocprim17ROCPRIM_400000_NS6detail17trampoline_kernelINS0_14default_configENS1_27scan_by_key_config_selectorIxxEEZZNS1_16scan_by_key_implILNS1_25lookback_scan_determinismE0ELb0ES3_N6thrust23THRUST_200600_302600_NS6detail15normal_iteratorINS9_10device_ptrIxEEEESE_SE_xNS9_4plusIvEENS9_8equal_toIxEExEE10hipError_tPvRmT2_T3_T4_T5_mT6_T7_P12ihipStream_tbENKUlT_T0_E_clISt17integral_constantIbLb1EESY_IbLb0EEEEDaSU_SV_EUlSU_E_NS1_11comp_targetILNS1_3genE0ELNS1_11target_archE4294967295ELNS1_3gpuE0ELNS1_3repE0EEENS1_30default_config_static_selectorELNS0_4arch9wavefront6targetE0EEEvT1_.has_dyn_sized_stack, 0
	.set _ZN7rocprim17ROCPRIM_400000_NS6detail17trampoline_kernelINS0_14default_configENS1_27scan_by_key_config_selectorIxxEEZZNS1_16scan_by_key_implILNS1_25lookback_scan_determinismE0ELb0ES3_N6thrust23THRUST_200600_302600_NS6detail15normal_iteratorINS9_10device_ptrIxEEEESE_SE_xNS9_4plusIvEENS9_8equal_toIxEExEE10hipError_tPvRmT2_T3_T4_T5_mT6_T7_P12ihipStream_tbENKUlT_T0_E_clISt17integral_constantIbLb1EESY_IbLb0EEEEDaSU_SV_EUlSU_E_NS1_11comp_targetILNS1_3genE0ELNS1_11target_archE4294967295ELNS1_3gpuE0ELNS1_3repE0EEENS1_30default_config_static_selectorELNS0_4arch9wavefront6targetE0EEEvT1_.has_recursion, 0
	.set _ZN7rocprim17ROCPRIM_400000_NS6detail17trampoline_kernelINS0_14default_configENS1_27scan_by_key_config_selectorIxxEEZZNS1_16scan_by_key_implILNS1_25lookback_scan_determinismE0ELb0ES3_N6thrust23THRUST_200600_302600_NS6detail15normal_iteratorINS9_10device_ptrIxEEEESE_SE_xNS9_4plusIvEENS9_8equal_toIxEExEE10hipError_tPvRmT2_T3_T4_T5_mT6_T7_P12ihipStream_tbENKUlT_T0_E_clISt17integral_constantIbLb1EESY_IbLb0EEEEDaSU_SV_EUlSU_E_NS1_11comp_targetILNS1_3genE0ELNS1_11target_archE4294967295ELNS1_3gpuE0ELNS1_3repE0EEENS1_30default_config_static_selectorELNS0_4arch9wavefront6targetE0EEEvT1_.has_indirect_call, 0
	.section	.AMDGPU.csdata,"",@progbits
; Kernel info:
; codeLenInByte = 0
; TotalNumSgprs: 0
; NumVgprs: 0
; ScratchSize: 0
; MemoryBound: 0
; FloatMode: 240
; IeeeMode: 1
; LDSByteSize: 0 bytes/workgroup (compile time only)
; SGPRBlocks: 0
; VGPRBlocks: 0
; NumSGPRsForWavesPerEU: 1
; NumVGPRsForWavesPerEU: 1
; Occupancy: 16
; WaveLimiterHint : 0
; COMPUTE_PGM_RSRC2:SCRATCH_EN: 0
; COMPUTE_PGM_RSRC2:USER_SGPR: 6
; COMPUTE_PGM_RSRC2:TRAP_HANDLER: 0
; COMPUTE_PGM_RSRC2:TGID_X_EN: 1
; COMPUTE_PGM_RSRC2:TGID_Y_EN: 0
; COMPUTE_PGM_RSRC2:TGID_Z_EN: 0
; COMPUTE_PGM_RSRC2:TIDIG_COMP_CNT: 0
	.section	.text._ZN7rocprim17ROCPRIM_400000_NS6detail17trampoline_kernelINS0_14default_configENS1_27scan_by_key_config_selectorIxxEEZZNS1_16scan_by_key_implILNS1_25lookback_scan_determinismE0ELb0ES3_N6thrust23THRUST_200600_302600_NS6detail15normal_iteratorINS9_10device_ptrIxEEEESE_SE_xNS9_4plusIvEENS9_8equal_toIxEExEE10hipError_tPvRmT2_T3_T4_T5_mT6_T7_P12ihipStream_tbENKUlT_T0_E_clISt17integral_constantIbLb1EESY_IbLb0EEEEDaSU_SV_EUlSU_E_NS1_11comp_targetILNS1_3genE10ELNS1_11target_archE1201ELNS1_3gpuE5ELNS1_3repE0EEENS1_30default_config_static_selectorELNS0_4arch9wavefront6targetE0EEEvT1_,"axG",@progbits,_ZN7rocprim17ROCPRIM_400000_NS6detail17trampoline_kernelINS0_14default_configENS1_27scan_by_key_config_selectorIxxEEZZNS1_16scan_by_key_implILNS1_25lookback_scan_determinismE0ELb0ES3_N6thrust23THRUST_200600_302600_NS6detail15normal_iteratorINS9_10device_ptrIxEEEESE_SE_xNS9_4plusIvEENS9_8equal_toIxEExEE10hipError_tPvRmT2_T3_T4_T5_mT6_T7_P12ihipStream_tbENKUlT_T0_E_clISt17integral_constantIbLb1EESY_IbLb0EEEEDaSU_SV_EUlSU_E_NS1_11comp_targetILNS1_3genE10ELNS1_11target_archE1201ELNS1_3gpuE5ELNS1_3repE0EEENS1_30default_config_static_selectorELNS0_4arch9wavefront6targetE0EEEvT1_,comdat
	.protected	_ZN7rocprim17ROCPRIM_400000_NS6detail17trampoline_kernelINS0_14default_configENS1_27scan_by_key_config_selectorIxxEEZZNS1_16scan_by_key_implILNS1_25lookback_scan_determinismE0ELb0ES3_N6thrust23THRUST_200600_302600_NS6detail15normal_iteratorINS9_10device_ptrIxEEEESE_SE_xNS9_4plusIvEENS9_8equal_toIxEExEE10hipError_tPvRmT2_T3_T4_T5_mT6_T7_P12ihipStream_tbENKUlT_T0_E_clISt17integral_constantIbLb1EESY_IbLb0EEEEDaSU_SV_EUlSU_E_NS1_11comp_targetILNS1_3genE10ELNS1_11target_archE1201ELNS1_3gpuE5ELNS1_3repE0EEENS1_30default_config_static_selectorELNS0_4arch9wavefront6targetE0EEEvT1_ ; -- Begin function _ZN7rocprim17ROCPRIM_400000_NS6detail17trampoline_kernelINS0_14default_configENS1_27scan_by_key_config_selectorIxxEEZZNS1_16scan_by_key_implILNS1_25lookback_scan_determinismE0ELb0ES3_N6thrust23THRUST_200600_302600_NS6detail15normal_iteratorINS9_10device_ptrIxEEEESE_SE_xNS9_4plusIvEENS9_8equal_toIxEExEE10hipError_tPvRmT2_T3_T4_T5_mT6_T7_P12ihipStream_tbENKUlT_T0_E_clISt17integral_constantIbLb1EESY_IbLb0EEEEDaSU_SV_EUlSU_E_NS1_11comp_targetILNS1_3genE10ELNS1_11target_archE1201ELNS1_3gpuE5ELNS1_3repE0EEENS1_30default_config_static_selectorELNS0_4arch9wavefront6targetE0EEEvT1_
	.globl	_ZN7rocprim17ROCPRIM_400000_NS6detail17trampoline_kernelINS0_14default_configENS1_27scan_by_key_config_selectorIxxEEZZNS1_16scan_by_key_implILNS1_25lookback_scan_determinismE0ELb0ES3_N6thrust23THRUST_200600_302600_NS6detail15normal_iteratorINS9_10device_ptrIxEEEESE_SE_xNS9_4plusIvEENS9_8equal_toIxEExEE10hipError_tPvRmT2_T3_T4_T5_mT6_T7_P12ihipStream_tbENKUlT_T0_E_clISt17integral_constantIbLb1EESY_IbLb0EEEEDaSU_SV_EUlSU_E_NS1_11comp_targetILNS1_3genE10ELNS1_11target_archE1201ELNS1_3gpuE5ELNS1_3repE0EEENS1_30default_config_static_selectorELNS0_4arch9wavefront6targetE0EEEvT1_
	.p2align	8
	.type	_ZN7rocprim17ROCPRIM_400000_NS6detail17trampoline_kernelINS0_14default_configENS1_27scan_by_key_config_selectorIxxEEZZNS1_16scan_by_key_implILNS1_25lookback_scan_determinismE0ELb0ES3_N6thrust23THRUST_200600_302600_NS6detail15normal_iteratorINS9_10device_ptrIxEEEESE_SE_xNS9_4plusIvEENS9_8equal_toIxEExEE10hipError_tPvRmT2_T3_T4_T5_mT6_T7_P12ihipStream_tbENKUlT_T0_E_clISt17integral_constantIbLb1EESY_IbLb0EEEEDaSU_SV_EUlSU_E_NS1_11comp_targetILNS1_3genE10ELNS1_11target_archE1201ELNS1_3gpuE5ELNS1_3repE0EEENS1_30default_config_static_selectorELNS0_4arch9wavefront6targetE0EEEvT1_,@function
_ZN7rocprim17ROCPRIM_400000_NS6detail17trampoline_kernelINS0_14default_configENS1_27scan_by_key_config_selectorIxxEEZZNS1_16scan_by_key_implILNS1_25lookback_scan_determinismE0ELb0ES3_N6thrust23THRUST_200600_302600_NS6detail15normal_iteratorINS9_10device_ptrIxEEEESE_SE_xNS9_4plusIvEENS9_8equal_toIxEExEE10hipError_tPvRmT2_T3_T4_T5_mT6_T7_P12ihipStream_tbENKUlT_T0_E_clISt17integral_constantIbLb1EESY_IbLb0EEEEDaSU_SV_EUlSU_E_NS1_11comp_targetILNS1_3genE10ELNS1_11target_archE1201ELNS1_3gpuE5ELNS1_3repE0EEENS1_30default_config_static_selectorELNS0_4arch9wavefront6targetE0EEEvT1_: ; @_ZN7rocprim17ROCPRIM_400000_NS6detail17trampoline_kernelINS0_14default_configENS1_27scan_by_key_config_selectorIxxEEZZNS1_16scan_by_key_implILNS1_25lookback_scan_determinismE0ELb0ES3_N6thrust23THRUST_200600_302600_NS6detail15normal_iteratorINS9_10device_ptrIxEEEESE_SE_xNS9_4plusIvEENS9_8equal_toIxEExEE10hipError_tPvRmT2_T3_T4_T5_mT6_T7_P12ihipStream_tbENKUlT_T0_E_clISt17integral_constantIbLb1EESY_IbLb0EEEEDaSU_SV_EUlSU_E_NS1_11comp_targetILNS1_3genE10ELNS1_11target_archE1201ELNS1_3gpuE5ELNS1_3repE0EEENS1_30default_config_static_selectorELNS0_4arch9wavefront6targetE0EEEvT1_
; %bb.0:
	.section	.rodata,"a",@progbits
	.p2align	6, 0x0
	.amdhsa_kernel _ZN7rocprim17ROCPRIM_400000_NS6detail17trampoline_kernelINS0_14default_configENS1_27scan_by_key_config_selectorIxxEEZZNS1_16scan_by_key_implILNS1_25lookback_scan_determinismE0ELb0ES3_N6thrust23THRUST_200600_302600_NS6detail15normal_iteratorINS9_10device_ptrIxEEEESE_SE_xNS9_4plusIvEENS9_8equal_toIxEExEE10hipError_tPvRmT2_T3_T4_T5_mT6_T7_P12ihipStream_tbENKUlT_T0_E_clISt17integral_constantIbLb1EESY_IbLb0EEEEDaSU_SV_EUlSU_E_NS1_11comp_targetILNS1_3genE10ELNS1_11target_archE1201ELNS1_3gpuE5ELNS1_3repE0EEENS1_30default_config_static_selectorELNS0_4arch9wavefront6targetE0EEEvT1_
		.amdhsa_group_segment_fixed_size 0
		.amdhsa_private_segment_fixed_size 0
		.amdhsa_kernarg_size 136
		.amdhsa_user_sgpr_count 6
		.amdhsa_user_sgpr_private_segment_buffer 1
		.amdhsa_user_sgpr_dispatch_ptr 0
		.amdhsa_user_sgpr_queue_ptr 0
		.amdhsa_user_sgpr_kernarg_segment_ptr 1
		.amdhsa_user_sgpr_dispatch_id 0
		.amdhsa_user_sgpr_flat_scratch_init 0
		.amdhsa_user_sgpr_private_segment_size 0
		.amdhsa_wavefront_size32 1
		.amdhsa_uses_dynamic_stack 0
		.amdhsa_system_sgpr_private_segment_wavefront_offset 0
		.amdhsa_system_sgpr_workgroup_id_x 1
		.amdhsa_system_sgpr_workgroup_id_y 0
		.amdhsa_system_sgpr_workgroup_id_z 0
		.amdhsa_system_sgpr_workgroup_info 0
		.amdhsa_system_vgpr_workitem_id 0
		.amdhsa_next_free_vgpr 1
		.amdhsa_next_free_sgpr 1
		.amdhsa_reserve_vcc 0
		.amdhsa_reserve_flat_scratch 0
		.amdhsa_float_round_mode_32 0
		.amdhsa_float_round_mode_16_64 0
		.amdhsa_float_denorm_mode_32 3
		.amdhsa_float_denorm_mode_16_64 3
		.amdhsa_dx10_clamp 1
		.amdhsa_ieee_mode 1
		.amdhsa_fp16_overflow 0
		.amdhsa_workgroup_processor_mode 1
		.amdhsa_memory_ordered 1
		.amdhsa_forward_progress 1
		.amdhsa_shared_vgpr_count 0
		.amdhsa_exception_fp_ieee_invalid_op 0
		.amdhsa_exception_fp_denorm_src 0
		.amdhsa_exception_fp_ieee_div_zero 0
		.amdhsa_exception_fp_ieee_overflow 0
		.amdhsa_exception_fp_ieee_underflow 0
		.amdhsa_exception_fp_ieee_inexact 0
		.amdhsa_exception_int_div_zero 0
	.end_amdhsa_kernel
	.section	.text._ZN7rocprim17ROCPRIM_400000_NS6detail17trampoline_kernelINS0_14default_configENS1_27scan_by_key_config_selectorIxxEEZZNS1_16scan_by_key_implILNS1_25lookback_scan_determinismE0ELb0ES3_N6thrust23THRUST_200600_302600_NS6detail15normal_iteratorINS9_10device_ptrIxEEEESE_SE_xNS9_4plusIvEENS9_8equal_toIxEExEE10hipError_tPvRmT2_T3_T4_T5_mT6_T7_P12ihipStream_tbENKUlT_T0_E_clISt17integral_constantIbLb1EESY_IbLb0EEEEDaSU_SV_EUlSU_E_NS1_11comp_targetILNS1_3genE10ELNS1_11target_archE1201ELNS1_3gpuE5ELNS1_3repE0EEENS1_30default_config_static_selectorELNS0_4arch9wavefront6targetE0EEEvT1_,"axG",@progbits,_ZN7rocprim17ROCPRIM_400000_NS6detail17trampoline_kernelINS0_14default_configENS1_27scan_by_key_config_selectorIxxEEZZNS1_16scan_by_key_implILNS1_25lookback_scan_determinismE0ELb0ES3_N6thrust23THRUST_200600_302600_NS6detail15normal_iteratorINS9_10device_ptrIxEEEESE_SE_xNS9_4plusIvEENS9_8equal_toIxEExEE10hipError_tPvRmT2_T3_T4_T5_mT6_T7_P12ihipStream_tbENKUlT_T0_E_clISt17integral_constantIbLb1EESY_IbLb0EEEEDaSU_SV_EUlSU_E_NS1_11comp_targetILNS1_3genE10ELNS1_11target_archE1201ELNS1_3gpuE5ELNS1_3repE0EEENS1_30default_config_static_selectorELNS0_4arch9wavefront6targetE0EEEvT1_,comdat
.Lfunc_end102:
	.size	_ZN7rocprim17ROCPRIM_400000_NS6detail17trampoline_kernelINS0_14default_configENS1_27scan_by_key_config_selectorIxxEEZZNS1_16scan_by_key_implILNS1_25lookback_scan_determinismE0ELb0ES3_N6thrust23THRUST_200600_302600_NS6detail15normal_iteratorINS9_10device_ptrIxEEEESE_SE_xNS9_4plusIvEENS9_8equal_toIxEExEE10hipError_tPvRmT2_T3_T4_T5_mT6_T7_P12ihipStream_tbENKUlT_T0_E_clISt17integral_constantIbLb1EESY_IbLb0EEEEDaSU_SV_EUlSU_E_NS1_11comp_targetILNS1_3genE10ELNS1_11target_archE1201ELNS1_3gpuE5ELNS1_3repE0EEENS1_30default_config_static_selectorELNS0_4arch9wavefront6targetE0EEEvT1_, .Lfunc_end102-_ZN7rocprim17ROCPRIM_400000_NS6detail17trampoline_kernelINS0_14default_configENS1_27scan_by_key_config_selectorIxxEEZZNS1_16scan_by_key_implILNS1_25lookback_scan_determinismE0ELb0ES3_N6thrust23THRUST_200600_302600_NS6detail15normal_iteratorINS9_10device_ptrIxEEEESE_SE_xNS9_4plusIvEENS9_8equal_toIxEExEE10hipError_tPvRmT2_T3_T4_T5_mT6_T7_P12ihipStream_tbENKUlT_T0_E_clISt17integral_constantIbLb1EESY_IbLb0EEEEDaSU_SV_EUlSU_E_NS1_11comp_targetILNS1_3genE10ELNS1_11target_archE1201ELNS1_3gpuE5ELNS1_3repE0EEENS1_30default_config_static_selectorELNS0_4arch9wavefront6targetE0EEEvT1_
                                        ; -- End function
	.set _ZN7rocprim17ROCPRIM_400000_NS6detail17trampoline_kernelINS0_14default_configENS1_27scan_by_key_config_selectorIxxEEZZNS1_16scan_by_key_implILNS1_25lookback_scan_determinismE0ELb0ES3_N6thrust23THRUST_200600_302600_NS6detail15normal_iteratorINS9_10device_ptrIxEEEESE_SE_xNS9_4plusIvEENS9_8equal_toIxEExEE10hipError_tPvRmT2_T3_T4_T5_mT6_T7_P12ihipStream_tbENKUlT_T0_E_clISt17integral_constantIbLb1EESY_IbLb0EEEEDaSU_SV_EUlSU_E_NS1_11comp_targetILNS1_3genE10ELNS1_11target_archE1201ELNS1_3gpuE5ELNS1_3repE0EEENS1_30default_config_static_selectorELNS0_4arch9wavefront6targetE0EEEvT1_.num_vgpr, 0
	.set _ZN7rocprim17ROCPRIM_400000_NS6detail17trampoline_kernelINS0_14default_configENS1_27scan_by_key_config_selectorIxxEEZZNS1_16scan_by_key_implILNS1_25lookback_scan_determinismE0ELb0ES3_N6thrust23THRUST_200600_302600_NS6detail15normal_iteratorINS9_10device_ptrIxEEEESE_SE_xNS9_4plusIvEENS9_8equal_toIxEExEE10hipError_tPvRmT2_T3_T4_T5_mT6_T7_P12ihipStream_tbENKUlT_T0_E_clISt17integral_constantIbLb1EESY_IbLb0EEEEDaSU_SV_EUlSU_E_NS1_11comp_targetILNS1_3genE10ELNS1_11target_archE1201ELNS1_3gpuE5ELNS1_3repE0EEENS1_30default_config_static_selectorELNS0_4arch9wavefront6targetE0EEEvT1_.num_agpr, 0
	.set _ZN7rocprim17ROCPRIM_400000_NS6detail17trampoline_kernelINS0_14default_configENS1_27scan_by_key_config_selectorIxxEEZZNS1_16scan_by_key_implILNS1_25lookback_scan_determinismE0ELb0ES3_N6thrust23THRUST_200600_302600_NS6detail15normal_iteratorINS9_10device_ptrIxEEEESE_SE_xNS9_4plusIvEENS9_8equal_toIxEExEE10hipError_tPvRmT2_T3_T4_T5_mT6_T7_P12ihipStream_tbENKUlT_T0_E_clISt17integral_constantIbLb1EESY_IbLb0EEEEDaSU_SV_EUlSU_E_NS1_11comp_targetILNS1_3genE10ELNS1_11target_archE1201ELNS1_3gpuE5ELNS1_3repE0EEENS1_30default_config_static_selectorELNS0_4arch9wavefront6targetE0EEEvT1_.numbered_sgpr, 0
	.set _ZN7rocprim17ROCPRIM_400000_NS6detail17trampoline_kernelINS0_14default_configENS1_27scan_by_key_config_selectorIxxEEZZNS1_16scan_by_key_implILNS1_25lookback_scan_determinismE0ELb0ES3_N6thrust23THRUST_200600_302600_NS6detail15normal_iteratorINS9_10device_ptrIxEEEESE_SE_xNS9_4plusIvEENS9_8equal_toIxEExEE10hipError_tPvRmT2_T3_T4_T5_mT6_T7_P12ihipStream_tbENKUlT_T0_E_clISt17integral_constantIbLb1EESY_IbLb0EEEEDaSU_SV_EUlSU_E_NS1_11comp_targetILNS1_3genE10ELNS1_11target_archE1201ELNS1_3gpuE5ELNS1_3repE0EEENS1_30default_config_static_selectorELNS0_4arch9wavefront6targetE0EEEvT1_.num_named_barrier, 0
	.set _ZN7rocprim17ROCPRIM_400000_NS6detail17trampoline_kernelINS0_14default_configENS1_27scan_by_key_config_selectorIxxEEZZNS1_16scan_by_key_implILNS1_25lookback_scan_determinismE0ELb0ES3_N6thrust23THRUST_200600_302600_NS6detail15normal_iteratorINS9_10device_ptrIxEEEESE_SE_xNS9_4plusIvEENS9_8equal_toIxEExEE10hipError_tPvRmT2_T3_T4_T5_mT6_T7_P12ihipStream_tbENKUlT_T0_E_clISt17integral_constantIbLb1EESY_IbLb0EEEEDaSU_SV_EUlSU_E_NS1_11comp_targetILNS1_3genE10ELNS1_11target_archE1201ELNS1_3gpuE5ELNS1_3repE0EEENS1_30default_config_static_selectorELNS0_4arch9wavefront6targetE0EEEvT1_.private_seg_size, 0
	.set _ZN7rocprim17ROCPRIM_400000_NS6detail17trampoline_kernelINS0_14default_configENS1_27scan_by_key_config_selectorIxxEEZZNS1_16scan_by_key_implILNS1_25lookback_scan_determinismE0ELb0ES3_N6thrust23THRUST_200600_302600_NS6detail15normal_iteratorINS9_10device_ptrIxEEEESE_SE_xNS9_4plusIvEENS9_8equal_toIxEExEE10hipError_tPvRmT2_T3_T4_T5_mT6_T7_P12ihipStream_tbENKUlT_T0_E_clISt17integral_constantIbLb1EESY_IbLb0EEEEDaSU_SV_EUlSU_E_NS1_11comp_targetILNS1_3genE10ELNS1_11target_archE1201ELNS1_3gpuE5ELNS1_3repE0EEENS1_30default_config_static_selectorELNS0_4arch9wavefront6targetE0EEEvT1_.uses_vcc, 0
	.set _ZN7rocprim17ROCPRIM_400000_NS6detail17trampoline_kernelINS0_14default_configENS1_27scan_by_key_config_selectorIxxEEZZNS1_16scan_by_key_implILNS1_25lookback_scan_determinismE0ELb0ES3_N6thrust23THRUST_200600_302600_NS6detail15normal_iteratorINS9_10device_ptrIxEEEESE_SE_xNS9_4plusIvEENS9_8equal_toIxEExEE10hipError_tPvRmT2_T3_T4_T5_mT6_T7_P12ihipStream_tbENKUlT_T0_E_clISt17integral_constantIbLb1EESY_IbLb0EEEEDaSU_SV_EUlSU_E_NS1_11comp_targetILNS1_3genE10ELNS1_11target_archE1201ELNS1_3gpuE5ELNS1_3repE0EEENS1_30default_config_static_selectorELNS0_4arch9wavefront6targetE0EEEvT1_.uses_flat_scratch, 0
	.set _ZN7rocprim17ROCPRIM_400000_NS6detail17trampoline_kernelINS0_14default_configENS1_27scan_by_key_config_selectorIxxEEZZNS1_16scan_by_key_implILNS1_25lookback_scan_determinismE0ELb0ES3_N6thrust23THRUST_200600_302600_NS6detail15normal_iteratorINS9_10device_ptrIxEEEESE_SE_xNS9_4plusIvEENS9_8equal_toIxEExEE10hipError_tPvRmT2_T3_T4_T5_mT6_T7_P12ihipStream_tbENKUlT_T0_E_clISt17integral_constantIbLb1EESY_IbLb0EEEEDaSU_SV_EUlSU_E_NS1_11comp_targetILNS1_3genE10ELNS1_11target_archE1201ELNS1_3gpuE5ELNS1_3repE0EEENS1_30default_config_static_selectorELNS0_4arch9wavefront6targetE0EEEvT1_.has_dyn_sized_stack, 0
	.set _ZN7rocprim17ROCPRIM_400000_NS6detail17trampoline_kernelINS0_14default_configENS1_27scan_by_key_config_selectorIxxEEZZNS1_16scan_by_key_implILNS1_25lookback_scan_determinismE0ELb0ES3_N6thrust23THRUST_200600_302600_NS6detail15normal_iteratorINS9_10device_ptrIxEEEESE_SE_xNS9_4plusIvEENS9_8equal_toIxEExEE10hipError_tPvRmT2_T3_T4_T5_mT6_T7_P12ihipStream_tbENKUlT_T0_E_clISt17integral_constantIbLb1EESY_IbLb0EEEEDaSU_SV_EUlSU_E_NS1_11comp_targetILNS1_3genE10ELNS1_11target_archE1201ELNS1_3gpuE5ELNS1_3repE0EEENS1_30default_config_static_selectorELNS0_4arch9wavefront6targetE0EEEvT1_.has_recursion, 0
	.set _ZN7rocprim17ROCPRIM_400000_NS6detail17trampoline_kernelINS0_14default_configENS1_27scan_by_key_config_selectorIxxEEZZNS1_16scan_by_key_implILNS1_25lookback_scan_determinismE0ELb0ES3_N6thrust23THRUST_200600_302600_NS6detail15normal_iteratorINS9_10device_ptrIxEEEESE_SE_xNS9_4plusIvEENS9_8equal_toIxEExEE10hipError_tPvRmT2_T3_T4_T5_mT6_T7_P12ihipStream_tbENKUlT_T0_E_clISt17integral_constantIbLb1EESY_IbLb0EEEEDaSU_SV_EUlSU_E_NS1_11comp_targetILNS1_3genE10ELNS1_11target_archE1201ELNS1_3gpuE5ELNS1_3repE0EEENS1_30default_config_static_selectorELNS0_4arch9wavefront6targetE0EEEvT1_.has_indirect_call, 0
	.section	.AMDGPU.csdata,"",@progbits
; Kernel info:
; codeLenInByte = 0
; TotalNumSgprs: 0
; NumVgprs: 0
; ScratchSize: 0
; MemoryBound: 0
; FloatMode: 240
; IeeeMode: 1
; LDSByteSize: 0 bytes/workgroup (compile time only)
; SGPRBlocks: 0
; VGPRBlocks: 0
; NumSGPRsForWavesPerEU: 1
; NumVGPRsForWavesPerEU: 1
; Occupancy: 16
; WaveLimiterHint : 0
; COMPUTE_PGM_RSRC2:SCRATCH_EN: 0
; COMPUTE_PGM_RSRC2:USER_SGPR: 6
; COMPUTE_PGM_RSRC2:TRAP_HANDLER: 0
; COMPUTE_PGM_RSRC2:TGID_X_EN: 1
; COMPUTE_PGM_RSRC2:TGID_Y_EN: 0
; COMPUTE_PGM_RSRC2:TGID_Z_EN: 0
; COMPUTE_PGM_RSRC2:TIDIG_COMP_CNT: 0
	.section	.text._ZN7rocprim17ROCPRIM_400000_NS6detail17trampoline_kernelINS0_14default_configENS1_27scan_by_key_config_selectorIxxEEZZNS1_16scan_by_key_implILNS1_25lookback_scan_determinismE0ELb0ES3_N6thrust23THRUST_200600_302600_NS6detail15normal_iteratorINS9_10device_ptrIxEEEESE_SE_xNS9_4plusIvEENS9_8equal_toIxEExEE10hipError_tPvRmT2_T3_T4_T5_mT6_T7_P12ihipStream_tbENKUlT_T0_E_clISt17integral_constantIbLb1EESY_IbLb0EEEEDaSU_SV_EUlSU_E_NS1_11comp_targetILNS1_3genE5ELNS1_11target_archE942ELNS1_3gpuE9ELNS1_3repE0EEENS1_30default_config_static_selectorELNS0_4arch9wavefront6targetE0EEEvT1_,"axG",@progbits,_ZN7rocprim17ROCPRIM_400000_NS6detail17trampoline_kernelINS0_14default_configENS1_27scan_by_key_config_selectorIxxEEZZNS1_16scan_by_key_implILNS1_25lookback_scan_determinismE0ELb0ES3_N6thrust23THRUST_200600_302600_NS6detail15normal_iteratorINS9_10device_ptrIxEEEESE_SE_xNS9_4plusIvEENS9_8equal_toIxEExEE10hipError_tPvRmT2_T3_T4_T5_mT6_T7_P12ihipStream_tbENKUlT_T0_E_clISt17integral_constantIbLb1EESY_IbLb0EEEEDaSU_SV_EUlSU_E_NS1_11comp_targetILNS1_3genE5ELNS1_11target_archE942ELNS1_3gpuE9ELNS1_3repE0EEENS1_30default_config_static_selectorELNS0_4arch9wavefront6targetE0EEEvT1_,comdat
	.protected	_ZN7rocprim17ROCPRIM_400000_NS6detail17trampoline_kernelINS0_14default_configENS1_27scan_by_key_config_selectorIxxEEZZNS1_16scan_by_key_implILNS1_25lookback_scan_determinismE0ELb0ES3_N6thrust23THRUST_200600_302600_NS6detail15normal_iteratorINS9_10device_ptrIxEEEESE_SE_xNS9_4plusIvEENS9_8equal_toIxEExEE10hipError_tPvRmT2_T3_T4_T5_mT6_T7_P12ihipStream_tbENKUlT_T0_E_clISt17integral_constantIbLb1EESY_IbLb0EEEEDaSU_SV_EUlSU_E_NS1_11comp_targetILNS1_3genE5ELNS1_11target_archE942ELNS1_3gpuE9ELNS1_3repE0EEENS1_30default_config_static_selectorELNS0_4arch9wavefront6targetE0EEEvT1_ ; -- Begin function _ZN7rocprim17ROCPRIM_400000_NS6detail17trampoline_kernelINS0_14default_configENS1_27scan_by_key_config_selectorIxxEEZZNS1_16scan_by_key_implILNS1_25lookback_scan_determinismE0ELb0ES3_N6thrust23THRUST_200600_302600_NS6detail15normal_iteratorINS9_10device_ptrIxEEEESE_SE_xNS9_4plusIvEENS9_8equal_toIxEExEE10hipError_tPvRmT2_T3_T4_T5_mT6_T7_P12ihipStream_tbENKUlT_T0_E_clISt17integral_constantIbLb1EESY_IbLb0EEEEDaSU_SV_EUlSU_E_NS1_11comp_targetILNS1_3genE5ELNS1_11target_archE942ELNS1_3gpuE9ELNS1_3repE0EEENS1_30default_config_static_selectorELNS0_4arch9wavefront6targetE0EEEvT1_
	.globl	_ZN7rocprim17ROCPRIM_400000_NS6detail17trampoline_kernelINS0_14default_configENS1_27scan_by_key_config_selectorIxxEEZZNS1_16scan_by_key_implILNS1_25lookback_scan_determinismE0ELb0ES3_N6thrust23THRUST_200600_302600_NS6detail15normal_iteratorINS9_10device_ptrIxEEEESE_SE_xNS9_4plusIvEENS9_8equal_toIxEExEE10hipError_tPvRmT2_T3_T4_T5_mT6_T7_P12ihipStream_tbENKUlT_T0_E_clISt17integral_constantIbLb1EESY_IbLb0EEEEDaSU_SV_EUlSU_E_NS1_11comp_targetILNS1_3genE5ELNS1_11target_archE942ELNS1_3gpuE9ELNS1_3repE0EEENS1_30default_config_static_selectorELNS0_4arch9wavefront6targetE0EEEvT1_
	.p2align	8
	.type	_ZN7rocprim17ROCPRIM_400000_NS6detail17trampoline_kernelINS0_14default_configENS1_27scan_by_key_config_selectorIxxEEZZNS1_16scan_by_key_implILNS1_25lookback_scan_determinismE0ELb0ES3_N6thrust23THRUST_200600_302600_NS6detail15normal_iteratorINS9_10device_ptrIxEEEESE_SE_xNS9_4plusIvEENS9_8equal_toIxEExEE10hipError_tPvRmT2_T3_T4_T5_mT6_T7_P12ihipStream_tbENKUlT_T0_E_clISt17integral_constantIbLb1EESY_IbLb0EEEEDaSU_SV_EUlSU_E_NS1_11comp_targetILNS1_3genE5ELNS1_11target_archE942ELNS1_3gpuE9ELNS1_3repE0EEENS1_30default_config_static_selectorELNS0_4arch9wavefront6targetE0EEEvT1_,@function
_ZN7rocprim17ROCPRIM_400000_NS6detail17trampoline_kernelINS0_14default_configENS1_27scan_by_key_config_selectorIxxEEZZNS1_16scan_by_key_implILNS1_25lookback_scan_determinismE0ELb0ES3_N6thrust23THRUST_200600_302600_NS6detail15normal_iteratorINS9_10device_ptrIxEEEESE_SE_xNS9_4plusIvEENS9_8equal_toIxEExEE10hipError_tPvRmT2_T3_T4_T5_mT6_T7_P12ihipStream_tbENKUlT_T0_E_clISt17integral_constantIbLb1EESY_IbLb0EEEEDaSU_SV_EUlSU_E_NS1_11comp_targetILNS1_3genE5ELNS1_11target_archE942ELNS1_3gpuE9ELNS1_3repE0EEENS1_30default_config_static_selectorELNS0_4arch9wavefront6targetE0EEEvT1_: ; @_ZN7rocprim17ROCPRIM_400000_NS6detail17trampoline_kernelINS0_14default_configENS1_27scan_by_key_config_selectorIxxEEZZNS1_16scan_by_key_implILNS1_25lookback_scan_determinismE0ELb0ES3_N6thrust23THRUST_200600_302600_NS6detail15normal_iteratorINS9_10device_ptrIxEEEESE_SE_xNS9_4plusIvEENS9_8equal_toIxEExEE10hipError_tPvRmT2_T3_T4_T5_mT6_T7_P12ihipStream_tbENKUlT_T0_E_clISt17integral_constantIbLb1EESY_IbLb0EEEEDaSU_SV_EUlSU_E_NS1_11comp_targetILNS1_3genE5ELNS1_11target_archE942ELNS1_3gpuE9ELNS1_3repE0EEENS1_30default_config_static_selectorELNS0_4arch9wavefront6targetE0EEEvT1_
; %bb.0:
	.section	.rodata,"a",@progbits
	.p2align	6, 0x0
	.amdhsa_kernel _ZN7rocprim17ROCPRIM_400000_NS6detail17trampoline_kernelINS0_14default_configENS1_27scan_by_key_config_selectorIxxEEZZNS1_16scan_by_key_implILNS1_25lookback_scan_determinismE0ELb0ES3_N6thrust23THRUST_200600_302600_NS6detail15normal_iteratorINS9_10device_ptrIxEEEESE_SE_xNS9_4plusIvEENS9_8equal_toIxEExEE10hipError_tPvRmT2_T3_T4_T5_mT6_T7_P12ihipStream_tbENKUlT_T0_E_clISt17integral_constantIbLb1EESY_IbLb0EEEEDaSU_SV_EUlSU_E_NS1_11comp_targetILNS1_3genE5ELNS1_11target_archE942ELNS1_3gpuE9ELNS1_3repE0EEENS1_30default_config_static_selectorELNS0_4arch9wavefront6targetE0EEEvT1_
		.amdhsa_group_segment_fixed_size 0
		.amdhsa_private_segment_fixed_size 0
		.amdhsa_kernarg_size 136
		.amdhsa_user_sgpr_count 6
		.amdhsa_user_sgpr_private_segment_buffer 1
		.amdhsa_user_sgpr_dispatch_ptr 0
		.amdhsa_user_sgpr_queue_ptr 0
		.amdhsa_user_sgpr_kernarg_segment_ptr 1
		.amdhsa_user_sgpr_dispatch_id 0
		.amdhsa_user_sgpr_flat_scratch_init 0
		.amdhsa_user_sgpr_private_segment_size 0
		.amdhsa_wavefront_size32 1
		.amdhsa_uses_dynamic_stack 0
		.amdhsa_system_sgpr_private_segment_wavefront_offset 0
		.amdhsa_system_sgpr_workgroup_id_x 1
		.amdhsa_system_sgpr_workgroup_id_y 0
		.amdhsa_system_sgpr_workgroup_id_z 0
		.amdhsa_system_sgpr_workgroup_info 0
		.amdhsa_system_vgpr_workitem_id 0
		.amdhsa_next_free_vgpr 1
		.amdhsa_next_free_sgpr 1
		.amdhsa_reserve_vcc 0
		.amdhsa_reserve_flat_scratch 0
		.amdhsa_float_round_mode_32 0
		.amdhsa_float_round_mode_16_64 0
		.amdhsa_float_denorm_mode_32 3
		.amdhsa_float_denorm_mode_16_64 3
		.amdhsa_dx10_clamp 1
		.amdhsa_ieee_mode 1
		.amdhsa_fp16_overflow 0
		.amdhsa_workgroup_processor_mode 1
		.amdhsa_memory_ordered 1
		.amdhsa_forward_progress 1
		.amdhsa_shared_vgpr_count 0
		.amdhsa_exception_fp_ieee_invalid_op 0
		.amdhsa_exception_fp_denorm_src 0
		.amdhsa_exception_fp_ieee_div_zero 0
		.amdhsa_exception_fp_ieee_overflow 0
		.amdhsa_exception_fp_ieee_underflow 0
		.amdhsa_exception_fp_ieee_inexact 0
		.amdhsa_exception_int_div_zero 0
	.end_amdhsa_kernel
	.section	.text._ZN7rocprim17ROCPRIM_400000_NS6detail17trampoline_kernelINS0_14default_configENS1_27scan_by_key_config_selectorIxxEEZZNS1_16scan_by_key_implILNS1_25lookback_scan_determinismE0ELb0ES3_N6thrust23THRUST_200600_302600_NS6detail15normal_iteratorINS9_10device_ptrIxEEEESE_SE_xNS9_4plusIvEENS9_8equal_toIxEExEE10hipError_tPvRmT2_T3_T4_T5_mT6_T7_P12ihipStream_tbENKUlT_T0_E_clISt17integral_constantIbLb1EESY_IbLb0EEEEDaSU_SV_EUlSU_E_NS1_11comp_targetILNS1_3genE5ELNS1_11target_archE942ELNS1_3gpuE9ELNS1_3repE0EEENS1_30default_config_static_selectorELNS0_4arch9wavefront6targetE0EEEvT1_,"axG",@progbits,_ZN7rocprim17ROCPRIM_400000_NS6detail17trampoline_kernelINS0_14default_configENS1_27scan_by_key_config_selectorIxxEEZZNS1_16scan_by_key_implILNS1_25lookback_scan_determinismE0ELb0ES3_N6thrust23THRUST_200600_302600_NS6detail15normal_iteratorINS9_10device_ptrIxEEEESE_SE_xNS9_4plusIvEENS9_8equal_toIxEExEE10hipError_tPvRmT2_T3_T4_T5_mT6_T7_P12ihipStream_tbENKUlT_T0_E_clISt17integral_constantIbLb1EESY_IbLb0EEEEDaSU_SV_EUlSU_E_NS1_11comp_targetILNS1_3genE5ELNS1_11target_archE942ELNS1_3gpuE9ELNS1_3repE0EEENS1_30default_config_static_selectorELNS0_4arch9wavefront6targetE0EEEvT1_,comdat
.Lfunc_end103:
	.size	_ZN7rocprim17ROCPRIM_400000_NS6detail17trampoline_kernelINS0_14default_configENS1_27scan_by_key_config_selectorIxxEEZZNS1_16scan_by_key_implILNS1_25lookback_scan_determinismE0ELb0ES3_N6thrust23THRUST_200600_302600_NS6detail15normal_iteratorINS9_10device_ptrIxEEEESE_SE_xNS9_4plusIvEENS9_8equal_toIxEExEE10hipError_tPvRmT2_T3_T4_T5_mT6_T7_P12ihipStream_tbENKUlT_T0_E_clISt17integral_constantIbLb1EESY_IbLb0EEEEDaSU_SV_EUlSU_E_NS1_11comp_targetILNS1_3genE5ELNS1_11target_archE942ELNS1_3gpuE9ELNS1_3repE0EEENS1_30default_config_static_selectorELNS0_4arch9wavefront6targetE0EEEvT1_, .Lfunc_end103-_ZN7rocprim17ROCPRIM_400000_NS6detail17trampoline_kernelINS0_14default_configENS1_27scan_by_key_config_selectorIxxEEZZNS1_16scan_by_key_implILNS1_25lookback_scan_determinismE0ELb0ES3_N6thrust23THRUST_200600_302600_NS6detail15normal_iteratorINS9_10device_ptrIxEEEESE_SE_xNS9_4plusIvEENS9_8equal_toIxEExEE10hipError_tPvRmT2_T3_T4_T5_mT6_T7_P12ihipStream_tbENKUlT_T0_E_clISt17integral_constantIbLb1EESY_IbLb0EEEEDaSU_SV_EUlSU_E_NS1_11comp_targetILNS1_3genE5ELNS1_11target_archE942ELNS1_3gpuE9ELNS1_3repE0EEENS1_30default_config_static_selectorELNS0_4arch9wavefront6targetE0EEEvT1_
                                        ; -- End function
	.set _ZN7rocprim17ROCPRIM_400000_NS6detail17trampoline_kernelINS0_14default_configENS1_27scan_by_key_config_selectorIxxEEZZNS1_16scan_by_key_implILNS1_25lookback_scan_determinismE0ELb0ES3_N6thrust23THRUST_200600_302600_NS6detail15normal_iteratorINS9_10device_ptrIxEEEESE_SE_xNS9_4plusIvEENS9_8equal_toIxEExEE10hipError_tPvRmT2_T3_T4_T5_mT6_T7_P12ihipStream_tbENKUlT_T0_E_clISt17integral_constantIbLb1EESY_IbLb0EEEEDaSU_SV_EUlSU_E_NS1_11comp_targetILNS1_3genE5ELNS1_11target_archE942ELNS1_3gpuE9ELNS1_3repE0EEENS1_30default_config_static_selectorELNS0_4arch9wavefront6targetE0EEEvT1_.num_vgpr, 0
	.set _ZN7rocprim17ROCPRIM_400000_NS6detail17trampoline_kernelINS0_14default_configENS1_27scan_by_key_config_selectorIxxEEZZNS1_16scan_by_key_implILNS1_25lookback_scan_determinismE0ELb0ES3_N6thrust23THRUST_200600_302600_NS6detail15normal_iteratorINS9_10device_ptrIxEEEESE_SE_xNS9_4plusIvEENS9_8equal_toIxEExEE10hipError_tPvRmT2_T3_T4_T5_mT6_T7_P12ihipStream_tbENKUlT_T0_E_clISt17integral_constantIbLb1EESY_IbLb0EEEEDaSU_SV_EUlSU_E_NS1_11comp_targetILNS1_3genE5ELNS1_11target_archE942ELNS1_3gpuE9ELNS1_3repE0EEENS1_30default_config_static_selectorELNS0_4arch9wavefront6targetE0EEEvT1_.num_agpr, 0
	.set _ZN7rocprim17ROCPRIM_400000_NS6detail17trampoline_kernelINS0_14default_configENS1_27scan_by_key_config_selectorIxxEEZZNS1_16scan_by_key_implILNS1_25lookback_scan_determinismE0ELb0ES3_N6thrust23THRUST_200600_302600_NS6detail15normal_iteratorINS9_10device_ptrIxEEEESE_SE_xNS9_4plusIvEENS9_8equal_toIxEExEE10hipError_tPvRmT2_T3_T4_T5_mT6_T7_P12ihipStream_tbENKUlT_T0_E_clISt17integral_constantIbLb1EESY_IbLb0EEEEDaSU_SV_EUlSU_E_NS1_11comp_targetILNS1_3genE5ELNS1_11target_archE942ELNS1_3gpuE9ELNS1_3repE0EEENS1_30default_config_static_selectorELNS0_4arch9wavefront6targetE0EEEvT1_.numbered_sgpr, 0
	.set _ZN7rocprim17ROCPRIM_400000_NS6detail17trampoline_kernelINS0_14default_configENS1_27scan_by_key_config_selectorIxxEEZZNS1_16scan_by_key_implILNS1_25lookback_scan_determinismE0ELb0ES3_N6thrust23THRUST_200600_302600_NS6detail15normal_iteratorINS9_10device_ptrIxEEEESE_SE_xNS9_4plusIvEENS9_8equal_toIxEExEE10hipError_tPvRmT2_T3_T4_T5_mT6_T7_P12ihipStream_tbENKUlT_T0_E_clISt17integral_constantIbLb1EESY_IbLb0EEEEDaSU_SV_EUlSU_E_NS1_11comp_targetILNS1_3genE5ELNS1_11target_archE942ELNS1_3gpuE9ELNS1_3repE0EEENS1_30default_config_static_selectorELNS0_4arch9wavefront6targetE0EEEvT1_.num_named_barrier, 0
	.set _ZN7rocprim17ROCPRIM_400000_NS6detail17trampoline_kernelINS0_14default_configENS1_27scan_by_key_config_selectorIxxEEZZNS1_16scan_by_key_implILNS1_25lookback_scan_determinismE0ELb0ES3_N6thrust23THRUST_200600_302600_NS6detail15normal_iteratorINS9_10device_ptrIxEEEESE_SE_xNS9_4plusIvEENS9_8equal_toIxEExEE10hipError_tPvRmT2_T3_T4_T5_mT6_T7_P12ihipStream_tbENKUlT_T0_E_clISt17integral_constantIbLb1EESY_IbLb0EEEEDaSU_SV_EUlSU_E_NS1_11comp_targetILNS1_3genE5ELNS1_11target_archE942ELNS1_3gpuE9ELNS1_3repE0EEENS1_30default_config_static_selectorELNS0_4arch9wavefront6targetE0EEEvT1_.private_seg_size, 0
	.set _ZN7rocprim17ROCPRIM_400000_NS6detail17trampoline_kernelINS0_14default_configENS1_27scan_by_key_config_selectorIxxEEZZNS1_16scan_by_key_implILNS1_25lookback_scan_determinismE0ELb0ES3_N6thrust23THRUST_200600_302600_NS6detail15normal_iteratorINS9_10device_ptrIxEEEESE_SE_xNS9_4plusIvEENS9_8equal_toIxEExEE10hipError_tPvRmT2_T3_T4_T5_mT6_T7_P12ihipStream_tbENKUlT_T0_E_clISt17integral_constantIbLb1EESY_IbLb0EEEEDaSU_SV_EUlSU_E_NS1_11comp_targetILNS1_3genE5ELNS1_11target_archE942ELNS1_3gpuE9ELNS1_3repE0EEENS1_30default_config_static_selectorELNS0_4arch9wavefront6targetE0EEEvT1_.uses_vcc, 0
	.set _ZN7rocprim17ROCPRIM_400000_NS6detail17trampoline_kernelINS0_14default_configENS1_27scan_by_key_config_selectorIxxEEZZNS1_16scan_by_key_implILNS1_25lookback_scan_determinismE0ELb0ES3_N6thrust23THRUST_200600_302600_NS6detail15normal_iteratorINS9_10device_ptrIxEEEESE_SE_xNS9_4plusIvEENS9_8equal_toIxEExEE10hipError_tPvRmT2_T3_T4_T5_mT6_T7_P12ihipStream_tbENKUlT_T0_E_clISt17integral_constantIbLb1EESY_IbLb0EEEEDaSU_SV_EUlSU_E_NS1_11comp_targetILNS1_3genE5ELNS1_11target_archE942ELNS1_3gpuE9ELNS1_3repE0EEENS1_30default_config_static_selectorELNS0_4arch9wavefront6targetE0EEEvT1_.uses_flat_scratch, 0
	.set _ZN7rocprim17ROCPRIM_400000_NS6detail17trampoline_kernelINS0_14default_configENS1_27scan_by_key_config_selectorIxxEEZZNS1_16scan_by_key_implILNS1_25lookback_scan_determinismE0ELb0ES3_N6thrust23THRUST_200600_302600_NS6detail15normal_iteratorINS9_10device_ptrIxEEEESE_SE_xNS9_4plusIvEENS9_8equal_toIxEExEE10hipError_tPvRmT2_T3_T4_T5_mT6_T7_P12ihipStream_tbENKUlT_T0_E_clISt17integral_constantIbLb1EESY_IbLb0EEEEDaSU_SV_EUlSU_E_NS1_11comp_targetILNS1_3genE5ELNS1_11target_archE942ELNS1_3gpuE9ELNS1_3repE0EEENS1_30default_config_static_selectorELNS0_4arch9wavefront6targetE0EEEvT1_.has_dyn_sized_stack, 0
	.set _ZN7rocprim17ROCPRIM_400000_NS6detail17trampoline_kernelINS0_14default_configENS1_27scan_by_key_config_selectorIxxEEZZNS1_16scan_by_key_implILNS1_25lookback_scan_determinismE0ELb0ES3_N6thrust23THRUST_200600_302600_NS6detail15normal_iteratorINS9_10device_ptrIxEEEESE_SE_xNS9_4plusIvEENS9_8equal_toIxEExEE10hipError_tPvRmT2_T3_T4_T5_mT6_T7_P12ihipStream_tbENKUlT_T0_E_clISt17integral_constantIbLb1EESY_IbLb0EEEEDaSU_SV_EUlSU_E_NS1_11comp_targetILNS1_3genE5ELNS1_11target_archE942ELNS1_3gpuE9ELNS1_3repE0EEENS1_30default_config_static_selectorELNS0_4arch9wavefront6targetE0EEEvT1_.has_recursion, 0
	.set _ZN7rocprim17ROCPRIM_400000_NS6detail17trampoline_kernelINS0_14default_configENS1_27scan_by_key_config_selectorIxxEEZZNS1_16scan_by_key_implILNS1_25lookback_scan_determinismE0ELb0ES3_N6thrust23THRUST_200600_302600_NS6detail15normal_iteratorINS9_10device_ptrIxEEEESE_SE_xNS9_4plusIvEENS9_8equal_toIxEExEE10hipError_tPvRmT2_T3_T4_T5_mT6_T7_P12ihipStream_tbENKUlT_T0_E_clISt17integral_constantIbLb1EESY_IbLb0EEEEDaSU_SV_EUlSU_E_NS1_11comp_targetILNS1_3genE5ELNS1_11target_archE942ELNS1_3gpuE9ELNS1_3repE0EEENS1_30default_config_static_selectorELNS0_4arch9wavefront6targetE0EEEvT1_.has_indirect_call, 0
	.section	.AMDGPU.csdata,"",@progbits
; Kernel info:
; codeLenInByte = 0
; TotalNumSgprs: 0
; NumVgprs: 0
; ScratchSize: 0
; MemoryBound: 0
; FloatMode: 240
; IeeeMode: 1
; LDSByteSize: 0 bytes/workgroup (compile time only)
; SGPRBlocks: 0
; VGPRBlocks: 0
; NumSGPRsForWavesPerEU: 1
; NumVGPRsForWavesPerEU: 1
; Occupancy: 16
; WaveLimiterHint : 0
; COMPUTE_PGM_RSRC2:SCRATCH_EN: 0
; COMPUTE_PGM_RSRC2:USER_SGPR: 6
; COMPUTE_PGM_RSRC2:TRAP_HANDLER: 0
; COMPUTE_PGM_RSRC2:TGID_X_EN: 1
; COMPUTE_PGM_RSRC2:TGID_Y_EN: 0
; COMPUTE_PGM_RSRC2:TGID_Z_EN: 0
; COMPUTE_PGM_RSRC2:TIDIG_COMP_CNT: 0
	.section	.text._ZN7rocprim17ROCPRIM_400000_NS6detail17trampoline_kernelINS0_14default_configENS1_27scan_by_key_config_selectorIxxEEZZNS1_16scan_by_key_implILNS1_25lookback_scan_determinismE0ELb0ES3_N6thrust23THRUST_200600_302600_NS6detail15normal_iteratorINS9_10device_ptrIxEEEESE_SE_xNS9_4plusIvEENS9_8equal_toIxEExEE10hipError_tPvRmT2_T3_T4_T5_mT6_T7_P12ihipStream_tbENKUlT_T0_E_clISt17integral_constantIbLb1EESY_IbLb0EEEEDaSU_SV_EUlSU_E_NS1_11comp_targetILNS1_3genE4ELNS1_11target_archE910ELNS1_3gpuE8ELNS1_3repE0EEENS1_30default_config_static_selectorELNS0_4arch9wavefront6targetE0EEEvT1_,"axG",@progbits,_ZN7rocprim17ROCPRIM_400000_NS6detail17trampoline_kernelINS0_14default_configENS1_27scan_by_key_config_selectorIxxEEZZNS1_16scan_by_key_implILNS1_25lookback_scan_determinismE0ELb0ES3_N6thrust23THRUST_200600_302600_NS6detail15normal_iteratorINS9_10device_ptrIxEEEESE_SE_xNS9_4plusIvEENS9_8equal_toIxEExEE10hipError_tPvRmT2_T3_T4_T5_mT6_T7_P12ihipStream_tbENKUlT_T0_E_clISt17integral_constantIbLb1EESY_IbLb0EEEEDaSU_SV_EUlSU_E_NS1_11comp_targetILNS1_3genE4ELNS1_11target_archE910ELNS1_3gpuE8ELNS1_3repE0EEENS1_30default_config_static_selectorELNS0_4arch9wavefront6targetE0EEEvT1_,comdat
	.protected	_ZN7rocprim17ROCPRIM_400000_NS6detail17trampoline_kernelINS0_14default_configENS1_27scan_by_key_config_selectorIxxEEZZNS1_16scan_by_key_implILNS1_25lookback_scan_determinismE0ELb0ES3_N6thrust23THRUST_200600_302600_NS6detail15normal_iteratorINS9_10device_ptrIxEEEESE_SE_xNS9_4plusIvEENS9_8equal_toIxEExEE10hipError_tPvRmT2_T3_T4_T5_mT6_T7_P12ihipStream_tbENKUlT_T0_E_clISt17integral_constantIbLb1EESY_IbLb0EEEEDaSU_SV_EUlSU_E_NS1_11comp_targetILNS1_3genE4ELNS1_11target_archE910ELNS1_3gpuE8ELNS1_3repE0EEENS1_30default_config_static_selectorELNS0_4arch9wavefront6targetE0EEEvT1_ ; -- Begin function _ZN7rocprim17ROCPRIM_400000_NS6detail17trampoline_kernelINS0_14default_configENS1_27scan_by_key_config_selectorIxxEEZZNS1_16scan_by_key_implILNS1_25lookback_scan_determinismE0ELb0ES3_N6thrust23THRUST_200600_302600_NS6detail15normal_iteratorINS9_10device_ptrIxEEEESE_SE_xNS9_4plusIvEENS9_8equal_toIxEExEE10hipError_tPvRmT2_T3_T4_T5_mT6_T7_P12ihipStream_tbENKUlT_T0_E_clISt17integral_constantIbLb1EESY_IbLb0EEEEDaSU_SV_EUlSU_E_NS1_11comp_targetILNS1_3genE4ELNS1_11target_archE910ELNS1_3gpuE8ELNS1_3repE0EEENS1_30default_config_static_selectorELNS0_4arch9wavefront6targetE0EEEvT1_
	.globl	_ZN7rocprim17ROCPRIM_400000_NS6detail17trampoline_kernelINS0_14default_configENS1_27scan_by_key_config_selectorIxxEEZZNS1_16scan_by_key_implILNS1_25lookback_scan_determinismE0ELb0ES3_N6thrust23THRUST_200600_302600_NS6detail15normal_iteratorINS9_10device_ptrIxEEEESE_SE_xNS9_4plusIvEENS9_8equal_toIxEExEE10hipError_tPvRmT2_T3_T4_T5_mT6_T7_P12ihipStream_tbENKUlT_T0_E_clISt17integral_constantIbLb1EESY_IbLb0EEEEDaSU_SV_EUlSU_E_NS1_11comp_targetILNS1_3genE4ELNS1_11target_archE910ELNS1_3gpuE8ELNS1_3repE0EEENS1_30default_config_static_selectorELNS0_4arch9wavefront6targetE0EEEvT1_
	.p2align	8
	.type	_ZN7rocprim17ROCPRIM_400000_NS6detail17trampoline_kernelINS0_14default_configENS1_27scan_by_key_config_selectorIxxEEZZNS1_16scan_by_key_implILNS1_25lookback_scan_determinismE0ELb0ES3_N6thrust23THRUST_200600_302600_NS6detail15normal_iteratorINS9_10device_ptrIxEEEESE_SE_xNS9_4plusIvEENS9_8equal_toIxEExEE10hipError_tPvRmT2_T3_T4_T5_mT6_T7_P12ihipStream_tbENKUlT_T0_E_clISt17integral_constantIbLb1EESY_IbLb0EEEEDaSU_SV_EUlSU_E_NS1_11comp_targetILNS1_3genE4ELNS1_11target_archE910ELNS1_3gpuE8ELNS1_3repE0EEENS1_30default_config_static_selectorELNS0_4arch9wavefront6targetE0EEEvT1_,@function
_ZN7rocprim17ROCPRIM_400000_NS6detail17trampoline_kernelINS0_14default_configENS1_27scan_by_key_config_selectorIxxEEZZNS1_16scan_by_key_implILNS1_25lookback_scan_determinismE0ELb0ES3_N6thrust23THRUST_200600_302600_NS6detail15normal_iteratorINS9_10device_ptrIxEEEESE_SE_xNS9_4plusIvEENS9_8equal_toIxEExEE10hipError_tPvRmT2_T3_T4_T5_mT6_T7_P12ihipStream_tbENKUlT_T0_E_clISt17integral_constantIbLb1EESY_IbLb0EEEEDaSU_SV_EUlSU_E_NS1_11comp_targetILNS1_3genE4ELNS1_11target_archE910ELNS1_3gpuE8ELNS1_3repE0EEENS1_30default_config_static_selectorELNS0_4arch9wavefront6targetE0EEEvT1_: ; @_ZN7rocprim17ROCPRIM_400000_NS6detail17trampoline_kernelINS0_14default_configENS1_27scan_by_key_config_selectorIxxEEZZNS1_16scan_by_key_implILNS1_25lookback_scan_determinismE0ELb0ES3_N6thrust23THRUST_200600_302600_NS6detail15normal_iteratorINS9_10device_ptrIxEEEESE_SE_xNS9_4plusIvEENS9_8equal_toIxEExEE10hipError_tPvRmT2_T3_T4_T5_mT6_T7_P12ihipStream_tbENKUlT_T0_E_clISt17integral_constantIbLb1EESY_IbLb0EEEEDaSU_SV_EUlSU_E_NS1_11comp_targetILNS1_3genE4ELNS1_11target_archE910ELNS1_3gpuE8ELNS1_3repE0EEENS1_30default_config_static_selectorELNS0_4arch9wavefront6targetE0EEEvT1_
; %bb.0:
	.section	.rodata,"a",@progbits
	.p2align	6, 0x0
	.amdhsa_kernel _ZN7rocprim17ROCPRIM_400000_NS6detail17trampoline_kernelINS0_14default_configENS1_27scan_by_key_config_selectorIxxEEZZNS1_16scan_by_key_implILNS1_25lookback_scan_determinismE0ELb0ES3_N6thrust23THRUST_200600_302600_NS6detail15normal_iteratorINS9_10device_ptrIxEEEESE_SE_xNS9_4plusIvEENS9_8equal_toIxEExEE10hipError_tPvRmT2_T3_T4_T5_mT6_T7_P12ihipStream_tbENKUlT_T0_E_clISt17integral_constantIbLb1EESY_IbLb0EEEEDaSU_SV_EUlSU_E_NS1_11comp_targetILNS1_3genE4ELNS1_11target_archE910ELNS1_3gpuE8ELNS1_3repE0EEENS1_30default_config_static_selectorELNS0_4arch9wavefront6targetE0EEEvT1_
		.amdhsa_group_segment_fixed_size 0
		.amdhsa_private_segment_fixed_size 0
		.amdhsa_kernarg_size 136
		.amdhsa_user_sgpr_count 6
		.amdhsa_user_sgpr_private_segment_buffer 1
		.amdhsa_user_sgpr_dispatch_ptr 0
		.amdhsa_user_sgpr_queue_ptr 0
		.amdhsa_user_sgpr_kernarg_segment_ptr 1
		.amdhsa_user_sgpr_dispatch_id 0
		.amdhsa_user_sgpr_flat_scratch_init 0
		.amdhsa_user_sgpr_private_segment_size 0
		.amdhsa_wavefront_size32 1
		.amdhsa_uses_dynamic_stack 0
		.amdhsa_system_sgpr_private_segment_wavefront_offset 0
		.amdhsa_system_sgpr_workgroup_id_x 1
		.amdhsa_system_sgpr_workgroup_id_y 0
		.amdhsa_system_sgpr_workgroup_id_z 0
		.amdhsa_system_sgpr_workgroup_info 0
		.amdhsa_system_vgpr_workitem_id 0
		.amdhsa_next_free_vgpr 1
		.amdhsa_next_free_sgpr 1
		.amdhsa_reserve_vcc 0
		.amdhsa_reserve_flat_scratch 0
		.amdhsa_float_round_mode_32 0
		.amdhsa_float_round_mode_16_64 0
		.amdhsa_float_denorm_mode_32 3
		.amdhsa_float_denorm_mode_16_64 3
		.amdhsa_dx10_clamp 1
		.amdhsa_ieee_mode 1
		.amdhsa_fp16_overflow 0
		.amdhsa_workgroup_processor_mode 1
		.amdhsa_memory_ordered 1
		.amdhsa_forward_progress 1
		.amdhsa_shared_vgpr_count 0
		.amdhsa_exception_fp_ieee_invalid_op 0
		.amdhsa_exception_fp_denorm_src 0
		.amdhsa_exception_fp_ieee_div_zero 0
		.amdhsa_exception_fp_ieee_overflow 0
		.amdhsa_exception_fp_ieee_underflow 0
		.amdhsa_exception_fp_ieee_inexact 0
		.amdhsa_exception_int_div_zero 0
	.end_amdhsa_kernel
	.section	.text._ZN7rocprim17ROCPRIM_400000_NS6detail17trampoline_kernelINS0_14default_configENS1_27scan_by_key_config_selectorIxxEEZZNS1_16scan_by_key_implILNS1_25lookback_scan_determinismE0ELb0ES3_N6thrust23THRUST_200600_302600_NS6detail15normal_iteratorINS9_10device_ptrIxEEEESE_SE_xNS9_4plusIvEENS9_8equal_toIxEExEE10hipError_tPvRmT2_T3_T4_T5_mT6_T7_P12ihipStream_tbENKUlT_T0_E_clISt17integral_constantIbLb1EESY_IbLb0EEEEDaSU_SV_EUlSU_E_NS1_11comp_targetILNS1_3genE4ELNS1_11target_archE910ELNS1_3gpuE8ELNS1_3repE0EEENS1_30default_config_static_selectorELNS0_4arch9wavefront6targetE0EEEvT1_,"axG",@progbits,_ZN7rocprim17ROCPRIM_400000_NS6detail17trampoline_kernelINS0_14default_configENS1_27scan_by_key_config_selectorIxxEEZZNS1_16scan_by_key_implILNS1_25lookback_scan_determinismE0ELb0ES3_N6thrust23THRUST_200600_302600_NS6detail15normal_iteratorINS9_10device_ptrIxEEEESE_SE_xNS9_4plusIvEENS9_8equal_toIxEExEE10hipError_tPvRmT2_T3_T4_T5_mT6_T7_P12ihipStream_tbENKUlT_T0_E_clISt17integral_constantIbLb1EESY_IbLb0EEEEDaSU_SV_EUlSU_E_NS1_11comp_targetILNS1_3genE4ELNS1_11target_archE910ELNS1_3gpuE8ELNS1_3repE0EEENS1_30default_config_static_selectorELNS0_4arch9wavefront6targetE0EEEvT1_,comdat
.Lfunc_end104:
	.size	_ZN7rocprim17ROCPRIM_400000_NS6detail17trampoline_kernelINS0_14default_configENS1_27scan_by_key_config_selectorIxxEEZZNS1_16scan_by_key_implILNS1_25lookback_scan_determinismE0ELb0ES3_N6thrust23THRUST_200600_302600_NS6detail15normal_iteratorINS9_10device_ptrIxEEEESE_SE_xNS9_4plusIvEENS9_8equal_toIxEExEE10hipError_tPvRmT2_T3_T4_T5_mT6_T7_P12ihipStream_tbENKUlT_T0_E_clISt17integral_constantIbLb1EESY_IbLb0EEEEDaSU_SV_EUlSU_E_NS1_11comp_targetILNS1_3genE4ELNS1_11target_archE910ELNS1_3gpuE8ELNS1_3repE0EEENS1_30default_config_static_selectorELNS0_4arch9wavefront6targetE0EEEvT1_, .Lfunc_end104-_ZN7rocprim17ROCPRIM_400000_NS6detail17trampoline_kernelINS0_14default_configENS1_27scan_by_key_config_selectorIxxEEZZNS1_16scan_by_key_implILNS1_25lookback_scan_determinismE0ELb0ES3_N6thrust23THRUST_200600_302600_NS6detail15normal_iteratorINS9_10device_ptrIxEEEESE_SE_xNS9_4plusIvEENS9_8equal_toIxEExEE10hipError_tPvRmT2_T3_T4_T5_mT6_T7_P12ihipStream_tbENKUlT_T0_E_clISt17integral_constantIbLb1EESY_IbLb0EEEEDaSU_SV_EUlSU_E_NS1_11comp_targetILNS1_3genE4ELNS1_11target_archE910ELNS1_3gpuE8ELNS1_3repE0EEENS1_30default_config_static_selectorELNS0_4arch9wavefront6targetE0EEEvT1_
                                        ; -- End function
	.set _ZN7rocprim17ROCPRIM_400000_NS6detail17trampoline_kernelINS0_14default_configENS1_27scan_by_key_config_selectorIxxEEZZNS1_16scan_by_key_implILNS1_25lookback_scan_determinismE0ELb0ES3_N6thrust23THRUST_200600_302600_NS6detail15normal_iteratorINS9_10device_ptrIxEEEESE_SE_xNS9_4plusIvEENS9_8equal_toIxEExEE10hipError_tPvRmT2_T3_T4_T5_mT6_T7_P12ihipStream_tbENKUlT_T0_E_clISt17integral_constantIbLb1EESY_IbLb0EEEEDaSU_SV_EUlSU_E_NS1_11comp_targetILNS1_3genE4ELNS1_11target_archE910ELNS1_3gpuE8ELNS1_3repE0EEENS1_30default_config_static_selectorELNS0_4arch9wavefront6targetE0EEEvT1_.num_vgpr, 0
	.set _ZN7rocprim17ROCPRIM_400000_NS6detail17trampoline_kernelINS0_14default_configENS1_27scan_by_key_config_selectorIxxEEZZNS1_16scan_by_key_implILNS1_25lookback_scan_determinismE0ELb0ES3_N6thrust23THRUST_200600_302600_NS6detail15normal_iteratorINS9_10device_ptrIxEEEESE_SE_xNS9_4plusIvEENS9_8equal_toIxEExEE10hipError_tPvRmT2_T3_T4_T5_mT6_T7_P12ihipStream_tbENKUlT_T0_E_clISt17integral_constantIbLb1EESY_IbLb0EEEEDaSU_SV_EUlSU_E_NS1_11comp_targetILNS1_3genE4ELNS1_11target_archE910ELNS1_3gpuE8ELNS1_3repE0EEENS1_30default_config_static_selectorELNS0_4arch9wavefront6targetE0EEEvT1_.num_agpr, 0
	.set _ZN7rocprim17ROCPRIM_400000_NS6detail17trampoline_kernelINS0_14default_configENS1_27scan_by_key_config_selectorIxxEEZZNS1_16scan_by_key_implILNS1_25lookback_scan_determinismE0ELb0ES3_N6thrust23THRUST_200600_302600_NS6detail15normal_iteratorINS9_10device_ptrIxEEEESE_SE_xNS9_4plusIvEENS9_8equal_toIxEExEE10hipError_tPvRmT2_T3_T4_T5_mT6_T7_P12ihipStream_tbENKUlT_T0_E_clISt17integral_constantIbLb1EESY_IbLb0EEEEDaSU_SV_EUlSU_E_NS1_11comp_targetILNS1_3genE4ELNS1_11target_archE910ELNS1_3gpuE8ELNS1_3repE0EEENS1_30default_config_static_selectorELNS0_4arch9wavefront6targetE0EEEvT1_.numbered_sgpr, 0
	.set _ZN7rocprim17ROCPRIM_400000_NS6detail17trampoline_kernelINS0_14default_configENS1_27scan_by_key_config_selectorIxxEEZZNS1_16scan_by_key_implILNS1_25lookback_scan_determinismE0ELb0ES3_N6thrust23THRUST_200600_302600_NS6detail15normal_iteratorINS9_10device_ptrIxEEEESE_SE_xNS9_4plusIvEENS9_8equal_toIxEExEE10hipError_tPvRmT2_T3_T4_T5_mT6_T7_P12ihipStream_tbENKUlT_T0_E_clISt17integral_constantIbLb1EESY_IbLb0EEEEDaSU_SV_EUlSU_E_NS1_11comp_targetILNS1_3genE4ELNS1_11target_archE910ELNS1_3gpuE8ELNS1_3repE0EEENS1_30default_config_static_selectorELNS0_4arch9wavefront6targetE0EEEvT1_.num_named_barrier, 0
	.set _ZN7rocprim17ROCPRIM_400000_NS6detail17trampoline_kernelINS0_14default_configENS1_27scan_by_key_config_selectorIxxEEZZNS1_16scan_by_key_implILNS1_25lookback_scan_determinismE0ELb0ES3_N6thrust23THRUST_200600_302600_NS6detail15normal_iteratorINS9_10device_ptrIxEEEESE_SE_xNS9_4plusIvEENS9_8equal_toIxEExEE10hipError_tPvRmT2_T3_T4_T5_mT6_T7_P12ihipStream_tbENKUlT_T0_E_clISt17integral_constantIbLb1EESY_IbLb0EEEEDaSU_SV_EUlSU_E_NS1_11comp_targetILNS1_3genE4ELNS1_11target_archE910ELNS1_3gpuE8ELNS1_3repE0EEENS1_30default_config_static_selectorELNS0_4arch9wavefront6targetE0EEEvT1_.private_seg_size, 0
	.set _ZN7rocprim17ROCPRIM_400000_NS6detail17trampoline_kernelINS0_14default_configENS1_27scan_by_key_config_selectorIxxEEZZNS1_16scan_by_key_implILNS1_25lookback_scan_determinismE0ELb0ES3_N6thrust23THRUST_200600_302600_NS6detail15normal_iteratorINS9_10device_ptrIxEEEESE_SE_xNS9_4plusIvEENS9_8equal_toIxEExEE10hipError_tPvRmT2_T3_T4_T5_mT6_T7_P12ihipStream_tbENKUlT_T0_E_clISt17integral_constantIbLb1EESY_IbLb0EEEEDaSU_SV_EUlSU_E_NS1_11comp_targetILNS1_3genE4ELNS1_11target_archE910ELNS1_3gpuE8ELNS1_3repE0EEENS1_30default_config_static_selectorELNS0_4arch9wavefront6targetE0EEEvT1_.uses_vcc, 0
	.set _ZN7rocprim17ROCPRIM_400000_NS6detail17trampoline_kernelINS0_14default_configENS1_27scan_by_key_config_selectorIxxEEZZNS1_16scan_by_key_implILNS1_25lookback_scan_determinismE0ELb0ES3_N6thrust23THRUST_200600_302600_NS6detail15normal_iteratorINS9_10device_ptrIxEEEESE_SE_xNS9_4plusIvEENS9_8equal_toIxEExEE10hipError_tPvRmT2_T3_T4_T5_mT6_T7_P12ihipStream_tbENKUlT_T0_E_clISt17integral_constantIbLb1EESY_IbLb0EEEEDaSU_SV_EUlSU_E_NS1_11comp_targetILNS1_3genE4ELNS1_11target_archE910ELNS1_3gpuE8ELNS1_3repE0EEENS1_30default_config_static_selectorELNS0_4arch9wavefront6targetE0EEEvT1_.uses_flat_scratch, 0
	.set _ZN7rocprim17ROCPRIM_400000_NS6detail17trampoline_kernelINS0_14default_configENS1_27scan_by_key_config_selectorIxxEEZZNS1_16scan_by_key_implILNS1_25lookback_scan_determinismE0ELb0ES3_N6thrust23THRUST_200600_302600_NS6detail15normal_iteratorINS9_10device_ptrIxEEEESE_SE_xNS9_4plusIvEENS9_8equal_toIxEExEE10hipError_tPvRmT2_T3_T4_T5_mT6_T7_P12ihipStream_tbENKUlT_T0_E_clISt17integral_constantIbLb1EESY_IbLb0EEEEDaSU_SV_EUlSU_E_NS1_11comp_targetILNS1_3genE4ELNS1_11target_archE910ELNS1_3gpuE8ELNS1_3repE0EEENS1_30default_config_static_selectorELNS0_4arch9wavefront6targetE0EEEvT1_.has_dyn_sized_stack, 0
	.set _ZN7rocprim17ROCPRIM_400000_NS6detail17trampoline_kernelINS0_14default_configENS1_27scan_by_key_config_selectorIxxEEZZNS1_16scan_by_key_implILNS1_25lookback_scan_determinismE0ELb0ES3_N6thrust23THRUST_200600_302600_NS6detail15normal_iteratorINS9_10device_ptrIxEEEESE_SE_xNS9_4plusIvEENS9_8equal_toIxEExEE10hipError_tPvRmT2_T3_T4_T5_mT6_T7_P12ihipStream_tbENKUlT_T0_E_clISt17integral_constantIbLb1EESY_IbLb0EEEEDaSU_SV_EUlSU_E_NS1_11comp_targetILNS1_3genE4ELNS1_11target_archE910ELNS1_3gpuE8ELNS1_3repE0EEENS1_30default_config_static_selectorELNS0_4arch9wavefront6targetE0EEEvT1_.has_recursion, 0
	.set _ZN7rocprim17ROCPRIM_400000_NS6detail17trampoline_kernelINS0_14default_configENS1_27scan_by_key_config_selectorIxxEEZZNS1_16scan_by_key_implILNS1_25lookback_scan_determinismE0ELb0ES3_N6thrust23THRUST_200600_302600_NS6detail15normal_iteratorINS9_10device_ptrIxEEEESE_SE_xNS9_4plusIvEENS9_8equal_toIxEExEE10hipError_tPvRmT2_T3_T4_T5_mT6_T7_P12ihipStream_tbENKUlT_T0_E_clISt17integral_constantIbLb1EESY_IbLb0EEEEDaSU_SV_EUlSU_E_NS1_11comp_targetILNS1_3genE4ELNS1_11target_archE910ELNS1_3gpuE8ELNS1_3repE0EEENS1_30default_config_static_selectorELNS0_4arch9wavefront6targetE0EEEvT1_.has_indirect_call, 0
	.section	.AMDGPU.csdata,"",@progbits
; Kernel info:
; codeLenInByte = 0
; TotalNumSgprs: 0
; NumVgprs: 0
; ScratchSize: 0
; MemoryBound: 0
; FloatMode: 240
; IeeeMode: 1
; LDSByteSize: 0 bytes/workgroup (compile time only)
; SGPRBlocks: 0
; VGPRBlocks: 0
; NumSGPRsForWavesPerEU: 1
; NumVGPRsForWavesPerEU: 1
; Occupancy: 16
; WaveLimiterHint : 0
; COMPUTE_PGM_RSRC2:SCRATCH_EN: 0
; COMPUTE_PGM_RSRC2:USER_SGPR: 6
; COMPUTE_PGM_RSRC2:TRAP_HANDLER: 0
; COMPUTE_PGM_RSRC2:TGID_X_EN: 1
; COMPUTE_PGM_RSRC2:TGID_Y_EN: 0
; COMPUTE_PGM_RSRC2:TGID_Z_EN: 0
; COMPUTE_PGM_RSRC2:TIDIG_COMP_CNT: 0
	.section	.text._ZN7rocprim17ROCPRIM_400000_NS6detail17trampoline_kernelINS0_14default_configENS1_27scan_by_key_config_selectorIxxEEZZNS1_16scan_by_key_implILNS1_25lookback_scan_determinismE0ELb0ES3_N6thrust23THRUST_200600_302600_NS6detail15normal_iteratorINS9_10device_ptrIxEEEESE_SE_xNS9_4plusIvEENS9_8equal_toIxEExEE10hipError_tPvRmT2_T3_T4_T5_mT6_T7_P12ihipStream_tbENKUlT_T0_E_clISt17integral_constantIbLb1EESY_IbLb0EEEEDaSU_SV_EUlSU_E_NS1_11comp_targetILNS1_3genE3ELNS1_11target_archE908ELNS1_3gpuE7ELNS1_3repE0EEENS1_30default_config_static_selectorELNS0_4arch9wavefront6targetE0EEEvT1_,"axG",@progbits,_ZN7rocprim17ROCPRIM_400000_NS6detail17trampoline_kernelINS0_14default_configENS1_27scan_by_key_config_selectorIxxEEZZNS1_16scan_by_key_implILNS1_25lookback_scan_determinismE0ELb0ES3_N6thrust23THRUST_200600_302600_NS6detail15normal_iteratorINS9_10device_ptrIxEEEESE_SE_xNS9_4plusIvEENS9_8equal_toIxEExEE10hipError_tPvRmT2_T3_T4_T5_mT6_T7_P12ihipStream_tbENKUlT_T0_E_clISt17integral_constantIbLb1EESY_IbLb0EEEEDaSU_SV_EUlSU_E_NS1_11comp_targetILNS1_3genE3ELNS1_11target_archE908ELNS1_3gpuE7ELNS1_3repE0EEENS1_30default_config_static_selectorELNS0_4arch9wavefront6targetE0EEEvT1_,comdat
	.protected	_ZN7rocprim17ROCPRIM_400000_NS6detail17trampoline_kernelINS0_14default_configENS1_27scan_by_key_config_selectorIxxEEZZNS1_16scan_by_key_implILNS1_25lookback_scan_determinismE0ELb0ES3_N6thrust23THRUST_200600_302600_NS6detail15normal_iteratorINS9_10device_ptrIxEEEESE_SE_xNS9_4plusIvEENS9_8equal_toIxEExEE10hipError_tPvRmT2_T3_T4_T5_mT6_T7_P12ihipStream_tbENKUlT_T0_E_clISt17integral_constantIbLb1EESY_IbLb0EEEEDaSU_SV_EUlSU_E_NS1_11comp_targetILNS1_3genE3ELNS1_11target_archE908ELNS1_3gpuE7ELNS1_3repE0EEENS1_30default_config_static_selectorELNS0_4arch9wavefront6targetE0EEEvT1_ ; -- Begin function _ZN7rocprim17ROCPRIM_400000_NS6detail17trampoline_kernelINS0_14default_configENS1_27scan_by_key_config_selectorIxxEEZZNS1_16scan_by_key_implILNS1_25lookback_scan_determinismE0ELb0ES3_N6thrust23THRUST_200600_302600_NS6detail15normal_iteratorINS9_10device_ptrIxEEEESE_SE_xNS9_4plusIvEENS9_8equal_toIxEExEE10hipError_tPvRmT2_T3_T4_T5_mT6_T7_P12ihipStream_tbENKUlT_T0_E_clISt17integral_constantIbLb1EESY_IbLb0EEEEDaSU_SV_EUlSU_E_NS1_11comp_targetILNS1_3genE3ELNS1_11target_archE908ELNS1_3gpuE7ELNS1_3repE0EEENS1_30default_config_static_selectorELNS0_4arch9wavefront6targetE0EEEvT1_
	.globl	_ZN7rocprim17ROCPRIM_400000_NS6detail17trampoline_kernelINS0_14default_configENS1_27scan_by_key_config_selectorIxxEEZZNS1_16scan_by_key_implILNS1_25lookback_scan_determinismE0ELb0ES3_N6thrust23THRUST_200600_302600_NS6detail15normal_iteratorINS9_10device_ptrIxEEEESE_SE_xNS9_4plusIvEENS9_8equal_toIxEExEE10hipError_tPvRmT2_T3_T4_T5_mT6_T7_P12ihipStream_tbENKUlT_T0_E_clISt17integral_constantIbLb1EESY_IbLb0EEEEDaSU_SV_EUlSU_E_NS1_11comp_targetILNS1_3genE3ELNS1_11target_archE908ELNS1_3gpuE7ELNS1_3repE0EEENS1_30default_config_static_selectorELNS0_4arch9wavefront6targetE0EEEvT1_
	.p2align	8
	.type	_ZN7rocprim17ROCPRIM_400000_NS6detail17trampoline_kernelINS0_14default_configENS1_27scan_by_key_config_selectorIxxEEZZNS1_16scan_by_key_implILNS1_25lookback_scan_determinismE0ELb0ES3_N6thrust23THRUST_200600_302600_NS6detail15normal_iteratorINS9_10device_ptrIxEEEESE_SE_xNS9_4plusIvEENS9_8equal_toIxEExEE10hipError_tPvRmT2_T3_T4_T5_mT6_T7_P12ihipStream_tbENKUlT_T0_E_clISt17integral_constantIbLb1EESY_IbLb0EEEEDaSU_SV_EUlSU_E_NS1_11comp_targetILNS1_3genE3ELNS1_11target_archE908ELNS1_3gpuE7ELNS1_3repE0EEENS1_30default_config_static_selectorELNS0_4arch9wavefront6targetE0EEEvT1_,@function
_ZN7rocprim17ROCPRIM_400000_NS6detail17trampoline_kernelINS0_14default_configENS1_27scan_by_key_config_selectorIxxEEZZNS1_16scan_by_key_implILNS1_25lookback_scan_determinismE0ELb0ES3_N6thrust23THRUST_200600_302600_NS6detail15normal_iteratorINS9_10device_ptrIxEEEESE_SE_xNS9_4plusIvEENS9_8equal_toIxEExEE10hipError_tPvRmT2_T3_T4_T5_mT6_T7_P12ihipStream_tbENKUlT_T0_E_clISt17integral_constantIbLb1EESY_IbLb0EEEEDaSU_SV_EUlSU_E_NS1_11comp_targetILNS1_3genE3ELNS1_11target_archE908ELNS1_3gpuE7ELNS1_3repE0EEENS1_30default_config_static_selectorELNS0_4arch9wavefront6targetE0EEEvT1_: ; @_ZN7rocprim17ROCPRIM_400000_NS6detail17trampoline_kernelINS0_14default_configENS1_27scan_by_key_config_selectorIxxEEZZNS1_16scan_by_key_implILNS1_25lookback_scan_determinismE0ELb0ES3_N6thrust23THRUST_200600_302600_NS6detail15normal_iteratorINS9_10device_ptrIxEEEESE_SE_xNS9_4plusIvEENS9_8equal_toIxEExEE10hipError_tPvRmT2_T3_T4_T5_mT6_T7_P12ihipStream_tbENKUlT_T0_E_clISt17integral_constantIbLb1EESY_IbLb0EEEEDaSU_SV_EUlSU_E_NS1_11comp_targetILNS1_3genE3ELNS1_11target_archE908ELNS1_3gpuE7ELNS1_3repE0EEENS1_30default_config_static_selectorELNS0_4arch9wavefront6targetE0EEEvT1_
; %bb.0:
	.section	.rodata,"a",@progbits
	.p2align	6, 0x0
	.amdhsa_kernel _ZN7rocprim17ROCPRIM_400000_NS6detail17trampoline_kernelINS0_14default_configENS1_27scan_by_key_config_selectorIxxEEZZNS1_16scan_by_key_implILNS1_25lookback_scan_determinismE0ELb0ES3_N6thrust23THRUST_200600_302600_NS6detail15normal_iteratorINS9_10device_ptrIxEEEESE_SE_xNS9_4plusIvEENS9_8equal_toIxEExEE10hipError_tPvRmT2_T3_T4_T5_mT6_T7_P12ihipStream_tbENKUlT_T0_E_clISt17integral_constantIbLb1EESY_IbLb0EEEEDaSU_SV_EUlSU_E_NS1_11comp_targetILNS1_3genE3ELNS1_11target_archE908ELNS1_3gpuE7ELNS1_3repE0EEENS1_30default_config_static_selectorELNS0_4arch9wavefront6targetE0EEEvT1_
		.amdhsa_group_segment_fixed_size 0
		.amdhsa_private_segment_fixed_size 0
		.amdhsa_kernarg_size 136
		.amdhsa_user_sgpr_count 6
		.amdhsa_user_sgpr_private_segment_buffer 1
		.amdhsa_user_sgpr_dispatch_ptr 0
		.amdhsa_user_sgpr_queue_ptr 0
		.amdhsa_user_sgpr_kernarg_segment_ptr 1
		.amdhsa_user_sgpr_dispatch_id 0
		.amdhsa_user_sgpr_flat_scratch_init 0
		.amdhsa_user_sgpr_private_segment_size 0
		.amdhsa_wavefront_size32 1
		.amdhsa_uses_dynamic_stack 0
		.amdhsa_system_sgpr_private_segment_wavefront_offset 0
		.amdhsa_system_sgpr_workgroup_id_x 1
		.amdhsa_system_sgpr_workgroup_id_y 0
		.amdhsa_system_sgpr_workgroup_id_z 0
		.amdhsa_system_sgpr_workgroup_info 0
		.amdhsa_system_vgpr_workitem_id 0
		.amdhsa_next_free_vgpr 1
		.amdhsa_next_free_sgpr 1
		.amdhsa_reserve_vcc 0
		.amdhsa_reserve_flat_scratch 0
		.amdhsa_float_round_mode_32 0
		.amdhsa_float_round_mode_16_64 0
		.amdhsa_float_denorm_mode_32 3
		.amdhsa_float_denorm_mode_16_64 3
		.amdhsa_dx10_clamp 1
		.amdhsa_ieee_mode 1
		.amdhsa_fp16_overflow 0
		.amdhsa_workgroup_processor_mode 1
		.amdhsa_memory_ordered 1
		.amdhsa_forward_progress 1
		.amdhsa_shared_vgpr_count 0
		.amdhsa_exception_fp_ieee_invalid_op 0
		.amdhsa_exception_fp_denorm_src 0
		.amdhsa_exception_fp_ieee_div_zero 0
		.amdhsa_exception_fp_ieee_overflow 0
		.amdhsa_exception_fp_ieee_underflow 0
		.amdhsa_exception_fp_ieee_inexact 0
		.amdhsa_exception_int_div_zero 0
	.end_amdhsa_kernel
	.section	.text._ZN7rocprim17ROCPRIM_400000_NS6detail17trampoline_kernelINS0_14default_configENS1_27scan_by_key_config_selectorIxxEEZZNS1_16scan_by_key_implILNS1_25lookback_scan_determinismE0ELb0ES3_N6thrust23THRUST_200600_302600_NS6detail15normal_iteratorINS9_10device_ptrIxEEEESE_SE_xNS9_4plusIvEENS9_8equal_toIxEExEE10hipError_tPvRmT2_T3_T4_T5_mT6_T7_P12ihipStream_tbENKUlT_T0_E_clISt17integral_constantIbLb1EESY_IbLb0EEEEDaSU_SV_EUlSU_E_NS1_11comp_targetILNS1_3genE3ELNS1_11target_archE908ELNS1_3gpuE7ELNS1_3repE0EEENS1_30default_config_static_selectorELNS0_4arch9wavefront6targetE0EEEvT1_,"axG",@progbits,_ZN7rocprim17ROCPRIM_400000_NS6detail17trampoline_kernelINS0_14default_configENS1_27scan_by_key_config_selectorIxxEEZZNS1_16scan_by_key_implILNS1_25lookback_scan_determinismE0ELb0ES3_N6thrust23THRUST_200600_302600_NS6detail15normal_iteratorINS9_10device_ptrIxEEEESE_SE_xNS9_4plusIvEENS9_8equal_toIxEExEE10hipError_tPvRmT2_T3_T4_T5_mT6_T7_P12ihipStream_tbENKUlT_T0_E_clISt17integral_constantIbLb1EESY_IbLb0EEEEDaSU_SV_EUlSU_E_NS1_11comp_targetILNS1_3genE3ELNS1_11target_archE908ELNS1_3gpuE7ELNS1_3repE0EEENS1_30default_config_static_selectorELNS0_4arch9wavefront6targetE0EEEvT1_,comdat
.Lfunc_end105:
	.size	_ZN7rocprim17ROCPRIM_400000_NS6detail17trampoline_kernelINS0_14default_configENS1_27scan_by_key_config_selectorIxxEEZZNS1_16scan_by_key_implILNS1_25lookback_scan_determinismE0ELb0ES3_N6thrust23THRUST_200600_302600_NS6detail15normal_iteratorINS9_10device_ptrIxEEEESE_SE_xNS9_4plusIvEENS9_8equal_toIxEExEE10hipError_tPvRmT2_T3_T4_T5_mT6_T7_P12ihipStream_tbENKUlT_T0_E_clISt17integral_constantIbLb1EESY_IbLb0EEEEDaSU_SV_EUlSU_E_NS1_11comp_targetILNS1_3genE3ELNS1_11target_archE908ELNS1_3gpuE7ELNS1_3repE0EEENS1_30default_config_static_selectorELNS0_4arch9wavefront6targetE0EEEvT1_, .Lfunc_end105-_ZN7rocprim17ROCPRIM_400000_NS6detail17trampoline_kernelINS0_14default_configENS1_27scan_by_key_config_selectorIxxEEZZNS1_16scan_by_key_implILNS1_25lookback_scan_determinismE0ELb0ES3_N6thrust23THRUST_200600_302600_NS6detail15normal_iteratorINS9_10device_ptrIxEEEESE_SE_xNS9_4plusIvEENS9_8equal_toIxEExEE10hipError_tPvRmT2_T3_T4_T5_mT6_T7_P12ihipStream_tbENKUlT_T0_E_clISt17integral_constantIbLb1EESY_IbLb0EEEEDaSU_SV_EUlSU_E_NS1_11comp_targetILNS1_3genE3ELNS1_11target_archE908ELNS1_3gpuE7ELNS1_3repE0EEENS1_30default_config_static_selectorELNS0_4arch9wavefront6targetE0EEEvT1_
                                        ; -- End function
	.set _ZN7rocprim17ROCPRIM_400000_NS6detail17trampoline_kernelINS0_14default_configENS1_27scan_by_key_config_selectorIxxEEZZNS1_16scan_by_key_implILNS1_25lookback_scan_determinismE0ELb0ES3_N6thrust23THRUST_200600_302600_NS6detail15normal_iteratorINS9_10device_ptrIxEEEESE_SE_xNS9_4plusIvEENS9_8equal_toIxEExEE10hipError_tPvRmT2_T3_T4_T5_mT6_T7_P12ihipStream_tbENKUlT_T0_E_clISt17integral_constantIbLb1EESY_IbLb0EEEEDaSU_SV_EUlSU_E_NS1_11comp_targetILNS1_3genE3ELNS1_11target_archE908ELNS1_3gpuE7ELNS1_3repE0EEENS1_30default_config_static_selectorELNS0_4arch9wavefront6targetE0EEEvT1_.num_vgpr, 0
	.set _ZN7rocprim17ROCPRIM_400000_NS6detail17trampoline_kernelINS0_14default_configENS1_27scan_by_key_config_selectorIxxEEZZNS1_16scan_by_key_implILNS1_25lookback_scan_determinismE0ELb0ES3_N6thrust23THRUST_200600_302600_NS6detail15normal_iteratorINS9_10device_ptrIxEEEESE_SE_xNS9_4plusIvEENS9_8equal_toIxEExEE10hipError_tPvRmT2_T3_T4_T5_mT6_T7_P12ihipStream_tbENKUlT_T0_E_clISt17integral_constantIbLb1EESY_IbLb0EEEEDaSU_SV_EUlSU_E_NS1_11comp_targetILNS1_3genE3ELNS1_11target_archE908ELNS1_3gpuE7ELNS1_3repE0EEENS1_30default_config_static_selectorELNS0_4arch9wavefront6targetE0EEEvT1_.num_agpr, 0
	.set _ZN7rocprim17ROCPRIM_400000_NS6detail17trampoline_kernelINS0_14default_configENS1_27scan_by_key_config_selectorIxxEEZZNS1_16scan_by_key_implILNS1_25lookback_scan_determinismE0ELb0ES3_N6thrust23THRUST_200600_302600_NS6detail15normal_iteratorINS9_10device_ptrIxEEEESE_SE_xNS9_4plusIvEENS9_8equal_toIxEExEE10hipError_tPvRmT2_T3_T4_T5_mT6_T7_P12ihipStream_tbENKUlT_T0_E_clISt17integral_constantIbLb1EESY_IbLb0EEEEDaSU_SV_EUlSU_E_NS1_11comp_targetILNS1_3genE3ELNS1_11target_archE908ELNS1_3gpuE7ELNS1_3repE0EEENS1_30default_config_static_selectorELNS0_4arch9wavefront6targetE0EEEvT1_.numbered_sgpr, 0
	.set _ZN7rocprim17ROCPRIM_400000_NS6detail17trampoline_kernelINS0_14default_configENS1_27scan_by_key_config_selectorIxxEEZZNS1_16scan_by_key_implILNS1_25lookback_scan_determinismE0ELb0ES3_N6thrust23THRUST_200600_302600_NS6detail15normal_iteratorINS9_10device_ptrIxEEEESE_SE_xNS9_4plusIvEENS9_8equal_toIxEExEE10hipError_tPvRmT2_T3_T4_T5_mT6_T7_P12ihipStream_tbENKUlT_T0_E_clISt17integral_constantIbLb1EESY_IbLb0EEEEDaSU_SV_EUlSU_E_NS1_11comp_targetILNS1_3genE3ELNS1_11target_archE908ELNS1_3gpuE7ELNS1_3repE0EEENS1_30default_config_static_selectorELNS0_4arch9wavefront6targetE0EEEvT1_.num_named_barrier, 0
	.set _ZN7rocprim17ROCPRIM_400000_NS6detail17trampoline_kernelINS0_14default_configENS1_27scan_by_key_config_selectorIxxEEZZNS1_16scan_by_key_implILNS1_25lookback_scan_determinismE0ELb0ES3_N6thrust23THRUST_200600_302600_NS6detail15normal_iteratorINS9_10device_ptrIxEEEESE_SE_xNS9_4plusIvEENS9_8equal_toIxEExEE10hipError_tPvRmT2_T3_T4_T5_mT6_T7_P12ihipStream_tbENKUlT_T0_E_clISt17integral_constantIbLb1EESY_IbLb0EEEEDaSU_SV_EUlSU_E_NS1_11comp_targetILNS1_3genE3ELNS1_11target_archE908ELNS1_3gpuE7ELNS1_3repE0EEENS1_30default_config_static_selectorELNS0_4arch9wavefront6targetE0EEEvT1_.private_seg_size, 0
	.set _ZN7rocprim17ROCPRIM_400000_NS6detail17trampoline_kernelINS0_14default_configENS1_27scan_by_key_config_selectorIxxEEZZNS1_16scan_by_key_implILNS1_25lookback_scan_determinismE0ELb0ES3_N6thrust23THRUST_200600_302600_NS6detail15normal_iteratorINS9_10device_ptrIxEEEESE_SE_xNS9_4plusIvEENS9_8equal_toIxEExEE10hipError_tPvRmT2_T3_T4_T5_mT6_T7_P12ihipStream_tbENKUlT_T0_E_clISt17integral_constantIbLb1EESY_IbLb0EEEEDaSU_SV_EUlSU_E_NS1_11comp_targetILNS1_3genE3ELNS1_11target_archE908ELNS1_3gpuE7ELNS1_3repE0EEENS1_30default_config_static_selectorELNS0_4arch9wavefront6targetE0EEEvT1_.uses_vcc, 0
	.set _ZN7rocprim17ROCPRIM_400000_NS6detail17trampoline_kernelINS0_14default_configENS1_27scan_by_key_config_selectorIxxEEZZNS1_16scan_by_key_implILNS1_25lookback_scan_determinismE0ELb0ES3_N6thrust23THRUST_200600_302600_NS6detail15normal_iteratorINS9_10device_ptrIxEEEESE_SE_xNS9_4plusIvEENS9_8equal_toIxEExEE10hipError_tPvRmT2_T3_T4_T5_mT6_T7_P12ihipStream_tbENKUlT_T0_E_clISt17integral_constantIbLb1EESY_IbLb0EEEEDaSU_SV_EUlSU_E_NS1_11comp_targetILNS1_3genE3ELNS1_11target_archE908ELNS1_3gpuE7ELNS1_3repE0EEENS1_30default_config_static_selectorELNS0_4arch9wavefront6targetE0EEEvT1_.uses_flat_scratch, 0
	.set _ZN7rocprim17ROCPRIM_400000_NS6detail17trampoline_kernelINS0_14default_configENS1_27scan_by_key_config_selectorIxxEEZZNS1_16scan_by_key_implILNS1_25lookback_scan_determinismE0ELb0ES3_N6thrust23THRUST_200600_302600_NS6detail15normal_iteratorINS9_10device_ptrIxEEEESE_SE_xNS9_4plusIvEENS9_8equal_toIxEExEE10hipError_tPvRmT2_T3_T4_T5_mT6_T7_P12ihipStream_tbENKUlT_T0_E_clISt17integral_constantIbLb1EESY_IbLb0EEEEDaSU_SV_EUlSU_E_NS1_11comp_targetILNS1_3genE3ELNS1_11target_archE908ELNS1_3gpuE7ELNS1_3repE0EEENS1_30default_config_static_selectorELNS0_4arch9wavefront6targetE0EEEvT1_.has_dyn_sized_stack, 0
	.set _ZN7rocprim17ROCPRIM_400000_NS6detail17trampoline_kernelINS0_14default_configENS1_27scan_by_key_config_selectorIxxEEZZNS1_16scan_by_key_implILNS1_25lookback_scan_determinismE0ELb0ES3_N6thrust23THRUST_200600_302600_NS6detail15normal_iteratorINS9_10device_ptrIxEEEESE_SE_xNS9_4plusIvEENS9_8equal_toIxEExEE10hipError_tPvRmT2_T3_T4_T5_mT6_T7_P12ihipStream_tbENKUlT_T0_E_clISt17integral_constantIbLb1EESY_IbLb0EEEEDaSU_SV_EUlSU_E_NS1_11comp_targetILNS1_3genE3ELNS1_11target_archE908ELNS1_3gpuE7ELNS1_3repE0EEENS1_30default_config_static_selectorELNS0_4arch9wavefront6targetE0EEEvT1_.has_recursion, 0
	.set _ZN7rocprim17ROCPRIM_400000_NS6detail17trampoline_kernelINS0_14default_configENS1_27scan_by_key_config_selectorIxxEEZZNS1_16scan_by_key_implILNS1_25lookback_scan_determinismE0ELb0ES3_N6thrust23THRUST_200600_302600_NS6detail15normal_iteratorINS9_10device_ptrIxEEEESE_SE_xNS9_4plusIvEENS9_8equal_toIxEExEE10hipError_tPvRmT2_T3_T4_T5_mT6_T7_P12ihipStream_tbENKUlT_T0_E_clISt17integral_constantIbLb1EESY_IbLb0EEEEDaSU_SV_EUlSU_E_NS1_11comp_targetILNS1_3genE3ELNS1_11target_archE908ELNS1_3gpuE7ELNS1_3repE0EEENS1_30default_config_static_selectorELNS0_4arch9wavefront6targetE0EEEvT1_.has_indirect_call, 0
	.section	.AMDGPU.csdata,"",@progbits
; Kernel info:
; codeLenInByte = 0
; TotalNumSgprs: 0
; NumVgprs: 0
; ScratchSize: 0
; MemoryBound: 0
; FloatMode: 240
; IeeeMode: 1
; LDSByteSize: 0 bytes/workgroup (compile time only)
; SGPRBlocks: 0
; VGPRBlocks: 0
; NumSGPRsForWavesPerEU: 1
; NumVGPRsForWavesPerEU: 1
; Occupancy: 16
; WaveLimiterHint : 0
; COMPUTE_PGM_RSRC2:SCRATCH_EN: 0
; COMPUTE_PGM_RSRC2:USER_SGPR: 6
; COMPUTE_PGM_RSRC2:TRAP_HANDLER: 0
; COMPUTE_PGM_RSRC2:TGID_X_EN: 1
; COMPUTE_PGM_RSRC2:TGID_Y_EN: 0
; COMPUTE_PGM_RSRC2:TGID_Z_EN: 0
; COMPUTE_PGM_RSRC2:TIDIG_COMP_CNT: 0
	.section	.text._ZN7rocprim17ROCPRIM_400000_NS6detail17trampoline_kernelINS0_14default_configENS1_27scan_by_key_config_selectorIxxEEZZNS1_16scan_by_key_implILNS1_25lookback_scan_determinismE0ELb0ES3_N6thrust23THRUST_200600_302600_NS6detail15normal_iteratorINS9_10device_ptrIxEEEESE_SE_xNS9_4plusIvEENS9_8equal_toIxEExEE10hipError_tPvRmT2_T3_T4_T5_mT6_T7_P12ihipStream_tbENKUlT_T0_E_clISt17integral_constantIbLb1EESY_IbLb0EEEEDaSU_SV_EUlSU_E_NS1_11comp_targetILNS1_3genE2ELNS1_11target_archE906ELNS1_3gpuE6ELNS1_3repE0EEENS1_30default_config_static_selectorELNS0_4arch9wavefront6targetE0EEEvT1_,"axG",@progbits,_ZN7rocprim17ROCPRIM_400000_NS6detail17trampoline_kernelINS0_14default_configENS1_27scan_by_key_config_selectorIxxEEZZNS1_16scan_by_key_implILNS1_25lookback_scan_determinismE0ELb0ES3_N6thrust23THRUST_200600_302600_NS6detail15normal_iteratorINS9_10device_ptrIxEEEESE_SE_xNS9_4plusIvEENS9_8equal_toIxEExEE10hipError_tPvRmT2_T3_T4_T5_mT6_T7_P12ihipStream_tbENKUlT_T0_E_clISt17integral_constantIbLb1EESY_IbLb0EEEEDaSU_SV_EUlSU_E_NS1_11comp_targetILNS1_3genE2ELNS1_11target_archE906ELNS1_3gpuE6ELNS1_3repE0EEENS1_30default_config_static_selectorELNS0_4arch9wavefront6targetE0EEEvT1_,comdat
	.protected	_ZN7rocprim17ROCPRIM_400000_NS6detail17trampoline_kernelINS0_14default_configENS1_27scan_by_key_config_selectorIxxEEZZNS1_16scan_by_key_implILNS1_25lookback_scan_determinismE0ELb0ES3_N6thrust23THRUST_200600_302600_NS6detail15normal_iteratorINS9_10device_ptrIxEEEESE_SE_xNS9_4plusIvEENS9_8equal_toIxEExEE10hipError_tPvRmT2_T3_T4_T5_mT6_T7_P12ihipStream_tbENKUlT_T0_E_clISt17integral_constantIbLb1EESY_IbLb0EEEEDaSU_SV_EUlSU_E_NS1_11comp_targetILNS1_3genE2ELNS1_11target_archE906ELNS1_3gpuE6ELNS1_3repE0EEENS1_30default_config_static_selectorELNS0_4arch9wavefront6targetE0EEEvT1_ ; -- Begin function _ZN7rocprim17ROCPRIM_400000_NS6detail17trampoline_kernelINS0_14default_configENS1_27scan_by_key_config_selectorIxxEEZZNS1_16scan_by_key_implILNS1_25lookback_scan_determinismE0ELb0ES3_N6thrust23THRUST_200600_302600_NS6detail15normal_iteratorINS9_10device_ptrIxEEEESE_SE_xNS9_4plusIvEENS9_8equal_toIxEExEE10hipError_tPvRmT2_T3_T4_T5_mT6_T7_P12ihipStream_tbENKUlT_T0_E_clISt17integral_constantIbLb1EESY_IbLb0EEEEDaSU_SV_EUlSU_E_NS1_11comp_targetILNS1_3genE2ELNS1_11target_archE906ELNS1_3gpuE6ELNS1_3repE0EEENS1_30default_config_static_selectorELNS0_4arch9wavefront6targetE0EEEvT1_
	.globl	_ZN7rocprim17ROCPRIM_400000_NS6detail17trampoline_kernelINS0_14default_configENS1_27scan_by_key_config_selectorIxxEEZZNS1_16scan_by_key_implILNS1_25lookback_scan_determinismE0ELb0ES3_N6thrust23THRUST_200600_302600_NS6detail15normal_iteratorINS9_10device_ptrIxEEEESE_SE_xNS9_4plusIvEENS9_8equal_toIxEExEE10hipError_tPvRmT2_T3_T4_T5_mT6_T7_P12ihipStream_tbENKUlT_T0_E_clISt17integral_constantIbLb1EESY_IbLb0EEEEDaSU_SV_EUlSU_E_NS1_11comp_targetILNS1_3genE2ELNS1_11target_archE906ELNS1_3gpuE6ELNS1_3repE0EEENS1_30default_config_static_selectorELNS0_4arch9wavefront6targetE0EEEvT1_
	.p2align	8
	.type	_ZN7rocprim17ROCPRIM_400000_NS6detail17trampoline_kernelINS0_14default_configENS1_27scan_by_key_config_selectorIxxEEZZNS1_16scan_by_key_implILNS1_25lookback_scan_determinismE0ELb0ES3_N6thrust23THRUST_200600_302600_NS6detail15normal_iteratorINS9_10device_ptrIxEEEESE_SE_xNS9_4plusIvEENS9_8equal_toIxEExEE10hipError_tPvRmT2_T3_T4_T5_mT6_T7_P12ihipStream_tbENKUlT_T0_E_clISt17integral_constantIbLb1EESY_IbLb0EEEEDaSU_SV_EUlSU_E_NS1_11comp_targetILNS1_3genE2ELNS1_11target_archE906ELNS1_3gpuE6ELNS1_3repE0EEENS1_30default_config_static_selectorELNS0_4arch9wavefront6targetE0EEEvT1_,@function
_ZN7rocprim17ROCPRIM_400000_NS6detail17trampoline_kernelINS0_14default_configENS1_27scan_by_key_config_selectorIxxEEZZNS1_16scan_by_key_implILNS1_25lookback_scan_determinismE0ELb0ES3_N6thrust23THRUST_200600_302600_NS6detail15normal_iteratorINS9_10device_ptrIxEEEESE_SE_xNS9_4plusIvEENS9_8equal_toIxEExEE10hipError_tPvRmT2_T3_T4_T5_mT6_T7_P12ihipStream_tbENKUlT_T0_E_clISt17integral_constantIbLb1EESY_IbLb0EEEEDaSU_SV_EUlSU_E_NS1_11comp_targetILNS1_3genE2ELNS1_11target_archE906ELNS1_3gpuE6ELNS1_3repE0EEENS1_30default_config_static_selectorELNS0_4arch9wavefront6targetE0EEEvT1_: ; @_ZN7rocprim17ROCPRIM_400000_NS6detail17trampoline_kernelINS0_14default_configENS1_27scan_by_key_config_selectorIxxEEZZNS1_16scan_by_key_implILNS1_25lookback_scan_determinismE0ELb0ES3_N6thrust23THRUST_200600_302600_NS6detail15normal_iteratorINS9_10device_ptrIxEEEESE_SE_xNS9_4plusIvEENS9_8equal_toIxEExEE10hipError_tPvRmT2_T3_T4_T5_mT6_T7_P12ihipStream_tbENKUlT_T0_E_clISt17integral_constantIbLb1EESY_IbLb0EEEEDaSU_SV_EUlSU_E_NS1_11comp_targetILNS1_3genE2ELNS1_11target_archE906ELNS1_3gpuE6ELNS1_3repE0EEENS1_30default_config_static_selectorELNS0_4arch9wavefront6targetE0EEEvT1_
; %bb.0:
	.section	.rodata,"a",@progbits
	.p2align	6, 0x0
	.amdhsa_kernel _ZN7rocprim17ROCPRIM_400000_NS6detail17trampoline_kernelINS0_14default_configENS1_27scan_by_key_config_selectorIxxEEZZNS1_16scan_by_key_implILNS1_25lookback_scan_determinismE0ELb0ES3_N6thrust23THRUST_200600_302600_NS6detail15normal_iteratorINS9_10device_ptrIxEEEESE_SE_xNS9_4plusIvEENS9_8equal_toIxEExEE10hipError_tPvRmT2_T3_T4_T5_mT6_T7_P12ihipStream_tbENKUlT_T0_E_clISt17integral_constantIbLb1EESY_IbLb0EEEEDaSU_SV_EUlSU_E_NS1_11comp_targetILNS1_3genE2ELNS1_11target_archE906ELNS1_3gpuE6ELNS1_3repE0EEENS1_30default_config_static_selectorELNS0_4arch9wavefront6targetE0EEEvT1_
		.amdhsa_group_segment_fixed_size 0
		.amdhsa_private_segment_fixed_size 0
		.amdhsa_kernarg_size 136
		.amdhsa_user_sgpr_count 6
		.amdhsa_user_sgpr_private_segment_buffer 1
		.amdhsa_user_sgpr_dispatch_ptr 0
		.amdhsa_user_sgpr_queue_ptr 0
		.amdhsa_user_sgpr_kernarg_segment_ptr 1
		.amdhsa_user_sgpr_dispatch_id 0
		.amdhsa_user_sgpr_flat_scratch_init 0
		.amdhsa_user_sgpr_private_segment_size 0
		.amdhsa_wavefront_size32 1
		.amdhsa_uses_dynamic_stack 0
		.amdhsa_system_sgpr_private_segment_wavefront_offset 0
		.amdhsa_system_sgpr_workgroup_id_x 1
		.amdhsa_system_sgpr_workgroup_id_y 0
		.amdhsa_system_sgpr_workgroup_id_z 0
		.amdhsa_system_sgpr_workgroup_info 0
		.amdhsa_system_vgpr_workitem_id 0
		.amdhsa_next_free_vgpr 1
		.amdhsa_next_free_sgpr 1
		.amdhsa_reserve_vcc 0
		.amdhsa_reserve_flat_scratch 0
		.amdhsa_float_round_mode_32 0
		.amdhsa_float_round_mode_16_64 0
		.amdhsa_float_denorm_mode_32 3
		.amdhsa_float_denorm_mode_16_64 3
		.amdhsa_dx10_clamp 1
		.amdhsa_ieee_mode 1
		.amdhsa_fp16_overflow 0
		.amdhsa_workgroup_processor_mode 1
		.amdhsa_memory_ordered 1
		.amdhsa_forward_progress 1
		.amdhsa_shared_vgpr_count 0
		.amdhsa_exception_fp_ieee_invalid_op 0
		.amdhsa_exception_fp_denorm_src 0
		.amdhsa_exception_fp_ieee_div_zero 0
		.amdhsa_exception_fp_ieee_overflow 0
		.amdhsa_exception_fp_ieee_underflow 0
		.amdhsa_exception_fp_ieee_inexact 0
		.amdhsa_exception_int_div_zero 0
	.end_amdhsa_kernel
	.section	.text._ZN7rocprim17ROCPRIM_400000_NS6detail17trampoline_kernelINS0_14default_configENS1_27scan_by_key_config_selectorIxxEEZZNS1_16scan_by_key_implILNS1_25lookback_scan_determinismE0ELb0ES3_N6thrust23THRUST_200600_302600_NS6detail15normal_iteratorINS9_10device_ptrIxEEEESE_SE_xNS9_4plusIvEENS9_8equal_toIxEExEE10hipError_tPvRmT2_T3_T4_T5_mT6_T7_P12ihipStream_tbENKUlT_T0_E_clISt17integral_constantIbLb1EESY_IbLb0EEEEDaSU_SV_EUlSU_E_NS1_11comp_targetILNS1_3genE2ELNS1_11target_archE906ELNS1_3gpuE6ELNS1_3repE0EEENS1_30default_config_static_selectorELNS0_4arch9wavefront6targetE0EEEvT1_,"axG",@progbits,_ZN7rocprim17ROCPRIM_400000_NS6detail17trampoline_kernelINS0_14default_configENS1_27scan_by_key_config_selectorIxxEEZZNS1_16scan_by_key_implILNS1_25lookback_scan_determinismE0ELb0ES3_N6thrust23THRUST_200600_302600_NS6detail15normal_iteratorINS9_10device_ptrIxEEEESE_SE_xNS9_4plusIvEENS9_8equal_toIxEExEE10hipError_tPvRmT2_T3_T4_T5_mT6_T7_P12ihipStream_tbENKUlT_T0_E_clISt17integral_constantIbLb1EESY_IbLb0EEEEDaSU_SV_EUlSU_E_NS1_11comp_targetILNS1_3genE2ELNS1_11target_archE906ELNS1_3gpuE6ELNS1_3repE0EEENS1_30default_config_static_selectorELNS0_4arch9wavefront6targetE0EEEvT1_,comdat
.Lfunc_end106:
	.size	_ZN7rocprim17ROCPRIM_400000_NS6detail17trampoline_kernelINS0_14default_configENS1_27scan_by_key_config_selectorIxxEEZZNS1_16scan_by_key_implILNS1_25lookback_scan_determinismE0ELb0ES3_N6thrust23THRUST_200600_302600_NS6detail15normal_iteratorINS9_10device_ptrIxEEEESE_SE_xNS9_4plusIvEENS9_8equal_toIxEExEE10hipError_tPvRmT2_T3_T4_T5_mT6_T7_P12ihipStream_tbENKUlT_T0_E_clISt17integral_constantIbLb1EESY_IbLb0EEEEDaSU_SV_EUlSU_E_NS1_11comp_targetILNS1_3genE2ELNS1_11target_archE906ELNS1_3gpuE6ELNS1_3repE0EEENS1_30default_config_static_selectorELNS0_4arch9wavefront6targetE0EEEvT1_, .Lfunc_end106-_ZN7rocprim17ROCPRIM_400000_NS6detail17trampoline_kernelINS0_14default_configENS1_27scan_by_key_config_selectorIxxEEZZNS1_16scan_by_key_implILNS1_25lookback_scan_determinismE0ELb0ES3_N6thrust23THRUST_200600_302600_NS6detail15normal_iteratorINS9_10device_ptrIxEEEESE_SE_xNS9_4plusIvEENS9_8equal_toIxEExEE10hipError_tPvRmT2_T3_T4_T5_mT6_T7_P12ihipStream_tbENKUlT_T0_E_clISt17integral_constantIbLb1EESY_IbLb0EEEEDaSU_SV_EUlSU_E_NS1_11comp_targetILNS1_3genE2ELNS1_11target_archE906ELNS1_3gpuE6ELNS1_3repE0EEENS1_30default_config_static_selectorELNS0_4arch9wavefront6targetE0EEEvT1_
                                        ; -- End function
	.set _ZN7rocprim17ROCPRIM_400000_NS6detail17trampoline_kernelINS0_14default_configENS1_27scan_by_key_config_selectorIxxEEZZNS1_16scan_by_key_implILNS1_25lookback_scan_determinismE0ELb0ES3_N6thrust23THRUST_200600_302600_NS6detail15normal_iteratorINS9_10device_ptrIxEEEESE_SE_xNS9_4plusIvEENS9_8equal_toIxEExEE10hipError_tPvRmT2_T3_T4_T5_mT6_T7_P12ihipStream_tbENKUlT_T0_E_clISt17integral_constantIbLb1EESY_IbLb0EEEEDaSU_SV_EUlSU_E_NS1_11comp_targetILNS1_3genE2ELNS1_11target_archE906ELNS1_3gpuE6ELNS1_3repE0EEENS1_30default_config_static_selectorELNS0_4arch9wavefront6targetE0EEEvT1_.num_vgpr, 0
	.set _ZN7rocprim17ROCPRIM_400000_NS6detail17trampoline_kernelINS0_14default_configENS1_27scan_by_key_config_selectorIxxEEZZNS1_16scan_by_key_implILNS1_25lookback_scan_determinismE0ELb0ES3_N6thrust23THRUST_200600_302600_NS6detail15normal_iteratorINS9_10device_ptrIxEEEESE_SE_xNS9_4plusIvEENS9_8equal_toIxEExEE10hipError_tPvRmT2_T3_T4_T5_mT6_T7_P12ihipStream_tbENKUlT_T0_E_clISt17integral_constantIbLb1EESY_IbLb0EEEEDaSU_SV_EUlSU_E_NS1_11comp_targetILNS1_3genE2ELNS1_11target_archE906ELNS1_3gpuE6ELNS1_3repE0EEENS1_30default_config_static_selectorELNS0_4arch9wavefront6targetE0EEEvT1_.num_agpr, 0
	.set _ZN7rocprim17ROCPRIM_400000_NS6detail17trampoline_kernelINS0_14default_configENS1_27scan_by_key_config_selectorIxxEEZZNS1_16scan_by_key_implILNS1_25lookback_scan_determinismE0ELb0ES3_N6thrust23THRUST_200600_302600_NS6detail15normal_iteratorINS9_10device_ptrIxEEEESE_SE_xNS9_4plusIvEENS9_8equal_toIxEExEE10hipError_tPvRmT2_T3_T4_T5_mT6_T7_P12ihipStream_tbENKUlT_T0_E_clISt17integral_constantIbLb1EESY_IbLb0EEEEDaSU_SV_EUlSU_E_NS1_11comp_targetILNS1_3genE2ELNS1_11target_archE906ELNS1_3gpuE6ELNS1_3repE0EEENS1_30default_config_static_selectorELNS0_4arch9wavefront6targetE0EEEvT1_.numbered_sgpr, 0
	.set _ZN7rocprim17ROCPRIM_400000_NS6detail17trampoline_kernelINS0_14default_configENS1_27scan_by_key_config_selectorIxxEEZZNS1_16scan_by_key_implILNS1_25lookback_scan_determinismE0ELb0ES3_N6thrust23THRUST_200600_302600_NS6detail15normal_iteratorINS9_10device_ptrIxEEEESE_SE_xNS9_4plusIvEENS9_8equal_toIxEExEE10hipError_tPvRmT2_T3_T4_T5_mT6_T7_P12ihipStream_tbENKUlT_T0_E_clISt17integral_constantIbLb1EESY_IbLb0EEEEDaSU_SV_EUlSU_E_NS1_11comp_targetILNS1_3genE2ELNS1_11target_archE906ELNS1_3gpuE6ELNS1_3repE0EEENS1_30default_config_static_selectorELNS0_4arch9wavefront6targetE0EEEvT1_.num_named_barrier, 0
	.set _ZN7rocprim17ROCPRIM_400000_NS6detail17trampoline_kernelINS0_14default_configENS1_27scan_by_key_config_selectorIxxEEZZNS1_16scan_by_key_implILNS1_25lookback_scan_determinismE0ELb0ES3_N6thrust23THRUST_200600_302600_NS6detail15normal_iteratorINS9_10device_ptrIxEEEESE_SE_xNS9_4plusIvEENS9_8equal_toIxEExEE10hipError_tPvRmT2_T3_T4_T5_mT6_T7_P12ihipStream_tbENKUlT_T0_E_clISt17integral_constantIbLb1EESY_IbLb0EEEEDaSU_SV_EUlSU_E_NS1_11comp_targetILNS1_3genE2ELNS1_11target_archE906ELNS1_3gpuE6ELNS1_3repE0EEENS1_30default_config_static_selectorELNS0_4arch9wavefront6targetE0EEEvT1_.private_seg_size, 0
	.set _ZN7rocprim17ROCPRIM_400000_NS6detail17trampoline_kernelINS0_14default_configENS1_27scan_by_key_config_selectorIxxEEZZNS1_16scan_by_key_implILNS1_25lookback_scan_determinismE0ELb0ES3_N6thrust23THRUST_200600_302600_NS6detail15normal_iteratorINS9_10device_ptrIxEEEESE_SE_xNS9_4plusIvEENS9_8equal_toIxEExEE10hipError_tPvRmT2_T3_T4_T5_mT6_T7_P12ihipStream_tbENKUlT_T0_E_clISt17integral_constantIbLb1EESY_IbLb0EEEEDaSU_SV_EUlSU_E_NS1_11comp_targetILNS1_3genE2ELNS1_11target_archE906ELNS1_3gpuE6ELNS1_3repE0EEENS1_30default_config_static_selectorELNS0_4arch9wavefront6targetE0EEEvT1_.uses_vcc, 0
	.set _ZN7rocprim17ROCPRIM_400000_NS6detail17trampoline_kernelINS0_14default_configENS1_27scan_by_key_config_selectorIxxEEZZNS1_16scan_by_key_implILNS1_25lookback_scan_determinismE0ELb0ES3_N6thrust23THRUST_200600_302600_NS6detail15normal_iteratorINS9_10device_ptrIxEEEESE_SE_xNS9_4plusIvEENS9_8equal_toIxEExEE10hipError_tPvRmT2_T3_T4_T5_mT6_T7_P12ihipStream_tbENKUlT_T0_E_clISt17integral_constantIbLb1EESY_IbLb0EEEEDaSU_SV_EUlSU_E_NS1_11comp_targetILNS1_3genE2ELNS1_11target_archE906ELNS1_3gpuE6ELNS1_3repE0EEENS1_30default_config_static_selectorELNS0_4arch9wavefront6targetE0EEEvT1_.uses_flat_scratch, 0
	.set _ZN7rocprim17ROCPRIM_400000_NS6detail17trampoline_kernelINS0_14default_configENS1_27scan_by_key_config_selectorIxxEEZZNS1_16scan_by_key_implILNS1_25lookback_scan_determinismE0ELb0ES3_N6thrust23THRUST_200600_302600_NS6detail15normal_iteratorINS9_10device_ptrIxEEEESE_SE_xNS9_4plusIvEENS9_8equal_toIxEExEE10hipError_tPvRmT2_T3_T4_T5_mT6_T7_P12ihipStream_tbENKUlT_T0_E_clISt17integral_constantIbLb1EESY_IbLb0EEEEDaSU_SV_EUlSU_E_NS1_11comp_targetILNS1_3genE2ELNS1_11target_archE906ELNS1_3gpuE6ELNS1_3repE0EEENS1_30default_config_static_selectorELNS0_4arch9wavefront6targetE0EEEvT1_.has_dyn_sized_stack, 0
	.set _ZN7rocprim17ROCPRIM_400000_NS6detail17trampoline_kernelINS0_14default_configENS1_27scan_by_key_config_selectorIxxEEZZNS1_16scan_by_key_implILNS1_25lookback_scan_determinismE0ELb0ES3_N6thrust23THRUST_200600_302600_NS6detail15normal_iteratorINS9_10device_ptrIxEEEESE_SE_xNS9_4plusIvEENS9_8equal_toIxEExEE10hipError_tPvRmT2_T3_T4_T5_mT6_T7_P12ihipStream_tbENKUlT_T0_E_clISt17integral_constantIbLb1EESY_IbLb0EEEEDaSU_SV_EUlSU_E_NS1_11comp_targetILNS1_3genE2ELNS1_11target_archE906ELNS1_3gpuE6ELNS1_3repE0EEENS1_30default_config_static_selectorELNS0_4arch9wavefront6targetE0EEEvT1_.has_recursion, 0
	.set _ZN7rocprim17ROCPRIM_400000_NS6detail17trampoline_kernelINS0_14default_configENS1_27scan_by_key_config_selectorIxxEEZZNS1_16scan_by_key_implILNS1_25lookback_scan_determinismE0ELb0ES3_N6thrust23THRUST_200600_302600_NS6detail15normal_iteratorINS9_10device_ptrIxEEEESE_SE_xNS9_4plusIvEENS9_8equal_toIxEExEE10hipError_tPvRmT2_T3_T4_T5_mT6_T7_P12ihipStream_tbENKUlT_T0_E_clISt17integral_constantIbLb1EESY_IbLb0EEEEDaSU_SV_EUlSU_E_NS1_11comp_targetILNS1_3genE2ELNS1_11target_archE906ELNS1_3gpuE6ELNS1_3repE0EEENS1_30default_config_static_selectorELNS0_4arch9wavefront6targetE0EEEvT1_.has_indirect_call, 0
	.section	.AMDGPU.csdata,"",@progbits
; Kernel info:
; codeLenInByte = 0
; TotalNumSgprs: 0
; NumVgprs: 0
; ScratchSize: 0
; MemoryBound: 0
; FloatMode: 240
; IeeeMode: 1
; LDSByteSize: 0 bytes/workgroup (compile time only)
; SGPRBlocks: 0
; VGPRBlocks: 0
; NumSGPRsForWavesPerEU: 1
; NumVGPRsForWavesPerEU: 1
; Occupancy: 16
; WaveLimiterHint : 0
; COMPUTE_PGM_RSRC2:SCRATCH_EN: 0
; COMPUTE_PGM_RSRC2:USER_SGPR: 6
; COMPUTE_PGM_RSRC2:TRAP_HANDLER: 0
; COMPUTE_PGM_RSRC2:TGID_X_EN: 1
; COMPUTE_PGM_RSRC2:TGID_Y_EN: 0
; COMPUTE_PGM_RSRC2:TGID_Z_EN: 0
; COMPUTE_PGM_RSRC2:TIDIG_COMP_CNT: 0
	.section	.text._ZN7rocprim17ROCPRIM_400000_NS6detail17trampoline_kernelINS0_14default_configENS1_27scan_by_key_config_selectorIxxEEZZNS1_16scan_by_key_implILNS1_25lookback_scan_determinismE0ELb0ES3_N6thrust23THRUST_200600_302600_NS6detail15normal_iteratorINS9_10device_ptrIxEEEESE_SE_xNS9_4plusIvEENS9_8equal_toIxEExEE10hipError_tPvRmT2_T3_T4_T5_mT6_T7_P12ihipStream_tbENKUlT_T0_E_clISt17integral_constantIbLb1EESY_IbLb0EEEEDaSU_SV_EUlSU_E_NS1_11comp_targetILNS1_3genE10ELNS1_11target_archE1200ELNS1_3gpuE4ELNS1_3repE0EEENS1_30default_config_static_selectorELNS0_4arch9wavefront6targetE0EEEvT1_,"axG",@progbits,_ZN7rocprim17ROCPRIM_400000_NS6detail17trampoline_kernelINS0_14default_configENS1_27scan_by_key_config_selectorIxxEEZZNS1_16scan_by_key_implILNS1_25lookback_scan_determinismE0ELb0ES3_N6thrust23THRUST_200600_302600_NS6detail15normal_iteratorINS9_10device_ptrIxEEEESE_SE_xNS9_4plusIvEENS9_8equal_toIxEExEE10hipError_tPvRmT2_T3_T4_T5_mT6_T7_P12ihipStream_tbENKUlT_T0_E_clISt17integral_constantIbLb1EESY_IbLb0EEEEDaSU_SV_EUlSU_E_NS1_11comp_targetILNS1_3genE10ELNS1_11target_archE1200ELNS1_3gpuE4ELNS1_3repE0EEENS1_30default_config_static_selectorELNS0_4arch9wavefront6targetE0EEEvT1_,comdat
	.protected	_ZN7rocprim17ROCPRIM_400000_NS6detail17trampoline_kernelINS0_14default_configENS1_27scan_by_key_config_selectorIxxEEZZNS1_16scan_by_key_implILNS1_25lookback_scan_determinismE0ELb0ES3_N6thrust23THRUST_200600_302600_NS6detail15normal_iteratorINS9_10device_ptrIxEEEESE_SE_xNS9_4plusIvEENS9_8equal_toIxEExEE10hipError_tPvRmT2_T3_T4_T5_mT6_T7_P12ihipStream_tbENKUlT_T0_E_clISt17integral_constantIbLb1EESY_IbLb0EEEEDaSU_SV_EUlSU_E_NS1_11comp_targetILNS1_3genE10ELNS1_11target_archE1200ELNS1_3gpuE4ELNS1_3repE0EEENS1_30default_config_static_selectorELNS0_4arch9wavefront6targetE0EEEvT1_ ; -- Begin function _ZN7rocprim17ROCPRIM_400000_NS6detail17trampoline_kernelINS0_14default_configENS1_27scan_by_key_config_selectorIxxEEZZNS1_16scan_by_key_implILNS1_25lookback_scan_determinismE0ELb0ES3_N6thrust23THRUST_200600_302600_NS6detail15normal_iteratorINS9_10device_ptrIxEEEESE_SE_xNS9_4plusIvEENS9_8equal_toIxEExEE10hipError_tPvRmT2_T3_T4_T5_mT6_T7_P12ihipStream_tbENKUlT_T0_E_clISt17integral_constantIbLb1EESY_IbLb0EEEEDaSU_SV_EUlSU_E_NS1_11comp_targetILNS1_3genE10ELNS1_11target_archE1200ELNS1_3gpuE4ELNS1_3repE0EEENS1_30default_config_static_selectorELNS0_4arch9wavefront6targetE0EEEvT1_
	.globl	_ZN7rocprim17ROCPRIM_400000_NS6detail17trampoline_kernelINS0_14default_configENS1_27scan_by_key_config_selectorIxxEEZZNS1_16scan_by_key_implILNS1_25lookback_scan_determinismE0ELb0ES3_N6thrust23THRUST_200600_302600_NS6detail15normal_iteratorINS9_10device_ptrIxEEEESE_SE_xNS9_4plusIvEENS9_8equal_toIxEExEE10hipError_tPvRmT2_T3_T4_T5_mT6_T7_P12ihipStream_tbENKUlT_T0_E_clISt17integral_constantIbLb1EESY_IbLb0EEEEDaSU_SV_EUlSU_E_NS1_11comp_targetILNS1_3genE10ELNS1_11target_archE1200ELNS1_3gpuE4ELNS1_3repE0EEENS1_30default_config_static_selectorELNS0_4arch9wavefront6targetE0EEEvT1_
	.p2align	8
	.type	_ZN7rocprim17ROCPRIM_400000_NS6detail17trampoline_kernelINS0_14default_configENS1_27scan_by_key_config_selectorIxxEEZZNS1_16scan_by_key_implILNS1_25lookback_scan_determinismE0ELb0ES3_N6thrust23THRUST_200600_302600_NS6detail15normal_iteratorINS9_10device_ptrIxEEEESE_SE_xNS9_4plusIvEENS9_8equal_toIxEExEE10hipError_tPvRmT2_T3_T4_T5_mT6_T7_P12ihipStream_tbENKUlT_T0_E_clISt17integral_constantIbLb1EESY_IbLb0EEEEDaSU_SV_EUlSU_E_NS1_11comp_targetILNS1_3genE10ELNS1_11target_archE1200ELNS1_3gpuE4ELNS1_3repE0EEENS1_30default_config_static_selectorELNS0_4arch9wavefront6targetE0EEEvT1_,@function
_ZN7rocprim17ROCPRIM_400000_NS6detail17trampoline_kernelINS0_14default_configENS1_27scan_by_key_config_selectorIxxEEZZNS1_16scan_by_key_implILNS1_25lookback_scan_determinismE0ELb0ES3_N6thrust23THRUST_200600_302600_NS6detail15normal_iteratorINS9_10device_ptrIxEEEESE_SE_xNS9_4plusIvEENS9_8equal_toIxEExEE10hipError_tPvRmT2_T3_T4_T5_mT6_T7_P12ihipStream_tbENKUlT_T0_E_clISt17integral_constantIbLb1EESY_IbLb0EEEEDaSU_SV_EUlSU_E_NS1_11comp_targetILNS1_3genE10ELNS1_11target_archE1200ELNS1_3gpuE4ELNS1_3repE0EEENS1_30default_config_static_selectorELNS0_4arch9wavefront6targetE0EEEvT1_: ; @_ZN7rocprim17ROCPRIM_400000_NS6detail17trampoline_kernelINS0_14default_configENS1_27scan_by_key_config_selectorIxxEEZZNS1_16scan_by_key_implILNS1_25lookback_scan_determinismE0ELb0ES3_N6thrust23THRUST_200600_302600_NS6detail15normal_iteratorINS9_10device_ptrIxEEEESE_SE_xNS9_4plusIvEENS9_8equal_toIxEExEE10hipError_tPvRmT2_T3_T4_T5_mT6_T7_P12ihipStream_tbENKUlT_T0_E_clISt17integral_constantIbLb1EESY_IbLb0EEEEDaSU_SV_EUlSU_E_NS1_11comp_targetILNS1_3genE10ELNS1_11target_archE1200ELNS1_3gpuE4ELNS1_3repE0EEENS1_30default_config_static_selectorELNS0_4arch9wavefront6targetE0EEEvT1_
; %bb.0:
	.section	.rodata,"a",@progbits
	.p2align	6, 0x0
	.amdhsa_kernel _ZN7rocprim17ROCPRIM_400000_NS6detail17trampoline_kernelINS0_14default_configENS1_27scan_by_key_config_selectorIxxEEZZNS1_16scan_by_key_implILNS1_25lookback_scan_determinismE0ELb0ES3_N6thrust23THRUST_200600_302600_NS6detail15normal_iteratorINS9_10device_ptrIxEEEESE_SE_xNS9_4plusIvEENS9_8equal_toIxEExEE10hipError_tPvRmT2_T3_T4_T5_mT6_T7_P12ihipStream_tbENKUlT_T0_E_clISt17integral_constantIbLb1EESY_IbLb0EEEEDaSU_SV_EUlSU_E_NS1_11comp_targetILNS1_3genE10ELNS1_11target_archE1200ELNS1_3gpuE4ELNS1_3repE0EEENS1_30default_config_static_selectorELNS0_4arch9wavefront6targetE0EEEvT1_
		.amdhsa_group_segment_fixed_size 0
		.amdhsa_private_segment_fixed_size 0
		.amdhsa_kernarg_size 136
		.amdhsa_user_sgpr_count 6
		.amdhsa_user_sgpr_private_segment_buffer 1
		.amdhsa_user_sgpr_dispatch_ptr 0
		.amdhsa_user_sgpr_queue_ptr 0
		.amdhsa_user_sgpr_kernarg_segment_ptr 1
		.amdhsa_user_sgpr_dispatch_id 0
		.amdhsa_user_sgpr_flat_scratch_init 0
		.amdhsa_user_sgpr_private_segment_size 0
		.amdhsa_wavefront_size32 1
		.amdhsa_uses_dynamic_stack 0
		.amdhsa_system_sgpr_private_segment_wavefront_offset 0
		.amdhsa_system_sgpr_workgroup_id_x 1
		.amdhsa_system_sgpr_workgroup_id_y 0
		.amdhsa_system_sgpr_workgroup_id_z 0
		.amdhsa_system_sgpr_workgroup_info 0
		.amdhsa_system_vgpr_workitem_id 0
		.amdhsa_next_free_vgpr 1
		.amdhsa_next_free_sgpr 1
		.amdhsa_reserve_vcc 0
		.amdhsa_reserve_flat_scratch 0
		.amdhsa_float_round_mode_32 0
		.amdhsa_float_round_mode_16_64 0
		.amdhsa_float_denorm_mode_32 3
		.amdhsa_float_denorm_mode_16_64 3
		.amdhsa_dx10_clamp 1
		.amdhsa_ieee_mode 1
		.amdhsa_fp16_overflow 0
		.amdhsa_workgroup_processor_mode 1
		.amdhsa_memory_ordered 1
		.amdhsa_forward_progress 1
		.amdhsa_shared_vgpr_count 0
		.amdhsa_exception_fp_ieee_invalid_op 0
		.amdhsa_exception_fp_denorm_src 0
		.amdhsa_exception_fp_ieee_div_zero 0
		.amdhsa_exception_fp_ieee_overflow 0
		.amdhsa_exception_fp_ieee_underflow 0
		.amdhsa_exception_fp_ieee_inexact 0
		.amdhsa_exception_int_div_zero 0
	.end_amdhsa_kernel
	.section	.text._ZN7rocprim17ROCPRIM_400000_NS6detail17trampoline_kernelINS0_14default_configENS1_27scan_by_key_config_selectorIxxEEZZNS1_16scan_by_key_implILNS1_25lookback_scan_determinismE0ELb0ES3_N6thrust23THRUST_200600_302600_NS6detail15normal_iteratorINS9_10device_ptrIxEEEESE_SE_xNS9_4plusIvEENS9_8equal_toIxEExEE10hipError_tPvRmT2_T3_T4_T5_mT6_T7_P12ihipStream_tbENKUlT_T0_E_clISt17integral_constantIbLb1EESY_IbLb0EEEEDaSU_SV_EUlSU_E_NS1_11comp_targetILNS1_3genE10ELNS1_11target_archE1200ELNS1_3gpuE4ELNS1_3repE0EEENS1_30default_config_static_selectorELNS0_4arch9wavefront6targetE0EEEvT1_,"axG",@progbits,_ZN7rocprim17ROCPRIM_400000_NS6detail17trampoline_kernelINS0_14default_configENS1_27scan_by_key_config_selectorIxxEEZZNS1_16scan_by_key_implILNS1_25lookback_scan_determinismE0ELb0ES3_N6thrust23THRUST_200600_302600_NS6detail15normal_iteratorINS9_10device_ptrIxEEEESE_SE_xNS9_4plusIvEENS9_8equal_toIxEExEE10hipError_tPvRmT2_T3_T4_T5_mT6_T7_P12ihipStream_tbENKUlT_T0_E_clISt17integral_constantIbLb1EESY_IbLb0EEEEDaSU_SV_EUlSU_E_NS1_11comp_targetILNS1_3genE10ELNS1_11target_archE1200ELNS1_3gpuE4ELNS1_3repE0EEENS1_30default_config_static_selectorELNS0_4arch9wavefront6targetE0EEEvT1_,comdat
.Lfunc_end107:
	.size	_ZN7rocprim17ROCPRIM_400000_NS6detail17trampoline_kernelINS0_14default_configENS1_27scan_by_key_config_selectorIxxEEZZNS1_16scan_by_key_implILNS1_25lookback_scan_determinismE0ELb0ES3_N6thrust23THRUST_200600_302600_NS6detail15normal_iteratorINS9_10device_ptrIxEEEESE_SE_xNS9_4plusIvEENS9_8equal_toIxEExEE10hipError_tPvRmT2_T3_T4_T5_mT6_T7_P12ihipStream_tbENKUlT_T0_E_clISt17integral_constantIbLb1EESY_IbLb0EEEEDaSU_SV_EUlSU_E_NS1_11comp_targetILNS1_3genE10ELNS1_11target_archE1200ELNS1_3gpuE4ELNS1_3repE0EEENS1_30default_config_static_selectorELNS0_4arch9wavefront6targetE0EEEvT1_, .Lfunc_end107-_ZN7rocprim17ROCPRIM_400000_NS6detail17trampoline_kernelINS0_14default_configENS1_27scan_by_key_config_selectorIxxEEZZNS1_16scan_by_key_implILNS1_25lookback_scan_determinismE0ELb0ES3_N6thrust23THRUST_200600_302600_NS6detail15normal_iteratorINS9_10device_ptrIxEEEESE_SE_xNS9_4plusIvEENS9_8equal_toIxEExEE10hipError_tPvRmT2_T3_T4_T5_mT6_T7_P12ihipStream_tbENKUlT_T0_E_clISt17integral_constantIbLb1EESY_IbLb0EEEEDaSU_SV_EUlSU_E_NS1_11comp_targetILNS1_3genE10ELNS1_11target_archE1200ELNS1_3gpuE4ELNS1_3repE0EEENS1_30default_config_static_selectorELNS0_4arch9wavefront6targetE0EEEvT1_
                                        ; -- End function
	.set _ZN7rocprim17ROCPRIM_400000_NS6detail17trampoline_kernelINS0_14default_configENS1_27scan_by_key_config_selectorIxxEEZZNS1_16scan_by_key_implILNS1_25lookback_scan_determinismE0ELb0ES3_N6thrust23THRUST_200600_302600_NS6detail15normal_iteratorINS9_10device_ptrIxEEEESE_SE_xNS9_4plusIvEENS9_8equal_toIxEExEE10hipError_tPvRmT2_T3_T4_T5_mT6_T7_P12ihipStream_tbENKUlT_T0_E_clISt17integral_constantIbLb1EESY_IbLb0EEEEDaSU_SV_EUlSU_E_NS1_11comp_targetILNS1_3genE10ELNS1_11target_archE1200ELNS1_3gpuE4ELNS1_3repE0EEENS1_30default_config_static_selectorELNS0_4arch9wavefront6targetE0EEEvT1_.num_vgpr, 0
	.set _ZN7rocprim17ROCPRIM_400000_NS6detail17trampoline_kernelINS0_14default_configENS1_27scan_by_key_config_selectorIxxEEZZNS1_16scan_by_key_implILNS1_25lookback_scan_determinismE0ELb0ES3_N6thrust23THRUST_200600_302600_NS6detail15normal_iteratorINS9_10device_ptrIxEEEESE_SE_xNS9_4plusIvEENS9_8equal_toIxEExEE10hipError_tPvRmT2_T3_T4_T5_mT6_T7_P12ihipStream_tbENKUlT_T0_E_clISt17integral_constantIbLb1EESY_IbLb0EEEEDaSU_SV_EUlSU_E_NS1_11comp_targetILNS1_3genE10ELNS1_11target_archE1200ELNS1_3gpuE4ELNS1_3repE0EEENS1_30default_config_static_selectorELNS0_4arch9wavefront6targetE0EEEvT1_.num_agpr, 0
	.set _ZN7rocprim17ROCPRIM_400000_NS6detail17trampoline_kernelINS0_14default_configENS1_27scan_by_key_config_selectorIxxEEZZNS1_16scan_by_key_implILNS1_25lookback_scan_determinismE0ELb0ES3_N6thrust23THRUST_200600_302600_NS6detail15normal_iteratorINS9_10device_ptrIxEEEESE_SE_xNS9_4plusIvEENS9_8equal_toIxEExEE10hipError_tPvRmT2_T3_T4_T5_mT6_T7_P12ihipStream_tbENKUlT_T0_E_clISt17integral_constantIbLb1EESY_IbLb0EEEEDaSU_SV_EUlSU_E_NS1_11comp_targetILNS1_3genE10ELNS1_11target_archE1200ELNS1_3gpuE4ELNS1_3repE0EEENS1_30default_config_static_selectorELNS0_4arch9wavefront6targetE0EEEvT1_.numbered_sgpr, 0
	.set _ZN7rocprim17ROCPRIM_400000_NS6detail17trampoline_kernelINS0_14default_configENS1_27scan_by_key_config_selectorIxxEEZZNS1_16scan_by_key_implILNS1_25lookback_scan_determinismE0ELb0ES3_N6thrust23THRUST_200600_302600_NS6detail15normal_iteratorINS9_10device_ptrIxEEEESE_SE_xNS9_4plusIvEENS9_8equal_toIxEExEE10hipError_tPvRmT2_T3_T4_T5_mT6_T7_P12ihipStream_tbENKUlT_T0_E_clISt17integral_constantIbLb1EESY_IbLb0EEEEDaSU_SV_EUlSU_E_NS1_11comp_targetILNS1_3genE10ELNS1_11target_archE1200ELNS1_3gpuE4ELNS1_3repE0EEENS1_30default_config_static_selectorELNS0_4arch9wavefront6targetE0EEEvT1_.num_named_barrier, 0
	.set _ZN7rocprim17ROCPRIM_400000_NS6detail17trampoline_kernelINS0_14default_configENS1_27scan_by_key_config_selectorIxxEEZZNS1_16scan_by_key_implILNS1_25lookback_scan_determinismE0ELb0ES3_N6thrust23THRUST_200600_302600_NS6detail15normal_iteratorINS9_10device_ptrIxEEEESE_SE_xNS9_4plusIvEENS9_8equal_toIxEExEE10hipError_tPvRmT2_T3_T4_T5_mT6_T7_P12ihipStream_tbENKUlT_T0_E_clISt17integral_constantIbLb1EESY_IbLb0EEEEDaSU_SV_EUlSU_E_NS1_11comp_targetILNS1_3genE10ELNS1_11target_archE1200ELNS1_3gpuE4ELNS1_3repE0EEENS1_30default_config_static_selectorELNS0_4arch9wavefront6targetE0EEEvT1_.private_seg_size, 0
	.set _ZN7rocprim17ROCPRIM_400000_NS6detail17trampoline_kernelINS0_14default_configENS1_27scan_by_key_config_selectorIxxEEZZNS1_16scan_by_key_implILNS1_25lookback_scan_determinismE0ELb0ES3_N6thrust23THRUST_200600_302600_NS6detail15normal_iteratorINS9_10device_ptrIxEEEESE_SE_xNS9_4plusIvEENS9_8equal_toIxEExEE10hipError_tPvRmT2_T3_T4_T5_mT6_T7_P12ihipStream_tbENKUlT_T0_E_clISt17integral_constantIbLb1EESY_IbLb0EEEEDaSU_SV_EUlSU_E_NS1_11comp_targetILNS1_3genE10ELNS1_11target_archE1200ELNS1_3gpuE4ELNS1_3repE0EEENS1_30default_config_static_selectorELNS0_4arch9wavefront6targetE0EEEvT1_.uses_vcc, 0
	.set _ZN7rocprim17ROCPRIM_400000_NS6detail17trampoline_kernelINS0_14default_configENS1_27scan_by_key_config_selectorIxxEEZZNS1_16scan_by_key_implILNS1_25lookback_scan_determinismE0ELb0ES3_N6thrust23THRUST_200600_302600_NS6detail15normal_iteratorINS9_10device_ptrIxEEEESE_SE_xNS9_4plusIvEENS9_8equal_toIxEExEE10hipError_tPvRmT2_T3_T4_T5_mT6_T7_P12ihipStream_tbENKUlT_T0_E_clISt17integral_constantIbLb1EESY_IbLb0EEEEDaSU_SV_EUlSU_E_NS1_11comp_targetILNS1_3genE10ELNS1_11target_archE1200ELNS1_3gpuE4ELNS1_3repE0EEENS1_30default_config_static_selectorELNS0_4arch9wavefront6targetE0EEEvT1_.uses_flat_scratch, 0
	.set _ZN7rocprim17ROCPRIM_400000_NS6detail17trampoline_kernelINS0_14default_configENS1_27scan_by_key_config_selectorIxxEEZZNS1_16scan_by_key_implILNS1_25lookback_scan_determinismE0ELb0ES3_N6thrust23THRUST_200600_302600_NS6detail15normal_iteratorINS9_10device_ptrIxEEEESE_SE_xNS9_4plusIvEENS9_8equal_toIxEExEE10hipError_tPvRmT2_T3_T4_T5_mT6_T7_P12ihipStream_tbENKUlT_T0_E_clISt17integral_constantIbLb1EESY_IbLb0EEEEDaSU_SV_EUlSU_E_NS1_11comp_targetILNS1_3genE10ELNS1_11target_archE1200ELNS1_3gpuE4ELNS1_3repE0EEENS1_30default_config_static_selectorELNS0_4arch9wavefront6targetE0EEEvT1_.has_dyn_sized_stack, 0
	.set _ZN7rocprim17ROCPRIM_400000_NS6detail17trampoline_kernelINS0_14default_configENS1_27scan_by_key_config_selectorIxxEEZZNS1_16scan_by_key_implILNS1_25lookback_scan_determinismE0ELb0ES3_N6thrust23THRUST_200600_302600_NS6detail15normal_iteratorINS9_10device_ptrIxEEEESE_SE_xNS9_4plusIvEENS9_8equal_toIxEExEE10hipError_tPvRmT2_T3_T4_T5_mT6_T7_P12ihipStream_tbENKUlT_T0_E_clISt17integral_constantIbLb1EESY_IbLb0EEEEDaSU_SV_EUlSU_E_NS1_11comp_targetILNS1_3genE10ELNS1_11target_archE1200ELNS1_3gpuE4ELNS1_3repE0EEENS1_30default_config_static_selectorELNS0_4arch9wavefront6targetE0EEEvT1_.has_recursion, 0
	.set _ZN7rocprim17ROCPRIM_400000_NS6detail17trampoline_kernelINS0_14default_configENS1_27scan_by_key_config_selectorIxxEEZZNS1_16scan_by_key_implILNS1_25lookback_scan_determinismE0ELb0ES3_N6thrust23THRUST_200600_302600_NS6detail15normal_iteratorINS9_10device_ptrIxEEEESE_SE_xNS9_4plusIvEENS9_8equal_toIxEExEE10hipError_tPvRmT2_T3_T4_T5_mT6_T7_P12ihipStream_tbENKUlT_T0_E_clISt17integral_constantIbLb1EESY_IbLb0EEEEDaSU_SV_EUlSU_E_NS1_11comp_targetILNS1_3genE10ELNS1_11target_archE1200ELNS1_3gpuE4ELNS1_3repE0EEENS1_30default_config_static_selectorELNS0_4arch9wavefront6targetE0EEEvT1_.has_indirect_call, 0
	.section	.AMDGPU.csdata,"",@progbits
; Kernel info:
; codeLenInByte = 0
; TotalNumSgprs: 0
; NumVgprs: 0
; ScratchSize: 0
; MemoryBound: 0
; FloatMode: 240
; IeeeMode: 1
; LDSByteSize: 0 bytes/workgroup (compile time only)
; SGPRBlocks: 0
; VGPRBlocks: 0
; NumSGPRsForWavesPerEU: 1
; NumVGPRsForWavesPerEU: 1
; Occupancy: 16
; WaveLimiterHint : 0
; COMPUTE_PGM_RSRC2:SCRATCH_EN: 0
; COMPUTE_PGM_RSRC2:USER_SGPR: 6
; COMPUTE_PGM_RSRC2:TRAP_HANDLER: 0
; COMPUTE_PGM_RSRC2:TGID_X_EN: 1
; COMPUTE_PGM_RSRC2:TGID_Y_EN: 0
; COMPUTE_PGM_RSRC2:TGID_Z_EN: 0
; COMPUTE_PGM_RSRC2:TIDIG_COMP_CNT: 0
	.section	.text._ZN7rocprim17ROCPRIM_400000_NS6detail17trampoline_kernelINS0_14default_configENS1_27scan_by_key_config_selectorIxxEEZZNS1_16scan_by_key_implILNS1_25lookback_scan_determinismE0ELb0ES3_N6thrust23THRUST_200600_302600_NS6detail15normal_iteratorINS9_10device_ptrIxEEEESE_SE_xNS9_4plusIvEENS9_8equal_toIxEExEE10hipError_tPvRmT2_T3_T4_T5_mT6_T7_P12ihipStream_tbENKUlT_T0_E_clISt17integral_constantIbLb1EESY_IbLb0EEEEDaSU_SV_EUlSU_E_NS1_11comp_targetILNS1_3genE9ELNS1_11target_archE1100ELNS1_3gpuE3ELNS1_3repE0EEENS1_30default_config_static_selectorELNS0_4arch9wavefront6targetE0EEEvT1_,"axG",@progbits,_ZN7rocprim17ROCPRIM_400000_NS6detail17trampoline_kernelINS0_14default_configENS1_27scan_by_key_config_selectorIxxEEZZNS1_16scan_by_key_implILNS1_25lookback_scan_determinismE0ELb0ES3_N6thrust23THRUST_200600_302600_NS6detail15normal_iteratorINS9_10device_ptrIxEEEESE_SE_xNS9_4plusIvEENS9_8equal_toIxEExEE10hipError_tPvRmT2_T3_T4_T5_mT6_T7_P12ihipStream_tbENKUlT_T0_E_clISt17integral_constantIbLb1EESY_IbLb0EEEEDaSU_SV_EUlSU_E_NS1_11comp_targetILNS1_3genE9ELNS1_11target_archE1100ELNS1_3gpuE3ELNS1_3repE0EEENS1_30default_config_static_selectorELNS0_4arch9wavefront6targetE0EEEvT1_,comdat
	.protected	_ZN7rocprim17ROCPRIM_400000_NS6detail17trampoline_kernelINS0_14default_configENS1_27scan_by_key_config_selectorIxxEEZZNS1_16scan_by_key_implILNS1_25lookback_scan_determinismE0ELb0ES3_N6thrust23THRUST_200600_302600_NS6detail15normal_iteratorINS9_10device_ptrIxEEEESE_SE_xNS9_4plusIvEENS9_8equal_toIxEExEE10hipError_tPvRmT2_T3_T4_T5_mT6_T7_P12ihipStream_tbENKUlT_T0_E_clISt17integral_constantIbLb1EESY_IbLb0EEEEDaSU_SV_EUlSU_E_NS1_11comp_targetILNS1_3genE9ELNS1_11target_archE1100ELNS1_3gpuE3ELNS1_3repE0EEENS1_30default_config_static_selectorELNS0_4arch9wavefront6targetE0EEEvT1_ ; -- Begin function _ZN7rocprim17ROCPRIM_400000_NS6detail17trampoline_kernelINS0_14default_configENS1_27scan_by_key_config_selectorIxxEEZZNS1_16scan_by_key_implILNS1_25lookback_scan_determinismE0ELb0ES3_N6thrust23THRUST_200600_302600_NS6detail15normal_iteratorINS9_10device_ptrIxEEEESE_SE_xNS9_4plusIvEENS9_8equal_toIxEExEE10hipError_tPvRmT2_T3_T4_T5_mT6_T7_P12ihipStream_tbENKUlT_T0_E_clISt17integral_constantIbLb1EESY_IbLb0EEEEDaSU_SV_EUlSU_E_NS1_11comp_targetILNS1_3genE9ELNS1_11target_archE1100ELNS1_3gpuE3ELNS1_3repE0EEENS1_30default_config_static_selectorELNS0_4arch9wavefront6targetE0EEEvT1_
	.globl	_ZN7rocprim17ROCPRIM_400000_NS6detail17trampoline_kernelINS0_14default_configENS1_27scan_by_key_config_selectorIxxEEZZNS1_16scan_by_key_implILNS1_25lookback_scan_determinismE0ELb0ES3_N6thrust23THRUST_200600_302600_NS6detail15normal_iteratorINS9_10device_ptrIxEEEESE_SE_xNS9_4plusIvEENS9_8equal_toIxEExEE10hipError_tPvRmT2_T3_T4_T5_mT6_T7_P12ihipStream_tbENKUlT_T0_E_clISt17integral_constantIbLb1EESY_IbLb0EEEEDaSU_SV_EUlSU_E_NS1_11comp_targetILNS1_3genE9ELNS1_11target_archE1100ELNS1_3gpuE3ELNS1_3repE0EEENS1_30default_config_static_selectorELNS0_4arch9wavefront6targetE0EEEvT1_
	.p2align	8
	.type	_ZN7rocprim17ROCPRIM_400000_NS6detail17trampoline_kernelINS0_14default_configENS1_27scan_by_key_config_selectorIxxEEZZNS1_16scan_by_key_implILNS1_25lookback_scan_determinismE0ELb0ES3_N6thrust23THRUST_200600_302600_NS6detail15normal_iteratorINS9_10device_ptrIxEEEESE_SE_xNS9_4plusIvEENS9_8equal_toIxEExEE10hipError_tPvRmT2_T3_T4_T5_mT6_T7_P12ihipStream_tbENKUlT_T0_E_clISt17integral_constantIbLb1EESY_IbLb0EEEEDaSU_SV_EUlSU_E_NS1_11comp_targetILNS1_3genE9ELNS1_11target_archE1100ELNS1_3gpuE3ELNS1_3repE0EEENS1_30default_config_static_selectorELNS0_4arch9wavefront6targetE0EEEvT1_,@function
_ZN7rocprim17ROCPRIM_400000_NS6detail17trampoline_kernelINS0_14default_configENS1_27scan_by_key_config_selectorIxxEEZZNS1_16scan_by_key_implILNS1_25lookback_scan_determinismE0ELb0ES3_N6thrust23THRUST_200600_302600_NS6detail15normal_iteratorINS9_10device_ptrIxEEEESE_SE_xNS9_4plusIvEENS9_8equal_toIxEExEE10hipError_tPvRmT2_T3_T4_T5_mT6_T7_P12ihipStream_tbENKUlT_T0_E_clISt17integral_constantIbLb1EESY_IbLb0EEEEDaSU_SV_EUlSU_E_NS1_11comp_targetILNS1_3genE9ELNS1_11target_archE1100ELNS1_3gpuE3ELNS1_3repE0EEENS1_30default_config_static_selectorELNS0_4arch9wavefront6targetE0EEEvT1_: ; @_ZN7rocprim17ROCPRIM_400000_NS6detail17trampoline_kernelINS0_14default_configENS1_27scan_by_key_config_selectorIxxEEZZNS1_16scan_by_key_implILNS1_25lookback_scan_determinismE0ELb0ES3_N6thrust23THRUST_200600_302600_NS6detail15normal_iteratorINS9_10device_ptrIxEEEESE_SE_xNS9_4plusIvEENS9_8equal_toIxEExEE10hipError_tPvRmT2_T3_T4_T5_mT6_T7_P12ihipStream_tbENKUlT_T0_E_clISt17integral_constantIbLb1EESY_IbLb0EEEEDaSU_SV_EUlSU_E_NS1_11comp_targetILNS1_3genE9ELNS1_11target_archE1100ELNS1_3gpuE3ELNS1_3repE0EEENS1_30default_config_static_selectorELNS0_4arch9wavefront6targetE0EEEvT1_
; %bb.0:
	.section	.rodata,"a",@progbits
	.p2align	6, 0x0
	.amdhsa_kernel _ZN7rocprim17ROCPRIM_400000_NS6detail17trampoline_kernelINS0_14default_configENS1_27scan_by_key_config_selectorIxxEEZZNS1_16scan_by_key_implILNS1_25lookback_scan_determinismE0ELb0ES3_N6thrust23THRUST_200600_302600_NS6detail15normal_iteratorINS9_10device_ptrIxEEEESE_SE_xNS9_4plusIvEENS9_8equal_toIxEExEE10hipError_tPvRmT2_T3_T4_T5_mT6_T7_P12ihipStream_tbENKUlT_T0_E_clISt17integral_constantIbLb1EESY_IbLb0EEEEDaSU_SV_EUlSU_E_NS1_11comp_targetILNS1_3genE9ELNS1_11target_archE1100ELNS1_3gpuE3ELNS1_3repE0EEENS1_30default_config_static_selectorELNS0_4arch9wavefront6targetE0EEEvT1_
		.amdhsa_group_segment_fixed_size 0
		.amdhsa_private_segment_fixed_size 0
		.amdhsa_kernarg_size 136
		.amdhsa_user_sgpr_count 6
		.amdhsa_user_sgpr_private_segment_buffer 1
		.amdhsa_user_sgpr_dispatch_ptr 0
		.amdhsa_user_sgpr_queue_ptr 0
		.amdhsa_user_sgpr_kernarg_segment_ptr 1
		.amdhsa_user_sgpr_dispatch_id 0
		.amdhsa_user_sgpr_flat_scratch_init 0
		.amdhsa_user_sgpr_private_segment_size 0
		.amdhsa_wavefront_size32 1
		.amdhsa_uses_dynamic_stack 0
		.amdhsa_system_sgpr_private_segment_wavefront_offset 0
		.amdhsa_system_sgpr_workgroup_id_x 1
		.amdhsa_system_sgpr_workgroup_id_y 0
		.amdhsa_system_sgpr_workgroup_id_z 0
		.amdhsa_system_sgpr_workgroup_info 0
		.amdhsa_system_vgpr_workitem_id 0
		.amdhsa_next_free_vgpr 1
		.amdhsa_next_free_sgpr 1
		.amdhsa_reserve_vcc 0
		.amdhsa_reserve_flat_scratch 0
		.amdhsa_float_round_mode_32 0
		.amdhsa_float_round_mode_16_64 0
		.amdhsa_float_denorm_mode_32 3
		.amdhsa_float_denorm_mode_16_64 3
		.amdhsa_dx10_clamp 1
		.amdhsa_ieee_mode 1
		.amdhsa_fp16_overflow 0
		.amdhsa_workgroup_processor_mode 1
		.amdhsa_memory_ordered 1
		.amdhsa_forward_progress 1
		.amdhsa_shared_vgpr_count 0
		.amdhsa_exception_fp_ieee_invalid_op 0
		.amdhsa_exception_fp_denorm_src 0
		.amdhsa_exception_fp_ieee_div_zero 0
		.amdhsa_exception_fp_ieee_overflow 0
		.amdhsa_exception_fp_ieee_underflow 0
		.amdhsa_exception_fp_ieee_inexact 0
		.amdhsa_exception_int_div_zero 0
	.end_amdhsa_kernel
	.section	.text._ZN7rocprim17ROCPRIM_400000_NS6detail17trampoline_kernelINS0_14default_configENS1_27scan_by_key_config_selectorIxxEEZZNS1_16scan_by_key_implILNS1_25lookback_scan_determinismE0ELb0ES3_N6thrust23THRUST_200600_302600_NS6detail15normal_iteratorINS9_10device_ptrIxEEEESE_SE_xNS9_4plusIvEENS9_8equal_toIxEExEE10hipError_tPvRmT2_T3_T4_T5_mT6_T7_P12ihipStream_tbENKUlT_T0_E_clISt17integral_constantIbLb1EESY_IbLb0EEEEDaSU_SV_EUlSU_E_NS1_11comp_targetILNS1_3genE9ELNS1_11target_archE1100ELNS1_3gpuE3ELNS1_3repE0EEENS1_30default_config_static_selectorELNS0_4arch9wavefront6targetE0EEEvT1_,"axG",@progbits,_ZN7rocprim17ROCPRIM_400000_NS6detail17trampoline_kernelINS0_14default_configENS1_27scan_by_key_config_selectorIxxEEZZNS1_16scan_by_key_implILNS1_25lookback_scan_determinismE0ELb0ES3_N6thrust23THRUST_200600_302600_NS6detail15normal_iteratorINS9_10device_ptrIxEEEESE_SE_xNS9_4plusIvEENS9_8equal_toIxEExEE10hipError_tPvRmT2_T3_T4_T5_mT6_T7_P12ihipStream_tbENKUlT_T0_E_clISt17integral_constantIbLb1EESY_IbLb0EEEEDaSU_SV_EUlSU_E_NS1_11comp_targetILNS1_3genE9ELNS1_11target_archE1100ELNS1_3gpuE3ELNS1_3repE0EEENS1_30default_config_static_selectorELNS0_4arch9wavefront6targetE0EEEvT1_,comdat
.Lfunc_end108:
	.size	_ZN7rocprim17ROCPRIM_400000_NS6detail17trampoline_kernelINS0_14default_configENS1_27scan_by_key_config_selectorIxxEEZZNS1_16scan_by_key_implILNS1_25lookback_scan_determinismE0ELb0ES3_N6thrust23THRUST_200600_302600_NS6detail15normal_iteratorINS9_10device_ptrIxEEEESE_SE_xNS9_4plusIvEENS9_8equal_toIxEExEE10hipError_tPvRmT2_T3_T4_T5_mT6_T7_P12ihipStream_tbENKUlT_T0_E_clISt17integral_constantIbLb1EESY_IbLb0EEEEDaSU_SV_EUlSU_E_NS1_11comp_targetILNS1_3genE9ELNS1_11target_archE1100ELNS1_3gpuE3ELNS1_3repE0EEENS1_30default_config_static_selectorELNS0_4arch9wavefront6targetE0EEEvT1_, .Lfunc_end108-_ZN7rocprim17ROCPRIM_400000_NS6detail17trampoline_kernelINS0_14default_configENS1_27scan_by_key_config_selectorIxxEEZZNS1_16scan_by_key_implILNS1_25lookback_scan_determinismE0ELb0ES3_N6thrust23THRUST_200600_302600_NS6detail15normal_iteratorINS9_10device_ptrIxEEEESE_SE_xNS9_4plusIvEENS9_8equal_toIxEExEE10hipError_tPvRmT2_T3_T4_T5_mT6_T7_P12ihipStream_tbENKUlT_T0_E_clISt17integral_constantIbLb1EESY_IbLb0EEEEDaSU_SV_EUlSU_E_NS1_11comp_targetILNS1_3genE9ELNS1_11target_archE1100ELNS1_3gpuE3ELNS1_3repE0EEENS1_30default_config_static_selectorELNS0_4arch9wavefront6targetE0EEEvT1_
                                        ; -- End function
	.set _ZN7rocprim17ROCPRIM_400000_NS6detail17trampoline_kernelINS0_14default_configENS1_27scan_by_key_config_selectorIxxEEZZNS1_16scan_by_key_implILNS1_25lookback_scan_determinismE0ELb0ES3_N6thrust23THRUST_200600_302600_NS6detail15normal_iteratorINS9_10device_ptrIxEEEESE_SE_xNS9_4plusIvEENS9_8equal_toIxEExEE10hipError_tPvRmT2_T3_T4_T5_mT6_T7_P12ihipStream_tbENKUlT_T0_E_clISt17integral_constantIbLb1EESY_IbLb0EEEEDaSU_SV_EUlSU_E_NS1_11comp_targetILNS1_3genE9ELNS1_11target_archE1100ELNS1_3gpuE3ELNS1_3repE0EEENS1_30default_config_static_selectorELNS0_4arch9wavefront6targetE0EEEvT1_.num_vgpr, 0
	.set _ZN7rocprim17ROCPRIM_400000_NS6detail17trampoline_kernelINS0_14default_configENS1_27scan_by_key_config_selectorIxxEEZZNS1_16scan_by_key_implILNS1_25lookback_scan_determinismE0ELb0ES3_N6thrust23THRUST_200600_302600_NS6detail15normal_iteratorINS9_10device_ptrIxEEEESE_SE_xNS9_4plusIvEENS9_8equal_toIxEExEE10hipError_tPvRmT2_T3_T4_T5_mT6_T7_P12ihipStream_tbENKUlT_T0_E_clISt17integral_constantIbLb1EESY_IbLb0EEEEDaSU_SV_EUlSU_E_NS1_11comp_targetILNS1_3genE9ELNS1_11target_archE1100ELNS1_3gpuE3ELNS1_3repE0EEENS1_30default_config_static_selectorELNS0_4arch9wavefront6targetE0EEEvT1_.num_agpr, 0
	.set _ZN7rocprim17ROCPRIM_400000_NS6detail17trampoline_kernelINS0_14default_configENS1_27scan_by_key_config_selectorIxxEEZZNS1_16scan_by_key_implILNS1_25lookback_scan_determinismE0ELb0ES3_N6thrust23THRUST_200600_302600_NS6detail15normal_iteratorINS9_10device_ptrIxEEEESE_SE_xNS9_4plusIvEENS9_8equal_toIxEExEE10hipError_tPvRmT2_T3_T4_T5_mT6_T7_P12ihipStream_tbENKUlT_T0_E_clISt17integral_constantIbLb1EESY_IbLb0EEEEDaSU_SV_EUlSU_E_NS1_11comp_targetILNS1_3genE9ELNS1_11target_archE1100ELNS1_3gpuE3ELNS1_3repE0EEENS1_30default_config_static_selectorELNS0_4arch9wavefront6targetE0EEEvT1_.numbered_sgpr, 0
	.set _ZN7rocprim17ROCPRIM_400000_NS6detail17trampoline_kernelINS0_14default_configENS1_27scan_by_key_config_selectorIxxEEZZNS1_16scan_by_key_implILNS1_25lookback_scan_determinismE0ELb0ES3_N6thrust23THRUST_200600_302600_NS6detail15normal_iteratorINS9_10device_ptrIxEEEESE_SE_xNS9_4plusIvEENS9_8equal_toIxEExEE10hipError_tPvRmT2_T3_T4_T5_mT6_T7_P12ihipStream_tbENKUlT_T0_E_clISt17integral_constantIbLb1EESY_IbLb0EEEEDaSU_SV_EUlSU_E_NS1_11comp_targetILNS1_3genE9ELNS1_11target_archE1100ELNS1_3gpuE3ELNS1_3repE0EEENS1_30default_config_static_selectorELNS0_4arch9wavefront6targetE0EEEvT1_.num_named_barrier, 0
	.set _ZN7rocprim17ROCPRIM_400000_NS6detail17trampoline_kernelINS0_14default_configENS1_27scan_by_key_config_selectorIxxEEZZNS1_16scan_by_key_implILNS1_25lookback_scan_determinismE0ELb0ES3_N6thrust23THRUST_200600_302600_NS6detail15normal_iteratorINS9_10device_ptrIxEEEESE_SE_xNS9_4plusIvEENS9_8equal_toIxEExEE10hipError_tPvRmT2_T3_T4_T5_mT6_T7_P12ihipStream_tbENKUlT_T0_E_clISt17integral_constantIbLb1EESY_IbLb0EEEEDaSU_SV_EUlSU_E_NS1_11comp_targetILNS1_3genE9ELNS1_11target_archE1100ELNS1_3gpuE3ELNS1_3repE0EEENS1_30default_config_static_selectorELNS0_4arch9wavefront6targetE0EEEvT1_.private_seg_size, 0
	.set _ZN7rocprim17ROCPRIM_400000_NS6detail17trampoline_kernelINS0_14default_configENS1_27scan_by_key_config_selectorIxxEEZZNS1_16scan_by_key_implILNS1_25lookback_scan_determinismE0ELb0ES3_N6thrust23THRUST_200600_302600_NS6detail15normal_iteratorINS9_10device_ptrIxEEEESE_SE_xNS9_4plusIvEENS9_8equal_toIxEExEE10hipError_tPvRmT2_T3_T4_T5_mT6_T7_P12ihipStream_tbENKUlT_T0_E_clISt17integral_constantIbLb1EESY_IbLb0EEEEDaSU_SV_EUlSU_E_NS1_11comp_targetILNS1_3genE9ELNS1_11target_archE1100ELNS1_3gpuE3ELNS1_3repE0EEENS1_30default_config_static_selectorELNS0_4arch9wavefront6targetE0EEEvT1_.uses_vcc, 0
	.set _ZN7rocprim17ROCPRIM_400000_NS6detail17trampoline_kernelINS0_14default_configENS1_27scan_by_key_config_selectorIxxEEZZNS1_16scan_by_key_implILNS1_25lookback_scan_determinismE0ELb0ES3_N6thrust23THRUST_200600_302600_NS6detail15normal_iteratorINS9_10device_ptrIxEEEESE_SE_xNS9_4plusIvEENS9_8equal_toIxEExEE10hipError_tPvRmT2_T3_T4_T5_mT6_T7_P12ihipStream_tbENKUlT_T0_E_clISt17integral_constantIbLb1EESY_IbLb0EEEEDaSU_SV_EUlSU_E_NS1_11comp_targetILNS1_3genE9ELNS1_11target_archE1100ELNS1_3gpuE3ELNS1_3repE0EEENS1_30default_config_static_selectorELNS0_4arch9wavefront6targetE0EEEvT1_.uses_flat_scratch, 0
	.set _ZN7rocprim17ROCPRIM_400000_NS6detail17trampoline_kernelINS0_14default_configENS1_27scan_by_key_config_selectorIxxEEZZNS1_16scan_by_key_implILNS1_25lookback_scan_determinismE0ELb0ES3_N6thrust23THRUST_200600_302600_NS6detail15normal_iteratorINS9_10device_ptrIxEEEESE_SE_xNS9_4plusIvEENS9_8equal_toIxEExEE10hipError_tPvRmT2_T3_T4_T5_mT6_T7_P12ihipStream_tbENKUlT_T0_E_clISt17integral_constantIbLb1EESY_IbLb0EEEEDaSU_SV_EUlSU_E_NS1_11comp_targetILNS1_3genE9ELNS1_11target_archE1100ELNS1_3gpuE3ELNS1_3repE0EEENS1_30default_config_static_selectorELNS0_4arch9wavefront6targetE0EEEvT1_.has_dyn_sized_stack, 0
	.set _ZN7rocprim17ROCPRIM_400000_NS6detail17trampoline_kernelINS0_14default_configENS1_27scan_by_key_config_selectorIxxEEZZNS1_16scan_by_key_implILNS1_25lookback_scan_determinismE0ELb0ES3_N6thrust23THRUST_200600_302600_NS6detail15normal_iteratorINS9_10device_ptrIxEEEESE_SE_xNS9_4plusIvEENS9_8equal_toIxEExEE10hipError_tPvRmT2_T3_T4_T5_mT6_T7_P12ihipStream_tbENKUlT_T0_E_clISt17integral_constantIbLb1EESY_IbLb0EEEEDaSU_SV_EUlSU_E_NS1_11comp_targetILNS1_3genE9ELNS1_11target_archE1100ELNS1_3gpuE3ELNS1_3repE0EEENS1_30default_config_static_selectorELNS0_4arch9wavefront6targetE0EEEvT1_.has_recursion, 0
	.set _ZN7rocprim17ROCPRIM_400000_NS6detail17trampoline_kernelINS0_14default_configENS1_27scan_by_key_config_selectorIxxEEZZNS1_16scan_by_key_implILNS1_25lookback_scan_determinismE0ELb0ES3_N6thrust23THRUST_200600_302600_NS6detail15normal_iteratorINS9_10device_ptrIxEEEESE_SE_xNS9_4plusIvEENS9_8equal_toIxEExEE10hipError_tPvRmT2_T3_T4_T5_mT6_T7_P12ihipStream_tbENKUlT_T0_E_clISt17integral_constantIbLb1EESY_IbLb0EEEEDaSU_SV_EUlSU_E_NS1_11comp_targetILNS1_3genE9ELNS1_11target_archE1100ELNS1_3gpuE3ELNS1_3repE0EEENS1_30default_config_static_selectorELNS0_4arch9wavefront6targetE0EEEvT1_.has_indirect_call, 0
	.section	.AMDGPU.csdata,"",@progbits
; Kernel info:
; codeLenInByte = 0
; TotalNumSgprs: 0
; NumVgprs: 0
; ScratchSize: 0
; MemoryBound: 0
; FloatMode: 240
; IeeeMode: 1
; LDSByteSize: 0 bytes/workgroup (compile time only)
; SGPRBlocks: 0
; VGPRBlocks: 0
; NumSGPRsForWavesPerEU: 1
; NumVGPRsForWavesPerEU: 1
; Occupancy: 16
; WaveLimiterHint : 0
; COMPUTE_PGM_RSRC2:SCRATCH_EN: 0
; COMPUTE_PGM_RSRC2:USER_SGPR: 6
; COMPUTE_PGM_RSRC2:TRAP_HANDLER: 0
; COMPUTE_PGM_RSRC2:TGID_X_EN: 1
; COMPUTE_PGM_RSRC2:TGID_Y_EN: 0
; COMPUTE_PGM_RSRC2:TGID_Z_EN: 0
; COMPUTE_PGM_RSRC2:TIDIG_COMP_CNT: 0
	.section	.text._ZN7rocprim17ROCPRIM_400000_NS6detail17trampoline_kernelINS0_14default_configENS1_27scan_by_key_config_selectorIxxEEZZNS1_16scan_by_key_implILNS1_25lookback_scan_determinismE0ELb0ES3_N6thrust23THRUST_200600_302600_NS6detail15normal_iteratorINS9_10device_ptrIxEEEESE_SE_xNS9_4plusIvEENS9_8equal_toIxEExEE10hipError_tPvRmT2_T3_T4_T5_mT6_T7_P12ihipStream_tbENKUlT_T0_E_clISt17integral_constantIbLb1EESY_IbLb0EEEEDaSU_SV_EUlSU_E_NS1_11comp_targetILNS1_3genE8ELNS1_11target_archE1030ELNS1_3gpuE2ELNS1_3repE0EEENS1_30default_config_static_selectorELNS0_4arch9wavefront6targetE0EEEvT1_,"axG",@progbits,_ZN7rocprim17ROCPRIM_400000_NS6detail17trampoline_kernelINS0_14default_configENS1_27scan_by_key_config_selectorIxxEEZZNS1_16scan_by_key_implILNS1_25lookback_scan_determinismE0ELb0ES3_N6thrust23THRUST_200600_302600_NS6detail15normal_iteratorINS9_10device_ptrIxEEEESE_SE_xNS9_4plusIvEENS9_8equal_toIxEExEE10hipError_tPvRmT2_T3_T4_T5_mT6_T7_P12ihipStream_tbENKUlT_T0_E_clISt17integral_constantIbLb1EESY_IbLb0EEEEDaSU_SV_EUlSU_E_NS1_11comp_targetILNS1_3genE8ELNS1_11target_archE1030ELNS1_3gpuE2ELNS1_3repE0EEENS1_30default_config_static_selectorELNS0_4arch9wavefront6targetE0EEEvT1_,comdat
	.protected	_ZN7rocprim17ROCPRIM_400000_NS6detail17trampoline_kernelINS0_14default_configENS1_27scan_by_key_config_selectorIxxEEZZNS1_16scan_by_key_implILNS1_25lookback_scan_determinismE0ELb0ES3_N6thrust23THRUST_200600_302600_NS6detail15normal_iteratorINS9_10device_ptrIxEEEESE_SE_xNS9_4plusIvEENS9_8equal_toIxEExEE10hipError_tPvRmT2_T3_T4_T5_mT6_T7_P12ihipStream_tbENKUlT_T0_E_clISt17integral_constantIbLb1EESY_IbLb0EEEEDaSU_SV_EUlSU_E_NS1_11comp_targetILNS1_3genE8ELNS1_11target_archE1030ELNS1_3gpuE2ELNS1_3repE0EEENS1_30default_config_static_selectorELNS0_4arch9wavefront6targetE0EEEvT1_ ; -- Begin function _ZN7rocprim17ROCPRIM_400000_NS6detail17trampoline_kernelINS0_14default_configENS1_27scan_by_key_config_selectorIxxEEZZNS1_16scan_by_key_implILNS1_25lookback_scan_determinismE0ELb0ES3_N6thrust23THRUST_200600_302600_NS6detail15normal_iteratorINS9_10device_ptrIxEEEESE_SE_xNS9_4plusIvEENS9_8equal_toIxEExEE10hipError_tPvRmT2_T3_T4_T5_mT6_T7_P12ihipStream_tbENKUlT_T0_E_clISt17integral_constantIbLb1EESY_IbLb0EEEEDaSU_SV_EUlSU_E_NS1_11comp_targetILNS1_3genE8ELNS1_11target_archE1030ELNS1_3gpuE2ELNS1_3repE0EEENS1_30default_config_static_selectorELNS0_4arch9wavefront6targetE0EEEvT1_
	.globl	_ZN7rocprim17ROCPRIM_400000_NS6detail17trampoline_kernelINS0_14default_configENS1_27scan_by_key_config_selectorIxxEEZZNS1_16scan_by_key_implILNS1_25lookback_scan_determinismE0ELb0ES3_N6thrust23THRUST_200600_302600_NS6detail15normal_iteratorINS9_10device_ptrIxEEEESE_SE_xNS9_4plusIvEENS9_8equal_toIxEExEE10hipError_tPvRmT2_T3_T4_T5_mT6_T7_P12ihipStream_tbENKUlT_T0_E_clISt17integral_constantIbLb1EESY_IbLb0EEEEDaSU_SV_EUlSU_E_NS1_11comp_targetILNS1_3genE8ELNS1_11target_archE1030ELNS1_3gpuE2ELNS1_3repE0EEENS1_30default_config_static_selectorELNS0_4arch9wavefront6targetE0EEEvT1_
	.p2align	8
	.type	_ZN7rocprim17ROCPRIM_400000_NS6detail17trampoline_kernelINS0_14default_configENS1_27scan_by_key_config_selectorIxxEEZZNS1_16scan_by_key_implILNS1_25lookback_scan_determinismE0ELb0ES3_N6thrust23THRUST_200600_302600_NS6detail15normal_iteratorINS9_10device_ptrIxEEEESE_SE_xNS9_4plusIvEENS9_8equal_toIxEExEE10hipError_tPvRmT2_T3_T4_T5_mT6_T7_P12ihipStream_tbENKUlT_T0_E_clISt17integral_constantIbLb1EESY_IbLb0EEEEDaSU_SV_EUlSU_E_NS1_11comp_targetILNS1_3genE8ELNS1_11target_archE1030ELNS1_3gpuE2ELNS1_3repE0EEENS1_30default_config_static_selectorELNS0_4arch9wavefront6targetE0EEEvT1_,@function
_ZN7rocprim17ROCPRIM_400000_NS6detail17trampoline_kernelINS0_14default_configENS1_27scan_by_key_config_selectorIxxEEZZNS1_16scan_by_key_implILNS1_25lookback_scan_determinismE0ELb0ES3_N6thrust23THRUST_200600_302600_NS6detail15normal_iteratorINS9_10device_ptrIxEEEESE_SE_xNS9_4plusIvEENS9_8equal_toIxEExEE10hipError_tPvRmT2_T3_T4_T5_mT6_T7_P12ihipStream_tbENKUlT_T0_E_clISt17integral_constantIbLb1EESY_IbLb0EEEEDaSU_SV_EUlSU_E_NS1_11comp_targetILNS1_3genE8ELNS1_11target_archE1030ELNS1_3gpuE2ELNS1_3repE0EEENS1_30default_config_static_selectorELNS0_4arch9wavefront6targetE0EEEvT1_: ; @_ZN7rocprim17ROCPRIM_400000_NS6detail17trampoline_kernelINS0_14default_configENS1_27scan_by_key_config_selectorIxxEEZZNS1_16scan_by_key_implILNS1_25lookback_scan_determinismE0ELb0ES3_N6thrust23THRUST_200600_302600_NS6detail15normal_iteratorINS9_10device_ptrIxEEEESE_SE_xNS9_4plusIvEENS9_8equal_toIxEExEE10hipError_tPvRmT2_T3_T4_T5_mT6_T7_P12ihipStream_tbENKUlT_T0_E_clISt17integral_constantIbLb1EESY_IbLb0EEEEDaSU_SV_EUlSU_E_NS1_11comp_targetILNS1_3genE8ELNS1_11target_archE1030ELNS1_3gpuE2ELNS1_3repE0EEENS1_30default_config_static_selectorELNS0_4arch9wavefront6targetE0EEEvT1_
; %bb.0:
	s_endpgm
	.section	.rodata,"a",@progbits
	.p2align	6, 0x0
	.amdhsa_kernel _ZN7rocprim17ROCPRIM_400000_NS6detail17trampoline_kernelINS0_14default_configENS1_27scan_by_key_config_selectorIxxEEZZNS1_16scan_by_key_implILNS1_25lookback_scan_determinismE0ELb0ES3_N6thrust23THRUST_200600_302600_NS6detail15normal_iteratorINS9_10device_ptrIxEEEESE_SE_xNS9_4plusIvEENS9_8equal_toIxEExEE10hipError_tPvRmT2_T3_T4_T5_mT6_T7_P12ihipStream_tbENKUlT_T0_E_clISt17integral_constantIbLb1EESY_IbLb0EEEEDaSU_SV_EUlSU_E_NS1_11comp_targetILNS1_3genE8ELNS1_11target_archE1030ELNS1_3gpuE2ELNS1_3repE0EEENS1_30default_config_static_selectorELNS0_4arch9wavefront6targetE0EEEvT1_
		.amdhsa_group_segment_fixed_size 0
		.amdhsa_private_segment_fixed_size 0
		.amdhsa_kernarg_size 136
		.amdhsa_user_sgpr_count 6
		.amdhsa_user_sgpr_private_segment_buffer 1
		.amdhsa_user_sgpr_dispatch_ptr 0
		.amdhsa_user_sgpr_queue_ptr 0
		.amdhsa_user_sgpr_kernarg_segment_ptr 1
		.amdhsa_user_sgpr_dispatch_id 0
		.amdhsa_user_sgpr_flat_scratch_init 0
		.amdhsa_user_sgpr_private_segment_size 0
		.amdhsa_wavefront_size32 1
		.amdhsa_uses_dynamic_stack 0
		.amdhsa_system_sgpr_private_segment_wavefront_offset 0
		.amdhsa_system_sgpr_workgroup_id_x 1
		.amdhsa_system_sgpr_workgroup_id_y 0
		.amdhsa_system_sgpr_workgroup_id_z 0
		.amdhsa_system_sgpr_workgroup_info 0
		.amdhsa_system_vgpr_workitem_id 0
		.amdhsa_next_free_vgpr 1
		.amdhsa_next_free_sgpr 1
		.amdhsa_reserve_vcc 0
		.amdhsa_reserve_flat_scratch 0
		.amdhsa_float_round_mode_32 0
		.amdhsa_float_round_mode_16_64 0
		.amdhsa_float_denorm_mode_32 3
		.amdhsa_float_denorm_mode_16_64 3
		.amdhsa_dx10_clamp 1
		.amdhsa_ieee_mode 1
		.amdhsa_fp16_overflow 0
		.amdhsa_workgroup_processor_mode 1
		.amdhsa_memory_ordered 1
		.amdhsa_forward_progress 1
		.amdhsa_shared_vgpr_count 0
		.amdhsa_exception_fp_ieee_invalid_op 0
		.amdhsa_exception_fp_denorm_src 0
		.amdhsa_exception_fp_ieee_div_zero 0
		.amdhsa_exception_fp_ieee_overflow 0
		.amdhsa_exception_fp_ieee_underflow 0
		.amdhsa_exception_fp_ieee_inexact 0
		.amdhsa_exception_int_div_zero 0
	.end_amdhsa_kernel
	.section	.text._ZN7rocprim17ROCPRIM_400000_NS6detail17trampoline_kernelINS0_14default_configENS1_27scan_by_key_config_selectorIxxEEZZNS1_16scan_by_key_implILNS1_25lookback_scan_determinismE0ELb0ES3_N6thrust23THRUST_200600_302600_NS6detail15normal_iteratorINS9_10device_ptrIxEEEESE_SE_xNS9_4plusIvEENS9_8equal_toIxEExEE10hipError_tPvRmT2_T3_T4_T5_mT6_T7_P12ihipStream_tbENKUlT_T0_E_clISt17integral_constantIbLb1EESY_IbLb0EEEEDaSU_SV_EUlSU_E_NS1_11comp_targetILNS1_3genE8ELNS1_11target_archE1030ELNS1_3gpuE2ELNS1_3repE0EEENS1_30default_config_static_selectorELNS0_4arch9wavefront6targetE0EEEvT1_,"axG",@progbits,_ZN7rocprim17ROCPRIM_400000_NS6detail17trampoline_kernelINS0_14default_configENS1_27scan_by_key_config_selectorIxxEEZZNS1_16scan_by_key_implILNS1_25lookback_scan_determinismE0ELb0ES3_N6thrust23THRUST_200600_302600_NS6detail15normal_iteratorINS9_10device_ptrIxEEEESE_SE_xNS9_4plusIvEENS9_8equal_toIxEExEE10hipError_tPvRmT2_T3_T4_T5_mT6_T7_P12ihipStream_tbENKUlT_T0_E_clISt17integral_constantIbLb1EESY_IbLb0EEEEDaSU_SV_EUlSU_E_NS1_11comp_targetILNS1_3genE8ELNS1_11target_archE1030ELNS1_3gpuE2ELNS1_3repE0EEENS1_30default_config_static_selectorELNS0_4arch9wavefront6targetE0EEEvT1_,comdat
.Lfunc_end109:
	.size	_ZN7rocprim17ROCPRIM_400000_NS6detail17trampoline_kernelINS0_14default_configENS1_27scan_by_key_config_selectorIxxEEZZNS1_16scan_by_key_implILNS1_25lookback_scan_determinismE0ELb0ES3_N6thrust23THRUST_200600_302600_NS6detail15normal_iteratorINS9_10device_ptrIxEEEESE_SE_xNS9_4plusIvEENS9_8equal_toIxEExEE10hipError_tPvRmT2_T3_T4_T5_mT6_T7_P12ihipStream_tbENKUlT_T0_E_clISt17integral_constantIbLb1EESY_IbLb0EEEEDaSU_SV_EUlSU_E_NS1_11comp_targetILNS1_3genE8ELNS1_11target_archE1030ELNS1_3gpuE2ELNS1_3repE0EEENS1_30default_config_static_selectorELNS0_4arch9wavefront6targetE0EEEvT1_, .Lfunc_end109-_ZN7rocprim17ROCPRIM_400000_NS6detail17trampoline_kernelINS0_14default_configENS1_27scan_by_key_config_selectorIxxEEZZNS1_16scan_by_key_implILNS1_25lookback_scan_determinismE0ELb0ES3_N6thrust23THRUST_200600_302600_NS6detail15normal_iteratorINS9_10device_ptrIxEEEESE_SE_xNS9_4plusIvEENS9_8equal_toIxEExEE10hipError_tPvRmT2_T3_T4_T5_mT6_T7_P12ihipStream_tbENKUlT_T0_E_clISt17integral_constantIbLb1EESY_IbLb0EEEEDaSU_SV_EUlSU_E_NS1_11comp_targetILNS1_3genE8ELNS1_11target_archE1030ELNS1_3gpuE2ELNS1_3repE0EEENS1_30default_config_static_selectorELNS0_4arch9wavefront6targetE0EEEvT1_
                                        ; -- End function
	.set _ZN7rocprim17ROCPRIM_400000_NS6detail17trampoline_kernelINS0_14default_configENS1_27scan_by_key_config_selectorIxxEEZZNS1_16scan_by_key_implILNS1_25lookback_scan_determinismE0ELb0ES3_N6thrust23THRUST_200600_302600_NS6detail15normal_iteratorINS9_10device_ptrIxEEEESE_SE_xNS9_4plusIvEENS9_8equal_toIxEExEE10hipError_tPvRmT2_T3_T4_T5_mT6_T7_P12ihipStream_tbENKUlT_T0_E_clISt17integral_constantIbLb1EESY_IbLb0EEEEDaSU_SV_EUlSU_E_NS1_11comp_targetILNS1_3genE8ELNS1_11target_archE1030ELNS1_3gpuE2ELNS1_3repE0EEENS1_30default_config_static_selectorELNS0_4arch9wavefront6targetE0EEEvT1_.num_vgpr, 0
	.set _ZN7rocprim17ROCPRIM_400000_NS6detail17trampoline_kernelINS0_14default_configENS1_27scan_by_key_config_selectorIxxEEZZNS1_16scan_by_key_implILNS1_25lookback_scan_determinismE0ELb0ES3_N6thrust23THRUST_200600_302600_NS6detail15normal_iteratorINS9_10device_ptrIxEEEESE_SE_xNS9_4plusIvEENS9_8equal_toIxEExEE10hipError_tPvRmT2_T3_T4_T5_mT6_T7_P12ihipStream_tbENKUlT_T0_E_clISt17integral_constantIbLb1EESY_IbLb0EEEEDaSU_SV_EUlSU_E_NS1_11comp_targetILNS1_3genE8ELNS1_11target_archE1030ELNS1_3gpuE2ELNS1_3repE0EEENS1_30default_config_static_selectorELNS0_4arch9wavefront6targetE0EEEvT1_.num_agpr, 0
	.set _ZN7rocprim17ROCPRIM_400000_NS6detail17trampoline_kernelINS0_14default_configENS1_27scan_by_key_config_selectorIxxEEZZNS1_16scan_by_key_implILNS1_25lookback_scan_determinismE0ELb0ES3_N6thrust23THRUST_200600_302600_NS6detail15normal_iteratorINS9_10device_ptrIxEEEESE_SE_xNS9_4plusIvEENS9_8equal_toIxEExEE10hipError_tPvRmT2_T3_T4_T5_mT6_T7_P12ihipStream_tbENKUlT_T0_E_clISt17integral_constantIbLb1EESY_IbLb0EEEEDaSU_SV_EUlSU_E_NS1_11comp_targetILNS1_3genE8ELNS1_11target_archE1030ELNS1_3gpuE2ELNS1_3repE0EEENS1_30default_config_static_selectorELNS0_4arch9wavefront6targetE0EEEvT1_.numbered_sgpr, 0
	.set _ZN7rocprim17ROCPRIM_400000_NS6detail17trampoline_kernelINS0_14default_configENS1_27scan_by_key_config_selectorIxxEEZZNS1_16scan_by_key_implILNS1_25lookback_scan_determinismE0ELb0ES3_N6thrust23THRUST_200600_302600_NS6detail15normal_iteratorINS9_10device_ptrIxEEEESE_SE_xNS9_4plusIvEENS9_8equal_toIxEExEE10hipError_tPvRmT2_T3_T4_T5_mT6_T7_P12ihipStream_tbENKUlT_T0_E_clISt17integral_constantIbLb1EESY_IbLb0EEEEDaSU_SV_EUlSU_E_NS1_11comp_targetILNS1_3genE8ELNS1_11target_archE1030ELNS1_3gpuE2ELNS1_3repE0EEENS1_30default_config_static_selectorELNS0_4arch9wavefront6targetE0EEEvT1_.num_named_barrier, 0
	.set _ZN7rocprim17ROCPRIM_400000_NS6detail17trampoline_kernelINS0_14default_configENS1_27scan_by_key_config_selectorIxxEEZZNS1_16scan_by_key_implILNS1_25lookback_scan_determinismE0ELb0ES3_N6thrust23THRUST_200600_302600_NS6detail15normal_iteratorINS9_10device_ptrIxEEEESE_SE_xNS9_4plusIvEENS9_8equal_toIxEExEE10hipError_tPvRmT2_T3_T4_T5_mT6_T7_P12ihipStream_tbENKUlT_T0_E_clISt17integral_constantIbLb1EESY_IbLb0EEEEDaSU_SV_EUlSU_E_NS1_11comp_targetILNS1_3genE8ELNS1_11target_archE1030ELNS1_3gpuE2ELNS1_3repE0EEENS1_30default_config_static_selectorELNS0_4arch9wavefront6targetE0EEEvT1_.private_seg_size, 0
	.set _ZN7rocprim17ROCPRIM_400000_NS6detail17trampoline_kernelINS0_14default_configENS1_27scan_by_key_config_selectorIxxEEZZNS1_16scan_by_key_implILNS1_25lookback_scan_determinismE0ELb0ES3_N6thrust23THRUST_200600_302600_NS6detail15normal_iteratorINS9_10device_ptrIxEEEESE_SE_xNS9_4plusIvEENS9_8equal_toIxEExEE10hipError_tPvRmT2_T3_T4_T5_mT6_T7_P12ihipStream_tbENKUlT_T0_E_clISt17integral_constantIbLb1EESY_IbLb0EEEEDaSU_SV_EUlSU_E_NS1_11comp_targetILNS1_3genE8ELNS1_11target_archE1030ELNS1_3gpuE2ELNS1_3repE0EEENS1_30default_config_static_selectorELNS0_4arch9wavefront6targetE0EEEvT1_.uses_vcc, 0
	.set _ZN7rocprim17ROCPRIM_400000_NS6detail17trampoline_kernelINS0_14default_configENS1_27scan_by_key_config_selectorIxxEEZZNS1_16scan_by_key_implILNS1_25lookback_scan_determinismE0ELb0ES3_N6thrust23THRUST_200600_302600_NS6detail15normal_iteratorINS9_10device_ptrIxEEEESE_SE_xNS9_4plusIvEENS9_8equal_toIxEExEE10hipError_tPvRmT2_T3_T4_T5_mT6_T7_P12ihipStream_tbENKUlT_T0_E_clISt17integral_constantIbLb1EESY_IbLb0EEEEDaSU_SV_EUlSU_E_NS1_11comp_targetILNS1_3genE8ELNS1_11target_archE1030ELNS1_3gpuE2ELNS1_3repE0EEENS1_30default_config_static_selectorELNS0_4arch9wavefront6targetE0EEEvT1_.uses_flat_scratch, 0
	.set _ZN7rocprim17ROCPRIM_400000_NS6detail17trampoline_kernelINS0_14default_configENS1_27scan_by_key_config_selectorIxxEEZZNS1_16scan_by_key_implILNS1_25lookback_scan_determinismE0ELb0ES3_N6thrust23THRUST_200600_302600_NS6detail15normal_iteratorINS9_10device_ptrIxEEEESE_SE_xNS9_4plusIvEENS9_8equal_toIxEExEE10hipError_tPvRmT2_T3_T4_T5_mT6_T7_P12ihipStream_tbENKUlT_T0_E_clISt17integral_constantIbLb1EESY_IbLb0EEEEDaSU_SV_EUlSU_E_NS1_11comp_targetILNS1_3genE8ELNS1_11target_archE1030ELNS1_3gpuE2ELNS1_3repE0EEENS1_30default_config_static_selectorELNS0_4arch9wavefront6targetE0EEEvT1_.has_dyn_sized_stack, 0
	.set _ZN7rocprim17ROCPRIM_400000_NS6detail17trampoline_kernelINS0_14default_configENS1_27scan_by_key_config_selectorIxxEEZZNS1_16scan_by_key_implILNS1_25lookback_scan_determinismE0ELb0ES3_N6thrust23THRUST_200600_302600_NS6detail15normal_iteratorINS9_10device_ptrIxEEEESE_SE_xNS9_4plusIvEENS9_8equal_toIxEExEE10hipError_tPvRmT2_T3_T4_T5_mT6_T7_P12ihipStream_tbENKUlT_T0_E_clISt17integral_constantIbLb1EESY_IbLb0EEEEDaSU_SV_EUlSU_E_NS1_11comp_targetILNS1_3genE8ELNS1_11target_archE1030ELNS1_3gpuE2ELNS1_3repE0EEENS1_30default_config_static_selectorELNS0_4arch9wavefront6targetE0EEEvT1_.has_recursion, 0
	.set _ZN7rocprim17ROCPRIM_400000_NS6detail17trampoline_kernelINS0_14default_configENS1_27scan_by_key_config_selectorIxxEEZZNS1_16scan_by_key_implILNS1_25lookback_scan_determinismE0ELb0ES3_N6thrust23THRUST_200600_302600_NS6detail15normal_iteratorINS9_10device_ptrIxEEEESE_SE_xNS9_4plusIvEENS9_8equal_toIxEExEE10hipError_tPvRmT2_T3_T4_T5_mT6_T7_P12ihipStream_tbENKUlT_T0_E_clISt17integral_constantIbLb1EESY_IbLb0EEEEDaSU_SV_EUlSU_E_NS1_11comp_targetILNS1_3genE8ELNS1_11target_archE1030ELNS1_3gpuE2ELNS1_3repE0EEENS1_30default_config_static_selectorELNS0_4arch9wavefront6targetE0EEEvT1_.has_indirect_call, 0
	.section	.AMDGPU.csdata,"",@progbits
; Kernel info:
; codeLenInByte = 4
; TotalNumSgprs: 0
; NumVgprs: 0
; ScratchSize: 0
; MemoryBound: 0
; FloatMode: 240
; IeeeMode: 1
; LDSByteSize: 0 bytes/workgroup (compile time only)
; SGPRBlocks: 0
; VGPRBlocks: 0
; NumSGPRsForWavesPerEU: 1
; NumVGPRsForWavesPerEU: 1
; Occupancy: 16
; WaveLimiterHint : 0
; COMPUTE_PGM_RSRC2:SCRATCH_EN: 0
; COMPUTE_PGM_RSRC2:USER_SGPR: 6
; COMPUTE_PGM_RSRC2:TRAP_HANDLER: 0
; COMPUTE_PGM_RSRC2:TGID_X_EN: 1
; COMPUTE_PGM_RSRC2:TGID_Y_EN: 0
; COMPUTE_PGM_RSRC2:TGID_Z_EN: 0
; COMPUTE_PGM_RSRC2:TIDIG_COMP_CNT: 0
	.section	.text._ZN7rocprim17ROCPRIM_400000_NS6detail17trampoline_kernelINS0_14default_configENS1_27scan_by_key_config_selectorIxxEEZZNS1_16scan_by_key_implILNS1_25lookback_scan_determinismE0ELb0ES3_N6thrust23THRUST_200600_302600_NS6detail15normal_iteratorINS9_10device_ptrIxEEEESE_SE_xNS9_4plusIvEENS9_8equal_toIxEExEE10hipError_tPvRmT2_T3_T4_T5_mT6_T7_P12ihipStream_tbENKUlT_T0_E_clISt17integral_constantIbLb0EESY_IbLb1EEEEDaSU_SV_EUlSU_E_NS1_11comp_targetILNS1_3genE0ELNS1_11target_archE4294967295ELNS1_3gpuE0ELNS1_3repE0EEENS1_30default_config_static_selectorELNS0_4arch9wavefront6targetE0EEEvT1_,"axG",@progbits,_ZN7rocprim17ROCPRIM_400000_NS6detail17trampoline_kernelINS0_14default_configENS1_27scan_by_key_config_selectorIxxEEZZNS1_16scan_by_key_implILNS1_25lookback_scan_determinismE0ELb0ES3_N6thrust23THRUST_200600_302600_NS6detail15normal_iteratorINS9_10device_ptrIxEEEESE_SE_xNS9_4plusIvEENS9_8equal_toIxEExEE10hipError_tPvRmT2_T3_T4_T5_mT6_T7_P12ihipStream_tbENKUlT_T0_E_clISt17integral_constantIbLb0EESY_IbLb1EEEEDaSU_SV_EUlSU_E_NS1_11comp_targetILNS1_3genE0ELNS1_11target_archE4294967295ELNS1_3gpuE0ELNS1_3repE0EEENS1_30default_config_static_selectorELNS0_4arch9wavefront6targetE0EEEvT1_,comdat
	.protected	_ZN7rocprim17ROCPRIM_400000_NS6detail17trampoline_kernelINS0_14default_configENS1_27scan_by_key_config_selectorIxxEEZZNS1_16scan_by_key_implILNS1_25lookback_scan_determinismE0ELb0ES3_N6thrust23THRUST_200600_302600_NS6detail15normal_iteratorINS9_10device_ptrIxEEEESE_SE_xNS9_4plusIvEENS9_8equal_toIxEExEE10hipError_tPvRmT2_T3_T4_T5_mT6_T7_P12ihipStream_tbENKUlT_T0_E_clISt17integral_constantIbLb0EESY_IbLb1EEEEDaSU_SV_EUlSU_E_NS1_11comp_targetILNS1_3genE0ELNS1_11target_archE4294967295ELNS1_3gpuE0ELNS1_3repE0EEENS1_30default_config_static_selectorELNS0_4arch9wavefront6targetE0EEEvT1_ ; -- Begin function _ZN7rocprim17ROCPRIM_400000_NS6detail17trampoline_kernelINS0_14default_configENS1_27scan_by_key_config_selectorIxxEEZZNS1_16scan_by_key_implILNS1_25lookback_scan_determinismE0ELb0ES3_N6thrust23THRUST_200600_302600_NS6detail15normal_iteratorINS9_10device_ptrIxEEEESE_SE_xNS9_4plusIvEENS9_8equal_toIxEExEE10hipError_tPvRmT2_T3_T4_T5_mT6_T7_P12ihipStream_tbENKUlT_T0_E_clISt17integral_constantIbLb0EESY_IbLb1EEEEDaSU_SV_EUlSU_E_NS1_11comp_targetILNS1_3genE0ELNS1_11target_archE4294967295ELNS1_3gpuE0ELNS1_3repE0EEENS1_30default_config_static_selectorELNS0_4arch9wavefront6targetE0EEEvT1_
	.globl	_ZN7rocprim17ROCPRIM_400000_NS6detail17trampoline_kernelINS0_14default_configENS1_27scan_by_key_config_selectorIxxEEZZNS1_16scan_by_key_implILNS1_25lookback_scan_determinismE0ELb0ES3_N6thrust23THRUST_200600_302600_NS6detail15normal_iteratorINS9_10device_ptrIxEEEESE_SE_xNS9_4plusIvEENS9_8equal_toIxEExEE10hipError_tPvRmT2_T3_T4_T5_mT6_T7_P12ihipStream_tbENKUlT_T0_E_clISt17integral_constantIbLb0EESY_IbLb1EEEEDaSU_SV_EUlSU_E_NS1_11comp_targetILNS1_3genE0ELNS1_11target_archE4294967295ELNS1_3gpuE0ELNS1_3repE0EEENS1_30default_config_static_selectorELNS0_4arch9wavefront6targetE0EEEvT1_
	.p2align	8
	.type	_ZN7rocprim17ROCPRIM_400000_NS6detail17trampoline_kernelINS0_14default_configENS1_27scan_by_key_config_selectorIxxEEZZNS1_16scan_by_key_implILNS1_25lookback_scan_determinismE0ELb0ES3_N6thrust23THRUST_200600_302600_NS6detail15normal_iteratorINS9_10device_ptrIxEEEESE_SE_xNS9_4plusIvEENS9_8equal_toIxEExEE10hipError_tPvRmT2_T3_T4_T5_mT6_T7_P12ihipStream_tbENKUlT_T0_E_clISt17integral_constantIbLb0EESY_IbLb1EEEEDaSU_SV_EUlSU_E_NS1_11comp_targetILNS1_3genE0ELNS1_11target_archE4294967295ELNS1_3gpuE0ELNS1_3repE0EEENS1_30default_config_static_selectorELNS0_4arch9wavefront6targetE0EEEvT1_,@function
_ZN7rocprim17ROCPRIM_400000_NS6detail17trampoline_kernelINS0_14default_configENS1_27scan_by_key_config_selectorIxxEEZZNS1_16scan_by_key_implILNS1_25lookback_scan_determinismE0ELb0ES3_N6thrust23THRUST_200600_302600_NS6detail15normal_iteratorINS9_10device_ptrIxEEEESE_SE_xNS9_4plusIvEENS9_8equal_toIxEExEE10hipError_tPvRmT2_T3_T4_T5_mT6_T7_P12ihipStream_tbENKUlT_T0_E_clISt17integral_constantIbLb0EESY_IbLb1EEEEDaSU_SV_EUlSU_E_NS1_11comp_targetILNS1_3genE0ELNS1_11target_archE4294967295ELNS1_3gpuE0ELNS1_3repE0EEENS1_30default_config_static_selectorELNS0_4arch9wavefront6targetE0EEEvT1_: ; @_ZN7rocprim17ROCPRIM_400000_NS6detail17trampoline_kernelINS0_14default_configENS1_27scan_by_key_config_selectorIxxEEZZNS1_16scan_by_key_implILNS1_25lookback_scan_determinismE0ELb0ES3_N6thrust23THRUST_200600_302600_NS6detail15normal_iteratorINS9_10device_ptrIxEEEESE_SE_xNS9_4plusIvEENS9_8equal_toIxEExEE10hipError_tPvRmT2_T3_T4_T5_mT6_T7_P12ihipStream_tbENKUlT_T0_E_clISt17integral_constantIbLb0EESY_IbLb1EEEEDaSU_SV_EUlSU_E_NS1_11comp_targetILNS1_3genE0ELNS1_11target_archE4294967295ELNS1_3gpuE0ELNS1_3repE0EEENS1_30default_config_static_selectorELNS0_4arch9wavefront6targetE0EEEvT1_
; %bb.0:
	.section	.rodata,"a",@progbits
	.p2align	6, 0x0
	.amdhsa_kernel _ZN7rocprim17ROCPRIM_400000_NS6detail17trampoline_kernelINS0_14default_configENS1_27scan_by_key_config_selectorIxxEEZZNS1_16scan_by_key_implILNS1_25lookback_scan_determinismE0ELb0ES3_N6thrust23THRUST_200600_302600_NS6detail15normal_iteratorINS9_10device_ptrIxEEEESE_SE_xNS9_4plusIvEENS9_8equal_toIxEExEE10hipError_tPvRmT2_T3_T4_T5_mT6_T7_P12ihipStream_tbENKUlT_T0_E_clISt17integral_constantIbLb0EESY_IbLb1EEEEDaSU_SV_EUlSU_E_NS1_11comp_targetILNS1_3genE0ELNS1_11target_archE4294967295ELNS1_3gpuE0ELNS1_3repE0EEENS1_30default_config_static_selectorELNS0_4arch9wavefront6targetE0EEEvT1_
		.amdhsa_group_segment_fixed_size 0
		.amdhsa_private_segment_fixed_size 0
		.amdhsa_kernarg_size 136
		.amdhsa_user_sgpr_count 6
		.amdhsa_user_sgpr_private_segment_buffer 1
		.amdhsa_user_sgpr_dispatch_ptr 0
		.amdhsa_user_sgpr_queue_ptr 0
		.amdhsa_user_sgpr_kernarg_segment_ptr 1
		.amdhsa_user_sgpr_dispatch_id 0
		.amdhsa_user_sgpr_flat_scratch_init 0
		.amdhsa_user_sgpr_private_segment_size 0
		.amdhsa_wavefront_size32 1
		.amdhsa_uses_dynamic_stack 0
		.amdhsa_system_sgpr_private_segment_wavefront_offset 0
		.amdhsa_system_sgpr_workgroup_id_x 1
		.amdhsa_system_sgpr_workgroup_id_y 0
		.amdhsa_system_sgpr_workgroup_id_z 0
		.amdhsa_system_sgpr_workgroup_info 0
		.amdhsa_system_vgpr_workitem_id 0
		.amdhsa_next_free_vgpr 1
		.amdhsa_next_free_sgpr 1
		.amdhsa_reserve_vcc 0
		.amdhsa_reserve_flat_scratch 0
		.amdhsa_float_round_mode_32 0
		.amdhsa_float_round_mode_16_64 0
		.amdhsa_float_denorm_mode_32 3
		.amdhsa_float_denorm_mode_16_64 3
		.amdhsa_dx10_clamp 1
		.amdhsa_ieee_mode 1
		.amdhsa_fp16_overflow 0
		.amdhsa_workgroup_processor_mode 1
		.amdhsa_memory_ordered 1
		.amdhsa_forward_progress 1
		.amdhsa_shared_vgpr_count 0
		.amdhsa_exception_fp_ieee_invalid_op 0
		.amdhsa_exception_fp_denorm_src 0
		.amdhsa_exception_fp_ieee_div_zero 0
		.amdhsa_exception_fp_ieee_overflow 0
		.amdhsa_exception_fp_ieee_underflow 0
		.amdhsa_exception_fp_ieee_inexact 0
		.amdhsa_exception_int_div_zero 0
	.end_amdhsa_kernel
	.section	.text._ZN7rocprim17ROCPRIM_400000_NS6detail17trampoline_kernelINS0_14default_configENS1_27scan_by_key_config_selectorIxxEEZZNS1_16scan_by_key_implILNS1_25lookback_scan_determinismE0ELb0ES3_N6thrust23THRUST_200600_302600_NS6detail15normal_iteratorINS9_10device_ptrIxEEEESE_SE_xNS9_4plusIvEENS9_8equal_toIxEExEE10hipError_tPvRmT2_T3_T4_T5_mT6_T7_P12ihipStream_tbENKUlT_T0_E_clISt17integral_constantIbLb0EESY_IbLb1EEEEDaSU_SV_EUlSU_E_NS1_11comp_targetILNS1_3genE0ELNS1_11target_archE4294967295ELNS1_3gpuE0ELNS1_3repE0EEENS1_30default_config_static_selectorELNS0_4arch9wavefront6targetE0EEEvT1_,"axG",@progbits,_ZN7rocprim17ROCPRIM_400000_NS6detail17trampoline_kernelINS0_14default_configENS1_27scan_by_key_config_selectorIxxEEZZNS1_16scan_by_key_implILNS1_25lookback_scan_determinismE0ELb0ES3_N6thrust23THRUST_200600_302600_NS6detail15normal_iteratorINS9_10device_ptrIxEEEESE_SE_xNS9_4plusIvEENS9_8equal_toIxEExEE10hipError_tPvRmT2_T3_T4_T5_mT6_T7_P12ihipStream_tbENKUlT_T0_E_clISt17integral_constantIbLb0EESY_IbLb1EEEEDaSU_SV_EUlSU_E_NS1_11comp_targetILNS1_3genE0ELNS1_11target_archE4294967295ELNS1_3gpuE0ELNS1_3repE0EEENS1_30default_config_static_selectorELNS0_4arch9wavefront6targetE0EEEvT1_,comdat
.Lfunc_end110:
	.size	_ZN7rocprim17ROCPRIM_400000_NS6detail17trampoline_kernelINS0_14default_configENS1_27scan_by_key_config_selectorIxxEEZZNS1_16scan_by_key_implILNS1_25lookback_scan_determinismE0ELb0ES3_N6thrust23THRUST_200600_302600_NS6detail15normal_iteratorINS9_10device_ptrIxEEEESE_SE_xNS9_4plusIvEENS9_8equal_toIxEExEE10hipError_tPvRmT2_T3_T4_T5_mT6_T7_P12ihipStream_tbENKUlT_T0_E_clISt17integral_constantIbLb0EESY_IbLb1EEEEDaSU_SV_EUlSU_E_NS1_11comp_targetILNS1_3genE0ELNS1_11target_archE4294967295ELNS1_3gpuE0ELNS1_3repE0EEENS1_30default_config_static_selectorELNS0_4arch9wavefront6targetE0EEEvT1_, .Lfunc_end110-_ZN7rocprim17ROCPRIM_400000_NS6detail17trampoline_kernelINS0_14default_configENS1_27scan_by_key_config_selectorIxxEEZZNS1_16scan_by_key_implILNS1_25lookback_scan_determinismE0ELb0ES3_N6thrust23THRUST_200600_302600_NS6detail15normal_iteratorINS9_10device_ptrIxEEEESE_SE_xNS9_4plusIvEENS9_8equal_toIxEExEE10hipError_tPvRmT2_T3_T4_T5_mT6_T7_P12ihipStream_tbENKUlT_T0_E_clISt17integral_constantIbLb0EESY_IbLb1EEEEDaSU_SV_EUlSU_E_NS1_11comp_targetILNS1_3genE0ELNS1_11target_archE4294967295ELNS1_3gpuE0ELNS1_3repE0EEENS1_30default_config_static_selectorELNS0_4arch9wavefront6targetE0EEEvT1_
                                        ; -- End function
	.set _ZN7rocprim17ROCPRIM_400000_NS6detail17trampoline_kernelINS0_14default_configENS1_27scan_by_key_config_selectorIxxEEZZNS1_16scan_by_key_implILNS1_25lookback_scan_determinismE0ELb0ES3_N6thrust23THRUST_200600_302600_NS6detail15normal_iteratorINS9_10device_ptrIxEEEESE_SE_xNS9_4plusIvEENS9_8equal_toIxEExEE10hipError_tPvRmT2_T3_T4_T5_mT6_T7_P12ihipStream_tbENKUlT_T0_E_clISt17integral_constantIbLb0EESY_IbLb1EEEEDaSU_SV_EUlSU_E_NS1_11comp_targetILNS1_3genE0ELNS1_11target_archE4294967295ELNS1_3gpuE0ELNS1_3repE0EEENS1_30default_config_static_selectorELNS0_4arch9wavefront6targetE0EEEvT1_.num_vgpr, 0
	.set _ZN7rocprim17ROCPRIM_400000_NS6detail17trampoline_kernelINS0_14default_configENS1_27scan_by_key_config_selectorIxxEEZZNS1_16scan_by_key_implILNS1_25lookback_scan_determinismE0ELb0ES3_N6thrust23THRUST_200600_302600_NS6detail15normal_iteratorINS9_10device_ptrIxEEEESE_SE_xNS9_4plusIvEENS9_8equal_toIxEExEE10hipError_tPvRmT2_T3_T4_T5_mT6_T7_P12ihipStream_tbENKUlT_T0_E_clISt17integral_constantIbLb0EESY_IbLb1EEEEDaSU_SV_EUlSU_E_NS1_11comp_targetILNS1_3genE0ELNS1_11target_archE4294967295ELNS1_3gpuE0ELNS1_3repE0EEENS1_30default_config_static_selectorELNS0_4arch9wavefront6targetE0EEEvT1_.num_agpr, 0
	.set _ZN7rocprim17ROCPRIM_400000_NS6detail17trampoline_kernelINS0_14default_configENS1_27scan_by_key_config_selectorIxxEEZZNS1_16scan_by_key_implILNS1_25lookback_scan_determinismE0ELb0ES3_N6thrust23THRUST_200600_302600_NS6detail15normal_iteratorINS9_10device_ptrIxEEEESE_SE_xNS9_4plusIvEENS9_8equal_toIxEExEE10hipError_tPvRmT2_T3_T4_T5_mT6_T7_P12ihipStream_tbENKUlT_T0_E_clISt17integral_constantIbLb0EESY_IbLb1EEEEDaSU_SV_EUlSU_E_NS1_11comp_targetILNS1_3genE0ELNS1_11target_archE4294967295ELNS1_3gpuE0ELNS1_3repE0EEENS1_30default_config_static_selectorELNS0_4arch9wavefront6targetE0EEEvT1_.numbered_sgpr, 0
	.set _ZN7rocprim17ROCPRIM_400000_NS6detail17trampoline_kernelINS0_14default_configENS1_27scan_by_key_config_selectorIxxEEZZNS1_16scan_by_key_implILNS1_25lookback_scan_determinismE0ELb0ES3_N6thrust23THRUST_200600_302600_NS6detail15normal_iteratorINS9_10device_ptrIxEEEESE_SE_xNS9_4plusIvEENS9_8equal_toIxEExEE10hipError_tPvRmT2_T3_T4_T5_mT6_T7_P12ihipStream_tbENKUlT_T0_E_clISt17integral_constantIbLb0EESY_IbLb1EEEEDaSU_SV_EUlSU_E_NS1_11comp_targetILNS1_3genE0ELNS1_11target_archE4294967295ELNS1_3gpuE0ELNS1_3repE0EEENS1_30default_config_static_selectorELNS0_4arch9wavefront6targetE0EEEvT1_.num_named_barrier, 0
	.set _ZN7rocprim17ROCPRIM_400000_NS6detail17trampoline_kernelINS0_14default_configENS1_27scan_by_key_config_selectorIxxEEZZNS1_16scan_by_key_implILNS1_25lookback_scan_determinismE0ELb0ES3_N6thrust23THRUST_200600_302600_NS6detail15normal_iteratorINS9_10device_ptrIxEEEESE_SE_xNS9_4plusIvEENS9_8equal_toIxEExEE10hipError_tPvRmT2_T3_T4_T5_mT6_T7_P12ihipStream_tbENKUlT_T0_E_clISt17integral_constantIbLb0EESY_IbLb1EEEEDaSU_SV_EUlSU_E_NS1_11comp_targetILNS1_3genE0ELNS1_11target_archE4294967295ELNS1_3gpuE0ELNS1_3repE0EEENS1_30default_config_static_selectorELNS0_4arch9wavefront6targetE0EEEvT1_.private_seg_size, 0
	.set _ZN7rocprim17ROCPRIM_400000_NS6detail17trampoline_kernelINS0_14default_configENS1_27scan_by_key_config_selectorIxxEEZZNS1_16scan_by_key_implILNS1_25lookback_scan_determinismE0ELb0ES3_N6thrust23THRUST_200600_302600_NS6detail15normal_iteratorINS9_10device_ptrIxEEEESE_SE_xNS9_4plusIvEENS9_8equal_toIxEExEE10hipError_tPvRmT2_T3_T4_T5_mT6_T7_P12ihipStream_tbENKUlT_T0_E_clISt17integral_constantIbLb0EESY_IbLb1EEEEDaSU_SV_EUlSU_E_NS1_11comp_targetILNS1_3genE0ELNS1_11target_archE4294967295ELNS1_3gpuE0ELNS1_3repE0EEENS1_30default_config_static_selectorELNS0_4arch9wavefront6targetE0EEEvT1_.uses_vcc, 0
	.set _ZN7rocprim17ROCPRIM_400000_NS6detail17trampoline_kernelINS0_14default_configENS1_27scan_by_key_config_selectorIxxEEZZNS1_16scan_by_key_implILNS1_25lookback_scan_determinismE0ELb0ES3_N6thrust23THRUST_200600_302600_NS6detail15normal_iteratorINS9_10device_ptrIxEEEESE_SE_xNS9_4plusIvEENS9_8equal_toIxEExEE10hipError_tPvRmT2_T3_T4_T5_mT6_T7_P12ihipStream_tbENKUlT_T0_E_clISt17integral_constantIbLb0EESY_IbLb1EEEEDaSU_SV_EUlSU_E_NS1_11comp_targetILNS1_3genE0ELNS1_11target_archE4294967295ELNS1_3gpuE0ELNS1_3repE0EEENS1_30default_config_static_selectorELNS0_4arch9wavefront6targetE0EEEvT1_.uses_flat_scratch, 0
	.set _ZN7rocprim17ROCPRIM_400000_NS6detail17trampoline_kernelINS0_14default_configENS1_27scan_by_key_config_selectorIxxEEZZNS1_16scan_by_key_implILNS1_25lookback_scan_determinismE0ELb0ES3_N6thrust23THRUST_200600_302600_NS6detail15normal_iteratorINS9_10device_ptrIxEEEESE_SE_xNS9_4plusIvEENS9_8equal_toIxEExEE10hipError_tPvRmT2_T3_T4_T5_mT6_T7_P12ihipStream_tbENKUlT_T0_E_clISt17integral_constantIbLb0EESY_IbLb1EEEEDaSU_SV_EUlSU_E_NS1_11comp_targetILNS1_3genE0ELNS1_11target_archE4294967295ELNS1_3gpuE0ELNS1_3repE0EEENS1_30default_config_static_selectorELNS0_4arch9wavefront6targetE0EEEvT1_.has_dyn_sized_stack, 0
	.set _ZN7rocprim17ROCPRIM_400000_NS6detail17trampoline_kernelINS0_14default_configENS1_27scan_by_key_config_selectorIxxEEZZNS1_16scan_by_key_implILNS1_25lookback_scan_determinismE0ELb0ES3_N6thrust23THRUST_200600_302600_NS6detail15normal_iteratorINS9_10device_ptrIxEEEESE_SE_xNS9_4plusIvEENS9_8equal_toIxEExEE10hipError_tPvRmT2_T3_T4_T5_mT6_T7_P12ihipStream_tbENKUlT_T0_E_clISt17integral_constantIbLb0EESY_IbLb1EEEEDaSU_SV_EUlSU_E_NS1_11comp_targetILNS1_3genE0ELNS1_11target_archE4294967295ELNS1_3gpuE0ELNS1_3repE0EEENS1_30default_config_static_selectorELNS0_4arch9wavefront6targetE0EEEvT1_.has_recursion, 0
	.set _ZN7rocprim17ROCPRIM_400000_NS6detail17trampoline_kernelINS0_14default_configENS1_27scan_by_key_config_selectorIxxEEZZNS1_16scan_by_key_implILNS1_25lookback_scan_determinismE0ELb0ES3_N6thrust23THRUST_200600_302600_NS6detail15normal_iteratorINS9_10device_ptrIxEEEESE_SE_xNS9_4plusIvEENS9_8equal_toIxEExEE10hipError_tPvRmT2_T3_T4_T5_mT6_T7_P12ihipStream_tbENKUlT_T0_E_clISt17integral_constantIbLb0EESY_IbLb1EEEEDaSU_SV_EUlSU_E_NS1_11comp_targetILNS1_3genE0ELNS1_11target_archE4294967295ELNS1_3gpuE0ELNS1_3repE0EEENS1_30default_config_static_selectorELNS0_4arch9wavefront6targetE0EEEvT1_.has_indirect_call, 0
	.section	.AMDGPU.csdata,"",@progbits
; Kernel info:
; codeLenInByte = 0
; TotalNumSgprs: 0
; NumVgprs: 0
; ScratchSize: 0
; MemoryBound: 0
; FloatMode: 240
; IeeeMode: 1
; LDSByteSize: 0 bytes/workgroup (compile time only)
; SGPRBlocks: 0
; VGPRBlocks: 0
; NumSGPRsForWavesPerEU: 1
; NumVGPRsForWavesPerEU: 1
; Occupancy: 16
; WaveLimiterHint : 0
; COMPUTE_PGM_RSRC2:SCRATCH_EN: 0
; COMPUTE_PGM_RSRC2:USER_SGPR: 6
; COMPUTE_PGM_RSRC2:TRAP_HANDLER: 0
; COMPUTE_PGM_RSRC2:TGID_X_EN: 1
; COMPUTE_PGM_RSRC2:TGID_Y_EN: 0
; COMPUTE_PGM_RSRC2:TGID_Z_EN: 0
; COMPUTE_PGM_RSRC2:TIDIG_COMP_CNT: 0
	.section	.text._ZN7rocprim17ROCPRIM_400000_NS6detail17trampoline_kernelINS0_14default_configENS1_27scan_by_key_config_selectorIxxEEZZNS1_16scan_by_key_implILNS1_25lookback_scan_determinismE0ELb0ES3_N6thrust23THRUST_200600_302600_NS6detail15normal_iteratorINS9_10device_ptrIxEEEESE_SE_xNS9_4plusIvEENS9_8equal_toIxEExEE10hipError_tPvRmT2_T3_T4_T5_mT6_T7_P12ihipStream_tbENKUlT_T0_E_clISt17integral_constantIbLb0EESY_IbLb1EEEEDaSU_SV_EUlSU_E_NS1_11comp_targetILNS1_3genE10ELNS1_11target_archE1201ELNS1_3gpuE5ELNS1_3repE0EEENS1_30default_config_static_selectorELNS0_4arch9wavefront6targetE0EEEvT1_,"axG",@progbits,_ZN7rocprim17ROCPRIM_400000_NS6detail17trampoline_kernelINS0_14default_configENS1_27scan_by_key_config_selectorIxxEEZZNS1_16scan_by_key_implILNS1_25lookback_scan_determinismE0ELb0ES3_N6thrust23THRUST_200600_302600_NS6detail15normal_iteratorINS9_10device_ptrIxEEEESE_SE_xNS9_4plusIvEENS9_8equal_toIxEExEE10hipError_tPvRmT2_T3_T4_T5_mT6_T7_P12ihipStream_tbENKUlT_T0_E_clISt17integral_constantIbLb0EESY_IbLb1EEEEDaSU_SV_EUlSU_E_NS1_11comp_targetILNS1_3genE10ELNS1_11target_archE1201ELNS1_3gpuE5ELNS1_3repE0EEENS1_30default_config_static_selectorELNS0_4arch9wavefront6targetE0EEEvT1_,comdat
	.protected	_ZN7rocprim17ROCPRIM_400000_NS6detail17trampoline_kernelINS0_14default_configENS1_27scan_by_key_config_selectorIxxEEZZNS1_16scan_by_key_implILNS1_25lookback_scan_determinismE0ELb0ES3_N6thrust23THRUST_200600_302600_NS6detail15normal_iteratorINS9_10device_ptrIxEEEESE_SE_xNS9_4plusIvEENS9_8equal_toIxEExEE10hipError_tPvRmT2_T3_T4_T5_mT6_T7_P12ihipStream_tbENKUlT_T0_E_clISt17integral_constantIbLb0EESY_IbLb1EEEEDaSU_SV_EUlSU_E_NS1_11comp_targetILNS1_3genE10ELNS1_11target_archE1201ELNS1_3gpuE5ELNS1_3repE0EEENS1_30default_config_static_selectorELNS0_4arch9wavefront6targetE0EEEvT1_ ; -- Begin function _ZN7rocprim17ROCPRIM_400000_NS6detail17trampoline_kernelINS0_14default_configENS1_27scan_by_key_config_selectorIxxEEZZNS1_16scan_by_key_implILNS1_25lookback_scan_determinismE0ELb0ES3_N6thrust23THRUST_200600_302600_NS6detail15normal_iteratorINS9_10device_ptrIxEEEESE_SE_xNS9_4plusIvEENS9_8equal_toIxEExEE10hipError_tPvRmT2_T3_T4_T5_mT6_T7_P12ihipStream_tbENKUlT_T0_E_clISt17integral_constantIbLb0EESY_IbLb1EEEEDaSU_SV_EUlSU_E_NS1_11comp_targetILNS1_3genE10ELNS1_11target_archE1201ELNS1_3gpuE5ELNS1_3repE0EEENS1_30default_config_static_selectorELNS0_4arch9wavefront6targetE0EEEvT1_
	.globl	_ZN7rocprim17ROCPRIM_400000_NS6detail17trampoline_kernelINS0_14default_configENS1_27scan_by_key_config_selectorIxxEEZZNS1_16scan_by_key_implILNS1_25lookback_scan_determinismE0ELb0ES3_N6thrust23THRUST_200600_302600_NS6detail15normal_iteratorINS9_10device_ptrIxEEEESE_SE_xNS9_4plusIvEENS9_8equal_toIxEExEE10hipError_tPvRmT2_T3_T4_T5_mT6_T7_P12ihipStream_tbENKUlT_T0_E_clISt17integral_constantIbLb0EESY_IbLb1EEEEDaSU_SV_EUlSU_E_NS1_11comp_targetILNS1_3genE10ELNS1_11target_archE1201ELNS1_3gpuE5ELNS1_3repE0EEENS1_30default_config_static_selectorELNS0_4arch9wavefront6targetE0EEEvT1_
	.p2align	8
	.type	_ZN7rocprim17ROCPRIM_400000_NS6detail17trampoline_kernelINS0_14default_configENS1_27scan_by_key_config_selectorIxxEEZZNS1_16scan_by_key_implILNS1_25lookback_scan_determinismE0ELb0ES3_N6thrust23THRUST_200600_302600_NS6detail15normal_iteratorINS9_10device_ptrIxEEEESE_SE_xNS9_4plusIvEENS9_8equal_toIxEExEE10hipError_tPvRmT2_T3_T4_T5_mT6_T7_P12ihipStream_tbENKUlT_T0_E_clISt17integral_constantIbLb0EESY_IbLb1EEEEDaSU_SV_EUlSU_E_NS1_11comp_targetILNS1_3genE10ELNS1_11target_archE1201ELNS1_3gpuE5ELNS1_3repE0EEENS1_30default_config_static_selectorELNS0_4arch9wavefront6targetE0EEEvT1_,@function
_ZN7rocprim17ROCPRIM_400000_NS6detail17trampoline_kernelINS0_14default_configENS1_27scan_by_key_config_selectorIxxEEZZNS1_16scan_by_key_implILNS1_25lookback_scan_determinismE0ELb0ES3_N6thrust23THRUST_200600_302600_NS6detail15normal_iteratorINS9_10device_ptrIxEEEESE_SE_xNS9_4plusIvEENS9_8equal_toIxEExEE10hipError_tPvRmT2_T3_T4_T5_mT6_T7_P12ihipStream_tbENKUlT_T0_E_clISt17integral_constantIbLb0EESY_IbLb1EEEEDaSU_SV_EUlSU_E_NS1_11comp_targetILNS1_3genE10ELNS1_11target_archE1201ELNS1_3gpuE5ELNS1_3repE0EEENS1_30default_config_static_selectorELNS0_4arch9wavefront6targetE0EEEvT1_: ; @_ZN7rocprim17ROCPRIM_400000_NS6detail17trampoline_kernelINS0_14default_configENS1_27scan_by_key_config_selectorIxxEEZZNS1_16scan_by_key_implILNS1_25lookback_scan_determinismE0ELb0ES3_N6thrust23THRUST_200600_302600_NS6detail15normal_iteratorINS9_10device_ptrIxEEEESE_SE_xNS9_4plusIvEENS9_8equal_toIxEExEE10hipError_tPvRmT2_T3_T4_T5_mT6_T7_P12ihipStream_tbENKUlT_T0_E_clISt17integral_constantIbLb0EESY_IbLb1EEEEDaSU_SV_EUlSU_E_NS1_11comp_targetILNS1_3genE10ELNS1_11target_archE1201ELNS1_3gpuE5ELNS1_3repE0EEENS1_30default_config_static_selectorELNS0_4arch9wavefront6targetE0EEEvT1_
; %bb.0:
	.section	.rodata,"a",@progbits
	.p2align	6, 0x0
	.amdhsa_kernel _ZN7rocprim17ROCPRIM_400000_NS6detail17trampoline_kernelINS0_14default_configENS1_27scan_by_key_config_selectorIxxEEZZNS1_16scan_by_key_implILNS1_25lookback_scan_determinismE0ELb0ES3_N6thrust23THRUST_200600_302600_NS6detail15normal_iteratorINS9_10device_ptrIxEEEESE_SE_xNS9_4plusIvEENS9_8equal_toIxEExEE10hipError_tPvRmT2_T3_T4_T5_mT6_T7_P12ihipStream_tbENKUlT_T0_E_clISt17integral_constantIbLb0EESY_IbLb1EEEEDaSU_SV_EUlSU_E_NS1_11comp_targetILNS1_3genE10ELNS1_11target_archE1201ELNS1_3gpuE5ELNS1_3repE0EEENS1_30default_config_static_selectorELNS0_4arch9wavefront6targetE0EEEvT1_
		.amdhsa_group_segment_fixed_size 0
		.amdhsa_private_segment_fixed_size 0
		.amdhsa_kernarg_size 136
		.amdhsa_user_sgpr_count 6
		.amdhsa_user_sgpr_private_segment_buffer 1
		.amdhsa_user_sgpr_dispatch_ptr 0
		.amdhsa_user_sgpr_queue_ptr 0
		.amdhsa_user_sgpr_kernarg_segment_ptr 1
		.amdhsa_user_sgpr_dispatch_id 0
		.amdhsa_user_sgpr_flat_scratch_init 0
		.amdhsa_user_sgpr_private_segment_size 0
		.amdhsa_wavefront_size32 1
		.amdhsa_uses_dynamic_stack 0
		.amdhsa_system_sgpr_private_segment_wavefront_offset 0
		.amdhsa_system_sgpr_workgroup_id_x 1
		.amdhsa_system_sgpr_workgroup_id_y 0
		.amdhsa_system_sgpr_workgroup_id_z 0
		.amdhsa_system_sgpr_workgroup_info 0
		.amdhsa_system_vgpr_workitem_id 0
		.amdhsa_next_free_vgpr 1
		.amdhsa_next_free_sgpr 1
		.amdhsa_reserve_vcc 0
		.amdhsa_reserve_flat_scratch 0
		.amdhsa_float_round_mode_32 0
		.amdhsa_float_round_mode_16_64 0
		.amdhsa_float_denorm_mode_32 3
		.amdhsa_float_denorm_mode_16_64 3
		.amdhsa_dx10_clamp 1
		.amdhsa_ieee_mode 1
		.amdhsa_fp16_overflow 0
		.amdhsa_workgroup_processor_mode 1
		.amdhsa_memory_ordered 1
		.amdhsa_forward_progress 1
		.amdhsa_shared_vgpr_count 0
		.amdhsa_exception_fp_ieee_invalid_op 0
		.amdhsa_exception_fp_denorm_src 0
		.amdhsa_exception_fp_ieee_div_zero 0
		.amdhsa_exception_fp_ieee_overflow 0
		.amdhsa_exception_fp_ieee_underflow 0
		.amdhsa_exception_fp_ieee_inexact 0
		.amdhsa_exception_int_div_zero 0
	.end_amdhsa_kernel
	.section	.text._ZN7rocprim17ROCPRIM_400000_NS6detail17trampoline_kernelINS0_14default_configENS1_27scan_by_key_config_selectorIxxEEZZNS1_16scan_by_key_implILNS1_25lookback_scan_determinismE0ELb0ES3_N6thrust23THRUST_200600_302600_NS6detail15normal_iteratorINS9_10device_ptrIxEEEESE_SE_xNS9_4plusIvEENS9_8equal_toIxEExEE10hipError_tPvRmT2_T3_T4_T5_mT6_T7_P12ihipStream_tbENKUlT_T0_E_clISt17integral_constantIbLb0EESY_IbLb1EEEEDaSU_SV_EUlSU_E_NS1_11comp_targetILNS1_3genE10ELNS1_11target_archE1201ELNS1_3gpuE5ELNS1_3repE0EEENS1_30default_config_static_selectorELNS0_4arch9wavefront6targetE0EEEvT1_,"axG",@progbits,_ZN7rocprim17ROCPRIM_400000_NS6detail17trampoline_kernelINS0_14default_configENS1_27scan_by_key_config_selectorIxxEEZZNS1_16scan_by_key_implILNS1_25lookback_scan_determinismE0ELb0ES3_N6thrust23THRUST_200600_302600_NS6detail15normal_iteratorINS9_10device_ptrIxEEEESE_SE_xNS9_4plusIvEENS9_8equal_toIxEExEE10hipError_tPvRmT2_T3_T4_T5_mT6_T7_P12ihipStream_tbENKUlT_T0_E_clISt17integral_constantIbLb0EESY_IbLb1EEEEDaSU_SV_EUlSU_E_NS1_11comp_targetILNS1_3genE10ELNS1_11target_archE1201ELNS1_3gpuE5ELNS1_3repE0EEENS1_30default_config_static_selectorELNS0_4arch9wavefront6targetE0EEEvT1_,comdat
.Lfunc_end111:
	.size	_ZN7rocprim17ROCPRIM_400000_NS6detail17trampoline_kernelINS0_14default_configENS1_27scan_by_key_config_selectorIxxEEZZNS1_16scan_by_key_implILNS1_25lookback_scan_determinismE0ELb0ES3_N6thrust23THRUST_200600_302600_NS6detail15normal_iteratorINS9_10device_ptrIxEEEESE_SE_xNS9_4plusIvEENS9_8equal_toIxEExEE10hipError_tPvRmT2_T3_T4_T5_mT6_T7_P12ihipStream_tbENKUlT_T0_E_clISt17integral_constantIbLb0EESY_IbLb1EEEEDaSU_SV_EUlSU_E_NS1_11comp_targetILNS1_3genE10ELNS1_11target_archE1201ELNS1_3gpuE5ELNS1_3repE0EEENS1_30default_config_static_selectorELNS0_4arch9wavefront6targetE0EEEvT1_, .Lfunc_end111-_ZN7rocprim17ROCPRIM_400000_NS6detail17trampoline_kernelINS0_14default_configENS1_27scan_by_key_config_selectorIxxEEZZNS1_16scan_by_key_implILNS1_25lookback_scan_determinismE0ELb0ES3_N6thrust23THRUST_200600_302600_NS6detail15normal_iteratorINS9_10device_ptrIxEEEESE_SE_xNS9_4plusIvEENS9_8equal_toIxEExEE10hipError_tPvRmT2_T3_T4_T5_mT6_T7_P12ihipStream_tbENKUlT_T0_E_clISt17integral_constantIbLb0EESY_IbLb1EEEEDaSU_SV_EUlSU_E_NS1_11comp_targetILNS1_3genE10ELNS1_11target_archE1201ELNS1_3gpuE5ELNS1_3repE0EEENS1_30default_config_static_selectorELNS0_4arch9wavefront6targetE0EEEvT1_
                                        ; -- End function
	.set _ZN7rocprim17ROCPRIM_400000_NS6detail17trampoline_kernelINS0_14default_configENS1_27scan_by_key_config_selectorIxxEEZZNS1_16scan_by_key_implILNS1_25lookback_scan_determinismE0ELb0ES3_N6thrust23THRUST_200600_302600_NS6detail15normal_iteratorINS9_10device_ptrIxEEEESE_SE_xNS9_4plusIvEENS9_8equal_toIxEExEE10hipError_tPvRmT2_T3_T4_T5_mT6_T7_P12ihipStream_tbENKUlT_T0_E_clISt17integral_constantIbLb0EESY_IbLb1EEEEDaSU_SV_EUlSU_E_NS1_11comp_targetILNS1_3genE10ELNS1_11target_archE1201ELNS1_3gpuE5ELNS1_3repE0EEENS1_30default_config_static_selectorELNS0_4arch9wavefront6targetE0EEEvT1_.num_vgpr, 0
	.set _ZN7rocprim17ROCPRIM_400000_NS6detail17trampoline_kernelINS0_14default_configENS1_27scan_by_key_config_selectorIxxEEZZNS1_16scan_by_key_implILNS1_25lookback_scan_determinismE0ELb0ES3_N6thrust23THRUST_200600_302600_NS6detail15normal_iteratorINS9_10device_ptrIxEEEESE_SE_xNS9_4plusIvEENS9_8equal_toIxEExEE10hipError_tPvRmT2_T3_T4_T5_mT6_T7_P12ihipStream_tbENKUlT_T0_E_clISt17integral_constantIbLb0EESY_IbLb1EEEEDaSU_SV_EUlSU_E_NS1_11comp_targetILNS1_3genE10ELNS1_11target_archE1201ELNS1_3gpuE5ELNS1_3repE0EEENS1_30default_config_static_selectorELNS0_4arch9wavefront6targetE0EEEvT1_.num_agpr, 0
	.set _ZN7rocprim17ROCPRIM_400000_NS6detail17trampoline_kernelINS0_14default_configENS1_27scan_by_key_config_selectorIxxEEZZNS1_16scan_by_key_implILNS1_25lookback_scan_determinismE0ELb0ES3_N6thrust23THRUST_200600_302600_NS6detail15normal_iteratorINS9_10device_ptrIxEEEESE_SE_xNS9_4plusIvEENS9_8equal_toIxEExEE10hipError_tPvRmT2_T3_T4_T5_mT6_T7_P12ihipStream_tbENKUlT_T0_E_clISt17integral_constantIbLb0EESY_IbLb1EEEEDaSU_SV_EUlSU_E_NS1_11comp_targetILNS1_3genE10ELNS1_11target_archE1201ELNS1_3gpuE5ELNS1_3repE0EEENS1_30default_config_static_selectorELNS0_4arch9wavefront6targetE0EEEvT1_.numbered_sgpr, 0
	.set _ZN7rocprim17ROCPRIM_400000_NS6detail17trampoline_kernelINS0_14default_configENS1_27scan_by_key_config_selectorIxxEEZZNS1_16scan_by_key_implILNS1_25lookback_scan_determinismE0ELb0ES3_N6thrust23THRUST_200600_302600_NS6detail15normal_iteratorINS9_10device_ptrIxEEEESE_SE_xNS9_4plusIvEENS9_8equal_toIxEExEE10hipError_tPvRmT2_T3_T4_T5_mT6_T7_P12ihipStream_tbENKUlT_T0_E_clISt17integral_constantIbLb0EESY_IbLb1EEEEDaSU_SV_EUlSU_E_NS1_11comp_targetILNS1_3genE10ELNS1_11target_archE1201ELNS1_3gpuE5ELNS1_3repE0EEENS1_30default_config_static_selectorELNS0_4arch9wavefront6targetE0EEEvT1_.num_named_barrier, 0
	.set _ZN7rocprim17ROCPRIM_400000_NS6detail17trampoline_kernelINS0_14default_configENS1_27scan_by_key_config_selectorIxxEEZZNS1_16scan_by_key_implILNS1_25lookback_scan_determinismE0ELb0ES3_N6thrust23THRUST_200600_302600_NS6detail15normal_iteratorINS9_10device_ptrIxEEEESE_SE_xNS9_4plusIvEENS9_8equal_toIxEExEE10hipError_tPvRmT2_T3_T4_T5_mT6_T7_P12ihipStream_tbENKUlT_T0_E_clISt17integral_constantIbLb0EESY_IbLb1EEEEDaSU_SV_EUlSU_E_NS1_11comp_targetILNS1_3genE10ELNS1_11target_archE1201ELNS1_3gpuE5ELNS1_3repE0EEENS1_30default_config_static_selectorELNS0_4arch9wavefront6targetE0EEEvT1_.private_seg_size, 0
	.set _ZN7rocprim17ROCPRIM_400000_NS6detail17trampoline_kernelINS0_14default_configENS1_27scan_by_key_config_selectorIxxEEZZNS1_16scan_by_key_implILNS1_25lookback_scan_determinismE0ELb0ES3_N6thrust23THRUST_200600_302600_NS6detail15normal_iteratorINS9_10device_ptrIxEEEESE_SE_xNS9_4plusIvEENS9_8equal_toIxEExEE10hipError_tPvRmT2_T3_T4_T5_mT6_T7_P12ihipStream_tbENKUlT_T0_E_clISt17integral_constantIbLb0EESY_IbLb1EEEEDaSU_SV_EUlSU_E_NS1_11comp_targetILNS1_3genE10ELNS1_11target_archE1201ELNS1_3gpuE5ELNS1_3repE0EEENS1_30default_config_static_selectorELNS0_4arch9wavefront6targetE0EEEvT1_.uses_vcc, 0
	.set _ZN7rocprim17ROCPRIM_400000_NS6detail17trampoline_kernelINS0_14default_configENS1_27scan_by_key_config_selectorIxxEEZZNS1_16scan_by_key_implILNS1_25lookback_scan_determinismE0ELb0ES3_N6thrust23THRUST_200600_302600_NS6detail15normal_iteratorINS9_10device_ptrIxEEEESE_SE_xNS9_4plusIvEENS9_8equal_toIxEExEE10hipError_tPvRmT2_T3_T4_T5_mT6_T7_P12ihipStream_tbENKUlT_T0_E_clISt17integral_constantIbLb0EESY_IbLb1EEEEDaSU_SV_EUlSU_E_NS1_11comp_targetILNS1_3genE10ELNS1_11target_archE1201ELNS1_3gpuE5ELNS1_3repE0EEENS1_30default_config_static_selectorELNS0_4arch9wavefront6targetE0EEEvT1_.uses_flat_scratch, 0
	.set _ZN7rocprim17ROCPRIM_400000_NS6detail17trampoline_kernelINS0_14default_configENS1_27scan_by_key_config_selectorIxxEEZZNS1_16scan_by_key_implILNS1_25lookback_scan_determinismE0ELb0ES3_N6thrust23THRUST_200600_302600_NS6detail15normal_iteratorINS9_10device_ptrIxEEEESE_SE_xNS9_4plusIvEENS9_8equal_toIxEExEE10hipError_tPvRmT2_T3_T4_T5_mT6_T7_P12ihipStream_tbENKUlT_T0_E_clISt17integral_constantIbLb0EESY_IbLb1EEEEDaSU_SV_EUlSU_E_NS1_11comp_targetILNS1_3genE10ELNS1_11target_archE1201ELNS1_3gpuE5ELNS1_3repE0EEENS1_30default_config_static_selectorELNS0_4arch9wavefront6targetE0EEEvT1_.has_dyn_sized_stack, 0
	.set _ZN7rocprim17ROCPRIM_400000_NS6detail17trampoline_kernelINS0_14default_configENS1_27scan_by_key_config_selectorIxxEEZZNS1_16scan_by_key_implILNS1_25lookback_scan_determinismE0ELb0ES3_N6thrust23THRUST_200600_302600_NS6detail15normal_iteratorINS9_10device_ptrIxEEEESE_SE_xNS9_4plusIvEENS9_8equal_toIxEExEE10hipError_tPvRmT2_T3_T4_T5_mT6_T7_P12ihipStream_tbENKUlT_T0_E_clISt17integral_constantIbLb0EESY_IbLb1EEEEDaSU_SV_EUlSU_E_NS1_11comp_targetILNS1_3genE10ELNS1_11target_archE1201ELNS1_3gpuE5ELNS1_3repE0EEENS1_30default_config_static_selectorELNS0_4arch9wavefront6targetE0EEEvT1_.has_recursion, 0
	.set _ZN7rocprim17ROCPRIM_400000_NS6detail17trampoline_kernelINS0_14default_configENS1_27scan_by_key_config_selectorIxxEEZZNS1_16scan_by_key_implILNS1_25lookback_scan_determinismE0ELb0ES3_N6thrust23THRUST_200600_302600_NS6detail15normal_iteratorINS9_10device_ptrIxEEEESE_SE_xNS9_4plusIvEENS9_8equal_toIxEExEE10hipError_tPvRmT2_T3_T4_T5_mT6_T7_P12ihipStream_tbENKUlT_T0_E_clISt17integral_constantIbLb0EESY_IbLb1EEEEDaSU_SV_EUlSU_E_NS1_11comp_targetILNS1_3genE10ELNS1_11target_archE1201ELNS1_3gpuE5ELNS1_3repE0EEENS1_30default_config_static_selectorELNS0_4arch9wavefront6targetE0EEEvT1_.has_indirect_call, 0
	.section	.AMDGPU.csdata,"",@progbits
; Kernel info:
; codeLenInByte = 0
; TotalNumSgprs: 0
; NumVgprs: 0
; ScratchSize: 0
; MemoryBound: 0
; FloatMode: 240
; IeeeMode: 1
; LDSByteSize: 0 bytes/workgroup (compile time only)
; SGPRBlocks: 0
; VGPRBlocks: 0
; NumSGPRsForWavesPerEU: 1
; NumVGPRsForWavesPerEU: 1
; Occupancy: 16
; WaveLimiterHint : 0
; COMPUTE_PGM_RSRC2:SCRATCH_EN: 0
; COMPUTE_PGM_RSRC2:USER_SGPR: 6
; COMPUTE_PGM_RSRC2:TRAP_HANDLER: 0
; COMPUTE_PGM_RSRC2:TGID_X_EN: 1
; COMPUTE_PGM_RSRC2:TGID_Y_EN: 0
; COMPUTE_PGM_RSRC2:TGID_Z_EN: 0
; COMPUTE_PGM_RSRC2:TIDIG_COMP_CNT: 0
	.section	.text._ZN7rocprim17ROCPRIM_400000_NS6detail17trampoline_kernelINS0_14default_configENS1_27scan_by_key_config_selectorIxxEEZZNS1_16scan_by_key_implILNS1_25lookback_scan_determinismE0ELb0ES3_N6thrust23THRUST_200600_302600_NS6detail15normal_iteratorINS9_10device_ptrIxEEEESE_SE_xNS9_4plusIvEENS9_8equal_toIxEExEE10hipError_tPvRmT2_T3_T4_T5_mT6_T7_P12ihipStream_tbENKUlT_T0_E_clISt17integral_constantIbLb0EESY_IbLb1EEEEDaSU_SV_EUlSU_E_NS1_11comp_targetILNS1_3genE5ELNS1_11target_archE942ELNS1_3gpuE9ELNS1_3repE0EEENS1_30default_config_static_selectorELNS0_4arch9wavefront6targetE0EEEvT1_,"axG",@progbits,_ZN7rocprim17ROCPRIM_400000_NS6detail17trampoline_kernelINS0_14default_configENS1_27scan_by_key_config_selectorIxxEEZZNS1_16scan_by_key_implILNS1_25lookback_scan_determinismE0ELb0ES3_N6thrust23THRUST_200600_302600_NS6detail15normal_iteratorINS9_10device_ptrIxEEEESE_SE_xNS9_4plusIvEENS9_8equal_toIxEExEE10hipError_tPvRmT2_T3_T4_T5_mT6_T7_P12ihipStream_tbENKUlT_T0_E_clISt17integral_constantIbLb0EESY_IbLb1EEEEDaSU_SV_EUlSU_E_NS1_11comp_targetILNS1_3genE5ELNS1_11target_archE942ELNS1_3gpuE9ELNS1_3repE0EEENS1_30default_config_static_selectorELNS0_4arch9wavefront6targetE0EEEvT1_,comdat
	.protected	_ZN7rocprim17ROCPRIM_400000_NS6detail17trampoline_kernelINS0_14default_configENS1_27scan_by_key_config_selectorIxxEEZZNS1_16scan_by_key_implILNS1_25lookback_scan_determinismE0ELb0ES3_N6thrust23THRUST_200600_302600_NS6detail15normal_iteratorINS9_10device_ptrIxEEEESE_SE_xNS9_4plusIvEENS9_8equal_toIxEExEE10hipError_tPvRmT2_T3_T4_T5_mT6_T7_P12ihipStream_tbENKUlT_T0_E_clISt17integral_constantIbLb0EESY_IbLb1EEEEDaSU_SV_EUlSU_E_NS1_11comp_targetILNS1_3genE5ELNS1_11target_archE942ELNS1_3gpuE9ELNS1_3repE0EEENS1_30default_config_static_selectorELNS0_4arch9wavefront6targetE0EEEvT1_ ; -- Begin function _ZN7rocprim17ROCPRIM_400000_NS6detail17trampoline_kernelINS0_14default_configENS1_27scan_by_key_config_selectorIxxEEZZNS1_16scan_by_key_implILNS1_25lookback_scan_determinismE0ELb0ES3_N6thrust23THRUST_200600_302600_NS6detail15normal_iteratorINS9_10device_ptrIxEEEESE_SE_xNS9_4plusIvEENS9_8equal_toIxEExEE10hipError_tPvRmT2_T3_T4_T5_mT6_T7_P12ihipStream_tbENKUlT_T0_E_clISt17integral_constantIbLb0EESY_IbLb1EEEEDaSU_SV_EUlSU_E_NS1_11comp_targetILNS1_3genE5ELNS1_11target_archE942ELNS1_3gpuE9ELNS1_3repE0EEENS1_30default_config_static_selectorELNS0_4arch9wavefront6targetE0EEEvT1_
	.globl	_ZN7rocprim17ROCPRIM_400000_NS6detail17trampoline_kernelINS0_14default_configENS1_27scan_by_key_config_selectorIxxEEZZNS1_16scan_by_key_implILNS1_25lookback_scan_determinismE0ELb0ES3_N6thrust23THRUST_200600_302600_NS6detail15normal_iteratorINS9_10device_ptrIxEEEESE_SE_xNS9_4plusIvEENS9_8equal_toIxEExEE10hipError_tPvRmT2_T3_T4_T5_mT6_T7_P12ihipStream_tbENKUlT_T0_E_clISt17integral_constantIbLb0EESY_IbLb1EEEEDaSU_SV_EUlSU_E_NS1_11comp_targetILNS1_3genE5ELNS1_11target_archE942ELNS1_3gpuE9ELNS1_3repE0EEENS1_30default_config_static_selectorELNS0_4arch9wavefront6targetE0EEEvT1_
	.p2align	8
	.type	_ZN7rocprim17ROCPRIM_400000_NS6detail17trampoline_kernelINS0_14default_configENS1_27scan_by_key_config_selectorIxxEEZZNS1_16scan_by_key_implILNS1_25lookback_scan_determinismE0ELb0ES3_N6thrust23THRUST_200600_302600_NS6detail15normal_iteratorINS9_10device_ptrIxEEEESE_SE_xNS9_4plusIvEENS9_8equal_toIxEExEE10hipError_tPvRmT2_T3_T4_T5_mT6_T7_P12ihipStream_tbENKUlT_T0_E_clISt17integral_constantIbLb0EESY_IbLb1EEEEDaSU_SV_EUlSU_E_NS1_11comp_targetILNS1_3genE5ELNS1_11target_archE942ELNS1_3gpuE9ELNS1_3repE0EEENS1_30default_config_static_selectorELNS0_4arch9wavefront6targetE0EEEvT1_,@function
_ZN7rocprim17ROCPRIM_400000_NS6detail17trampoline_kernelINS0_14default_configENS1_27scan_by_key_config_selectorIxxEEZZNS1_16scan_by_key_implILNS1_25lookback_scan_determinismE0ELb0ES3_N6thrust23THRUST_200600_302600_NS6detail15normal_iteratorINS9_10device_ptrIxEEEESE_SE_xNS9_4plusIvEENS9_8equal_toIxEExEE10hipError_tPvRmT2_T3_T4_T5_mT6_T7_P12ihipStream_tbENKUlT_T0_E_clISt17integral_constantIbLb0EESY_IbLb1EEEEDaSU_SV_EUlSU_E_NS1_11comp_targetILNS1_3genE5ELNS1_11target_archE942ELNS1_3gpuE9ELNS1_3repE0EEENS1_30default_config_static_selectorELNS0_4arch9wavefront6targetE0EEEvT1_: ; @_ZN7rocprim17ROCPRIM_400000_NS6detail17trampoline_kernelINS0_14default_configENS1_27scan_by_key_config_selectorIxxEEZZNS1_16scan_by_key_implILNS1_25lookback_scan_determinismE0ELb0ES3_N6thrust23THRUST_200600_302600_NS6detail15normal_iteratorINS9_10device_ptrIxEEEESE_SE_xNS9_4plusIvEENS9_8equal_toIxEExEE10hipError_tPvRmT2_T3_T4_T5_mT6_T7_P12ihipStream_tbENKUlT_T0_E_clISt17integral_constantIbLb0EESY_IbLb1EEEEDaSU_SV_EUlSU_E_NS1_11comp_targetILNS1_3genE5ELNS1_11target_archE942ELNS1_3gpuE9ELNS1_3repE0EEENS1_30default_config_static_selectorELNS0_4arch9wavefront6targetE0EEEvT1_
; %bb.0:
	.section	.rodata,"a",@progbits
	.p2align	6, 0x0
	.amdhsa_kernel _ZN7rocprim17ROCPRIM_400000_NS6detail17trampoline_kernelINS0_14default_configENS1_27scan_by_key_config_selectorIxxEEZZNS1_16scan_by_key_implILNS1_25lookback_scan_determinismE0ELb0ES3_N6thrust23THRUST_200600_302600_NS6detail15normal_iteratorINS9_10device_ptrIxEEEESE_SE_xNS9_4plusIvEENS9_8equal_toIxEExEE10hipError_tPvRmT2_T3_T4_T5_mT6_T7_P12ihipStream_tbENKUlT_T0_E_clISt17integral_constantIbLb0EESY_IbLb1EEEEDaSU_SV_EUlSU_E_NS1_11comp_targetILNS1_3genE5ELNS1_11target_archE942ELNS1_3gpuE9ELNS1_3repE0EEENS1_30default_config_static_selectorELNS0_4arch9wavefront6targetE0EEEvT1_
		.amdhsa_group_segment_fixed_size 0
		.amdhsa_private_segment_fixed_size 0
		.amdhsa_kernarg_size 136
		.amdhsa_user_sgpr_count 6
		.amdhsa_user_sgpr_private_segment_buffer 1
		.amdhsa_user_sgpr_dispatch_ptr 0
		.amdhsa_user_sgpr_queue_ptr 0
		.amdhsa_user_sgpr_kernarg_segment_ptr 1
		.amdhsa_user_sgpr_dispatch_id 0
		.amdhsa_user_sgpr_flat_scratch_init 0
		.amdhsa_user_sgpr_private_segment_size 0
		.amdhsa_wavefront_size32 1
		.amdhsa_uses_dynamic_stack 0
		.amdhsa_system_sgpr_private_segment_wavefront_offset 0
		.amdhsa_system_sgpr_workgroup_id_x 1
		.amdhsa_system_sgpr_workgroup_id_y 0
		.amdhsa_system_sgpr_workgroup_id_z 0
		.amdhsa_system_sgpr_workgroup_info 0
		.amdhsa_system_vgpr_workitem_id 0
		.amdhsa_next_free_vgpr 1
		.amdhsa_next_free_sgpr 1
		.amdhsa_reserve_vcc 0
		.amdhsa_reserve_flat_scratch 0
		.amdhsa_float_round_mode_32 0
		.amdhsa_float_round_mode_16_64 0
		.amdhsa_float_denorm_mode_32 3
		.amdhsa_float_denorm_mode_16_64 3
		.amdhsa_dx10_clamp 1
		.amdhsa_ieee_mode 1
		.amdhsa_fp16_overflow 0
		.amdhsa_workgroup_processor_mode 1
		.amdhsa_memory_ordered 1
		.amdhsa_forward_progress 1
		.amdhsa_shared_vgpr_count 0
		.amdhsa_exception_fp_ieee_invalid_op 0
		.amdhsa_exception_fp_denorm_src 0
		.amdhsa_exception_fp_ieee_div_zero 0
		.amdhsa_exception_fp_ieee_overflow 0
		.amdhsa_exception_fp_ieee_underflow 0
		.amdhsa_exception_fp_ieee_inexact 0
		.amdhsa_exception_int_div_zero 0
	.end_amdhsa_kernel
	.section	.text._ZN7rocprim17ROCPRIM_400000_NS6detail17trampoline_kernelINS0_14default_configENS1_27scan_by_key_config_selectorIxxEEZZNS1_16scan_by_key_implILNS1_25lookback_scan_determinismE0ELb0ES3_N6thrust23THRUST_200600_302600_NS6detail15normal_iteratorINS9_10device_ptrIxEEEESE_SE_xNS9_4plusIvEENS9_8equal_toIxEExEE10hipError_tPvRmT2_T3_T4_T5_mT6_T7_P12ihipStream_tbENKUlT_T0_E_clISt17integral_constantIbLb0EESY_IbLb1EEEEDaSU_SV_EUlSU_E_NS1_11comp_targetILNS1_3genE5ELNS1_11target_archE942ELNS1_3gpuE9ELNS1_3repE0EEENS1_30default_config_static_selectorELNS0_4arch9wavefront6targetE0EEEvT1_,"axG",@progbits,_ZN7rocprim17ROCPRIM_400000_NS6detail17trampoline_kernelINS0_14default_configENS1_27scan_by_key_config_selectorIxxEEZZNS1_16scan_by_key_implILNS1_25lookback_scan_determinismE0ELb0ES3_N6thrust23THRUST_200600_302600_NS6detail15normal_iteratorINS9_10device_ptrIxEEEESE_SE_xNS9_4plusIvEENS9_8equal_toIxEExEE10hipError_tPvRmT2_T3_T4_T5_mT6_T7_P12ihipStream_tbENKUlT_T0_E_clISt17integral_constantIbLb0EESY_IbLb1EEEEDaSU_SV_EUlSU_E_NS1_11comp_targetILNS1_3genE5ELNS1_11target_archE942ELNS1_3gpuE9ELNS1_3repE0EEENS1_30default_config_static_selectorELNS0_4arch9wavefront6targetE0EEEvT1_,comdat
.Lfunc_end112:
	.size	_ZN7rocprim17ROCPRIM_400000_NS6detail17trampoline_kernelINS0_14default_configENS1_27scan_by_key_config_selectorIxxEEZZNS1_16scan_by_key_implILNS1_25lookback_scan_determinismE0ELb0ES3_N6thrust23THRUST_200600_302600_NS6detail15normal_iteratorINS9_10device_ptrIxEEEESE_SE_xNS9_4plusIvEENS9_8equal_toIxEExEE10hipError_tPvRmT2_T3_T4_T5_mT6_T7_P12ihipStream_tbENKUlT_T0_E_clISt17integral_constantIbLb0EESY_IbLb1EEEEDaSU_SV_EUlSU_E_NS1_11comp_targetILNS1_3genE5ELNS1_11target_archE942ELNS1_3gpuE9ELNS1_3repE0EEENS1_30default_config_static_selectorELNS0_4arch9wavefront6targetE0EEEvT1_, .Lfunc_end112-_ZN7rocprim17ROCPRIM_400000_NS6detail17trampoline_kernelINS0_14default_configENS1_27scan_by_key_config_selectorIxxEEZZNS1_16scan_by_key_implILNS1_25lookback_scan_determinismE0ELb0ES3_N6thrust23THRUST_200600_302600_NS6detail15normal_iteratorINS9_10device_ptrIxEEEESE_SE_xNS9_4plusIvEENS9_8equal_toIxEExEE10hipError_tPvRmT2_T3_T4_T5_mT6_T7_P12ihipStream_tbENKUlT_T0_E_clISt17integral_constantIbLb0EESY_IbLb1EEEEDaSU_SV_EUlSU_E_NS1_11comp_targetILNS1_3genE5ELNS1_11target_archE942ELNS1_3gpuE9ELNS1_3repE0EEENS1_30default_config_static_selectorELNS0_4arch9wavefront6targetE0EEEvT1_
                                        ; -- End function
	.set _ZN7rocprim17ROCPRIM_400000_NS6detail17trampoline_kernelINS0_14default_configENS1_27scan_by_key_config_selectorIxxEEZZNS1_16scan_by_key_implILNS1_25lookback_scan_determinismE0ELb0ES3_N6thrust23THRUST_200600_302600_NS6detail15normal_iteratorINS9_10device_ptrIxEEEESE_SE_xNS9_4plusIvEENS9_8equal_toIxEExEE10hipError_tPvRmT2_T3_T4_T5_mT6_T7_P12ihipStream_tbENKUlT_T0_E_clISt17integral_constantIbLb0EESY_IbLb1EEEEDaSU_SV_EUlSU_E_NS1_11comp_targetILNS1_3genE5ELNS1_11target_archE942ELNS1_3gpuE9ELNS1_3repE0EEENS1_30default_config_static_selectorELNS0_4arch9wavefront6targetE0EEEvT1_.num_vgpr, 0
	.set _ZN7rocprim17ROCPRIM_400000_NS6detail17trampoline_kernelINS0_14default_configENS1_27scan_by_key_config_selectorIxxEEZZNS1_16scan_by_key_implILNS1_25lookback_scan_determinismE0ELb0ES3_N6thrust23THRUST_200600_302600_NS6detail15normal_iteratorINS9_10device_ptrIxEEEESE_SE_xNS9_4plusIvEENS9_8equal_toIxEExEE10hipError_tPvRmT2_T3_T4_T5_mT6_T7_P12ihipStream_tbENKUlT_T0_E_clISt17integral_constantIbLb0EESY_IbLb1EEEEDaSU_SV_EUlSU_E_NS1_11comp_targetILNS1_3genE5ELNS1_11target_archE942ELNS1_3gpuE9ELNS1_3repE0EEENS1_30default_config_static_selectorELNS0_4arch9wavefront6targetE0EEEvT1_.num_agpr, 0
	.set _ZN7rocprim17ROCPRIM_400000_NS6detail17trampoline_kernelINS0_14default_configENS1_27scan_by_key_config_selectorIxxEEZZNS1_16scan_by_key_implILNS1_25lookback_scan_determinismE0ELb0ES3_N6thrust23THRUST_200600_302600_NS6detail15normal_iteratorINS9_10device_ptrIxEEEESE_SE_xNS9_4plusIvEENS9_8equal_toIxEExEE10hipError_tPvRmT2_T3_T4_T5_mT6_T7_P12ihipStream_tbENKUlT_T0_E_clISt17integral_constantIbLb0EESY_IbLb1EEEEDaSU_SV_EUlSU_E_NS1_11comp_targetILNS1_3genE5ELNS1_11target_archE942ELNS1_3gpuE9ELNS1_3repE0EEENS1_30default_config_static_selectorELNS0_4arch9wavefront6targetE0EEEvT1_.numbered_sgpr, 0
	.set _ZN7rocprim17ROCPRIM_400000_NS6detail17trampoline_kernelINS0_14default_configENS1_27scan_by_key_config_selectorIxxEEZZNS1_16scan_by_key_implILNS1_25lookback_scan_determinismE0ELb0ES3_N6thrust23THRUST_200600_302600_NS6detail15normal_iteratorINS9_10device_ptrIxEEEESE_SE_xNS9_4plusIvEENS9_8equal_toIxEExEE10hipError_tPvRmT2_T3_T4_T5_mT6_T7_P12ihipStream_tbENKUlT_T0_E_clISt17integral_constantIbLb0EESY_IbLb1EEEEDaSU_SV_EUlSU_E_NS1_11comp_targetILNS1_3genE5ELNS1_11target_archE942ELNS1_3gpuE9ELNS1_3repE0EEENS1_30default_config_static_selectorELNS0_4arch9wavefront6targetE0EEEvT1_.num_named_barrier, 0
	.set _ZN7rocprim17ROCPRIM_400000_NS6detail17trampoline_kernelINS0_14default_configENS1_27scan_by_key_config_selectorIxxEEZZNS1_16scan_by_key_implILNS1_25lookback_scan_determinismE0ELb0ES3_N6thrust23THRUST_200600_302600_NS6detail15normal_iteratorINS9_10device_ptrIxEEEESE_SE_xNS9_4plusIvEENS9_8equal_toIxEExEE10hipError_tPvRmT2_T3_T4_T5_mT6_T7_P12ihipStream_tbENKUlT_T0_E_clISt17integral_constantIbLb0EESY_IbLb1EEEEDaSU_SV_EUlSU_E_NS1_11comp_targetILNS1_3genE5ELNS1_11target_archE942ELNS1_3gpuE9ELNS1_3repE0EEENS1_30default_config_static_selectorELNS0_4arch9wavefront6targetE0EEEvT1_.private_seg_size, 0
	.set _ZN7rocprim17ROCPRIM_400000_NS6detail17trampoline_kernelINS0_14default_configENS1_27scan_by_key_config_selectorIxxEEZZNS1_16scan_by_key_implILNS1_25lookback_scan_determinismE0ELb0ES3_N6thrust23THRUST_200600_302600_NS6detail15normal_iteratorINS9_10device_ptrIxEEEESE_SE_xNS9_4plusIvEENS9_8equal_toIxEExEE10hipError_tPvRmT2_T3_T4_T5_mT6_T7_P12ihipStream_tbENKUlT_T0_E_clISt17integral_constantIbLb0EESY_IbLb1EEEEDaSU_SV_EUlSU_E_NS1_11comp_targetILNS1_3genE5ELNS1_11target_archE942ELNS1_3gpuE9ELNS1_3repE0EEENS1_30default_config_static_selectorELNS0_4arch9wavefront6targetE0EEEvT1_.uses_vcc, 0
	.set _ZN7rocprim17ROCPRIM_400000_NS6detail17trampoline_kernelINS0_14default_configENS1_27scan_by_key_config_selectorIxxEEZZNS1_16scan_by_key_implILNS1_25lookback_scan_determinismE0ELb0ES3_N6thrust23THRUST_200600_302600_NS6detail15normal_iteratorINS9_10device_ptrIxEEEESE_SE_xNS9_4plusIvEENS9_8equal_toIxEExEE10hipError_tPvRmT2_T3_T4_T5_mT6_T7_P12ihipStream_tbENKUlT_T0_E_clISt17integral_constantIbLb0EESY_IbLb1EEEEDaSU_SV_EUlSU_E_NS1_11comp_targetILNS1_3genE5ELNS1_11target_archE942ELNS1_3gpuE9ELNS1_3repE0EEENS1_30default_config_static_selectorELNS0_4arch9wavefront6targetE0EEEvT1_.uses_flat_scratch, 0
	.set _ZN7rocprim17ROCPRIM_400000_NS6detail17trampoline_kernelINS0_14default_configENS1_27scan_by_key_config_selectorIxxEEZZNS1_16scan_by_key_implILNS1_25lookback_scan_determinismE0ELb0ES3_N6thrust23THRUST_200600_302600_NS6detail15normal_iteratorINS9_10device_ptrIxEEEESE_SE_xNS9_4plusIvEENS9_8equal_toIxEExEE10hipError_tPvRmT2_T3_T4_T5_mT6_T7_P12ihipStream_tbENKUlT_T0_E_clISt17integral_constantIbLb0EESY_IbLb1EEEEDaSU_SV_EUlSU_E_NS1_11comp_targetILNS1_3genE5ELNS1_11target_archE942ELNS1_3gpuE9ELNS1_3repE0EEENS1_30default_config_static_selectorELNS0_4arch9wavefront6targetE0EEEvT1_.has_dyn_sized_stack, 0
	.set _ZN7rocprim17ROCPRIM_400000_NS6detail17trampoline_kernelINS0_14default_configENS1_27scan_by_key_config_selectorIxxEEZZNS1_16scan_by_key_implILNS1_25lookback_scan_determinismE0ELb0ES3_N6thrust23THRUST_200600_302600_NS6detail15normal_iteratorINS9_10device_ptrIxEEEESE_SE_xNS9_4plusIvEENS9_8equal_toIxEExEE10hipError_tPvRmT2_T3_T4_T5_mT6_T7_P12ihipStream_tbENKUlT_T0_E_clISt17integral_constantIbLb0EESY_IbLb1EEEEDaSU_SV_EUlSU_E_NS1_11comp_targetILNS1_3genE5ELNS1_11target_archE942ELNS1_3gpuE9ELNS1_3repE0EEENS1_30default_config_static_selectorELNS0_4arch9wavefront6targetE0EEEvT1_.has_recursion, 0
	.set _ZN7rocprim17ROCPRIM_400000_NS6detail17trampoline_kernelINS0_14default_configENS1_27scan_by_key_config_selectorIxxEEZZNS1_16scan_by_key_implILNS1_25lookback_scan_determinismE0ELb0ES3_N6thrust23THRUST_200600_302600_NS6detail15normal_iteratorINS9_10device_ptrIxEEEESE_SE_xNS9_4plusIvEENS9_8equal_toIxEExEE10hipError_tPvRmT2_T3_T4_T5_mT6_T7_P12ihipStream_tbENKUlT_T0_E_clISt17integral_constantIbLb0EESY_IbLb1EEEEDaSU_SV_EUlSU_E_NS1_11comp_targetILNS1_3genE5ELNS1_11target_archE942ELNS1_3gpuE9ELNS1_3repE0EEENS1_30default_config_static_selectorELNS0_4arch9wavefront6targetE0EEEvT1_.has_indirect_call, 0
	.section	.AMDGPU.csdata,"",@progbits
; Kernel info:
; codeLenInByte = 0
; TotalNumSgprs: 0
; NumVgprs: 0
; ScratchSize: 0
; MemoryBound: 0
; FloatMode: 240
; IeeeMode: 1
; LDSByteSize: 0 bytes/workgroup (compile time only)
; SGPRBlocks: 0
; VGPRBlocks: 0
; NumSGPRsForWavesPerEU: 1
; NumVGPRsForWavesPerEU: 1
; Occupancy: 16
; WaveLimiterHint : 0
; COMPUTE_PGM_RSRC2:SCRATCH_EN: 0
; COMPUTE_PGM_RSRC2:USER_SGPR: 6
; COMPUTE_PGM_RSRC2:TRAP_HANDLER: 0
; COMPUTE_PGM_RSRC2:TGID_X_EN: 1
; COMPUTE_PGM_RSRC2:TGID_Y_EN: 0
; COMPUTE_PGM_RSRC2:TGID_Z_EN: 0
; COMPUTE_PGM_RSRC2:TIDIG_COMP_CNT: 0
	.section	.text._ZN7rocprim17ROCPRIM_400000_NS6detail17trampoline_kernelINS0_14default_configENS1_27scan_by_key_config_selectorIxxEEZZNS1_16scan_by_key_implILNS1_25lookback_scan_determinismE0ELb0ES3_N6thrust23THRUST_200600_302600_NS6detail15normal_iteratorINS9_10device_ptrIxEEEESE_SE_xNS9_4plusIvEENS9_8equal_toIxEExEE10hipError_tPvRmT2_T3_T4_T5_mT6_T7_P12ihipStream_tbENKUlT_T0_E_clISt17integral_constantIbLb0EESY_IbLb1EEEEDaSU_SV_EUlSU_E_NS1_11comp_targetILNS1_3genE4ELNS1_11target_archE910ELNS1_3gpuE8ELNS1_3repE0EEENS1_30default_config_static_selectorELNS0_4arch9wavefront6targetE0EEEvT1_,"axG",@progbits,_ZN7rocprim17ROCPRIM_400000_NS6detail17trampoline_kernelINS0_14default_configENS1_27scan_by_key_config_selectorIxxEEZZNS1_16scan_by_key_implILNS1_25lookback_scan_determinismE0ELb0ES3_N6thrust23THRUST_200600_302600_NS6detail15normal_iteratorINS9_10device_ptrIxEEEESE_SE_xNS9_4plusIvEENS9_8equal_toIxEExEE10hipError_tPvRmT2_T3_T4_T5_mT6_T7_P12ihipStream_tbENKUlT_T0_E_clISt17integral_constantIbLb0EESY_IbLb1EEEEDaSU_SV_EUlSU_E_NS1_11comp_targetILNS1_3genE4ELNS1_11target_archE910ELNS1_3gpuE8ELNS1_3repE0EEENS1_30default_config_static_selectorELNS0_4arch9wavefront6targetE0EEEvT1_,comdat
	.protected	_ZN7rocprim17ROCPRIM_400000_NS6detail17trampoline_kernelINS0_14default_configENS1_27scan_by_key_config_selectorIxxEEZZNS1_16scan_by_key_implILNS1_25lookback_scan_determinismE0ELb0ES3_N6thrust23THRUST_200600_302600_NS6detail15normal_iteratorINS9_10device_ptrIxEEEESE_SE_xNS9_4plusIvEENS9_8equal_toIxEExEE10hipError_tPvRmT2_T3_T4_T5_mT6_T7_P12ihipStream_tbENKUlT_T0_E_clISt17integral_constantIbLb0EESY_IbLb1EEEEDaSU_SV_EUlSU_E_NS1_11comp_targetILNS1_3genE4ELNS1_11target_archE910ELNS1_3gpuE8ELNS1_3repE0EEENS1_30default_config_static_selectorELNS0_4arch9wavefront6targetE0EEEvT1_ ; -- Begin function _ZN7rocprim17ROCPRIM_400000_NS6detail17trampoline_kernelINS0_14default_configENS1_27scan_by_key_config_selectorIxxEEZZNS1_16scan_by_key_implILNS1_25lookback_scan_determinismE0ELb0ES3_N6thrust23THRUST_200600_302600_NS6detail15normal_iteratorINS9_10device_ptrIxEEEESE_SE_xNS9_4plusIvEENS9_8equal_toIxEExEE10hipError_tPvRmT2_T3_T4_T5_mT6_T7_P12ihipStream_tbENKUlT_T0_E_clISt17integral_constantIbLb0EESY_IbLb1EEEEDaSU_SV_EUlSU_E_NS1_11comp_targetILNS1_3genE4ELNS1_11target_archE910ELNS1_3gpuE8ELNS1_3repE0EEENS1_30default_config_static_selectorELNS0_4arch9wavefront6targetE0EEEvT1_
	.globl	_ZN7rocprim17ROCPRIM_400000_NS6detail17trampoline_kernelINS0_14default_configENS1_27scan_by_key_config_selectorIxxEEZZNS1_16scan_by_key_implILNS1_25lookback_scan_determinismE0ELb0ES3_N6thrust23THRUST_200600_302600_NS6detail15normal_iteratorINS9_10device_ptrIxEEEESE_SE_xNS9_4plusIvEENS9_8equal_toIxEExEE10hipError_tPvRmT2_T3_T4_T5_mT6_T7_P12ihipStream_tbENKUlT_T0_E_clISt17integral_constantIbLb0EESY_IbLb1EEEEDaSU_SV_EUlSU_E_NS1_11comp_targetILNS1_3genE4ELNS1_11target_archE910ELNS1_3gpuE8ELNS1_3repE0EEENS1_30default_config_static_selectorELNS0_4arch9wavefront6targetE0EEEvT1_
	.p2align	8
	.type	_ZN7rocprim17ROCPRIM_400000_NS6detail17trampoline_kernelINS0_14default_configENS1_27scan_by_key_config_selectorIxxEEZZNS1_16scan_by_key_implILNS1_25lookback_scan_determinismE0ELb0ES3_N6thrust23THRUST_200600_302600_NS6detail15normal_iteratorINS9_10device_ptrIxEEEESE_SE_xNS9_4plusIvEENS9_8equal_toIxEExEE10hipError_tPvRmT2_T3_T4_T5_mT6_T7_P12ihipStream_tbENKUlT_T0_E_clISt17integral_constantIbLb0EESY_IbLb1EEEEDaSU_SV_EUlSU_E_NS1_11comp_targetILNS1_3genE4ELNS1_11target_archE910ELNS1_3gpuE8ELNS1_3repE0EEENS1_30default_config_static_selectorELNS0_4arch9wavefront6targetE0EEEvT1_,@function
_ZN7rocprim17ROCPRIM_400000_NS6detail17trampoline_kernelINS0_14default_configENS1_27scan_by_key_config_selectorIxxEEZZNS1_16scan_by_key_implILNS1_25lookback_scan_determinismE0ELb0ES3_N6thrust23THRUST_200600_302600_NS6detail15normal_iteratorINS9_10device_ptrIxEEEESE_SE_xNS9_4plusIvEENS9_8equal_toIxEExEE10hipError_tPvRmT2_T3_T4_T5_mT6_T7_P12ihipStream_tbENKUlT_T0_E_clISt17integral_constantIbLb0EESY_IbLb1EEEEDaSU_SV_EUlSU_E_NS1_11comp_targetILNS1_3genE4ELNS1_11target_archE910ELNS1_3gpuE8ELNS1_3repE0EEENS1_30default_config_static_selectorELNS0_4arch9wavefront6targetE0EEEvT1_: ; @_ZN7rocprim17ROCPRIM_400000_NS6detail17trampoline_kernelINS0_14default_configENS1_27scan_by_key_config_selectorIxxEEZZNS1_16scan_by_key_implILNS1_25lookback_scan_determinismE0ELb0ES3_N6thrust23THRUST_200600_302600_NS6detail15normal_iteratorINS9_10device_ptrIxEEEESE_SE_xNS9_4plusIvEENS9_8equal_toIxEExEE10hipError_tPvRmT2_T3_T4_T5_mT6_T7_P12ihipStream_tbENKUlT_T0_E_clISt17integral_constantIbLb0EESY_IbLb1EEEEDaSU_SV_EUlSU_E_NS1_11comp_targetILNS1_3genE4ELNS1_11target_archE910ELNS1_3gpuE8ELNS1_3repE0EEENS1_30default_config_static_selectorELNS0_4arch9wavefront6targetE0EEEvT1_
; %bb.0:
	.section	.rodata,"a",@progbits
	.p2align	6, 0x0
	.amdhsa_kernel _ZN7rocprim17ROCPRIM_400000_NS6detail17trampoline_kernelINS0_14default_configENS1_27scan_by_key_config_selectorIxxEEZZNS1_16scan_by_key_implILNS1_25lookback_scan_determinismE0ELb0ES3_N6thrust23THRUST_200600_302600_NS6detail15normal_iteratorINS9_10device_ptrIxEEEESE_SE_xNS9_4plusIvEENS9_8equal_toIxEExEE10hipError_tPvRmT2_T3_T4_T5_mT6_T7_P12ihipStream_tbENKUlT_T0_E_clISt17integral_constantIbLb0EESY_IbLb1EEEEDaSU_SV_EUlSU_E_NS1_11comp_targetILNS1_3genE4ELNS1_11target_archE910ELNS1_3gpuE8ELNS1_3repE0EEENS1_30default_config_static_selectorELNS0_4arch9wavefront6targetE0EEEvT1_
		.amdhsa_group_segment_fixed_size 0
		.amdhsa_private_segment_fixed_size 0
		.amdhsa_kernarg_size 136
		.amdhsa_user_sgpr_count 6
		.amdhsa_user_sgpr_private_segment_buffer 1
		.amdhsa_user_sgpr_dispatch_ptr 0
		.amdhsa_user_sgpr_queue_ptr 0
		.amdhsa_user_sgpr_kernarg_segment_ptr 1
		.amdhsa_user_sgpr_dispatch_id 0
		.amdhsa_user_sgpr_flat_scratch_init 0
		.amdhsa_user_sgpr_private_segment_size 0
		.amdhsa_wavefront_size32 1
		.amdhsa_uses_dynamic_stack 0
		.amdhsa_system_sgpr_private_segment_wavefront_offset 0
		.amdhsa_system_sgpr_workgroup_id_x 1
		.amdhsa_system_sgpr_workgroup_id_y 0
		.amdhsa_system_sgpr_workgroup_id_z 0
		.amdhsa_system_sgpr_workgroup_info 0
		.amdhsa_system_vgpr_workitem_id 0
		.amdhsa_next_free_vgpr 1
		.amdhsa_next_free_sgpr 1
		.amdhsa_reserve_vcc 0
		.amdhsa_reserve_flat_scratch 0
		.amdhsa_float_round_mode_32 0
		.amdhsa_float_round_mode_16_64 0
		.amdhsa_float_denorm_mode_32 3
		.amdhsa_float_denorm_mode_16_64 3
		.amdhsa_dx10_clamp 1
		.amdhsa_ieee_mode 1
		.amdhsa_fp16_overflow 0
		.amdhsa_workgroup_processor_mode 1
		.amdhsa_memory_ordered 1
		.amdhsa_forward_progress 1
		.amdhsa_shared_vgpr_count 0
		.amdhsa_exception_fp_ieee_invalid_op 0
		.amdhsa_exception_fp_denorm_src 0
		.amdhsa_exception_fp_ieee_div_zero 0
		.amdhsa_exception_fp_ieee_overflow 0
		.amdhsa_exception_fp_ieee_underflow 0
		.amdhsa_exception_fp_ieee_inexact 0
		.amdhsa_exception_int_div_zero 0
	.end_amdhsa_kernel
	.section	.text._ZN7rocprim17ROCPRIM_400000_NS6detail17trampoline_kernelINS0_14default_configENS1_27scan_by_key_config_selectorIxxEEZZNS1_16scan_by_key_implILNS1_25lookback_scan_determinismE0ELb0ES3_N6thrust23THRUST_200600_302600_NS6detail15normal_iteratorINS9_10device_ptrIxEEEESE_SE_xNS9_4plusIvEENS9_8equal_toIxEExEE10hipError_tPvRmT2_T3_T4_T5_mT6_T7_P12ihipStream_tbENKUlT_T0_E_clISt17integral_constantIbLb0EESY_IbLb1EEEEDaSU_SV_EUlSU_E_NS1_11comp_targetILNS1_3genE4ELNS1_11target_archE910ELNS1_3gpuE8ELNS1_3repE0EEENS1_30default_config_static_selectorELNS0_4arch9wavefront6targetE0EEEvT1_,"axG",@progbits,_ZN7rocprim17ROCPRIM_400000_NS6detail17trampoline_kernelINS0_14default_configENS1_27scan_by_key_config_selectorIxxEEZZNS1_16scan_by_key_implILNS1_25lookback_scan_determinismE0ELb0ES3_N6thrust23THRUST_200600_302600_NS6detail15normal_iteratorINS9_10device_ptrIxEEEESE_SE_xNS9_4plusIvEENS9_8equal_toIxEExEE10hipError_tPvRmT2_T3_T4_T5_mT6_T7_P12ihipStream_tbENKUlT_T0_E_clISt17integral_constantIbLb0EESY_IbLb1EEEEDaSU_SV_EUlSU_E_NS1_11comp_targetILNS1_3genE4ELNS1_11target_archE910ELNS1_3gpuE8ELNS1_3repE0EEENS1_30default_config_static_selectorELNS0_4arch9wavefront6targetE0EEEvT1_,comdat
.Lfunc_end113:
	.size	_ZN7rocprim17ROCPRIM_400000_NS6detail17trampoline_kernelINS0_14default_configENS1_27scan_by_key_config_selectorIxxEEZZNS1_16scan_by_key_implILNS1_25lookback_scan_determinismE0ELb0ES3_N6thrust23THRUST_200600_302600_NS6detail15normal_iteratorINS9_10device_ptrIxEEEESE_SE_xNS9_4plusIvEENS9_8equal_toIxEExEE10hipError_tPvRmT2_T3_T4_T5_mT6_T7_P12ihipStream_tbENKUlT_T0_E_clISt17integral_constantIbLb0EESY_IbLb1EEEEDaSU_SV_EUlSU_E_NS1_11comp_targetILNS1_3genE4ELNS1_11target_archE910ELNS1_3gpuE8ELNS1_3repE0EEENS1_30default_config_static_selectorELNS0_4arch9wavefront6targetE0EEEvT1_, .Lfunc_end113-_ZN7rocprim17ROCPRIM_400000_NS6detail17trampoline_kernelINS0_14default_configENS1_27scan_by_key_config_selectorIxxEEZZNS1_16scan_by_key_implILNS1_25lookback_scan_determinismE0ELb0ES3_N6thrust23THRUST_200600_302600_NS6detail15normal_iteratorINS9_10device_ptrIxEEEESE_SE_xNS9_4plusIvEENS9_8equal_toIxEExEE10hipError_tPvRmT2_T3_T4_T5_mT6_T7_P12ihipStream_tbENKUlT_T0_E_clISt17integral_constantIbLb0EESY_IbLb1EEEEDaSU_SV_EUlSU_E_NS1_11comp_targetILNS1_3genE4ELNS1_11target_archE910ELNS1_3gpuE8ELNS1_3repE0EEENS1_30default_config_static_selectorELNS0_4arch9wavefront6targetE0EEEvT1_
                                        ; -- End function
	.set _ZN7rocprim17ROCPRIM_400000_NS6detail17trampoline_kernelINS0_14default_configENS1_27scan_by_key_config_selectorIxxEEZZNS1_16scan_by_key_implILNS1_25lookback_scan_determinismE0ELb0ES3_N6thrust23THRUST_200600_302600_NS6detail15normal_iteratorINS9_10device_ptrIxEEEESE_SE_xNS9_4plusIvEENS9_8equal_toIxEExEE10hipError_tPvRmT2_T3_T4_T5_mT6_T7_P12ihipStream_tbENKUlT_T0_E_clISt17integral_constantIbLb0EESY_IbLb1EEEEDaSU_SV_EUlSU_E_NS1_11comp_targetILNS1_3genE4ELNS1_11target_archE910ELNS1_3gpuE8ELNS1_3repE0EEENS1_30default_config_static_selectorELNS0_4arch9wavefront6targetE0EEEvT1_.num_vgpr, 0
	.set _ZN7rocprim17ROCPRIM_400000_NS6detail17trampoline_kernelINS0_14default_configENS1_27scan_by_key_config_selectorIxxEEZZNS1_16scan_by_key_implILNS1_25lookback_scan_determinismE0ELb0ES3_N6thrust23THRUST_200600_302600_NS6detail15normal_iteratorINS9_10device_ptrIxEEEESE_SE_xNS9_4plusIvEENS9_8equal_toIxEExEE10hipError_tPvRmT2_T3_T4_T5_mT6_T7_P12ihipStream_tbENKUlT_T0_E_clISt17integral_constantIbLb0EESY_IbLb1EEEEDaSU_SV_EUlSU_E_NS1_11comp_targetILNS1_3genE4ELNS1_11target_archE910ELNS1_3gpuE8ELNS1_3repE0EEENS1_30default_config_static_selectorELNS0_4arch9wavefront6targetE0EEEvT1_.num_agpr, 0
	.set _ZN7rocprim17ROCPRIM_400000_NS6detail17trampoline_kernelINS0_14default_configENS1_27scan_by_key_config_selectorIxxEEZZNS1_16scan_by_key_implILNS1_25lookback_scan_determinismE0ELb0ES3_N6thrust23THRUST_200600_302600_NS6detail15normal_iteratorINS9_10device_ptrIxEEEESE_SE_xNS9_4plusIvEENS9_8equal_toIxEExEE10hipError_tPvRmT2_T3_T4_T5_mT6_T7_P12ihipStream_tbENKUlT_T0_E_clISt17integral_constantIbLb0EESY_IbLb1EEEEDaSU_SV_EUlSU_E_NS1_11comp_targetILNS1_3genE4ELNS1_11target_archE910ELNS1_3gpuE8ELNS1_3repE0EEENS1_30default_config_static_selectorELNS0_4arch9wavefront6targetE0EEEvT1_.numbered_sgpr, 0
	.set _ZN7rocprim17ROCPRIM_400000_NS6detail17trampoline_kernelINS0_14default_configENS1_27scan_by_key_config_selectorIxxEEZZNS1_16scan_by_key_implILNS1_25lookback_scan_determinismE0ELb0ES3_N6thrust23THRUST_200600_302600_NS6detail15normal_iteratorINS9_10device_ptrIxEEEESE_SE_xNS9_4plusIvEENS9_8equal_toIxEExEE10hipError_tPvRmT2_T3_T4_T5_mT6_T7_P12ihipStream_tbENKUlT_T0_E_clISt17integral_constantIbLb0EESY_IbLb1EEEEDaSU_SV_EUlSU_E_NS1_11comp_targetILNS1_3genE4ELNS1_11target_archE910ELNS1_3gpuE8ELNS1_3repE0EEENS1_30default_config_static_selectorELNS0_4arch9wavefront6targetE0EEEvT1_.num_named_barrier, 0
	.set _ZN7rocprim17ROCPRIM_400000_NS6detail17trampoline_kernelINS0_14default_configENS1_27scan_by_key_config_selectorIxxEEZZNS1_16scan_by_key_implILNS1_25lookback_scan_determinismE0ELb0ES3_N6thrust23THRUST_200600_302600_NS6detail15normal_iteratorINS9_10device_ptrIxEEEESE_SE_xNS9_4plusIvEENS9_8equal_toIxEExEE10hipError_tPvRmT2_T3_T4_T5_mT6_T7_P12ihipStream_tbENKUlT_T0_E_clISt17integral_constantIbLb0EESY_IbLb1EEEEDaSU_SV_EUlSU_E_NS1_11comp_targetILNS1_3genE4ELNS1_11target_archE910ELNS1_3gpuE8ELNS1_3repE0EEENS1_30default_config_static_selectorELNS0_4arch9wavefront6targetE0EEEvT1_.private_seg_size, 0
	.set _ZN7rocprim17ROCPRIM_400000_NS6detail17trampoline_kernelINS0_14default_configENS1_27scan_by_key_config_selectorIxxEEZZNS1_16scan_by_key_implILNS1_25lookback_scan_determinismE0ELb0ES3_N6thrust23THRUST_200600_302600_NS6detail15normal_iteratorINS9_10device_ptrIxEEEESE_SE_xNS9_4plusIvEENS9_8equal_toIxEExEE10hipError_tPvRmT2_T3_T4_T5_mT6_T7_P12ihipStream_tbENKUlT_T0_E_clISt17integral_constantIbLb0EESY_IbLb1EEEEDaSU_SV_EUlSU_E_NS1_11comp_targetILNS1_3genE4ELNS1_11target_archE910ELNS1_3gpuE8ELNS1_3repE0EEENS1_30default_config_static_selectorELNS0_4arch9wavefront6targetE0EEEvT1_.uses_vcc, 0
	.set _ZN7rocprim17ROCPRIM_400000_NS6detail17trampoline_kernelINS0_14default_configENS1_27scan_by_key_config_selectorIxxEEZZNS1_16scan_by_key_implILNS1_25lookback_scan_determinismE0ELb0ES3_N6thrust23THRUST_200600_302600_NS6detail15normal_iteratorINS9_10device_ptrIxEEEESE_SE_xNS9_4plusIvEENS9_8equal_toIxEExEE10hipError_tPvRmT2_T3_T4_T5_mT6_T7_P12ihipStream_tbENKUlT_T0_E_clISt17integral_constantIbLb0EESY_IbLb1EEEEDaSU_SV_EUlSU_E_NS1_11comp_targetILNS1_3genE4ELNS1_11target_archE910ELNS1_3gpuE8ELNS1_3repE0EEENS1_30default_config_static_selectorELNS0_4arch9wavefront6targetE0EEEvT1_.uses_flat_scratch, 0
	.set _ZN7rocprim17ROCPRIM_400000_NS6detail17trampoline_kernelINS0_14default_configENS1_27scan_by_key_config_selectorIxxEEZZNS1_16scan_by_key_implILNS1_25lookback_scan_determinismE0ELb0ES3_N6thrust23THRUST_200600_302600_NS6detail15normal_iteratorINS9_10device_ptrIxEEEESE_SE_xNS9_4plusIvEENS9_8equal_toIxEExEE10hipError_tPvRmT2_T3_T4_T5_mT6_T7_P12ihipStream_tbENKUlT_T0_E_clISt17integral_constantIbLb0EESY_IbLb1EEEEDaSU_SV_EUlSU_E_NS1_11comp_targetILNS1_3genE4ELNS1_11target_archE910ELNS1_3gpuE8ELNS1_3repE0EEENS1_30default_config_static_selectorELNS0_4arch9wavefront6targetE0EEEvT1_.has_dyn_sized_stack, 0
	.set _ZN7rocprim17ROCPRIM_400000_NS6detail17trampoline_kernelINS0_14default_configENS1_27scan_by_key_config_selectorIxxEEZZNS1_16scan_by_key_implILNS1_25lookback_scan_determinismE0ELb0ES3_N6thrust23THRUST_200600_302600_NS6detail15normal_iteratorINS9_10device_ptrIxEEEESE_SE_xNS9_4plusIvEENS9_8equal_toIxEExEE10hipError_tPvRmT2_T3_T4_T5_mT6_T7_P12ihipStream_tbENKUlT_T0_E_clISt17integral_constantIbLb0EESY_IbLb1EEEEDaSU_SV_EUlSU_E_NS1_11comp_targetILNS1_3genE4ELNS1_11target_archE910ELNS1_3gpuE8ELNS1_3repE0EEENS1_30default_config_static_selectorELNS0_4arch9wavefront6targetE0EEEvT1_.has_recursion, 0
	.set _ZN7rocprim17ROCPRIM_400000_NS6detail17trampoline_kernelINS0_14default_configENS1_27scan_by_key_config_selectorIxxEEZZNS1_16scan_by_key_implILNS1_25lookback_scan_determinismE0ELb0ES3_N6thrust23THRUST_200600_302600_NS6detail15normal_iteratorINS9_10device_ptrIxEEEESE_SE_xNS9_4plusIvEENS9_8equal_toIxEExEE10hipError_tPvRmT2_T3_T4_T5_mT6_T7_P12ihipStream_tbENKUlT_T0_E_clISt17integral_constantIbLb0EESY_IbLb1EEEEDaSU_SV_EUlSU_E_NS1_11comp_targetILNS1_3genE4ELNS1_11target_archE910ELNS1_3gpuE8ELNS1_3repE0EEENS1_30default_config_static_selectorELNS0_4arch9wavefront6targetE0EEEvT1_.has_indirect_call, 0
	.section	.AMDGPU.csdata,"",@progbits
; Kernel info:
; codeLenInByte = 0
; TotalNumSgprs: 0
; NumVgprs: 0
; ScratchSize: 0
; MemoryBound: 0
; FloatMode: 240
; IeeeMode: 1
; LDSByteSize: 0 bytes/workgroup (compile time only)
; SGPRBlocks: 0
; VGPRBlocks: 0
; NumSGPRsForWavesPerEU: 1
; NumVGPRsForWavesPerEU: 1
; Occupancy: 16
; WaveLimiterHint : 0
; COMPUTE_PGM_RSRC2:SCRATCH_EN: 0
; COMPUTE_PGM_RSRC2:USER_SGPR: 6
; COMPUTE_PGM_RSRC2:TRAP_HANDLER: 0
; COMPUTE_PGM_RSRC2:TGID_X_EN: 1
; COMPUTE_PGM_RSRC2:TGID_Y_EN: 0
; COMPUTE_PGM_RSRC2:TGID_Z_EN: 0
; COMPUTE_PGM_RSRC2:TIDIG_COMP_CNT: 0
	.section	.text._ZN7rocprim17ROCPRIM_400000_NS6detail17trampoline_kernelINS0_14default_configENS1_27scan_by_key_config_selectorIxxEEZZNS1_16scan_by_key_implILNS1_25lookback_scan_determinismE0ELb0ES3_N6thrust23THRUST_200600_302600_NS6detail15normal_iteratorINS9_10device_ptrIxEEEESE_SE_xNS9_4plusIvEENS9_8equal_toIxEExEE10hipError_tPvRmT2_T3_T4_T5_mT6_T7_P12ihipStream_tbENKUlT_T0_E_clISt17integral_constantIbLb0EESY_IbLb1EEEEDaSU_SV_EUlSU_E_NS1_11comp_targetILNS1_3genE3ELNS1_11target_archE908ELNS1_3gpuE7ELNS1_3repE0EEENS1_30default_config_static_selectorELNS0_4arch9wavefront6targetE0EEEvT1_,"axG",@progbits,_ZN7rocprim17ROCPRIM_400000_NS6detail17trampoline_kernelINS0_14default_configENS1_27scan_by_key_config_selectorIxxEEZZNS1_16scan_by_key_implILNS1_25lookback_scan_determinismE0ELb0ES3_N6thrust23THRUST_200600_302600_NS6detail15normal_iteratorINS9_10device_ptrIxEEEESE_SE_xNS9_4plusIvEENS9_8equal_toIxEExEE10hipError_tPvRmT2_T3_T4_T5_mT6_T7_P12ihipStream_tbENKUlT_T0_E_clISt17integral_constantIbLb0EESY_IbLb1EEEEDaSU_SV_EUlSU_E_NS1_11comp_targetILNS1_3genE3ELNS1_11target_archE908ELNS1_3gpuE7ELNS1_3repE0EEENS1_30default_config_static_selectorELNS0_4arch9wavefront6targetE0EEEvT1_,comdat
	.protected	_ZN7rocprim17ROCPRIM_400000_NS6detail17trampoline_kernelINS0_14default_configENS1_27scan_by_key_config_selectorIxxEEZZNS1_16scan_by_key_implILNS1_25lookback_scan_determinismE0ELb0ES3_N6thrust23THRUST_200600_302600_NS6detail15normal_iteratorINS9_10device_ptrIxEEEESE_SE_xNS9_4plusIvEENS9_8equal_toIxEExEE10hipError_tPvRmT2_T3_T4_T5_mT6_T7_P12ihipStream_tbENKUlT_T0_E_clISt17integral_constantIbLb0EESY_IbLb1EEEEDaSU_SV_EUlSU_E_NS1_11comp_targetILNS1_3genE3ELNS1_11target_archE908ELNS1_3gpuE7ELNS1_3repE0EEENS1_30default_config_static_selectorELNS0_4arch9wavefront6targetE0EEEvT1_ ; -- Begin function _ZN7rocprim17ROCPRIM_400000_NS6detail17trampoline_kernelINS0_14default_configENS1_27scan_by_key_config_selectorIxxEEZZNS1_16scan_by_key_implILNS1_25lookback_scan_determinismE0ELb0ES3_N6thrust23THRUST_200600_302600_NS6detail15normal_iteratorINS9_10device_ptrIxEEEESE_SE_xNS9_4plusIvEENS9_8equal_toIxEExEE10hipError_tPvRmT2_T3_T4_T5_mT6_T7_P12ihipStream_tbENKUlT_T0_E_clISt17integral_constantIbLb0EESY_IbLb1EEEEDaSU_SV_EUlSU_E_NS1_11comp_targetILNS1_3genE3ELNS1_11target_archE908ELNS1_3gpuE7ELNS1_3repE0EEENS1_30default_config_static_selectorELNS0_4arch9wavefront6targetE0EEEvT1_
	.globl	_ZN7rocprim17ROCPRIM_400000_NS6detail17trampoline_kernelINS0_14default_configENS1_27scan_by_key_config_selectorIxxEEZZNS1_16scan_by_key_implILNS1_25lookback_scan_determinismE0ELb0ES3_N6thrust23THRUST_200600_302600_NS6detail15normal_iteratorINS9_10device_ptrIxEEEESE_SE_xNS9_4plusIvEENS9_8equal_toIxEExEE10hipError_tPvRmT2_T3_T4_T5_mT6_T7_P12ihipStream_tbENKUlT_T0_E_clISt17integral_constantIbLb0EESY_IbLb1EEEEDaSU_SV_EUlSU_E_NS1_11comp_targetILNS1_3genE3ELNS1_11target_archE908ELNS1_3gpuE7ELNS1_3repE0EEENS1_30default_config_static_selectorELNS0_4arch9wavefront6targetE0EEEvT1_
	.p2align	8
	.type	_ZN7rocprim17ROCPRIM_400000_NS6detail17trampoline_kernelINS0_14default_configENS1_27scan_by_key_config_selectorIxxEEZZNS1_16scan_by_key_implILNS1_25lookback_scan_determinismE0ELb0ES3_N6thrust23THRUST_200600_302600_NS6detail15normal_iteratorINS9_10device_ptrIxEEEESE_SE_xNS9_4plusIvEENS9_8equal_toIxEExEE10hipError_tPvRmT2_T3_T4_T5_mT6_T7_P12ihipStream_tbENKUlT_T0_E_clISt17integral_constantIbLb0EESY_IbLb1EEEEDaSU_SV_EUlSU_E_NS1_11comp_targetILNS1_3genE3ELNS1_11target_archE908ELNS1_3gpuE7ELNS1_3repE0EEENS1_30default_config_static_selectorELNS0_4arch9wavefront6targetE0EEEvT1_,@function
_ZN7rocprim17ROCPRIM_400000_NS6detail17trampoline_kernelINS0_14default_configENS1_27scan_by_key_config_selectorIxxEEZZNS1_16scan_by_key_implILNS1_25lookback_scan_determinismE0ELb0ES3_N6thrust23THRUST_200600_302600_NS6detail15normal_iteratorINS9_10device_ptrIxEEEESE_SE_xNS9_4plusIvEENS9_8equal_toIxEExEE10hipError_tPvRmT2_T3_T4_T5_mT6_T7_P12ihipStream_tbENKUlT_T0_E_clISt17integral_constantIbLb0EESY_IbLb1EEEEDaSU_SV_EUlSU_E_NS1_11comp_targetILNS1_3genE3ELNS1_11target_archE908ELNS1_3gpuE7ELNS1_3repE0EEENS1_30default_config_static_selectorELNS0_4arch9wavefront6targetE0EEEvT1_: ; @_ZN7rocprim17ROCPRIM_400000_NS6detail17trampoline_kernelINS0_14default_configENS1_27scan_by_key_config_selectorIxxEEZZNS1_16scan_by_key_implILNS1_25lookback_scan_determinismE0ELb0ES3_N6thrust23THRUST_200600_302600_NS6detail15normal_iteratorINS9_10device_ptrIxEEEESE_SE_xNS9_4plusIvEENS9_8equal_toIxEExEE10hipError_tPvRmT2_T3_T4_T5_mT6_T7_P12ihipStream_tbENKUlT_T0_E_clISt17integral_constantIbLb0EESY_IbLb1EEEEDaSU_SV_EUlSU_E_NS1_11comp_targetILNS1_3genE3ELNS1_11target_archE908ELNS1_3gpuE7ELNS1_3repE0EEENS1_30default_config_static_selectorELNS0_4arch9wavefront6targetE0EEEvT1_
; %bb.0:
	.section	.rodata,"a",@progbits
	.p2align	6, 0x0
	.amdhsa_kernel _ZN7rocprim17ROCPRIM_400000_NS6detail17trampoline_kernelINS0_14default_configENS1_27scan_by_key_config_selectorIxxEEZZNS1_16scan_by_key_implILNS1_25lookback_scan_determinismE0ELb0ES3_N6thrust23THRUST_200600_302600_NS6detail15normal_iteratorINS9_10device_ptrIxEEEESE_SE_xNS9_4plusIvEENS9_8equal_toIxEExEE10hipError_tPvRmT2_T3_T4_T5_mT6_T7_P12ihipStream_tbENKUlT_T0_E_clISt17integral_constantIbLb0EESY_IbLb1EEEEDaSU_SV_EUlSU_E_NS1_11comp_targetILNS1_3genE3ELNS1_11target_archE908ELNS1_3gpuE7ELNS1_3repE0EEENS1_30default_config_static_selectorELNS0_4arch9wavefront6targetE0EEEvT1_
		.amdhsa_group_segment_fixed_size 0
		.amdhsa_private_segment_fixed_size 0
		.amdhsa_kernarg_size 136
		.amdhsa_user_sgpr_count 6
		.amdhsa_user_sgpr_private_segment_buffer 1
		.amdhsa_user_sgpr_dispatch_ptr 0
		.amdhsa_user_sgpr_queue_ptr 0
		.amdhsa_user_sgpr_kernarg_segment_ptr 1
		.amdhsa_user_sgpr_dispatch_id 0
		.amdhsa_user_sgpr_flat_scratch_init 0
		.amdhsa_user_sgpr_private_segment_size 0
		.amdhsa_wavefront_size32 1
		.amdhsa_uses_dynamic_stack 0
		.amdhsa_system_sgpr_private_segment_wavefront_offset 0
		.amdhsa_system_sgpr_workgroup_id_x 1
		.amdhsa_system_sgpr_workgroup_id_y 0
		.amdhsa_system_sgpr_workgroup_id_z 0
		.amdhsa_system_sgpr_workgroup_info 0
		.amdhsa_system_vgpr_workitem_id 0
		.amdhsa_next_free_vgpr 1
		.amdhsa_next_free_sgpr 1
		.amdhsa_reserve_vcc 0
		.amdhsa_reserve_flat_scratch 0
		.amdhsa_float_round_mode_32 0
		.amdhsa_float_round_mode_16_64 0
		.amdhsa_float_denorm_mode_32 3
		.amdhsa_float_denorm_mode_16_64 3
		.amdhsa_dx10_clamp 1
		.amdhsa_ieee_mode 1
		.amdhsa_fp16_overflow 0
		.amdhsa_workgroup_processor_mode 1
		.amdhsa_memory_ordered 1
		.amdhsa_forward_progress 1
		.amdhsa_shared_vgpr_count 0
		.amdhsa_exception_fp_ieee_invalid_op 0
		.amdhsa_exception_fp_denorm_src 0
		.amdhsa_exception_fp_ieee_div_zero 0
		.amdhsa_exception_fp_ieee_overflow 0
		.amdhsa_exception_fp_ieee_underflow 0
		.amdhsa_exception_fp_ieee_inexact 0
		.amdhsa_exception_int_div_zero 0
	.end_amdhsa_kernel
	.section	.text._ZN7rocprim17ROCPRIM_400000_NS6detail17trampoline_kernelINS0_14default_configENS1_27scan_by_key_config_selectorIxxEEZZNS1_16scan_by_key_implILNS1_25lookback_scan_determinismE0ELb0ES3_N6thrust23THRUST_200600_302600_NS6detail15normal_iteratorINS9_10device_ptrIxEEEESE_SE_xNS9_4plusIvEENS9_8equal_toIxEExEE10hipError_tPvRmT2_T3_T4_T5_mT6_T7_P12ihipStream_tbENKUlT_T0_E_clISt17integral_constantIbLb0EESY_IbLb1EEEEDaSU_SV_EUlSU_E_NS1_11comp_targetILNS1_3genE3ELNS1_11target_archE908ELNS1_3gpuE7ELNS1_3repE0EEENS1_30default_config_static_selectorELNS0_4arch9wavefront6targetE0EEEvT1_,"axG",@progbits,_ZN7rocprim17ROCPRIM_400000_NS6detail17trampoline_kernelINS0_14default_configENS1_27scan_by_key_config_selectorIxxEEZZNS1_16scan_by_key_implILNS1_25lookback_scan_determinismE0ELb0ES3_N6thrust23THRUST_200600_302600_NS6detail15normal_iteratorINS9_10device_ptrIxEEEESE_SE_xNS9_4plusIvEENS9_8equal_toIxEExEE10hipError_tPvRmT2_T3_T4_T5_mT6_T7_P12ihipStream_tbENKUlT_T0_E_clISt17integral_constantIbLb0EESY_IbLb1EEEEDaSU_SV_EUlSU_E_NS1_11comp_targetILNS1_3genE3ELNS1_11target_archE908ELNS1_3gpuE7ELNS1_3repE0EEENS1_30default_config_static_selectorELNS0_4arch9wavefront6targetE0EEEvT1_,comdat
.Lfunc_end114:
	.size	_ZN7rocprim17ROCPRIM_400000_NS6detail17trampoline_kernelINS0_14default_configENS1_27scan_by_key_config_selectorIxxEEZZNS1_16scan_by_key_implILNS1_25lookback_scan_determinismE0ELb0ES3_N6thrust23THRUST_200600_302600_NS6detail15normal_iteratorINS9_10device_ptrIxEEEESE_SE_xNS9_4plusIvEENS9_8equal_toIxEExEE10hipError_tPvRmT2_T3_T4_T5_mT6_T7_P12ihipStream_tbENKUlT_T0_E_clISt17integral_constantIbLb0EESY_IbLb1EEEEDaSU_SV_EUlSU_E_NS1_11comp_targetILNS1_3genE3ELNS1_11target_archE908ELNS1_3gpuE7ELNS1_3repE0EEENS1_30default_config_static_selectorELNS0_4arch9wavefront6targetE0EEEvT1_, .Lfunc_end114-_ZN7rocprim17ROCPRIM_400000_NS6detail17trampoline_kernelINS0_14default_configENS1_27scan_by_key_config_selectorIxxEEZZNS1_16scan_by_key_implILNS1_25lookback_scan_determinismE0ELb0ES3_N6thrust23THRUST_200600_302600_NS6detail15normal_iteratorINS9_10device_ptrIxEEEESE_SE_xNS9_4plusIvEENS9_8equal_toIxEExEE10hipError_tPvRmT2_T3_T4_T5_mT6_T7_P12ihipStream_tbENKUlT_T0_E_clISt17integral_constantIbLb0EESY_IbLb1EEEEDaSU_SV_EUlSU_E_NS1_11comp_targetILNS1_3genE3ELNS1_11target_archE908ELNS1_3gpuE7ELNS1_3repE0EEENS1_30default_config_static_selectorELNS0_4arch9wavefront6targetE0EEEvT1_
                                        ; -- End function
	.set _ZN7rocprim17ROCPRIM_400000_NS6detail17trampoline_kernelINS0_14default_configENS1_27scan_by_key_config_selectorIxxEEZZNS1_16scan_by_key_implILNS1_25lookback_scan_determinismE0ELb0ES3_N6thrust23THRUST_200600_302600_NS6detail15normal_iteratorINS9_10device_ptrIxEEEESE_SE_xNS9_4plusIvEENS9_8equal_toIxEExEE10hipError_tPvRmT2_T3_T4_T5_mT6_T7_P12ihipStream_tbENKUlT_T0_E_clISt17integral_constantIbLb0EESY_IbLb1EEEEDaSU_SV_EUlSU_E_NS1_11comp_targetILNS1_3genE3ELNS1_11target_archE908ELNS1_3gpuE7ELNS1_3repE0EEENS1_30default_config_static_selectorELNS0_4arch9wavefront6targetE0EEEvT1_.num_vgpr, 0
	.set _ZN7rocprim17ROCPRIM_400000_NS6detail17trampoline_kernelINS0_14default_configENS1_27scan_by_key_config_selectorIxxEEZZNS1_16scan_by_key_implILNS1_25lookback_scan_determinismE0ELb0ES3_N6thrust23THRUST_200600_302600_NS6detail15normal_iteratorINS9_10device_ptrIxEEEESE_SE_xNS9_4plusIvEENS9_8equal_toIxEExEE10hipError_tPvRmT2_T3_T4_T5_mT6_T7_P12ihipStream_tbENKUlT_T0_E_clISt17integral_constantIbLb0EESY_IbLb1EEEEDaSU_SV_EUlSU_E_NS1_11comp_targetILNS1_3genE3ELNS1_11target_archE908ELNS1_3gpuE7ELNS1_3repE0EEENS1_30default_config_static_selectorELNS0_4arch9wavefront6targetE0EEEvT1_.num_agpr, 0
	.set _ZN7rocprim17ROCPRIM_400000_NS6detail17trampoline_kernelINS0_14default_configENS1_27scan_by_key_config_selectorIxxEEZZNS1_16scan_by_key_implILNS1_25lookback_scan_determinismE0ELb0ES3_N6thrust23THRUST_200600_302600_NS6detail15normal_iteratorINS9_10device_ptrIxEEEESE_SE_xNS9_4plusIvEENS9_8equal_toIxEExEE10hipError_tPvRmT2_T3_T4_T5_mT6_T7_P12ihipStream_tbENKUlT_T0_E_clISt17integral_constantIbLb0EESY_IbLb1EEEEDaSU_SV_EUlSU_E_NS1_11comp_targetILNS1_3genE3ELNS1_11target_archE908ELNS1_3gpuE7ELNS1_3repE0EEENS1_30default_config_static_selectorELNS0_4arch9wavefront6targetE0EEEvT1_.numbered_sgpr, 0
	.set _ZN7rocprim17ROCPRIM_400000_NS6detail17trampoline_kernelINS0_14default_configENS1_27scan_by_key_config_selectorIxxEEZZNS1_16scan_by_key_implILNS1_25lookback_scan_determinismE0ELb0ES3_N6thrust23THRUST_200600_302600_NS6detail15normal_iteratorINS9_10device_ptrIxEEEESE_SE_xNS9_4plusIvEENS9_8equal_toIxEExEE10hipError_tPvRmT2_T3_T4_T5_mT6_T7_P12ihipStream_tbENKUlT_T0_E_clISt17integral_constantIbLb0EESY_IbLb1EEEEDaSU_SV_EUlSU_E_NS1_11comp_targetILNS1_3genE3ELNS1_11target_archE908ELNS1_3gpuE7ELNS1_3repE0EEENS1_30default_config_static_selectorELNS0_4arch9wavefront6targetE0EEEvT1_.num_named_barrier, 0
	.set _ZN7rocprim17ROCPRIM_400000_NS6detail17trampoline_kernelINS0_14default_configENS1_27scan_by_key_config_selectorIxxEEZZNS1_16scan_by_key_implILNS1_25lookback_scan_determinismE0ELb0ES3_N6thrust23THRUST_200600_302600_NS6detail15normal_iteratorINS9_10device_ptrIxEEEESE_SE_xNS9_4plusIvEENS9_8equal_toIxEExEE10hipError_tPvRmT2_T3_T4_T5_mT6_T7_P12ihipStream_tbENKUlT_T0_E_clISt17integral_constantIbLb0EESY_IbLb1EEEEDaSU_SV_EUlSU_E_NS1_11comp_targetILNS1_3genE3ELNS1_11target_archE908ELNS1_3gpuE7ELNS1_3repE0EEENS1_30default_config_static_selectorELNS0_4arch9wavefront6targetE0EEEvT1_.private_seg_size, 0
	.set _ZN7rocprim17ROCPRIM_400000_NS6detail17trampoline_kernelINS0_14default_configENS1_27scan_by_key_config_selectorIxxEEZZNS1_16scan_by_key_implILNS1_25lookback_scan_determinismE0ELb0ES3_N6thrust23THRUST_200600_302600_NS6detail15normal_iteratorINS9_10device_ptrIxEEEESE_SE_xNS9_4plusIvEENS9_8equal_toIxEExEE10hipError_tPvRmT2_T3_T4_T5_mT6_T7_P12ihipStream_tbENKUlT_T0_E_clISt17integral_constantIbLb0EESY_IbLb1EEEEDaSU_SV_EUlSU_E_NS1_11comp_targetILNS1_3genE3ELNS1_11target_archE908ELNS1_3gpuE7ELNS1_3repE0EEENS1_30default_config_static_selectorELNS0_4arch9wavefront6targetE0EEEvT1_.uses_vcc, 0
	.set _ZN7rocprim17ROCPRIM_400000_NS6detail17trampoline_kernelINS0_14default_configENS1_27scan_by_key_config_selectorIxxEEZZNS1_16scan_by_key_implILNS1_25lookback_scan_determinismE0ELb0ES3_N6thrust23THRUST_200600_302600_NS6detail15normal_iteratorINS9_10device_ptrIxEEEESE_SE_xNS9_4plusIvEENS9_8equal_toIxEExEE10hipError_tPvRmT2_T3_T4_T5_mT6_T7_P12ihipStream_tbENKUlT_T0_E_clISt17integral_constantIbLb0EESY_IbLb1EEEEDaSU_SV_EUlSU_E_NS1_11comp_targetILNS1_3genE3ELNS1_11target_archE908ELNS1_3gpuE7ELNS1_3repE0EEENS1_30default_config_static_selectorELNS0_4arch9wavefront6targetE0EEEvT1_.uses_flat_scratch, 0
	.set _ZN7rocprim17ROCPRIM_400000_NS6detail17trampoline_kernelINS0_14default_configENS1_27scan_by_key_config_selectorIxxEEZZNS1_16scan_by_key_implILNS1_25lookback_scan_determinismE0ELb0ES3_N6thrust23THRUST_200600_302600_NS6detail15normal_iteratorINS9_10device_ptrIxEEEESE_SE_xNS9_4plusIvEENS9_8equal_toIxEExEE10hipError_tPvRmT2_T3_T4_T5_mT6_T7_P12ihipStream_tbENKUlT_T0_E_clISt17integral_constantIbLb0EESY_IbLb1EEEEDaSU_SV_EUlSU_E_NS1_11comp_targetILNS1_3genE3ELNS1_11target_archE908ELNS1_3gpuE7ELNS1_3repE0EEENS1_30default_config_static_selectorELNS0_4arch9wavefront6targetE0EEEvT1_.has_dyn_sized_stack, 0
	.set _ZN7rocprim17ROCPRIM_400000_NS6detail17trampoline_kernelINS0_14default_configENS1_27scan_by_key_config_selectorIxxEEZZNS1_16scan_by_key_implILNS1_25lookback_scan_determinismE0ELb0ES3_N6thrust23THRUST_200600_302600_NS6detail15normal_iteratorINS9_10device_ptrIxEEEESE_SE_xNS9_4plusIvEENS9_8equal_toIxEExEE10hipError_tPvRmT2_T3_T4_T5_mT6_T7_P12ihipStream_tbENKUlT_T0_E_clISt17integral_constantIbLb0EESY_IbLb1EEEEDaSU_SV_EUlSU_E_NS1_11comp_targetILNS1_3genE3ELNS1_11target_archE908ELNS1_3gpuE7ELNS1_3repE0EEENS1_30default_config_static_selectorELNS0_4arch9wavefront6targetE0EEEvT1_.has_recursion, 0
	.set _ZN7rocprim17ROCPRIM_400000_NS6detail17trampoline_kernelINS0_14default_configENS1_27scan_by_key_config_selectorIxxEEZZNS1_16scan_by_key_implILNS1_25lookback_scan_determinismE0ELb0ES3_N6thrust23THRUST_200600_302600_NS6detail15normal_iteratorINS9_10device_ptrIxEEEESE_SE_xNS9_4plusIvEENS9_8equal_toIxEExEE10hipError_tPvRmT2_T3_T4_T5_mT6_T7_P12ihipStream_tbENKUlT_T0_E_clISt17integral_constantIbLb0EESY_IbLb1EEEEDaSU_SV_EUlSU_E_NS1_11comp_targetILNS1_3genE3ELNS1_11target_archE908ELNS1_3gpuE7ELNS1_3repE0EEENS1_30default_config_static_selectorELNS0_4arch9wavefront6targetE0EEEvT1_.has_indirect_call, 0
	.section	.AMDGPU.csdata,"",@progbits
; Kernel info:
; codeLenInByte = 0
; TotalNumSgprs: 0
; NumVgprs: 0
; ScratchSize: 0
; MemoryBound: 0
; FloatMode: 240
; IeeeMode: 1
; LDSByteSize: 0 bytes/workgroup (compile time only)
; SGPRBlocks: 0
; VGPRBlocks: 0
; NumSGPRsForWavesPerEU: 1
; NumVGPRsForWavesPerEU: 1
; Occupancy: 16
; WaveLimiterHint : 0
; COMPUTE_PGM_RSRC2:SCRATCH_EN: 0
; COMPUTE_PGM_RSRC2:USER_SGPR: 6
; COMPUTE_PGM_RSRC2:TRAP_HANDLER: 0
; COMPUTE_PGM_RSRC2:TGID_X_EN: 1
; COMPUTE_PGM_RSRC2:TGID_Y_EN: 0
; COMPUTE_PGM_RSRC2:TGID_Z_EN: 0
; COMPUTE_PGM_RSRC2:TIDIG_COMP_CNT: 0
	.section	.text._ZN7rocprim17ROCPRIM_400000_NS6detail17trampoline_kernelINS0_14default_configENS1_27scan_by_key_config_selectorIxxEEZZNS1_16scan_by_key_implILNS1_25lookback_scan_determinismE0ELb0ES3_N6thrust23THRUST_200600_302600_NS6detail15normal_iteratorINS9_10device_ptrIxEEEESE_SE_xNS9_4plusIvEENS9_8equal_toIxEExEE10hipError_tPvRmT2_T3_T4_T5_mT6_T7_P12ihipStream_tbENKUlT_T0_E_clISt17integral_constantIbLb0EESY_IbLb1EEEEDaSU_SV_EUlSU_E_NS1_11comp_targetILNS1_3genE2ELNS1_11target_archE906ELNS1_3gpuE6ELNS1_3repE0EEENS1_30default_config_static_selectorELNS0_4arch9wavefront6targetE0EEEvT1_,"axG",@progbits,_ZN7rocprim17ROCPRIM_400000_NS6detail17trampoline_kernelINS0_14default_configENS1_27scan_by_key_config_selectorIxxEEZZNS1_16scan_by_key_implILNS1_25lookback_scan_determinismE0ELb0ES3_N6thrust23THRUST_200600_302600_NS6detail15normal_iteratorINS9_10device_ptrIxEEEESE_SE_xNS9_4plusIvEENS9_8equal_toIxEExEE10hipError_tPvRmT2_T3_T4_T5_mT6_T7_P12ihipStream_tbENKUlT_T0_E_clISt17integral_constantIbLb0EESY_IbLb1EEEEDaSU_SV_EUlSU_E_NS1_11comp_targetILNS1_3genE2ELNS1_11target_archE906ELNS1_3gpuE6ELNS1_3repE0EEENS1_30default_config_static_selectorELNS0_4arch9wavefront6targetE0EEEvT1_,comdat
	.protected	_ZN7rocprim17ROCPRIM_400000_NS6detail17trampoline_kernelINS0_14default_configENS1_27scan_by_key_config_selectorIxxEEZZNS1_16scan_by_key_implILNS1_25lookback_scan_determinismE0ELb0ES3_N6thrust23THRUST_200600_302600_NS6detail15normal_iteratorINS9_10device_ptrIxEEEESE_SE_xNS9_4plusIvEENS9_8equal_toIxEExEE10hipError_tPvRmT2_T3_T4_T5_mT6_T7_P12ihipStream_tbENKUlT_T0_E_clISt17integral_constantIbLb0EESY_IbLb1EEEEDaSU_SV_EUlSU_E_NS1_11comp_targetILNS1_3genE2ELNS1_11target_archE906ELNS1_3gpuE6ELNS1_3repE0EEENS1_30default_config_static_selectorELNS0_4arch9wavefront6targetE0EEEvT1_ ; -- Begin function _ZN7rocprim17ROCPRIM_400000_NS6detail17trampoline_kernelINS0_14default_configENS1_27scan_by_key_config_selectorIxxEEZZNS1_16scan_by_key_implILNS1_25lookback_scan_determinismE0ELb0ES3_N6thrust23THRUST_200600_302600_NS6detail15normal_iteratorINS9_10device_ptrIxEEEESE_SE_xNS9_4plusIvEENS9_8equal_toIxEExEE10hipError_tPvRmT2_T3_T4_T5_mT6_T7_P12ihipStream_tbENKUlT_T0_E_clISt17integral_constantIbLb0EESY_IbLb1EEEEDaSU_SV_EUlSU_E_NS1_11comp_targetILNS1_3genE2ELNS1_11target_archE906ELNS1_3gpuE6ELNS1_3repE0EEENS1_30default_config_static_selectorELNS0_4arch9wavefront6targetE0EEEvT1_
	.globl	_ZN7rocprim17ROCPRIM_400000_NS6detail17trampoline_kernelINS0_14default_configENS1_27scan_by_key_config_selectorIxxEEZZNS1_16scan_by_key_implILNS1_25lookback_scan_determinismE0ELb0ES3_N6thrust23THRUST_200600_302600_NS6detail15normal_iteratorINS9_10device_ptrIxEEEESE_SE_xNS9_4plusIvEENS9_8equal_toIxEExEE10hipError_tPvRmT2_T3_T4_T5_mT6_T7_P12ihipStream_tbENKUlT_T0_E_clISt17integral_constantIbLb0EESY_IbLb1EEEEDaSU_SV_EUlSU_E_NS1_11comp_targetILNS1_3genE2ELNS1_11target_archE906ELNS1_3gpuE6ELNS1_3repE0EEENS1_30default_config_static_selectorELNS0_4arch9wavefront6targetE0EEEvT1_
	.p2align	8
	.type	_ZN7rocprim17ROCPRIM_400000_NS6detail17trampoline_kernelINS0_14default_configENS1_27scan_by_key_config_selectorIxxEEZZNS1_16scan_by_key_implILNS1_25lookback_scan_determinismE0ELb0ES3_N6thrust23THRUST_200600_302600_NS6detail15normal_iteratorINS9_10device_ptrIxEEEESE_SE_xNS9_4plusIvEENS9_8equal_toIxEExEE10hipError_tPvRmT2_T3_T4_T5_mT6_T7_P12ihipStream_tbENKUlT_T0_E_clISt17integral_constantIbLb0EESY_IbLb1EEEEDaSU_SV_EUlSU_E_NS1_11comp_targetILNS1_3genE2ELNS1_11target_archE906ELNS1_3gpuE6ELNS1_3repE0EEENS1_30default_config_static_selectorELNS0_4arch9wavefront6targetE0EEEvT1_,@function
_ZN7rocprim17ROCPRIM_400000_NS6detail17trampoline_kernelINS0_14default_configENS1_27scan_by_key_config_selectorIxxEEZZNS1_16scan_by_key_implILNS1_25lookback_scan_determinismE0ELb0ES3_N6thrust23THRUST_200600_302600_NS6detail15normal_iteratorINS9_10device_ptrIxEEEESE_SE_xNS9_4plusIvEENS9_8equal_toIxEExEE10hipError_tPvRmT2_T3_T4_T5_mT6_T7_P12ihipStream_tbENKUlT_T0_E_clISt17integral_constantIbLb0EESY_IbLb1EEEEDaSU_SV_EUlSU_E_NS1_11comp_targetILNS1_3genE2ELNS1_11target_archE906ELNS1_3gpuE6ELNS1_3repE0EEENS1_30default_config_static_selectorELNS0_4arch9wavefront6targetE0EEEvT1_: ; @_ZN7rocprim17ROCPRIM_400000_NS6detail17trampoline_kernelINS0_14default_configENS1_27scan_by_key_config_selectorIxxEEZZNS1_16scan_by_key_implILNS1_25lookback_scan_determinismE0ELb0ES3_N6thrust23THRUST_200600_302600_NS6detail15normal_iteratorINS9_10device_ptrIxEEEESE_SE_xNS9_4plusIvEENS9_8equal_toIxEExEE10hipError_tPvRmT2_T3_T4_T5_mT6_T7_P12ihipStream_tbENKUlT_T0_E_clISt17integral_constantIbLb0EESY_IbLb1EEEEDaSU_SV_EUlSU_E_NS1_11comp_targetILNS1_3genE2ELNS1_11target_archE906ELNS1_3gpuE6ELNS1_3repE0EEENS1_30default_config_static_selectorELNS0_4arch9wavefront6targetE0EEEvT1_
; %bb.0:
	.section	.rodata,"a",@progbits
	.p2align	6, 0x0
	.amdhsa_kernel _ZN7rocprim17ROCPRIM_400000_NS6detail17trampoline_kernelINS0_14default_configENS1_27scan_by_key_config_selectorIxxEEZZNS1_16scan_by_key_implILNS1_25lookback_scan_determinismE0ELb0ES3_N6thrust23THRUST_200600_302600_NS6detail15normal_iteratorINS9_10device_ptrIxEEEESE_SE_xNS9_4plusIvEENS9_8equal_toIxEExEE10hipError_tPvRmT2_T3_T4_T5_mT6_T7_P12ihipStream_tbENKUlT_T0_E_clISt17integral_constantIbLb0EESY_IbLb1EEEEDaSU_SV_EUlSU_E_NS1_11comp_targetILNS1_3genE2ELNS1_11target_archE906ELNS1_3gpuE6ELNS1_3repE0EEENS1_30default_config_static_selectorELNS0_4arch9wavefront6targetE0EEEvT1_
		.amdhsa_group_segment_fixed_size 0
		.amdhsa_private_segment_fixed_size 0
		.amdhsa_kernarg_size 136
		.amdhsa_user_sgpr_count 6
		.amdhsa_user_sgpr_private_segment_buffer 1
		.amdhsa_user_sgpr_dispatch_ptr 0
		.amdhsa_user_sgpr_queue_ptr 0
		.amdhsa_user_sgpr_kernarg_segment_ptr 1
		.amdhsa_user_sgpr_dispatch_id 0
		.amdhsa_user_sgpr_flat_scratch_init 0
		.amdhsa_user_sgpr_private_segment_size 0
		.amdhsa_wavefront_size32 1
		.amdhsa_uses_dynamic_stack 0
		.amdhsa_system_sgpr_private_segment_wavefront_offset 0
		.amdhsa_system_sgpr_workgroup_id_x 1
		.amdhsa_system_sgpr_workgroup_id_y 0
		.amdhsa_system_sgpr_workgroup_id_z 0
		.amdhsa_system_sgpr_workgroup_info 0
		.amdhsa_system_vgpr_workitem_id 0
		.amdhsa_next_free_vgpr 1
		.amdhsa_next_free_sgpr 1
		.amdhsa_reserve_vcc 0
		.amdhsa_reserve_flat_scratch 0
		.amdhsa_float_round_mode_32 0
		.amdhsa_float_round_mode_16_64 0
		.amdhsa_float_denorm_mode_32 3
		.amdhsa_float_denorm_mode_16_64 3
		.amdhsa_dx10_clamp 1
		.amdhsa_ieee_mode 1
		.amdhsa_fp16_overflow 0
		.amdhsa_workgroup_processor_mode 1
		.amdhsa_memory_ordered 1
		.amdhsa_forward_progress 1
		.amdhsa_shared_vgpr_count 0
		.amdhsa_exception_fp_ieee_invalid_op 0
		.amdhsa_exception_fp_denorm_src 0
		.amdhsa_exception_fp_ieee_div_zero 0
		.amdhsa_exception_fp_ieee_overflow 0
		.amdhsa_exception_fp_ieee_underflow 0
		.amdhsa_exception_fp_ieee_inexact 0
		.amdhsa_exception_int_div_zero 0
	.end_amdhsa_kernel
	.section	.text._ZN7rocprim17ROCPRIM_400000_NS6detail17trampoline_kernelINS0_14default_configENS1_27scan_by_key_config_selectorIxxEEZZNS1_16scan_by_key_implILNS1_25lookback_scan_determinismE0ELb0ES3_N6thrust23THRUST_200600_302600_NS6detail15normal_iteratorINS9_10device_ptrIxEEEESE_SE_xNS9_4plusIvEENS9_8equal_toIxEExEE10hipError_tPvRmT2_T3_T4_T5_mT6_T7_P12ihipStream_tbENKUlT_T0_E_clISt17integral_constantIbLb0EESY_IbLb1EEEEDaSU_SV_EUlSU_E_NS1_11comp_targetILNS1_3genE2ELNS1_11target_archE906ELNS1_3gpuE6ELNS1_3repE0EEENS1_30default_config_static_selectorELNS0_4arch9wavefront6targetE0EEEvT1_,"axG",@progbits,_ZN7rocprim17ROCPRIM_400000_NS6detail17trampoline_kernelINS0_14default_configENS1_27scan_by_key_config_selectorIxxEEZZNS1_16scan_by_key_implILNS1_25lookback_scan_determinismE0ELb0ES3_N6thrust23THRUST_200600_302600_NS6detail15normal_iteratorINS9_10device_ptrIxEEEESE_SE_xNS9_4plusIvEENS9_8equal_toIxEExEE10hipError_tPvRmT2_T3_T4_T5_mT6_T7_P12ihipStream_tbENKUlT_T0_E_clISt17integral_constantIbLb0EESY_IbLb1EEEEDaSU_SV_EUlSU_E_NS1_11comp_targetILNS1_3genE2ELNS1_11target_archE906ELNS1_3gpuE6ELNS1_3repE0EEENS1_30default_config_static_selectorELNS0_4arch9wavefront6targetE0EEEvT1_,comdat
.Lfunc_end115:
	.size	_ZN7rocprim17ROCPRIM_400000_NS6detail17trampoline_kernelINS0_14default_configENS1_27scan_by_key_config_selectorIxxEEZZNS1_16scan_by_key_implILNS1_25lookback_scan_determinismE0ELb0ES3_N6thrust23THRUST_200600_302600_NS6detail15normal_iteratorINS9_10device_ptrIxEEEESE_SE_xNS9_4plusIvEENS9_8equal_toIxEExEE10hipError_tPvRmT2_T3_T4_T5_mT6_T7_P12ihipStream_tbENKUlT_T0_E_clISt17integral_constantIbLb0EESY_IbLb1EEEEDaSU_SV_EUlSU_E_NS1_11comp_targetILNS1_3genE2ELNS1_11target_archE906ELNS1_3gpuE6ELNS1_3repE0EEENS1_30default_config_static_selectorELNS0_4arch9wavefront6targetE0EEEvT1_, .Lfunc_end115-_ZN7rocprim17ROCPRIM_400000_NS6detail17trampoline_kernelINS0_14default_configENS1_27scan_by_key_config_selectorIxxEEZZNS1_16scan_by_key_implILNS1_25lookback_scan_determinismE0ELb0ES3_N6thrust23THRUST_200600_302600_NS6detail15normal_iteratorINS9_10device_ptrIxEEEESE_SE_xNS9_4plusIvEENS9_8equal_toIxEExEE10hipError_tPvRmT2_T3_T4_T5_mT6_T7_P12ihipStream_tbENKUlT_T0_E_clISt17integral_constantIbLb0EESY_IbLb1EEEEDaSU_SV_EUlSU_E_NS1_11comp_targetILNS1_3genE2ELNS1_11target_archE906ELNS1_3gpuE6ELNS1_3repE0EEENS1_30default_config_static_selectorELNS0_4arch9wavefront6targetE0EEEvT1_
                                        ; -- End function
	.set _ZN7rocprim17ROCPRIM_400000_NS6detail17trampoline_kernelINS0_14default_configENS1_27scan_by_key_config_selectorIxxEEZZNS1_16scan_by_key_implILNS1_25lookback_scan_determinismE0ELb0ES3_N6thrust23THRUST_200600_302600_NS6detail15normal_iteratorINS9_10device_ptrIxEEEESE_SE_xNS9_4plusIvEENS9_8equal_toIxEExEE10hipError_tPvRmT2_T3_T4_T5_mT6_T7_P12ihipStream_tbENKUlT_T0_E_clISt17integral_constantIbLb0EESY_IbLb1EEEEDaSU_SV_EUlSU_E_NS1_11comp_targetILNS1_3genE2ELNS1_11target_archE906ELNS1_3gpuE6ELNS1_3repE0EEENS1_30default_config_static_selectorELNS0_4arch9wavefront6targetE0EEEvT1_.num_vgpr, 0
	.set _ZN7rocprim17ROCPRIM_400000_NS6detail17trampoline_kernelINS0_14default_configENS1_27scan_by_key_config_selectorIxxEEZZNS1_16scan_by_key_implILNS1_25lookback_scan_determinismE0ELb0ES3_N6thrust23THRUST_200600_302600_NS6detail15normal_iteratorINS9_10device_ptrIxEEEESE_SE_xNS9_4plusIvEENS9_8equal_toIxEExEE10hipError_tPvRmT2_T3_T4_T5_mT6_T7_P12ihipStream_tbENKUlT_T0_E_clISt17integral_constantIbLb0EESY_IbLb1EEEEDaSU_SV_EUlSU_E_NS1_11comp_targetILNS1_3genE2ELNS1_11target_archE906ELNS1_3gpuE6ELNS1_3repE0EEENS1_30default_config_static_selectorELNS0_4arch9wavefront6targetE0EEEvT1_.num_agpr, 0
	.set _ZN7rocprim17ROCPRIM_400000_NS6detail17trampoline_kernelINS0_14default_configENS1_27scan_by_key_config_selectorIxxEEZZNS1_16scan_by_key_implILNS1_25lookback_scan_determinismE0ELb0ES3_N6thrust23THRUST_200600_302600_NS6detail15normal_iteratorINS9_10device_ptrIxEEEESE_SE_xNS9_4plusIvEENS9_8equal_toIxEExEE10hipError_tPvRmT2_T3_T4_T5_mT6_T7_P12ihipStream_tbENKUlT_T0_E_clISt17integral_constantIbLb0EESY_IbLb1EEEEDaSU_SV_EUlSU_E_NS1_11comp_targetILNS1_3genE2ELNS1_11target_archE906ELNS1_3gpuE6ELNS1_3repE0EEENS1_30default_config_static_selectorELNS0_4arch9wavefront6targetE0EEEvT1_.numbered_sgpr, 0
	.set _ZN7rocprim17ROCPRIM_400000_NS6detail17trampoline_kernelINS0_14default_configENS1_27scan_by_key_config_selectorIxxEEZZNS1_16scan_by_key_implILNS1_25lookback_scan_determinismE0ELb0ES3_N6thrust23THRUST_200600_302600_NS6detail15normal_iteratorINS9_10device_ptrIxEEEESE_SE_xNS9_4plusIvEENS9_8equal_toIxEExEE10hipError_tPvRmT2_T3_T4_T5_mT6_T7_P12ihipStream_tbENKUlT_T0_E_clISt17integral_constantIbLb0EESY_IbLb1EEEEDaSU_SV_EUlSU_E_NS1_11comp_targetILNS1_3genE2ELNS1_11target_archE906ELNS1_3gpuE6ELNS1_3repE0EEENS1_30default_config_static_selectorELNS0_4arch9wavefront6targetE0EEEvT1_.num_named_barrier, 0
	.set _ZN7rocprim17ROCPRIM_400000_NS6detail17trampoline_kernelINS0_14default_configENS1_27scan_by_key_config_selectorIxxEEZZNS1_16scan_by_key_implILNS1_25lookback_scan_determinismE0ELb0ES3_N6thrust23THRUST_200600_302600_NS6detail15normal_iteratorINS9_10device_ptrIxEEEESE_SE_xNS9_4plusIvEENS9_8equal_toIxEExEE10hipError_tPvRmT2_T3_T4_T5_mT6_T7_P12ihipStream_tbENKUlT_T0_E_clISt17integral_constantIbLb0EESY_IbLb1EEEEDaSU_SV_EUlSU_E_NS1_11comp_targetILNS1_3genE2ELNS1_11target_archE906ELNS1_3gpuE6ELNS1_3repE0EEENS1_30default_config_static_selectorELNS0_4arch9wavefront6targetE0EEEvT1_.private_seg_size, 0
	.set _ZN7rocprim17ROCPRIM_400000_NS6detail17trampoline_kernelINS0_14default_configENS1_27scan_by_key_config_selectorIxxEEZZNS1_16scan_by_key_implILNS1_25lookback_scan_determinismE0ELb0ES3_N6thrust23THRUST_200600_302600_NS6detail15normal_iteratorINS9_10device_ptrIxEEEESE_SE_xNS9_4plusIvEENS9_8equal_toIxEExEE10hipError_tPvRmT2_T3_T4_T5_mT6_T7_P12ihipStream_tbENKUlT_T0_E_clISt17integral_constantIbLb0EESY_IbLb1EEEEDaSU_SV_EUlSU_E_NS1_11comp_targetILNS1_3genE2ELNS1_11target_archE906ELNS1_3gpuE6ELNS1_3repE0EEENS1_30default_config_static_selectorELNS0_4arch9wavefront6targetE0EEEvT1_.uses_vcc, 0
	.set _ZN7rocprim17ROCPRIM_400000_NS6detail17trampoline_kernelINS0_14default_configENS1_27scan_by_key_config_selectorIxxEEZZNS1_16scan_by_key_implILNS1_25lookback_scan_determinismE0ELb0ES3_N6thrust23THRUST_200600_302600_NS6detail15normal_iteratorINS9_10device_ptrIxEEEESE_SE_xNS9_4plusIvEENS9_8equal_toIxEExEE10hipError_tPvRmT2_T3_T4_T5_mT6_T7_P12ihipStream_tbENKUlT_T0_E_clISt17integral_constantIbLb0EESY_IbLb1EEEEDaSU_SV_EUlSU_E_NS1_11comp_targetILNS1_3genE2ELNS1_11target_archE906ELNS1_3gpuE6ELNS1_3repE0EEENS1_30default_config_static_selectorELNS0_4arch9wavefront6targetE0EEEvT1_.uses_flat_scratch, 0
	.set _ZN7rocprim17ROCPRIM_400000_NS6detail17trampoline_kernelINS0_14default_configENS1_27scan_by_key_config_selectorIxxEEZZNS1_16scan_by_key_implILNS1_25lookback_scan_determinismE0ELb0ES3_N6thrust23THRUST_200600_302600_NS6detail15normal_iteratorINS9_10device_ptrIxEEEESE_SE_xNS9_4plusIvEENS9_8equal_toIxEExEE10hipError_tPvRmT2_T3_T4_T5_mT6_T7_P12ihipStream_tbENKUlT_T0_E_clISt17integral_constantIbLb0EESY_IbLb1EEEEDaSU_SV_EUlSU_E_NS1_11comp_targetILNS1_3genE2ELNS1_11target_archE906ELNS1_3gpuE6ELNS1_3repE0EEENS1_30default_config_static_selectorELNS0_4arch9wavefront6targetE0EEEvT1_.has_dyn_sized_stack, 0
	.set _ZN7rocprim17ROCPRIM_400000_NS6detail17trampoline_kernelINS0_14default_configENS1_27scan_by_key_config_selectorIxxEEZZNS1_16scan_by_key_implILNS1_25lookback_scan_determinismE0ELb0ES3_N6thrust23THRUST_200600_302600_NS6detail15normal_iteratorINS9_10device_ptrIxEEEESE_SE_xNS9_4plusIvEENS9_8equal_toIxEExEE10hipError_tPvRmT2_T3_T4_T5_mT6_T7_P12ihipStream_tbENKUlT_T0_E_clISt17integral_constantIbLb0EESY_IbLb1EEEEDaSU_SV_EUlSU_E_NS1_11comp_targetILNS1_3genE2ELNS1_11target_archE906ELNS1_3gpuE6ELNS1_3repE0EEENS1_30default_config_static_selectorELNS0_4arch9wavefront6targetE0EEEvT1_.has_recursion, 0
	.set _ZN7rocprim17ROCPRIM_400000_NS6detail17trampoline_kernelINS0_14default_configENS1_27scan_by_key_config_selectorIxxEEZZNS1_16scan_by_key_implILNS1_25lookback_scan_determinismE0ELb0ES3_N6thrust23THRUST_200600_302600_NS6detail15normal_iteratorINS9_10device_ptrIxEEEESE_SE_xNS9_4plusIvEENS9_8equal_toIxEExEE10hipError_tPvRmT2_T3_T4_T5_mT6_T7_P12ihipStream_tbENKUlT_T0_E_clISt17integral_constantIbLb0EESY_IbLb1EEEEDaSU_SV_EUlSU_E_NS1_11comp_targetILNS1_3genE2ELNS1_11target_archE906ELNS1_3gpuE6ELNS1_3repE0EEENS1_30default_config_static_selectorELNS0_4arch9wavefront6targetE0EEEvT1_.has_indirect_call, 0
	.section	.AMDGPU.csdata,"",@progbits
; Kernel info:
; codeLenInByte = 0
; TotalNumSgprs: 0
; NumVgprs: 0
; ScratchSize: 0
; MemoryBound: 0
; FloatMode: 240
; IeeeMode: 1
; LDSByteSize: 0 bytes/workgroup (compile time only)
; SGPRBlocks: 0
; VGPRBlocks: 0
; NumSGPRsForWavesPerEU: 1
; NumVGPRsForWavesPerEU: 1
; Occupancy: 16
; WaveLimiterHint : 0
; COMPUTE_PGM_RSRC2:SCRATCH_EN: 0
; COMPUTE_PGM_RSRC2:USER_SGPR: 6
; COMPUTE_PGM_RSRC2:TRAP_HANDLER: 0
; COMPUTE_PGM_RSRC2:TGID_X_EN: 1
; COMPUTE_PGM_RSRC2:TGID_Y_EN: 0
; COMPUTE_PGM_RSRC2:TGID_Z_EN: 0
; COMPUTE_PGM_RSRC2:TIDIG_COMP_CNT: 0
	.section	.text._ZN7rocprim17ROCPRIM_400000_NS6detail17trampoline_kernelINS0_14default_configENS1_27scan_by_key_config_selectorIxxEEZZNS1_16scan_by_key_implILNS1_25lookback_scan_determinismE0ELb0ES3_N6thrust23THRUST_200600_302600_NS6detail15normal_iteratorINS9_10device_ptrIxEEEESE_SE_xNS9_4plusIvEENS9_8equal_toIxEExEE10hipError_tPvRmT2_T3_T4_T5_mT6_T7_P12ihipStream_tbENKUlT_T0_E_clISt17integral_constantIbLb0EESY_IbLb1EEEEDaSU_SV_EUlSU_E_NS1_11comp_targetILNS1_3genE10ELNS1_11target_archE1200ELNS1_3gpuE4ELNS1_3repE0EEENS1_30default_config_static_selectorELNS0_4arch9wavefront6targetE0EEEvT1_,"axG",@progbits,_ZN7rocprim17ROCPRIM_400000_NS6detail17trampoline_kernelINS0_14default_configENS1_27scan_by_key_config_selectorIxxEEZZNS1_16scan_by_key_implILNS1_25lookback_scan_determinismE0ELb0ES3_N6thrust23THRUST_200600_302600_NS6detail15normal_iteratorINS9_10device_ptrIxEEEESE_SE_xNS9_4plusIvEENS9_8equal_toIxEExEE10hipError_tPvRmT2_T3_T4_T5_mT6_T7_P12ihipStream_tbENKUlT_T0_E_clISt17integral_constantIbLb0EESY_IbLb1EEEEDaSU_SV_EUlSU_E_NS1_11comp_targetILNS1_3genE10ELNS1_11target_archE1200ELNS1_3gpuE4ELNS1_3repE0EEENS1_30default_config_static_selectorELNS0_4arch9wavefront6targetE0EEEvT1_,comdat
	.protected	_ZN7rocprim17ROCPRIM_400000_NS6detail17trampoline_kernelINS0_14default_configENS1_27scan_by_key_config_selectorIxxEEZZNS1_16scan_by_key_implILNS1_25lookback_scan_determinismE0ELb0ES3_N6thrust23THRUST_200600_302600_NS6detail15normal_iteratorINS9_10device_ptrIxEEEESE_SE_xNS9_4plusIvEENS9_8equal_toIxEExEE10hipError_tPvRmT2_T3_T4_T5_mT6_T7_P12ihipStream_tbENKUlT_T0_E_clISt17integral_constantIbLb0EESY_IbLb1EEEEDaSU_SV_EUlSU_E_NS1_11comp_targetILNS1_3genE10ELNS1_11target_archE1200ELNS1_3gpuE4ELNS1_3repE0EEENS1_30default_config_static_selectorELNS0_4arch9wavefront6targetE0EEEvT1_ ; -- Begin function _ZN7rocprim17ROCPRIM_400000_NS6detail17trampoline_kernelINS0_14default_configENS1_27scan_by_key_config_selectorIxxEEZZNS1_16scan_by_key_implILNS1_25lookback_scan_determinismE0ELb0ES3_N6thrust23THRUST_200600_302600_NS6detail15normal_iteratorINS9_10device_ptrIxEEEESE_SE_xNS9_4plusIvEENS9_8equal_toIxEExEE10hipError_tPvRmT2_T3_T4_T5_mT6_T7_P12ihipStream_tbENKUlT_T0_E_clISt17integral_constantIbLb0EESY_IbLb1EEEEDaSU_SV_EUlSU_E_NS1_11comp_targetILNS1_3genE10ELNS1_11target_archE1200ELNS1_3gpuE4ELNS1_3repE0EEENS1_30default_config_static_selectorELNS0_4arch9wavefront6targetE0EEEvT1_
	.globl	_ZN7rocprim17ROCPRIM_400000_NS6detail17trampoline_kernelINS0_14default_configENS1_27scan_by_key_config_selectorIxxEEZZNS1_16scan_by_key_implILNS1_25lookback_scan_determinismE0ELb0ES3_N6thrust23THRUST_200600_302600_NS6detail15normal_iteratorINS9_10device_ptrIxEEEESE_SE_xNS9_4plusIvEENS9_8equal_toIxEExEE10hipError_tPvRmT2_T3_T4_T5_mT6_T7_P12ihipStream_tbENKUlT_T0_E_clISt17integral_constantIbLb0EESY_IbLb1EEEEDaSU_SV_EUlSU_E_NS1_11comp_targetILNS1_3genE10ELNS1_11target_archE1200ELNS1_3gpuE4ELNS1_3repE0EEENS1_30default_config_static_selectorELNS0_4arch9wavefront6targetE0EEEvT1_
	.p2align	8
	.type	_ZN7rocprim17ROCPRIM_400000_NS6detail17trampoline_kernelINS0_14default_configENS1_27scan_by_key_config_selectorIxxEEZZNS1_16scan_by_key_implILNS1_25lookback_scan_determinismE0ELb0ES3_N6thrust23THRUST_200600_302600_NS6detail15normal_iteratorINS9_10device_ptrIxEEEESE_SE_xNS9_4plusIvEENS9_8equal_toIxEExEE10hipError_tPvRmT2_T3_T4_T5_mT6_T7_P12ihipStream_tbENKUlT_T0_E_clISt17integral_constantIbLb0EESY_IbLb1EEEEDaSU_SV_EUlSU_E_NS1_11comp_targetILNS1_3genE10ELNS1_11target_archE1200ELNS1_3gpuE4ELNS1_3repE0EEENS1_30default_config_static_selectorELNS0_4arch9wavefront6targetE0EEEvT1_,@function
_ZN7rocprim17ROCPRIM_400000_NS6detail17trampoline_kernelINS0_14default_configENS1_27scan_by_key_config_selectorIxxEEZZNS1_16scan_by_key_implILNS1_25lookback_scan_determinismE0ELb0ES3_N6thrust23THRUST_200600_302600_NS6detail15normal_iteratorINS9_10device_ptrIxEEEESE_SE_xNS9_4plusIvEENS9_8equal_toIxEExEE10hipError_tPvRmT2_T3_T4_T5_mT6_T7_P12ihipStream_tbENKUlT_T0_E_clISt17integral_constantIbLb0EESY_IbLb1EEEEDaSU_SV_EUlSU_E_NS1_11comp_targetILNS1_3genE10ELNS1_11target_archE1200ELNS1_3gpuE4ELNS1_3repE0EEENS1_30default_config_static_selectorELNS0_4arch9wavefront6targetE0EEEvT1_: ; @_ZN7rocprim17ROCPRIM_400000_NS6detail17trampoline_kernelINS0_14default_configENS1_27scan_by_key_config_selectorIxxEEZZNS1_16scan_by_key_implILNS1_25lookback_scan_determinismE0ELb0ES3_N6thrust23THRUST_200600_302600_NS6detail15normal_iteratorINS9_10device_ptrIxEEEESE_SE_xNS9_4plusIvEENS9_8equal_toIxEExEE10hipError_tPvRmT2_T3_T4_T5_mT6_T7_P12ihipStream_tbENKUlT_T0_E_clISt17integral_constantIbLb0EESY_IbLb1EEEEDaSU_SV_EUlSU_E_NS1_11comp_targetILNS1_3genE10ELNS1_11target_archE1200ELNS1_3gpuE4ELNS1_3repE0EEENS1_30default_config_static_selectorELNS0_4arch9wavefront6targetE0EEEvT1_
; %bb.0:
	.section	.rodata,"a",@progbits
	.p2align	6, 0x0
	.amdhsa_kernel _ZN7rocprim17ROCPRIM_400000_NS6detail17trampoline_kernelINS0_14default_configENS1_27scan_by_key_config_selectorIxxEEZZNS1_16scan_by_key_implILNS1_25lookback_scan_determinismE0ELb0ES3_N6thrust23THRUST_200600_302600_NS6detail15normal_iteratorINS9_10device_ptrIxEEEESE_SE_xNS9_4plusIvEENS9_8equal_toIxEExEE10hipError_tPvRmT2_T3_T4_T5_mT6_T7_P12ihipStream_tbENKUlT_T0_E_clISt17integral_constantIbLb0EESY_IbLb1EEEEDaSU_SV_EUlSU_E_NS1_11comp_targetILNS1_3genE10ELNS1_11target_archE1200ELNS1_3gpuE4ELNS1_3repE0EEENS1_30default_config_static_selectorELNS0_4arch9wavefront6targetE0EEEvT1_
		.amdhsa_group_segment_fixed_size 0
		.amdhsa_private_segment_fixed_size 0
		.amdhsa_kernarg_size 136
		.amdhsa_user_sgpr_count 6
		.amdhsa_user_sgpr_private_segment_buffer 1
		.amdhsa_user_sgpr_dispatch_ptr 0
		.amdhsa_user_sgpr_queue_ptr 0
		.amdhsa_user_sgpr_kernarg_segment_ptr 1
		.amdhsa_user_sgpr_dispatch_id 0
		.amdhsa_user_sgpr_flat_scratch_init 0
		.amdhsa_user_sgpr_private_segment_size 0
		.amdhsa_wavefront_size32 1
		.amdhsa_uses_dynamic_stack 0
		.amdhsa_system_sgpr_private_segment_wavefront_offset 0
		.amdhsa_system_sgpr_workgroup_id_x 1
		.amdhsa_system_sgpr_workgroup_id_y 0
		.amdhsa_system_sgpr_workgroup_id_z 0
		.amdhsa_system_sgpr_workgroup_info 0
		.amdhsa_system_vgpr_workitem_id 0
		.amdhsa_next_free_vgpr 1
		.amdhsa_next_free_sgpr 1
		.amdhsa_reserve_vcc 0
		.amdhsa_reserve_flat_scratch 0
		.amdhsa_float_round_mode_32 0
		.amdhsa_float_round_mode_16_64 0
		.amdhsa_float_denorm_mode_32 3
		.amdhsa_float_denorm_mode_16_64 3
		.amdhsa_dx10_clamp 1
		.amdhsa_ieee_mode 1
		.amdhsa_fp16_overflow 0
		.amdhsa_workgroup_processor_mode 1
		.amdhsa_memory_ordered 1
		.amdhsa_forward_progress 1
		.amdhsa_shared_vgpr_count 0
		.amdhsa_exception_fp_ieee_invalid_op 0
		.amdhsa_exception_fp_denorm_src 0
		.amdhsa_exception_fp_ieee_div_zero 0
		.amdhsa_exception_fp_ieee_overflow 0
		.amdhsa_exception_fp_ieee_underflow 0
		.amdhsa_exception_fp_ieee_inexact 0
		.amdhsa_exception_int_div_zero 0
	.end_amdhsa_kernel
	.section	.text._ZN7rocprim17ROCPRIM_400000_NS6detail17trampoline_kernelINS0_14default_configENS1_27scan_by_key_config_selectorIxxEEZZNS1_16scan_by_key_implILNS1_25lookback_scan_determinismE0ELb0ES3_N6thrust23THRUST_200600_302600_NS6detail15normal_iteratorINS9_10device_ptrIxEEEESE_SE_xNS9_4plusIvEENS9_8equal_toIxEExEE10hipError_tPvRmT2_T3_T4_T5_mT6_T7_P12ihipStream_tbENKUlT_T0_E_clISt17integral_constantIbLb0EESY_IbLb1EEEEDaSU_SV_EUlSU_E_NS1_11comp_targetILNS1_3genE10ELNS1_11target_archE1200ELNS1_3gpuE4ELNS1_3repE0EEENS1_30default_config_static_selectorELNS0_4arch9wavefront6targetE0EEEvT1_,"axG",@progbits,_ZN7rocprim17ROCPRIM_400000_NS6detail17trampoline_kernelINS0_14default_configENS1_27scan_by_key_config_selectorIxxEEZZNS1_16scan_by_key_implILNS1_25lookback_scan_determinismE0ELb0ES3_N6thrust23THRUST_200600_302600_NS6detail15normal_iteratorINS9_10device_ptrIxEEEESE_SE_xNS9_4plusIvEENS9_8equal_toIxEExEE10hipError_tPvRmT2_T3_T4_T5_mT6_T7_P12ihipStream_tbENKUlT_T0_E_clISt17integral_constantIbLb0EESY_IbLb1EEEEDaSU_SV_EUlSU_E_NS1_11comp_targetILNS1_3genE10ELNS1_11target_archE1200ELNS1_3gpuE4ELNS1_3repE0EEENS1_30default_config_static_selectorELNS0_4arch9wavefront6targetE0EEEvT1_,comdat
.Lfunc_end116:
	.size	_ZN7rocprim17ROCPRIM_400000_NS6detail17trampoline_kernelINS0_14default_configENS1_27scan_by_key_config_selectorIxxEEZZNS1_16scan_by_key_implILNS1_25lookback_scan_determinismE0ELb0ES3_N6thrust23THRUST_200600_302600_NS6detail15normal_iteratorINS9_10device_ptrIxEEEESE_SE_xNS9_4plusIvEENS9_8equal_toIxEExEE10hipError_tPvRmT2_T3_T4_T5_mT6_T7_P12ihipStream_tbENKUlT_T0_E_clISt17integral_constantIbLb0EESY_IbLb1EEEEDaSU_SV_EUlSU_E_NS1_11comp_targetILNS1_3genE10ELNS1_11target_archE1200ELNS1_3gpuE4ELNS1_3repE0EEENS1_30default_config_static_selectorELNS0_4arch9wavefront6targetE0EEEvT1_, .Lfunc_end116-_ZN7rocprim17ROCPRIM_400000_NS6detail17trampoline_kernelINS0_14default_configENS1_27scan_by_key_config_selectorIxxEEZZNS1_16scan_by_key_implILNS1_25lookback_scan_determinismE0ELb0ES3_N6thrust23THRUST_200600_302600_NS6detail15normal_iteratorINS9_10device_ptrIxEEEESE_SE_xNS9_4plusIvEENS9_8equal_toIxEExEE10hipError_tPvRmT2_T3_T4_T5_mT6_T7_P12ihipStream_tbENKUlT_T0_E_clISt17integral_constantIbLb0EESY_IbLb1EEEEDaSU_SV_EUlSU_E_NS1_11comp_targetILNS1_3genE10ELNS1_11target_archE1200ELNS1_3gpuE4ELNS1_3repE0EEENS1_30default_config_static_selectorELNS0_4arch9wavefront6targetE0EEEvT1_
                                        ; -- End function
	.set _ZN7rocprim17ROCPRIM_400000_NS6detail17trampoline_kernelINS0_14default_configENS1_27scan_by_key_config_selectorIxxEEZZNS1_16scan_by_key_implILNS1_25lookback_scan_determinismE0ELb0ES3_N6thrust23THRUST_200600_302600_NS6detail15normal_iteratorINS9_10device_ptrIxEEEESE_SE_xNS9_4plusIvEENS9_8equal_toIxEExEE10hipError_tPvRmT2_T3_T4_T5_mT6_T7_P12ihipStream_tbENKUlT_T0_E_clISt17integral_constantIbLb0EESY_IbLb1EEEEDaSU_SV_EUlSU_E_NS1_11comp_targetILNS1_3genE10ELNS1_11target_archE1200ELNS1_3gpuE4ELNS1_3repE0EEENS1_30default_config_static_selectorELNS0_4arch9wavefront6targetE0EEEvT1_.num_vgpr, 0
	.set _ZN7rocprim17ROCPRIM_400000_NS6detail17trampoline_kernelINS0_14default_configENS1_27scan_by_key_config_selectorIxxEEZZNS1_16scan_by_key_implILNS1_25lookback_scan_determinismE0ELb0ES3_N6thrust23THRUST_200600_302600_NS6detail15normal_iteratorINS9_10device_ptrIxEEEESE_SE_xNS9_4plusIvEENS9_8equal_toIxEExEE10hipError_tPvRmT2_T3_T4_T5_mT6_T7_P12ihipStream_tbENKUlT_T0_E_clISt17integral_constantIbLb0EESY_IbLb1EEEEDaSU_SV_EUlSU_E_NS1_11comp_targetILNS1_3genE10ELNS1_11target_archE1200ELNS1_3gpuE4ELNS1_3repE0EEENS1_30default_config_static_selectorELNS0_4arch9wavefront6targetE0EEEvT1_.num_agpr, 0
	.set _ZN7rocprim17ROCPRIM_400000_NS6detail17trampoline_kernelINS0_14default_configENS1_27scan_by_key_config_selectorIxxEEZZNS1_16scan_by_key_implILNS1_25lookback_scan_determinismE0ELb0ES3_N6thrust23THRUST_200600_302600_NS6detail15normal_iteratorINS9_10device_ptrIxEEEESE_SE_xNS9_4plusIvEENS9_8equal_toIxEExEE10hipError_tPvRmT2_T3_T4_T5_mT6_T7_P12ihipStream_tbENKUlT_T0_E_clISt17integral_constantIbLb0EESY_IbLb1EEEEDaSU_SV_EUlSU_E_NS1_11comp_targetILNS1_3genE10ELNS1_11target_archE1200ELNS1_3gpuE4ELNS1_3repE0EEENS1_30default_config_static_selectorELNS0_4arch9wavefront6targetE0EEEvT1_.numbered_sgpr, 0
	.set _ZN7rocprim17ROCPRIM_400000_NS6detail17trampoline_kernelINS0_14default_configENS1_27scan_by_key_config_selectorIxxEEZZNS1_16scan_by_key_implILNS1_25lookback_scan_determinismE0ELb0ES3_N6thrust23THRUST_200600_302600_NS6detail15normal_iteratorINS9_10device_ptrIxEEEESE_SE_xNS9_4plusIvEENS9_8equal_toIxEExEE10hipError_tPvRmT2_T3_T4_T5_mT6_T7_P12ihipStream_tbENKUlT_T0_E_clISt17integral_constantIbLb0EESY_IbLb1EEEEDaSU_SV_EUlSU_E_NS1_11comp_targetILNS1_3genE10ELNS1_11target_archE1200ELNS1_3gpuE4ELNS1_3repE0EEENS1_30default_config_static_selectorELNS0_4arch9wavefront6targetE0EEEvT1_.num_named_barrier, 0
	.set _ZN7rocprim17ROCPRIM_400000_NS6detail17trampoline_kernelINS0_14default_configENS1_27scan_by_key_config_selectorIxxEEZZNS1_16scan_by_key_implILNS1_25lookback_scan_determinismE0ELb0ES3_N6thrust23THRUST_200600_302600_NS6detail15normal_iteratorINS9_10device_ptrIxEEEESE_SE_xNS9_4plusIvEENS9_8equal_toIxEExEE10hipError_tPvRmT2_T3_T4_T5_mT6_T7_P12ihipStream_tbENKUlT_T0_E_clISt17integral_constantIbLb0EESY_IbLb1EEEEDaSU_SV_EUlSU_E_NS1_11comp_targetILNS1_3genE10ELNS1_11target_archE1200ELNS1_3gpuE4ELNS1_3repE0EEENS1_30default_config_static_selectorELNS0_4arch9wavefront6targetE0EEEvT1_.private_seg_size, 0
	.set _ZN7rocprim17ROCPRIM_400000_NS6detail17trampoline_kernelINS0_14default_configENS1_27scan_by_key_config_selectorIxxEEZZNS1_16scan_by_key_implILNS1_25lookback_scan_determinismE0ELb0ES3_N6thrust23THRUST_200600_302600_NS6detail15normal_iteratorINS9_10device_ptrIxEEEESE_SE_xNS9_4plusIvEENS9_8equal_toIxEExEE10hipError_tPvRmT2_T3_T4_T5_mT6_T7_P12ihipStream_tbENKUlT_T0_E_clISt17integral_constantIbLb0EESY_IbLb1EEEEDaSU_SV_EUlSU_E_NS1_11comp_targetILNS1_3genE10ELNS1_11target_archE1200ELNS1_3gpuE4ELNS1_3repE0EEENS1_30default_config_static_selectorELNS0_4arch9wavefront6targetE0EEEvT1_.uses_vcc, 0
	.set _ZN7rocprim17ROCPRIM_400000_NS6detail17trampoline_kernelINS0_14default_configENS1_27scan_by_key_config_selectorIxxEEZZNS1_16scan_by_key_implILNS1_25lookback_scan_determinismE0ELb0ES3_N6thrust23THRUST_200600_302600_NS6detail15normal_iteratorINS9_10device_ptrIxEEEESE_SE_xNS9_4plusIvEENS9_8equal_toIxEExEE10hipError_tPvRmT2_T3_T4_T5_mT6_T7_P12ihipStream_tbENKUlT_T0_E_clISt17integral_constantIbLb0EESY_IbLb1EEEEDaSU_SV_EUlSU_E_NS1_11comp_targetILNS1_3genE10ELNS1_11target_archE1200ELNS1_3gpuE4ELNS1_3repE0EEENS1_30default_config_static_selectorELNS0_4arch9wavefront6targetE0EEEvT1_.uses_flat_scratch, 0
	.set _ZN7rocprim17ROCPRIM_400000_NS6detail17trampoline_kernelINS0_14default_configENS1_27scan_by_key_config_selectorIxxEEZZNS1_16scan_by_key_implILNS1_25lookback_scan_determinismE0ELb0ES3_N6thrust23THRUST_200600_302600_NS6detail15normal_iteratorINS9_10device_ptrIxEEEESE_SE_xNS9_4plusIvEENS9_8equal_toIxEExEE10hipError_tPvRmT2_T3_T4_T5_mT6_T7_P12ihipStream_tbENKUlT_T0_E_clISt17integral_constantIbLb0EESY_IbLb1EEEEDaSU_SV_EUlSU_E_NS1_11comp_targetILNS1_3genE10ELNS1_11target_archE1200ELNS1_3gpuE4ELNS1_3repE0EEENS1_30default_config_static_selectorELNS0_4arch9wavefront6targetE0EEEvT1_.has_dyn_sized_stack, 0
	.set _ZN7rocprim17ROCPRIM_400000_NS6detail17trampoline_kernelINS0_14default_configENS1_27scan_by_key_config_selectorIxxEEZZNS1_16scan_by_key_implILNS1_25lookback_scan_determinismE0ELb0ES3_N6thrust23THRUST_200600_302600_NS6detail15normal_iteratorINS9_10device_ptrIxEEEESE_SE_xNS9_4plusIvEENS9_8equal_toIxEExEE10hipError_tPvRmT2_T3_T4_T5_mT6_T7_P12ihipStream_tbENKUlT_T0_E_clISt17integral_constantIbLb0EESY_IbLb1EEEEDaSU_SV_EUlSU_E_NS1_11comp_targetILNS1_3genE10ELNS1_11target_archE1200ELNS1_3gpuE4ELNS1_3repE0EEENS1_30default_config_static_selectorELNS0_4arch9wavefront6targetE0EEEvT1_.has_recursion, 0
	.set _ZN7rocprim17ROCPRIM_400000_NS6detail17trampoline_kernelINS0_14default_configENS1_27scan_by_key_config_selectorIxxEEZZNS1_16scan_by_key_implILNS1_25lookback_scan_determinismE0ELb0ES3_N6thrust23THRUST_200600_302600_NS6detail15normal_iteratorINS9_10device_ptrIxEEEESE_SE_xNS9_4plusIvEENS9_8equal_toIxEExEE10hipError_tPvRmT2_T3_T4_T5_mT6_T7_P12ihipStream_tbENKUlT_T0_E_clISt17integral_constantIbLb0EESY_IbLb1EEEEDaSU_SV_EUlSU_E_NS1_11comp_targetILNS1_3genE10ELNS1_11target_archE1200ELNS1_3gpuE4ELNS1_3repE0EEENS1_30default_config_static_selectorELNS0_4arch9wavefront6targetE0EEEvT1_.has_indirect_call, 0
	.section	.AMDGPU.csdata,"",@progbits
; Kernel info:
; codeLenInByte = 0
; TotalNumSgprs: 0
; NumVgprs: 0
; ScratchSize: 0
; MemoryBound: 0
; FloatMode: 240
; IeeeMode: 1
; LDSByteSize: 0 bytes/workgroup (compile time only)
; SGPRBlocks: 0
; VGPRBlocks: 0
; NumSGPRsForWavesPerEU: 1
; NumVGPRsForWavesPerEU: 1
; Occupancy: 16
; WaveLimiterHint : 0
; COMPUTE_PGM_RSRC2:SCRATCH_EN: 0
; COMPUTE_PGM_RSRC2:USER_SGPR: 6
; COMPUTE_PGM_RSRC2:TRAP_HANDLER: 0
; COMPUTE_PGM_RSRC2:TGID_X_EN: 1
; COMPUTE_PGM_RSRC2:TGID_Y_EN: 0
; COMPUTE_PGM_RSRC2:TGID_Z_EN: 0
; COMPUTE_PGM_RSRC2:TIDIG_COMP_CNT: 0
	.section	.text._ZN7rocprim17ROCPRIM_400000_NS6detail17trampoline_kernelINS0_14default_configENS1_27scan_by_key_config_selectorIxxEEZZNS1_16scan_by_key_implILNS1_25lookback_scan_determinismE0ELb0ES3_N6thrust23THRUST_200600_302600_NS6detail15normal_iteratorINS9_10device_ptrIxEEEESE_SE_xNS9_4plusIvEENS9_8equal_toIxEExEE10hipError_tPvRmT2_T3_T4_T5_mT6_T7_P12ihipStream_tbENKUlT_T0_E_clISt17integral_constantIbLb0EESY_IbLb1EEEEDaSU_SV_EUlSU_E_NS1_11comp_targetILNS1_3genE9ELNS1_11target_archE1100ELNS1_3gpuE3ELNS1_3repE0EEENS1_30default_config_static_selectorELNS0_4arch9wavefront6targetE0EEEvT1_,"axG",@progbits,_ZN7rocprim17ROCPRIM_400000_NS6detail17trampoline_kernelINS0_14default_configENS1_27scan_by_key_config_selectorIxxEEZZNS1_16scan_by_key_implILNS1_25lookback_scan_determinismE0ELb0ES3_N6thrust23THRUST_200600_302600_NS6detail15normal_iteratorINS9_10device_ptrIxEEEESE_SE_xNS9_4plusIvEENS9_8equal_toIxEExEE10hipError_tPvRmT2_T3_T4_T5_mT6_T7_P12ihipStream_tbENKUlT_T0_E_clISt17integral_constantIbLb0EESY_IbLb1EEEEDaSU_SV_EUlSU_E_NS1_11comp_targetILNS1_3genE9ELNS1_11target_archE1100ELNS1_3gpuE3ELNS1_3repE0EEENS1_30default_config_static_selectorELNS0_4arch9wavefront6targetE0EEEvT1_,comdat
	.protected	_ZN7rocprim17ROCPRIM_400000_NS6detail17trampoline_kernelINS0_14default_configENS1_27scan_by_key_config_selectorIxxEEZZNS1_16scan_by_key_implILNS1_25lookback_scan_determinismE0ELb0ES3_N6thrust23THRUST_200600_302600_NS6detail15normal_iteratorINS9_10device_ptrIxEEEESE_SE_xNS9_4plusIvEENS9_8equal_toIxEExEE10hipError_tPvRmT2_T3_T4_T5_mT6_T7_P12ihipStream_tbENKUlT_T0_E_clISt17integral_constantIbLb0EESY_IbLb1EEEEDaSU_SV_EUlSU_E_NS1_11comp_targetILNS1_3genE9ELNS1_11target_archE1100ELNS1_3gpuE3ELNS1_3repE0EEENS1_30default_config_static_selectorELNS0_4arch9wavefront6targetE0EEEvT1_ ; -- Begin function _ZN7rocprim17ROCPRIM_400000_NS6detail17trampoline_kernelINS0_14default_configENS1_27scan_by_key_config_selectorIxxEEZZNS1_16scan_by_key_implILNS1_25lookback_scan_determinismE0ELb0ES3_N6thrust23THRUST_200600_302600_NS6detail15normal_iteratorINS9_10device_ptrIxEEEESE_SE_xNS9_4plusIvEENS9_8equal_toIxEExEE10hipError_tPvRmT2_T3_T4_T5_mT6_T7_P12ihipStream_tbENKUlT_T0_E_clISt17integral_constantIbLb0EESY_IbLb1EEEEDaSU_SV_EUlSU_E_NS1_11comp_targetILNS1_3genE9ELNS1_11target_archE1100ELNS1_3gpuE3ELNS1_3repE0EEENS1_30default_config_static_selectorELNS0_4arch9wavefront6targetE0EEEvT1_
	.globl	_ZN7rocprim17ROCPRIM_400000_NS6detail17trampoline_kernelINS0_14default_configENS1_27scan_by_key_config_selectorIxxEEZZNS1_16scan_by_key_implILNS1_25lookback_scan_determinismE0ELb0ES3_N6thrust23THRUST_200600_302600_NS6detail15normal_iteratorINS9_10device_ptrIxEEEESE_SE_xNS9_4plusIvEENS9_8equal_toIxEExEE10hipError_tPvRmT2_T3_T4_T5_mT6_T7_P12ihipStream_tbENKUlT_T0_E_clISt17integral_constantIbLb0EESY_IbLb1EEEEDaSU_SV_EUlSU_E_NS1_11comp_targetILNS1_3genE9ELNS1_11target_archE1100ELNS1_3gpuE3ELNS1_3repE0EEENS1_30default_config_static_selectorELNS0_4arch9wavefront6targetE0EEEvT1_
	.p2align	8
	.type	_ZN7rocprim17ROCPRIM_400000_NS6detail17trampoline_kernelINS0_14default_configENS1_27scan_by_key_config_selectorIxxEEZZNS1_16scan_by_key_implILNS1_25lookback_scan_determinismE0ELb0ES3_N6thrust23THRUST_200600_302600_NS6detail15normal_iteratorINS9_10device_ptrIxEEEESE_SE_xNS9_4plusIvEENS9_8equal_toIxEExEE10hipError_tPvRmT2_T3_T4_T5_mT6_T7_P12ihipStream_tbENKUlT_T0_E_clISt17integral_constantIbLb0EESY_IbLb1EEEEDaSU_SV_EUlSU_E_NS1_11comp_targetILNS1_3genE9ELNS1_11target_archE1100ELNS1_3gpuE3ELNS1_3repE0EEENS1_30default_config_static_selectorELNS0_4arch9wavefront6targetE0EEEvT1_,@function
_ZN7rocprim17ROCPRIM_400000_NS6detail17trampoline_kernelINS0_14default_configENS1_27scan_by_key_config_selectorIxxEEZZNS1_16scan_by_key_implILNS1_25lookback_scan_determinismE0ELb0ES3_N6thrust23THRUST_200600_302600_NS6detail15normal_iteratorINS9_10device_ptrIxEEEESE_SE_xNS9_4plusIvEENS9_8equal_toIxEExEE10hipError_tPvRmT2_T3_T4_T5_mT6_T7_P12ihipStream_tbENKUlT_T0_E_clISt17integral_constantIbLb0EESY_IbLb1EEEEDaSU_SV_EUlSU_E_NS1_11comp_targetILNS1_3genE9ELNS1_11target_archE1100ELNS1_3gpuE3ELNS1_3repE0EEENS1_30default_config_static_selectorELNS0_4arch9wavefront6targetE0EEEvT1_: ; @_ZN7rocprim17ROCPRIM_400000_NS6detail17trampoline_kernelINS0_14default_configENS1_27scan_by_key_config_selectorIxxEEZZNS1_16scan_by_key_implILNS1_25lookback_scan_determinismE0ELb0ES3_N6thrust23THRUST_200600_302600_NS6detail15normal_iteratorINS9_10device_ptrIxEEEESE_SE_xNS9_4plusIvEENS9_8equal_toIxEExEE10hipError_tPvRmT2_T3_T4_T5_mT6_T7_P12ihipStream_tbENKUlT_T0_E_clISt17integral_constantIbLb0EESY_IbLb1EEEEDaSU_SV_EUlSU_E_NS1_11comp_targetILNS1_3genE9ELNS1_11target_archE1100ELNS1_3gpuE3ELNS1_3repE0EEENS1_30default_config_static_selectorELNS0_4arch9wavefront6targetE0EEEvT1_
; %bb.0:
	.section	.rodata,"a",@progbits
	.p2align	6, 0x0
	.amdhsa_kernel _ZN7rocprim17ROCPRIM_400000_NS6detail17trampoline_kernelINS0_14default_configENS1_27scan_by_key_config_selectorIxxEEZZNS1_16scan_by_key_implILNS1_25lookback_scan_determinismE0ELb0ES3_N6thrust23THRUST_200600_302600_NS6detail15normal_iteratorINS9_10device_ptrIxEEEESE_SE_xNS9_4plusIvEENS9_8equal_toIxEExEE10hipError_tPvRmT2_T3_T4_T5_mT6_T7_P12ihipStream_tbENKUlT_T0_E_clISt17integral_constantIbLb0EESY_IbLb1EEEEDaSU_SV_EUlSU_E_NS1_11comp_targetILNS1_3genE9ELNS1_11target_archE1100ELNS1_3gpuE3ELNS1_3repE0EEENS1_30default_config_static_selectorELNS0_4arch9wavefront6targetE0EEEvT1_
		.amdhsa_group_segment_fixed_size 0
		.amdhsa_private_segment_fixed_size 0
		.amdhsa_kernarg_size 136
		.amdhsa_user_sgpr_count 6
		.amdhsa_user_sgpr_private_segment_buffer 1
		.amdhsa_user_sgpr_dispatch_ptr 0
		.amdhsa_user_sgpr_queue_ptr 0
		.amdhsa_user_sgpr_kernarg_segment_ptr 1
		.amdhsa_user_sgpr_dispatch_id 0
		.amdhsa_user_sgpr_flat_scratch_init 0
		.amdhsa_user_sgpr_private_segment_size 0
		.amdhsa_wavefront_size32 1
		.amdhsa_uses_dynamic_stack 0
		.amdhsa_system_sgpr_private_segment_wavefront_offset 0
		.amdhsa_system_sgpr_workgroup_id_x 1
		.amdhsa_system_sgpr_workgroup_id_y 0
		.amdhsa_system_sgpr_workgroup_id_z 0
		.amdhsa_system_sgpr_workgroup_info 0
		.amdhsa_system_vgpr_workitem_id 0
		.amdhsa_next_free_vgpr 1
		.amdhsa_next_free_sgpr 1
		.amdhsa_reserve_vcc 0
		.amdhsa_reserve_flat_scratch 0
		.amdhsa_float_round_mode_32 0
		.amdhsa_float_round_mode_16_64 0
		.amdhsa_float_denorm_mode_32 3
		.amdhsa_float_denorm_mode_16_64 3
		.amdhsa_dx10_clamp 1
		.amdhsa_ieee_mode 1
		.amdhsa_fp16_overflow 0
		.amdhsa_workgroup_processor_mode 1
		.amdhsa_memory_ordered 1
		.amdhsa_forward_progress 1
		.amdhsa_shared_vgpr_count 0
		.amdhsa_exception_fp_ieee_invalid_op 0
		.amdhsa_exception_fp_denorm_src 0
		.amdhsa_exception_fp_ieee_div_zero 0
		.amdhsa_exception_fp_ieee_overflow 0
		.amdhsa_exception_fp_ieee_underflow 0
		.amdhsa_exception_fp_ieee_inexact 0
		.amdhsa_exception_int_div_zero 0
	.end_amdhsa_kernel
	.section	.text._ZN7rocprim17ROCPRIM_400000_NS6detail17trampoline_kernelINS0_14default_configENS1_27scan_by_key_config_selectorIxxEEZZNS1_16scan_by_key_implILNS1_25lookback_scan_determinismE0ELb0ES3_N6thrust23THRUST_200600_302600_NS6detail15normal_iteratorINS9_10device_ptrIxEEEESE_SE_xNS9_4plusIvEENS9_8equal_toIxEExEE10hipError_tPvRmT2_T3_T4_T5_mT6_T7_P12ihipStream_tbENKUlT_T0_E_clISt17integral_constantIbLb0EESY_IbLb1EEEEDaSU_SV_EUlSU_E_NS1_11comp_targetILNS1_3genE9ELNS1_11target_archE1100ELNS1_3gpuE3ELNS1_3repE0EEENS1_30default_config_static_selectorELNS0_4arch9wavefront6targetE0EEEvT1_,"axG",@progbits,_ZN7rocprim17ROCPRIM_400000_NS6detail17trampoline_kernelINS0_14default_configENS1_27scan_by_key_config_selectorIxxEEZZNS1_16scan_by_key_implILNS1_25lookback_scan_determinismE0ELb0ES3_N6thrust23THRUST_200600_302600_NS6detail15normal_iteratorINS9_10device_ptrIxEEEESE_SE_xNS9_4plusIvEENS9_8equal_toIxEExEE10hipError_tPvRmT2_T3_T4_T5_mT6_T7_P12ihipStream_tbENKUlT_T0_E_clISt17integral_constantIbLb0EESY_IbLb1EEEEDaSU_SV_EUlSU_E_NS1_11comp_targetILNS1_3genE9ELNS1_11target_archE1100ELNS1_3gpuE3ELNS1_3repE0EEENS1_30default_config_static_selectorELNS0_4arch9wavefront6targetE0EEEvT1_,comdat
.Lfunc_end117:
	.size	_ZN7rocprim17ROCPRIM_400000_NS6detail17trampoline_kernelINS0_14default_configENS1_27scan_by_key_config_selectorIxxEEZZNS1_16scan_by_key_implILNS1_25lookback_scan_determinismE0ELb0ES3_N6thrust23THRUST_200600_302600_NS6detail15normal_iteratorINS9_10device_ptrIxEEEESE_SE_xNS9_4plusIvEENS9_8equal_toIxEExEE10hipError_tPvRmT2_T3_T4_T5_mT6_T7_P12ihipStream_tbENKUlT_T0_E_clISt17integral_constantIbLb0EESY_IbLb1EEEEDaSU_SV_EUlSU_E_NS1_11comp_targetILNS1_3genE9ELNS1_11target_archE1100ELNS1_3gpuE3ELNS1_3repE0EEENS1_30default_config_static_selectorELNS0_4arch9wavefront6targetE0EEEvT1_, .Lfunc_end117-_ZN7rocprim17ROCPRIM_400000_NS6detail17trampoline_kernelINS0_14default_configENS1_27scan_by_key_config_selectorIxxEEZZNS1_16scan_by_key_implILNS1_25lookback_scan_determinismE0ELb0ES3_N6thrust23THRUST_200600_302600_NS6detail15normal_iteratorINS9_10device_ptrIxEEEESE_SE_xNS9_4plusIvEENS9_8equal_toIxEExEE10hipError_tPvRmT2_T3_T4_T5_mT6_T7_P12ihipStream_tbENKUlT_T0_E_clISt17integral_constantIbLb0EESY_IbLb1EEEEDaSU_SV_EUlSU_E_NS1_11comp_targetILNS1_3genE9ELNS1_11target_archE1100ELNS1_3gpuE3ELNS1_3repE0EEENS1_30default_config_static_selectorELNS0_4arch9wavefront6targetE0EEEvT1_
                                        ; -- End function
	.set _ZN7rocprim17ROCPRIM_400000_NS6detail17trampoline_kernelINS0_14default_configENS1_27scan_by_key_config_selectorIxxEEZZNS1_16scan_by_key_implILNS1_25lookback_scan_determinismE0ELb0ES3_N6thrust23THRUST_200600_302600_NS6detail15normal_iteratorINS9_10device_ptrIxEEEESE_SE_xNS9_4plusIvEENS9_8equal_toIxEExEE10hipError_tPvRmT2_T3_T4_T5_mT6_T7_P12ihipStream_tbENKUlT_T0_E_clISt17integral_constantIbLb0EESY_IbLb1EEEEDaSU_SV_EUlSU_E_NS1_11comp_targetILNS1_3genE9ELNS1_11target_archE1100ELNS1_3gpuE3ELNS1_3repE0EEENS1_30default_config_static_selectorELNS0_4arch9wavefront6targetE0EEEvT1_.num_vgpr, 0
	.set _ZN7rocprim17ROCPRIM_400000_NS6detail17trampoline_kernelINS0_14default_configENS1_27scan_by_key_config_selectorIxxEEZZNS1_16scan_by_key_implILNS1_25lookback_scan_determinismE0ELb0ES3_N6thrust23THRUST_200600_302600_NS6detail15normal_iteratorINS9_10device_ptrIxEEEESE_SE_xNS9_4plusIvEENS9_8equal_toIxEExEE10hipError_tPvRmT2_T3_T4_T5_mT6_T7_P12ihipStream_tbENKUlT_T0_E_clISt17integral_constantIbLb0EESY_IbLb1EEEEDaSU_SV_EUlSU_E_NS1_11comp_targetILNS1_3genE9ELNS1_11target_archE1100ELNS1_3gpuE3ELNS1_3repE0EEENS1_30default_config_static_selectorELNS0_4arch9wavefront6targetE0EEEvT1_.num_agpr, 0
	.set _ZN7rocprim17ROCPRIM_400000_NS6detail17trampoline_kernelINS0_14default_configENS1_27scan_by_key_config_selectorIxxEEZZNS1_16scan_by_key_implILNS1_25lookback_scan_determinismE0ELb0ES3_N6thrust23THRUST_200600_302600_NS6detail15normal_iteratorINS9_10device_ptrIxEEEESE_SE_xNS9_4plusIvEENS9_8equal_toIxEExEE10hipError_tPvRmT2_T3_T4_T5_mT6_T7_P12ihipStream_tbENKUlT_T0_E_clISt17integral_constantIbLb0EESY_IbLb1EEEEDaSU_SV_EUlSU_E_NS1_11comp_targetILNS1_3genE9ELNS1_11target_archE1100ELNS1_3gpuE3ELNS1_3repE0EEENS1_30default_config_static_selectorELNS0_4arch9wavefront6targetE0EEEvT1_.numbered_sgpr, 0
	.set _ZN7rocprim17ROCPRIM_400000_NS6detail17trampoline_kernelINS0_14default_configENS1_27scan_by_key_config_selectorIxxEEZZNS1_16scan_by_key_implILNS1_25lookback_scan_determinismE0ELb0ES3_N6thrust23THRUST_200600_302600_NS6detail15normal_iteratorINS9_10device_ptrIxEEEESE_SE_xNS9_4plusIvEENS9_8equal_toIxEExEE10hipError_tPvRmT2_T3_T4_T5_mT6_T7_P12ihipStream_tbENKUlT_T0_E_clISt17integral_constantIbLb0EESY_IbLb1EEEEDaSU_SV_EUlSU_E_NS1_11comp_targetILNS1_3genE9ELNS1_11target_archE1100ELNS1_3gpuE3ELNS1_3repE0EEENS1_30default_config_static_selectorELNS0_4arch9wavefront6targetE0EEEvT1_.num_named_barrier, 0
	.set _ZN7rocprim17ROCPRIM_400000_NS6detail17trampoline_kernelINS0_14default_configENS1_27scan_by_key_config_selectorIxxEEZZNS1_16scan_by_key_implILNS1_25lookback_scan_determinismE0ELb0ES3_N6thrust23THRUST_200600_302600_NS6detail15normal_iteratorINS9_10device_ptrIxEEEESE_SE_xNS9_4plusIvEENS9_8equal_toIxEExEE10hipError_tPvRmT2_T3_T4_T5_mT6_T7_P12ihipStream_tbENKUlT_T0_E_clISt17integral_constantIbLb0EESY_IbLb1EEEEDaSU_SV_EUlSU_E_NS1_11comp_targetILNS1_3genE9ELNS1_11target_archE1100ELNS1_3gpuE3ELNS1_3repE0EEENS1_30default_config_static_selectorELNS0_4arch9wavefront6targetE0EEEvT1_.private_seg_size, 0
	.set _ZN7rocprim17ROCPRIM_400000_NS6detail17trampoline_kernelINS0_14default_configENS1_27scan_by_key_config_selectorIxxEEZZNS1_16scan_by_key_implILNS1_25lookback_scan_determinismE0ELb0ES3_N6thrust23THRUST_200600_302600_NS6detail15normal_iteratorINS9_10device_ptrIxEEEESE_SE_xNS9_4plusIvEENS9_8equal_toIxEExEE10hipError_tPvRmT2_T3_T4_T5_mT6_T7_P12ihipStream_tbENKUlT_T0_E_clISt17integral_constantIbLb0EESY_IbLb1EEEEDaSU_SV_EUlSU_E_NS1_11comp_targetILNS1_3genE9ELNS1_11target_archE1100ELNS1_3gpuE3ELNS1_3repE0EEENS1_30default_config_static_selectorELNS0_4arch9wavefront6targetE0EEEvT1_.uses_vcc, 0
	.set _ZN7rocprim17ROCPRIM_400000_NS6detail17trampoline_kernelINS0_14default_configENS1_27scan_by_key_config_selectorIxxEEZZNS1_16scan_by_key_implILNS1_25lookback_scan_determinismE0ELb0ES3_N6thrust23THRUST_200600_302600_NS6detail15normal_iteratorINS9_10device_ptrIxEEEESE_SE_xNS9_4plusIvEENS9_8equal_toIxEExEE10hipError_tPvRmT2_T3_T4_T5_mT6_T7_P12ihipStream_tbENKUlT_T0_E_clISt17integral_constantIbLb0EESY_IbLb1EEEEDaSU_SV_EUlSU_E_NS1_11comp_targetILNS1_3genE9ELNS1_11target_archE1100ELNS1_3gpuE3ELNS1_3repE0EEENS1_30default_config_static_selectorELNS0_4arch9wavefront6targetE0EEEvT1_.uses_flat_scratch, 0
	.set _ZN7rocprim17ROCPRIM_400000_NS6detail17trampoline_kernelINS0_14default_configENS1_27scan_by_key_config_selectorIxxEEZZNS1_16scan_by_key_implILNS1_25lookback_scan_determinismE0ELb0ES3_N6thrust23THRUST_200600_302600_NS6detail15normal_iteratorINS9_10device_ptrIxEEEESE_SE_xNS9_4plusIvEENS9_8equal_toIxEExEE10hipError_tPvRmT2_T3_T4_T5_mT6_T7_P12ihipStream_tbENKUlT_T0_E_clISt17integral_constantIbLb0EESY_IbLb1EEEEDaSU_SV_EUlSU_E_NS1_11comp_targetILNS1_3genE9ELNS1_11target_archE1100ELNS1_3gpuE3ELNS1_3repE0EEENS1_30default_config_static_selectorELNS0_4arch9wavefront6targetE0EEEvT1_.has_dyn_sized_stack, 0
	.set _ZN7rocprim17ROCPRIM_400000_NS6detail17trampoline_kernelINS0_14default_configENS1_27scan_by_key_config_selectorIxxEEZZNS1_16scan_by_key_implILNS1_25lookback_scan_determinismE0ELb0ES3_N6thrust23THRUST_200600_302600_NS6detail15normal_iteratorINS9_10device_ptrIxEEEESE_SE_xNS9_4plusIvEENS9_8equal_toIxEExEE10hipError_tPvRmT2_T3_T4_T5_mT6_T7_P12ihipStream_tbENKUlT_T0_E_clISt17integral_constantIbLb0EESY_IbLb1EEEEDaSU_SV_EUlSU_E_NS1_11comp_targetILNS1_3genE9ELNS1_11target_archE1100ELNS1_3gpuE3ELNS1_3repE0EEENS1_30default_config_static_selectorELNS0_4arch9wavefront6targetE0EEEvT1_.has_recursion, 0
	.set _ZN7rocprim17ROCPRIM_400000_NS6detail17trampoline_kernelINS0_14default_configENS1_27scan_by_key_config_selectorIxxEEZZNS1_16scan_by_key_implILNS1_25lookback_scan_determinismE0ELb0ES3_N6thrust23THRUST_200600_302600_NS6detail15normal_iteratorINS9_10device_ptrIxEEEESE_SE_xNS9_4plusIvEENS9_8equal_toIxEExEE10hipError_tPvRmT2_T3_T4_T5_mT6_T7_P12ihipStream_tbENKUlT_T0_E_clISt17integral_constantIbLb0EESY_IbLb1EEEEDaSU_SV_EUlSU_E_NS1_11comp_targetILNS1_3genE9ELNS1_11target_archE1100ELNS1_3gpuE3ELNS1_3repE0EEENS1_30default_config_static_selectorELNS0_4arch9wavefront6targetE0EEEvT1_.has_indirect_call, 0
	.section	.AMDGPU.csdata,"",@progbits
; Kernel info:
; codeLenInByte = 0
; TotalNumSgprs: 0
; NumVgprs: 0
; ScratchSize: 0
; MemoryBound: 0
; FloatMode: 240
; IeeeMode: 1
; LDSByteSize: 0 bytes/workgroup (compile time only)
; SGPRBlocks: 0
; VGPRBlocks: 0
; NumSGPRsForWavesPerEU: 1
; NumVGPRsForWavesPerEU: 1
; Occupancy: 16
; WaveLimiterHint : 0
; COMPUTE_PGM_RSRC2:SCRATCH_EN: 0
; COMPUTE_PGM_RSRC2:USER_SGPR: 6
; COMPUTE_PGM_RSRC2:TRAP_HANDLER: 0
; COMPUTE_PGM_RSRC2:TGID_X_EN: 1
; COMPUTE_PGM_RSRC2:TGID_Y_EN: 0
; COMPUTE_PGM_RSRC2:TGID_Z_EN: 0
; COMPUTE_PGM_RSRC2:TIDIG_COMP_CNT: 0
	.section	.text._ZN7rocprim17ROCPRIM_400000_NS6detail17trampoline_kernelINS0_14default_configENS1_27scan_by_key_config_selectorIxxEEZZNS1_16scan_by_key_implILNS1_25lookback_scan_determinismE0ELb0ES3_N6thrust23THRUST_200600_302600_NS6detail15normal_iteratorINS9_10device_ptrIxEEEESE_SE_xNS9_4plusIvEENS9_8equal_toIxEExEE10hipError_tPvRmT2_T3_T4_T5_mT6_T7_P12ihipStream_tbENKUlT_T0_E_clISt17integral_constantIbLb0EESY_IbLb1EEEEDaSU_SV_EUlSU_E_NS1_11comp_targetILNS1_3genE8ELNS1_11target_archE1030ELNS1_3gpuE2ELNS1_3repE0EEENS1_30default_config_static_selectorELNS0_4arch9wavefront6targetE0EEEvT1_,"axG",@progbits,_ZN7rocprim17ROCPRIM_400000_NS6detail17trampoline_kernelINS0_14default_configENS1_27scan_by_key_config_selectorIxxEEZZNS1_16scan_by_key_implILNS1_25lookback_scan_determinismE0ELb0ES3_N6thrust23THRUST_200600_302600_NS6detail15normal_iteratorINS9_10device_ptrIxEEEESE_SE_xNS9_4plusIvEENS9_8equal_toIxEExEE10hipError_tPvRmT2_T3_T4_T5_mT6_T7_P12ihipStream_tbENKUlT_T0_E_clISt17integral_constantIbLb0EESY_IbLb1EEEEDaSU_SV_EUlSU_E_NS1_11comp_targetILNS1_3genE8ELNS1_11target_archE1030ELNS1_3gpuE2ELNS1_3repE0EEENS1_30default_config_static_selectorELNS0_4arch9wavefront6targetE0EEEvT1_,comdat
	.protected	_ZN7rocprim17ROCPRIM_400000_NS6detail17trampoline_kernelINS0_14default_configENS1_27scan_by_key_config_selectorIxxEEZZNS1_16scan_by_key_implILNS1_25lookback_scan_determinismE0ELb0ES3_N6thrust23THRUST_200600_302600_NS6detail15normal_iteratorINS9_10device_ptrIxEEEESE_SE_xNS9_4plusIvEENS9_8equal_toIxEExEE10hipError_tPvRmT2_T3_T4_T5_mT6_T7_P12ihipStream_tbENKUlT_T0_E_clISt17integral_constantIbLb0EESY_IbLb1EEEEDaSU_SV_EUlSU_E_NS1_11comp_targetILNS1_3genE8ELNS1_11target_archE1030ELNS1_3gpuE2ELNS1_3repE0EEENS1_30default_config_static_selectorELNS0_4arch9wavefront6targetE0EEEvT1_ ; -- Begin function _ZN7rocprim17ROCPRIM_400000_NS6detail17trampoline_kernelINS0_14default_configENS1_27scan_by_key_config_selectorIxxEEZZNS1_16scan_by_key_implILNS1_25lookback_scan_determinismE0ELb0ES3_N6thrust23THRUST_200600_302600_NS6detail15normal_iteratorINS9_10device_ptrIxEEEESE_SE_xNS9_4plusIvEENS9_8equal_toIxEExEE10hipError_tPvRmT2_T3_T4_T5_mT6_T7_P12ihipStream_tbENKUlT_T0_E_clISt17integral_constantIbLb0EESY_IbLb1EEEEDaSU_SV_EUlSU_E_NS1_11comp_targetILNS1_3genE8ELNS1_11target_archE1030ELNS1_3gpuE2ELNS1_3repE0EEENS1_30default_config_static_selectorELNS0_4arch9wavefront6targetE0EEEvT1_
	.globl	_ZN7rocprim17ROCPRIM_400000_NS6detail17trampoline_kernelINS0_14default_configENS1_27scan_by_key_config_selectorIxxEEZZNS1_16scan_by_key_implILNS1_25lookback_scan_determinismE0ELb0ES3_N6thrust23THRUST_200600_302600_NS6detail15normal_iteratorINS9_10device_ptrIxEEEESE_SE_xNS9_4plusIvEENS9_8equal_toIxEExEE10hipError_tPvRmT2_T3_T4_T5_mT6_T7_P12ihipStream_tbENKUlT_T0_E_clISt17integral_constantIbLb0EESY_IbLb1EEEEDaSU_SV_EUlSU_E_NS1_11comp_targetILNS1_3genE8ELNS1_11target_archE1030ELNS1_3gpuE2ELNS1_3repE0EEENS1_30default_config_static_selectorELNS0_4arch9wavefront6targetE0EEEvT1_
	.p2align	8
	.type	_ZN7rocprim17ROCPRIM_400000_NS6detail17trampoline_kernelINS0_14default_configENS1_27scan_by_key_config_selectorIxxEEZZNS1_16scan_by_key_implILNS1_25lookback_scan_determinismE0ELb0ES3_N6thrust23THRUST_200600_302600_NS6detail15normal_iteratorINS9_10device_ptrIxEEEESE_SE_xNS9_4plusIvEENS9_8equal_toIxEExEE10hipError_tPvRmT2_T3_T4_T5_mT6_T7_P12ihipStream_tbENKUlT_T0_E_clISt17integral_constantIbLb0EESY_IbLb1EEEEDaSU_SV_EUlSU_E_NS1_11comp_targetILNS1_3genE8ELNS1_11target_archE1030ELNS1_3gpuE2ELNS1_3repE0EEENS1_30default_config_static_selectorELNS0_4arch9wavefront6targetE0EEEvT1_,@function
_ZN7rocprim17ROCPRIM_400000_NS6detail17trampoline_kernelINS0_14default_configENS1_27scan_by_key_config_selectorIxxEEZZNS1_16scan_by_key_implILNS1_25lookback_scan_determinismE0ELb0ES3_N6thrust23THRUST_200600_302600_NS6detail15normal_iteratorINS9_10device_ptrIxEEEESE_SE_xNS9_4plusIvEENS9_8equal_toIxEExEE10hipError_tPvRmT2_T3_T4_T5_mT6_T7_P12ihipStream_tbENKUlT_T0_E_clISt17integral_constantIbLb0EESY_IbLb1EEEEDaSU_SV_EUlSU_E_NS1_11comp_targetILNS1_3genE8ELNS1_11target_archE1030ELNS1_3gpuE2ELNS1_3repE0EEENS1_30default_config_static_selectorELNS0_4arch9wavefront6targetE0EEEvT1_: ; @_ZN7rocprim17ROCPRIM_400000_NS6detail17trampoline_kernelINS0_14default_configENS1_27scan_by_key_config_selectorIxxEEZZNS1_16scan_by_key_implILNS1_25lookback_scan_determinismE0ELb0ES3_N6thrust23THRUST_200600_302600_NS6detail15normal_iteratorINS9_10device_ptrIxEEEESE_SE_xNS9_4plusIvEENS9_8equal_toIxEExEE10hipError_tPvRmT2_T3_T4_T5_mT6_T7_P12ihipStream_tbENKUlT_T0_E_clISt17integral_constantIbLb0EESY_IbLb1EEEEDaSU_SV_EUlSU_E_NS1_11comp_targetILNS1_3genE8ELNS1_11target_archE1030ELNS1_3gpuE2ELNS1_3repE0EEENS1_30default_config_static_selectorELNS0_4arch9wavefront6targetE0EEEvT1_
; %bb.0:
	s_clause 0x1
	s_load_dwordx8 s[20:27], s[4:5], 0x30
	s_load_dwordx2 s[34:35], s[4:5], 0x50
	v_cmp_ne_u32_e64 s1, 0, v0
	v_cmp_eq_u32_e64 s0, 0, v0
	s_and_saveexec_b32 s2, s0
	s_cbranch_execz .LBB118_4
; %bb.1:
	s_mov_b32 s6, exec_lo
	s_mov_b32 s3, exec_lo
	v_mbcnt_lo_u32_b32 v1, s6, 0
                                        ; implicit-def: $vgpr2
	v_cmpx_eq_u32_e32 0, v1
	s_cbranch_execz .LBB118_3
; %bb.2:
	s_load_dwordx2 s[8:9], s[4:5], 0x80
	s_bcnt1_i32_b32 s6, s6
	v_mov_b32_e32 v2, 0
	v_mov_b32_e32 v3, s6
	s_waitcnt lgkmcnt(0)
	global_atomic_add v2, v2, v3, s[8:9] glc
.LBB118_3:
	s_or_b32 exec_lo, exec_lo, s3
	s_waitcnt vmcnt(0)
	v_readfirstlane_b32 s3, v2
	v_mov_b32_e32 v2, 0
	v_add_nc_u32_e32 v1, s3, v1
	ds_write_b32 v2, v1
.LBB118_4:
	s_or_b32 exec_lo, exec_lo, s2
	v_mov_b32_e32 v1, 0
	s_clause 0x2
	s_load_dwordx8 s[12:19], s[4:5], 0x0
	s_load_dword s6, s[4:5], 0x58
	s_load_dwordx8 s[36:43], s[4:5], 0x60
	s_waitcnt lgkmcnt(0)
	s_barrier
	buffer_gl0_inv
	ds_read_b32 v1, v1
	s_waitcnt lgkmcnt(0)
	s_barrier
	buffer_gl0_inv
	s_barrier
	buffer_gl0_inv
	s_lshl_b64 s[28:29], s[14:15], 3
	s_mul_i32 s2, s35, s6
	s_add_u32 s4, s12, s28
	s_addc_u32 s5, s13, s29
	s_mul_hi_u32 s3, s34, s6
	s_add_u32 s7, s16, s28
	v_readfirstlane_b32 s44, v1
	s_addc_u32 s8, s17, s29
	s_add_i32 s9, s3, s2
	s_cmp_lg_u64 s[40:41], 0
	s_mov_b32 s3, 0
	s_mul_i32 s2, s44, 0xd00
	s_cselect_b32 s46, -1, 0
	s_lshl_b64 s[30:31], s[2:3], 3
	s_mul_i32 s2, s34, s6
	s_add_u32 s16, s4, s30
	s_addc_u32 s17, s5, s31
	s_add_u32 s15, s7, s30
	s_addc_u32 s45, s8, s31
	;; [unrolled: 2-line block ×3, first 2 shown]
	s_add_u32 s4, s36, -1
	s_addc_u32 s5, s37, -1
	s_mul_i32 s33, s4, 0xfffff300
	v_cmp_ge_u64_e64 s27, s[40:41], s[4:5]
	s_and_b32 vcc_lo, exec_lo, s27
	s_cbranch_vccz .LBB118_76
; %bb.5:
	v_mov_b32_e32 v1, s16
	v_mov_b32_e32 v2, s17
	s_add_i32 s47, s33, s26
	v_cmp_gt_u32_e64 s2, s47, v0
	flat_load_dwordx2 v[1:2], v[1:2]
	s_waitcnt vmcnt(0) lgkmcnt(0)
	v_mov_b32_e32 v4, v2
	v_mov_b32_e32 v3, v1
	s_and_saveexec_b32 s3, s2
	s_cbranch_execz .LBB118_7
; %bb.6:
	v_lshlrev_b32_e32 v3, 3, v0
	v_add_co_u32 v3, s4, s16, v3
	v_add_co_ci_u32_e64 v4, null, s17, 0, s4
	flat_load_dwordx2 v[3:4], v[3:4]
.LBB118_7:
	s_or_b32 exec_lo, exec_lo, s3
	v_or_b32_e32 v5, 0x100, v0
	v_cmp_gt_u32_e64 s3, s47, v5
	v_lshlrev_b32_e32 v27, 3, v5
	v_mov_b32_e32 v6, v2
	v_mov_b32_e32 v5, v1
	s_and_saveexec_b32 s4, s3
	s_cbranch_execz .LBB118_9
; %bb.8:
	v_add_co_u32 v5, s5, s16, v27
	v_add_co_ci_u32_e64 v6, null, s17, 0, s5
	flat_load_dwordx2 v[5:6], v[5:6]
.LBB118_9:
	s_or_b32 exec_lo, exec_lo, s4
	v_or_b32_e32 v7, 0x200, v0
	v_cmp_gt_u32_e64 s4, s47, v7
	v_lshlrev_b32_e32 v28, 3, v7
	v_mov_b32_e32 v8, v2
	v_mov_b32_e32 v7, v1
	s_and_saveexec_b32 s5, s4
	s_cbranch_execz .LBB118_11
; %bb.10:
	v_add_co_u32 v7, s6, s16, v28
	v_add_co_ci_u32_e64 v8, null, s17, 0, s6
	flat_load_dwordx2 v[7:8], v[7:8]
.LBB118_11:
	;; [unrolled: 13-line block ×11, first 2 shown]
	s_or_b32 exec_lo, exec_lo, s14
	v_or_b32_e32 v38, 0xc00, v0
	v_cmp_gt_u32_e64 s14, s47, v38
	v_lshlrev_b32_e32 v38, 3, v38
	s_and_saveexec_b32 s36, s14
	s_cbranch_execz .LBB118_31
; %bb.30:
	v_add_co_u32 v1, s37, s16, v38
	v_add_co_ci_u32_e64 v2, null, s17, 0, s37
	flat_load_dwordx2 v[1:2], v[1:2]
.LBB118_31:
	s_or_b32 exec_lo, exec_lo, s36
	v_lshlrev_b32_e32 v39, 3, v0
	s_cmp_eq_u64 s[40:41], 0
	s_mov_b64 s[36:37], s[16:17]
	s_waitcnt vmcnt(0) lgkmcnt(0)
	ds_write2st64_b64 v39, v[3:4], v[5:6] offset1:4
	ds_write2st64_b64 v39, v[7:8], v[9:10] offset0:8 offset1:12
	ds_write2st64_b64 v39, v[11:12], v[13:14] offset0:16 offset1:20
	;; [unrolled: 1-line block ×5, first 2 shown]
	v_mad_u32_u24 v101, 0x60, v0, v39
	ds_write_b64 v39, v[1:2] offset:24576
	s_waitcnt lgkmcnt(0)
	s_barrier
	buffer_gl0_inv
	ds_read2_b64 v[65:68], v101 offset0:2 offset1:3
	ds_read2_b64 v[57:60], v101 offset0:3 offset1:4
	ds_read2_b64 v[69:72], v101 offset1:1
	ds_read2_b64 v[73:76], v101 offset0:1 offset1:2
	ds_read2_b64 v[49:52], v101 offset0:7 offset1:8
	;; [unrolled: 1-line block ×5, first 2 shown]
	s_cbranch_scc1 .LBB118_35
; %bb.32:
	s_andn2_b32 vcc_lo, exec_lo, s46
	s_cbranch_vccnz .LBB118_241
; %bb.33:
	s_lshl_b64 s[36:37], s[40:41], 3
	s_add_u32 s36, s42, s36
	s_addc_u32 s37, s43, s37
	s_add_u32 s36, s36, -8
	s_addc_u32 s37, s37, -1
	s_cbranch_execnz .LBB118_35
.LBB118_34:
	s_add_u32 s36, s16, -8
	s_addc_u32 s37, s17, -1
.LBB118_35:
	v_mov_b32_e32 v1, s36
	v_mov_b32_e32 v2, s37
	flat_load_dwordx2 v[11:12], v[1:2]
	v_mad_i32_i24 v1, 0xffffffa0, v0, v101
	s_waitcnt lgkmcnt(1)
	ds_write_b64 v1, v[47:48] offset:26624
	s_waitcnt vmcnt(0) lgkmcnt(0)
	s_barrier
	buffer_gl0_inv
	s_and_saveexec_b32 s36, s1
; %bb.36:
	v_mul_i32_i24_e32 v1, 0xffffffa0, v0
	v_add_nc_u32_e32 v1, v101, v1
	ds_read_b64 v[11:12], v1 offset:26616
; %bb.37:
	s_or_b32 exec_lo, exec_lo, s36
	s_waitcnt lgkmcnt(0)
	s_barrier
	buffer_gl0_inv
                                        ; implicit-def: $vgpr1_vgpr2
	s_and_saveexec_b32 s36, s2
	s_cbranch_execnz .LBB118_229
; %bb.38:
	s_or_b32 exec_lo, exec_lo, s36
                                        ; implicit-def: $vgpr3_vgpr4
	s_and_saveexec_b32 s2, s3
	s_cbranch_execnz .LBB118_230
.LBB118_39:
	s_or_b32 exec_lo, exec_lo, s2
                                        ; implicit-def: $vgpr5_vgpr6
	s_and_saveexec_b32 s2, s4
	s_cbranch_execnz .LBB118_231
.LBB118_40:
	s_or_b32 exec_lo, exec_lo, s2
                                        ; implicit-def: $vgpr7_vgpr8
	s_and_saveexec_b32 s2, s5
	s_cbranch_execnz .LBB118_232
.LBB118_41:
	s_or_b32 exec_lo, exec_lo, s2
                                        ; implicit-def: $vgpr9_vgpr10
	s_and_saveexec_b32 s2, s6
	s_cbranch_execnz .LBB118_233
.LBB118_42:
	s_or_b32 exec_lo, exec_lo, s2
                                        ; implicit-def: $vgpr13_vgpr14
	s_and_saveexec_b32 s2, s7
	s_cbranch_execnz .LBB118_234
.LBB118_43:
	s_or_b32 exec_lo, exec_lo, s2
                                        ; implicit-def: $vgpr15_vgpr16
	s_and_saveexec_b32 s2, s8
	s_cbranch_execnz .LBB118_235
.LBB118_44:
	s_or_b32 exec_lo, exec_lo, s2
                                        ; implicit-def: $vgpr17_vgpr18
	s_and_saveexec_b32 s2, s9
	s_cbranch_execnz .LBB118_236
.LBB118_45:
	s_or_b32 exec_lo, exec_lo, s2
                                        ; implicit-def: $vgpr19_vgpr20
	s_and_saveexec_b32 s2, s10
	s_cbranch_execnz .LBB118_237
.LBB118_46:
	s_or_b32 exec_lo, exec_lo, s2
                                        ; implicit-def: $vgpr21_vgpr22
	s_and_saveexec_b32 s2, s11
	s_cbranch_execnz .LBB118_238
.LBB118_47:
	s_or_b32 exec_lo, exec_lo, s2
                                        ; implicit-def: $vgpr23_vgpr24
	s_and_saveexec_b32 s2, s12
	s_cbranch_execnz .LBB118_239
.LBB118_48:
	s_or_b32 exec_lo, exec_lo, s2
                                        ; implicit-def: $vgpr25_vgpr26
	s_and_saveexec_b32 s2, s13
	s_cbranch_execnz .LBB118_240
.LBB118_49:
	s_or_b32 exec_lo, exec_lo, s2
                                        ; implicit-def: $vgpr27_vgpr28
	s_and_saveexec_b32 s2, s14
	s_cbranch_execz .LBB118_51
.LBB118_50:
	v_add_co_u32 v27, s3, s15, v38
	v_add_co_ci_u32_e64 v28, null, s45, 0, s3
	flat_load_dwordx2 v[27:28], v[27:28]
.LBB118_51:
	s_or_b32 exec_lo, exec_lo, s2
	v_mul_u32_u24_e32 v104, 13, v0
	s_waitcnt vmcnt(0) lgkmcnt(0)
	ds_write2st64_b64 v39, v[1:2], v[3:4] offset1:4
	ds_write2st64_b64 v39, v[5:6], v[7:8] offset0:8 offset1:12
	ds_write2st64_b64 v39, v[9:10], v[13:14] offset0:16 offset1:20
	;; [unrolled: 1-line block ×5, first 2 shown]
	ds_write_b64 v39, v[27:28] offset:24576
	v_mov_b32_e32 v5, 0
	v_mov_b32_e32 v29, 0
	;; [unrolled: 1-line block ×22, first 2 shown]
	v_cmp_gt_u32_e32 vcc_lo, s47, v104
	v_mov_b32_e32 v99, 0
	v_mov_b32_e32 v6, 0
	;; [unrolled: 1-line block ×45, first 2 shown]
	s_mov_b32 s6, 0
	s_mov_b32 s3, 0
	s_waitcnt lgkmcnt(0)
	s_barrier
	buffer_gl0_inv
                                        ; implicit-def: $sgpr7
                                        ; implicit-def: $vgpr35_vgpr36
	s_and_saveexec_b32 s8, vcc_lo
	s_cbranch_execz .LBB118_75
; %bb.52:
	ds_read_b64 v[1:2], v101
	v_add_nc_u32_e32 v3, 1, v104
	v_mov_b32_e32 v5, 0
	v_mov_b32_e32 v29, 0
	;; [unrolled: 1-line block ×4, first 2 shown]
	v_cmp_gt_u32_e64 s2, s47, v3
	v_mov_b32_e32 v31, 0
	v_mov_b32_e32 v39, 0
	;; [unrolled: 1-line block ×59, first 2 shown]
	v_cmp_ne_u64_e32 vcc_lo, v[11:12], v[69:70]
                                        ; implicit-def: $sgpr7
                                        ; implicit-def: $vgpr35_vgpr36
	s_and_saveexec_b32 s9, s2
	s_cbranch_execz .LBB118_74
; %bb.53:
	ds_read2_b64 v[9:12], v101 offset0:1 offset1:2
	v_cmp_ne_u64_e64 s2, v[71:72], v[75:76]
	v_cmp_ne_u64_e64 s4, v[69:70], v[73:74]
	v_add_nc_u32_e32 v5, 2, v104
	v_cmp_ne_u64_e64 s3, v[67:68], v[59:60]
	v_mov_b32_e32 v29, 0
	v_mov_b32_e32 v27, 0
	v_cndmask_b32_e64 v3, 0, 1, s2
	v_cmp_ne_u64_e64 s2, v[65:66], v[57:58]
	v_cndmask_b32_e64 v4, 0, 1, s4
	v_cmp_gt_u32_e64 s4, s47, v5
	v_mov_b32_e32 v5, 0
	v_mov_b32_e32 v33, 0
	;; [unrolled: 1-line block ×17, first 2 shown]
	v_lshlrev_b16 v3, 8, v3
	v_mov_b32_e32 v99, 0
	v_mov_b32_e32 v6, 0
	;; [unrolled: 1-line block ×38, first 2 shown]
	s_mov_b32 s5, 0
                                        ; implicit-def: $sgpr7
                                        ; implicit-def: $vgpr35_vgpr36
	s_and_saveexec_b32 s10, s4
	s_cbranch_execz .LBB118_73
; %bb.54:
	v_cndmask_b32_e64 v7, 0, 1, s3
	v_cndmask_b32_e64 v8, 0, 1, s2
	v_add_nc_u32_e32 v13, 3, v104
	v_mov_b32_e32 v5, 0
	v_mov_b32_e32 v29, 0
	v_lshlrev_b16 v7, 8, v7
	v_mov_b32_e32 v27, 0
	v_mov_b32_e32 v33, 0
	;; [unrolled: 1-line block ×4, first 2 shown]
	v_or_b32_e32 v53, v8, v7
	v_mov_b32_e32 v37, 0
	v_mov_b32_e32 v55, 0
	v_cmp_gt_u32_e64 s2, s47, v13
	v_mov_b32_e32 v77, 0
	v_lshlrev_b32_e32 v54, 16, v53
	v_mov_b32_e32 v25, 0
	v_mov_b32_e32 v79, 0
	;; [unrolled: 1-line block ×4, first 2 shown]
	v_or_b32_sdwa v7, v3, v54 dst_sel:DWORD dst_unused:UNUSED_PAD src0_sel:WORD_0 src1_sel:DWORD
	v_mov_b32_e32 v17, 0
	v_mov_b32_e32 v19, 0
	;; [unrolled: 1-line block ×4, first 2 shown]
	v_lshrrev_b32_e32 v93, 8, v7
	v_mov_b32_e32 v7, 0
	v_mov_b32_e32 v6, 0
	;; [unrolled: 1-line block ×34, first 2 shown]
	s_mov_b32 s3, 0
                                        ; implicit-def: $sgpr7
                                        ; implicit-def: $vgpr35_vgpr36
	s_and_saveexec_b32 s11, s2
	s_cbranch_execz .LBB118_72
; %bb.55:
	ds_read2_b64 v[13:16], v101 offset0:3 offset1:4
	v_add_nc_u32_e32 v7, 4, v104
	v_mov_b32_e32 v5, 0
	v_mov_b32_e32 v29, 0
	;; [unrolled: 1-line block ×4, first 2 shown]
	v_cmp_gt_u32_e64 s2, s47, v7
	v_mov_b32_e32 v31, 0
	v_mov_b32_e32 v39, 0
	;; [unrolled: 1-line block ×41, first 2 shown]
                                        ; implicit-def: $sgpr7
                                        ; implicit-def: $vgpr35_vgpr36
	s_and_saveexec_b32 s12, s2
	s_cbranch_execz .LBB118_71
; %bb.56:
	v_add_nc_u32_e32 v7, 5, v104
	v_mov_b32_e32 v5, 0
	v_mov_b32_e32 v29, 0
	;; [unrolled: 1-line block ×4, first 2 shown]
	v_cmp_gt_u32_e64 s2, s47, v7
	v_mov_b32_e32 v31, 0
	v_mov_b32_e32 v39, 0
	;; [unrolled: 1-line block ×34, first 2 shown]
                                        ; implicit-def: $sgpr7
                                        ; implicit-def: $vgpr35_vgpr36
	s_and_saveexec_b32 s13, s2
	s_cbranch_execz .LBB118_70
; %bb.57:
	ds_read2_b64 v[17:20], v101 offset0:5 offset1:6
	v_cmp_ne_u64_e64 s2, v[61:62], v[63:64]
	v_cmp_ne_u64_e64 s4, v[59:60], v[61:62]
	v_add_nc_u32_e32 v6, 6, v104
	v_cmp_ne_u64_e64 s3, v[49:50], v[51:52]
	v_mov_b32_e32 v29, 0
	v_mov_b32_e32 v27, 0
	v_cndmask_b32_e64 v5, 0, 1, s2
	v_cmp_ne_u64_e64 s2, v[63:64], v[49:50]
	v_cndmask_b32_e64 v38, 0, 1, s4
	v_cmp_gt_u32_e64 s4, s47, v6
	v_mov_b32_e32 v33, 0
	v_lshlrev_b16 v37, 8, v5
	v_mov_b32_e32 v5, 0
	v_mov_b32_e32 v31, 0
	;; [unrolled: 1-line block ×30, first 2 shown]
                                        ; implicit-def: $sgpr7
                                        ; implicit-def: $vgpr35_vgpr36
	s_and_saveexec_b32 s14, s4
	s_cbranch_execz .LBB118_69
; %bb.58:
	v_cndmask_b32_e64 v5, 0, 1, s3
	v_cndmask_b32_e64 v7, 0, 1, s2
	v_mov_b32_e32 v29, 0
	v_mov_b32_e32 v27, 0
	;; [unrolled: 1-line block ×3, first 2 shown]
	v_lshlrev_b16 v8, 8, v5
	v_mov_b32_e32 v5, 0
	v_mov_b32_e32 v77, 0
	v_mov_b32_e32 v25, 0
	v_mov_b32_e32 v79, 0
	v_or_b32_e32 v31, v7, v8
	v_mov_b32_e32 v7, 0
	v_mov_b32_e32 v21, 0
	v_add_nc_u32_e32 v23, 7, v104
	v_mov_b32_e32 v98, 0
	v_lshlrev_b32_e32 v32, 16, v31
	v_mov_b32_e32 v6, 0
	v_mov_b32_e32 v97, 0
	v_mov_b32_e32 v94, 0
	v_mov_b32_e32 v96, 0
	v_or_b32_sdwa v24, v37, v32 dst_sel:DWORD dst_unused:UNUSED_PAD src0_sel:WORD_0 src1_sel:DWORD
	v_mov_b32_e32 v30, 0
	v_mov_b32_e32 v28, 0
	;; [unrolled: 1-line block ×11, first 2 shown]
	v_lshrrev_b32_e32 v95, 8, v24
	v_mov_b32_e32 v83, 0
	s_mov_b32 s3, 0
	s_mov_b32 s36, exec_lo
                                        ; implicit-def: $sgpr7
                                        ; implicit-def: $vgpr35_vgpr36
	v_cmpx_gt_u32_e64 s47, v23
	s_cbranch_execz .LBB118_68
; %bb.59:
	ds_read2_b64 v[21:24], v101 offset0:7 offset1:8
	v_add_nc_u32_e32 v7, 8, v104
	v_mov_b32_e32 v5, 0
	v_mov_b32_e32 v29, 0
	;; [unrolled: 1-line block ×4, first 2 shown]
	v_cmp_gt_u32_e64 s2, s47, v7
	v_mov_b32_e32 v7, 0
	v_mov_b32_e32 v25, 0
	v_mov_b32_e32 v79, 0
	v_mov_b32_e32 v97, 0
	v_mov_b32_e32 v6, 0
	v_mov_b32_e32 v94, 0
	v_mov_b32_e32 v96, 0
	v_mov_b32_e32 v30, 0
	v_mov_b32_e32 v28, 0
	v_mov_b32_e32 v81, 0
	v_mov_b32_e32 v8, 0
	v_mov_b32_e32 v82, 0
	v_mov_b32_e32 v78, 0
	v_mov_b32_e32 v26, 0
	v_mov_b32_e32 v80, 0
	v_mov_b32_e32 v83, 0
                                        ; implicit-def: $sgpr7
                                        ; implicit-def: $vgpr35_vgpr36
	s_and_saveexec_b32 s37, s2
	s_cbranch_execz .LBB118_67
; %bb.60:
	v_add_nc_u32_e32 v7, 9, v104
	v_mov_b32_e32 v5, 0
	v_mov_b32_e32 v29, 0
	;; [unrolled: 1-line block ×4, first 2 shown]
	v_cmp_gt_u32_e64 s2, s47, v7
	v_mov_b32_e32 v7, 0
	v_mov_b32_e32 v6, 0
	;; [unrolled: 1-line block ×10, first 2 shown]
                                        ; implicit-def: $sgpr7
                                        ; implicit-def: $vgpr35_vgpr36
	s_and_saveexec_b32 s48, s2
	s_cbranch_execz .LBB118_66
; %bb.61:
	ds_read2_b64 v[25:28], v101 offset0:9 offset1:10
	v_add_nc_u32_e32 v5, 10, v104
	v_cmp_ne_u64_e64 s2, v[51:52], v[41:42]
	v_mov_b32_e32 v7, 0
	v_mov_b32_e32 v77, 0
	;; [unrolled: 1-line block ×3, first 2 shown]
	v_cmp_gt_u32_e64 s3, s47, v5
	v_mov_b32_e32 v5, 0
	v_mov_b32_e32 v6, 0
	;; [unrolled: 1-line block ×5, first 2 shown]
	s_mov_b32 s4, 0
                                        ; implicit-def: $sgpr7
                                        ; implicit-def: $vgpr35_vgpr36
	s_and_saveexec_b32 s49, s3
	s_cbranch_execz .LBB118_65
; %bb.62:
	v_cmp_ne_u64_e64 s3, v[41:42], v[43:44]
	v_mov_b32_e32 v7, 0
	v_add_nc_u32_e32 v5, 11, v104
	v_mov_b32_e32 v8, 0
	v_mov_b32_e32 v81, 0
	s_mov_b32 s50, exec_lo
                                        ; implicit-def: $sgpr7
                                        ; implicit-def: $vgpr35_vgpr36
	v_cmpx_gt_u32_e64 s47, v5
	s_xor_b32 s50, exec_lo, s50
	s_cbranch_execz .LBB118_64
; %bb.63:
	ds_read2_b64 v[33:36], v101 offset0:11 offset1:12
	v_add_nc_u32_e32 v5, 12, v104
	v_cmp_ne_u64_e64 s5, v[43:44], v[45:46]
	v_cmp_ne_u64_e64 s7, v[45:46], v[47:48]
	v_cmp_gt_u32_e64 s4, s47, v5
	v_cndmask_b32_e64 v81, 0, 1, s5
	s_and_b32 s5, s4, exec_lo
	s_waitcnt lgkmcnt(0)
	v_mov_b32_e32 v7, v33
	v_mov_b32_e32 v8, v34
.LBB118_64:
	s_or_b32 exec_lo, exec_lo, s50
	s_waitcnt lgkmcnt(0)
	v_mov_b32_e32 v5, v27
	v_mov_b32_e32 v78, v28
	v_cndmask_b32_e64 v94, 0, 1, s3
	v_mov_b32_e32 v6, v28
	v_mov_b32_e32 v77, v27
	s_and_b32 s4, s5, exec_lo
.LBB118_65:
	s_or_b32 exec_lo, exec_lo, s49
	v_cndmask_b32_e64 v96, 0, 1, s2
	s_waitcnt lgkmcnt(0)
	v_mov_b32_e32 v30, v26
	v_mov_b32_e32 v29, v25
	s_and_b32 s3, s4, exec_lo
	v_mov_b32_e32 v83, v96
.LBB118_66:
	s_or_b32 exec_lo, exec_lo, s48
	s_waitcnt lgkmcnt(0)
	v_mov_b32_e32 v28, v24
	v_mov_b32_e32 v80, v24
	v_lshrrev_b32_e32 v97, 24, v32
	v_mov_b32_e32 v27, v23
	v_mov_b32_e32 v82, v94
	;; [unrolled: 1-line block ×3, first 2 shown]
	s_and_b32 s3, s3, exec_lo
.LBB118_67:
	s_or_b32 exec_lo, exec_lo, s37
	s_waitcnt lgkmcnt(0)
	v_mov_b32_e32 v34, v22
	v_mov_b32_e32 v98, v31
	v_mov_b32_e32 v33, v21
	v_mov_b32_e32 v84, v97
	s_and_b32 s3, s3, exec_lo
.LBB118_68:
	s_or_b32 exec_lo, exec_lo, s36
	s_waitcnt lgkmcnt(0)
	v_mov_b32_e32 v32, v20
	v_mov_b32_e32 v24, v20
	v_mov_b32_e32 v31, v19
	v_mov_b32_e32 v86, v95
	v_mov_b32_e32 v85, v98
	v_mov_b32_e32 v23, v19
	s_and_b32 s5, s3, exec_lo
.LBB118_69:
	s_or_b32 exec_lo, exec_lo, s14
	s_waitcnt lgkmcnt(0)
	v_mov_b32_e32 v40, v18
	v_or_b32_e32 v99, v38, v37
	v_mov_b32_e32 v39, v17
	s_and_b32 s3, s5, exec_lo
.LBB118_70:
	s_or_b32 exec_lo, exec_lo, s13
	v_lshrrev_b32_e32 v100, 24, v54
	s_waitcnt lgkmcnt(0)
	v_mov_b32_e32 v38, v16
	v_mov_b32_e32 v20, v16
	;; [unrolled: 1-line block ×6, first 2 shown]
	s_and_b32 s3, s3, exec_lo
.LBB118_71:
	s_or_b32 exec_lo, exec_lo, s12
	s_waitcnt lgkmcnt(0)
	v_mov_b32_e32 v56, v14
	v_mov_b32_e32 v102, v53
	v_mov_b32_e32 v55, v13
	v_mov_b32_e32 v90, v53
	s_and_b32 s3, s3, exec_lo
.LBB118_72:
	s_or_b32 exec_lo, exec_lo, s11
	s_waitcnt lgkmcnt(0)
	v_mov_b32_e32 v54, v12
	v_mov_b32_e32 v16, v12
	;; [unrolled: 1-line block ×5, first 2 shown]
	s_and_b32 s5, s3, exec_lo
.LBB118_73:
	s_or_b32 exec_lo, exec_lo, s10
	v_or_b32_e32 v103, v4, v3
	s_waitcnt lgkmcnt(0)
	v_mov_b32_e32 v3, v9
	v_mov_b32_e32 v4, v10
	s_and_b32 s3, s5, exec_lo
	v_mov_b32_e32 v92, v103
.LBB118_74:
	s_or_b32 exec_lo, exec_lo, s9
	v_cndmask_b32_e64 v105, 0, 1, vcc_lo
	s_and_b32 s3, s3, exec_lo
	v_mov_b32_e32 v87, v105
.LBB118_75:
	s_or_b32 exec_lo, exec_lo, s8
	v_lshlrev_b32_e32 v57, 3, v0
	s_and_b32 vcc_lo, exec_lo, s6
	s_cbranch_vccnz .LBB118_77
	s_branch .LBB118_85
.LBB118_76:
                                        ; implicit-def: $sgpr7
                                        ; implicit-def: $vgpr99
                                        ; implicit-def: $vgpr95
                                        ; implicit-def: $vgpr98
                                        ; implicit-def: $vgpr97
                                        ; implicit-def: $vgpr103
                                        ; implicit-def: $vgpr93
                                        ; implicit-def: $vgpr102
                                        ; implicit-def: $vgpr100
                                        ; implicit-def: $vgpr35_vgpr36
                                        ; implicit-def: $vgpr94
                                        ; implicit-def: $vgpr5_vgpr6
                                        ; implicit-def: $vgpr96
                                        ; implicit-def: $vgpr29_vgpr30
                                        ; implicit-def: $vgpr33_vgpr34
                                        ; implicit-def: $vgpr39_vgpr40
                                        ; implicit-def: $vgpr55_vgpr56
                                        ; implicit-def: $vgpr3_vgpr4
                                        ; implicit-def: $vgpr105
                                        ; implicit-def: $vgpr88
                                        ; implicit-def: $vgpr86
                                        ; implicit-def: $vgpr85
                                        ; implicit-def: $vgpr84
                                        ; implicit-def: $vgpr92
                                        ; implicit-def: $vgpr91
                                        ; implicit-def: $vgpr90
                                        ; implicit-def: $vgpr89
                                        ; implicit-def: $vgpr81
                                        ; implicit-def: $vgpr82
                                        ; implicit-def: $vgpr77_vgpr78
                                        ; implicit-def: $vgpr83
                                        ; implicit-def: $vgpr25_vgpr26
                                        ; implicit-def: $vgpr79_vgpr80
                                        ; implicit-def: $vgpr21_vgpr22
                                        ; implicit-def: $vgpr23_vgpr24
                                        ; implicit-def: $vgpr17_vgpr18
                                        ; implicit-def: $vgpr19_vgpr20
                                        ; implicit-def: $vgpr13_vgpr14
                                        ; implicit-def: $vgpr15_vgpr16
                                        ; implicit-def: $vgpr9_vgpr10
                                        ; implicit-def: $vgpr87
	v_lshlrev_b32_e32 v57, 3, v0
	s_cbranch_execz .LBB118_85
.LBB118_77:
	s_waitcnt lgkmcnt(0)
	v_add_co_u32 v1, s2, s16, v57
	v_add_co_ci_u32_e64 v2, null, s17, 0, s2
	v_mad_u32_u24 v35, 0x60, v0, v57
	v_add_co_u32 v3, vcc_lo, 0x800, v1
	v_add_co_ci_u32_e64 v4, null, 0, v2, vcc_lo
	v_add_co_u32 v5, vcc_lo, 0x1000, v1
	v_add_co_ci_u32_e64 v6, null, 0, v2, vcc_lo
	;; [unrolled: 2-line block ×10, first 2 shown]
	v_add_co_u32 v25, vcc_lo, 0x5800, v1
	s_clause 0x7
	flat_load_dwordx2 v[17:18], v[1:2]
	flat_load_dwordx2 v[3:4], v[3:4]
	flat_load_dwordx2 v[5:6], v[5:6]
	flat_load_dwordx2 v[7:8], v[7:8]
	flat_load_dwordx2 v[9:10], v[9:10]
	flat_load_dwordx2 v[11:12], v[11:12]
	flat_load_dwordx2 v[13:14], v[13:14]
	flat_load_dwordx2 v[15:16], v[15:16]
	v_add_co_ci_u32_e64 v26, null, 0, v2, vcc_lo
	v_add_co_u32 v1, vcc_lo, 0x6000, v1
	v_add_co_ci_u32_e64 v2, null, 0, v2, vcc_lo
	s_clause 0x4
	flat_load_dwordx2 v[19:20], v[19:20]
	flat_load_dwordx2 v[21:22], v[21:22]
	;; [unrolled: 1-line block ×5, first 2 shown]
	s_cmp_eq_u64 s[40:41], 0
	s_waitcnt vmcnt(11) lgkmcnt(11)
	ds_write2st64_b64 v57, v[17:18], v[3:4] offset1:4
	s_waitcnt vmcnt(9) lgkmcnt(10)
	ds_write2st64_b64 v57, v[5:6], v[7:8] offset0:8 offset1:12
	s_waitcnt vmcnt(7) lgkmcnt(9)
	ds_write2st64_b64 v57, v[9:10], v[11:12] offset0:16 offset1:20
	;; [unrolled: 2-line block ×5, first 2 shown]
	s_waitcnt vmcnt(0) lgkmcnt(6)
	ds_write_b64 v57, v[1:2] offset:24576
	s_waitcnt lgkmcnt(0)
	s_barrier
	buffer_gl0_inv
	ds_read2_b64 v[1:4], v35 offset0:2 offset1:3
	ds_read2_b64 v[9:12], v35 offset0:3 offset1:4
	ds_read2_b64 v[5:8], v35 offset1:1
	ds_read2_b64 v[13:16], v35 offset0:1 offset1:2
	ds_read2_b64 v[17:20], v35 offset0:7 offset1:8
	ds_read2_b64 v[21:24], v35 offset0:5 offset1:6
	ds_read2_b64 v[25:28], v35 offset0:9 offset1:10
	ds_read2_b64 v[29:32], v35 offset0:11 offset1:12
	s_cbranch_scc1 .LBB118_82
; %bb.78:
	s_andn2_b32 vcc_lo, exec_lo, s46
	s_cbranch_vccnz .LBB118_242
; %bb.79:
	s_lshl_b64 s[2:3], s[40:41], 3
	s_add_u32 s2, s42, s2
	s_addc_u32 s3, s43, s3
	s_add_u32 s2, s2, -8
	s_addc_u32 s3, s3, -1
	s_cbranch_execnz .LBB118_81
.LBB118_80:
	s_add_u32 s2, s16, -8
	s_addc_u32 s3, s17, -1
.LBB118_81:
	s_mov_b64 s[16:17], s[2:3]
.LBB118_82:
	v_mov_b32_e32 v34, s17
	v_mov_b32_e32 v33, s16
	v_mad_i32_i24 v36, 0xffffffa0, v0, v35
	flat_load_dwordx2 v[33:34], v[33:34]
	s_waitcnt lgkmcnt(1)
	ds_write_b64 v36, v[31:32] offset:26624
	s_waitcnt vmcnt(0) lgkmcnt(0)
	s_barrier
	buffer_gl0_inv
	s_and_saveexec_b32 s2, s1
; %bb.83:
	v_mul_i32_i24_e32 v33, 0xffffffa0, v0
	v_add_nc_u32_e32 v33, v35, v33
	ds_read_b64 v[33:34], v33 offset:26616
; %bb.84:
	s_or_b32 exec_lo, exec_lo, s2
	v_add_co_u32 v36, s2, s15, v57
	v_add_co_ci_u32_e64 v37, null, s45, 0, s2
	s_waitcnt lgkmcnt(0)
	v_add_co_u32 v38, vcc_lo, 0x800, v36
	v_add_co_ci_u32_e64 v39, null, 0, v37, vcc_lo
	v_add_co_u32 v40, vcc_lo, 0x1000, v36
	v_add_co_ci_u32_e64 v41, null, 0, v37, vcc_lo
	;; [unrolled: 2-line block ×10, first 2 shown]
	v_add_co_u32 v62, vcc_lo, 0x5800, v36
	s_barrier
	buffer_gl0_inv
	s_clause 0x7
	flat_load_dwordx2 v[52:53], v[36:37]
	flat_load_dwordx2 v[38:39], v[38:39]
	flat_load_dwordx2 v[40:41], v[40:41]
	flat_load_dwordx2 v[42:43], v[42:43]
	flat_load_dwordx2 v[44:45], v[44:45]
	flat_load_dwordx2 v[46:47], v[46:47]
	flat_load_dwordx2 v[48:49], v[48:49]
	flat_load_dwordx2 v[50:51], v[50:51]
	v_add_co_ci_u32_e64 v63, null, 0, v37, vcc_lo
	v_add_co_u32 v36, vcc_lo, 0x6000, v36
	v_add_co_ci_u32_e64 v37, null, 0, v37, vcc_lo
	s_clause 0x4
	flat_load_dwordx2 v[54:55], v[54:55]
	flat_load_dwordx2 v[58:59], v[58:59]
	;; [unrolled: 1-line block ×5, first 2 shown]
	v_cmp_ne_u64_e32 vcc_lo, v[27:28], v[29:30]
	v_cmp_ne_u64_e64 s7, v[29:30], v[31:32]
	s_mov_b32 s3, -1
	s_waitcnt vmcnt(11) lgkmcnt(11)
	ds_write2st64_b64 v57, v[52:53], v[38:39] offset1:4
	s_waitcnt vmcnt(9) lgkmcnt(10)
	ds_write2st64_b64 v57, v[40:41], v[42:43] offset0:8 offset1:12
	s_waitcnt vmcnt(7) lgkmcnt(9)
	ds_write2st64_b64 v57, v[44:45], v[46:47] offset0:16 offset1:20
	;; [unrolled: 2-line block ×5, first 2 shown]
	s_waitcnt vmcnt(0) lgkmcnt(6)
	ds_write_b64 v57, v[36:37] offset:24576
	v_cndmask_b32_e64 v81, 0, 1, vcc_lo
	v_cmp_ne_u64_e32 vcc_lo, v[25:26], v[27:28]
	s_waitcnt lgkmcnt(0)
	s_barrier
	buffer_gl0_inv
	v_cndmask_b32_e64 v94, 0, 1, vcc_lo
	v_cmp_ne_u64_e32 vcc_lo, v[19:20], v[25:26]
	v_mov_b32_e32 v82, v94
	v_cndmask_b32_e64 v96, 0, 1, vcc_lo
	v_cmp_ne_u64_e32 vcc_lo, v[21:22], v[23:24]
	v_mov_b32_e32 v83, v96
	v_cndmask_b32_e64 v25, 0, 1, vcc_lo
	v_cmp_ne_u64_e32 vcc_lo, v[11:12], v[21:22]
	v_cndmask_b32_e64 v21, 0, 1, vcc_lo
	v_cmp_ne_u64_e32 vcc_lo, v[17:18], v[19:20]
	;; [unrolled: 2-line block ×7, first 2 shown]
	v_lshlrev_b16 v2, 8, v19
	v_lshlrev_b16 v10, 8, v7
	;; [unrolled: 1-line block ×4, first 2 shown]
	v_cndmask_b32_e64 v1, 0, 1, vcc_lo
	v_cmp_ne_u64_e32 vcc_lo, v[33:34], v[5:6]
	v_or_b32_e32 v98, v17, v2
	v_or_b32_e32 v103, v8, v10
	ds_read2_b64 v[27:30], v35 offset0:8 offset1:9
	ds_read2_b64 v[5:8], v35 offset0:10 offset1:11
	v_or_b32_e32 v102, v1, v3
	ds_read2_b64 v[37:40], v35 offset0:4 offset1:5
	ds_read2_b64 v[31:34], v35 offset0:6 offset1:7
	ds_read2_b64 v[1:4], v35 offset1:1
	ds_read2_b64 v[53:56], v35 offset0:2 offset1:3
	v_lshlrev_b32_e32 v11, 16, v98
	ds_read_b64 v[35:36], v35 offset:96
	v_lshlrev_b32_e32 v12, 16, v102
	v_or_b32_e32 v99, v21, v9
	v_cndmask_b32_e64 v105, 0, 1, vcc_lo
	v_or_b32_sdwa v9, v9, v11 dst_sel:DWORD dst_unused:UNUSED_PAD src0_sel:WORD_0 src1_sel:DWORD
	v_lshrrev_b32_e32 v97, 24, v11
	v_or_b32_sdwa v10, v10, v12 dst_sel:DWORD dst_unused:UNUSED_PAD src0_sel:WORD_0 src1_sel:DWORD
	v_lshrrev_b32_e32 v100, 24, v12
	v_mov_b32_e32 v88, v99
	v_lshrrev_b32_e32 v95, 8, v9
	v_mov_b32_e32 v85, v98
	;; [unrolled: 2-line block ×3, first 2 shown]
	v_mov_b32_e32 v90, v102
	s_waitcnt lgkmcnt(6)
	v_mov_b32_e32 v25, v29
	s_waitcnt lgkmcnt(5)
	v_mov_b32_e32 v78, v6
	v_mov_b32_e32 v80, v28
	s_waitcnt lgkmcnt(3)
	v_mov_b32_e32 v21, v33
	v_mov_b32_e32 v23, v31
	;; [unrolled: 1-line block ×4, first 2 shown]
	s_waitcnt lgkmcnt(1)
	v_mov_b32_e32 v13, v55
	v_mov_b32_e32 v15, v53
	;; [unrolled: 1-line block ×18, first 2 shown]
.LBB118_85:
	v_mov_b32_e32 v11, 0
	v_mov_b32_e32 v12, 0
	;; [unrolled: 1-line block ×3, first 2 shown]
	s_and_saveexec_b32 s2, s3
	s_cbranch_execz .LBB118_87
; %bb.86:
	v_mov_b32_e32 v10, v4
	v_mov_b32_e32 v15, v53
	;; [unrolled: 1-line block ×10, first 2 shown]
	s_waitcnt lgkmcnt(0)
	v_mov_b32_e32 v11, v35
	v_cndmask_b32_e64 v58, 0, 1, s7
	v_mov_b32_e32 v87, v105
	v_mov_b32_e32 v9, v3
	;; [unrolled: 1-line block ×22, first 2 shown]
.LBB118_87:
	s_or_b32 exec_lo, exec_lo, s2
	v_and_b32_e32 v61, 1, v88
	v_and_b32_e32 v62, 1, v84
	;; [unrolled: 1-line block ×5, first 2 shown]
	v_or_b32_e32 v55, v89, v90
	v_or_b32_e32 v54, v85, v86
	;; [unrolled: 1-line block ×3, first 2 shown]
	v_cmp_eq_u32_e64 s17, 1, v61
	v_cmp_eq_u32_e64 s15, 1, v62
	;; [unrolled: 1-line block ×3, first 2 shown]
	v_cmp_eq_u16_e64 s2, 0, v58
	v_cmp_eq_u32_e64 s14, 1, v59
	v_mbcnt_lo_u32_b32 v53, -1, 0
	s_cmp_lg_u32 s44, 0
	v_cmp_eq_u32_e32 vcc_lo, 1, v63
	s_waitcnt lgkmcnt(0)
	s_barrier
	buffer_gl0_inv
	s_cbranch_scc0 .LBB118_145
; %bb.88:
	v_mov_b32_e32 v3, 0
	v_or_b32_e32 v6, v92, v87
	v_cmp_eq_u16_sdwa s12, v92, v3 src0_sel:BYTE_0 src1_sel:DWORD
	v_cmp_eq_u16_sdwa s13, v91, v3 src0_sel:BYTE_0 src1_sel:DWORD
	;; [unrolled: 1-line block ×5, first 2 shown]
	v_cndmask_b32_e64 v5, 0, v1, s12
	v_cndmask_b32_e64 v4, 0, v2, s12
	v_cmp_eq_u16_sdwa s8, v86, v3 src0_sel:BYTE_0 src1_sel:DWORD
	v_cmp_eq_u16_sdwa s7, v85, v3 src0_sel:BYTE_0 src1_sel:DWORD
	;; [unrolled: 1-line block ×3, first 2 shown]
	v_add_co_u32 v5, s3, v5, v9
	v_add_co_ci_u32_e64 v4, null, v4, v10, s3
	v_cmp_eq_u16_sdwa s4, v83, v3 src0_sel:BYTE_0 src1_sel:DWORD
	v_cndmask_b32_e64 v5, 0, v5, s13
	v_cmp_ne_u16_sdwa s40, v56, v3 src0_sel:BYTE_0 src1_sel:DWORD
	v_cndmask_b32_e64 v4, 0, v4, s13
	v_cmp_ne_u16_sdwa s36, v6, v3 src0_sel:BYTE_0 src1_sel:DWORD
	v_cmp_ne_u16_sdwa s37, v55, v3 src0_sel:BYTE_0 src1_sel:DWORD
	v_add_co_u32 v5, s3, v5, v15
	v_add_co_ci_u32_e64 v4, null, v4, v16, s3
	v_cmp_ne_u16_sdwa s41, v54, v3 src0_sel:BYTE_0 src1_sel:DWORD
	v_cndmask_b32_e64 v5, 0, v5, s11
	s_or_b32 s16, s40, s16
	v_cndmask_b32_e64 v4, 0, v4, s11
	s_or_b32 s16, s14, s16
	s_or_b32 s15, s41, s15
	v_add_co_u32 v5, s3, v5, v13
	v_add_co_ci_u32_e64 v4, null, v4, v14, s3
	s_or_b32 s17, s37, s17
	v_cndmask_b32_e64 v5, 0, v5, s10
	v_cndmask_b32_e64 v4, 0, v4, s10
	v_add_co_u32 v5, s3, v5, v19
	v_add_co_ci_u32_e64 v4, null, v4, v20, s3
	v_cndmask_b32_e64 v5, 0, v5, s9
	v_cndmask_b32_e64 v4, 0, v4, s9
	v_add_co_u32 v5, s3, v5, v17
	v_add_co_ci_u32_e64 v4, null, v4, v18, s3
	;; [unrolled: 4-line block ×6, first 2 shown]
	v_cmp_eq_u16_sdwa s3, v82, v3 src0_sel:BYTE_0 src1_sel:DWORD
	v_cndmask_b32_e64 v5, 0, v5, s3
	v_cndmask_b32_e64 v4, 0, v4, s3
	v_add_co_u32 v5, s5, v5, v77
	v_add_co_ci_u32_e64 v4, null, v4, v78, s5
	v_cmp_eq_u16_sdwa s5, v81, v3 src0_sel:BYTE_0 src1_sel:DWORD
	v_cndmask_b32_e64 v3, 0, v4, s5
	v_cndmask_b32_e64 v4, 0, v5, s5
	v_add_co_u32 v4, s14, v4, v7
	v_add_co_ci_u32_e64 v3, null, v3, v8, s14
	s_or_b32 s14, s16, s15
	v_cndmask_b32_e64 v4, 0, v4, s2
	s_or_b32 s15, s36, vcc_lo
	v_cndmask_b32_e64 v6, 0, v3, s2
	s_or_b32 s14, s14, s17
	s_or_b32 s14, s14, s15
	v_add_co_u32 v5, vcc_lo, v4, v11
	v_cndmask_b32_e64 v3, 0, 1, s14
	v_add_co_ci_u32_e64 v6, null, v6, v12, vcc_lo
	v_and_b32_e32 v4, 15, v53
	v_mov_b32_dpp v28, v5 row_shr:1 row_mask:0xf bank_mask:0xf
	v_mov_b32_dpp v27, v3 row_shr:1 row_mask:0xf bank_mask:0xf
	;; [unrolled: 1-line block ×3, first 2 shown]
	s_mov_b32 s15, exec_lo
	v_cmpx_ne_u32_e32 0, v4
; %bb.89:
	v_cndmask_b32_e64 v28, v28, 0, s14
	v_cndmask_b32_e64 v29, v29, 0, s14
	v_and_or_b32 v3, v27, 1, v3
	v_add_co_u32 v5, vcc_lo, v28, v5
	v_add_co_ci_u32_e64 v6, null, v29, v6, vcc_lo
; %bb.90:
	s_or_b32 exec_lo, exec_lo, s15
	v_mov_b32_dpp v28, v5 row_shr:2 row_mask:0xf bank_mask:0xf
	v_mov_b32_dpp v29, v6 row_shr:2 row_mask:0xf bank_mask:0xf
	v_mov_b32_dpp v27, v3 row_shr:2 row_mask:0xf bank_mask:0xf
	s_mov_b32 s14, exec_lo
	v_cmpx_lt_u32_e32 1, v4
	s_cbranch_execz .LBB118_92
; %bb.91:
	v_cmp_eq_u16_e32 vcc_lo, 0, v3
	v_or_b32_e32 v3, v27, v3
	v_cndmask_b32_e32 v28, 0, v28, vcc_lo
	v_cndmask_b32_e32 v29, 0, v29, vcc_lo
	v_and_b32_e32 v3, 1, v3
	v_add_co_u32 v5, vcc_lo, v28, v5
	v_add_co_ci_u32_e64 v6, null, v29, v6, vcc_lo
.LBB118_92:
	s_or_b32 exec_lo, exec_lo, s14
	v_mov_b32_dpp v28, v5 row_shr:4 row_mask:0xf bank_mask:0xf
	v_mov_b32_dpp v29, v6 row_shr:4 row_mask:0xf bank_mask:0xf
	v_mov_b32_dpp v27, v3 row_shr:4 row_mask:0xf bank_mask:0xf
	s_mov_b32 s14, exec_lo
	v_cmpx_lt_u32_e32 3, v4
	s_cbranch_execz .LBB118_94
; %bb.93:
	v_cmp_eq_u16_e32 vcc_lo, 0, v3
	v_or_b32_e32 v3, v27, v3
	v_cndmask_b32_e32 v28, 0, v28, vcc_lo
	v_cndmask_b32_e32 v29, 0, v29, vcc_lo
	v_and_b32_e32 v3, 1, v3
	v_add_co_u32 v5, vcc_lo, v28, v5
	v_add_co_ci_u32_e64 v6, null, v29, v6, vcc_lo
.LBB118_94:
	;; [unrolled: 16-line block ×3, first 2 shown]
	s_or_b32 exec_lo, exec_lo, s14
	ds_swizzle_b32 v4, v5 offset:swizzle(BROADCAST,32,15)
	ds_swizzle_b32 v28, v6 offset:swizzle(BROADCAST,32,15)
	;; [unrolled: 1-line block ×3, first 2 shown]
	v_and_b32_e32 v27, 16, v53
	v_cmp_ne_u32_e32 vcc_lo, 0, v27
	v_mov_b32_e32 v27, v3
	s_and_saveexec_b32 s16, vcc_lo
	s_cbranch_execz .LBB118_98
; %bb.97:
	v_cmp_eq_u16_e32 vcc_lo, 0, v3
	v_and_b32_e32 v3, 1, v3
	s_waitcnt lgkmcnt(0)
	v_and_b32_e32 v27, 1, v29
	v_cndmask_b32_e32 v28, 0, v28, vcc_lo
	v_cndmask_b32_e32 v4, 0, v4, vcc_lo
	v_cmp_eq_u32_e32 vcc_lo, 1, v3
	v_cmp_eq_u32_e64 s14, 1, v27
	v_add_co_u32 v5, s15, v4, v5
	s_or_b32 s14, vcc_lo, s14
	v_add_co_ci_u32_e64 v6, null, v28, v6, s15
	v_cndmask_b32_e64 v3, 0, 1, s14
	v_cndmask_b32_e64 v27, 0, 1, s14
.LBB118_98:
	s_or_b32 exec_lo, exec_lo, s16
	s_waitcnt lgkmcnt(1)
	v_lshrrev_b32_e32 v28, 5, v0
	v_or_b32_e32 v4, 31, v0
	s_mov_b32 s14, exec_lo
	v_lshlrev_b32_e32 v28, 4, v28
	v_cmpx_eq_u32_e64 v0, v4
	s_cbranch_execz .LBB118_100
; %bb.99:
	ds_write_b64 v28, v[5:6]
	ds_write_b8 v28, v3 offset:8
.LBB118_100:
	s_or_b32 exec_lo, exec_lo, s14
	s_mov_b32 s16, exec_lo
	s_waitcnt lgkmcnt(0)
	s_barrier
	buffer_gl0_inv
	v_cmpx_gt_u32_e32 8, v0
	s_cbranch_execz .LBB118_108
; %bb.101:
	v_lshlrev_b32_e32 v29, 4, v0
	v_and_b32_e32 v30, 7, v53
	s_mov_b32 s14, exec_lo
	ds_read_b64 v[3:4], v29
	ds_read_b32 v34, v29 offset:8
	s_waitcnt lgkmcnt(1)
	v_mov_b32_dpp v35, v3 row_shr:1 row_mask:0xf bank_mask:0xf
	v_mov_b32_dpp v36, v4 row_shr:1 row_mask:0xf bank_mask:0xf
	s_waitcnt lgkmcnt(0)
	v_and_b32_e32 v32, 0xffffff00, v34
	v_mov_b32_dpp v37, v34 row_shr:1 row_mask:0xf bank_mask:0xf
	v_mov_b32_e32 v33, v34
	v_mov_b32_e32 v31, v34
	v_cmpx_ne_u32_e32 0, v30
	s_cbranch_execz .LBB118_103
; %bb.102:
	v_mov_b32_e32 v31, 0
	v_cmp_eq_u16_sdwa vcc_lo, v34, v31 src0_sel:BYTE_0 src1_sel:DWORD
	v_or_b32_e32 v31, v37, v34
	v_cndmask_b32_e32 v35, 0, v35, vcc_lo
	v_cndmask_b32_e32 v34, 0, v36, vcc_lo
	v_and_b32_e32 v33, 1, v31
	v_and_b32_e32 v31, 1, v31
	v_add_co_u32 v3, vcc_lo, v35, v3
	v_add_co_ci_u32_e64 v4, null, v34, v4, vcc_lo
	v_or_b32_e32 v34, v31, v32
.LBB118_103:
	s_or_b32 exec_lo, exec_lo, s14
	v_mov_b32_dpp v35, v3 row_shr:2 row_mask:0xf bank_mask:0xf
	v_mov_b32_dpp v36, v4 row_shr:2 row_mask:0xf bank_mask:0xf
	;; [unrolled: 1-line block ×3, first 2 shown]
	s_mov_b32 s17, exec_lo
	v_cmpx_lt_u32_e32 1, v30
	s_cbranch_execz .LBB118_105
; %bb.104:
	v_mov_b32_e32 v33, 0
	v_and_b32_e32 v34, 1, v31
	v_and_b32_e32 v37, 1, v37
	v_cmp_eq_u16_sdwa vcc_lo, v31, v33 src0_sel:BYTE_0 src1_sel:DWORD
	v_cmp_eq_u32_e64 s14, 1, v34
	v_cmp_eq_u32_e64 s15, 1, v37
	v_cndmask_b32_e32 v34, 0, v35, vcc_lo
	v_cndmask_b32_e32 v31, 0, v36, vcc_lo
	s_or_b32 s14, s14, s15
	v_cndmask_b32_e64 v33, 0, 1, s14
	v_cndmask_b32_e64 v35, 0, 1, s14
	v_add_co_u32 v3, vcc_lo, v34, v3
	v_add_co_ci_u32_e64 v4, null, v31, v4, vcc_lo
	v_or_b32_e32 v34, v32, v35
	v_mov_b32_e32 v31, v33
.LBB118_105:
	s_or_b32 exec_lo, exec_lo, s17
	v_mov_b32_dpp v32, v3 row_shr:4 row_mask:0xf bank_mask:0xf
	v_mov_b32_dpp v35, v4 row_shr:4 row_mask:0xf bank_mask:0xf
	;; [unrolled: 1-line block ×3, first 2 shown]
	s_mov_b32 s17, exec_lo
	v_cmpx_lt_u32_e32 3, v30
	s_cbranch_execz .LBB118_107
; %bb.106:
	v_mov_b32_e32 v30, 0
	v_cmp_eq_u16_sdwa vcc_lo, v31, v30 src0_sel:BYTE_0 src1_sel:DWORD
	v_and_b32_e32 v30, 1, v31
	v_and_b32_e32 v31, 1, v34
	v_cndmask_b32_e32 v33, 0, v35, vcc_lo
	v_cndmask_b32_e32 v32, 0, v32, vcc_lo
	v_cmp_eq_u32_e32 vcc_lo, 1, v30
	v_cmp_eq_u32_e64 s14, 1, v31
	v_add_co_u32 v3, s15, v32, v3
	s_or_b32 s14, vcc_lo, s14
	v_add_co_ci_u32_e64 v4, null, v33, v4, s15
	v_cndmask_b32_e64 v33, 0, 1, s14
.LBB118_107:
	s_or_b32 exec_lo, exec_lo, s17
	ds_write_b64 v29, v[3:4]
	ds_write_b8 v29, v33 offset:8
.LBB118_108:
	s_or_b32 exec_lo, exec_lo, s16
	v_mov_b32_e32 v3, 0
	v_mov_b32_e32 v4, 0
	;; [unrolled: 1-line block ×3, first 2 shown]
	s_mov_b32 s15, exec_lo
	v_cmp_gt_u32_e32 vcc_lo, 32, v0
	s_waitcnt lgkmcnt(0)
	s_barrier
	buffer_gl0_inv
	v_cmpx_lt_u32_e32 31, v0
	s_cbranch_execz .LBB118_110
; %bb.109:
	v_add_nc_u32_e32 v3, -16, v28
	v_add_nc_u32_e32 v28, -8, v28
	v_cmp_eq_u32_e64 s14, 0, v27
	ds_read_b64 v[3:4], v3
	ds_read_u8 v28, v28
	s_waitcnt lgkmcnt(1)
	v_cndmask_b32_e64 v30, 0, v3, s14
	v_cndmask_b32_e64 v29, 0, v4, s14
	s_waitcnt lgkmcnt(0)
	v_or_b32_e32 v27, v28, v27
	v_and_b32_e32 v33, 1, v28
	v_add_co_u32 v5, s14, v30, v5
	v_add_co_ci_u32_e64 v6, null, v29, v6, s14
	v_and_b32_e32 v27, 1, v27
.LBB118_110:
	s_or_b32 exec_lo, exec_lo, s15
	v_sub_co_u32 v28, s14, v53, 1
	v_cmp_gt_i32_e64 s15, 0, v28
	v_cndmask_b32_e64 v28, v28, v53, s15
	v_lshlrev_b32_e32 v28, 2, v28
	ds_bpermute_b32 v34, v28, v5
	ds_bpermute_b32 v35, v28, v6
	;; [unrolled: 1-line block ×3, first 2 shown]
	s_and_saveexec_b32 s17, vcc_lo
	s_cbranch_execz .LBB118_150
; %bb.111:
	v_mov_b32_e32 v29, 0
	ds_read_b64 v[5:6], v29 offset:112
	ds_read_u8 v37, v29 offset:120
	s_and_saveexec_b32 s15, s14
	s_cbranch_execz .LBB118_113
; %bb.112:
	s_add_i32 s36, s44, 32
	s_mov_b32 s37, 0
	v_mov_b32_e32 v27, 1
	s_lshl_b64 s[40:41], s[36:37], 4
	v_mov_b32_e32 v28, s36
	s_add_u32 s40, s20, s40
	s_addc_u32 s41, s21, s41
	s_waitcnt lgkmcnt(1)
	global_store_dwordx2 v29, v[5:6], s[40:41]
	s_waitcnt lgkmcnt(0)
	global_store_byte v29, v37, s[40:41] offset:8
	s_waitcnt_vscnt null, 0x0
	buffer_gl1_inv
	buffer_gl0_inv
	global_store_byte v28, v27, s[24:25]
.LBB118_113:
	s_or_b32 exec_lo, exec_lo, s15
	v_xad_u32 v27, v53, -1, s44
	s_mov_b32 s16, 0
	s_mov_b32 s15, exec_lo
	v_add_nc_u32_e32 v28, 32, v27
	global_load_ubyte v38, v28, s[24:25] glc dlc
	s_waitcnt vmcnt(0)
	v_cmpx_eq_u16_e32 0, v38
	s_cbranch_execz .LBB118_117
; %bb.114:
	v_add_co_u32 v30, s36, s24, v28
	v_add_co_ci_u32_e64 v31, null, s25, 0, s36
.LBB118_115:                            ; =>This Inner Loop Header: Depth=1
	global_load_ubyte v38, v[30:31], off glc dlc
	s_waitcnt vmcnt(0)
	v_cmp_ne_u16_e32 vcc_lo, 0, v38
	s_or_b32 s16, vcc_lo, s16
	s_andn2_b32 exec_lo, exec_lo, s16
	s_cbranch_execnz .LBB118_115
; %bb.116:
	s_or_b32 exec_lo, exec_lo, s16
.LBB118_117:
	s_or_b32 exec_lo, exec_lo, s15
	v_cmp_eq_u16_e32 vcc_lo, 1, v38
	v_mov_b32_e32 v31, s20
	v_mov_b32_e32 v30, s21
	v_lshlrev_b64 v[28:29], 4, v[28:29]
	s_waitcnt lgkmcnt(0)
	s_waitcnt_vscnt null, 0x0
	buffer_gl1_inv
	buffer_gl0_inv
	v_lshlrev_b32_e64 v40, v53, -1
	v_cndmask_b32_e32 v31, s22, v31, vcc_lo
	v_cndmask_b32_e32 v30, s23, v30, vcc_lo
	s_mov_b32 s15, exec_lo
	v_add_co_u32 v28, vcc_lo, v31, v28
	v_add_co_ci_u32_e64 v29, null, v30, v29, vcc_lo
	v_cmp_ne_u32_e32 vcc_lo, 31, v53
	s_clause 0x1
	global_load_ubyte v51, v[28:29], off offset:8
	global_load_dwordx2 v[31:32], v[28:29], off
	v_add_co_ci_u32_e64 v28, null, 0, v53, vcc_lo
	v_cmp_eq_u16_e32 vcc_lo, 2, v38
	v_lshlrev_b32_e32 v39, 2, v28
	v_and_or_b32 v28, vcc_lo, v40, 0x80000000
	v_ffbl_b32_e32 v28, v28
	s_waitcnt vmcnt(1)
	v_and_b32_e32 v29, 1, v51
	s_waitcnt vmcnt(0)
	ds_bpermute_b32 v30, v39, v31
	ds_bpermute_b32 v41, v39, v32
	ds_bpermute_b32 v42, v39, v29
	v_cmpx_lt_u32_e64 v53, v28
	s_cbranch_execz .LBB118_119
; %bb.118:
	v_mov_b32_e32 v29, 0
	v_cmp_eq_u16_sdwa vcc_lo, v51, v29 src0_sel:BYTE_0 src1_sel:DWORD
	s_waitcnt lgkmcnt(0)
	v_and_b32_e32 v29, 1, v42
	v_cndmask_b32_e32 v30, 0, v30, vcc_lo
	v_cndmask_b32_e32 v41, 0, v41, vcc_lo
	v_or_b32_e32 v51, v29, v51
	v_add_co_u32 v31, vcc_lo, v30, v31
	v_add_co_ci_u32_e64 v32, null, v41, v32, vcc_lo
	v_and_b32_e32 v29, 0xff, v51
.LBB118_119:
	s_or_b32 exec_lo, exec_lo, s15
	v_cmp_gt_u32_e32 vcc_lo, 30, v53
	s_waitcnt lgkmcnt(0)
	v_add_nc_u32_e32 v42, 2, v53
	s_mov_b32 s36, exec_lo
	v_cndmask_b32_e64 v30, 0, 2, vcc_lo
	v_add_lshl_u32 v41, v30, v53, 2
	ds_bpermute_b32 v30, v41, v31
	ds_bpermute_b32 v43, v41, v32
	ds_bpermute_b32 v44, v41, v29
	v_cmpx_le_u32_e64 v42, v28
	s_cbranch_execz .LBB118_121
; %bb.120:
	v_mov_b32_e32 v29, 0
	v_and_b32_e32 v45, 1, v51
	s_waitcnt lgkmcnt(0)
	v_and_b32_e32 v44, 1, v44
	v_cmp_eq_u16_sdwa vcc_lo, v51, v29 src0_sel:BYTE_0 src1_sel:DWORD
	v_cmp_eq_u32_e64 s15, 1, v45
	v_cmp_eq_u32_e64 s16, 1, v44
	v_cndmask_b32_e32 v30, 0, v30, vcc_lo
	v_cndmask_b32_e32 v29, 0, v43, vcc_lo
	s_or_b32 s15, s15, s16
	v_cndmask_b32_e64 v51, 0, 1, s15
	v_add_co_u32 v31, vcc_lo, v30, v31
	v_add_co_ci_u32_e64 v32, null, v29, v32, vcc_lo
	v_cndmask_b32_e64 v29, 0, 1, s15
.LBB118_121:
	s_or_b32 exec_lo, exec_lo, s36
	v_cmp_gt_u32_e32 vcc_lo, 28, v53
	s_waitcnt lgkmcnt(0)
	v_add_nc_u32_e32 v44, 4, v53
	s_mov_b32 s36, exec_lo
	v_cndmask_b32_e64 v30, 0, 4, vcc_lo
	v_add_lshl_u32 v43, v30, v53, 2
	ds_bpermute_b32 v30, v43, v31
	ds_bpermute_b32 v45, v43, v32
	ds_bpermute_b32 v46, v43, v29
	v_cmpx_le_u32_e64 v44, v28
	s_cbranch_execz .LBB118_123
; %bb.122:
	v_mov_b32_e32 v29, 0
	v_and_b32_e32 v47, 1, v51
	s_waitcnt lgkmcnt(0)
	v_and_b32_e32 v46, 1, v46
	v_cmp_eq_u16_sdwa vcc_lo, v51, v29 src0_sel:BYTE_0 src1_sel:DWORD
	v_cmp_eq_u32_e64 s15, 1, v47
	v_cmp_eq_u32_e64 s16, 1, v46
	v_cndmask_b32_e32 v30, 0, v30, vcc_lo
	v_cndmask_b32_e32 v29, 0, v45, vcc_lo
	s_or_b32 s15, s15, s16
	v_cndmask_b32_e64 v51, 0, 1, s15
	v_add_co_u32 v31, vcc_lo, v30, v31
	v_add_co_ci_u32_e64 v32, null, v29, v32, vcc_lo
	v_cndmask_b32_e64 v29, 0, 1, s15
.LBB118_123:
	;; [unrolled: 28-line block ×3, first 2 shown]
	s_or_b32 exec_lo, exec_lo, s36
	s_waitcnt lgkmcnt(0)
	v_lshl_or_b32 v48, v53, 2, 64
	v_add_nc_u32_e32 v49, 16, v53
	s_mov_b32 s36, exec_lo
	ds_bpermute_b32 v30, v48, v31
	ds_bpermute_b32 v47, v48, v32
	;; [unrolled: 1-line block ×3, first 2 shown]
	v_cmpx_le_u32_e64 v49, v28
	s_cbranch_execz .LBB118_127
; %bb.126:
	v_mov_b32_e32 v28, 0
	s_waitcnt lgkmcnt(0)
	v_and_b32_e32 v29, 1, v29
	v_cmp_eq_u16_sdwa vcc_lo, v51, v28 src0_sel:BYTE_0 src1_sel:DWORD
	v_and_b32_e32 v28, 1, v51
	v_cmp_eq_u32_e64 s15, 1, v29
	v_cndmask_b32_e32 v47, 0, v47, vcc_lo
	v_cndmask_b32_e32 v30, 0, v30, vcc_lo
	v_cmp_eq_u32_e32 vcc_lo, 1, v28
	v_add_co_u32 v31, s16, v30, v31
	s_or_b32 s15, vcc_lo, s15
	v_add_co_ci_u32_e64 v32, null, v47, v32, s16
	v_cndmask_b32_e64 v51, 0, 1, s15
.LBB118_127:
	s_or_b32 exec_lo, exec_lo, s36
	v_mov_b32_e32 v28, 0
	v_mov_b32_e32 v50, 2
	s_branch .LBB118_130
.LBB118_128:                            ;   in Loop: Header=BB118_130 Depth=1
	s_or_b32 exec_lo, exec_lo, s37
	v_cmp_eq_u16_sdwa vcc_lo, v47, v28 src0_sel:BYTE_0 src1_sel:DWORD
	v_and_b32_e32 v51, 1, v47
	v_subrev_nc_u32_e32 v27, 32, v27
	v_cndmask_b32_e32 v31, 0, v31, vcc_lo
	v_cndmask_b32_e32 v32, 0, v32, vcc_lo
	v_cmp_eq_u32_e32 vcc_lo, 1, v51
	v_add_co_u32 v31, s15, v31, v29
	v_add_co_ci_u32_e64 v32, null, v32, v30, s15
	s_or_b32 s15, vcc_lo, s36
	v_cndmask_b32_e64 v51, 0, 1, s15
	s_mov_b32 s15, 0
.LBB118_129:                            ;   in Loop: Header=BB118_130 Depth=1
	s_and_b32 vcc_lo, exec_lo, s15
	s_cbranch_vccnz .LBB118_146
.LBB118_130:                            ; =>This Loop Header: Depth=1
                                        ;     Child Loop BB118_133 Depth 2
	v_cmp_ne_u16_sdwa s15, v38, v50 src0_sel:BYTE_0 src1_sel:DWORD
	s_waitcnt lgkmcnt(0)
	v_mov_b32_e32 v29, v31
	v_mov_b32_e32 v47, v51
	;; [unrolled: 1-line block ×3, first 2 shown]
                                        ; implicit-def: $vgpr51
                                        ; implicit-def: $vgpr31_vgpr32
                                        ; implicit-def: $vgpr38
	s_cmp_lg_u32 s15, exec_lo
	s_mov_b32 s15, -1
	s_cbranch_scc1 .LBB118_129
; %bb.131:                              ;   in Loop: Header=BB118_130 Depth=1
	global_load_ubyte v38, v27, s[24:25] glc dlc
	s_mov_b32 s15, exec_lo
	s_waitcnt vmcnt(0)
	v_cmpx_eq_u16_e32 0, v38
	s_cbranch_execz .LBB118_135
; %bb.132:                              ;   in Loop: Header=BB118_130 Depth=1
	v_add_co_u32 v31, s16, s24, v27
	v_add_co_ci_u32_e64 v32, null, s25, 0, s16
	s_mov_b32 s16, 0
.LBB118_133:                            ;   Parent Loop BB118_130 Depth=1
                                        ; =>  This Inner Loop Header: Depth=2
	global_load_ubyte v38, v[31:32], off glc dlc
	s_waitcnt vmcnt(0)
	v_cmp_ne_u16_e32 vcc_lo, 0, v38
	s_or_b32 s16, vcc_lo, s16
	s_andn2_b32 exec_lo, exec_lo, s16
	s_cbranch_execnz .LBB118_133
; %bb.134:                              ;   in Loop: Header=BB118_130 Depth=1
	s_or_b32 exec_lo, exec_lo, s16
.LBB118_135:                            ;   in Loop: Header=BB118_130 Depth=1
	s_or_b32 exec_lo, exec_lo, s15
	v_cmp_eq_u16_e32 vcc_lo, 1, v38
	v_mov_b32_e32 v52, s20
	v_mov_b32_e32 v51, s21
	v_lshlrev_b64 v[31:32], 4, v[27:28]
	buffer_gl1_inv
	buffer_gl0_inv
	s_mov_b32 s15, exec_lo
	v_cndmask_b32_e32 v52, s22, v52, vcc_lo
	v_cndmask_b32_e32 v51, s23, v51, vcc_lo
	v_add_co_u32 v31, vcc_lo, v52, v31
	v_add_co_ci_u32_e64 v32, null, v51, v32, vcc_lo
	v_cmp_eq_u16_e32 vcc_lo, 2, v38
	s_clause 0x1
	global_load_ubyte v52, v[31:32], off offset:8
	global_load_dwordx2 v[31:32], v[31:32], off
	v_and_or_b32 v51, vcc_lo, v40, 0x80000000
	v_ffbl_b32_e32 v51, v51
	s_waitcnt vmcnt(1)
	v_and_b32_e32 v64, 1, v52
	s_waitcnt vmcnt(0)
	ds_bpermute_b32 v65, v39, v31
	ds_bpermute_b32 v66, v39, v32
	;; [unrolled: 1-line block ×3, first 2 shown]
	v_cmpx_lt_u32_e64 v53, v51
	s_cbranch_execz .LBB118_137
; %bb.136:                              ;   in Loop: Header=BB118_130 Depth=1
	v_cmp_eq_u16_sdwa vcc_lo, v52, v28 src0_sel:BYTE_0 src1_sel:DWORD
	s_waitcnt lgkmcnt(0)
	v_and_b32_e32 v64, 1, v67
	v_cndmask_b32_e32 v65, 0, v65, vcc_lo
	v_cndmask_b32_e32 v66, 0, v66, vcc_lo
	v_or_b32_e32 v52, v64, v52
	v_add_co_u32 v31, vcc_lo, v65, v31
	v_add_co_ci_u32_e64 v32, null, v66, v32, vcc_lo
	v_and_b32_e32 v64, 0xff, v52
.LBB118_137:                            ;   in Loop: Header=BB118_130 Depth=1
	s_or_b32 exec_lo, exec_lo, s15
	s_waitcnt lgkmcnt(2)
	ds_bpermute_b32 v65, v41, v31
	s_waitcnt lgkmcnt(2)
	ds_bpermute_b32 v66, v41, v32
	;; [unrolled: 2-line block ×3, first 2 shown]
	v_and_b32_e32 v68, 1, v52
	s_mov_b32 s16, exec_lo
	v_cmp_eq_u32_e64 s36, 1, v68
	v_cmpx_le_u32_e64 v42, v51
	s_cbranch_execz .LBB118_139
; %bb.138:                              ;   in Loop: Header=BB118_130 Depth=1
	v_cmp_eq_u16_sdwa vcc_lo, v52, v28 src0_sel:BYTE_0 src1_sel:DWORD
	s_waitcnt lgkmcnt(0)
	v_and_b32_e32 v52, 1, v67
	v_cndmask_b32_e32 v65, 0, v65, vcc_lo
	v_cndmask_b32_e32 v64, 0, v66, vcc_lo
	v_cmp_eq_u32_e32 vcc_lo, 1, v52
	v_add_co_u32 v31, s15, v65, v31
	v_add_co_ci_u32_e64 v32, null, v64, v32, s15
	s_or_b32 s15, s36, vcc_lo
	s_andn2_b32 s36, s36, exec_lo
	v_cndmask_b32_e64 v52, 0, 1, s15
	v_cndmask_b32_e64 v64, 0, 1, s15
	s_and_b32 s15, s15, exec_lo
	s_or_b32 s36, s36, s15
.LBB118_139:                            ;   in Loop: Header=BB118_130 Depth=1
	s_or_b32 exec_lo, exec_lo, s16
	s_waitcnt lgkmcnt(2)
	ds_bpermute_b32 v65, v43, v31
	s_waitcnt lgkmcnt(2)
	ds_bpermute_b32 v66, v43, v32
	;; [unrolled: 2-line block ×3, first 2 shown]
	s_mov_b32 s37, exec_lo
	v_cmpx_le_u32_e64 v44, v51
	s_cbranch_execz .LBB118_141
; %bb.140:                              ;   in Loop: Header=BB118_130 Depth=1
	v_cmp_eq_u16_sdwa vcc_lo, v52, v28 src0_sel:BYTE_0 src1_sel:DWORD
	v_and_b32_e32 v52, 1, v52
	s_waitcnt lgkmcnt(0)
	v_and_b32_e32 v64, 1, v67
	v_cndmask_b32_e32 v66, 0, v66, vcc_lo
	v_cndmask_b32_e32 v65, 0, v65, vcc_lo
	v_cmp_eq_u32_e32 vcc_lo, 1, v52
	v_cmp_eq_u32_e64 s15, 1, v64
	v_add_co_u32 v31, s16, v65, v31
	s_or_b32 s15, vcc_lo, s15
	v_add_co_ci_u32_e64 v32, null, v66, v32, s16
	v_cndmask_b32_e64 v52, 0, 1, s15
	v_cndmask_b32_e64 v64, 0, 1, s15
	s_andn2_b32 s16, s36, exec_lo
	s_and_b32 s15, s15, exec_lo
	s_or_b32 s36, s16, s15
.LBB118_141:                            ;   in Loop: Header=BB118_130 Depth=1
	s_or_b32 exec_lo, exec_lo, s37
	s_waitcnt lgkmcnt(2)
	ds_bpermute_b32 v65, v45, v31
	s_waitcnt lgkmcnt(2)
	ds_bpermute_b32 v66, v45, v32
	;; [unrolled: 2-line block ×3, first 2 shown]
	s_mov_b32 s37, exec_lo
	v_cmpx_le_u32_e64 v46, v51
	s_cbranch_execz .LBB118_143
; %bb.142:                              ;   in Loop: Header=BB118_130 Depth=1
	v_cmp_eq_u16_sdwa vcc_lo, v52, v28 src0_sel:BYTE_0 src1_sel:DWORD
	v_and_b32_e32 v52, 1, v52
	s_waitcnt lgkmcnt(0)
	v_and_b32_e32 v64, 1, v67
	v_cndmask_b32_e32 v66, 0, v66, vcc_lo
	v_cndmask_b32_e32 v65, 0, v65, vcc_lo
	v_cmp_eq_u32_e32 vcc_lo, 1, v52
	v_cmp_eq_u32_e64 s15, 1, v64
	v_add_co_u32 v31, s16, v65, v31
	s_or_b32 s15, vcc_lo, s15
	v_add_co_ci_u32_e64 v32, null, v66, v32, s16
	v_cndmask_b32_e64 v52, 0, 1, s15
	v_cndmask_b32_e64 v64, 0, 1, s15
	s_andn2_b32 s16, s36, exec_lo
	s_and_b32 s15, s15, exec_lo
	s_or_b32 s36, s16, s15
.LBB118_143:                            ;   in Loop: Header=BB118_130 Depth=1
	s_or_b32 exec_lo, exec_lo, s37
	s_waitcnt lgkmcnt(2)
	ds_bpermute_b32 v65, v48, v31
	s_waitcnt lgkmcnt(2)
	ds_bpermute_b32 v66, v48, v32
	ds_bpermute_b32 v64, v48, v64
	s_mov_b32 s37, exec_lo
	v_cmpx_le_u32_e64 v49, v51
	s_cbranch_execz .LBB118_128
; %bb.144:                              ;   in Loop: Header=BB118_130 Depth=1
	v_cmp_eq_u16_sdwa vcc_lo, v52, v28 src0_sel:BYTE_0 src1_sel:DWORD
	v_and_b32_e32 v51, 1, v52
	s_waitcnt lgkmcnt(0)
	v_and_b32_e32 v52, 1, v64
	v_cndmask_b32_e32 v65, 0, v65, vcc_lo
	v_cndmask_b32_e32 v64, 0, v66, vcc_lo
	v_cmp_eq_u32_e32 vcc_lo, 1, v51
	v_cmp_eq_u32_e64 s15, 1, v52
	v_add_co_u32 v31, s16, v65, v31
	v_add_co_ci_u32_e64 v32, null, v64, v32, s16
	s_or_b32 s15, vcc_lo, s15
	s_andn2_b32 s16, s36, exec_lo
	s_and_b32 s15, s15, exec_lo
	s_or_b32 s36, s16, s15
	s_branch .LBB118_128
.LBB118_145:
                                        ; implicit-def: $vgpr49_vgpr50
                                        ; implicit-def: $vgpr47_vgpr48
                                        ; implicit-def: $vgpr43_vgpr44
                                        ; implicit-def: $vgpr39_vgpr40
                                        ; implicit-def: $vgpr35_vgpr36
                                        ; implicit-def: $vgpr31_vgpr32
                                        ; implicit-def: $vgpr27_vgpr28
                                        ; implicit-def: $vgpr45_vgpr46
                                        ; implicit-def: $vgpr41_vgpr42
                                        ; implicit-def: $vgpr37_vgpr38
                                        ; implicit-def: $vgpr33_vgpr34
                                        ; implicit-def: $vgpr29_vgpr30
                                        ; implicit-def: $vgpr51_vgpr52
	s_cbranch_execnz .LBB118_151
	s_branch .LBB118_180
.LBB118_146:
	s_and_saveexec_b32 s15, s14
	s_cbranch_execz .LBB118_148
; %bb.147:
	v_mov_b32_e32 v27, 0
	v_or_b32_e32 v28, v37, v47
	s_mov_b32 s21, 0
	s_add_i32 s20, s44, 32
	v_mov_b32_e32 v31, 2
	v_cmp_eq_u32_sdwa vcc_lo, v37, v27 src0_sel:BYTE_0 src1_sel:DWORD
	s_lshl_b64 s[36:37], s[20:21], 4
	v_mov_b32_e32 v38, s20
	v_and_b32_e32 v28, 1, v28
	s_add_u32 s20, s22, s36
	v_cndmask_b32_e32 v37, 0, v29, vcc_lo
	v_cndmask_b32_e32 v32, 0, v30, vcc_lo
	s_addc_u32 s21, s23, s37
	v_add_co_u32 v5, vcc_lo, v37, v5
	v_add_co_ci_u32_e64 v6, null, v32, v6, vcc_lo
	global_store_byte v27, v28, s[20:21] offset:8
	global_store_dwordx2 v27, v[5:6], s[20:21]
	s_waitcnt lgkmcnt(0)
	s_waitcnt_vscnt null, 0x0
	buffer_gl1_inv
	buffer_gl0_inv
	global_store_byte v38, v31, s[24:25]
.LBB118_148:
	s_or_b32 exec_lo, exec_lo, s15
	s_and_b32 exec_lo, exec_lo, s0
	s_cbranch_execz .LBB118_150
; %bb.149:
	v_mov_b32_e32 v5, 0
	ds_write_b64 v5, v[29:30] offset:112
	ds_write_b8 v5, v47 offset:120
.LBB118_150:
	s_or_b32 exec_lo, exec_lo, s17
	s_waitcnt lgkmcnt(0)
	v_cndmask_b32_e64 v5, v36, v33, s14
	v_and_b32_e32 v28, 1, v87
	v_mov_b32_e32 v27, 0
	s_waitcnt_vscnt null, 0x0
	s_barrier
	v_and_b32_e32 v29, 1, v5
	v_cmp_eq_u32_e32 vcc_lo, 1, v28
	buffer_gl0_inv
	ds_read_b64 v[5:6], v27 offset:112
	v_cndmask_b32_e64 v3, v34, v3, s14
	v_cmp_eq_u32_e64 s15, 1, v29
	v_cndmask_b32_e64 v4, v35, v4, s14
	s_or_b32 s15, vcc_lo, s15
	v_cmp_eq_u16_sdwa vcc_lo, v87, v27 src0_sel:BYTE_0 src1_sel:DWORD
	v_cndmask_b32_e64 v28, 0, 1, s15
	v_cndmask_b32_e32 v3, 0, v3, vcc_lo
	v_cndmask_b32_e64 v28, v28, v87, s0
	v_cndmask_b32_e32 v4, 0, v4, vcc_lo
	v_cndmask_b32_e64 v3, v3, 0, s0
	v_cmp_eq_u16_sdwa vcc_lo, v28, v27 src0_sel:BYTE_0 src1_sel:DWORD
	v_cndmask_b32_e64 v4, v4, 0, s0
	s_waitcnt lgkmcnt(0)
	v_cndmask_b32_e32 v6, 0, v6, vcc_lo
	v_cndmask_b32_e32 v5, 0, v5, vcc_lo
	v_add_co_u32 v3, vcc_lo, v3, v1
	v_add_co_ci_u32_e64 v4, null, v4, v2, vcc_lo
	v_add_co_u32 v51, vcc_lo, v3, v5
	v_add_co_ci_u32_e64 v52, null, v4, v6, vcc_lo
	v_cndmask_b32_e64 v3, 0, v51, s12
	v_cndmask_b32_e64 v4, 0, v52, s12
	v_add_co_u32 v27, vcc_lo, v3, v9
	v_add_co_ci_u32_e64 v28, null, v4, v10, vcc_lo
	v_cndmask_b32_e64 v3, 0, v27, s13
	v_cndmask_b32_e64 v4, 0, v28, s13
	;; [unrolled: 4-line block ×12, first 2 shown]
	v_add_co_u32 v49, vcc_lo, v3, v11
	v_add_co_ci_u32_e64 v50, null, v4, v12, vcc_lo
	s_branch .LBB118_180
.LBB118_151:
	s_cmp_lg_u64 s[34:35], 0
	s_cselect_b32 s2, -1, 0
	s_cmp_lg_u64 s[38:39], 0
	s_cselect_b32 s3, -1, 0
	s_and_b32 s2, s2, s3
	s_and_b32 s3, s0, s2
	s_and_saveexec_b32 s2, s3
	s_cbranch_execz .LBB118_153
; %bb.152:
	v_mov_b32_e32 v5, 0
	s_clause 0x1
	global_load_dwordx2 v[3:4], v5, s[38:39]
	global_load_ubyte v6, v5, s[38:39] offset:8
	v_cmp_eq_u16_sdwa vcc_lo, v87, v5 src0_sel:BYTE_0 src1_sel:DWORD
	s_waitcnt vmcnt(1)
	v_cndmask_b32_e32 v3, 0, v3, vcc_lo
	v_cndmask_b32_e32 v4, 0, v4, vcc_lo
	s_waitcnt vmcnt(0)
	v_or_b32_e32 v5, v87, v6
	v_add_co_u32 v1, vcc_lo, v3, v1
	v_add_co_ci_u32_e64 v2, null, v4, v2, vcc_lo
	v_and_b32_e32 v87, 1, v5
.LBB118_153:
	s_or_b32 exec_lo, exec_lo, s2
	v_mov_b32_e32 v3, 0
	v_or_b32_e32 v6, v87, v92
	v_cmp_eq_u32_e64 s12, 1, v61
	v_cmp_eq_u32_e64 s15, 1, v60
	;; [unrolled: 1-line block ×3, first 2 shown]
	v_cmp_eq_u16_sdwa vcc_lo, v92, v3 src0_sel:BYTE_0 src1_sel:DWORD
	v_cmp_ne_u16_sdwa s20, v55, v3 src0_sel:BYTE_0 src1_sel:DWORD
	v_cmp_ne_u16_sdwa s21, v56, v3 src0_sel:BYTE_0 src1_sel:DWORD
	;; [unrolled: 1-line block ×4, first 2 shown]
	v_cndmask_b32_e32 v5, 0, v1, vcc_lo
	v_cndmask_b32_e32 v4, 0, v2, vcc_lo
	s_or_b32 s20, s20, s12
	s_or_b32 s12, s21, s15
	v_cmp_eq_u32_e64 s14, 1, v62
	v_add_co_u32 v27, s2, v5, v9
	v_add_co_ci_u32_e64 v28, null, v4, v10, s2
	v_cmp_eq_u16_sdwa s2, v91, v3 src0_sel:BYTE_0 src1_sel:DWORD
	s_or_b32 s15, s16, s12
	v_cmp_eq_u32_e64 s13, 1, v63
	s_or_b32 s14, s34, s14
	v_and_b32_e32 v51, 15, v53
	v_cndmask_b32_e64 v5, 0, v27, s2
	v_cndmask_b32_e64 v4, 0, v28, s2
	s_or_b32 s14, s15, s14
	s_or_b32 s13, s17, s13
	;; [unrolled: 1-line block ×3, first 2 shown]
	v_add_co_u32 v29, s3, v5, v15
	v_add_co_ci_u32_e64 v30, null, v4, v16, s3
	v_cmp_eq_u16_sdwa s3, v90, v3 src0_sel:BYTE_0 src1_sel:DWORD
	s_or_b32 s14, s14, s13
	s_mov_b32 s15, exec_lo
	v_cndmask_b32_e64 v54, 0, 1, s14
	v_cndmask_b32_e64 v5, 0, v29, s3
	;; [unrolled: 1-line block ×3, first 2 shown]
	v_mov_b32_dpp v52, v54 row_shr:1 row_mask:0xf bank_mask:0xf
	v_add_co_u32 v31, s4, v5, v13
	v_add_co_ci_u32_e64 v32, null, v4, v14, s4
	v_cmp_eq_u16_sdwa s4, v89, v3 src0_sel:BYTE_0 src1_sel:DWORD
	v_cndmask_b32_e64 v5, 0, v31, s4
	v_cndmask_b32_e64 v4, 0, v32, s4
	v_add_co_u32 v33, s5, v5, v19
	v_add_co_ci_u32_e64 v34, null, v4, v20, s5
	v_cmp_eq_u16_sdwa s5, v88, v3 src0_sel:BYTE_0 src1_sel:DWORD
	v_cndmask_b32_e64 v5, 0, v33, s5
	v_cndmask_b32_e64 v4, 0, v34, s5
	;; [unrolled: 5-line block ×8, first 2 shown]
	v_add_co_u32 v47, s12, v4, v7
	v_add_co_ci_u32_e64 v48, null, v3, v8, s12
	v_cmp_eq_u16_e64 s12, 0, v58
	v_cndmask_b32_e64 v4, 0, v47, s12
	v_cndmask_b32_e64 v3, 0, v48, s12
	v_add_co_u32 v49, s13, v4, v11
	v_add_co_ci_u32_e64 v50, null, v3, v12, s13
	v_mov_b32_e32 v3, v49
	v_mov_b32_dpp v55, v49 row_shr:1 row_mask:0xf bank_mask:0xf
	v_mov_b32_dpp v56, v50 row_shr:1 row_mask:0xf bank_mask:0xf
	v_mov_b32_e32 v4, v50
	v_mov_b32_e32 v6, v50
	;; [unrolled: 1-line block ×3, first 2 shown]
	v_cmpx_ne_u32_e32 0, v51
	s_cbranch_execz .LBB118_155
; %bb.154:
	v_cndmask_b32_e64 v3, v55, 0, s14
	v_cndmask_b32_e64 v4, v56, 0, s14
	v_and_or_b32 v54, v52, 1, v54
	v_add_co_u32 v3, s13, v49, v3
	v_add_co_ci_u32_e64 v4, null, v50, v4, s13
	v_mov_b32_e32 v5, v3
	v_mov_b32_e32 v6, v4
.LBB118_155:
	s_or_b32 exec_lo, exec_lo, s15
	v_mov_b32_dpp v55, v5 row_shr:2 row_mask:0xf bank_mask:0xf
	v_mov_b32_dpp v56, v6 row_shr:2 row_mask:0xf bank_mask:0xf
	v_mov_b32_dpp v52, v54 row_shr:2 row_mask:0xf bank_mask:0xf
	s_mov_b32 s14, exec_lo
	v_cmpx_lt_u32_e32 1, v51
	s_cbranch_execz .LBB118_157
; %bb.156:
	v_cmp_eq_u16_e64 s13, 0, v54
	v_or_b32_e32 v52, v52, v54
	v_cndmask_b32_e64 v5, 0, v55, s13
	v_cndmask_b32_e64 v6, 0, v56, s13
	v_and_b32_e32 v54, 1, v52
	v_add_co_u32 v5, s13, v5, v3
	v_add_co_ci_u32_e64 v6, null, v6, v4, s13
	v_mov_b32_e32 v3, v5
	v_mov_b32_e32 v4, v6
.LBB118_157:
	s_or_b32 exec_lo, exec_lo, s14
	v_mov_b32_dpp v55, v5 row_shr:4 row_mask:0xf bank_mask:0xf
	v_mov_b32_dpp v56, v6 row_shr:4 row_mask:0xf bank_mask:0xf
	v_mov_b32_dpp v52, v54 row_shr:4 row_mask:0xf bank_mask:0xf
	s_mov_b32 s14, exec_lo
	v_cmpx_lt_u32_e32 3, v51
	s_cbranch_execz .LBB118_159
; %bb.158:
	v_cmp_eq_u16_e64 s13, 0, v54
	v_or_b32_e32 v52, v52, v54
	v_cndmask_b32_e64 v5, 0, v55, s13
	v_cndmask_b32_e64 v6, 0, v56, s13
	v_and_b32_e32 v54, 1, v52
	v_add_co_u32 v5, s13, v5, v3
	v_add_co_ci_u32_e64 v6, null, v6, v4, s13
	v_mov_b32_e32 v3, v5
	v_mov_b32_e32 v4, v6
.LBB118_159:
	;; [unrolled: 18-line block ×3, first 2 shown]
	s_or_b32 exec_lo, exec_lo, s14
	ds_swizzle_b32 v5, v5 offset:swizzle(BROADCAST,32,15)
	ds_swizzle_b32 v6, v6 offset:swizzle(BROADCAST,32,15)
	;; [unrolled: 1-line block ×3, first 2 shown]
	v_and_b32_e32 v51, 16, v53
	v_cmp_ne_u32_e64 s13, 0, v51
	v_mov_b32_e32 v51, v54
	s_and_saveexec_b32 s16, s13
	s_cbranch_execz .LBB118_163
; %bb.162:
	v_cmp_eq_u16_e64 s13, 0, v54
	v_and_b32_e32 v51, 1, v54
	s_waitcnt lgkmcnt(0)
	v_and_b32_e32 v52, 1, v52
	v_cndmask_b32_e64 v6, 0, v6, s13
	v_cndmask_b32_e64 v5, 0, v5, s13
	v_cmp_eq_u32_e64 s13, 1, v51
	v_cmp_eq_u32_e64 s14, 1, v52
	v_add_co_u32 v3, s15, v5, v3
	s_or_b32 s13, s13, s14
	v_add_co_ci_u32_e64 v4, null, v6, v4, s15
	v_cndmask_b32_e64 v54, 0, 1, s13
	v_cndmask_b32_e64 v51, 0, 1, s13
.LBB118_163:
	s_or_b32 exec_lo, exec_lo, s16
	s_waitcnt lgkmcnt(2)
	v_or_b32_e32 v5, 31, v0
	s_waitcnt lgkmcnt(0)
	v_lshrrev_b32_e32 v52, 5, v0
	s_mov_b32 s14, exec_lo
	v_cmpx_eq_u32_e64 v0, v5
	s_cbranch_execz .LBB118_165
; %bb.164:
	v_lshlrev_b32_e32 v5, 4, v52
	ds_write_b64 v5, v[3:4]
	ds_write_b8 v5, v54 offset:8
.LBB118_165:
	s_or_b32 exec_lo, exec_lo, s14
	s_mov_b32 s16, exec_lo
	s_waitcnt lgkmcnt(0)
	s_barrier
	buffer_gl0_inv
	v_cmpx_gt_u32_e32 8, v0
	s_cbranch_execz .LBB118_173
; %bb.166:
	v_lshlrev_b32_e32 v54, 4, v0
	v_and_b32_e32 v55, 7, v53
	s_mov_b32 s14, exec_lo
	ds_read_b64 v[5:6], v54
	ds_read_b32 v60, v54 offset:8
	s_waitcnt lgkmcnt(1)
	v_mov_b32_dpp v61, v5 row_shr:1 row_mask:0xf bank_mask:0xf
	v_mov_b32_dpp v62, v6 row_shr:1 row_mask:0xf bank_mask:0xf
	s_waitcnt lgkmcnt(0)
	v_and_b32_e32 v58, 0xffffff00, v60
	v_mov_b32_dpp v63, v60 row_shr:1 row_mask:0xf bank_mask:0xf
	v_mov_b32_e32 v59, v60
	v_mov_b32_e32 v56, v60
	v_cmpx_ne_u32_e32 0, v55
	s_cbranch_execz .LBB118_168
; %bb.167:
	v_mov_b32_e32 v56, 0
	v_cmp_eq_u16_sdwa s13, v60, v56 src0_sel:BYTE_0 src1_sel:DWORD
	v_or_b32_e32 v56, v63, v60
	v_cndmask_b32_e64 v61, 0, v61, s13
	v_cndmask_b32_e64 v60, 0, v62, s13
	v_and_b32_e32 v59, 1, v56
	v_and_b32_e32 v56, 1, v56
	v_add_co_u32 v5, s13, v61, v5
	v_add_co_ci_u32_e64 v6, null, v60, v6, s13
	v_or_b32_e32 v60, v56, v58
.LBB118_168:
	s_or_b32 exec_lo, exec_lo, s14
	v_mov_b32_dpp v61, v5 row_shr:2 row_mask:0xf bank_mask:0xf
	v_mov_b32_dpp v62, v6 row_shr:2 row_mask:0xf bank_mask:0xf
	v_mov_b32_dpp v63, v60 row_shr:2 row_mask:0xf bank_mask:0xf
	s_mov_b32 s17, exec_lo
	v_cmpx_lt_u32_e32 1, v55
	s_cbranch_execz .LBB118_170
; %bb.169:
	v_mov_b32_e32 v59, 0
	v_and_b32_e32 v60, 1, v56
	v_and_b32_e32 v63, 1, v63
	v_cmp_eq_u16_sdwa s13, v56, v59 src0_sel:BYTE_0 src1_sel:DWORD
	v_cmp_eq_u32_e64 s14, 1, v60
	v_cmp_eq_u32_e64 s15, 1, v63
	v_cndmask_b32_e64 v56, 0, v62, s13
	v_cndmask_b32_e64 v60, 0, v61, s13
	s_or_b32 s13, s14, s15
	v_cndmask_b32_e64 v59, 0, 1, s13
	v_cndmask_b32_e64 v61, 0, 1, s13
	v_add_co_u32 v5, s13, v60, v5
	v_add_co_ci_u32_e64 v6, null, v56, v6, s13
	v_or_b32_e32 v60, v58, v61
	v_mov_b32_e32 v56, v59
.LBB118_170:
	s_or_b32 exec_lo, exec_lo, s17
	v_mov_b32_dpp v58, v5 row_shr:4 row_mask:0xf bank_mask:0xf
	v_mov_b32_dpp v61, v6 row_shr:4 row_mask:0xf bank_mask:0xf
	;; [unrolled: 1-line block ×3, first 2 shown]
	s_mov_b32 s17, exec_lo
	v_cmpx_lt_u32_e32 3, v55
	s_cbranch_execz .LBB118_172
; %bb.171:
	v_mov_b32_e32 v55, 0
	v_cmp_eq_u16_sdwa s13, v56, v55 src0_sel:BYTE_0 src1_sel:DWORD
	v_and_b32_e32 v55, 1, v56
	v_and_b32_e32 v56, 1, v60
	v_cndmask_b32_e64 v59, 0, v61, s13
	v_cndmask_b32_e64 v58, 0, v58, s13
	v_cmp_eq_u32_e64 s13, 1, v55
	v_cmp_eq_u32_e64 s14, 1, v56
	v_add_co_u32 v5, s15, v58, v5
	s_or_b32 s13, s13, s14
	v_add_co_ci_u32_e64 v6, null, v59, v6, s15
	v_cndmask_b32_e64 v59, 0, 1, s13
.LBB118_172:
	s_or_b32 exec_lo, exec_lo, s17
	ds_write_b64 v54, v[5:6]
	ds_write_b8 v54, v59 offset:8
.LBB118_173:
	s_or_b32 exec_lo, exec_lo, s16
	v_mov_b32_e32 v5, 0
	v_mov_b32_e32 v6, 0
	s_mov_b32 s14, exec_lo
	s_waitcnt lgkmcnt(0)
	s_barrier
	buffer_gl0_inv
	v_cmpx_lt_u32_e32 31, v0
	s_cbranch_execz .LBB118_175
; %bb.174:
	v_lshl_add_u32 v5, v52, 4, -16
	v_cmp_eq_u32_e64 s13, 0, v51
	ds_read_b64 v[5:6], v5
	s_waitcnt lgkmcnt(0)
	v_cndmask_b32_e64 v52, 0, v5, s13
	v_cndmask_b32_e64 v51, 0, v6, s13
	v_add_co_u32 v3, s13, v52, v3
	v_add_co_ci_u32_e64 v4, null, v51, v4, s13
.LBB118_175:
	s_or_b32 exec_lo, exec_lo, s14
	v_add_nc_u32_e32 v51, -1, v53
	v_cmp_gt_i32_e64 s13, 0, v51
	v_cndmask_b32_e64 v51, v51, v53, s13
	v_lshlrev_b32_e32 v51, 2, v51
	ds_bpermute_b32 v3, v51, v3
	ds_bpermute_b32 v4, v51, v4
	s_and_saveexec_b32 s13, s1
	s_cbranch_execz .LBB118_177
; %bb.176:
	v_cmp_eq_u32_e64 s1, 0, v53
	v_mov_b32_e32 v27, 0
	;;#ASMSTART
	;;#ASMEND
	s_waitcnt lgkmcnt(1)
	v_cndmask_b32_e64 v3, v3, v5, s1
	s_waitcnt lgkmcnt(0)
	v_cndmask_b32_e64 v4, v4, v6, s1
	v_cmp_eq_u16_sdwa s1, v87, v27 src0_sel:BYTE_0 src1_sel:DWORD
	v_cndmask_b32_e64 v3, 0, v3, s1
	v_cndmask_b32_e64 v4, 0, v4, s1
	v_add_co_u32 v1, s1, v3, v1
	v_add_co_ci_u32_e64 v2, null, v4, v2, s1
	v_cndmask_b32_e32 v3, 0, v1, vcc_lo
	v_cndmask_b32_e32 v4, 0, v2, vcc_lo
	v_add_co_u32 v27, vcc_lo, v3, v9
	v_add_co_ci_u32_e64 v28, null, v4, v10, vcc_lo
	v_cndmask_b32_e64 v3, 0, v27, s2
	v_cndmask_b32_e64 v4, 0, v28, s2
	v_add_co_u32 v29, vcc_lo, v3, v15
	v_add_co_ci_u32_e64 v30, null, v4, v16, vcc_lo
	v_cndmask_b32_e64 v3, 0, v29, s3
	v_cndmask_b32_e64 v4, 0, v30, s3
	;; [unrolled: 4-line block ×11, first 2 shown]
	v_add_co_u32 v49, vcc_lo, v3, v11
	v_add_co_ci_u32_e64 v50, null, v4, v12, vcc_lo
.LBB118_177:
	s_or_b32 exec_lo, exec_lo, s13
	s_and_saveexec_b32 s1, s0
	s_cbranch_execz .LBB118_179
; %bb.178:
	v_mov_b32_e32 v5, 0
	v_mov_b32_e32 v7, 2
	s_waitcnt lgkmcnt(0)
	ds_read_b64 v[3:4], v5 offset:112
	ds_read_u8 v6, v5 offset:120
	s_waitcnt lgkmcnt(1)
	global_store_dwordx2 v5, v[3:4], s[22:23] offset:512
	s_waitcnt lgkmcnt(0)
	global_store_byte v5, v6, s[22:23] offset:520
	s_waitcnt_vscnt null, 0x0
	buffer_gl1_inv
	buffer_gl0_inv
	global_store_byte v5, v7, s[24:25] offset:32
.LBB118_179:
	s_or_b32 exec_lo, exec_lo, s1
	v_mov_b32_e32 v52, v2
	v_mov_b32_e32 v51, v1
.LBB118_180:
	s_add_u32 s0, s18, s28
	s_addc_u32 s1, s19, s29
	s_add_u32 s0, s0, s30
	s_addc_u32 s1, s1, s31
	s_and_b32 vcc_lo, exec_lo, s27
	s_cbranch_vccz .LBB118_224
; %bb.181:
	v_mul_u32_u24_e32 v1, 13, v0
	s_add_i32 s33, s33, s26
	s_mov_b32 s2, exec_lo
	v_cmpx_gt_u32_e64 s33, v1
	s_cbranch_execz .LBB118_199
; %bb.182:
	v_add_nc_u32_e32 v2, 1, v1
	s_mov_b32 s3, exec_lo
	v_cmpx_gt_u32_e64 s33, v2
	s_cbranch_execz .LBB118_198
; %bb.183:
	v_add_nc_u32_e32 v2, 2, v1
	;; [unrolled: 5-line block ×8, first 2 shown]
	s_mov_b32 s10, exec_lo
	v_cmpx_gt_u32_e64 s33, v2
; %bb.190:
	v_add_nc_u32_e32 v2, 9, v1
	s_mov_b32 s11, exec_lo
	v_cmpx_gt_u32_e64 s33, v2
	s_or_b32 exec_lo, exec_lo, s11
; %bb.191:
	s_or_b32 exec_lo, exec_lo, s10
.LBB118_192:
	s_or_b32 exec_lo, exec_lo, s9
.LBB118_193:
	s_or_b32 exec_lo, exec_lo, s8
.LBB118_194:
	s_or_b32 exec_lo, exec_lo, s7
.LBB118_195:
	s_or_b32 exec_lo, exec_lo, s6
.LBB118_196:
	s_or_b32 exec_lo, exec_lo, s5
.LBB118_197:
	s_or_b32 exec_lo, exec_lo, s4
.LBB118_198:
	s_or_b32 exec_lo, exec_lo, s3
.LBB118_199:
	s_or_b32 exec_lo, exec_lo, s2
	v_lshlrev_b32_e32 v53, 3, v1
	s_waitcnt lgkmcnt(0)
	s_waitcnt_vscnt null, 0x0
	s_barrier
	buffer_gl0_inv
	v_add_co_u32 v25, s2, s0, v57
	v_mad_i32_i24 v1, 0xffffffa0, v0, v53
	ds_write2_b64 v53, v[51:52], v[27:28] offset1:1
	ds_write2_b64 v53, v[29:30], v[31:32] offset0:2 offset1:3
	ds_write2_b64 v53, v[33:34], v[35:36] offset0:4 offset1:5
	;; [unrolled: 1-line block ×5, first 2 shown]
	ds_write_b64 v53, v[49:50] offset:96
	s_waitcnt lgkmcnt(0)
	s_barrier
	buffer_gl0_inv
	ds_read2st64_b64 v[21:24], v1 offset0:4 offset1:8
	ds_read2st64_b64 v[17:20], v1 offset0:12 offset1:16
	;; [unrolled: 1-line block ×6, first 2 shown]
	v_add_co_ci_u32_e64 v26, null, s1, 0, s2
	s_mov_b32 s2, exec_lo
	v_cmpx_gt_u32_e64 s33, v0
	s_cbranch_execz .LBB118_201
; %bb.200:
	v_mul_i32_i24_e32 v54, 0xffffffa0, v0
	v_add_nc_u32_e32 v53, v53, v54
	ds_read_b64 v[53:54], v53
	s_waitcnt lgkmcnt(0)
	flat_store_dwordx2 v[25:26], v[53:54]
.LBB118_201:
	s_or_b32 exec_lo, exec_lo, s2
	v_or_b32_e32 v53, 0x100, v0
	s_mov_b32 s2, exec_lo
	v_cmpx_gt_u32_e64 s33, v53
	s_cbranch_execz .LBB118_203
; %bb.202:
	v_add_co_u32 v53, vcc_lo, 0x800, v25
	v_add_co_ci_u32_e64 v54, null, 0, v26, vcc_lo
	s_waitcnt lgkmcnt(5)
	flat_store_dwordx2 v[53:54], v[21:22]
.LBB118_203:
	s_or_b32 exec_lo, exec_lo, s2
	s_waitcnt lgkmcnt(5)
	v_or_b32_e32 v21, 0x200, v0
	s_mov_b32 s2, exec_lo
	v_cmpx_gt_u32_e64 s33, v21
	s_cbranch_execz .LBB118_205
; %bb.204:
	v_add_co_u32 v21, vcc_lo, 0x1000, v25
	v_add_co_ci_u32_e64 v22, null, 0, v26, vcc_lo
	flat_store_dwordx2 v[21:22], v[23:24]
.LBB118_205:
	s_or_b32 exec_lo, exec_lo, s2
	v_or_b32_e32 v21, 0x300, v0
	s_mov_b32 s2, exec_lo
	v_cmpx_gt_u32_e64 s33, v21
	s_cbranch_execz .LBB118_207
; %bb.206:
	v_add_co_u32 v21, vcc_lo, 0x1800, v25
	v_add_co_ci_u32_e64 v22, null, 0, v26, vcc_lo
	s_waitcnt lgkmcnt(4)
	flat_store_dwordx2 v[21:22], v[17:18]
.LBB118_207:
	s_or_b32 exec_lo, exec_lo, s2
	s_waitcnt lgkmcnt(4)
	v_or_b32_e32 v17, 0x400, v0
	s_mov_b32 s2, exec_lo
	v_cmpx_gt_u32_e64 s33, v17
	s_cbranch_execz .LBB118_209
; %bb.208:
	v_add_co_u32 v17, vcc_lo, 0x2000, v25
	v_add_co_ci_u32_e64 v18, null, 0, v26, vcc_lo
	flat_store_dwordx2 v[17:18], v[19:20]
.LBB118_209:
	s_or_b32 exec_lo, exec_lo, s2
	v_or_b32_e32 v17, 0x500, v0
	s_mov_b32 s2, exec_lo
	v_cmpx_gt_u32_e64 s33, v17
	s_cbranch_execz .LBB118_211
; %bb.210:
	v_add_co_u32 v17, vcc_lo, 0x2800, v25
	v_add_co_ci_u32_e64 v18, null, 0, v26, vcc_lo
	s_waitcnt lgkmcnt(3)
	flat_store_dwordx2 v[17:18], v[13:14]
.LBB118_211:
	s_or_b32 exec_lo, exec_lo, s2
	s_waitcnt lgkmcnt(3)
	v_or_b32_e32 v13, 0x600, v0
	s_mov_b32 s2, exec_lo
	v_cmpx_gt_u32_e64 s33, v13
	s_cbranch_execz .LBB118_213
; %bb.212:
	v_add_co_u32 v13, vcc_lo, 0x3000, v25
	v_add_co_ci_u32_e64 v14, null, 0, v26, vcc_lo
	flat_store_dwordx2 v[13:14], v[15:16]
.LBB118_213:
	s_or_b32 exec_lo, exec_lo, s2
	v_or_b32_e32 v13, 0x700, v0
	s_mov_b32 s2, exec_lo
	v_cmpx_gt_u32_e64 s33, v13
	s_cbranch_execz .LBB118_215
; %bb.214:
	v_add_co_u32 v13, vcc_lo, 0x3800, v25
	v_add_co_ci_u32_e64 v14, null, 0, v26, vcc_lo
	s_waitcnt lgkmcnt(2)
	flat_store_dwordx2 v[13:14], v[9:10]
.LBB118_215:
	s_or_b32 exec_lo, exec_lo, s2
	s_waitcnt lgkmcnt(2)
	v_or_b32_e32 v9, 0x800, v0
	s_mov_b32 s2, exec_lo
	v_cmpx_gt_u32_e64 s33, v9
	s_cbranch_execz .LBB118_217
; %bb.216:
	v_add_co_u32 v9, vcc_lo, 0x4000, v25
	v_add_co_ci_u32_e64 v10, null, 0, v26, vcc_lo
	flat_store_dwordx2 v[9:10], v[11:12]
.LBB118_217:
	s_or_b32 exec_lo, exec_lo, s2
	v_or_b32_e32 v9, 0x900, v0
	s_mov_b32 s2, exec_lo
	v_cmpx_gt_u32_e64 s33, v9
	s_cbranch_execz .LBB118_219
; %bb.218:
	v_add_co_u32 v9, vcc_lo, 0x4800, v25
	v_add_co_ci_u32_e64 v10, null, 0, v26, vcc_lo
	s_waitcnt lgkmcnt(1)
	flat_store_dwordx2 v[9:10], v[5:6]
.LBB118_219:
	s_or_b32 exec_lo, exec_lo, s2
	s_waitcnt lgkmcnt(1)
	v_or_b32_e32 v5, 0xa00, v0
	s_mov_b32 s2, exec_lo
	v_cmpx_gt_u32_e64 s33, v5
	s_cbranch_execz .LBB118_221
; %bb.220:
	v_add_co_u32 v5, vcc_lo, 0x5000, v25
	v_add_co_ci_u32_e64 v6, null, 0, v26, vcc_lo
	flat_store_dwordx2 v[5:6], v[7:8]
.LBB118_221:
	s_or_b32 exec_lo, exec_lo, s2
	v_or_b32_e32 v5, 0xb00, v0
	s_mov_b32 s2, exec_lo
	v_cmpx_gt_u32_e64 s33, v5
	s_cbranch_execz .LBB118_223
; %bb.222:
	v_add_co_u32 v5, vcc_lo, 0x5800, v25
	v_add_co_ci_u32_e64 v6, null, 0, v26, vcc_lo
	s_waitcnt lgkmcnt(0)
	flat_store_dwordx2 v[5:6], v[1:2]
.LBB118_223:
	s_or_b32 exec_lo, exec_lo, s2
	s_waitcnt lgkmcnt(0)
	v_or_b32_e32 v1, 0xc00, v0
	v_cmp_gt_u32_e64 s2, s33, v1
	s_branch .LBB118_226
.LBB118_224:
	s_mov_b32 s2, 0
                                        ; implicit-def: $vgpr3_vgpr4
	s_cbranch_execz .LBB118_226
; %bb.225:
	v_mul_i32_i24_e32 v2, 0xffffffa0, v0
	v_mul_u32_u24_e32 v1, 0x68, v0
	s_waitcnt lgkmcnt(0)
	s_waitcnt_vscnt null, 0x0
	s_barrier
	buffer_gl0_inv
	v_mad_u32_u24 v3, 0x68, v0, v2
	ds_write2_b64 v1, v[51:52], v[27:28] offset1:1
	ds_write2_b64 v1, v[29:30], v[31:32] offset0:2 offset1:3
	ds_write2_b64 v1, v[33:34], v[35:36] offset0:4 offset1:5
	;; [unrolled: 1-line block ×5, first 2 shown]
	ds_write_b64 v1, v[49:50] offset:96
	s_waitcnt lgkmcnt(0)
	s_barrier
	buffer_gl0_inv
	ds_read2st64_b64 v[5:8], v3 offset1:4
	ds_read2st64_b64 v[9:12], v3 offset0:8 offset1:12
	ds_read2st64_b64 v[13:16], v3 offset0:16 offset1:20
	;; [unrolled: 1-line block ×3, first 2 shown]
	v_add_co_u32 v1, s3, s0, v57
	v_add_co_ci_u32_e64 v2, null, s1, 0, s3
	ds_read2st64_b64 v[21:24], v3 offset0:32 offset1:36
	v_add_co_u32 v29, vcc_lo, 0x800, v1
	v_add_co_ci_u32_e64 v30, null, 0, v2, vcc_lo
	v_add_co_u32 v31, vcc_lo, 0x1000, v1
	v_add_co_ci_u32_e64 v32, null, 0, v2, vcc_lo
	ds_read2st64_b64 v[25:28], v3 offset0:40 offset1:44
	ds_read_b64 v[3:4], v3 offset:24576
	s_or_b32 s2, s2, exec_lo
	s_waitcnt lgkmcnt(6)
	flat_store_dwordx2 v[1:2], v[5:6]
	flat_store_dwordx2 v[29:30], v[7:8]
	s_waitcnt lgkmcnt(7)
	flat_store_dwordx2 v[31:32], v[9:10]
	v_add_co_u32 v5, vcc_lo, 0x1800, v1
	v_add_co_ci_u32_e64 v6, null, 0, v2, vcc_lo
	v_add_co_u32 v7, vcc_lo, 0x2000, v1
	v_add_co_ci_u32_e64 v8, null, 0, v2, vcc_lo
	;; [unrolled: 2-line block ×5, first 2 shown]
	flat_store_dwordx2 v[5:6], v[11:12]
	s_waitcnt lgkmcnt(8)
	flat_store_dwordx2 v[7:8], v[13:14]
	flat_store_dwordx2 v[9:10], v[15:16]
	s_waitcnt lgkmcnt(9)
	flat_store_dwordx2 v[29:30], v[17:18]
	flat_store_dwordx2 v[31:32], v[19:20]
	v_add_co_u32 v5, vcc_lo, 0x4000, v1
	v_add_co_ci_u32_e64 v6, null, 0, v2, vcc_lo
	v_add_co_u32 v7, vcc_lo, 0x4800, v1
	v_add_co_ci_u32_e64 v8, null, 0, v2, vcc_lo
	;; [unrolled: 2-line block ×4, first 2 shown]
	s_waitcnt lgkmcnt(10)
	flat_store_dwordx2 v[5:6], v[21:22]
	flat_store_dwordx2 v[7:8], v[23:24]
	s_waitcnt lgkmcnt(11)
	flat_store_dwordx2 v[9:10], v[25:26]
	flat_store_dwordx2 v[1:2], v[27:28]
.LBB118_226:
	s_and_saveexec_b32 s3, s2
	s_cbranch_execnz .LBB118_228
; %bb.227:
	s_endpgm
.LBB118_228:
	v_lshlrev_b32_e32 v0, 3, v0
	v_add_co_u32 v0, s0, s0, v0
	v_add_co_ci_u32_e64 v1, null, s1, 0, s0
	v_add_co_u32 v0, vcc_lo, 0x6000, v0
	v_add_co_ci_u32_e64 v1, null, 0, v1, vcc_lo
	s_waitcnt lgkmcnt(0)
	flat_store_dwordx2 v[0:1], v[3:4]
	s_endpgm
.LBB118_229:
	v_add_co_u32 v1, s2, s15, v39
	v_add_co_ci_u32_e64 v2, null, s45, 0, s2
	flat_load_dwordx2 v[1:2], v[1:2]
	s_or_b32 exec_lo, exec_lo, s36
                                        ; implicit-def: $vgpr3_vgpr4
	s_and_saveexec_b32 s2, s3
	s_cbranch_execz .LBB118_39
.LBB118_230:
	v_add_co_u32 v3, s3, s15, v27
	v_add_co_ci_u32_e64 v4, null, s45, 0, s3
	flat_load_dwordx2 v[3:4], v[3:4]
	s_or_b32 exec_lo, exec_lo, s2
                                        ; implicit-def: $vgpr5_vgpr6
	s_and_saveexec_b32 s2, s4
	s_cbranch_execz .LBB118_40
.LBB118_231:
	v_add_co_u32 v5, s3, s15, v28
	v_add_co_ci_u32_e64 v6, null, s45, 0, s3
	flat_load_dwordx2 v[5:6], v[5:6]
	s_or_b32 exec_lo, exec_lo, s2
                                        ; implicit-def: $vgpr7_vgpr8
	s_and_saveexec_b32 s2, s5
	s_cbranch_execz .LBB118_41
.LBB118_232:
	v_add_co_u32 v7, s3, s15, v29
	v_add_co_ci_u32_e64 v8, null, s45, 0, s3
	flat_load_dwordx2 v[7:8], v[7:8]
	s_or_b32 exec_lo, exec_lo, s2
                                        ; implicit-def: $vgpr9_vgpr10
	s_and_saveexec_b32 s2, s6
	s_cbranch_execz .LBB118_42
.LBB118_233:
	v_add_co_u32 v9, s3, s15, v30
	v_add_co_ci_u32_e64 v10, null, s45, 0, s3
	flat_load_dwordx2 v[9:10], v[9:10]
	s_or_b32 exec_lo, exec_lo, s2
                                        ; implicit-def: $vgpr13_vgpr14
	s_and_saveexec_b32 s2, s7
	s_cbranch_execz .LBB118_43
.LBB118_234:
	v_add_co_u32 v13, s3, s15, v31
	v_add_co_ci_u32_e64 v14, null, s45, 0, s3
	flat_load_dwordx2 v[13:14], v[13:14]
	s_or_b32 exec_lo, exec_lo, s2
                                        ; implicit-def: $vgpr15_vgpr16
	s_and_saveexec_b32 s2, s8
	s_cbranch_execz .LBB118_44
.LBB118_235:
	v_add_co_u32 v15, s3, s15, v32
	v_add_co_ci_u32_e64 v16, null, s45, 0, s3
	flat_load_dwordx2 v[15:16], v[15:16]
	s_or_b32 exec_lo, exec_lo, s2
                                        ; implicit-def: $vgpr17_vgpr18
	s_and_saveexec_b32 s2, s9
	s_cbranch_execz .LBB118_45
.LBB118_236:
	v_add_co_u32 v17, s3, s15, v33
	v_add_co_ci_u32_e64 v18, null, s45, 0, s3
	flat_load_dwordx2 v[17:18], v[17:18]
	s_or_b32 exec_lo, exec_lo, s2
                                        ; implicit-def: $vgpr19_vgpr20
	s_and_saveexec_b32 s2, s10
	s_cbranch_execz .LBB118_46
.LBB118_237:
	v_add_co_u32 v19, s3, s15, v34
	v_add_co_ci_u32_e64 v20, null, s45, 0, s3
	flat_load_dwordx2 v[19:20], v[19:20]
	s_or_b32 exec_lo, exec_lo, s2
                                        ; implicit-def: $vgpr21_vgpr22
	s_and_saveexec_b32 s2, s11
	s_cbranch_execz .LBB118_47
.LBB118_238:
	v_add_co_u32 v21, s3, s15, v35
	v_add_co_ci_u32_e64 v22, null, s45, 0, s3
	flat_load_dwordx2 v[21:22], v[21:22]
	s_or_b32 exec_lo, exec_lo, s2
                                        ; implicit-def: $vgpr23_vgpr24
	s_and_saveexec_b32 s2, s12
	s_cbranch_execz .LBB118_48
.LBB118_239:
	v_add_co_u32 v23, s3, s15, v36
	v_add_co_ci_u32_e64 v24, null, s45, 0, s3
	flat_load_dwordx2 v[23:24], v[23:24]
	s_or_b32 exec_lo, exec_lo, s2
                                        ; implicit-def: $vgpr25_vgpr26
	s_and_saveexec_b32 s2, s13
	s_cbranch_execz .LBB118_49
.LBB118_240:
	v_add_co_u32 v25, s3, s15, v37
	v_add_co_ci_u32_e64 v26, null, s45, 0, s3
	flat_load_dwordx2 v[25:26], v[25:26]
	s_or_b32 exec_lo, exec_lo, s2
                                        ; implicit-def: $vgpr27_vgpr28
	s_and_saveexec_b32 s2, s14
	s_cbranch_execnz .LBB118_50
	s_branch .LBB118_51
.LBB118_241:
                                        ; implicit-def: $sgpr36_sgpr37
	s_branch .LBB118_34
.LBB118_242:
                                        ; implicit-def: $sgpr2_sgpr3
	s_branch .LBB118_80
	.section	.rodata,"a",@progbits
	.p2align	6, 0x0
	.amdhsa_kernel _ZN7rocprim17ROCPRIM_400000_NS6detail17trampoline_kernelINS0_14default_configENS1_27scan_by_key_config_selectorIxxEEZZNS1_16scan_by_key_implILNS1_25lookback_scan_determinismE0ELb0ES3_N6thrust23THRUST_200600_302600_NS6detail15normal_iteratorINS9_10device_ptrIxEEEESE_SE_xNS9_4plusIvEENS9_8equal_toIxEExEE10hipError_tPvRmT2_T3_T4_T5_mT6_T7_P12ihipStream_tbENKUlT_T0_E_clISt17integral_constantIbLb0EESY_IbLb1EEEEDaSU_SV_EUlSU_E_NS1_11comp_targetILNS1_3genE8ELNS1_11target_archE1030ELNS1_3gpuE2ELNS1_3repE0EEENS1_30default_config_static_selectorELNS0_4arch9wavefront6targetE0EEEvT1_
		.amdhsa_group_segment_fixed_size 30720
		.amdhsa_private_segment_fixed_size 0
		.amdhsa_kernarg_size 136
		.amdhsa_user_sgpr_count 6
		.amdhsa_user_sgpr_private_segment_buffer 1
		.amdhsa_user_sgpr_dispatch_ptr 0
		.amdhsa_user_sgpr_queue_ptr 0
		.amdhsa_user_sgpr_kernarg_segment_ptr 1
		.amdhsa_user_sgpr_dispatch_id 0
		.amdhsa_user_sgpr_flat_scratch_init 0
		.amdhsa_user_sgpr_private_segment_size 0
		.amdhsa_wavefront_size32 1
		.amdhsa_uses_dynamic_stack 0
		.amdhsa_system_sgpr_private_segment_wavefront_offset 0
		.amdhsa_system_sgpr_workgroup_id_x 1
		.amdhsa_system_sgpr_workgroup_id_y 0
		.amdhsa_system_sgpr_workgroup_id_z 0
		.amdhsa_system_sgpr_workgroup_info 0
		.amdhsa_system_vgpr_workitem_id 0
		.amdhsa_next_free_vgpr 113
		.amdhsa_next_free_sgpr 51
		.amdhsa_reserve_vcc 1
		.amdhsa_reserve_flat_scratch 1
		.amdhsa_float_round_mode_32 0
		.amdhsa_float_round_mode_16_64 0
		.amdhsa_float_denorm_mode_32 3
		.amdhsa_float_denorm_mode_16_64 3
		.amdhsa_dx10_clamp 1
		.amdhsa_ieee_mode 1
		.amdhsa_fp16_overflow 0
		.amdhsa_workgroup_processor_mode 1
		.amdhsa_memory_ordered 1
		.amdhsa_forward_progress 1
		.amdhsa_shared_vgpr_count 0
		.amdhsa_exception_fp_ieee_invalid_op 0
		.amdhsa_exception_fp_denorm_src 0
		.amdhsa_exception_fp_ieee_div_zero 0
		.amdhsa_exception_fp_ieee_overflow 0
		.amdhsa_exception_fp_ieee_underflow 0
		.amdhsa_exception_fp_ieee_inexact 0
		.amdhsa_exception_int_div_zero 0
	.end_amdhsa_kernel
	.section	.text._ZN7rocprim17ROCPRIM_400000_NS6detail17trampoline_kernelINS0_14default_configENS1_27scan_by_key_config_selectorIxxEEZZNS1_16scan_by_key_implILNS1_25lookback_scan_determinismE0ELb0ES3_N6thrust23THRUST_200600_302600_NS6detail15normal_iteratorINS9_10device_ptrIxEEEESE_SE_xNS9_4plusIvEENS9_8equal_toIxEExEE10hipError_tPvRmT2_T3_T4_T5_mT6_T7_P12ihipStream_tbENKUlT_T0_E_clISt17integral_constantIbLb0EESY_IbLb1EEEEDaSU_SV_EUlSU_E_NS1_11comp_targetILNS1_3genE8ELNS1_11target_archE1030ELNS1_3gpuE2ELNS1_3repE0EEENS1_30default_config_static_selectorELNS0_4arch9wavefront6targetE0EEEvT1_,"axG",@progbits,_ZN7rocprim17ROCPRIM_400000_NS6detail17trampoline_kernelINS0_14default_configENS1_27scan_by_key_config_selectorIxxEEZZNS1_16scan_by_key_implILNS1_25lookback_scan_determinismE0ELb0ES3_N6thrust23THRUST_200600_302600_NS6detail15normal_iteratorINS9_10device_ptrIxEEEESE_SE_xNS9_4plusIvEENS9_8equal_toIxEExEE10hipError_tPvRmT2_T3_T4_T5_mT6_T7_P12ihipStream_tbENKUlT_T0_E_clISt17integral_constantIbLb0EESY_IbLb1EEEEDaSU_SV_EUlSU_E_NS1_11comp_targetILNS1_3genE8ELNS1_11target_archE1030ELNS1_3gpuE2ELNS1_3repE0EEENS1_30default_config_static_selectorELNS0_4arch9wavefront6targetE0EEEvT1_,comdat
.Lfunc_end118:
	.size	_ZN7rocprim17ROCPRIM_400000_NS6detail17trampoline_kernelINS0_14default_configENS1_27scan_by_key_config_selectorIxxEEZZNS1_16scan_by_key_implILNS1_25lookback_scan_determinismE0ELb0ES3_N6thrust23THRUST_200600_302600_NS6detail15normal_iteratorINS9_10device_ptrIxEEEESE_SE_xNS9_4plusIvEENS9_8equal_toIxEExEE10hipError_tPvRmT2_T3_T4_T5_mT6_T7_P12ihipStream_tbENKUlT_T0_E_clISt17integral_constantIbLb0EESY_IbLb1EEEEDaSU_SV_EUlSU_E_NS1_11comp_targetILNS1_3genE8ELNS1_11target_archE1030ELNS1_3gpuE2ELNS1_3repE0EEENS1_30default_config_static_selectorELNS0_4arch9wavefront6targetE0EEEvT1_, .Lfunc_end118-_ZN7rocprim17ROCPRIM_400000_NS6detail17trampoline_kernelINS0_14default_configENS1_27scan_by_key_config_selectorIxxEEZZNS1_16scan_by_key_implILNS1_25lookback_scan_determinismE0ELb0ES3_N6thrust23THRUST_200600_302600_NS6detail15normal_iteratorINS9_10device_ptrIxEEEESE_SE_xNS9_4plusIvEENS9_8equal_toIxEExEE10hipError_tPvRmT2_T3_T4_T5_mT6_T7_P12ihipStream_tbENKUlT_T0_E_clISt17integral_constantIbLb0EESY_IbLb1EEEEDaSU_SV_EUlSU_E_NS1_11comp_targetILNS1_3genE8ELNS1_11target_archE1030ELNS1_3gpuE2ELNS1_3repE0EEENS1_30default_config_static_selectorELNS0_4arch9wavefront6targetE0EEEvT1_
                                        ; -- End function
	.set _ZN7rocprim17ROCPRIM_400000_NS6detail17trampoline_kernelINS0_14default_configENS1_27scan_by_key_config_selectorIxxEEZZNS1_16scan_by_key_implILNS1_25lookback_scan_determinismE0ELb0ES3_N6thrust23THRUST_200600_302600_NS6detail15normal_iteratorINS9_10device_ptrIxEEEESE_SE_xNS9_4plusIvEENS9_8equal_toIxEExEE10hipError_tPvRmT2_T3_T4_T5_mT6_T7_P12ihipStream_tbENKUlT_T0_E_clISt17integral_constantIbLb0EESY_IbLb1EEEEDaSU_SV_EUlSU_E_NS1_11comp_targetILNS1_3genE8ELNS1_11target_archE1030ELNS1_3gpuE2ELNS1_3repE0EEENS1_30default_config_static_selectorELNS0_4arch9wavefront6targetE0EEEvT1_.num_vgpr, 106
	.set _ZN7rocprim17ROCPRIM_400000_NS6detail17trampoline_kernelINS0_14default_configENS1_27scan_by_key_config_selectorIxxEEZZNS1_16scan_by_key_implILNS1_25lookback_scan_determinismE0ELb0ES3_N6thrust23THRUST_200600_302600_NS6detail15normal_iteratorINS9_10device_ptrIxEEEESE_SE_xNS9_4plusIvEENS9_8equal_toIxEExEE10hipError_tPvRmT2_T3_T4_T5_mT6_T7_P12ihipStream_tbENKUlT_T0_E_clISt17integral_constantIbLb0EESY_IbLb1EEEEDaSU_SV_EUlSU_E_NS1_11comp_targetILNS1_3genE8ELNS1_11target_archE1030ELNS1_3gpuE2ELNS1_3repE0EEENS1_30default_config_static_selectorELNS0_4arch9wavefront6targetE0EEEvT1_.num_agpr, 0
	.set _ZN7rocprim17ROCPRIM_400000_NS6detail17trampoline_kernelINS0_14default_configENS1_27scan_by_key_config_selectorIxxEEZZNS1_16scan_by_key_implILNS1_25lookback_scan_determinismE0ELb0ES3_N6thrust23THRUST_200600_302600_NS6detail15normal_iteratorINS9_10device_ptrIxEEEESE_SE_xNS9_4plusIvEENS9_8equal_toIxEExEE10hipError_tPvRmT2_T3_T4_T5_mT6_T7_P12ihipStream_tbENKUlT_T0_E_clISt17integral_constantIbLb0EESY_IbLb1EEEEDaSU_SV_EUlSU_E_NS1_11comp_targetILNS1_3genE8ELNS1_11target_archE1030ELNS1_3gpuE2ELNS1_3repE0EEENS1_30default_config_static_selectorELNS0_4arch9wavefront6targetE0EEEvT1_.numbered_sgpr, 51
	.set _ZN7rocprim17ROCPRIM_400000_NS6detail17trampoline_kernelINS0_14default_configENS1_27scan_by_key_config_selectorIxxEEZZNS1_16scan_by_key_implILNS1_25lookback_scan_determinismE0ELb0ES3_N6thrust23THRUST_200600_302600_NS6detail15normal_iteratorINS9_10device_ptrIxEEEESE_SE_xNS9_4plusIvEENS9_8equal_toIxEExEE10hipError_tPvRmT2_T3_T4_T5_mT6_T7_P12ihipStream_tbENKUlT_T0_E_clISt17integral_constantIbLb0EESY_IbLb1EEEEDaSU_SV_EUlSU_E_NS1_11comp_targetILNS1_3genE8ELNS1_11target_archE1030ELNS1_3gpuE2ELNS1_3repE0EEENS1_30default_config_static_selectorELNS0_4arch9wavefront6targetE0EEEvT1_.num_named_barrier, 0
	.set _ZN7rocprim17ROCPRIM_400000_NS6detail17trampoline_kernelINS0_14default_configENS1_27scan_by_key_config_selectorIxxEEZZNS1_16scan_by_key_implILNS1_25lookback_scan_determinismE0ELb0ES3_N6thrust23THRUST_200600_302600_NS6detail15normal_iteratorINS9_10device_ptrIxEEEESE_SE_xNS9_4plusIvEENS9_8equal_toIxEExEE10hipError_tPvRmT2_T3_T4_T5_mT6_T7_P12ihipStream_tbENKUlT_T0_E_clISt17integral_constantIbLb0EESY_IbLb1EEEEDaSU_SV_EUlSU_E_NS1_11comp_targetILNS1_3genE8ELNS1_11target_archE1030ELNS1_3gpuE2ELNS1_3repE0EEENS1_30default_config_static_selectorELNS0_4arch9wavefront6targetE0EEEvT1_.private_seg_size, 0
	.set _ZN7rocprim17ROCPRIM_400000_NS6detail17trampoline_kernelINS0_14default_configENS1_27scan_by_key_config_selectorIxxEEZZNS1_16scan_by_key_implILNS1_25lookback_scan_determinismE0ELb0ES3_N6thrust23THRUST_200600_302600_NS6detail15normal_iteratorINS9_10device_ptrIxEEEESE_SE_xNS9_4plusIvEENS9_8equal_toIxEExEE10hipError_tPvRmT2_T3_T4_T5_mT6_T7_P12ihipStream_tbENKUlT_T0_E_clISt17integral_constantIbLb0EESY_IbLb1EEEEDaSU_SV_EUlSU_E_NS1_11comp_targetILNS1_3genE8ELNS1_11target_archE1030ELNS1_3gpuE2ELNS1_3repE0EEENS1_30default_config_static_selectorELNS0_4arch9wavefront6targetE0EEEvT1_.uses_vcc, 1
	.set _ZN7rocprim17ROCPRIM_400000_NS6detail17trampoline_kernelINS0_14default_configENS1_27scan_by_key_config_selectorIxxEEZZNS1_16scan_by_key_implILNS1_25lookback_scan_determinismE0ELb0ES3_N6thrust23THRUST_200600_302600_NS6detail15normal_iteratorINS9_10device_ptrIxEEEESE_SE_xNS9_4plusIvEENS9_8equal_toIxEExEE10hipError_tPvRmT2_T3_T4_T5_mT6_T7_P12ihipStream_tbENKUlT_T0_E_clISt17integral_constantIbLb0EESY_IbLb1EEEEDaSU_SV_EUlSU_E_NS1_11comp_targetILNS1_3genE8ELNS1_11target_archE1030ELNS1_3gpuE2ELNS1_3repE0EEENS1_30default_config_static_selectorELNS0_4arch9wavefront6targetE0EEEvT1_.uses_flat_scratch, 1
	.set _ZN7rocprim17ROCPRIM_400000_NS6detail17trampoline_kernelINS0_14default_configENS1_27scan_by_key_config_selectorIxxEEZZNS1_16scan_by_key_implILNS1_25lookback_scan_determinismE0ELb0ES3_N6thrust23THRUST_200600_302600_NS6detail15normal_iteratorINS9_10device_ptrIxEEEESE_SE_xNS9_4plusIvEENS9_8equal_toIxEExEE10hipError_tPvRmT2_T3_T4_T5_mT6_T7_P12ihipStream_tbENKUlT_T0_E_clISt17integral_constantIbLb0EESY_IbLb1EEEEDaSU_SV_EUlSU_E_NS1_11comp_targetILNS1_3genE8ELNS1_11target_archE1030ELNS1_3gpuE2ELNS1_3repE0EEENS1_30default_config_static_selectorELNS0_4arch9wavefront6targetE0EEEvT1_.has_dyn_sized_stack, 0
	.set _ZN7rocprim17ROCPRIM_400000_NS6detail17trampoline_kernelINS0_14default_configENS1_27scan_by_key_config_selectorIxxEEZZNS1_16scan_by_key_implILNS1_25lookback_scan_determinismE0ELb0ES3_N6thrust23THRUST_200600_302600_NS6detail15normal_iteratorINS9_10device_ptrIxEEEESE_SE_xNS9_4plusIvEENS9_8equal_toIxEExEE10hipError_tPvRmT2_T3_T4_T5_mT6_T7_P12ihipStream_tbENKUlT_T0_E_clISt17integral_constantIbLb0EESY_IbLb1EEEEDaSU_SV_EUlSU_E_NS1_11comp_targetILNS1_3genE8ELNS1_11target_archE1030ELNS1_3gpuE2ELNS1_3repE0EEENS1_30default_config_static_selectorELNS0_4arch9wavefront6targetE0EEEvT1_.has_recursion, 0
	.set _ZN7rocprim17ROCPRIM_400000_NS6detail17trampoline_kernelINS0_14default_configENS1_27scan_by_key_config_selectorIxxEEZZNS1_16scan_by_key_implILNS1_25lookback_scan_determinismE0ELb0ES3_N6thrust23THRUST_200600_302600_NS6detail15normal_iteratorINS9_10device_ptrIxEEEESE_SE_xNS9_4plusIvEENS9_8equal_toIxEExEE10hipError_tPvRmT2_T3_T4_T5_mT6_T7_P12ihipStream_tbENKUlT_T0_E_clISt17integral_constantIbLb0EESY_IbLb1EEEEDaSU_SV_EUlSU_E_NS1_11comp_targetILNS1_3genE8ELNS1_11target_archE1030ELNS1_3gpuE2ELNS1_3repE0EEENS1_30default_config_static_selectorELNS0_4arch9wavefront6targetE0EEEvT1_.has_indirect_call, 0
	.section	.AMDGPU.csdata,"",@progbits
; Kernel info:
; codeLenInByte = 15356
; TotalNumSgprs: 53
; NumVgprs: 106
; ScratchSize: 0
; MemoryBound: 0
; FloatMode: 240
; IeeeMode: 1
; LDSByteSize: 30720 bytes/workgroup (compile time only)
; SGPRBlocks: 0
; VGPRBlocks: 14
; NumSGPRsForWavesPerEU: 53
; NumVGPRsForWavesPerEU: 113
; Occupancy: 8
; WaveLimiterHint : 1
; COMPUTE_PGM_RSRC2:SCRATCH_EN: 0
; COMPUTE_PGM_RSRC2:USER_SGPR: 6
; COMPUTE_PGM_RSRC2:TRAP_HANDLER: 0
; COMPUTE_PGM_RSRC2:TGID_X_EN: 1
; COMPUTE_PGM_RSRC2:TGID_Y_EN: 0
; COMPUTE_PGM_RSRC2:TGID_Z_EN: 0
; COMPUTE_PGM_RSRC2:TIDIG_COMP_CNT: 0
	.section	.text._ZN6thrust23THRUST_200600_302600_NS11hip_rocprim14__parallel_for6kernelILj256ENS1_20__uninitialized_fill7functorINS0_10device_ptrIiEEiEEmLj1EEEvT0_T1_SA_,"axG",@progbits,_ZN6thrust23THRUST_200600_302600_NS11hip_rocprim14__parallel_for6kernelILj256ENS1_20__uninitialized_fill7functorINS0_10device_ptrIiEEiEEmLj1EEEvT0_T1_SA_,comdat
	.protected	_ZN6thrust23THRUST_200600_302600_NS11hip_rocprim14__parallel_for6kernelILj256ENS1_20__uninitialized_fill7functorINS0_10device_ptrIiEEiEEmLj1EEEvT0_T1_SA_ ; -- Begin function _ZN6thrust23THRUST_200600_302600_NS11hip_rocprim14__parallel_for6kernelILj256ENS1_20__uninitialized_fill7functorINS0_10device_ptrIiEEiEEmLj1EEEvT0_T1_SA_
	.globl	_ZN6thrust23THRUST_200600_302600_NS11hip_rocprim14__parallel_for6kernelILj256ENS1_20__uninitialized_fill7functorINS0_10device_ptrIiEEiEEmLj1EEEvT0_T1_SA_
	.p2align	8
	.type	_ZN6thrust23THRUST_200600_302600_NS11hip_rocprim14__parallel_for6kernelILj256ENS1_20__uninitialized_fill7functorINS0_10device_ptrIiEEiEEmLj1EEEvT0_T1_SA_,@function
_ZN6thrust23THRUST_200600_302600_NS11hip_rocprim14__parallel_for6kernelILj256ENS1_20__uninitialized_fill7functorINS0_10device_ptrIiEEiEEmLj1EEEvT0_T1_SA_: ; @_ZN6thrust23THRUST_200600_302600_NS11hip_rocprim14__parallel_for6kernelILj256ENS1_20__uninitialized_fill7functorINS0_10device_ptrIiEEiEEmLj1EEEvT0_T1_SA_
; %bb.0:
	s_clause 0x2
	s_load_dwordx4 s[8:11], s[4:5], 0x10
	s_load_dwordx2 s[0:1], s[4:5], 0x0
	s_load_dword s7, s[4:5], 0x8
	s_lshl_b32 s2, s6, 8
	s_waitcnt lgkmcnt(0)
	s_add_u32 s2, s10, s2
	s_addc_u32 s3, s11, 0
	s_sub_u32 s4, s8, s2
	s_subb_u32 s5, s9, s3
	v_cmp_lt_u64_e64 s5, 0xff, s[4:5]
	s_and_b32 vcc_lo, exec_lo, s5
	s_mov_b32 s5, -1
	s_cbranch_vccz .LBB119_3
; %bb.1:
	s_andn2_b32 vcc_lo, exec_lo, s5
	s_cbranch_vccz .LBB119_6
.LBB119_2:
	s_endpgm
.LBB119_3:
	v_cmp_gt_u32_e32 vcc_lo, s4, v0
	s_and_saveexec_b32 s4, vcc_lo
	s_cbranch_execz .LBB119_5
; %bb.4:
	v_lshlrev_b32_e32 v1, 2, v0
	s_lshl_b64 s[8:9], s[2:3], 2
	v_mov_b32_e32 v3, s7
	s_add_u32 s5, s0, s8
	s_addc_u32 s6, s1, s9
	v_add_co_u32 v1, s5, s5, v1
	v_add_co_ci_u32_e64 v2, null, s6, 0, s5
	flat_store_dword v[1:2], v3
.LBB119_5:
	s_or_b32 exec_lo, exec_lo, s4
	s_cbranch_execnz .LBB119_2
.LBB119_6:
	v_lshlrev_b32_e32 v0, 2, v0
	s_lshl_b64 s[2:3], s[2:3], 2
	v_mov_b32_e32 v2, s7
	s_add_u32 s0, s0, s2
	s_addc_u32 s1, s1, s3
	v_add_co_u32 v0, s0, s0, v0
	v_add_co_ci_u32_e64 v1, null, s1, 0, s0
	flat_store_dword v[0:1], v2
	s_endpgm
	.section	.rodata,"a",@progbits
	.p2align	6, 0x0
	.amdhsa_kernel _ZN6thrust23THRUST_200600_302600_NS11hip_rocprim14__parallel_for6kernelILj256ENS1_20__uninitialized_fill7functorINS0_10device_ptrIiEEiEEmLj1EEEvT0_T1_SA_
		.amdhsa_group_segment_fixed_size 0
		.amdhsa_private_segment_fixed_size 0
		.amdhsa_kernarg_size 32
		.amdhsa_user_sgpr_count 6
		.amdhsa_user_sgpr_private_segment_buffer 1
		.amdhsa_user_sgpr_dispatch_ptr 0
		.amdhsa_user_sgpr_queue_ptr 0
		.amdhsa_user_sgpr_kernarg_segment_ptr 1
		.amdhsa_user_sgpr_dispatch_id 0
		.amdhsa_user_sgpr_flat_scratch_init 0
		.amdhsa_user_sgpr_private_segment_size 0
		.amdhsa_wavefront_size32 1
		.amdhsa_uses_dynamic_stack 0
		.amdhsa_system_sgpr_private_segment_wavefront_offset 0
		.amdhsa_system_sgpr_workgroup_id_x 1
		.amdhsa_system_sgpr_workgroup_id_y 0
		.amdhsa_system_sgpr_workgroup_id_z 0
		.amdhsa_system_sgpr_workgroup_info 0
		.amdhsa_system_vgpr_workitem_id 0
		.amdhsa_next_free_vgpr 4
		.amdhsa_next_free_sgpr 12
		.amdhsa_reserve_vcc 1
		.amdhsa_reserve_flat_scratch 0
		.amdhsa_float_round_mode_32 0
		.amdhsa_float_round_mode_16_64 0
		.amdhsa_float_denorm_mode_32 3
		.amdhsa_float_denorm_mode_16_64 3
		.amdhsa_dx10_clamp 1
		.amdhsa_ieee_mode 1
		.amdhsa_fp16_overflow 0
		.amdhsa_workgroup_processor_mode 1
		.amdhsa_memory_ordered 1
		.amdhsa_forward_progress 1
		.amdhsa_shared_vgpr_count 0
		.amdhsa_exception_fp_ieee_invalid_op 0
		.amdhsa_exception_fp_denorm_src 0
		.amdhsa_exception_fp_ieee_div_zero 0
		.amdhsa_exception_fp_ieee_overflow 0
		.amdhsa_exception_fp_ieee_underflow 0
		.amdhsa_exception_fp_ieee_inexact 0
		.amdhsa_exception_int_div_zero 0
	.end_amdhsa_kernel
	.section	.text._ZN6thrust23THRUST_200600_302600_NS11hip_rocprim14__parallel_for6kernelILj256ENS1_20__uninitialized_fill7functorINS0_10device_ptrIiEEiEEmLj1EEEvT0_T1_SA_,"axG",@progbits,_ZN6thrust23THRUST_200600_302600_NS11hip_rocprim14__parallel_for6kernelILj256ENS1_20__uninitialized_fill7functorINS0_10device_ptrIiEEiEEmLj1EEEvT0_T1_SA_,comdat
.Lfunc_end119:
	.size	_ZN6thrust23THRUST_200600_302600_NS11hip_rocprim14__parallel_for6kernelILj256ENS1_20__uninitialized_fill7functorINS0_10device_ptrIiEEiEEmLj1EEEvT0_T1_SA_, .Lfunc_end119-_ZN6thrust23THRUST_200600_302600_NS11hip_rocprim14__parallel_for6kernelILj256ENS1_20__uninitialized_fill7functorINS0_10device_ptrIiEEiEEmLj1EEEvT0_T1_SA_
                                        ; -- End function
	.set _ZN6thrust23THRUST_200600_302600_NS11hip_rocprim14__parallel_for6kernelILj256ENS1_20__uninitialized_fill7functorINS0_10device_ptrIiEEiEEmLj1EEEvT0_T1_SA_.num_vgpr, 4
	.set _ZN6thrust23THRUST_200600_302600_NS11hip_rocprim14__parallel_for6kernelILj256ENS1_20__uninitialized_fill7functorINS0_10device_ptrIiEEiEEmLj1EEEvT0_T1_SA_.num_agpr, 0
	.set _ZN6thrust23THRUST_200600_302600_NS11hip_rocprim14__parallel_for6kernelILj256ENS1_20__uninitialized_fill7functorINS0_10device_ptrIiEEiEEmLj1EEEvT0_T1_SA_.numbered_sgpr, 12
	.set _ZN6thrust23THRUST_200600_302600_NS11hip_rocprim14__parallel_for6kernelILj256ENS1_20__uninitialized_fill7functorINS0_10device_ptrIiEEiEEmLj1EEEvT0_T1_SA_.num_named_barrier, 0
	.set _ZN6thrust23THRUST_200600_302600_NS11hip_rocprim14__parallel_for6kernelILj256ENS1_20__uninitialized_fill7functorINS0_10device_ptrIiEEiEEmLj1EEEvT0_T1_SA_.private_seg_size, 0
	.set _ZN6thrust23THRUST_200600_302600_NS11hip_rocprim14__parallel_for6kernelILj256ENS1_20__uninitialized_fill7functorINS0_10device_ptrIiEEiEEmLj1EEEvT0_T1_SA_.uses_vcc, 1
	.set _ZN6thrust23THRUST_200600_302600_NS11hip_rocprim14__parallel_for6kernelILj256ENS1_20__uninitialized_fill7functorINS0_10device_ptrIiEEiEEmLj1EEEvT0_T1_SA_.uses_flat_scratch, 0
	.set _ZN6thrust23THRUST_200600_302600_NS11hip_rocprim14__parallel_for6kernelILj256ENS1_20__uninitialized_fill7functorINS0_10device_ptrIiEEiEEmLj1EEEvT0_T1_SA_.has_dyn_sized_stack, 0
	.set _ZN6thrust23THRUST_200600_302600_NS11hip_rocprim14__parallel_for6kernelILj256ENS1_20__uninitialized_fill7functorINS0_10device_ptrIiEEiEEmLj1EEEvT0_T1_SA_.has_recursion, 0
	.set _ZN6thrust23THRUST_200600_302600_NS11hip_rocprim14__parallel_for6kernelILj256ENS1_20__uninitialized_fill7functorINS0_10device_ptrIiEEiEEmLj1EEEvT0_T1_SA_.has_indirect_call, 0
	.section	.AMDGPU.csdata,"",@progbits
; Kernel info:
; codeLenInByte = 200
; TotalNumSgprs: 14
; NumVgprs: 4
; ScratchSize: 0
; MemoryBound: 0
; FloatMode: 240
; IeeeMode: 1
; LDSByteSize: 0 bytes/workgroup (compile time only)
; SGPRBlocks: 0
; VGPRBlocks: 0
; NumSGPRsForWavesPerEU: 14
; NumVGPRsForWavesPerEU: 4
; Occupancy: 16
; WaveLimiterHint : 0
; COMPUTE_PGM_RSRC2:SCRATCH_EN: 0
; COMPUTE_PGM_RSRC2:USER_SGPR: 6
; COMPUTE_PGM_RSRC2:TRAP_HANDLER: 0
; COMPUTE_PGM_RSRC2:TGID_X_EN: 1
; COMPUTE_PGM_RSRC2:TGID_Y_EN: 0
; COMPUTE_PGM_RSRC2:TGID_Z_EN: 0
; COMPUTE_PGM_RSRC2:TIDIG_COMP_CNT: 0
	.section	.text._ZN7rocprim17ROCPRIM_400000_NS6detail30init_device_scan_by_key_kernelINS1_19lookback_scan_stateINS0_5tupleIJibEEELb0ELb1EEEN6thrust23THRUST_200600_302600_NS6detail15normal_iteratorINS8_10device_ptrIiEEEEjNS1_16block_id_wrapperIjLb0EEEEEvT_jjPNSG_10value_typeET0_PNSt15iterator_traitsISJ_E10value_typeEmT1_T2_,"axG",@progbits,_ZN7rocprim17ROCPRIM_400000_NS6detail30init_device_scan_by_key_kernelINS1_19lookback_scan_stateINS0_5tupleIJibEEELb0ELb1EEEN6thrust23THRUST_200600_302600_NS6detail15normal_iteratorINS8_10device_ptrIiEEEEjNS1_16block_id_wrapperIjLb0EEEEEvT_jjPNSG_10value_typeET0_PNSt15iterator_traitsISJ_E10value_typeEmT1_T2_,comdat
	.protected	_ZN7rocprim17ROCPRIM_400000_NS6detail30init_device_scan_by_key_kernelINS1_19lookback_scan_stateINS0_5tupleIJibEEELb0ELb1EEEN6thrust23THRUST_200600_302600_NS6detail15normal_iteratorINS8_10device_ptrIiEEEEjNS1_16block_id_wrapperIjLb0EEEEEvT_jjPNSG_10value_typeET0_PNSt15iterator_traitsISJ_E10value_typeEmT1_T2_ ; -- Begin function _ZN7rocprim17ROCPRIM_400000_NS6detail30init_device_scan_by_key_kernelINS1_19lookback_scan_stateINS0_5tupleIJibEEELb0ELb1EEEN6thrust23THRUST_200600_302600_NS6detail15normal_iteratorINS8_10device_ptrIiEEEEjNS1_16block_id_wrapperIjLb0EEEEEvT_jjPNSG_10value_typeET0_PNSt15iterator_traitsISJ_E10value_typeEmT1_T2_
	.globl	_ZN7rocprim17ROCPRIM_400000_NS6detail30init_device_scan_by_key_kernelINS1_19lookback_scan_stateINS0_5tupleIJibEEELb0ELb1EEEN6thrust23THRUST_200600_302600_NS6detail15normal_iteratorINS8_10device_ptrIiEEEEjNS1_16block_id_wrapperIjLb0EEEEEvT_jjPNSG_10value_typeET0_PNSt15iterator_traitsISJ_E10value_typeEmT1_T2_
	.p2align	8
	.type	_ZN7rocprim17ROCPRIM_400000_NS6detail30init_device_scan_by_key_kernelINS1_19lookback_scan_stateINS0_5tupleIJibEEELb0ELb1EEEN6thrust23THRUST_200600_302600_NS6detail15normal_iteratorINS8_10device_ptrIiEEEEjNS1_16block_id_wrapperIjLb0EEEEEvT_jjPNSG_10value_typeET0_PNSt15iterator_traitsISJ_E10value_typeEmT1_T2_,@function
_ZN7rocprim17ROCPRIM_400000_NS6detail30init_device_scan_by_key_kernelINS1_19lookback_scan_stateINS0_5tupleIJibEEELb0ELb1EEEN6thrust23THRUST_200600_302600_NS6detail15normal_iteratorINS8_10device_ptrIiEEEEjNS1_16block_id_wrapperIjLb0EEEEEvT_jjPNSG_10value_typeET0_PNSt15iterator_traitsISJ_E10value_typeEmT1_T2_: ; @_ZN7rocprim17ROCPRIM_400000_NS6detail30init_device_scan_by_key_kernelINS1_19lookback_scan_stateINS0_5tupleIJibEEELb0ELb1EEEN6thrust23THRUST_200600_302600_NS6detail15normal_iteratorINS8_10device_ptrIiEEEEjNS1_16block_id_wrapperIjLb0EEEEEvT_jjPNSG_10value_typeET0_PNSt15iterator_traitsISJ_E10value_typeEmT1_T2_
; %bb.0:
	s_clause 0x2
	s_load_dword s0, s[4:5], 0x44
	s_load_dwordx8 s[8:15], s[4:5], 0x0
	s_load_dword s7, s[4:5], 0x38
	s_waitcnt lgkmcnt(0)
	s_and_b32 s16, s0, 0xffff
	s_cmp_eq_u64 s[12:13], 0
	v_mad_u64_u32 v[4:5], null, s6, s16, v[0:1]
	s_cbranch_scc1 .LBB120_8
; %bb.1:
	s_cmp_lt_u32 s11, s10
	s_mov_b32 s1, 0
	s_cselect_b32 s0, s11, 0
	s_mov_b32 s2, exec_lo
	v_cmpx_eq_u32_e64 s0, v4
	s_cbranch_execz .LBB120_7
; %bb.2:
	s_add_i32 s0, s11, 32
	v_mov_b32_e32 v6, 0
	s_lshl_b64 s[0:1], s[0:1], 4
	s_mov_b32 s3, exec_lo
	s_add_u32 s0, s8, s0
	s_addc_u32 s1, s9, s1
	v_mov_b32_e32 v0, s0
	v_mov_b32_e32 v1, s1
	;;#ASMSTART
	global_load_dwordx4 v[0:3], v[0:1] off glc dlc	
s_waitcnt vmcnt(0)
	;;#ASMEND
	v_and_b32_e32 v5, 0xff, v2
	v_cmpx_eq_u64_e32 0, v[5:6]
	s_cbranch_execz .LBB120_6
; %bb.3:
	v_mov_b32_e32 v8, s1
	v_mov_b32_e32 v7, s0
	s_mov_b32 s0, 0
.LBB120_4:                              ; =>This Inner Loop Header: Depth=1
	;;#ASMSTART
	global_load_dwordx4 v[0:3], v[7:8] off glc dlc	
s_waitcnt vmcnt(0)
	;;#ASMEND
	v_and_b32_e32 v5, 0xff, v2
	v_cmp_ne_u64_e32 vcc_lo, 0, v[5:6]
	s_or_b32 s0, vcc_lo, s0
	s_andn2_b32 exec_lo, exec_lo, s0
	s_cbranch_execnz .LBB120_4
; %bb.5:
	s_or_b32 exec_lo, exec_lo, s0
.LBB120_6:
	s_or_b32 exec_lo, exec_lo, s3
	v_mov_b32_e32 v2, 0
	global_store_dword v2, v0, s[12:13]
	global_store_byte v2, v1, s[12:13] offset:4
.LBB120_7:
	s_or_b32 exec_lo, exec_lo, s2
.LBB120_8:
	s_mov_b32 s0, exec_lo
	v_cmpx_gt_u32_e64 s10, v4
	s_cbranch_execz .LBB120_10
; %bb.9:
	v_add_nc_u32_e32 v0, 32, v4
	v_mov_b32_e32 v1, 0
	v_lshlrev_b64 v[5:6], 4, v[0:1]
	v_mov_b32_e32 v0, v1
	v_mov_b32_e32 v2, v1
	;; [unrolled: 1-line block ×3, first 2 shown]
	v_add_co_u32 v5, vcc_lo, s8, v5
	v_add_co_ci_u32_e64 v6, null, s9, v6, vcc_lo
	global_store_dwordx4 v[5:6], v[0:3], off
.LBB120_10:
	s_or_b32 exec_lo, exec_lo, s0
	v_mov_b32_e32 v5, 0
	s_mov_b32 s0, exec_lo
	v_cmpx_gt_u32_e32 32, v4
	s_cbranch_execz .LBB120_12
; %bb.11:
	v_lshlrev_b64 v[6:7], 4, v[4:5]
	v_mov_b32_e32 v2, 0xff
	v_mov_b32_e32 v0, v5
	;; [unrolled: 1-line block ×4, first 2 shown]
	v_add_co_u32 v6, vcc_lo, s8, v6
	v_add_co_ci_u32_e64 v7, null, s9, v7, vcc_lo
	global_store_dwordx4 v[6:7], v[0:3], off
.LBB120_12:
	s_or_b32 exec_lo, exec_lo, s0
	s_load_dwordx2 s[2:3], s[4:5], 0x28
	s_mov_b32 s0, exec_lo
	s_waitcnt lgkmcnt(0)
	v_cmpx_gt_u64_e64 s[2:3], v[4:5]
	s_cbranch_execz .LBB120_15
; %bb.13:
	s_clause 0x1
	s_load_dword s6, s[4:5], 0x30
	s_load_dwordx2 s[8:9], s[4:5], 0x20
	s_mov_b32 s1, 0
	v_lshlrev_b64 v[2:3], 2, v[4:5]
	s_mul_i32 s4, s7, s16
	s_waitcnt lgkmcnt(0)
	v_mad_u64_u32 v[0:1], null, s6, v4, 0
	s_add_i32 s0, s6, -1
	s_mul_hi_u32 s7, s6, s4
	s_lshl_b64 s[10:11], s[0:1], 2
	s_mul_i32 s6, s6, s4
	s_add_u32 s0, s14, s10
	s_addc_u32 s5, s15, s11
	v_lshlrev_b64 v[0:1], 2, v[0:1]
	s_lshl_b64 s[6:7], s[6:7], 2
	v_add_co_u32 v0, vcc_lo, s0, v0
	v_add_co_ci_u32_e64 v1, null, s5, v1, vcc_lo
	v_add_co_u32 v2, vcc_lo, s8, v2
	v_add_co_ci_u32_e64 v3, null, s9, v3, vcc_lo
	s_mov_b32 s5, s1
	s_lshl_b64 s[8:9], s[4:5], 2
	.p2align	6
.LBB120_14:                             ; =>This Inner Loop Header: Depth=1
	global_load_dword v6, v[0:1], off
	v_add_co_u32 v4, vcc_lo, v4, s4
	v_add_co_ci_u32_e64 v5, null, 0, v5, vcc_lo
	v_add_co_u32 v0, vcc_lo, v0, s6
	v_add_co_ci_u32_e64 v1, null, s7, v1, vcc_lo
	v_cmp_le_u64_e32 vcc_lo, s[2:3], v[4:5]
	s_or_b32 s1, vcc_lo, s1
	s_waitcnt vmcnt(0)
	global_store_dword v[2:3], v6, off
	v_add_co_u32 v2, s0, v2, s8
	v_add_co_ci_u32_e64 v3, null, s9, v3, s0
	s_andn2_b32 exec_lo, exec_lo, s1
	s_cbranch_execnz .LBB120_14
.LBB120_15:
	s_endpgm
	.section	.rodata,"a",@progbits
	.p2align	6, 0x0
	.amdhsa_kernel _ZN7rocprim17ROCPRIM_400000_NS6detail30init_device_scan_by_key_kernelINS1_19lookback_scan_stateINS0_5tupleIJibEEELb0ELb1EEEN6thrust23THRUST_200600_302600_NS6detail15normal_iteratorINS8_10device_ptrIiEEEEjNS1_16block_id_wrapperIjLb0EEEEEvT_jjPNSG_10value_typeET0_PNSt15iterator_traitsISJ_E10value_typeEmT1_T2_
		.amdhsa_group_segment_fixed_size 0
		.amdhsa_private_segment_fixed_size 0
		.amdhsa_kernarg_size 312
		.amdhsa_user_sgpr_count 6
		.amdhsa_user_sgpr_private_segment_buffer 1
		.amdhsa_user_sgpr_dispatch_ptr 0
		.amdhsa_user_sgpr_queue_ptr 0
		.amdhsa_user_sgpr_kernarg_segment_ptr 1
		.amdhsa_user_sgpr_dispatch_id 0
		.amdhsa_user_sgpr_flat_scratch_init 0
		.amdhsa_user_sgpr_private_segment_size 0
		.amdhsa_wavefront_size32 1
		.amdhsa_uses_dynamic_stack 0
		.amdhsa_system_sgpr_private_segment_wavefront_offset 0
		.amdhsa_system_sgpr_workgroup_id_x 1
		.amdhsa_system_sgpr_workgroup_id_y 0
		.amdhsa_system_sgpr_workgroup_id_z 0
		.amdhsa_system_sgpr_workgroup_info 0
		.amdhsa_system_vgpr_workitem_id 0
		.amdhsa_next_free_vgpr 9
		.amdhsa_next_free_sgpr 17
		.amdhsa_reserve_vcc 1
		.amdhsa_reserve_flat_scratch 0
		.amdhsa_float_round_mode_32 0
		.amdhsa_float_round_mode_16_64 0
		.amdhsa_float_denorm_mode_32 3
		.amdhsa_float_denorm_mode_16_64 3
		.amdhsa_dx10_clamp 1
		.amdhsa_ieee_mode 1
		.amdhsa_fp16_overflow 0
		.amdhsa_workgroup_processor_mode 1
		.amdhsa_memory_ordered 1
		.amdhsa_forward_progress 1
		.amdhsa_shared_vgpr_count 0
		.amdhsa_exception_fp_ieee_invalid_op 0
		.amdhsa_exception_fp_denorm_src 0
		.amdhsa_exception_fp_ieee_div_zero 0
		.amdhsa_exception_fp_ieee_overflow 0
		.amdhsa_exception_fp_ieee_underflow 0
		.amdhsa_exception_fp_ieee_inexact 0
		.amdhsa_exception_int_div_zero 0
	.end_amdhsa_kernel
	.section	.text._ZN7rocprim17ROCPRIM_400000_NS6detail30init_device_scan_by_key_kernelINS1_19lookback_scan_stateINS0_5tupleIJibEEELb0ELb1EEEN6thrust23THRUST_200600_302600_NS6detail15normal_iteratorINS8_10device_ptrIiEEEEjNS1_16block_id_wrapperIjLb0EEEEEvT_jjPNSG_10value_typeET0_PNSt15iterator_traitsISJ_E10value_typeEmT1_T2_,"axG",@progbits,_ZN7rocprim17ROCPRIM_400000_NS6detail30init_device_scan_by_key_kernelINS1_19lookback_scan_stateINS0_5tupleIJibEEELb0ELb1EEEN6thrust23THRUST_200600_302600_NS6detail15normal_iteratorINS8_10device_ptrIiEEEEjNS1_16block_id_wrapperIjLb0EEEEEvT_jjPNSG_10value_typeET0_PNSt15iterator_traitsISJ_E10value_typeEmT1_T2_,comdat
.Lfunc_end120:
	.size	_ZN7rocprim17ROCPRIM_400000_NS6detail30init_device_scan_by_key_kernelINS1_19lookback_scan_stateINS0_5tupleIJibEEELb0ELb1EEEN6thrust23THRUST_200600_302600_NS6detail15normal_iteratorINS8_10device_ptrIiEEEEjNS1_16block_id_wrapperIjLb0EEEEEvT_jjPNSG_10value_typeET0_PNSt15iterator_traitsISJ_E10value_typeEmT1_T2_, .Lfunc_end120-_ZN7rocprim17ROCPRIM_400000_NS6detail30init_device_scan_by_key_kernelINS1_19lookback_scan_stateINS0_5tupleIJibEEELb0ELb1EEEN6thrust23THRUST_200600_302600_NS6detail15normal_iteratorINS8_10device_ptrIiEEEEjNS1_16block_id_wrapperIjLb0EEEEEvT_jjPNSG_10value_typeET0_PNSt15iterator_traitsISJ_E10value_typeEmT1_T2_
                                        ; -- End function
	.set _ZN7rocprim17ROCPRIM_400000_NS6detail30init_device_scan_by_key_kernelINS1_19lookback_scan_stateINS0_5tupleIJibEEELb0ELb1EEEN6thrust23THRUST_200600_302600_NS6detail15normal_iteratorINS8_10device_ptrIiEEEEjNS1_16block_id_wrapperIjLb0EEEEEvT_jjPNSG_10value_typeET0_PNSt15iterator_traitsISJ_E10value_typeEmT1_T2_.num_vgpr, 9
	.set _ZN7rocprim17ROCPRIM_400000_NS6detail30init_device_scan_by_key_kernelINS1_19lookback_scan_stateINS0_5tupleIJibEEELb0ELb1EEEN6thrust23THRUST_200600_302600_NS6detail15normal_iteratorINS8_10device_ptrIiEEEEjNS1_16block_id_wrapperIjLb0EEEEEvT_jjPNSG_10value_typeET0_PNSt15iterator_traitsISJ_E10value_typeEmT1_T2_.num_agpr, 0
	.set _ZN7rocprim17ROCPRIM_400000_NS6detail30init_device_scan_by_key_kernelINS1_19lookback_scan_stateINS0_5tupleIJibEEELb0ELb1EEEN6thrust23THRUST_200600_302600_NS6detail15normal_iteratorINS8_10device_ptrIiEEEEjNS1_16block_id_wrapperIjLb0EEEEEvT_jjPNSG_10value_typeET0_PNSt15iterator_traitsISJ_E10value_typeEmT1_T2_.numbered_sgpr, 17
	.set _ZN7rocprim17ROCPRIM_400000_NS6detail30init_device_scan_by_key_kernelINS1_19lookback_scan_stateINS0_5tupleIJibEEELb0ELb1EEEN6thrust23THRUST_200600_302600_NS6detail15normal_iteratorINS8_10device_ptrIiEEEEjNS1_16block_id_wrapperIjLb0EEEEEvT_jjPNSG_10value_typeET0_PNSt15iterator_traitsISJ_E10value_typeEmT1_T2_.num_named_barrier, 0
	.set _ZN7rocprim17ROCPRIM_400000_NS6detail30init_device_scan_by_key_kernelINS1_19lookback_scan_stateINS0_5tupleIJibEEELb0ELb1EEEN6thrust23THRUST_200600_302600_NS6detail15normal_iteratorINS8_10device_ptrIiEEEEjNS1_16block_id_wrapperIjLb0EEEEEvT_jjPNSG_10value_typeET0_PNSt15iterator_traitsISJ_E10value_typeEmT1_T2_.private_seg_size, 0
	.set _ZN7rocprim17ROCPRIM_400000_NS6detail30init_device_scan_by_key_kernelINS1_19lookback_scan_stateINS0_5tupleIJibEEELb0ELb1EEEN6thrust23THRUST_200600_302600_NS6detail15normal_iteratorINS8_10device_ptrIiEEEEjNS1_16block_id_wrapperIjLb0EEEEEvT_jjPNSG_10value_typeET0_PNSt15iterator_traitsISJ_E10value_typeEmT1_T2_.uses_vcc, 1
	.set _ZN7rocprim17ROCPRIM_400000_NS6detail30init_device_scan_by_key_kernelINS1_19lookback_scan_stateINS0_5tupleIJibEEELb0ELb1EEEN6thrust23THRUST_200600_302600_NS6detail15normal_iteratorINS8_10device_ptrIiEEEEjNS1_16block_id_wrapperIjLb0EEEEEvT_jjPNSG_10value_typeET0_PNSt15iterator_traitsISJ_E10value_typeEmT1_T2_.uses_flat_scratch, 0
	.set _ZN7rocprim17ROCPRIM_400000_NS6detail30init_device_scan_by_key_kernelINS1_19lookback_scan_stateINS0_5tupleIJibEEELb0ELb1EEEN6thrust23THRUST_200600_302600_NS6detail15normal_iteratorINS8_10device_ptrIiEEEEjNS1_16block_id_wrapperIjLb0EEEEEvT_jjPNSG_10value_typeET0_PNSt15iterator_traitsISJ_E10value_typeEmT1_T2_.has_dyn_sized_stack, 0
	.set _ZN7rocprim17ROCPRIM_400000_NS6detail30init_device_scan_by_key_kernelINS1_19lookback_scan_stateINS0_5tupleIJibEEELb0ELb1EEEN6thrust23THRUST_200600_302600_NS6detail15normal_iteratorINS8_10device_ptrIiEEEEjNS1_16block_id_wrapperIjLb0EEEEEvT_jjPNSG_10value_typeET0_PNSt15iterator_traitsISJ_E10value_typeEmT1_T2_.has_recursion, 0
	.set _ZN7rocprim17ROCPRIM_400000_NS6detail30init_device_scan_by_key_kernelINS1_19lookback_scan_stateINS0_5tupleIJibEEELb0ELb1EEEN6thrust23THRUST_200600_302600_NS6detail15normal_iteratorINS8_10device_ptrIiEEEEjNS1_16block_id_wrapperIjLb0EEEEEvT_jjPNSG_10value_typeET0_PNSt15iterator_traitsISJ_E10value_typeEmT1_T2_.has_indirect_call, 0
	.section	.AMDGPU.csdata,"",@progbits
; Kernel info:
; codeLenInByte = 664
; TotalNumSgprs: 19
; NumVgprs: 9
; ScratchSize: 0
; MemoryBound: 0
; FloatMode: 240
; IeeeMode: 1
; LDSByteSize: 0 bytes/workgroup (compile time only)
; SGPRBlocks: 0
; VGPRBlocks: 1
; NumSGPRsForWavesPerEU: 19
; NumVGPRsForWavesPerEU: 9
; Occupancy: 16
; WaveLimiterHint : 0
; COMPUTE_PGM_RSRC2:SCRATCH_EN: 0
; COMPUTE_PGM_RSRC2:USER_SGPR: 6
; COMPUTE_PGM_RSRC2:TRAP_HANDLER: 0
; COMPUTE_PGM_RSRC2:TGID_X_EN: 1
; COMPUTE_PGM_RSRC2:TGID_Y_EN: 0
; COMPUTE_PGM_RSRC2:TGID_Z_EN: 0
; COMPUTE_PGM_RSRC2:TIDIG_COMP_CNT: 0
	.section	.text._ZN7rocprim17ROCPRIM_400000_NS6detail30init_device_scan_by_key_kernelINS1_19lookback_scan_stateINS0_5tupleIJibEEELb0ELb1EEENS1_16block_id_wrapperIjLb0EEEEEvT_jjPNS9_10value_typeET0_,"axG",@progbits,_ZN7rocprim17ROCPRIM_400000_NS6detail30init_device_scan_by_key_kernelINS1_19lookback_scan_stateINS0_5tupleIJibEEELb0ELb1EEENS1_16block_id_wrapperIjLb0EEEEEvT_jjPNS9_10value_typeET0_,comdat
	.protected	_ZN7rocprim17ROCPRIM_400000_NS6detail30init_device_scan_by_key_kernelINS1_19lookback_scan_stateINS0_5tupleIJibEEELb0ELb1EEENS1_16block_id_wrapperIjLb0EEEEEvT_jjPNS9_10value_typeET0_ ; -- Begin function _ZN7rocprim17ROCPRIM_400000_NS6detail30init_device_scan_by_key_kernelINS1_19lookback_scan_stateINS0_5tupleIJibEEELb0ELb1EEENS1_16block_id_wrapperIjLb0EEEEEvT_jjPNS9_10value_typeET0_
	.globl	_ZN7rocprim17ROCPRIM_400000_NS6detail30init_device_scan_by_key_kernelINS1_19lookback_scan_stateINS0_5tupleIJibEEELb0ELb1EEENS1_16block_id_wrapperIjLb0EEEEEvT_jjPNS9_10value_typeET0_
	.p2align	8
	.type	_ZN7rocprim17ROCPRIM_400000_NS6detail30init_device_scan_by_key_kernelINS1_19lookback_scan_stateINS0_5tupleIJibEEELb0ELb1EEENS1_16block_id_wrapperIjLb0EEEEEvT_jjPNS9_10value_typeET0_,@function
_ZN7rocprim17ROCPRIM_400000_NS6detail30init_device_scan_by_key_kernelINS1_19lookback_scan_stateINS0_5tupleIJibEEELb0ELb1EEENS1_16block_id_wrapperIjLb0EEEEEvT_jjPNS9_10value_typeET0_: ; @_ZN7rocprim17ROCPRIM_400000_NS6detail30init_device_scan_by_key_kernelINS1_19lookback_scan_stateINS0_5tupleIJibEEELb0ELb1EEENS1_16block_id_wrapperIjLb0EEEEEvT_jjPNS9_10value_typeET0_
; %bb.0:
	s_clause 0x2
	s_load_dword s7, s[4:5], 0x2c
	s_load_dwordx2 s[8:9], s[4:5], 0x10
	s_load_dwordx4 s[0:3], s[4:5], 0x0
	s_waitcnt lgkmcnt(0)
	s_and_b32 s4, s7, 0xffff
	s_cmp_eq_u64 s[8:9], 0
	v_mad_u64_u32 v[0:1], null, s6, s4, v[0:1]
	s_cbranch_scc1 .LBB121_8
; %bb.1:
	s_cmp_lt_u32 s3, s2
	s_mov_b32 s5, 0
	s_cselect_b32 s4, s3, 0
	s_mov_b32 s6, exec_lo
	v_cmpx_eq_u32_e64 s4, v0
	s_cbranch_execz .LBB121_7
; %bb.2:
	s_add_i32 s4, s3, 32
	v_mov_b32_e32 v5, 0
	s_lshl_b64 s[4:5], s[4:5], 4
	s_mov_b32 s3, exec_lo
	s_add_u32 s4, s0, s4
	s_addc_u32 s5, s1, s5
	v_mov_b32_e32 v1, s4
	v_mov_b32_e32 v2, s5
	;;#ASMSTART
	global_load_dwordx4 v[1:4], v[1:2] off glc dlc	
s_waitcnt vmcnt(0)
	;;#ASMEND
	v_and_b32_e32 v4, 0xff, v3
	v_cmpx_eq_u64_e32 0, v[4:5]
	s_cbranch_execz .LBB121_6
; %bb.3:
	v_mov_b32_e32 v7, s5
	v_mov_b32_e32 v6, s4
	s_mov_b32 s4, 0
.LBB121_4:                              ; =>This Inner Loop Header: Depth=1
	;;#ASMSTART
	global_load_dwordx4 v[1:4], v[6:7] off glc dlc	
s_waitcnt vmcnt(0)
	;;#ASMEND
	v_and_b32_e32 v4, 0xff, v3
	v_cmp_ne_u64_e32 vcc_lo, 0, v[4:5]
	s_or_b32 s4, vcc_lo, s4
	s_andn2_b32 exec_lo, exec_lo, s4
	s_cbranch_execnz .LBB121_4
; %bb.5:
	s_or_b32 exec_lo, exec_lo, s4
.LBB121_6:
	s_or_b32 exec_lo, exec_lo, s3
	v_mov_b32_e32 v3, 0
	global_store_dword v3, v1, s[8:9]
	global_store_byte v3, v2, s[8:9] offset:4
.LBB121_7:
	s_or_b32 exec_lo, exec_lo, s6
.LBB121_8:
	v_cmp_gt_u32_e32 vcc_lo, s2, v0
	s_and_saveexec_b32 s2, vcc_lo
	s_cbranch_execz .LBB121_10
; %bb.9:
	v_add_nc_u32_e32 v1, 32, v0
	v_mov_b32_e32 v2, 0
	v_lshlrev_b64 v[4:5], 4, v[1:2]
	v_mov_b32_e32 v1, v2
	v_mov_b32_e32 v3, v2
	v_add_co_u32 v6, vcc_lo, s0, v4
	v_add_co_ci_u32_e64 v7, null, s1, v5, vcc_lo
	v_mov_b32_e32 v4, v2
	global_store_dwordx4 v[6:7], v[1:4], off
.LBB121_10:
	s_or_b32 exec_lo, exec_lo, s2
	s_mov_b32 s2, exec_lo
	v_cmpx_gt_u32_e32 32, v0
	s_cbranch_execz .LBB121_12
; %bb.11:
	v_mov_b32_e32 v1, 0
	v_mov_b32_e32 v2, 0xff
	v_lshlrev_b64 v[3:4], 4, v[0:1]
	v_mov_b32_e32 v0, v1
	v_add_co_u32 v5, vcc_lo, s0, v3
	v_add_co_ci_u32_e64 v6, null, s1, v4, vcc_lo
	v_mov_b32_e32 v3, v1
	global_store_dwordx4 v[5:6], v[0:3], off
.LBB121_12:
	s_endpgm
	.section	.rodata,"a",@progbits
	.p2align	6, 0x0
	.amdhsa_kernel _ZN7rocprim17ROCPRIM_400000_NS6detail30init_device_scan_by_key_kernelINS1_19lookback_scan_stateINS0_5tupleIJibEEELb0ELb1EEENS1_16block_id_wrapperIjLb0EEEEEvT_jjPNS9_10value_typeET0_
		.amdhsa_group_segment_fixed_size 0
		.amdhsa_private_segment_fixed_size 0
		.amdhsa_kernarg_size 288
		.amdhsa_user_sgpr_count 6
		.amdhsa_user_sgpr_private_segment_buffer 1
		.amdhsa_user_sgpr_dispatch_ptr 0
		.amdhsa_user_sgpr_queue_ptr 0
		.amdhsa_user_sgpr_kernarg_segment_ptr 1
		.amdhsa_user_sgpr_dispatch_id 0
		.amdhsa_user_sgpr_flat_scratch_init 0
		.amdhsa_user_sgpr_private_segment_size 0
		.amdhsa_wavefront_size32 1
		.amdhsa_uses_dynamic_stack 0
		.amdhsa_system_sgpr_private_segment_wavefront_offset 0
		.amdhsa_system_sgpr_workgroup_id_x 1
		.amdhsa_system_sgpr_workgroup_id_y 0
		.amdhsa_system_sgpr_workgroup_id_z 0
		.amdhsa_system_sgpr_workgroup_info 0
		.amdhsa_system_vgpr_workitem_id 0
		.amdhsa_next_free_vgpr 8
		.amdhsa_next_free_sgpr 10
		.amdhsa_reserve_vcc 1
		.amdhsa_reserve_flat_scratch 0
		.amdhsa_float_round_mode_32 0
		.amdhsa_float_round_mode_16_64 0
		.amdhsa_float_denorm_mode_32 3
		.amdhsa_float_denorm_mode_16_64 3
		.amdhsa_dx10_clamp 1
		.amdhsa_ieee_mode 1
		.amdhsa_fp16_overflow 0
		.amdhsa_workgroup_processor_mode 1
		.amdhsa_memory_ordered 1
		.amdhsa_forward_progress 1
		.amdhsa_shared_vgpr_count 0
		.amdhsa_exception_fp_ieee_invalid_op 0
		.amdhsa_exception_fp_denorm_src 0
		.amdhsa_exception_fp_ieee_div_zero 0
		.amdhsa_exception_fp_ieee_overflow 0
		.amdhsa_exception_fp_ieee_underflow 0
		.amdhsa_exception_fp_ieee_inexact 0
		.amdhsa_exception_int_div_zero 0
	.end_amdhsa_kernel
	.section	.text._ZN7rocprim17ROCPRIM_400000_NS6detail30init_device_scan_by_key_kernelINS1_19lookback_scan_stateINS0_5tupleIJibEEELb0ELb1EEENS1_16block_id_wrapperIjLb0EEEEEvT_jjPNS9_10value_typeET0_,"axG",@progbits,_ZN7rocprim17ROCPRIM_400000_NS6detail30init_device_scan_by_key_kernelINS1_19lookback_scan_stateINS0_5tupleIJibEEELb0ELb1EEENS1_16block_id_wrapperIjLb0EEEEEvT_jjPNS9_10value_typeET0_,comdat
.Lfunc_end121:
	.size	_ZN7rocprim17ROCPRIM_400000_NS6detail30init_device_scan_by_key_kernelINS1_19lookback_scan_stateINS0_5tupleIJibEEELb0ELb1EEENS1_16block_id_wrapperIjLb0EEEEEvT_jjPNS9_10value_typeET0_, .Lfunc_end121-_ZN7rocprim17ROCPRIM_400000_NS6detail30init_device_scan_by_key_kernelINS1_19lookback_scan_stateINS0_5tupleIJibEEELb0ELb1EEENS1_16block_id_wrapperIjLb0EEEEEvT_jjPNS9_10value_typeET0_
                                        ; -- End function
	.set _ZN7rocprim17ROCPRIM_400000_NS6detail30init_device_scan_by_key_kernelINS1_19lookback_scan_stateINS0_5tupleIJibEEELb0ELb1EEENS1_16block_id_wrapperIjLb0EEEEEvT_jjPNS9_10value_typeET0_.num_vgpr, 8
	.set _ZN7rocprim17ROCPRIM_400000_NS6detail30init_device_scan_by_key_kernelINS1_19lookback_scan_stateINS0_5tupleIJibEEELb0ELb1EEENS1_16block_id_wrapperIjLb0EEEEEvT_jjPNS9_10value_typeET0_.num_agpr, 0
	.set _ZN7rocprim17ROCPRIM_400000_NS6detail30init_device_scan_by_key_kernelINS1_19lookback_scan_stateINS0_5tupleIJibEEELb0ELb1EEENS1_16block_id_wrapperIjLb0EEEEEvT_jjPNS9_10value_typeET0_.numbered_sgpr, 10
	.set _ZN7rocprim17ROCPRIM_400000_NS6detail30init_device_scan_by_key_kernelINS1_19lookback_scan_stateINS0_5tupleIJibEEELb0ELb1EEENS1_16block_id_wrapperIjLb0EEEEEvT_jjPNS9_10value_typeET0_.num_named_barrier, 0
	.set _ZN7rocprim17ROCPRIM_400000_NS6detail30init_device_scan_by_key_kernelINS1_19lookback_scan_stateINS0_5tupleIJibEEELb0ELb1EEENS1_16block_id_wrapperIjLb0EEEEEvT_jjPNS9_10value_typeET0_.private_seg_size, 0
	.set _ZN7rocprim17ROCPRIM_400000_NS6detail30init_device_scan_by_key_kernelINS1_19lookback_scan_stateINS0_5tupleIJibEEELb0ELb1EEENS1_16block_id_wrapperIjLb0EEEEEvT_jjPNS9_10value_typeET0_.uses_vcc, 1
	.set _ZN7rocprim17ROCPRIM_400000_NS6detail30init_device_scan_by_key_kernelINS1_19lookback_scan_stateINS0_5tupleIJibEEELb0ELb1EEENS1_16block_id_wrapperIjLb0EEEEEvT_jjPNS9_10value_typeET0_.uses_flat_scratch, 0
	.set _ZN7rocprim17ROCPRIM_400000_NS6detail30init_device_scan_by_key_kernelINS1_19lookback_scan_stateINS0_5tupleIJibEEELb0ELb1EEENS1_16block_id_wrapperIjLb0EEEEEvT_jjPNS9_10value_typeET0_.has_dyn_sized_stack, 0
	.set _ZN7rocprim17ROCPRIM_400000_NS6detail30init_device_scan_by_key_kernelINS1_19lookback_scan_stateINS0_5tupleIJibEEELb0ELb1EEENS1_16block_id_wrapperIjLb0EEEEEvT_jjPNS9_10value_typeET0_.has_recursion, 0
	.set _ZN7rocprim17ROCPRIM_400000_NS6detail30init_device_scan_by_key_kernelINS1_19lookback_scan_stateINS0_5tupleIJibEEELb0ELb1EEENS1_16block_id_wrapperIjLb0EEEEEvT_jjPNS9_10value_typeET0_.has_indirect_call, 0
	.section	.AMDGPU.csdata,"",@progbits
; Kernel info:
; codeLenInByte = 416
; TotalNumSgprs: 12
; NumVgprs: 8
; ScratchSize: 0
; MemoryBound: 0
; FloatMode: 240
; IeeeMode: 1
; LDSByteSize: 0 bytes/workgroup (compile time only)
; SGPRBlocks: 0
; VGPRBlocks: 0
; NumSGPRsForWavesPerEU: 12
; NumVGPRsForWavesPerEU: 8
; Occupancy: 16
; WaveLimiterHint : 0
; COMPUTE_PGM_RSRC2:SCRATCH_EN: 0
; COMPUTE_PGM_RSRC2:USER_SGPR: 6
; COMPUTE_PGM_RSRC2:TRAP_HANDLER: 0
; COMPUTE_PGM_RSRC2:TGID_X_EN: 1
; COMPUTE_PGM_RSRC2:TGID_Y_EN: 0
; COMPUTE_PGM_RSRC2:TGID_Z_EN: 0
; COMPUTE_PGM_RSRC2:TIDIG_COMP_CNT: 0
	.section	.text._ZN7rocprim17ROCPRIM_400000_NS6detail17trampoline_kernelINS0_14default_configENS1_27scan_by_key_config_selectorIiiEEZZNS1_16scan_by_key_implILNS1_25lookback_scan_determinismE0ELb0ES3_N6thrust23THRUST_200600_302600_NS6detail15normal_iteratorINS9_10device_ptrIiEEEESE_SE_iNS9_4plusIvEENS9_8equal_toIvEEiEE10hipError_tPvRmT2_T3_T4_T5_mT6_T7_P12ihipStream_tbENKUlT_T0_E_clISt17integral_constantIbLb0EESZ_EEDaSU_SV_EUlSU_E_NS1_11comp_targetILNS1_3genE0ELNS1_11target_archE4294967295ELNS1_3gpuE0ELNS1_3repE0EEENS1_30default_config_static_selectorELNS0_4arch9wavefront6targetE0EEEvT1_,"axG",@progbits,_ZN7rocprim17ROCPRIM_400000_NS6detail17trampoline_kernelINS0_14default_configENS1_27scan_by_key_config_selectorIiiEEZZNS1_16scan_by_key_implILNS1_25lookback_scan_determinismE0ELb0ES3_N6thrust23THRUST_200600_302600_NS6detail15normal_iteratorINS9_10device_ptrIiEEEESE_SE_iNS9_4plusIvEENS9_8equal_toIvEEiEE10hipError_tPvRmT2_T3_T4_T5_mT6_T7_P12ihipStream_tbENKUlT_T0_E_clISt17integral_constantIbLb0EESZ_EEDaSU_SV_EUlSU_E_NS1_11comp_targetILNS1_3genE0ELNS1_11target_archE4294967295ELNS1_3gpuE0ELNS1_3repE0EEENS1_30default_config_static_selectorELNS0_4arch9wavefront6targetE0EEEvT1_,comdat
	.protected	_ZN7rocprim17ROCPRIM_400000_NS6detail17trampoline_kernelINS0_14default_configENS1_27scan_by_key_config_selectorIiiEEZZNS1_16scan_by_key_implILNS1_25lookback_scan_determinismE0ELb0ES3_N6thrust23THRUST_200600_302600_NS6detail15normal_iteratorINS9_10device_ptrIiEEEESE_SE_iNS9_4plusIvEENS9_8equal_toIvEEiEE10hipError_tPvRmT2_T3_T4_T5_mT6_T7_P12ihipStream_tbENKUlT_T0_E_clISt17integral_constantIbLb0EESZ_EEDaSU_SV_EUlSU_E_NS1_11comp_targetILNS1_3genE0ELNS1_11target_archE4294967295ELNS1_3gpuE0ELNS1_3repE0EEENS1_30default_config_static_selectorELNS0_4arch9wavefront6targetE0EEEvT1_ ; -- Begin function _ZN7rocprim17ROCPRIM_400000_NS6detail17trampoline_kernelINS0_14default_configENS1_27scan_by_key_config_selectorIiiEEZZNS1_16scan_by_key_implILNS1_25lookback_scan_determinismE0ELb0ES3_N6thrust23THRUST_200600_302600_NS6detail15normal_iteratorINS9_10device_ptrIiEEEESE_SE_iNS9_4plusIvEENS9_8equal_toIvEEiEE10hipError_tPvRmT2_T3_T4_T5_mT6_T7_P12ihipStream_tbENKUlT_T0_E_clISt17integral_constantIbLb0EESZ_EEDaSU_SV_EUlSU_E_NS1_11comp_targetILNS1_3genE0ELNS1_11target_archE4294967295ELNS1_3gpuE0ELNS1_3repE0EEENS1_30default_config_static_selectorELNS0_4arch9wavefront6targetE0EEEvT1_
	.globl	_ZN7rocprim17ROCPRIM_400000_NS6detail17trampoline_kernelINS0_14default_configENS1_27scan_by_key_config_selectorIiiEEZZNS1_16scan_by_key_implILNS1_25lookback_scan_determinismE0ELb0ES3_N6thrust23THRUST_200600_302600_NS6detail15normal_iteratorINS9_10device_ptrIiEEEESE_SE_iNS9_4plusIvEENS9_8equal_toIvEEiEE10hipError_tPvRmT2_T3_T4_T5_mT6_T7_P12ihipStream_tbENKUlT_T0_E_clISt17integral_constantIbLb0EESZ_EEDaSU_SV_EUlSU_E_NS1_11comp_targetILNS1_3genE0ELNS1_11target_archE4294967295ELNS1_3gpuE0ELNS1_3repE0EEENS1_30default_config_static_selectorELNS0_4arch9wavefront6targetE0EEEvT1_
	.p2align	8
	.type	_ZN7rocprim17ROCPRIM_400000_NS6detail17trampoline_kernelINS0_14default_configENS1_27scan_by_key_config_selectorIiiEEZZNS1_16scan_by_key_implILNS1_25lookback_scan_determinismE0ELb0ES3_N6thrust23THRUST_200600_302600_NS6detail15normal_iteratorINS9_10device_ptrIiEEEESE_SE_iNS9_4plusIvEENS9_8equal_toIvEEiEE10hipError_tPvRmT2_T3_T4_T5_mT6_T7_P12ihipStream_tbENKUlT_T0_E_clISt17integral_constantIbLb0EESZ_EEDaSU_SV_EUlSU_E_NS1_11comp_targetILNS1_3genE0ELNS1_11target_archE4294967295ELNS1_3gpuE0ELNS1_3repE0EEENS1_30default_config_static_selectorELNS0_4arch9wavefront6targetE0EEEvT1_,@function
_ZN7rocprim17ROCPRIM_400000_NS6detail17trampoline_kernelINS0_14default_configENS1_27scan_by_key_config_selectorIiiEEZZNS1_16scan_by_key_implILNS1_25lookback_scan_determinismE0ELb0ES3_N6thrust23THRUST_200600_302600_NS6detail15normal_iteratorINS9_10device_ptrIiEEEESE_SE_iNS9_4plusIvEENS9_8equal_toIvEEiEE10hipError_tPvRmT2_T3_T4_T5_mT6_T7_P12ihipStream_tbENKUlT_T0_E_clISt17integral_constantIbLb0EESZ_EEDaSU_SV_EUlSU_E_NS1_11comp_targetILNS1_3genE0ELNS1_11target_archE4294967295ELNS1_3gpuE0ELNS1_3repE0EEENS1_30default_config_static_selectorELNS0_4arch9wavefront6targetE0EEEvT1_: ; @_ZN7rocprim17ROCPRIM_400000_NS6detail17trampoline_kernelINS0_14default_configENS1_27scan_by_key_config_selectorIiiEEZZNS1_16scan_by_key_implILNS1_25lookback_scan_determinismE0ELb0ES3_N6thrust23THRUST_200600_302600_NS6detail15normal_iteratorINS9_10device_ptrIiEEEESE_SE_iNS9_4plusIvEENS9_8equal_toIvEEiEE10hipError_tPvRmT2_T3_T4_T5_mT6_T7_P12ihipStream_tbENKUlT_T0_E_clISt17integral_constantIbLb0EESZ_EEDaSU_SV_EUlSU_E_NS1_11comp_targetILNS1_3genE0ELNS1_11target_archE4294967295ELNS1_3gpuE0ELNS1_3repE0EEENS1_30default_config_static_selectorELNS0_4arch9wavefront6targetE0EEEvT1_
; %bb.0:
	.section	.rodata,"a",@progbits
	.p2align	6, 0x0
	.amdhsa_kernel _ZN7rocprim17ROCPRIM_400000_NS6detail17trampoline_kernelINS0_14default_configENS1_27scan_by_key_config_selectorIiiEEZZNS1_16scan_by_key_implILNS1_25lookback_scan_determinismE0ELb0ES3_N6thrust23THRUST_200600_302600_NS6detail15normal_iteratorINS9_10device_ptrIiEEEESE_SE_iNS9_4plusIvEENS9_8equal_toIvEEiEE10hipError_tPvRmT2_T3_T4_T5_mT6_T7_P12ihipStream_tbENKUlT_T0_E_clISt17integral_constantIbLb0EESZ_EEDaSU_SV_EUlSU_E_NS1_11comp_targetILNS1_3genE0ELNS1_11target_archE4294967295ELNS1_3gpuE0ELNS1_3repE0EEENS1_30default_config_static_selectorELNS0_4arch9wavefront6targetE0EEEvT1_
		.amdhsa_group_segment_fixed_size 0
		.amdhsa_private_segment_fixed_size 0
		.amdhsa_kernarg_size 112
		.amdhsa_user_sgpr_count 6
		.amdhsa_user_sgpr_private_segment_buffer 1
		.amdhsa_user_sgpr_dispatch_ptr 0
		.amdhsa_user_sgpr_queue_ptr 0
		.amdhsa_user_sgpr_kernarg_segment_ptr 1
		.amdhsa_user_sgpr_dispatch_id 0
		.amdhsa_user_sgpr_flat_scratch_init 0
		.amdhsa_user_sgpr_private_segment_size 0
		.amdhsa_wavefront_size32 1
		.amdhsa_uses_dynamic_stack 0
		.amdhsa_system_sgpr_private_segment_wavefront_offset 0
		.amdhsa_system_sgpr_workgroup_id_x 1
		.amdhsa_system_sgpr_workgroup_id_y 0
		.amdhsa_system_sgpr_workgroup_id_z 0
		.amdhsa_system_sgpr_workgroup_info 0
		.amdhsa_system_vgpr_workitem_id 0
		.amdhsa_next_free_vgpr 1
		.amdhsa_next_free_sgpr 1
		.amdhsa_reserve_vcc 0
		.amdhsa_reserve_flat_scratch 0
		.amdhsa_float_round_mode_32 0
		.amdhsa_float_round_mode_16_64 0
		.amdhsa_float_denorm_mode_32 3
		.amdhsa_float_denorm_mode_16_64 3
		.amdhsa_dx10_clamp 1
		.amdhsa_ieee_mode 1
		.amdhsa_fp16_overflow 0
		.amdhsa_workgroup_processor_mode 1
		.amdhsa_memory_ordered 1
		.amdhsa_forward_progress 1
		.amdhsa_shared_vgpr_count 0
		.amdhsa_exception_fp_ieee_invalid_op 0
		.amdhsa_exception_fp_denorm_src 0
		.amdhsa_exception_fp_ieee_div_zero 0
		.amdhsa_exception_fp_ieee_overflow 0
		.amdhsa_exception_fp_ieee_underflow 0
		.amdhsa_exception_fp_ieee_inexact 0
		.amdhsa_exception_int_div_zero 0
	.end_amdhsa_kernel
	.section	.text._ZN7rocprim17ROCPRIM_400000_NS6detail17trampoline_kernelINS0_14default_configENS1_27scan_by_key_config_selectorIiiEEZZNS1_16scan_by_key_implILNS1_25lookback_scan_determinismE0ELb0ES3_N6thrust23THRUST_200600_302600_NS6detail15normal_iteratorINS9_10device_ptrIiEEEESE_SE_iNS9_4plusIvEENS9_8equal_toIvEEiEE10hipError_tPvRmT2_T3_T4_T5_mT6_T7_P12ihipStream_tbENKUlT_T0_E_clISt17integral_constantIbLb0EESZ_EEDaSU_SV_EUlSU_E_NS1_11comp_targetILNS1_3genE0ELNS1_11target_archE4294967295ELNS1_3gpuE0ELNS1_3repE0EEENS1_30default_config_static_selectorELNS0_4arch9wavefront6targetE0EEEvT1_,"axG",@progbits,_ZN7rocprim17ROCPRIM_400000_NS6detail17trampoline_kernelINS0_14default_configENS1_27scan_by_key_config_selectorIiiEEZZNS1_16scan_by_key_implILNS1_25lookback_scan_determinismE0ELb0ES3_N6thrust23THRUST_200600_302600_NS6detail15normal_iteratorINS9_10device_ptrIiEEEESE_SE_iNS9_4plusIvEENS9_8equal_toIvEEiEE10hipError_tPvRmT2_T3_T4_T5_mT6_T7_P12ihipStream_tbENKUlT_T0_E_clISt17integral_constantIbLb0EESZ_EEDaSU_SV_EUlSU_E_NS1_11comp_targetILNS1_3genE0ELNS1_11target_archE4294967295ELNS1_3gpuE0ELNS1_3repE0EEENS1_30default_config_static_selectorELNS0_4arch9wavefront6targetE0EEEvT1_,comdat
.Lfunc_end122:
	.size	_ZN7rocprim17ROCPRIM_400000_NS6detail17trampoline_kernelINS0_14default_configENS1_27scan_by_key_config_selectorIiiEEZZNS1_16scan_by_key_implILNS1_25lookback_scan_determinismE0ELb0ES3_N6thrust23THRUST_200600_302600_NS6detail15normal_iteratorINS9_10device_ptrIiEEEESE_SE_iNS9_4plusIvEENS9_8equal_toIvEEiEE10hipError_tPvRmT2_T3_T4_T5_mT6_T7_P12ihipStream_tbENKUlT_T0_E_clISt17integral_constantIbLb0EESZ_EEDaSU_SV_EUlSU_E_NS1_11comp_targetILNS1_3genE0ELNS1_11target_archE4294967295ELNS1_3gpuE0ELNS1_3repE0EEENS1_30default_config_static_selectorELNS0_4arch9wavefront6targetE0EEEvT1_, .Lfunc_end122-_ZN7rocprim17ROCPRIM_400000_NS6detail17trampoline_kernelINS0_14default_configENS1_27scan_by_key_config_selectorIiiEEZZNS1_16scan_by_key_implILNS1_25lookback_scan_determinismE0ELb0ES3_N6thrust23THRUST_200600_302600_NS6detail15normal_iteratorINS9_10device_ptrIiEEEESE_SE_iNS9_4plusIvEENS9_8equal_toIvEEiEE10hipError_tPvRmT2_T3_T4_T5_mT6_T7_P12ihipStream_tbENKUlT_T0_E_clISt17integral_constantIbLb0EESZ_EEDaSU_SV_EUlSU_E_NS1_11comp_targetILNS1_3genE0ELNS1_11target_archE4294967295ELNS1_3gpuE0ELNS1_3repE0EEENS1_30default_config_static_selectorELNS0_4arch9wavefront6targetE0EEEvT1_
                                        ; -- End function
	.set _ZN7rocprim17ROCPRIM_400000_NS6detail17trampoline_kernelINS0_14default_configENS1_27scan_by_key_config_selectorIiiEEZZNS1_16scan_by_key_implILNS1_25lookback_scan_determinismE0ELb0ES3_N6thrust23THRUST_200600_302600_NS6detail15normal_iteratorINS9_10device_ptrIiEEEESE_SE_iNS9_4plusIvEENS9_8equal_toIvEEiEE10hipError_tPvRmT2_T3_T4_T5_mT6_T7_P12ihipStream_tbENKUlT_T0_E_clISt17integral_constantIbLb0EESZ_EEDaSU_SV_EUlSU_E_NS1_11comp_targetILNS1_3genE0ELNS1_11target_archE4294967295ELNS1_3gpuE0ELNS1_3repE0EEENS1_30default_config_static_selectorELNS0_4arch9wavefront6targetE0EEEvT1_.num_vgpr, 0
	.set _ZN7rocprim17ROCPRIM_400000_NS6detail17trampoline_kernelINS0_14default_configENS1_27scan_by_key_config_selectorIiiEEZZNS1_16scan_by_key_implILNS1_25lookback_scan_determinismE0ELb0ES3_N6thrust23THRUST_200600_302600_NS6detail15normal_iteratorINS9_10device_ptrIiEEEESE_SE_iNS9_4plusIvEENS9_8equal_toIvEEiEE10hipError_tPvRmT2_T3_T4_T5_mT6_T7_P12ihipStream_tbENKUlT_T0_E_clISt17integral_constantIbLb0EESZ_EEDaSU_SV_EUlSU_E_NS1_11comp_targetILNS1_3genE0ELNS1_11target_archE4294967295ELNS1_3gpuE0ELNS1_3repE0EEENS1_30default_config_static_selectorELNS0_4arch9wavefront6targetE0EEEvT1_.num_agpr, 0
	.set _ZN7rocprim17ROCPRIM_400000_NS6detail17trampoline_kernelINS0_14default_configENS1_27scan_by_key_config_selectorIiiEEZZNS1_16scan_by_key_implILNS1_25lookback_scan_determinismE0ELb0ES3_N6thrust23THRUST_200600_302600_NS6detail15normal_iteratorINS9_10device_ptrIiEEEESE_SE_iNS9_4plusIvEENS9_8equal_toIvEEiEE10hipError_tPvRmT2_T3_T4_T5_mT6_T7_P12ihipStream_tbENKUlT_T0_E_clISt17integral_constantIbLb0EESZ_EEDaSU_SV_EUlSU_E_NS1_11comp_targetILNS1_3genE0ELNS1_11target_archE4294967295ELNS1_3gpuE0ELNS1_3repE0EEENS1_30default_config_static_selectorELNS0_4arch9wavefront6targetE0EEEvT1_.numbered_sgpr, 0
	.set _ZN7rocprim17ROCPRIM_400000_NS6detail17trampoline_kernelINS0_14default_configENS1_27scan_by_key_config_selectorIiiEEZZNS1_16scan_by_key_implILNS1_25lookback_scan_determinismE0ELb0ES3_N6thrust23THRUST_200600_302600_NS6detail15normal_iteratorINS9_10device_ptrIiEEEESE_SE_iNS9_4plusIvEENS9_8equal_toIvEEiEE10hipError_tPvRmT2_T3_T4_T5_mT6_T7_P12ihipStream_tbENKUlT_T0_E_clISt17integral_constantIbLb0EESZ_EEDaSU_SV_EUlSU_E_NS1_11comp_targetILNS1_3genE0ELNS1_11target_archE4294967295ELNS1_3gpuE0ELNS1_3repE0EEENS1_30default_config_static_selectorELNS0_4arch9wavefront6targetE0EEEvT1_.num_named_barrier, 0
	.set _ZN7rocprim17ROCPRIM_400000_NS6detail17trampoline_kernelINS0_14default_configENS1_27scan_by_key_config_selectorIiiEEZZNS1_16scan_by_key_implILNS1_25lookback_scan_determinismE0ELb0ES3_N6thrust23THRUST_200600_302600_NS6detail15normal_iteratorINS9_10device_ptrIiEEEESE_SE_iNS9_4plusIvEENS9_8equal_toIvEEiEE10hipError_tPvRmT2_T3_T4_T5_mT6_T7_P12ihipStream_tbENKUlT_T0_E_clISt17integral_constantIbLb0EESZ_EEDaSU_SV_EUlSU_E_NS1_11comp_targetILNS1_3genE0ELNS1_11target_archE4294967295ELNS1_3gpuE0ELNS1_3repE0EEENS1_30default_config_static_selectorELNS0_4arch9wavefront6targetE0EEEvT1_.private_seg_size, 0
	.set _ZN7rocprim17ROCPRIM_400000_NS6detail17trampoline_kernelINS0_14default_configENS1_27scan_by_key_config_selectorIiiEEZZNS1_16scan_by_key_implILNS1_25lookback_scan_determinismE0ELb0ES3_N6thrust23THRUST_200600_302600_NS6detail15normal_iteratorINS9_10device_ptrIiEEEESE_SE_iNS9_4plusIvEENS9_8equal_toIvEEiEE10hipError_tPvRmT2_T3_T4_T5_mT6_T7_P12ihipStream_tbENKUlT_T0_E_clISt17integral_constantIbLb0EESZ_EEDaSU_SV_EUlSU_E_NS1_11comp_targetILNS1_3genE0ELNS1_11target_archE4294967295ELNS1_3gpuE0ELNS1_3repE0EEENS1_30default_config_static_selectorELNS0_4arch9wavefront6targetE0EEEvT1_.uses_vcc, 0
	.set _ZN7rocprim17ROCPRIM_400000_NS6detail17trampoline_kernelINS0_14default_configENS1_27scan_by_key_config_selectorIiiEEZZNS1_16scan_by_key_implILNS1_25lookback_scan_determinismE0ELb0ES3_N6thrust23THRUST_200600_302600_NS6detail15normal_iteratorINS9_10device_ptrIiEEEESE_SE_iNS9_4plusIvEENS9_8equal_toIvEEiEE10hipError_tPvRmT2_T3_T4_T5_mT6_T7_P12ihipStream_tbENKUlT_T0_E_clISt17integral_constantIbLb0EESZ_EEDaSU_SV_EUlSU_E_NS1_11comp_targetILNS1_3genE0ELNS1_11target_archE4294967295ELNS1_3gpuE0ELNS1_3repE0EEENS1_30default_config_static_selectorELNS0_4arch9wavefront6targetE0EEEvT1_.uses_flat_scratch, 0
	.set _ZN7rocprim17ROCPRIM_400000_NS6detail17trampoline_kernelINS0_14default_configENS1_27scan_by_key_config_selectorIiiEEZZNS1_16scan_by_key_implILNS1_25lookback_scan_determinismE0ELb0ES3_N6thrust23THRUST_200600_302600_NS6detail15normal_iteratorINS9_10device_ptrIiEEEESE_SE_iNS9_4plusIvEENS9_8equal_toIvEEiEE10hipError_tPvRmT2_T3_T4_T5_mT6_T7_P12ihipStream_tbENKUlT_T0_E_clISt17integral_constantIbLb0EESZ_EEDaSU_SV_EUlSU_E_NS1_11comp_targetILNS1_3genE0ELNS1_11target_archE4294967295ELNS1_3gpuE0ELNS1_3repE0EEENS1_30default_config_static_selectorELNS0_4arch9wavefront6targetE0EEEvT1_.has_dyn_sized_stack, 0
	.set _ZN7rocprim17ROCPRIM_400000_NS6detail17trampoline_kernelINS0_14default_configENS1_27scan_by_key_config_selectorIiiEEZZNS1_16scan_by_key_implILNS1_25lookback_scan_determinismE0ELb0ES3_N6thrust23THRUST_200600_302600_NS6detail15normal_iteratorINS9_10device_ptrIiEEEESE_SE_iNS9_4plusIvEENS9_8equal_toIvEEiEE10hipError_tPvRmT2_T3_T4_T5_mT6_T7_P12ihipStream_tbENKUlT_T0_E_clISt17integral_constantIbLb0EESZ_EEDaSU_SV_EUlSU_E_NS1_11comp_targetILNS1_3genE0ELNS1_11target_archE4294967295ELNS1_3gpuE0ELNS1_3repE0EEENS1_30default_config_static_selectorELNS0_4arch9wavefront6targetE0EEEvT1_.has_recursion, 0
	.set _ZN7rocprim17ROCPRIM_400000_NS6detail17trampoline_kernelINS0_14default_configENS1_27scan_by_key_config_selectorIiiEEZZNS1_16scan_by_key_implILNS1_25lookback_scan_determinismE0ELb0ES3_N6thrust23THRUST_200600_302600_NS6detail15normal_iteratorINS9_10device_ptrIiEEEESE_SE_iNS9_4plusIvEENS9_8equal_toIvEEiEE10hipError_tPvRmT2_T3_T4_T5_mT6_T7_P12ihipStream_tbENKUlT_T0_E_clISt17integral_constantIbLb0EESZ_EEDaSU_SV_EUlSU_E_NS1_11comp_targetILNS1_3genE0ELNS1_11target_archE4294967295ELNS1_3gpuE0ELNS1_3repE0EEENS1_30default_config_static_selectorELNS0_4arch9wavefront6targetE0EEEvT1_.has_indirect_call, 0
	.section	.AMDGPU.csdata,"",@progbits
; Kernel info:
; codeLenInByte = 0
; TotalNumSgprs: 0
; NumVgprs: 0
; ScratchSize: 0
; MemoryBound: 0
; FloatMode: 240
; IeeeMode: 1
; LDSByteSize: 0 bytes/workgroup (compile time only)
; SGPRBlocks: 0
; VGPRBlocks: 0
; NumSGPRsForWavesPerEU: 1
; NumVGPRsForWavesPerEU: 1
; Occupancy: 16
; WaveLimiterHint : 0
; COMPUTE_PGM_RSRC2:SCRATCH_EN: 0
; COMPUTE_PGM_RSRC2:USER_SGPR: 6
; COMPUTE_PGM_RSRC2:TRAP_HANDLER: 0
; COMPUTE_PGM_RSRC2:TGID_X_EN: 1
; COMPUTE_PGM_RSRC2:TGID_Y_EN: 0
; COMPUTE_PGM_RSRC2:TGID_Z_EN: 0
; COMPUTE_PGM_RSRC2:TIDIG_COMP_CNT: 0
	.section	.text._ZN7rocprim17ROCPRIM_400000_NS6detail17trampoline_kernelINS0_14default_configENS1_27scan_by_key_config_selectorIiiEEZZNS1_16scan_by_key_implILNS1_25lookback_scan_determinismE0ELb0ES3_N6thrust23THRUST_200600_302600_NS6detail15normal_iteratorINS9_10device_ptrIiEEEESE_SE_iNS9_4plusIvEENS9_8equal_toIvEEiEE10hipError_tPvRmT2_T3_T4_T5_mT6_T7_P12ihipStream_tbENKUlT_T0_E_clISt17integral_constantIbLb0EESZ_EEDaSU_SV_EUlSU_E_NS1_11comp_targetILNS1_3genE10ELNS1_11target_archE1201ELNS1_3gpuE5ELNS1_3repE0EEENS1_30default_config_static_selectorELNS0_4arch9wavefront6targetE0EEEvT1_,"axG",@progbits,_ZN7rocprim17ROCPRIM_400000_NS6detail17trampoline_kernelINS0_14default_configENS1_27scan_by_key_config_selectorIiiEEZZNS1_16scan_by_key_implILNS1_25lookback_scan_determinismE0ELb0ES3_N6thrust23THRUST_200600_302600_NS6detail15normal_iteratorINS9_10device_ptrIiEEEESE_SE_iNS9_4plusIvEENS9_8equal_toIvEEiEE10hipError_tPvRmT2_T3_T4_T5_mT6_T7_P12ihipStream_tbENKUlT_T0_E_clISt17integral_constantIbLb0EESZ_EEDaSU_SV_EUlSU_E_NS1_11comp_targetILNS1_3genE10ELNS1_11target_archE1201ELNS1_3gpuE5ELNS1_3repE0EEENS1_30default_config_static_selectorELNS0_4arch9wavefront6targetE0EEEvT1_,comdat
	.protected	_ZN7rocprim17ROCPRIM_400000_NS6detail17trampoline_kernelINS0_14default_configENS1_27scan_by_key_config_selectorIiiEEZZNS1_16scan_by_key_implILNS1_25lookback_scan_determinismE0ELb0ES3_N6thrust23THRUST_200600_302600_NS6detail15normal_iteratorINS9_10device_ptrIiEEEESE_SE_iNS9_4plusIvEENS9_8equal_toIvEEiEE10hipError_tPvRmT2_T3_T4_T5_mT6_T7_P12ihipStream_tbENKUlT_T0_E_clISt17integral_constantIbLb0EESZ_EEDaSU_SV_EUlSU_E_NS1_11comp_targetILNS1_3genE10ELNS1_11target_archE1201ELNS1_3gpuE5ELNS1_3repE0EEENS1_30default_config_static_selectorELNS0_4arch9wavefront6targetE0EEEvT1_ ; -- Begin function _ZN7rocprim17ROCPRIM_400000_NS6detail17trampoline_kernelINS0_14default_configENS1_27scan_by_key_config_selectorIiiEEZZNS1_16scan_by_key_implILNS1_25lookback_scan_determinismE0ELb0ES3_N6thrust23THRUST_200600_302600_NS6detail15normal_iteratorINS9_10device_ptrIiEEEESE_SE_iNS9_4plusIvEENS9_8equal_toIvEEiEE10hipError_tPvRmT2_T3_T4_T5_mT6_T7_P12ihipStream_tbENKUlT_T0_E_clISt17integral_constantIbLb0EESZ_EEDaSU_SV_EUlSU_E_NS1_11comp_targetILNS1_3genE10ELNS1_11target_archE1201ELNS1_3gpuE5ELNS1_3repE0EEENS1_30default_config_static_selectorELNS0_4arch9wavefront6targetE0EEEvT1_
	.globl	_ZN7rocprim17ROCPRIM_400000_NS6detail17trampoline_kernelINS0_14default_configENS1_27scan_by_key_config_selectorIiiEEZZNS1_16scan_by_key_implILNS1_25lookback_scan_determinismE0ELb0ES3_N6thrust23THRUST_200600_302600_NS6detail15normal_iteratorINS9_10device_ptrIiEEEESE_SE_iNS9_4plusIvEENS9_8equal_toIvEEiEE10hipError_tPvRmT2_T3_T4_T5_mT6_T7_P12ihipStream_tbENKUlT_T0_E_clISt17integral_constantIbLb0EESZ_EEDaSU_SV_EUlSU_E_NS1_11comp_targetILNS1_3genE10ELNS1_11target_archE1201ELNS1_3gpuE5ELNS1_3repE0EEENS1_30default_config_static_selectorELNS0_4arch9wavefront6targetE0EEEvT1_
	.p2align	8
	.type	_ZN7rocprim17ROCPRIM_400000_NS6detail17trampoline_kernelINS0_14default_configENS1_27scan_by_key_config_selectorIiiEEZZNS1_16scan_by_key_implILNS1_25lookback_scan_determinismE0ELb0ES3_N6thrust23THRUST_200600_302600_NS6detail15normal_iteratorINS9_10device_ptrIiEEEESE_SE_iNS9_4plusIvEENS9_8equal_toIvEEiEE10hipError_tPvRmT2_T3_T4_T5_mT6_T7_P12ihipStream_tbENKUlT_T0_E_clISt17integral_constantIbLb0EESZ_EEDaSU_SV_EUlSU_E_NS1_11comp_targetILNS1_3genE10ELNS1_11target_archE1201ELNS1_3gpuE5ELNS1_3repE0EEENS1_30default_config_static_selectorELNS0_4arch9wavefront6targetE0EEEvT1_,@function
_ZN7rocprim17ROCPRIM_400000_NS6detail17trampoline_kernelINS0_14default_configENS1_27scan_by_key_config_selectorIiiEEZZNS1_16scan_by_key_implILNS1_25lookback_scan_determinismE0ELb0ES3_N6thrust23THRUST_200600_302600_NS6detail15normal_iteratorINS9_10device_ptrIiEEEESE_SE_iNS9_4plusIvEENS9_8equal_toIvEEiEE10hipError_tPvRmT2_T3_T4_T5_mT6_T7_P12ihipStream_tbENKUlT_T0_E_clISt17integral_constantIbLb0EESZ_EEDaSU_SV_EUlSU_E_NS1_11comp_targetILNS1_3genE10ELNS1_11target_archE1201ELNS1_3gpuE5ELNS1_3repE0EEENS1_30default_config_static_selectorELNS0_4arch9wavefront6targetE0EEEvT1_: ; @_ZN7rocprim17ROCPRIM_400000_NS6detail17trampoline_kernelINS0_14default_configENS1_27scan_by_key_config_selectorIiiEEZZNS1_16scan_by_key_implILNS1_25lookback_scan_determinismE0ELb0ES3_N6thrust23THRUST_200600_302600_NS6detail15normal_iteratorINS9_10device_ptrIiEEEESE_SE_iNS9_4plusIvEENS9_8equal_toIvEEiEE10hipError_tPvRmT2_T3_T4_T5_mT6_T7_P12ihipStream_tbENKUlT_T0_E_clISt17integral_constantIbLb0EESZ_EEDaSU_SV_EUlSU_E_NS1_11comp_targetILNS1_3genE10ELNS1_11target_archE1201ELNS1_3gpuE5ELNS1_3repE0EEENS1_30default_config_static_selectorELNS0_4arch9wavefront6targetE0EEEvT1_
; %bb.0:
	.section	.rodata,"a",@progbits
	.p2align	6, 0x0
	.amdhsa_kernel _ZN7rocprim17ROCPRIM_400000_NS6detail17trampoline_kernelINS0_14default_configENS1_27scan_by_key_config_selectorIiiEEZZNS1_16scan_by_key_implILNS1_25lookback_scan_determinismE0ELb0ES3_N6thrust23THRUST_200600_302600_NS6detail15normal_iteratorINS9_10device_ptrIiEEEESE_SE_iNS9_4plusIvEENS9_8equal_toIvEEiEE10hipError_tPvRmT2_T3_T4_T5_mT6_T7_P12ihipStream_tbENKUlT_T0_E_clISt17integral_constantIbLb0EESZ_EEDaSU_SV_EUlSU_E_NS1_11comp_targetILNS1_3genE10ELNS1_11target_archE1201ELNS1_3gpuE5ELNS1_3repE0EEENS1_30default_config_static_selectorELNS0_4arch9wavefront6targetE0EEEvT1_
		.amdhsa_group_segment_fixed_size 0
		.amdhsa_private_segment_fixed_size 0
		.amdhsa_kernarg_size 112
		.amdhsa_user_sgpr_count 6
		.amdhsa_user_sgpr_private_segment_buffer 1
		.amdhsa_user_sgpr_dispatch_ptr 0
		.amdhsa_user_sgpr_queue_ptr 0
		.amdhsa_user_sgpr_kernarg_segment_ptr 1
		.amdhsa_user_sgpr_dispatch_id 0
		.amdhsa_user_sgpr_flat_scratch_init 0
		.amdhsa_user_sgpr_private_segment_size 0
		.amdhsa_wavefront_size32 1
		.amdhsa_uses_dynamic_stack 0
		.amdhsa_system_sgpr_private_segment_wavefront_offset 0
		.amdhsa_system_sgpr_workgroup_id_x 1
		.amdhsa_system_sgpr_workgroup_id_y 0
		.amdhsa_system_sgpr_workgroup_id_z 0
		.amdhsa_system_sgpr_workgroup_info 0
		.amdhsa_system_vgpr_workitem_id 0
		.amdhsa_next_free_vgpr 1
		.amdhsa_next_free_sgpr 1
		.amdhsa_reserve_vcc 0
		.amdhsa_reserve_flat_scratch 0
		.amdhsa_float_round_mode_32 0
		.amdhsa_float_round_mode_16_64 0
		.amdhsa_float_denorm_mode_32 3
		.amdhsa_float_denorm_mode_16_64 3
		.amdhsa_dx10_clamp 1
		.amdhsa_ieee_mode 1
		.amdhsa_fp16_overflow 0
		.amdhsa_workgroup_processor_mode 1
		.amdhsa_memory_ordered 1
		.amdhsa_forward_progress 1
		.amdhsa_shared_vgpr_count 0
		.amdhsa_exception_fp_ieee_invalid_op 0
		.amdhsa_exception_fp_denorm_src 0
		.amdhsa_exception_fp_ieee_div_zero 0
		.amdhsa_exception_fp_ieee_overflow 0
		.amdhsa_exception_fp_ieee_underflow 0
		.amdhsa_exception_fp_ieee_inexact 0
		.amdhsa_exception_int_div_zero 0
	.end_amdhsa_kernel
	.section	.text._ZN7rocprim17ROCPRIM_400000_NS6detail17trampoline_kernelINS0_14default_configENS1_27scan_by_key_config_selectorIiiEEZZNS1_16scan_by_key_implILNS1_25lookback_scan_determinismE0ELb0ES3_N6thrust23THRUST_200600_302600_NS6detail15normal_iteratorINS9_10device_ptrIiEEEESE_SE_iNS9_4plusIvEENS9_8equal_toIvEEiEE10hipError_tPvRmT2_T3_T4_T5_mT6_T7_P12ihipStream_tbENKUlT_T0_E_clISt17integral_constantIbLb0EESZ_EEDaSU_SV_EUlSU_E_NS1_11comp_targetILNS1_3genE10ELNS1_11target_archE1201ELNS1_3gpuE5ELNS1_3repE0EEENS1_30default_config_static_selectorELNS0_4arch9wavefront6targetE0EEEvT1_,"axG",@progbits,_ZN7rocprim17ROCPRIM_400000_NS6detail17trampoline_kernelINS0_14default_configENS1_27scan_by_key_config_selectorIiiEEZZNS1_16scan_by_key_implILNS1_25lookback_scan_determinismE0ELb0ES3_N6thrust23THRUST_200600_302600_NS6detail15normal_iteratorINS9_10device_ptrIiEEEESE_SE_iNS9_4plusIvEENS9_8equal_toIvEEiEE10hipError_tPvRmT2_T3_T4_T5_mT6_T7_P12ihipStream_tbENKUlT_T0_E_clISt17integral_constantIbLb0EESZ_EEDaSU_SV_EUlSU_E_NS1_11comp_targetILNS1_3genE10ELNS1_11target_archE1201ELNS1_3gpuE5ELNS1_3repE0EEENS1_30default_config_static_selectorELNS0_4arch9wavefront6targetE0EEEvT1_,comdat
.Lfunc_end123:
	.size	_ZN7rocprim17ROCPRIM_400000_NS6detail17trampoline_kernelINS0_14default_configENS1_27scan_by_key_config_selectorIiiEEZZNS1_16scan_by_key_implILNS1_25lookback_scan_determinismE0ELb0ES3_N6thrust23THRUST_200600_302600_NS6detail15normal_iteratorINS9_10device_ptrIiEEEESE_SE_iNS9_4plusIvEENS9_8equal_toIvEEiEE10hipError_tPvRmT2_T3_T4_T5_mT6_T7_P12ihipStream_tbENKUlT_T0_E_clISt17integral_constantIbLb0EESZ_EEDaSU_SV_EUlSU_E_NS1_11comp_targetILNS1_3genE10ELNS1_11target_archE1201ELNS1_3gpuE5ELNS1_3repE0EEENS1_30default_config_static_selectorELNS0_4arch9wavefront6targetE0EEEvT1_, .Lfunc_end123-_ZN7rocprim17ROCPRIM_400000_NS6detail17trampoline_kernelINS0_14default_configENS1_27scan_by_key_config_selectorIiiEEZZNS1_16scan_by_key_implILNS1_25lookback_scan_determinismE0ELb0ES3_N6thrust23THRUST_200600_302600_NS6detail15normal_iteratorINS9_10device_ptrIiEEEESE_SE_iNS9_4plusIvEENS9_8equal_toIvEEiEE10hipError_tPvRmT2_T3_T4_T5_mT6_T7_P12ihipStream_tbENKUlT_T0_E_clISt17integral_constantIbLb0EESZ_EEDaSU_SV_EUlSU_E_NS1_11comp_targetILNS1_3genE10ELNS1_11target_archE1201ELNS1_3gpuE5ELNS1_3repE0EEENS1_30default_config_static_selectorELNS0_4arch9wavefront6targetE0EEEvT1_
                                        ; -- End function
	.set _ZN7rocprim17ROCPRIM_400000_NS6detail17trampoline_kernelINS0_14default_configENS1_27scan_by_key_config_selectorIiiEEZZNS1_16scan_by_key_implILNS1_25lookback_scan_determinismE0ELb0ES3_N6thrust23THRUST_200600_302600_NS6detail15normal_iteratorINS9_10device_ptrIiEEEESE_SE_iNS9_4plusIvEENS9_8equal_toIvEEiEE10hipError_tPvRmT2_T3_T4_T5_mT6_T7_P12ihipStream_tbENKUlT_T0_E_clISt17integral_constantIbLb0EESZ_EEDaSU_SV_EUlSU_E_NS1_11comp_targetILNS1_3genE10ELNS1_11target_archE1201ELNS1_3gpuE5ELNS1_3repE0EEENS1_30default_config_static_selectorELNS0_4arch9wavefront6targetE0EEEvT1_.num_vgpr, 0
	.set _ZN7rocprim17ROCPRIM_400000_NS6detail17trampoline_kernelINS0_14default_configENS1_27scan_by_key_config_selectorIiiEEZZNS1_16scan_by_key_implILNS1_25lookback_scan_determinismE0ELb0ES3_N6thrust23THRUST_200600_302600_NS6detail15normal_iteratorINS9_10device_ptrIiEEEESE_SE_iNS9_4plusIvEENS9_8equal_toIvEEiEE10hipError_tPvRmT2_T3_T4_T5_mT6_T7_P12ihipStream_tbENKUlT_T0_E_clISt17integral_constantIbLb0EESZ_EEDaSU_SV_EUlSU_E_NS1_11comp_targetILNS1_3genE10ELNS1_11target_archE1201ELNS1_3gpuE5ELNS1_3repE0EEENS1_30default_config_static_selectorELNS0_4arch9wavefront6targetE0EEEvT1_.num_agpr, 0
	.set _ZN7rocprim17ROCPRIM_400000_NS6detail17trampoline_kernelINS0_14default_configENS1_27scan_by_key_config_selectorIiiEEZZNS1_16scan_by_key_implILNS1_25lookback_scan_determinismE0ELb0ES3_N6thrust23THRUST_200600_302600_NS6detail15normal_iteratorINS9_10device_ptrIiEEEESE_SE_iNS9_4plusIvEENS9_8equal_toIvEEiEE10hipError_tPvRmT2_T3_T4_T5_mT6_T7_P12ihipStream_tbENKUlT_T0_E_clISt17integral_constantIbLb0EESZ_EEDaSU_SV_EUlSU_E_NS1_11comp_targetILNS1_3genE10ELNS1_11target_archE1201ELNS1_3gpuE5ELNS1_3repE0EEENS1_30default_config_static_selectorELNS0_4arch9wavefront6targetE0EEEvT1_.numbered_sgpr, 0
	.set _ZN7rocprim17ROCPRIM_400000_NS6detail17trampoline_kernelINS0_14default_configENS1_27scan_by_key_config_selectorIiiEEZZNS1_16scan_by_key_implILNS1_25lookback_scan_determinismE0ELb0ES3_N6thrust23THRUST_200600_302600_NS6detail15normal_iteratorINS9_10device_ptrIiEEEESE_SE_iNS9_4plusIvEENS9_8equal_toIvEEiEE10hipError_tPvRmT2_T3_T4_T5_mT6_T7_P12ihipStream_tbENKUlT_T0_E_clISt17integral_constantIbLb0EESZ_EEDaSU_SV_EUlSU_E_NS1_11comp_targetILNS1_3genE10ELNS1_11target_archE1201ELNS1_3gpuE5ELNS1_3repE0EEENS1_30default_config_static_selectorELNS0_4arch9wavefront6targetE0EEEvT1_.num_named_barrier, 0
	.set _ZN7rocprim17ROCPRIM_400000_NS6detail17trampoline_kernelINS0_14default_configENS1_27scan_by_key_config_selectorIiiEEZZNS1_16scan_by_key_implILNS1_25lookback_scan_determinismE0ELb0ES3_N6thrust23THRUST_200600_302600_NS6detail15normal_iteratorINS9_10device_ptrIiEEEESE_SE_iNS9_4plusIvEENS9_8equal_toIvEEiEE10hipError_tPvRmT2_T3_T4_T5_mT6_T7_P12ihipStream_tbENKUlT_T0_E_clISt17integral_constantIbLb0EESZ_EEDaSU_SV_EUlSU_E_NS1_11comp_targetILNS1_3genE10ELNS1_11target_archE1201ELNS1_3gpuE5ELNS1_3repE0EEENS1_30default_config_static_selectorELNS0_4arch9wavefront6targetE0EEEvT1_.private_seg_size, 0
	.set _ZN7rocprim17ROCPRIM_400000_NS6detail17trampoline_kernelINS0_14default_configENS1_27scan_by_key_config_selectorIiiEEZZNS1_16scan_by_key_implILNS1_25lookback_scan_determinismE0ELb0ES3_N6thrust23THRUST_200600_302600_NS6detail15normal_iteratorINS9_10device_ptrIiEEEESE_SE_iNS9_4plusIvEENS9_8equal_toIvEEiEE10hipError_tPvRmT2_T3_T4_T5_mT6_T7_P12ihipStream_tbENKUlT_T0_E_clISt17integral_constantIbLb0EESZ_EEDaSU_SV_EUlSU_E_NS1_11comp_targetILNS1_3genE10ELNS1_11target_archE1201ELNS1_3gpuE5ELNS1_3repE0EEENS1_30default_config_static_selectorELNS0_4arch9wavefront6targetE0EEEvT1_.uses_vcc, 0
	.set _ZN7rocprim17ROCPRIM_400000_NS6detail17trampoline_kernelINS0_14default_configENS1_27scan_by_key_config_selectorIiiEEZZNS1_16scan_by_key_implILNS1_25lookback_scan_determinismE0ELb0ES3_N6thrust23THRUST_200600_302600_NS6detail15normal_iteratorINS9_10device_ptrIiEEEESE_SE_iNS9_4plusIvEENS9_8equal_toIvEEiEE10hipError_tPvRmT2_T3_T4_T5_mT6_T7_P12ihipStream_tbENKUlT_T0_E_clISt17integral_constantIbLb0EESZ_EEDaSU_SV_EUlSU_E_NS1_11comp_targetILNS1_3genE10ELNS1_11target_archE1201ELNS1_3gpuE5ELNS1_3repE0EEENS1_30default_config_static_selectorELNS0_4arch9wavefront6targetE0EEEvT1_.uses_flat_scratch, 0
	.set _ZN7rocprim17ROCPRIM_400000_NS6detail17trampoline_kernelINS0_14default_configENS1_27scan_by_key_config_selectorIiiEEZZNS1_16scan_by_key_implILNS1_25lookback_scan_determinismE0ELb0ES3_N6thrust23THRUST_200600_302600_NS6detail15normal_iteratorINS9_10device_ptrIiEEEESE_SE_iNS9_4plusIvEENS9_8equal_toIvEEiEE10hipError_tPvRmT2_T3_T4_T5_mT6_T7_P12ihipStream_tbENKUlT_T0_E_clISt17integral_constantIbLb0EESZ_EEDaSU_SV_EUlSU_E_NS1_11comp_targetILNS1_3genE10ELNS1_11target_archE1201ELNS1_3gpuE5ELNS1_3repE0EEENS1_30default_config_static_selectorELNS0_4arch9wavefront6targetE0EEEvT1_.has_dyn_sized_stack, 0
	.set _ZN7rocprim17ROCPRIM_400000_NS6detail17trampoline_kernelINS0_14default_configENS1_27scan_by_key_config_selectorIiiEEZZNS1_16scan_by_key_implILNS1_25lookback_scan_determinismE0ELb0ES3_N6thrust23THRUST_200600_302600_NS6detail15normal_iteratorINS9_10device_ptrIiEEEESE_SE_iNS9_4plusIvEENS9_8equal_toIvEEiEE10hipError_tPvRmT2_T3_T4_T5_mT6_T7_P12ihipStream_tbENKUlT_T0_E_clISt17integral_constantIbLb0EESZ_EEDaSU_SV_EUlSU_E_NS1_11comp_targetILNS1_3genE10ELNS1_11target_archE1201ELNS1_3gpuE5ELNS1_3repE0EEENS1_30default_config_static_selectorELNS0_4arch9wavefront6targetE0EEEvT1_.has_recursion, 0
	.set _ZN7rocprim17ROCPRIM_400000_NS6detail17trampoline_kernelINS0_14default_configENS1_27scan_by_key_config_selectorIiiEEZZNS1_16scan_by_key_implILNS1_25lookback_scan_determinismE0ELb0ES3_N6thrust23THRUST_200600_302600_NS6detail15normal_iteratorINS9_10device_ptrIiEEEESE_SE_iNS9_4plusIvEENS9_8equal_toIvEEiEE10hipError_tPvRmT2_T3_T4_T5_mT6_T7_P12ihipStream_tbENKUlT_T0_E_clISt17integral_constantIbLb0EESZ_EEDaSU_SV_EUlSU_E_NS1_11comp_targetILNS1_3genE10ELNS1_11target_archE1201ELNS1_3gpuE5ELNS1_3repE0EEENS1_30default_config_static_selectorELNS0_4arch9wavefront6targetE0EEEvT1_.has_indirect_call, 0
	.section	.AMDGPU.csdata,"",@progbits
; Kernel info:
; codeLenInByte = 0
; TotalNumSgprs: 0
; NumVgprs: 0
; ScratchSize: 0
; MemoryBound: 0
; FloatMode: 240
; IeeeMode: 1
; LDSByteSize: 0 bytes/workgroup (compile time only)
; SGPRBlocks: 0
; VGPRBlocks: 0
; NumSGPRsForWavesPerEU: 1
; NumVGPRsForWavesPerEU: 1
; Occupancy: 16
; WaveLimiterHint : 0
; COMPUTE_PGM_RSRC2:SCRATCH_EN: 0
; COMPUTE_PGM_RSRC2:USER_SGPR: 6
; COMPUTE_PGM_RSRC2:TRAP_HANDLER: 0
; COMPUTE_PGM_RSRC2:TGID_X_EN: 1
; COMPUTE_PGM_RSRC2:TGID_Y_EN: 0
; COMPUTE_PGM_RSRC2:TGID_Z_EN: 0
; COMPUTE_PGM_RSRC2:TIDIG_COMP_CNT: 0
	.section	.text._ZN7rocprim17ROCPRIM_400000_NS6detail17trampoline_kernelINS0_14default_configENS1_27scan_by_key_config_selectorIiiEEZZNS1_16scan_by_key_implILNS1_25lookback_scan_determinismE0ELb0ES3_N6thrust23THRUST_200600_302600_NS6detail15normal_iteratorINS9_10device_ptrIiEEEESE_SE_iNS9_4plusIvEENS9_8equal_toIvEEiEE10hipError_tPvRmT2_T3_T4_T5_mT6_T7_P12ihipStream_tbENKUlT_T0_E_clISt17integral_constantIbLb0EESZ_EEDaSU_SV_EUlSU_E_NS1_11comp_targetILNS1_3genE5ELNS1_11target_archE942ELNS1_3gpuE9ELNS1_3repE0EEENS1_30default_config_static_selectorELNS0_4arch9wavefront6targetE0EEEvT1_,"axG",@progbits,_ZN7rocprim17ROCPRIM_400000_NS6detail17trampoline_kernelINS0_14default_configENS1_27scan_by_key_config_selectorIiiEEZZNS1_16scan_by_key_implILNS1_25lookback_scan_determinismE0ELb0ES3_N6thrust23THRUST_200600_302600_NS6detail15normal_iteratorINS9_10device_ptrIiEEEESE_SE_iNS9_4plusIvEENS9_8equal_toIvEEiEE10hipError_tPvRmT2_T3_T4_T5_mT6_T7_P12ihipStream_tbENKUlT_T0_E_clISt17integral_constantIbLb0EESZ_EEDaSU_SV_EUlSU_E_NS1_11comp_targetILNS1_3genE5ELNS1_11target_archE942ELNS1_3gpuE9ELNS1_3repE0EEENS1_30default_config_static_selectorELNS0_4arch9wavefront6targetE0EEEvT1_,comdat
	.protected	_ZN7rocprim17ROCPRIM_400000_NS6detail17trampoline_kernelINS0_14default_configENS1_27scan_by_key_config_selectorIiiEEZZNS1_16scan_by_key_implILNS1_25lookback_scan_determinismE0ELb0ES3_N6thrust23THRUST_200600_302600_NS6detail15normal_iteratorINS9_10device_ptrIiEEEESE_SE_iNS9_4plusIvEENS9_8equal_toIvEEiEE10hipError_tPvRmT2_T3_T4_T5_mT6_T7_P12ihipStream_tbENKUlT_T0_E_clISt17integral_constantIbLb0EESZ_EEDaSU_SV_EUlSU_E_NS1_11comp_targetILNS1_3genE5ELNS1_11target_archE942ELNS1_3gpuE9ELNS1_3repE0EEENS1_30default_config_static_selectorELNS0_4arch9wavefront6targetE0EEEvT1_ ; -- Begin function _ZN7rocprim17ROCPRIM_400000_NS6detail17trampoline_kernelINS0_14default_configENS1_27scan_by_key_config_selectorIiiEEZZNS1_16scan_by_key_implILNS1_25lookback_scan_determinismE0ELb0ES3_N6thrust23THRUST_200600_302600_NS6detail15normal_iteratorINS9_10device_ptrIiEEEESE_SE_iNS9_4plusIvEENS9_8equal_toIvEEiEE10hipError_tPvRmT2_T3_T4_T5_mT6_T7_P12ihipStream_tbENKUlT_T0_E_clISt17integral_constantIbLb0EESZ_EEDaSU_SV_EUlSU_E_NS1_11comp_targetILNS1_3genE5ELNS1_11target_archE942ELNS1_3gpuE9ELNS1_3repE0EEENS1_30default_config_static_selectorELNS0_4arch9wavefront6targetE0EEEvT1_
	.globl	_ZN7rocprim17ROCPRIM_400000_NS6detail17trampoline_kernelINS0_14default_configENS1_27scan_by_key_config_selectorIiiEEZZNS1_16scan_by_key_implILNS1_25lookback_scan_determinismE0ELb0ES3_N6thrust23THRUST_200600_302600_NS6detail15normal_iteratorINS9_10device_ptrIiEEEESE_SE_iNS9_4plusIvEENS9_8equal_toIvEEiEE10hipError_tPvRmT2_T3_T4_T5_mT6_T7_P12ihipStream_tbENKUlT_T0_E_clISt17integral_constantIbLb0EESZ_EEDaSU_SV_EUlSU_E_NS1_11comp_targetILNS1_3genE5ELNS1_11target_archE942ELNS1_3gpuE9ELNS1_3repE0EEENS1_30default_config_static_selectorELNS0_4arch9wavefront6targetE0EEEvT1_
	.p2align	8
	.type	_ZN7rocprim17ROCPRIM_400000_NS6detail17trampoline_kernelINS0_14default_configENS1_27scan_by_key_config_selectorIiiEEZZNS1_16scan_by_key_implILNS1_25lookback_scan_determinismE0ELb0ES3_N6thrust23THRUST_200600_302600_NS6detail15normal_iteratorINS9_10device_ptrIiEEEESE_SE_iNS9_4plusIvEENS9_8equal_toIvEEiEE10hipError_tPvRmT2_T3_T4_T5_mT6_T7_P12ihipStream_tbENKUlT_T0_E_clISt17integral_constantIbLb0EESZ_EEDaSU_SV_EUlSU_E_NS1_11comp_targetILNS1_3genE5ELNS1_11target_archE942ELNS1_3gpuE9ELNS1_3repE0EEENS1_30default_config_static_selectorELNS0_4arch9wavefront6targetE0EEEvT1_,@function
_ZN7rocprim17ROCPRIM_400000_NS6detail17trampoline_kernelINS0_14default_configENS1_27scan_by_key_config_selectorIiiEEZZNS1_16scan_by_key_implILNS1_25lookback_scan_determinismE0ELb0ES3_N6thrust23THRUST_200600_302600_NS6detail15normal_iteratorINS9_10device_ptrIiEEEESE_SE_iNS9_4plusIvEENS9_8equal_toIvEEiEE10hipError_tPvRmT2_T3_T4_T5_mT6_T7_P12ihipStream_tbENKUlT_T0_E_clISt17integral_constantIbLb0EESZ_EEDaSU_SV_EUlSU_E_NS1_11comp_targetILNS1_3genE5ELNS1_11target_archE942ELNS1_3gpuE9ELNS1_3repE0EEENS1_30default_config_static_selectorELNS0_4arch9wavefront6targetE0EEEvT1_: ; @_ZN7rocprim17ROCPRIM_400000_NS6detail17trampoline_kernelINS0_14default_configENS1_27scan_by_key_config_selectorIiiEEZZNS1_16scan_by_key_implILNS1_25lookback_scan_determinismE0ELb0ES3_N6thrust23THRUST_200600_302600_NS6detail15normal_iteratorINS9_10device_ptrIiEEEESE_SE_iNS9_4plusIvEENS9_8equal_toIvEEiEE10hipError_tPvRmT2_T3_T4_T5_mT6_T7_P12ihipStream_tbENKUlT_T0_E_clISt17integral_constantIbLb0EESZ_EEDaSU_SV_EUlSU_E_NS1_11comp_targetILNS1_3genE5ELNS1_11target_archE942ELNS1_3gpuE9ELNS1_3repE0EEENS1_30default_config_static_selectorELNS0_4arch9wavefront6targetE0EEEvT1_
; %bb.0:
	.section	.rodata,"a",@progbits
	.p2align	6, 0x0
	.amdhsa_kernel _ZN7rocprim17ROCPRIM_400000_NS6detail17trampoline_kernelINS0_14default_configENS1_27scan_by_key_config_selectorIiiEEZZNS1_16scan_by_key_implILNS1_25lookback_scan_determinismE0ELb0ES3_N6thrust23THRUST_200600_302600_NS6detail15normal_iteratorINS9_10device_ptrIiEEEESE_SE_iNS9_4plusIvEENS9_8equal_toIvEEiEE10hipError_tPvRmT2_T3_T4_T5_mT6_T7_P12ihipStream_tbENKUlT_T0_E_clISt17integral_constantIbLb0EESZ_EEDaSU_SV_EUlSU_E_NS1_11comp_targetILNS1_3genE5ELNS1_11target_archE942ELNS1_3gpuE9ELNS1_3repE0EEENS1_30default_config_static_selectorELNS0_4arch9wavefront6targetE0EEEvT1_
		.amdhsa_group_segment_fixed_size 0
		.amdhsa_private_segment_fixed_size 0
		.amdhsa_kernarg_size 112
		.amdhsa_user_sgpr_count 6
		.amdhsa_user_sgpr_private_segment_buffer 1
		.amdhsa_user_sgpr_dispatch_ptr 0
		.amdhsa_user_sgpr_queue_ptr 0
		.amdhsa_user_sgpr_kernarg_segment_ptr 1
		.amdhsa_user_sgpr_dispatch_id 0
		.amdhsa_user_sgpr_flat_scratch_init 0
		.amdhsa_user_sgpr_private_segment_size 0
		.amdhsa_wavefront_size32 1
		.amdhsa_uses_dynamic_stack 0
		.amdhsa_system_sgpr_private_segment_wavefront_offset 0
		.amdhsa_system_sgpr_workgroup_id_x 1
		.amdhsa_system_sgpr_workgroup_id_y 0
		.amdhsa_system_sgpr_workgroup_id_z 0
		.amdhsa_system_sgpr_workgroup_info 0
		.amdhsa_system_vgpr_workitem_id 0
		.amdhsa_next_free_vgpr 1
		.amdhsa_next_free_sgpr 1
		.amdhsa_reserve_vcc 0
		.amdhsa_reserve_flat_scratch 0
		.amdhsa_float_round_mode_32 0
		.amdhsa_float_round_mode_16_64 0
		.amdhsa_float_denorm_mode_32 3
		.amdhsa_float_denorm_mode_16_64 3
		.amdhsa_dx10_clamp 1
		.amdhsa_ieee_mode 1
		.amdhsa_fp16_overflow 0
		.amdhsa_workgroup_processor_mode 1
		.amdhsa_memory_ordered 1
		.amdhsa_forward_progress 1
		.amdhsa_shared_vgpr_count 0
		.amdhsa_exception_fp_ieee_invalid_op 0
		.amdhsa_exception_fp_denorm_src 0
		.amdhsa_exception_fp_ieee_div_zero 0
		.amdhsa_exception_fp_ieee_overflow 0
		.amdhsa_exception_fp_ieee_underflow 0
		.amdhsa_exception_fp_ieee_inexact 0
		.amdhsa_exception_int_div_zero 0
	.end_amdhsa_kernel
	.section	.text._ZN7rocprim17ROCPRIM_400000_NS6detail17trampoline_kernelINS0_14default_configENS1_27scan_by_key_config_selectorIiiEEZZNS1_16scan_by_key_implILNS1_25lookback_scan_determinismE0ELb0ES3_N6thrust23THRUST_200600_302600_NS6detail15normal_iteratorINS9_10device_ptrIiEEEESE_SE_iNS9_4plusIvEENS9_8equal_toIvEEiEE10hipError_tPvRmT2_T3_T4_T5_mT6_T7_P12ihipStream_tbENKUlT_T0_E_clISt17integral_constantIbLb0EESZ_EEDaSU_SV_EUlSU_E_NS1_11comp_targetILNS1_3genE5ELNS1_11target_archE942ELNS1_3gpuE9ELNS1_3repE0EEENS1_30default_config_static_selectorELNS0_4arch9wavefront6targetE0EEEvT1_,"axG",@progbits,_ZN7rocprim17ROCPRIM_400000_NS6detail17trampoline_kernelINS0_14default_configENS1_27scan_by_key_config_selectorIiiEEZZNS1_16scan_by_key_implILNS1_25lookback_scan_determinismE0ELb0ES3_N6thrust23THRUST_200600_302600_NS6detail15normal_iteratorINS9_10device_ptrIiEEEESE_SE_iNS9_4plusIvEENS9_8equal_toIvEEiEE10hipError_tPvRmT2_T3_T4_T5_mT6_T7_P12ihipStream_tbENKUlT_T0_E_clISt17integral_constantIbLb0EESZ_EEDaSU_SV_EUlSU_E_NS1_11comp_targetILNS1_3genE5ELNS1_11target_archE942ELNS1_3gpuE9ELNS1_3repE0EEENS1_30default_config_static_selectorELNS0_4arch9wavefront6targetE0EEEvT1_,comdat
.Lfunc_end124:
	.size	_ZN7rocprim17ROCPRIM_400000_NS6detail17trampoline_kernelINS0_14default_configENS1_27scan_by_key_config_selectorIiiEEZZNS1_16scan_by_key_implILNS1_25lookback_scan_determinismE0ELb0ES3_N6thrust23THRUST_200600_302600_NS6detail15normal_iteratorINS9_10device_ptrIiEEEESE_SE_iNS9_4plusIvEENS9_8equal_toIvEEiEE10hipError_tPvRmT2_T3_T4_T5_mT6_T7_P12ihipStream_tbENKUlT_T0_E_clISt17integral_constantIbLb0EESZ_EEDaSU_SV_EUlSU_E_NS1_11comp_targetILNS1_3genE5ELNS1_11target_archE942ELNS1_3gpuE9ELNS1_3repE0EEENS1_30default_config_static_selectorELNS0_4arch9wavefront6targetE0EEEvT1_, .Lfunc_end124-_ZN7rocprim17ROCPRIM_400000_NS6detail17trampoline_kernelINS0_14default_configENS1_27scan_by_key_config_selectorIiiEEZZNS1_16scan_by_key_implILNS1_25lookback_scan_determinismE0ELb0ES3_N6thrust23THRUST_200600_302600_NS6detail15normal_iteratorINS9_10device_ptrIiEEEESE_SE_iNS9_4plusIvEENS9_8equal_toIvEEiEE10hipError_tPvRmT2_T3_T4_T5_mT6_T7_P12ihipStream_tbENKUlT_T0_E_clISt17integral_constantIbLb0EESZ_EEDaSU_SV_EUlSU_E_NS1_11comp_targetILNS1_3genE5ELNS1_11target_archE942ELNS1_3gpuE9ELNS1_3repE0EEENS1_30default_config_static_selectorELNS0_4arch9wavefront6targetE0EEEvT1_
                                        ; -- End function
	.set _ZN7rocprim17ROCPRIM_400000_NS6detail17trampoline_kernelINS0_14default_configENS1_27scan_by_key_config_selectorIiiEEZZNS1_16scan_by_key_implILNS1_25lookback_scan_determinismE0ELb0ES3_N6thrust23THRUST_200600_302600_NS6detail15normal_iteratorINS9_10device_ptrIiEEEESE_SE_iNS9_4plusIvEENS9_8equal_toIvEEiEE10hipError_tPvRmT2_T3_T4_T5_mT6_T7_P12ihipStream_tbENKUlT_T0_E_clISt17integral_constantIbLb0EESZ_EEDaSU_SV_EUlSU_E_NS1_11comp_targetILNS1_3genE5ELNS1_11target_archE942ELNS1_3gpuE9ELNS1_3repE0EEENS1_30default_config_static_selectorELNS0_4arch9wavefront6targetE0EEEvT1_.num_vgpr, 0
	.set _ZN7rocprim17ROCPRIM_400000_NS6detail17trampoline_kernelINS0_14default_configENS1_27scan_by_key_config_selectorIiiEEZZNS1_16scan_by_key_implILNS1_25lookback_scan_determinismE0ELb0ES3_N6thrust23THRUST_200600_302600_NS6detail15normal_iteratorINS9_10device_ptrIiEEEESE_SE_iNS9_4plusIvEENS9_8equal_toIvEEiEE10hipError_tPvRmT2_T3_T4_T5_mT6_T7_P12ihipStream_tbENKUlT_T0_E_clISt17integral_constantIbLb0EESZ_EEDaSU_SV_EUlSU_E_NS1_11comp_targetILNS1_3genE5ELNS1_11target_archE942ELNS1_3gpuE9ELNS1_3repE0EEENS1_30default_config_static_selectorELNS0_4arch9wavefront6targetE0EEEvT1_.num_agpr, 0
	.set _ZN7rocprim17ROCPRIM_400000_NS6detail17trampoline_kernelINS0_14default_configENS1_27scan_by_key_config_selectorIiiEEZZNS1_16scan_by_key_implILNS1_25lookback_scan_determinismE0ELb0ES3_N6thrust23THRUST_200600_302600_NS6detail15normal_iteratorINS9_10device_ptrIiEEEESE_SE_iNS9_4plusIvEENS9_8equal_toIvEEiEE10hipError_tPvRmT2_T3_T4_T5_mT6_T7_P12ihipStream_tbENKUlT_T0_E_clISt17integral_constantIbLb0EESZ_EEDaSU_SV_EUlSU_E_NS1_11comp_targetILNS1_3genE5ELNS1_11target_archE942ELNS1_3gpuE9ELNS1_3repE0EEENS1_30default_config_static_selectorELNS0_4arch9wavefront6targetE0EEEvT1_.numbered_sgpr, 0
	.set _ZN7rocprim17ROCPRIM_400000_NS6detail17trampoline_kernelINS0_14default_configENS1_27scan_by_key_config_selectorIiiEEZZNS1_16scan_by_key_implILNS1_25lookback_scan_determinismE0ELb0ES3_N6thrust23THRUST_200600_302600_NS6detail15normal_iteratorINS9_10device_ptrIiEEEESE_SE_iNS9_4plusIvEENS9_8equal_toIvEEiEE10hipError_tPvRmT2_T3_T4_T5_mT6_T7_P12ihipStream_tbENKUlT_T0_E_clISt17integral_constantIbLb0EESZ_EEDaSU_SV_EUlSU_E_NS1_11comp_targetILNS1_3genE5ELNS1_11target_archE942ELNS1_3gpuE9ELNS1_3repE0EEENS1_30default_config_static_selectorELNS0_4arch9wavefront6targetE0EEEvT1_.num_named_barrier, 0
	.set _ZN7rocprim17ROCPRIM_400000_NS6detail17trampoline_kernelINS0_14default_configENS1_27scan_by_key_config_selectorIiiEEZZNS1_16scan_by_key_implILNS1_25lookback_scan_determinismE0ELb0ES3_N6thrust23THRUST_200600_302600_NS6detail15normal_iteratorINS9_10device_ptrIiEEEESE_SE_iNS9_4plusIvEENS9_8equal_toIvEEiEE10hipError_tPvRmT2_T3_T4_T5_mT6_T7_P12ihipStream_tbENKUlT_T0_E_clISt17integral_constantIbLb0EESZ_EEDaSU_SV_EUlSU_E_NS1_11comp_targetILNS1_3genE5ELNS1_11target_archE942ELNS1_3gpuE9ELNS1_3repE0EEENS1_30default_config_static_selectorELNS0_4arch9wavefront6targetE0EEEvT1_.private_seg_size, 0
	.set _ZN7rocprim17ROCPRIM_400000_NS6detail17trampoline_kernelINS0_14default_configENS1_27scan_by_key_config_selectorIiiEEZZNS1_16scan_by_key_implILNS1_25lookback_scan_determinismE0ELb0ES3_N6thrust23THRUST_200600_302600_NS6detail15normal_iteratorINS9_10device_ptrIiEEEESE_SE_iNS9_4plusIvEENS9_8equal_toIvEEiEE10hipError_tPvRmT2_T3_T4_T5_mT6_T7_P12ihipStream_tbENKUlT_T0_E_clISt17integral_constantIbLb0EESZ_EEDaSU_SV_EUlSU_E_NS1_11comp_targetILNS1_3genE5ELNS1_11target_archE942ELNS1_3gpuE9ELNS1_3repE0EEENS1_30default_config_static_selectorELNS0_4arch9wavefront6targetE0EEEvT1_.uses_vcc, 0
	.set _ZN7rocprim17ROCPRIM_400000_NS6detail17trampoline_kernelINS0_14default_configENS1_27scan_by_key_config_selectorIiiEEZZNS1_16scan_by_key_implILNS1_25lookback_scan_determinismE0ELb0ES3_N6thrust23THRUST_200600_302600_NS6detail15normal_iteratorINS9_10device_ptrIiEEEESE_SE_iNS9_4plusIvEENS9_8equal_toIvEEiEE10hipError_tPvRmT2_T3_T4_T5_mT6_T7_P12ihipStream_tbENKUlT_T0_E_clISt17integral_constantIbLb0EESZ_EEDaSU_SV_EUlSU_E_NS1_11comp_targetILNS1_3genE5ELNS1_11target_archE942ELNS1_3gpuE9ELNS1_3repE0EEENS1_30default_config_static_selectorELNS0_4arch9wavefront6targetE0EEEvT1_.uses_flat_scratch, 0
	.set _ZN7rocprim17ROCPRIM_400000_NS6detail17trampoline_kernelINS0_14default_configENS1_27scan_by_key_config_selectorIiiEEZZNS1_16scan_by_key_implILNS1_25lookback_scan_determinismE0ELb0ES3_N6thrust23THRUST_200600_302600_NS6detail15normal_iteratorINS9_10device_ptrIiEEEESE_SE_iNS9_4plusIvEENS9_8equal_toIvEEiEE10hipError_tPvRmT2_T3_T4_T5_mT6_T7_P12ihipStream_tbENKUlT_T0_E_clISt17integral_constantIbLb0EESZ_EEDaSU_SV_EUlSU_E_NS1_11comp_targetILNS1_3genE5ELNS1_11target_archE942ELNS1_3gpuE9ELNS1_3repE0EEENS1_30default_config_static_selectorELNS0_4arch9wavefront6targetE0EEEvT1_.has_dyn_sized_stack, 0
	.set _ZN7rocprim17ROCPRIM_400000_NS6detail17trampoline_kernelINS0_14default_configENS1_27scan_by_key_config_selectorIiiEEZZNS1_16scan_by_key_implILNS1_25lookback_scan_determinismE0ELb0ES3_N6thrust23THRUST_200600_302600_NS6detail15normal_iteratorINS9_10device_ptrIiEEEESE_SE_iNS9_4plusIvEENS9_8equal_toIvEEiEE10hipError_tPvRmT2_T3_T4_T5_mT6_T7_P12ihipStream_tbENKUlT_T0_E_clISt17integral_constantIbLb0EESZ_EEDaSU_SV_EUlSU_E_NS1_11comp_targetILNS1_3genE5ELNS1_11target_archE942ELNS1_3gpuE9ELNS1_3repE0EEENS1_30default_config_static_selectorELNS0_4arch9wavefront6targetE0EEEvT1_.has_recursion, 0
	.set _ZN7rocprim17ROCPRIM_400000_NS6detail17trampoline_kernelINS0_14default_configENS1_27scan_by_key_config_selectorIiiEEZZNS1_16scan_by_key_implILNS1_25lookback_scan_determinismE0ELb0ES3_N6thrust23THRUST_200600_302600_NS6detail15normal_iteratorINS9_10device_ptrIiEEEESE_SE_iNS9_4plusIvEENS9_8equal_toIvEEiEE10hipError_tPvRmT2_T3_T4_T5_mT6_T7_P12ihipStream_tbENKUlT_T0_E_clISt17integral_constantIbLb0EESZ_EEDaSU_SV_EUlSU_E_NS1_11comp_targetILNS1_3genE5ELNS1_11target_archE942ELNS1_3gpuE9ELNS1_3repE0EEENS1_30default_config_static_selectorELNS0_4arch9wavefront6targetE0EEEvT1_.has_indirect_call, 0
	.section	.AMDGPU.csdata,"",@progbits
; Kernel info:
; codeLenInByte = 0
; TotalNumSgprs: 0
; NumVgprs: 0
; ScratchSize: 0
; MemoryBound: 0
; FloatMode: 240
; IeeeMode: 1
; LDSByteSize: 0 bytes/workgroup (compile time only)
; SGPRBlocks: 0
; VGPRBlocks: 0
; NumSGPRsForWavesPerEU: 1
; NumVGPRsForWavesPerEU: 1
; Occupancy: 16
; WaveLimiterHint : 0
; COMPUTE_PGM_RSRC2:SCRATCH_EN: 0
; COMPUTE_PGM_RSRC2:USER_SGPR: 6
; COMPUTE_PGM_RSRC2:TRAP_HANDLER: 0
; COMPUTE_PGM_RSRC2:TGID_X_EN: 1
; COMPUTE_PGM_RSRC2:TGID_Y_EN: 0
; COMPUTE_PGM_RSRC2:TGID_Z_EN: 0
; COMPUTE_PGM_RSRC2:TIDIG_COMP_CNT: 0
	.section	.text._ZN7rocprim17ROCPRIM_400000_NS6detail17trampoline_kernelINS0_14default_configENS1_27scan_by_key_config_selectorIiiEEZZNS1_16scan_by_key_implILNS1_25lookback_scan_determinismE0ELb0ES3_N6thrust23THRUST_200600_302600_NS6detail15normal_iteratorINS9_10device_ptrIiEEEESE_SE_iNS9_4plusIvEENS9_8equal_toIvEEiEE10hipError_tPvRmT2_T3_T4_T5_mT6_T7_P12ihipStream_tbENKUlT_T0_E_clISt17integral_constantIbLb0EESZ_EEDaSU_SV_EUlSU_E_NS1_11comp_targetILNS1_3genE4ELNS1_11target_archE910ELNS1_3gpuE8ELNS1_3repE0EEENS1_30default_config_static_selectorELNS0_4arch9wavefront6targetE0EEEvT1_,"axG",@progbits,_ZN7rocprim17ROCPRIM_400000_NS6detail17trampoline_kernelINS0_14default_configENS1_27scan_by_key_config_selectorIiiEEZZNS1_16scan_by_key_implILNS1_25lookback_scan_determinismE0ELb0ES3_N6thrust23THRUST_200600_302600_NS6detail15normal_iteratorINS9_10device_ptrIiEEEESE_SE_iNS9_4plusIvEENS9_8equal_toIvEEiEE10hipError_tPvRmT2_T3_T4_T5_mT6_T7_P12ihipStream_tbENKUlT_T0_E_clISt17integral_constantIbLb0EESZ_EEDaSU_SV_EUlSU_E_NS1_11comp_targetILNS1_3genE4ELNS1_11target_archE910ELNS1_3gpuE8ELNS1_3repE0EEENS1_30default_config_static_selectorELNS0_4arch9wavefront6targetE0EEEvT1_,comdat
	.protected	_ZN7rocprim17ROCPRIM_400000_NS6detail17trampoline_kernelINS0_14default_configENS1_27scan_by_key_config_selectorIiiEEZZNS1_16scan_by_key_implILNS1_25lookback_scan_determinismE0ELb0ES3_N6thrust23THRUST_200600_302600_NS6detail15normal_iteratorINS9_10device_ptrIiEEEESE_SE_iNS9_4plusIvEENS9_8equal_toIvEEiEE10hipError_tPvRmT2_T3_T4_T5_mT6_T7_P12ihipStream_tbENKUlT_T0_E_clISt17integral_constantIbLb0EESZ_EEDaSU_SV_EUlSU_E_NS1_11comp_targetILNS1_3genE4ELNS1_11target_archE910ELNS1_3gpuE8ELNS1_3repE0EEENS1_30default_config_static_selectorELNS0_4arch9wavefront6targetE0EEEvT1_ ; -- Begin function _ZN7rocprim17ROCPRIM_400000_NS6detail17trampoline_kernelINS0_14default_configENS1_27scan_by_key_config_selectorIiiEEZZNS1_16scan_by_key_implILNS1_25lookback_scan_determinismE0ELb0ES3_N6thrust23THRUST_200600_302600_NS6detail15normal_iteratorINS9_10device_ptrIiEEEESE_SE_iNS9_4plusIvEENS9_8equal_toIvEEiEE10hipError_tPvRmT2_T3_T4_T5_mT6_T7_P12ihipStream_tbENKUlT_T0_E_clISt17integral_constantIbLb0EESZ_EEDaSU_SV_EUlSU_E_NS1_11comp_targetILNS1_3genE4ELNS1_11target_archE910ELNS1_3gpuE8ELNS1_3repE0EEENS1_30default_config_static_selectorELNS0_4arch9wavefront6targetE0EEEvT1_
	.globl	_ZN7rocprim17ROCPRIM_400000_NS6detail17trampoline_kernelINS0_14default_configENS1_27scan_by_key_config_selectorIiiEEZZNS1_16scan_by_key_implILNS1_25lookback_scan_determinismE0ELb0ES3_N6thrust23THRUST_200600_302600_NS6detail15normal_iteratorINS9_10device_ptrIiEEEESE_SE_iNS9_4plusIvEENS9_8equal_toIvEEiEE10hipError_tPvRmT2_T3_T4_T5_mT6_T7_P12ihipStream_tbENKUlT_T0_E_clISt17integral_constantIbLb0EESZ_EEDaSU_SV_EUlSU_E_NS1_11comp_targetILNS1_3genE4ELNS1_11target_archE910ELNS1_3gpuE8ELNS1_3repE0EEENS1_30default_config_static_selectorELNS0_4arch9wavefront6targetE0EEEvT1_
	.p2align	8
	.type	_ZN7rocprim17ROCPRIM_400000_NS6detail17trampoline_kernelINS0_14default_configENS1_27scan_by_key_config_selectorIiiEEZZNS1_16scan_by_key_implILNS1_25lookback_scan_determinismE0ELb0ES3_N6thrust23THRUST_200600_302600_NS6detail15normal_iteratorINS9_10device_ptrIiEEEESE_SE_iNS9_4plusIvEENS9_8equal_toIvEEiEE10hipError_tPvRmT2_T3_T4_T5_mT6_T7_P12ihipStream_tbENKUlT_T0_E_clISt17integral_constantIbLb0EESZ_EEDaSU_SV_EUlSU_E_NS1_11comp_targetILNS1_3genE4ELNS1_11target_archE910ELNS1_3gpuE8ELNS1_3repE0EEENS1_30default_config_static_selectorELNS0_4arch9wavefront6targetE0EEEvT1_,@function
_ZN7rocprim17ROCPRIM_400000_NS6detail17trampoline_kernelINS0_14default_configENS1_27scan_by_key_config_selectorIiiEEZZNS1_16scan_by_key_implILNS1_25lookback_scan_determinismE0ELb0ES3_N6thrust23THRUST_200600_302600_NS6detail15normal_iteratorINS9_10device_ptrIiEEEESE_SE_iNS9_4plusIvEENS9_8equal_toIvEEiEE10hipError_tPvRmT2_T3_T4_T5_mT6_T7_P12ihipStream_tbENKUlT_T0_E_clISt17integral_constantIbLb0EESZ_EEDaSU_SV_EUlSU_E_NS1_11comp_targetILNS1_3genE4ELNS1_11target_archE910ELNS1_3gpuE8ELNS1_3repE0EEENS1_30default_config_static_selectorELNS0_4arch9wavefront6targetE0EEEvT1_: ; @_ZN7rocprim17ROCPRIM_400000_NS6detail17trampoline_kernelINS0_14default_configENS1_27scan_by_key_config_selectorIiiEEZZNS1_16scan_by_key_implILNS1_25lookback_scan_determinismE0ELb0ES3_N6thrust23THRUST_200600_302600_NS6detail15normal_iteratorINS9_10device_ptrIiEEEESE_SE_iNS9_4plusIvEENS9_8equal_toIvEEiEE10hipError_tPvRmT2_T3_T4_T5_mT6_T7_P12ihipStream_tbENKUlT_T0_E_clISt17integral_constantIbLb0EESZ_EEDaSU_SV_EUlSU_E_NS1_11comp_targetILNS1_3genE4ELNS1_11target_archE910ELNS1_3gpuE8ELNS1_3repE0EEENS1_30default_config_static_selectorELNS0_4arch9wavefront6targetE0EEEvT1_
; %bb.0:
	.section	.rodata,"a",@progbits
	.p2align	6, 0x0
	.amdhsa_kernel _ZN7rocprim17ROCPRIM_400000_NS6detail17trampoline_kernelINS0_14default_configENS1_27scan_by_key_config_selectorIiiEEZZNS1_16scan_by_key_implILNS1_25lookback_scan_determinismE0ELb0ES3_N6thrust23THRUST_200600_302600_NS6detail15normal_iteratorINS9_10device_ptrIiEEEESE_SE_iNS9_4plusIvEENS9_8equal_toIvEEiEE10hipError_tPvRmT2_T3_T4_T5_mT6_T7_P12ihipStream_tbENKUlT_T0_E_clISt17integral_constantIbLb0EESZ_EEDaSU_SV_EUlSU_E_NS1_11comp_targetILNS1_3genE4ELNS1_11target_archE910ELNS1_3gpuE8ELNS1_3repE0EEENS1_30default_config_static_selectorELNS0_4arch9wavefront6targetE0EEEvT1_
		.amdhsa_group_segment_fixed_size 0
		.amdhsa_private_segment_fixed_size 0
		.amdhsa_kernarg_size 112
		.amdhsa_user_sgpr_count 6
		.amdhsa_user_sgpr_private_segment_buffer 1
		.amdhsa_user_sgpr_dispatch_ptr 0
		.amdhsa_user_sgpr_queue_ptr 0
		.amdhsa_user_sgpr_kernarg_segment_ptr 1
		.amdhsa_user_sgpr_dispatch_id 0
		.amdhsa_user_sgpr_flat_scratch_init 0
		.amdhsa_user_sgpr_private_segment_size 0
		.amdhsa_wavefront_size32 1
		.amdhsa_uses_dynamic_stack 0
		.amdhsa_system_sgpr_private_segment_wavefront_offset 0
		.amdhsa_system_sgpr_workgroup_id_x 1
		.amdhsa_system_sgpr_workgroup_id_y 0
		.amdhsa_system_sgpr_workgroup_id_z 0
		.amdhsa_system_sgpr_workgroup_info 0
		.amdhsa_system_vgpr_workitem_id 0
		.amdhsa_next_free_vgpr 1
		.amdhsa_next_free_sgpr 1
		.amdhsa_reserve_vcc 0
		.amdhsa_reserve_flat_scratch 0
		.amdhsa_float_round_mode_32 0
		.amdhsa_float_round_mode_16_64 0
		.amdhsa_float_denorm_mode_32 3
		.amdhsa_float_denorm_mode_16_64 3
		.amdhsa_dx10_clamp 1
		.amdhsa_ieee_mode 1
		.amdhsa_fp16_overflow 0
		.amdhsa_workgroup_processor_mode 1
		.amdhsa_memory_ordered 1
		.amdhsa_forward_progress 1
		.amdhsa_shared_vgpr_count 0
		.amdhsa_exception_fp_ieee_invalid_op 0
		.amdhsa_exception_fp_denorm_src 0
		.amdhsa_exception_fp_ieee_div_zero 0
		.amdhsa_exception_fp_ieee_overflow 0
		.amdhsa_exception_fp_ieee_underflow 0
		.amdhsa_exception_fp_ieee_inexact 0
		.amdhsa_exception_int_div_zero 0
	.end_amdhsa_kernel
	.section	.text._ZN7rocprim17ROCPRIM_400000_NS6detail17trampoline_kernelINS0_14default_configENS1_27scan_by_key_config_selectorIiiEEZZNS1_16scan_by_key_implILNS1_25lookback_scan_determinismE0ELb0ES3_N6thrust23THRUST_200600_302600_NS6detail15normal_iteratorINS9_10device_ptrIiEEEESE_SE_iNS9_4plusIvEENS9_8equal_toIvEEiEE10hipError_tPvRmT2_T3_T4_T5_mT6_T7_P12ihipStream_tbENKUlT_T0_E_clISt17integral_constantIbLb0EESZ_EEDaSU_SV_EUlSU_E_NS1_11comp_targetILNS1_3genE4ELNS1_11target_archE910ELNS1_3gpuE8ELNS1_3repE0EEENS1_30default_config_static_selectorELNS0_4arch9wavefront6targetE0EEEvT1_,"axG",@progbits,_ZN7rocprim17ROCPRIM_400000_NS6detail17trampoline_kernelINS0_14default_configENS1_27scan_by_key_config_selectorIiiEEZZNS1_16scan_by_key_implILNS1_25lookback_scan_determinismE0ELb0ES3_N6thrust23THRUST_200600_302600_NS6detail15normal_iteratorINS9_10device_ptrIiEEEESE_SE_iNS9_4plusIvEENS9_8equal_toIvEEiEE10hipError_tPvRmT2_T3_T4_T5_mT6_T7_P12ihipStream_tbENKUlT_T0_E_clISt17integral_constantIbLb0EESZ_EEDaSU_SV_EUlSU_E_NS1_11comp_targetILNS1_3genE4ELNS1_11target_archE910ELNS1_3gpuE8ELNS1_3repE0EEENS1_30default_config_static_selectorELNS0_4arch9wavefront6targetE0EEEvT1_,comdat
.Lfunc_end125:
	.size	_ZN7rocprim17ROCPRIM_400000_NS6detail17trampoline_kernelINS0_14default_configENS1_27scan_by_key_config_selectorIiiEEZZNS1_16scan_by_key_implILNS1_25lookback_scan_determinismE0ELb0ES3_N6thrust23THRUST_200600_302600_NS6detail15normal_iteratorINS9_10device_ptrIiEEEESE_SE_iNS9_4plusIvEENS9_8equal_toIvEEiEE10hipError_tPvRmT2_T3_T4_T5_mT6_T7_P12ihipStream_tbENKUlT_T0_E_clISt17integral_constantIbLb0EESZ_EEDaSU_SV_EUlSU_E_NS1_11comp_targetILNS1_3genE4ELNS1_11target_archE910ELNS1_3gpuE8ELNS1_3repE0EEENS1_30default_config_static_selectorELNS0_4arch9wavefront6targetE0EEEvT1_, .Lfunc_end125-_ZN7rocprim17ROCPRIM_400000_NS6detail17trampoline_kernelINS0_14default_configENS1_27scan_by_key_config_selectorIiiEEZZNS1_16scan_by_key_implILNS1_25lookback_scan_determinismE0ELb0ES3_N6thrust23THRUST_200600_302600_NS6detail15normal_iteratorINS9_10device_ptrIiEEEESE_SE_iNS9_4plusIvEENS9_8equal_toIvEEiEE10hipError_tPvRmT2_T3_T4_T5_mT6_T7_P12ihipStream_tbENKUlT_T0_E_clISt17integral_constantIbLb0EESZ_EEDaSU_SV_EUlSU_E_NS1_11comp_targetILNS1_3genE4ELNS1_11target_archE910ELNS1_3gpuE8ELNS1_3repE0EEENS1_30default_config_static_selectorELNS0_4arch9wavefront6targetE0EEEvT1_
                                        ; -- End function
	.set _ZN7rocprim17ROCPRIM_400000_NS6detail17trampoline_kernelINS0_14default_configENS1_27scan_by_key_config_selectorIiiEEZZNS1_16scan_by_key_implILNS1_25lookback_scan_determinismE0ELb0ES3_N6thrust23THRUST_200600_302600_NS6detail15normal_iteratorINS9_10device_ptrIiEEEESE_SE_iNS9_4plusIvEENS9_8equal_toIvEEiEE10hipError_tPvRmT2_T3_T4_T5_mT6_T7_P12ihipStream_tbENKUlT_T0_E_clISt17integral_constantIbLb0EESZ_EEDaSU_SV_EUlSU_E_NS1_11comp_targetILNS1_3genE4ELNS1_11target_archE910ELNS1_3gpuE8ELNS1_3repE0EEENS1_30default_config_static_selectorELNS0_4arch9wavefront6targetE0EEEvT1_.num_vgpr, 0
	.set _ZN7rocprim17ROCPRIM_400000_NS6detail17trampoline_kernelINS0_14default_configENS1_27scan_by_key_config_selectorIiiEEZZNS1_16scan_by_key_implILNS1_25lookback_scan_determinismE0ELb0ES3_N6thrust23THRUST_200600_302600_NS6detail15normal_iteratorINS9_10device_ptrIiEEEESE_SE_iNS9_4plusIvEENS9_8equal_toIvEEiEE10hipError_tPvRmT2_T3_T4_T5_mT6_T7_P12ihipStream_tbENKUlT_T0_E_clISt17integral_constantIbLb0EESZ_EEDaSU_SV_EUlSU_E_NS1_11comp_targetILNS1_3genE4ELNS1_11target_archE910ELNS1_3gpuE8ELNS1_3repE0EEENS1_30default_config_static_selectorELNS0_4arch9wavefront6targetE0EEEvT1_.num_agpr, 0
	.set _ZN7rocprim17ROCPRIM_400000_NS6detail17trampoline_kernelINS0_14default_configENS1_27scan_by_key_config_selectorIiiEEZZNS1_16scan_by_key_implILNS1_25lookback_scan_determinismE0ELb0ES3_N6thrust23THRUST_200600_302600_NS6detail15normal_iteratorINS9_10device_ptrIiEEEESE_SE_iNS9_4plusIvEENS9_8equal_toIvEEiEE10hipError_tPvRmT2_T3_T4_T5_mT6_T7_P12ihipStream_tbENKUlT_T0_E_clISt17integral_constantIbLb0EESZ_EEDaSU_SV_EUlSU_E_NS1_11comp_targetILNS1_3genE4ELNS1_11target_archE910ELNS1_3gpuE8ELNS1_3repE0EEENS1_30default_config_static_selectorELNS0_4arch9wavefront6targetE0EEEvT1_.numbered_sgpr, 0
	.set _ZN7rocprim17ROCPRIM_400000_NS6detail17trampoline_kernelINS0_14default_configENS1_27scan_by_key_config_selectorIiiEEZZNS1_16scan_by_key_implILNS1_25lookback_scan_determinismE0ELb0ES3_N6thrust23THRUST_200600_302600_NS6detail15normal_iteratorINS9_10device_ptrIiEEEESE_SE_iNS9_4plusIvEENS9_8equal_toIvEEiEE10hipError_tPvRmT2_T3_T4_T5_mT6_T7_P12ihipStream_tbENKUlT_T0_E_clISt17integral_constantIbLb0EESZ_EEDaSU_SV_EUlSU_E_NS1_11comp_targetILNS1_3genE4ELNS1_11target_archE910ELNS1_3gpuE8ELNS1_3repE0EEENS1_30default_config_static_selectorELNS0_4arch9wavefront6targetE0EEEvT1_.num_named_barrier, 0
	.set _ZN7rocprim17ROCPRIM_400000_NS6detail17trampoline_kernelINS0_14default_configENS1_27scan_by_key_config_selectorIiiEEZZNS1_16scan_by_key_implILNS1_25lookback_scan_determinismE0ELb0ES3_N6thrust23THRUST_200600_302600_NS6detail15normal_iteratorINS9_10device_ptrIiEEEESE_SE_iNS9_4plusIvEENS9_8equal_toIvEEiEE10hipError_tPvRmT2_T3_T4_T5_mT6_T7_P12ihipStream_tbENKUlT_T0_E_clISt17integral_constantIbLb0EESZ_EEDaSU_SV_EUlSU_E_NS1_11comp_targetILNS1_3genE4ELNS1_11target_archE910ELNS1_3gpuE8ELNS1_3repE0EEENS1_30default_config_static_selectorELNS0_4arch9wavefront6targetE0EEEvT1_.private_seg_size, 0
	.set _ZN7rocprim17ROCPRIM_400000_NS6detail17trampoline_kernelINS0_14default_configENS1_27scan_by_key_config_selectorIiiEEZZNS1_16scan_by_key_implILNS1_25lookback_scan_determinismE0ELb0ES3_N6thrust23THRUST_200600_302600_NS6detail15normal_iteratorINS9_10device_ptrIiEEEESE_SE_iNS9_4plusIvEENS9_8equal_toIvEEiEE10hipError_tPvRmT2_T3_T4_T5_mT6_T7_P12ihipStream_tbENKUlT_T0_E_clISt17integral_constantIbLb0EESZ_EEDaSU_SV_EUlSU_E_NS1_11comp_targetILNS1_3genE4ELNS1_11target_archE910ELNS1_3gpuE8ELNS1_3repE0EEENS1_30default_config_static_selectorELNS0_4arch9wavefront6targetE0EEEvT1_.uses_vcc, 0
	.set _ZN7rocprim17ROCPRIM_400000_NS6detail17trampoline_kernelINS0_14default_configENS1_27scan_by_key_config_selectorIiiEEZZNS1_16scan_by_key_implILNS1_25lookback_scan_determinismE0ELb0ES3_N6thrust23THRUST_200600_302600_NS6detail15normal_iteratorINS9_10device_ptrIiEEEESE_SE_iNS9_4plusIvEENS9_8equal_toIvEEiEE10hipError_tPvRmT2_T3_T4_T5_mT6_T7_P12ihipStream_tbENKUlT_T0_E_clISt17integral_constantIbLb0EESZ_EEDaSU_SV_EUlSU_E_NS1_11comp_targetILNS1_3genE4ELNS1_11target_archE910ELNS1_3gpuE8ELNS1_3repE0EEENS1_30default_config_static_selectorELNS0_4arch9wavefront6targetE0EEEvT1_.uses_flat_scratch, 0
	.set _ZN7rocprim17ROCPRIM_400000_NS6detail17trampoline_kernelINS0_14default_configENS1_27scan_by_key_config_selectorIiiEEZZNS1_16scan_by_key_implILNS1_25lookback_scan_determinismE0ELb0ES3_N6thrust23THRUST_200600_302600_NS6detail15normal_iteratorINS9_10device_ptrIiEEEESE_SE_iNS9_4plusIvEENS9_8equal_toIvEEiEE10hipError_tPvRmT2_T3_T4_T5_mT6_T7_P12ihipStream_tbENKUlT_T0_E_clISt17integral_constantIbLb0EESZ_EEDaSU_SV_EUlSU_E_NS1_11comp_targetILNS1_3genE4ELNS1_11target_archE910ELNS1_3gpuE8ELNS1_3repE0EEENS1_30default_config_static_selectorELNS0_4arch9wavefront6targetE0EEEvT1_.has_dyn_sized_stack, 0
	.set _ZN7rocprim17ROCPRIM_400000_NS6detail17trampoline_kernelINS0_14default_configENS1_27scan_by_key_config_selectorIiiEEZZNS1_16scan_by_key_implILNS1_25lookback_scan_determinismE0ELb0ES3_N6thrust23THRUST_200600_302600_NS6detail15normal_iteratorINS9_10device_ptrIiEEEESE_SE_iNS9_4plusIvEENS9_8equal_toIvEEiEE10hipError_tPvRmT2_T3_T4_T5_mT6_T7_P12ihipStream_tbENKUlT_T0_E_clISt17integral_constantIbLb0EESZ_EEDaSU_SV_EUlSU_E_NS1_11comp_targetILNS1_3genE4ELNS1_11target_archE910ELNS1_3gpuE8ELNS1_3repE0EEENS1_30default_config_static_selectorELNS0_4arch9wavefront6targetE0EEEvT1_.has_recursion, 0
	.set _ZN7rocprim17ROCPRIM_400000_NS6detail17trampoline_kernelINS0_14default_configENS1_27scan_by_key_config_selectorIiiEEZZNS1_16scan_by_key_implILNS1_25lookback_scan_determinismE0ELb0ES3_N6thrust23THRUST_200600_302600_NS6detail15normal_iteratorINS9_10device_ptrIiEEEESE_SE_iNS9_4plusIvEENS9_8equal_toIvEEiEE10hipError_tPvRmT2_T3_T4_T5_mT6_T7_P12ihipStream_tbENKUlT_T0_E_clISt17integral_constantIbLb0EESZ_EEDaSU_SV_EUlSU_E_NS1_11comp_targetILNS1_3genE4ELNS1_11target_archE910ELNS1_3gpuE8ELNS1_3repE0EEENS1_30default_config_static_selectorELNS0_4arch9wavefront6targetE0EEEvT1_.has_indirect_call, 0
	.section	.AMDGPU.csdata,"",@progbits
; Kernel info:
; codeLenInByte = 0
; TotalNumSgprs: 0
; NumVgprs: 0
; ScratchSize: 0
; MemoryBound: 0
; FloatMode: 240
; IeeeMode: 1
; LDSByteSize: 0 bytes/workgroup (compile time only)
; SGPRBlocks: 0
; VGPRBlocks: 0
; NumSGPRsForWavesPerEU: 1
; NumVGPRsForWavesPerEU: 1
; Occupancy: 16
; WaveLimiterHint : 0
; COMPUTE_PGM_RSRC2:SCRATCH_EN: 0
; COMPUTE_PGM_RSRC2:USER_SGPR: 6
; COMPUTE_PGM_RSRC2:TRAP_HANDLER: 0
; COMPUTE_PGM_RSRC2:TGID_X_EN: 1
; COMPUTE_PGM_RSRC2:TGID_Y_EN: 0
; COMPUTE_PGM_RSRC2:TGID_Z_EN: 0
; COMPUTE_PGM_RSRC2:TIDIG_COMP_CNT: 0
	.section	.text._ZN7rocprim17ROCPRIM_400000_NS6detail17trampoline_kernelINS0_14default_configENS1_27scan_by_key_config_selectorIiiEEZZNS1_16scan_by_key_implILNS1_25lookback_scan_determinismE0ELb0ES3_N6thrust23THRUST_200600_302600_NS6detail15normal_iteratorINS9_10device_ptrIiEEEESE_SE_iNS9_4plusIvEENS9_8equal_toIvEEiEE10hipError_tPvRmT2_T3_T4_T5_mT6_T7_P12ihipStream_tbENKUlT_T0_E_clISt17integral_constantIbLb0EESZ_EEDaSU_SV_EUlSU_E_NS1_11comp_targetILNS1_3genE3ELNS1_11target_archE908ELNS1_3gpuE7ELNS1_3repE0EEENS1_30default_config_static_selectorELNS0_4arch9wavefront6targetE0EEEvT1_,"axG",@progbits,_ZN7rocprim17ROCPRIM_400000_NS6detail17trampoline_kernelINS0_14default_configENS1_27scan_by_key_config_selectorIiiEEZZNS1_16scan_by_key_implILNS1_25lookback_scan_determinismE0ELb0ES3_N6thrust23THRUST_200600_302600_NS6detail15normal_iteratorINS9_10device_ptrIiEEEESE_SE_iNS9_4plusIvEENS9_8equal_toIvEEiEE10hipError_tPvRmT2_T3_T4_T5_mT6_T7_P12ihipStream_tbENKUlT_T0_E_clISt17integral_constantIbLb0EESZ_EEDaSU_SV_EUlSU_E_NS1_11comp_targetILNS1_3genE3ELNS1_11target_archE908ELNS1_3gpuE7ELNS1_3repE0EEENS1_30default_config_static_selectorELNS0_4arch9wavefront6targetE0EEEvT1_,comdat
	.protected	_ZN7rocprim17ROCPRIM_400000_NS6detail17trampoline_kernelINS0_14default_configENS1_27scan_by_key_config_selectorIiiEEZZNS1_16scan_by_key_implILNS1_25lookback_scan_determinismE0ELb0ES3_N6thrust23THRUST_200600_302600_NS6detail15normal_iteratorINS9_10device_ptrIiEEEESE_SE_iNS9_4plusIvEENS9_8equal_toIvEEiEE10hipError_tPvRmT2_T3_T4_T5_mT6_T7_P12ihipStream_tbENKUlT_T0_E_clISt17integral_constantIbLb0EESZ_EEDaSU_SV_EUlSU_E_NS1_11comp_targetILNS1_3genE3ELNS1_11target_archE908ELNS1_3gpuE7ELNS1_3repE0EEENS1_30default_config_static_selectorELNS0_4arch9wavefront6targetE0EEEvT1_ ; -- Begin function _ZN7rocprim17ROCPRIM_400000_NS6detail17trampoline_kernelINS0_14default_configENS1_27scan_by_key_config_selectorIiiEEZZNS1_16scan_by_key_implILNS1_25lookback_scan_determinismE0ELb0ES3_N6thrust23THRUST_200600_302600_NS6detail15normal_iteratorINS9_10device_ptrIiEEEESE_SE_iNS9_4plusIvEENS9_8equal_toIvEEiEE10hipError_tPvRmT2_T3_T4_T5_mT6_T7_P12ihipStream_tbENKUlT_T0_E_clISt17integral_constantIbLb0EESZ_EEDaSU_SV_EUlSU_E_NS1_11comp_targetILNS1_3genE3ELNS1_11target_archE908ELNS1_3gpuE7ELNS1_3repE0EEENS1_30default_config_static_selectorELNS0_4arch9wavefront6targetE0EEEvT1_
	.globl	_ZN7rocprim17ROCPRIM_400000_NS6detail17trampoline_kernelINS0_14default_configENS1_27scan_by_key_config_selectorIiiEEZZNS1_16scan_by_key_implILNS1_25lookback_scan_determinismE0ELb0ES3_N6thrust23THRUST_200600_302600_NS6detail15normal_iteratorINS9_10device_ptrIiEEEESE_SE_iNS9_4plusIvEENS9_8equal_toIvEEiEE10hipError_tPvRmT2_T3_T4_T5_mT6_T7_P12ihipStream_tbENKUlT_T0_E_clISt17integral_constantIbLb0EESZ_EEDaSU_SV_EUlSU_E_NS1_11comp_targetILNS1_3genE3ELNS1_11target_archE908ELNS1_3gpuE7ELNS1_3repE0EEENS1_30default_config_static_selectorELNS0_4arch9wavefront6targetE0EEEvT1_
	.p2align	8
	.type	_ZN7rocprim17ROCPRIM_400000_NS6detail17trampoline_kernelINS0_14default_configENS1_27scan_by_key_config_selectorIiiEEZZNS1_16scan_by_key_implILNS1_25lookback_scan_determinismE0ELb0ES3_N6thrust23THRUST_200600_302600_NS6detail15normal_iteratorINS9_10device_ptrIiEEEESE_SE_iNS9_4plusIvEENS9_8equal_toIvEEiEE10hipError_tPvRmT2_T3_T4_T5_mT6_T7_P12ihipStream_tbENKUlT_T0_E_clISt17integral_constantIbLb0EESZ_EEDaSU_SV_EUlSU_E_NS1_11comp_targetILNS1_3genE3ELNS1_11target_archE908ELNS1_3gpuE7ELNS1_3repE0EEENS1_30default_config_static_selectorELNS0_4arch9wavefront6targetE0EEEvT1_,@function
_ZN7rocprim17ROCPRIM_400000_NS6detail17trampoline_kernelINS0_14default_configENS1_27scan_by_key_config_selectorIiiEEZZNS1_16scan_by_key_implILNS1_25lookback_scan_determinismE0ELb0ES3_N6thrust23THRUST_200600_302600_NS6detail15normal_iteratorINS9_10device_ptrIiEEEESE_SE_iNS9_4plusIvEENS9_8equal_toIvEEiEE10hipError_tPvRmT2_T3_T4_T5_mT6_T7_P12ihipStream_tbENKUlT_T0_E_clISt17integral_constantIbLb0EESZ_EEDaSU_SV_EUlSU_E_NS1_11comp_targetILNS1_3genE3ELNS1_11target_archE908ELNS1_3gpuE7ELNS1_3repE0EEENS1_30default_config_static_selectorELNS0_4arch9wavefront6targetE0EEEvT1_: ; @_ZN7rocprim17ROCPRIM_400000_NS6detail17trampoline_kernelINS0_14default_configENS1_27scan_by_key_config_selectorIiiEEZZNS1_16scan_by_key_implILNS1_25lookback_scan_determinismE0ELb0ES3_N6thrust23THRUST_200600_302600_NS6detail15normal_iteratorINS9_10device_ptrIiEEEESE_SE_iNS9_4plusIvEENS9_8equal_toIvEEiEE10hipError_tPvRmT2_T3_T4_T5_mT6_T7_P12ihipStream_tbENKUlT_T0_E_clISt17integral_constantIbLb0EESZ_EEDaSU_SV_EUlSU_E_NS1_11comp_targetILNS1_3genE3ELNS1_11target_archE908ELNS1_3gpuE7ELNS1_3repE0EEENS1_30default_config_static_selectorELNS0_4arch9wavefront6targetE0EEEvT1_
; %bb.0:
	.section	.rodata,"a",@progbits
	.p2align	6, 0x0
	.amdhsa_kernel _ZN7rocprim17ROCPRIM_400000_NS6detail17trampoline_kernelINS0_14default_configENS1_27scan_by_key_config_selectorIiiEEZZNS1_16scan_by_key_implILNS1_25lookback_scan_determinismE0ELb0ES3_N6thrust23THRUST_200600_302600_NS6detail15normal_iteratorINS9_10device_ptrIiEEEESE_SE_iNS9_4plusIvEENS9_8equal_toIvEEiEE10hipError_tPvRmT2_T3_T4_T5_mT6_T7_P12ihipStream_tbENKUlT_T0_E_clISt17integral_constantIbLb0EESZ_EEDaSU_SV_EUlSU_E_NS1_11comp_targetILNS1_3genE3ELNS1_11target_archE908ELNS1_3gpuE7ELNS1_3repE0EEENS1_30default_config_static_selectorELNS0_4arch9wavefront6targetE0EEEvT1_
		.amdhsa_group_segment_fixed_size 0
		.amdhsa_private_segment_fixed_size 0
		.amdhsa_kernarg_size 112
		.amdhsa_user_sgpr_count 6
		.amdhsa_user_sgpr_private_segment_buffer 1
		.amdhsa_user_sgpr_dispatch_ptr 0
		.amdhsa_user_sgpr_queue_ptr 0
		.amdhsa_user_sgpr_kernarg_segment_ptr 1
		.amdhsa_user_sgpr_dispatch_id 0
		.amdhsa_user_sgpr_flat_scratch_init 0
		.amdhsa_user_sgpr_private_segment_size 0
		.amdhsa_wavefront_size32 1
		.amdhsa_uses_dynamic_stack 0
		.amdhsa_system_sgpr_private_segment_wavefront_offset 0
		.amdhsa_system_sgpr_workgroup_id_x 1
		.amdhsa_system_sgpr_workgroup_id_y 0
		.amdhsa_system_sgpr_workgroup_id_z 0
		.amdhsa_system_sgpr_workgroup_info 0
		.amdhsa_system_vgpr_workitem_id 0
		.amdhsa_next_free_vgpr 1
		.amdhsa_next_free_sgpr 1
		.amdhsa_reserve_vcc 0
		.amdhsa_reserve_flat_scratch 0
		.amdhsa_float_round_mode_32 0
		.amdhsa_float_round_mode_16_64 0
		.amdhsa_float_denorm_mode_32 3
		.amdhsa_float_denorm_mode_16_64 3
		.amdhsa_dx10_clamp 1
		.amdhsa_ieee_mode 1
		.amdhsa_fp16_overflow 0
		.amdhsa_workgroup_processor_mode 1
		.amdhsa_memory_ordered 1
		.amdhsa_forward_progress 1
		.amdhsa_shared_vgpr_count 0
		.amdhsa_exception_fp_ieee_invalid_op 0
		.amdhsa_exception_fp_denorm_src 0
		.amdhsa_exception_fp_ieee_div_zero 0
		.amdhsa_exception_fp_ieee_overflow 0
		.amdhsa_exception_fp_ieee_underflow 0
		.amdhsa_exception_fp_ieee_inexact 0
		.amdhsa_exception_int_div_zero 0
	.end_amdhsa_kernel
	.section	.text._ZN7rocprim17ROCPRIM_400000_NS6detail17trampoline_kernelINS0_14default_configENS1_27scan_by_key_config_selectorIiiEEZZNS1_16scan_by_key_implILNS1_25lookback_scan_determinismE0ELb0ES3_N6thrust23THRUST_200600_302600_NS6detail15normal_iteratorINS9_10device_ptrIiEEEESE_SE_iNS9_4plusIvEENS9_8equal_toIvEEiEE10hipError_tPvRmT2_T3_T4_T5_mT6_T7_P12ihipStream_tbENKUlT_T0_E_clISt17integral_constantIbLb0EESZ_EEDaSU_SV_EUlSU_E_NS1_11comp_targetILNS1_3genE3ELNS1_11target_archE908ELNS1_3gpuE7ELNS1_3repE0EEENS1_30default_config_static_selectorELNS0_4arch9wavefront6targetE0EEEvT1_,"axG",@progbits,_ZN7rocprim17ROCPRIM_400000_NS6detail17trampoline_kernelINS0_14default_configENS1_27scan_by_key_config_selectorIiiEEZZNS1_16scan_by_key_implILNS1_25lookback_scan_determinismE0ELb0ES3_N6thrust23THRUST_200600_302600_NS6detail15normal_iteratorINS9_10device_ptrIiEEEESE_SE_iNS9_4plusIvEENS9_8equal_toIvEEiEE10hipError_tPvRmT2_T3_T4_T5_mT6_T7_P12ihipStream_tbENKUlT_T0_E_clISt17integral_constantIbLb0EESZ_EEDaSU_SV_EUlSU_E_NS1_11comp_targetILNS1_3genE3ELNS1_11target_archE908ELNS1_3gpuE7ELNS1_3repE0EEENS1_30default_config_static_selectorELNS0_4arch9wavefront6targetE0EEEvT1_,comdat
.Lfunc_end126:
	.size	_ZN7rocprim17ROCPRIM_400000_NS6detail17trampoline_kernelINS0_14default_configENS1_27scan_by_key_config_selectorIiiEEZZNS1_16scan_by_key_implILNS1_25lookback_scan_determinismE0ELb0ES3_N6thrust23THRUST_200600_302600_NS6detail15normal_iteratorINS9_10device_ptrIiEEEESE_SE_iNS9_4plusIvEENS9_8equal_toIvEEiEE10hipError_tPvRmT2_T3_T4_T5_mT6_T7_P12ihipStream_tbENKUlT_T0_E_clISt17integral_constantIbLb0EESZ_EEDaSU_SV_EUlSU_E_NS1_11comp_targetILNS1_3genE3ELNS1_11target_archE908ELNS1_3gpuE7ELNS1_3repE0EEENS1_30default_config_static_selectorELNS0_4arch9wavefront6targetE0EEEvT1_, .Lfunc_end126-_ZN7rocprim17ROCPRIM_400000_NS6detail17trampoline_kernelINS0_14default_configENS1_27scan_by_key_config_selectorIiiEEZZNS1_16scan_by_key_implILNS1_25lookback_scan_determinismE0ELb0ES3_N6thrust23THRUST_200600_302600_NS6detail15normal_iteratorINS9_10device_ptrIiEEEESE_SE_iNS9_4plusIvEENS9_8equal_toIvEEiEE10hipError_tPvRmT2_T3_T4_T5_mT6_T7_P12ihipStream_tbENKUlT_T0_E_clISt17integral_constantIbLb0EESZ_EEDaSU_SV_EUlSU_E_NS1_11comp_targetILNS1_3genE3ELNS1_11target_archE908ELNS1_3gpuE7ELNS1_3repE0EEENS1_30default_config_static_selectorELNS0_4arch9wavefront6targetE0EEEvT1_
                                        ; -- End function
	.set _ZN7rocprim17ROCPRIM_400000_NS6detail17trampoline_kernelINS0_14default_configENS1_27scan_by_key_config_selectorIiiEEZZNS1_16scan_by_key_implILNS1_25lookback_scan_determinismE0ELb0ES3_N6thrust23THRUST_200600_302600_NS6detail15normal_iteratorINS9_10device_ptrIiEEEESE_SE_iNS9_4plusIvEENS9_8equal_toIvEEiEE10hipError_tPvRmT2_T3_T4_T5_mT6_T7_P12ihipStream_tbENKUlT_T0_E_clISt17integral_constantIbLb0EESZ_EEDaSU_SV_EUlSU_E_NS1_11comp_targetILNS1_3genE3ELNS1_11target_archE908ELNS1_3gpuE7ELNS1_3repE0EEENS1_30default_config_static_selectorELNS0_4arch9wavefront6targetE0EEEvT1_.num_vgpr, 0
	.set _ZN7rocprim17ROCPRIM_400000_NS6detail17trampoline_kernelINS0_14default_configENS1_27scan_by_key_config_selectorIiiEEZZNS1_16scan_by_key_implILNS1_25lookback_scan_determinismE0ELb0ES3_N6thrust23THRUST_200600_302600_NS6detail15normal_iteratorINS9_10device_ptrIiEEEESE_SE_iNS9_4plusIvEENS9_8equal_toIvEEiEE10hipError_tPvRmT2_T3_T4_T5_mT6_T7_P12ihipStream_tbENKUlT_T0_E_clISt17integral_constantIbLb0EESZ_EEDaSU_SV_EUlSU_E_NS1_11comp_targetILNS1_3genE3ELNS1_11target_archE908ELNS1_3gpuE7ELNS1_3repE0EEENS1_30default_config_static_selectorELNS0_4arch9wavefront6targetE0EEEvT1_.num_agpr, 0
	.set _ZN7rocprim17ROCPRIM_400000_NS6detail17trampoline_kernelINS0_14default_configENS1_27scan_by_key_config_selectorIiiEEZZNS1_16scan_by_key_implILNS1_25lookback_scan_determinismE0ELb0ES3_N6thrust23THRUST_200600_302600_NS6detail15normal_iteratorINS9_10device_ptrIiEEEESE_SE_iNS9_4plusIvEENS9_8equal_toIvEEiEE10hipError_tPvRmT2_T3_T4_T5_mT6_T7_P12ihipStream_tbENKUlT_T0_E_clISt17integral_constantIbLb0EESZ_EEDaSU_SV_EUlSU_E_NS1_11comp_targetILNS1_3genE3ELNS1_11target_archE908ELNS1_3gpuE7ELNS1_3repE0EEENS1_30default_config_static_selectorELNS0_4arch9wavefront6targetE0EEEvT1_.numbered_sgpr, 0
	.set _ZN7rocprim17ROCPRIM_400000_NS6detail17trampoline_kernelINS0_14default_configENS1_27scan_by_key_config_selectorIiiEEZZNS1_16scan_by_key_implILNS1_25lookback_scan_determinismE0ELb0ES3_N6thrust23THRUST_200600_302600_NS6detail15normal_iteratorINS9_10device_ptrIiEEEESE_SE_iNS9_4plusIvEENS9_8equal_toIvEEiEE10hipError_tPvRmT2_T3_T4_T5_mT6_T7_P12ihipStream_tbENKUlT_T0_E_clISt17integral_constantIbLb0EESZ_EEDaSU_SV_EUlSU_E_NS1_11comp_targetILNS1_3genE3ELNS1_11target_archE908ELNS1_3gpuE7ELNS1_3repE0EEENS1_30default_config_static_selectorELNS0_4arch9wavefront6targetE0EEEvT1_.num_named_barrier, 0
	.set _ZN7rocprim17ROCPRIM_400000_NS6detail17trampoline_kernelINS0_14default_configENS1_27scan_by_key_config_selectorIiiEEZZNS1_16scan_by_key_implILNS1_25lookback_scan_determinismE0ELb0ES3_N6thrust23THRUST_200600_302600_NS6detail15normal_iteratorINS9_10device_ptrIiEEEESE_SE_iNS9_4plusIvEENS9_8equal_toIvEEiEE10hipError_tPvRmT2_T3_T4_T5_mT6_T7_P12ihipStream_tbENKUlT_T0_E_clISt17integral_constantIbLb0EESZ_EEDaSU_SV_EUlSU_E_NS1_11comp_targetILNS1_3genE3ELNS1_11target_archE908ELNS1_3gpuE7ELNS1_3repE0EEENS1_30default_config_static_selectorELNS0_4arch9wavefront6targetE0EEEvT1_.private_seg_size, 0
	.set _ZN7rocprim17ROCPRIM_400000_NS6detail17trampoline_kernelINS0_14default_configENS1_27scan_by_key_config_selectorIiiEEZZNS1_16scan_by_key_implILNS1_25lookback_scan_determinismE0ELb0ES3_N6thrust23THRUST_200600_302600_NS6detail15normal_iteratorINS9_10device_ptrIiEEEESE_SE_iNS9_4plusIvEENS9_8equal_toIvEEiEE10hipError_tPvRmT2_T3_T4_T5_mT6_T7_P12ihipStream_tbENKUlT_T0_E_clISt17integral_constantIbLb0EESZ_EEDaSU_SV_EUlSU_E_NS1_11comp_targetILNS1_3genE3ELNS1_11target_archE908ELNS1_3gpuE7ELNS1_3repE0EEENS1_30default_config_static_selectorELNS0_4arch9wavefront6targetE0EEEvT1_.uses_vcc, 0
	.set _ZN7rocprim17ROCPRIM_400000_NS6detail17trampoline_kernelINS0_14default_configENS1_27scan_by_key_config_selectorIiiEEZZNS1_16scan_by_key_implILNS1_25lookback_scan_determinismE0ELb0ES3_N6thrust23THRUST_200600_302600_NS6detail15normal_iteratorINS9_10device_ptrIiEEEESE_SE_iNS9_4plusIvEENS9_8equal_toIvEEiEE10hipError_tPvRmT2_T3_T4_T5_mT6_T7_P12ihipStream_tbENKUlT_T0_E_clISt17integral_constantIbLb0EESZ_EEDaSU_SV_EUlSU_E_NS1_11comp_targetILNS1_3genE3ELNS1_11target_archE908ELNS1_3gpuE7ELNS1_3repE0EEENS1_30default_config_static_selectorELNS0_4arch9wavefront6targetE0EEEvT1_.uses_flat_scratch, 0
	.set _ZN7rocprim17ROCPRIM_400000_NS6detail17trampoline_kernelINS0_14default_configENS1_27scan_by_key_config_selectorIiiEEZZNS1_16scan_by_key_implILNS1_25lookback_scan_determinismE0ELb0ES3_N6thrust23THRUST_200600_302600_NS6detail15normal_iteratorINS9_10device_ptrIiEEEESE_SE_iNS9_4plusIvEENS9_8equal_toIvEEiEE10hipError_tPvRmT2_T3_T4_T5_mT6_T7_P12ihipStream_tbENKUlT_T0_E_clISt17integral_constantIbLb0EESZ_EEDaSU_SV_EUlSU_E_NS1_11comp_targetILNS1_3genE3ELNS1_11target_archE908ELNS1_3gpuE7ELNS1_3repE0EEENS1_30default_config_static_selectorELNS0_4arch9wavefront6targetE0EEEvT1_.has_dyn_sized_stack, 0
	.set _ZN7rocprim17ROCPRIM_400000_NS6detail17trampoline_kernelINS0_14default_configENS1_27scan_by_key_config_selectorIiiEEZZNS1_16scan_by_key_implILNS1_25lookback_scan_determinismE0ELb0ES3_N6thrust23THRUST_200600_302600_NS6detail15normal_iteratorINS9_10device_ptrIiEEEESE_SE_iNS9_4plusIvEENS9_8equal_toIvEEiEE10hipError_tPvRmT2_T3_T4_T5_mT6_T7_P12ihipStream_tbENKUlT_T0_E_clISt17integral_constantIbLb0EESZ_EEDaSU_SV_EUlSU_E_NS1_11comp_targetILNS1_3genE3ELNS1_11target_archE908ELNS1_3gpuE7ELNS1_3repE0EEENS1_30default_config_static_selectorELNS0_4arch9wavefront6targetE0EEEvT1_.has_recursion, 0
	.set _ZN7rocprim17ROCPRIM_400000_NS6detail17trampoline_kernelINS0_14default_configENS1_27scan_by_key_config_selectorIiiEEZZNS1_16scan_by_key_implILNS1_25lookback_scan_determinismE0ELb0ES3_N6thrust23THRUST_200600_302600_NS6detail15normal_iteratorINS9_10device_ptrIiEEEESE_SE_iNS9_4plusIvEENS9_8equal_toIvEEiEE10hipError_tPvRmT2_T3_T4_T5_mT6_T7_P12ihipStream_tbENKUlT_T0_E_clISt17integral_constantIbLb0EESZ_EEDaSU_SV_EUlSU_E_NS1_11comp_targetILNS1_3genE3ELNS1_11target_archE908ELNS1_3gpuE7ELNS1_3repE0EEENS1_30default_config_static_selectorELNS0_4arch9wavefront6targetE0EEEvT1_.has_indirect_call, 0
	.section	.AMDGPU.csdata,"",@progbits
; Kernel info:
; codeLenInByte = 0
; TotalNumSgprs: 0
; NumVgprs: 0
; ScratchSize: 0
; MemoryBound: 0
; FloatMode: 240
; IeeeMode: 1
; LDSByteSize: 0 bytes/workgroup (compile time only)
; SGPRBlocks: 0
; VGPRBlocks: 0
; NumSGPRsForWavesPerEU: 1
; NumVGPRsForWavesPerEU: 1
; Occupancy: 16
; WaveLimiterHint : 0
; COMPUTE_PGM_RSRC2:SCRATCH_EN: 0
; COMPUTE_PGM_RSRC2:USER_SGPR: 6
; COMPUTE_PGM_RSRC2:TRAP_HANDLER: 0
; COMPUTE_PGM_RSRC2:TGID_X_EN: 1
; COMPUTE_PGM_RSRC2:TGID_Y_EN: 0
; COMPUTE_PGM_RSRC2:TGID_Z_EN: 0
; COMPUTE_PGM_RSRC2:TIDIG_COMP_CNT: 0
	.section	.text._ZN7rocprim17ROCPRIM_400000_NS6detail17trampoline_kernelINS0_14default_configENS1_27scan_by_key_config_selectorIiiEEZZNS1_16scan_by_key_implILNS1_25lookback_scan_determinismE0ELb0ES3_N6thrust23THRUST_200600_302600_NS6detail15normal_iteratorINS9_10device_ptrIiEEEESE_SE_iNS9_4plusIvEENS9_8equal_toIvEEiEE10hipError_tPvRmT2_T3_T4_T5_mT6_T7_P12ihipStream_tbENKUlT_T0_E_clISt17integral_constantIbLb0EESZ_EEDaSU_SV_EUlSU_E_NS1_11comp_targetILNS1_3genE2ELNS1_11target_archE906ELNS1_3gpuE6ELNS1_3repE0EEENS1_30default_config_static_selectorELNS0_4arch9wavefront6targetE0EEEvT1_,"axG",@progbits,_ZN7rocprim17ROCPRIM_400000_NS6detail17trampoline_kernelINS0_14default_configENS1_27scan_by_key_config_selectorIiiEEZZNS1_16scan_by_key_implILNS1_25lookback_scan_determinismE0ELb0ES3_N6thrust23THRUST_200600_302600_NS6detail15normal_iteratorINS9_10device_ptrIiEEEESE_SE_iNS9_4plusIvEENS9_8equal_toIvEEiEE10hipError_tPvRmT2_T3_T4_T5_mT6_T7_P12ihipStream_tbENKUlT_T0_E_clISt17integral_constantIbLb0EESZ_EEDaSU_SV_EUlSU_E_NS1_11comp_targetILNS1_3genE2ELNS1_11target_archE906ELNS1_3gpuE6ELNS1_3repE0EEENS1_30default_config_static_selectorELNS0_4arch9wavefront6targetE0EEEvT1_,comdat
	.protected	_ZN7rocprim17ROCPRIM_400000_NS6detail17trampoline_kernelINS0_14default_configENS1_27scan_by_key_config_selectorIiiEEZZNS1_16scan_by_key_implILNS1_25lookback_scan_determinismE0ELb0ES3_N6thrust23THRUST_200600_302600_NS6detail15normal_iteratorINS9_10device_ptrIiEEEESE_SE_iNS9_4plusIvEENS9_8equal_toIvEEiEE10hipError_tPvRmT2_T3_T4_T5_mT6_T7_P12ihipStream_tbENKUlT_T0_E_clISt17integral_constantIbLb0EESZ_EEDaSU_SV_EUlSU_E_NS1_11comp_targetILNS1_3genE2ELNS1_11target_archE906ELNS1_3gpuE6ELNS1_3repE0EEENS1_30default_config_static_selectorELNS0_4arch9wavefront6targetE0EEEvT1_ ; -- Begin function _ZN7rocprim17ROCPRIM_400000_NS6detail17trampoline_kernelINS0_14default_configENS1_27scan_by_key_config_selectorIiiEEZZNS1_16scan_by_key_implILNS1_25lookback_scan_determinismE0ELb0ES3_N6thrust23THRUST_200600_302600_NS6detail15normal_iteratorINS9_10device_ptrIiEEEESE_SE_iNS9_4plusIvEENS9_8equal_toIvEEiEE10hipError_tPvRmT2_T3_T4_T5_mT6_T7_P12ihipStream_tbENKUlT_T0_E_clISt17integral_constantIbLb0EESZ_EEDaSU_SV_EUlSU_E_NS1_11comp_targetILNS1_3genE2ELNS1_11target_archE906ELNS1_3gpuE6ELNS1_3repE0EEENS1_30default_config_static_selectorELNS0_4arch9wavefront6targetE0EEEvT1_
	.globl	_ZN7rocprim17ROCPRIM_400000_NS6detail17trampoline_kernelINS0_14default_configENS1_27scan_by_key_config_selectorIiiEEZZNS1_16scan_by_key_implILNS1_25lookback_scan_determinismE0ELb0ES3_N6thrust23THRUST_200600_302600_NS6detail15normal_iteratorINS9_10device_ptrIiEEEESE_SE_iNS9_4plusIvEENS9_8equal_toIvEEiEE10hipError_tPvRmT2_T3_T4_T5_mT6_T7_P12ihipStream_tbENKUlT_T0_E_clISt17integral_constantIbLb0EESZ_EEDaSU_SV_EUlSU_E_NS1_11comp_targetILNS1_3genE2ELNS1_11target_archE906ELNS1_3gpuE6ELNS1_3repE0EEENS1_30default_config_static_selectorELNS0_4arch9wavefront6targetE0EEEvT1_
	.p2align	8
	.type	_ZN7rocprim17ROCPRIM_400000_NS6detail17trampoline_kernelINS0_14default_configENS1_27scan_by_key_config_selectorIiiEEZZNS1_16scan_by_key_implILNS1_25lookback_scan_determinismE0ELb0ES3_N6thrust23THRUST_200600_302600_NS6detail15normal_iteratorINS9_10device_ptrIiEEEESE_SE_iNS9_4plusIvEENS9_8equal_toIvEEiEE10hipError_tPvRmT2_T3_T4_T5_mT6_T7_P12ihipStream_tbENKUlT_T0_E_clISt17integral_constantIbLb0EESZ_EEDaSU_SV_EUlSU_E_NS1_11comp_targetILNS1_3genE2ELNS1_11target_archE906ELNS1_3gpuE6ELNS1_3repE0EEENS1_30default_config_static_selectorELNS0_4arch9wavefront6targetE0EEEvT1_,@function
_ZN7rocprim17ROCPRIM_400000_NS6detail17trampoline_kernelINS0_14default_configENS1_27scan_by_key_config_selectorIiiEEZZNS1_16scan_by_key_implILNS1_25lookback_scan_determinismE0ELb0ES3_N6thrust23THRUST_200600_302600_NS6detail15normal_iteratorINS9_10device_ptrIiEEEESE_SE_iNS9_4plusIvEENS9_8equal_toIvEEiEE10hipError_tPvRmT2_T3_T4_T5_mT6_T7_P12ihipStream_tbENKUlT_T0_E_clISt17integral_constantIbLb0EESZ_EEDaSU_SV_EUlSU_E_NS1_11comp_targetILNS1_3genE2ELNS1_11target_archE906ELNS1_3gpuE6ELNS1_3repE0EEENS1_30default_config_static_selectorELNS0_4arch9wavefront6targetE0EEEvT1_: ; @_ZN7rocprim17ROCPRIM_400000_NS6detail17trampoline_kernelINS0_14default_configENS1_27scan_by_key_config_selectorIiiEEZZNS1_16scan_by_key_implILNS1_25lookback_scan_determinismE0ELb0ES3_N6thrust23THRUST_200600_302600_NS6detail15normal_iteratorINS9_10device_ptrIiEEEESE_SE_iNS9_4plusIvEENS9_8equal_toIvEEiEE10hipError_tPvRmT2_T3_T4_T5_mT6_T7_P12ihipStream_tbENKUlT_T0_E_clISt17integral_constantIbLb0EESZ_EEDaSU_SV_EUlSU_E_NS1_11comp_targetILNS1_3genE2ELNS1_11target_archE906ELNS1_3gpuE6ELNS1_3repE0EEENS1_30default_config_static_selectorELNS0_4arch9wavefront6targetE0EEEvT1_
; %bb.0:
	.section	.rodata,"a",@progbits
	.p2align	6, 0x0
	.amdhsa_kernel _ZN7rocprim17ROCPRIM_400000_NS6detail17trampoline_kernelINS0_14default_configENS1_27scan_by_key_config_selectorIiiEEZZNS1_16scan_by_key_implILNS1_25lookback_scan_determinismE0ELb0ES3_N6thrust23THRUST_200600_302600_NS6detail15normal_iteratorINS9_10device_ptrIiEEEESE_SE_iNS9_4plusIvEENS9_8equal_toIvEEiEE10hipError_tPvRmT2_T3_T4_T5_mT6_T7_P12ihipStream_tbENKUlT_T0_E_clISt17integral_constantIbLb0EESZ_EEDaSU_SV_EUlSU_E_NS1_11comp_targetILNS1_3genE2ELNS1_11target_archE906ELNS1_3gpuE6ELNS1_3repE0EEENS1_30default_config_static_selectorELNS0_4arch9wavefront6targetE0EEEvT1_
		.amdhsa_group_segment_fixed_size 0
		.amdhsa_private_segment_fixed_size 0
		.amdhsa_kernarg_size 112
		.amdhsa_user_sgpr_count 6
		.amdhsa_user_sgpr_private_segment_buffer 1
		.amdhsa_user_sgpr_dispatch_ptr 0
		.amdhsa_user_sgpr_queue_ptr 0
		.amdhsa_user_sgpr_kernarg_segment_ptr 1
		.amdhsa_user_sgpr_dispatch_id 0
		.amdhsa_user_sgpr_flat_scratch_init 0
		.amdhsa_user_sgpr_private_segment_size 0
		.amdhsa_wavefront_size32 1
		.amdhsa_uses_dynamic_stack 0
		.amdhsa_system_sgpr_private_segment_wavefront_offset 0
		.amdhsa_system_sgpr_workgroup_id_x 1
		.amdhsa_system_sgpr_workgroup_id_y 0
		.amdhsa_system_sgpr_workgroup_id_z 0
		.amdhsa_system_sgpr_workgroup_info 0
		.amdhsa_system_vgpr_workitem_id 0
		.amdhsa_next_free_vgpr 1
		.amdhsa_next_free_sgpr 1
		.amdhsa_reserve_vcc 0
		.amdhsa_reserve_flat_scratch 0
		.amdhsa_float_round_mode_32 0
		.amdhsa_float_round_mode_16_64 0
		.amdhsa_float_denorm_mode_32 3
		.amdhsa_float_denorm_mode_16_64 3
		.amdhsa_dx10_clamp 1
		.amdhsa_ieee_mode 1
		.amdhsa_fp16_overflow 0
		.amdhsa_workgroup_processor_mode 1
		.amdhsa_memory_ordered 1
		.amdhsa_forward_progress 1
		.amdhsa_shared_vgpr_count 0
		.amdhsa_exception_fp_ieee_invalid_op 0
		.amdhsa_exception_fp_denorm_src 0
		.amdhsa_exception_fp_ieee_div_zero 0
		.amdhsa_exception_fp_ieee_overflow 0
		.amdhsa_exception_fp_ieee_underflow 0
		.amdhsa_exception_fp_ieee_inexact 0
		.amdhsa_exception_int_div_zero 0
	.end_amdhsa_kernel
	.section	.text._ZN7rocprim17ROCPRIM_400000_NS6detail17trampoline_kernelINS0_14default_configENS1_27scan_by_key_config_selectorIiiEEZZNS1_16scan_by_key_implILNS1_25lookback_scan_determinismE0ELb0ES3_N6thrust23THRUST_200600_302600_NS6detail15normal_iteratorINS9_10device_ptrIiEEEESE_SE_iNS9_4plusIvEENS9_8equal_toIvEEiEE10hipError_tPvRmT2_T3_T4_T5_mT6_T7_P12ihipStream_tbENKUlT_T0_E_clISt17integral_constantIbLb0EESZ_EEDaSU_SV_EUlSU_E_NS1_11comp_targetILNS1_3genE2ELNS1_11target_archE906ELNS1_3gpuE6ELNS1_3repE0EEENS1_30default_config_static_selectorELNS0_4arch9wavefront6targetE0EEEvT1_,"axG",@progbits,_ZN7rocprim17ROCPRIM_400000_NS6detail17trampoline_kernelINS0_14default_configENS1_27scan_by_key_config_selectorIiiEEZZNS1_16scan_by_key_implILNS1_25lookback_scan_determinismE0ELb0ES3_N6thrust23THRUST_200600_302600_NS6detail15normal_iteratorINS9_10device_ptrIiEEEESE_SE_iNS9_4plusIvEENS9_8equal_toIvEEiEE10hipError_tPvRmT2_T3_T4_T5_mT6_T7_P12ihipStream_tbENKUlT_T0_E_clISt17integral_constantIbLb0EESZ_EEDaSU_SV_EUlSU_E_NS1_11comp_targetILNS1_3genE2ELNS1_11target_archE906ELNS1_3gpuE6ELNS1_3repE0EEENS1_30default_config_static_selectorELNS0_4arch9wavefront6targetE0EEEvT1_,comdat
.Lfunc_end127:
	.size	_ZN7rocprim17ROCPRIM_400000_NS6detail17trampoline_kernelINS0_14default_configENS1_27scan_by_key_config_selectorIiiEEZZNS1_16scan_by_key_implILNS1_25lookback_scan_determinismE0ELb0ES3_N6thrust23THRUST_200600_302600_NS6detail15normal_iteratorINS9_10device_ptrIiEEEESE_SE_iNS9_4plusIvEENS9_8equal_toIvEEiEE10hipError_tPvRmT2_T3_T4_T5_mT6_T7_P12ihipStream_tbENKUlT_T0_E_clISt17integral_constantIbLb0EESZ_EEDaSU_SV_EUlSU_E_NS1_11comp_targetILNS1_3genE2ELNS1_11target_archE906ELNS1_3gpuE6ELNS1_3repE0EEENS1_30default_config_static_selectorELNS0_4arch9wavefront6targetE0EEEvT1_, .Lfunc_end127-_ZN7rocprim17ROCPRIM_400000_NS6detail17trampoline_kernelINS0_14default_configENS1_27scan_by_key_config_selectorIiiEEZZNS1_16scan_by_key_implILNS1_25lookback_scan_determinismE0ELb0ES3_N6thrust23THRUST_200600_302600_NS6detail15normal_iteratorINS9_10device_ptrIiEEEESE_SE_iNS9_4plusIvEENS9_8equal_toIvEEiEE10hipError_tPvRmT2_T3_T4_T5_mT6_T7_P12ihipStream_tbENKUlT_T0_E_clISt17integral_constantIbLb0EESZ_EEDaSU_SV_EUlSU_E_NS1_11comp_targetILNS1_3genE2ELNS1_11target_archE906ELNS1_3gpuE6ELNS1_3repE0EEENS1_30default_config_static_selectorELNS0_4arch9wavefront6targetE0EEEvT1_
                                        ; -- End function
	.set _ZN7rocprim17ROCPRIM_400000_NS6detail17trampoline_kernelINS0_14default_configENS1_27scan_by_key_config_selectorIiiEEZZNS1_16scan_by_key_implILNS1_25lookback_scan_determinismE0ELb0ES3_N6thrust23THRUST_200600_302600_NS6detail15normal_iteratorINS9_10device_ptrIiEEEESE_SE_iNS9_4plusIvEENS9_8equal_toIvEEiEE10hipError_tPvRmT2_T3_T4_T5_mT6_T7_P12ihipStream_tbENKUlT_T0_E_clISt17integral_constantIbLb0EESZ_EEDaSU_SV_EUlSU_E_NS1_11comp_targetILNS1_3genE2ELNS1_11target_archE906ELNS1_3gpuE6ELNS1_3repE0EEENS1_30default_config_static_selectorELNS0_4arch9wavefront6targetE0EEEvT1_.num_vgpr, 0
	.set _ZN7rocprim17ROCPRIM_400000_NS6detail17trampoline_kernelINS0_14default_configENS1_27scan_by_key_config_selectorIiiEEZZNS1_16scan_by_key_implILNS1_25lookback_scan_determinismE0ELb0ES3_N6thrust23THRUST_200600_302600_NS6detail15normal_iteratorINS9_10device_ptrIiEEEESE_SE_iNS9_4plusIvEENS9_8equal_toIvEEiEE10hipError_tPvRmT2_T3_T4_T5_mT6_T7_P12ihipStream_tbENKUlT_T0_E_clISt17integral_constantIbLb0EESZ_EEDaSU_SV_EUlSU_E_NS1_11comp_targetILNS1_3genE2ELNS1_11target_archE906ELNS1_3gpuE6ELNS1_3repE0EEENS1_30default_config_static_selectorELNS0_4arch9wavefront6targetE0EEEvT1_.num_agpr, 0
	.set _ZN7rocprim17ROCPRIM_400000_NS6detail17trampoline_kernelINS0_14default_configENS1_27scan_by_key_config_selectorIiiEEZZNS1_16scan_by_key_implILNS1_25lookback_scan_determinismE0ELb0ES3_N6thrust23THRUST_200600_302600_NS6detail15normal_iteratorINS9_10device_ptrIiEEEESE_SE_iNS9_4plusIvEENS9_8equal_toIvEEiEE10hipError_tPvRmT2_T3_T4_T5_mT6_T7_P12ihipStream_tbENKUlT_T0_E_clISt17integral_constantIbLb0EESZ_EEDaSU_SV_EUlSU_E_NS1_11comp_targetILNS1_3genE2ELNS1_11target_archE906ELNS1_3gpuE6ELNS1_3repE0EEENS1_30default_config_static_selectorELNS0_4arch9wavefront6targetE0EEEvT1_.numbered_sgpr, 0
	.set _ZN7rocprim17ROCPRIM_400000_NS6detail17trampoline_kernelINS0_14default_configENS1_27scan_by_key_config_selectorIiiEEZZNS1_16scan_by_key_implILNS1_25lookback_scan_determinismE0ELb0ES3_N6thrust23THRUST_200600_302600_NS6detail15normal_iteratorINS9_10device_ptrIiEEEESE_SE_iNS9_4plusIvEENS9_8equal_toIvEEiEE10hipError_tPvRmT2_T3_T4_T5_mT6_T7_P12ihipStream_tbENKUlT_T0_E_clISt17integral_constantIbLb0EESZ_EEDaSU_SV_EUlSU_E_NS1_11comp_targetILNS1_3genE2ELNS1_11target_archE906ELNS1_3gpuE6ELNS1_3repE0EEENS1_30default_config_static_selectorELNS0_4arch9wavefront6targetE0EEEvT1_.num_named_barrier, 0
	.set _ZN7rocprim17ROCPRIM_400000_NS6detail17trampoline_kernelINS0_14default_configENS1_27scan_by_key_config_selectorIiiEEZZNS1_16scan_by_key_implILNS1_25lookback_scan_determinismE0ELb0ES3_N6thrust23THRUST_200600_302600_NS6detail15normal_iteratorINS9_10device_ptrIiEEEESE_SE_iNS9_4plusIvEENS9_8equal_toIvEEiEE10hipError_tPvRmT2_T3_T4_T5_mT6_T7_P12ihipStream_tbENKUlT_T0_E_clISt17integral_constantIbLb0EESZ_EEDaSU_SV_EUlSU_E_NS1_11comp_targetILNS1_3genE2ELNS1_11target_archE906ELNS1_3gpuE6ELNS1_3repE0EEENS1_30default_config_static_selectorELNS0_4arch9wavefront6targetE0EEEvT1_.private_seg_size, 0
	.set _ZN7rocprim17ROCPRIM_400000_NS6detail17trampoline_kernelINS0_14default_configENS1_27scan_by_key_config_selectorIiiEEZZNS1_16scan_by_key_implILNS1_25lookback_scan_determinismE0ELb0ES3_N6thrust23THRUST_200600_302600_NS6detail15normal_iteratorINS9_10device_ptrIiEEEESE_SE_iNS9_4plusIvEENS9_8equal_toIvEEiEE10hipError_tPvRmT2_T3_T4_T5_mT6_T7_P12ihipStream_tbENKUlT_T0_E_clISt17integral_constantIbLb0EESZ_EEDaSU_SV_EUlSU_E_NS1_11comp_targetILNS1_3genE2ELNS1_11target_archE906ELNS1_3gpuE6ELNS1_3repE0EEENS1_30default_config_static_selectorELNS0_4arch9wavefront6targetE0EEEvT1_.uses_vcc, 0
	.set _ZN7rocprim17ROCPRIM_400000_NS6detail17trampoline_kernelINS0_14default_configENS1_27scan_by_key_config_selectorIiiEEZZNS1_16scan_by_key_implILNS1_25lookback_scan_determinismE0ELb0ES3_N6thrust23THRUST_200600_302600_NS6detail15normal_iteratorINS9_10device_ptrIiEEEESE_SE_iNS9_4plusIvEENS9_8equal_toIvEEiEE10hipError_tPvRmT2_T3_T4_T5_mT6_T7_P12ihipStream_tbENKUlT_T0_E_clISt17integral_constantIbLb0EESZ_EEDaSU_SV_EUlSU_E_NS1_11comp_targetILNS1_3genE2ELNS1_11target_archE906ELNS1_3gpuE6ELNS1_3repE0EEENS1_30default_config_static_selectorELNS0_4arch9wavefront6targetE0EEEvT1_.uses_flat_scratch, 0
	.set _ZN7rocprim17ROCPRIM_400000_NS6detail17trampoline_kernelINS0_14default_configENS1_27scan_by_key_config_selectorIiiEEZZNS1_16scan_by_key_implILNS1_25lookback_scan_determinismE0ELb0ES3_N6thrust23THRUST_200600_302600_NS6detail15normal_iteratorINS9_10device_ptrIiEEEESE_SE_iNS9_4plusIvEENS9_8equal_toIvEEiEE10hipError_tPvRmT2_T3_T4_T5_mT6_T7_P12ihipStream_tbENKUlT_T0_E_clISt17integral_constantIbLb0EESZ_EEDaSU_SV_EUlSU_E_NS1_11comp_targetILNS1_3genE2ELNS1_11target_archE906ELNS1_3gpuE6ELNS1_3repE0EEENS1_30default_config_static_selectorELNS0_4arch9wavefront6targetE0EEEvT1_.has_dyn_sized_stack, 0
	.set _ZN7rocprim17ROCPRIM_400000_NS6detail17trampoline_kernelINS0_14default_configENS1_27scan_by_key_config_selectorIiiEEZZNS1_16scan_by_key_implILNS1_25lookback_scan_determinismE0ELb0ES3_N6thrust23THRUST_200600_302600_NS6detail15normal_iteratorINS9_10device_ptrIiEEEESE_SE_iNS9_4plusIvEENS9_8equal_toIvEEiEE10hipError_tPvRmT2_T3_T4_T5_mT6_T7_P12ihipStream_tbENKUlT_T0_E_clISt17integral_constantIbLb0EESZ_EEDaSU_SV_EUlSU_E_NS1_11comp_targetILNS1_3genE2ELNS1_11target_archE906ELNS1_3gpuE6ELNS1_3repE0EEENS1_30default_config_static_selectorELNS0_4arch9wavefront6targetE0EEEvT1_.has_recursion, 0
	.set _ZN7rocprim17ROCPRIM_400000_NS6detail17trampoline_kernelINS0_14default_configENS1_27scan_by_key_config_selectorIiiEEZZNS1_16scan_by_key_implILNS1_25lookback_scan_determinismE0ELb0ES3_N6thrust23THRUST_200600_302600_NS6detail15normal_iteratorINS9_10device_ptrIiEEEESE_SE_iNS9_4plusIvEENS9_8equal_toIvEEiEE10hipError_tPvRmT2_T3_T4_T5_mT6_T7_P12ihipStream_tbENKUlT_T0_E_clISt17integral_constantIbLb0EESZ_EEDaSU_SV_EUlSU_E_NS1_11comp_targetILNS1_3genE2ELNS1_11target_archE906ELNS1_3gpuE6ELNS1_3repE0EEENS1_30default_config_static_selectorELNS0_4arch9wavefront6targetE0EEEvT1_.has_indirect_call, 0
	.section	.AMDGPU.csdata,"",@progbits
; Kernel info:
; codeLenInByte = 0
; TotalNumSgprs: 0
; NumVgprs: 0
; ScratchSize: 0
; MemoryBound: 0
; FloatMode: 240
; IeeeMode: 1
; LDSByteSize: 0 bytes/workgroup (compile time only)
; SGPRBlocks: 0
; VGPRBlocks: 0
; NumSGPRsForWavesPerEU: 1
; NumVGPRsForWavesPerEU: 1
; Occupancy: 16
; WaveLimiterHint : 0
; COMPUTE_PGM_RSRC2:SCRATCH_EN: 0
; COMPUTE_PGM_RSRC2:USER_SGPR: 6
; COMPUTE_PGM_RSRC2:TRAP_HANDLER: 0
; COMPUTE_PGM_RSRC2:TGID_X_EN: 1
; COMPUTE_PGM_RSRC2:TGID_Y_EN: 0
; COMPUTE_PGM_RSRC2:TGID_Z_EN: 0
; COMPUTE_PGM_RSRC2:TIDIG_COMP_CNT: 0
	.section	.text._ZN7rocprim17ROCPRIM_400000_NS6detail17trampoline_kernelINS0_14default_configENS1_27scan_by_key_config_selectorIiiEEZZNS1_16scan_by_key_implILNS1_25lookback_scan_determinismE0ELb0ES3_N6thrust23THRUST_200600_302600_NS6detail15normal_iteratorINS9_10device_ptrIiEEEESE_SE_iNS9_4plusIvEENS9_8equal_toIvEEiEE10hipError_tPvRmT2_T3_T4_T5_mT6_T7_P12ihipStream_tbENKUlT_T0_E_clISt17integral_constantIbLb0EESZ_EEDaSU_SV_EUlSU_E_NS1_11comp_targetILNS1_3genE10ELNS1_11target_archE1200ELNS1_3gpuE4ELNS1_3repE0EEENS1_30default_config_static_selectorELNS0_4arch9wavefront6targetE0EEEvT1_,"axG",@progbits,_ZN7rocprim17ROCPRIM_400000_NS6detail17trampoline_kernelINS0_14default_configENS1_27scan_by_key_config_selectorIiiEEZZNS1_16scan_by_key_implILNS1_25lookback_scan_determinismE0ELb0ES3_N6thrust23THRUST_200600_302600_NS6detail15normal_iteratorINS9_10device_ptrIiEEEESE_SE_iNS9_4plusIvEENS9_8equal_toIvEEiEE10hipError_tPvRmT2_T3_T4_T5_mT6_T7_P12ihipStream_tbENKUlT_T0_E_clISt17integral_constantIbLb0EESZ_EEDaSU_SV_EUlSU_E_NS1_11comp_targetILNS1_3genE10ELNS1_11target_archE1200ELNS1_3gpuE4ELNS1_3repE0EEENS1_30default_config_static_selectorELNS0_4arch9wavefront6targetE0EEEvT1_,comdat
	.protected	_ZN7rocprim17ROCPRIM_400000_NS6detail17trampoline_kernelINS0_14default_configENS1_27scan_by_key_config_selectorIiiEEZZNS1_16scan_by_key_implILNS1_25lookback_scan_determinismE0ELb0ES3_N6thrust23THRUST_200600_302600_NS6detail15normal_iteratorINS9_10device_ptrIiEEEESE_SE_iNS9_4plusIvEENS9_8equal_toIvEEiEE10hipError_tPvRmT2_T3_T4_T5_mT6_T7_P12ihipStream_tbENKUlT_T0_E_clISt17integral_constantIbLb0EESZ_EEDaSU_SV_EUlSU_E_NS1_11comp_targetILNS1_3genE10ELNS1_11target_archE1200ELNS1_3gpuE4ELNS1_3repE0EEENS1_30default_config_static_selectorELNS0_4arch9wavefront6targetE0EEEvT1_ ; -- Begin function _ZN7rocprim17ROCPRIM_400000_NS6detail17trampoline_kernelINS0_14default_configENS1_27scan_by_key_config_selectorIiiEEZZNS1_16scan_by_key_implILNS1_25lookback_scan_determinismE0ELb0ES3_N6thrust23THRUST_200600_302600_NS6detail15normal_iteratorINS9_10device_ptrIiEEEESE_SE_iNS9_4plusIvEENS9_8equal_toIvEEiEE10hipError_tPvRmT2_T3_T4_T5_mT6_T7_P12ihipStream_tbENKUlT_T0_E_clISt17integral_constantIbLb0EESZ_EEDaSU_SV_EUlSU_E_NS1_11comp_targetILNS1_3genE10ELNS1_11target_archE1200ELNS1_3gpuE4ELNS1_3repE0EEENS1_30default_config_static_selectorELNS0_4arch9wavefront6targetE0EEEvT1_
	.globl	_ZN7rocprim17ROCPRIM_400000_NS6detail17trampoline_kernelINS0_14default_configENS1_27scan_by_key_config_selectorIiiEEZZNS1_16scan_by_key_implILNS1_25lookback_scan_determinismE0ELb0ES3_N6thrust23THRUST_200600_302600_NS6detail15normal_iteratorINS9_10device_ptrIiEEEESE_SE_iNS9_4plusIvEENS9_8equal_toIvEEiEE10hipError_tPvRmT2_T3_T4_T5_mT6_T7_P12ihipStream_tbENKUlT_T0_E_clISt17integral_constantIbLb0EESZ_EEDaSU_SV_EUlSU_E_NS1_11comp_targetILNS1_3genE10ELNS1_11target_archE1200ELNS1_3gpuE4ELNS1_3repE0EEENS1_30default_config_static_selectorELNS0_4arch9wavefront6targetE0EEEvT1_
	.p2align	8
	.type	_ZN7rocprim17ROCPRIM_400000_NS6detail17trampoline_kernelINS0_14default_configENS1_27scan_by_key_config_selectorIiiEEZZNS1_16scan_by_key_implILNS1_25lookback_scan_determinismE0ELb0ES3_N6thrust23THRUST_200600_302600_NS6detail15normal_iteratorINS9_10device_ptrIiEEEESE_SE_iNS9_4plusIvEENS9_8equal_toIvEEiEE10hipError_tPvRmT2_T3_T4_T5_mT6_T7_P12ihipStream_tbENKUlT_T0_E_clISt17integral_constantIbLb0EESZ_EEDaSU_SV_EUlSU_E_NS1_11comp_targetILNS1_3genE10ELNS1_11target_archE1200ELNS1_3gpuE4ELNS1_3repE0EEENS1_30default_config_static_selectorELNS0_4arch9wavefront6targetE0EEEvT1_,@function
_ZN7rocprim17ROCPRIM_400000_NS6detail17trampoline_kernelINS0_14default_configENS1_27scan_by_key_config_selectorIiiEEZZNS1_16scan_by_key_implILNS1_25lookback_scan_determinismE0ELb0ES3_N6thrust23THRUST_200600_302600_NS6detail15normal_iteratorINS9_10device_ptrIiEEEESE_SE_iNS9_4plusIvEENS9_8equal_toIvEEiEE10hipError_tPvRmT2_T3_T4_T5_mT6_T7_P12ihipStream_tbENKUlT_T0_E_clISt17integral_constantIbLb0EESZ_EEDaSU_SV_EUlSU_E_NS1_11comp_targetILNS1_3genE10ELNS1_11target_archE1200ELNS1_3gpuE4ELNS1_3repE0EEENS1_30default_config_static_selectorELNS0_4arch9wavefront6targetE0EEEvT1_: ; @_ZN7rocprim17ROCPRIM_400000_NS6detail17trampoline_kernelINS0_14default_configENS1_27scan_by_key_config_selectorIiiEEZZNS1_16scan_by_key_implILNS1_25lookback_scan_determinismE0ELb0ES3_N6thrust23THRUST_200600_302600_NS6detail15normal_iteratorINS9_10device_ptrIiEEEESE_SE_iNS9_4plusIvEENS9_8equal_toIvEEiEE10hipError_tPvRmT2_T3_T4_T5_mT6_T7_P12ihipStream_tbENKUlT_T0_E_clISt17integral_constantIbLb0EESZ_EEDaSU_SV_EUlSU_E_NS1_11comp_targetILNS1_3genE10ELNS1_11target_archE1200ELNS1_3gpuE4ELNS1_3repE0EEENS1_30default_config_static_selectorELNS0_4arch9wavefront6targetE0EEEvT1_
; %bb.0:
	.section	.rodata,"a",@progbits
	.p2align	6, 0x0
	.amdhsa_kernel _ZN7rocprim17ROCPRIM_400000_NS6detail17trampoline_kernelINS0_14default_configENS1_27scan_by_key_config_selectorIiiEEZZNS1_16scan_by_key_implILNS1_25lookback_scan_determinismE0ELb0ES3_N6thrust23THRUST_200600_302600_NS6detail15normal_iteratorINS9_10device_ptrIiEEEESE_SE_iNS9_4plusIvEENS9_8equal_toIvEEiEE10hipError_tPvRmT2_T3_T4_T5_mT6_T7_P12ihipStream_tbENKUlT_T0_E_clISt17integral_constantIbLb0EESZ_EEDaSU_SV_EUlSU_E_NS1_11comp_targetILNS1_3genE10ELNS1_11target_archE1200ELNS1_3gpuE4ELNS1_3repE0EEENS1_30default_config_static_selectorELNS0_4arch9wavefront6targetE0EEEvT1_
		.amdhsa_group_segment_fixed_size 0
		.amdhsa_private_segment_fixed_size 0
		.amdhsa_kernarg_size 112
		.amdhsa_user_sgpr_count 6
		.amdhsa_user_sgpr_private_segment_buffer 1
		.amdhsa_user_sgpr_dispatch_ptr 0
		.amdhsa_user_sgpr_queue_ptr 0
		.amdhsa_user_sgpr_kernarg_segment_ptr 1
		.amdhsa_user_sgpr_dispatch_id 0
		.amdhsa_user_sgpr_flat_scratch_init 0
		.amdhsa_user_sgpr_private_segment_size 0
		.amdhsa_wavefront_size32 1
		.amdhsa_uses_dynamic_stack 0
		.amdhsa_system_sgpr_private_segment_wavefront_offset 0
		.amdhsa_system_sgpr_workgroup_id_x 1
		.amdhsa_system_sgpr_workgroup_id_y 0
		.amdhsa_system_sgpr_workgroup_id_z 0
		.amdhsa_system_sgpr_workgroup_info 0
		.amdhsa_system_vgpr_workitem_id 0
		.amdhsa_next_free_vgpr 1
		.amdhsa_next_free_sgpr 1
		.amdhsa_reserve_vcc 0
		.amdhsa_reserve_flat_scratch 0
		.amdhsa_float_round_mode_32 0
		.amdhsa_float_round_mode_16_64 0
		.amdhsa_float_denorm_mode_32 3
		.amdhsa_float_denorm_mode_16_64 3
		.amdhsa_dx10_clamp 1
		.amdhsa_ieee_mode 1
		.amdhsa_fp16_overflow 0
		.amdhsa_workgroup_processor_mode 1
		.amdhsa_memory_ordered 1
		.amdhsa_forward_progress 1
		.amdhsa_shared_vgpr_count 0
		.amdhsa_exception_fp_ieee_invalid_op 0
		.amdhsa_exception_fp_denorm_src 0
		.amdhsa_exception_fp_ieee_div_zero 0
		.amdhsa_exception_fp_ieee_overflow 0
		.amdhsa_exception_fp_ieee_underflow 0
		.amdhsa_exception_fp_ieee_inexact 0
		.amdhsa_exception_int_div_zero 0
	.end_amdhsa_kernel
	.section	.text._ZN7rocprim17ROCPRIM_400000_NS6detail17trampoline_kernelINS0_14default_configENS1_27scan_by_key_config_selectorIiiEEZZNS1_16scan_by_key_implILNS1_25lookback_scan_determinismE0ELb0ES3_N6thrust23THRUST_200600_302600_NS6detail15normal_iteratorINS9_10device_ptrIiEEEESE_SE_iNS9_4plusIvEENS9_8equal_toIvEEiEE10hipError_tPvRmT2_T3_T4_T5_mT6_T7_P12ihipStream_tbENKUlT_T0_E_clISt17integral_constantIbLb0EESZ_EEDaSU_SV_EUlSU_E_NS1_11comp_targetILNS1_3genE10ELNS1_11target_archE1200ELNS1_3gpuE4ELNS1_3repE0EEENS1_30default_config_static_selectorELNS0_4arch9wavefront6targetE0EEEvT1_,"axG",@progbits,_ZN7rocprim17ROCPRIM_400000_NS6detail17trampoline_kernelINS0_14default_configENS1_27scan_by_key_config_selectorIiiEEZZNS1_16scan_by_key_implILNS1_25lookback_scan_determinismE0ELb0ES3_N6thrust23THRUST_200600_302600_NS6detail15normal_iteratorINS9_10device_ptrIiEEEESE_SE_iNS9_4plusIvEENS9_8equal_toIvEEiEE10hipError_tPvRmT2_T3_T4_T5_mT6_T7_P12ihipStream_tbENKUlT_T0_E_clISt17integral_constantIbLb0EESZ_EEDaSU_SV_EUlSU_E_NS1_11comp_targetILNS1_3genE10ELNS1_11target_archE1200ELNS1_3gpuE4ELNS1_3repE0EEENS1_30default_config_static_selectorELNS0_4arch9wavefront6targetE0EEEvT1_,comdat
.Lfunc_end128:
	.size	_ZN7rocprim17ROCPRIM_400000_NS6detail17trampoline_kernelINS0_14default_configENS1_27scan_by_key_config_selectorIiiEEZZNS1_16scan_by_key_implILNS1_25lookback_scan_determinismE0ELb0ES3_N6thrust23THRUST_200600_302600_NS6detail15normal_iteratorINS9_10device_ptrIiEEEESE_SE_iNS9_4plusIvEENS9_8equal_toIvEEiEE10hipError_tPvRmT2_T3_T4_T5_mT6_T7_P12ihipStream_tbENKUlT_T0_E_clISt17integral_constantIbLb0EESZ_EEDaSU_SV_EUlSU_E_NS1_11comp_targetILNS1_3genE10ELNS1_11target_archE1200ELNS1_3gpuE4ELNS1_3repE0EEENS1_30default_config_static_selectorELNS0_4arch9wavefront6targetE0EEEvT1_, .Lfunc_end128-_ZN7rocprim17ROCPRIM_400000_NS6detail17trampoline_kernelINS0_14default_configENS1_27scan_by_key_config_selectorIiiEEZZNS1_16scan_by_key_implILNS1_25lookback_scan_determinismE0ELb0ES3_N6thrust23THRUST_200600_302600_NS6detail15normal_iteratorINS9_10device_ptrIiEEEESE_SE_iNS9_4plusIvEENS9_8equal_toIvEEiEE10hipError_tPvRmT2_T3_T4_T5_mT6_T7_P12ihipStream_tbENKUlT_T0_E_clISt17integral_constantIbLb0EESZ_EEDaSU_SV_EUlSU_E_NS1_11comp_targetILNS1_3genE10ELNS1_11target_archE1200ELNS1_3gpuE4ELNS1_3repE0EEENS1_30default_config_static_selectorELNS0_4arch9wavefront6targetE0EEEvT1_
                                        ; -- End function
	.set _ZN7rocprim17ROCPRIM_400000_NS6detail17trampoline_kernelINS0_14default_configENS1_27scan_by_key_config_selectorIiiEEZZNS1_16scan_by_key_implILNS1_25lookback_scan_determinismE0ELb0ES3_N6thrust23THRUST_200600_302600_NS6detail15normal_iteratorINS9_10device_ptrIiEEEESE_SE_iNS9_4plusIvEENS9_8equal_toIvEEiEE10hipError_tPvRmT2_T3_T4_T5_mT6_T7_P12ihipStream_tbENKUlT_T0_E_clISt17integral_constantIbLb0EESZ_EEDaSU_SV_EUlSU_E_NS1_11comp_targetILNS1_3genE10ELNS1_11target_archE1200ELNS1_3gpuE4ELNS1_3repE0EEENS1_30default_config_static_selectorELNS0_4arch9wavefront6targetE0EEEvT1_.num_vgpr, 0
	.set _ZN7rocprim17ROCPRIM_400000_NS6detail17trampoline_kernelINS0_14default_configENS1_27scan_by_key_config_selectorIiiEEZZNS1_16scan_by_key_implILNS1_25lookback_scan_determinismE0ELb0ES3_N6thrust23THRUST_200600_302600_NS6detail15normal_iteratorINS9_10device_ptrIiEEEESE_SE_iNS9_4plusIvEENS9_8equal_toIvEEiEE10hipError_tPvRmT2_T3_T4_T5_mT6_T7_P12ihipStream_tbENKUlT_T0_E_clISt17integral_constantIbLb0EESZ_EEDaSU_SV_EUlSU_E_NS1_11comp_targetILNS1_3genE10ELNS1_11target_archE1200ELNS1_3gpuE4ELNS1_3repE0EEENS1_30default_config_static_selectorELNS0_4arch9wavefront6targetE0EEEvT1_.num_agpr, 0
	.set _ZN7rocprim17ROCPRIM_400000_NS6detail17trampoline_kernelINS0_14default_configENS1_27scan_by_key_config_selectorIiiEEZZNS1_16scan_by_key_implILNS1_25lookback_scan_determinismE0ELb0ES3_N6thrust23THRUST_200600_302600_NS6detail15normal_iteratorINS9_10device_ptrIiEEEESE_SE_iNS9_4plusIvEENS9_8equal_toIvEEiEE10hipError_tPvRmT2_T3_T4_T5_mT6_T7_P12ihipStream_tbENKUlT_T0_E_clISt17integral_constantIbLb0EESZ_EEDaSU_SV_EUlSU_E_NS1_11comp_targetILNS1_3genE10ELNS1_11target_archE1200ELNS1_3gpuE4ELNS1_3repE0EEENS1_30default_config_static_selectorELNS0_4arch9wavefront6targetE0EEEvT1_.numbered_sgpr, 0
	.set _ZN7rocprim17ROCPRIM_400000_NS6detail17trampoline_kernelINS0_14default_configENS1_27scan_by_key_config_selectorIiiEEZZNS1_16scan_by_key_implILNS1_25lookback_scan_determinismE0ELb0ES3_N6thrust23THRUST_200600_302600_NS6detail15normal_iteratorINS9_10device_ptrIiEEEESE_SE_iNS9_4plusIvEENS9_8equal_toIvEEiEE10hipError_tPvRmT2_T3_T4_T5_mT6_T7_P12ihipStream_tbENKUlT_T0_E_clISt17integral_constantIbLb0EESZ_EEDaSU_SV_EUlSU_E_NS1_11comp_targetILNS1_3genE10ELNS1_11target_archE1200ELNS1_3gpuE4ELNS1_3repE0EEENS1_30default_config_static_selectorELNS0_4arch9wavefront6targetE0EEEvT1_.num_named_barrier, 0
	.set _ZN7rocprim17ROCPRIM_400000_NS6detail17trampoline_kernelINS0_14default_configENS1_27scan_by_key_config_selectorIiiEEZZNS1_16scan_by_key_implILNS1_25lookback_scan_determinismE0ELb0ES3_N6thrust23THRUST_200600_302600_NS6detail15normal_iteratorINS9_10device_ptrIiEEEESE_SE_iNS9_4plusIvEENS9_8equal_toIvEEiEE10hipError_tPvRmT2_T3_T4_T5_mT6_T7_P12ihipStream_tbENKUlT_T0_E_clISt17integral_constantIbLb0EESZ_EEDaSU_SV_EUlSU_E_NS1_11comp_targetILNS1_3genE10ELNS1_11target_archE1200ELNS1_3gpuE4ELNS1_3repE0EEENS1_30default_config_static_selectorELNS0_4arch9wavefront6targetE0EEEvT1_.private_seg_size, 0
	.set _ZN7rocprim17ROCPRIM_400000_NS6detail17trampoline_kernelINS0_14default_configENS1_27scan_by_key_config_selectorIiiEEZZNS1_16scan_by_key_implILNS1_25lookback_scan_determinismE0ELb0ES3_N6thrust23THRUST_200600_302600_NS6detail15normal_iteratorINS9_10device_ptrIiEEEESE_SE_iNS9_4plusIvEENS9_8equal_toIvEEiEE10hipError_tPvRmT2_T3_T4_T5_mT6_T7_P12ihipStream_tbENKUlT_T0_E_clISt17integral_constantIbLb0EESZ_EEDaSU_SV_EUlSU_E_NS1_11comp_targetILNS1_3genE10ELNS1_11target_archE1200ELNS1_3gpuE4ELNS1_3repE0EEENS1_30default_config_static_selectorELNS0_4arch9wavefront6targetE0EEEvT1_.uses_vcc, 0
	.set _ZN7rocprim17ROCPRIM_400000_NS6detail17trampoline_kernelINS0_14default_configENS1_27scan_by_key_config_selectorIiiEEZZNS1_16scan_by_key_implILNS1_25lookback_scan_determinismE0ELb0ES3_N6thrust23THRUST_200600_302600_NS6detail15normal_iteratorINS9_10device_ptrIiEEEESE_SE_iNS9_4plusIvEENS9_8equal_toIvEEiEE10hipError_tPvRmT2_T3_T4_T5_mT6_T7_P12ihipStream_tbENKUlT_T0_E_clISt17integral_constantIbLb0EESZ_EEDaSU_SV_EUlSU_E_NS1_11comp_targetILNS1_3genE10ELNS1_11target_archE1200ELNS1_3gpuE4ELNS1_3repE0EEENS1_30default_config_static_selectorELNS0_4arch9wavefront6targetE0EEEvT1_.uses_flat_scratch, 0
	.set _ZN7rocprim17ROCPRIM_400000_NS6detail17trampoline_kernelINS0_14default_configENS1_27scan_by_key_config_selectorIiiEEZZNS1_16scan_by_key_implILNS1_25lookback_scan_determinismE0ELb0ES3_N6thrust23THRUST_200600_302600_NS6detail15normal_iteratorINS9_10device_ptrIiEEEESE_SE_iNS9_4plusIvEENS9_8equal_toIvEEiEE10hipError_tPvRmT2_T3_T4_T5_mT6_T7_P12ihipStream_tbENKUlT_T0_E_clISt17integral_constantIbLb0EESZ_EEDaSU_SV_EUlSU_E_NS1_11comp_targetILNS1_3genE10ELNS1_11target_archE1200ELNS1_3gpuE4ELNS1_3repE0EEENS1_30default_config_static_selectorELNS0_4arch9wavefront6targetE0EEEvT1_.has_dyn_sized_stack, 0
	.set _ZN7rocprim17ROCPRIM_400000_NS6detail17trampoline_kernelINS0_14default_configENS1_27scan_by_key_config_selectorIiiEEZZNS1_16scan_by_key_implILNS1_25lookback_scan_determinismE0ELb0ES3_N6thrust23THRUST_200600_302600_NS6detail15normal_iteratorINS9_10device_ptrIiEEEESE_SE_iNS9_4plusIvEENS9_8equal_toIvEEiEE10hipError_tPvRmT2_T3_T4_T5_mT6_T7_P12ihipStream_tbENKUlT_T0_E_clISt17integral_constantIbLb0EESZ_EEDaSU_SV_EUlSU_E_NS1_11comp_targetILNS1_3genE10ELNS1_11target_archE1200ELNS1_3gpuE4ELNS1_3repE0EEENS1_30default_config_static_selectorELNS0_4arch9wavefront6targetE0EEEvT1_.has_recursion, 0
	.set _ZN7rocprim17ROCPRIM_400000_NS6detail17trampoline_kernelINS0_14default_configENS1_27scan_by_key_config_selectorIiiEEZZNS1_16scan_by_key_implILNS1_25lookback_scan_determinismE0ELb0ES3_N6thrust23THRUST_200600_302600_NS6detail15normal_iteratorINS9_10device_ptrIiEEEESE_SE_iNS9_4plusIvEENS9_8equal_toIvEEiEE10hipError_tPvRmT2_T3_T4_T5_mT6_T7_P12ihipStream_tbENKUlT_T0_E_clISt17integral_constantIbLb0EESZ_EEDaSU_SV_EUlSU_E_NS1_11comp_targetILNS1_3genE10ELNS1_11target_archE1200ELNS1_3gpuE4ELNS1_3repE0EEENS1_30default_config_static_selectorELNS0_4arch9wavefront6targetE0EEEvT1_.has_indirect_call, 0
	.section	.AMDGPU.csdata,"",@progbits
; Kernel info:
; codeLenInByte = 0
; TotalNumSgprs: 0
; NumVgprs: 0
; ScratchSize: 0
; MemoryBound: 0
; FloatMode: 240
; IeeeMode: 1
; LDSByteSize: 0 bytes/workgroup (compile time only)
; SGPRBlocks: 0
; VGPRBlocks: 0
; NumSGPRsForWavesPerEU: 1
; NumVGPRsForWavesPerEU: 1
; Occupancy: 16
; WaveLimiterHint : 0
; COMPUTE_PGM_RSRC2:SCRATCH_EN: 0
; COMPUTE_PGM_RSRC2:USER_SGPR: 6
; COMPUTE_PGM_RSRC2:TRAP_HANDLER: 0
; COMPUTE_PGM_RSRC2:TGID_X_EN: 1
; COMPUTE_PGM_RSRC2:TGID_Y_EN: 0
; COMPUTE_PGM_RSRC2:TGID_Z_EN: 0
; COMPUTE_PGM_RSRC2:TIDIG_COMP_CNT: 0
	.section	.text._ZN7rocprim17ROCPRIM_400000_NS6detail17trampoline_kernelINS0_14default_configENS1_27scan_by_key_config_selectorIiiEEZZNS1_16scan_by_key_implILNS1_25lookback_scan_determinismE0ELb0ES3_N6thrust23THRUST_200600_302600_NS6detail15normal_iteratorINS9_10device_ptrIiEEEESE_SE_iNS9_4plusIvEENS9_8equal_toIvEEiEE10hipError_tPvRmT2_T3_T4_T5_mT6_T7_P12ihipStream_tbENKUlT_T0_E_clISt17integral_constantIbLb0EESZ_EEDaSU_SV_EUlSU_E_NS1_11comp_targetILNS1_3genE9ELNS1_11target_archE1100ELNS1_3gpuE3ELNS1_3repE0EEENS1_30default_config_static_selectorELNS0_4arch9wavefront6targetE0EEEvT1_,"axG",@progbits,_ZN7rocprim17ROCPRIM_400000_NS6detail17trampoline_kernelINS0_14default_configENS1_27scan_by_key_config_selectorIiiEEZZNS1_16scan_by_key_implILNS1_25lookback_scan_determinismE0ELb0ES3_N6thrust23THRUST_200600_302600_NS6detail15normal_iteratorINS9_10device_ptrIiEEEESE_SE_iNS9_4plusIvEENS9_8equal_toIvEEiEE10hipError_tPvRmT2_T3_T4_T5_mT6_T7_P12ihipStream_tbENKUlT_T0_E_clISt17integral_constantIbLb0EESZ_EEDaSU_SV_EUlSU_E_NS1_11comp_targetILNS1_3genE9ELNS1_11target_archE1100ELNS1_3gpuE3ELNS1_3repE0EEENS1_30default_config_static_selectorELNS0_4arch9wavefront6targetE0EEEvT1_,comdat
	.protected	_ZN7rocprim17ROCPRIM_400000_NS6detail17trampoline_kernelINS0_14default_configENS1_27scan_by_key_config_selectorIiiEEZZNS1_16scan_by_key_implILNS1_25lookback_scan_determinismE0ELb0ES3_N6thrust23THRUST_200600_302600_NS6detail15normal_iteratorINS9_10device_ptrIiEEEESE_SE_iNS9_4plusIvEENS9_8equal_toIvEEiEE10hipError_tPvRmT2_T3_T4_T5_mT6_T7_P12ihipStream_tbENKUlT_T0_E_clISt17integral_constantIbLb0EESZ_EEDaSU_SV_EUlSU_E_NS1_11comp_targetILNS1_3genE9ELNS1_11target_archE1100ELNS1_3gpuE3ELNS1_3repE0EEENS1_30default_config_static_selectorELNS0_4arch9wavefront6targetE0EEEvT1_ ; -- Begin function _ZN7rocprim17ROCPRIM_400000_NS6detail17trampoline_kernelINS0_14default_configENS1_27scan_by_key_config_selectorIiiEEZZNS1_16scan_by_key_implILNS1_25lookback_scan_determinismE0ELb0ES3_N6thrust23THRUST_200600_302600_NS6detail15normal_iteratorINS9_10device_ptrIiEEEESE_SE_iNS9_4plusIvEENS9_8equal_toIvEEiEE10hipError_tPvRmT2_T3_T4_T5_mT6_T7_P12ihipStream_tbENKUlT_T0_E_clISt17integral_constantIbLb0EESZ_EEDaSU_SV_EUlSU_E_NS1_11comp_targetILNS1_3genE9ELNS1_11target_archE1100ELNS1_3gpuE3ELNS1_3repE0EEENS1_30default_config_static_selectorELNS0_4arch9wavefront6targetE0EEEvT1_
	.globl	_ZN7rocprim17ROCPRIM_400000_NS6detail17trampoline_kernelINS0_14default_configENS1_27scan_by_key_config_selectorIiiEEZZNS1_16scan_by_key_implILNS1_25lookback_scan_determinismE0ELb0ES3_N6thrust23THRUST_200600_302600_NS6detail15normal_iteratorINS9_10device_ptrIiEEEESE_SE_iNS9_4plusIvEENS9_8equal_toIvEEiEE10hipError_tPvRmT2_T3_T4_T5_mT6_T7_P12ihipStream_tbENKUlT_T0_E_clISt17integral_constantIbLb0EESZ_EEDaSU_SV_EUlSU_E_NS1_11comp_targetILNS1_3genE9ELNS1_11target_archE1100ELNS1_3gpuE3ELNS1_3repE0EEENS1_30default_config_static_selectorELNS0_4arch9wavefront6targetE0EEEvT1_
	.p2align	8
	.type	_ZN7rocprim17ROCPRIM_400000_NS6detail17trampoline_kernelINS0_14default_configENS1_27scan_by_key_config_selectorIiiEEZZNS1_16scan_by_key_implILNS1_25lookback_scan_determinismE0ELb0ES3_N6thrust23THRUST_200600_302600_NS6detail15normal_iteratorINS9_10device_ptrIiEEEESE_SE_iNS9_4plusIvEENS9_8equal_toIvEEiEE10hipError_tPvRmT2_T3_T4_T5_mT6_T7_P12ihipStream_tbENKUlT_T0_E_clISt17integral_constantIbLb0EESZ_EEDaSU_SV_EUlSU_E_NS1_11comp_targetILNS1_3genE9ELNS1_11target_archE1100ELNS1_3gpuE3ELNS1_3repE0EEENS1_30default_config_static_selectorELNS0_4arch9wavefront6targetE0EEEvT1_,@function
_ZN7rocprim17ROCPRIM_400000_NS6detail17trampoline_kernelINS0_14default_configENS1_27scan_by_key_config_selectorIiiEEZZNS1_16scan_by_key_implILNS1_25lookback_scan_determinismE0ELb0ES3_N6thrust23THRUST_200600_302600_NS6detail15normal_iteratorINS9_10device_ptrIiEEEESE_SE_iNS9_4plusIvEENS9_8equal_toIvEEiEE10hipError_tPvRmT2_T3_T4_T5_mT6_T7_P12ihipStream_tbENKUlT_T0_E_clISt17integral_constantIbLb0EESZ_EEDaSU_SV_EUlSU_E_NS1_11comp_targetILNS1_3genE9ELNS1_11target_archE1100ELNS1_3gpuE3ELNS1_3repE0EEENS1_30default_config_static_selectorELNS0_4arch9wavefront6targetE0EEEvT1_: ; @_ZN7rocprim17ROCPRIM_400000_NS6detail17trampoline_kernelINS0_14default_configENS1_27scan_by_key_config_selectorIiiEEZZNS1_16scan_by_key_implILNS1_25lookback_scan_determinismE0ELb0ES3_N6thrust23THRUST_200600_302600_NS6detail15normal_iteratorINS9_10device_ptrIiEEEESE_SE_iNS9_4plusIvEENS9_8equal_toIvEEiEE10hipError_tPvRmT2_T3_T4_T5_mT6_T7_P12ihipStream_tbENKUlT_T0_E_clISt17integral_constantIbLb0EESZ_EEDaSU_SV_EUlSU_E_NS1_11comp_targetILNS1_3genE9ELNS1_11target_archE1100ELNS1_3gpuE3ELNS1_3repE0EEENS1_30default_config_static_selectorELNS0_4arch9wavefront6targetE0EEEvT1_
; %bb.0:
	.section	.rodata,"a",@progbits
	.p2align	6, 0x0
	.amdhsa_kernel _ZN7rocprim17ROCPRIM_400000_NS6detail17trampoline_kernelINS0_14default_configENS1_27scan_by_key_config_selectorIiiEEZZNS1_16scan_by_key_implILNS1_25lookback_scan_determinismE0ELb0ES3_N6thrust23THRUST_200600_302600_NS6detail15normal_iteratorINS9_10device_ptrIiEEEESE_SE_iNS9_4plusIvEENS9_8equal_toIvEEiEE10hipError_tPvRmT2_T3_T4_T5_mT6_T7_P12ihipStream_tbENKUlT_T0_E_clISt17integral_constantIbLb0EESZ_EEDaSU_SV_EUlSU_E_NS1_11comp_targetILNS1_3genE9ELNS1_11target_archE1100ELNS1_3gpuE3ELNS1_3repE0EEENS1_30default_config_static_selectorELNS0_4arch9wavefront6targetE0EEEvT1_
		.amdhsa_group_segment_fixed_size 0
		.amdhsa_private_segment_fixed_size 0
		.amdhsa_kernarg_size 112
		.amdhsa_user_sgpr_count 6
		.amdhsa_user_sgpr_private_segment_buffer 1
		.amdhsa_user_sgpr_dispatch_ptr 0
		.amdhsa_user_sgpr_queue_ptr 0
		.amdhsa_user_sgpr_kernarg_segment_ptr 1
		.amdhsa_user_sgpr_dispatch_id 0
		.amdhsa_user_sgpr_flat_scratch_init 0
		.amdhsa_user_sgpr_private_segment_size 0
		.amdhsa_wavefront_size32 1
		.amdhsa_uses_dynamic_stack 0
		.amdhsa_system_sgpr_private_segment_wavefront_offset 0
		.amdhsa_system_sgpr_workgroup_id_x 1
		.amdhsa_system_sgpr_workgroup_id_y 0
		.amdhsa_system_sgpr_workgroup_id_z 0
		.amdhsa_system_sgpr_workgroup_info 0
		.amdhsa_system_vgpr_workitem_id 0
		.amdhsa_next_free_vgpr 1
		.amdhsa_next_free_sgpr 1
		.amdhsa_reserve_vcc 0
		.amdhsa_reserve_flat_scratch 0
		.amdhsa_float_round_mode_32 0
		.amdhsa_float_round_mode_16_64 0
		.amdhsa_float_denorm_mode_32 3
		.amdhsa_float_denorm_mode_16_64 3
		.amdhsa_dx10_clamp 1
		.amdhsa_ieee_mode 1
		.amdhsa_fp16_overflow 0
		.amdhsa_workgroup_processor_mode 1
		.amdhsa_memory_ordered 1
		.amdhsa_forward_progress 1
		.amdhsa_shared_vgpr_count 0
		.amdhsa_exception_fp_ieee_invalid_op 0
		.amdhsa_exception_fp_denorm_src 0
		.amdhsa_exception_fp_ieee_div_zero 0
		.amdhsa_exception_fp_ieee_overflow 0
		.amdhsa_exception_fp_ieee_underflow 0
		.amdhsa_exception_fp_ieee_inexact 0
		.amdhsa_exception_int_div_zero 0
	.end_amdhsa_kernel
	.section	.text._ZN7rocprim17ROCPRIM_400000_NS6detail17trampoline_kernelINS0_14default_configENS1_27scan_by_key_config_selectorIiiEEZZNS1_16scan_by_key_implILNS1_25lookback_scan_determinismE0ELb0ES3_N6thrust23THRUST_200600_302600_NS6detail15normal_iteratorINS9_10device_ptrIiEEEESE_SE_iNS9_4plusIvEENS9_8equal_toIvEEiEE10hipError_tPvRmT2_T3_T4_T5_mT6_T7_P12ihipStream_tbENKUlT_T0_E_clISt17integral_constantIbLb0EESZ_EEDaSU_SV_EUlSU_E_NS1_11comp_targetILNS1_3genE9ELNS1_11target_archE1100ELNS1_3gpuE3ELNS1_3repE0EEENS1_30default_config_static_selectorELNS0_4arch9wavefront6targetE0EEEvT1_,"axG",@progbits,_ZN7rocprim17ROCPRIM_400000_NS6detail17trampoline_kernelINS0_14default_configENS1_27scan_by_key_config_selectorIiiEEZZNS1_16scan_by_key_implILNS1_25lookback_scan_determinismE0ELb0ES3_N6thrust23THRUST_200600_302600_NS6detail15normal_iteratorINS9_10device_ptrIiEEEESE_SE_iNS9_4plusIvEENS9_8equal_toIvEEiEE10hipError_tPvRmT2_T3_T4_T5_mT6_T7_P12ihipStream_tbENKUlT_T0_E_clISt17integral_constantIbLb0EESZ_EEDaSU_SV_EUlSU_E_NS1_11comp_targetILNS1_3genE9ELNS1_11target_archE1100ELNS1_3gpuE3ELNS1_3repE0EEENS1_30default_config_static_selectorELNS0_4arch9wavefront6targetE0EEEvT1_,comdat
.Lfunc_end129:
	.size	_ZN7rocprim17ROCPRIM_400000_NS6detail17trampoline_kernelINS0_14default_configENS1_27scan_by_key_config_selectorIiiEEZZNS1_16scan_by_key_implILNS1_25lookback_scan_determinismE0ELb0ES3_N6thrust23THRUST_200600_302600_NS6detail15normal_iteratorINS9_10device_ptrIiEEEESE_SE_iNS9_4plusIvEENS9_8equal_toIvEEiEE10hipError_tPvRmT2_T3_T4_T5_mT6_T7_P12ihipStream_tbENKUlT_T0_E_clISt17integral_constantIbLb0EESZ_EEDaSU_SV_EUlSU_E_NS1_11comp_targetILNS1_3genE9ELNS1_11target_archE1100ELNS1_3gpuE3ELNS1_3repE0EEENS1_30default_config_static_selectorELNS0_4arch9wavefront6targetE0EEEvT1_, .Lfunc_end129-_ZN7rocprim17ROCPRIM_400000_NS6detail17trampoline_kernelINS0_14default_configENS1_27scan_by_key_config_selectorIiiEEZZNS1_16scan_by_key_implILNS1_25lookback_scan_determinismE0ELb0ES3_N6thrust23THRUST_200600_302600_NS6detail15normal_iteratorINS9_10device_ptrIiEEEESE_SE_iNS9_4plusIvEENS9_8equal_toIvEEiEE10hipError_tPvRmT2_T3_T4_T5_mT6_T7_P12ihipStream_tbENKUlT_T0_E_clISt17integral_constantIbLb0EESZ_EEDaSU_SV_EUlSU_E_NS1_11comp_targetILNS1_3genE9ELNS1_11target_archE1100ELNS1_3gpuE3ELNS1_3repE0EEENS1_30default_config_static_selectorELNS0_4arch9wavefront6targetE0EEEvT1_
                                        ; -- End function
	.set _ZN7rocprim17ROCPRIM_400000_NS6detail17trampoline_kernelINS0_14default_configENS1_27scan_by_key_config_selectorIiiEEZZNS1_16scan_by_key_implILNS1_25lookback_scan_determinismE0ELb0ES3_N6thrust23THRUST_200600_302600_NS6detail15normal_iteratorINS9_10device_ptrIiEEEESE_SE_iNS9_4plusIvEENS9_8equal_toIvEEiEE10hipError_tPvRmT2_T3_T4_T5_mT6_T7_P12ihipStream_tbENKUlT_T0_E_clISt17integral_constantIbLb0EESZ_EEDaSU_SV_EUlSU_E_NS1_11comp_targetILNS1_3genE9ELNS1_11target_archE1100ELNS1_3gpuE3ELNS1_3repE0EEENS1_30default_config_static_selectorELNS0_4arch9wavefront6targetE0EEEvT1_.num_vgpr, 0
	.set _ZN7rocprim17ROCPRIM_400000_NS6detail17trampoline_kernelINS0_14default_configENS1_27scan_by_key_config_selectorIiiEEZZNS1_16scan_by_key_implILNS1_25lookback_scan_determinismE0ELb0ES3_N6thrust23THRUST_200600_302600_NS6detail15normal_iteratorINS9_10device_ptrIiEEEESE_SE_iNS9_4plusIvEENS9_8equal_toIvEEiEE10hipError_tPvRmT2_T3_T4_T5_mT6_T7_P12ihipStream_tbENKUlT_T0_E_clISt17integral_constantIbLb0EESZ_EEDaSU_SV_EUlSU_E_NS1_11comp_targetILNS1_3genE9ELNS1_11target_archE1100ELNS1_3gpuE3ELNS1_3repE0EEENS1_30default_config_static_selectorELNS0_4arch9wavefront6targetE0EEEvT1_.num_agpr, 0
	.set _ZN7rocprim17ROCPRIM_400000_NS6detail17trampoline_kernelINS0_14default_configENS1_27scan_by_key_config_selectorIiiEEZZNS1_16scan_by_key_implILNS1_25lookback_scan_determinismE0ELb0ES3_N6thrust23THRUST_200600_302600_NS6detail15normal_iteratorINS9_10device_ptrIiEEEESE_SE_iNS9_4plusIvEENS9_8equal_toIvEEiEE10hipError_tPvRmT2_T3_T4_T5_mT6_T7_P12ihipStream_tbENKUlT_T0_E_clISt17integral_constantIbLb0EESZ_EEDaSU_SV_EUlSU_E_NS1_11comp_targetILNS1_3genE9ELNS1_11target_archE1100ELNS1_3gpuE3ELNS1_3repE0EEENS1_30default_config_static_selectorELNS0_4arch9wavefront6targetE0EEEvT1_.numbered_sgpr, 0
	.set _ZN7rocprim17ROCPRIM_400000_NS6detail17trampoline_kernelINS0_14default_configENS1_27scan_by_key_config_selectorIiiEEZZNS1_16scan_by_key_implILNS1_25lookback_scan_determinismE0ELb0ES3_N6thrust23THRUST_200600_302600_NS6detail15normal_iteratorINS9_10device_ptrIiEEEESE_SE_iNS9_4plusIvEENS9_8equal_toIvEEiEE10hipError_tPvRmT2_T3_T4_T5_mT6_T7_P12ihipStream_tbENKUlT_T0_E_clISt17integral_constantIbLb0EESZ_EEDaSU_SV_EUlSU_E_NS1_11comp_targetILNS1_3genE9ELNS1_11target_archE1100ELNS1_3gpuE3ELNS1_3repE0EEENS1_30default_config_static_selectorELNS0_4arch9wavefront6targetE0EEEvT1_.num_named_barrier, 0
	.set _ZN7rocprim17ROCPRIM_400000_NS6detail17trampoline_kernelINS0_14default_configENS1_27scan_by_key_config_selectorIiiEEZZNS1_16scan_by_key_implILNS1_25lookback_scan_determinismE0ELb0ES3_N6thrust23THRUST_200600_302600_NS6detail15normal_iteratorINS9_10device_ptrIiEEEESE_SE_iNS9_4plusIvEENS9_8equal_toIvEEiEE10hipError_tPvRmT2_T3_T4_T5_mT6_T7_P12ihipStream_tbENKUlT_T0_E_clISt17integral_constantIbLb0EESZ_EEDaSU_SV_EUlSU_E_NS1_11comp_targetILNS1_3genE9ELNS1_11target_archE1100ELNS1_3gpuE3ELNS1_3repE0EEENS1_30default_config_static_selectorELNS0_4arch9wavefront6targetE0EEEvT1_.private_seg_size, 0
	.set _ZN7rocprim17ROCPRIM_400000_NS6detail17trampoline_kernelINS0_14default_configENS1_27scan_by_key_config_selectorIiiEEZZNS1_16scan_by_key_implILNS1_25lookback_scan_determinismE0ELb0ES3_N6thrust23THRUST_200600_302600_NS6detail15normal_iteratorINS9_10device_ptrIiEEEESE_SE_iNS9_4plusIvEENS9_8equal_toIvEEiEE10hipError_tPvRmT2_T3_T4_T5_mT6_T7_P12ihipStream_tbENKUlT_T0_E_clISt17integral_constantIbLb0EESZ_EEDaSU_SV_EUlSU_E_NS1_11comp_targetILNS1_3genE9ELNS1_11target_archE1100ELNS1_3gpuE3ELNS1_3repE0EEENS1_30default_config_static_selectorELNS0_4arch9wavefront6targetE0EEEvT1_.uses_vcc, 0
	.set _ZN7rocprim17ROCPRIM_400000_NS6detail17trampoline_kernelINS0_14default_configENS1_27scan_by_key_config_selectorIiiEEZZNS1_16scan_by_key_implILNS1_25lookback_scan_determinismE0ELb0ES3_N6thrust23THRUST_200600_302600_NS6detail15normal_iteratorINS9_10device_ptrIiEEEESE_SE_iNS9_4plusIvEENS9_8equal_toIvEEiEE10hipError_tPvRmT2_T3_T4_T5_mT6_T7_P12ihipStream_tbENKUlT_T0_E_clISt17integral_constantIbLb0EESZ_EEDaSU_SV_EUlSU_E_NS1_11comp_targetILNS1_3genE9ELNS1_11target_archE1100ELNS1_3gpuE3ELNS1_3repE0EEENS1_30default_config_static_selectorELNS0_4arch9wavefront6targetE0EEEvT1_.uses_flat_scratch, 0
	.set _ZN7rocprim17ROCPRIM_400000_NS6detail17trampoline_kernelINS0_14default_configENS1_27scan_by_key_config_selectorIiiEEZZNS1_16scan_by_key_implILNS1_25lookback_scan_determinismE0ELb0ES3_N6thrust23THRUST_200600_302600_NS6detail15normal_iteratorINS9_10device_ptrIiEEEESE_SE_iNS9_4plusIvEENS9_8equal_toIvEEiEE10hipError_tPvRmT2_T3_T4_T5_mT6_T7_P12ihipStream_tbENKUlT_T0_E_clISt17integral_constantIbLb0EESZ_EEDaSU_SV_EUlSU_E_NS1_11comp_targetILNS1_3genE9ELNS1_11target_archE1100ELNS1_3gpuE3ELNS1_3repE0EEENS1_30default_config_static_selectorELNS0_4arch9wavefront6targetE0EEEvT1_.has_dyn_sized_stack, 0
	.set _ZN7rocprim17ROCPRIM_400000_NS6detail17trampoline_kernelINS0_14default_configENS1_27scan_by_key_config_selectorIiiEEZZNS1_16scan_by_key_implILNS1_25lookback_scan_determinismE0ELb0ES3_N6thrust23THRUST_200600_302600_NS6detail15normal_iteratorINS9_10device_ptrIiEEEESE_SE_iNS9_4plusIvEENS9_8equal_toIvEEiEE10hipError_tPvRmT2_T3_T4_T5_mT6_T7_P12ihipStream_tbENKUlT_T0_E_clISt17integral_constantIbLb0EESZ_EEDaSU_SV_EUlSU_E_NS1_11comp_targetILNS1_3genE9ELNS1_11target_archE1100ELNS1_3gpuE3ELNS1_3repE0EEENS1_30default_config_static_selectorELNS0_4arch9wavefront6targetE0EEEvT1_.has_recursion, 0
	.set _ZN7rocprim17ROCPRIM_400000_NS6detail17trampoline_kernelINS0_14default_configENS1_27scan_by_key_config_selectorIiiEEZZNS1_16scan_by_key_implILNS1_25lookback_scan_determinismE0ELb0ES3_N6thrust23THRUST_200600_302600_NS6detail15normal_iteratorINS9_10device_ptrIiEEEESE_SE_iNS9_4plusIvEENS9_8equal_toIvEEiEE10hipError_tPvRmT2_T3_T4_T5_mT6_T7_P12ihipStream_tbENKUlT_T0_E_clISt17integral_constantIbLb0EESZ_EEDaSU_SV_EUlSU_E_NS1_11comp_targetILNS1_3genE9ELNS1_11target_archE1100ELNS1_3gpuE3ELNS1_3repE0EEENS1_30default_config_static_selectorELNS0_4arch9wavefront6targetE0EEEvT1_.has_indirect_call, 0
	.section	.AMDGPU.csdata,"",@progbits
; Kernel info:
; codeLenInByte = 0
; TotalNumSgprs: 0
; NumVgprs: 0
; ScratchSize: 0
; MemoryBound: 0
; FloatMode: 240
; IeeeMode: 1
; LDSByteSize: 0 bytes/workgroup (compile time only)
; SGPRBlocks: 0
; VGPRBlocks: 0
; NumSGPRsForWavesPerEU: 1
; NumVGPRsForWavesPerEU: 1
; Occupancy: 16
; WaveLimiterHint : 0
; COMPUTE_PGM_RSRC2:SCRATCH_EN: 0
; COMPUTE_PGM_RSRC2:USER_SGPR: 6
; COMPUTE_PGM_RSRC2:TRAP_HANDLER: 0
; COMPUTE_PGM_RSRC2:TGID_X_EN: 1
; COMPUTE_PGM_RSRC2:TGID_Y_EN: 0
; COMPUTE_PGM_RSRC2:TGID_Z_EN: 0
; COMPUTE_PGM_RSRC2:TIDIG_COMP_CNT: 0
	.section	.text._ZN7rocprim17ROCPRIM_400000_NS6detail17trampoline_kernelINS0_14default_configENS1_27scan_by_key_config_selectorIiiEEZZNS1_16scan_by_key_implILNS1_25lookback_scan_determinismE0ELb0ES3_N6thrust23THRUST_200600_302600_NS6detail15normal_iteratorINS9_10device_ptrIiEEEESE_SE_iNS9_4plusIvEENS9_8equal_toIvEEiEE10hipError_tPvRmT2_T3_T4_T5_mT6_T7_P12ihipStream_tbENKUlT_T0_E_clISt17integral_constantIbLb0EESZ_EEDaSU_SV_EUlSU_E_NS1_11comp_targetILNS1_3genE8ELNS1_11target_archE1030ELNS1_3gpuE2ELNS1_3repE0EEENS1_30default_config_static_selectorELNS0_4arch9wavefront6targetE0EEEvT1_,"axG",@progbits,_ZN7rocprim17ROCPRIM_400000_NS6detail17trampoline_kernelINS0_14default_configENS1_27scan_by_key_config_selectorIiiEEZZNS1_16scan_by_key_implILNS1_25lookback_scan_determinismE0ELb0ES3_N6thrust23THRUST_200600_302600_NS6detail15normal_iteratorINS9_10device_ptrIiEEEESE_SE_iNS9_4plusIvEENS9_8equal_toIvEEiEE10hipError_tPvRmT2_T3_T4_T5_mT6_T7_P12ihipStream_tbENKUlT_T0_E_clISt17integral_constantIbLb0EESZ_EEDaSU_SV_EUlSU_E_NS1_11comp_targetILNS1_3genE8ELNS1_11target_archE1030ELNS1_3gpuE2ELNS1_3repE0EEENS1_30default_config_static_selectorELNS0_4arch9wavefront6targetE0EEEvT1_,comdat
	.protected	_ZN7rocprim17ROCPRIM_400000_NS6detail17trampoline_kernelINS0_14default_configENS1_27scan_by_key_config_selectorIiiEEZZNS1_16scan_by_key_implILNS1_25lookback_scan_determinismE0ELb0ES3_N6thrust23THRUST_200600_302600_NS6detail15normal_iteratorINS9_10device_ptrIiEEEESE_SE_iNS9_4plusIvEENS9_8equal_toIvEEiEE10hipError_tPvRmT2_T3_T4_T5_mT6_T7_P12ihipStream_tbENKUlT_T0_E_clISt17integral_constantIbLb0EESZ_EEDaSU_SV_EUlSU_E_NS1_11comp_targetILNS1_3genE8ELNS1_11target_archE1030ELNS1_3gpuE2ELNS1_3repE0EEENS1_30default_config_static_selectorELNS0_4arch9wavefront6targetE0EEEvT1_ ; -- Begin function _ZN7rocprim17ROCPRIM_400000_NS6detail17trampoline_kernelINS0_14default_configENS1_27scan_by_key_config_selectorIiiEEZZNS1_16scan_by_key_implILNS1_25lookback_scan_determinismE0ELb0ES3_N6thrust23THRUST_200600_302600_NS6detail15normal_iteratorINS9_10device_ptrIiEEEESE_SE_iNS9_4plusIvEENS9_8equal_toIvEEiEE10hipError_tPvRmT2_T3_T4_T5_mT6_T7_P12ihipStream_tbENKUlT_T0_E_clISt17integral_constantIbLb0EESZ_EEDaSU_SV_EUlSU_E_NS1_11comp_targetILNS1_3genE8ELNS1_11target_archE1030ELNS1_3gpuE2ELNS1_3repE0EEENS1_30default_config_static_selectorELNS0_4arch9wavefront6targetE0EEEvT1_
	.globl	_ZN7rocprim17ROCPRIM_400000_NS6detail17trampoline_kernelINS0_14default_configENS1_27scan_by_key_config_selectorIiiEEZZNS1_16scan_by_key_implILNS1_25lookback_scan_determinismE0ELb0ES3_N6thrust23THRUST_200600_302600_NS6detail15normal_iteratorINS9_10device_ptrIiEEEESE_SE_iNS9_4plusIvEENS9_8equal_toIvEEiEE10hipError_tPvRmT2_T3_T4_T5_mT6_T7_P12ihipStream_tbENKUlT_T0_E_clISt17integral_constantIbLb0EESZ_EEDaSU_SV_EUlSU_E_NS1_11comp_targetILNS1_3genE8ELNS1_11target_archE1030ELNS1_3gpuE2ELNS1_3repE0EEENS1_30default_config_static_selectorELNS0_4arch9wavefront6targetE0EEEvT1_
	.p2align	8
	.type	_ZN7rocprim17ROCPRIM_400000_NS6detail17trampoline_kernelINS0_14default_configENS1_27scan_by_key_config_selectorIiiEEZZNS1_16scan_by_key_implILNS1_25lookback_scan_determinismE0ELb0ES3_N6thrust23THRUST_200600_302600_NS6detail15normal_iteratorINS9_10device_ptrIiEEEESE_SE_iNS9_4plusIvEENS9_8equal_toIvEEiEE10hipError_tPvRmT2_T3_T4_T5_mT6_T7_P12ihipStream_tbENKUlT_T0_E_clISt17integral_constantIbLb0EESZ_EEDaSU_SV_EUlSU_E_NS1_11comp_targetILNS1_3genE8ELNS1_11target_archE1030ELNS1_3gpuE2ELNS1_3repE0EEENS1_30default_config_static_selectorELNS0_4arch9wavefront6targetE0EEEvT1_,@function
_ZN7rocprim17ROCPRIM_400000_NS6detail17trampoline_kernelINS0_14default_configENS1_27scan_by_key_config_selectorIiiEEZZNS1_16scan_by_key_implILNS1_25lookback_scan_determinismE0ELb0ES3_N6thrust23THRUST_200600_302600_NS6detail15normal_iteratorINS9_10device_ptrIiEEEESE_SE_iNS9_4plusIvEENS9_8equal_toIvEEiEE10hipError_tPvRmT2_T3_T4_T5_mT6_T7_P12ihipStream_tbENKUlT_T0_E_clISt17integral_constantIbLb0EESZ_EEDaSU_SV_EUlSU_E_NS1_11comp_targetILNS1_3genE8ELNS1_11target_archE1030ELNS1_3gpuE2ELNS1_3repE0EEENS1_30default_config_static_selectorELNS0_4arch9wavefront6targetE0EEEvT1_: ; @_ZN7rocprim17ROCPRIM_400000_NS6detail17trampoline_kernelINS0_14default_configENS1_27scan_by_key_config_selectorIiiEEZZNS1_16scan_by_key_implILNS1_25lookback_scan_determinismE0ELb0ES3_N6thrust23THRUST_200600_302600_NS6detail15normal_iteratorINS9_10device_ptrIiEEEESE_SE_iNS9_4plusIvEENS9_8equal_toIvEEiEE10hipError_tPvRmT2_T3_T4_T5_mT6_T7_P12ihipStream_tbENKUlT_T0_E_clISt17integral_constantIbLb0EESZ_EEDaSU_SV_EUlSU_E_NS1_11comp_targetILNS1_3genE8ELNS1_11target_archE1030ELNS1_3gpuE2ELNS1_3repE0EEENS1_30default_config_static_selectorELNS0_4arch9wavefront6targetE0EEEvT1_
; %bb.0:
	s_clause 0x4
	s_load_dwordx8 s[8:15], s[4:5], 0x0
	s_load_dwordx2 s[28:29], s[4:5], 0x38
	s_load_dword s2, s[4:5], 0x40
	s_load_dwordx8 s[16:23], s[4:5], 0x48
	s_load_dwordx4 s[24:27], s[4:5], 0x28
	s_mov_b32 s1, 0
	s_waitcnt lgkmcnt(0)
	s_barrier
	buffer_gl0_inv
	s_lshl_b64 s[10:11], s[10:11], 2
	s_add_u32 s4, s8, s10
	s_mul_i32 s0, s29, s2
	s_mul_hi_u32 s3, s28, s2
	s_addc_u32 s5, s9, s11
	s_add_u32 s7, s12, s10
	s_addc_u32 s12, s13, s11
	s_add_i32 s13, s3, s0
	s_cmp_lg_u64 s[20:21], 0
	s_mul_i32 s0, s6, 0x300
	s_cselect_b32 s27, -1, 0
	s_lshl_b64 s[8:9], s[0:1], 2
	s_mul_i32 s0, s28, s2
	s_add_u32 s4, s4, s8
	s_addc_u32 s5, s5, s9
	s_add_u32 s3, s7, s8
	s_addc_u32 s21, s12, s9
	;; [unrolled: 2-line block ×3, first 2 shown]
	s_add_u32 s16, s16, -1
	s_addc_u32 s17, s17, -1
	s_mul_i32 s20, s16, 0xfffffd00
	v_cmp_ge_u64_e64 s7, s[12:13], s[16:17]
	s_and_b32 vcc_lo, exec_lo, s7
	s_cbranch_vccz .LBB130_22
; %bb.1:
	v_mov_b32_e32 v1, s4
	v_mov_b32_e32 v2, s5
	s_add_i32 s30, s20, s26
	v_cmp_gt_u32_e64 s0, s30, v0
	flat_load_dword v2, v[1:2]
	s_waitcnt vmcnt(0) lgkmcnt(0)
	v_mov_b32_e32 v3, v2
	s_and_saveexec_b32 s1, s0
	s_cbranch_execz .LBB130_3
; %bb.2:
	v_lshlrev_b32_e32 v1, 2, v0
	v_add_co_u32 v3, s2, s4, v1
	v_add_co_ci_u32_e64 v4, null, s5, 0, s2
	flat_load_dword v3, v[3:4]
.LBB130_3:
	s_or_b32 exec_lo, exec_lo, s1
	v_or_b32_e32 v1, 0x100, v0
	v_mov_b32_e32 v4, v2
	v_cmp_gt_u32_e64 s1, s30, v1
	s_and_saveexec_b32 s2, s1
	s_cbranch_execz .LBB130_5
; %bb.4:
	v_lshlrev_b32_e32 v1, 2, v0
	v_add_co_u32 v4, s16, s4, v1
	v_add_co_ci_u32_e64 v5, null, s5, 0, s16
	flat_load_dword v4, v[4:5] offset:1024
.LBB130_5:
	s_or_b32 exec_lo, exec_lo, s2
	v_or_b32_e32 v1, 0x200, v0
	v_cmp_gt_u32_e64 s2, s30, v1
	v_lshlrev_b32_e32 v8, 2, v1
	s_and_saveexec_b32 s16, s2
	s_cbranch_execz .LBB130_7
; %bb.6:
	v_add_co_u32 v1, s17, s4, v8
	v_add_co_ci_u32_e64 v2, null, s5, 0, s17
	flat_load_dword v2, v[1:2]
.LBB130_7:
	s_or_b32 exec_lo, exec_lo, s16
	v_lshlrev_b32_e32 v9, 2, v0
	v_lshlrev_b32_e32 v1, 3, v0
	s_cmp_eq_u64 s[12:13], 0
	s_mov_b64 s[16:17], s[4:5]
	s_waitcnt vmcnt(0) lgkmcnt(0)
	ds_write2st64_b32 v9, v3, v4 offset1:4
	v_add_nc_u32_e32 v7, v9, v1
	ds_write_b32 v9, v2 offset:2048
	s_waitcnt lgkmcnt(0)
	s_barrier
	buffer_gl0_inv
	ds_read2_b32 v[4:5], v7 offset1:1
	ds_read_b32 v6, v7 offset:8
	s_cbranch_scc1 .LBB130_11
; %bb.8:
	s_andn2_b32 vcc_lo, exec_lo, s27
	s_cbranch_vccnz .LBB130_101
; %bb.9:
	s_lshl_b64 s[16:17], s[12:13], 2
	s_add_u32 s16, s22, s16
	s_addc_u32 s17, s23, s17
	s_add_u32 s16, s16, -4
	s_addc_u32 s17, s17, -1
	s_cbranch_execnz .LBB130_11
.LBB130_10:
	s_add_u32 s16, s4, -4
	s_addc_u32 s17, s5, -1
.LBB130_11:
	v_mov_b32_e32 v2, s16
	v_mov_b32_e32 v3, s17
	s_mov_b32 s16, exec_lo
	flat_load_dword v13, v[2:3]
	v_sub_nc_u32_e32 v2, v7, v1
	s_waitcnt lgkmcnt(1)
	ds_write_b32 v2, v6 offset:3072
	s_waitcnt vmcnt(0) lgkmcnt(0)
	s_barrier
	buffer_gl0_inv
	v_cmpx_ne_u32_e32 0, v0
; %bb.12:
	v_sub_nc_u32_e32 v1, 0, v1
	v_add_nc_u32_e32 v1, v7, v1
	ds_read_b32 v13, v1 offset:3068
; %bb.13:
	s_or_b32 exec_lo, exec_lo, s16
	v_mov_b32_e32 v1, 0
	s_waitcnt lgkmcnt(0)
	s_barrier
	buffer_gl0_inv
	v_mov_b32_e32 v2, v1
	v_mov_b32_e32 v3, v1
	s_and_saveexec_b32 s16, s0
	s_cbranch_execnz .LBB130_99
; %bb.14:
	s_or_b32 exec_lo, exec_lo, s16
	s_and_saveexec_b32 s0, s1
	s_cbranch_execnz .LBB130_100
.LBB130_15:
	s_or_b32 exec_lo, exec_lo, s0
	s_and_saveexec_b32 s0, s2
	s_cbranch_execz .LBB130_17
.LBB130_16:
	v_add_co_u32 v10, s1, s3, v8
	v_add_co_ci_u32_e64 v11, null, s21, 0, s1
	flat_load_dword v3, v[10:11]
.LBB130_17:
	s_or_b32 exec_lo, exec_lo, s0
	s_waitcnt vmcnt(0) lgkmcnt(0)
	ds_write2st64_b32 v9, v1, v2 offset1:4
	ds_write_b32 v9, v3 offset:2048
	v_mov_b32_e32 v9, 0
	v_mov_b32_e32 v11, 0
	v_mul_u32_u24_e32 v8, 3, v0
	v_mov_b32_e32 v10, 0
	v_mov_b32_e32 v12, 0
	s_mov_b32 s16, 0
	s_mov_b32 s1, 0
	s_mov_b32 s17, exec_lo
	s_waitcnt lgkmcnt(0)
	s_barrier
	buffer_gl0_inv
                                        ; implicit-def: $sgpr2
                                        ; implicit-def: $vgpr2
	v_cmpx_gt_u32_e64 s30, v8
	s_cbranch_execz .LBB130_21
; %bb.18:
	ds_read_b32 v9, v7
	v_cmp_ne_u32_e32 vcc_lo, v13, v4
	v_mov_b32_e32 v11, 0
	v_add_nc_u32_e32 v1, 1, v8
	v_mov_b32_e32 v12, 0
	s_mov_b32 s0, 0
	v_cndmask_b32_e64 v10, 0, 1, vcc_lo
	s_mov_b32 s1, exec_lo
                                        ; implicit-def: $sgpr2
                                        ; implicit-def: $vgpr2
	v_cmpx_gt_u32_e64 s30, v1
	s_xor_b32 s1, exec_lo, s1
	s_cbranch_execz .LBB130_20
; %bb.19:
	ds_read2_b32 v[1:2], v7 offset0:1 offset1:2
	v_add_nc_u32_e32 v3, 2, v8
	v_cmp_ne_u32_e64 s0, v4, v5
	v_cmp_ne_u32_e64 s2, v5, v6
	v_cmp_gt_u32_e32 vcc_lo, s30, v3
	v_cndmask_b32_e64 v12, 0, 1, s0
	s_and_b32 s0, vcc_lo, exec_lo
	s_waitcnt lgkmcnt(0)
	v_mov_b32_e32 v11, v1
.LBB130_20:
	s_or_b32 exec_lo, exec_lo, s1
	s_and_b32 s1, s0, exec_lo
.LBB130_21:
	s_or_b32 exec_lo, exec_lo, s17
	v_lshlrev_b32_e32 v18, 2, v0
	v_lshlrev_b32_e32 v19, 3, v0
	s_and_b32 vcc_lo, exec_lo, s16
	s_cbranch_vccnz .LBB130_23
	s_branch .LBB130_31
.LBB130_22:
                                        ; implicit-def: $sgpr2
                                        ; implicit-def: $vgpr2
                                        ; implicit-def: $vgpr9_vgpr10
                                        ; implicit-def: $vgpr11_vgpr12
	v_lshlrev_b32_e32 v18, 2, v0
	v_lshlrev_b32_e32 v19, 3, v0
	s_cbranch_execz .LBB130_31
.LBB130_23:
	v_add_co_u32 v1, s0, s4, v18
	v_add_co_ci_u32_e64 v2, null, s5, 0, s0
	s_cmp_eq_u64 s[12:13], 0
	v_add_co_u32 v3, vcc_lo, 0x800, v1
	v_add_co_ci_u32_e64 v4, null, 0, v2, vcc_lo
	s_clause 0x2
	flat_load_dword v5, v[1:2]
	flat_load_dword v2, v[1:2] offset:1024
	flat_load_dword v3, v[3:4]
	v_add_nc_u32_e32 v1, v18, v19
	s_waitcnt vmcnt(1) lgkmcnt(1)
	ds_write2st64_b32 v18, v5, v2 offset1:4
	s_waitcnt vmcnt(0) lgkmcnt(1)
	ds_write_b32 v18, v3 offset:2048
	s_waitcnt lgkmcnt(0)
	s_barrier
	buffer_gl0_inv
	ds_read2_b32 v[3:4], v1 offset1:1
	ds_read_b32 v5, v1 offset:8
	s_cbranch_scc1 .LBB130_28
; %bb.24:
	s_andn2_b32 vcc_lo, exec_lo, s27
	s_cbranch_vccnz .LBB130_102
; %bb.25:
	s_lshl_b64 s[0:1], s[12:13], 2
	s_add_u32 s0, s22, s0
	s_addc_u32 s1, s23, s1
	s_add_u32 s0, s0, -4
	s_addc_u32 s1, s1, -1
	s_cbranch_execnz .LBB130_27
.LBB130_26:
	s_add_u32 s0, s4, -4
	s_addc_u32 s1, s5, -1
.LBB130_27:
	s_mov_b64 s[4:5], s[0:1]
.LBB130_28:
	v_mov_b32_e32 v7, s5
	v_mov_b32_e32 v6, s4
	v_sub_nc_u32_e32 v2, v1, v19
	s_mov_b32 s0, exec_lo
	flat_load_dword v6, v[6:7]
	s_waitcnt lgkmcnt(1)
	ds_write_b32 v2, v5 offset:3072
	s_waitcnt vmcnt(0) lgkmcnt(0)
	s_barrier
	buffer_gl0_inv
	v_cmpx_ne_u32_e32 0, v0
; %bb.29:
	v_sub_nc_u32_e32 v2, 0, v19
	v_add_nc_u32_e32 v2, v1, v2
	ds_read_b32 v6, v2 offset:3068
; %bb.30:
	s_or_b32 exec_lo, exec_lo, s0
	v_add_co_u32 v7, s0, s3, v18
	v_add_co_ci_u32_e64 v8, null, s21, 0, s0
	s_waitcnt lgkmcnt(0)
	v_add_co_u32 v9, vcc_lo, 0x800, v7
	v_add_co_ci_u32_e64 v10, null, 0, v8, vcc_lo
	s_barrier
	buffer_gl0_inv
	s_clause 0x2
	flat_load_dword v2, v[7:8]
	flat_load_dword v7, v[7:8] offset:1024
	flat_load_dword v8, v[9:10]
	v_cmp_ne_u32_e32 vcc_lo, v6, v3
	v_cmp_ne_u32_e64 s2, v4, v5
	s_mov_b32 s1, -1
	s_waitcnt vmcnt(1) lgkmcnt(1)
	ds_write2st64_b32 v18, v2, v7 offset1:4
	s_waitcnt vmcnt(0) lgkmcnt(1)
	ds_write_b32 v18, v8 offset:2048
	s_waitcnt lgkmcnt(0)
	s_barrier
	buffer_gl0_inv
	ds_read2_b32 v[7:8], v1 offset1:1
	ds_read_b32 v2, v1 offset:8
	v_cndmask_b32_e64 v10, 0, 1, vcc_lo
	v_cmp_ne_u32_e32 vcc_lo, v3, v4
	v_cndmask_b32_e64 v12, 0, 1, vcc_lo
	s_waitcnt lgkmcnt(1)
	v_mov_b32_e32 v9, v7
	v_mov_b32_e32 v11, v8
.LBB130_31:
	v_mov_b32_e32 v13, 0
	v_mov_b32_e32 v14, 0
	s_and_saveexec_b32 s0, s1
	s_cbranch_execz .LBB130_33
; %bb.32:
	v_cndmask_b32_e64 v14, 0, 1, s2
	s_waitcnt lgkmcnt(0)
	v_mov_b32_e32 v13, v2
.LBB130_33:
	s_or_b32 exec_lo, exec_lo, s0
	v_or_b32_e32 v23, v12, v14
	v_mbcnt_lo_u32_b32 v20, -1, 0
	v_lshrrev_b32_e32 v21, 5, v0
	v_or_b32_e32 v22, 31, v0
	s_cmp_lg_u32 s6, 0
	s_mov_b32 s2, 0
	s_waitcnt lgkmcnt(0)
	s_barrier
	buffer_gl0_inv
	s_cbranch_scc0 .LBB130_59
; %bb.34:
	v_and_b32_e32 v2, 0xff, v23
	v_mov_b32_e32 v1, 0
	s_mov_b32 s3, 1
	v_and_b32_e32 v8, 15, v20
	v_cmp_gt_u64_e64 s0, s[2:3], v[11:12]
	v_cmp_gt_u64_e64 s1, s[2:3], v[13:14]
	v_cmp_eq_u64_e32 vcc_lo, 0, v[1:2]
	v_cndmask_b32_e64 v3, 0, v9, s0
	v_cndmask_b32_e32 v2, 1, v10, vcc_lo
	v_add_nc_u32_e32 v3, v3, v11
	v_and_b32_e32 v4, 0xff, v2
	v_and_b32_e32 v6, 1, v2
	v_cndmask_b32_e64 v3, 0, v3, s1
	v_mov_b32_dpp v5, v4 row_shr:1 row_mask:0xf bank_mask:0xf
	v_cmp_eq_u32_e32 vcc_lo, 1, v6
	v_add_nc_u32_e32 v3, v3, v13
	v_and_b32_e32 v5, 1, v5
	v_mov_b32_dpp v7, v3 row_shr:1 row_mask:0xf bank_mask:0xf
	v_cndmask_b32_e64 v5, v5, 1, vcc_lo
	v_cmp_eq_u16_e32 vcc_lo, 0, v4
	v_cndmask_b32_e32 v6, 0, v7, vcc_lo
	v_cmp_eq_u32_e32 vcc_lo, 0, v8
	v_cndmask_b32_e32 v4, v5, v4, vcc_lo
	v_cndmask_b32_e32 v2, v5, v2, vcc_lo
	v_cndmask_b32_e64 v6, v6, 0, vcc_lo
	v_mov_b32_dpp v5, v4 row_shr:2 row_mask:0xf bank_mask:0xf
	v_and_b32_e32 v7, 1, v2
	v_add_nc_u32_e32 v3, v6, v3
	v_cmp_eq_u16_sdwa s2, v2, v1 src0_sel:BYTE_0 src1_sel:DWORD
	v_and_b32_e32 v5, 1, v5
	v_cmp_eq_u32_e32 vcc_lo, 1, v7
	v_cndmask_b32_e64 v5, v5, 1, vcc_lo
	v_cmp_lt_u32_e32 vcc_lo, 1, v8
	v_cndmask_b32_e32 v7, v2, v5, vcc_lo
	v_cndmask_b32_e32 v4, v4, v5, vcc_lo
	v_mov_b32_dpp v2, v3 row_shr:2 row_mask:0xf bank_mask:0xf
	s_and_b32 vcc_lo, vcc_lo, s2
	v_and_b32_e32 v6, 1, v7
	v_mov_b32_dpp v5, v4 row_shr:4 row_mask:0xf bank_mask:0xf
	v_cndmask_b32_e32 v2, 0, v2, vcc_lo
	v_cmp_eq_u16_sdwa s2, v7, v1 src0_sel:BYTE_0 src1_sel:DWORD
	v_cmp_eq_u32_e32 vcc_lo, 1, v6
	v_and_b32_e32 v5, 1, v5
	v_add_nc_u32_e32 v2, v2, v3
	v_cndmask_b32_e64 v5, v5, 1, vcc_lo
	v_cmp_lt_u32_e32 vcc_lo, 3, v8
	v_cndmask_b32_e32 v3, v7, v5, vcc_lo
	v_cndmask_b32_e32 v4, v4, v5, vcc_lo
	v_mov_b32_dpp v5, v2 row_shr:4 row_mask:0xf bank_mask:0xf
	s_and_b32 vcc_lo, vcc_lo, s2
	v_and_b32_e32 v7, 1, v3
	v_mov_b32_dpp v6, v4 row_shr:8 row_mask:0xf bank_mask:0xf
	v_cndmask_b32_e32 v5, 0, v5, vcc_lo
	v_cmp_eq_u16_sdwa s2, v3, v1 src0_sel:BYTE_0 src1_sel:DWORD
	v_cmp_eq_u32_e32 vcc_lo, 1, v7
	v_and_b32_e32 v6, 1, v6
	v_add_nc_u32_e32 v2, v5, v2
	v_bfe_i32 v7, v20, 4, 1
	v_cndmask_b32_e64 v5, v6, 1, vcc_lo
	v_cmp_lt_u32_e32 vcc_lo, 7, v8
	v_mov_b32_dpp v6, v2 row_shr:8 row_mask:0xf bank_mask:0xf
	s_and_b32 s2, vcc_lo, s2
	v_cndmask_b32_e32 v4, v4, v5, vcc_lo
	v_cndmask_b32_e64 v6, 0, v6, s2
	v_cndmask_b32_e32 v3, v3, v5, vcc_lo
	ds_swizzle_b32 v5, v4 offset:swizzle(BROADCAST,32,15)
	v_add_nc_u32_e32 v2, v6, v2
	v_and_b32_e32 v8, 1, v3
	v_cmp_eq_u16_sdwa vcc_lo, v3, v1 src0_sel:BYTE_0 src1_sel:DWORD
	v_and_b32_e32 v3, 16, v20
	ds_swizzle_b32 v6, v2 offset:swizzle(BROADCAST,32,15)
	v_cmp_eq_u32_e64 s2, 0, v3
	s_waitcnt lgkmcnt(1)
	v_and_b32_e32 v5, 1, v5
	s_waitcnt lgkmcnt(0)
	v_cndmask_b32_e32 v1, 0, v6, vcc_lo
	v_cmp_eq_u32_e32 vcc_lo, 1, v8
	v_and_b32_e32 v1, v7, v1
	v_cndmask_b32_e64 v5, v5, 1, vcc_lo
	v_add_nc_u32_e32 v3, v1, v2
	v_cndmask_b32_e64 v4, v5, v4, s2
	v_lshlrev_b32_e32 v5, 3, v21
	s_mov_b32 s2, exec_lo
	v_cmpx_eq_u32_e64 v0, v22
	s_cbranch_execz .LBB130_36
; %bb.35:
	ds_write_b32 v5, v3
	ds_write_b8 v5, v4 offset:4
.LBB130_36:
	s_or_b32 exec_lo, exec_lo, s2
	s_mov_b32 s2, exec_lo
	s_waitcnt lgkmcnt(0)
	s_barrier
	buffer_gl0_inv
	v_cmpx_gt_u32_e32 8, v0
	s_cbranch_execz .LBB130_42
; %bb.37:
	ds_read_b64 v[1:2], v19
	v_and_b32_e32 v6, 7, v20
	s_mov_b32 s3, exec_lo
	s_waitcnt lgkmcnt(0)
	v_and_b32_e32 v7, 0xffffff00, v2
	v_mov_b32_dpp v15, v1 row_shr:1 row_mask:0xf bank_mask:0xf
	v_mov_b32_dpp v16, v2 row_shr:1 row_mask:0xf bank_mask:0xf
	v_mov_b32_e32 v8, v2
	v_cmpx_ne_u32_e32 0, v6
	s_cbranch_execz .LBB130_39
; %bb.38:
	v_mov_b32_e32 v8, 0
	v_and_b32_e32 v17, 1, v2
	v_and_b32_e32 v16, 1, v16
	v_cmp_eq_u16_sdwa vcc_lo, v2, v8 src0_sel:BYTE_0 src1_sel:DWORD
	v_cndmask_b32_e32 v2, 0, v15, vcc_lo
	v_cmp_eq_u32_e32 vcc_lo, 1, v17
	v_add_nc_u32_e32 v1, v2, v1
	v_cndmask_b32_e64 v15, v16, 1, vcc_lo
	v_or_b32_sdwa v8, v7, v15 dst_sel:DWORD dst_unused:UNUSED_PAD src0_sel:DWORD src1_sel:WORD_0
	v_mov_b32_e32 v2, v15
.LBB130_39:
	s_or_b32 exec_lo, exec_lo, s3
	v_mov_b32_dpp v15, v1 row_shr:2 row_mask:0xf bank_mask:0xf
	v_mov_b32_dpp v16, v8 row_shr:2 row_mask:0xf bank_mask:0xf
	s_mov_b32 s3, exec_lo
	v_cmpx_lt_u32_e32 1, v6
	s_cbranch_execz .LBB130_41
; %bb.40:
	v_mov_b32_e32 v8, 0
	v_and_b32_e32 v17, 1, v2
	v_and_b32_e32 v16, 1, v16
	v_cmp_eq_u16_sdwa vcc_lo, v2, v8 src0_sel:BYTE_0 src1_sel:DWORD
	v_cndmask_b32_e32 v2, 0, v15, vcc_lo
	v_cmp_eq_u32_e32 vcc_lo, 1, v17
	v_add_nc_u32_e32 v1, v2, v1
	v_cndmask_b32_e64 v15, v16, 1, vcc_lo
	v_or_b32_sdwa v8, v7, v15 dst_sel:DWORD dst_unused:UNUSED_PAD src0_sel:DWORD src1_sel:WORD_0
	v_mov_b32_e32 v2, v15
.LBB130_41:
	s_or_b32 exec_lo, exec_lo, s3
	v_mov_b32_dpp v7, v8 row_shr:4 row_mask:0xf bank_mask:0xf
	v_and_b32_e32 v15, 1, v2
	v_mov_b32_e32 v8, 0
	v_and_b32_e32 v7, 1, v7
	v_cmp_eq_u32_e32 vcc_lo, 1, v15
	v_cmp_eq_u16_sdwa s3, v2, v8 src0_sel:BYTE_0 src1_sel:DWORD
	v_cndmask_b32_e64 v7, v7, 1, vcc_lo
	v_cmp_lt_u32_e32 vcc_lo, 3, v6
	v_mov_b32_dpp v6, v1 row_shr:4 row_mask:0xf bank_mask:0xf
	v_cndmask_b32_e32 v2, v2, v7, vcc_lo
	s_and_b32 vcc_lo, vcc_lo, s3
	v_cndmask_b32_e32 v6, 0, v6, vcc_lo
	v_add_nc_u32_e32 v1, v6, v1
	ds_write_b32 v19, v1
	ds_write_b8 v19, v2 offset:4
.LBB130_42:
	s_or_b32 exec_lo, exec_lo, s2
	v_mov_b32_e32 v24, 0
	v_mov_b32_e32 v25, 0
	s_mov_b32 s3, exec_lo
	v_cmp_gt_u32_e32 vcc_lo, 32, v0
	s_waitcnt lgkmcnt(0)
	s_barrier
	buffer_gl0_inv
	v_cmpx_lt_u32_e32 31, v0
	s_cbranch_execz .LBB130_44
; %bb.43:
	v_add_nc_u32_e32 v1, -8, v5
	v_cmp_eq_u32_e64 s2, 0, v4
	v_and_b32_e32 v2, 1, v4
	ds_read_b32 v24, v1
	v_add_nc_u32_e32 v1, -4, v5
	ds_read_u8 v25, v1
	s_waitcnt lgkmcnt(1)
	v_cndmask_b32_e64 v1, 0, v24, s2
	v_cmp_eq_u32_e64 s2, 1, v2
	v_add_nc_u32_e32 v3, v1, v3
	s_waitcnt lgkmcnt(0)
	v_cndmask_b32_e64 v4, v25, 1, s2
.LBB130_44:
	s_or_b32 exec_lo, exec_lo, s3
	v_sub_co_u32 v1, s2, v20, 1
	v_cmp_gt_i32_e64 s3, 0, v1
	v_cndmask_b32_e64 v1, v1, v20, s3
	v_lshlrev_b32_e32 v1, 2, v1
	ds_bpermute_b32 v26, v1, v3
	ds_bpermute_b32 v27, v1, v4
	s_and_saveexec_b32 s12, vcc_lo
	s_cbranch_execz .LBB130_64
; %bb.45:
	v_mov_b32_e32 v4, 0
	ds_read_b64 v[1:2], v4 offset:56
	s_and_saveexec_b32 s3, s2
	s_cbranch_execz .LBB130_47
; %bb.46:
	s_add_i32 s4, s6, 32
	s_mov_b32 s5, 0
	v_mov_b32_e32 v3, 1
	s_lshl_b64 s[4:5], s[4:5], 4
	s_add_u32 s4, s24, s4
	s_addc_u32 s5, s25, s5
	v_mov_b32_e32 v6, s5
	v_mov_b32_e32 v5, s4
	s_waitcnt lgkmcnt(0)
	;;#ASMSTART
	global_store_dwordx4 v[5:6], v[1:4] off	
s_waitcnt vmcnt(0)
	;;#ASMEND
.LBB130_47:
	s_or_b32 exec_lo, exec_lo, s3
	v_xad_u32 v15, v20, -1, s6
	s_mov_b32 s4, 0
	v_add_nc_u32_e32 v3, 32, v15
	v_lshlrev_b64 v[5:6], 4, v[3:4]
	v_add_co_u32 v16, vcc_lo, s24, v5
	v_add_co_ci_u32_e64 v17, null, s25, v6, vcc_lo
	;;#ASMSTART
	global_load_dwordx4 v[5:8], v[16:17] off glc dlc	
s_waitcnt vmcnt(0)
	;;#ASMEND
	v_and_b32_e32 v6, 0xff, v6
	v_cmp_eq_u16_sdwa s5, v7, v4 src0_sel:BYTE_0 src1_sel:DWORD
	s_and_saveexec_b32 s3, s5
	s_cbranch_execz .LBB130_51
; %bb.48:
	v_mov_b32_e32 v3, 0
.LBB130_49:                             ; =>This Inner Loop Header: Depth=1
	;;#ASMSTART
	global_load_dwordx4 v[5:8], v[16:17] off glc dlc	
s_waitcnt vmcnt(0)
	;;#ASMEND
	v_cmp_ne_u16_sdwa s5, v7, v3 src0_sel:BYTE_0 src1_sel:DWORD
	s_or_b32 s4, s5, s4
	s_andn2_b32 exec_lo, exec_lo, s4
	s_cbranch_execnz .LBB130_49
; %bb.50:
	s_or_b32 exec_lo, exec_lo, s4
	v_and_b32_e32 v6, 0xff, v6
.LBB130_51:
	s_or_b32 exec_lo, exec_lo, s3
	v_cmp_ne_u32_e32 vcc_lo, 31, v20
	v_mov_b32_e32 v28, 2
	v_lshlrev_b32_e64 v29, v20, -1
	v_and_b32_e32 v8, 1, v6
	s_mov_b32 s4, 0
	v_add_co_ci_u32_e64 v3, null, 0, v20, vcc_lo
	v_cmp_eq_u16_sdwa s3, v7, v28 src0_sel:BYTE_0 src1_sel:DWORD
	v_cmp_eq_u32_e32 vcc_lo, 1, v8
	s_mov_b32 s5, 1
	v_lshlrev_b32_e32 v17, 2, v3
	v_add_nc_u32_e32 v37, 8, v20
	v_and_or_b32 v4, s3, v29, 0x80000000
	v_cmp_gt_u64_e64 s3, s[4:5], v[5:6]
	v_lshl_or_b32 v38, v20, 2, 64
	ds_bpermute_b32 v3, v17, v6
	ds_bpermute_b32 v16, v17, v5
	v_ffbl_b32_e32 v4, v4
	v_add_nc_u32_e32 v39, 16, v20
	s_waitcnt lgkmcnt(1)
	v_and_b32_e32 v3, 1, v3
	v_cndmask_b32_e64 v3, v3, 1, vcc_lo
	v_cmp_gt_u32_e32 vcc_lo, 30, v20
	v_and_b32_e32 v31, 0xffff, v3
	v_cndmask_b32_e64 v8, 0, 2, vcc_lo
	v_cmp_lt_u32_e32 vcc_lo, v20, v4
	v_add_lshl_u32 v30, v8, v20, 2
	v_cndmask_b32_e32 v8, v6, v31, vcc_lo
	v_cndmask_b32_e32 v3, v6, v3, vcc_lo
	s_and_b32 vcc_lo, vcc_lo, s3
	s_waitcnt lgkmcnt(0)
	v_cndmask_b32_e32 v6, 0, v16, vcc_lo
	ds_bpermute_b32 v31, v30, v8
	v_and_b32_e32 v16, 1, v3
	v_add_nc_u32_e32 v5, v6, v5
	v_cmp_eq_u32_e32 vcc_lo, 1, v16
	v_mov_b32_e32 v16, 0
	ds_bpermute_b32 v6, v30, v5
	v_cmp_eq_u16_sdwa s3, v3, v16 src0_sel:BYTE_0 src1_sel:DWORD
	s_waitcnt lgkmcnt(1)
	v_and_b32_e32 v32, 1, v31
	v_add_nc_u32_e32 v31, 2, v20
	v_cndmask_b32_e64 v33, v32, 1, vcc_lo
	v_cmp_gt_u32_e32 vcc_lo, 28, v20
	v_and_b32_e32 v34, 0xffff, v33
	v_cndmask_b32_e64 v32, 0, 4, vcc_lo
	v_cmp_gt_u32_e32 vcc_lo, v31, v4
	v_add_lshl_u32 v32, v32, v20, 2
	v_cndmask_b32_e32 v8, v34, v8, vcc_lo
	v_cndmask_b32_e32 v35, v33, v3, vcc_lo
	s_waitcnt lgkmcnt(0)
	v_cndmask_b32_e64 v3, 0, v6, s3
	v_add_nc_u32_e32 v33, 4, v20
	ds_bpermute_b32 v6, v32, v8
	v_and_b32_e32 v34, 1, v35
	v_cndmask_b32_e64 v3, v3, 0, vcc_lo
	v_cmp_eq_u16_sdwa s3, v35, v16 src0_sel:BYTE_0 src1_sel:DWORD
	v_cmp_eq_u32_e32 vcc_lo, 1, v34
	v_add_nc_u32_e32 v3, v3, v5
	ds_bpermute_b32 v5, v32, v3
	s_waitcnt lgkmcnt(1)
	v_and_b32_e32 v6, 1, v6
	v_cndmask_b32_e64 v6, v6, 1, vcc_lo
	v_cmp_gt_u32_e32 vcc_lo, 24, v20
	v_and_b32_e32 v36, 0xffff, v6
	v_cndmask_b32_e64 v34, 0, 8, vcc_lo
	v_cmp_gt_u32_e32 vcc_lo, v33, v4
	s_waitcnt lgkmcnt(0)
	v_cndmask_b32_e64 v5, 0, v5, s3
	v_add_lshl_u32 v34, v34, v20, 2
	v_cndmask_b32_e32 v8, v36, v8, vcc_lo
	v_cndmask_b32_e32 v6, v6, v35, vcc_lo
	v_cndmask_b32_e64 v5, v5, 0, vcc_lo
	ds_bpermute_b32 v35, v34, v8
	v_and_b32_e32 v36, 1, v6
	v_add_nc_u32_e32 v3, v5, v3
	v_cmp_eq_u32_e32 vcc_lo, 1, v36
	ds_bpermute_b32 v5, v34, v3
	s_waitcnt lgkmcnt(1)
	v_and_b32_e32 v35, 1, v35
	v_cndmask_b32_e64 v35, v35, 1, vcc_lo
	v_cmp_eq_u16_sdwa vcc_lo, v6, v16 src0_sel:BYTE_0 src1_sel:DWORD
	v_and_b32_e32 v36, 0xffff, v35
	s_waitcnt lgkmcnt(0)
	v_cndmask_b32_e32 v5, 0, v5, vcc_lo
	v_cmp_gt_u32_e32 vcc_lo, v37, v4
	v_cndmask_b32_e64 v5, v5, 0, vcc_lo
	v_cndmask_b32_e32 v8, v36, v8, vcc_lo
	v_cndmask_b32_e32 v6, v35, v6, vcc_lo
	v_add_nc_u32_e32 v3, v5, v3
	ds_bpermute_b32 v5, v38, v8
	v_and_b32_e32 v35, 1, v6
	v_cmp_eq_u16_sdwa vcc_lo, v6, v16 src0_sel:BYTE_0 src1_sel:DWORD
	ds_bpermute_b32 v8, v38, v3
	s_waitcnt lgkmcnt(1)
	v_and_b32_e32 v5, 1, v5
	s_waitcnt lgkmcnt(0)
	v_cndmask_b32_e32 v8, 0, v8, vcc_lo
	v_cmp_eq_u32_e32 vcc_lo, 1, v35
	v_cndmask_b32_e64 v5, v5, 1, vcc_lo
	v_cmp_gt_u32_e32 vcc_lo, v39, v4
	v_cndmask_b32_e32 v4, v5, v6, vcc_lo
	v_cndmask_b32_e64 v5, v8, 0, vcc_lo
	v_add_nc_u32_e32 v3, v5, v3
	s_branch .LBB130_55
.LBB130_52:                             ;   in Loop: Header=BB130_55 Depth=1
	s_or_b32 exec_lo, exec_lo, s13
	v_and_b32_e32 v6, 0xff, v6
.LBB130_53:                             ;   in Loop: Header=BB130_55 Depth=1
	s_or_b32 exec_lo, exec_lo, s3
	ds_bpermute_b32 v3, v17, v6
	v_cmp_eq_u16_sdwa s3, v7, v28 src0_sel:BYTE_0 src1_sel:DWORD
	v_and_b32_e32 v4, 1, v6
	v_subrev_nc_u32_e32 v15, 32, v15
	v_and_or_b32 v8, s3, v29, 0x80000000
	v_cmp_eq_u32_e32 vcc_lo, 1, v4
	v_cmp_gt_u64_e64 s3, s[4:5], v[5:6]
	v_ffbl_b32_e32 v4, v8
	ds_bpermute_b32 v8, v17, v5
	s_waitcnt lgkmcnt(1)
	v_and_b32_e32 v3, 1, v3
	v_cndmask_b32_e64 v3, v3, 1, vcc_lo
	v_cmp_lt_u32_e32 vcc_lo, v20, v4
	v_and_b32_e32 v40, 0xffff, v3
	v_cndmask_b32_e32 v3, v6, v3, vcc_lo
	v_cndmask_b32_e32 v40, v6, v40, vcc_lo
	s_and_b32 vcc_lo, vcc_lo, s3
	v_cmp_eq_u16_sdwa s3, v3, v16 src0_sel:BYTE_0 src1_sel:DWORD
	s_waitcnt lgkmcnt(0)
	v_cndmask_b32_e32 v6, 0, v8, vcc_lo
	v_and_b32_e32 v8, 1, v3
	ds_bpermute_b32 v41, v30, v40
	v_add_nc_u32_e32 v5, v6, v5
	v_cmp_eq_u32_e32 vcc_lo, 1, v8
	ds_bpermute_b32 v6, v30, v5
	s_waitcnt lgkmcnt(1)
	v_and_b32_e32 v41, 1, v41
	v_cndmask_b32_e64 v8, v41, 1, vcc_lo
	v_cmp_gt_u32_e32 vcc_lo, v31, v4
	v_and_b32_e32 v41, 0xffff, v8
	v_cndmask_b32_e32 v8, v8, v3, vcc_lo
	s_waitcnt lgkmcnt(0)
	v_cndmask_b32_e64 v3, 0, v6, s3
	v_cndmask_b32_e32 v40, v41, v40, vcc_lo
	v_and_b32_e32 v41, 1, v8
	v_cndmask_b32_e64 v3, v3, 0, vcc_lo
	v_cmp_eq_u16_sdwa s3, v8, v16 src0_sel:BYTE_0 src1_sel:DWORD
	ds_bpermute_b32 v6, v32, v40
	v_cmp_eq_u32_e32 vcc_lo, 1, v41
	v_add_nc_u32_e32 v3, v3, v5
	ds_bpermute_b32 v5, v32, v3
	s_waitcnt lgkmcnt(1)
	v_and_b32_e32 v6, 1, v6
	v_cndmask_b32_e64 v6, v6, 1, vcc_lo
	v_cmp_gt_u32_e32 vcc_lo, v33, v4
	s_waitcnt lgkmcnt(0)
	v_cndmask_b32_e64 v5, 0, v5, s3
	s_mov_b32 s3, 0
	v_and_b32_e32 v41, 0xffff, v6
	v_cndmask_b32_e32 v6, v6, v8, vcc_lo
	v_cndmask_b32_e64 v5, v5, 0, vcc_lo
	v_cndmask_b32_e32 v8, v41, v40, vcc_lo
	v_and_b32_e32 v41, 1, v6
	v_add_nc_u32_e32 v3, v5, v3
	ds_bpermute_b32 v40, v34, v8
	v_cmp_eq_u32_e32 vcc_lo, 1, v41
	ds_bpermute_b32 v5, v34, v3
	s_waitcnt lgkmcnt(1)
	v_and_b32_e32 v40, 1, v40
	v_cndmask_b32_e64 v40, v40, 1, vcc_lo
	v_cmp_eq_u16_sdwa vcc_lo, v6, v16 src0_sel:BYTE_0 src1_sel:DWORD
	v_and_b32_e32 v41, 0xffff, v40
	s_waitcnt lgkmcnt(0)
	v_cndmask_b32_e32 v5, 0, v5, vcc_lo
	v_cmp_gt_u32_e32 vcc_lo, v37, v4
	v_cndmask_b32_e64 v5, v5, 0, vcc_lo
	v_cndmask_b32_e32 v8, v41, v8, vcc_lo
	v_cndmask_b32_e32 v6, v40, v6, vcc_lo
	v_add_nc_u32_e32 v3, v5, v3
	ds_bpermute_b32 v5, v38, v8
	v_and_b32_e32 v40, 1, v6
	ds_bpermute_b32 v8, v38, v3
	v_cmp_eq_u32_e32 vcc_lo, 1, v40
	s_waitcnt lgkmcnt(1)
	v_cndmask_b32_e64 v5, v5, 1, vcc_lo
	v_cmp_eq_u16_sdwa vcc_lo, v6, v16 src0_sel:BYTE_0 src1_sel:DWORD
	s_waitcnt lgkmcnt(0)
	v_cndmask_b32_e32 v8, 0, v8, vcc_lo
	v_cmp_gt_u32_e32 vcc_lo, v39, v4
	v_cndmask_b32_e32 v4, v5, v6, vcc_lo
	v_cndmask_b32_e64 v5, v8, 0, vcc_lo
	v_cmp_eq_u16_sdwa vcc_lo, v35, v16 src0_sel:BYTE_0 src1_sel:DWORD
	v_and_b32_e32 v4, 1, v4
	v_add_nc_u32_e32 v3, v5, v3
	v_and_b32_e32 v5, 1, v35
	v_cndmask_b32_e32 v3, 0, v3, vcc_lo
	v_cmp_eq_u32_e32 vcc_lo, 1, v5
	v_add_nc_u32_e32 v3, v3, v36
	v_cndmask_b32_e64 v4, v4, 1, vcc_lo
.LBB130_54:                             ;   in Loop: Header=BB130_55 Depth=1
	s_and_b32 vcc_lo, exec_lo, s3
	s_cbranch_vccnz .LBB130_60
.LBB130_55:                             ; =>This Loop Header: Depth=1
                                        ;     Child Loop BB130_58 Depth 2
	v_cmp_ne_u16_sdwa s3, v7, v28 src0_sel:BYTE_0 src1_sel:DWORD
	v_mov_b32_e32 v35, v4
	v_mov_b32_e32 v36, v3
                                        ; implicit-def: $vgpr4
                                        ; implicit-def: $vgpr3
                                        ; implicit-def: $vgpr7
	s_cmp_lg_u32 s3, exec_lo
	s_mov_b32 s3, -1
	s_cbranch_scc1 .LBB130_54
; %bb.56:                               ;   in Loop: Header=BB130_55 Depth=1
	v_lshlrev_b64 v[3:4], 4, v[15:16]
	v_add_co_u32 v3, vcc_lo, s24, v3
	v_add_co_ci_u32_e64 v4, null, s25, v4, vcc_lo
	;;#ASMSTART
	global_load_dwordx4 v[5:8], v[3:4] off glc dlc	
s_waitcnt vmcnt(0)
	;;#ASMEND
	v_and_b32_e32 v6, 0xff, v6
	v_cmp_eq_u16_sdwa s13, v7, v16 src0_sel:BYTE_0 src1_sel:DWORD
	s_and_saveexec_b32 s3, s13
	s_cbranch_execz .LBB130_53
; %bb.57:                               ;   in Loop: Header=BB130_55 Depth=1
	s_mov_b32 s13, 0
.LBB130_58:                             ;   Parent Loop BB130_55 Depth=1
                                        ; =>  This Inner Loop Header: Depth=2
	;;#ASMSTART
	global_load_dwordx4 v[5:8], v[3:4] off glc dlc	
s_waitcnt vmcnt(0)
	;;#ASMEND
	v_cmp_ne_u16_sdwa s16, v7, v16 src0_sel:BYTE_0 src1_sel:DWORD
	s_or_b32 s13, s16, s13
	s_andn2_b32 exec_lo, exec_lo, s13
	s_cbranch_execnz .LBB130_58
	s_branch .LBB130_52
.LBB130_59:
                                        ; implicit-def: $vgpr7
                                        ; implicit-def: $vgpr5
                                        ; implicit-def: $vgpr6
	s_cbranch_execnz .LBB130_65
	s_branch .LBB130_82
.LBB130_60:
	s_and_saveexec_b32 s3, s2
	s_cbranch_execz .LBB130_62
; %bb.61:
	v_mov_b32_e32 v4, 0
	v_and_b32_e32 v3, 1, v2
	s_mov_b32 s5, 0
	s_add_i32 s4, s6, 32
	v_and_b32_e32 v5, 1, v35
	v_cmp_eq_u32_sdwa vcc_lo, v2, v4 src0_sel:BYTE_0 src1_sel:DWORD
	s_lshl_b64 s[4:5], s[4:5], 4
	s_add_u32 s4, s24, s4
	s_addc_u32 s5, s25, s5
	v_cndmask_b32_e32 v2, 0, v36, vcc_lo
	v_cmp_eq_u32_e32 vcc_lo, 1, v3
	v_mov_b32_e32 v3, 2
	v_add_nc_u32_e32 v1, v2, v1
	v_cndmask_b32_e64 v2, v5, 1, vcc_lo
	v_mov_b32_e32 v6, s5
	v_mov_b32_e32 v5, s4
	;;#ASMSTART
	global_store_dwordx4 v[5:6], v[1:4] off	
s_waitcnt vmcnt(0)
	;;#ASMEND
.LBB130_62:
	s_or_b32 exec_lo, exec_lo, s3
	v_cmp_eq_u32_e32 vcc_lo, 0, v0
	s_and_b32 exec_lo, exec_lo, vcc_lo
	s_cbranch_execz .LBB130_64
; %bb.63:
	v_mov_b32_e32 v1, 0
	ds_write_b32 v1, v36 offset:56
	ds_write_b8 v1, v35 offset:60
.LBB130_64:
	s_or_b32 exec_lo, exec_lo, s12
	s_waitcnt lgkmcnt(0)
	v_cndmask_b32_e64 v2, v27, v25, s2
	v_and_b32_e32 v4, 1, v10
	v_mov_b32_e32 v1, 0
	v_cndmask_b32_e64 v5, v26, v24, s2
	s_mov_b32 s2, 0
	v_and_b32_e32 v2, 1, v2
	v_cmp_eq_u32_e32 vcc_lo, 1, v4
	s_mov_b32 s3, 1
	s_barrier
	buffer_gl0_inv
	v_cndmask_b32_e64 v2, v2, 1, vcc_lo
	v_cmp_gt_u64_e32 vcc_lo, s[2:3], v[9:10]
	ds_read_b32 v3, v1 offset:56
	v_cndmask_b32_e32 v4, 0, v5, vcc_lo
	v_cmp_eq_u32_e32 vcc_lo, 0, v0
	v_cndmask_b32_e32 v2, v2, v10, vcc_lo
	v_cndmask_b32_e64 v4, v4, 0, vcc_lo
	v_cmp_eq_u16_sdwa vcc_lo, v2, v1 src0_sel:BYTE_0 src1_sel:DWORD
	s_waitcnt lgkmcnt(0)
	v_cndmask_b32_e32 v1, 0, v3, vcc_lo
	v_add3_u32 v7, v4, v9, v1
	v_cndmask_b32_e64 v1, 0, v7, s0
	v_add_nc_u32_e32 v5, v1, v11
	v_cndmask_b32_e64 v1, 0, v5, s1
	v_add_nc_u32_e32 v6, v1, v13
	s_branch .LBB130_82
.LBB130_65:
	s_cmp_lg_u64 s[28:29], 0
	v_cmp_eq_u32_e32 vcc_lo, 0, v0
	s_cselect_b32 s1, -1, 0
	s_cmp_lg_u64 s[18:19], 0
	v_cmp_ne_u32_e64 s0, 0, v0
	s_cselect_b32 s2, -1, 0
	s_mov_b32 s4, 0
	s_and_b32 s1, s1, s2
	s_and_b32 s1, vcc_lo, s1
	s_and_saveexec_b32 s2, s1
	s_cbranch_execz .LBB130_67
; %bb.66:
	v_mov_b32_e32 v1, 0
	s_mov_b32 s5, 1
	s_clause 0x1
	global_load_dword v2, v1, s[18:19]
	global_load_ubyte v3, v1, s[18:19] offset:4
	v_cmp_gt_u64_e64 s1, s[4:5], v[9:10]
	s_waitcnt vmcnt(1)
	v_cndmask_b32_e64 v4, 0, v2, s1
	v_and_b32_e32 v2, 1, v10
	s_waitcnt vmcnt(0)
	v_and_b32_e32 v3, 1, v3
	v_add_nc_u32_e32 v9, v4, v9
	v_cmp_eq_u64_e64 s1, 0, v[1:2]
	v_cndmask_b32_e64 v10, 1, v3, s1
.LBB130_67:
	s_or_b32 exec_lo, exec_lo, s2
	v_and_b32_e32 v2, 0xff, v23
	v_mov_b32_e32 v1, 0
	s_mov_b32 s5, 1
	v_and_b32_e32 v7, 15, v20
	v_cmp_eq_u64_e64 s1, 0, v[1:2]
	v_cmp_eq_u32_e64 s3, 0, v7
	v_cndmask_b32_e64 v2, 1, v10, s1
	v_cmp_gt_u64_e64 s1, s[4:5], v[11:12]
	v_and_b32_e32 v3, 0xff, v2
	v_and_b32_e32 v6, 1, v2
	v_cndmask_b32_e64 v5, 0, v9, s1
	v_mov_b32_dpp v4, v3 row_shr:1 row_mask:0xf bank_mask:0xf
	v_cmp_eq_u32_e64 s2, 1, v6
	v_add_nc_u32_e32 v5, v5, v11
	v_and_b32_e32 v4, 1, v4
	v_cndmask_b32_e64 v4, v4, 1, s2
	v_cmp_gt_u64_e64 s2, s[4:5], v[13:14]
	v_cmp_eq_u16_e64 s4, 0, v3
	v_cndmask_b32_e64 v8, v4, v3, s3
	v_cndmask_b32_e64 v2, v4, v2, s3
	;; [unrolled: 1-line block ×3, first 2 shown]
	v_mov_b32_dpp v4, v8 row_shr:2 row_mask:0xf bank_mask:0xf
	v_and_b32_e32 v14, 1, v2
	v_add_nc_u32_e32 v6, v6, v13
	v_and_b32_e32 v4, 1, v4
	v_mov_b32_dpp v12, v6 row_shr:1 row_mask:0xf bank_mask:0xf
	v_cndmask_b32_e64 v3, 0, v12, s4
	v_cmp_eq_u32_e64 s4, 1, v14
	v_cndmask_b32_e64 v3, v3, 0, s3
	v_cndmask_b32_e64 v4, v4, 1, s4
	v_cmp_lt_u32_e64 s4, 1, v7
	v_cmp_eq_u16_sdwa s3, v2, v1 src0_sel:BYTE_0 src1_sel:DWORD
	v_add_nc_u32_e32 v3, v3, v6
	v_cndmask_b32_e64 v12, v2, v4, s4
	v_cndmask_b32_e64 v4, v8, v4, s4
	s_and_b32 s3, s4, s3
	v_mov_b32_dpp v2, v3 row_shr:2 row_mask:0xf bank_mask:0xf
	v_and_b32_e32 v14, 1, v12
	v_mov_b32_dpp v8, v4 row_shr:4 row_mask:0xf bank_mask:0xf
	v_cmp_eq_u16_sdwa s4, v12, v1 src0_sel:BYTE_0 src1_sel:DWORD
	v_cndmask_b32_e64 v2, 0, v2, s3
	v_cmp_eq_u32_e64 s3, 1, v14
	v_and_b32_e32 v8, 1, v8
	v_add_nc_u32_e32 v2, v2, v3
	v_cndmask_b32_e64 v8, v8, 1, s3
	v_cmp_lt_u32_e64 s3, 3, v7
	v_cndmask_b32_e64 v3, v12, v8, s3
	v_cndmask_b32_e64 v4, v4, v8, s3
	v_mov_b32_dpp v8, v2 row_shr:4 row_mask:0xf bank_mask:0xf
	s_and_b32 s3, s3, s4
	v_and_b32_e32 v14, 1, v3
	v_mov_b32_dpp v12, v4 row_shr:8 row_mask:0xf bank_mask:0xf
	v_cndmask_b32_e64 v8, 0, v8, s3
	v_cmp_eq_u16_sdwa s4, v3, v1 src0_sel:BYTE_0 src1_sel:DWORD
	v_cmp_eq_u32_e64 s3, 1, v14
	v_and_b32_e32 v12, 1, v12
	v_add_nc_u32_e32 v2, v8, v2
	v_cndmask_b32_e64 v8, v12, 1, s3
	v_cmp_lt_u32_e64 s3, 7, v7
	v_mov_b32_dpp v7, v2 row_shr:8 row_mask:0xf bank_mask:0xf
	v_bfe_i32 v12, v20, 4, 1
	s_and_b32 s4, s3, s4
	v_cndmask_b32_e64 v4, v4, v8, s3
	v_cndmask_b32_e64 v7, 0, v7, s4
	;; [unrolled: 1-line block ×3, first 2 shown]
	s_mov_b32 s4, exec_lo
	v_add_nc_u32_e32 v2, v7, v2
	ds_swizzle_b32 v7, v4 offset:swizzle(BROADCAST,32,15)
	v_and_b32_e32 v14, 1, v3
	v_cmp_eq_u16_sdwa s3, v3, v1 src0_sel:BYTE_0 src1_sel:DWORD
	v_and_b32_e32 v3, 16, v20
	ds_swizzle_b32 v8, v2 offset:swizzle(BROADCAST,32,15)
	s_waitcnt lgkmcnt(1)
	v_and_b32_e32 v7, 1, v7
	s_waitcnt lgkmcnt(0)
	v_cndmask_b32_e64 v1, 0, v8, s3
	v_cmp_eq_u32_e64 s3, 1, v14
	v_and_b32_e32 v1, v12, v1
	v_cndmask_b32_e64 v7, v7, 1, s3
	v_cmp_eq_u32_e64 s3, 0, v3
	v_add_nc_u32_e32 v3, v1, v2
	v_cndmask_b32_e64 v4, v7, v4, s3
	v_cmpx_eq_u32_e64 v0, v22
	s_cbranch_execz .LBB130_69
; %bb.68:
	v_lshlrev_b32_e32 v1, 3, v21
	ds_write_b32 v1, v3
	ds_write_b8 v1, v4 offset:4
.LBB130_69:
	s_or_b32 exec_lo, exec_lo, s4
	s_mov_b32 s4, exec_lo
	s_waitcnt lgkmcnt(0)
	s_barrier
	buffer_gl0_inv
	v_cmpx_gt_u32_e32 8, v0
	s_cbranch_execz .LBB130_75
; %bb.70:
	ds_read_b64 v[1:2], v19
	v_and_b32_e32 v7, 7, v20
	s_mov_b32 s5, exec_lo
	s_waitcnt lgkmcnt(0)
	v_and_b32_e32 v8, 0xffffff00, v2
	v_mov_b32_dpp v14, v1 row_shr:1 row_mask:0xf bank_mask:0xf
	v_mov_b32_dpp v15, v2 row_shr:1 row_mask:0xf bank_mask:0xf
	v_mov_b32_e32 v12, v2
	v_cmpx_ne_u32_e32 0, v7
	s_cbranch_execz .LBB130_72
; %bb.71:
	v_mov_b32_e32 v12, 0
	v_and_b32_e32 v16, 1, v2
	v_and_b32_e32 v15, 1, v15
	v_cmp_eq_u16_sdwa s3, v2, v12 src0_sel:BYTE_0 src1_sel:DWORD
	v_cndmask_b32_e64 v2, 0, v14, s3
	v_cmp_eq_u32_e64 s3, 1, v16
	v_add_nc_u32_e32 v1, v2, v1
	v_cndmask_b32_e64 v14, v15, 1, s3
	v_or_b32_sdwa v12, v8, v14 dst_sel:DWORD dst_unused:UNUSED_PAD src0_sel:DWORD src1_sel:WORD_0
	v_mov_b32_e32 v2, v14
.LBB130_72:
	s_or_b32 exec_lo, exec_lo, s5
	v_mov_b32_dpp v14, v1 row_shr:2 row_mask:0xf bank_mask:0xf
	v_mov_b32_dpp v15, v12 row_shr:2 row_mask:0xf bank_mask:0xf
	s_mov_b32 s5, exec_lo
	v_cmpx_lt_u32_e32 1, v7
	s_cbranch_execz .LBB130_74
; %bb.73:
	v_mov_b32_e32 v12, 0
	v_and_b32_e32 v16, 1, v2
	v_and_b32_e32 v15, 1, v15
	v_cmp_eq_u16_sdwa s3, v2, v12 src0_sel:BYTE_0 src1_sel:DWORD
	v_cndmask_b32_e64 v2, 0, v14, s3
	v_cmp_eq_u32_e64 s3, 1, v16
	v_add_nc_u32_e32 v1, v2, v1
	v_cndmask_b32_e64 v14, v15, 1, s3
	v_or_b32_sdwa v12, v8, v14 dst_sel:DWORD dst_unused:UNUSED_PAD src0_sel:DWORD src1_sel:WORD_0
	v_mov_b32_e32 v2, v14
.LBB130_74:
	s_or_b32 exec_lo, exec_lo, s5
	v_mov_b32_dpp v8, v12 row_shr:4 row_mask:0xf bank_mask:0xf
	v_and_b32_e32 v14, 1, v2
	v_mov_b32_e32 v12, 0
	v_and_b32_e32 v8, 1, v8
	v_cmp_eq_u32_e64 s3, 1, v14
	v_cmp_eq_u16_sdwa s5, v2, v12 src0_sel:BYTE_0 src1_sel:DWORD
	v_cndmask_b32_e64 v8, v8, 1, s3
	v_cmp_lt_u32_e64 s3, 3, v7
	v_mov_b32_dpp v7, v1 row_shr:4 row_mask:0xf bank_mask:0xf
	v_cndmask_b32_e64 v2, v2, v8, s3
	s_and_b32 s3, s3, s5
	v_cndmask_b32_e64 v7, 0, v7, s3
	v_add_nc_u32_e32 v1, v7, v1
	ds_write_b32 v19, v1
	ds_write_b8 v19, v2 offset:4
.LBB130_75:
	s_or_b32 exec_lo, exec_lo, s4
	v_mov_b32_e32 v1, 0
	s_mov_b32 s4, exec_lo
	s_waitcnt lgkmcnt(0)
	s_barrier
	buffer_gl0_inv
	v_cmpx_lt_u32_e32 31, v0
	s_cbranch_execz .LBB130_77
; %bb.76:
	v_lshl_add_u32 v1, v21, 3, -8
	v_cmp_eq_u32_e64 s3, 0, v4
	ds_read_b32 v1, v1
	s_waitcnt lgkmcnt(0)
	v_cndmask_b32_e64 v2, 0, v1, s3
	v_add_nc_u32_e32 v3, v2, v3
.LBB130_77:
	s_or_b32 exec_lo, exec_lo, s4
	v_add_nc_u32_e32 v2, -1, v20
	s_mov_b32 s4, 0
	v_cmp_gt_i32_e64 s3, 0, v2
	v_cndmask_b32_e64 v2, v2, v20, s3
	v_lshlrev_b32_e32 v2, 2, v2
	ds_bpermute_b32 v2, v2, v3
	s_and_saveexec_b32 s3, s0
	s_cbranch_execz .LBB130_79
; %bb.78:
	v_cmp_eq_u32_e64 s0, 0, v20
	s_mov_b32 s5, 1
	;;#ASMSTART
	;;#ASMEND
	s_waitcnt lgkmcnt(0)
	v_cndmask_b32_e64 v1, v2, v1, s0
	v_cmp_gt_u64_e64 s0, s[4:5], v[9:10]
	v_cndmask_b32_e64 v1, 0, v1, s0
	v_add_nc_u32_e32 v9, v1, v9
	v_cndmask_b32_e64 v1, 0, v9, s1
	v_add_nc_u32_e32 v5, v1, v11
	;; [unrolled: 2-line block ×3, first 2 shown]
.LBB130_79:
	s_or_b32 exec_lo, exec_lo, s3
	s_and_saveexec_b32 s0, vcc_lo
	s_cbranch_execz .LBB130_81
; %bb.80:
	v_mov_b32_e32 v4, 0
	s_add_u32 s2, s24, 0x200
	s_addc_u32 s3, s25, 0
	v_mov_b32_e32 v3, 2
	v_mov_b32_e32 v8, s3
	ds_read_b32 v1, v4 offset:56
	s_waitcnt lgkmcnt(1)
	ds_read_u8 v2, v4 offset:60
	v_mov_b32_e32 v7, s2
	s_waitcnt lgkmcnt(0)
	;;#ASMSTART
	global_store_dwordx4 v[7:8], v[1:4] off	
s_waitcnt vmcnt(0)
	;;#ASMEND
.LBB130_81:
	s_or_b32 exec_lo, exec_lo, s0
	v_mov_b32_e32 v7, v9
.LBB130_82:
	s_add_u32 s0, s14, s10
	v_mov_b32_e32 v3, 0
	s_addc_u32 s1, s15, s11
	s_add_u32 s0, s0, s8
	s_addc_u32 s1, s1, s9
	s_and_b32 vcc_lo, exec_lo, s7
	s_cbranch_vccz .LBB130_94
; %bb.83:
	v_mul_u32_u24_e32 v1, 3, v0
	v_mov_b32_e32 v4, 0
	s_waitcnt lgkmcnt(0)
	v_mov_b32_e32 v2, 0
	s_add_i32 s20, s20, s26
	s_mov_b32 s2, exec_lo
	v_cmpx_gt_u32_e64 s20, v1
	s_cbranch_execz .LBB130_89
; %bb.84:
	v_add_nc_u32_e32 v3, 1, v1
	v_mov_b32_e32 v2, 0
	v_mov_b32_e32 v4, 0
	s_mov_b32 s3, exec_lo
	v_cmpx_gt_u32_e64 s20, v3
	s_cbranch_execz .LBB130_88
; %bb.85:
	v_add_nc_u32_e32 v2, 2, v1
	v_cmp_gt_u32_e32 vcc_lo, s20, v2
	v_mov_b32_e32 v2, 0
	s_and_saveexec_b32 s4, vcc_lo
; %bb.86:
	v_mov_b32_e32 v2, v6
; %bb.87:
	s_or_b32 exec_lo, exec_lo, s4
	v_mov_b32_e32 v4, v5
.LBB130_88:
	s_or_b32 exec_lo, exec_lo, s3
	v_mov_b32_e32 v3, v7
.LBB130_89:
	s_or_b32 exec_lo, exec_lo, s2
	v_lshlrev_b32_e32 v8, 2, v1
	s_barrier
	buffer_gl0_inv
	v_sub_nc_u32_e32 v1, v8, v19
	ds_write2_b32 v8, v3, v4 offset1:1
	ds_write_b32 v8, v2 offset:8
	s_waitcnt lgkmcnt(0)
	s_barrier
	buffer_gl0_inv
	ds_read2st64_b32 v[1:2], v1 offset0:4 offset1:8
	v_add_co_u32 v3, s2, s0, v18
	v_add_co_ci_u32_e64 v4, null, s1, 0, s2
	s_mov_b32 s2, exec_lo
	v_cmpx_gt_u32_e64 s20, v0
	s_cbranch_execz .LBB130_91
; %bb.90:
	v_sub_nc_u32_e32 v9, 0, v19
	v_add_nc_u32_e32 v8, v8, v9
	ds_read_b32 v8, v8
	s_waitcnt lgkmcnt(0)
	flat_store_dword v[3:4], v8
.LBB130_91:
	s_or_b32 exec_lo, exec_lo, s2
	v_or_b32_e32 v8, 0x100, v0
	s_mov_b32 s2, exec_lo
	v_cmpx_gt_u32_e64 s20, v8
	s_cbranch_execz .LBB130_93
; %bb.92:
	s_waitcnt lgkmcnt(0)
	flat_store_dword v[3:4], v1 offset:1024
.LBB130_93:
	s_or_b32 exec_lo, exec_lo, s2
	s_waitcnt lgkmcnt(0)
	v_or_b32_e32 v1, 0x200, v0
	v_cmp_gt_u32_e64 s2, s20, v1
	s_branch .LBB130_96
.LBB130_94:
	s_mov_b32 s2, 0
                                        ; implicit-def: $vgpr2
	s_cbranch_execz .LBB130_96
; %bb.95:
	v_mul_u32_u24_e32 v1, 12, v0
	s_waitcnt lgkmcnt(0)
	s_waitcnt_vscnt null, 0x0
	s_barrier
	buffer_gl0_inv
	s_or_b32 s2, s2, exec_lo
	v_sub_nc_u32_e32 v2, v1, v19
	ds_write2_b32 v1, v7, v5 offset1:1
	ds_write_b32 v1, v6 offset:8
	s_waitcnt lgkmcnt(0)
	s_barrier
	buffer_gl0_inv
	ds_read2st64_b32 v[3:4], v2 offset1:4
	ds_read_b32 v2, v2 offset:2048
	v_add_co_u32 v5, s3, s0, v18
	v_add_co_ci_u32_e64 v6, null, s1, 0, s3
	s_waitcnt lgkmcnt(1)
	flat_store_dword v[5:6], v3
	flat_store_dword v[5:6], v4 offset:1024
.LBB130_96:
	s_and_saveexec_b32 s3, s2
	s_cbranch_execnz .LBB130_98
; %bb.97:
	s_endpgm
.LBB130_98:
	v_lshlrev_b32_e32 v0, 2, v0
	v_add_co_u32 v0, s0, s0, v0
	v_add_co_ci_u32_e64 v1, null, s1, 0, s0
	v_add_co_u32 v0, vcc_lo, 0x800, v0
	v_add_co_ci_u32_e64 v1, null, 0, v1, vcc_lo
	s_waitcnt lgkmcnt(0)
	flat_store_dword v[0:1], v2
	s_endpgm
.LBB130_99:
	v_add_co_u32 v2, s0, s3, v9
	v_add_co_ci_u32_e64 v3, null, s21, 0, s0
	v_mov_b32_e32 v11, v1
	v_mov_b32_e32 v12, v1
	flat_load_dword v10, v[2:3]
	s_waitcnt vmcnt(0) lgkmcnt(0)
	v_mov_b32_e32 v1, v10
	v_mov_b32_e32 v2, v11
	;; [unrolled: 1-line block ×3, first 2 shown]
	s_or_b32 exec_lo, exec_lo, s16
	s_and_saveexec_b32 s0, s1
	s_cbranch_execz .LBB130_15
.LBB130_100:
	v_add_co_u32 v10, s1, s3, v9
	v_add_co_ci_u32_e64 v11, null, s21, 0, s1
	flat_load_dword v2, v[10:11] offset:1024
	s_or_b32 exec_lo, exec_lo, s0
	s_and_saveexec_b32 s0, s2
	s_cbranch_execnz .LBB130_16
	s_branch .LBB130_17
.LBB130_101:
                                        ; implicit-def: $sgpr16_sgpr17
	s_branch .LBB130_10
.LBB130_102:
                                        ; implicit-def: $sgpr0_sgpr1
	s_branch .LBB130_26
	.section	.rodata,"a",@progbits
	.p2align	6, 0x0
	.amdhsa_kernel _ZN7rocprim17ROCPRIM_400000_NS6detail17trampoline_kernelINS0_14default_configENS1_27scan_by_key_config_selectorIiiEEZZNS1_16scan_by_key_implILNS1_25lookback_scan_determinismE0ELb0ES3_N6thrust23THRUST_200600_302600_NS6detail15normal_iteratorINS9_10device_ptrIiEEEESE_SE_iNS9_4plusIvEENS9_8equal_toIvEEiEE10hipError_tPvRmT2_T3_T4_T5_mT6_T7_P12ihipStream_tbENKUlT_T0_E_clISt17integral_constantIbLb0EESZ_EEDaSU_SV_EUlSU_E_NS1_11comp_targetILNS1_3genE8ELNS1_11target_archE1030ELNS1_3gpuE2ELNS1_3repE0EEENS1_30default_config_static_selectorELNS0_4arch9wavefront6targetE0EEEvT1_
		.amdhsa_group_segment_fixed_size 5120
		.amdhsa_private_segment_fixed_size 0
		.amdhsa_kernarg_size 112
		.amdhsa_user_sgpr_count 6
		.amdhsa_user_sgpr_private_segment_buffer 1
		.amdhsa_user_sgpr_dispatch_ptr 0
		.amdhsa_user_sgpr_queue_ptr 0
		.amdhsa_user_sgpr_kernarg_segment_ptr 1
		.amdhsa_user_sgpr_dispatch_id 0
		.amdhsa_user_sgpr_flat_scratch_init 0
		.amdhsa_user_sgpr_private_segment_size 0
		.amdhsa_wavefront_size32 1
		.amdhsa_uses_dynamic_stack 0
		.amdhsa_system_sgpr_private_segment_wavefront_offset 0
		.amdhsa_system_sgpr_workgroup_id_x 1
		.amdhsa_system_sgpr_workgroup_id_y 0
		.amdhsa_system_sgpr_workgroup_id_z 0
		.amdhsa_system_sgpr_workgroup_info 0
		.amdhsa_system_vgpr_workitem_id 0
		.amdhsa_next_free_vgpr 42
		.amdhsa_next_free_sgpr 31
		.amdhsa_reserve_vcc 1
		.amdhsa_reserve_flat_scratch 1
		.amdhsa_float_round_mode_32 0
		.amdhsa_float_round_mode_16_64 0
		.amdhsa_float_denorm_mode_32 3
		.amdhsa_float_denorm_mode_16_64 3
		.amdhsa_dx10_clamp 1
		.amdhsa_ieee_mode 1
		.amdhsa_fp16_overflow 0
		.amdhsa_workgroup_processor_mode 1
		.amdhsa_memory_ordered 1
		.amdhsa_forward_progress 1
		.amdhsa_shared_vgpr_count 0
		.amdhsa_exception_fp_ieee_invalid_op 0
		.amdhsa_exception_fp_denorm_src 0
		.amdhsa_exception_fp_ieee_div_zero 0
		.amdhsa_exception_fp_ieee_overflow 0
		.amdhsa_exception_fp_ieee_underflow 0
		.amdhsa_exception_fp_ieee_inexact 0
		.amdhsa_exception_int_div_zero 0
	.end_amdhsa_kernel
	.section	.text._ZN7rocprim17ROCPRIM_400000_NS6detail17trampoline_kernelINS0_14default_configENS1_27scan_by_key_config_selectorIiiEEZZNS1_16scan_by_key_implILNS1_25lookback_scan_determinismE0ELb0ES3_N6thrust23THRUST_200600_302600_NS6detail15normal_iteratorINS9_10device_ptrIiEEEESE_SE_iNS9_4plusIvEENS9_8equal_toIvEEiEE10hipError_tPvRmT2_T3_T4_T5_mT6_T7_P12ihipStream_tbENKUlT_T0_E_clISt17integral_constantIbLb0EESZ_EEDaSU_SV_EUlSU_E_NS1_11comp_targetILNS1_3genE8ELNS1_11target_archE1030ELNS1_3gpuE2ELNS1_3repE0EEENS1_30default_config_static_selectorELNS0_4arch9wavefront6targetE0EEEvT1_,"axG",@progbits,_ZN7rocprim17ROCPRIM_400000_NS6detail17trampoline_kernelINS0_14default_configENS1_27scan_by_key_config_selectorIiiEEZZNS1_16scan_by_key_implILNS1_25lookback_scan_determinismE0ELb0ES3_N6thrust23THRUST_200600_302600_NS6detail15normal_iteratorINS9_10device_ptrIiEEEESE_SE_iNS9_4plusIvEENS9_8equal_toIvEEiEE10hipError_tPvRmT2_T3_T4_T5_mT6_T7_P12ihipStream_tbENKUlT_T0_E_clISt17integral_constantIbLb0EESZ_EEDaSU_SV_EUlSU_E_NS1_11comp_targetILNS1_3genE8ELNS1_11target_archE1030ELNS1_3gpuE2ELNS1_3repE0EEENS1_30default_config_static_selectorELNS0_4arch9wavefront6targetE0EEEvT1_,comdat
.Lfunc_end130:
	.size	_ZN7rocprim17ROCPRIM_400000_NS6detail17trampoline_kernelINS0_14default_configENS1_27scan_by_key_config_selectorIiiEEZZNS1_16scan_by_key_implILNS1_25lookback_scan_determinismE0ELb0ES3_N6thrust23THRUST_200600_302600_NS6detail15normal_iteratorINS9_10device_ptrIiEEEESE_SE_iNS9_4plusIvEENS9_8equal_toIvEEiEE10hipError_tPvRmT2_T3_T4_T5_mT6_T7_P12ihipStream_tbENKUlT_T0_E_clISt17integral_constantIbLb0EESZ_EEDaSU_SV_EUlSU_E_NS1_11comp_targetILNS1_3genE8ELNS1_11target_archE1030ELNS1_3gpuE2ELNS1_3repE0EEENS1_30default_config_static_selectorELNS0_4arch9wavefront6targetE0EEEvT1_, .Lfunc_end130-_ZN7rocprim17ROCPRIM_400000_NS6detail17trampoline_kernelINS0_14default_configENS1_27scan_by_key_config_selectorIiiEEZZNS1_16scan_by_key_implILNS1_25lookback_scan_determinismE0ELb0ES3_N6thrust23THRUST_200600_302600_NS6detail15normal_iteratorINS9_10device_ptrIiEEEESE_SE_iNS9_4plusIvEENS9_8equal_toIvEEiEE10hipError_tPvRmT2_T3_T4_T5_mT6_T7_P12ihipStream_tbENKUlT_T0_E_clISt17integral_constantIbLb0EESZ_EEDaSU_SV_EUlSU_E_NS1_11comp_targetILNS1_3genE8ELNS1_11target_archE1030ELNS1_3gpuE2ELNS1_3repE0EEENS1_30default_config_static_selectorELNS0_4arch9wavefront6targetE0EEEvT1_
                                        ; -- End function
	.set _ZN7rocprim17ROCPRIM_400000_NS6detail17trampoline_kernelINS0_14default_configENS1_27scan_by_key_config_selectorIiiEEZZNS1_16scan_by_key_implILNS1_25lookback_scan_determinismE0ELb0ES3_N6thrust23THRUST_200600_302600_NS6detail15normal_iteratorINS9_10device_ptrIiEEEESE_SE_iNS9_4plusIvEENS9_8equal_toIvEEiEE10hipError_tPvRmT2_T3_T4_T5_mT6_T7_P12ihipStream_tbENKUlT_T0_E_clISt17integral_constantIbLb0EESZ_EEDaSU_SV_EUlSU_E_NS1_11comp_targetILNS1_3genE8ELNS1_11target_archE1030ELNS1_3gpuE2ELNS1_3repE0EEENS1_30default_config_static_selectorELNS0_4arch9wavefront6targetE0EEEvT1_.num_vgpr, 42
	.set _ZN7rocprim17ROCPRIM_400000_NS6detail17trampoline_kernelINS0_14default_configENS1_27scan_by_key_config_selectorIiiEEZZNS1_16scan_by_key_implILNS1_25lookback_scan_determinismE0ELb0ES3_N6thrust23THRUST_200600_302600_NS6detail15normal_iteratorINS9_10device_ptrIiEEEESE_SE_iNS9_4plusIvEENS9_8equal_toIvEEiEE10hipError_tPvRmT2_T3_T4_T5_mT6_T7_P12ihipStream_tbENKUlT_T0_E_clISt17integral_constantIbLb0EESZ_EEDaSU_SV_EUlSU_E_NS1_11comp_targetILNS1_3genE8ELNS1_11target_archE1030ELNS1_3gpuE2ELNS1_3repE0EEENS1_30default_config_static_selectorELNS0_4arch9wavefront6targetE0EEEvT1_.num_agpr, 0
	.set _ZN7rocprim17ROCPRIM_400000_NS6detail17trampoline_kernelINS0_14default_configENS1_27scan_by_key_config_selectorIiiEEZZNS1_16scan_by_key_implILNS1_25lookback_scan_determinismE0ELb0ES3_N6thrust23THRUST_200600_302600_NS6detail15normal_iteratorINS9_10device_ptrIiEEEESE_SE_iNS9_4plusIvEENS9_8equal_toIvEEiEE10hipError_tPvRmT2_T3_T4_T5_mT6_T7_P12ihipStream_tbENKUlT_T0_E_clISt17integral_constantIbLb0EESZ_EEDaSU_SV_EUlSU_E_NS1_11comp_targetILNS1_3genE8ELNS1_11target_archE1030ELNS1_3gpuE2ELNS1_3repE0EEENS1_30default_config_static_selectorELNS0_4arch9wavefront6targetE0EEEvT1_.numbered_sgpr, 31
	.set _ZN7rocprim17ROCPRIM_400000_NS6detail17trampoline_kernelINS0_14default_configENS1_27scan_by_key_config_selectorIiiEEZZNS1_16scan_by_key_implILNS1_25lookback_scan_determinismE0ELb0ES3_N6thrust23THRUST_200600_302600_NS6detail15normal_iteratorINS9_10device_ptrIiEEEESE_SE_iNS9_4plusIvEENS9_8equal_toIvEEiEE10hipError_tPvRmT2_T3_T4_T5_mT6_T7_P12ihipStream_tbENKUlT_T0_E_clISt17integral_constantIbLb0EESZ_EEDaSU_SV_EUlSU_E_NS1_11comp_targetILNS1_3genE8ELNS1_11target_archE1030ELNS1_3gpuE2ELNS1_3repE0EEENS1_30default_config_static_selectorELNS0_4arch9wavefront6targetE0EEEvT1_.num_named_barrier, 0
	.set _ZN7rocprim17ROCPRIM_400000_NS6detail17trampoline_kernelINS0_14default_configENS1_27scan_by_key_config_selectorIiiEEZZNS1_16scan_by_key_implILNS1_25lookback_scan_determinismE0ELb0ES3_N6thrust23THRUST_200600_302600_NS6detail15normal_iteratorINS9_10device_ptrIiEEEESE_SE_iNS9_4plusIvEENS9_8equal_toIvEEiEE10hipError_tPvRmT2_T3_T4_T5_mT6_T7_P12ihipStream_tbENKUlT_T0_E_clISt17integral_constantIbLb0EESZ_EEDaSU_SV_EUlSU_E_NS1_11comp_targetILNS1_3genE8ELNS1_11target_archE1030ELNS1_3gpuE2ELNS1_3repE0EEENS1_30default_config_static_selectorELNS0_4arch9wavefront6targetE0EEEvT1_.private_seg_size, 0
	.set _ZN7rocprim17ROCPRIM_400000_NS6detail17trampoline_kernelINS0_14default_configENS1_27scan_by_key_config_selectorIiiEEZZNS1_16scan_by_key_implILNS1_25lookback_scan_determinismE0ELb0ES3_N6thrust23THRUST_200600_302600_NS6detail15normal_iteratorINS9_10device_ptrIiEEEESE_SE_iNS9_4plusIvEENS9_8equal_toIvEEiEE10hipError_tPvRmT2_T3_T4_T5_mT6_T7_P12ihipStream_tbENKUlT_T0_E_clISt17integral_constantIbLb0EESZ_EEDaSU_SV_EUlSU_E_NS1_11comp_targetILNS1_3genE8ELNS1_11target_archE1030ELNS1_3gpuE2ELNS1_3repE0EEENS1_30default_config_static_selectorELNS0_4arch9wavefront6targetE0EEEvT1_.uses_vcc, 1
	.set _ZN7rocprim17ROCPRIM_400000_NS6detail17trampoline_kernelINS0_14default_configENS1_27scan_by_key_config_selectorIiiEEZZNS1_16scan_by_key_implILNS1_25lookback_scan_determinismE0ELb0ES3_N6thrust23THRUST_200600_302600_NS6detail15normal_iteratorINS9_10device_ptrIiEEEESE_SE_iNS9_4plusIvEENS9_8equal_toIvEEiEE10hipError_tPvRmT2_T3_T4_T5_mT6_T7_P12ihipStream_tbENKUlT_T0_E_clISt17integral_constantIbLb0EESZ_EEDaSU_SV_EUlSU_E_NS1_11comp_targetILNS1_3genE8ELNS1_11target_archE1030ELNS1_3gpuE2ELNS1_3repE0EEENS1_30default_config_static_selectorELNS0_4arch9wavefront6targetE0EEEvT1_.uses_flat_scratch, 1
	.set _ZN7rocprim17ROCPRIM_400000_NS6detail17trampoline_kernelINS0_14default_configENS1_27scan_by_key_config_selectorIiiEEZZNS1_16scan_by_key_implILNS1_25lookback_scan_determinismE0ELb0ES3_N6thrust23THRUST_200600_302600_NS6detail15normal_iteratorINS9_10device_ptrIiEEEESE_SE_iNS9_4plusIvEENS9_8equal_toIvEEiEE10hipError_tPvRmT2_T3_T4_T5_mT6_T7_P12ihipStream_tbENKUlT_T0_E_clISt17integral_constantIbLb0EESZ_EEDaSU_SV_EUlSU_E_NS1_11comp_targetILNS1_3genE8ELNS1_11target_archE1030ELNS1_3gpuE2ELNS1_3repE0EEENS1_30default_config_static_selectorELNS0_4arch9wavefront6targetE0EEEvT1_.has_dyn_sized_stack, 0
	.set _ZN7rocprim17ROCPRIM_400000_NS6detail17trampoline_kernelINS0_14default_configENS1_27scan_by_key_config_selectorIiiEEZZNS1_16scan_by_key_implILNS1_25lookback_scan_determinismE0ELb0ES3_N6thrust23THRUST_200600_302600_NS6detail15normal_iteratorINS9_10device_ptrIiEEEESE_SE_iNS9_4plusIvEENS9_8equal_toIvEEiEE10hipError_tPvRmT2_T3_T4_T5_mT6_T7_P12ihipStream_tbENKUlT_T0_E_clISt17integral_constantIbLb0EESZ_EEDaSU_SV_EUlSU_E_NS1_11comp_targetILNS1_3genE8ELNS1_11target_archE1030ELNS1_3gpuE2ELNS1_3repE0EEENS1_30default_config_static_selectorELNS0_4arch9wavefront6targetE0EEEvT1_.has_recursion, 0
	.set _ZN7rocprim17ROCPRIM_400000_NS6detail17trampoline_kernelINS0_14default_configENS1_27scan_by_key_config_selectorIiiEEZZNS1_16scan_by_key_implILNS1_25lookback_scan_determinismE0ELb0ES3_N6thrust23THRUST_200600_302600_NS6detail15normal_iteratorINS9_10device_ptrIiEEEESE_SE_iNS9_4plusIvEENS9_8equal_toIvEEiEE10hipError_tPvRmT2_T3_T4_T5_mT6_T7_P12ihipStream_tbENKUlT_T0_E_clISt17integral_constantIbLb0EESZ_EEDaSU_SV_EUlSU_E_NS1_11comp_targetILNS1_3genE8ELNS1_11target_archE1030ELNS1_3gpuE2ELNS1_3repE0EEENS1_30default_config_static_selectorELNS0_4arch9wavefront6targetE0EEEvT1_.has_indirect_call, 0
	.section	.AMDGPU.csdata,"",@progbits
; Kernel info:
; codeLenInByte = 6228
; TotalNumSgprs: 33
; NumVgprs: 42
; ScratchSize: 0
; MemoryBound: 0
; FloatMode: 240
; IeeeMode: 1
; LDSByteSize: 5120 bytes/workgroup (compile time only)
; SGPRBlocks: 0
; VGPRBlocks: 5
; NumSGPRsForWavesPerEU: 33
; NumVGPRsForWavesPerEU: 42
; Occupancy: 16
; WaveLimiterHint : 1
; COMPUTE_PGM_RSRC2:SCRATCH_EN: 0
; COMPUTE_PGM_RSRC2:USER_SGPR: 6
; COMPUTE_PGM_RSRC2:TRAP_HANDLER: 0
; COMPUTE_PGM_RSRC2:TGID_X_EN: 1
; COMPUTE_PGM_RSRC2:TGID_Y_EN: 0
; COMPUTE_PGM_RSRC2:TGID_Z_EN: 0
; COMPUTE_PGM_RSRC2:TIDIG_COMP_CNT: 0
	.section	.text._ZN7rocprim17ROCPRIM_400000_NS6detail30init_device_scan_by_key_kernelINS1_19lookback_scan_stateINS0_5tupleIJibEEELb1ELb1EEEN6thrust23THRUST_200600_302600_NS6detail15normal_iteratorINS8_10device_ptrIiEEEEjNS1_16block_id_wrapperIjLb1EEEEEvT_jjPNSG_10value_typeET0_PNSt15iterator_traitsISJ_E10value_typeEmT1_T2_,"axG",@progbits,_ZN7rocprim17ROCPRIM_400000_NS6detail30init_device_scan_by_key_kernelINS1_19lookback_scan_stateINS0_5tupleIJibEEELb1ELb1EEEN6thrust23THRUST_200600_302600_NS6detail15normal_iteratorINS8_10device_ptrIiEEEEjNS1_16block_id_wrapperIjLb1EEEEEvT_jjPNSG_10value_typeET0_PNSt15iterator_traitsISJ_E10value_typeEmT1_T2_,comdat
	.protected	_ZN7rocprim17ROCPRIM_400000_NS6detail30init_device_scan_by_key_kernelINS1_19lookback_scan_stateINS0_5tupleIJibEEELb1ELb1EEEN6thrust23THRUST_200600_302600_NS6detail15normal_iteratorINS8_10device_ptrIiEEEEjNS1_16block_id_wrapperIjLb1EEEEEvT_jjPNSG_10value_typeET0_PNSt15iterator_traitsISJ_E10value_typeEmT1_T2_ ; -- Begin function _ZN7rocprim17ROCPRIM_400000_NS6detail30init_device_scan_by_key_kernelINS1_19lookback_scan_stateINS0_5tupleIJibEEELb1ELb1EEEN6thrust23THRUST_200600_302600_NS6detail15normal_iteratorINS8_10device_ptrIiEEEEjNS1_16block_id_wrapperIjLb1EEEEEvT_jjPNSG_10value_typeET0_PNSt15iterator_traitsISJ_E10value_typeEmT1_T2_
	.globl	_ZN7rocprim17ROCPRIM_400000_NS6detail30init_device_scan_by_key_kernelINS1_19lookback_scan_stateINS0_5tupleIJibEEELb1ELb1EEEN6thrust23THRUST_200600_302600_NS6detail15normal_iteratorINS8_10device_ptrIiEEEEjNS1_16block_id_wrapperIjLb1EEEEEvT_jjPNSG_10value_typeET0_PNSt15iterator_traitsISJ_E10value_typeEmT1_T2_
	.p2align	8
	.type	_ZN7rocprim17ROCPRIM_400000_NS6detail30init_device_scan_by_key_kernelINS1_19lookback_scan_stateINS0_5tupleIJibEEELb1ELb1EEEN6thrust23THRUST_200600_302600_NS6detail15normal_iteratorINS8_10device_ptrIiEEEEjNS1_16block_id_wrapperIjLb1EEEEEvT_jjPNSG_10value_typeET0_PNSt15iterator_traitsISJ_E10value_typeEmT1_T2_,@function
_ZN7rocprim17ROCPRIM_400000_NS6detail30init_device_scan_by_key_kernelINS1_19lookback_scan_stateINS0_5tupleIJibEEELb1ELb1EEEN6thrust23THRUST_200600_302600_NS6detail15normal_iteratorINS8_10device_ptrIiEEEEjNS1_16block_id_wrapperIjLb1EEEEEvT_jjPNSG_10value_typeET0_PNSt15iterator_traitsISJ_E10value_typeEmT1_T2_: ; @_ZN7rocprim17ROCPRIM_400000_NS6detail30init_device_scan_by_key_kernelINS1_19lookback_scan_stateINS0_5tupleIJibEEELb1ELb1EEEN6thrust23THRUST_200600_302600_NS6detail15normal_iteratorINS8_10device_ptrIiEEEEjNS1_16block_id_wrapperIjLb1EEEEEvT_jjPNSG_10value_typeET0_PNSt15iterator_traitsISJ_E10value_typeEmT1_T2_
; %bb.0:
	s_clause 0x2
	s_load_dword s0, s[4:5], 0x4c
	s_load_dwordx8 s[8:15], s[4:5], 0x0
	s_load_dword s7, s[4:5], 0x40
	s_waitcnt lgkmcnt(0)
	s_and_b32 s16, s0, 0xffff
	s_cmp_eq_u64 s[12:13], 0
	v_mad_u64_u32 v[4:5], null, s6, s16, v[0:1]
	s_cbranch_scc1 .LBB131_10
; %bb.1:
	s_cmp_lt_u32 s11, s10
	s_mov_b32 s1, 0
	s_cselect_b32 s0, s11, 0
	s_mov_b32 s2, exec_lo
	v_cmpx_eq_u32_e64 s0, v4
	s_cbranch_execz .LBB131_9
; %bb.2:
	s_add_i32 s0, s11, 32
	v_mov_b32_e32 v6, 0
	s_lshl_b64 s[0:1], s[0:1], 4
	s_mov_b32 s3, exec_lo
	s_add_u32 s0, s8, s0
	s_addc_u32 s1, s9, s1
	v_mov_b32_e32 v0, s0
	v_mov_b32_e32 v1, s1
	;;#ASMSTART
	global_load_dwordx4 v[0:3], v[0:1] off glc dlc	
s_waitcnt vmcnt(0)
	;;#ASMEND
	v_and_b32_e32 v5, 0xff, v2
	v_cmpx_eq_u64_e32 0, v[5:6]
	s_cbranch_execz .LBB131_8
; %bb.3:
	v_mov_b32_e32 v8, s1
	v_mov_b32_e32 v7, s0
	s_mov_b32 s1, 1
	s_mov_b32 s0, 0
	.p2align	6
.LBB131_4:                              ; =>This Loop Header: Depth=1
                                        ;     Child Loop BB131_5 Depth 2
	s_mov_b32 s6, s1
.LBB131_5:                              ;   Parent Loop BB131_4 Depth=1
                                        ; =>  This Inner Loop Header: Depth=2
	s_add_i32 s6, s6, -1
	s_sleep 1
	s_cmp_eq_u32 s6, 0
	s_cbranch_scc0 .LBB131_5
; %bb.6:                                ;   in Loop: Header=BB131_4 Depth=1
	;;#ASMSTART
	global_load_dwordx4 v[0:3], v[7:8] off glc dlc	
s_waitcnt vmcnt(0)
	;;#ASMEND
	v_and_b32_e32 v5, 0xff, v2
	s_cmp_lt_u32 s1, 32
	s_cselect_b32 s6, -1, 0
	v_cmp_ne_u64_e32 vcc_lo, 0, v[5:6]
	s_cmp_lg_u32 s6, 0
	s_addc_u32 s1, s1, 0
	s_or_b32 s0, vcc_lo, s0
	s_andn2_b32 exec_lo, exec_lo, s0
	s_cbranch_execnz .LBB131_4
; %bb.7:
	s_or_b32 exec_lo, exec_lo, s0
.LBB131_8:
	s_or_b32 exec_lo, exec_lo, s3
	v_mov_b32_e32 v2, 0
	global_store_dword v2, v0, s[12:13]
	global_store_byte v2, v1, s[12:13] offset:4
.LBB131_9:
	s_or_b32 exec_lo, exec_lo, s2
.LBB131_10:
	s_mov_b32 s0, exec_lo
	v_cmpx_eq_u32_e32 0, v4
	s_cbranch_execz .LBB131_12
; %bb.11:
	s_load_dwordx2 s[2:3], s[4:5], 0x38
	v_mov_b32_e32 v0, 0
	s_waitcnt lgkmcnt(0)
	global_store_dword v0, v0, s[2:3]
.LBB131_12:
	s_or_b32 exec_lo, exec_lo, s0
	s_mov_b32 s0, exec_lo
	v_cmpx_gt_u32_e64 s10, v4
	s_cbranch_execz .LBB131_14
; %bb.13:
	v_add_nc_u32_e32 v0, 32, v4
	v_mov_b32_e32 v1, 0
	v_lshlrev_b64 v[5:6], 4, v[0:1]
	v_mov_b32_e32 v0, v1
	v_mov_b32_e32 v2, v1
	;; [unrolled: 1-line block ×3, first 2 shown]
	v_add_co_u32 v5, vcc_lo, s8, v5
	v_add_co_ci_u32_e64 v6, null, s9, v6, vcc_lo
	global_store_dwordx4 v[5:6], v[0:3], off
.LBB131_14:
	s_or_b32 exec_lo, exec_lo, s0
	v_mov_b32_e32 v5, 0
	s_mov_b32 s0, exec_lo
	v_cmpx_gt_u32_e32 32, v4
	s_cbranch_execz .LBB131_16
; %bb.15:
	v_lshlrev_b64 v[6:7], 4, v[4:5]
	v_mov_b32_e32 v2, 0xff
	v_mov_b32_e32 v0, v5
	v_mov_b32_e32 v1, v5
	v_mov_b32_e32 v3, v5
	v_add_co_u32 v6, vcc_lo, s8, v6
	v_add_co_ci_u32_e64 v7, null, s9, v7, vcc_lo
	global_store_dwordx4 v[6:7], v[0:3], off
.LBB131_16:
	s_or_b32 exec_lo, exec_lo, s0
	s_load_dwordx2 s[2:3], s[4:5], 0x28
	s_mov_b32 s0, exec_lo
	s_waitcnt lgkmcnt(0)
	v_cmpx_gt_u64_e64 s[2:3], v[4:5]
	s_cbranch_execz .LBB131_19
; %bb.17:
	s_clause 0x1
	s_load_dword s6, s[4:5], 0x30
	s_load_dwordx2 s[8:9], s[4:5], 0x20
	s_mov_b32 s1, 0
	v_lshlrev_b64 v[2:3], 2, v[4:5]
	s_mul_i32 s4, s7, s16
	s_waitcnt lgkmcnt(0)
	v_mad_u64_u32 v[0:1], null, s6, v4, 0
	s_add_i32 s0, s6, -1
	s_mul_hi_u32 s7, s6, s4
	s_lshl_b64 s[10:11], s[0:1], 2
	s_mul_i32 s6, s6, s4
	s_add_u32 s0, s14, s10
	s_addc_u32 s5, s15, s11
	v_lshlrev_b64 v[0:1], 2, v[0:1]
	s_lshl_b64 s[6:7], s[6:7], 2
	v_add_co_u32 v0, vcc_lo, s0, v0
	v_add_co_ci_u32_e64 v1, null, s5, v1, vcc_lo
	v_add_co_u32 v2, vcc_lo, s8, v2
	v_add_co_ci_u32_e64 v3, null, s9, v3, vcc_lo
	s_mov_b32 s5, s1
	s_lshl_b64 s[8:9], s[4:5], 2
	.p2align	6
.LBB131_18:                             ; =>This Inner Loop Header: Depth=1
	global_load_dword v6, v[0:1], off
	v_add_co_u32 v4, vcc_lo, v4, s4
	v_add_co_ci_u32_e64 v5, null, 0, v5, vcc_lo
	v_add_co_u32 v0, vcc_lo, v0, s6
	v_add_co_ci_u32_e64 v1, null, s7, v1, vcc_lo
	v_cmp_le_u64_e32 vcc_lo, s[2:3], v[4:5]
	s_or_b32 s1, vcc_lo, s1
	s_waitcnt vmcnt(0)
	global_store_dword v[2:3], v6, off
	v_add_co_u32 v2, s0, v2, s8
	v_add_co_ci_u32_e64 v3, null, s9, v3, s0
	s_andn2_b32 exec_lo, exec_lo, s1
	s_cbranch_execnz .LBB131_18
.LBB131_19:
	s_endpgm
	.section	.rodata,"a",@progbits
	.p2align	6, 0x0
	.amdhsa_kernel _ZN7rocprim17ROCPRIM_400000_NS6detail30init_device_scan_by_key_kernelINS1_19lookback_scan_stateINS0_5tupleIJibEEELb1ELb1EEEN6thrust23THRUST_200600_302600_NS6detail15normal_iteratorINS8_10device_ptrIiEEEEjNS1_16block_id_wrapperIjLb1EEEEEvT_jjPNSG_10value_typeET0_PNSt15iterator_traitsISJ_E10value_typeEmT1_T2_
		.amdhsa_group_segment_fixed_size 0
		.amdhsa_private_segment_fixed_size 0
		.amdhsa_kernarg_size 320
		.amdhsa_user_sgpr_count 6
		.amdhsa_user_sgpr_private_segment_buffer 1
		.amdhsa_user_sgpr_dispatch_ptr 0
		.amdhsa_user_sgpr_queue_ptr 0
		.amdhsa_user_sgpr_kernarg_segment_ptr 1
		.amdhsa_user_sgpr_dispatch_id 0
		.amdhsa_user_sgpr_flat_scratch_init 0
		.amdhsa_user_sgpr_private_segment_size 0
		.amdhsa_wavefront_size32 1
		.amdhsa_uses_dynamic_stack 0
		.amdhsa_system_sgpr_private_segment_wavefront_offset 0
		.amdhsa_system_sgpr_workgroup_id_x 1
		.amdhsa_system_sgpr_workgroup_id_y 0
		.amdhsa_system_sgpr_workgroup_id_z 0
		.amdhsa_system_sgpr_workgroup_info 0
		.amdhsa_system_vgpr_workitem_id 0
		.amdhsa_next_free_vgpr 9
		.amdhsa_next_free_sgpr 17
		.amdhsa_reserve_vcc 1
		.amdhsa_reserve_flat_scratch 0
		.amdhsa_float_round_mode_32 0
		.amdhsa_float_round_mode_16_64 0
		.amdhsa_float_denorm_mode_32 3
		.amdhsa_float_denorm_mode_16_64 3
		.amdhsa_dx10_clamp 1
		.amdhsa_ieee_mode 1
		.amdhsa_fp16_overflow 0
		.amdhsa_workgroup_processor_mode 1
		.amdhsa_memory_ordered 1
		.amdhsa_forward_progress 1
		.amdhsa_shared_vgpr_count 0
		.amdhsa_exception_fp_ieee_invalid_op 0
		.amdhsa_exception_fp_denorm_src 0
		.amdhsa_exception_fp_ieee_div_zero 0
		.amdhsa_exception_fp_ieee_overflow 0
		.amdhsa_exception_fp_ieee_underflow 0
		.amdhsa_exception_fp_ieee_inexact 0
		.amdhsa_exception_int_div_zero 0
	.end_amdhsa_kernel
	.section	.text._ZN7rocprim17ROCPRIM_400000_NS6detail30init_device_scan_by_key_kernelINS1_19lookback_scan_stateINS0_5tupleIJibEEELb1ELb1EEEN6thrust23THRUST_200600_302600_NS6detail15normal_iteratorINS8_10device_ptrIiEEEEjNS1_16block_id_wrapperIjLb1EEEEEvT_jjPNSG_10value_typeET0_PNSt15iterator_traitsISJ_E10value_typeEmT1_T2_,"axG",@progbits,_ZN7rocprim17ROCPRIM_400000_NS6detail30init_device_scan_by_key_kernelINS1_19lookback_scan_stateINS0_5tupleIJibEEELb1ELb1EEEN6thrust23THRUST_200600_302600_NS6detail15normal_iteratorINS8_10device_ptrIiEEEEjNS1_16block_id_wrapperIjLb1EEEEEvT_jjPNSG_10value_typeET0_PNSt15iterator_traitsISJ_E10value_typeEmT1_T2_,comdat
.Lfunc_end131:
	.size	_ZN7rocprim17ROCPRIM_400000_NS6detail30init_device_scan_by_key_kernelINS1_19lookback_scan_stateINS0_5tupleIJibEEELb1ELb1EEEN6thrust23THRUST_200600_302600_NS6detail15normal_iteratorINS8_10device_ptrIiEEEEjNS1_16block_id_wrapperIjLb1EEEEEvT_jjPNSG_10value_typeET0_PNSt15iterator_traitsISJ_E10value_typeEmT1_T2_, .Lfunc_end131-_ZN7rocprim17ROCPRIM_400000_NS6detail30init_device_scan_by_key_kernelINS1_19lookback_scan_stateINS0_5tupleIJibEEELb1ELb1EEEN6thrust23THRUST_200600_302600_NS6detail15normal_iteratorINS8_10device_ptrIiEEEEjNS1_16block_id_wrapperIjLb1EEEEEvT_jjPNSG_10value_typeET0_PNSt15iterator_traitsISJ_E10value_typeEmT1_T2_
                                        ; -- End function
	.set _ZN7rocprim17ROCPRIM_400000_NS6detail30init_device_scan_by_key_kernelINS1_19lookback_scan_stateINS0_5tupleIJibEEELb1ELb1EEEN6thrust23THRUST_200600_302600_NS6detail15normal_iteratorINS8_10device_ptrIiEEEEjNS1_16block_id_wrapperIjLb1EEEEEvT_jjPNSG_10value_typeET0_PNSt15iterator_traitsISJ_E10value_typeEmT1_T2_.num_vgpr, 9
	.set _ZN7rocprim17ROCPRIM_400000_NS6detail30init_device_scan_by_key_kernelINS1_19lookback_scan_stateINS0_5tupleIJibEEELb1ELb1EEEN6thrust23THRUST_200600_302600_NS6detail15normal_iteratorINS8_10device_ptrIiEEEEjNS1_16block_id_wrapperIjLb1EEEEEvT_jjPNSG_10value_typeET0_PNSt15iterator_traitsISJ_E10value_typeEmT1_T2_.num_agpr, 0
	.set _ZN7rocprim17ROCPRIM_400000_NS6detail30init_device_scan_by_key_kernelINS1_19lookback_scan_stateINS0_5tupleIJibEEELb1ELb1EEEN6thrust23THRUST_200600_302600_NS6detail15normal_iteratorINS8_10device_ptrIiEEEEjNS1_16block_id_wrapperIjLb1EEEEEvT_jjPNSG_10value_typeET0_PNSt15iterator_traitsISJ_E10value_typeEmT1_T2_.numbered_sgpr, 17
	.set _ZN7rocprim17ROCPRIM_400000_NS6detail30init_device_scan_by_key_kernelINS1_19lookback_scan_stateINS0_5tupleIJibEEELb1ELb1EEEN6thrust23THRUST_200600_302600_NS6detail15normal_iteratorINS8_10device_ptrIiEEEEjNS1_16block_id_wrapperIjLb1EEEEEvT_jjPNSG_10value_typeET0_PNSt15iterator_traitsISJ_E10value_typeEmT1_T2_.num_named_barrier, 0
	.set _ZN7rocprim17ROCPRIM_400000_NS6detail30init_device_scan_by_key_kernelINS1_19lookback_scan_stateINS0_5tupleIJibEEELb1ELb1EEEN6thrust23THRUST_200600_302600_NS6detail15normal_iteratorINS8_10device_ptrIiEEEEjNS1_16block_id_wrapperIjLb1EEEEEvT_jjPNSG_10value_typeET0_PNSt15iterator_traitsISJ_E10value_typeEmT1_T2_.private_seg_size, 0
	.set _ZN7rocprim17ROCPRIM_400000_NS6detail30init_device_scan_by_key_kernelINS1_19lookback_scan_stateINS0_5tupleIJibEEELb1ELb1EEEN6thrust23THRUST_200600_302600_NS6detail15normal_iteratorINS8_10device_ptrIiEEEEjNS1_16block_id_wrapperIjLb1EEEEEvT_jjPNSG_10value_typeET0_PNSt15iterator_traitsISJ_E10value_typeEmT1_T2_.uses_vcc, 1
	.set _ZN7rocprim17ROCPRIM_400000_NS6detail30init_device_scan_by_key_kernelINS1_19lookback_scan_stateINS0_5tupleIJibEEELb1ELb1EEEN6thrust23THRUST_200600_302600_NS6detail15normal_iteratorINS8_10device_ptrIiEEEEjNS1_16block_id_wrapperIjLb1EEEEEvT_jjPNSG_10value_typeET0_PNSt15iterator_traitsISJ_E10value_typeEmT1_T2_.uses_flat_scratch, 0
	.set _ZN7rocprim17ROCPRIM_400000_NS6detail30init_device_scan_by_key_kernelINS1_19lookback_scan_stateINS0_5tupleIJibEEELb1ELb1EEEN6thrust23THRUST_200600_302600_NS6detail15normal_iteratorINS8_10device_ptrIiEEEEjNS1_16block_id_wrapperIjLb1EEEEEvT_jjPNSG_10value_typeET0_PNSt15iterator_traitsISJ_E10value_typeEmT1_T2_.has_dyn_sized_stack, 0
	.set _ZN7rocprim17ROCPRIM_400000_NS6detail30init_device_scan_by_key_kernelINS1_19lookback_scan_stateINS0_5tupleIJibEEELb1ELb1EEEN6thrust23THRUST_200600_302600_NS6detail15normal_iteratorINS8_10device_ptrIiEEEEjNS1_16block_id_wrapperIjLb1EEEEEvT_jjPNSG_10value_typeET0_PNSt15iterator_traitsISJ_E10value_typeEmT1_T2_.has_recursion, 0
	.set _ZN7rocprim17ROCPRIM_400000_NS6detail30init_device_scan_by_key_kernelINS1_19lookback_scan_stateINS0_5tupleIJibEEELb1ELb1EEEN6thrust23THRUST_200600_302600_NS6detail15normal_iteratorINS8_10device_ptrIiEEEEjNS1_16block_id_wrapperIjLb1EEEEEvT_jjPNSG_10value_typeET0_PNSt15iterator_traitsISJ_E10value_typeEmT1_T2_.has_indirect_call, 0
	.section	.AMDGPU.csdata,"",@progbits
; Kernel info:
; codeLenInByte = 792
; TotalNumSgprs: 19
; NumVgprs: 9
; ScratchSize: 0
; MemoryBound: 0
; FloatMode: 240
; IeeeMode: 1
; LDSByteSize: 0 bytes/workgroup (compile time only)
; SGPRBlocks: 0
; VGPRBlocks: 1
; NumSGPRsForWavesPerEU: 19
; NumVGPRsForWavesPerEU: 9
; Occupancy: 16
; WaveLimiterHint : 0
; COMPUTE_PGM_RSRC2:SCRATCH_EN: 0
; COMPUTE_PGM_RSRC2:USER_SGPR: 6
; COMPUTE_PGM_RSRC2:TRAP_HANDLER: 0
; COMPUTE_PGM_RSRC2:TGID_X_EN: 1
; COMPUTE_PGM_RSRC2:TGID_Y_EN: 0
; COMPUTE_PGM_RSRC2:TGID_Z_EN: 0
; COMPUTE_PGM_RSRC2:TIDIG_COMP_CNT: 0
	.section	.text._ZN7rocprim17ROCPRIM_400000_NS6detail30init_device_scan_by_key_kernelINS1_19lookback_scan_stateINS0_5tupleIJibEEELb1ELb1EEENS1_16block_id_wrapperIjLb1EEEEEvT_jjPNS9_10value_typeET0_,"axG",@progbits,_ZN7rocprim17ROCPRIM_400000_NS6detail30init_device_scan_by_key_kernelINS1_19lookback_scan_stateINS0_5tupleIJibEEELb1ELb1EEENS1_16block_id_wrapperIjLb1EEEEEvT_jjPNS9_10value_typeET0_,comdat
	.protected	_ZN7rocprim17ROCPRIM_400000_NS6detail30init_device_scan_by_key_kernelINS1_19lookback_scan_stateINS0_5tupleIJibEEELb1ELb1EEENS1_16block_id_wrapperIjLb1EEEEEvT_jjPNS9_10value_typeET0_ ; -- Begin function _ZN7rocprim17ROCPRIM_400000_NS6detail30init_device_scan_by_key_kernelINS1_19lookback_scan_stateINS0_5tupleIJibEEELb1ELb1EEENS1_16block_id_wrapperIjLb1EEEEEvT_jjPNS9_10value_typeET0_
	.globl	_ZN7rocprim17ROCPRIM_400000_NS6detail30init_device_scan_by_key_kernelINS1_19lookback_scan_stateINS0_5tupleIJibEEELb1ELb1EEENS1_16block_id_wrapperIjLb1EEEEEvT_jjPNS9_10value_typeET0_
	.p2align	8
	.type	_ZN7rocprim17ROCPRIM_400000_NS6detail30init_device_scan_by_key_kernelINS1_19lookback_scan_stateINS0_5tupleIJibEEELb1ELb1EEENS1_16block_id_wrapperIjLb1EEEEEvT_jjPNS9_10value_typeET0_,@function
_ZN7rocprim17ROCPRIM_400000_NS6detail30init_device_scan_by_key_kernelINS1_19lookback_scan_stateINS0_5tupleIJibEEELb1ELb1EEENS1_16block_id_wrapperIjLb1EEEEEvT_jjPNS9_10value_typeET0_: ; @_ZN7rocprim17ROCPRIM_400000_NS6detail30init_device_scan_by_key_kernelINS1_19lookback_scan_stateINS0_5tupleIJibEEELb1ELb1EEENS1_16block_id_wrapperIjLb1EEEEEvT_jjPNS9_10value_typeET0_
; %bb.0:
	s_clause 0x1
	s_load_dword s0, s[4:5], 0x2c
	s_load_dwordx8 s[8:15], s[4:5], 0x0
	s_waitcnt lgkmcnt(0)
	s_and_b32 s0, s0, 0xffff
	s_cmp_eq_u64 s[12:13], 0
	v_mad_u64_u32 v[0:1], null, s6, s0, v[0:1]
	s_cbranch_scc1 .LBB132_10
; %bb.1:
	s_cmp_lt_u32 s11, s10
	s_mov_b32 s1, 0
	s_cselect_b32 s0, s11, 0
	s_mov_b32 s2, exec_lo
	v_cmpx_eq_u32_e64 s0, v0
	s_cbranch_execz .LBB132_9
; %bb.2:
	s_add_i32 s0, s11, 32
	v_mov_b32_e32 v5, 0
	s_lshl_b64 s[0:1], s[0:1], 4
	s_mov_b32 s3, exec_lo
	s_add_u32 s0, s8, s0
	s_addc_u32 s1, s9, s1
	v_mov_b32_e32 v2, s1
	v_mov_b32_e32 v1, s0
	;;#ASMSTART
	global_load_dwordx4 v[1:4], v[1:2] off glc dlc	
s_waitcnt vmcnt(0)
	;;#ASMEND
	v_and_b32_e32 v4, 0xff, v3
	v_cmpx_eq_u64_e32 0, v[4:5]
	s_cbranch_execz .LBB132_8
; %bb.3:
	v_mov_b32_e32 v7, s1
	v_mov_b32_e32 v6, s0
	s_mov_b32 s1, 1
	s_mov_b32 s0, 0
	.p2align	6
.LBB132_4:                              ; =>This Loop Header: Depth=1
                                        ;     Child Loop BB132_5 Depth 2
	s_mov_b32 s4, s1
.LBB132_5:                              ;   Parent Loop BB132_4 Depth=1
                                        ; =>  This Inner Loop Header: Depth=2
	s_add_i32 s4, s4, -1
	s_sleep 1
	s_cmp_eq_u32 s4, 0
	s_cbranch_scc0 .LBB132_5
; %bb.6:                                ;   in Loop: Header=BB132_4 Depth=1
	;;#ASMSTART
	global_load_dwordx4 v[1:4], v[6:7] off glc dlc	
s_waitcnt vmcnt(0)
	;;#ASMEND
	v_and_b32_e32 v4, 0xff, v3
	s_cmp_lt_u32 s1, 32
	s_cselect_b32 s4, -1, 0
	s_cmp_lg_u32 s4, 0
	v_cmp_ne_u64_e32 vcc_lo, 0, v[4:5]
	s_addc_u32 s1, s1, 0
	s_or_b32 s0, vcc_lo, s0
	s_andn2_b32 exec_lo, exec_lo, s0
	s_cbranch_execnz .LBB132_4
; %bb.7:
	s_or_b32 exec_lo, exec_lo, s0
.LBB132_8:
	s_or_b32 exec_lo, exec_lo, s3
	v_mov_b32_e32 v3, 0
	global_store_dword v3, v1, s[12:13]
	global_store_byte v3, v2, s[12:13] offset:4
.LBB132_9:
	s_or_b32 exec_lo, exec_lo, s2
.LBB132_10:
	s_mov_b32 s0, exec_lo
	v_cmpx_eq_u32_e32 0, v0
	s_cbranch_execz .LBB132_12
; %bb.11:
	v_mov_b32_e32 v1, 0
	global_store_dword v1, v1, s[14:15]
.LBB132_12:
	s_or_b32 exec_lo, exec_lo, s0
	s_mov_b32 s0, exec_lo
	v_cmpx_gt_u32_e64 s10, v0
	s_cbranch_execz .LBB132_14
; %bb.13:
	v_add_nc_u32_e32 v1, 32, v0
	v_mov_b32_e32 v2, 0
	v_lshlrev_b64 v[4:5], 4, v[1:2]
	v_mov_b32_e32 v1, v2
	v_mov_b32_e32 v3, v2
	v_add_co_u32 v6, vcc_lo, s8, v4
	v_add_co_ci_u32_e64 v7, null, s9, v5, vcc_lo
	v_mov_b32_e32 v4, v2
	global_store_dwordx4 v[6:7], v[1:4], off
.LBB132_14:
	s_or_b32 exec_lo, exec_lo, s0
	s_mov_b32 s0, exec_lo
	v_cmpx_gt_u32_e32 32, v0
	s_cbranch_execz .LBB132_16
; %bb.15:
	v_mov_b32_e32 v1, 0
	v_mov_b32_e32 v2, 0xff
	v_lshlrev_b64 v[3:4], 4, v[0:1]
	v_mov_b32_e32 v0, v1
	v_add_co_u32 v5, vcc_lo, s8, v3
	v_add_co_ci_u32_e64 v6, null, s9, v4, vcc_lo
	v_mov_b32_e32 v3, v1
	global_store_dwordx4 v[5:6], v[0:3], off
.LBB132_16:
	s_endpgm
	.section	.rodata,"a",@progbits
	.p2align	6, 0x0
	.amdhsa_kernel _ZN7rocprim17ROCPRIM_400000_NS6detail30init_device_scan_by_key_kernelINS1_19lookback_scan_stateINS0_5tupleIJibEEELb1ELb1EEENS1_16block_id_wrapperIjLb1EEEEEvT_jjPNS9_10value_typeET0_
		.amdhsa_group_segment_fixed_size 0
		.amdhsa_private_segment_fixed_size 0
		.amdhsa_kernarg_size 288
		.amdhsa_user_sgpr_count 6
		.amdhsa_user_sgpr_private_segment_buffer 1
		.amdhsa_user_sgpr_dispatch_ptr 0
		.amdhsa_user_sgpr_queue_ptr 0
		.amdhsa_user_sgpr_kernarg_segment_ptr 1
		.amdhsa_user_sgpr_dispatch_id 0
		.amdhsa_user_sgpr_flat_scratch_init 0
		.amdhsa_user_sgpr_private_segment_size 0
		.amdhsa_wavefront_size32 1
		.amdhsa_uses_dynamic_stack 0
		.amdhsa_system_sgpr_private_segment_wavefront_offset 0
		.amdhsa_system_sgpr_workgroup_id_x 1
		.amdhsa_system_sgpr_workgroup_id_y 0
		.amdhsa_system_sgpr_workgroup_id_z 0
		.amdhsa_system_sgpr_workgroup_info 0
		.amdhsa_system_vgpr_workitem_id 0
		.amdhsa_next_free_vgpr 8
		.amdhsa_next_free_sgpr 16
		.amdhsa_reserve_vcc 1
		.amdhsa_reserve_flat_scratch 0
		.amdhsa_float_round_mode_32 0
		.amdhsa_float_round_mode_16_64 0
		.amdhsa_float_denorm_mode_32 3
		.amdhsa_float_denorm_mode_16_64 3
		.amdhsa_dx10_clamp 1
		.amdhsa_ieee_mode 1
		.amdhsa_fp16_overflow 0
		.amdhsa_workgroup_processor_mode 1
		.amdhsa_memory_ordered 1
		.amdhsa_forward_progress 1
		.amdhsa_shared_vgpr_count 0
		.amdhsa_exception_fp_ieee_invalid_op 0
		.amdhsa_exception_fp_denorm_src 0
		.amdhsa_exception_fp_ieee_div_zero 0
		.amdhsa_exception_fp_ieee_overflow 0
		.amdhsa_exception_fp_ieee_underflow 0
		.amdhsa_exception_fp_ieee_inexact 0
		.amdhsa_exception_int_div_zero 0
	.end_amdhsa_kernel
	.section	.text._ZN7rocprim17ROCPRIM_400000_NS6detail30init_device_scan_by_key_kernelINS1_19lookback_scan_stateINS0_5tupleIJibEEELb1ELb1EEENS1_16block_id_wrapperIjLb1EEEEEvT_jjPNS9_10value_typeET0_,"axG",@progbits,_ZN7rocprim17ROCPRIM_400000_NS6detail30init_device_scan_by_key_kernelINS1_19lookback_scan_stateINS0_5tupleIJibEEELb1ELb1EEENS1_16block_id_wrapperIjLb1EEEEEvT_jjPNS9_10value_typeET0_,comdat
.Lfunc_end132:
	.size	_ZN7rocprim17ROCPRIM_400000_NS6detail30init_device_scan_by_key_kernelINS1_19lookback_scan_stateINS0_5tupleIJibEEELb1ELb1EEENS1_16block_id_wrapperIjLb1EEEEEvT_jjPNS9_10value_typeET0_, .Lfunc_end132-_ZN7rocprim17ROCPRIM_400000_NS6detail30init_device_scan_by_key_kernelINS1_19lookback_scan_stateINS0_5tupleIJibEEELb1ELb1EEENS1_16block_id_wrapperIjLb1EEEEEvT_jjPNS9_10value_typeET0_
                                        ; -- End function
	.set _ZN7rocprim17ROCPRIM_400000_NS6detail30init_device_scan_by_key_kernelINS1_19lookback_scan_stateINS0_5tupleIJibEEELb1ELb1EEENS1_16block_id_wrapperIjLb1EEEEEvT_jjPNS9_10value_typeET0_.num_vgpr, 8
	.set _ZN7rocprim17ROCPRIM_400000_NS6detail30init_device_scan_by_key_kernelINS1_19lookback_scan_stateINS0_5tupleIJibEEELb1ELb1EEENS1_16block_id_wrapperIjLb1EEEEEvT_jjPNS9_10value_typeET0_.num_agpr, 0
	.set _ZN7rocprim17ROCPRIM_400000_NS6detail30init_device_scan_by_key_kernelINS1_19lookback_scan_stateINS0_5tupleIJibEEELb1ELb1EEENS1_16block_id_wrapperIjLb1EEEEEvT_jjPNS9_10value_typeET0_.numbered_sgpr, 16
	.set _ZN7rocprim17ROCPRIM_400000_NS6detail30init_device_scan_by_key_kernelINS1_19lookback_scan_stateINS0_5tupleIJibEEELb1ELb1EEENS1_16block_id_wrapperIjLb1EEEEEvT_jjPNS9_10value_typeET0_.num_named_barrier, 0
	.set _ZN7rocprim17ROCPRIM_400000_NS6detail30init_device_scan_by_key_kernelINS1_19lookback_scan_stateINS0_5tupleIJibEEELb1ELb1EEENS1_16block_id_wrapperIjLb1EEEEEvT_jjPNS9_10value_typeET0_.private_seg_size, 0
	.set _ZN7rocprim17ROCPRIM_400000_NS6detail30init_device_scan_by_key_kernelINS1_19lookback_scan_stateINS0_5tupleIJibEEELb1ELb1EEENS1_16block_id_wrapperIjLb1EEEEEvT_jjPNS9_10value_typeET0_.uses_vcc, 1
	.set _ZN7rocprim17ROCPRIM_400000_NS6detail30init_device_scan_by_key_kernelINS1_19lookback_scan_stateINS0_5tupleIJibEEELb1ELb1EEENS1_16block_id_wrapperIjLb1EEEEEvT_jjPNS9_10value_typeET0_.uses_flat_scratch, 0
	.set _ZN7rocprim17ROCPRIM_400000_NS6detail30init_device_scan_by_key_kernelINS1_19lookback_scan_stateINS0_5tupleIJibEEELb1ELb1EEENS1_16block_id_wrapperIjLb1EEEEEvT_jjPNS9_10value_typeET0_.has_dyn_sized_stack, 0
	.set _ZN7rocprim17ROCPRIM_400000_NS6detail30init_device_scan_by_key_kernelINS1_19lookback_scan_stateINS0_5tupleIJibEEELb1ELb1EEENS1_16block_id_wrapperIjLb1EEEEEvT_jjPNS9_10value_typeET0_.has_recursion, 0
	.set _ZN7rocprim17ROCPRIM_400000_NS6detail30init_device_scan_by_key_kernelINS1_19lookback_scan_stateINS0_5tupleIJibEEELb1ELb1EEENS1_16block_id_wrapperIjLb1EEEEEvT_jjPNS9_10value_typeET0_.has_indirect_call, 0
	.section	.AMDGPU.csdata,"",@progbits
; Kernel info:
; codeLenInByte = 492
; TotalNumSgprs: 18
; NumVgprs: 8
; ScratchSize: 0
; MemoryBound: 0
; FloatMode: 240
; IeeeMode: 1
; LDSByteSize: 0 bytes/workgroup (compile time only)
; SGPRBlocks: 0
; VGPRBlocks: 0
; NumSGPRsForWavesPerEU: 18
; NumVGPRsForWavesPerEU: 8
; Occupancy: 16
; WaveLimiterHint : 0
; COMPUTE_PGM_RSRC2:SCRATCH_EN: 0
; COMPUTE_PGM_RSRC2:USER_SGPR: 6
; COMPUTE_PGM_RSRC2:TRAP_HANDLER: 0
; COMPUTE_PGM_RSRC2:TGID_X_EN: 1
; COMPUTE_PGM_RSRC2:TGID_Y_EN: 0
; COMPUTE_PGM_RSRC2:TGID_Z_EN: 0
; COMPUTE_PGM_RSRC2:TIDIG_COMP_CNT: 0
	.section	.text._ZN7rocprim17ROCPRIM_400000_NS6detail17trampoline_kernelINS0_14default_configENS1_27scan_by_key_config_selectorIiiEEZZNS1_16scan_by_key_implILNS1_25lookback_scan_determinismE0ELb0ES3_N6thrust23THRUST_200600_302600_NS6detail15normal_iteratorINS9_10device_ptrIiEEEESE_SE_iNS9_4plusIvEENS9_8equal_toIvEEiEE10hipError_tPvRmT2_T3_T4_T5_mT6_T7_P12ihipStream_tbENKUlT_T0_E_clISt17integral_constantIbLb1EESZ_EEDaSU_SV_EUlSU_E_NS1_11comp_targetILNS1_3genE0ELNS1_11target_archE4294967295ELNS1_3gpuE0ELNS1_3repE0EEENS1_30default_config_static_selectorELNS0_4arch9wavefront6targetE0EEEvT1_,"axG",@progbits,_ZN7rocprim17ROCPRIM_400000_NS6detail17trampoline_kernelINS0_14default_configENS1_27scan_by_key_config_selectorIiiEEZZNS1_16scan_by_key_implILNS1_25lookback_scan_determinismE0ELb0ES3_N6thrust23THRUST_200600_302600_NS6detail15normal_iteratorINS9_10device_ptrIiEEEESE_SE_iNS9_4plusIvEENS9_8equal_toIvEEiEE10hipError_tPvRmT2_T3_T4_T5_mT6_T7_P12ihipStream_tbENKUlT_T0_E_clISt17integral_constantIbLb1EESZ_EEDaSU_SV_EUlSU_E_NS1_11comp_targetILNS1_3genE0ELNS1_11target_archE4294967295ELNS1_3gpuE0ELNS1_3repE0EEENS1_30default_config_static_selectorELNS0_4arch9wavefront6targetE0EEEvT1_,comdat
	.protected	_ZN7rocprim17ROCPRIM_400000_NS6detail17trampoline_kernelINS0_14default_configENS1_27scan_by_key_config_selectorIiiEEZZNS1_16scan_by_key_implILNS1_25lookback_scan_determinismE0ELb0ES3_N6thrust23THRUST_200600_302600_NS6detail15normal_iteratorINS9_10device_ptrIiEEEESE_SE_iNS9_4plusIvEENS9_8equal_toIvEEiEE10hipError_tPvRmT2_T3_T4_T5_mT6_T7_P12ihipStream_tbENKUlT_T0_E_clISt17integral_constantIbLb1EESZ_EEDaSU_SV_EUlSU_E_NS1_11comp_targetILNS1_3genE0ELNS1_11target_archE4294967295ELNS1_3gpuE0ELNS1_3repE0EEENS1_30default_config_static_selectorELNS0_4arch9wavefront6targetE0EEEvT1_ ; -- Begin function _ZN7rocprim17ROCPRIM_400000_NS6detail17trampoline_kernelINS0_14default_configENS1_27scan_by_key_config_selectorIiiEEZZNS1_16scan_by_key_implILNS1_25lookback_scan_determinismE0ELb0ES3_N6thrust23THRUST_200600_302600_NS6detail15normal_iteratorINS9_10device_ptrIiEEEESE_SE_iNS9_4plusIvEENS9_8equal_toIvEEiEE10hipError_tPvRmT2_T3_T4_T5_mT6_T7_P12ihipStream_tbENKUlT_T0_E_clISt17integral_constantIbLb1EESZ_EEDaSU_SV_EUlSU_E_NS1_11comp_targetILNS1_3genE0ELNS1_11target_archE4294967295ELNS1_3gpuE0ELNS1_3repE0EEENS1_30default_config_static_selectorELNS0_4arch9wavefront6targetE0EEEvT1_
	.globl	_ZN7rocprim17ROCPRIM_400000_NS6detail17trampoline_kernelINS0_14default_configENS1_27scan_by_key_config_selectorIiiEEZZNS1_16scan_by_key_implILNS1_25lookback_scan_determinismE0ELb0ES3_N6thrust23THRUST_200600_302600_NS6detail15normal_iteratorINS9_10device_ptrIiEEEESE_SE_iNS9_4plusIvEENS9_8equal_toIvEEiEE10hipError_tPvRmT2_T3_T4_T5_mT6_T7_P12ihipStream_tbENKUlT_T0_E_clISt17integral_constantIbLb1EESZ_EEDaSU_SV_EUlSU_E_NS1_11comp_targetILNS1_3genE0ELNS1_11target_archE4294967295ELNS1_3gpuE0ELNS1_3repE0EEENS1_30default_config_static_selectorELNS0_4arch9wavefront6targetE0EEEvT1_
	.p2align	8
	.type	_ZN7rocprim17ROCPRIM_400000_NS6detail17trampoline_kernelINS0_14default_configENS1_27scan_by_key_config_selectorIiiEEZZNS1_16scan_by_key_implILNS1_25lookback_scan_determinismE0ELb0ES3_N6thrust23THRUST_200600_302600_NS6detail15normal_iteratorINS9_10device_ptrIiEEEESE_SE_iNS9_4plusIvEENS9_8equal_toIvEEiEE10hipError_tPvRmT2_T3_T4_T5_mT6_T7_P12ihipStream_tbENKUlT_T0_E_clISt17integral_constantIbLb1EESZ_EEDaSU_SV_EUlSU_E_NS1_11comp_targetILNS1_3genE0ELNS1_11target_archE4294967295ELNS1_3gpuE0ELNS1_3repE0EEENS1_30default_config_static_selectorELNS0_4arch9wavefront6targetE0EEEvT1_,@function
_ZN7rocprim17ROCPRIM_400000_NS6detail17trampoline_kernelINS0_14default_configENS1_27scan_by_key_config_selectorIiiEEZZNS1_16scan_by_key_implILNS1_25lookback_scan_determinismE0ELb0ES3_N6thrust23THRUST_200600_302600_NS6detail15normal_iteratorINS9_10device_ptrIiEEEESE_SE_iNS9_4plusIvEENS9_8equal_toIvEEiEE10hipError_tPvRmT2_T3_T4_T5_mT6_T7_P12ihipStream_tbENKUlT_T0_E_clISt17integral_constantIbLb1EESZ_EEDaSU_SV_EUlSU_E_NS1_11comp_targetILNS1_3genE0ELNS1_11target_archE4294967295ELNS1_3gpuE0ELNS1_3repE0EEENS1_30default_config_static_selectorELNS0_4arch9wavefront6targetE0EEEvT1_: ; @_ZN7rocprim17ROCPRIM_400000_NS6detail17trampoline_kernelINS0_14default_configENS1_27scan_by_key_config_selectorIiiEEZZNS1_16scan_by_key_implILNS1_25lookback_scan_determinismE0ELb0ES3_N6thrust23THRUST_200600_302600_NS6detail15normal_iteratorINS9_10device_ptrIiEEEESE_SE_iNS9_4plusIvEENS9_8equal_toIvEEiEE10hipError_tPvRmT2_T3_T4_T5_mT6_T7_P12ihipStream_tbENKUlT_T0_E_clISt17integral_constantIbLb1EESZ_EEDaSU_SV_EUlSU_E_NS1_11comp_targetILNS1_3genE0ELNS1_11target_archE4294967295ELNS1_3gpuE0ELNS1_3repE0EEENS1_30default_config_static_selectorELNS0_4arch9wavefront6targetE0EEEvT1_
; %bb.0:
	.section	.rodata,"a",@progbits
	.p2align	6, 0x0
	.amdhsa_kernel _ZN7rocprim17ROCPRIM_400000_NS6detail17trampoline_kernelINS0_14default_configENS1_27scan_by_key_config_selectorIiiEEZZNS1_16scan_by_key_implILNS1_25lookback_scan_determinismE0ELb0ES3_N6thrust23THRUST_200600_302600_NS6detail15normal_iteratorINS9_10device_ptrIiEEEESE_SE_iNS9_4plusIvEENS9_8equal_toIvEEiEE10hipError_tPvRmT2_T3_T4_T5_mT6_T7_P12ihipStream_tbENKUlT_T0_E_clISt17integral_constantIbLb1EESZ_EEDaSU_SV_EUlSU_E_NS1_11comp_targetILNS1_3genE0ELNS1_11target_archE4294967295ELNS1_3gpuE0ELNS1_3repE0EEENS1_30default_config_static_selectorELNS0_4arch9wavefront6targetE0EEEvT1_
		.amdhsa_group_segment_fixed_size 0
		.amdhsa_private_segment_fixed_size 0
		.amdhsa_kernarg_size 112
		.amdhsa_user_sgpr_count 6
		.amdhsa_user_sgpr_private_segment_buffer 1
		.amdhsa_user_sgpr_dispatch_ptr 0
		.amdhsa_user_sgpr_queue_ptr 0
		.amdhsa_user_sgpr_kernarg_segment_ptr 1
		.amdhsa_user_sgpr_dispatch_id 0
		.amdhsa_user_sgpr_flat_scratch_init 0
		.amdhsa_user_sgpr_private_segment_size 0
		.amdhsa_wavefront_size32 1
		.amdhsa_uses_dynamic_stack 0
		.amdhsa_system_sgpr_private_segment_wavefront_offset 0
		.amdhsa_system_sgpr_workgroup_id_x 1
		.amdhsa_system_sgpr_workgroup_id_y 0
		.amdhsa_system_sgpr_workgroup_id_z 0
		.amdhsa_system_sgpr_workgroup_info 0
		.amdhsa_system_vgpr_workitem_id 0
		.amdhsa_next_free_vgpr 1
		.amdhsa_next_free_sgpr 1
		.amdhsa_reserve_vcc 0
		.amdhsa_reserve_flat_scratch 0
		.amdhsa_float_round_mode_32 0
		.amdhsa_float_round_mode_16_64 0
		.amdhsa_float_denorm_mode_32 3
		.amdhsa_float_denorm_mode_16_64 3
		.amdhsa_dx10_clamp 1
		.amdhsa_ieee_mode 1
		.amdhsa_fp16_overflow 0
		.amdhsa_workgroup_processor_mode 1
		.amdhsa_memory_ordered 1
		.amdhsa_forward_progress 1
		.amdhsa_shared_vgpr_count 0
		.amdhsa_exception_fp_ieee_invalid_op 0
		.amdhsa_exception_fp_denorm_src 0
		.amdhsa_exception_fp_ieee_div_zero 0
		.amdhsa_exception_fp_ieee_overflow 0
		.amdhsa_exception_fp_ieee_underflow 0
		.amdhsa_exception_fp_ieee_inexact 0
		.amdhsa_exception_int_div_zero 0
	.end_amdhsa_kernel
	.section	.text._ZN7rocprim17ROCPRIM_400000_NS6detail17trampoline_kernelINS0_14default_configENS1_27scan_by_key_config_selectorIiiEEZZNS1_16scan_by_key_implILNS1_25lookback_scan_determinismE0ELb0ES3_N6thrust23THRUST_200600_302600_NS6detail15normal_iteratorINS9_10device_ptrIiEEEESE_SE_iNS9_4plusIvEENS9_8equal_toIvEEiEE10hipError_tPvRmT2_T3_T4_T5_mT6_T7_P12ihipStream_tbENKUlT_T0_E_clISt17integral_constantIbLb1EESZ_EEDaSU_SV_EUlSU_E_NS1_11comp_targetILNS1_3genE0ELNS1_11target_archE4294967295ELNS1_3gpuE0ELNS1_3repE0EEENS1_30default_config_static_selectorELNS0_4arch9wavefront6targetE0EEEvT1_,"axG",@progbits,_ZN7rocprim17ROCPRIM_400000_NS6detail17trampoline_kernelINS0_14default_configENS1_27scan_by_key_config_selectorIiiEEZZNS1_16scan_by_key_implILNS1_25lookback_scan_determinismE0ELb0ES3_N6thrust23THRUST_200600_302600_NS6detail15normal_iteratorINS9_10device_ptrIiEEEESE_SE_iNS9_4plusIvEENS9_8equal_toIvEEiEE10hipError_tPvRmT2_T3_T4_T5_mT6_T7_P12ihipStream_tbENKUlT_T0_E_clISt17integral_constantIbLb1EESZ_EEDaSU_SV_EUlSU_E_NS1_11comp_targetILNS1_3genE0ELNS1_11target_archE4294967295ELNS1_3gpuE0ELNS1_3repE0EEENS1_30default_config_static_selectorELNS0_4arch9wavefront6targetE0EEEvT1_,comdat
.Lfunc_end133:
	.size	_ZN7rocprim17ROCPRIM_400000_NS6detail17trampoline_kernelINS0_14default_configENS1_27scan_by_key_config_selectorIiiEEZZNS1_16scan_by_key_implILNS1_25lookback_scan_determinismE0ELb0ES3_N6thrust23THRUST_200600_302600_NS6detail15normal_iteratorINS9_10device_ptrIiEEEESE_SE_iNS9_4plusIvEENS9_8equal_toIvEEiEE10hipError_tPvRmT2_T3_T4_T5_mT6_T7_P12ihipStream_tbENKUlT_T0_E_clISt17integral_constantIbLb1EESZ_EEDaSU_SV_EUlSU_E_NS1_11comp_targetILNS1_3genE0ELNS1_11target_archE4294967295ELNS1_3gpuE0ELNS1_3repE0EEENS1_30default_config_static_selectorELNS0_4arch9wavefront6targetE0EEEvT1_, .Lfunc_end133-_ZN7rocprim17ROCPRIM_400000_NS6detail17trampoline_kernelINS0_14default_configENS1_27scan_by_key_config_selectorIiiEEZZNS1_16scan_by_key_implILNS1_25lookback_scan_determinismE0ELb0ES3_N6thrust23THRUST_200600_302600_NS6detail15normal_iteratorINS9_10device_ptrIiEEEESE_SE_iNS9_4plusIvEENS9_8equal_toIvEEiEE10hipError_tPvRmT2_T3_T4_T5_mT6_T7_P12ihipStream_tbENKUlT_T0_E_clISt17integral_constantIbLb1EESZ_EEDaSU_SV_EUlSU_E_NS1_11comp_targetILNS1_3genE0ELNS1_11target_archE4294967295ELNS1_3gpuE0ELNS1_3repE0EEENS1_30default_config_static_selectorELNS0_4arch9wavefront6targetE0EEEvT1_
                                        ; -- End function
	.set _ZN7rocprim17ROCPRIM_400000_NS6detail17trampoline_kernelINS0_14default_configENS1_27scan_by_key_config_selectorIiiEEZZNS1_16scan_by_key_implILNS1_25lookback_scan_determinismE0ELb0ES3_N6thrust23THRUST_200600_302600_NS6detail15normal_iteratorINS9_10device_ptrIiEEEESE_SE_iNS9_4plusIvEENS9_8equal_toIvEEiEE10hipError_tPvRmT2_T3_T4_T5_mT6_T7_P12ihipStream_tbENKUlT_T0_E_clISt17integral_constantIbLb1EESZ_EEDaSU_SV_EUlSU_E_NS1_11comp_targetILNS1_3genE0ELNS1_11target_archE4294967295ELNS1_3gpuE0ELNS1_3repE0EEENS1_30default_config_static_selectorELNS0_4arch9wavefront6targetE0EEEvT1_.num_vgpr, 0
	.set _ZN7rocprim17ROCPRIM_400000_NS6detail17trampoline_kernelINS0_14default_configENS1_27scan_by_key_config_selectorIiiEEZZNS1_16scan_by_key_implILNS1_25lookback_scan_determinismE0ELb0ES3_N6thrust23THRUST_200600_302600_NS6detail15normal_iteratorINS9_10device_ptrIiEEEESE_SE_iNS9_4plusIvEENS9_8equal_toIvEEiEE10hipError_tPvRmT2_T3_T4_T5_mT6_T7_P12ihipStream_tbENKUlT_T0_E_clISt17integral_constantIbLb1EESZ_EEDaSU_SV_EUlSU_E_NS1_11comp_targetILNS1_3genE0ELNS1_11target_archE4294967295ELNS1_3gpuE0ELNS1_3repE0EEENS1_30default_config_static_selectorELNS0_4arch9wavefront6targetE0EEEvT1_.num_agpr, 0
	.set _ZN7rocprim17ROCPRIM_400000_NS6detail17trampoline_kernelINS0_14default_configENS1_27scan_by_key_config_selectorIiiEEZZNS1_16scan_by_key_implILNS1_25lookback_scan_determinismE0ELb0ES3_N6thrust23THRUST_200600_302600_NS6detail15normal_iteratorINS9_10device_ptrIiEEEESE_SE_iNS9_4plusIvEENS9_8equal_toIvEEiEE10hipError_tPvRmT2_T3_T4_T5_mT6_T7_P12ihipStream_tbENKUlT_T0_E_clISt17integral_constantIbLb1EESZ_EEDaSU_SV_EUlSU_E_NS1_11comp_targetILNS1_3genE0ELNS1_11target_archE4294967295ELNS1_3gpuE0ELNS1_3repE0EEENS1_30default_config_static_selectorELNS0_4arch9wavefront6targetE0EEEvT1_.numbered_sgpr, 0
	.set _ZN7rocprim17ROCPRIM_400000_NS6detail17trampoline_kernelINS0_14default_configENS1_27scan_by_key_config_selectorIiiEEZZNS1_16scan_by_key_implILNS1_25lookback_scan_determinismE0ELb0ES3_N6thrust23THRUST_200600_302600_NS6detail15normal_iteratorINS9_10device_ptrIiEEEESE_SE_iNS9_4plusIvEENS9_8equal_toIvEEiEE10hipError_tPvRmT2_T3_T4_T5_mT6_T7_P12ihipStream_tbENKUlT_T0_E_clISt17integral_constantIbLb1EESZ_EEDaSU_SV_EUlSU_E_NS1_11comp_targetILNS1_3genE0ELNS1_11target_archE4294967295ELNS1_3gpuE0ELNS1_3repE0EEENS1_30default_config_static_selectorELNS0_4arch9wavefront6targetE0EEEvT1_.num_named_barrier, 0
	.set _ZN7rocprim17ROCPRIM_400000_NS6detail17trampoline_kernelINS0_14default_configENS1_27scan_by_key_config_selectorIiiEEZZNS1_16scan_by_key_implILNS1_25lookback_scan_determinismE0ELb0ES3_N6thrust23THRUST_200600_302600_NS6detail15normal_iteratorINS9_10device_ptrIiEEEESE_SE_iNS9_4plusIvEENS9_8equal_toIvEEiEE10hipError_tPvRmT2_T3_T4_T5_mT6_T7_P12ihipStream_tbENKUlT_T0_E_clISt17integral_constantIbLb1EESZ_EEDaSU_SV_EUlSU_E_NS1_11comp_targetILNS1_3genE0ELNS1_11target_archE4294967295ELNS1_3gpuE0ELNS1_3repE0EEENS1_30default_config_static_selectorELNS0_4arch9wavefront6targetE0EEEvT1_.private_seg_size, 0
	.set _ZN7rocprim17ROCPRIM_400000_NS6detail17trampoline_kernelINS0_14default_configENS1_27scan_by_key_config_selectorIiiEEZZNS1_16scan_by_key_implILNS1_25lookback_scan_determinismE0ELb0ES3_N6thrust23THRUST_200600_302600_NS6detail15normal_iteratorINS9_10device_ptrIiEEEESE_SE_iNS9_4plusIvEENS9_8equal_toIvEEiEE10hipError_tPvRmT2_T3_T4_T5_mT6_T7_P12ihipStream_tbENKUlT_T0_E_clISt17integral_constantIbLb1EESZ_EEDaSU_SV_EUlSU_E_NS1_11comp_targetILNS1_3genE0ELNS1_11target_archE4294967295ELNS1_3gpuE0ELNS1_3repE0EEENS1_30default_config_static_selectorELNS0_4arch9wavefront6targetE0EEEvT1_.uses_vcc, 0
	.set _ZN7rocprim17ROCPRIM_400000_NS6detail17trampoline_kernelINS0_14default_configENS1_27scan_by_key_config_selectorIiiEEZZNS1_16scan_by_key_implILNS1_25lookback_scan_determinismE0ELb0ES3_N6thrust23THRUST_200600_302600_NS6detail15normal_iteratorINS9_10device_ptrIiEEEESE_SE_iNS9_4plusIvEENS9_8equal_toIvEEiEE10hipError_tPvRmT2_T3_T4_T5_mT6_T7_P12ihipStream_tbENKUlT_T0_E_clISt17integral_constantIbLb1EESZ_EEDaSU_SV_EUlSU_E_NS1_11comp_targetILNS1_3genE0ELNS1_11target_archE4294967295ELNS1_3gpuE0ELNS1_3repE0EEENS1_30default_config_static_selectorELNS0_4arch9wavefront6targetE0EEEvT1_.uses_flat_scratch, 0
	.set _ZN7rocprim17ROCPRIM_400000_NS6detail17trampoline_kernelINS0_14default_configENS1_27scan_by_key_config_selectorIiiEEZZNS1_16scan_by_key_implILNS1_25lookback_scan_determinismE0ELb0ES3_N6thrust23THRUST_200600_302600_NS6detail15normal_iteratorINS9_10device_ptrIiEEEESE_SE_iNS9_4plusIvEENS9_8equal_toIvEEiEE10hipError_tPvRmT2_T3_T4_T5_mT6_T7_P12ihipStream_tbENKUlT_T0_E_clISt17integral_constantIbLb1EESZ_EEDaSU_SV_EUlSU_E_NS1_11comp_targetILNS1_3genE0ELNS1_11target_archE4294967295ELNS1_3gpuE0ELNS1_3repE0EEENS1_30default_config_static_selectorELNS0_4arch9wavefront6targetE0EEEvT1_.has_dyn_sized_stack, 0
	.set _ZN7rocprim17ROCPRIM_400000_NS6detail17trampoline_kernelINS0_14default_configENS1_27scan_by_key_config_selectorIiiEEZZNS1_16scan_by_key_implILNS1_25lookback_scan_determinismE0ELb0ES3_N6thrust23THRUST_200600_302600_NS6detail15normal_iteratorINS9_10device_ptrIiEEEESE_SE_iNS9_4plusIvEENS9_8equal_toIvEEiEE10hipError_tPvRmT2_T3_T4_T5_mT6_T7_P12ihipStream_tbENKUlT_T0_E_clISt17integral_constantIbLb1EESZ_EEDaSU_SV_EUlSU_E_NS1_11comp_targetILNS1_3genE0ELNS1_11target_archE4294967295ELNS1_3gpuE0ELNS1_3repE0EEENS1_30default_config_static_selectorELNS0_4arch9wavefront6targetE0EEEvT1_.has_recursion, 0
	.set _ZN7rocprim17ROCPRIM_400000_NS6detail17trampoline_kernelINS0_14default_configENS1_27scan_by_key_config_selectorIiiEEZZNS1_16scan_by_key_implILNS1_25lookback_scan_determinismE0ELb0ES3_N6thrust23THRUST_200600_302600_NS6detail15normal_iteratorINS9_10device_ptrIiEEEESE_SE_iNS9_4plusIvEENS9_8equal_toIvEEiEE10hipError_tPvRmT2_T3_T4_T5_mT6_T7_P12ihipStream_tbENKUlT_T0_E_clISt17integral_constantIbLb1EESZ_EEDaSU_SV_EUlSU_E_NS1_11comp_targetILNS1_3genE0ELNS1_11target_archE4294967295ELNS1_3gpuE0ELNS1_3repE0EEENS1_30default_config_static_selectorELNS0_4arch9wavefront6targetE0EEEvT1_.has_indirect_call, 0
	.section	.AMDGPU.csdata,"",@progbits
; Kernel info:
; codeLenInByte = 0
; TotalNumSgprs: 0
; NumVgprs: 0
; ScratchSize: 0
; MemoryBound: 0
; FloatMode: 240
; IeeeMode: 1
; LDSByteSize: 0 bytes/workgroup (compile time only)
; SGPRBlocks: 0
; VGPRBlocks: 0
; NumSGPRsForWavesPerEU: 1
; NumVGPRsForWavesPerEU: 1
; Occupancy: 16
; WaveLimiterHint : 0
; COMPUTE_PGM_RSRC2:SCRATCH_EN: 0
; COMPUTE_PGM_RSRC2:USER_SGPR: 6
; COMPUTE_PGM_RSRC2:TRAP_HANDLER: 0
; COMPUTE_PGM_RSRC2:TGID_X_EN: 1
; COMPUTE_PGM_RSRC2:TGID_Y_EN: 0
; COMPUTE_PGM_RSRC2:TGID_Z_EN: 0
; COMPUTE_PGM_RSRC2:TIDIG_COMP_CNT: 0
	.section	.text._ZN7rocprim17ROCPRIM_400000_NS6detail17trampoline_kernelINS0_14default_configENS1_27scan_by_key_config_selectorIiiEEZZNS1_16scan_by_key_implILNS1_25lookback_scan_determinismE0ELb0ES3_N6thrust23THRUST_200600_302600_NS6detail15normal_iteratorINS9_10device_ptrIiEEEESE_SE_iNS9_4plusIvEENS9_8equal_toIvEEiEE10hipError_tPvRmT2_T3_T4_T5_mT6_T7_P12ihipStream_tbENKUlT_T0_E_clISt17integral_constantIbLb1EESZ_EEDaSU_SV_EUlSU_E_NS1_11comp_targetILNS1_3genE10ELNS1_11target_archE1201ELNS1_3gpuE5ELNS1_3repE0EEENS1_30default_config_static_selectorELNS0_4arch9wavefront6targetE0EEEvT1_,"axG",@progbits,_ZN7rocprim17ROCPRIM_400000_NS6detail17trampoline_kernelINS0_14default_configENS1_27scan_by_key_config_selectorIiiEEZZNS1_16scan_by_key_implILNS1_25lookback_scan_determinismE0ELb0ES3_N6thrust23THRUST_200600_302600_NS6detail15normal_iteratorINS9_10device_ptrIiEEEESE_SE_iNS9_4plusIvEENS9_8equal_toIvEEiEE10hipError_tPvRmT2_T3_T4_T5_mT6_T7_P12ihipStream_tbENKUlT_T0_E_clISt17integral_constantIbLb1EESZ_EEDaSU_SV_EUlSU_E_NS1_11comp_targetILNS1_3genE10ELNS1_11target_archE1201ELNS1_3gpuE5ELNS1_3repE0EEENS1_30default_config_static_selectorELNS0_4arch9wavefront6targetE0EEEvT1_,comdat
	.protected	_ZN7rocprim17ROCPRIM_400000_NS6detail17trampoline_kernelINS0_14default_configENS1_27scan_by_key_config_selectorIiiEEZZNS1_16scan_by_key_implILNS1_25lookback_scan_determinismE0ELb0ES3_N6thrust23THRUST_200600_302600_NS6detail15normal_iteratorINS9_10device_ptrIiEEEESE_SE_iNS9_4plusIvEENS9_8equal_toIvEEiEE10hipError_tPvRmT2_T3_T4_T5_mT6_T7_P12ihipStream_tbENKUlT_T0_E_clISt17integral_constantIbLb1EESZ_EEDaSU_SV_EUlSU_E_NS1_11comp_targetILNS1_3genE10ELNS1_11target_archE1201ELNS1_3gpuE5ELNS1_3repE0EEENS1_30default_config_static_selectorELNS0_4arch9wavefront6targetE0EEEvT1_ ; -- Begin function _ZN7rocprim17ROCPRIM_400000_NS6detail17trampoline_kernelINS0_14default_configENS1_27scan_by_key_config_selectorIiiEEZZNS1_16scan_by_key_implILNS1_25lookback_scan_determinismE0ELb0ES3_N6thrust23THRUST_200600_302600_NS6detail15normal_iteratorINS9_10device_ptrIiEEEESE_SE_iNS9_4plusIvEENS9_8equal_toIvEEiEE10hipError_tPvRmT2_T3_T4_T5_mT6_T7_P12ihipStream_tbENKUlT_T0_E_clISt17integral_constantIbLb1EESZ_EEDaSU_SV_EUlSU_E_NS1_11comp_targetILNS1_3genE10ELNS1_11target_archE1201ELNS1_3gpuE5ELNS1_3repE0EEENS1_30default_config_static_selectorELNS0_4arch9wavefront6targetE0EEEvT1_
	.globl	_ZN7rocprim17ROCPRIM_400000_NS6detail17trampoline_kernelINS0_14default_configENS1_27scan_by_key_config_selectorIiiEEZZNS1_16scan_by_key_implILNS1_25lookback_scan_determinismE0ELb0ES3_N6thrust23THRUST_200600_302600_NS6detail15normal_iteratorINS9_10device_ptrIiEEEESE_SE_iNS9_4plusIvEENS9_8equal_toIvEEiEE10hipError_tPvRmT2_T3_T4_T5_mT6_T7_P12ihipStream_tbENKUlT_T0_E_clISt17integral_constantIbLb1EESZ_EEDaSU_SV_EUlSU_E_NS1_11comp_targetILNS1_3genE10ELNS1_11target_archE1201ELNS1_3gpuE5ELNS1_3repE0EEENS1_30default_config_static_selectorELNS0_4arch9wavefront6targetE0EEEvT1_
	.p2align	8
	.type	_ZN7rocprim17ROCPRIM_400000_NS6detail17trampoline_kernelINS0_14default_configENS1_27scan_by_key_config_selectorIiiEEZZNS1_16scan_by_key_implILNS1_25lookback_scan_determinismE0ELb0ES3_N6thrust23THRUST_200600_302600_NS6detail15normal_iteratorINS9_10device_ptrIiEEEESE_SE_iNS9_4plusIvEENS9_8equal_toIvEEiEE10hipError_tPvRmT2_T3_T4_T5_mT6_T7_P12ihipStream_tbENKUlT_T0_E_clISt17integral_constantIbLb1EESZ_EEDaSU_SV_EUlSU_E_NS1_11comp_targetILNS1_3genE10ELNS1_11target_archE1201ELNS1_3gpuE5ELNS1_3repE0EEENS1_30default_config_static_selectorELNS0_4arch9wavefront6targetE0EEEvT1_,@function
_ZN7rocprim17ROCPRIM_400000_NS6detail17trampoline_kernelINS0_14default_configENS1_27scan_by_key_config_selectorIiiEEZZNS1_16scan_by_key_implILNS1_25lookback_scan_determinismE0ELb0ES3_N6thrust23THRUST_200600_302600_NS6detail15normal_iteratorINS9_10device_ptrIiEEEESE_SE_iNS9_4plusIvEENS9_8equal_toIvEEiEE10hipError_tPvRmT2_T3_T4_T5_mT6_T7_P12ihipStream_tbENKUlT_T0_E_clISt17integral_constantIbLb1EESZ_EEDaSU_SV_EUlSU_E_NS1_11comp_targetILNS1_3genE10ELNS1_11target_archE1201ELNS1_3gpuE5ELNS1_3repE0EEENS1_30default_config_static_selectorELNS0_4arch9wavefront6targetE0EEEvT1_: ; @_ZN7rocprim17ROCPRIM_400000_NS6detail17trampoline_kernelINS0_14default_configENS1_27scan_by_key_config_selectorIiiEEZZNS1_16scan_by_key_implILNS1_25lookback_scan_determinismE0ELb0ES3_N6thrust23THRUST_200600_302600_NS6detail15normal_iteratorINS9_10device_ptrIiEEEESE_SE_iNS9_4plusIvEENS9_8equal_toIvEEiEE10hipError_tPvRmT2_T3_T4_T5_mT6_T7_P12ihipStream_tbENKUlT_T0_E_clISt17integral_constantIbLb1EESZ_EEDaSU_SV_EUlSU_E_NS1_11comp_targetILNS1_3genE10ELNS1_11target_archE1201ELNS1_3gpuE5ELNS1_3repE0EEENS1_30default_config_static_selectorELNS0_4arch9wavefront6targetE0EEEvT1_
; %bb.0:
	.section	.rodata,"a",@progbits
	.p2align	6, 0x0
	.amdhsa_kernel _ZN7rocprim17ROCPRIM_400000_NS6detail17trampoline_kernelINS0_14default_configENS1_27scan_by_key_config_selectorIiiEEZZNS1_16scan_by_key_implILNS1_25lookback_scan_determinismE0ELb0ES3_N6thrust23THRUST_200600_302600_NS6detail15normal_iteratorINS9_10device_ptrIiEEEESE_SE_iNS9_4plusIvEENS9_8equal_toIvEEiEE10hipError_tPvRmT2_T3_T4_T5_mT6_T7_P12ihipStream_tbENKUlT_T0_E_clISt17integral_constantIbLb1EESZ_EEDaSU_SV_EUlSU_E_NS1_11comp_targetILNS1_3genE10ELNS1_11target_archE1201ELNS1_3gpuE5ELNS1_3repE0EEENS1_30default_config_static_selectorELNS0_4arch9wavefront6targetE0EEEvT1_
		.amdhsa_group_segment_fixed_size 0
		.amdhsa_private_segment_fixed_size 0
		.amdhsa_kernarg_size 112
		.amdhsa_user_sgpr_count 6
		.amdhsa_user_sgpr_private_segment_buffer 1
		.amdhsa_user_sgpr_dispatch_ptr 0
		.amdhsa_user_sgpr_queue_ptr 0
		.amdhsa_user_sgpr_kernarg_segment_ptr 1
		.amdhsa_user_sgpr_dispatch_id 0
		.amdhsa_user_sgpr_flat_scratch_init 0
		.amdhsa_user_sgpr_private_segment_size 0
		.amdhsa_wavefront_size32 1
		.amdhsa_uses_dynamic_stack 0
		.amdhsa_system_sgpr_private_segment_wavefront_offset 0
		.amdhsa_system_sgpr_workgroup_id_x 1
		.amdhsa_system_sgpr_workgroup_id_y 0
		.amdhsa_system_sgpr_workgroup_id_z 0
		.amdhsa_system_sgpr_workgroup_info 0
		.amdhsa_system_vgpr_workitem_id 0
		.amdhsa_next_free_vgpr 1
		.amdhsa_next_free_sgpr 1
		.amdhsa_reserve_vcc 0
		.amdhsa_reserve_flat_scratch 0
		.amdhsa_float_round_mode_32 0
		.amdhsa_float_round_mode_16_64 0
		.amdhsa_float_denorm_mode_32 3
		.amdhsa_float_denorm_mode_16_64 3
		.amdhsa_dx10_clamp 1
		.amdhsa_ieee_mode 1
		.amdhsa_fp16_overflow 0
		.amdhsa_workgroup_processor_mode 1
		.amdhsa_memory_ordered 1
		.amdhsa_forward_progress 1
		.amdhsa_shared_vgpr_count 0
		.amdhsa_exception_fp_ieee_invalid_op 0
		.amdhsa_exception_fp_denorm_src 0
		.amdhsa_exception_fp_ieee_div_zero 0
		.amdhsa_exception_fp_ieee_overflow 0
		.amdhsa_exception_fp_ieee_underflow 0
		.amdhsa_exception_fp_ieee_inexact 0
		.amdhsa_exception_int_div_zero 0
	.end_amdhsa_kernel
	.section	.text._ZN7rocprim17ROCPRIM_400000_NS6detail17trampoline_kernelINS0_14default_configENS1_27scan_by_key_config_selectorIiiEEZZNS1_16scan_by_key_implILNS1_25lookback_scan_determinismE0ELb0ES3_N6thrust23THRUST_200600_302600_NS6detail15normal_iteratorINS9_10device_ptrIiEEEESE_SE_iNS9_4plusIvEENS9_8equal_toIvEEiEE10hipError_tPvRmT2_T3_T4_T5_mT6_T7_P12ihipStream_tbENKUlT_T0_E_clISt17integral_constantIbLb1EESZ_EEDaSU_SV_EUlSU_E_NS1_11comp_targetILNS1_3genE10ELNS1_11target_archE1201ELNS1_3gpuE5ELNS1_3repE0EEENS1_30default_config_static_selectorELNS0_4arch9wavefront6targetE0EEEvT1_,"axG",@progbits,_ZN7rocprim17ROCPRIM_400000_NS6detail17trampoline_kernelINS0_14default_configENS1_27scan_by_key_config_selectorIiiEEZZNS1_16scan_by_key_implILNS1_25lookback_scan_determinismE0ELb0ES3_N6thrust23THRUST_200600_302600_NS6detail15normal_iteratorINS9_10device_ptrIiEEEESE_SE_iNS9_4plusIvEENS9_8equal_toIvEEiEE10hipError_tPvRmT2_T3_T4_T5_mT6_T7_P12ihipStream_tbENKUlT_T0_E_clISt17integral_constantIbLb1EESZ_EEDaSU_SV_EUlSU_E_NS1_11comp_targetILNS1_3genE10ELNS1_11target_archE1201ELNS1_3gpuE5ELNS1_3repE0EEENS1_30default_config_static_selectorELNS0_4arch9wavefront6targetE0EEEvT1_,comdat
.Lfunc_end134:
	.size	_ZN7rocprim17ROCPRIM_400000_NS6detail17trampoline_kernelINS0_14default_configENS1_27scan_by_key_config_selectorIiiEEZZNS1_16scan_by_key_implILNS1_25lookback_scan_determinismE0ELb0ES3_N6thrust23THRUST_200600_302600_NS6detail15normal_iteratorINS9_10device_ptrIiEEEESE_SE_iNS9_4plusIvEENS9_8equal_toIvEEiEE10hipError_tPvRmT2_T3_T4_T5_mT6_T7_P12ihipStream_tbENKUlT_T0_E_clISt17integral_constantIbLb1EESZ_EEDaSU_SV_EUlSU_E_NS1_11comp_targetILNS1_3genE10ELNS1_11target_archE1201ELNS1_3gpuE5ELNS1_3repE0EEENS1_30default_config_static_selectorELNS0_4arch9wavefront6targetE0EEEvT1_, .Lfunc_end134-_ZN7rocprim17ROCPRIM_400000_NS6detail17trampoline_kernelINS0_14default_configENS1_27scan_by_key_config_selectorIiiEEZZNS1_16scan_by_key_implILNS1_25lookback_scan_determinismE0ELb0ES3_N6thrust23THRUST_200600_302600_NS6detail15normal_iteratorINS9_10device_ptrIiEEEESE_SE_iNS9_4plusIvEENS9_8equal_toIvEEiEE10hipError_tPvRmT2_T3_T4_T5_mT6_T7_P12ihipStream_tbENKUlT_T0_E_clISt17integral_constantIbLb1EESZ_EEDaSU_SV_EUlSU_E_NS1_11comp_targetILNS1_3genE10ELNS1_11target_archE1201ELNS1_3gpuE5ELNS1_3repE0EEENS1_30default_config_static_selectorELNS0_4arch9wavefront6targetE0EEEvT1_
                                        ; -- End function
	.set _ZN7rocprim17ROCPRIM_400000_NS6detail17trampoline_kernelINS0_14default_configENS1_27scan_by_key_config_selectorIiiEEZZNS1_16scan_by_key_implILNS1_25lookback_scan_determinismE0ELb0ES3_N6thrust23THRUST_200600_302600_NS6detail15normal_iteratorINS9_10device_ptrIiEEEESE_SE_iNS9_4plusIvEENS9_8equal_toIvEEiEE10hipError_tPvRmT2_T3_T4_T5_mT6_T7_P12ihipStream_tbENKUlT_T0_E_clISt17integral_constantIbLb1EESZ_EEDaSU_SV_EUlSU_E_NS1_11comp_targetILNS1_3genE10ELNS1_11target_archE1201ELNS1_3gpuE5ELNS1_3repE0EEENS1_30default_config_static_selectorELNS0_4arch9wavefront6targetE0EEEvT1_.num_vgpr, 0
	.set _ZN7rocprim17ROCPRIM_400000_NS6detail17trampoline_kernelINS0_14default_configENS1_27scan_by_key_config_selectorIiiEEZZNS1_16scan_by_key_implILNS1_25lookback_scan_determinismE0ELb0ES3_N6thrust23THRUST_200600_302600_NS6detail15normal_iteratorINS9_10device_ptrIiEEEESE_SE_iNS9_4plusIvEENS9_8equal_toIvEEiEE10hipError_tPvRmT2_T3_T4_T5_mT6_T7_P12ihipStream_tbENKUlT_T0_E_clISt17integral_constantIbLb1EESZ_EEDaSU_SV_EUlSU_E_NS1_11comp_targetILNS1_3genE10ELNS1_11target_archE1201ELNS1_3gpuE5ELNS1_3repE0EEENS1_30default_config_static_selectorELNS0_4arch9wavefront6targetE0EEEvT1_.num_agpr, 0
	.set _ZN7rocprim17ROCPRIM_400000_NS6detail17trampoline_kernelINS0_14default_configENS1_27scan_by_key_config_selectorIiiEEZZNS1_16scan_by_key_implILNS1_25lookback_scan_determinismE0ELb0ES3_N6thrust23THRUST_200600_302600_NS6detail15normal_iteratorINS9_10device_ptrIiEEEESE_SE_iNS9_4plusIvEENS9_8equal_toIvEEiEE10hipError_tPvRmT2_T3_T4_T5_mT6_T7_P12ihipStream_tbENKUlT_T0_E_clISt17integral_constantIbLb1EESZ_EEDaSU_SV_EUlSU_E_NS1_11comp_targetILNS1_3genE10ELNS1_11target_archE1201ELNS1_3gpuE5ELNS1_3repE0EEENS1_30default_config_static_selectorELNS0_4arch9wavefront6targetE0EEEvT1_.numbered_sgpr, 0
	.set _ZN7rocprim17ROCPRIM_400000_NS6detail17trampoline_kernelINS0_14default_configENS1_27scan_by_key_config_selectorIiiEEZZNS1_16scan_by_key_implILNS1_25lookback_scan_determinismE0ELb0ES3_N6thrust23THRUST_200600_302600_NS6detail15normal_iteratorINS9_10device_ptrIiEEEESE_SE_iNS9_4plusIvEENS9_8equal_toIvEEiEE10hipError_tPvRmT2_T3_T4_T5_mT6_T7_P12ihipStream_tbENKUlT_T0_E_clISt17integral_constantIbLb1EESZ_EEDaSU_SV_EUlSU_E_NS1_11comp_targetILNS1_3genE10ELNS1_11target_archE1201ELNS1_3gpuE5ELNS1_3repE0EEENS1_30default_config_static_selectorELNS0_4arch9wavefront6targetE0EEEvT1_.num_named_barrier, 0
	.set _ZN7rocprim17ROCPRIM_400000_NS6detail17trampoline_kernelINS0_14default_configENS1_27scan_by_key_config_selectorIiiEEZZNS1_16scan_by_key_implILNS1_25lookback_scan_determinismE0ELb0ES3_N6thrust23THRUST_200600_302600_NS6detail15normal_iteratorINS9_10device_ptrIiEEEESE_SE_iNS9_4plusIvEENS9_8equal_toIvEEiEE10hipError_tPvRmT2_T3_T4_T5_mT6_T7_P12ihipStream_tbENKUlT_T0_E_clISt17integral_constantIbLb1EESZ_EEDaSU_SV_EUlSU_E_NS1_11comp_targetILNS1_3genE10ELNS1_11target_archE1201ELNS1_3gpuE5ELNS1_3repE0EEENS1_30default_config_static_selectorELNS0_4arch9wavefront6targetE0EEEvT1_.private_seg_size, 0
	.set _ZN7rocprim17ROCPRIM_400000_NS6detail17trampoline_kernelINS0_14default_configENS1_27scan_by_key_config_selectorIiiEEZZNS1_16scan_by_key_implILNS1_25lookback_scan_determinismE0ELb0ES3_N6thrust23THRUST_200600_302600_NS6detail15normal_iteratorINS9_10device_ptrIiEEEESE_SE_iNS9_4plusIvEENS9_8equal_toIvEEiEE10hipError_tPvRmT2_T3_T4_T5_mT6_T7_P12ihipStream_tbENKUlT_T0_E_clISt17integral_constantIbLb1EESZ_EEDaSU_SV_EUlSU_E_NS1_11comp_targetILNS1_3genE10ELNS1_11target_archE1201ELNS1_3gpuE5ELNS1_3repE0EEENS1_30default_config_static_selectorELNS0_4arch9wavefront6targetE0EEEvT1_.uses_vcc, 0
	.set _ZN7rocprim17ROCPRIM_400000_NS6detail17trampoline_kernelINS0_14default_configENS1_27scan_by_key_config_selectorIiiEEZZNS1_16scan_by_key_implILNS1_25lookback_scan_determinismE0ELb0ES3_N6thrust23THRUST_200600_302600_NS6detail15normal_iteratorINS9_10device_ptrIiEEEESE_SE_iNS9_4plusIvEENS9_8equal_toIvEEiEE10hipError_tPvRmT2_T3_T4_T5_mT6_T7_P12ihipStream_tbENKUlT_T0_E_clISt17integral_constantIbLb1EESZ_EEDaSU_SV_EUlSU_E_NS1_11comp_targetILNS1_3genE10ELNS1_11target_archE1201ELNS1_3gpuE5ELNS1_3repE0EEENS1_30default_config_static_selectorELNS0_4arch9wavefront6targetE0EEEvT1_.uses_flat_scratch, 0
	.set _ZN7rocprim17ROCPRIM_400000_NS6detail17trampoline_kernelINS0_14default_configENS1_27scan_by_key_config_selectorIiiEEZZNS1_16scan_by_key_implILNS1_25lookback_scan_determinismE0ELb0ES3_N6thrust23THRUST_200600_302600_NS6detail15normal_iteratorINS9_10device_ptrIiEEEESE_SE_iNS9_4plusIvEENS9_8equal_toIvEEiEE10hipError_tPvRmT2_T3_T4_T5_mT6_T7_P12ihipStream_tbENKUlT_T0_E_clISt17integral_constantIbLb1EESZ_EEDaSU_SV_EUlSU_E_NS1_11comp_targetILNS1_3genE10ELNS1_11target_archE1201ELNS1_3gpuE5ELNS1_3repE0EEENS1_30default_config_static_selectorELNS0_4arch9wavefront6targetE0EEEvT1_.has_dyn_sized_stack, 0
	.set _ZN7rocprim17ROCPRIM_400000_NS6detail17trampoline_kernelINS0_14default_configENS1_27scan_by_key_config_selectorIiiEEZZNS1_16scan_by_key_implILNS1_25lookback_scan_determinismE0ELb0ES3_N6thrust23THRUST_200600_302600_NS6detail15normal_iteratorINS9_10device_ptrIiEEEESE_SE_iNS9_4plusIvEENS9_8equal_toIvEEiEE10hipError_tPvRmT2_T3_T4_T5_mT6_T7_P12ihipStream_tbENKUlT_T0_E_clISt17integral_constantIbLb1EESZ_EEDaSU_SV_EUlSU_E_NS1_11comp_targetILNS1_3genE10ELNS1_11target_archE1201ELNS1_3gpuE5ELNS1_3repE0EEENS1_30default_config_static_selectorELNS0_4arch9wavefront6targetE0EEEvT1_.has_recursion, 0
	.set _ZN7rocprim17ROCPRIM_400000_NS6detail17trampoline_kernelINS0_14default_configENS1_27scan_by_key_config_selectorIiiEEZZNS1_16scan_by_key_implILNS1_25lookback_scan_determinismE0ELb0ES3_N6thrust23THRUST_200600_302600_NS6detail15normal_iteratorINS9_10device_ptrIiEEEESE_SE_iNS9_4plusIvEENS9_8equal_toIvEEiEE10hipError_tPvRmT2_T3_T4_T5_mT6_T7_P12ihipStream_tbENKUlT_T0_E_clISt17integral_constantIbLb1EESZ_EEDaSU_SV_EUlSU_E_NS1_11comp_targetILNS1_3genE10ELNS1_11target_archE1201ELNS1_3gpuE5ELNS1_3repE0EEENS1_30default_config_static_selectorELNS0_4arch9wavefront6targetE0EEEvT1_.has_indirect_call, 0
	.section	.AMDGPU.csdata,"",@progbits
; Kernel info:
; codeLenInByte = 0
; TotalNumSgprs: 0
; NumVgprs: 0
; ScratchSize: 0
; MemoryBound: 0
; FloatMode: 240
; IeeeMode: 1
; LDSByteSize: 0 bytes/workgroup (compile time only)
; SGPRBlocks: 0
; VGPRBlocks: 0
; NumSGPRsForWavesPerEU: 1
; NumVGPRsForWavesPerEU: 1
; Occupancy: 16
; WaveLimiterHint : 0
; COMPUTE_PGM_RSRC2:SCRATCH_EN: 0
; COMPUTE_PGM_RSRC2:USER_SGPR: 6
; COMPUTE_PGM_RSRC2:TRAP_HANDLER: 0
; COMPUTE_PGM_RSRC2:TGID_X_EN: 1
; COMPUTE_PGM_RSRC2:TGID_Y_EN: 0
; COMPUTE_PGM_RSRC2:TGID_Z_EN: 0
; COMPUTE_PGM_RSRC2:TIDIG_COMP_CNT: 0
	.section	.text._ZN7rocprim17ROCPRIM_400000_NS6detail17trampoline_kernelINS0_14default_configENS1_27scan_by_key_config_selectorIiiEEZZNS1_16scan_by_key_implILNS1_25lookback_scan_determinismE0ELb0ES3_N6thrust23THRUST_200600_302600_NS6detail15normal_iteratorINS9_10device_ptrIiEEEESE_SE_iNS9_4plusIvEENS9_8equal_toIvEEiEE10hipError_tPvRmT2_T3_T4_T5_mT6_T7_P12ihipStream_tbENKUlT_T0_E_clISt17integral_constantIbLb1EESZ_EEDaSU_SV_EUlSU_E_NS1_11comp_targetILNS1_3genE5ELNS1_11target_archE942ELNS1_3gpuE9ELNS1_3repE0EEENS1_30default_config_static_selectorELNS0_4arch9wavefront6targetE0EEEvT1_,"axG",@progbits,_ZN7rocprim17ROCPRIM_400000_NS6detail17trampoline_kernelINS0_14default_configENS1_27scan_by_key_config_selectorIiiEEZZNS1_16scan_by_key_implILNS1_25lookback_scan_determinismE0ELb0ES3_N6thrust23THRUST_200600_302600_NS6detail15normal_iteratorINS9_10device_ptrIiEEEESE_SE_iNS9_4plusIvEENS9_8equal_toIvEEiEE10hipError_tPvRmT2_T3_T4_T5_mT6_T7_P12ihipStream_tbENKUlT_T0_E_clISt17integral_constantIbLb1EESZ_EEDaSU_SV_EUlSU_E_NS1_11comp_targetILNS1_3genE5ELNS1_11target_archE942ELNS1_3gpuE9ELNS1_3repE0EEENS1_30default_config_static_selectorELNS0_4arch9wavefront6targetE0EEEvT1_,comdat
	.protected	_ZN7rocprim17ROCPRIM_400000_NS6detail17trampoline_kernelINS0_14default_configENS1_27scan_by_key_config_selectorIiiEEZZNS1_16scan_by_key_implILNS1_25lookback_scan_determinismE0ELb0ES3_N6thrust23THRUST_200600_302600_NS6detail15normal_iteratorINS9_10device_ptrIiEEEESE_SE_iNS9_4plusIvEENS9_8equal_toIvEEiEE10hipError_tPvRmT2_T3_T4_T5_mT6_T7_P12ihipStream_tbENKUlT_T0_E_clISt17integral_constantIbLb1EESZ_EEDaSU_SV_EUlSU_E_NS1_11comp_targetILNS1_3genE5ELNS1_11target_archE942ELNS1_3gpuE9ELNS1_3repE0EEENS1_30default_config_static_selectorELNS0_4arch9wavefront6targetE0EEEvT1_ ; -- Begin function _ZN7rocprim17ROCPRIM_400000_NS6detail17trampoline_kernelINS0_14default_configENS1_27scan_by_key_config_selectorIiiEEZZNS1_16scan_by_key_implILNS1_25lookback_scan_determinismE0ELb0ES3_N6thrust23THRUST_200600_302600_NS6detail15normal_iteratorINS9_10device_ptrIiEEEESE_SE_iNS9_4plusIvEENS9_8equal_toIvEEiEE10hipError_tPvRmT2_T3_T4_T5_mT6_T7_P12ihipStream_tbENKUlT_T0_E_clISt17integral_constantIbLb1EESZ_EEDaSU_SV_EUlSU_E_NS1_11comp_targetILNS1_3genE5ELNS1_11target_archE942ELNS1_3gpuE9ELNS1_3repE0EEENS1_30default_config_static_selectorELNS0_4arch9wavefront6targetE0EEEvT1_
	.globl	_ZN7rocprim17ROCPRIM_400000_NS6detail17trampoline_kernelINS0_14default_configENS1_27scan_by_key_config_selectorIiiEEZZNS1_16scan_by_key_implILNS1_25lookback_scan_determinismE0ELb0ES3_N6thrust23THRUST_200600_302600_NS6detail15normal_iteratorINS9_10device_ptrIiEEEESE_SE_iNS9_4plusIvEENS9_8equal_toIvEEiEE10hipError_tPvRmT2_T3_T4_T5_mT6_T7_P12ihipStream_tbENKUlT_T0_E_clISt17integral_constantIbLb1EESZ_EEDaSU_SV_EUlSU_E_NS1_11comp_targetILNS1_3genE5ELNS1_11target_archE942ELNS1_3gpuE9ELNS1_3repE0EEENS1_30default_config_static_selectorELNS0_4arch9wavefront6targetE0EEEvT1_
	.p2align	8
	.type	_ZN7rocprim17ROCPRIM_400000_NS6detail17trampoline_kernelINS0_14default_configENS1_27scan_by_key_config_selectorIiiEEZZNS1_16scan_by_key_implILNS1_25lookback_scan_determinismE0ELb0ES3_N6thrust23THRUST_200600_302600_NS6detail15normal_iteratorINS9_10device_ptrIiEEEESE_SE_iNS9_4plusIvEENS9_8equal_toIvEEiEE10hipError_tPvRmT2_T3_T4_T5_mT6_T7_P12ihipStream_tbENKUlT_T0_E_clISt17integral_constantIbLb1EESZ_EEDaSU_SV_EUlSU_E_NS1_11comp_targetILNS1_3genE5ELNS1_11target_archE942ELNS1_3gpuE9ELNS1_3repE0EEENS1_30default_config_static_selectorELNS0_4arch9wavefront6targetE0EEEvT1_,@function
_ZN7rocprim17ROCPRIM_400000_NS6detail17trampoline_kernelINS0_14default_configENS1_27scan_by_key_config_selectorIiiEEZZNS1_16scan_by_key_implILNS1_25lookback_scan_determinismE0ELb0ES3_N6thrust23THRUST_200600_302600_NS6detail15normal_iteratorINS9_10device_ptrIiEEEESE_SE_iNS9_4plusIvEENS9_8equal_toIvEEiEE10hipError_tPvRmT2_T3_T4_T5_mT6_T7_P12ihipStream_tbENKUlT_T0_E_clISt17integral_constantIbLb1EESZ_EEDaSU_SV_EUlSU_E_NS1_11comp_targetILNS1_3genE5ELNS1_11target_archE942ELNS1_3gpuE9ELNS1_3repE0EEENS1_30default_config_static_selectorELNS0_4arch9wavefront6targetE0EEEvT1_: ; @_ZN7rocprim17ROCPRIM_400000_NS6detail17trampoline_kernelINS0_14default_configENS1_27scan_by_key_config_selectorIiiEEZZNS1_16scan_by_key_implILNS1_25lookback_scan_determinismE0ELb0ES3_N6thrust23THRUST_200600_302600_NS6detail15normal_iteratorINS9_10device_ptrIiEEEESE_SE_iNS9_4plusIvEENS9_8equal_toIvEEiEE10hipError_tPvRmT2_T3_T4_T5_mT6_T7_P12ihipStream_tbENKUlT_T0_E_clISt17integral_constantIbLb1EESZ_EEDaSU_SV_EUlSU_E_NS1_11comp_targetILNS1_3genE5ELNS1_11target_archE942ELNS1_3gpuE9ELNS1_3repE0EEENS1_30default_config_static_selectorELNS0_4arch9wavefront6targetE0EEEvT1_
; %bb.0:
	.section	.rodata,"a",@progbits
	.p2align	6, 0x0
	.amdhsa_kernel _ZN7rocprim17ROCPRIM_400000_NS6detail17trampoline_kernelINS0_14default_configENS1_27scan_by_key_config_selectorIiiEEZZNS1_16scan_by_key_implILNS1_25lookback_scan_determinismE0ELb0ES3_N6thrust23THRUST_200600_302600_NS6detail15normal_iteratorINS9_10device_ptrIiEEEESE_SE_iNS9_4plusIvEENS9_8equal_toIvEEiEE10hipError_tPvRmT2_T3_T4_T5_mT6_T7_P12ihipStream_tbENKUlT_T0_E_clISt17integral_constantIbLb1EESZ_EEDaSU_SV_EUlSU_E_NS1_11comp_targetILNS1_3genE5ELNS1_11target_archE942ELNS1_3gpuE9ELNS1_3repE0EEENS1_30default_config_static_selectorELNS0_4arch9wavefront6targetE0EEEvT1_
		.amdhsa_group_segment_fixed_size 0
		.amdhsa_private_segment_fixed_size 0
		.amdhsa_kernarg_size 112
		.amdhsa_user_sgpr_count 6
		.amdhsa_user_sgpr_private_segment_buffer 1
		.amdhsa_user_sgpr_dispatch_ptr 0
		.amdhsa_user_sgpr_queue_ptr 0
		.amdhsa_user_sgpr_kernarg_segment_ptr 1
		.amdhsa_user_sgpr_dispatch_id 0
		.amdhsa_user_sgpr_flat_scratch_init 0
		.amdhsa_user_sgpr_private_segment_size 0
		.amdhsa_wavefront_size32 1
		.amdhsa_uses_dynamic_stack 0
		.amdhsa_system_sgpr_private_segment_wavefront_offset 0
		.amdhsa_system_sgpr_workgroup_id_x 1
		.amdhsa_system_sgpr_workgroup_id_y 0
		.amdhsa_system_sgpr_workgroup_id_z 0
		.amdhsa_system_sgpr_workgroup_info 0
		.amdhsa_system_vgpr_workitem_id 0
		.amdhsa_next_free_vgpr 1
		.amdhsa_next_free_sgpr 1
		.amdhsa_reserve_vcc 0
		.amdhsa_reserve_flat_scratch 0
		.amdhsa_float_round_mode_32 0
		.amdhsa_float_round_mode_16_64 0
		.amdhsa_float_denorm_mode_32 3
		.amdhsa_float_denorm_mode_16_64 3
		.amdhsa_dx10_clamp 1
		.amdhsa_ieee_mode 1
		.amdhsa_fp16_overflow 0
		.amdhsa_workgroup_processor_mode 1
		.amdhsa_memory_ordered 1
		.amdhsa_forward_progress 1
		.amdhsa_shared_vgpr_count 0
		.amdhsa_exception_fp_ieee_invalid_op 0
		.amdhsa_exception_fp_denorm_src 0
		.amdhsa_exception_fp_ieee_div_zero 0
		.amdhsa_exception_fp_ieee_overflow 0
		.amdhsa_exception_fp_ieee_underflow 0
		.amdhsa_exception_fp_ieee_inexact 0
		.amdhsa_exception_int_div_zero 0
	.end_amdhsa_kernel
	.section	.text._ZN7rocprim17ROCPRIM_400000_NS6detail17trampoline_kernelINS0_14default_configENS1_27scan_by_key_config_selectorIiiEEZZNS1_16scan_by_key_implILNS1_25lookback_scan_determinismE0ELb0ES3_N6thrust23THRUST_200600_302600_NS6detail15normal_iteratorINS9_10device_ptrIiEEEESE_SE_iNS9_4plusIvEENS9_8equal_toIvEEiEE10hipError_tPvRmT2_T3_T4_T5_mT6_T7_P12ihipStream_tbENKUlT_T0_E_clISt17integral_constantIbLb1EESZ_EEDaSU_SV_EUlSU_E_NS1_11comp_targetILNS1_3genE5ELNS1_11target_archE942ELNS1_3gpuE9ELNS1_3repE0EEENS1_30default_config_static_selectorELNS0_4arch9wavefront6targetE0EEEvT1_,"axG",@progbits,_ZN7rocprim17ROCPRIM_400000_NS6detail17trampoline_kernelINS0_14default_configENS1_27scan_by_key_config_selectorIiiEEZZNS1_16scan_by_key_implILNS1_25lookback_scan_determinismE0ELb0ES3_N6thrust23THRUST_200600_302600_NS6detail15normal_iteratorINS9_10device_ptrIiEEEESE_SE_iNS9_4plusIvEENS9_8equal_toIvEEiEE10hipError_tPvRmT2_T3_T4_T5_mT6_T7_P12ihipStream_tbENKUlT_T0_E_clISt17integral_constantIbLb1EESZ_EEDaSU_SV_EUlSU_E_NS1_11comp_targetILNS1_3genE5ELNS1_11target_archE942ELNS1_3gpuE9ELNS1_3repE0EEENS1_30default_config_static_selectorELNS0_4arch9wavefront6targetE0EEEvT1_,comdat
.Lfunc_end135:
	.size	_ZN7rocprim17ROCPRIM_400000_NS6detail17trampoline_kernelINS0_14default_configENS1_27scan_by_key_config_selectorIiiEEZZNS1_16scan_by_key_implILNS1_25lookback_scan_determinismE0ELb0ES3_N6thrust23THRUST_200600_302600_NS6detail15normal_iteratorINS9_10device_ptrIiEEEESE_SE_iNS9_4plusIvEENS9_8equal_toIvEEiEE10hipError_tPvRmT2_T3_T4_T5_mT6_T7_P12ihipStream_tbENKUlT_T0_E_clISt17integral_constantIbLb1EESZ_EEDaSU_SV_EUlSU_E_NS1_11comp_targetILNS1_3genE5ELNS1_11target_archE942ELNS1_3gpuE9ELNS1_3repE0EEENS1_30default_config_static_selectorELNS0_4arch9wavefront6targetE0EEEvT1_, .Lfunc_end135-_ZN7rocprim17ROCPRIM_400000_NS6detail17trampoline_kernelINS0_14default_configENS1_27scan_by_key_config_selectorIiiEEZZNS1_16scan_by_key_implILNS1_25lookback_scan_determinismE0ELb0ES3_N6thrust23THRUST_200600_302600_NS6detail15normal_iteratorINS9_10device_ptrIiEEEESE_SE_iNS9_4plusIvEENS9_8equal_toIvEEiEE10hipError_tPvRmT2_T3_T4_T5_mT6_T7_P12ihipStream_tbENKUlT_T0_E_clISt17integral_constantIbLb1EESZ_EEDaSU_SV_EUlSU_E_NS1_11comp_targetILNS1_3genE5ELNS1_11target_archE942ELNS1_3gpuE9ELNS1_3repE0EEENS1_30default_config_static_selectorELNS0_4arch9wavefront6targetE0EEEvT1_
                                        ; -- End function
	.set _ZN7rocprim17ROCPRIM_400000_NS6detail17trampoline_kernelINS0_14default_configENS1_27scan_by_key_config_selectorIiiEEZZNS1_16scan_by_key_implILNS1_25lookback_scan_determinismE0ELb0ES3_N6thrust23THRUST_200600_302600_NS6detail15normal_iteratorINS9_10device_ptrIiEEEESE_SE_iNS9_4plusIvEENS9_8equal_toIvEEiEE10hipError_tPvRmT2_T3_T4_T5_mT6_T7_P12ihipStream_tbENKUlT_T0_E_clISt17integral_constantIbLb1EESZ_EEDaSU_SV_EUlSU_E_NS1_11comp_targetILNS1_3genE5ELNS1_11target_archE942ELNS1_3gpuE9ELNS1_3repE0EEENS1_30default_config_static_selectorELNS0_4arch9wavefront6targetE0EEEvT1_.num_vgpr, 0
	.set _ZN7rocprim17ROCPRIM_400000_NS6detail17trampoline_kernelINS0_14default_configENS1_27scan_by_key_config_selectorIiiEEZZNS1_16scan_by_key_implILNS1_25lookback_scan_determinismE0ELb0ES3_N6thrust23THRUST_200600_302600_NS6detail15normal_iteratorINS9_10device_ptrIiEEEESE_SE_iNS9_4plusIvEENS9_8equal_toIvEEiEE10hipError_tPvRmT2_T3_T4_T5_mT6_T7_P12ihipStream_tbENKUlT_T0_E_clISt17integral_constantIbLb1EESZ_EEDaSU_SV_EUlSU_E_NS1_11comp_targetILNS1_3genE5ELNS1_11target_archE942ELNS1_3gpuE9ELNS1_3repE0EEENS1_30default_config_static_selectorELNS0_4arch9wavefront6targetE0EEEvT1_.num_agpr, 0
	.set _ZN7rocprim17ROCPRIM_400000_NS6detail17trampoline_kernelINS0_14default_configENS1_27scan_by_key_config_selectorIiiEEZZNS1_16scan_by_key_implILNS1_25lookback_scan_determinismE0ELb0ES3_N6thrust23THRUST_200600_302600_NS6detail15normal_iteratorINS9_10device_ptrIiEEEESE_SE_iNS9_4plusIvEENS9_8equal_toIvEEiEE10hipError_tPvRmT2_T3_T4_T5_mT6_T7_P12ihipStream_tbENKUlT_T0_E_clISt17integral_constantIbLb1EESZ_EEDaSU_SV_EUlSU_E_NS1_11comp_targetILNS1_3genE5ELNS1_11target_archE942ELNS1_3gpuE9ELNS1_3repE0EEENS1_30default_config_static_selectorELNS0_4arch9wavefront6targetE0EEEvT1_.numbered_sgpr, 0
	.set _ZN7rocprim17ROCPRIM_400000_NS6detail17trampoline_kernelINS0_14default_configENS1_27scan_by_key_config_selectorIiiEEZZNS1_16scan_by_key_implILNS1_25lookback_scan_determinismE0ELb0ES3_N6thrust23THRUST_200600_302600_NS6detail15normal_iteratorINS9_10device_ptrIiEEEESE_SE_iNS9_4plusIvEENS9_8equal_toIvEEiEE10hipError_tPvRmT2_T3_T4_T5_mT6_T7_P12ihipStream_tbENKUlT_T0_E_clISt17integral_constantIbLb1EESZ_EEDaSU_SV_EUlSU_E_NS1_11comp_targetILNS1_3genE5ELNS1_11target_archE942ELNS1_3gpuE9ELNS1_3repE0EEENS1_30default_config_static_selectorELNS0_4arch9wavefront6targetE0EEEvT1_.num_named_barrier, 0
	.set _ZN7rocprim17ROCPRIM_400000_NS6detail17trampoline_kernelINS0_14default_configENS1_27scan_by_key_config_selectorIiiEEZZNS1_16scan_by_key_implILNS1_25lookback_scan_determinismE0ELb0ES3_N6thrust23THRUST_200600_302600_NS6detail15normal_iteratorINS9_10device_ptrIiEEEESE_SE_iNS9_4plusIvEENS9_8equal_toIvEEiEE10hipError_tPvRmT2_T3_T4_T5_mT6_T7_P12ihipStream_tbENKUlT_T0_E_clISt17integral_constantIbLb1EESZ_EEDaSU_SV_EUlSU_E_NS1_11comp_targetILNS1_3genE5ELNS1_11target_archE942ELNS1_3gpuE9ELNS1_3repE0EEENS1_30default_config_static_selectorELNS0_4arch9wavefront6targetE0EEEvT1_.private_seg_size, 0
	.set _ZN7rocprim17ROCPRIM_400000_NS6detail17trampoline_kernelINS0_14default_configENS1_27scan_by_key_config_selectorIiiEEZZNS1_16scan_by_key_implILNS1_25lookback_scan_determinismE0ELb0ES3_N6thrust23THRUST_200600_302600_NS6detail15normal_iteratorINS9_10device_ptrIiEEEESE_SE_iNS9_4plusIvEENS9_8equal_toIvEEiEE10hipError_tPvRmT2_T3_T4_T5_mT6_T7_P12ihipStream_tbENKUlT_T0_E_clISt17integral_constantIbLb1EESZ_EEDaSU_SV_EUlSU_E_NS1_11comp_targetILNS1_3genE5ELNS1_11target_archE942ELNS1_3gpuE9ELNS1_3repE0EEENS1_30default_config_static_selectorELNS0_4arch9wavefront6targetE0EEEvT1_.uses_vcc, 0
	.set _ZN7rocprim17ROCPRIM_400000_NS6detail17trampoline_kernelINS0_14default_configENS1_27scan_by_key_config_selectorIiiEEZZNS1_16scan_by_key_implILNS1_25lookback_scan_determinismE0ELb0ES3_N6thrust23THRUST_200600_302600_NS6detail15normal_iteratorINS9_10device_ptrIiEEEESE_SE_iNS9_4plusIvEENS9_8equal_toIvEEiEE10hipError_tPvRmT2_T3_T4_T5_mT6_T7_P12ihipStream_tbENKUlT_T0_E_clISt17integral_constantIbLb1EESZ_EEDaSU_SV_EUlSU_E_NS1_11comp_targetILNS1_3genE5ELNS1_11target_archE942ELNS1_3gpuE9ELNS1_3repE0EEENS1_30default_config_static_selectorELNS0_4arch9wavefront6targetE0EEEvT1_.uses_flat_scratch, 0
	.set _ZN7rocprim17ROCPRIM_400000_NS6detail17trampoline_kernelINS0_14default_configENS1_27scan_by_key_config_selectorIiiEEZZNS1_16scan_by_key_implILNS1_25lookback_scan_determinismE0ELb0ES3_N6thrust23THRUST_200600_302600_NS6detail15normal_iteratorINS9_10device_ptrIiEEEESE_SE_iNS9_4plusIvEENS9_8equal_toIvEEiEE10hipError_tPvRmT2_T3_T4_T5_mT6_T7_P12ihipStream_tbENKUlT_T0_E_clISt17integral_constantIbLb1EESZ_EEDaSU_SV_EUlSU_E_NS1_11comp_targetILNS1_3genE5ELNS1_11target_archE942ELNS1_3gpuE9ELNS1_3repE0EEENS1_30default_config_static_selectorELNS0_4arch9wavefront6targetE0EEEvT1_.has_dyn_sized_stack, 0
	.set _ZN7rocprim17ROCPRIM_400000_NS6detail17trampoline_kernelINS0_14default_configENS1_27scan_by_key_config_selectorIiiEEZZNS1_16scan_by_key_implILNS1_25lookback_scan_determinismE0ELb0ES3_N6thrust23THRUST_200600_302600_NS6detail15normal_iteratorINS9_10device_ptrIiEEEESE_SE_iNS9_4plusIvEENS9_8equal_toIvEEiEE10hipError_tPvRmT2_T3_T4_T5_mT6_T7_P12ihipStream_tbENKUlT_T0_E_clISt17integral_constantIbLb1EESZ_EEDaSU_SV_EUlSU_E_NS1_11comp_targetILNS1_3genE5ELNS1_11target_archE942ELNS1_3gpuE9ELNS1_3repE0EEENS1_30default_config_static_selectorELNS0_4arch9wavefront6targetE0EEEvT1_.has_recursion, 0
	.set _ZN7rocprim17ROCPRIM_400000_NS6detail17trampoline_kernelINS0_14default_configENS1_27scan_by_key_config_selectorIiiEEZZNS1_16scan_by_key_implILNS1_25lookback_scan_determinismE0ELb0ES3_N6thrust23THRUST_200600_302600_NS6detail15normal_iteratorINS9_10device_ptrIiEEEESE_SE_iNS9_4plusIvEENS9_8equal_toIvEEiEE10hipError_tPvRmT2_T3_T4_T5_mT6_T7_P12ihipStream_tbENKUlT_T0_E_clISt17integral_constantIbLb1EESZ_EEDaSU_SV_EUlSU_E_NS1_11comp_targetILNS1_3genE5ELNS1_11target_archE942ELNS1_3gpuE9ELNS1_3repE0EEENS1_30default_config_static_selectorELNS0_4arch9wavefront6targetE0EEEvT1_.has_indirect_call, 0
	.section	.AMDGPU.csdata,"",@progbits
; Kernel info:
; codeLenInByte = 0
; TotalNumSgprs: 0
; NumVgprs: 0
; ScratchSize: 0
; MemoryBound: 0
; FloatMode: 240
; IeeeMode: 1
; LDSByteSize: 0 bytes/workgroup (compile time only)
; SGPRBlocks: 0
; VGPRBlocks: 0
; NumSGPRsForWavesPerEU: 1
; NumVGPRsForWavesPerEU: 1
; Occupancy: 16
; WaveLimiterHint : 0
; COMPUTE_PGM_RSRC2:SCRATCH_EN: 0
; COMPUTE_PGM_RSRC2:USER_SGPR: 6
; COMPUTE_PGM_RSRC2:TRAP_HANDLER: 0
; COMPUTE_PGM_RSRC2:TGID_X_EN: 1
; COMPUTE_PGM_RSRC2:TGID_Y_EN: 0
; COMPUTE_PGM_RSRC2:TGID_Z_EN: 0
; COMPUTE_PGM_RSRC2:TIDIG_COMP_CNT: 0
	.section	.text._ZN7rocprim17ROCPRIM_400000_NS6detail17trampoline_kernelINS0_14default_configENS1_27scan_by_key_config_selectorIiiEEZZNS1_16scan_by_key_implILNS1_25lookback_scan_determinismE0ELb0ES3_N6thrust23THRUST_200600_302600_NS6detail15normal_iteratorINS9_10device_ptrIiEEEESE_SE_iNS9_4plusIvEENS9_8equal_toIvEEiEE10hipError_tPvRmT2_T3_T4_T5_mT6_T7_P12ihipStream_tbENKUlT_T0_E_clISt17integral_constantIbLb1EESZ_EEDaSU_SV_EUlSU_E_NS1_11comp_targetILNS1_3genE4ELNS1_11target_archE910ELNS1_3gpuE8ELNS1_3repE0EEENS1_30default_config_static_selectorELNS0_4arch9wavefront6targetE0EEEvT1_,"axG",@progbits,_ZN7rocprim17ROCPRIM_400000_NS6detail17trampoline_kernelINS0_14default_configENS1_27scan_by_key_config_selectorIiiEEZZNS1_16scan_by_key_implILNS1_25lookback_scan_determinismE0ELb0ES3_N6thrust23THRUST_200600_302600_NS6detail15normal_iteratorINS9_10device_ptrIiEEEESE_SE_iNS9_4plusIvEENS9_8equal_toIvEEiEE10hipError_tPvRmT2_T3_T4_T5_mT6_T7_P12ihipStream_tbENKUlT_T0_E_clISt17integral_constantIbLb1EESZ_EEDaSU_SV_EUlSU_E_NS1_11comp_targetILNS1_3genE4ELNS1_11target_archE910ELNS1_3gpuE8ELNS1_3repE0EEENS1_30default_config_static_selectorELNS0_4arch9wavefront6targetE0EEEvT1_,comdat
	.protected	_ZN7rocprim17ROCPRIM_400000_NS6detail17trampoline_kernelINS0_14default_configENS1_27scan_by_key_config_selectorIiiEEZZNS1_16scan_by_key_implILNS1_25lookback_scan_determinismE0ELb0ES3_N6thrust23THRUST_200600_302600_NS6detail15normal_iteratorINS9_10device_ptrIiEEEESE_SE_iNS9_4plusIvEENS9_8equal_toIvEEiEE10hipError_tPvRmT2_T3_T4_T5_mT6_T7_P12ihipStream_tbENKUlT_T0_E_clISt17integral_constantIbLb1EESZ_EEDaSU_SV_EUlSU_E_NS1_11comp_targetILNS1_3genE4ELNS1_11target_archE910ELNS1_3gpuE8ELNS1_3repE0EEENS1_30default_config_static_selectorELNS0_4arch9wavefront6targetE0EEEvT1_ ; -- Begin function _ZN7rocprim17ROCPRIM_400000_NS6detail17trampoline_kernelINS0_14default_configENS1_27scan_by_key_config_selectorIiiEEZZNS1_16scan_by_key_implILNS1_25lookback_scan_determinismE0ELb0ES3_N6thrust23THRUST_200600_302600_NS6detail15normal_iteratorINS9_10device_ptrIiEEEESE_SE_iNS9_4plusIvEENS9_8equal_toIvEEiEE10hipError_tPvRmT2_T3_T4_T5_mT6_T7_P12ihipStream_tbENKUlT_T0_E_clISt17integral_constantIbLb1EESZ_EEDaSU_SV_EUlSU_E_NS1_11comp_targetILNS1_3genE4ELNS1_11target_archE910ELNS1_3gpuE8ELNS1_3repE0EEENS1_30default_config_static_selectorELNS0_4arch9wavefront6targetE0EEEvT1_
	.globl	_ZN7rocprim17ROCPRIM_400000_NS6detail17trampoline_kernelINS0_14default_configENS1_27scan_by_key_config_selectorIiiEEZZNS1_16scan_by_key_implILNS1_25lookback_scan_determinismE0ELb0ES3_N6thrust23THRUST_200600_302600_NS6detail15normal_iteratorINS9_10device_ptrIiEEEESE_SE_iNS9_4plusIvEENS9_8equal_toIvEEiEE10hipError_tPvRmT2_T3_T4_T5_mT6_T7_P12ihipStream_tbENKUlT_T0_E_clISt17integral_constantIbLb1EESZ_EEDaSU_SV_EUlSU_E_NS1_11comp_targetILNS1_3genE4ELNS1_11target_archE910ELNS1_3gpuE8ELNS1_3repE0EEENS1_30default_config_static_selectorELNS0_4arch9wavefront6targetE0EEEvT1_
	.p2align	8
	.type	_ZN7rocprim17ROCPRIM_400000_NS6detail17trampoline_kernelINS0_14default_configENS1_27scan_by_key_config_selectorIiiEEZZNS1_16scan_by_key_implILNS1_25lookback_scan_determinismE0ELb0ES3_N6thrust23THRUST_200600_302600_NS6detail15normal_iteratorINS9_10device_ptrIiEEEESE_SE_iNS9_4plusIvEENS9_8equal_toIvEEiEE10hipError_tPvRmT2_T3_T4_T5_mT6_T7_P12ihipStream_tbENKUlT_T0_E_clISt17integral_constantIbLb1EESZ_EEDaSU_SV_EUlSU_E_NS1_11comp_targetILNS1_3genE4ELNS1_11target_archE910ELNS1_3gpuE8ELNS1_3repE0EEENS1_30default_config_static_selectorELNS0_4arch9wavefront6targetE0EEEvT1_,@function
_ZN7rocprim17ROCPRIM_400000_NS6detail17trampoline_kernelINS0_14default_configENS1_27scan_by_key_config_selectorIiiEEZZNS1_16scan_by_key_implILNS1_25lookback_scan_determinismE0ELb0ES3_N6thrust23THRUST_200600_302600_NS6detail15normal_iteratorINS9_10device_ptrIiEEEESE_SE_iNS9_4plusIvEENS9_8equal_toIvEEiEE10hipError_tPvRmT2_T3_T4_T5_mT6_T7_P12ihipStream_tbENKUlT_T0_E_clISt17integral_constantIbLb1EESZ_EEDaSU_SV_EUlSU_E_NS1_11comp_targetILNS1_3genE4ELNS1_11target_archE910ELNS1_3gpuE8ELNS1_3repE0EEENS1_30default_config_static_selectorELNS0_4arch9wavefront6targetE0EEEvT1_: ; @_ZN7rocprim17ROCPRIM_400000_NS6detail17trampoline_kernelINS0_14default_configENS1_27scan_by_key_config_selectorIiiEEZZNS1_16scan_by_key_implILNS1_25lookback_scan_determinismE0ELb0ES3_N6thrust23THRUST_200600_302600_NS6detail15normal_iteratorINS9_10device_ptrIiEEEESE_SE_iNS9_4plusIvEENS9_8equal_toIvEEiEE10hipError_tPvRmT2_T3_T4_T5_mT6_T7_P12ihipStream_tbENKUlT_T0_E_clISt17integral_constantIbLb1EESZ_EEDaSU_SV_EUlSU_E_NS1_11comp_targetILNS1_3genE4ELNS1_11target_archE910ELNS1_3gpuE8ELNS1_3repE0EEENS1_30default_config_static_selectorELNS0_4arch9wavefront6targetE0EEEvT1_
; %bb.0:
	.section	.rodata,"a",@progbits
	.p2align	6, 0x0
	.amdhsa_kernel _ZN7rocprim17ROCPRIM_400000_NS6detail17trampoline_kernelINS0_14default_configENS1_27scan_by_key_config_selectorIiiEEZZNS1_16scan_by_key_implILNS1_25lookback_scan_determinismE0ELb0ES3_N6thrust23THRUST_200600_302600_NS6detail15normal_iteratorINS9_10device_ptrIiEEEESE_SE_iNS9_4plusIvEENS9_8equal_toIvEEiEE10hipError_tPvRmT2_T3_T4_T5_mT6_T7_P12ihipStream_tbENKUlT_T0_E_clISt17integral_constantIbLb1EESZ_EEDaSU_SV_EUlSU_E_NS1_11comp_targetILNS1_3genE4ELNS1_11target_archE910ELNS1_3gpuE8ELNS1_3repE0EEENS1_30default_config_static_selectorELNS0_4arch9wavefront6targetE0EEEvT1_
		.amdhsa_group_segment_fixed_size 0
		.amdhsa_private_segment_fixed_size 0
		.amdhsa_kernarg_size 112
		.amdhsa_user_sgpr_count 6
		.amdhsa_user_sgpr_private_segment_buffer 1
		.amdhsa_user_sgpr_dispatch_ptr 0
		.amdhsa_user_sgpr_queue_ptr 0
		.amdhsa_user_sgpr_kernarg_segment_ptr 1
		.amdhsa_user_sgpr_dispatch_id 0
		.amdhsa_user_sgpr_flat_scratch_init 0
		.amdhsa_user_sgpr_private_segment_size 0
		.amdhsa_wavefront_size32 1
		.amdhsa_uses_dynamic_stack 0
		.amdhsa_system_sgpr_private_segment_wavefront_offset 0
		.amdhsa_system_sgpr_workgroup_id_x 1
		.amdhsa_system_sgpr_workgroup_id_y 0
		.amdhsa_system_sgpr_workgroup_id_z 0
		.amdhsa_system_sgpr_workgroup_info 0
		.amdhsa_system_vgpr_workitem_id 0
		.amdhsa_next_free_vgpr 1
		.amdhsa_next_free_sgpr 1
		.amdhsa_reserve_vcc 0
		.amdhsa_reserve_flat_scratch 0
		.amdhsa_float_round_mode_32 0
		.amdhsa_float_round_mode_16_64 0
		.amdhsa_float_denorm_mode_32 3
		.amdhsa_float_denorm_mode_16_64 3
		.amdhsa_dx10_clamp 1
		.amdhsa_ieee_mode 1
		.amdhsa_fp16_overflow 0
		.amdhsa_workgroup_processor_mode 1
		.amdhsa_memory_ordered 1
		.amdhsa_forward_progress 1
		.amdhsa_shared_vgpr_count 0
		.amdhsa_exception_fp_ieee_invalid_op 0
		.amdhsa_exception_fp_denorm_src 0
		.amdhsa_exception_fp_ieee_div_zero 0
		.amdhsa_exception_fp_ieee_overflow 0
		.amdhsa_exception_fp_ieee_underflow 0
		.amdhsa_exception_fp_ieee_inexact 0
		.amdhsa_exception_int_div_zero 0
	.end_amdhsa_kernel
	.section	.text._ZN7rocprim17ROCPRIM_400000_NS6detail17trampoline_kernelINS0_14default_configENS1_27scan_by_key_config_selectorIiiEEZZNS1_16scan_by_key_implILNS1_25lookback_scan_determinismE0ELb0ES3_N6thrust23THRUST_200600_302600_NS6detail15normal_iteratorINS9_10device_ptrIiEEEESE_SE_iNS9_4plusIvEENS9_8equal_toIvEEiEE10hipError_tPvRmT2_T3_T4_T5_mT6_T7_P12ihipStream_tbENKUlT_T0_E_clISt17integral_constantIbLb1EESZ_EEDaSU_SV_EUlSU_E_NS1_11comp_targetILNS1_3genE4ELNS1_11target_archE910ELNS1_3gpuE8ELNS1_3repE0EEENS1_30default_config_static_selectorELNS0_4arch9wavefront6targetE0EEEvT1_,"axG",@progbits,_ZN7rocprim17ROCPRIM_400000_NS6detail17trampoline_kernelINS0_14default_configENS1_27scan_by_key_config_selectorIiiEEZZNS1_16scan_by_key_implILNS1_25lookback_scan_determinismE0ELb0ES3_N6thrust23THRUST_200600_302600_NS6detail15normal_iteratorINS9_10device_ptrIiEEEESE_SE_iNS9_4plusIvEENS9_8equal_toIvEEiEE10hipError_tPvRmT2_T3_T4_T5_mT6_T7_P12ihipStream_tbENKUlT_T0_E_clISt17integral_constantIbLb1EESZ_EEDaSU_SV_EUlSU_E_NS1_11comp_targetILNS1_3genE4ELNS1_11target_archE910ELNS1_3gpuE8ELNS1_3repE0EEENS1_30default_config_static_selectorELNS0_4arch9wavefront6targetE0EEEvT1_,comdat
.Lfunc_end136:
	.size	_ZN7rocprim17ROCPRIM_400000_NS6detail17trampoline_kernelINS0_14default_configENS1_27scan_by_key_config_selectorIiiEEZZNS1_16scan_by_key_implILNS1_25lookback_scan_determinismE0ELb0ES3_N6thrust23THRUST_200600_302600_NS6detail15normal_iteratorINS9_10device_ptrIiEEEESE_SE_iNS9_4plusIvEENS9_8equal_toIvEEiEE10hipError_tPvRmT2_T3_T4_T5_mT6_T7_P12ihipStream_tbENKUlT_T0_E_clISt17integral_constantIbLb1EESZ_EEDaSU_SV_EUlSU_E_NS1_11comp_targetILNS1_3genE4ELNS1_11target_archE910ELNS1_3gpuE8ELNS1_3repE0EEENS1_30default_config_static_selectorELNS0_4arch9wavefront6targetE0EEEvT1_, .Lfunc_end136-_ZN7rocprim17ROCPRIM_400000_NS6detail17trampoline_kernelINS0_14default_configENS1_27scan_by_key_config_selectorIiiEEZZNS1_16scan_by_key_implILNS1_25lookback_scan_determinismE0ELb0ES3_N6thrust23THRUST_200600_302600_NS6detail15normal_iteratorINS9_10device_ptrIiEEEESE_SE_iNS9_4plusIvEENS9_8equal_toIvEEiEE10hipError_tPvRmT2_T3_T4_T5_mT6_T7_P12ihipStream_tbENKUlT_T0_E_clISt17integral_constantIbLb1EESZ_EEDaSU_SV_EUlSU_E_NS1_11comp_targetILNS1_3genE4ELNS1_11target_archE910ELNS1_3gpuE8ELNS1_3repE0EEENS1_30default_config_static_selectorELNS0_4arch9wavefront6targetE0EEEvT1_
                                        ; -- End function
	.set _ZN7rocprim17ROCPRIM_400000_NS6detail17trampoline_kernelINS0_14default_configENS1_27scan_by_key_config_selectorIiiEEZZNS1_16scan_by_key_implILNS1_25lookback_scan_determinismE0ELb0ES3_N6thrust23THRUST_200600_302600_NS6detail15normal_iteratorINS9_10device_ptrIiEEEESE_SE_iNS9_4plusIvEENS9_8equal_toIvEEiEE10hipError_tPvRmT2_T3_T4_T5_mT6_T7_P12ihipStream_tbENKUlT_T0_E_clISt17integral_constantIbLb1EESZ_EEDaSU_SV_EUlSU_E_NS1_11comp_targetILNS1_3genE4ELNS1_11target_archE910ELNS1_3gpuE8ELNS1_3repE0EEENS1_30default_config_static_selectorELNS0_4arch9wavefront6targetE0EEEvT1_.num_vgpr, 0
	.set _ZN7rocprim17ROCPRIM_400000_NS6detail17trampoline_kernelINS0_14default_configENS1_27scan_by_key_config_selectorIiiEEZZNS1_16scan_by_key_implILNS1_25lookback_scan_determinismE0ELb0ES3_N6thrust23THRUST_200600_302600_NS6detail15normal_iteratorINS9_10device_ptrIiEEEESE_SE_iNS9_4plusIvEENS9_8equal_toIvEEiEE10hipError_tPvRmT2_T3_T4_T5_mT6_T7_P12ihipStream_tbENKUlT_T0_E_clISt17integral_constantIbLb1EESZ_EEDaSU_SV_EUlSU_E_NS1_11comp_targetILNS1_3genE4ELNS1_11target_archE910ELNS1_3gpuE8ELNS1_3repE0EEENS1_30default_config_static_selectorELNS0_4arch9wavefront6targetE0EEEvT1_.num_agpr, 0
	.set _ZN7rocprim17ROCPRIM_400000_NS6detail17trampoline_kernelINS0_14default_configENS1_27scan_by_key_config_selectorIiiEEZZNS1_16scan_by_key_implILNS1_25lookback_scan_determinismE0ELb0ES3_N6thrust23THRUST_200600_302600_NS6detail15normal_iteratorINS9_10device_ptrIiEEEESE_SE_iNS9_4plusIvEENS9_8equal_toIvEEiEE10hipError_tPvRmT2_T3_T4_T5_mT6_T7_P12ihipStream_tbENKUlT_T0_E_clISt17integral_constantIbLb1EESZ_EEDaSU_SV_EUlSU_E_NS1_11comp_targetILNS1_3genE4ELNS1_11target_archE910ELNS1_3gpuE8ELNS1_3repE0EEENS1_30default_config_static_selectorELNS0_4arch9wavefront6targetE0EEEvT1_.numbered_sgpr, 0
	.set _ZN7rocprim17ROCPRIM_400000_NS6detail17trampoline_kernelINS0_14default_configENS1_27scan_by_key_config_selectorIiiEEZZNS1_16scan_by_key_implILNS1_25lookback_scan_determinismE0ELb0ES3_N6thrust23THRUST_200600_302600_NS6detail15normal_iteratorINS9_10device_ptrIiEEEESE_SE_iNS9_4plusIvEENS9_8equal_toIvEEiEE10hipError_tPvRmT2_T3_T4_T5_mT6_T7_P12ihipStream_tbENKUlT_T0_E_clISt17integral_constantIbLb1EESZ_EEDaSU_SV_EUlSU_E_NS1_11comp_targetILNS1_3genE4ELNS1_11target_archE910ELNS1_3gpuE8ELNS1_3repE0EEENS1_30default_config_static_selectorELNS0_4arch9wavefront6targetE0EEEvT1_.num_named_barrier, 0
	.set _ZN7rocprim17ROCPRIM_400000_NS6detail17trampoline_kernelINS0_14default_configENS1_27scan_by_key_config_selectorIiiEEZZNS1_16scan_by_key_implILNS1_25lookback_scan_determinismE0ELb0ES3_N6thrust23THRUST_200600_302600_NS6detail15normal_iteratorINS9_10device_ptrIiEEEESE_SE_iNS9_4plusIvEENS9_8equal_toIvEEiEE10hipError_tPvRmT2_T3_T4_T5_mT6_T7_P12ihipStream_tbENKUlT_T0_E_clISt17integral_constantIbLb1EESZ_EEDaSU_SV_EUlSU_E_NS1_11comp_targetILNS1_3genE4ELNS1_11target_archE910ELNS1_3gpuE8ELNS1_3repE0EEENS1_30default_config_static_selectorELNS0_4arch9wavefront6targetE0EEEvT1_.private_seg_size, 0
	.set _ZN7rocprim17ROCPRIM_400000_NS6detail17trampoline_kernelINS0_14default_configENS1_27scan_by_key_config_selectorIiiEEZZNS1_16scan_by_key_implILNS1_25lookback_scan_determinismE0ELb0ES3_N6thrust23THRUST_200600_302600_NS6detail15normal_iteratorINS9_10device_ptrIiEEEESE_SE_iNS9_4plusIvEENS9_8equal_toIvEEiEE10hipError_tPvRmT2_T3_T4_T5_mT6_T7_P12ihipStream_tbENKUlT_T0_E_clISt17integral_constantIbLb1EESZ_EEDaSU_SV_EUlSU_E_NS1_11comp_targetILNS1_3genE4ELNS1_11target_archE910ELNS1_3gpuE8ELNS1_3repE0EEENS1_30default_config_static_selectorELNS0_4arch9wavefront6targetE0EEEvT1_.uses_vcc, 0
	.set _ZN7rocprim17ROCPRIM_400000_NS6detail17trampoline_kernelINS0_14default_configENS1_27scan_by_key_config_selectorIiiEEZZNS1_16scan_by_key_implILNS1_25lookback_scan_determinismE0ELb0ES3_N6thrust23THRUST_200600_302600_NS6detail15normal_iteratorINS9_10device_ptrIiEEEESE_SE_iNS9_4plusIvEENS9_8equal_toIvEEiEE10hipError_tPvRmT2_T3_T4_T5_mT6_T7_P12ihipStream_tbENKUlT_T0_E_clISt17integral_constantIbLb1EESZ_EEDaSU_SV_EUlSU_E_NS1_11comp_targetILNS1_3genE4ELNS1_11target_archE910ELNS1_3gpuE8ELNS1_3repE0EEENS1_30default_config_static_selectorELNS0_4arch9wavefront6targetE0EEEvT1_.uses_flat_scratch, 0
	.set _ZN7rocprim17ROCPRIM_400000_NS6detail17trampoline_kernelINS0_14default_configENS1_27scan_by_key_config_selectorIiiEEZZNS1_16scan_by_key_implILNS1_25lookback_scan_determinismE0ELb0ES3_N6thrust23THRUST_200600_302600_NS6detail15normal_iteratorINS9_10device_ptrIiEEEESE_SE_iNS9_4plusIvEENS9_8equal_toIvEEiEE10hipError_tPvRmT2_T3_T4_T5_mT6_T7_P12ihipStream_tbENKUlT_T0_E_clISt17integral_constantIbLb1EESZ_EEDaSU_SV_EUlSU_E_NS1_11comp_targetILNS1_3genE4ELNS1_11target_archE910ELNS1_3gpuE8ELNS1_3repE0EEENS1_30default_config_static_selectorELNS0_4arch9wavefront6targetE0EEEvT1_.has_dyn_sized_stack, 0
	.set _ZN7rocprim17ROCPRIM_400000_NS6detail17trampoline_kernelINS0_14default_configENS1_27scan_by_key_config_selectorIiiEEZZNS1_16scan_by_key_implILNS1_25lookback_scan_determinismE0ELb0ES3_N6thrust23THRUST_200600_302600_NS6detail15normal_iteratorINS9_10device_ptrIiEEEESE_SE_iNS9_4plusIvEENS9_8equal_toIvEEiEE10hipError_tPvRmT2_T3_T4_T5_mT6_T7_P12ihipStream_tbENKUlT_T0_E_clISt17integral_constantIbLb1EESZ_EEDaSU_SV_EUlSU_E_NS1_11comp_targetILNS1_3genE4ELNS1_11target_archE910ELNS1_3gpuE8ELNS1_3repE0EEENS1_30default_config_static_selectorELNS0_4arch9wavefront6targetE0EEEvT1_.has_recursion, 0
	.set _ZN7rocprim17ROCPRIM_400000_NS6detail17trampoline_kernelINS0_14default_configENS1_27scan_by_key_config_selectorIiiEEZZNS1_16scan_by_key_implILNS1_25lookback_scan_determinismE0ELb0ES3_N6thrust23THRUST_200600_302600_NS6detail15normal_iteratorINS9_10device_ptrIiEEEESE_SE_iNS9_4plusIvEENS9_8equal_toIvEEiEE10hipError_tPvRmT2_T3_T4_T5_mT6_T7_P12ihipStream_tbENKUlT_T0_E_clISt17integral_constantIbLb1EESZ_EEDaSU_SV_EUlSU_E_NS1_11comp_targetILNS1_3genE4ELNS1_11target_archE910ELNS1_3gpuE8ELNS1_3repE0EEENS1_30default_config_static_selectorELNS0_4arch9wavefront6targetE0EEEvT1_.has_indirect_call, 0
	.section	.AMDGPU.csdata,"",@progbits
; Kernel info:
; codeLenInByte = 0
; TotalNumSgprs: 0
; NumVgprs: 0
; ScratchSize: 0
; MemoryBound: 0
; FloatMode: 240
; IeeeMode: 1
; LDSByteSize: 0 bytes/workgroup (compile time only)
; SGPRBlocks: 0
; VGPRBlocks: 0
; NumSGPRsForWavesPerEU: 1
; NumVGPRsForWavesPerEU: 1
; Occupancy: 16
; WaveLimiterHint : 0
; COMPUTE_PGM_RSRC2:SCRATCH_EN: 0
; COMPUTE_PGM_RSRC2:USER_SGPR: 6
; COMPUTE_PGM_RSRC2:TRAP_HANDLER: 0
; COMPUTE_PGM_RSRC2:TGID_X_EN: 1
; COMPUTE_PGM_RSRC2:TGID_Y_EN: 0
; COMPUTE_PGM_RSRC2:TGID_Z_EN: 0
; COMPUTE_PGM_RSRC2:TIDIG_COMP_CNT: 0
	.section	.text._ZN7rocprim17ROCPRIM_400000_NS6detail17trampoline_kernelINS0_14default_configENS1_27scan_by_key_config_selectorIiiEEZZNS1_16scan_by_key_implILNS1_25lookback_scan_determinismE0ELb0ES3_N6thrust23THRUST_200600_302600_NS6detail15normal_iteratorINS9_10device_ptrIiEEEESE_SE_iNS9_4plusIvEENS9_8equal_toIvEEiEE10hipError_tPvRmT2_T3_T4_T5_mT6_T7_P12ihipStream_tbENKUlT_T0_E_clISt17integral_constantIbLb1EESZ_EEDaSU_SV_EUlSU_E_NS1_11comp_targetILNS1_3genE3ELNS1_11target_archE908ELNS1_3gpuE7ELNS1_3repE0EEENS1_30default_config_static_selectorELNS0_4arch9wavefront6targetE0EEEvT1_,"axG",@progbits,_ZN7rocprim17ROCPRIM_400000_NS6detail17trampoline_kernelINS0_14default_configENS1_27scan_by_key_config_selectorIiiEEZZNS1_16scan_by_key_implILNS1_25lookback_scan_determinismE0ELb0ES3_N6thrust23THRUST_200600_302600_NS6detail15normal_iteratorINS9_10device_ptrIiEEEESE_SE_iNS9_4plusIvEENS9_8equal_toIvEEiEE10hipError_tPvRmT2_T3_T4_T5_mT6_T7_P12ihipStream_tbENKUlT_T0_E_clISt17integral_constantIbLb1EESZ_EEDaSU_SV_EUlSU_E_NS1_11comp_targetILNS1_3genE3ELNS1_11target_archE908ELNS1_3gpuE7ELNS1_3repE0EEENS1_30default_config_static_selectorELNS0_4arch9wavefront6targetE0EEEvT1_,comdat
	.protected	_ZN7rocprim17ROCPRIM_400000_NS6detail17trampoline_kernelINS0_14default_configENS1_27scan_by_key_config_selectorIiiEEZZNS1_16scan_by_key_implILNS1_25lookback_scan_determinismE0ELb0ES3_N6thrust23THRUST_200600_302600_NS6detail15normal_iteratorINS9_10device_ptrIiEEEESE_SE_iNS9_4plusIvEENS9_8equal_toIvEEiEE10hipError_tPvRmT2_T3_T4_T5_mT6_T7_P12ihipStream_tbENKUlT_T0_E_clISt17integral_constantIbLb1EESZ_EEDaSU_SV_EUlSU_E_NS1_11comp_targetILNS1_3genE3ELNS1_11target_archE908ELNS1_3gpuE7ELNS1_3repE0EEENS1_30default_config_static_selectorELNS0_4arch9wavefront6targetE0EEEvT1_ ; -- Begin function _ZN7rocprim17ROCPRIM_400000_NS6detail17trampoline_kernelINS0_14default_configENS1_27scan_by_key_config_selectorIiiEEZZNS1_16scan_by_key_implILNS1_25lookback_scan_determinismE0ELb0ES3_N6thrust23THRUST_200600_302600_NS6detail15normal_iteratorINS9_10device_ptrIiEEEESE_SE_iNS9_4plusIvEENS9_8equal_toIvEEiEE10hipError_tPvRmT2_T3_T4_T5_mT6_T7_P12ihipStream_tbENKUlT_T0_E_clISt17integral_constantIbLb1EESZ_EEDaSU_SV_EUlSU_E_NS1_11comp_targetILNS1_3genE3ELNS1_11target_archE908ELNS1_3gpuE7ELNS1_3repE0EEENS1_30default_config_static_selectorELNS0_4arch9wavefront6targetE0EEEvT1_
	.globl	_ZN7rocprim17ROCPRIM_400000_NS6detail17trampoline_kernelINS0_14default_configENS1_27scan_by_key_config_selectorIiiEEZZNS1_16scan_by_key_implILNS1_25lookback_scan_determinismE0ELb0ES3_N6thrust23THRUST_200600_302600_NS6detail15normal_iteratorINS9_10device_ptrIiEEEESE_SE_iNS9_4plusIvEENS9_8equal_toIvEEiEE10hipError_tPvRmT2_T3_T4_T5_mT6_T7_P12ihipStream_tbENKUlT_T0_E_clISt17integral_constantIbLb1EESZ_EEDaSU_SV_EUlSU_E_NS1_11comp_targetILNS1_3genE3ELNS1_11target_archE908ELNS1_3gpuE7ELNS1_3repE0EEENS1_30default_config_static_selectorELNS0_4arch9wavefront6targetE0EEEvT1_
	.p2align	8
	.type	_ZN7rocprim17ROCPRIM_400000_NS6detail17trampoline_kernelINS0_14default_configENS1_27scan_by_key_config_selectorIiiEEZZNS1_16scan_by_key_implILNS1_25lookback_scan_determinismE0ELb0ES3_N6thrust23THRUST_200600_302600_NS6detail15normal_iteratorINS9_10device_ptrIiEEEESE_SE_iNS9_4plusIvEENS9_8equal_toIvEEiEE10hipError_tPvRmT2_T3_T4_T5_mT6_T7_P12ihipStream_tbENKUlT_T0_E_clISt17integral_constantIbLb1EESZ_EEDaSU_SV_EUlSU_E_NS1_11comp_targetILNS1_3genE3ELNS1_11target_archE908ELNS1_3gpuE7ELNS1_3repE0EEENS1_30default_config_static_selectorELNS0_4arch9wavefront6targetE0EEEvT1_,@function
_ZN7rocprim17ROCPRIM_400000_NS6detail17trampoline_kernelINS0_14default_configENS1_27scan_by_key_config_selectorIiiEEZZNS1_16scan_by_key_implILNS1_25lookback_scan_determinismE0ELb0ES3_N6thrust23THRUST_200600_302600_NS6detail15normal_iteratorINS9_10device_ptrIiEEEESE_SE_iNS9_4plusIvEENS9_8equal_toIvEEiEE10hipError_tPvRmT2_T3_T4_T5_mT6_T7_P12ihipStream_tbENKUlT_T0_E_clISt17integral_constantIbLb1EESZ_EEDaSU_SV_EUlSU_E_NS1_11comp_targetILNS1_3genE3ELNS1_11target_archE908ELNS1_3gpuE7ELNS1_3repE0EEENS1_30default_config_static_selectorELNS0_4arch9wavefront6targetE0EEEvT1_: ; @_ZN7rocprim17ROCPRIM_400000_NS6detail17trampoline_kernelINS0_14default_configENS1_27scan_by_key_config_selectorIiiEEZZNS1_16scan_by_key_implILNS1_25lookback_scan_determinismE0ELb0ES3_N6thrust23THRUST_200600_302600_NS6detail15normal_iteratorINS9_10device_ptrIiEEEESE_SE_iNS9_4plusIvEENS9_8equal_toIvEEiEE10hipError_tPvRmT2_T3_T4_T5_mT6_T7_P12ihipStream_tbENKUlT_T0_E_clISt17integral_constantIbLb1EESZ_EEDaSU_SV_EUlSU_E_NS1_11comp_targetILNS1_3genE3ELNS1_11target_archE908ELNS1_3gpuE7ELNS1_3repE0EEENS1_30default_config_static_selectorELNS0_4arch9wavefront6targetE0EEEvT1_
; %bb.0:
	.section	.rodata,"a",@progbits
	.p2align	6, 0x0
	.amdhsa_kernel _ZN7rocprim17ROCPRIM_400000_NS6detail17trampoline_kernelINS0_14default_configENS1_27scan_by_key_config_selectorIiiEEZZNS1_16scan_by_key_implILNS1_25lookback_scan_determinismE0ELb0ES3_N6thrust23THRUST_200600_302600_NS6detail15normal_iteratorINS9_10device_ptrIiEEEESE_SE_iNS9_4plusIvEENS9_8equal_toIvEEiEE10hipError_tPvRmT2_T3_T4_T5_mT6_T7_P12ihipStream_tbENKUlT_T0_E_clISt17integral_constantIbLb1EESZ_EEDaSU_SV_EUlSU_E_NS1_11comp_targetILNS1_3genE3ELNS1_11target_archE908ELNS1_3gpuE7ELNS1_3repE0EEENS1_30default_config_static_selectorELNS0_4arch9wavefront6targetE0EEEvT1_
		.amdhsa_group_segment_fixed_size 0
		.amdhsa_private_segment_fixed_size 0
		.amdhsa_kernarg_size 112
		.amdhsa_user_sgpr_count 6
		.amdhsa_user_sgpr_private_segment_buffer 1
		.amdhsa_user_sgpr_dispatch_ptr 0
		.amdhsa_user_sgpr_queue_ptr 0
		.amdhsa_user_sgpr_kernarg_segment_ptr 1
		.amdhsa_user_sgpr_dispatch_id 0
		.amdhsa_user_sgpr_flat_scratch_init 0
		.amdhsa_user_sgpr_private_segment_size 0
		.amdhsa_wavefront_size32 1
		.amdhsa_uses_dynamic_stack 0
		.amdhsa_system_sgpr_private_segment_wavefront_offset 0
		.amdhsa_system_sgpr_workgroup_id_x 1
		.amdhsa_system_sgpr_workgroup_id_y 0
		.amdhsa_system_sgpr_workgroup_id_z 0
		.amdhsa_system_sgpr_workgroup_info 0
		.amdhsa_system_vgpr_workitem_id 0
		.amdhsa_next_free_vgpr 1
		.amdhsa_next_free_sgpr 1
		.amdhsa_reserve_vcc 0
		.amdhsa_reserve_flat_scratch 0
		.amdhsa_float_round_mode_32 0
		.amdhsa_float_round_mode_16_64 0
		.amdhsa_float_denorm_mode_32 3
		.amdhsa_float_denorm_mode_16_64 3
		.amdhsa_dx10_clamp 1
		.amdhsa_ieee_mode 1
		.amdhsa_fp16_overflow 0
		.amdhsa_workgroup_processor_mode 1
		.amdhsa_memory_ordered 1
		.amdhsa_forward_progress 1
		.amdhsa_shared_vgpr_count 0
		.amdhsa_exception_fp_ieee_invalid_op 0
		.amdhsa_exception_fp_denorm_src 0
		.amdhsa_exception_fp_ieee_div_zero 0
		.amdhsa_exception_fp_ieee_overflow 0
		.amdhsa_exception_fp_ieee_underflow 0
		.amdhsa_exception_fp_ieee_inexact 0
		.amdhsa_exception_int_div_zero 0
	.end_amdhsa_kernel
	.section	.text._ZN7rocprim17ROCPRIM_400000_NS6detail17trampoline_kernelINS0_14default_configENS1_27scan_by_key_config_selectorIiiEEZZNS1_16scan_by_key_implILNS1_25lookback_scan_determinismE0ELb0ES3_N6thrust23THRUST_200600_302600_NS6detail15normal_iteratorINS9_10device_ptrIiEEEESE_SE_iNS9_4plusIvEENS9_8equal_toIvEEiEE10hipError_tPvRmT2_T3_T4_T5_mT6_T7_P12ihipStream_tbENKUlT_T0_E_clISt17integral_constantIbLb1EESZ_EEDaSU_SV_EUlSU_E_NS1_11comp_targetILNS1_3genE3ELNS1_11target_archE908ELNS1_3gpuE7ELNS1_3repE0EEENS1_30default_config_static_selectorELNS0_4arch9wavefront6targetE0EEEvT1_,"axG",@progbits,_ZN7rocprim17ROCPRIM_400000_NS6detail17trampoline_kernelINS0_14default_configENS1_27scan_by_key_config_selectorIiiEEZZNS1_16scan_by_key_implILNS1_25lookback_scan_determinismE0ELb0ES3_N6thrust23THRUST_200600_302600_NS6detail15normal_iteratorINS9_10device_ptrIiEEEESE_SE_iNS9_4plusIvEENS9_8equal_toIvEEiEE10hipError_tPvRmT2_T3_T4_T5_mT6_T7_P12ihipStream_tbENKUlT_T0_E_clISt17integral_constantIbLb1EESZ_EEDaSU_SV_EUlSU_E_NS1_11comp_targetILNS1_3genE3ELNS1_11target_archE908ELNS1_3gpuE7ELNS1_3repE0EEENS1_30default_config_static_selectorELNS0_4arch9wavefront6targetE0EEEvT1_,comdat
.Lfunc_end137:
	.size	_ZN7rocprim17ROCPRIM_400000_NS6detail17trampoline_kernelINS0_14default_configENS1_27scan_by_key_config_selectorIiiEEZZNS1_16scan_by_key_implILNS1_25lookback_scan_determinismE0ELb0ES3_N6thrust23THRUST_200600_302600_NS6detail15normal_iteratorINS9_10device_ptrIiEEEESE_SE_iNS9_4plusIvEENS9_8equal_toIvEEiEE10hipError_tPvRmT2_T3_T4_T5_mT6_T7_P12ihipStream_tbENKUlT_T0_E_clISt17integral_constantIbLb1EESZ_EEDaSU_SV_EUlSU_E_NS1_11comp_targetILNS1_3genE3ELNS1_11target_archE908ELNS1_3gpuE7ELNS1_3repE0EEENS1_30default_config_static_selectorELNS0_4arch9wavefront6targetE0EEEvT1_, .Lfunc_end137-_ZN7rocprim17ROCPRIM_400000_NS6detail17trampoline_kernelINS0_14default_configENS1_27scan_by_key_config_selectorIiiEEZZNS1_16scan_by_key_implILNS1_25lookback_scan_determinismE0ELb0ES3_N6thrust23THRUST_200600_302600_NS6detail15normal_iteratorINS9_10device_ptrIiEEEESE_SE_iNS9_4plusIvEENS9_8equal_toIvEEiEE10hipError_tPvRmT2_T3_T4_T5_mT6_T7_P12ihipStream_tbENKUlT_T0_E_clISt17integral_constantIbLb1EESZ_EEDaSU_SV_EUlSU_E_NS1_11comp_targetILNS1_3genE3ELNS1_11target_archE908ELNS1_3gpuE7ELNS1_3repE0EEENS1_30default_config_static_selectorELNS0_4arch9wavefront6targetE0EEEvT1_
                                        ; -- End function
	.set _ZN7rocprim17ROCPRIM_400000_NS6detail17trampoline_kernelINS0_14default_configENS1_27scan_by_key_config_selectorIiiEEZZNS1_16scan_by_key_implILNS1_25lookback_scan_determinismE0ELb0ES3_N6thrust23THRUST_200600_302600_NS6detail15normal_iteratorINS9_10device_ptrIiEEEESE_SE_iNS9_4plusIvEENS9_8equal_toIvEEiEE10hipError_tPvRmT2_T3_T4_T5_mT6_T7_P12ihipStream_tbENKUlT_T0_E_clISt17integral_constantIbLb1EESZ_EEDaSU_SV_EUlSU_E_NS1_11comp_targetILNS1_3genE3ELNS1_11target_archE908ELNS1_3gpuE7ELNS1_3repE0EEENS1_30default_config_static_selectorELNS0_4arch9wavefront6targetE0EEEvT1_.num_vgpr, 0
	.set _ZN7rocprim17ROCPRIM_400000_NS6detail17trampoline_kernelINS0_14default_configENS1_27scan_by_key_config_selectorIiiEEZZNS1_16scan_by_key_implILNS1_25lookback_scan_determinismE0ELb0ES3_N6thrust23THRUST_200600_302600_NS6detail15normal_iteratorINS9_10device_ptrIiEEEESE_SE_iNS9_4plusIvEENS9_8equal_toIvEEiEE10hipError_tPvRmT2_T3_T4_T5_mT6_T7_P12ihipStream_tbENKUlT_T0_E_clISt17integral_constantIbLb1EESZ_EEDaSU_SV_EUlSU_E_NS1_11comp_targetILNS1_3genE3ELNS1_11target_archE908ELNS1_3gpuE7ELNS1_3repE0EEENS1_30default_config_static_selectorELNS0_4arch9wavefront6targetE0EEEvT1_.num_agpr, 0
	.set _ZN7rocprim17ROCPRIM_400000_NS6detail17trampoline_kernelINS0_14default_configENS1_27scan_by_key_config_selectorIiiEEZZNS1_16scan_by_key_implILNS1_25lookback_scan_determinismE0ELb0ES3_N6thrust23THRUST_200600_302600_NS6detail15normal_iteratorINS9_10device_ptrIiEEEESE_SE_iNS9_4plusIvEENS9_8equal_toIvEEiEE10hipError_tPvRmT2_T3_T4_T5_mT6_T7_P12ihipStream_tbENKUlT_T0_E_clISt17integral_constantIbLb1EESZ_EEDaSU_SV_EUlSU_E_NS1_11comp_targetILNS1_3genE3ELNS1_11target_archE908ELNS1_3gpuE7ELNS1_3repE0EEENS1_30default_config_static_selectorELNS0_4arch9wavefront6targetE0EEEvT1_.numbered_sgpr, 0
	.set _ZN7rocprim17ROCPRIM_400000_NS6detail17trampoline_kernelINS0_14default_configENS1_27scan_by_key_config_selectorIiiEEZZNS1_16scan_by_key_implILNS1_25lookback_scan_determinismE0ELb0ES3_N6thrust23THRUST_200600_302600_NS6detail15normal_iteratorINS9_10device_ptrIiEEEESE_SE_iNS9_4plusIvEENS9_8equal_toIvEEiEE10hipError_tPvRmT2_T3_T4_T5_mT6_T7_P12ihipStream_tbENKUlT_T0_E_clISt17integral_constantIbLb1EESZ_EEDaSU_SV_EUlSU_E_NS1_11comp_targetILNS1_3genE3ELNS1_11target_archE908ELNS1_3gpuE7ELNS1_3repE0EEENS1_30default_config_static_selectorELNS0_4arch9wavefront6targetE0EEEvT1_.num_named_barrier, 0
	.set _ZN7rocprim17ROCPRIM_400000_NS6detail17trampoline_kernelINS0_14default_configENS1_27scan_by_key_config_selectorIiiEEZZNS1_16scan_by_key_implILNS1_25lookback_scan_determinismE0ELb0ES3_N6thrust23THRUST_200600_302600_NS6detail15normal_iteratorINS9_10device_ptrIiEEEESE_SE_iNS9_4plusIvEENS9_8equal_toIvEEiEE10hipError_tPvRmT2_T3_T4_T5_mT6_T7_P12ihipStream_tbENKUlT_T0_E_clISt17integral_constantIbLb1EESZ_EEDaSU_SV_EUlSU_E_NS1_11comp_targetILNS1_3genE3ELNS1_11target_archE908ELNS1_3gpuE7ELNS1_3repE0EEENS1_30default_config_static_selectorELNS0_4arch9wavefront6targetE0EEEvT1_.private_seg_size, 0
	.set _ZN7rocprim17ROCPRIM_400000_NS6detail17trampoline_kernelINS0_14default_configENS1_27scan_by_key_config_selectorIiiEEZZNS1_16scan_by_key_implILNS1_25lookback_scan_determinismE0ELb0ES3_N6thrust23THRUST_200600_302600_NS6detail15normal_iteratorINS9_10device_ptrIiEEEESE_SE_iNS9_4plusIvEENS9_8equal_toIvEEiEE10hipError_tPvRmT2_T3_T4_T5_mT6_T7_P12ihipStream_tbENKUlT_T0_E_clISt17integral_constantIbLb1EESZ_EEDaSU_SV_EUlSU_E_NS1_11comp_targetILNS1_3genE3ELNS1_11target_archE908ELNS1_3gpuE7ELNS1_3repE0EEENS1_30default_config_static_selectorELNS0_4arch9wavefront6targetE0EEEvT1_.uses_vcc, 0
	.set _ZN7rocprim17ROCPRIM_400000_NS6detail17trampoline_kernelINS0_14default_configENS1_27scan_by_key_config_selectorIiiEEZZNS1_16scan_by_key_implILNS1_25lookback_scan_determinismE0ELb0ES3_N6thrust23THRUST_200600_302600_NS6detail15normal_iteratorINS9_10device_ptrIiEEEESE_SE_iNS9_4plusIvEENS9_8equal_toIvEEiEE10hipError_tPvRmT2_T3_T4_T5_mT6_T7_P12ihipStream_tbENKUlT_T0_E_clISt17integral_constantIbLb1EESZ_EEDaSU_SV_EUlSU_E_NS1_11comp_targetILNS1_3genE3ELNS1_11target_archE908ELNS1_3gpuE7ELNS1_3repE0EEENS1_30default_config_static_selectorELNS0_4arch9wavefront6targetE0EEEvT1_.uses_flat_scratch, 0
	.set _ZN7rocprim17ROCPRIM_400000_NS6detail17trampoline_kernelINS0_14default_configENS1_27scan_by_key_config_selectorIiiEEZZNS1_16scan_by_key_implILNS1_25lookback_scan_determinismE0ELb0ES3_N6thrust23THRUST_200600_302600_NS6detail15normal_iteratorINS9_10device_ptrIiEEEESE_SE_iNS9_4plusIvEENS9_8equal_toIvEEiEE10hipError_tPvRmT2_T3_T4_T5_mT6_T7_P12ihipStream_tbENKUlT_T0_E_clISt17integral_constantIbLb1EESZ_EEDaSU_SV_EUlSU_E_NS1_11comp_targetILNS1_3genE3ELNS1_11target_archE908ELNS1_3gpuE7ELNS1_3repE0EEENS1_30default_config_static_selectorELNS0_4arch9wavefront6targetE0EEEvT1_.has_dyn_sized_stack, 0
	.set _ZN7rocprim17ROCPRIM_400000_NS6detail17trampoline_kernelINS0_14default_configENS1_27scan_by_key_config_selectorIiiEEZZNS1_16scan_by_key_implILNS1_25lookback_scan_determinismE0ELb0ES3_N6thrust23THRUST_200600_302600_NS6detail15normal_iteratorINS9_10device_ptrIiEEEESE_SE_iNS9_4plusIvEENS9_8equal_toIvEEiEE10hipError_tPvRmT2_T3_T4_T5_mT6_T7_P12ihipStream_tbENKUlT_T0_E_clISt17integral_constantIbLb1EESZ_EEDaSU_SV_EUlSU_E_NS1_11comp_targetILNS1_3genE3ELNS1_11target_archE908ELNS1_3gpuE7ELNS1_3repE0EEENS1_30default_config_static_selectorELNS0_4arch9wavefront6targetE0EEEvT1_.has_recursion, 0
	.set _ZN7rocprim17ROCPRIM_400000_NS6detail17trampoline_kernelINS0_14default_configENS1_27scan_by_key_config_selectorIiiEEZZNS1_16scan_by_key_implILNS1_25lookback_scan_determinismE0ELb0ES3_N6thrust23THRUST_200600_302600_NS6detail15normal_iteratorINS9_10device_ptrIiEEEESE_SE_iNS9_4plusIvEENS9_8equal_toIvEEiEE10hipError_tPvRmT2_T3_T4_T5_mT6_T7_P12ihipStream_tbENKUlT_T0_E_clISt17integral_constantIbLb1EESZ_EEDaSU_SV_EUlSU_E_NS1_11comp_targetILNS1_3genE3ELNS1_11target_archE908ELNS1_3gpuE7ELNS1_3repE0EEENS1_30default_config_static_selectorELNS0_4arch9wavefront6targetE0EEEvT1_.has_indirect_call, 0
	.section	.AMDGPU.csdata,"",@progbits
; Kernel info:
; codeLenInByte = 0
; TotalNumSgprs: 0
; NumVgprs: 0
; ScratchSize: 0
; MemoryBound: 0
; FloatMode: 240
; IeeeMode: 1
; LDSByteSize: 0 bytes/workgroup (compile time only)
; SGPRBlocks: 0
; VGPRBlocks: 0
; NumSGPRsForWavesPerEU: 1
; NumVGPRsForWavesPerEU: 1
; Occupancy: 16
; WaveLimiterHint : 0
; COMPUTE_PGM_RSRC2:SCRATCH_EN: 0
; COMPUTE_PGM_RSRC2:USER_SGPR: 6
; COMPUTE_PGM_RSRC2:TRAP_HANDLER: 0
; COMPUTE_PGM_RSRC2:TGID_X_EN: 1
; COMPUTE_PGM_RSRC2:TGID_Y_EN: 0
; COMPUTE_PGM_RSRC2:TGID_Z_EN: 0
; COMPUTE_PGM_RSRC2:TIDIG_COMP_CNT: 0
	.section	.text._ZN7rocprim17ROCPRIM_400000_NS6detail17trampoline_kernelINS0_14default_configENS1_27scan_by_key_config_selectorIiiEEZZNS1_16scan_by_key_implILNS1_25lookback_scan_determinismE0ELb0ES3_N6thrust23THRUST_200600_302600_NS6detail15normal_iteratorINS9_10device_ptrIiEEEESE_SE_iNS9_4plusIvEENS9_8equal_toIvEEiEE10hipError_tPvRmT2_T3_T4_T5_mT6_T7_P12ihipStream_tbENKUlT_T0_E_clISt17integral_constantIbLb1EESZ_EEDaSU_SV_EUlSU_E_NS1_11comp_targetILNS1_3genE2ELNS1_11target_archE906ELNS1_3gpuE6ELNS1_3repE0EEENS1_30default_config_static_selectorELNS0_4arch9wavefront6targetE0EEEvT1_,"axG",@progbits,_ZN7rocprim17ROCPRIM_400000_NS6detail17trampoline_kernelINS0_14default_configENS1_27scan_by_key_config_selectorIiiEEZZNS1_16scan_by_key_implILNS1_25lookback_scan_determinismE0ELb0ES3_N6thrust23THRUST_200600_302600_NS6detail15normal_iteratorINS9_10device_ptrIiEEEESE_SE_iNS9_4plusIvEENS9_8equal_toIvEEiEE10hipError_tPvRmT2_T3_T4_T5_mT6_T7_P12ihipStream_tbENKUlT_T0_E_clISt17integral_constantIbLb1EESZ_EEDaSU_SV_EUlSU_E_NS1_11comp_targetILNS1_3genE2ELNS1_11target_archE906ELNS1_3gpuE6ELNS1_3repE0EEENS1_30default_config_static_selectorELNS0_4arch9wavefront6targetE0EEEvT1_,comdat
	.protected	_ZN7rocprim17ROCPRIM_400000_NS6detail17trampoline_kernelINS0_14default_configENS1_27scan_by_key_config_selectorIiiEEZZNS1_16scan_by_key_implILNS1_25lookback_scan_determinismE0ELb0ES3_N6thrust23THRUST_200600_302600_NS6detail15normal_iteratorINS9_10device_ptrIiEEEESE_SE_iNS9_4plusIvEENS9_8equal_toIvEEiEE10hipError_tPvRmT2_T3_T4_T5_mT6_T7_P12ihipStream_tbENKUlT_T0_E_clISt17integral_constantIbLb1EESZ_EEDaSU_SV_EUlSU_E_NS1_11comp_targetILNS1_3genE2ELNS1_11target_archE906ELNS1_3gpuE6ELNS1_3repE0EEENS1_30default_config_static_selectorELNS0_4arch9wavefront6targetE0EEEvT1_ ; -- Begin function _ZN7rocprim17ROCPRIM_400000_NS6detail17trampoline_kernelINS0_14default_configENS1_27scan_by_key_config_selectorIiiEEZZNS1_16scan_by_key_implILNS1_25lookback_scan_determinismE0ELb0ES3_N6thrust23THRUST_200600_302600_NS6detail15normal_iteratorINS9_10device_ptrIiEEEESE_SE_iNS9_4plusIvEENS9_8equal_toIvEEiEE10hipError_tPvRmT2_T3_T4_T5_mT6_T7_P12ihipStream_tbENKUlT_T0_E_clISt17integral_constantIbLb1EESZ_EEDaSU_SV_EUlSU_E_NS1_11comp_targetILNS1_3genE2ELNS1_11target_archE906ELNS1_3gpuE6ELNS1_3repE0EEENS1_30default_config_static_selectorELNS0_4arch9wavefront6targetE0EEEvT1_
	.globl	_ZN7rocprim17ROCPRIM_400000_NS6detail17trampoline_kernelINS0_14default_configENS1_27scan_by_key_config_selectorIiiEEZZNS1_16scan_by_key_implILNS1_25lookback_scan_determinismE0ELb0ES3_N6thrust23THRUST_200600_302600_NS6detail15normal_iteratorINS9_10device_ptrIiEEEESE_SE_iNS9_4plusIvEENS9_8equal_toIvEEiEE10hipError_tPvRmT2_T3_T4_T5_mT6_T7_P12ihipStream_tbENKUlT_T0_E_clISt17integral_constantIbLb1EESZ_EEDaSU_SV_EUlSU_E_NS1_11comp_targetILNS1_3genE2ELNS1_11target_archE906ELNS1_3gpuE6ELNS1_3repE0EEENS1_30default_config_static_selectorELNS0_4arch9wavefront6targetE0EEEvT1_
	.p2align	8
	.type	_ZN7rocprim17ROCPRIM_400000_NS6detail17trampoline_kernelINS0_14default_configENS1_27scan_by_key_config_selectorIiiEEZZNS1_16scan_by_key_implILNS1_25lookback_scan_determinismE0ELb0ES3_N6thrust23THRUST_200600_302600_NS6detail15normal_iteratorINS9_10device_ptrIiEEEESE_SE_iNS9_4plusIvEENS9_8equal_toIvEEiEE10hipError_tPvRmT2_T3_T4_T5_mT6_T7_P12ihipStream_tbENKUlT_T0_E_clISt17integral_constantIbLb1EESZ_EEDaSU_SV_EUlSU_E_NS1_11comp_targetILNS1_3genE2ELNS1_11target_archE906ELNS1_3gpuE6ELNS1_3repE0EEENS1_30default_config_static_selectorELNS0_4arch9wavefront6targetE0EEEvT1_,@function
_ZN7rocprim17ROCPRIM_400000_NS6detail17trampoline_kernelINS0_14default_configENS1_27scan_by_key_config_selectorIiiEEZZNS1_16scan_by_key_implILNS1_25lookback_scan_determinismE0ELb0ES3_N6thrust23THRUST_200600_302600_NS6detail15normal_iteratorINS9_10device_ptrIiEEEESE_SE_iNS9_4plusIvEENS9_8equal_toIvEEiEE10hipError_tPvRmT2_T3_T4_T5_mT6_T7_P12ihipStream_tbENKUlT_T0_E_clISt17integral_constantIbLb1EESZ_EEDaSU_SV_EUlSU_E_NS1_11comp_targetILNS1_3genE2ELNS1_11target_archE906ELNS1_3gpuE6ELNS1_3repE0EEENS1_30default_config_static_selectorELNS0_4arch9wavefront6targetE0EEEvT1_: ; @_ZN7rocprim17ROCPRIM_400000_NS6detail17trampoline_kernelINS0_14default_configENS1_27scan_by_key_config_selectorIiiEEZZNS1_16scan_by_key_implILNS1_25lookback_scan_determinismE0ELb0ES3_N6thrust23THRUST_200600_302600_NS6detail15normal_iteratorINS9_10device_ptrIiEEEESE_SE_iNS9_4plusIvEENS9_8equal_toIvEEiEE10hipError_tPvRmT2_T3_T4_T5_mT6_T7_P12ihipStream_tbENKUlT_T0_E_clISt17integral_constantIbLb1EESZ_EEDaSU_SV_EUlSU_E_NS1_11comp_targetILNS1_3genE2ELNS1_11target_archE906ELNS1_3gpuE6ELNS1_3repE0EEENS1_30default_config_static_selectorELNS0_4arch9wavefront6targetE0EEEvT1_
; %bb.0:
	.section	.rodata,"a",@progbits
	.p2align	6, 0x0
	.amdhsa_kernel _ZN7rocprim17ROCPRIM_400000_NS6detail17trampoline_kernelINS0_14default_configENS1_27scan_by_key_config_selectorIiiEEZZNS1_16scan_by_key_implILNS1_25lookback_scan_determinismE0ELb0ES3_N6thrust23THRUST_200600_302600_NS6detail15normal_iteratorINS9_10device_ptrIiEEEESE_SE_iNS9_4plusIvEENS9_8equal_toIvEEiEE10hipError_tPvRmT2_T3_T4_T5_mT6_T7_P12ihipStream_tbENKUlT_T0_E_clISt17integral_constantIbLb1EESZ_EEDaSU_SV_EUlSU_E_NS1_11comp_targetILNS1_3genE2ELNS1_11target_archE906ELNS1_3gpuE6ELNS1_3repE0EEENS1_30default_config_static_selectorELNS0_4arch9wavefront6targetE0EEEvT1_
		.amdhsa_group_segment_fixed_size 0
		.amdhsa_private_segment_fixed_size 0
		.amdhsa_kernarg_size 112
		.amdhsa_user_sgpr_count 6
		.amdhsa_user_sgpr_private_segment_buffer 1
		.amdhsa_user_sgpr_dispatch_ptr 0
		.amdhsa_user_sgpr_queue_ptr 0
		.amdhsa_user_sgpr_kernarg_segment_ptr 1
		.amdhsa_user_sgpr_dispatch_id 0
		.amdhsa_user_sgpr_flat_scratch_init 0
		.amdhsa_user_sgpr_private_segment_size 0
		.amdhsa_wavefront_size32 1
		.amdhsa_uses_dynamic_stack 0
		.amdhsa_system_sgpr_private_segment_wavefront_offset 0
		.amdhsa_system_sgpr_workgroup_id_x 1
		.amdhsa_system_sgpr_workgroup_id_y 0
		.amdhsa_system_sgpr_workgroup_id_z 0
		.amdhsa_system_sgpr_workgroup_info 0
		.amdhsa_system_vgpr_workitem_id 0
		.amdhsa_next_free_vgpr 1
		.amdhsa_next_free_sgpr 1
		.amdhsa_reserve_vcc 0
		.amdhsa_reserve_flat_scratch 0
		.amdhsa_float_round_mode_32 0
		.amdhsa_float_round_mode_16_64 0
		.amdhsa_float_denorm_mode_32 3
		.amdhsa_float_denorm_mode_16_64 3
		.amdhsa_dx10_clamp 1
		.amdhsa_ieee_mode 1
		.amdhsa_fp16_overflow 0
		.amdhsa_workgroup_processor_mode 1
		.amdhsa_memory_ordered 1
		.amdhsa_forward_progress 1
		.amdhsa_shared_vgpr_count 0
		.amdhsa_exception_fp_ieee_invalid_op 0
		.amdhsa_exception_fp_denorm_src 0
		.amdhsa_exception_fp_ieee_div_zero 0
		.amdhsa_exception_fp_ieee_overflow 0
		.amdhsa_exception_fp_ieee_underflow 0
		.amdhsa_exception_fp_ieee_inexact 0
		.amdhsa_exception_int_div_zero 0
	.end_amdhsa_kernel
	.section	.text._ZN7rocprim17ROCPRIM_400000_NS6detail17trampoline_kernelINS0_14default_configENS1_27scan_by_key_config_selectorIiiEEZZNS1_16scan_by_key_implILNS1_25lookback_scan_determinismE0ELb0ES3_N6thrust23THRUST_200600_302600_NS6detail15normal_iteratorINS9_10device_ptrIiEEEESE_SE_iNS9_4plusIvEENS9_8equal_toIvEEiEE10hipError_tPvRmT2_T3_T4_T5_mT6_T7_P12ihipStream_tbENKUlT_T0_E_clISt17integral_constantIbLb1EESZ_EEDaSU_SV_EUlSU_E_NS1_11comp_targetILNS1_3genE2ELNS1_11target_archE906ELNS1_3gpuE6ELNS1_3repE0EEENS1_30default_config_static_selectorELNS0_4arch9wavefront6targetE0EEEvT1_,"axG",@progbits,_ZN7rocprim17ROCPRIM_400000_NS6detail17trampoline_kernelINS0_14default_configENS1_27scan_by_key_config_selectorIiiEEZZNS1_16scan_by_key_implILNS1_25lookback_scan_determinismE0ELb0ES3_N6thrust23THRUST_200600_302600_NS6detail15normal_iteratorINS9_10device_ptrIiEEEESE_SE_iNS9_4plusIvEENS9_8equal_toIvEEiEE10hipError_tPvRmT2_T3_T4_T5_mT6_T7_P12ihipStream_tbENKUlT_T0_E_clISt17integral_constantIbLb1EESZ_EEDaSU_SV_EUlSU_E_NS1_11comp_targetILNS1_3genE2ELNS1_11target_archE906ELNS1_3gpuE6ELNS1_3repE0EEENS1_30default_config_static_selectorELNS0_4arch9wavefront6targetE0EEEvT1_,comdat
.Lfunc_end138:
	.size	_ZN7rocprim17ROCPRIM_400000_NS6detail17trampoline_kernelINS0_14default_configENS1_27scan_by_key_config_selectorIiiEEZZNS1_16scan_by_key_implILNS1_25lookback_scan_determinismE0ELb0ES3_N6thrust23THRUST_200600_302600_NS6detail15normal_iteratorINS9_10device_ptrIiEEEESE_SE_iNS9_4plusIvEENS9_8equal_toIvEEiEE10hipError_tPvRmT2_T3_T4_T5_mT6_T7_P12ihipStream_tbENKUlT_T0_E_clISt17integral_constantIbLb1EESZ_EEDaSU_SV_EUlSU_E_NS1_11comp_targetILNS1_3genE2ELNS1_11target_archE906ELNS1_3gpuE6ELNS1_3repE0EEENS1_30default_config_static_selectorELNS0_4arch9wavefront6targetE0EEEvT1_, .Lfunc_end138-_ZN7rocprim17ROCPRIM_400000_NS6detail17trampoline_kernelINS0_14default_configENS1_27scan_by_key_config_selectorIiiEEZZNS1_16scan_by_key_implILNS1_25lookback_scan_determinismE0ELb0ES3_N6thrust23THRUST_200600_302600_NS6detail15normal_iteratorINS9_10device_ptrIiEEEESE_SE_iNS9_4plusIvEENS9_8equal_toIvEEiEE10hipError_tPvRmT2_T3_T4_T5_mT6_T7_P12ihipStream_tbENKUlT_T0_E_clISt17integral_constantIbLb1EESZ_EEDaSU_SV_EUlSU_E_NS1_11comp_targetILNS1_3genE2ELNS1_11target_archE906ELNS1_3gpuE6ELNS1_3repE0EEENS1_30default_config_static_selectorELNS0_4arch9wavefront6targetE0EEEvT1_
                                        ; -- End function
	.set _ZN7rocprim17ROCPRIM_400000_NS6detail17trampoline_kernelINS0_14default_configENS1_27scan_by_key_config_selectorIiiEEZZNS1_16scan_by_key_implILNS1_25lookback_scan_determinismE0ELb0ES3_N6thrust23THRUST_200600_302600_NS6detail15normal_iteratorINS9_10device_ptrIiEEEESE_SE_iNS9_4plusIvEENS9_8equal_toIvEEiEE10hipError_tPvRmT2_T3_T4_T5_mT6_T7_P12ihipStream_tbENKUlT_T0_E_clISt17integral_constantIbLb1EESZ_EEDaSU_SV_EUlSU_E_NS1_11comp_targetILNS1_3genE2ELNS1_11target_archE906ELNS1_3gpuE6ELNS1_3repE0EEENS1_30default_config_static_selectorELNS0_4arch9wavefront6targetE0EEEvT1_.num_vgpr, 0
	.set _ZN7rocprim17ROCPRIM_400000_NS6detail17trampoline_kernelINS0_14default_configENS1_27scan_by_key_config_selectorIiiEEZZNS1_16scan_by_key_implILNS1_25lookback_scan_determinismE0ELb0ES3_N6thrust23THRUST_200600_302600_NS6detail15normal_iteratorINS9_10device_ptrIiEEEESE_SE_iNS9_4plusIvEENS9_8equal_toIvEEiEE10hipError_tPvRmT2_T3_T4_T5_mT6_T7_P12ihipStream_tbENKUlT_T0_E_clISt17integral_constantIbLb1EESZ_EEDaSU_SV_EUlSU_E_NS1_11comp_targetILNS1_3genE2ELNS1_11target_archE906ELNS1_3gpuE6ELNS1_3repE0EEENS1_30default_config_static_selectorELNS0_4arch9wavefront6targetE0EEEvT1_.num_agpr, 0
	.set _ZN7rocprim17ROCPRIM_400000_NS6detail17trampoline_kernelINS0_14default_configENS1_27scan_by_key_config_selectorIiiEEZZNS1_16scan_by_key_implILNS1_25lookback_scan_determinismE0ELb0ES3_N6thrust23THRUST_200600_302600_NS6detail15normal_iteratorINS9_10device_ptrIiEEEESE_SE_iNS9_4plusIvEENS9_8equal_toIvEEiEE10hipError_tPvRmT2_T3_T4_T5_mT6_T7_P12ihipStream_tbENKUlT_T0_E_clISt17integral_constantIbLb1EESZ_EEDaSU_SV_EUlSU_E_NS1_11comp_targetILNS1_3genE2ELNS1_11target_archE906ELNS1_3gpuE6ELNS1_3repE0EEENS1_30default_config_static_selectorELNS0_4arch9wavefront6targetE0EEEvT1_.numbered_sgpr, 0
	.set _ZN7rocprim17ROCPRIM_400000_NS6detail17trampoline_kernelINS0_14default_configENS1_27scan_by_key_config_selectorIiiEEZZNS1_16scan_by_key_implILNS1_25lookback_scan_determinismE0ELb0ES3_N6thrust23THRUST_200600_302600_NS6detail15normal_iteratorINS9_10device_ptrIiEEEESE_SE_iNS9_4plusIvEENS9_8equal_toIvEEiEE10hipError_tPvRmT2_T3_T4_T5_mT6_T7_P12ihipStream_tbENKUlT_T0_E_clISt17integral_constantIbLb1EESZ_EEDaSU_SV_EUlSU_E_NS1_11comp_targetILNS1_3genE2ELNS1_11target_archE906ELNS1_3gpuE6ELNS1_3repE0EEENS1_30default_config_static_selectorELNS0_4arch9wavefront6targetE0EEEvT1_.num_named_barrier, 0
	.set _ZN7rocprim17ROCPRIM_400000_NS6detail17trampoline_kernelINS0_14default_configENS1_27scan_by_key_config_selectorIiiEEZZNS1_16scan_by_key_implILNS1_25lookback_scan_determinismE0ELb0ES3_N6thrust23THRUST_200600_302600_NS6detail15normal_iteratorINS9_10device_ptrIiEEEESE_SE_iNS9_4plusIvEENS9_8equal_toIvEEiEE10hipError_tPvRmT2_T3_T4_T5_mT6_T7_P12ihipStream_tbENKUlT_T0_E_clISt17integral_constantIbLb1EESZ_EEDaSU_SV_EUlSU_E_NS1_11comp_targetILNS1_3genE2ELNS1_11target_archE906ELNS1_3gpuE6ELNS1_3repE0EEENS1_30default_config_static_selectorELNS0_4arch9wavefront6targetE0EEEvT1_.private_seg_size, 0
	.set _ZN7rocprim17ROCPRIM_400000_NS6detail17trampoline_kernelINS0_14default_configENS1_27scan_by_key_config_selectorIiiEEZZNS1_16scan_by_key_implILNS1_25lookback_scan_determinismE0ELb0ES3_N6thrust23THRUST_200600_302600_NS6detail15normal_iteratorINS9_10device_ptrIiEEEESE_SE_iNS9_4plusIvEENS9_8equal_toIvEEiEE10hipError_tPvRmT2_T3_T4_T5_mT6_T7_P12ihipStream_tbENKUlT_T0_E_clISt17integral_constantIbLb1EESZ_EEDaSU_SV_EUlSU_E_NS1_11comp_targetILNS1_3genE2ELNS1_11target_archE906ELNS1_3gpuE6ELNS1_3repE0EEENS1_30default_config_static_selectorELNS0_4arch9wavefront6targetE0EEEvT1_.uses_vcc, 0
	.set _ZN7rocprim17ROCPRIM_400000_NS6detail17trampoline_kernelINS0_14default_configENS1_27scan_by_key_config_selectorIiiEEZZNS1_16scan_by_key_implILNS1_25lookback_scan_determinismE0ELb0ES3_N6thrust23THRUST_200600_302600_NS6detail15normal_iteratorINS9_10device_ptrIiEEEESE_SE_iNS9_4plusIvEENS9_8equal_toIvEEiEE10hipError_tPvRmT2_T3_T4_T5_mT6_T7_P12ihipStream_tbENKUlT_T0_E_clISt17integral_constantIbLb1EESZ_EEDaSU_SV_EUlSU_E_NS1_11comp_targetILNS1_3genE2ELNS1_11target_archE906ELNS1_3gpuE6ELNS1_3repE0EEENS1_30default_config_static_selectorELNS0_4arch9wavefront6targetE0EEEvT1_.uses_flat_scratch, 0
	.set _ZN7rocprim17ROCPRIM_400000_NS6detail17trampoline_kernelINS0_14default_configENS1_27scan_by_key_config_selectorIiiEEZZNS1_16scan_by_key_implILNS1_25lookback_scan_determinismE0ELb0ES3_N6thrust23THRUST_200600_302600_NS6detail15normal_iteratorINS9_10device_ptrIiEEEESE_SE_iNS9_4plusIvEENS9_8equal_toIvEEiEE10hipError_tPvRmT2_T3_T4_T5_mT6_T7_P12ihipStream_tbENKUlT_T0_E_clISt17integral_constantIbLb1EESZ_EEDaSU_SV_EUlSU_E_NS1_11comp_targetILNS1_3genE2ELNS1_11target_archE906ELNS1_3gpuE6ELNS1_3repE0EEENS1_30default_config_static_selectorELNS0_4arch9wavefront6targetE0EEEvT1_.has_dyn_sized_stack, 0
	.set _ZN7rocprim17ROCPRIM_400000_NS6detail17trampoline_kernelINS0_14default_configENS1_27scan_by_key_config_selectorIiiEEZZNS1_16scan_by_key_implILNS1_25lookback_scan_determinismE0ELb0ES3_N6thrust23THRUST_200600_302600_NS6detail15normal_iteratorINS9_10device_ptrIiEEEESE_SE_iNS9_4plusIvEENS9_8equal_toIvEEiEE10hipError_tPvRmT2_T3_T4_T5_mT6_T7_P12ihipStream_tbENKUlT_T0_E_clISt17integral_constantIbLb1EESZ_EEDaSU_SV_EUlSU_E_NS1_11comp_targetILNS1_3genE2ELNS1_11target_archE906ELNS1_3gpuE6ELNS1_3repE0EEENS1_30default_config_static_selectorELNS0_4arch9wavefront6targetE0EEEvT1_.has_recursion, 0
	.set _ZN7rocprim17ROCPRIM_400000_NS6detail17trampoline_kernelINS0_14default_configENS1_27scan_by_key_config_selectorIiiEEZZNS1_16scan_by_key_implILNS1_25lookback_scan_determinismE0ELb0ES3_N6thrust23THRUST_200600_302600_NS6detail15normal_iteratorINS9_10device_ptrIiEEEESE_SE_iNS9_4plusIvEENS9_8equal_toIvEEiEE10hipError_tPvRmT2_T3_T4_T5_mT6_T7_P12ihipStream_tbENKUlT_T0_E_clISt17integral_constantIbLb1EESZ_EEDaSU_SV_EUlSU_E_NS1_11comp_targetILNS1_3genE2ELNS1_11target_archE906ELNS1_3gpuE6ELNS1_3repE0EEENS1_30default_config_static_selectorELNS0_4arch9wavefront6targetE0EEEvT1_.has_indirect_call, 0
	.section	.AMDGPU.csdata,"",@progbits
; Kernel info:
; codeLenInByte = 0
; TotalNumSgprs: 0
; NumVgprs: 0
; ScratchSize: 0
; MemoryBound: 0
; FloatMode: 240
; IeeeMode: 1
; LDSByteSize: 0 bytes/workgroup (compile time only)
; SGPRBlocks: 0
; VGPRBlocks: 0
; NumSGPRsForWavesPerEU: 1
; NumVGPRsForWavesPerEU: 1
; Occupancy: 16
; WaveLimiterHint : 0
; COMPUTE_PGM_RSRC2:SCRATCH_EN: 0
; COMPUTE_PGM_RSRC2:USER_SGPR: 6
; COMPUTE_PGM_RSRC2:TRAP_HANDLER: 0
; COMPUTE_PGM_RSRC2:TGID_X_EN: 1
; COMPUTE_PGM_RSRC2:TGID_Y_EN: 0
; COMPUTE_PGM_RSRC2:TGID_Z_EN: 0
; COMPUTE_PGM_RSRC2:TIDIG_COMP_CNT: 0
	.section	.text._ZN7rocprim17ROCPRIM_400000_NS6detail17trampoline_kernelINS0_14default_configENS1_27scan_by_key_config_selectorIiiEEZZNS1_16scan_by_key_implILNS1_25lookback_scan_determinismE0ELb0ES3_N6thrust23THRUST_200600_302600_NS6detail15normal_iteratorINS9_10device_ptrIiEEEESE_SE_iNS9_4plusIvEENS9_8equal_toIvEEiEE10hipError_tPvRmT2_T3_T4_T5_mT6_T7_P12ihipStream_tbENKUlT_T0_E_clISt17integral_constantIbLb1EESZ_EEDaSU_SV_EUlSU_E_NS1_11comp_targetILNS1_3genE10ELNS1_11target_archE1200ELNS1_3gpuE4ELNS1_3repE0EEENS1_30default_config_static_selectorELNS0_4arch9wavefront6targetE0EEEvT1_,"axG",@progbits,_ZN7rocprim17ROCPRIM_400000_NS6detail17trampoline_kernelINS0_14default_configENS1_27scan_by_key_config_selectorIiiEEZZNS1_16scan_by_key_implILNS1_25lookback_scan_determinismE0ELb0ES3_N6thrust23THRUST_200600_302600_NS6detail15normal_iteratorINS9_10device_ptrIiEEEESE_SE_iNS9_4plusIvEENS9_8equal_toIvEEiEE10hipError_tPvRmT2_T3_T4_T5_mT6_T7_P12ihipStream_tbENKUlT_T0_E_clISt17integral_constantIbLb1EESZ_EEDaSU_SV_EUlSU_E_NS1_11comp_targetILNS1_3genE10ELNS1_11target_archE1200ELNS1_3gpuE4ELNS1_3repE0EEENS1_30default_config_static_selectorELNS0_4arch9wavefront6targetE0EEEvT1_,comdat
	.protected	_ZN7rocprim17ROCPRIM_400000_NS6detail17trampoline_kernelINS0_14default_configENS1_27scan_by_key_config_selectorIiiEEZZNS1_16scan_by_key_implILNS1_25lookback_scan_determinismE0ELb0ES3_N6thrust23THRUST_200600_302600_NS6detail15normal_iteratorINS9_10device_ptrIiEEEESE_SE_iNS9_4plusIvEENS9_8equal_toIvEEiEE10hipError_tPvRmT2_T3_T4_T5_mT6_T7_P12ihipStream_tbENKUlT_T0_E_clISt17integral_constantIbLb1EESZ_EEDaSU_SV_EUlSU_E_NS1_11comp_targetILNS1_3genE10ELNS1_11target_archE1200ELNS1_3gpuE4ELNS1_3repE0EEENS1_30default_config_static_selectorELNS0_4arch9wavefront6targetE0EEEvT1_ ; -- Begin function _ZN7rocprim17ROCPRIM_400000_NS6detail17trampoline_kernelINS0_14default_configENS1_27scan_by_key_config_selectorIiiEEZZNS1_16scan_by_key_implILNS1_25lookback_scan_determinismE0ELb0ES3_N6thrust23THRUST_200600_302600_NS6detail15normal_iteratorINS9_10device_ptrIiEEEESE_SE_iNS9_4plusIvEENS9_8equal_toIvEEiEE10hipError_tPvRmT2_T3_T4_T5_mT6_T7_P12ihipStream_tbENKUlT_T0_E_clISt17integral_constantIbLb1EESZ_EEDaSU_SV_EUlSU_E_NS1_11comp_targetILNS1_3genE10ELNS1_11target_archE1200ELNS1_3gpuE4ELNS1_3repE0EEENS1_30default_config_static_selectorELNS0_4arch9wavefront6targetE0EEEvT1_
	.globl	_ZN7rocprim17ROCPRIM_400000_NS6detail17trampoline_kernelINS0_14default_configENS1_27scan_by_key_config_selectorIiiEEZZNS1_16scan_by_key_implILNS1_25lookback_scan_determinismE0ELb0ES3_N6thrust23THRUST_200600_302600_NS6detail15normal_iteratorINS9_10device_ptrIiEEEESE_SE_iNS9_4plusIvEENS9_8equal_toIvEEiEE10hipError_tPvRmT2_T3_T4_T5_mT6_T7_P12ihipStream_tbENKUlT_T0_E_clISt17integral_constantIbLb1EESZ_EEDaSU_SV_EUlSU_E_NS1_11comp_targetILNS1_3genE10ELNS1_11target_archE1200ELNS1_3gpuE4ELNS1_3repE0EEENS1_30default_config_static_selectorELNS0_4arch9wavefront6targetE0EEEvT1_
	.p2align	8
	.type	_ZN7rocprim17ROCPRIM_400000_NS6detail17trampoline_kernelINS0_14default_configENS1_27scan_by_key_config_selectorIiiEEZZNS1_16scan_by_key_implILNS1_25lookback_scan_determinismE0ELb0ES3_N6thrust23THRUST_200600_302600_NS6detail15normal_iteratorINS9_10device_ptrIiEEEESE_SE_iNS9_4plusIvEENS9_8equal_toIvEEiEE10hipError_tPvRmT2_T3_T4_T5_mT6_T7_P12ihipStream_tbENKUlT_T0_E_clISt17integral_constantIbLb1EESZ_EEDaSU_SV_EUlSU_E_NS1_11comp_targetILNS1_3genE10ELNS1_11target_archE1200ELNS1_3gpuE4ELNS1_3repE0EEENS1_30default_config_static_selectorELNS0_4arch9wavefront6targetE0EEEvT1_,@function
_ZN7rocprim17ROCPRIM_400000_NS6detail17trampoline_kernelINS0_14default_configENS1_27scan_by_key_config_selectorIiiEEZZNS1_16scan_by_key_implILNS1_25lookback_scan_determinismE0ELb0ES3_N6thrust23THRUST_200600_302600_NS6detail15normal_iteratorINS9_10device_ptrIiEEEESE_SE_iNS9_4plusIvEENS9_8equal_toIvEEiEE10hipError_tPvRmT2_T3_T4_T5_mT6_T7_P12ihipStream_tbENKUlT_T0_E_clISt17integral_constantIbLb1EESZ_EEDaSU_SV_EUlSU_E_NS1_11comp_targetILNS1_3genE10ELNS1_11target_archE1200ELNS1_3gpuE4ELNS1_3repE0EEENS1_30default_config_static_selectorELNS0_4arch9wavefront6targetE0EEEvT1_: ; @_ZN7rocprim17ROCPRIM_400000_NS6detail17trampoline_kernelINS0_14default_configENS1_27scan_by_key_config_selectorIiiEEZZNS1_16scan_by_key_implILNS1_25lookback_scan_determinismE0ELb0ES3_N6thrust23THRUST_200600_302600_NS6detail15normal_iteratorINS9_10device_ptrIiEEEESE_SE_iNS9_4plusIvEENS9_8equal_toIvEEiEE10hipError_tPvRmT2_T3_T4_T5_mT6_T7_P12ihipStream_tbENKUlT_T0_E_clISt17integral_constantIbLb1EESZ_EEDaSU_SV_EUlSU_E_NS1_11comp_targetILNS1_3genE10ELNS1_11target_archE1200ELNS1_3gpuE4ELNS1_3repE0EEENS1_30default_config_static_selectorELNS0_4arch9wavefront6targetE0EEEvT1_
; %bb.0:
	.section	.rodata,"a",@progbits
	.p2align	6, 0x0
	.amdhsa_kernel _ZN7rocprim17ROCPRIM_400000_NS6detail17trampoline_kernelINS0_14default_configENS1_27scan_by_key_config_selectorIiiEEZZNS1_16scan_by_key_implILNS1_25lookback_scan_determinismE0ELb0ES3_N6thrust23THRUST_200600_302600_NS6detail15normal_iteratorINS9_10device_ptrIiEEEESE_SE_iNS9_4plusIvEENS9_8equal_toIvEEiEE10hipError_tPvRmT2_T3_T4_T5_mT6_T7_P12ihipStream_tbENKUlT_T0_E_clISt17integral_constantIbLb1EESZ_EEDaSU_SV_EUlSU_E_NS1_11comp_targetILNS1_3genE10ELNS1_11target_archE1200ELNS1_3gpuE4ELNS1_3repE0EEENS1_30default_config_static_selectorELNS0_4arch9wavefront6targetE0EEEvT1_
		.amdhsa_group_segment_fixed_size 0
		.amdhsa_private_segment_fixed_size 0
		.amdhsa_kernarg_size 112
		.amdhsa_user_sgpr_count 6
		.amdhsa_user_sgpr_private_segment_buffer 1
		.amdhsa_user_sgpr_dispatch_ptr 0
		.amdhsa_user_sgpr_queue_ptr 0
		.amdhsa_user_sgpr_kernarg_segment_ptr 1
		.amdhsa_user_sgpr_dispatch_id 0
		.amdhsa_user_sgpr_flat_scratch_init 0
		.amdhsa_user_sgpr_private_segment_size 0
		.amdhsa_wavefront_size32 1
		.amdhsa_uses_dynamic_stack 0
		.amdhsa_system_sgpr_private_segment_wavefront_offset 0
		.amdhsa_system_sgpr_workgroup_id_x 1
		.amdhsa_system_sgpr_workgroup_id_y 0
		.amdhsa_system_sgpr_workgroup_id_z 0
		.amdhsa_system_sgpr_workgroup_info 0
		.amdhsa_system_vgpr_workitem_id 0
		.amdhsa_next_free_vgpr 1
		.amdhsa_next_free_sgpr 1
		.amdhsa_reserve_vcc 0
		.amdhsa_reserve_flat_scratch 0
		.amdhsa_float_round_mode_32 0
		.amdhsa_float_round_mode_16_64 0
		.amdhsa_float_denorm_mode_32 3
		.amdhsa_float_denorm_mode_16_64 3
		.amdhsa_dx10_clamp 1
		.amdhsa_ieee_mode 1
		.amdhsa_fp16_overflow 0
		.amdhsa_workgroup_processor_mode 1
		.amdhsa_memory_ordered 1
		.amdhsa_forward_progress 1
		.amdhsa_shared_vgpr_count 0
		.amdhsa_exception_fp_ieee_invalid_op 0
		.amdhsa_exception_fp_denorm_src 0
		.amdhsa_exception_fp_ieee_div_zero 0
		.amdhsa_exception_fp_ieee_overflow 0
		.amdhsa_exception_fp_ieee_underflow 0
		.amdhsa_exception_fp_ieee_inexact 0
		.amdhsa_exception_int_div_zero 0
	.end_amdhsa_kernel
	.section	.text._ZN7rocprim17ROCPRIM_400000_NS6detail17trampoline_kernelINS0_14default_configENS1_27scan_by_key_config_selectorIiiEEZZNS1_16scan_by_key_implILNS1_25lookback_scan_determinismE0ELb0ES3_N6thrust23THRUST_200600_302600_NS6detail15normal_iteratorINS9_10device_ptrIiEEEESE_SE_iNS9_4plusIvEENS9_8equal_toIvEEiEE10hipError_tPvRmT2_T3_T4_T5_mT6_T7_P12ihipStream_tbENKUlT_T0_E_clISt17integral_constantIbLb1EESZ_EEDaSU_SV_EUlSU_E_NS1_11comp_targetILNS1_3genE10ELNS1_11target_archE1200ELNS1_3gpuE4ELNS1_3repE0EEENS1_30default_config_static_selectorELNS0_4arch9wavefront6targetE0EEEvT1_,"axG",@progbits,_ZN7rocprim17ROCPRIM_400000_NS6detail17trampoline_kernelINS0_14default_configENS1_27scan_by_key_config_selectorIiiEEZZNS1_16scan_by_key_implILNS1_25lookback_scan_determinismE0ELb0ES3_N6thrust23THRUST_200600_302600_NS6detail15normal_iteratorINS9_10device_ptrIiEEEESE_SE_iNS9_4plusIvEENS9_8equal_toIvEEiEE10hipError_tPvRmT2_T3_T4_T5_mT6_T7_P12ihipStream_tbENKUlT_T0_E_clISt17integral_constantIbLb1EESZ_EEDaSU_SV_EUlSU_E_NS1_11comp_targetILNS1_3genE10ELNS1_11target_archE1200ELNS1_3gpuE4ELNS1_3repE0EEENS1_30default_config_static_selectorELNS0_4arch9wavefront6targetE0EEEvT1_,comdat
.Lfunc_end139:
	.size	_ZN7rocprim17ROCPRIM_400000_NS6detail17trampoline_kernelINS0_14default_configENS1_27scan_by_key_config_selectorIiiEEZZNS1_16scan_by_key_implILNS1_25lookback_scan_determinismE0ELb0ES3_N6thrust23THRUST_200600_302600_NS6detail15normal_iteratorINS9_10device_ptrIiEEEESE_SE_iNS9_4plusIvEENS9_8equal_toIvEEiEE10hipError_tPvRmT2_T3_T4_T5_mT6_T7_P12ihipStream_tbENKUlT_T0_E_clISt17integral_constantIbLb1EESZ_EEDaSU_SV_EUlSU_E_NS1_11comp_targetILNS1_3genE10ELNS1_11target_archE1200ELNS1_3gpuE4ELNS1_3repE0EEENS1_30default_config_static_selectorELNS0_4arch9wavefront6targetE0EEEvT1_, .Lfunc_end139-_ZN7rocprim17ROCPRIM_400000_NS6detail17trampoline_kernelINS0_14default_configENS1_27scan_by_key_config_selectorIiiEEZZNS1_16scan_by_key_implILNS1_25lookback_scan_determinismE0ELb0ES3_N6thrust23THRUST_200600_302600_NS6detail15normal_iteratorINS9_10device_ptrIiEEEESE_SE_iNS9_4plusIvEENS9_8equal_toIvEEiEE10hipError_tPvRmT2_T3_T4_T5_mT6_T7_P12ihipStream_tbENKUlT_T0_E_clISt17integral_constantIbLb1EESZ_EEDaSU_SV_EUlSU_E_NS1_11comp_targetILNS1_3genE10ELNS1_11target_archE1200ELNS1_3gpuE4ELNS1_3repE0EEENS1_30default_config_static_selectorELNS0_4arch9wavefront6targetE0EEEvT1_
                                        ; -- End function
	.set _ZN7rocprim17ROCPRIM_400000_NS6detail17trampoline_kernelINS0_14default_configENS1_27scan_by_key_config_selectorIiiEEZZNS1_16scan_by_key_implILNS1_25lookback_scan_determinismE0ELb0ES3_N6thrust23THRUST_200600_302600_NS6detail15normal_iteratorINS9_10device_ptrIiEEEESE_SE_iNS9_4plusIvEENS9_8equal_toIvEEiEE10hipError_tPvRmT2_T3_T4_T5_mT6_T7_P12ihipStream_tbENKUlT_T0_E_clISt17integral_constantIbLb1EESZ_EEDaSU_SV_EUlSU_E_NS1_11comp_targetILNS1_3genE10ELNS1_11target_archE1200ELNS1_3gpuE4ELNS1_3repE0EEENS1_30default_config_static_selectorELNS0_4arch9wavefront6targetE0EEEvT1_.num_vgpr, 0
	.set _ZN7rocprim17ROCPRIM_400000_NS6detail17trampoline_kernelINS0_14default_configENS1_27scan_by_key_config_selectorIiiEEZZNS1_16scan_by_key_implILNS1_25lookback_scan_determinismE0ELb0ES3_N6thrust23THRUST_200600_302600_NS6detail15normal_iteratorINS9_10device_ptrIiEEEESE_SE_iNS9_4plusIvEENS9_8equal_toIvEEiEE10hipError_tPvRmT2_T3_T4_T5_mT6_T7_P12ihipStream_tbENKUlT_T0_E_clISt17integral_constantIbLb1EESZ_EEDaSU_SV_EUlSU_E_NS1_11comp_targetILNS1_3genE10ELNS1_11target_archE1200ELNS1_3gpuE4ELNS1_3repE0EEENS1_30default_config_static_selectorELNS0_4arch9wavefront6targetE0EEEvT1_.num_agpr, 0
	.set _ZN7rocprim17ROCPRIM_400000_NS6detail17trampoline_kernelINS0_14default_configENS1_27scan_by_key_config_selectorIiiEEZZNS1_16scan_by_key_implILNS1_25lookback_scan_determinismE0ELb0ES3_N6thrust23THRUST_200600_302600_NS6detail15normal_iteratorINS9_10device_ptrIiEEEESE_SE_iNS9_4plusIvEENS9_8equal_toIvEEiEE10hipError_tPvRmT2_T3_T4_T5_mT6_T7_P12ihipStream_tbENKUlT_T0_E_clISt17integral_constantIbLb1EESZ_EEDaSU_SV_EUlSU_E_NS1_11comp_targetILNS1_3genE10ELNS1_11target_archE1200ELNS1_3gpuE4ELNS1_3repE0EEENS1_30default_config_static_selectorELNS0_4arch9wavefront6targetE0EEEvT1_.numbered_sgpr, 0
	.set _ZN7rocprim17ROCPRIM_400000_NS6detail17trampoline_kernelINS0_14default_configENS1_27scan_by_key_config_selectorIiiEEZZNS1_16scan_by_key_implILNS1_25lookback_scan_determinismE0ELb0ES3_N6thrust23THRUST_200600_302600_NS6detail15normal_iteratorINS9_10device_ptrIiEEEESE_SE_iNS9_4plusIvEENS9_8equal_toIvEEiEE10hipError_tPvRmT2_T3_T4_T5_mT6_T7_P12ihipStream_tbENKUlT_T0_E_clISt17integral_constantIbLb1EESZ_EEDaSU_SV_EUlSU_E_NS1_11comp_targetILNS1_3genE10ELNS1_11target_archE1200ELNS1_3gpuE4ELNS1_3repE0EEENS1_30default_config_static_selectorELNS0_4arch9wavefront6targetE0EEEvT1_.num_named_barrier, 0
	.set _ZN7rocprim17ROCPRIM_400000_NS6detail17trampoline_kernelINS0_14default_configENS1_27scan_by_key_config_selectorIiiEEZZNS1_16scan_by_key_implILNS1_25lookback_scan_determinismE0ELb0ES3_N6thrust23THRUST_200600_302600_NS6detail15normal_iteratorINS9_10device_ptrIiEEEESE_SE_iNS9_4plusIvEENS9_8equal_toIvEEiEE10hipError_tPvRmT2_T3_T4_T5_mT6_T7_P12ihipStream_tbENKUlT_T0_E_clISt17integral_constantIbLb1EESZ_EEDaSU_SV_EUlSU_E_NS1_11comp_targetILNS1_3genE10ELNS1_11target_archE1200ELNS1_3gpuE4ELNS1_3repE0EEENS1_30default_config_static_selectorELNS0_4arch9wavefront6targetE0EEEvT1_.private_seg_size, 0
	.set _ZN7rocprim17ROCPRIM_400000_NS6detail17trampoline_kernelINS0_14default_configENS1_27scan_by_key_config_selectorIiiEEZZNS1_16scan_by_key_implILNS1_25lookback_scan_determinismE0ELb0ES3_N6thrust23THRUST_200600_302600_NS6detail15normal_iteratorINS9_10device_ptrIiEEEESE_SE_iNS9_4plusIvEENS9_8equal_toIvEEiEE10hipError_tPvRmT2_T3_T4_T5_mT6_T7_P12ihipStream_tbENKUlT_T0_E_clISt17integral_constantIbLb1EESZ_EEDaSU_SV_EUlSU_E_NS1_11comp_targetILNS1_3genE10ELNS1_11target_archE1200ELNS1_3gpuE4ELNS1_3repE0EEENS1_30default_config_static_selectorELNS0_4arch9wavefront6targetE0EEEvT1_.uses_vcc, 0
	.set _ZN7rocprim17ROCPRIM_400000_NS6detail17trampoline_kernelINS0_14default_configENS1_27scan_by_key_config_selectorIiiEEZZNS1_16scan_by_key_implILNS1_25lookback_scan_determinismE0ELb0ES3_N6thrust23THRUST_200600_302600_NS6detail15normal_iteratorINS9_10device_ptrIiEEEESE_SE_iNS9_4plusIvEENS9_8equal_toIvEEiEE10hipError_tPvRmT2_T3_T4_T5_mT6_T7_P12ihipStream_tbENKUlT_T0_E_clISt17integral_constantIbLb1EESZ_EEDaSU_SV_EUlSU_E_NS1_11comp_targetILNS1_3genE10ELNS1_11target_archE1200ELNS1_3gpuE4ELNS1_3repE0EEENS1_30default_config_static_selectorELNS0_4arch9wavefront6targetE0EEEvT1_.uses_flat_scratch, 0
	.set _ZN7rocprim17ROCPRIM_400000_NS6detail17trampoline_kernelINS0_14default_configENS1_27scan_by_key_config_selectorIiiEEZZNS1_16scan_by_key_implILNS1_25lookback_scan_determinismE0ELb0ES3_N6thrust23THRUST_200600_302600_NS6detail15normal_iteratorINS9_10device_ptrIiEEEESE_SE_iNS9_4plusIvEENS9_8equal_toIvEEiEE10hipError_tPvRmT2_T3_T4_T5_mT6_T7_P12ihipStream_tbENKUlT_T0_E_clISt17integral_constantIbLb1EESZ_EEDaSU_SV_EUlSU_E_NS1_11comp_targetILNS1_3genE10ELNS1_11target_archE1200ELNS1_3gpuE4ELNS1_3repE0EEENS1_30default_config_static_selectorELNS0_4arch9wavefront6targetE0EEEvT1_.has_dyn_sized_stack, 0
	.set _ZN7rocprim17ROCPRIM_400000_NS6detail17trampoline_kernelINS0_14default_configENS1_27scan_by_key_config_selectorIiiEEZZNS1_16scan_by_key_implILNS1_25lookback_scan_determinismE0ELb0ES3_N6thrust23THRUST_200600_302600_NS6detail15normal_iteratorINS9_10device_ptrIiEEEESE_SE_iNS9_4plusIvEENS9_8equal_toIvEEiEE10hipError_tPvRmT2_T3_T4_T5_mT6_T7_P12ihipStream_tbENKUlT_T0_E_clISt17integral_constantIbLb1EESZ_EEDaSU_SV_EUlSU_E_NS1_11comp_targetILNS1_3genE10ELNS1_11target_archE1200ELNS1_3gpuE4ELNS1_3repE0EEENS1_30default_config_static_selectorELNS0_4arch9wavefront6targetE0EEEvT1_.has_recursion, 0
	.set _ZN7rocprim17ROCPRIM_400000_NS6detail17trampoline_kernelINS0_14default_configENS1_27scan_by_key_config_selectorIiiEEZZNS1_16scan_by_key_implILNS1_25lookback_scan_determinismE0ELb0ES3_N6thrust23THRUST_200600_302600_NS6detail15normal_iteratorINS9_10device_ptrIiEEEESE_SE_iNS9_4plusIvEENS9_8equal_toIvEEiEE10hipError_tPvRmT2_T3_T4_T5_mT6_T7_P12ihipStream_tbENKUlT_T0_E_clISt17integral_constantIbLb1EESZ_EEDaSU_SV_EUlSU_E_NS1_11comp_targetILNS1_3genE10ELNS1_11target_archE1200ELNS1_3gpuE4ELNS1_3repE0EEENS1_30default_config_static_selectorELNS0_4arch9wavefront6targetE0EEEvT1_.has_indirect_call, 0
	.section	.AMDGPU.csdata,"",@progbits
; Kernel info:
; codeLenInByte = 0
; TotalNumSgprs: 0
; NumVgprs: 0
; ScratchSize: 0
; MemoryBound: 0
; FloatMode: 240
; IeeeMode: 1
; LDSByteSize: 0 bytes/workgroup (compile time only)
; SGPRBlocks: 0
; VGPRBlocks: 0
; NumSGPRsForWavesPerEU: 1
; NumVGPRsForWavesPerEU: 1
; Occupancy: 16
; WaveLimiterHint : 0
; COMPUTE_PGM_RSRC2:SCRATCH_EN: 0
; COMPUTE_PGM_RSRC2:USER_SGPR: 6
; COMPUTE_PGM_RSRC2:TRAP_HANDLER: 0
; COMPUTE_PGM_RSRC2:TGID_X_EN: 1
; COMPUTE_PGM_RSRC2:TGID_Y_EN: 0
; COMPUTE_PGM_RSRC2:TGID_Z_EN: 0
; COMPUTE_PGM_RSRC2:TIDIG_COMP_CNT: 0
	.section	.text._ZN7rocprim17ROCPRIM_400000_NS6detail17trampoline_kernelINS0_14default_configENS1_27scan_by_key_config_selectorIiiEEZZNS1_16scan_by_key_implILNS1_25lookback_scan_determinismE0ELb0ES3_N6thrust23THRUST_200600_302600_NS6detail15normal_iteratorINS9_10device_ptrIiEEEESE_SE_iNS9_4plusIvEENS9_8equal_toIvEEiEE10hipError_tPvRmT2_T3_T4_T5_mT6_T7_P12ihipStream_tbENKUlT_T0_E_clISt17integral_constantIbLb1EESZ_EEDaSU_SV_EUlSU_E_NS1_11comp_targetILNS1_3genE9ELNS1_11target_archE1100ELNS1_3gpuE3ELNS1_3repE0EEENS1_30default_config_static_selectorELNS0_4arch9wavefront6targetE0EEEvT1_,"axG",@progbits,_ZN7rocprim17ROCPRIM_400000_NS6detail17trampoline_kernelINS0_14default_configENS1_27scan_by_key_config_selectorIiiEEZZNS1_16scan_by_key_implILNS1_25lookback_scan_determinismE0ELb0ES3_N6thrust23THRUST_200600_302600_NS6detail15normal_iteratorINS9_10device_ptrIiEEEESE_SE_iNS9_4plusIvEENS9_8equal_toIvEEiEE10hipError_tPvRmT2_T3_T4_T5_mT6_T7_P12ihipStream_tbENKUlT_T0_E_clISt17integral_constantIbLb1EESZ_EEDaSU_SV_EUlSU_E_NS1_11comp_targetILNS1_3genE9ELNS1_11target_archE1100ELNS1_3gpuE3ELNS1_3repE0EEENS1_30default_config_static_selectorELNS0_4arch9wavefront6targetE0EEEvT1_,comdat
	.protected	_ZN7rocprim17ROCPRIM_400000_NS6detail17trampoline_kernelINS0_14default_configENS1_27scan_by_key_config_selectorIiiEEZZNS1_16scan_by_key_implILNS1_25lookback_scan_determinismE0ELb0ES3_N6thrust23THRUST_200600_302600_NS6detail15normal_iteratorINS9_10device_ptrIiEEEESE_SE_iNS9_4plusIvEENS9_8equal_toIvEEiEE10hipError_tPvRmT2_T3_T4_T5_mT6_T7_P12ihipStream_tbENKUlT_T0_E_clISt17integral_constantIbLb1EESZ_EEDaSU_SV_EUlSU_E_NS1_11comp_targetILNS1_3genE9ELNS1_11target_archE1100ELNS1_3gpuE3ELNS1_3repE0EEENS1_30default_config_static_selectorELNS0_4arch9wavefront6targetE0EEEvT1_ ; -- Begin function _ZN7rocprim17ROCPRIM_400000_NS6detail17trampoline_kernelINS0_14default_configENS1_27scan_by_key_config_selectorIiiEEZZNS1_16scan_by_key_implILNS1_25lookback_scan_determinismE0ELb0ES3_N6thrust23THRUST_200600_302600_NS6detail15normal_iteratorINS9_10device_ptrIiEEEESE_SE_iNS9_4plusIvEENS9_8equal_toIvEEiEE10hipError_tPvRmT2_T3_T4_T5_mT6_T7_P12ihipStream_tbENKUlT_T0_E_clISt17integral_constantIbLb1EESZ_EEDaSU_SV_EUlSU_E_NS1_11comp_targetILNS1_3genE9ELNS1_11target_archE1100ELNS1_3gpuE3ELNS1_3repE0EEENS1_30default_config_static_selectorELNS0_4arch9wavefront6targetE0EEEvT1_
	.globl	_ZN7rocprim17ROCPRIM_400000_NS6detail17trampoline_kernelINS0_14default_configENS1_27scan_by_key_config_selectorIiiEEZZNS1_16scan_by_key_implILNS1_25lookback_scan_determinismE0ELb0ES3_N6thrust23THRUST_200600_302600_NS6detail15normal_iteratorINS9_10device_ptrIiEEEESE_SE_iNS9_4plusIvEENS9_8equal_toIvEEiEE10hipError_tPvRmT2_T3_T4_T5_mT6_T7_P12ihipStream_tbENKUlT_T0_E_clISt17integral_constantIbLb1EESZ_EEDaSU_SV_EUlSU_E_NS1_11comp_targetILNS1_3genE9ELNS1_11target_archE1100ELNS1_3gpuE3ELNS1_3repE0EEENS1_30default_config_static_selectorELNS0_4arch9wavefront6targetE0EEEvT1_
	.p2align	8
	.type	_ZN7rocprim17ROCPRIM_400000_NS6detail17trampoline_kernelINS0_14default_configENS1_27scan_by_key_config_selectorIiiEEZZNS1_16scan_by_key_implILNS1_25lookback_scan_determinismE0ELb0ES3_N6thrust23THRUST_200600_302600_NS6detail15normal_iteratorINS9_10device_ptrIiEEEESE_SE_iNS9_4plusIvEENS9_8equal_toIvEEiEE10hipError_tPvRmT2_T3_T4_T5_mT6_T7_P12ihipStream_tbENKUlT_T0_E_clISt17integral_constantIbLb1EESZ_EEDaSU_SV_EUlSU_E_NS1_11comp_targetILNS1_3genE9ELNS1_11target_archE1100ELNS1_3gpuE3ELNS1_3repE0EEENS1_30default_config_static_selectorELNS0_4arch9wavefront6targetE0EEEvT1_,@function
_ZN7rocprim17ROCPRIM_400000_NS6detail17trampoline_kernelINS0_14default_configENS1_27scan_by_key_config_selectorIiiEEZZNS1_16scan_by_key_implILNS1_25lookback_scan_determinismE0ELb0ES3_N6thrust23THRUST_200600_302600_NS6detail15normal_iteratorINS9_10device_ptrIiEEEESE_SE_iNS9_4plusIvEENS9_8equal_toIvEEiEE10hipError_tPvRmT2_T3_T4_T5_mT6_T7_P12ihipStream_tbENKUlT_T0_E_clISt17integral_constantIbLb1EESZ_EEDaSU_SV_EUlSU_E_NS1_11comp_targetILNS1_3genE9ELNS1_11target_archE1100ELNS1_3gpuE3ELNS1_3repE0EEENS1_30default_config_static_selectorELNS0_4arch9wavefront6targetE0EEEvT1_: ; @_ZN7rocprim17ROCPRIM_400000_NS6detail17trampoline_kernelINS0_14default_configENS1_27scan_by_key_config_selectorIiiEEZZNS1_16scan_by_key_implILNS1_25lookback_scan_determinismE0ELb0ES3_N6thrust23THRUST_200600_302600_NS6detail15normal_iteratorINS9_10device_ptrIiEEEESE_SE_iNS9_4plusIvEENS9_8equal_toIvEEiEE10hipError_tPvRmT2_T3_T4_T5_mT6_T7_P12ihipStream_tbENKUlT_T0_E_clISt17integral_constantIbLb1EESZ_EEDaSU_SV_EUlSU_E_NS1_11comp_targetILNS1_3genE9ELNS1_11target_archE1100ELNS1_3gpuE3ELNS1_3repE0EEENS1_30default_config_static_selectorELNS0_4arch9wavefront6targetE0EEEvT1_
; %bb.0:
	.section	.rodata,"a",@progbits
	.p2align	6, 0x0
	.amdhsa_kernel _ZN7rocprim17ROCPRIM_400000_NS6detail17trampoline_kernelINS0_14default_configENS1_27scan_by_key_config_selectorIiiEEZZNS1_16scan_by_key_implILNS1_25lookback_scan_determinismE0ELb0ES3_N6thrust23THRUST_200600_302600_NS6detail15normal_iteratorINS9_10device_ptrIiEEEESE_SE_iNS9_4plusIvEENS9_8equal_toIvEEiEE10hipError_tPvRmT2_T3_T4_T5_mT6_T7_P12ihipStream_tbENKUlT_T0_E_clISt17integral_constantIbLb1EESZ_EEDaSU_SV_EUlSU_E_NS1_11comp_targetILNS1_3genE9ELNS1_11target_archE1100ELNS1_3gpuE3ELNS1_3repE0EEENS1_30default_config_static_selectorELNS0_4arch9wavefront6targetE0EEEvT1_
		.amdhsa_group_segment_fixed_size 0
		.amdhsa_private_segment_fixed_size 0
		.amdhsa_kernarg_size 112
		.amdhsa_user_sgpr_count 6
		.amdhsa_user_sgpr_private_segment_buffer 1
		.amdhsa_user_sgpr_dispatch_ptr 0
		.amdhsa_user_sgpr_queue_ptr 0
		.amdhsa_user_sgpr_kernarg_segment_ptr 1
		.amdhsa_user_sgpr_dispatch_id 0
		.amdhsa_user_sgpr_flat_scratch_init 0
		.amdhsa_user_sgpr_private_segment_size 0
		.amdhsa_wavefront_size32 1
		.amdhsa_uses_dynamic_stack 0
		.amdhsa_system_sgpr_private_segment_wavefront_offset 0
		.amdhsa_system_sgpr_workgroup_id_x 1
		.amdhsa_system_sgpr_workgroup_id_y 0
		.amdhsa_system_sgpr_workgroup_id_z 0
		.amdhsa_system_sgpr_workgroup_info 0
		.amdhsa_system_vgpr_workitem_id 0
		.amdhsa_next_free_vgpr 1
		.amdhsa_next_free_sgpr 1
		.amdhsa_reserve_vcc 0
		.amdhsa_reserve_flat_scratch 0
		.amdhsa_float_round_mode_32 0
		.amdhsa_float_round_mode_16_64 0
		.amdhsa_float_denorm_mode_32 3
		.amdhsa_float_denorm_mode_16_64 3
		.amdhsa_dx10_clamp 1
		.amdhsa_ieee_mode 1
		.amdhsa_fp16_overflow 0
		.amdhsa_workgroup_processor_mode 1
		.amdhsa_memory_ordered 1
		.amdhsa_forward_progress 1
		.amdhsa_shared_vgpr_count 0
		.amdhsa_exception_fp_ieee_invalid_op 0
		.amdhsa_exception_fp_denorm_src 0
		.amdhsa_exception_fp_ieee_div_zero 0
		.amdhsa_exception_fp_ieee_overflow 0
		.amdhsa_exception_fp_ieee_underflow 0
		.amdhsa_exception_fp_ieee_inexact 0
		.amdhsa_exception_int_div_zero 0
	.end_amdhsa_kernel
	.section	.text._ZN7rocprim17ROCPRIM_400000_NS6detail17trampoline_kernelINS0_14default_configENS1_27scan_by_key_config_selectorIiiEEZZNS1_16scan_by_key_implILNS1_25lookback_scan_determinismE0ELb0ES3_N6thrust23THRUST_200600_302600_NS6detail15normal_iteratorINS9_10device_ptrIiEEEESE_SE_iNS9_4plusIvEENS9_8equal_toIvEEiEE10hipError_tPvRmT2_T3_T4_T5_mT6_T7_P12ihipStream_tbENKUlT_T0_E_clISt17integral_constantIbLb1EESZ_EEDaSU_SV_EUlSU_E_NS1_11comp_targetILNS1_3genE9ELNS1_11target_archE1100ELNS1_3gpuE3ELNS1_3repE0EEENS1_30default_config_static_selectorELNS0_4arch9wavefront6targetE0EEEvT1_,"axG",@progbits,_ZN7rocprim17ROCPRIM_400000_NS6detail17trampoline_kernelINS0_14default_configENS1_27scan_by_key_config_selectorIiiEEZZNS1_16scan_by_key_implILNS1_25lookback_scan_determinismE0ELb0ES3_N6thrust23THRUST_200600_302600_NS6detail15normal_iteratorINS9_10device_ptrIiEEEESE_SE_iNS9_4plusIvEENS9_8equal_toIvEEiEE10hipError_tPvRmT2_T3_T4_T5_mT6_T7_P12ihipStream_tbENKUlT_T0_E_clISt17integral_constantIbLb1EESZ_EEDaSU_SV_EUlSU_E_NS1_11comp_targetILNS1_3genE9ELNS1_11target_archE1100ELNS1_3gpuE3ELNS1_3repE0EEENS1_30default_config_static_selectorELNS0_4arch9wavefront6targetE0EEEvT1_,comdat
.Lfunc_end140:
	.size	_ZN7rocprim17ROCPRIM_400000_NS6detail17trampoline_kernelINS0_14default_configENS1_27scan_by_key_config_selectorIiiEEZZNS1_16scan_by_key_implILNS1_25lookback_scan_determinismE0ELb0ES3_N6thrust23THRUST_200600_302600_NS6detail15normal_iteratorINS9_10device_ptrIiEEEESE_SE_iNS9_4plusIvEENS9_8equal_toIvEEiEE10hipError_tPvRmT2_T3_T4_T5_mT6_T7_P12ihipStream_tbENKUlT_T0_E_clISt17integral_constantIbLb1EESZ_EEDaSU_SV_EUlSU_E_NS1_11comp_targetILNS1_3genE9ELNS1_11target_archE1100ELNS1_3gpuE3ELNS1_3repE0EEENS1_30default_config_static_selectorELNS0_4arch9wavefront6targetE0EEEvT1_, .Lfunc_end140-_ZN7rocprim17ROCPRIM_400000_NS6detail17trampoline_kernelINS0_14default_configENS1_27scan_by_key_config_selectorIiiEEZZNS1_16scan_by_key_implILNS1_25lookback_scan_determinismE0ELb0ES3_N6thrust23THRUST_200600_302600_NS6detail15normal_iteratorINS9_10device_ptrIiEEEESE_SE_iNS9_4plusIvEENS9_8equal_toIvEEiEE10hipError_tPvRmT2_T3_T4_T5_mT6_T7_P12ihipStream_tbENKUlT_T0_E_clISt17integral_constantIbLb1EESZ_EEDaSU_SV_EUlSU_E_NS1_11comp_targetILNS1_3genE9ELNS1_11target_archE1100ELNS1_3gpuE3ELNS1_3repE0EEENS1_30default_config_static_selectorELNS0_4arch9wavefront6targetE0EEEvT1_
                                        ; -- End function
	.set _ZN7rocprim17ROCPRIM_400000_NS6detail17trampoline_kernelINS0_14default_configENS1_27scan_by_key_config_selectorIiiEEZZNS1_16scan_by_key_implILNS1_25lookback_scan_determinismE0ELb0ES3_N6thrust23THRUST_200600_302600_NS6detail15normal_iteratorINS9_10device_ptrIiEEEESE_SE_iNS9_4plusIvEENS9_8equal_toIvEEiEE10hipError_tPvRmT2_T3_T4_T5_mT6_T7_P12ihipStream_tbENKUlT_T0_E_clISt17integral_constantIbLb1EESZ_EEDaSU_SV_EUlSU_E_NS1_11comp_targetILNS1_3genE9ELNS1_11target_archE1100ELNS1_3gpuE3ELNS1_3repE0EEENS1_30default_config_static_selectorELNS0_4arch9wavefront6targetE0EEEvT1_.num_vgpr, 0
	.set _ZN7rocprim17ROCPRIM_400000_NS6detail17trampoline_kernelINS0_14default_configENS1_27scan_by_key_config_selectorIiiEEZZNS1_16scan_by_key_implILNS1_25lookback_scan_determinismE0ELb0ES3_N6thrust23THRUST_200600_302600_NS6detail15normal_iteratorINS9_10device_ptrIiEEEESE_SE_iNS9_4plusIvEENS9_8equal_toIvEEiEE10hipError_tPvRmT2_T3_T4_T5_mT6_T7_P12ihipStream_tbENKUlT_T0_E_clISt17integral_constantIbLb1EESZ_EEDaSU_SV_EUlSU_E_NS1_11comp_targetILNS1_3genE9ELNS1_11target_archE1100ELNS1_3gpuE3ELNS1_3repE0EEENS1_30default_config_static_selectorELNS0_4arch9wavefront6targetE0EEEvT1_.num_agpr, 0
	.set _ZN7rocprim17ROCPRIM_400000_NS6detail17trampoline_kernelINS0_14default_configENS1_27scan_by_key_config_selectorIiiEEZZNS1_16scan_by_key_implILNS1_25lookback_scan_determinismE0ELb0ES3_N6thrust23THRUST_200600_302600_NS6detail15normal_iteratorINS9_10device_ptrIiEEEESE_SE_iNS9_4plusIvEENS9_8equal_toIvEEiEE10hipError_tPvRmT2_T3_T4_T5_mT6_T7_P12ihipStream_tbENKUlT_T0_E_clISt17integral_constantIbLb1EESZ_EEDaSU_SV_EUlSU_E_NS1_11comp_targetILNS1_3genE9ELNS1_11target_archE1100ELNS1_3gpuE3ELNS1_3repE0EEENS1_30default_config_static_selectorELNS0_4arch9wavefront6targetE0EEEvT1_.numbered_sgpr, 0
	.set _ZN7rocprim17ROCPRIM_400000_NS6detail17trampoline_kernelINS0_14default_configENS1_27scan_by_key_config_selectorIiiEEZZNS1_16scan_by_key_implILNS1_25lookback_scan_determinismE0ELb0ES3_N6thrust23THRUST_200600_302600_NS6detail15normal_iteratorINS9_10device_ptrIiEEEESE_SE_iNS9_4plusIvEENS9_8equal_toIvEEiEE10hipError_tPvRmT2_T3_T4_T5_mT6_T7_P12ihipStream_tbENKUlT_T0_E_clISt17integral_constantIbLb1EESZ_EEDaSU_SV_EUlSU_E_NS1_11comp_targetILNS1_3genE9ELNS1_11target_archE1100ELNS1_3gpuE3ELNS1_3repE0EEENS1_30default_config_static_selectorELNS0_4arch9wavefront6targetE0EEEvT1_.num_named_barrier, 0
	.set _ZN7rocprim17ROCPRIM_400000_NS6detail17trampoline_kernelINS0_14default_configENS1_27scan_by_key_config_selectorIiiEEZZNS1_16scan_by_key_implILNS1_25lookback_scan_determinismE0ELb0ES3_N6thrust23THRUST_200600_302600_NS6detail15normal_iteratorINS9_10device_ptrIiEEEESE_SE_iNS9_4plusIvEENS9_8equal_toIvEEiEE10hipError_tPvRmT2_T3_T4_T5_mT6_T7_P12ihipStream_tbENKUlT_T0_E_clISt17integral_constantIbLb1EESZ_EEDaSU_SV_EUlSU_E_NS1_11comp_targetILNS1_3genE9ELNS1_11target_archE1100ELNS1_3gpuE3ELNS1_3repE0EEENS1_30default_config_static_selectorELNS0_4arch9wavefront6targetE0EEEvT1_.private_seg_size, 0
	.set _ZN7rocprim17ROCPRIM_400000_NS6detail17trampoline_kernelINS0_14default_configENS1_27scan_by_key_config_selectorIiiEEZZNS1_16scan_by_key_implILNS1_25lookback_scan_determinismE0ELb0ES3_N6thrust23THRUST_200600_302600_NS6detail15normal_iteratorINS9_10device_ptrIiEEEESE_SE_iNS9_4plusIvEENS9_8equal_toIvEEiEE10hipError_tPvRmT2_T3_T4_T5_mT6_T7_P12ihipStream_tbENKUlT_T0_E_clISt17integral_constantIbLb1EESZ_EEDaSU_SV_EUlSU_E_NS1_11comp_targetILNS1_3genE9ELNS1_11target_archE1100ELNS1_3gpuE3ELNS1_3repE0EEENS1_30default_config_static_selectorELNS0_4arch9wavefront6targetE0EEEvT1_.uses_vcc, 0
	.set _ZN7rocprim17ROCPRIM_400000_NS6detail17trampoline_kernelINS0_14default_configENS1_27scan_by_key_config_selectorIiiEEZZNS1_16scan_by_key_implILNS1_25lookback_scan_determinismE0ELb0ES3_N6thrust23THRUST_200600_302600_NS6detail15normal_iteratorINS9_10device_ptrIiEEEESE_SE_iNS9_4plusIvEENS9_8equal_toIvEEiEE10hipError_tPvRmT2_T3_T4_T5_mT6_T7_P12ihipStream_tbENKUlT_T0_E_clISt17integral_constantIbLb1EESZ_EEDaSU_SV_EUlSU_E_NS1_11comp_targetILNS1_3genE9ELNS1_11target_archE1100ELNS1_3gpuE3ELNS1_3repE0EEENS1_30default_config_static_selectorELNS0_4arch9wavefront6targetE0EEEvT1_.uses_flat_scratch, 0
	.set _ZN7rocprim17ROCPRIM_400000_NS6detail17trampoline_kernelINS0_14default_configENS1_27scan_by_key_config_selectorIiiEEZZNS1_16scan_by_key_implILNS1_25lookback_scan_determinismE0ELb0ES3_N6thrust23THRUST_200600_302600_NS6detail15normal_iteratorINS9_10device_ptrIiEEEESE_SE_iNS9_4plusIvEENS9_8equal_toIvEEiEE10hipError_tPvRmT2_T3_T4_T5_mT6_T7_P12ihipStream_tbENKUlT_T0_E_clISt17integral_constantIbLb1EESZ_EEDaSU_SV_EUlSU_E_NS1_11comp_targetILNS1_3genE9ELNS1_11target_archE1100ELNS1_3gpuE3ELNS1_3repE0EEENS1_30default_config_static_selectorELNS0_4arch9wavefront6targetE0EEEvT1_.has_dyn_sized_stack, 0
	.set _ZN7rocprim17ROCPRIM_400000_NS6detail17trampoline_kernelINS0_14default_configENS1_27scan_by_key_config_selectorIiiEEZZNS1_16scan_by_key_implILNS1_25lookback_scan_determinismE0ELb0ES3_N6thrust23THRUST_200600_302600_NS6detail15normal_iteratorINS9_10device_ptrIiEEEESE_SE_iNS9_4plusIvEENS9_8equal_toIvEEiEE10hipError_tPvRmT2_T3_T4_T5_mT6_T7_P12ihipStream_tbENKUlT_T0_E_clISt17integral_constantIbLb1EESZ_EEDaSU_SV_EUlSU_E_NS1_11comp_targetILNS1_3genE9ELNS1_11target_archE1100ELNS1_3gpuE3ELNS1_3repE0EEENS1_30default_config_static_selectorELNS0_4arch9wavefront6targetE0EEEvT1_.has_recursion, 0
	.set _ZN7rocprim17ROCPRIM_400000_NS6detail17trampoline_kernelINS0_14default_configENS1_27scan_by_key_config_selectorIiiEEZZNS1_16scan_by_key_implILNS1_25lookback_scan_determinismE0ELb0ES3_N6thrust23THRUST_200600_302600_NS6detail15normal_iteratorINS9_10device_ptrIiEEEESE_SE_iNS9_4plusIvEENS9_8equal_toIvEEiEE10hipError_tPvRmT2_T3_T4_T5_mT6_T7_P12ihipStream_tbENKUlT_T0_E_clISt17integral_constantIbLb1EESZ_EEDaSU_SV_EUlSU_E_NS1_11comp_targetILNS1_3genE9ELNS1_11target_archE1100ELNS1_3gpuE3ELNS1_3repE0EEENS1_30default_config_static_selectorELNS0_4arch9wavefront6targetE0EEEvT1_.has_indirect_call, 0
	.section	.AMDGPU.csdata,"",@progbits
; Kernel info:
; codeLenInByte = 0
; TotalNumSgprs: 0
; NumVgprs: 0
; ScratchSize: 0
; MemoryBound: 0
; FloatMode: 240
; IeeeMode: 1
; LDSByteSize: 0 bytes/workgroup (compile time only)
; SGPRBlocks: 0
; VGPRBlocks: 0
; NumSGPRsForWavesPerEU: 1
; NumVGPRsForWavesPerEU: 1
; Occupancy: 16
; WaveLimiterHint : 0
; COMPUTE_PGM_RSRC2:SCRATCH_EN: 0
; COMPUTE_PGM_RSRC2:USER_SGPR: 6
; COMPUTE_PGM_RSRC2:TRAP_HANDLER: 0
; COMPUTE_PGM_RSRC2:TGID_X_EN: 1
; COMPUTE_PGM_RSRC2:TGID_Y_EN: 0
; COMPUTE_PGM_RSRC2:TGID_Z_EN: 0
; COMPUTE_PGM_RSRC2:TIDIG_COMP_CNT: 0
	.section	.text._ZN7rocprim17ROCPRIM_400000_NS6detail17trampoline_kernelINS0_14default_configENS1_27scan_by_key_config_selectorIiiEEZZNS1_16scan_by_key_implILNS1_25lookback_scan_determinismE0ELb0ES3_N6thrust23THRUST_200600_302600_NS6detail15normal_iteratorINS9_10device_ptrIiEEEESE_SE_iNS9_4plusIvEENS9_8equal_toIvEEiEE10hipError_tPvRmT2_T3_T4_T5_mT6_T7_P12ihipStream_tbENKUlT_T0_E_clISt17integral_constantIbLb1EESZ_EEDaSU_SV_EUlSU_E_NS1_11comp_targetILNS1_3genE8ELNS1_11target_archE1030ELNS1_3gpuE2ELNS1_3repE0EEENS1_30default_config_static_selectorELNS0_4arch9wavefront6targetE0EEEvT1_,"axG",@progbits,_ZN7rocprim17ROCPRIM_400000_NS6detail17trampoline_kernelINS0_14default_configENS1_27scan_by_key_config_selectorIiiEEZZNS1_16scan_by_key_implILNS1_25lookback_scan_determinismE0ELb0ES3_N6thrust23THRUST_200600_302600_NS6detail15normal_iteratorINS9_10device_ptrIiEEEESE_SE_iNS9_4plusIvEENS9_8equal_toIvEEiEE10hipError_tPvRmT2_T3_T4_T5_mT6_T7_P12ihipStream_tbENKUlT_T0_E_clISt17integral_constantIbLb1EESZ_EEDaSU_SV_EUlSU_E_NS1_11comp_targetILNS1_3genE8ELNS1_11target_archE1030ELNS1_3gpuE2ELNS1_3repE0EEENS1_30default_config_static_selectorELNS0_4arch9wavefront6targetE0EEEvT1_,comdat
	.protected	_ZN7rocprim17ROCPRIM_400000_NS6detail17trampoline_kernelINS0_14default_configENS1_27scan_by_key_config_selectorIiiEEZZNS1_16scan_by_key_implILNS1_25lookback_scan_determinismE0ELb0ES3_N6thrust23THRUST_200600_302600_NS6detail15normal_iteratorINS9_10device_ptrIiEEEESE_SE_iNS9_4plusIvEENS9_8equal_toIvEEiEE10hipError_tPvRmT2_T3_T4_T5_mT6_T7_P12ihipStream_tbENKUlT_T0_E_clISt17integral_constantIbLb1EESZ_EEDaSU_SV_EUlSU_E_NS1_11comp_targetILNS1_3genE8ELNS1_11target_archE1030ELNS1_3gpuE2ELNS1_3repE0EEENS1_30default_config_static_selectorELNS0_4arch9wavefront6targetE0EEEvT1_ ; -- Begin function _ZN7rocprim17ROCPRIM_400000_NS6detail17trampoline_kernelINS0_14default_configENS1_27scan_by_key_config_selectorIiiEEZZNS1_16scan_by_key_implILNS1_25lookback_scan_determinismE0ELb0ES3_N6thrust23THRUST_200600_302600_NS6detail15normal_iteratorINS9_10device_ptrIiEEEESE_SE_iNS9_4plusIvEENS9_8equal_toIvEEiEE10hipError_tPvRmT2_T3_T4_T5_mT6_T7_P12ihipStream_tbENKUlT_T0_E_clISt17integral_constantIbLb1EESZ_EEDaSU_SV_EUlSU_E_NS1_11comp_targetILNS1_3genE8ELNS1_11target_archE1030ELNS1_3gpuE2ELNS1_3repE0EEENS1_30default_config_static_selectorELNS0_4arch9wavefront6targetE0EEEvT1_
	.globl	_ZN7rocprim17ROCPRIM_400000_NS6detail17trampoline_kernelINS0_14default_configENS1_27scan_by_key_config_selectorIiiEEZZNS1_16scan_by_key_implILNS1_25lookback_scan_determinismE0ELb0ES3_N6thrust23THRUST_200600_302600_NS6detail15normal_iteratorINS9_10device_ptrIiEEEESE_SE_iNS9_4plusIvEENS9_8equal_toIvEEiEE10hipError_tPvRmT2_T3_T4_T5_mT6_T7_P12ihipStream_tbENKUlT_T0_E_clISt17integral_constantIbLb1EESZ_EEDaSU_SV_EUlSU_E_NS1_11comp_targetILNS1_3genE8ELNS1_11target_archE1030ELNS1_3gpuE2ELNS1_3repE0EEENS1_30default_config_static_selectorELNS0_4arch9wavefront6targetE0EEEvT1_
	.p2align	8
	.type	_ZN7rocprim17ROCPRIM_400000_NS6detail17trampoline_kernelINS0_14default_configENS1_27scan_by_key_config_selectorIiiEEZZNS1_16scan_by_key_implILNS1_25lookback_scan_determinismE0ELb0ES3_N6thrust23THRUST_200600_302600_NS6detail15normal_iteratorINS9_10device_ptrIiEEEESE_SE_iNS9_4plusIvEENS9_8equal_toIvEEiEE10hipError_tPvRmT2_T3_T4_T5_mT6_T7_P12ihipStream_tbENKUlT_T0_E_clISt17integral_constantIbLb1EESZ_EEDaSU_SV_EUlSU_E_NS1_11comp_targetILNS1_3genE8ELNS1_11target_archE1030ELNS1_3gpuE2ELNS1_3repE0EEENS1_30default_config_static_selectorELNS0_4arch9wavefront6targetE0EEEvT1_,@function
_ZN7rocprim17ROCPRIM_400000_NS6detail17trampoline_kernelINS0_14default_configENS1_27scan_by_key_config_selectorIiiEEZZNS1_16scan_by_key_implILNS1_25lookback_scan_determinismE0ELb0ES3_N6thrust23THRUST_200600_302600_NS6detail15normal_iteratorINS9_10device_ptrIiEEEESE_SE_iNS9_4plusIvEENS9_8equal_toIvEEiEE10hipError_tPvRmT2_T3_T4_T5_mT6_T7_P12ihipStream_tbENKUlT_T0_E_clISt17integral_constantIbLb1EESZ_EEDaSU_SV_EUlSU_E_NS1_11comp_targetILNS1_3genE8ELNS1_11target_archE1030ELNS1_3gpuE2ELNS1_3repE0EEENS1_30default_config_static_selectorELNS0_4arch9wavefront6targetE0EEEvT1_: ; @_ZN7rocprim17ROCPRIM_400000_NS6detail17trampoline_kernelINS0_14default_configENS1_27scan_by_key_config_selectorIiiEEZZNS1_16scan_by_key_implILNS1_25lookback_scan_determinismE0ELb0ES3_N6thrust23THRUST_200600_302600_NS6detail15normal_iteratorINS9_10device_ptrIiEEEESE_SE_iNS9_4plusIvEENS9_8equal_toIvEEiEE10hipError_tPvRmT2_T3_T4_T5_mT6_T7_P12ihipStream_tbENKUlT_T0_E_clISt17integral_constantIbLb1EESZ_EEDaSU_SV_EUlSU_E_NS1_11comp_targetILNS1_3genE8ELNS1_11target_archE1030ELNS1_3gpuE2ELNS1_3repE0EEENS1_30default_config_static_selectorELNS0_4arch9wavefront6targetE0EEEvT1_
; %bb.0:
	s_endpgm
	.section	.rodata,"a",@progbits
	.p2align	6, 0x0
	.amdhsa_kernel _ZN7rocprim17ROCPRIM_400000_NS6detail17trampoline_kernelINS0_14default_configENS1_27scan_by_key_config_selectorIiiEEZZNS1_16scan_by_key_implILNS1_25lookback_scan_determinismE0ELb0ES3_N6thrust23THRUST_200600_302600_NS6detail15normal_iteratorINS9_10device_ptrIiEEEESE_SE_iNS9_4plusIvEENS9_8equal_toIvEEiEE10hipError_tPvRmT2_T3_T4_T5_mT6_T7_P12ihipStream_tbENKUlT_T0_E_clISt17integral_constantIbLb1EESZ_EEDaSU_SV_EUlSU_E_NS1_11comp_targetILNS1_3genE8ELNS1_11target_archE1030ELNS1_3gpuE2ELNS1_3repE0EEENS1_30default_config_static_selectorELNS0_4arch9wavefront6targetE0EEEvT1_
		.amdhsa_group_segment_fixed_size 0
		.amdhsa_private_segment_fixed_size 0
		.amdhsa_kernarg_size 112
		.amdhsa_user_sgpr_count 6
		.amdhsa_user_sgpr_private_segment_buffer 1
		.amdhsa_user_sgpr_dispatch_ptr 0
		.amdhsa_user_sgpr_queue_ptr 0
		.amdhsa_user_sgpr_kernarg_segment_ptr 1
		.amdhsa_user_sgpr_dispatch_id 0
		.amdhsa_user_sgpr_flat_scratch_init 0
		.amdhsa_user_sgpr_private_segment_size 0
		.amdhsa_wavefront_size32 1
		.amdhsa_uses_dynamic_stack 0
		.amdhsa_system_sgpr_private_segment_wavefront_offset 0
		.amdhsa_system_sgpr_workgroup_id_x 1
		.amdhsa_system_sgpr_workgroup_id_y 0
		.amdhsa_system_sgpr_workgroup_id_z 0
		.amdhsa_system_sgpr_workgroup_info 0
		.amdhsa_system_vgpr_workitem_id 0
		.amdhsa_next_free_vgpr 1
		.amdhsa_next_free_sgpr 1
		.amdhsa_reserve_vcc 0
		.amdhsa_reserve_flat_scratch 0
		.amdhsa_float_round_mode_32 0
		.amdhsa_float_round_mode_16_64 0
		.amdhsa_float_denorm_mode_32 3
		.amdhsa_float_denorm_mode_16_64 3
		.amdhsa_dx10_clamp 1
		.amdhsa_ieee_mode 1
		.amdhsa_fp16_overflow 0
		.amdhsa_workgroup_processor_mode 1
		.amdhsa_memory_ordered 1
		.amdhsa_forward_progress 1
		.amdhsa_shared_vgpr_count 0
		.amdhsa_exception_fp_ieee_invalid_op 0
		.amdhsa_exception_fp_denorm_src 0
		.amdhsa_exception_fp_ieee_div_zero 0
		.amdhsa_exception_fp_ieee_overflow 0
		.amdhsa_exception_fp_ieee_underflow 0
		.amdhsa_exception_fp_ieee_inexact 0
		.amdhsa_exception_int_div_zero 0
	.end_amdhsa_kernel
	.section	.text._ZN7rocprim17ROCPRIM_400000_NS6detail17trampoline_kernelINS0_14default_configENS1_27scan_by_key_config_selectorIiiEEZZNS1_16scan_by_key_implILNS1_25lookback_scan_determinismE0ELb0ES3_N6thrust23THRUST_200600_302600_NS6detail15normal_iteratorINS9_10device_ptrIiEEEESE_SE_iNS9_4plusIvEENS9_8equal_toIvEEiEE10hipError_tPvRmT2_T3_T4_T5_mT6_T7_P12ihipStream_tbENKUlT_T0_E_clISt17integral_constantIbLb1EESZ_EEDaSU_SV_EUlSU_E_NS1_11comp_targetILNS1_3genE8ELNS1_11target_archE1030ELNS1_3gpuE2ELNS1_3repE0EEENS1_30default_config_static_selectorELNS0_4arch9wavefront6targetE0EEEvT1_,"axG",@progbits,_ZN7rocprim17ROCPRIM_400000_NS6detail17trampoline_kernelINS0_14default_configENS1_27scan_by_key_config_selectorIiiEEZZNS1_16scan_by_key_implILNS1_25lookback_scan_determinismE0ELb0ES3_N6thrust23THRUST_200600_302600_NS6detail15normal_iteratorINS9_10device_ptrIiEEEESE_SE_iNS9_4plusIvEENS9_8equal_toIvEEiEE10hipError_tPvRmT2_T3_T4_T5_mT6_T7_P12ihipStream_tbENKUlT_T0_E_clISt17integral_constantIbLb1EESZ_EEDaSU_SV_EUlSU_E_NS1_11comp_targetILNS1_3genE8ELNS1_11target_archE1030ELNS1_3gpuE2ELNS1_3repE0EEENS1_30default_config_static_selectorELNS0_4arch9wavefront6targetE0EEEvT1_,comdat
.Lfunc_end141:
	.size	_ZN7rocprim17ROCPRIM_400000_NS6detail17trampoline_kernelINS0_14default_configENS1_27scan_by_key_config_selectorIiiEEZZNS1_16scan_by_key_implILNS1_25lookback_scan_determinismE0ELb0ES3_N6thrust23THRUST_200600_302600_NS6detail15normal_iteratorINS9_10device_ptrIiEEEESE_SE_iNS9_4plusIvEENS9_8equal_toIvEEiEE10hipError_tPvRmT2_T3_T4_T5_mT6_T7_P12ihipStream_tbENKUlT_T0_E_clISt17integral_constantIbLb1EESZ_EEDaSU_SV_EUlSU_E_NS1_11comp_targetILNS1_3genE8ELNS1_11target_archE1030ELNS1_3gpuE2ELNS1_3repE0EEENS1_30default_config_static_selectorELNS0_4arch9wavefront6targetE0EEEvT1_, .Lfunc_end141-_ZN7rocprim17ROCPRIM_400000_NS6detail17trampoline_kernelINS0_14default_configENS1_27scan_by_key_config_selectorIiiEEZZNS1_16scan_by_key_implILNS1_25lookback_scan_determinismE0ELb0ES3_N6thrust23THRUST_200600_302600_NS6detail15normal_iteratorINS9_10device_ptrIiEEEESE_SE_iNS9_4plusIvEENS9_8equal_toIvEEiEE10hipError_tPvRmT2_T3_T4_T5_mT6_T7_P12ihipStream_tbENKUlT_T0_E_clISt17integral_constantIbLb1EESZ_EEDaSU_SV_EUlSU_E_NS1_11comp_targetILNS1_3genE8ELNS1_11target_archE1030ELNS1_3gpuE2ELNS1_3repE0EEENS1_30default_config_static_selectorELNS0_4arch9wavefront6targetE0EEEvT1_
                                        ; -- End function
	.set _ZN7rocprim17ROCPRIM_400000_NS6detail17trampoline_kernelINS0_14default_configENS1_27scan_by_key_config_selectorIiiEEZZNS1_16scan_by_key_implILNS1_25lookback_scan_determinismE0ELb0ES3_N6thrust23THRUST_200600_302600_NS6detail15normal_iteratorINS9_10device_ptrIiEEEESE_SE_iNS9_4plusIvEENS9_8equal_toIvEEiEE10hipError_tPvRmT2_T3_T4_T5_mT6_T7_P12ihipStream_tbENKUlT_T0_E_clISt17integral_constantIbLb1EESZ_EEDaSU_SV_EUlSU_E_NS1_11comp_targetILNS1_3genE8ELNS1_11target_archE1030ELNS1_3gpuE2ELNS1_3repE0EEENS1_30default_config_static_selectorELNS0_4arch9wavefront6targetE0EEEvT1_.num_vgpr, 0
	.set _ZN7rocprim17ROCPRIM_400000_NS6detail17trampoline_kernelINS0_14default_configENS1_27scan_by_key_config_selectorIiiEEZZNS1_16scan_by_key_implILNS1_25lookback_scan_determinismE0ELb0ES3_N6thrust23THRUST_200600_302600_NS6detail15normal_iteratorINS9_10device_ptrIiEEEESE_SE_iNS9_4plusIvEENS9_8equal_toIvEEiEE10hipError_tPvRmT2_T3_T4_T5_mT6_T7_P12ihipStream_tbENKUlT_T0_E_clISt17integral_constantIbLb1EESZ_EEDaSU_SV_EUlSU_E_NS1_11comp_targetILNS1_3genE8ELNS1_11target_archE1030ELNS1_3gpuE2ELNS1_3repE0EEENS1_30default_config_static_selectorELNS0_4arch9wavefront6targetE0EEEvT1_.num_agpr, 0
	.set _ZN7rocprim17ROCPRIM_400000_NS6detail17trampoline_kernelINS0_14default_configENS1_27scan_by_key_config_selectorIiiEEZZNS1_16scan_by_key_implILNS1_25lookback_scan_determinismE0ELb0ES3_N6thrust23THRUST_200600_302600_NS6detail15normal_iteratorINS9_10device_ptrIiEEEESE_SE_iNS9_4plusIvEENS9_8equal_toIvEEiEE10hipError_tPvRmT2_T3_T4_T5_mT6_T7_P12ihipStream_tbENKUlT_T0_E_clISt17integral_constantIbLb1EESZ_EEDaSU_SV_EUlSU_E_NS1_11comp_targetILNS1_3genE8ELNS1_11target_archE1030ELNS1_3gpuE2ELNS1_3repE0EEENS1_30default_config_static_selectorELNS0_4arch9wavefront6targetE0EEEvT1_.numbered_sgpr, 0
	.set _ZN7rocprim17ROCPRIM_400000_NS6detail17trampoline_kernelINS0_14default_configENS1_27scan_by_key_config_selectorIiiEEZZNS1_16scan_by_key_implILNS1_25lookback_scan_determinismE0ELb0ES3_N6thrust23THRUST_200600_302600_NS6detail15normal_iteratorINS9_10device_ptrIiEEEESE_SE_iNS9_4plusIvEENS9_8equal_toIvEEiEE10hipError_tPvRmT2_T3_T4_T5_mT6_T7_P12ihipStream_tbENKUlT_T0_E_clISt17integral_constantIbLb1EESZ_EEDaSU_SV_EUlSU_E_NS1_11comp_targetILNS1_3genE8ELNS1_11target_archE1030ELNS1_3gpuE2ELNS1_3repE0EEENS1_30default_config_static_selectorELNS0_4arch9wavefront6targetE0EEEvT1_.num_named_barrier, 0
	.set _ZN7rocprim17ROCPRIM_400000_NS6detail17trampoline_kernelINS0_14default_configENS1_27scan_by_key_config_selectorIiiEEZZNS1_16scan_by_key_implILNS1_25lookback_scan_determinismE0ELb0ES3_N6thrust23THRUST_200600_302600_NS6detail15normal_iteratorINS9_10device_ptrIiEEEESE_SE_iNS9_4plusIvEENS9_8equal_toIvEEiEE10hipError_tPvRmT2_T3_T4_T5_mT6_T7_P12ihipStream_tbENKUlT_T0_E_clISt17integral_constantIbLb1EESZ_EEDaSU_SV_EUlSU_E_NS1_11comp_targetILNS1_3genE8ELNS1_11target_archE1030ELNS1_3gpuE2ELNS1_3repE0EEENS1_30default_config_static_selectorELNS0_4arch9wavefront6targetE0EEEvT1_.private_seg_size, 0
	.set _ZN7rocprim17ROCPRIM_400000_NS6detail17trampoline_kernelINS0_14default_configENS1_27scan_by_key_config_selectorIiiEEZZNS1_16scan_by_key_implILNS1_25lookback_scan_determinismE0ELb0ES3_N6thrust23THRUST_200600_302600_NS6detail15normal_iteratorINS9_10device_ptrIiEEEESE_SE_iNS9_4plusIvEENS9_8equal_toIvEEiEE10hipError_tPvRmT2_T3_T4_T5_mT6_T7_P12ihipStream_tbENKUlT_T0_E_clISt17integral_constantIbLb1EESZ_EEDaSU_SV_EUlSU_E_NS1_11comp_targetILNS1_3genE8ELNS1_11target_archE1030ELNS1_3gpuE2ELNS1_3repE0EEENS1_30default_config_static_selectorELNS0_4arch9wavefront6targetE0EEEvT1_.uses_vcc, 0
	.set _ZN7rocprim17ROCPRIM_400000_NS6detail17trampoline_kernelINS0_14default_configENS1_27scan_by_key_config_selectorIiiEEZZNS1_16scan_by_key_implILNS1_25lookback_scan_determinismE0ELb0ES3_N6thrust23THRUST_200600_302600_NS6detail15normal_iteratorINS9_10device_ptrIiEEEESE_SE_iNS9_4plusIvEENS9_8equal_toIvEEiEE10hipError_tPvRmT2_T3_T4_T5_mT6_T7_P12ihipStream_tbENKUlT_T0_E_clISt17integral_constantIbLb1EESZ_EEDaSU_SV_EUlSU_E_NS1_11comp_targetILNS1_3genE8ELNS1_11target_archE1030ELNS1_3gpuE2ELNS1_3repE0EEENS1_30default_config_static_selectorELNS0_4arch9wavefront6targetE0EEEvT1_.uses_flat_scratch, 0
	.set _ZN7rocprim17ROCPRIM_400000_NS6detail17trampoline_kernelINS0_14default_configENS1_27scan_by_key_config_selectorIiiEEZZNS1_16scan_by_key_implILNS1_25lookback_scan_determinismE0ELb0ES3_N6thrust23THRUST_200600_302600_NS6detail15normal_iteratorINS9_10device_ptrIiEEEESE_SE_iNS9_4plusIvEENS9_8equal_toIvEEiEE10hipError_tPvRmT2_T3_T4_T5_mT6_T7_P12ihipStream_tbENKUlT_T0_E_clISt17integral_constantIbLb1EESZ_EEDaSU_SV_EUlSU_E_NS1_11comp_targetILNS1_3genE8ELNS1_11target_archE1030ELNS1_3gpuE2ELNS1_3repE0EEENS1_30default_config_static_selectorELNS0_4arch9wavefront6targetE0EEEvT1_.has_dyn_sized_stack, 0
	.set _ZN7rocprim17ROCPRIM_400000_NS6detail17trampoline_kernelINS0_14default_configENS1_27scan_by_key_config_selectorIiiEEZZNS1_16scan_by_key_implILNS1_25lookback_scan_determinismE0ELb0ES3_N6thrust23THRUST_200600_302600_NS6detail15normal_iteratorINS9_10device_ptrIiEEEESE_SE_iNS9_4plusIvEENS9_8equal_toIvEEiEE10hipError_tPvRmT2_T3_T4_T5_mT6_T7_P12ihipStream_tbENKUlT_T0_E_clISt17integral_constantIbLb1EESZ_EEDaSU_SV_EUlSU_E_NS1_11comp_targetILNS1_3genE8ELNS1_11target_archE1030ELNS1_3gpuE2ELNS1_3repE0EEENS1_30default_config_static_selectorELNS0_4arch9wavefront6targetE0EEEvT1_.has_recursion, 0
	.set _ZN7rocprim17ROCPRIM_400000_NS6detail17trampoline_kernelINS0_14default_configENS1_27scan_by_key_config_selectorIiiEEZZNS1_16scan_by_key_implILNS1_25lookback_scan_determinismE0ELb0ES3_N6thrust23THRUST_200600_302600_NS6detail15normal_iteratorINS9_10device_ptrIiEEEESE_SE_iNS9_4plusIvEENS9_8equal_toIvEEiEE10hipError_tPvRmT2_T3_T4_T5_mT6_T7_P12ihipStream_tbENKUlT_T0_E_clISt17integral_constantIbLb1EESZ_EEDaSU_SV_EUlSU_E_NS1_11comp_targetILNS1_3genE8ELNS1_11target_archE1030ELNS1_3gpuE2ELNS1_3repE0EEENS1_30default_config_static_selectorELNS0_4arch9wavefront6targetE0EEEvT1_.has_indirect_call, 0
	.section	.AMDGPU.csdata,"",@progbits
; Kernel info:
; codeLenInByte = 4
; TotalNumSgprs: 0
; NumVgprs: 0
; ScratchSize: 0
; MemoryBound: 0
; FloatMode: 240
; IeeeMode: 1
; LDSByteSize: 0 bytes/workgroup (compile time only)
; SGPRBlocks: 0
; VGPRBlocks: 0
; NumSGPRsForWavesPerEU: 1
; NumVGPRsForWavesPerEU: 1
; Occupancy: 16
; WaveLimiterHint : 0
; COMPUTE_PGM_RSRC2:SCRATCH_EN: 0
; COMPUTE_PGM_RSRC2:USER_SGPR: 6
; COMPUTE_PGM_RSRC2:TRAP_HANDLER: 0
; COMPUTE_PGM_RSRC2:TGID_X_EN: 1
; COMPUTE_PGM_RSRC2:TGID_Y_EN: 0
; COMPUTE_PGM_RSRC2:TGID_Z_EN: 0
; COMPUTE_PGM_RSRC2:TIDIG_COMP_CNT: 0
	.section	.text._ZN7rocprim17ROCPRIM_400000_NS6detail30init_device_scan_by_key_kernelINS1_19lookback_scan_stateINS0_5tupleIJibEEELb1ELb1EEEN6thrust23THRUST_200600_302600_NS6detail15normal_iteratorINS8_10device_ptrIiEEEEjNS1_16block_id_wrapperIjLb0EEEEEvT_jjPNSG_10value_typeET0_PNSt15iterator_traitsISJ_E10value_typeEmT1_T2_,"axG",@progbits,_ZN7rocprim17ROCPRIM_400000_NS6detail30init_device_scan_by_key_kernelINS1_19lookback_scan_stateINS0_5tupleIJibEEELb1ELb1EEEN6thrust23THRUST_200600_302600_NS6detail15normal_iteratorINS8_10device_ptrIiEEEEjNS1_16block_id_wrapperIjLb0EEEEEvT_jjPNSG_10value_typeET0_PNSt15iterator_traitsISJ_E10value_typeEmT1_T2_,comdat
	.protected	_ZN7rocprim17ROCPRIM_400000_NS6detail30init_device_scan_by_key_kernelINS1_19lookback_scan_stateINS0_5tupleIJibEEELb1ELb1EEEN6thrust23THRUST_200600_302600_NS6detail15normal_iteratorINS8_10device_ptrIiEEEEjNS1_16block_id_wrapperIjLb0EEEEEvT_jjPNSG_10value_typeET0_PNSt15iterator_traitsISJ_E10value_typeEmT1_T2_ ; -- Begin function _ZN7rocprim17ROCPRIM_400000_NS6detail30init_device_scan_by_key_kernelINS1_19lookback_scan_stateINS0_5tupleIJibEEELb1ELb1EEEN6thrust23THRUST_200600_302600_NS6detail15normal_iteratorINS8_10device_ptrIiEEEEjNS1_16block_id_wrapperIjLb0EEEEEvT_jjPNSG_10value_typeET0_PNSt15iterator_traitsISJ_E10value_typeEmT1_T2_
	.globl	_ZN7rocprim17ROCPRIM_400000_NS6detail30init_device_scan_by_key_kernelINS1_19lookback_scan_stateINS0_5tupleIJibEEELb1ELb1EEEN6thrust23THRUST_200600_302600_NS6detail15normal_iteratorINS8_10device_ptrIiEEEEjNS1_16block_id_wrapperIjLb0EEEEEvT_jjPNSG_10value_typeET0_PNSt15iterator_traitsISJ_E10value_typeEmT1_T2_
	.p2align	8
	.type	_ZN7rocprim17ROCPRIM_400000_NS6detail30init_device_scan_by_key_kernelINS1_19lookback_scan_stateINS0_5tupleIJibEEELb1ELb1EEEN6thrust23THRUST_200600_302600_NS6detail15normal_iteratorINS8_10device_ptrIiEEEEjNS1_16block_id_wrapperIjLb0EEEEEvT_jjPNSG_10value_typeET0_PNSt15iterator_traitsISJ_E10value_typeEmT1_T2_,@function
_ZN7rocprim17ROCPRIM_400000_NS6detail30init_device_scan_by_key_kernelINS1_19lookback_scan_stateINS0_5tupleIJibEEELb1ELb1EEEN6thrust23THRUST_200600_302600_NS6detail15normal_iteratorINS8_10device_ptrIiEEEEjNS1_16block_id_wrapperIjLb0EEEEEvT_jjPNSG_10value_typeET0_PNSt15iterator_traitsISJ_E10value_typeEmT1_T2_: ; @_ZN7rocprim17ROCPRIM_400000_NS6detail30init_device_scan_by_key_kernelINS1_19lookback_scan_stateINS0_5tupleIJibEEELb1ELb1EEEN6thrust23THRUST_200600_302600_NS6detail15normal_iteratorINS8_10device_ptrIiEEEEjNS1_16block_id_wrapperIjLb0EEEEEvT_jjPNSG_10value_typeET0_PNSt15iterator_traitsISJ_E10value_typeEmT1_T2_
; %bb.0:
	s_clause 0x2
	s_load_dword s0, s[4:5], 0x44
	s_load_dwordx8 s[8:15], s[4:5], 0x0
	s_load_dword s7, s[4:5], 0x38
	s_waitcnt lgkmcnt(0)
	s_and_b32 s16, s0, 0xffff
	s_cmp_eq_u64 s[12:13], 0
	v_mad_u64_u32 v[4:5], null, s6, s16, v[0:1]
	s_cbranch_scc1 .LBB142_10
; %bb.1:
	s_cmp_lt_u32 s11, s10
	s_mov_b32 s1, 0
	s_cselect_b32 s0, s11, 0
	s_mov_b32 s2, exec_lo
	v_cmpx_eq_u32_e64 s0, v4
	s_cbranch_execz .LBB142_9
; %bb.2:
	s_add_i32 s0, s11, 32
	v_mov_b32_e32 v6, 0
	s_lshl_b64 s[0:1], s[0:1], 4
	s_mov_b32 s3, exec_lo
	s_add_u32 s0, s8, s0
	s_addc_u32 s1, s9, s1
	v_mov_b32_e32 v0, s0
	v_mov_b32_e32 v1, s1
	;;#ASMSTART
	global_load_dwordx4 v[0:3], v[0:1] off glc dlc	
s_waitcnt vmcnt(0)
	;;#ASMEND
	v_and_b32_e32 v5, 0xff, v2
	v_cmpx_eq_u64_e32 0, v[5:6]
	s_cbranch_execz .LBB142_8
; %bb.3:
	v_mov_b32_e32 v8, s1
	v_mov_b32_e32 v7, s0
	s_mov_b32 s1, 1
	s_mov_b32 s0, 0
	.p2align	6
.LBB142_4:                              ; =>This Loop Header: Depth=1
                                        ;     Child Loop BB142_5 Depth 2
	s_mov_b32 s6, s1
.LBB142_5:                              ;   Parent Loop BB142_4 Depth=1
                                        ; =>  This Inner Loop Header: Depth=2
	s_add_i32 s6, s6, -1
	s_sleep 1
	s_cmp_eq_u32 s6, 0
	s_cbranch_scc0 .LBB142_5
; %bb.6:                                ;   in Loop: Header=BB142_4 Depth=1
	;;#ASMSTART
	global_load_dwordx4 v[0:3], v[7:8] off glc dlc	
s_waitcnt vmcnt(0)
	;;#ASMEND
	v_and_b32_e32 v5, 0xff, v2
	s_cmp_lt_u32 s1, 32
	s_cselect_b32 s6, -1, 0
	v_cmp_ne_u64_e32 vcc_lo, 0, v[5:6]
	s_cmp_lg_u32 s6, 0
	s_addc_u32 s1, s1, 0
	s_or_b32 s0, vcc_lo, s0
	s_andn2_b32 exec_lo, exec_lo, s0
	s_cbranch_execnz .LBB142_4
; %bb.7:
	s_or_b32 exec_lo, exec_lo, s0
.LBB142_8:
	s_or_b32 exec_lo, exec_lo, s3
	v_mov_b32_e32 v2, 0
	global_store_dword v2, v0, s[12:13]
	global_store_byte v2, v1, s[12:13] offset:4
.LBB142_9:
	s_or_b32 exec_lo, exec_lo, s2
.LBB142_10:
	s_mov_b32 s0, exec_lo
	v_cmpx_gt_u32_e64 s10, v4
	s_cbranch_execz .LBB142_12
; %bb.11:
	v_add_nc_u32_e32 v0, 32, v4
	v_mov_b32_e32 v1, 0
	v_lshlrev_b64 v[5:6], 4, v[0:1]
	v_mov_b32_e32 v0, v1
	v_mov_b32_e32 v2, v1
	;; [unrolled: 1-line block ×3, first 2 shown]
	v_add_co_u32 v5, vcc_lo, s8, v5
	v_add_co_ci_u32_e64 v6, null, s9, v6, vcc_lo
	global_store_dwordx4 v[5:6], v[0:3], off
.LBB142_12:
	s_or_b32 exec_lo, exec_lo, s0
	v_mov_b32_e32 v5, 0
	s_mov_b32 s0, exec_lo
	v_cmpx_gt_u32_e32 32, v4
	s_cbranch_execz .LBB142_14
; %bb.13:
	v_lshlrev_b64 v[6:7], 4, v[4:5]
	v_mov_b32_e32 v2, 0xff
	v_mov_b32_e32 v0, v5
	;; [unrolled: 1-line block ×4, first 2 shown]
	v_add_co_u32 v6, vcc_lo, s8, v6
	v_add_co_ci_u32_e64 v7, null, s9, v7, vcc_lo
	global_store_dwordx4 v[6:7], v[0:3], off
.LBB142_14:
	s_or_b32 exec_lo, exec_lo, s0
	s_load_dwordx2 s[2:3], s[4:5], 0x28
	s_mov_b32 s0, exec_lo
	s_waitcnt lgkmcnt(0)
	v_cmpx_gt_u64_e64 s[2:3], v[4:5]
	s_cbranch_execz .LBB142_17
; %bb.15:
	s_clause 0x1
	s_load_dword s6, s[4:5], 0x30
	s_load_dwordx2 s[8:9], s[4:5], 0x20
	s_mov_b32 s1, 0
	v_lshlrev_b64 v[2:3], 2, v[4:5]
	s_mul_i32 s4, s7, s16
	s_waitcnt lgkmcnt(0)
	v_mad_u64_u32 v[0:1], null, s6, v4, 0
	s_add_i32 s0, s6, -1
	s_mul_hi_u32 s7, s6, s4
	s_lshl_b64 s[10:11], s[0:1], 2
	s_mul_i32 s6, s6, s4
	s_add_u32 s0, s14, s10
	s_addc_u32 s5, s15, s11
	v_lshlrev_b64 v[0:1], 2, v[0:1]
	s_lshl_b64 s[6:7], s[6:7], 2
	v_add_co_u32 v0, vcc_lo, s0, v0
	v_add_co_ci_u32_e64 v1, null, s5, v1, vcc_lo
	v_add_co_u32 v2, vcc_lo, s8, v2
	v_add_co_ci_u32_e64 v3, null, s9, v3, vcc_lo
	s_mov_b32 s5, s1
	s_lshl_b64 s[8:9], s[4:5], 2
	.p2align	6
.LBB142_16:                             ; =>This Inner Loop Header: Depth=1
	global_load_dword v6, v[0:1], off
	v_add_co_u32 v4, vcc_lo, v4, s4
	v_add_co_ci_u32_e64 v5, null, 0, v5, vcc_lo
	v_add_co_u32 v0, vcc_lo, v0, s6
	v_add_co_ci_u32_e64 v1, null, s7, v1, vcc_lo
	v_cmp_le_u64_e32 vcc_lo, s[2:3], v[4:5]
	s_or_b32 s1, vcc_lo, s1
	s_waitcnt vmcnt(0)
	global_store_dword v[2:3], v6, off
	v_add_co_u32 v2, s0, v2, s8
	v_add_co_ci_u32_e64 v3, null, s9, v3, s0
	s_andn2_b32 exec_lo, exec_lo, s1
	s_cbranch_execnz .LBB142_16
.LBB142_17:
	s_endpgm
	.section	.rodata,"a",@progbits
	.p2align	6, 0x0
	.amdhsa_kernel _ZN7rocprim17ROCPRIM_400000_NS6detail30init_device_scan_by_key_kernelINS1_19lookback_scan_stateINS0_5tupleIJibEEELb1ELb1EEEN6thrust23THRUST_200600_302600_NS6detail15normal_iteratorINS8_10device_ptrIiEEEEjNS1_16block_id_wrapperIjLb0EEEEEvT_jjPNSG_10value_typeET0_PNSt15iterator_traitsISJ_E10value_typeEmT1_T2_
		.amdhsa_group_segment_fixed_size 0
		.amdhsa_private_segment_fixed_size 0
		.amdhsa_kernarg_size 312
		.amdhsa_user_sgpr_count 6
		.amdhsa_user_sgpr_private_segment_buffer 1
		.amdhsa_user_sgpr_dispatch_ptr 0
		.amdhsa_user_sgpr_queue_ptr 0
		.amdhsa_user_sgpr_kernarg_segment_ptr 1
		.amdhsa_user_sgpr_dispatch_id 0
		.amdhsa_user_sgpr_flat_scratch_init 0
		.amdhsa_user_sgpr_private_segment_size 0
		.amdhsa_wavefront_size32 1
		.amdhsa_uses_dynamic_stack 0
		.amdhsa_system_sgpr_private_segment_wavefront_offset 0
		.amdhsa_system_sgpr_workgroup_id_x 1
		.amdhsa_system_sgpr_workgroup_id_y 0
		.amdhsa_system_sgpr_workgroup_id_z 0
		.amdhsa_system_sgpr_workgroup_info 0
		.amdhsa_system_vgpr_workitem_id 0
		.amdhsa_next_free_vgpr 9
		.amdhsa_next_free_sgpr 17
		.amdhsa_reserve_vcc 1
		.amdhsa_reserve_flat_scratch 0
		.amdhsa_float_round_mode_32 0
		.amdhsa_float_round_mode_16_64 0
		.amdhsa_float_denorm_mode_32 3
		.amdhsa_float_denorm_mode_16_64 3
		.amdhsa_dx10_clamp 1
		.amdhsa_ieee_mode 1
		.amdhsa_fp16_overflow 0
		.amdhsa_workgroup_processor_mode 1
		.amdhsa_memory_ordered 1
		.amdhsa_forward_progress 1
		.amdhsa_shared_vgpr_count 0
		.amdhsa_exception_fp_ieee_invalid_op 0
		.amdhsa_exception_fp_denorm_src 0
		.amdhsa_exception_fp_ieee_div_zero 0
		.amdhsa_exception_fp_ieee_overflow 0
		.amdhsa_exception_fp_ieee_underflow 0
		.amdhsa_exception_fp_ieee_inexact 0
		.amdhsa_exception_int_div_zero 0
	.end_amdhsa_kernel
	.section	.text._ZN7rocprim17ROCPRIM_400000_NS6detail30init_device_scan_by_key_kernelINS1_19lookback_scan_stateINS0_5tupleIJibEEELb1ELb1EEEN6thrust23THRUST_200600_302600_NS6detail15normal_iteratorINS8_10device_ptrIiEEEEjNS1_16block_id_wrapperIjLb0EEEEEvT_jjPNSG_10value_typeET0_PNSt15iterator_traitsISJ_E10value_typeEmT1_T2_,"axG",@progbits,_ZN7rocprim17ROCPRIM_400000_NS6detail30init_device_scan_by_key_kernelINS1_19lookback_scan_stateINS0_5tupleIJibEEELb1ELb1EEEN6thrust23THRUST_200600_302600_NS6detail15normal_iteratorINS8_10device_ptrIiEEEEjNS1_16block_id_wrapperIjLb0EEEEEvT_jjPNSG_10value_typeET0_PNSt15iterator_traitsISJ_E10value_typeEmT1_T2_,comdat
.Lfunc_end142:
	.size	_ZN7rocprim17ROCPRIM_400000_NS6detail30init_device_scan_by_key_kernelINS1_19lookback_scan_stateINS0_5tupleIJibEEELb1ELb1EEEN6thrust23THRUST_200600_302600_NS6detail15normal_iteratorINS8_10device_ptrIiEEEEjNS1_16block_id_wrapperIjLb0EEEEEvT_jjPNSG_10value_typeET0_PNSt15iterator_traitsISJ_E10value_typeEmT1_T2_, .Lfunc_end142-_ZN7rocprim17ROCPRIM_400000_NS6detail30init_device_scan_by_key_kernelINS1_19lookback_scan_stateINS0_5tupleIJibEEELb1ELb1EEEN6thrust23THRUST_200600_302600_NS6detail15normal_iteratorINS8_10device_ptrIiEEEEjNS1_16block_id_wrapperIjLb0EEEEEvT_jjPNSG_10value_typeET0_PNSt15iterator_traitsISJ_E10value_typeEmT1_T2_
                                        ; -- End function
	.set _ZN7rocprim17ROCPRIM_400000_NS6detail30init_device_scan_by_key_kernelINS1_19lookback_scan_stateINS0_5tupleIJibEEELb1ELb1EEEN6thrust23THRUST_200600_302600_NS6detail15normal_iteratorINS8_10device_ptrIiEEEEjNS1_16block_id_wrapperIjLb0EEEEEvT_jjPNSG_10value_typeET0_PNSt15iterator_traitsISJ_E10value_typeEmT1_T2_.num_vgpr, 9
	.set _ZN7rocprim17ROCPRIM_400000_NS6detail30init_device_scan_by_key_kernelINS1_19lookback_scan_stateINS0_5tupleIJibEEELb1ELb1EEEN6thrust23THRUST_200600_302600_NS6detail15normal_iteratorINS8_10device_ptrIiEEEEjNS1_16block_id_wrapperIjLb0EEEEEvT_jjPNSG_10value_typeET0_PNSt15iterator_traitsISJ_E10value_typeEmT1_T2_.num_agpr, 0
	.set _ZN7rocprim17ROCPRIM_400000_NS6detail30init_device_scan_by_key_kernelINS1_19lookback_scan_stateINS0_5tupleIJibEEELb1ELb1EEEN6thrust23THRUST_200600_302600_NS6detail15normal_iteratorINS8_10device_ptrIiEEEEjNS1_16block_id_wrapperIjLb0EEEEEvT_jjPNSG_10value_typeET0_PNSt15iterator_traitsISJ_E10value_typeEmT1_T2_.numbered_sgpr, 17
	.set _ZN7rocprim17ROCPRIM_400000_NS6detail30init_device_scan_by_key_kernelINS1_19lookback_scan_stateINS0_5tupleIJibEEELb1ELb1EEEN6thrust23THRUST_200600_302600_NS6detail15normal_iteratorINS8_10device_ptrIiEEEEjNS1_16block_id_wrapperIjLb0EEEEEvT_jjPNSG_10value_typeET0_PNSt15iterator_traitsISJ_E10value_typeEmT1_T2_.num_named_barrier, 0
	.set _ZN7rocprim17ROCPRIM_400000_NS6detail30init_device_scan_by_key_kernelINS1_19lookback_scan_stateINS0_5tupleIJibEEELb1ELb1EEEN6thrust23THRUST_200600_302600_NS6detail15normal_iteratorINS8_10device_ptrIiEEEEjNS1_16block_id_wrapperIjLb0EEEEEvT_jjPNSG_10value_typeET0_PNSt15iterator_traitsISJ_E10value_typeEmT1_T2_.private_seg_size, 0
	.set _ZN7rocprim17ROCPRIM_400000_NS6detail30init_device_scan_by_key_kernelINS1_19lookback_scan_stateINS0_5tupleIJibEEELb1ELb1EEEN6thrust23THRUST_200600_302600_NS6detail15normal_iteratorINS8_10device_ptrIiEEEEjNS1_16block_id_wrapperIjLb0EEEEEvT_jjPNSG_10value_typeET0_PNSt15iterator_traitsISJ_E10value_typeEmT1_T2_.uses_vcc, 1
	.set _ZN7rocprim17ROCPRIM_400000_NS6detail30init_device_scan_by_key_kernelINS1_19lookback_scan_stateINS0_5tupleIJibEEELb1ELb1EEEN6thrust23THRUST_200600_302600_NS6detail15normal_iteratorINS8_10device_ptrIiEEEEjNS1_16block_id_wrapperIjLb0EEEEEvT_jjPNSG_10value_typeET0_PNSt15iterator_traitsISJ_E10value_typeEmT1_T2_.uses_flat_scratch, 0
	.set _ZN7rocprim17ROCPRIM_400000_NS6detail30init_device_scan_by_key_kernelINS1_19lookback_scan_stateINS0_5tupleIJibEEELb1ELb1EEEN6thrust23THRUST_200600_302600_NS6detail15normal_iteratorINS8_10device_ptrIiEEEEjNS1_16block_id_wrapperIjLb0EEEEEvT_jjPNSG_10value_typeET0_PNSt15iterator_traitsISJ_E10value_typeEmT1_T2_.has_dyn_sized_stack, 0
	.set _ZN7rocprim17ROCPRIM_400000_NS6detail30init_device_scan_by_key_kernelINS1_19lookback_scan_stateINS0_5tupleIJibEEELb1ELb1EEEN6thrust23THRUST_200600_302600_NS6detail15normal_iteratorINS8_10device_ptrIiEEEEjNS1_16block_id_wrapperIjLb0EEEEEvT_jjPNSG_10value_typeET0_PNSt15iterator_traitsISJ_E10value_typeEmT1_T2_.has_recursion, 0
	.set _ZN7rocprim17ROCPRIM_400000_NS6detail30init_device_scan_by_key_kernelINS1_19lookback_scan_stateINS0_5tupleIJibEEELb1ELb1EEEN6thrust23THRUST_200600_302600_NS6detail15normal_iteratorINS8_10device_ptrIiEEEEjNS1_16block_id_wrapperIjLb0EEEEEvT_jjPNSG_10value_typeET0_PNSt15iterator_traitsISJ_E10value_typeEmT1_T2_.has_indirect_call, 0
	.section	.AMDGPU.csdata,"",@progbits
; Kernel info:
; codeLenInByte = 728
; TotalNumSgprs: 19
; NumVgprs: 9
; ScratchSize: 0
; MemoryBound: 0
; FloatMode: 240
; IeeeMode: 1
; LDSByteSize: 0 bytes/workgroup (compile time only)
; SGPRBlocks: 0
; VGPRBlocks: 1
; NumSGPRsForWavesPerEU: 19
; NumVGPRsForWavesPerEU: 9
; Occupancy: 16
; WaveLimiterHint : 0
; COMPUTE_PGM_RSRC2:SCRATCH_EN: 0
; COMPUTE_PGM_RSRC2:USER_SGPR: 6
; COMPUTE_PGM_RSRC2:TRAP_HANDLER: 0
; COMPUTE_PGM_RSRC2:TGID_X_EN: 1
; COMPUTE_PGM_RSRC2:TGID_Y_EN: 0
; COMPUTE_PGM_RSRC2:TGID_Z_EN: 0
; COMPUTE_PGM_RSRC2:TIDIG_COMP_CNT: 0
	.section	.text._ZN7rocprim17ROCPRIM_400000_NS6detail30init_device_scan_by_key_kernelINS1_19lookback_scan_stateINS0_5tupleIJibEEELb1ELb1EEENS1_16block_id_wrapperIjLb0EEEEEvT_jjPNS9_10value_typeET0_,"axG",@progbits,_ZN7rocprim17ROCPRIM_400000_NS6detail30init_device_scan_by_key_kernelINS1_19lookback_scan_stateINS0_5tupleIJibEEELb1ELb1EEENS1_16block_id_wrapperIjLb0EEEEEvT_jjPNS9_10value_typeET0_,comdat
	.protected	_ZN7rocprim17ROCPRIM_400000_NS6detail30init_device_scan_by_key_kernelINS1_19lookback_scan_stateINS0_5tupleIJibEEELb1ELb1EEENS1_16block_id_wrapperIjLb0EEEEEvT_jjPNS9_10value_typeET0_ ; -- Begin function _ZN7rocprim17ROCPRIM_400000_NS6detail30init_device_scan_by_key_kernelINS1_19lookback_scan_stateINS0_5tupleIJibEEELb1ELb1EEENS1_16block_id_wrapperIjLb0EEEEEvT_jjPNS9_10value_typeET0_
	.globl	_ZN7rocprim17ROCPRIM_400000_NS6detail30init_device_scan_by_key_kernelINS1_19lookback_scan_stateINS0_5tupleIJibEEELb1ELb1EEENS1_16block_id_wrapperIjLb0EEEEEvT_jjPNS9_10value_typeET0_
	.p2align	8
	.type	_ZN7rocprim17ROCPRIM_400000_NS6detail30init_device_scan_by_key_kernelINS1_19lookback_scan_stateINS0_5tupleIJibEEELb1ELb1EEENS1_16block_id_wrapperIjLb0EEEEEvT_jjPNS9_10value_typeET0_,@function
_ZN7rocprim17ROCPRIM_400000_NS6detail30init_device_scan_by_key_kernelINS1_19lookback_scan_stateINS0_5tupleIJibEEELb1ELb1EEENS1_16block_id_wrapperIjLb0EEEEEvT_jjPNS9_10value_typeET0_: ; @_ZN7rocprim17ROCPRIM_400000_NS6detail30init_device_scan_by_key_kernelINS1_19lookback_scan_stateINS0_5tupleIJibEEELb1ELb1EEENS1_16block_id_wrapperIjLb0EEEEEvT_jjPNS9_10value_typeET0_
; %bb.0:
	s_clause 0x2
	s_load_dword s7, s[4:5], 0x2c
	s_load_dwordx2 s[8:9], s[4:5], 0x10
	s_load_dwordx4 s[0:3], s[4:5], 0x0
	s_waitcnt lgkmcnt(0)
	s_and_b32 s4, s7, 0xffff
	s_cmp_eq_u64 s[8:9], 0
	v_mad_u64_u32 v[0:1], null, s6, s4, v[0:1]
	s_cbranch_scc1 .LBB143_10
; %bb.1:
	s_cmp_lt_u32 s3, s2
	s_mov_b32 s5, 0
	s_cselect_b32 s4, s3, 0
	s_mov_b32 s6, exec_lo
	v_cmpx_eq_u32_e64 s4, v0
	s_cbranch_execz .LBB143_9
; %bb.2:
	s_add_i32 s4, s3, 32
	v_mov_b32_e32 v5, 0
	s_lshl_b64 s[4:5], s[4:5], 4
	s_mov_b32 s3, exec_lo
	s_add_u32 s4, s0, s4
	s_addc_u32 s5, s1, s5
	v_mov_b32_e32 v1, s4
	v_mov_b32_e32 v2, s5
	;;#ASMSTART
	global_load_dwordx4 v[1:4], v[1:2] off glc dlc	
s_waitcnt vmcnt(0)
	;;#ASMEND
	v_and_b32_e32 v4, 0xff, v3
	v_cmpx_eq_u64_e32 0, v[4:5]
	s_cbranch_execz .LBB143_8
; %bb.3:
	v_mov_b32_e32 v7, s5
	v_mov_b32_e32 v6, s4
	s_mov_b32 s5, 1
	s_mov_b32 s4, 0
	.p2align	6
.LBB143_4:                              ; =>This Loop Header: Depth=1
                                        ;     Child Loop BB143_5 Depth 2
	s_mov_b32 s7, s5
.LBB143_5:                              ;   Parent Loop BB143_4 Depth=1
                                        ; =>  This Inner Loop Header: Depth=2
	s_add_i32 s7, s7, -1
	s_sleep 1
	s_cmp_eq_u32 s7, 0
	s_cbranch_scc0 .LBB143_5
; %bb.6:                                ;   in Loop: Header=BB143_4 Depth=1
	;;#ASMSTART
	global_load_dwordx4 v[1:4], v[6:7] off glc dlc	
s_waitcnt vmcnt(0)
	;;#ASMEND
	v_and_b32_e32 v4, 0xff, v3
	s_cmp_lt_u32 s5, 32
	s_cselect_b32 s7, -1, 0
	s_cmp_lg_u32 s7, 0
	v_cmp_ne_u64_e32 vcc_lo, 0, v[4:5]
	s_addc_u32 s5, s5, 0
	s_or_b32 s4, vcc_lo, s4
	s_andn2_b32 exec_lo, exec_lo, s4
	s_cbranch_execnz .LBB143_4
; %bb.7:
	s_or_b32 exec_lo, exec_lo, s4
.LBB143_8:
	s_or_b32 exec_lo, exec_lo, s3
	v_mov_b32_e32 v3, 0
	global_store_dword v3, v1, s[8:9]
	global_store_byte v3, v2, s[8:9] offset:4
.LBB143_9:
	s_or_b32 exec_lo, exec_lo, s6
.LBB143_10:
	v_cmp_gt_u32_e32 vcc_lo, s2, v0
	s_and_saveexec_b32 s2, vcc_lo
	s_cbranch_execz .LBB143_12
; %bb.11:
	v_add_nc_u32_e32 v1, 32, v0
	v_mov_b32_e32 v2, 0
	v_lshlrev_b64 v[4:5], 4, v[1:2]
	v_mov_b32_e32 v1, v2
	v_mov_b32_e32 v3, v2
	v_add_co_u32 v6, vcc_lo, s0, v4
	v_add_co_ci_u32_e64 v7, null, s1, v5, vcc_lo
	v_mov_b32_e32 v4, v2
	global_store_dwordx4 v[6:7], v[1:4], off
.LBB143_12:
	s_or_b32 exec_lo, exec_lo, s2
	s_mov_b32 s2, exec_lo
	v_cmpx_gt_u32_e32 32, v0
	s_cbranch_execz .LBB143_14
; %bb.13:
	v_mov_b32_e32 v1, 0
	v_mov_b32_e32 v2, 0xff
	v_lshlrev_b64 v[3:4], 4, v[0:1]
	v_mov_b32_e32 v0, v1
	v_add_co_u32 v5, vcc_lo, s0, v3
	v_add_co_ci_u32_e64 v6, null, s1, v4, vcc_lo
	v_mov_b32_e32 v3, v1
	global_store_dwordx4 v[5:6], v[0:3], off
.LBB143_14:
	s_endpgm
	.section	.rodata,"a",@progbits
	.p2align	6, 0x0
	.amdhsa_kernel _ZN7rocprim17ROCPRIM_400000_NS6detail30init_device_scan_by_key_kernelINS1_19lookback_scan_stateINS0_5tupleIJibEEELb1ELb1EEENS1_16block_id_wrapperIjLb0EEEEEvT_jjPNS9_10value_typeET0_
		.amdhsa_group_segment_fixed_size 0
		.amdhsa_private_segment_fixed_size 0
		.amdhsa_kernarg_size 288
		.amdhsa_user_sgpr_count 6
		.amdhsa_user_sgpr_private_segment_buffer 1
		.amdhsa_user_sgpr_dispatch_ptr 0
		.amdhsa_user_sgpr_queue_ptr 0
		.amdhsa_user_sgpr_kernarg_segment_ptr 1
		.amdhsa_user_sgpr_dispatch_id 0
		.amdhsa_user_sgpr_flat_scratch_init 0
		.amdhsa_user_sgpr_private_segment_size 0
		.amdhsa_wavefront_size32 1
		.amdhsa_uses_dynamic_stack 0
		.amdhsa_system_sgpr_private_segment_wavefront_offset 0
		.amdhsa_system_sgpr_workgroup_id_x 1
		.amdhsa_system_sgpr_workgroup_id_y 0
		.amdhsa_system_sgpr_workgroup_id_z 0
		.amdhsa_system_sgpr_workgroup_info 0
		.amdhsa_system_vgpr_workitem_id 0
		.amdhsa_next_free_vgpr 8
		.amdhsa_next_free_sgpr 10
		.amdhsa_reserve_vcc 1
		.amdhsa_reserve_flat_scratch 0
		.amdhsa_float_round_mode_32 0
		.amdhsa_float_round_mode_16_64 0
		.amdhsa_float_denorm_mode_32 3
		.amdhsa_float_denorm_mode_16_64 3
		.amdhsa_dx10_clamp 1
		.amdhsa_ieee_mode 1
		.amdhsa_fp16_overflow 0
		.amdhsa_workgroup_processor_mode 1
		.amdhsa_memory_ordered 1
		.amdhsa_forward_progress 1
		.amdhsa_shared_vgpr_count 0
		.amdhsa_exception_fp_ieee_invalid_op 0
		.amdhsa_exception_fp_denorm_src 0
		.amdhsa_exception_fp_ieee_div_zero 0
		.amdhsa_exception_fp_ieee_overflow 0
		.amdhsa_exception_fp_ieee_underflow 0
		.amdhsa_exception_fp_ieee_inexact 0
		.amdhsa_exception_int_div_zero 0
	.end_amdhsa_kernel
	.section	.text._ZN7rocprim17ROCPRIM_400000_NS6detail30init_device_scan_by_key_kernelINS1_19lookback_scan_stateINS0_5tupleIJibEEELb1ELb1EEENS1_16block_id_wrapperIjLb0EEEEEvT_jjPNS9_10value_typeET0_,"axG",@progbits,_ZN7rocprim17ROCPRIM_400000_NS6detail30init_device_scan_by_key_kernelINS1_19lookback_scan_stateINS0_5tupleIJibEEELb1ELb1EEENS1_16block_id_wrapperIjLb0EEEEEvT_jjPNS9_10value_typeET0_,comdat
.Lfunc_end143:
	.size	_ZN7rocprim17ROCPRIM_400000_NS6detail30init_device_scan_by_key_kernelINS1_19lookback_scan_stateINS0_5tupleIJibEEELb1ELb1EEENS1_16block_id_wrapperIjLb0EEEEEvT_jjPNS9_10value_typeET0_, .Lfunc_end143-_ZN7rocprim17ROCPRIM_400000_NS6detail30init_device_scan_by_key_kernelINS1_19lookback_scan_stateINS0_5tupleIJibEEELb1ELb1EEENS1_16block_id_wrapperIjLb0EEEEEvT_jjPNS9_10value_typeET0_
                                        ; -- End function
	.set _ZN7rocprim17ROCPRIM_400000_NS6detail30init_device_scan_by_key_kernelINS1_19lookback_scan_stateINS0_5tupleIJibEEELb1ELb1EEENS1_16block_id_wrapperIjLb0EEEEEvT_jjPNS9_10value_typeET0_.num_vgpr, 8
	.set _ZN7rocprim17ROCPRIM_400000_NS6detail30init_device_scan_by_key_kernelINS1_19lookback_scan_stateINS0_5tupleIJibEEELb1ELb1EEENS1_16block_id_wrapperIjLb0EEEEEvT_jjPNS9_10value_typeET0_.num_agpr, 0
	.set _ZN7rocprim17ROCPRIM_400000_NS6detail30init_device_scan_by_key_kernelINS1_19lookback_scan_stateINS0_5tupleIJibEEELb1ELb1EEENS1_16block_id_wrapperIjLb0EEEEEvT_jjPNS9_10value_typeET0_.numbered_sgpr, 10
	.set _ZN7rocprim17ROCPRIM_400000_NS6detail30init_device_scan_by_key_kernelINS1_19lookback_scan_stateINS0_5tupleIJibEEELb1ELb1EEENS1_16block_id_wrapperIjLb0EEEEEvT_jjPNS9_10value_typeET0_.num_named_barrier, 0
	.set _ZN7rocprim17ROCPRIM_400000_NS6detail30init_device_scan_by_key_kernelINS1_19lookback_scan_stateINS0_5tupleIJibEEELb1ELb1EEENS1_16block_id_wrapperIjLb0EEEEEvT_jjPNS9_10value_typeET0_.private_seg_size, 0
	.set _ZN7rocprim17ROCPRIM_400000_NS6detail30init_device_scan_by_key_kernelINS1_19lookback_scan_stateINS0_5tupleIJibEEELb1ELb1EEENS1_16block_id_wrapperIjLb0EEEEEvT_jjPNS9_10value_typeET0_.uses_vcc, 1
	.set _ZN7rocprim17ROCPRIM_400000_NS6detail30init_device_scan_by_key_kernelINS1_19lookback_scan_stateINS0_5tupleIJibEEELb1ELb1EEENS1_16block_id_wrapperIjLb0EEEEEvT_jjPNS9_10value_typeET0_.uses_flat_scratch, 0
	.set _ZN7rocprim17ROCPRIM_400000_NS6detail30init_device_scan_by_key_kernelINS1_19lookback_scan_stateINS0_5tupleIJibEEELb1ELb1EEENS1_16block_id_wrapperIjLb0EEEEEvT_jjPNS9_10value_typeET0_.has_dyn_sized_stack, 0
	.set _ZN7rocprim17ROCPRIM_400000_NS6detail30init_device_scan_by_key_kernelINS1_19lookback_scan_stateINS0_5tupleIJibEEELb1ELb1EEENS1_16block_id_wrapperIjLb0EEEEEvT_jjPNS9_10value_typeET0_.has_recursion, 0
	.set _ZN7rocprim17ROCPRIM_400000_NS6detail30init_device_scan_by_key_kernelINS1_19lookback_scan_stateINS0_5tupleIJibEEELb1ELb1EEENS1_16block_id_wrapperIjLb0EEEEEvT_jjPNS9_10value_typeET0_.has_indirect_call, 0
	.section	.AMDGPU.csdata,"",@progbits
; Kernel info:
; codeLenInByte = 460
; TotalNumSgprs: 12
; NumVgprs: 8
; ScratchSize: 0
; MemoryBound: 0
; FloatMode: 240
; IeeeMode: 1
; LDSByteSize: 0 bytes/workgroup (compile time only)
; SGPRBlocks: 0
; VGPRBlocks: 0
; NumSGPRsForWavesPerEU: 12
; NumVGPRsForWavesPerEU: 8
; Occupancy: 16
; WaveLimiterHint : 0
; COMPUTE_PGM_RSRC2:SCRATCH_EN: 0
; COMPUTE_PGM_RSRC2:USER_SGPR: 6
; COMPUTE_PGM_RSRC2:TRAP_HANDLER: 0
; COMPUTE_PGM_RSRC2:TGID_X_EN: 1
; COMPUTE_PGM_RSRC2:TGID_Y_EN: 0
; COMPUTE_PGM_RSRC2:TGID_Z_EN: 0
; COMPUTE_PGM_RSRC2:TIDIG_COMP_CNT: 0
	.section	.text._ZN7rocprim17ROCPRIM_400000_NS6detail17trampoline_kernelINS0_14default_configENS1_27scan_by_key_config_selectorIiiEEZZNS1_16scan_by_key_implILNS1_25lookback_scan_determinismE0ELb0ES3_N6thrust23THRUST_200600_302600_NS6detail15normal_iteratorINS9_10device_ptrIiEEEESE_SE_iNS9_4plusIvEENS9_8equal_toIvEEiEE10hipError_tPvRmT2_T3_T4_T5_mT6_T7_P12ihipStream_tbENKUlT_T0_E_clISt17integral_constantIbLb1EESY_IbLb0EEEEDaSU_SV_EUlSU_E_NS1_11comp_targetILNS1_3genE0ELNS1_11target_archE4294967295ELNS1_3gpuE0ELNS1_3repE0EEENS1_30default_config_static_selectorELNS0_4arch9wavefront6targetE0EEEvT1_,"axG",@progbits,_ZN7rocprim17ROCPRIM_400000_NS6detail17trampoline_kernelINS0_14default_configENS1_27scan_by_key_config_selectorIiiEEZZNS1_16scan_by_key_implILNS1_25lookback_scan_determinismE0ELb0ES3_N6thrust23THRUST_200600_302600_NS6detail15normal_iteratorINS9_10device_ptrIiEEEESE_SE_iNS9_4plusIvEENS9_8equal_toIvEEiEE10hipError_tPvRmT2_T3_T4_T5_mT6_T7_P12ihipStream_tbENKUlT_T0_E_clISt17integral_constantIbLb1EESY_IbLb0EEEEDaSU_SV_EUlSU_E_NS1_11comp_targetILNS1_3genE0ELNS1_11target_archE4294967295ELNS1_3gpuE0ELNS1_3repE0EEENS1_30default_config_static_selectorELNS0_4arch9wavefront6targetE0EEEvT1_,comdat
	.protected	_ZN7rocprim17ROCPRIM_400000_NS6detail17trampoline_kernelINS0_14default_configENS1_27scan_by_key_config_selectorIiiEEZZNS1_16scan_by_key_implILNS1_25lookback_scan_determinismE0ELb0ES3_N6thrust23THRUST_200600_302600_NS6detail15normal_iteratorINS9_10device_ptrIiEEEESE_SE_iNS9_4plusIvEENS9_8equal_toIvEEiEE10hipError_tPvRmT2_T3_T4_T5_mT6_T7_P12ihipStream_tbENKUlT_T0_E_clISt17integral_constantIbLb1EESY_IbLb0EEEEDaSU_SV_EUlSU_E_NS1_11comp_targetILNS1_3genE0ELNS1_11target_archE4294967295ELNS1_3gpuE0ELNS1_3repE0EEENS1_30default_config_static_selectorELNS0_4arch9wavefront6targetE0EEEvT1_ ; -- Begin function _ZN7rocprim17ROCPRIM_400000_NS6detail17trampoline_kernelINS0_14default_configENS1_27scan_by_key_config_selectorIiiEEZZNS1_16scan_by_key_implILNS1_25lookback_scan_determinismE0ELb0ES3_N6thrust23THRUST_200600_302600_NS6detail15normal_iteratorINS9_10device_ptrIiEEEESE_SE_iNS9_4plusIvEENS9_8equal_toIvEEiEE10hipError_tPvRmT2_T3_T4_T5_mT6_T7_P12ihipStream_tbENKUlT_T0_E_clISt17integral_constantIbLb1EESY_IbLb0EEEEDaSU_SV_EUlSU_E_NS1_11comp_targetILNS1_3genE0ELNS1_11target_archE4294967295ELNS1_3gpuE0ELNS1_3repE0EEENS1_30default_config_static_selectorELNS0_4arch9wavefront6targetE0EEEvT1_
	.globl	_ZN7rocprim17ROCPRIM_400000_NS6detail17trampoline_kernelINS0_14default_configENS1_27scan_by_key_config_selectorIiiEEZZNS1_16scan_by_key_implILNS1_25lookback_scan_determinismE0ELb0ES3_N6thrust23THRUST_200600_302600_NS6detail15normal_iteratorINS9_10device_ptrIiEEEESE_SE_iNS9_4plusIvEENS9_8equal_toIvEEiEE10hipError_tPvRmT2_T3_T4_T5_mT6_T7_P12ihipStream_tbENKUlT_T0_E_clISt17integral_constantIbLb1EESY_IbLb0EEEEDaSU_SV_EUlSU_E_NS1_11comp_targetILNS1_3genE0ELNS1_11target_archE4294967295ELNS1_3gpuE0ELNS1_3repE0EEENS1_30default_config_static_selectorELNS0_4arch9wavefront6targetE0EEEvT1_
	.p2align	8
	.type	_ZN7rocprim17ROCPRIM_400000_NS6detail17trampoline_kernelINS0_14default_configENS1_27scan_by_key_config_selectorIiiEEZZNS1_16scan_by_key_implILNS1_25lookback_scan_determinismE0ELb0ES3_N6thrust23THRUST_200600_302600_NS6detail15normal_iteratorINS9_10device_ptrIiEEEESE_SE_iNS9_4plusIvEENS9_8equal_toIvEEiEE10hipError_tPvRmT2_T3_T4_T5_mT6_T7_P12ihipStream_tbENKUlT_T0_E_clISt17integral_constantIbLb1EESY_IbLb0EEEEDaSU_SV_EUlSU_E_NS1_11comp_targetILNS1_3genE0ELNS1_11target_archE4294967295ELNS1_3gpuE0ELNS1_3repE0EEENS1_30default_config_static_selectorELNS0_4arch9wavefront6targetE0EEEvT1_,@function
_ZN7rocprim17ROCPRIM_400000_NS6detail17trampoline_kernelINS0_14default_configENS1_27scan_by_key_config_selectorIiiEEZZNS1_16scan_by_key_implILNS1_25lookback_scan_determinismE0ELb0ES3_N6thrust23THRUST_200600_302600_NS6detail15normal_iteratorINS9_10device_ptrIiEEEESE_SE_iNS9_4plusIvEENS9_8equal_toIvEEiEE10hipError_tPvRmT2_T3_T4_T5_mT6_T7_P12ihipStream_tbENKUlT_T0_E_clISt17integral_constantIbLb1EESY_IbLb0EEEEDaSU_SV_EUlSU_E_NS1_11comp_targetILNS1_3genE0ELNS1_11target_archE4294967295ELNS1_3gpuE0ELNS1_3repE0EEENS1_30default_config_static_selectorELNS0_4arch9wavefront6targetE0EEEvT1_: ; @_ZN7rocprim17ROCPRIM_400000_NS6detail17trampoline_kernelINS0_14default_configENS1_27scan_by_key_config_selectorIiiEEZZNS1_16scan_by_key_implILNS1_25lookback_scan_determinismE0ELb0ES3_N6thrust23THRUST_200600_302600_NS6detail15normal_iteratorINS9_10device_ptrIiEEEESE_SE_iNS9_4plusIvEENS9_8equal_toIvEEiEE10hipError_tPvRmT2_T3_T4_T5_mT6_T7_P12ihipStream_tbENKUlT_T0_E_clISt17integral_constantIbLb1EESY_IbLb0EEEEDaSU_SV_EUlSU_E_NS1_11comp_targetILNS1_3genE0ELNS1_11target_archE4294967295ELNS1_3gpuE0ELNS1_3repE0EEENS1_30default_config_static_selectorELNS0_4arch9wavefront6targetE0EEEvT1_
; %bb.0:
	.section	.rodata,"a",@progbits
	.p2align	6, 0x0
	.amdhsa_kernel _ZN7rocprim17ROCPRIM_400000_NS6detail17trampoline_kernelINS0_14default_configENS1_27scan_by_key_config_selectorIiiEEZZNS1_16scan_by_key_implILNS1_25lookback_scan_determinismE0ELb0ES3_N6thrust23THRUST_200600_302600_NS6detail15normal_iteratorINS9_10device_ptrIiEEEESE_SE_iNS9_4plusIvEENS9_8equal_toIvEEiEE10hipError_tPvRmT2_T3_T4_T5_mT6_T7_P12ihipStream_tbENKUlT_T0_E_clISt17integral_constantIbLb1EESY_IbLb0EEEEDaSU_SV_EUlSU_E_NS1_11comp_targetILNS1_3genE0ELNS1_11target_archE4294967295ELNS1_3gpuE0ELNS1_3repE0EEENS1_30default_config_static_selectorELNS0_4arch9wavefront6targetE0EEEvT1_
		.amdhsa_group_segment_fixed_size 0
		.amdhsa_private_segment_fixed_size 0
		.amdhsa_kernarg_size 112
		.amdhsa_user_sgpr_count 6
		.amdhsa_user_sgpr_private_segment_buffer 1
		.amdhsa_user_sgpr_dispatch_ptr 0
		.amdhsa_user_sgpr_queue_ptr 0
		.amdhsa_user_sgpr_kernarg_segment_ptr 1
		.amdhsa_user_sgpr_dispatch_id 0
		.amdhsa_user_sgpr_flat_scratch_init 0
		.amdhsa_user_sgpr_private_segment_size 0
		.amdhsa_wavefront_size32 1
		.amdhsa_uses_dynamic_stack 0
		.amdhsa_system_sgpr_private_segment_wavefront_offset 0
		.amdhsa_system_sgpr_workgroup_id_x 1
		.amdhsa_system_sgpr_workgroup_id_y 0
		.amdhsa_system_sgpr_workgroup_id_z 0
		.amdhsa_system_sgpr_workgroup_info 0
		.amdhsa_system_vgpr_workitem_id 0
		.amdhsa_next_free_vgpr 1
		.amdhsa_next_free_sgpr 1
		.amdhsa_reserve_vcc 0
		.amdhsa_reserve_flat_scratch 0
		.amdhsa_float_round_mode_32 0
		.amdhsa_float_round_mode_16_64 0
		.amdhsa_float_denorm_mode_32 3
		.amdhsa_float_denorm_mode_16_64 3
		.amdhsa_dx10_clamp 1
		.amdhsa_ieee_mode 1
		.amdhsa_fp16_overflow 0
		.amdhsa_workgroup_processor_mode 1
		.amdhsa_memory_ordered 1
		.amdhsa_forward_progress 1
		.amdhsa_shared_vgpr_count 0
		.amdhsa_exception_fp_ieee_invalid_op 0
		.amdhsa_exception_fp_denorm_src 0
		.amdhsa_exception_fp_ieee_div_zero 0
		.amdhsa_exception_fp_ieee_overflow 0
		.amdhsa_exception_fp_ieee_underflow 0
		.amdhsa_exception_fp_ieee_inexact 0
		.amdhsa_exception_int_div_zero 0
	.end_amdhsa_kernel
	.section	.text._ZN7rocprim17ROCPRIM_400000_NS6detail17trampoline_kernelINS0_14default_configENS1_27scan_by_key_config_selectorIiiEEZZNS1_16scan_by_key_implILNS1_25lookback_scan_determinismE0ELb0ES3_N6thrust23THRUST_200600_302600_NS6detail15normal_iteratorINS9_10device_ptrIiEEEESE_SE_iNS9_4plusIvEENS9_8equal_toIvEEiEE10hipError_tPvRmT2_T3_T4_T5_mT6_T7_P12ihipStream_tbENKUlT_T0_E_clISt17integral_constantIbLb1EESY_IbLb0EEEEDaSU_SV_EUlSU_E_NS1_11comp_targetILNS1_3genE0ELNS1_11target_archE4294967295ELNS1_3gpuE0ELNS1_3repE0EEENS1_30default_config_static_selectorELNS0_4arch9wavefront6targetE0EEEvT1_,"axG",@progbits,_ZN7rocprim17ROCPRIM_400000_NS6detail17trampoline_kernelINS0_14default_configENS1_27scan_by_key_config_selectorIiiEEZZNS1_16scan_by_key_implILNS1_25lookback_scan_determinismE0ELb0ES3_N6thrust23THRUST_200600_302600_NS6detail15normal_iteratorINS9_10device_ptrIiEEEESE_SE_iNS9_4plusIvEENS9_8equal_toIvEEiEE10hipError_tPvRmT2_T3_T4_T5_mT6_T7_P12ihipStream_tbENKUlT_T0_E_clISt17integral_constantIbLb1EESY_IbLb0EEEEDaSU_SV_EUlSU_E_NS1_11comp_targetILNS1_3genE0ELNS1_11target_archE4294967295ELNS1_3gpuE0ELNS1_3repE0EEENS1_30default_config_static_selectorELNS0_4arch9wavefront6targetE0EEEvT1_,comdat
.Lfunc_end144:
	.size	_ZN7rocprim17ROCPRIM_400000_NS6detail17trampoline_kernelINS0_14default_configENS1_27scan_by_key_config_selectorIiiEEZZNS1_16scan_by_key_implILNS1_25lookback_scan_determinismE0ELb0ES3_N6thrust23THRUST_200600_302600_NS6detail15normal_iteratorINS9_10device_ptrIiEEEESE_SE_iNS9_4plusIvEENS9_8equal_toIvEEiEE10hipError_tPvRmT2_T3_T4_T5_mT6_T7_P12ihipStream_tbENKUlT_T0_E_clISt17integral_constantIbLb1EESY_IbLb0EEEEDaSU_SV_EUlSU_E_NS1_11comp_targetILNS1_3genE0ELNS1_11target_archE4294967295ELNS1_3gpuE0ELNS1_3repE0EEENS1_30default_config_static_selectorELNS0_4arch9wavefront6targetE0EEEvT1_, .Lfunc_end144-_ZN7rocprim17ROCPRIM_400000_NS6detail17trampoline_kernelINS0_14default_configENS1_27scan_by_key_config_selectorIiiEEZZNS1_16scan_by_key_implILNS1_25lookback_scan_determinismE0ELb0ES3_N6thrust23THRUST_200600_302600_NS6detail15normal_iteratorINS9_10device_ptrIiEEEESE_SE_iNS9_4plusIvEENS9_8equal_toIvEEiEE10hipError_tPvRmT2_T3_T4_T5_mT6_T7_P12ihipStream_tbENKUlT_T0_E_clISt17integral_constantIbLb1EESY_IbLb0EEEEDaSU_SV_EUlSU_E_NS1_11comp_targetILNS1_3genE0ELNS1_11target_archE4294967295ELNS1_3gpuE0ELNS1_3repE0EEENS1_30default_config_static_selectorELNS0_4arch9wavefront6targetE0EEEvT1_
                                        ; -- End function
	.set _ZN7rocprim17ROCPRIM_400000_NS6detail17trampoline_kernelINS0_14default_configENS1_27scan_by_key_config_selectorIiiEEZZNS1_16scan_by_key_implILNS1_25lookback_scan_determinismE0ELb0ES3_N6thrust23THRUST_200600_302600_NS6detail15normal_iteratorINS9_10device_ptrIiEEEESE_SE_iNS9_4plusIvEENS9_8equal_toIvEEiEE10hipError_tPvRmT2_T3_T4_T5_mT6_T7_P12ihipStream_tbENKUlT_T0_E_clISt17integral_constantIbLb1EESY_IbLb0EEEEDaSU_SV_EUlSU_E_NS1_11comp_targetILNS1_3genE0ELNS1_11target_archE4294967295ELNS1_3gpuE0ELNS1_3repE0EEENS1_30default_config_static_selectorELNS0_4arch9wavefront6targetE0EEEvT1_.num_vgpr, 0
	.set _ZN7rocprim17ROCPRIM_400000_NS6detail17trampoline_kernelINS0_14default_configENS1_27scan_by_key_config_selectorIiiEEZZNS1_16scan_by_key_implILNS1_25lookback_scan_determinismE0ELb0ES3_N6thrust23THRUST_200600_302600_NS6detail15normal_iteratorINS9_10device_ptrIiEEEESE_SE_iNS9_4plusIvEENS9_8equal_toIvEEiEE10hipError_tPvRmT2_T3_T4_T5_mT6_T7_P12ihipStream_tbENKUlT_T0_E_clISt17integral_constantIbLb1EESY_IbLb0EEEEDaSU_SV_EUlSU_E_NS1_11comp_targetILNS1_3genE0ELNS1_11target_archE4294967295ELNS1_3gpuE0ELNS1_3repE0EEENS1_30default_config_static_selectorELNS0_4arch9wavefront6targetE0EEEvT1_.num_agpr, 0
	.set _ZN7rocprim17ROCPRIM_400000_NS6detail17trampoline_kernelINS0_14default_configENS1_27scan_by_key_config_selectorIiiEEZZNS1_16scan_by_key_implILNS1_25lookback_scan_determinismE0ELb0ES3_N6thrust23THRUST_200600_302600_NS6detail15normal_iteratorINS9_10device_ptrIiEEEESE_SE_iNS9_4plusIvEENS9_8equal_toIvEEiEE10hipError_tPvRmT2_T3_T4_T5_mT6_T7_P12ihipStream_tbENKUlT_T0_E_clISt17integral_constantIbLb1EESY_IbLb0EEEEDaSU_SV_EUlSU_E_NS1_11comp_targetILNS1_3genE0ELNS1_11target_archE4294967295ELNS1_3gpuE0ELNS1_3repE0EEENS1_30default_config_static_selectorELNS0_4arch9wavefront6targetE0EEEvT1_.numbered_sgpr, 0
	.set _ZN7rocprim17ROCPRIM_400000_NS6detail17trampoline_kernelINS0_14default_configENS1_27scan_by_key_config_selectorIiiEEZZNS1_16scan_by_key_implILNS1_25lookback_scan_determinismE0ELb0ES3_N6thrust23THRUST_200600_302600_NS6detail15normal_iteratorINS9_10device_ptrIiEEEESE_SE_iNS9_4plusIvEENS9_8equal_toIvEEiEE10hipError_tPvRmT2_T3_T4_T5_mT6_T7_P12ihipStream_tbENKUlT_T0_E_clISt17integral_constantIbLb1EESY_IbLb0EEEEDaSU_SV_EUlSU_E_NS1_11comp_targetILNS1_3genE0ELNS1_11target_archE4294967295ELNS1_3gpuE0ELNS1_3repE0EEENS1_30default_config_static_selectorELNS0_4arch9wavefront6targetE0EEEvT1_.num_named_barrier, 0
	.set _ZN7rocprim17ROCPRIM_400000_NS6detail17trampoline_kernelINS0_14default_configENS1_27scan_by_key_config_selectorIiiEEZZNS1_16scan_by_key_implILNS1_25lookback_scan_determinismE0ELb0ES3_N6thrust23THRUST_200600_302600_NS6detail15normal_iteratorINS9_10device_ptrIiEEEESE_SE_iNS9_4plusIvEENS9_8equal_toIvEEiEE10hipError_tPvRmT2_T3_T4_T5_mT6_T7_P12ihipStream_tbENKUlT_T0_E_clISt17integral_constantIbLb1EESY_IbLb0EEEEDaSU_SV_EUlSU_E_NS1_11comp_targetILNS1_3genE0ELNS1_11target_archE4294967295ELNS1_3gpuE0ELNS1_3repE0EEENS1_30default_config_static_selectorELNS0_4arch9wavefront6targetE0EEEvT1_.private_seg_size, 0
	.set _ZN7rocprim17ROCPRIM_400000_NS6detail17trampoline_kernelINS0_14default_configENS1_27scan_by_key_config_selectorIiiEEZZNS1_16scan_by_key_implILNS1_25lookback_scan_determinismE0ELb0ES3_N6thrust23THRUST_200600_302600_NS6detail15normal_iteratorINS9_10device_ptrIiEEEESE_SE_iNS9_4plusIvEENS9_8equal_toIvEEiEE10hipError_tPvRmT2_T3_T4_T5_mT6_T7_P12ihipStream_tbENKUlT_T0_E_clISt17integral_constantIbLb1EESY_IbLb0EEEEDaSU_SV_EUlSU_E_NS1_11comp_targetILNS1_3genE0ELNS1_11target_archE4294967295ELNS1_3gpuE0ELNS1_3repE0EEENS1_30default_config_static_selectorELNS0_4arch9wavefront6targetE0EEEvT1_.uses_vcc, 0
	.set _ZN7rocprim17ROCPRIM_400000_NS6detail17trampoline_kernelINS0_14default_configENS1_27scan_by_key_config_selectorIiiEEZZNS1_16scan_by_key_implILNS1_25lookback_scan_determinismE0ELb0ES3_N6thrust23THRUST_200600_302600_NS6detail15normal_iteratorINS9_10device_ptrIiEEEESE_SE_iNS9_4plusIvEENS9_8equal_toIvEEiEE10hipError_tPvRmT2_T3_T4_T5_mT6_T7_P12ihipStream_tbENKUlT_T0_E_clISt17integral_constantIbLb1EESY_IbLb0EEEEDaSU_SV_EUlSU_E_NS1_11comp_targetILNS1_3genE0ELNS1_11target_archE4294967295ELNS1_3gpuE0ELNS1_3repE0EEENS1_30default_config_static_selectorELNS0_4arch9wavefront6targetE0EEEvT1_.uses_flat_scratch, 0
	.set _ZN7rocprim17ROCPRIM_400000_NS6detail17trampoline_kernelINS0_14default_configENS1_27scan_by_key_config_selectorIiiEEZZNS1_16scan_by_key_implILNS1_25lookback_scan_determinismE0ELb0ES3_N6thrust23THRUST_200600_302600_NS6detail15normal_iteratorINS9_10device_ptrIiEEEESE_SE_iNS9_4plusIvEENS9_8equal_toIvEEiEE10hipError_tPvRmT2_T3_T4_T5_mT6_T7_P12ihipStream_tbENKUlT_T0_E_clISt17integral_constantIbLb1EESY_IbLb0EEEEDaSU_SV_EUlSU_E_NS1_11comp_targetILNS1_3genE0ELNS1_11target_archE4294967295ELNS1_3gpuE0ELNS1_3repE0EEENS1_30default_config_static_selectorELNS0_4arch9wavefront6targetE0EEEvT1_.has_dyn_sized_stack, 0
	.set _ZN7rocprim17ROCPRIM_400000_NS6detail17trampoline_kernelINS0_14default_configENS1_27scan_by_key_config_selectorIiiEEZZNS1_16scan_by_key_implILNS1_25lookback_scan_determinismE0ELb0ES3_N6thrust23THRUST_200600_302600_NS6detail15normal_iteratorINS9_10device_ptrIiEEEESE_SE_iNS9_4plusIvEENS9_8equal_toIvEEiEE10hipError_tPvRmT2_T3_T4_T5_mT6_T7_P12ihipStream_tbENKUlT_T0_E_clISt17integral_constantIbLb1EESY_IbLb0EEEEDaSU_SV_EUlSU_E_NS1_11comp_targetILNS1_3genE0ELNS1_11target_archE4294967295ELNS1_3gpuE0ELNS1_3repE0EEENS1_30default_config_static_selectorELNS0_4arch9wavefront6targetE0EEEvT1_.has_recursion, 0
	.set _ZN7rocprim17ROCPRIM_400000_NS6detail17trampoline_kernelINS0_14default_configENS1_27scan_by_key_config_selectorIiiEEZZNS1_16scan_by_key_implILNS1_25lookback_scan_determinismE0ELb0ES3_N6thrust23THRUST_200600_302600_NS6detail15normal_iteratorINS9_10device_ptrIiEEEESE_SE_iNS9_4plusIvEENS9_8equal_toIvEEiEE10hipError_tPvRmT2_T3_T4_T5_mT6_T7_P12ihipStream_tbENKUlT_T0_E_clISt17integral_constantIbLb1EESY_IbLb0EEEEDaSU_SV_EUlSU_E_NS1_11comp_targetILNS1_3genE0ELNS1_11target_archE4294967295ELNS1_3gpuE0ELNS1_3repE0EEENS1_30default_config_static_selectorELNS0_4arch9wavefront6targetE0EEEvT1_.has_indirect_call, 0
	.section	.AMDGPU.csdata,"",@progbits
; Kernel info:
; codeLenInByte = 0
; TotalNumSgprs: 0
; NumVgprs: 0
; ScratchSize: 0
; MemoryBound: 0
; FloatMode: 240
; IeeeMode: 1
; LDSByteSize: 0 bytes/workgroup (compile time only)
; SGPRBlocks: 0
; VGPRBlocks: 0
; NumSGPRsForWavesPerEU: 1
; NumVGPRsForWavesPerEU: 1
; Occupancy: 16
; WaveLimiterHint : 0
; COMPUTE_PGM_RSRC2:SCRATCH_EN: 0
; COMPUTE_PGM_RSRC2:USER_SGPR: 6
; COMPUTE_PGM_RSRC2:TRAP_HANDLER: 0
; COMPUTE_PGM_RSRC2:TGID_X_EN: 1
; COMPUTE_PGM_RSRC2:TGID_Y_EN: 0
; COMPUTE_PGM_RSRC2:TGID_Z_EN: 0
; COMPUTE_PGM_RSRC2:TIDIG_COMP_CNT: 0
	.section	.text._ZN7rocprim17ROCPRIM_400000_NS6detail17trampoline_kernelINS0_14default_configENS1_27scan_by_key_config_selectorIiiEEZZNS1_16scan_by_key_implILNS1_25lookback_scan_determinismE0ELb0ES3_N6thrust23THRUST_200600_302600_NS6detail15normal_iteratorINS9_10device_ptrIiEEEESE_SE_iNS9_4plusIvEENS9_8equal_toIvEEiEE10hipError_tPvRmT2_T3_T4_T5_mT6_T7_P12ihipStream_tbENKUlT_T0_E_clISt17integral_constantIbLb1EESY_IbLb0EEEEDaSU_SV_EUlSU_E_NS1_11comp_targetILNS1_3genE10ELNS1_11target_archE1201ELNS1_3gpuE5ELNS1_3repE0EEENS1_30default_config_static_selectorELNS0_4arch9wavefront6targetE0EEEvT1_,"axG",@progbits,_ZN7rocprim17ROCPRIM_400000_NS6detail17trampoline_kernelINS0_14default_configENS1_27scan_by_key_config_selectorIiiEEZZNS1_16scan_by_key_implILNS1_25lookback_scan_determinismE0ELb0ES3_N6thrust23THRUST_200600_302600_NS6detail15normal_iteratorINS9_10device_ptrIiEEEESE_SE_iNS9_4plusIvEENS9_8equal_toIvEEiEE10hipError_tPvRmT2_T3_T4_T5_mT6_T7_P12ihipStream_tbENKUlT_T0_E_clISt17integral_constantIbLb1EESY_IbLb0EEEEDaSU_SV_EUlSU_E_NS1_11comp_targetILNS1_3genE10ELNS1_11target_archE1201ELNS1_3gpuE5ELNS1_3repE0EEENS1_30default_config_static_selectorELNS0_4arch9wavefront6targetE0EEEvT1_,comdat
	.protected	_ZN7rocprim17ROCPRIM_400000_NS6detail17trampoline_kernelINS0_14default_configENS1_27scan_by_key_config_selectorIiiEEZZNS1_16scan_by_key_implILNS1_25lookback_scan_determinismE0ELb0ES3_N6thrust23THRUST_200600_302600_NS6detail15normal_iteratorINS9_10device_ptrIiEEEESE_SE_iNS9_4plusIvEENS9_8equal_toIvEEiEE10hipError_tPvRmT2_T3_T4_T5_mT6_T7_P12ihipStream_tbENKUlT_T0_E_clISt17integral_constantIbLb1EESY_IbLb0EEEEDaSU_SV_EUlSU_E_NS1_11comp_targetILNS1_3genE10ELNS1_11target_archE1201ELNS1_3gpuE5ELNS1_3repE0EEENS1_30default_config_static_selectorELNS0_4arch9wavefront6targetE0EEEvT1_ ; -- Begin function _ZN7rocprim17ROCPRIM_400000_NS6detail17trampoline_kernelINS0_14default_configENS1_27scan_by_key_config_selectorIiiEEZZNS1_16scan_by_key_implILNS1_25lookback_scan_determinismE0ELb0ES3_N6thrust23THRUST_200600_302600_NS6detail15normal_iteratorINS9_10device_ptrIiEEEESE_SE_iNS9_4plusIvEENS9_8equal_toIvEEiEE10hipError_tPvRmT2_T3_T4_T5_mT6_T7_P12ihipStream_tbENKUlT_T0_E_clISt17integral_constantIbLb1EESY_IbLb0EEEEDaSU_SV_EUlSU_E_NS1_11comp_targetILNS1_3genE10ELNS1_11target_archE1201ELNS1_3gpuE5ELNS1_3repE0EEENS1_30default_config_static_selectorELNS0_4arch9wavefront6targetE0EEEvT1_
	.globl	_ZN7rocprim17ROCPRIM_400000_NS6detail17trampoline_kernelINS0_14default_configENS1_27scan_by_key_config_selectorIiiEEZZNS1_16scan_by_key_implILNS1_25lookback_scan_determinismE0ELb0ES3_N6thrust23THRUST_200600_302600_NS6detail15normal_iteratorINS9_10device_ptrIiEEEESE_SE_iNS9_4plusIvEENS9_8equal_toIvEEiEE10hipError_tPvRmT2_T3_T4_T5_mT6_T7_P12ihipStream_tbENKUlT_T0_E_clISt17integral_constantIbLb1EESY_IbLb0EEEEDaSU_SV_EUlSU_E_NS1_11comp_targetILNS1_3genE10ELNS1_11target_archE1201ELNS1_3gpuE5ELNS1_3repE0EEENS1_30default_config_static_selectorELNS0_4arch9wavefront6targetE0EEEvT1_
	.p2align	8
	.type	_ZN7rocprim17ROCPRIM_400000_NS6detail17trampoline_kernelINS0_14default_configENS1_27scan_by_key_config_selectorIiiEEZZNS1_16scan_by_key_implILNS1_25lookback_scan_determinismE0ELb0ES3_N6thrust23THRUST_200600_302600_NS6detail15normal_iteratorINS9_10device_ptrIiEEEESE_SE_iNS9_4plusIvEENS9_8equal_toIvEEiEE10hipError_tPvRmT2_T3_T4_T5_mT6_T7_P12ihipStream_tbENKUlT_T0_E_clISt17integral_constantIbLb1EESY_IbLb0EEEEDaSU_SV_EUlSU_E_NS1_11comp_targetILNS1_3genE10ELNS1_11target_archE1201ELNS1_3gpuE5ELNS1_3repE0EEENS1_30default_config_static_selectorELNS0_4arch9wavefront6targetE0EEEvT1_,@function
_ZN7rocprim17ROCPRIM_400000_NS6detail17trampoline_kernelINS0_14default_configENS1_27scan_by_key_config_selectorIiiEEZZNS1_16scan_by_key_implILNS1_25lookback_scan_determinismE0ELb0ES3_N6thrust23THRUST_200600_302600_NS6detail15normal_iteratorINS9_10device_ptrIiEEEESE_SE_iNS9_4plusIvEENS9_8equal_toIvEEiEE10hipError_tPvRmT2_T3_T4_T5_mT6_T7_P12ihipStream_tbENKUlT_T0_E_clISt17integral_constantIbLb1EESY_IbLb0EEEEDaSU_SV_EUlSU_E_NS1_11comp_targetILNS1_3genE10ELNS1_11target_archE1201ELNS1_3gpuE5ELNS1_3repE0EEENS1_30default_config_static_selectorELNS0_4arch9wavefront6targetE0EEEvT1_: ; @_ZN7rocprim17ROCPRIM_400000_NS6detail17trampoline_kernelINS0_14default_configENS1_27scan_by_key_config_selectorIiiEEZZNS1_16scan_by_key_implILNS1_25lookback_scan_determinismE0ELb0ES3_N6thrust23THRUST_200600_302600_NS6detail15normal_iteratorINS9_10device_ptrIiEEEESE_SE_iNS9_4plusIvEENS9_8equal_toIvEEiEE10hipError_tPvRmT2_T3_T4_T5_mT6_T7_P12ihipStream_tbENKUlT_T0_E_clISt17integral_constantIbLb1EESY_IbLb0EEEEDaSU_SV_EUlSU_E_NS1_11comp_targetILNS1_3genE10ELNS1_11target_archE1201ELNS1_3gpuE5ELNS1_3repE0EEENS1_30default_config_static_selectorELNS0_4arch9wavefront6targetE0EEEvT1_
; %bb.0:
	.section	.rodata,"a",@progbits
	.p2align	6, 0x0
	.amdhsa_kernel _ZN7rocprim17ROCPRIM_400000_NS6detail17trampoline_kernelINS0_14default_configENS1_27scan_by_key_config_selectorIiiEEZZNS1_16scan_by_key_implILNS1_25lookback_scan_determinismE0ELb0ES3_N6thrust23THRUST_200600_302600_NS6detail15normal_iteratorINS9_10device_ptrIiEEEESE_SE_iNS9_4plusIvEENS9_8equal_toIvEEiEE10hipError_tPvRmT2_T3_T4_T5_mT6_T7_P12ihipStream_tbENKUlT_T0_E_clISt17integral_constantIbLb1EESY_IbLb0EEEEDaSU_SV_EUlSU_E_NS1_11comp_targetILNS1_3genE10ELNS1_11target_archE1201ELNS1_3gpuE5ELNS1_3repE0EEENS1_30default_config_static_selectorELNS0_4arch9wavefront6targetE0EEEvT1_
		.amdhsa_group_segment_fixed_size 0
		.amdhsa_private_segment_fixed_size 0
		.amdhsa_kernarg_size 112
		.amdhsa_user_sgpr_count 6
		.amdhsa_user_sgpr_private_segment_buffer 1
		.amdhsa_user_sgpr_dispatch_ptr 0
		.amdhsa_user_sgpr_queue_ptr 0
		.amdhsa_user_sgpr_kernarg_segment_ptr 1
		.amdhsa_user_sgpr_dispatch_id 0
		.amdhsa_user_sgpr_flat_scratch_init 0
		.amdhsa_user_sgpr_private_segment_size 0
		.amdhsa_wavefront_size32 1
		.amdhsa_uses_dynamic_stack 0
		.amdhsa_system_sgpr_private_segment_wavefront_offset 0
		.amdhsa_system_sgpr_workgroup_id_x 1
		.amdhsa_system_sgpr_workgroup_id_y 0
		.amdhsa_system_sgpr_workgroup_id_z 0
		.amdhsa_system_sgpr_workgroup_info 0
		.amdhsa_system_vgpr_workitem_id 0
		.amdhsa_next_free_vgpr 1
		.amdhsa_next_free_sgpr 1
		.amdhsa_reserve_vcc 0
		.amdhsa_reserve_flat_scratch 0
		.amdhsa_float_round_mode_32 0
		.amdhsa_float_round_mode_16_64 0
		.amdhsa_float_denorm_mode_32 3
		.amdhsa_float_denorm_mode_16_64 3
		.amdhsa_dx10_clamp 1
		.amdhsa_ieee_mode 1
		.amdhsa_fp16_overflow 0
		.amdhsa_workgroup_processor_mode 1
		.amdhsa_memory_ordered 1
		.amdhsa_forward_progress 1
		.amdhsa_shared_vgpr_count 0
		.amdhsa_exception_fp_ieee_invalid_op 0
		.amdhsa_exception_fp_denorm_src 0
		.amdhsa_exception_fp_ieee_div_zero 0
		.amdhsa_exception_fp_ieee_overflow 0
		.amdhsa_exception_fp_ieee_underflow 0
		.amdhsa_exception_fp_ieee_inexact 0
		.amdhsa_exception_int_div_zero 0
	.end_amdhsa_kernel
	.section	.text._ZN7rocprim17ROCPRIM_400000_NS6detail17trampoline_kernelINS0_14default_configENS1_27scan_by_key_config_selectorIiiEEZZNS1_16scan_by_key_implILNS1_25lookback_scan_determinismE0ELb0ES3_N6thrust23THRUST_200600_302600_NS6detail15normal_iteratorINS9_10device_ptrIiEEEESE_SE_iNS9_4plusIvEENS9_8equal_toIvEEiEE10hipError_tPvRmT2_T3_T4_T5_mT6_T7_P12ihipStream_tbENKUlT_T0_E_clISt17integral_constantIbLb1EESY_IbLb0EEEEDaSU_SV_EUlSU_E_NS1_11comp_targetILNS1_3genE10ELNS1_11target_archE1201ELNS1_3gpuE5ELNS1_3repE0EEENS1_30default_config_static_selectorELNS0_4arch9wavefront6targetE0EEEvT1_,"axG",@progbits,_ZN7rocprim17ROCPRIM_400000_NS6detail17trampoline_kernelINS0_14default_configENS1_27scan_by_key_config_selectorIiiEEZZNS1_16scan_by_key_implILNS1_25lookback_scan_determinismE0ELb0ES3_N6thrust23THRUST_200600_302600_NS6detail15normal_iteratorINS9_10device_ptrIiEEEESE_SE_iNS9_4plusIvEENS9_8equal_toIvEEiEE10hipError_tPvRmT2_T3_T4_T5_mT6_T7_P12ihipStream_tbENKUlT_T0_E_clISt17integral_constantIbLb1EESY_IbLb0EEEEDaSU_SV_EUlSU_E_NS1_11comp_targetILNS1_3genE10ELNS1_11target_archE1201ELNS1_3gpuE5ELNS1_3repE0EEENS1_30default_config_static_selectorELNS0_4arch9wavefront6targetE0EEEvT1_,comdat
.Lfunc_end145:
	.size	_ZN7rocprim17ROCPRIM_400000_NS6detail17trampoline_kernelINS0_14default_configENS1_27scan_by_key_config_selectorIiiEEZZNS1_16scan_by_key_implILNS1_25lookback_scan_determinismE0ELb0ES3_N6thrust23THRUST_200600_302600_NS6detail15normal_iteratorINS9_10device_ptrIiEEEESE_SE_iNS9_4plusIvEENS9_8equal_toIvEEiEE10hipError_tPvRmT2_T3_T4_T5_mT6_T7_P12ihipStream_tbENKUlT_T0_E_clISt17integral_constantIbLb1EESY_IbLb0EEEEDaSU_SV_EUlSU_E_NS1_11comp_targetILNS1_3genE10ELNS1_11target_archE1201ELNS1_3gpuE5ELNS1_3repE0EEENS1_30default_config_static_selectorELNS0_4arch9wavefront6targetE0EEEvT1_, .Lfunc_end145-_ZN7rocprim17ROCPRIM_400000_NS6detail17trampoline_kernelINS0_14default_configENS1_27scan_by_key_config_selectorIiiEEZZNS1_16scan_by_key_implILNS1_25lookback_scan_determinismE0ELb0ES3_N6thrust23THRUST_200600_302600_NS6detail15normal_iteratorINS9_10device_ptrIiEEEESE_SE_iNS9_4plusIvEENS9_8equal_toIvEEiEE10hipError_tPvRmT2_T3_T4_T5_mT6_T7_P12ihipStream_tbENKUlT_T0_E_clISt17integral_constantIbLb1EESY_IbLb0EEEEDaSU_SV_EUlSU_E_NS1_11comp_targetILNS1_3genE10ELNS1_11target_archE1201ELNS1_3gpuE5ELNS1_3repE0EEENS1_30default_config_static_selectorELNS0_4arch9wavefront6targetE0EEEvT1_
                                        ; -- End function
	.set _ZN7rocprim17ROCPRIM_400000_NS6detail17trampoline_kernelINS0_14default_configENS1_27scan_by_key_config_selectorIiiEEZZNS1_16scan_by_key_implILNS1_25lookback_scan_determinismE0ELb0ES3_N6thrust23THRUST_200600_302600_NS6detail15normal_iteratorINS9_10device_ptrIiEEEESE_SE_iNS9_4plusIvEENS9_8equal_toIvEEiEE10hipError_tPvRmT2_T3_T4_T5_mT6_T7_P12ihipStream_tbENKUlT_T0_E_clISt17integral_constantIbLb1EESY_IbLb0EEEEDaSU_SV_EUlSU_E_NS1_11comp_targetILNS1_3genE10ELNS1_11target_archE1201ELNS1_3gpuE5ELNS1_3repE0EEENS1_30default_config_static_selectorELNS0_4arch9wavefront6targetE0EEEvT1_.num_vgpr, 0
	.set _ZN7rocprim17ROCPRIM_400000_NS6detail17trampoline_kernelINS0_14default_configENS1_27scan_by_key_config_selectorIiiEEZZNS1_16scan_by_key_implILNS1_25lookback_scan_determinismE0ELb0ES3_N6thrust23THRUST_200600_302600_NS6detail15normal_iteratorINS9_10device_ptrIiEEEESE_SE_iNS9_4plusIvEENS9_8equal_toIvEEiEE10hipError_tPvRmT2_T3_T4_T5_mT6_T7_P12ihipStream_tbENKUlT_T0_E_clISt17integral_constantIbLb1EESY_IbLb0EEEEDaSU_SV_EUlSU_E_NS1_11comp_targetILNS1_3genE10ELNS1_11target_archE1201ELNS1_3gpuE5ELNS1_3repE0EEENS1_30default_config_static_selectorELNS0_4arch9wavefront6targetE0EEEvT1_.num_agpr, 0
	.set _ZN7rocprim17ROCPRIM_400000_NS6detail17trampoline_kernelINS0_14default_configENS1_27scan_by_key_config_selectorIiiEEZZNS1_16scan_by_key_implILNS1_25lookback_scan_determinismE0ELb0ES3_N6thrust23THRUST_200600_302600_NS6detail15normal_iteratorINS9_10device_ptrIiEEEESE_SE_iNS9_4plusIvEENS9_8equal_toIvEEiEE10hipError_tPvRmT2_T3_T4_T5_mT6_T7_P12ihipStream_tbENKUlT_T0_E_clISt17integral_constantIbLb1EESY_IbLb0EEEEDaSU_SV_EUlSU_E_NS1_11comp_targetILNS1_3genE10ELNS1_11target_archE1201ELNS1_3gpuE5ELNS1_3repE0EEENS1_30default_config_static_selectorELNS0_4arch9wavefront6targetE0EEEvT1_.numbered_sgpr, 0
	.set _ZN7rocprim17ROCPRIM_400000_NS6detail17trampoline_kernelINS0_14default_configENS1_27scan_by_key_config_selectorIiiEEZZNS1_16scan_by_key_implILNS1_25lookback_scan_determinismE0ELb0ES3_N6thrust23THRUST_200600_302600_NS6detail15normal_iteratorINS9_10device_ptrIiEEEESE_SE_iNS9_4plusIvEENS9_8equal_toIvEEiEE10hipError_tPvRmT2_T3_T4_T5_mT6_T7_P12ihipStream_tbENKUlT_T0_E_clISt17integral_constantIbLb1EESY_IbLb0EEEEDaSU_SV_EUlSU_E_NS1_11comp_targetILNS1_3genE10ELNS1_11target_archE1201ELNS1_3gpuE5ELNS1_3repE0EEENS1_30default_config_static_selectorELNS0_4arch9wavefront6targetE0EEEvT1_.num_named_barrier, 0
	.set _ZN7rocprim17ROCPRIM_400000_NS6detail17trampoline_kernelINS0_14default_configENS1_27scan_by_key_config_selectorIiiEEZZNS1_16scan_by_key_implILNS1_25lookback_scan_determinismE0ELb0ES3_N6thrust23THRUST_200600_302600_NS6detail15normal_iteratorINS9_10device_ptrIiEEEESE_SE_iNS9_4plusIvEENS9_8equal_toIvEEiEE10hipError_tPvRmT2_T3_T4_T5_mT6_T7_P12ihipStream_tbENKUlT_T0_E_clISt17integral_constantIbLb1EESY_IbLb0EEEEDaSU_SV_EUlSU_E_NS1_11comp_targetILNS1_3genE10ELNS1_11target_archE1201ELNS1_3gpuE5ELNS1_3repE0EEENS1_30default_config_static_selectorELNS0_4arch9wavefront6targetE0EEEvT1_.private_seg_size, 0
	.set _ZN7rocprim17ROCPRIM_400000_NS6detail17trampoline_kernelINS0_14default_configENS1_27scan_by_key_config_selectorIiiEEZZNS1_16scan_by_key_implILNS1_25lookback_scan_determinismE0ELb0ES3_N6thrust23THRUST_200600_302600_NS6detail15normal_iteratorINS9_10device_ptrIiEEEESE_SE_iNS9_4plusIvEENS9_8equal_toIvEEiEE10hipError_tPvRmT2_T3_T4_T5_mT6_T7_P12ihipStream_tbENKUlT_T0_E_clISt17integral_constantIbLb1EESY_IbLb0EEEEDaSU_SV_EUlSU_E_NS1_11comp_targetILNS1_3genE10ELNS1_11target_archE1201ELNS1_3gpuE5ELNS1_3repE0EEENS1_30default_config_static_selectorELNS0_4arch9wavefront6targetE0EEEvT1_.uses_vcc, 0
	.set _ZN7rocprim17ROCPRIM_400000_NS6detail17trampoline_kernelINS0_14default_configENS1_27scan_by_key_config_selectorIiiEEZZNS1_16scan_by_key_implILNS1_25lookback_scan_determinismE0ELb0ES3_N6thrust23THRUST_200600_302600_NS6detail15normal_iteratorINS9_10device_ptrIiEEEESE_SE_iNS9_4plusIvEENS9_8equal_toIvEEiEE10hipError_tPvRmT2_T3_T4_T5_mT6_T7_P12ihipStream_tbENKUlT_T0_E_clISt17integral_constantIbLb1EESY_IbLb0EEEEDaSU_SV_EUlSU_E_NS1_11comp_targetILNS1_3genE10ELNS1_11target_archE1201ELNS1_3gpuE5ELNS1_3repE0EEENS1_30default_config_static_selectorELNS0_4arch9wavefront6targetE0EEEvT1_.uses_flat_scratch, 0
	.set _ZN7rocprim17ROCPRIM_400000_NS6detail17trampoline_kernelINS0_14default_configENS1_27scan_by_key_config_selectorIiiEEZZNS1_16scan_by_key_implILNS1_25lookback_scan_determinismE0ELb0ES3_N6thrust23THRUST_200600_302600_NS6detail15normal_iteratorINS9_10device_ptrIiEEEESE_SE_iNS9_4plusIvEENS9_8equal_toIvEEiEE10hipError_tPvRmT2_T3_T4_T5_mT6_T7_P12ihipStream_tbENKUlT_T0_E_clISt17integral_constantIbLb1EESY_IbLb0EEEEDaSU_SV_EUlSU_E_NS1_11comp_targetILNS1_3genE10ELNS1_11target_archE1201ELNS1_3gpuE5ELNS1_3repE0EEENS1_30default_config_static_selectorELNS0_4arch9wavefront6targetE0EEEvT1_.has_dyn_sized_stack, 0
	.set _ZN7rocprim17ROCPRIM_400000_NS6detail17trampoline_kernelINS0_14default_configENS1_27scan_by_key_config_selectorIiiEEZZNS1_16scan_by_key_implILNS1_25lookback_scan_determinismE0ELb0ES3_N6thrust23THRUST_200600_302600_NS6detail15normal_iteratorINS9_10device_ptrIiEEEESE_SE_iNS9_4plusIvEENS9_8equal_toIvEEiEE10hipError_tPvRmT2_T3_T4_T5_mT6_T7_P12ihipStream_tbENKUlT_T0_E_clISt17integral_constantIbLb1EESY_IbLb0EEEEDaSU_SV_EUlSU_E_NS1_11comp_targetILNS1_3genE10ELNS1_11target_archE1201ELNS1_3gpuE5ELNS1_3repE0EEENS1_30default_config_static_selectorELNS0_4arch9wavefront6targetE0EEEvT1_.has_recursion, 0
	.set _ZN7rocprim17ROCPRIM_400000_NS6detail17trampoline_kernelINS0_14default_configENS1_27scan_by_key_config_selectorIiiEEZZNS1_16scan_by_key_implILNS1_25lookback_scan_determinismE0ELb0ES3_N6thrust23THRUST_200600_302600_NS6detail15normal_iteratorINS9_10device_ptrIiEEEESE_SE_iNS9_4plusIvEENS9_8equal_toIvEEiEE10hipError_tPvRmT2_T3_T4_T5_mT6_T7_P12ihipStream_tbENKUlT_T0_E_clISt17integral_constantIbLb1EESY_IbLb0EEEEDaSU_SV_EUlSU_E_NS1_11comp_targetILNS1_3genE10ELNS1_11target_archE1201ELNS1_3gpuE5ELNS1_3repE0EEENS1_30default_config_static_selectorELNS0_4arch9wavefront6targetE0EEEvT1_.has_indirect_call, 0
	.section	.AMDGPU.csdata,"",@progbits
; Kernel info:
; codeLenInByte = 0
; TotalNumSgprs: 0
; NumVgprs: 0
; ScratchSize: 0
; MemoryBound: 0
; FloatMode: 240
; IeeeMode: 1
; LDSByteSize: 0 bytes/workgroup (compile time only)
; SGPRBlocks: 0
; VGPRBlocks: 0
; NumSGPRsForWavesPerEU: 1
; NumVGPRsForWavesPerEU: 1
; Occupancy: 16
; WaveLimiterHint : 0
; COMPUTE_PGM_RSRC2:SCRATCH_EN: 0
; COMPUTE_PGM_RSRC2:USER_SGPR: 6
; COMPUTE_PGM_RSRC2:TRAP_HANDLER: 0
; COMPUTE_PGM_RSRC2:TGID_X_EN: 1
; COMPUTE_PGM_RSRC2:TGID_Y_EN: 0
; COMPUTE_PGM_RSRC2:TGID_Z_EN: 0
; COMPUTE_PGM_RSRC2:TIDIG_COMP_CNT: 0
	.section	.text._ZN7rocprim17ROCPRIM_400000_NS6detail17trampoline_kernelINS0_14default_configENS1_27scan_by_key_config_selectorIiiEEZZNS1_16scan_by_key_implILNS1_25lookback_scan_determinismE0ELb0ES3_N6thrust23THRUST_200600_302600_NS6detail15normal_iteratorINS9_10device_ptrIiEEEESE_SE_iNS9_4plusIvEENS9_8equal_toIvEEiEE10hipError_tPvRmT2_T3_T4_T5_mT6_T7_P12ihipStream_tbENKUlT_T0_E_clISt17integral_constantIbLb1EESY_IbLb0EEEEDaSU_SV_EUlSU_E_NS1_11comp_targetILNS1_3genE5ELNS1_11target_archE942ELNS1_3gpuE9ELNS1_3repE0EEENS1_30default_config_static_selectorELNS0_4arch9wavefront6targetE0EEEvT1_,"axG",@progbits,_ZN7rocprim17ROCPRIM_400000_NS6detail17trampoline_kernelINS0_14default_configENS1_27scan_by_key_config_selectorIiiEEZZNS1_16scan_by_key_implILNS1_25lookback_scan_determinismE0ELb0ES3_N6thrust23THRUST_200600_302600_NS6detail15normal_iteratorINS9_10device_ptrIiEEEESE_SE_iNS9_4plusIvEENS9_8equal_toIvEEiEE10hipError_tPvRmT2_T3_T4_T5_mT6_T7_P12ihipStream_tbENKUlT_T0_E_clISt17integral_constantIbLb1EESY_IbLb0EEEEDaSU_SV_EUlSU_E_NS1_11comp_targetILNS1_3genE5ELNS1_11target_archE942ELNS1_3gpuE9ELNS1_3repE0EEENS1_30default_config_static_selectorELNS0_4arch9wavefront6targetE0EEEvT1_,comdat
	.protected	_ZN7rocprim17ROCPRIM_400000_NS6detail17trampoline_kernelINS0_14default_configENS1_27scan_by_key_config_selectorIiiEEZZNS1_16scan_by_key_implILNS1_25lookback_scan_determinismE0ELb0ES3_N6thrust23THRUST_200600_302600_NS6detail15normal_iteratorINS9_10device_ptrIiEEEESE_SE_iNS9_4plusIvEENS9_8equal_toIvEEiEE10hipError_tPvRmT2_T3_T4_T5_mT6_T7_P12ihipStream_tbENKUlT_T0_E_clISt17integral_constantIbLb1EESY_IbLb0EEEEDaSU_SV_EUlSU_E_NS1_11comp_targetILNS1_3genE5ELNS1_11target_archE942ELNS1_3gpuE9ELNS1_3repE0EEENS1_30default_config_static_selectorELNS0_4arch9wavefront6targetE0EEEvT1_ ; -- Begin function _ZN7rocprim17ROCPRIM_400000_NS6detail17trampoline_kernelINS0_14default_configENS1_27scan_by_key_config_selectorIiiEEZZNS1_16scan_by_key_implILNS1_25lookback_scan_determinismE0ELb0ES3_N6thrust23THRUST_200600_302600_NS6detail15normal_iteratorINS9_10device_ptrIiEEEESE_SE_iNS9_4plusIvEENS9_8equal_toIvEEiEE10hipError_tPvRmT2_T3_T4_T5_mT6_T7_P12ihipStream_tbENKUlT_T0_E_clISt17integral_constantIbLb1EESY_IbLb0EEEEDaSU_SV_EUlSU_E_NS1_11comp_targetILNS1_3genE5ELNS1_11target_archE942ELNS1_3gpuE9ELNS1_3repE0EEENS1_30default_config_static_selectorELNS0_4arch9wavefront6targetE0EEEvT1_
	.globl	_ZN7rocprim17ROCPRIM_400000_NS6detail17trampoline_kernelINS0_14default_configENS1_27scan_by_key_config_selectorIiiEEZZNS1_16scan_by_key_implILNS1_25lookback_scan_determinismE0ELb0ES3_N6thrust23THRUST_200600_302600_NS6detail15normal_iteratorINS9_10device_ptrIiEEEESE_SE_iNS9_4plusIvEENS9_8equal_toIvEEiEE10hipError_tPvRmT2_T3_T4_T5_mT6_T7_P12ihipStream_tbENKUlT_T0_E_clISt17integral_constantIbLb1EESY_IbLb0EEEEDaSU_SV_EUlSU_E_NS1_11comp_targetILNS1_3genE5ELNS1_11target_archE942ELNS1_3gpuE9ELNS1_3repE0EEENS1_30default_config_static_selectorELNS0_4arch9wavefront6targetE0EEEvT1_
	.p2align	8
	.type	_ZN7rocprim17ROCPRIM_400000_NS6detail17trampoline_kernelINS0_14default_configENS1_27scan_by_key_config_selectorIiiEEZZNS1_16scan_by_key_implILNS1_25lookback_scan_determinismE0ELb0ES3_N6thrust23THRUST_200600_302600_NS6detail15normal_iteratorINS9_10device_ptrIiEEEESE_SE_iNS9_4plusIvEENS9_8equal_toIvEEiEE10hipError_tPvRmT2_T3_T4_T5_mT6_T7_P12ihipStream_tbENKUlT_T0_E_clISt17integral_constantIbLb1EESY_IbLb0EEEEDaSU_SV_EUlSU_E_NS1_11comp_targetILNS1_3genE5ELNS1_11target_archE942ELNS1_3gpuE9ELNS1_3repE0EEENS1_30default_config_static_selectorELNS0_4arch9wavefront6targetE0EEEvT1_,@function
_ZN7rocprim17ROCPRIM_400000_NS6detail17trampoline_kernelINS0_14default_configENS1_27scan_by_key_config_selectorIiiEEZZNS1_16scan_by_key_implILNS1_25lookback_scan_determinismE0ELb0ES3_N6thrust23THRUST_200600_302600_NS6detail15normal_iteratorINS9_10device_ptrIiEEEESE_SE_iNS9_4plusIvEENS9_8equal_toIvEEiEE10hipError_tPvRmT2_T3_T4_T5_mT6_T7_P12ihipStream_tbENKUlT_T0_E_clISt17integral_constantIbLb1EESY_IbLb0EEEEDaSU_SV_EUlSU_E_NS1_11comp_targetILNS1_3genE5ELNS1_11target_archE942ELNS1_3gpuE9ELNS1_3repE0EEENS1_30default_config_static_selectorELNS0_4arch9wavefront6targetE0EEEvT1_: ; @_ZN7rocprim17ROCPRIM_400000_NS6detail17trampoline_kernelINS0_14default_configENS1_27scan_by_key_config_selectorIiiEEZZNS1_16scan_by_key_implILNS1_25lookback_scan_determinismE0ELb0ES3_N6thrust23THRUST_200600_302600_NS6detail15normal_iteratorINS9_10device_ptrIiEEEESE_SE_iNS9_4plusIvEENS9_8equal_toIvEEiEE10hipError_tPvRmT2_T3_T4_T5_mT6_T7_P12ihipStream_tbENKUlT_T0_E_clISt17integral_constantIbLb1EESY_IbLb0EEEEDaSU_SV_EUlSU_E_NS1_11comp_targetILNS1_3genE5ELNS1_11target_archE942ELNS1_3gpuE9ELNS1_3repE0EEENS1_30default_config_static_selectorELNS0_4arch9wavefront6targetE0EEEvT1_
; %bb.0:
	.section	.rodata,"a",@progbits
	.p2align	6, 0x0
	.amdhsa_kernel _ZN7rocprim17ROCPRIM_400000_NS6detail17trampoline_kernelINS0_14default_configENS1_27scan_by_key_config_selectorIiiEEZZNS1_16scan_by_key_implILNS1_25lookback_scan_determinismE0ELb0ES3_N6thrust23THRUST_200600_302600_NS6detail15normal_iteratorINS9_10device_ptrIiEEEESE_SE_iNS9_4plusIvEENS9_8equal_toIvEEiEE10hipError_tPvRmT2_T3_T4_T5_mT6_T7_P12ihipStream_tbENKUlT_T0_E_clISt17integral_constantIbLb1EESY_IbLb0EEEEDaSU_SV_EUlSU_E_NS1_11comp_targetILNS1_3genE5ELNS1_11target_archE942ELNS1_3gpuE9ELNS1_3repE0EEENS1_30default_config_static_selectorELNS0_4arch9wavefront6targetE0EEEvT1_
		.amdhsa_group_segment_fixed_size 0
		.amdhsa_private_segment_fixed_size 0
		.amdhsa_kernarg_size 112
		.amdhsa_user_sgpr_count 6
		.amdhsa_user_sgpr_private_segment_buffer 1
		.amdhsa_user_sgpr_dispatch_ptr 0
		.amdhsa_user_sgpr_queue_ptr 0
		.amdhsa_user_sgpr_kernarg_segment_ptr 1
		.amdhsa_user_sgpr_dispatch_id 0
		.amdhsa_user_sgpr_flat_scratch_init 0
		.amdhsa_user_sgpr_private_segment_size 0
		.amdhsa_wavefront_size32 1
		.amdhsa_uses_dynamic_stack 0
		.amdhsa_system_sgpr_private_segment_wavefront_offset 0
		.amdhsa_system_sgpr_workgroup_id_x 1
		.amdhsa_system_sgpr_workgroup_id_y 0
		.amdhsa_system_sgpr_workgroup_id_z 0
		.amdhsa_system_sgpr_workgroup_info 0
		.amdhsa_system_vgpr_workitem_id 0
		.amdhsa_next_free_vgpr 1
		.amdhsa_next_free_sgpr 1
		.amdhsa_reserve_vcc 0
		.amdhsa_reserve_flat_scratch 0
		.amdhsa_float_round_mode_32 0
		.amdhsa_float_round_mode_16_64 0
		.amdhsa_float_denorm_mode_32 3
		.amdhsa_float_denorm_mode_16_64 3
		.amdhsa_dx10_clamp 1
		.amdhsa_ieee_mode 1
		.amdhsa_fp16_overflow 0
		.amdhsa_workgroup_processor_mode 1
		.amdhsa_memory_ordered 1
		.amdhsa_forward_progress 1
		.amdhsa_shared_vgpr_count 0
		.amdhsa_exception_fp_ieee_invalid_op 0
		.amdhsa_exception_fp_denorm_src 0
		.amdhsa_exception_fp_ieee_div_zero 0
		.amdhsa_exception_fp_ieee_overflow 0
		.amdhsa_exception_fp_ieee_underflow 0
		.amdhsa_exception_fp_ieee_inexact 0
		.amdhsa_exception_int_div_zero 0
	.end_amdhsa_kernel
	.section	.text._ZN7rocprim17ROCPRIM_400000_NS6detail17trampoline_kernelINS0_14default_configENS1_27scan_by_key_config_selectorIiiEEZZNS1_16scan_by_key_implILNS1_25lookback_scan_determinismE0ELb0ES3_N6thrust23THRUST_200600_302600_NS6detail15normal_iteratorINS9_10device_ptrIiEEEESE_SE_iNS9_4plusIvEENS9_8equal_toIvEEiEE10hipError_tPvRmT2_T3_T4_T5_mT6_T7_P12ihipStream_tbENKUlT_T0_E_clISt17integral_constantIbLb1EESY_IbLb0EEEEDaSU_SV_EUlSU_E_NS1_11comp_targetILNS1_3genE5ELNS1_11target_archE942ELNS1_3gpuE9ELNS1_3repE0EEENS1_30default_config_static_selectorELNS0_4arch9wavefront6targetE0EEEvT1_,"axG",@progbits,_ZN7rocprim17ROCPRIM_400000_NS6detail17trampoline_kernelINS0_14default_configENS1_27scan_by_key_config_selectorIiiEEZZNS1_16scan_by_key_implILNS1_25lookback_scan_determinismE0ELb0ES3_N6thrust23THRUST_200600_302600_NS6detail15normal_iteratorINS9_10device_ptrIiEEEESE_SE_iNS9_4plusIvEENS9_8equal_toIvEEiEE10hipError_tPvRmT2_T3_T4_T5_mT6_T7_P12ihipStream_tbENKUlT_T0_E_clISt17integral_constantIbLb1EESY_IbLb0EEEEDaSU_SV_EUlSU_E_NS1_11comp_targetILNS1_3genE5ELNS1_11target_archE942ELNS1_3gpuE9ELNS1_3repE0EEENS1_30default_config_static_selectorELNS0_4arch9wavefront6targetE0EEEvT1_,comdat
.Lfunc_end146:
	.size	_ZN7rocprim17ROCPRIM_400000_NS6detail17trampoline_kernelINS0_14default_configENS1_27scan_by_key_config_selectorIiiEEZZNS1_16scan_by_key_implILNS1_25lookback_scan_determinismE0ELb0ES3_N6thrust23THRUST_200600_302600_NS6detail15normal_iteratorINS9_10device_ptrIiEEEESE_SE_iNS9_4plusIvEENS9_8equal_toIvEEiEE10hipError_tPvRmT2_T3_T4_T5_mT6_T7_P12ihipStream_tbENKUlT_T0_E_clISt17integral_constantIbLb1EESY_IbLb0EEEEDaSU_SV_EUlSU_E_NS1_11comp_targetILNS1_3genE5ELNS1_11target_archE942ELNS1_3gpuE9ELNS1_3repE0EEENS1_30default_config_static_selectorELNS0_4arch9wavefront6targetE0EEEvT1_, .Lfunc_end146-_ZN7rocprim17ROCPRIM_400000_NS6detail17trampoline_kernelINS0_14default_configENS1_27scan_by_key_config_selectorIiiEEZZNS1_16scan_by_key_implILNS1_25lookback_scan_determinismE0ELb0ES3_N6thrust23THRUST_200600_302600_NS6detail15normal_iteratorINS9_10device_ptrIiEEEESE_SE_iNS9_4plusIvEENS9_8equal_toIvEEiEE10hipError_tPvRmT2_T3_T4_T5_mT6_T7_P12ihipStream_tbENKUlT_T0_E_clISt17integral_constantIbLb1EESY_IbLb0EEEEDaSU_SV_EUlSU_E_NS1_11comp_targetILNS1_3genE5ELNS1_11target_archE942ELNS1_3gpuE9ELNS1_3repE0EEENS1_30default_config_static_selectorELNS0_4arch9wavefront6targetE0EEEvT1_
                                        ; -- End function
	.set _ZN7rocprim17ROCPRIM_400000_NS6detail17trampoline_kernelINS0_14default_configENS1_27scan_by_key_config_selectorIiiEEZZNS1_16scan_by_key_implILNS1_25lookback_scan_determinismE0ELb0ES3_N6thrust23THRUST_200600_302600_NS6detail15normal_iteratorINS9_10device_ptrIiEEEESE_SE_iNS9_4plusIvEENS9_8equal_toIvEEiEE10hipError_tPvRmT2_T3_T4_T5_mT6_T7_P12ihipStream_tbENKUlT_T0_E_clISt17integral_constantIbLb1EESY_IbLb0EEEEDaSU_SV_EUlSU_E_NS1_11comp_targetILNS1_3genE5ELNS1_11target_archE942ELNS1_3gpuE9ELNS1_3repE0EEENS1_30default_config_static_selectorELNS0_4arch9wavefront6targetE0EEEvT1_.num_vgpr, 0
	.set _ZN7rocprim17ROCPRIM_400000_NS6detail17trampoline_kernelINS0_14default_configENS1_27scan_by_key_config_selectorIiiEEZZNS1_16scan_by_key_implILNS1_25lookback_scan_determinismE0ELb0ES3_N6thrust23THRUST_200600_302600_NS6detail15normal_iteratorINS9_10device_ptrIiEEEESE_SE_iNS9_4plusIvEENS9_8equal_toIvEEiEE10hipError_tPvRmT2_T3_T4_T5_mT6_T7_P12ihipStream_tbENKUlT_T0_E_clISt17integral_constantIbLb1EESY_IbLb0EEEEDaSU_SV_EUlSU_E_NS1_11comp_targetILNS1_3genE5ELNS1_11target_archE942ELNS1_3gpuE9ELNS1_3repE0EEENS1_30default_config_static_selectorELNS0_4arch9wavefront6targetE0EEEvT1_.num_agpr, 0
	.set _ZN7rocprim17ROCPRIM_400000_NS6detail17trampoline_kernelINS0_14default_configENS1_27scan_by_key_config_selectorIiiEEZZNS1_16scan_by_key_implILNS1_25lookback_scan_determinismE0ELb0ES3_N6thrust23THRUST_200600_302600_NS6detail15normal_iteratorINS9_10device_ptrIiEEEESE_SE_iNS9_4plusIvEENS9_8equal_toIvEEiEE10hipError_tPvRmT2_T3_T4_T5_mT6_T7_P12ihipStream_tbENKUlT_T0_E_clISt17integral_constantIbLb1EESY_IbLb0EEEEDaSU_SV_EUlSU_E_NS1_11comp_targetILNS1_3genE5ELNS1_11target_archE942ELNS1_3gpuE9ELNS1_3repE0EEENS1_30default_config_static_selectorELNS0_4arch9wavefront6targetE0EEEvT1_.numbered_sgpr, 0
	.set _ZN7rocprim17ROCPRIM_400000_NS6detail17trampoline_kernelINS0_14default_configENS1_27scan_by_key_config_selectorIiiEEZZNS1_16scan_by_key_implILNS1_25lookback_scan_determinismE0ELb0ES3_N6thrust23THRUST_200600_302600_NS6detail15normal_iteratorINS9_10device_ptrIiEEEESE_SE_iNS9_4plusIvEENS9_8equal_toIvEEiEE10hipError_tPvRmT2_T3_T4_T5_mT6_T7_P12ihipStream_tbENKUlT_T0_E_clISt17integral_constantIbLb1EESY_IbLb0EEEEDaSU_SV_EUlSU_E_NS1_11comp_targetILNS1_3genE5ELNS1_11target_archE942ELNS1_3gpuE9ELNS1_3repE0EEENS1_30default_config_static_selectorELNS0_4arch9wavefront6targetE0EEEvT1_.num_named_barrier, 0
	.set _ZN7rocprim17ROCPRIM_400000_NS6detail17trampoline_kernelINS0_14default_configENS1_27scan_by_key_config_selectorIiiEEZZNS1_16scan_by_key_implILNS1_25lookback_scan_determinismE0ELb0ES3_N6thrust23THRUST_200600_302600_NS6detail15normal_iteratorINS9_10device_ptrIiEEEESE_SE_iNS9_4plusIvEENS9_8equal_toIvEEiEE10hipError_tPvRmT2_T3_T4_T5_mT6_T7_P12ihipStream_tbENKUlT_T0_E_clISt17integral_constantIbLb1EESY_IbLb0EEEEDaSU_SV_EUlSU_E_NS1_11comp_targetILNS1_3genE5ELNS1_11target_archE942ELNS1_3gpuE9ELNS1_3repE0EEENS1_30default_config_static_selectorELNS0_4arch9wavefront6targetE0EEEvT1_.private_seg_size, 0
	.set _ZN7rocprim17ROCPRIM_400000_NS6detail17trampoline_kernelINS0_14default_configENS1_27scan_by_key_config_selectorIiiEEZZNS1_16scan_by_key_implILNS1_25lookback_scan_determinismE0ELb0ES3_N6thrust23THRUST_200600_302600_NS6detail15normal_iteratorINS9_10device_ptrIiEEEESE_SE_iNS9_4plusIvEENS9_8equal_toIvEEiEE10hipError_tPvRmT2_T3_T4_T5_mT6_T7_P12ihipStream_tbENKUlT_T0_E_clISt17integral_constantIbLb1EESY_IbLb0EEEEDaSU_SV_EUlSU_E_NS1_11comp_targetILNS1_3genE5ELNS1_11target_archE942ELNS1_3gpuE9ELNS1_3repE0EEENS1_30default_config_static_selectorELNS0_4arch9wavefront6targetE0EEEvT1_.uses_vcc, 0
	.set _ZN7rocprim17ROCPRIM_400000_NS6detail17trampoline_kernelINS0_14default_configENS1_27scan_by_key_config_selectorIiiEEZZNS1_16scan_by_key_implILNS1_25lookback_scan_determinismE0ELb0ES3_N6thrust23THRUST_200600_302600_NS6detail15normal_iteratorINS9_10device_ptrIiEEEESE_SE_iNS9_4plusIvEENS9_8equal_toIvEEiEE10hipError_tPvRmT2_T3_T4_T5_mT6_T7_P12ihipStream_tbENKUlT_T0_E_clISt17integral_constantIbLb1EESY_IbLb0EEEEDaSU_SV_EUlSU_E_NS1_11comp_targetILNS1_3genE5ELNS1_11target_archE942ELNS1_3gpuE9ELNS1_3repE0EEENS1_30default_config_static_selectorELNS0_4arch9wavefront6targetE0EEEvT1_.uses_flat_scratch, 0
	.set _ZN7rocprim17ROCPRIM_400000_NS6detail17trampoline_kernelINS0_14default_configENS1_27scan_by_key_config_selectorIiiEEZZNS1_16scan_by_key_implILNS1_25lookback_scan_determinismE0ELb0ES3_N6thrust23THRUST_200600_302600_NS6detail15normal_iteratorINS9_10device_ptrIiEEEESE_SE_iNS9_4plusIvEENS9_8equal_toIvEEiEE10hipError_tPvRmT2_T3_T4_T5_mT6_T7_P12ihipStream_tbENKUlT_T0_E_clISt17integral_constantIbLb1EESY_IbLb0EEEEDaSU_SV_EUlSU_E_NS1_11comp_targetILNS1_3genE5ELNS1_11target_archE942ELNS1_3gpuE9ELNS1_3repE0EEENS1_30default_config_static_selectorELNS0_4arch9wavefront6targetE0EEEvT1_.has_dyn_sized_stack, 0
	.set _ZN7rocprim17ROCPRIM_400000_NS6detail17trampoline_kernelINS0_14default_configENS1_27scan_by_key_config_selectorIiiEEZZNS1_16scan_by_key_implILNS1_25lookback_scan_determinismE0ELb0ES3_N6thrust23THRUST_200600_302600_NS6detail15normal_iteratorINS9_10device_ptrIiEEEESE_SE_iNS9_4plusIvEENS9_8equal_toIvEEiEE10hipError_tPvRmT2_T3_T4_T5_mT6_T7_P12ihipStream_tbENKUlT_T0_E_clISt17integral_constantIbLb1EESY_IbLb0EEEEDaSU_SV_EUlSU_E_NS1_11comp_targetILNS1_3genE5ELNS1_11target_archE942ELNS1_3gpuE9ELNS1_3repE0EEENS1_30default_config_static_selectorELNS0_4arch9wavefront6targetE0EEEvT1_.has_recursion, 0
	.set _ZN7rocprim17ROCPRIM_400000_NS6detail17trampoline_kernelINS0_14default_configENS1_27scan_by_key_config_selectorIiiEEZZNS1_16scan_by_key_implILNS1_25lookback_scan_determinismE0ELb0ES3_N6thrust23THRUST_200600_302600_NS6detail15normal_iteratorINS9_10device_ptrIiEEEESE_SE_iNS9_4plusIvEENS9_8equal_toIvEEiEE10hipError_tPvRmT2_T3_T4_T5_mT6_T7_P12ihipStream_tbENKUlT_T0_E_clISt17integral_constantIbLb1EESY_IbLb0EEEEDaSU_SV_EUlSU_E_NS1_11comp_targetILNS1_3genE5ELNS1_11target_archE942ELNS1_3gpuE9ELNS1_3repE0EEENS1_30default_config_static_selectorELNS0_4arch9wavefront6targetE0EEEvT1_.has_indirect_call, 0
	.section	.AMDGPU.csdata,"",@progbits
; Kernel info:
; codeLenInByte = 0
; TotalNumSgprs: 0
; NumVgprs: 0
; ScratchSize: 0
; MemoryBound: 0
; FloatMode: 240
; IeeeMode: 1
; LDSByteSize: 0 bytes/workgroup (compile time only)
; SGPRBlocks: 0
; VGPRBlocks: 0
; NumSGPRsForWavesPerEU: 1
; NumVGPRsForWavesPerEU: 1
; Occupancy: 16
; WaveLimiterHint : 0
; COMPUTE_PGM_RSRC2:SCRATCH_EN: 0
; COMPUTE_PGM_RSRC2:USER_SGPR: 6
; COMPUTE_PGM_RSRC2:TRAP_HANDLER: 0
; COMPUTE_PGM_RSRC2:TGID_X_EN: 1
; COMPUTE_PGM_RSRC2:TGID_Y_EN: 0
; COMPUTE_PGM_RSRC2:TGID_Z_EN: 0
; COMPUTE_PGM_RSRC2:TIDIG_COMP_CNT: 0
	.section	.text._ZN7rocprim17ROCPRIM_400000_NS6detail17trampoline_kernelINS0_14default_configENS1_27scan_by_key_config_selectorIiiEEZZNS1_16scan_by_key_implILNS1_25lookback_scan_determinismE0ELb0ES3_N6thrust23THRUST_200600_302600_NS6detail15normal_iteratorINS9_10device_ptrIiEEEESE_SE_iNS9_4plusIvEENS9_8equal_toIvEEiEE10hipError_tPvRmT2_T3_T4_T5_mT6_T7_P12ihipStream_tbENKUlT_T0_E_clISt17integral_constantIbLb1EESY_IbLb0EEEEDaSU_SV_EUlSU_E_NS1_11comp_targetILNS1_3genE4ELNS1_11target_archE910ELNS1_3gpuE8ELNS1_3repE0EEENS1_30default_config_static_selectorELNS0_4arch9wavefront6targetE0EEEvT1_,"axG",@progbits,_ZN7rocprim17ROCPRIM_400000_NS6detail17trampoline_kernelINS0_14default_configENS1_27scan_by_key_config_selectorIiiEEZZNS1_16scan_by_key_implILNS1_25lookback_scan_determinismE0ELb0ES3_N6thrust23THRUST_200600_302600_NS6detail15normal_iteratorINS9_10device_ptrIiEEEESE_SE_iNS9_4plusIvEENS9_8equal_toIvEEiEE10hipError_tPvRmT2_T3_T4_T5_mT6_T7_P12ihipStream_tbENKUlT_T0_E_clISt17integral_constantIbLb1EESY_IbLb0EEEEDaSU_SV_EUlSU_E_NS1_11comp_targetILNS1_3genE4ELNS1_11target_archE910ELNS1_3gpuE8ELNS1_3repE0EEENS1_30default_config_static_selectorELNS0_4arch9wavefront6targetE0EEEvT1_,comdat
	.protected	_ZN7rocprim17ROCPRIM_400000_NS6detail17trampoline_kernelINS0_14default_configENS1_27scan_by_key_config_selectorIiiEEZZNS1_16scan_by_key_implILNS1_25lookback_scan_determinismE0ELb0ES3_N6thrust23THRUST_200600_302600_NS6detail15normal_iteratorINS9_10device_ptrIiEEEESE_SE_iNS9_4plusIvEENS9_8equal_toIvEEiEE10hipError_tPvRmT2_T3_T4_T5_mT6_T7_P12ihipStream_tbENKUlT_T0_E_clISt17integral_constantIbLb1EESY_IbLb0EEEEDaSU_SV_EUlSU_E_NS1_11comp_targetILNS1_3genE4ELNS1_11target_archE910ELNS1_3gpuE8ELNS1_3repE0EEENS1_30default_config_static_selectorELNS0_4arch9wavefront6targetE0EEEvT1_ ; -- Begin function _ZN7rocprim17ROCPRIM_400000_NS6detail17trampoline_kernelINS0_14default_configENS1_27scan_by_key_config_selectorIiiEEZZNS1_16scan_by_key_implILNS1_25lookback_scan_determinismE0ELb0ES3_N6thrust23THRUST_200600_302600_NS6detail15normal_iteratorINS9_10device_ptrIiEEEESE_SE_iNS9_4plusIvEENS9_8equal_toIvEEiEE10hipError_tPvRmT2_T3_T4_T5_mT6_T7_P12ihipStream_tbENKUlT_T0_E_clISt17integral_constantIbLb1EESY_IbLb0EEEEDaSU_SV_EUlSU_E_NS1_11comp_targetILNS1_3genE4ELNS1_11target_archE910ELNS1_3gpuE8ELNS1_3repE0EEENS1_30default_config_static_selectorELNS0_4arch9wavefront6targetE0EEEvT1_
	.globl	_ZN7rocprim17ROCPRIM_400000_NS6detail17trampoline_kernelINS0_14default_configENS1_27scan_by_key_config_selectorIiiEEZZNS1_16scan_by_key_implILNS1_25lookback_scan_determinismE0ELb0ES3_N6thrust23THRUST_200600_302600_NS6detail15normal_iteratorINS9_10device_ptrIiEEEESE_SE_iNS9_4plusIvEENS9_8equal_toIvEEiEE10hipError_tPvRmT2_T3_T4_T5_mT6_T7_P12ihipStream_tbENKUlT_T0_E_clISt17integral_constantIbLb1EESY_IbLb0EEEEDaSU_SV_EUlSU_E_NS1_11comp_targetILNS1_3genE4ELNS1_11target_archE910ELNS1_3gpuE8ELNS1_3repE0EEENS1_30default_config_static_selectorELNS0_4arch9wavefront6targetE0EEEvT1_
	.p2align	8
	.type	_ZN7rocprim17ROCPRIM_400000_NS6detail17trampoline_kernelINS0_14default_configENS1_27scan_by_key_config_selectorIiiEEZZNS1_16scan_by_key_implILNS1_25lookback_scan_determinismE0ELb0ES3_N6thrust23THRUST_200600_302600_NS6detail15normal_iteratorINS9_10device_ptrIiEEEESE_SE_iNS9_4plusIvEENS9_8equal_toIvEEiEE10hipError_tPvRmT2_T3_T4_T5_mT6_T7_P12ihipStream_tbENKUlT_T0_E_clISt17integral_constantIbLb1EESY_IbLb0EEEEDaSU_SV_EUlSU_E_NS1_11comp_targetILNS1_3genE4ELNS1_11target_archE910ELNS1_3gpuE8ELNS1_3repE0EEENS1_30default_config_static_selectorELNS0_4arch9wavefront6targetE0EEEvT1_,@function
_ZN7rocprim17ROCPRIM_400000_NS6detail17trampoline_kernelINS0_14default_configENS1_27scan_by_key_config_selectorIiiEEZZNS1_16scan_by_key_implILNS1_25lookback_scan_determinismE0ELb0ES3_N6thrust23THRUST_200600_302600_NS6detail15normal_iteratorINS9_10device_ptrIiEEEESE_SE_iNS9_4plusIvEENS9_8equal_toIvEEiEE10hipError_tPvRmT2_T3_T4_T5_mT6_T7_P12ihipStream_tbENKUlT_T0_E_clISt17integral_constantIbLb1EESY_IbLb0EEEEDaSU_SV_EUlSU_E_NS1_11comp_targetILNS1_3genE4ELNS1_11target_archE910ELNS1_3gpuE8ELNS1_3repE0EEENS1_30default_config_static_selectorELNS0_4arch9wavefront6targetE0EEEvT1_: ; @_ZN7rocprim17ROCPRIM_400000_NS6detail17trampoline_kernelINS0_14default_configENS1_27scan_by_key_config_selectorIiiEEZZNS1_16scan_by_key_implILNS1_25lookback_scan_determinismE0ELb0ES3_N6thrust23THRUST_200600_302600_NS6detail15normal_iteratorINS9_10device_ptrIiEEEESE_SE_iNS9_4plusIvEENS9_8equal_toIvEEiEE10hipError_tPvRmT2_T3_T4_T5_mT6_T7_P12ihipStream_tbENKUlT_T0_E_clISt17integral_constantIbLb1EESY_IbLb0EEEEDaSU_SV_EUlSU_E_NS1_11comp_targetILNS1_3genE4ELNS1_11target_archE910ELNS1_3gpuE8ELNS1_3repE0EEENS1_30default_config_static_selectorELNS0_4arch9wavefront6targetE0EEEvT1_
; %bb.0:
	.section	.rodata,"a",@progbits
	.p2align	6, 0x0
	.amdhsa_kernel _ZN7rocprim17ROCPRIM_400000_NS6detail17trampoline_kernelINS0_14default_configENS1_27scan_by_key_config_selectorIiiEEZZNS1_16scan_by_key_implILNS1_25lookback_scan_determinismE0ELb0ES3_N6thrust23THRUST_200600_302600_NS6detail15normal_iteratorINS9_10device_ptrIiEEEESE_SE_iNS9_4plusIvEENS9_8equal_toIvEEiEE10hipError_tPvRmT2_T3_T4_T5_mT6_T7_P12ihipStream_tbENKUlT_T0_E_clISt17integral_constantIbLb1EESY_IbLb0EEEEDaSU_SV_EUlSU_E_NS1_11comp_targetILNS1_3genE4ELNS1_11target_archE910ELNS1_3gpuE8ELNS1_3repE0EEENS1_30default_config_static_selectorELNS0_4arch9wavefront6targetE0EEEvT1_
		.amdhsa_group_segment_fixed_size 0
		.amdhsa_private_segment_fixed_size 0
		.amdhsa_kernarg_size 112
		.amdhsa_user_sgpr_count 6
		.amdhsa_user_sgpr_private_segment_buffer 1
		.amdhsa_user_sgpr_dispatch_ptr 0
		.amdhsa_user_sgpr_queue_ptr 0
		.amdhsa_user_sgpr_kernarg_segment_ptr 1
		.amdhsa_user_sgpr_dispatch_id 0
		.amdhsa_user_sgpr_flat_scratch_init 0
		.amdhsa_user_sgpr_private_segment_size 0
		.amdhsa_wavefront_size32 1
		.amdhsa_uses_dynamic_stack 0
		.amdhsa_system_sgpr_private_segment_wavefront_offset 0
		.amdhsa_system_sgpr_workgroup_id_x 1
		.amdhsa_system_sgpr_workgroup_id_y 0
		.amdhsa_system_sgpr_workgroup_id_z 0
		.amdhsa_system_sgpr_workgroup_info 0
		.amdhsa_system_vgpr_workitem_id 0
		.amdhsa_next_free_vgpr 1
		.amdhsa_next_free_sgpr 1
		.amdhsa_reserve_vcc 0
		.amdhsa_reserve_flat_scratch 0
		.amdhsa_float_round_mode_32 0
		.amdhsa_float_round_mode_16_64 0
		.amdhsa_float_denorm_mode_32 3
		.amdhsa_float_denorm_mode_16_64 3
		.amdhsa_dx10_clamp 1
		.amdhsa_ieee_mode 1
		.amdhsa_fp16_overflow 0
		.amdhsa_workgroup_processor_mode 1
		.amdhsa_memory_ordered 1
		.amdhsa_forward_progress 1
		.amdhsa_shared_vgpr_count 0
		.amdhsa_exception_fp_ieee_invalid_op 0
		.amdhsa_exception_fp_denorm_src 0
		.amdhsa_exception_fp_ieee_div_zero 0
		.amdhsa_exception_fp_ieee_overflow 0
		.amdhsa_exception_fp_ieee_underflow 0
		.amdhsa_exception_fp_ieee_inexact 0
		.amdhsa_exception_int_div_zero 0
	.end_amdhsa_kernel
	.section	.text._ZN7rocprim17ROCPRIM_400000_NS6detail17trampoline_kernelINS0_14default_configENS1_27scan_by_key_config_selectorIiiEEZZNS1_16scan_by_key_implILNS1_25lookback_scan_determinismE0ELb0ES3_N6thrust23THRUST_200600_302600_NS6detail15normal_iteratorINS9_10device_ptrIiEEEESE_SE_iNS9_4plusIvEENS9_8equal_toIvEEiEE10hipError_tPvRmT2_T3_T4_T5_mT6_T7_P12ihipStream_tbENKUlT_T0_E_clISt17integral_constantIbLb1EESY_IbLb0EEEEDaSU_SV_EUlSU_E_NS1_11comp_targetILNS1_3genE4ELNS1_11target_archE910ELNS1_3gpuE8ELNS1_3repE0EEENS1_30default_config_static_selectorELNS0_4arch9wavefront6targetE0EEEvT1_,"axG",@progbits,_ZN7rocprim17ROCPRIM_400000_NS6detail17trampoline_kernelINS0_14default_configENS1_27scan_by_key_config_selectorIiiEEZZNS1_16scan_by_key_implILNS1_25lookback_scan_determinismE0ELb0ES3_N6thrust23THRUST_200600_302600_NS6detail15normal_iteratorINS9_10device_ptrIiEEEESE_SE_iNS9_4plusIvEENS9_8equal_toIvEEiEE10hipError_tPvRmT2_T3_T4_T5_mT6_T7_P12ihipStream_tbENKUlT_T0_E_clISt17integral_constantIbLb1EESY_IbLb0EEEEDaSU_SV_EUlSU_E_NS1_11comp_targetILNS1_3genE4ELNS1_11target_archE910ELNS1_3gpuE8ELNS1_3repE0EEENS1_30default_config_static_selectorELNS0_4arch9wavefront6targetE0EEEvT1_,comdat
.Lfunc_end147:
	.size	_ZN7rocprim17ROCPRIM_400000_NS6detail17trampoline_kernelINS0_14default_configENS1_27scan_by_key_config_selectorIiiEEZZNS1_16scan_by_key_implILNS1_25lookback_scan_determinismE0ELb0ES3_N6thrust23THRUST_200600_302600_NS6detail15normal_iteratorINS9_10device_ptrIiEEEESE_SE_iNS9_4plusIvEENS9_8equal_toIvEEiEE10hipError_tPvRmT2_T3_T4_T5_mT6_T7_P12ihipStream_tbENKUlT_T0_E_clISt17integral_constantIbLb1EESY_IbLb0EEEEDaSU_SV_EUlSU_E_NS1_11comp_targetILNS1_3genE4ELNS1_11target_archE910ELNS1_3gpuE8ELNS1_3repE0EEENS1_30default_config_static_selectorELNS0_4arch9wavefront6targetE0EEEvT1_, .Lfunc_end147-_ZN7rocprim17ROCPRIM_400000_NS6detail17trampoline_kernelINS0_14default_configENS1_27scan_by_key_config_selectorIiiEEZZNS1_16scan_by_key_implILNS1_25lookback_scan_determinismE0ELb0ES3_N6thrust23THRUST_200600_302600_NS6detail15normal_iteratorINS9_10device_ptrIiEEEESE_SE_iNS9_4plusIvEENS9_8equal_toIvEEiEE10hipError_tPvRmT2_T3_T4_T5_mT6_T7_P12ihipStream_tbENKUlT_T0_E_clISt17integral_constantIbLb1EESY_IbLb0EEEEDaSU_SV_EUlSU_E_NS1_11comp_targetILNS1_3genE4ELNS1_11target_archE910ELNS1_3gpuE8ELNS1_3repE0EEENS1_30default_config_static_selectorELNS0_4arch9wavefront6targetE0EEEvT1_
                                        ; -- End function
	.set _ZN7rocprim17ROCPRIM_400000_NS6detail17trampoline_kernelINS0_14default_configENS1_27scan_by_key_config_selectorIiiEEZZNS1_16scan_by_key_implILNS1_25lookback_scan_determinismE0ELb0ES3_N6thrust23THRUST_200600_302600_NS6detail15normal_iteratorINS9_10device_ptrIiEEEESE_SE_iNS9_4plusIvEENS9_8equal_toIvEEiEE10hipError_tPvRmT2_T3_T4_T5_mT6_T7_P12ihipStream_tbENKUlT_T0_E_clISt17integral_constantIbLb1EESY_IbLb0EEEEDaSU_SV_EUlSU_E_NS1_11comp_targetILNS1_3genE4ELNS1_11target_archE910ELNS1_3gpuE8ELNS1_3repE0EEENS1_30default_config_static_selectorELNS0_4arch9wavefront6targetE0EEEvT1_.num_vgpr, 0
	.set _ZN7rocprim17ROCPRIM_400000_NS6detail17trampoline_kernelINS0_14default_configENS1_27scan_by_key_config_selectorIiiEEZZNS1_16scan_by_key_implILNS1_25lookback_scan_determinismE0ELb0ES3_N6thrust23THRUST_200600_302600_NS6detail15normal_iteratorINS9_10device_ptrIiEEEESE_SE_iNS9_4plusIvEENS9_8equal_toIvEEiEE10hipError_tPvRmT2_T3_T4_T5_mT6_T7_P12ihipStream_tbENKUlT_T0_E_clISt17integral_constantIbLb1EESY_IbLb0EEEEDaSU_SV_EUlSU_E_NS1_11comp_targetILNS1_3genE4ELNS1_11target_archE910ELNS1_3gpuE8ELNS1_3repE0EEENS1_30default_config_static_selectorELNS0_4arch9wavefront6targetE0EEEvT1_.num_agpr, 0
	.set _ZN7rocprim17ROCPRIM_400000_NS6detail17trampoline_kernelINS0_14default_configENS1_27scan_by_key_config_selectorIiiEEZZNS1_16scan_by_key_implILNS1_25lookback_scan_determinismE0ELb0ES3_N6thrust23THRUST_200600_302600_NS6detail15normal_iteratorINS9_10device_ptrIiEEEESE_SE_iNS9_4plusIvEENS9_8equal_toIvEEiEE10hipError_tPvRmT2_T3_T4_T5_mT6_T7_P12ihipStream_tbENKUlT_T0_E_clISt17integral_constantIbLb1EESY_IbLb0EEEEDaSU_SV_EUlSU_E_NS1_11comp_targetILNS1_3genE4ELNS1_11target_archE910ELNS1_3gpuE8ELNS1_3repE0EEENS1_30default_config_static_selectorELNS0_4arch9wavefront6targetE0EEEvT1_.numbered_sgpr, 0
	.set _ZN7rocprim17ROCPRIM_400000_NS6detail17trampoline_kernelINS0_14default_configENS1_27scan_by_key_config_selectorIiiEEZZNS1_16scan_by_key_implILNS1_25lookback_scan_determinismE0ELb0ES3_N6thrust23THRUST_200600_302600_NS6detail15normal_iteratorINS9_10device_ptrIiEEEESE_SE_iNS9_4plusIvEENS9_8equal_toIvEEiEE10hipError_tPvRmT2_T3_T4_T5_mT6_T7_P12ihipStream_tbENKUlT_T0_E_clISt17integral_constantIbLb1EESY_IbLb0EEEEDaSU_SV_EUlSU_E_NS1_11comp_targetILNS1_3genE4ELNS1_11target_archE910ELNS1_3gpuE8ELNS1_3repE0EEENS1_30default_config_static_selectorELNS0_4arch9wavefront6targetE0EEEvT1_.num_named_barrier, 0
	.set _ZN7rocprim17ROCPRIM_400000_NS6detail17trampoline_kernelINS0_14default_configENS1_27scan_by_key_config_selectorIiiEEZZNS1_16scan_by_key_implILNS1_25lookback_scan_determinismE0ELb0ES3_N6thrust23THRUST_200600_302600_NS6detail15normal_iteratorINS9_10device_ptrIiEEEESE_SE_iNS9_4plusIvEENS9_8equal_toIvEEiEE10hipError_tPvRmT2_T3_T4_T5_mT6_T7_P12ihipStream_tbENKUlT_T0_E_clISt17integral_constantIbLb1EESY_IbLb0EEEEDaSU_SV_EUlSU_E_NS1_11comp_targetILNS1_3genE4ELNS1_11target_archE910ELNS1_3gpuE8ELNS1_3repE0EEENS1_30default_config_static_selectorELNS0_4arch9wavefront6targetE0EEEvT1_.private_seg_size, 0
	.set _ZN7rocprim17ROCPRIM_400000_NS6detail17trampoline_kernelINS0_14default_configENS1_27scan_by_key_config_selectorIiiEEZZNS1_16scan_by_key_implILNS1_25lookback_scan_determinismE0ELb0ES3_N6thrust23THRUST_200600_302600_NS6detail15normal_iteratorINS9_10device_ptrIiEEEESE_SE_iNS9_4plusIvEENS9_8equal_toIvEEiEE10hipError_tPvRmT2_T3_T4_T5_mT6_T7_P12ihipStream_tbENKUlT_T0_E_clISt17integral_constantIbLb1EESY_IbLb0EEEEDaSU_SV_EUlSU_E_NS1_11comp_targetILNS1_3genE4ELNS1_11target_archE910ELNS1_3gpuE8ELNS1_3repE0EEENS1_30default_config_static_selectorELNS0_4arch9wavefront6targetE0EEEvT1_.uses_vcc, 0
	.set _ZN7rocprim17ROCPRIM_400000_NS6detail17trampoline_kernelINS0_14default_configENS1_27scan_by_key_config_selectorIiiEEZZNS1_16scan_by_key_implILNS1_25lookback_scan_determinismE0ELb0ES3_N6thrust23THRUST_200600_302600_NS6detail15normal_iteratorINS9_10device_ptrIiEEEESE_SE_iNS9_4plusIvEENS9_8equal_toIvEEiEE10hipError_tPvRmT2_T3_T4_T5_mT6_T7_P12ihipStream_tbENKUlT_T0_E_clISt17integral_constantIbLb1EESY_IbLb0EEEEDaSU_SV_EUlSU_E_NS1_11comp_targetILNS1_3genE4ELNS1_11target_archE910ELNS1_3gpuE8ELNS1_3repE0EEENS1_30default_config_static_selectorELNS0_4arch9wavefront6targetE0EEEvT1_.uses_flat_scratch, 0
	.set _ZN7rocprim17ROCPRIM_400000_NS6detail17trampoline_kernelINS0_14default_configENS1_27scan_by_key_config_selectorIiiEEZZNS1_16scan_by_key_implILNS1_25lookback_scan_determinismE0ELb0ES3_N6thrust23THRUST_200600_302600_NS6detail15normal_iteratorINS9_10device_ptrIiEEEESE_SE_iNS9_4plusIvEENS9_8equal_toIvEEiEE10hipError_tPvRmT2_T3_T4_T5_mT6_T7_P12ihipStream_tbENKUlT_T0_E_clISt17integral_constantIbLb1EESY_IbLb0EEEEDaSU_SV_EUlSU_E_NS1_11comp_targetILNS1_3genE4ELNS1_11target_archE910ELNS1_3gpuE8ELNS1_3repE0EEENS1_30default_config_static_selectorELNS0_4arch9wavefront6targetE0EEEvT1_.has_dyn_sized_stack, 0
	.set _ZN7rocprim17ROCPRIM_400000_NS6detail17trampoline_kernelINS0_14default_configENS1_27scan_by_key_config_selectorIiiEEZZNS1_16scan_by_key_implILNS1_25lookback_scan_determinismE0ELb0ES3_N6thrust23THRUST_200600_302600_NS6detail15normal_iteratorINS9_10device_ptrIiEEEESE_SE_iNS9_4plusIvEENS9_8equal_toIvEEiEE10hipError_tPvRmT2_T3_T4_T5_mT6_T7_P12ihipStream_tbENKUlT_T0_E_clISt17integral_constantIbLb1EESY_IbLb0EEEEDaSU_SV_EUlSU_E_NS1_11comp_targetILNS1_3genE4ELNS1_11target_archE910ELNS1_3gpuE8ELNS1_3repE0EEENS1_30default_config_static_selectorELNS0_4arch9wavefront6targetE0EEEvT1_.has_recursion, 0
	.set _ZN7rocprim17ROCPRIM_400000_NS6detail17trampoline_kernelINS0_14default_configENS1_27scan_by_key_config_selectorIiiEEZZNS1_16scan_by_key_implILNS1_25lookback_scan_determinismE0ELb0ES3_N6thrust23THRUST_200600_302600_NS6detail15normal_iteratorINS9_10device_ptrIiEEEESE_SE_iNS9_4plusIvEENS9_8equal_toIvEEiEE10hipError_tPvRmT2_T3_T4_T5_mT6_T7_P12ihipStream_tbENKUlT_T0_E_clISt17integral_constantIbLb1EESY_IbLb0EEEEDaSU_SV_EUlSU_E_NS1_11comp_targetILNS1_3genE4ELNS1_11target_archE910ELNS1_3gpuE8ELNS1_3repE0EEENS1_30default_config_static_selectorELNS0_4arch9wavefront6targetE0EEEvT1_.has_indirect_call, 0
	.section	.AMDGPU.csdata,"",@progbits
; Kernel info:
; codeLenInByte = 0
; TotalNumSgprs: 0
; NumVgprs: 0
; ScratchSize: 0
; MemoryBound: 0
; FloatMode: 240
; IeeeMode: 1
; LDSByteSize: 0 bytes/workgroup (compile time only)
; SGPRBlocks: 0
; VGPRBlocks: 0
; NumSGPRsForWavesPerEU: 1
; NumVGPRsForWavesPerEU: 1
; Occupancy: 16
; WaveLimiterHint : 0
; COMPUTE_PGM_RSRC2:SCRATCH_EN: 0
; COMPUTE_PGM_RSRC2:USER_SGPR: 6
; COMPUTE_PGM_RSRC2:TRAP_HANDLER: 0
; COMPUTE_PGM_RSRC2:TGID_X_EN: 1
; COMPUTE_PGM_RSRC2:TGID_Y_EN: 0
; COMPUTE_PGM_RSRC2:TGID_Z_EN: 0
; COMPUTE_PGM_RSRC2:TIDIG_COMP_CNT: 0
	.section	.text._ZN7rocprim17ROCPRIM_400000_NS6detail17trampoline_kernelINS0_14default_configENS1_27scan_by_key_config_selectorIiiEEZZNS1_16scan_by_key_implILNS1_25lookback_scan_determinismE0ELb0ES3_N6thrust23THRUST_200600_302600_NS6detail15normal_iteratorINS9_10device_ptrIiEEEESE_SE_iNS9_4plusIvEENS9_8equal_toIvEEiEE10hipError_tPvRmT2_T3_T4_T5_mT6_T7_P12ihipStream_tbENKUlT_T0_E_clISt17integral_constantIbLb1EESY_IbLb0EEEEDaSU_SV_EUlSU_E_NS1_11comp_targetILNS1_3genE3ELNS1_11target_archE908ELNS1_3gpuE7ELNS1_3repE0EEENS1_30default_config_static_selectorELNS0_4arch9wavefront6targetE0EEEvT1_,"axG",@progbits,_ZN7rocprim17ROCPRIM_400000_NS6detail17trampoline_kernelINS0_14default_configENS1_27scan_by_key_config_selectorIiiEEZZNS1_16scan_by_key_implILNS1_25lookback_scan_determinismE0ELb0ES3_N6thrust23THRUST_200600_302600_NS6detail15normal_iteratorINS9_10device_ptrIiEEEESE_SE_iNS9_4plusIvEENS9_8equal_toIvEEiEE10hipError_tPvRmT2_T3_T4_T5_mT6_T7_P12ihipStream_tbENKUlT_T0_E_clISt17integral_constantIbLb1EESY_IbLb0EEEEDaSU_SV_EUlSU_E_NS1_11comp_targetILNS1_3genE3ELNS1_11target_archE908ELNS1_3gpuE7ELNS1_3repE0EEENS1_30default_config_static_selectorELNS0_4arch9wavefront6targetE0EEEvT1_,comdat
	.protected	_ZN7rocprim17ROCPRIM_400000_NS6detail17trampoline_kernelINS0_14default_configENS1_27scan_by_key_config_selectorIiiEEZZNS1_16scan_by_key_implILNS1_25lookback_scan_determinismE0ELb0ES3_N6thrust23THRUST_200600_302600_NS6detail15normal_iteratorINS9_10device_ptrIiEEEESE_SE_iNS9_4plusIvEENS9_8equal_toIvEEiEE10hipError_tPvRmT2_T3_T4_T5_mT6_T7_P12ihipStream_tbENKUlT_T0_E_clISt17integral_constantIbLb1EESY_IbLb0EEEEDaSU_SV_EUlSU_E_NS1_11comp_targetILNS1_3genE3ELNS1_11target_archE908ELNS1_3gpuE7ELNS1_3repE0EEENS1_30default_config_static_selectorELNS0_4arch9wavefront6targetE0EEEvT1_ ; -- Begin function _ZN7rocprim17ROCPRIM_400000_NS6detail17trampoline_kernelINS0_14default_configENS1_27scan_by_key_config_selectorIiiEEZZNS1_16scan_by_key_implILNS1_25lookback_scan_determinismE0ELb0ES3_N6thrust23THRUST_200600_302600_NS6detail15normal_iteratorINS9_10device_ptrIiEEEESE_SE_iNS9_4plusIvEENS9_8equal_toIvEEiEE10hipError_tPvRmT2_T3_T4_T5_mT6_T7_P12ihipStream_tbENKUlT_T0_E_clISt17integral_constantIbLb1EESY_IbLb0EEEEDaSU_SV_EUlSU_E_NS1_11comp_targetILNS1_3genE3ELNS1_11target_archE908ELNS1_3gpuE7ELNS1_3repE0EEENS1_30default_config_static_selectorELNS0_4arch9wavefront6targetE0EEEvT1_
	.globl	_ZN7rocprim17ROCPRIM_400000_NS6detail17trampoline_kernelINS0_14default_configENS1_27scan_by_key_config_selectorIiiEEZZNS1_16scan_by_key_implILNS1_25lookback_scan_determinismE0ELb0ES3_N6thrust23THRUST_200600_302600_NS6detail15normal_iteratorINS9_10device_ptrIiEEEESE_SE_iNS9_4plusIvEENS9_8equal_toIvEEiEE10hipError_tPvRmT2_T3_T4_T5_mT6_T7_P12ihipStream_tbENKUlT_T0_E_clISt17integral_constantIbLb1EESY_IbLb0EEEEDaSU_SV_EUlSU_E_NS1_11comp_targetILNS1_3genE3ELNS1_11target_archE908ELNS1_3gpuE7ELNS1_3repE0EEENS1_30default_config_static_selectorELNS0_4arch9wavefront6targetE0EEEvT1_
	.p2align	8
	.type	_ZN7rocprim17ROCPRIM_400000_NS6detail17trampoline_kernelINS0_14default_configENS1_27scan_by_key_config_selectorIiiEEZZNS1_16scan_by_key_implILNS1_25lookback_scan_determinismE0ELb0ES3_N6thrust23THRUST_200600_302600_NS6detail15normal_iteratorINS9_10device_ptrIiEEEESE_SE_iNS9_4plusIvEENS9_8equal_toIvEEiEE10hipError_tPvRmT2_T3_T4_T5_mT6_T7_P12ihipStream_tbENKUlT_T0_E_clISt17integral_constantIbLb1EESY_IbLb0EEEEDaSU_SV_EUlSU_E_NS1_11comp_targetILNS1_3genE3ELNS1_11target_archE908ELNS1_3gpuE7ELNS1_3repE0EEENS1_30default_config_static_selectorELNS0_4arch9wavefront6targetE0EEEvT1_,@function
_ZN7rocprim17ROCPRIM_400000_NS6detail17trampoline_kernelINS0_14default_configENS1_27scan_by_key_config_selectorIiiEEZZNS1_16scan_by_key_implILNS1_25lookback_scan_determinismE0ELb0ES3_N6thrust23THRUST_200600_302600_NS6detail15normal_iteratorINS9_10device_ptrIiEEEESE_SE_iNS9_4plusIvEENS9_8equal_toIvEEiEE10hipError_tPvRmT2_T3_T4_T5_mT6_T7_P12ihipStream_tbENKUlT_T0_E_clISt17integral_constantIbLb1EESY_IbLb0EEEEDaSU_SV_EUlSU_E_NS1_11comp_targetILNS1_3genE3ELNS1_11target_archE908ELNS1_3gpuE7ELNS1_3repE0EEENS1_30default_config_static_selectorELNS0_4arch9wavefront6targetE0EEEvT1_: ; @_ZN7rocprim17ROCPRIM_400000_NS6detail17trampoline_kernelINS0_14default_configENS1_27scan_by_key_config_selectorIiiEEZZNS1_16scan_by_key_implILNS1_25lookback_scan_determinismE0ELb0ES3_N6thrust23THRUST_200600_302600_NS6detail15normal_iteratorINS9_10device_ptrIiEEEESE_SE_iNS9_4plusIvEENS9_8equal_toIvEEiEE10hipError_tPvRmT2_T3_T4_T5_mT6_T7_P12ihipStream_tbENKUlT_T0_E_clISt17integral_constantIbLb1EESY_IbLb0EEEEDaSU_SV_EUlSU_E_NS1_11comp_targetILNS1_3genE3ELNS1_11target_archE908ELNS1_3gpuE7ELNS1_3repE0EEENS1_30default_config_static_selectorELNS0_4arch9wavefront6targetE0EEEvT1_
; %bb.0:
	.section	.rodata,"a",@progbits
	.p2align	6, 0x0
	.amdhsa_kernel _ZN7rocprim17ROCPRIM_400000_NS6detail17trampoline_kernelINS0_14default_configENS1_27scan_by_key_config_selectorIiiEEZZNS1_16scan_by_key_implILNS1_25lookback_scan_determinismE0ELb0ES3_N6thrust23THRUST_200600_302600_NS6detail15normal_iteratorINS9_10device_ptrIiEEEESE_SE_iNS9_4plusIvEENS9_8equal_toIvEEiEE10hipError_tPvRmT2_T3_T4_T5_mT6_T7_P12ihipStream_tbENKUlT_T0_E_clISt17integral_constantIbLb1EESY_IbLb0EEEEDaSU_SV_EUlSU_E_NS1_11comp_targetILNS1_3genE3ELNS1_11target_archE908ELNS1_3gpuE7ELNS1_3repE0EEENS1_30default_config_static_selectorELNS0_4arch9wavefront6targetE0EEEvT1_
		.amdhsa_group_segment_fixed_size 0
		.amdhsa_private_segment_fixed_size 0
		.amdhsa_kernarg_size 112
		.amdhsa_user_sgpr_count 6
		.amdhsa_user_sgpr_private_segment_buffer 1
		.amdhsa_user_sgpr_dispatch_ptr 0
		.amdhsa_user_sgpr_queue_ptr 0
		.amdhsa_user_sgpr_kernarg_segment_ptr 1
		.amdhsa_user_sgpr_dispatch_id 0
		.amdhsa_user_sgpr_flat_scratch_init 0
		.amdhsa_user_sgpr_private_segment_size 0
		.amdhsa_wavefront_size32 1
		.amdhsa_uses_dynamic_stack 0
		.amdhsa_system_sgpr_private_segment_wavefront_offset 0
		.amdhsa_system_sgpr_workgroup_id_x 1
		.amdhsa_system_sgpr_workgroup_id_y 0
		.amdhsa_system_sgpr_workgroup_id_z 0
		.amdhsa_system_sgpr_workgroup_info 0
		.amdhsa_system_vgpr_workitem_id 0
		.amdhsa_next_free_vgpr 1
		.amdhsa_next_free_sgpr 1
		.amdhsa_reserve_vcc 0
		.amdhsa_reserve_flat_scratch 0
		.amdhsa_float_round_mode_32 0
		.amdhsa_float_round_mode_16_64 0
		.amdhsa_float_denorm_mode_32 3
		.amdhsa_float_denorm_mode_16_64 3
		.amdhsa_dx10_clamp 1
		.amdhsa_ieee_mode 1
		.amdhsa_fp16_overflow 0
		.amdhsa_workgroup_processor_mode 1
		.amdhsa_memory_ordered 1
		.amdhsa_forward_progress 1
		.amdhsa_shared_vgpr_count 0
		.amdhsa_exception_fp_ieee_invalid_op 0
		.amdhsa_exception_fp_denorm_src 0
		.amdhsa_exception_fp_ieee_div_zero 0
		.amdhsa_exception_fp_ieee_overflow 0
		.amdhsa_exception_fp_ieee_underflow 0
		.amdhsa_exception_fp_ieee_inexact 0
		.amdhsa_exception_int_div_zero 0
	.end_amdhsa_kernel
	.section	.text._ZN7rocprim17ROCPRIM_400000_NS6detail17trampoline_kernelINS0_14default_configENS1_27scan_by_key_config_selectorIiiEEZZNS1_16scan_by_key_implILNS1_25lookback_scan_determinismE0ELb0ES3_N6thrust23THRUST_200600_302600_NS6detail15normal_iteratorINS9_10device_ptrIiEEEESE_SE_iNS9_4plusIvEENS9_8equal_toIvEEiEE10hipError_tPvRmT2_T3_T4_T5_mT6_T7_P12ihipStream_tbENKUlT_T0_E_clISt17integral_constantIbLb1EESY_IbLb0EEEEDaSU_SV_EUlSU_E_NS1_11comp_targetILNS1_3genE3ELNS1_11target_archE908ELNS1_3gpuE7ELNS1_3repE0EEENS1_30default_config_static_selectorELNS0_4arch9wavefront6targetE0EEEvT1_,"axG",@progbits,_ZN7rocprim17ROCPRIM_400000_NS6detail17trampoline_kernelINS0_14default_configENS1_27scan_by_key_config_selectorIiiEEZZNS1_16scan_by_key_implILNS1_25lookback_scan_determinismE0ELb0ES3_N6thrust23THRUST_200600_302600_NS6detail15normal_iteratorINS9_10device_ptrIiEEEESE_SE_iNS9_4plusIvEENS9_8equal_toIvEEiEE10hipError_tPvRmT2_T3_T4_T5_mT6_T7_P12ihipStream_tbENKUlT_T0_E_clISt17integral_constantIbLb1EESY_IbLb0EEEEDaSU_SV_EUlSU_E_NS1_11comp_targetILNS1_3genE3ELNS1_11target_archE908ELNS1_3gpuE7ELNS1_3repE0EEENS1_30default_config_static_selectorELNS0_4arch9wavefront6targetE0EEEvT1_,comdat
.Lfunc_end148:
	.size	_ZN7rocprim17ROCPRIM_400000_NS6detail17trampoline_kernelINS0_14default_configENS1_27scan_by_key_config_selectorIiiEEZZNS1_16scan_by_key_implILNS1_25lookback_scan_determinismE0ELb0ES3_N6thrust23THRUST_200600_302600_NS6detail15normal_iteratorINS9_10device_ptrIiEEEESE_SE_iNS9_4plusIvEENS9_8equal_toIvEEiEE10hipError_tPvRmT2_T3_T4_T5_mT6_T7_P12ihipStream_tbENKUlT_T0_E_clISt17integral_constantIbLb1EESY_IbLb0EEEEDaSU_SV_EUlSU_E_NS1_11comp_targetILNS1_3genE3ELNS1_11target_archE908ELNS1_3gpuE7ELNS1_3repE0EEENS1_30default_config_static_selectorELNS0_4arch9wavefront6targetE0EEEvT1_, .Lfunc_end148-_ZN7rocprim17ROCPRIM_400000_NS6detail17trampoline_kernelINS0_14default_configENS1_27scan_by_key_config_selectorIiiEEZZNS1_16scan_by_key_implILNS1_25lookback_scan_determinismE0ELb0ES3_N6thrust23THRUST_200600_302600_NS6detail15normal_iteratorINS9_10device_ptrIiEEEESE_SE_iNS9_4plusIvEENS9_8equal_toIvEEiEE10hipError_tPvRmT2_T3_T4_T5_mT6_T7_P12ihipStream_tbENKUlT_T0_E_clISt17integral_constantIbLb1EESY_IbLb0EEEEDaSU_SV_EUlSU_E_NS1_11comp_targetILNS1_3genE3ELNS1_11target_archE908ELNS1_3gpuE7ELNS1_3repE0EEENS1_30default_config_static_selectorELNS0_4arch9wavefront6targetE0EEEvT1_
                                        ; -- End function
	.set _ZN7rocprim17ROCPRIM_400000_NS6detail17trampoline_kernelINS0_14default_configENS1_27scan_by_key_config_selectorIiiEEZZNS1_16scan_by_key_implILNS1_25lookback_scan_determinismE0ELb0ES3_N6thrust23THRUST_200600_302600_NS6detail15normal_iteratorINS9_10device_ptrIiEEEESE_SE_iNS9_4plusIvEENS9_8equal_toIvEEiEE10hipError_tPvRmT2_T3_T4_T5_mT6_T7_P12ihipStream_tbENKUlT_T0_E_clISt17integral_constantIbLb1EESY_IbLb0EEEEDaSU_SV_EUlSU_E_NS1_11comp_targetILNS1_3genE3ELNS1_11target_archE908ELNS1_3gpuE7ELNS1_3repE0EEENS1_30default_config_static_selectorELNS0_4arch9wavefront6targetE0EEEvT1_.num_vgpr, 0
	.set _ZN7rocprim17ROCPRIM_400000_NS6detail17trampoline_kernelINS0_14default_configENS1_27scan_by_key_config_selectorIiiEEZZNS1_16scan_by_key_implILNS1_25lookback_scan_determinismE0ELb0ES3_N6thrust23THRUST_200600_302600_NS6detail15normal_iteratorINS9_10device_ptrIiEEEESE_SE_iNS9_4plusIvEENS9_8equal_toIvEEiEE10hipError_tPvRmT2_T3_T4_T5_mT6_T7_P12ihipStream_tbENKUlT_T0_E_clISt17integral_constantIbLb1EESY_IbLb0EEEEDaSU_SV_EUlSU_E_NS1_11comp_targetILNS1_3genE3ELNS1_11target_archE908ELNS1_3gpuE7ELNS1_3repE0EEENS1_30default_config_static_selectorELNS0_4arch9wavefront6targetE0EEEvT1_.num_agpr, 0
	.set _ZN7rocprim17ROCPRIM_400000_NS6detail17trampoline_kernelINS0_14default_configENS1_27scan_by_key_config_selectorIiiEEZZNS1_16scan_by_key_implILNS1_25lookback_scan_determinismE0ELb0ES3_N6thrust23THRUST_200600_302600_NS6detail15normal_iteratorINS9_10device_ptrIiEEEESE_SE_iNS9_4plusIvEENS9_8equal_toIvEEiEE10hipError_tPvRmT2_T3_T4_T5_mT6_T7_P12ihipStream_tbENKUlT_T0_E_clISt17integral_constantIbLb1EESY_IbLb0EEEEDaSU_SV_EUlSU_E_NS1_11comp_targetILNS1_3genE3ELNS1_11target_archE908ELNS1_3gpuE7ELNS1_3repE0EEENS1_30default_config_static_selectorELNS0_4arch9wavefront6targetE0EEEvT1_.numbered_sgpr, 0
	.set _ZN7rocprim17ROCPRIM_400000_NS6detail17trampoline_kernelINS0_14default_configENS1_27scan_by_key_config_selectorIiiEEZZNS1_16scan_by_key_implILNS1_25lookback_scan_determinismE0ELb0ES3_N6thrust23THRUST_200600_302600_NS6detail15normal_iteratorINS9_10device_ptrIiEEEESE_SE_iNS9_4plusIvEENS9_8equal_toIvEEiEE10hipError_tPvRmT2_T3_T4_T5_mT6_T7_P12ihipStream_tbENKUlT_T0_E_clISt17integral_constantIbLb1EESY_IbLb0EEEEDaSU_SV_EUlSU_E_NS1_11comp_targetILNS1_3genE3ELNS1_11target_archE908ELNS1_3gpuE7ELNS1_3repE0EEENS1_30default_config_static_selectorELNS0_4arch9wavefront6targetE0EEEvT1_.num_named_barrier, 0
	.set _ZN7rocprim17ROCPRIM_400000_NS6detail17trampoline_kernelINS0_14default_configENS1_27scan_by_key_config_selectorIiiEEZZNS1_16scan_by_key_implILNS1_25lookback_scan_determinismE0ELb0ES3_N6thrust23THRUST_200600_302600_NS6detail15normal_iteratorINS9_10device_ptrIiEEEESE_SE_iNS9_4plusIvEENS9_8equal_toIvEEiEE10hipError_tPvRmT2_T3_T4_T5_mT6_T7_P12ihipStream_tbENKUlT_T0_E_clISt17integral_constantIbLb1EESY_IbLb0EEEEDaSU_SV_EUlSU_E_NS1_11comp_targetILNS1_3genE3ELNS1_11target_archE908ELNS1_3gpuE7ELNS1_3repE0EEENS1_30default_config_static_selectorELNS0_4arch9wavefront6targetE0EEEvT1_.private_seg_size, 0
	.set _ZN7rocprim17ROCPRIM_400000_NS6detail17trampoline_kernelINS0_14default_configENS1_27scan_by_key_config_selectorIiiEEZZNS1_16scan_by_key_implILNS1_25lookback_scan_determinismE0ELb0ES3_N6thrust23THRUST_200600_302600_NS6detail15normal_iteratorINS9_10device_ptrIiEEEESE_SE_iNS9_4plusIvEENS9_8equal_toIvEEiEE10hipError_tPvRmT2_T3_T4_T5_mT6_T7_P12ihipStream_tbENKUlT_T0_E_clISt17integral_constantIbLb1EESY_IbLb0EEEEDaSU_SV_EUlSU_E_NS1_11comp_targetILNS1_3genE3ELNS1_11target_archE908ELNS1_3gpuE7ELNS1_3repE0EEENS1_30default_config_static_selectorELNS0_4arch9wavefront6targetE0EEEvT1_.uses_vcc, 0
	.set _ZN7rocprim17ROCPRIM_400000_NS6detail17trampoline_kernelINS0_14default_configENS1_27scan_by_key_config_selectorIiiEEZZNS1_16scan_by_key_implILNS1_25lookback_scan_determinismE0ELb0ES3_N6thrust23THRUST_200600_302600_NS6detail15normal_iteratorINS9_10device_ptrIiEEEESE_SE_iNS9_4plusIvEENS9_8equal_toIvEEiEE10hipError_tPvRmT2_T3_T4_T5_mT6_T7_P12ihipStream_tbENKUlT_T0_E_clISt17integral_constantIbLb1EESY_IbLb0EEEEDaSU_SV_EUlSU_E_NS1_11comp_targetILNS1_3genE3ELNS1_11target_archE908ELNS1_3gpuE7ELNS1_3repE0EEENS1_30default_config_static_selectorELNS0_4arch9wavefront6targetE0EEEvT1_.uses_flat_scratch, 0
	.set _ZN7rocprim17ROCPRIM_400000_NS6detail17trampoline_kernelINS0_14default_configENS1_27scan_by_key_config_selectorIiiEEZZNS1_16scan_by_key_implILNS1_25lookback_scan_determinismE0ELb0ES3_N6thrust23THRUST_200600_302600_NS6detail15normal_iteratorINS9_10device_ptrIiEEEESE_SE_iNS9_4plusIvEENS9_8equal_toIvEEiEE10hipError_tPvRmT2_T3_T4_T5_mT6_T7_P12ihipStream_tbENKUlT_T0_E_clISt17integral_constantIbLb1EESY_IbLb0EEEEDaSU_SV_EUlSU_E_NS1_11comp_targetILNS1_3genE3ELNS1_11target_archE908ELNS1_3gpuE7ELNS1_3repE0EEENS1_30default_config_static_selectorELNS0_4arch9wavefront6targetE0EEEvT1_.has_dyn_sized_stack, 0
	.set _ZN7rocprim17ROCPRIM_400000_NS6detail17trampoline_kernelINS0_14default_configENS1_27scan_by_key_config_selectorIiiEEZZNS1_16scan_by_key_implILNS1_25lookback_scan_determinismE0ELb0ES3_N6thrust23THRUST_200600_302600_NS6detail15normal_iteratorINS9_10device_ptrIiEEEESE_SE_iNS9_4plusIvEENS9_8equal_toIvEEiEE10hipError_tPvRmT2_T3_T4_T5_mT6_T7_P12ihipStream_tbENKUlT_T0_E_clISt17integral_constantIbLb1EESY_IbLb0EEEEDaSU_SV_EUlSU_E_NS1_11comp_targetILNS1_3genE3ELNS1_11target_archE908ELNS1_3gpuE7ELNS1_3repE0EEENS1_30default_config_static_selectorELNS0_4arch9wavefront6targetE0EEEvT1_.has_recursion, 0
	.set _ZN7rocprim17ROCPRIM_400000_NS6detail17trampoline_kernelINS0_14default_configENS1_27scan_by_key_config_selectorIiiEEZZNS1_16scan_by_key_implILNS1_25lookback_scan_determinismE0ELb0ES3_N6thrust23THRUST_200600_302600_NS6detail15normal_iteratorINS9_10device_ptrIiEEEESE_SE_iNS9_4plusIvEENS9_8equal_toIvEEiEE10hipError_tPvRmT2_T3_T4_T5_mT6_T7_P12ihipStream_tbENKUlT_T0_E_clISt17integral_constantIbLb1EESY_IbLb0EEEEDaSU_SV_EUlSU_E_NS1_11comp_targetILNS1_3genE3ELNS1_11target_archE908ELNS1_3gpuE7ELNS1_3repE0EEENS1_30default_config_static_selectorELNS0_4arch9wavefront6targetE0EEEvT1_.has_indirect_call, 0
	.section	.AMDGPU.csdata,"",@progbits
; Kernel info:
; codeLenInByte = 0
; TotalNumSgprs: 0
; NumVgprs: 0
; ScratchSize: 0
; MemoryBound: 0
; FloatMode: 240
; IeeeMode: 1
; LDSByteSize: 0 bytes/workgroup (compile time only)
; SGPRBlocks: 0
; VGPRBlocks: 0
; NumSGPRsForWavesPerEU: 1
; NumVGPRsForWavesPerEU: 1
; Occupancy: 16
; WaveLimiterHint : 0
; COMPUTE_PGM_RSRC2:SCRATCH_EN: 0
; COMPUTE_PGM_RSRC2:USER_SGPR: 6
; COMPUTE_PGM_RSRC2:TRAP_HANDLER: 0
; COMPUTE_PGM_RSRC2:TGID_X_EN: 1
; COMPUTE_PGM_RSRC2:TGID_Y_EN: 0
; COMPUTE_PGM_RSRC2:TGID_Z_EN: 0
; COMPUTE_PGM_RSRC2:TIDIG_COMP_CNT: 0
	.section	.text._ZN7rocprim17ROCPRIM_400000_NS6detail17trampoline_kernelINS0_14default_configENS1_27scan_by_key_config_selectorIiiEEZZNS1_16scan_by_key_implILNS1_25lookback_scan_determinismE0ELb0ES3_N6thrust23THRUST_200600_302600_NS6detail15normal_iteratorINS9_10device_ptrIiEEEESE_SE_iNS9_4plusIvEENS9_8equal_toIvEEiEE10hipError_tPvRmT2_T3_T4_T5_mT6_T7_P12ihipStream_tbENKUlT_T0_E_clISt17integral_constantIbLb1EESY_IbLb0EEEEDaSU_SV_EUlSU_E_NS1_11comp_targetILNS1_3genE2ELNS1_11target_archE906ELNS1_3gpuE6ELNS1_3repE0EEENS1_30default_config_static_selectorELNS0_4arch9wavefront6targetE0EEEvT1_,"axG",@progbits,_ZN7rocprim17ROCPRIM_400000_NS6detail17trampoline_kernelINS0_14default_configENS1_27scan_by_key_config_selectorIiiEEZZNS1_16scan_by_key_implILNS1_25lookback_scan_determinismE0ELb0ES3_N6thrust23THRUST_200600_302600_NS6detail15normal_iteratorINS9_10device_ptrIiEEEESE_SE_iNS9_4plusIvEENS9_8equal_toIvEEiEE10hipError_tPvRmT2_T3_T4_T5_mT6_T7_P12ihipStream_tbENKUlT_T0_E_clISt17integral_constantIbLb1EESY_IbLb0EEEEDaSU_SV_EUlSU_E_NS1_11comp_targetILNS1_3genE2ELNS1_11target_archE906ELNS1_3gpuE6ELNS1_3repE0EEENS1_30default_config_static_selectorELNS0_4arch9wavefront6targetE0EEEvT1_,comdat
	.protected	_ZN7rocprim17ROCPRIM_400000_NS6detail17trampoline_kernelINS0_14default_configENS1_27scan_by_key_config_selectorIiiEEZZNS1_16scan_by_key_implILNS1_25lookback_scan_determinismE0ELb0ES3_N6thrust23THRUST_200600_302600_NS6detail15normal_iteratorINS9_10device_ptrIiEEEESE_SE_iNS9_4plusIvEENS9_8equal_toIvEEiEE10hipError_tPvRmT2_T3_T4_T5_mT6_T7_P12ihipStream_tbENKUlT_T0_E_clISt17integral_constantIbLb1EESY_IbLb0EEEEDaSU_SV_EUlSU_E_NS1_11comp_targetILNS1_3genE2ELNS1_11target_archE906ELNS1_3gpuE6ELNS1_3repE0EEENS1_30default_config_static_selectorELNS0_4arch9wavefront6targetE0EEEvT1_ ; -- Begin function _ZN7rocprim17ROCPRIM_400000_NS6detail17trampoline_kernelINS0_14default_configENS1_27scan_by_key_config_selectorIiiEEZZNS1_16scan_by_key_implILNS1_25lookback_scan_determinismE0ELb0ES3_N6thrust23THRUST_200600_302600_NS6detail15normal_iteratorINS9_10device_ptrIiEEEESE_SE_iNS9_4plusIvEENS9_8equal_toIvEEiEE10hipError_tPvRmT2_T3_T4_T5_mT6_T7_P12ihipStream_tbENKUlT_T0_E_clISt17integral_constantIbLb1EESY_IbLb0EEEEDaSU_SV_EUlSU_E_NS1_11comp_targetILNS1_3genE2ELNS1_11target_archE906ELNS1_3gpuE6ELNS1_3repE0EEENS1_30default_config_static_selectorELNS0_4arch9wavefront6targetE0EEEvT1_
	.globl	_ZN7rocprim17ROCPRIM_400000_NS6detail17trampoline_kernelINS0_14default_configENS1_27scan_by_key_config_selectorIiiEEZZNS1_16scan_by_key_implILNS1_25lookback_scan_determinismE0ELb0ES3_N6thrust23THRUST_200600_302600_NS6detail15normal_iteratorINS9_10device_ptrIiEEEESE_SE_iNS9_4plusIvEENS9_8equal_toIvEEiEE10hipError_tPvRmT2_T3_T4_T5_mT6_T7_P12ihipStream_tbENKUlT_T0_E_clISt17integral_constantIbLb1EESY_IbLb0EEEEDaSU_SV_EUlSU_E_NS1_11comp_targetILNS1_3genE2ELNS1_11target_archE906ELNS1_3gpuE6ELNS1_3repE0EEENS1_30default_config_static_selectorELNS0_4arch9wavefront6targetE0EEEvT1_
	.p2align	8
	.type	_ZN7rocprim17ROCPRIM_400000_NS6detail17trampoline_kernelINS0_14default_configENS1_27scan_by_key_config_selectorIiiEEZZNS1_16scan_by_key_implILNS1_25lookback_scan_determinismE0ELb0ES3_N6thrust23THRUST_200600_302600_NS6detail15normal_iteratorINS9_10device_ptrIiEEEESE_SE_iNS9_4plusIvEENS9_8equal_toIvEEiEE10hipError_tPvRmT2_T3_T4_T5_mT6_T7_P12ihipStream_tbENKUlT_T0_E_clISt17integral_constantIbLb1EESY_IbLb0EEEEDaSU_SV_EUlSU_E_NS1_11comp_targetILNS1_3genE2ELNS1_11target_archE906ELNS1_3gpuE6ELNS1_3repE0EEENS1_30default_config_static_selectorELNS0_4arch9wavefront6targetE0EEEvT1_,@function
_ZN7rocprim17ROCPRIM_400000_NS6detail17trampoline_kernelINS0_14default_configENS1_27scan_by_key_config_selectorIiiEEZZNS1_16scan_by_key_implILNS1_25lookback_scan_determinismE0ELb0ES3_N6thrust23THRUST_200600_302600_NS6detail15normal_iteratorINS9_10device_ptrIiEEEESE_SE_iNS9_4plusIvEENS9_8equal_toIvEEiEE10hipError_tPvRmT2_T3_T4_T5_mT6_T7_P12ihipStream_tbENKUlT_T0_E_clISt17integral_constantIbLb1EESY_IbLb0EEEEDaSU_SV_EUlSU_E_NS1_11comp_targetILNS1_3genE2ELNS1_11target_archE906ELNS1_3gpuE6ELNS1_3repE0EEENS1_30default_config_static_selectorELNS0_4arch9wavefront6targetE0EEEvT1_: ; @_ZN7rocprim17ROCPRIM_400000_NS6detail17trampoline_kernelINS0_14default_configENS1_27scan_by_key_config_selectorIiiEEZZNS1_16scan_by_key_implILNS1_25lookback_scan_determinismE0ELb0ES3_N6thrust23THRUST_200600_302600_NS6detail15normal_iteratorINS9_10device_ptrIiEEEESE_SE_iNS9_4plusIvEENS9_8equal_toIvEEiEE10hipError_tPvRmT2_T3_T4_T5_mT6_T7_P12ihipStream_tbENKUlT_T0_E_clISt17integral_constantIbLb1EESY_IbLb0EEEEDaSU_SV_EUlSU_E_NS1_11comp_targetILNS1_3genE2ELNS1_11target_archE906ELNS1_3gpuE6ELNS1_3repE0EEENS1_30default_config_static_selectorELNS0_4arch9wavefront6targetE0EEEvT1_
; %bb.0:
	.section	.rodata,"a",@progbits
	.p2align	6, 0x0
	.amdhsa_kernel _ZN7rocprim17ROCPRIM_400000_NS6detail17trampoline_kernelINS0_14default_configENS1_27scan_by_key_config_selectorIiiEEZZNS1_16scan_by_key_implILNS1_25lookback_scan_determinismE0ELb0ES3_N6thrust23THRUST_200600_302600_NS6detail15normal_iteratorINS9_10device_ptrIiEEEESE_SE_iNS9_4plusIvEENS9_8equal_toIvEEiEE10hipError_tPvRmT2_T3_T4_T5_mT6_T7_P12ihipStream_tbENKUlT_T0_E_clISt17integral_constantIbLb1EESY_IbLb0EEEEDaSU_SV_EUlSU_E_NS1_11comp_targetILNS1_3genE2ELNS1_11target_archE906ELNS1_3gpuE6ELNS1_3repE0EEENS1_30default_config_static_selectorELNS0_4arch9wavefront6targetE0EEEvT1_
		.amdhsa_group_segment_fixed_size 0
		.amdhsa_private_segment_fixed_size 0
		.amdhsa_kernarg_size 112
		.amdhsa_user_sgpr_count 6
		.amdhsa_user_sgpr_private_segment_buffer 1
		.amdhsa_user_sgpr_dispatch_ptr 0
		.amdhsa_user_sgpr_queue_ptr 0
		.amdhsa_user_sgpr_kernarg_segment_ptr 1
		.amdhsa_user_sgpr_dispatch_id 0
		.amdhsa_user_sgpr_flat_scratch_init 0
		.amdhsa_user_sgpr_private_segment_size 0
		.amdhsa_wavefront_size32 1
		.amdhsa_uses_dynamic_stack 0
		.amdhsa_system_sgpr_private_segment_wavefront_offset 0
		.amdhsa_system_sgpr_workgroup_id_x 1
		.amdhsa_system_sgpr_workgroup_id_y 0
		.amdhsa_system_sgpr_workgroup_id_z 0
		.amdhsa_system_sgpr_workgroup_info 0
		.amdhsa_system_vgpr_workitem_id 0
		.amdhsa_next_free_vgpr 1
		.amdhsa_next_free_sgpr 1
		.amdhsa_reserve_vcc 0
		.amdhsa_reserve_flat_scratch 0
		.amdhsa_float_round_mode_32 0
		.amdhsa_float_round_mode_16_64 0
		.amdhsa_float_denorm_mode_32 3
		.amdhsa_float_denorm_mode_16_64 3
		.amdhsa_dx10_clamp 1
		.amdhsa_ieee_mode 1
		.amdhsa_fp16_overflow 0
		.amdhsa_workgroup_processor_mode 1
		.amdhsa_memory_ordered 1
		.amdhsa_forward_progress 1
		.amdhsa_shared_vgpr_count 0
		.amdhsa_exception_fp_ieee_invalid_op 0
		.amdhsa_exception_fp_denorm_src 0
		.amdhsa_exception_fp_ieee_div_zero 0
		.amdhsa_exception_fp_ieee_overflow 0
		.amdhsa_exception_fp_ieee_underflow 0
		.amdhsa_exception_fp_ieee_inexact 0
		.amdhsa_exception_int_div_zero 0
	.end_amdhsa_kernel
	.section	.text._ZN7rocprim17ROCPRIM_400000_NS6detail17trampoline_kernelINS0_14default_configENS1_27scan_by_key_config_selectorIiiEEZZNS1_16scan_by_key_implILNS1_25lookback_scan_determinismE0ELb0ES3_N6thrust23THRUST_200600_302600_NS6detail15normal_iteratorINS9_10device_ptrIiEEEESE_SE_iNS9_4plusIvEENS9_8equal_toIvEEiEE10hipError_tPvRmT2_T3_T4_T5_mT6_T7_P12ihipStream_tbENKUlT_T0_E_clISt17integral_constantIbLb1EESY_IbLb0EEEEDaSU_SV_EUlSU_E_NS1_11comp_targetILNS1_3genE2ELNS1_11target_archE906ELNS1_3gpuE6ELNS1_3repE0EEENS1_30default_config_static_selectorELNS0_4arch9wavefront6targetE0EEEvT1_,"axG",@progbits,_ZN7rocprim17ROCPRIM_400000_NS6detail17trampoline_kernelINS0_14default_configENS1_27scan_by_key_config_selectorIiiEEZZNS1_16scan_by_key_implILNS1_25lookback_scan_determinismE0ELb0ES3_N6thrust23THRUST_200600_302600_NS6detail15normal_iteratorINS9_10device_ptrIiEEEESE_SE_iNS9_4plusIvEENS9_8equal_toIvEEiEE10hipError_tPvRmT2_T3_T4_T5_mT6_T7_P12ihipStream_tbENKUlT_T0_E_clISt17integral_constantIbLb1EESY_IbLb0EEEEDaSU_SV_EUlSU_E_NS1_11comp_targetILNS1_3genE2ELNS1_11target_archE906ELNS1_3gpuE6ELNS1_3repE0EEENS1_30default_config_static_selectorELNS0_4arch9wavefront6targetE0EEEvT1_,comdat
.Lfunc_end149:
	.size	_ZN7rocprim17ROCPRIM_400000_NS6detail17trampoline_kernelINS0_14default_configENS1_27scan_by_key_config_selectorIiiEEZZNS1_16scan_by_key_implILNS1_25lookback_scan_determinismE0ELb0ES3_N6thrust23THRUST_200600_302600_NS6detail15normal_iteratorINS9_10device_ptrIiEEEESE_SE_iNS9_4plusIvEENS9_8equal_toIvEEiEE10hipError_tPvRmT2_T3_T4_T5_mT6_T7_P12ihipStream_tbENKUlT_T0_E_clISt17integral_constantIbLb1EESY_IbLb0EEEEDaSU_SV_EUlSU_E_NS1_11comp_targetILNS1_3genE2ELNS1_11target_archE906ELNS1_3gpuE6ELNS1_3repE0EEENS1_30default_config_static_selectorELNS0_4arch9wavefront6targetE0EEEvT1_, .Lfunc_end149-_ZN7rocprim17ROCPRIM_400000_NS6detail17trampoline_kernelINS0_14default_configENS1_27scan_by_key_config_selectorIiiEEZZNS1_16scan_by_key_implILNS1_25lookback_scan_determinismE0ELb0ES3_N6thrust23THRUST_200600_302600_NS6detail15normal_iteratorINS9_10device_ptrIiEEEESE_SE_iNS9_4plusIvEENS9_8equal_toIvEEiEE10hipError_tPvRmT2_T3_T4_T5_mT6_T7_P12ihipStream_tbENKUlT_T0_E_clISt17integral_constantIbLb1EESY_IbLb0EEEEDaSU_SV_EUlSU_E_NS1_11comp_targetILNS1_3genE2ELNS1_11target_archE906ELNS1_3gpuE6ELNS1_3repE0EEENS1_30default_config_static_selectorELNS0_4arch9wavefront6targetE0EEEvT1_
                                        ; -- End function
	.set _ZN7rocprim17ROCPRIM_400000_NS6detail17trampoline_kernelINS0_14default_configENS1_27scan_by_key_config_selectorIiiEEZZNS1_16scan_by_key_implILNS1_25lookback_scan_determinismE0ELb0ES3_N6thrust23THRUST_200600_302600_NS6detail15normal_iteratorINS9_10device_ptrIiEEEESE_SE_iNS9_4plusIvEENS9_8equal_toIvEEiEE10hipError_tPvRmT2_T3_T4_T5_mT6_T7_P12ihipStream_tbENKUlT_T0_E_clISt17integral_constantIbLb1EESY_IbLb0EEEEDaSU_SV_EUlSU_E_NS1_11comp_targetILNS1_3genE2ELNS1_11target_archE906ELNS1_3gpuE6ELNS1_3repE0EEENS1_30default_config_static_selectorELNS0_4arch9wavefront6targetE0EEEvT1_.num_vgpr, 0
	.set _ZN7rocprim17ROCPRIM_400000_NS6detail17trampoline_kernelINS0_14default_configENS1_27scan_by_key_config_selectorIiiEEZZNS1_16scan_by_key_implILNS1_25lookback_scan_determinismE0ELb0ES3_N6thrust23THRUST_200600_302600_NS6detail15normal_iteratorINS9_10device_ptrIiEEEESE_SE_iNS9_4plusIvEENS9_8equal_toIvEEiEE10hipError_tPvRmT2_T3_T4_T5_mT6_T7_P12ihipStream_tbENKUlT_T0_E_clISt17integral_constantIbLb1EESY_IbLb0EEEEDaSU_SV_EUlSU_E_NS1_11comp_targetILNS1_3genE2ELNS1_11target_archE906ELNS1_3gpuE6ELNS1_3repE0EEENS1_30default_config_static_selectorELNS0_4arch9wavefront6targetE0EEEvT1_.num_agpr, 0
	.set _ZN7rocprim17ROCPRIM_400000_NS6detail17trampoline_kernelINS0_14default_configENS1_27scan_by_key_config_selectorIiiEEZZNS1_16scan_by_key_implILNS1_25lookback_scan_determinismE0ELb0ES3_N6thrust23THRUST_200600_302600_NS6detail15normal_iteratorINS9_10device_ptrIiEEEESE_SE_iNS9_4plusIvEENS9_8equal_toIvEEiEE10hipError_tPvRmT2_T3_T4_T5_mT6_T7_P12ihipStream_tbENKUlT_T0_E_clISt17integral_constantIbLb1EESY_IbLb0EEEEDaSU_SV_EUlSU_E_NS1_11comp_targetILNS1_3genE2ELNS1_11target_archE906ELNS1_3gpuE6ELNS1_3repE0EEENS1_30default_config_static_selectorELNS0_4arch9wavefront6targetE0EEEvT1_.numbered_sgpr, 0
	.set _ZN7rocprim17ROCPRIM_400000_NS6detail17trampoline_kernelINS0_14default_configENS1_27scan_by_key_config_selectorIiiEEZZNS1_16scan_by_key_implILNS1_25lookback_scan_determinismE0ELb0ES3_N6thrust23THRUST_200600_302600_NS6detail15normal_iteratorINS9_10device_ptrIiEEEESE_SE_iNS9_4plusIvEENS9_8equal_toIvEEiEE10hipError_tPvRmT2_T3_T4_T5_mT6_T7_P12ihipStream_tbENKUlT_T0_E_clISt17integral_constantIbLb1EESY_IbLb0EEEEDaSU_SV_EUlSU_E_NS1_11comp_targetILNS1_3genE2ELNS1_11target_archE906ELNS1_3gpuE6ELNS1_3repE0EEENS1_30default_config_static_selectorELNS0_4arch9wavefront6targetE0EEEvT1_.num_named_barrier, 0
	.set _ZN7rocprim17ROCPRIM_400000_NS6detail17trampoline_kernelINS0_14default_configENS1_27scan_by_key_config_selectorIiiEEZZNS1_16scan_by_key_implILNS1_25lookback_scan_determinismE0ELb0ES3_N6thrust23THRUST_200600_302600_NS6detail15normal_iteratorINS9_10device_ptrIiEEEESE_SE_iNS9_4plusIvEENS9_8equal_toIvEEiEE10hipError_tPvRmT2_T3_T4_T5_mT6_T7_P12ihipStream_tbENKUlT_T0_E_clISt17integral_constantIbLb1EESY_IbLb0EEEEDaSU_SV_EUlSU_E_NS1_11comp_targetILNS1_3genE2ELNS1_11target_archE906ELNS1_3gpuE6ELNS1_3repE0EEENS1_30default_config_static_selectorELNS0_4arch9wavefront6targetE0EEEvT1_.private_seg_size, 0
	.set _ZN7rocprim17ROCPRIM_400000_NS6detail17trampoline_kernelINS0_14default_configENS1_27scan_by_key_config_selectorIiiEEZZNS1_16scan_by_key_implILNS1_25lookback_scan_determinismE0ELb0ES3_N6thrust23THRUST_200600_302600_NS6detail15normal_iteratorINS9_10device_ptrIiEEEESE_SE_iNS9_4plusIvEENS9_8equal_toIvEEiEE10hipError_tPvRmT2_T3_T4_T5_mT6_T7_P12ihipStream_tbENKUlT_T0_E_clISt17integral_constantIbLb1EESY_IbLb0EEEEDaSU_SV_EUlSU_E_NS1_11comp_targetILNS1_3genE2ELNS1_11target_archE906ELNS1_3gpuE6ELNS1_3repE0EEENS1_30default_config_static_selectorELNS0_4arch9wavefront6targetE0EEEvT1_.uses_vcc, 0
	.set _ZN7rocprim17ROCPRIM_400000_NS6detail17trampoline_kernelINS0_14default_configENS1_27scan_by_key_config_selectorIiiEEZZNS1_16scan_by_key_implILNS1_25lookback_scan_determinismE0ELb0ES3_N6thrust23THRUST_200600_302600_NS6detail15normal_iteratorINS9_10device_ptrIiEEEESE_SE_iNS9_4plusIvEENS9_8equal_toIvEEiEE10hipError_tPvRmT2_T3_T4_T5_mT6_T7_P12ihipStream_tbENKUlT_T0_E_clISt17integral_constantIbLb1EESY_IbLb0EEEEDaSU_SV_EUlSU_E_NS1_11comp_targetILNS1_3genE2ELNS1_11target_archE906ELNS1_3gpuE6ELNS1_3repE0EEENS1_30default_config_static_selectorELNS0_4arch9wavefront6targetE0EEEvT1_.uses_flat_scratch, 0
	.set _ZN7rocprim17ROCPRIM_400000_NS6detail17trampoline_kernelINS0_14default_configENS1_27scan_by_key_config_selectorIiiEEZZNS1_16scan_by_key_implILNS1_25lookback_scan_determinismE0ELb0ES3_N6thrust23THRUST_200600_302600_NS6detail15normal_iteratorINS9_10device_ptrIiEEEESE_SE_iNS9_4plusIvEENS9_8equal_toIvEEiEE10hipError_tPvRmT2_T3_T4_T5_mT6_T7_P12ihipStream_tbENKUlT_T0_E_clISt17integral_constantIbLb1EESY_IbLb0EEEEDaSU_SV_EUlSU_E_NS1_11comp_targetILNS1_3genE2ELNS1_11target_archE906ELNS1_3gpuE6ELNS1_3repE0EEENS1_30default_config_static_selectorELNS0_4arch9wavefront6targetE0EEEvT1_.has_dyn_sized_stack, 0
	.set _ZN7rocprim17ROCPRIM_400000_NS6detail17trampoline_kernelINS0_14default_configENS1_27scan_by_key_config_selectorIiiEEZZNS1_16scan_by_key_implILNS1_25lookback_scan_determinismE0ELb0ES3_N6thrust23THRUST_200600_302600_NS6detail15normal_iteratorINS9_10device_ptrIiEEEESE_SE_iNS9_4plusIvEENS9_8equal_toIvEEiEE10hipError_tPvRmT2_T3_T4_T5_mT6_T7_P12ihipStream_tbENKUlT_T0_E_clISt17integral_constantIbLb1EESY_IbLb0EEEEDaSU_SV_EUlSU_E_NS1_11comp_targetILNS1_3genE2ELNS1_11target_archE906ELNS1_3gpuE6ELNS1_3repE0EEENS1_30default_config_static_selectorELNS0_4arch9wavefront6targetE0EEEvT1_.has_recursion, 0
	.set _ZN7rocprim17ROCPRIM_400000_NS6detail17trampoline_kernelINS0_14default_configENS1_27scan_by_key_config_selectorIiiEEZZNS1_16scan_by_key_implILNS1_25lookback_scan_determinismE0ELb0ES3_N6thrust23THRUST_200600_302600_NS6detail15normal_iteratorINS9_10device_ptrIiEEEESE_SE_iNS9_4plusIvEENS9_8equal_toIvEEiEE10hipError_tPvRmT2_T3_T4_T5_mT6_T7_P12ihipStream_tbENKUlT_T0_E_clISt17integral_constantIbLb1EESY_IbLb0EEEEDaSU_SV_EUlSU_E_NS1_11comp_targetILNS1_3genE2ELNS1_11target_archE906ELNS1_3gpuE6ELNS1_3repE0EEENS1_30default_config_static_selectorELNS0_4arch9wavefront6targetE0EEEvT1_.has_indirect_call, 0
	.section	.AMDGPU.csdata,"",@progbits
; Kernel info:
; codeLenInByte = 0
; TotalNumSgprs: 0
; NumVgprs: 0
; ScratchSize: 0
; MemoryBound: 0
; FloatMode: 240
; IeeeMode: 1
; LDSByteSize: 0 bytes/workgroup (compile time only)
; SGPRBlocks: 0
; VGPRBlocks: 0
; NumSGPRsForWavesPerEU: 1
; NumVGPRsForWavesPerEU: 1
; Occupancy: 16
; WaveLimiterHint : 0
; COMPUTE_PGM_RSRC2:SCRATCH_EN: 0
; COMPUTE_PGM_RSRC2:USER_SGPR: 6
; COMPUTE_PGM_RSRC2:TRAP_HANDLER: 0
; COMPUTE_PGM_RSRC2:TGID_X_EN: 1
; COMPUTE_PGM_RSRC2:TGID_Y_EN: 0
; COMPUTE_PGM_RSRC2:TGID_Z_EN: 0
; COMPUTE_PGM_RSRC2:TIDIG_COMP_CNT: 0
	.section	.text._ZN7rocprim17ROCPRIM_400000_NS6detail17trampoline_kernelINS0_14default_configENS1_27scan_by_key_config_selectorIiiEEZZNS1_16scan_by_key_implILNS1_25lookback_scan_determinismE0ELb0ES3_N6thrust23THRUST_200600_302600_NS6detail15normal_iteratorINS9_10device_ptrIiEEEESE_SE_iNS9_4plusIvEENS9_8equal_toIvEEiEE10hipError_tPvRmT2_T3_T4_T5_mT6_T7_P12ihipStream_tbENKUlT_T0_E_clISt17integral_constantIbLb1EESY_IbLb0EEEEDaSU_SV_EUlSU_E_NS1_11comp_targetILNS1_3genE10ELNS1_11target_archE1200ELNS1_3gpuE4ELNS1_3repE0EEENS1_30default_config_static_selectorELNS0_4arch9wavefront6targetE0EEEvT1_,"axG",@progbits,_ZN7rocprim17ROCPRIM_400000_NS6detail17trampoline_kernelINS0_14default_configENS1_27scan_by_key_config_selectorIiiEEZZNS1_16scan_by_key_implILNS1_25lookback_scan_determinismE0ELb0ES3_N6thrust23THRUST_200600_302600_NS6detail15normal_iteratorINS9_10device_ptrIiEEEESE_SE_iNS9_4plusIvEENS9_8equal_toIvEEiEE10hipError_tPvRmT2_T3_T4_T5_mT6_T7_P12ihipStream_tbENKUlT_T0_E_clISt17integral_constantIbLb1EESY_IbLb0EEEEDaSU_SV_EUlSU_E_NS1_11comp_targetILNS1_3genE10ELNS1_11target_archE1200ELNS1_3gpuE4ELNS1_3repE0EEENS1_30default_config_static_selectorELNS0_4arch9wavefront6targetE0EEEvT1_,comdat
	.protected	_ZN7rocprim17ROCPRIM_400000_NS6detail17trampoline_kernelINS0_14default_configENS1_27scan_by_key_config_selectorIiiEEZZNS1_16scan_by_key_implILNS1_25lookback_scan_determinismE0ELb0ES3_N6thrust23THRUST_200600_302600_NS6detail15normal_iteratorINS9_10device_ptrIiEEEESE_SE_iNS9_4plusIvEENS9_8equal_toIvEEiEE10hipError_tPvRmT2_T3_T4_T5_mT6_T7_P12ihipStream_tbENKUlT_T0_E_clISt17integral_constantIbLb1EESY_IbLb0EEEEDaSU_SV_EUlSU_E_NS1_11comp_targetILNS1_3genE10ELNS1_11target_archE1200ELNS1_3gpuE4ELNS1_3repE0EEENS1_30default_config_static_selectorELNS0_4arch9wavefront6targetE0EEEvT1_ ; -- Begin function _ZN7rocprim17ROCPRIM_400000_NS6detail17trampoline_kernelINS0_14default_configENS1_27scan_by_key_config_selectorIiiEEZZNS1_16scan_by_key_implILNS1_25lookback_scan_determinismE0ELb0ES3_N6thrust23THRUST_200600_302600_NS6detail15normal_iteratorINS9_10device_ptrIiEEEESE_SE_iNS9_4plusIvEENS9_8equal_toIvEEiEE10hipError_tPvRmT2_T3_T4_T5_mT6_T7_P12ihipStream_tbENKUlT_T0_E_clISt17integral_constantIbLb1EESY_IbLb0EEEEDaSU_SV_EUlSU_E_NS1_11comp_targetILNS1_3genE10ELNS1_11target_archE1200ELNS1_3gpuE4ELNS1_3repE0EEENS1_30default_config_static_selectorELNS0_4arch9wavefront6targetE0EEEvT1_
	.globl	_ZN7rocprim17ROCPRIM_400000_NS6detail17trampoline_kernelINS0_14default_configENS1_27scan_by_key_config_selectorIiiEEZZNS1_16scan_by_key_implILNS1_25lookback_scan_determinismE0ELb0ES3_N6thrust23THRUST_200600_302600_NS6detail15normal_iteratorINS9_10device_ptrIiEEEESE_SE_iNS9_4plusIvEENS9_8equal_toIvEEiEE10hipError_tPvRmT2_T3_T4_T5_mT6_T7_P12ihipStream_tbENKUlT_T0_E_clISt17integral_constantIbLb1EESY_IbLb0EEEEDaSU_SV_EUlSU_E_NS1_11comp_targetILNS1_3genE10ELNS1_11target_archE1200ELNS1_3gpuE4ELNS1_3repE0EEENS1_30default_config_static_selectorELNS0_4arch9wavefront6targetE0EEEvT1_
	.p2align	8
	.type	_ZN7rocprim17ROCPRIM_400000_NS6detail17trampoline_kernelINS0_14default_configENS1_27scan_by_key_config_selectorIiiEEZZNS1_16scan_by_key_implILNS1_25lookback_scan_determinismE0ELb0ES3_N6thrust23THRUST_200600_302600_NS6detail15normal_iteratorINS9_10device_ptrIiEEEESE_SE_iNS9_4plusIvEENS9_8equal_toIvEEiEE10hipError_tPvRmT2_T3_T4_T5_mT6_T7_P12ihipStream_tbENKUlT_T0_E_clISt17integral_constantIbLb1EESY_IbLb0EEEEDaSU_SV_EUlSU_E_NS1_11comp_targetILNS1_3genE10ELNS1_11target_archE1200ELNS1_3gpuE4ELNS1_3repE0EEENS1_30default_config_static_selectorELNS0_4arch9wavefront6targetE0EEEvT1_,@function
_ZN7rocprim17ROCPRIM_400000_NS6detail17trampoline_kernelINS0_14default_configENS1_27scan_by_key_config_selectorIiiEEZZNS1_16scan_by_key_implILNS1_25lookback_scan_determinismE0ELb0ES3_N6thrust23THRUST_200600_302600_NS6detail15normal_iteratorINS9_10device_ptrIiEEEESE_SE_iNS9_4plusIvEENS9_8equal_toIvEEiEE10hipError_tPvRmT2_T3_T4_T5_mT6_T7_P12ihipStream_tbENKUlT_T0_E_clISt17integral_constantIbLb1EESY_IbLb0EEEEDaSU_SV_EUlSU_E_NS1_11comp_targetILNS1_3genE10ELNS1_11target_archE1200ELNS1_3gpuE4ELNS1_3repE0EEENS1_30default_config_static_selectorELNS0_4arch9wavefront6targetE0EEEvT1_: ; @_ZN7rocprim17ROCPRIM_400000_NS6detail17trampoline_kernelINS0_14default_configENS1_27scan_by_key_config_selectorIiiEEZZNS1_16scan_by_key_implILNS1_25lookback_scan_determinismE0ELb0ES3_N6thrust23THRUST_200600_302600_NS6detail15normal_iteratorINS9_10device_ptrIiEEEESE_SE_iNS9_4plusIvEENS9_8equal_toIvEEiEE10hipError_tPvRmT2_T3_T4_T5_mT6_T7_P12ihipStream_tbENKUlT_T0_E_clISt17integral_constantIbLb1EESY_IbLb0EEEEDaSU_SV_EUlSU_E_NS1_11comp_targetILNS1_3genE10ELNS1_11target_archE1200ELNS1_3gpuE4ELNS1_3repE0EEENS1_30default_config_static_selectorELNS0_4arch9wavefront6targetE0EEEvT1_
; %bb.0:
	.section	.rodata,"a",@progbits
	.p2align	6, 0x0
	.amdhsa_kernel _ZN7rocprim17ROCPRIM_400000_NS6detail17trampoline_kernelINS0_14default_configENS1_27scan_by_key_config_selectorIiiEEZZNS1_16scan_by_key_implILNS1_25lookback_scan_determinismE0ELb0ES3_N6thrust23THRUST_200600_302600_NS6detail15normal_iteratorINS9_10device_ptrIiEEEESE_SE_iNS9_4plusIvEENS9_8equal_toIvEEiEE10hipError_tPvRmT2_T3_T4_T5_mT6_T7_P12ihipStream_tbENKUlT_T0_E_clISt17integral_constantIbLb1EESY_IbLb0EEEEDaSU_SV_EUlSU_E_NS1_11comp_targetILNS1_3genE10ELNS1_11target_archE1200ELNS1_3gpuE4ELNS1_3repE0EEENS1_30default_config_static_selectorELNS0_4arch9wavefront6targetE0EEEvT1_
		.amdhsa_group_segment_fixed_size 0
		.amdhsa_private_segment_fixed_size 0
		.amdhsa_kernarg_size 112
		.amdhsa_user_sgpr_count 6
		.amdhsa_user_sgpr_private_segment_buffer 1
		.amdhsa_user_sgpr_dispatch_ptr 0
		.amdhsa_user_sgpr_queue_ptr 0
		.amdhsa_user_sgpr_kernarg_segment_ptr 1
		.amdhsa_user_sgpr_dispatch_id 0
		.amdhsa_user_sgpr_flat_scratch_init 0
		.amdhsa_user_sgpr_private_segment_size 0
		.amdhsa_wavefront_size32 1
		.amdhsa_uses_dynamic_stack 0
		.amdhsa_system_sgpr_private_segment_wavefront_offset 0
		.amdhsa_system_sgpr_workgroup_id_x 1
		.amdhsa_system_sgpr_workgroup_id_y 0
		.amdhsa_system_sgpr_workgroup_id_z 0
		.amdhsa_system_sgpr_workgroup_info 0
		.amdhsa_system_vgpr_workitem_id 0
		.amdhsa_next_free_vgpr 1
		.amdhsa_next_free_sgpr 1
		.amdhsa_reserve_vcc 0
		.amdhsa_reserve_flat_scratch 0
		.amdhsa_float_round_mode_32 0
		.amdhsa_float_round_mode_16_64 0
		.amdhsa_float_denorm_mode_32 3
		.amdhsa_float_denorm_mode_16_64 3
		.amdhsa_dx10_clamp 1
		.amdhsa_ieee_mode 1
		.amdhsa_fp16_overflow 0
		.amdhsa_workgroup_processor_mode 1
		.amdhsa_memory_ordered 1
		.amdhsa_forward_progress 1
		.amdhsa_shared_vgpr_count 0
		.amdhsa_exception_fp_ieee_invalid_op 0
		.amdhsa_exception_fp_denorm_src 0
		.amdhsa_exception_fp_ieee_div_zero 0
		.amdhsa_exception_fp_ieee_overflow 0
		.amdhsa_exception_fp_ieee_underflow 0
		.amdhsa_exception_fp_ieee_inexact 0
		.amdhsa_exception_int_div_zero 0
	.end_amdhsa_kernel
	.section	.text._ZN7rocprim17ROCPRIM_400000_NS6detail17trampoline_kernelINS0_14default_configENS1_27scan_by_key_config_selectorIiiEEZZNS1_16scan_by_key_implILNS1_25lookback_scan_determinismE0ELb0ES3_N6thrust23THRUST_200600_302600_NS6detail15normal_iteratorINS9_10device_ptrIiEEEESE_SE_iNS9_4plusIvEENS9_8equal_toIvEEiEE10hipError_tPvRmT2_T3_T4_T5_mT6_T7_P12ihipStream_tbENKUlT_T0_E_clISt17integral_constantIbLb1EESY_IbLb0EEEEDaSU_SV_EUlSU_E_NS1_11comp_targetILNS1_3genE10ELNS1_11target_archE1200ELNS1_3gpuE4ELNS1_3repE0EEENS1_30default_config_static_selectorELNS0_4arch9wavefront6targetE0EEEvT1_,"axG",@progbits,_ZN7rocprim17ROCPRIM_400000_NS6detail17trampoline_kernelINS0_14default_configENS1_27scan_by_key_config_selectorIiiEEZZNS1_16scan_by_key_implILNS1_25lookback_scan_determinismE0ELb0ES3_N6thrust23THRUST_200600_302600_NS6detail15normal_iteratorINS9_10device_ptrIiEEEESE_SE_iNS9_4plusIvEENS9_8equal_toIvEEiEE10hipError_tPvRmT2_T3_T4_T5_mT6_T7_P12ihipStream_tbENKUlT_T0_E_clISt17integral_constantIbLb1EESY_IbLb0EEEEDaSU_SV_EUlSU_E_NS1_11comp_targetILNS1_3genE10ELNS1_11target_archE1200ELNS1_3gpuE4ELNS1_3repE0EEENS1_30default_config_static_selectorELNS0_4arch9wavefront6targetE0EEEvT1_,comdat
.Lfunc_end150:
	.size	_ZN7rocprim17ROCPRIM_400000_NS6detail17trampoline_kernelINS0_14default_configENS1_27scan_by_key_config_selectorIiiEEZZNS1_16scan_by_key_implILNS1_25lookback_scan_determinismE0ELb0ES3_N6thrust23THRUST_200600_302600_NS6detail15normal_iteratorINS9_10device_ptrIiEEEESE_SE_iNS9_4plusIvEENS9_8equal_toIvEEiEE10hipError_tPvRmT2_T3_T4_T5_mT6_T7_P12ihipStream_tbENKUlT_T0_E_clISt17integral_constantIbLb1EESY_IbLb0EEEEDaSU_SV_EUlSU_E_NS1_11comp_targetILNS1_3genE10ELNS1_11target_archE1200ELNS1_3gpuE4ELNS1_3repE0EEENS1_30default_config_static_selectorELNS0_4arch9wavefront6targetE0EEEvT1_, .Lfunc_end150-_ZN7rocprim17ROCPRIM_400000_NS6detail17trampoline_kernelINS0_14default_configENS1_27scan_by_key_config_selectorIiiEEZZNS1_16scan_by_key_implILNS1_25lookback_scan_determinismE0ELb0ES3_N6thrust23THRUST_200600_302600_NS6detail15normal_iteratorINS9_10device_ptrIiEEEESE_SE_iNS9_4plusIvEENS9_8equal_toIvEEiEE10hipError_tPvRmT2_T3_T4_T5_mT6_T7_P12ihipStream_tbENKUlT_T0_E_clISt17integral_constantIbLb1EESY_IbLb0EEEEDaSU_SV_EUlSU_E_NS1_11comp_targetILNS1_3genE10ELNS1_11target_archE1200ELNS1_3gpuE4ELNS1_3repE0EEENS1_30default_config_static_selectorELNS0_4arch9wavefront6targetE0EEEvT1_
                                        ; -- End function
	.set _ZN7rocprim17ROCPRIM_400000_NS6detail17trampoline_kernelINS0_14default_configENS1_27scan_by_key_config_selectorIiiEEZZNS1_16scan_by_key_implILNS1_25lookback_scan_determinismE0ELb0ES3_N6thrust23THRUST_200600_302600_NS6detail15normal_iteratorINS9_10device_ptrIiEEEESE_SE_iNS9_4plusIvEENS9_8equal_toIvEEiEE10hipError_tPvRmT2_T3_T4_T5_mT6_T7_P12ihipStream_tbENKUlT_T0_E_clISt17integral_constantIbLb1EESY_IbLb0EEEEDaSU_SV_EUlSU_E_NS1_11comp_targetILNS1_3genE10ELNS1_11target_archE1200ELNS1_3gpuE4ELNS1_3repE0EEENS1_30default_config_static_selectorELNS0_4arch9wavefront6targetE0EEEvT1_.num_vgpr, 0
	.set _ZN7rocprim17ROCPRIM_400000_NS6detail17trampoline_kernelINS0_14default_configENS1_27scan_by_key_config_selectorIiiEEZZNS1_16scan_by_key_implILNS1_25lookback_scan_determinismE0ELb0ES3_N6thrust23THRUST_200600_302600_NS6detail15normal_iteratorINS9_10device_ptrIiEEEESE_SE_iNS9_4plusIvEENS9_8equal_toIvEEiEE10hipError_tPvRmT2_T3_T4_T5_mT6_T7_P12ihipStream_tbENKUlT_T0_E_clISt17integral_constantIbLb1EESY_IbLb0EEEEDaSU_SV_EUlSU_E_NS1_11comp_targetILNS1_3genE10ELNS1_11target_archE1200ELNS1_3gpuE4ELNS1_3repE0EEENS1_30default_config_static_selectorELNS0_4arch9wavefront6targetE0EEEvT1_.num_agpr, 0
	.set _ZN7rocprim17ROCPRIM_400000_NS6detail17trampoline_kernelINS0_14default_configENS1_27scan_by_key_config_selectorIiiEEZZNS1_16scan_by_key_implILNS1_25lookback_scan_determinismE0ELb0ES3_N6thrust23THRUST_200600_302600_NS6detail15normal_iteratorINS9_10device_ptrIiEEEESE_SE_iNS9_4plusIvEENS9_8equal_toIvEEiEE10hipError_tPvRmT2_T3_T4_T5_mT6_T7_P12ihipStream_tbENKUlT_T0_E_clISt17integral_constantIbLb1EESY_IbLb0EEEEDaSU_SV_EUlSU_E_NS1_11comp_targetILNS1_3genE10ELNS1_11target_archE1200ELNS1_3gpuE4ELNS1_3repE0EEENS1_30default_config_static_selectorELNS0_4arch9wavefront6targetE0EEEvT1_.numbered_sgpr, 0
	.set _ZN7rocprim17ROCPRIM_400000_NS6detail17trampoline_kernelINS0_14default_configENS1_27scan_by_key_config_selectorIiiEEZZNS1_16scan_by_key_implILNS1_25lookback_scan_determinismE0ELb0ES3_N6thrust23THRUST_200600_302600_NS6detail15normal_iteratorINS9_10device_ptrIiEEEESE_SE_iNS9_4plusIvEENS9_8equal_toIvEEiEE10hipError_tPvRmT2_T3_T4_T5_mT6_T7_P12ihipStream_tbENKUlT_T0_E_clISt17integral_constantIbLb1EESY_IbLb0EEEEDaSU_SV_EUlSU_E_NS1_11comp_targetILNS1_3genE10ELNS1_11target_archE1200ELNS1_3gpuE4ELNS1_3repE0EEENS1_30default_config_static_selectorELNS0_4arch9wavefront6targetE0EEEvT1_.num_named_barrier, 0
	.set _ZN7rocprim17ROCPRIM_400000_NS6detail17trampoline_kernelINS0_14default_configENS1_27scan_by_key_config_selectorIiiEEZZNS1_16scan_by_key_implILNS1_25lookback_scan_determinismE0ELb0ES3_N6thrust23THRUST_200600_302600_NS6detail15normal_iteratorINS9_10device_ptrIiEEEESE_SE_iNS9_4plusIvEENS9_8equal_toIvEEiEE10hipError_tPvRmT2_T3_T4_T5_mT6_T7_P12ihipStream_tbENKUlT_T0_E_clISt17integral_constantIbLb1EESY_IbLb0EEEEDaSU_SV_EUlSU_E_NS1_11comp_targetILNS1_3genE10ELNS1_11target_archE1200ELNS1_3gpuE4ELNS1_3repE0EEENS1_30default_config_static_selectorELNS0_4arch9wavefront6targetE0EEEvT1_.private_seg_size, 0
	.set _ZN7rocprim17ROCPRIM_400000_NS6detail17trampoline_kernelINS0_14default_configENS1_27scan_by_key_config_selectorIiiEEZZNS1_16scan_by_key_implILNS1_25lookback_scan_determinismE0ELb0ES3_N6thrust23THRUST_200600_302600_NS6detail15normal_iteratorINS9_10device_ptrIiEEEESE_SE_iNS9_4plusIvEENS9_8equal_toIvEEiEE10hipError_tPvRmT2_T3_T4_T5_mT6_T7_P12ihipStream_tbENKUlT_T0_E_clISt17integral_constantIbLb1EESY_IbLb0EEEEDaSU_SV_EUlSU_E_NS1_11comp_targetILNS1_3genE10ELNS1_11target_archE1200ELNS1_3gpuE4ELNS1_3repE0EEENS1_30default_config_static_selectorELNS0_4arch9wavefront6targetE0EEEvT1_.uses_vcc, 0
	.set _ZN7rocprim17ROCPRIM_400000_NS6detail17trampoline_kernelINS0_14default_configENS1_27scan_by_key_config_selectorIiiEEZZNS1_16scan_by_key_implILNS1_25lookback_scan_determinismE0ELb0ES3_N6thrust23THRUST_200600_302600_NS6detail15normal_iteratorINS9_10device_ptrIiEEEESE_SE_iNS9_4plusIvEENS9_8equal_toIvEEiEE10hipError_tPvRmT2_T3_T4_T5_mT6_T7_P12ihipStream_tbENKUlT_T0_E_clISt17integral_constantIbLb1EESY_IbLb0EEEEDaSU_SV_EUlSU_E_NS1_11comp_targetILNS1_3genE10ELNS1_11target_archE1200ELNS1_3gpuE4ELNS1_3repE0EEENS1_30default_config_static_selectorELNS0_4arch9wavefront6targetE0EEEvT1_.uses_flat_scratch, 0
	.set _ZN7rocprim17ROCPRIM_400000_NS6detail17trampoline_kernelINS0_14default_configENS1_27scan_by_key_config_selectorIiiEEZZNS1_16scan_by_key_implILNS1_25lookback_scan_determinismE0ELb0ES3_N6thrust23THRUST_200600_302600_NS6detail15normal_iteratorINS9_10device_ptrIiEEEESE_SE_iNS9_4plusIvEENS9_8equal_toIvEEiEE10hipError_tPvRmT2_T3_T4_T5_mT6_T7_P12ihipStream_tbENKUlT_T0_E_clISt17integral_constantIbLb1EESY_IbLb0EEEEDaSU_SV_EUlSU_E_NS1_11comp_targetILNS1_3genE10ELNS1_11target_archE1200ELNS1_3gpuE4ELNS1_3repE0EEENS1_30default_config_static_selectorELNS0_4arch9wavefront6targetE0EEEvT1_.has_dyn_sized_stack, 0
	.set _ZN7rocprim17ROCPRIM_400000_NS6detail17trampoline_kernelINS0_14default_configENS1_27scan_by_key_config_selectorIiiEEZZNS1_16scan_by_key_implILNS1_25lookback_scan_determinismE0ELb0ES3_N6thrust23THRUST_200600_302600_NS6detail15normal_iteratorINS9_10device_ptrIiEEEESE_SE_iNS9_4plusIvEENS9_8equal_toIvEEiEE10hipError_tPvRmT2_T3_T4_T5_mT6_T7_P12ihipStream_tbENKUlT_T0_E_clISt17integral_constantIbLb1EESY_IbLb0EEEEDaSU_SV_EUlSU_E_NS1_11comp_targetILNS1_3genE10ELNS1_11target_archE1200ELNS1_3gpuE4ELNS1_3repE0EEENS1_30default_config_static_selectorELNS0_4arch9wavefront6targetE0EEEvT1_.has_recursion, 0
	.set _ZN7rocprim17ROCPRIM_400000_NS6detail17trampoline_kernelINS0_14default_configENS1_27scan_by_key_config_selectorIiiEEZZNS1_16scan_by_key_implILNS1_25lookback_scan_determinismE0ELb0ES3_N6thrust23THRUST_200600_302600_NS6detail15normal_iteratorINS9_10device_ptrIiEEEESE_SE_iNS9_4plusIvEENS9_8equal_toIvEEiEE10hipError_tPvRmT2_T3_T4_T5_mT6_T7_P12ihipStream_tbENKUlT_T0_E_clISt17integral_constantIbLb1EESY_IbLb0EEEEDaSU_SV_EUlSU_E_NS1_11comp_targetILNS1_3genE10ELNS1_11target_archE1200ELNS1_3gpuE4ELNS1_3repE0EEENS1_30default_config_static_selectorELNS0_4arch9wavefront6targetE0EEEvT1_.has_indirect_call, 0
	.section	.AMDGPU.csdata,"",@progbits
; Kernel info:
; codeLenInByte = 0
; TotalNumSgprs: 0
; NumVgprs: 0
; ScratchSize: 0
; MemoryBound: 0
; FloatMode: 240
; IeeeMode: 1
; LDSByteSize: 0 bytes/workgroup (compile time only)
; SGPRBlocks: 0
; VGPRBlocks: 0
; NumSGPRsForWavesPerEU: 1
; NumVGPRsForWavesPerEU: 1
; Occupancy: 16
; WaveLimiterHint : 0
; COMPUTE_PGM_RSRC2:SCRATCH_EN: 0
; COMPUTE_PGM_RSRC2:USER_SGPR: 6
; COMPUTE_PGM_RSRC2:TRAP_HANDLER: 0
; COMPUTE_PGM_RSRC2:TGID_X_EN: 1
; COMPUTE_PGM_RSRC2:TGID_Y_EN: 0
; COMPUTE_PGM_RSRC2:TGID_Z_EN: 0
; COMPUTE_PGM_RSRC2:TIDIG_COMP_CNT: 0
	.section	.text._ZN7rocprim17ROCPRIM_400000_NS6detail17trampoline_kernelINS0_14default_configENS1_27scan_by_key_config_selectorIiiEEZZNS1_16scan_by_key_implILNS1_25lookback_scan_determinismE0ELb0ES3_N6thrust23THRUST_200600_302600_NS6detail15normal_iteratorINS9_10device_ptrIiEEEESE_SE_iNS9_4plusIvEENS9_8equal_toIvEEiEE10hipError_tPvRmT2_T3_T4_T5_mT6_T7_P12ihipStream_tbENKUlT_T0_E_clISt17integral_constantIbLb1EESY_IbLb0EEEEDaSU_SV_EUlSU_E_NS1_11comp_targetILNS1_3genE9ELNS1_11target_archE1100ELNS1_3gpuE3ELNS1_3repE0EEENS1_30default_config_static_selectorELNS0_4arch9wavefront6targetE0EEEvT1_,"axG",@progbits,_ZN7rocprim17ROCPRIM_400000_NS6detail17trampoline_kernelINS0_14default_configENS1_27scan_by_key_config_selectorIiiEEZZNS1_16scan_by_key_implILNS1_25lookback_scan_determinismE0ELb0ES3_N6thrust23THRUST_200600_302600_NS6detail15normal_iteratorINS9_10device_ptrIiEEEESE_SE_iNS9_4plusIvEENS9_8equal_toIvEEiEE10hipError_tPvRmT2_T3_T4_T5_mT6_T7_P12ihipStream_tbENKUlT_T0_E_clISt17integral_constantIbLb1EESY_IbLb0EEEEDaSU_SV_EUlSU_E_NS1_11comp_targetILNS1_3genE9ELNS1_11target_archE1100ELNS1_3gpuE3ELNS1_3repE0EEENS1_30default_config_static_selectorELNS0_4arch9wavefront6targetE0EEEvT1_,comdat
	.protected	_ZN7rocprim17ROCPRIM_400000_NS6detail17trampoline_kernelINS0_14default_configENS1_27scan_by_key_config_selectorIiiEEZZNS1_16scan_by_key_implILNS1_25lookback_scan_determinismE0ELb0ES3_N6thrust23THRUST_200600_302600_NS6detail15normal_iteratorINS9_10device_ptrIiEEEESE_SE_iNS9_4plusIvEENS9_8equal_toIvEEiEE10hipError_tPvRmT2_T3_T4_T5_mT6_T7_P12ihipStream_tbENKUlT_T0_E_clISt17integral_constantIbLb1EESY_IbLb0EEEEDaSU_SV_EUlSU_E_NS1_11comp_targetILNS1_3genE9ELNS1_11target_archE1100ELNS1_3gpuE3ELNS1_3repE0EEENS1_30default_config_static_selectorELNS0_4arch9wavefront6targetE0EEEvT1_ ; -- Begin function _ZN7rocprim17ROCPRIM_400000_NS6detail17trampoline_kernelINS0_14default_configENS1_27scan_by_key_config_selectorIiiEEZZNS1_16scan_by_key_implILNS1_25lookback_scan_determinismE0ELb0ES3_N6thrust23THRUST_200600_302600_NS6detail15normal_iteratorINS9_10device_ptrIiEEEESE_SE_iNS9_4plusIvEENS9_8equal_toIvEEiEE10hipError_tPvRmT2_T3_T4_T5_mT6_T7_P12ihipStream_tbENKUlT_T0_E_clISt17integral_constantIbLb1EESY_IbLb0EEEEDaSU_SV_EUlSU_E_NS1_11comp_targetILNS1_3genE9ELNS1_11target_archE1100ELNS1_3gpuE3ELNS1_3repE0EEENS1_30default_config_static_selectorELNS0_4arch9wavefront6targetE0EEEvT1_
	.globl	_ZN7rocprim17ROCPRIM_400000_NS6detail17trampoline_kernelINS0_14default_configENS1_27scan_by_key_config_selectorIiiEEZZNS1_16scan_by_key_implILNS1_25lookback_scan_determinismE0ELb0ES3_N6thrust23THRUST_200600_302600_NS6detail15normal_iteratorINS9_10device_ptrIiEEEESE_SE_iNS9_4plusIvEENS9_8equal_toIvEEiEE10hipError_tPvRmT2_T3_T4_T5_mT6_T7_P12ihipStream_tbENKUlT_T0_E_clISt17integral_constantIbLb1EESY_IbLb0EEEEDaSU_SV_EUlSU_E_NS1_11comp_targetILNS1_3genE9ELNS1_11target_archE1100ELNS1_3gpuE3ELNS1_3repE0EEENS1_30default_config_static_selectorELNS0_4arch9wavefront6targetE0EEEvT1_
	.p2align	8
	.type	_ZN7rocprim17ROCPRIM_400000_NS6detail17trampoline_kernelINS0_14default_configENS1_27scan_by_key_config_selectorIiiEEZZNS1_16scan_by_key_implILNS1_25lookback_scan_determinismE0ELb0ES3_N6thrust23THRUST_200600_302600_NS6detail15normal_iteratorINS9_10device_ptrIiEEEESE_SE_iNS9_4plusIvEENS9_8equal_toIvEEiEE10hipError_tPvRmT2_T3_T4_T5_mT6_T7_P12ihipStream_tbENKUlT_T0_E_clISt17integral_constantIbLb1EESY_IbLb0EEEEDaSU_SV_EUlSU_E_NS1_11comp_targetILNS1_3genE9ELNS1_11target_archE1100ELNS1_3gpuE3ELNS1_3repE0EEENS1_30default_config_static_selectorELNS0_4arch9wavefront6targetE0EEEvT1_,@function
_ZN7rocprim17ROCPRIM_400000_NS6detail17trampoline_kernelINS0_14default_configENS1_27scan_by_key_config_selectorIiiEEZZNS1_16scan_by_key_implILNS1_25lookback_scan_determinismE0ELb0ES3_N6thrust23THRUST_200600_302600_NS6detail15normal_iteratorINS9_10device_ptrIiEEEESE_SE_iNS9_4plusIvEENS9_8equal_toIvEEiEE10hipError_tPvRmT2_T3_T4_T5_mT6_T7_P12ihipStream_tbENKUlT_T0_E_clISt17integral_constantIbLb1EESY_IbLb0EEEEDaSU_SV_EUlSU_E_NS1_11comp_targetILNS1_3genE9ELNS1_11target_archE1100ELNS1_3gpuE3ELNS1_3repE0EEENS1_30default_config_static_selectorELNS0_4arch9wavefront6targetE0EEEvT1_: ; @_ZN7rocprim17ROCPRIM_400000_NS6detail17trampoline_kernelINS0_14default_configENS1_27scan_by_key_config_selectorIiiEEZZNS1_16scan_by_key_implILNS1_25lookback_scan_determinismE0ELb0ES3_N6thrust23THRUST_200600_302600_NS6detail15normal_iteratorINS9_10device_ptrIiEEEESE_SE_iNS9_4plusIvEENS9_8equal_toIvEEiEE10hipError_tPvRmT2_T3_T4_T5_mT6_T7_P12ihipStream_tbENKUlT_T0_E_clISt17integral_constantIbLb1EESY_IbLb0EEEEDaSU_SV_EUlSU_E_NS1_11comp_targetILNS1_3genE9ELNS1_11target_archE1100ELNS1_3gpuE3ELNS1_3repE0EEENS1_30default_config_static_selectorELNS0_4arch9wavefront6targetE0EEEvT1_
; %bb.0:
	.section	.rodata,"a",@progbits
	.p2align	6, 0x0
	.amdhsa_kernel _ZN7rocprim17ROCPRIM_400000_NS6detail17trampoline_kernelINS0_14default_configENS1_27scan_by_key_config_selectorIiiEEZZNS1_16scan_by_key_implILNS1_25lookback_scan_determinismE0ELb0ES3_N6thrust23THRUST_200600_302600_NS6detail15normal_iteratorINS9_10device_ptrIiEEEESE_SE_iNS9_4plusIvEENS9_8equal_toIvEEiEE10hipError_tPvRmT2_T3_T4_T5_mT6_T7_P12ihipStream_tbENKUlT_T0_E_clISt17integral_constantIbLb1EESY_IbLb0EEEEDaSU_SV_EUlSU_E_NS1_11comp_targetILNS1_3genE9ELNS1_11target_archE1100ELNS1_3gpuE3ELNS1_3repE0EEENS1_30default_config_static_selectorELNS0_4arch9wavefront6targetE0EEEvT1_
		.amdhsa_group_segment_fixed_size 0
		.amdhsa_private_segment_fixed_size 0
		.amdhsa_kernarg_size 112
		.amdhsa_user_sgpr_count 6
		.amdhsa_user_sgpr_private_segment_buffer 1
		.amdhsa_user_sgpr_dispatch_ptr 0
		.amdhsa_user_sgpr_queue_ptr 0
		.amdhsa_user_sgpr_kernarg_segment_ptr 1
		.amdhsa_user_sgpr_dispatch_id 0
		.amdhsa_user_sgpr_flat_scratch_init 0
		.amdhsa_user_sgpr_private_segment_size 0
		.amdhsa_wavefront_size32 1
		.amdhsa_uses_dynamic_stack 0
		.amdhsa_system_sgpr_private_segment_wavefront_offset 0
		.amdhsa_system_sgpr_workgroup_id_x 1
		.amdhsa_system_sgpr_workgroup_id_y 0
		.amdhsa_system_sgpr_workgroup_id_z 0
		.amdhsa_system_sgpr_workgroup_info 0
		.amdhsa_system_vgpr_workitem_id 0
		.amdhsa_next_free_vgpr 1
		.amdhsa_next_free_sgpr 1
		.amdhsa_reserve_vcc 0
		.amdhsa_reserve_flat_scratch 0
		.amdhsa_float_round_mode_32 0
		.amdhsa_float_round_mode_16_64 0
		.amdhsa_float_denorm_mode_32 3
		.amdhsa_float_denorm_mode_16_64 3
		.amdhsa_dx10_clamp 1
		.amdhsa_ieee_mode 1
		.amdhsa_fp16_overflow 0
		.amdhsa_workgroup_processor_mode 1
		.amdhsa_memory_ordered 1
		.amdhsa_forward_progress 1
		.amdhsa_shared_vgpr_count 0
		.amdhsa_exception_fp_ieee_invalid_op 0
		.amdhsa_exception_fp_denorm_src 0
		.amdhsa_exception_fp_ieee_div_zero 0
		.amdhsa_exception_fp_ieee_overflow 0
		.amdhsa_exception_fp_ieee_underflow 0
		.amdhsa_exception_fp_ieee_inexact 0
		.amdhsa_exception_int_div_zero 0
	.end_amdhsa_kernel
	.section	.text._ZN7rocprim17ROCPRIM_400000_NS6detail17trampoline_kernelINS0_14default_configENS1_27scan_by_key_config_selectorIiiEEZZNS1_16scan_by_key_implILNS1_25lookback_scan_determinismE0ELb0ES3_N6thrust23THRUST_200600_302600_NS6detail15normal_iteratorINS9_10device_ptrIiEEEESE_SE_iNS9_4plusIvEENS9_8equal_toIvEEiEE10hipError_tPvRmT2_T3_T4_T5_mT6_T7_P12ihipStream_tbENKUlT_T0_E_clISt17integral_constantIbLb1EESY_IbLb0EEEEDaSU_SV_EUlSU_E_NS1_11comp_targetILNS1_3genE9ELNS1_11target_archE1100ELNS1_3gpuE3ELNS1_3repE0EEENS1_30default_config_static_selectorELNS0_4arch9wavefront6targetE0EEEvT1_,"axG",@progbits,_ZN7rocprim17ROCPRIM_400000_NS6detail17trampoline_kernelINS0_14default_configENS1_27scan_by_key_config_selectorIiiEEZZNS1_16scan_by_key_implILNS1_25lookback_scan_determinismE0ELb0ES3_N6thrust23THRUST_200600_302600_NS6detail15normal_iteratorINS9_10device_ptrIiEEEESE_SE_iNS9_4plusIvEENS9_8equal_toIvEEiEE10hipError_tPvRmT2_T3_T4_T5_mT6_T7_P12ihipStream_tbENKUlT_T0_E_clISt17integral_constantIbLb1EESY_IbLb0EEEEDaSU_SV_EUlSU_E_NS1_11comp_targetILNS1_3genE9ELNS1_11target_archE1100ELNS1_3gpuE3ELNS1_3repE0EEENS1_30default_config_static_selectorELNS0_4arch9wavefront6targetE0EEEvT1_,comdat
.Lfunc_end151:
	.size	_ZN7rocprim17ROCPRIM_400000_NS6detail17trampoline_kernelINS0_14default_configENS1_27scan_by_key_config_selectorIiiEEZZNS1_16scan_by_key_implILNS1_25lookback_scan_determinismE0ELb0ES3_N6thrust23THRUST_200600_302600_NS6detail15normal_iteratorINS9_10device_ptrIiEEEESE_SE_iNS9_4plusIvEENS9_8equal_toIvEEiEE10hipError_tPvRmT2_T3_T4_T5_mT6_T7_P12ihipStream_tbENKUlT_T0_E_clISt17integral_constantIbLb1EESY_IbLb0EEEEDaSU_SV_EUlSU_E_NS1_11comp_targetILNS1_3genE9ELNS1_11target_archE1100ELNS1_3gpuE3ELNS1_3repE0EEENS1_30default_config_static_selectorELNS0_4arch9wavefront6targetE0EEEvT1_, .Lfunc_end151-_ZN7rocprim17ROCPRIM_400000_NS6detail17trampoline_kernelINS0_14default_configENS1_27scan_by_key_config_selectorIiiEEZZNS1_16scan_by_key_implILNS1_25lookback_scan_determinismE0ELb0ES3_N6thrust23THRUST_200600_302600_NS6detail15normal_iteratorINS9_10device_ptrIiEEEESE_SE_iNS9_4plusIvEENS9_8equal_toIvEEiEE10hipError_tPvRmT2_T3_T4_T5_mT6_T7_P12ihipStream_tbENKUlT_T0_E_clISt17integral_constantIbLb1EESY_IbLb0EEEEDaSU_SV_EUlSU_E_NS1_11comp_targetILNS1_3genE9ELNS1_11target_archE1100ELNS1_3gpuE3ELNS1_3repE0EEENS1_30default_config_static_selectorELNS0_4arch9wavefront6targetE0EEEvT1_
                                        ; -- End function
	.set _ZN7rocprim17ROCPRIM_400000_NS6detail17trampoline_kernelINS0_14default_configENS1_27scan_by_key_config_selectorIiiEEZZNS1_16scan_by_key_implILNS1_25lookback_scan_determinismE0ELb0ES3_N6thrust23THRUST_200600_302600_NS6detail15normal_iteratorINS9_10device_ptrIiEEEESE_SE_iNS9_4plusIvEENS9_8equal_toIvEEiEE10hipError_tPvRmT2_T3_T4_T5_mT6_T7_P12ihipStream_tbENKUlT_T0_E_clISt17integral_constantIbLb1EESY_IbLb0EEEEDaSU_SV_EUlSU_E_NS1_11comp_targetILNS1_3genE9ELNS1_11target_archE1100ELNS1_3gpuE3ELNS1_3repE0EEENS1_30default_config_static_selectorELNS0_4arch9wavefront6targetE0EEEvT1_.num_vgpr, 0
	.set _ZN7rocprim17ROCPRIM_400000_NS6detail17trampoline_kernelINS0_14default_configENS1_27scan_by_key_config_selectorIiiEEZZNS1_16scan_by_key_implILNS1_25lookback_scan_determinismE0ELb0ES3_N6thrust23THRUST_200600_302600_NS6detail15normal_iteratorINS9_10device_ptrIiEEEESE_SE_iNS9_4plusIvEENS9_8equal_toIvEEiEE10hipError_tPvRmT2_T3_T4_T5_mT6_T7_P12ihipStream_tbENKUlT_T0_E_clISt17integral_constantIbLb1EESY_IbLb0EEEEDaSU_SV_EUlSU_E_NS1_11comp_targetILNS1_3genE9ELNS1_11target_archE1100ELNS1_3gpuE3ELNS1_3repE0EEENS1_30default_config_static_selectorELNS0_4arch9wavefront6targetE0EEEvT1_.num_agpr, 0
	.set _ZN7rocprim17ROCPRIM_400000_NS6detail17trampoline_kernelINS0_14default_configENS1_27scan_by_key_config_selectorIiiEEZZNS1_16scan_by_key_implILNS1_25lookback_scan_determinismE0ELb0ES3_N6thrust23THRUST_200600_302600_NS6detail15normal_iteratorINS9_10device_ptrIiEEEESE_SE_iNS9_4plusIvEENS9_8equal_toIvEEiEE10hipError_tPvRmT2_T3_T4_T5_mT6_T7_P12ihipStream_tbENKUlT_T0_E_clISt17integral_constantIbLb1EESY_IbLb0EEEEDaSU_SV_EUlSU_E_NS1_11comp_targetILNS1_3genE9ELNS1_11target_archE1100ELNS1_3gpuE3ELNS1_3repE0EEENS1_30default_config_static_selectorELNS0_4arch9wavefront6targetE0EEEvT1_.numbered_sgpr, 0
	.set _ZN7rocprim17ROCPRIM_400000_NS6detail17trampoline_kernelINS0_14default_configENS1_27scan_by_key_config_selectorIiiEEZZNS1_16scan_by_key_implILNS1_25lookback_scan_determinismE0ELb0ES3_N6thrust23THRUST_200600_302600_NS6detail15normal_iteratorINS9_10device_ptrIiEEEESE_SE_iNS9_4plusIvEENS9_8equal_toIvEEiEE10hipError_tPvRmT2_T3_T4_T5_mT6_T7_P12ihipStream_tbENKUlT_T0_E_clISt17integral_constantIbLb1EESY_IbLb0EEEEDaSU_SV_EUlSU_E_NS1_11comp_targetILNS1_3genE9ELNS1_11target_archE1100ELNS1_3gpuE3ELNS1_3repE0EEENS1_30default_config_static_selectorELNS0_4arch9wavefront6targetE0EEEvT1_.num_named_barrier, 0
	.set _ZN7rocprim17ROCPRIM_400000_NS6detail17trampoline_kernelINS0_14default_configENS1_27scan_by_key_config_selectorIiiEEZZNS1_16scan_by_key_implILNS1_25lookback_scan_determinismE0ELb0ES3_N6thrust23THRUST_200600_302600_NS6detail15normal_iteratorINS9_10device_ptrIiEEEESE_SE_iNS9_4plusIvEENS9_8equal_toIvEEiEE10hipError_tPvRmT2_T3_T4_T5_mT6_T7_P12ihipStream_tbENKUlT_T0_E_clISt17integral_constantIbLb1EESY_IbLb0EEEEDaSU_SV_EUlSU_E_NS1_11comp_targetILNS1_3genE9ELNS1_11target_archE1100ELNS1_3gpuE3ELNS1_3repE0EEENS1_30default_config_static_selectorELNS0_4arch9wavefront6targetE0EEEvT1_.private_seg_size, 0
	.set _ZN7rocprim17ROCPRIM_400000_NS6detail17trampoline_kernelINS0_14default_configENS1_27scan_by_key_config_selectorIiiEEZZNS1_16scan_by_key_implILNS1_25lookback_scan_determinismE0ELb0ES3_N6thrust23THRUST_200600_302600_NS6detail15normal_iteratorINS9_10device_ptrIiEEEESE_SE_iNS9_4plusIvEENS9_8equal_toIvEEiEE10hipError_tPvRmT2_T3_T4_T5_mT6_T7_P12ihipStream_tbENKUlT_T0_E_clISt17integral_constantIbLb1EESY_IbLb0EEEEDaSU_SV_EUlSU_E_NS1_11comp_targetILNS1_3genE9ELNS1_11target_archE1100ELNS1_3gpuE3ELNS1_3repE0EEENS1_30default_config_static_selectorELNS0_4arch9wavefront6targetE0EEEvT1_.uses_vcc, 0
	.set _ZN7rocprim17ROCPRIM_400000_NS6detail17trampoline_kernelINS0_14default_configENS1_27scan_by_key_config_selectorIiiEEZZNS1_16scan_by_key_implILNS1_25lookback_scan_determinismE0ELb0ES3_N6thrust23THRUST_200600_302600_NS6detail15normal_iteratorINS9_10device_ptrIiEEEESE_SE_iNS9_4plusIvEENS9_8equal_toIvEEiEE10hipError_tPvRmT2_T3_T4_T5_mT6_T7_P12ihipStream_tbENKUlT_T0_E_clISt17integral_constantIbLb1EESY_IbLb0EEEEDaSU_SV_EUlSU_E_NS1_11comp_targetILNS1_3genE9ELNS1_11target_archE1100ELNS1_3gpuE3ELNS1_3repE0EEENS1_30default_config_static_selectorELNS0_4arch9wavefront6targetE0EEEvT1_.uses_flat_scratch, 0
	.set _ZN7rocprim17ROCPRIM_400000_NS6detail17trampoline_kernelINS0_14default_configENS1_27scan_by_key_config_selectorIiiEEZZNS1_16scan_by_key_implILNS1_25lookback_scan_determinismE0ELb0ES3_N6thrust23THRUST_200600_302600_NS6detail15normal_iteratorINS9_10device_ptrIiEEEESE_SE_iNS9_4plusIvEENS9_8equal_toIvEEiEE10hipError_tPvRmT2_T3_T4_T5_mT6_T7_P12ihipStream_tbENKUlT_T0_E_clISt17integral_constantIbLb1EESY_IbLb0EEEEDaSU_SV_EUlSU_E_NS1_11comp_targetILNS1_3genE9ELNS1_11target_archE1100ELNS1_3gpuE3ELNS1_3repE0EEENS1_30default_config_static_selectorELNS0_4arch9wavefront6targetE0EEEvT1_.has_dyn_sized_stack, 0
	.set _ZN7rocprim17ROCPRIM_400000_NS6detail17trampoline_kernelINS0_14default_configENS1_27scan_by_key_config_selectorIiiEEZZNS1_16scan_by_key_implILNS1_25lookback_scan_determinismE0ELb0ES3_N6thrust23THRUST_200600_302600_NS6detail15normal_iteratorINS9_10device_ptrIiEEEESE_SE_iNS9_4plusIvEENS9_8equal_toIvEEiEE10hipError_tPvRmT2_T3_T4_T5_mT6_T7_P12ihipStream_tbENKUlT_T0_E_clISt17integral_constantIbLb1EESY_IbLb0EEEEDaSU_SV_EUlSU_E_NS1_11comp_targetILNS1_3genE9ELNS1_11target_archE1100ELNS1_3gpuE3ELNS1_3repE0EEENS1_30default_config_static_selectorELNS0_4arch9wavefront6targetE0EEEvT1_.has_recursion, 0
	.set _ZN7rocprim17ROCPRIM_400000_NS6detail17trampoline_kernelINS0_14default_configENS1_27scan_by_key_config_selectorIiiEEZZNS1_16scan_by_key_implILNS1_25lookback_scan_determinismE0ELb0ES3_N6thrust23THRUST_200600_302600_NS6detail15normal_iteratorINS9_10device_ptrIiEEEESE_SE_iNS9_4plusIvEENS9_8equal_toIvEEiEE10hipError_tPvRmT2_T3_T4_T5_mT6_T7_P12ihipStream_tbENKUlT_T0_E_clISt17integral_constantIbLb1EESY_IbLb0EEEEDaSU_SV_EUlSU_E_NS1_11comp_targetILNS1_3genE9ELNS1_11target_archE1100ELNS1_3gpuE3ELNS1_3repE0EEENS1_30default_config_static_selectorELNS0_4arch9wavefront6targetE0EEEvT1_.has_indirect_call, 0
	.section	.AMDGPU.csdata,"",@progbits
; Kernel info:
; codeLenInByte = 0
; TotalNumSgprs: 0
; NumVgprs: 0
; ScratchSize: 0
; MemoryBound: 0
; FloatMode: 240
; IeeeMode: 1
; LDSByteSize: 0 bytes/workgroup (compile time only)
; SGPRBlocks: 0
; VGPRBlocks: 0
; NumSGPRsForWavesPerEU: 1
; NumVGPRsForWavesPerEU: 1
; Occupancy: 16
; WaveLimiterHint : 0
; COMPUTE_PGM_RSRC2:SCRATCH_EN: 0
; COMPUTE_PGM_RSRC2:USER_SGPR: 6
; COMPUTE_PGM_RSRC2:TRAP_HANDLER: 0
; COMPUTE_PGM_RSRC2:TGID_X_EN: 1
; COMPUTE_PGM_RSRC2:TGID_Y_EN: 0
; COMPUTE_PGM_RSRC2:TGID_Z_EN: 0
; COMPUTE_PGM_RSRC2:TIDIG_COMP_CNT: 0
	.section	.text._ZN7rocprim17ROCPRIM_400000_NS6detail17trampoline_kernelINS0_14default_configENS1_27scan_by_key_config_selectorIiiEEZZNS1_16scan_by_key_implILNS1_25lookback_scan_determinismE0ELb0ES3_N6thrust23THRUST_200600_302600_NS6detail15normal_iteratorINS9_10device_ptrIiEEEESE_SE_iNS9_4plusIvEENS9_8equal_toIvEEiEE10hipError_tPvRmT2_T3_T4_T5_mT6_T7_P12ihipStream_tbENKUlT_T0_E_clISt17integral_constantIbLb1EESY_IbLb0EEEEDaSU_SV_EUlSU_E_NS1_11comp_targetILNS1_3genE8ELNS1_11target_archE1030ELNS1_3gpuE2ELNS1_3repE0EEENS1_30default_config_static_selectorELNS0_4arch9wavefront6targetE0EEEvT1_,"axG",@progbits,_ZN7rocprim17ROCPRIM_400000_NS6detail17trampoline_kernelINS0_14default_configENS1_27scan_by_key_config_selectorIiiEEZZNS1_16scan_by_key_implILNS1_25lookback_scan_determinismE0ELb0ES3_N6thrust23THRUST_200600_302600_NS6detail15normal_iteratorINS9_10device_ptrIiEEEESE_SE_iNS9_4plusIvEENS9_8equal_toIvEEiEE10hipError_tPvRmT2_T3_T4_T5_mT6_T7_P12ihipStream_tbENKUlT_T0_E_clISt17integral_constantIbLb1EESY_IbLb0EEEEDaSU_SV_EUlSU_E_NS1_11comp_targetILNS1_3genE8ELNS1_11target_archE1030ELNS1_3gpuE2ELNS1_3repE0EEENS1_30default_config_static_selectorELNS0_4arch9wavefront6targetE0EEEvT1_,comdat
	.protected	_ZN7rocprim17ROCPRIM_400000_NS6detail17trampoline_kernelINS0_14default_configENS1_27scan_by_key_config_selectorIiiEEZZNS1_16scan_by_key_implILNS1_25lookback_scan_determinismE0ELb0ES3_N6thrust23THRUST_200600_302600_NS6detail15normal_iteratorINS9_10device_ptrIiEEEESE_SE_iNS9_4plusIvEENS9_8equal_toIvEEiEE10hipError_tPvRmT2_T3_T4_T5_mT6_T7_P12ihipStream_tbENKUlT_T0_E_clISt17integral_constantIbLb1EESY_IbLb0EEEEDaSU_SV_EUlSU_E_NS1_11comp_targetILNS1_3genE8ELNS1_11target_archE1030ELNS1_3gpuE2ELNS1_3repE0EEENS1_30default_config_static_selectorELNS0_4arch9wavefront6targetE0EEEvT1_ ; -- Begin function _ZN7rocprim17ROCPRIM_400000_NS6detail17trampoline_kernelINS0_14default_configENS1_27scan_by_key_config_selectorIiiEEZZNS1_16scan_by_key_implILNS1_25lookback_scan_determinismE0ELb0ES3_N6thrust23THRUST_200600_302600_NS6detail15normal_iteratorINS9_10device_ptrIiEEEESE_SE_iNS9_4plusIvEENS9_8equal_toIvEEiEE10hipError_tPvRmT2_T3_T4_T5_mT6_T7_P12ihipStream_tbENKUlT_T0_E_clISt17integral_constantIbLb1EESY_IbLb0EEEEDaSU_SV_EUlSU_E_NS1_11comp_targetILNS1_3genE8ELNS1_11target_archE1030ELNS1_3gpuE2ELNS1_3repE0EEENS1_30default_config_static_selectorELNS0_4arch9wavefront6targetE0EEEvT1_
	.globl	_ZN7rocprim17ROCPRIM_400000_NS6detail17trampoline_kernelINS0_14default_configENS1_27scan_by_key_config_selectorIiiEEZZNS1_16scan_by_key_implILNS1_25lookback_scan_determinismE0ELb0ES3_N6thrust23THRUST_200600_302600_NS6detail15normal_iteratorINS9_10device_ptrIiEEEESE_SE_iNS9_4plusIvEENS9_8equal_toIvEEiEE10hipError_tPvRmT2_T3_T4_T5_mT6_T7_P12ihipStream_tbENKUlT_T0_E_clISt17integral_constantIbLb1EESY_IbLb0EEEEDaSU_SV_EUlSU_E_NS1_11comp_targetILNS1_3genE8ELNS1_11target_archE1030ELNS1_3gpuE2ELNS1_3repE0EEENS1_30default_config_static_selectorELNS0_4arch9wavefront6targetE0EEEvT1_
	.p2align	8
	.type	_ZN7rocprim17ROCPRIM_400000_NS6detail17trampoline_kernelINS0_14default_configENS1_27scan_by_key_config_selectorIiiEEZZNS1_16scan_by_key_implILNS1_25lookback_scan_determinismE0ELb0ES3_N6thrust23THRUST_200600_302600_NS6detail15normal_iteratorINS9_10device_ptrIiEEEESE_SE_iNS9_4plusIvEENS9_8equal_toIvEEiEE10hipError_tPvRmT2_T3_T4_T5_mT6_T7_P12ihipStream_tbENKUlT_T0_E_clISt17integral_constantIbLb1EESY_IbLb0EEEEDaSU_SV_EUlSU_E_NS1_11comp_targetILNS1_3genE8ELNS1_11target_archE1030ELNS1_3gpuE2ELNS1_3repE0EEENS1_30default_config_static_selectorELNS0_4arch9wavefront6targetE0EEEvT1_,@function
_ZN7rocprim17ROCPRIM_400000_NS6detail17trampoline_kernelINS0_14default_configENS1_27scan_by_key_config_selectorIiiEEZZNS1_16scan_by_key_implILNS1_25lookback_scan_determinismE0ELb0ES3_N6thrust23THRUST_200600_302600_NS6detail15normal_iteratorINS9_10device_ptrIiEEEESE_SE_iNS9_4plusIvEENS9_8equal_toIvEEiEE10hipError_tPvRmT2_T3_T4_T5_mT6_T7_P12ihipStream_tbENKUlT_T0_E_clISt17integral_constantIbLb1EESY_IbLb0EEEEDaSU_SV_EUlSU_E_NS1_11comp_targetILNS1_3genE8ELNS1_11target_archE1030ELNS1_3gpuE2ELNS1_3repE0EEENS1_30default_config_static_selectorELNS0_4arch9wavefront6targetE0EEEvT1_: ; @_ZN7rocprim17ROCPRIM_400000_NS6detail17trampoline_kernelINS0_14default_configENS1_27scan_by_key_config_selectorIiiEEZZNS1_16scan_by_key_implILNS1_25lookback_scan_determinismE0ELb0ES3_N6thrust23THRUST_200600_302600_NS6detail15normal_iteratorINS9_10device_ptrIiEEEESE_SE_iNS9_4plusIvEENS9_8equal_toIvEEiEE10hipError_tPvRmT2_T3_T4_T5_mT6_T7_P12ihipStream_tbENKUlT_T0_E_clISt17integral_constantIbLb1EESY_IbLb0EEEEDaSU_SV_EUlSU_E_NS1_11comp_targetILNS1_3genE8ELNS1_11target_archE1030ELNS1_3gpuE2ELNS1_3repE0EEENS1_30default_config_static_selectorELNS0_4arch9wavefront6targetE0EEEvT1_
; %bb.0:
	s_endpgm
	.section	.rodata,"a",@progbits
	.p2align	6, 0x0
	.amdhsa_kernel _ZN7rocprim17ROCPRIM_400000_NS6detail17trampoline_kernelINS0_14default_configENS1_27scan_by_key_config_selectorIiiEEZZNS1_16scan_by_key_implILNS1_25lookback_scan_determinismE0ELb0ES3_N6thrust23THRUST_200600_302600_NS6detail15normal_iteratorINS9_10device_ptrIiEEEESE_SE_iNS9_4plusIvEENS9_8equal_toIvEEiEE10hipError_tPvRmT2_T3_T4_T5_mT6_T7_P12ihipStream_tbENKUlT_T0_E_clISt17integral_constantIbLb1EESY_IbLb0EEEEDaSU_SV_EUlSU_E_NS1_11comp_targetILNS1_3genE8ELNS1_11target_archE1030ELNS1_3gpuE2ELNS1_3repE0EEENS1_30default_config_static_selectorELNS0_4arch9wavefront6targetE0EEEvT1_
		.amdhsa_group_segment_fixed_size 0
		.amdhsa_private_segment_fixed_size 0
		.amdhsa_kernarg_size 112
		.amdhsa_user_sgpr_count 6
		.amdhsa_user_sgpr_private_segment_buffer 1
		.amdhsa_user_sgpr_dispatch_ptr 0
		.amdhsa_user_sgpr_queue_ptr 0
		.amdhsa_user_sgpr_kernarg_segment_ptr 1
		.amdhsa_user_sgpr_dispatch_id 0
		.amdhsa_user_sgpr_flat_scratch_init 0
		.amdhsa_user_sgpr_private_segment_size 0
		.amdhsa_wavefront_size32 1
		.amdhsa_uses_dynamic_stack 0
		.amdhsa_system_sgpr_private_segment_wavefront_offset 0
		.amdhsa_system_sgpr_workgroup_id_x 1
		.amdhsa_system_sgpr_workgroup_id_y 0
		.amdhsa_system_sgpr_workgroup_id_z 0
		.amdhsa_system_sgpr_workgroup_info 0
		.amdhsa_system_vgpr_workitem_id 0
		.amdhsa_next_free_vgpr 1
		.amdhsa_next_free_sgpr 1
		.amdhsa_reserve_vcc 0
		.amdhsa_reserve_flat_scratch 0
		.amdhsa_float_round_mode_32 0
		.amdhsa_float_round_mode_16_64 0
		.amdhsa_float_denorm_mode_32 3
		.amdhsa_float_denorm_mode_16_64 3
		.amdhsa_dx10_clamp 1
		.amdhsa_ieee_mode 1
		.amdhsa_fp16_overflow 0
		.amdhsa_workgroup_processor_mode 1
		.amdhsa_memory_ordered 1
		.amdhsa_forward_progress 1
		.amdhsa_shared_vgpr_count 0
		.amdhsa_exception_fp_ieee_invalid_op 0
		.amdhsa_exception_fp_denorm_src 0
		.amdhsa_exception_fp_ieee_div_zero 0
		.amdhsa_exception_fp_ieee_overflow 0
		.amdhsa_exception_fp_ieee_underflow 0
		.amdhsa_exception_fp_ieee_inexact 0
		.amdhsa_exception_int_div_zero 0
	.end_amdhsa_kernel
	.section	.text._ZN7rocprim17ROCPRIM_400000_NS6detail17trampoline_kernelINS0_14default_configENS1_27scan_by_key_config_selectorIiiEEZZNS1_16scan_by_key_implILNS1_25lookback_scan_determinismE0ELb0ES3_N6thrust23THRUST_200600_302600_NS6detail15normal_iteratorINS9_10device_ptrIiEEEESE_SE_iNS9_4plusIvEENS9_8equal_toIvEEiEE10hipError_tPvRmT2_T3_T4_T5_mT6_T7_P12ihipStream_tbENKUlT_T0_E_clISt17integral_constantIbLb1EESY_IbLb0EEEEDaSU_SV_EUlSU_E_NS1_11comp_targetILNS1_3genE8ELNS1_11target_archE1030ELNS1_3gpuE2ELNS1_3repE0EEENS1_30default_config_static_selectorELNS0_4arch9wavefront6targetE0EEEvT1_,"axG",@progbits,_ZN7rocprim17ROCPRIM_400000_NS6detail17trampoline_kernelINS0_14default_configENS1_27scan_by_key_config_selectorIiiEEZZNS1_16scan_by_key_implILNS1_25lookback_scan_determinismE0ELb0ES3_N6thrust23THRUST_200600_302600_NS6detail15normal_iteratorINS9_10device_ptrIiEEEESE_SE_iNS9_4plusIvEENS9_8equal_toIvEEiEE10hipError_tPvRmT2_T3_T4_T5_mT6_T7_P12ihipStream_tbENKUlT_T0_E_clISt17integral_constantIbLb1EESY_IbLb0EEEEDaSU_SV_EUlSU_E_NS1_11comp_targetILNS1_3genE8ELNS1_11target_archE1030ELNS1_3gpuE2ELNS1_3repE0EEENS1_30default_config_static_selectorELNS0_4arch9wavefront6targetE0EEEvT1_,comdat
.Lfunc_end152:
	.size	_ZN7rocprim17ROCPRIM_400000_NS6detail17trampoline_kernelINS0_14default_configENS1_27scan_by_key_config_selectorIiiEEZZNS1_16scan_by_key_implILNS1_25lookback_scan_determinismE0ELb0ES3_N6thrust23THRUST_200600_302600_NS6detail15normal_iteratorINS9_10device_ptrIiEEEESE_SE_iNS9_4plusIvEENS9_8equal_toIvEEiEE10hipError_tPvRmT2_T3_T4_T5_mT6_T7_P12ihipStream_tbENKUlT_T0_E_clISt17integral_constantIbLb1EESY_IbLb0EEEEDaSU_SV_EUlSU_E_NS1_11comp_targetILNS1_3genE8ELNS1_11target_archE1030ELNS1_3gpuE2ELNS1_3repE0EEENS1_30default_config_static_selectorELNS0_4arch9wavefront6targetE0EEEvT1_, .Lfunc_end152-_ZN7rocprim17ROCPRIM_400000_NS6detail17trampoline_kernelINS0_14default_configENS1_27scan_by_key_config_selectorIiiEEZZNS1_16scan_by_key_implILNS1_25lookback_scan_determinismE0ELb0ES3_N6thrust23THRUST_200600_302600_NS6detail15normal_iteratorINS9_10device_ptrIiEEEESE_SE_iNS9_4plusIvEENS9_8equal_toIvEEiEE10hipError_tPvRmT2_T3_T4_T5_mT6_T7_P12ihipStream_tbENKUlT_T0_E_clISt17integral_constantIbLb1EESY_IbLb0EEEEDaSU_SV_EUlSU_E_NS1_11comp_targetILNS1_3genE8ELNS1_11target_archE1030ELNS1_3gpuE2ELNS1_3repE0EEENS1_30default_config_static_selectorELNS0_4arch9wavefront6targetE0EEEvT1_
                                        ; -- End function
	.set _ZN7rocprim17ROCPRIM_400000_NS6detail17trampoline_kernelINS0_14default_configENS1_27scan_by_key_config_selectorIiiEEZZNS1_16scan_by_key_implILNS1_25lookback_scan_determinismE0ELb0ES3_N6thrust23THRUST_200600_302600_NS6detail15normal_iteratorINS9_10device_ptrIiEEEESE_SE_iNS9_4plusIvEENS9_8equal_toIvEEiEE10hipError_tPvRmT2_T3_T4_T5_mT6_T7_P12ihipStream_tbENKUlT_T0_E_clISt17integral_constantIbLb1EESY_IbLb0EEEEDaSU_SV_EUlSU_E_NS1_11comp_targetILNS1_3genE8ELNS1_11target_archE1030ELNS1_3gpuE2ELNS1_3repE0EEENS1_30default_config_static_selectorELNS0_4arch9wavefront6targetE0EEEvT1_.num_vgpr, 0
	.set _ZN7rocprim17ROCPRIM_400000_NS6detail17trampoline_kernelINS0_14default_configENS1_27scan_by_key_config_selectorIiiEEZZNS1_16scan_by_key_implILNS1_25lookback_scan_determinismE0ELb0ES3_N6thrust23THRUST_200600_302600_NS6detail15normal_iteratorINS9_10device_ptrIiEEEESE_SE_iNS9_4plusIvEENS9_8equal_toIvEEiEE10hipError_tPvRmT2_T3_T4_T5_mT6_T7_P12ihipStream_tbENKUlT_T0_E_clISt17integral_constantIbLb1EESY_IbLb0EEEEDaSU_SV_EUlSU_E_NS1_11comp_targetILNS1_3genE8ELNS1_11target_archE1030ELNS1_3gpuE2ELNS1_3repE0EEENS1_30default_config_static_selectorELNS0_4arch9wavefront6targetE0EEEvT1_.num_agpr, 0
	.set _ZN7rocprim17ROCPRIM_400000_NS6detail17trampoline_kernelINS0_14default_configENS1_27scan_by_key_config_selectorIiiEEZZNS1_16scan_by_key_implILNS1_25lookback_scan_determinismE0ELb0ES3_N6thrust23THRUST_200600_302600_NS6detail15normal_iteratorINS9_10device_ptrIiEEEESE_SE_iNS9_4plusIvEENS9_8equal_toIvEEiEE10hipError_tPvRmT2_T3_T4_T5_mT6_T7_P12ihipStream_tbENKUlT_T0_E_clISt17integral_constantIbLb1EESY_IbLb0EEEEDaSU_SV_EUlSU_E_NS1_11comp_targetILNS1_3genE8ELNS1_11target_archE1030ELNS1_3gpuE2ELNS1_3repE0EEENS1_30default_config_static_selectorELNS0_4arch9wavefront6targetE0EEEvT1_.numbered_sgpr, 0
	.set _ZN7rocprim17ROCPRIM_400000_NS6detail17trampoline_kernelINS0_14default_configENS1_27scan_by_key_config_selectorIiiEEZZNS1_16scan_by_key_implILNS1_25lookback_scan_determinismE0ELb0ES3_N6thrust23THRUST_200600_302600_NS6detail15normal_iteratorINS9_10device_ptrIiEEEESE_SE_iNS9_4plusIvEENS9_8equal_toIvEEiEE10hipError_tPvRmT2_T3_T4_T5_mT6_T7_P12ihipStream_tbENKUlT_T0_E_clISt17integral_constantIbLb1EESY_IbLb0EEEEDaSU_SV_EUlSU_E_NS1_11comp_targetILNS1_3genE8ELNS1_11target_archE1030ELNS1_3gpuE2ELNS1_3repE0EEENS1_30default_config_static_selectorELNS0_4arch9wavefront6targetE0EEEvT1_.num_named_barrier, 0
	.set _ZN7rocprim17ROCPRIM_400000_NS6detail17trampoline_kernelINS0_14default_configENS1_27scan_by_key_config_selectorIiiEEZZNS1_16scan_by_key_implILNS1_25lookback_scan_determinismE0ELb0ES3_N6thrust23THRUST_200600_302600_NS6detail15normal_iteratorINS9_10device_ptrIiEEEESE_SE_iNS9_4plusIvEENS9_8equal_toIvEEiEE10hipError_tPvRmT2_T3_T4_T5_mT6_T7_P12ihipStream_tbENKUlT_T0_E_clISt17integral_constantIbLb1EESY_IbLb0EEEEDaSU_SV_EUlSU_E_NS1_11comp_targetILNS1_3genE8ELNS1_11target_archE1030ELNS1_3gpuE2ELNS1_3repE0EEENS1_30default_config_static_selectorELNS0_4arch9wavefront6targetE0EEEvT1_.private_seg_size, 0
	.set _ZN7rocprim17ROCPRIM_400000_NS6detail17trampoline_kernelINS0_14default_configENS1_27scan_by_key_config_selectorIiiEEZZNS1_16scan_by_key_implILNS1_25lookback_scan_determinismE0ELb0ES3_N6thrust23THRUST_200600_302600_NS6detail15normal_iteratorINS9_10device_ptrIiEEEESE_SE_iNS9_4plusIvEENS9_8equal_toIvEEiEE10hipError_tPvRmT2_T3_T4_T5_mT6_T7_P12ihipStream_tbENKUlT_T0_E_clISt17integral_constantIbLb1EESY_IbLb0EEEEDaSU_SV_EUlSU_E_NS1_11comp_targetILNS1_3genE8ELNS1_11target_archE1030ELNS1_3gpuE2ELNS1_3repE0EEENS1_30default_config_static_selectorELNS0_4arch9wavefront6targetE0EEEvT1_.uses_vcc, 0
	.set _ZN7rocprim17ROCPRIM_400000_NS6detail17trampoline_kernelINS0_14default_configENS1_27scan_by_key_config_selectorIiiEEZZNS1_16scan_by_key_implILNS1_25lookback_scan_determinismE0ELb0ES3_N6thrust23THRUST_200600_302600_NS6detail15normal_iteratorINS9_10device_ptrIiEEEESE_SE_iNS9_4plusIvEENS9_8equal_toIvEEiEE10hipError_tPvRmT2_T3_T4_T5_mT6_T7_P12ihipStream_tbENKUlT_T0_E_clISt17integral_constantIbLb1EESY_IbLb0EEEEDaSU_SV_EUlSU_E_NS1_11comp_targetILNS1_3genE8ELNS1_11target_archE1030ELNS1_3gpuE2ELNS1_3repE0EEENS1_30default_config_static_selectorELNS0_4arch9wavefront6targetE0EEEvT1_.uses_flat_scratch, 0
	.set _ZN7rocprim17ROCPRIM_400000_NS6detail17trampoline_kernelINS0_14default_configENS1_27scan_by_key_config_selectorIiiEEZZNS1_16scan_by_key_implILNS1_25lookback_scan_determinismE0ELb0ES3_N6thrust23THRUST_200600_302600_NS6detail15normal_iteratorINS9_10device_ptrIiEEEESE_SE_iNS9_4plusIvEENS9_8equal_toIvEEiEE10hipError_tPvRmT2_T3_T4_T5_mT6_T7_P12ihipStream_tbENKUlT_T0_E_clISt17integral_constantIbLb1EESY_IbLb0EEEEDaSU_SV_EUlSU_E_NS1_11comp_targetILNS1_3genE8ELNS1_11target_archE1030ELNS1_3gpuE2ELNS1_3repE0EEENS1_30default_config_static_selectorELNS0_4arch9wavefront6targetE0EEEvT1_.has_dyn_sized_stack, 0
	.set _ZN7rocprim17ROCPRIM_400000_NS6detail17trampoline_kernelINS0_14default_configENS1_27scan_by_key_config_selectorIiiEEZZNS1_16scan_by_key_implILNS1_25lookback_scan_determinismE0ELb0ES3_N6thrust23THRUST_200600_302600_NS6detail15normal_iteratorINS9_10device_ptrIiEEEESE_SE_iNS9_4plusIvEENS9_8equal_toIvEEiEE10hipError_tPvRmT2_T3_T4_T5_mT6_T7_P12ihipStream_tbENKUlT_T0_E_clISt17integral_constantIbLb1EESY_IbLb0EEEEDaSU_SV_EUlSU_E_NS1_11comp_targetILNS1_3genE8ELNS1_11target_archE1030ELNS1_3gpuE2ELNS1_3repE0EEENS1_30default_config_static_selectorELNS0_4arch9wavefront6targetE0EEEvT1_.has_recursion, 0
	.set _ZN7rocprim17ROCPRIM_400000_NS6detail17trampoline_kernelINS0_14default_configENS1_27scan_by_key_config_selectorIiiEEZZNS1_16scan_by_key_implILNS1_25lookback_scan_determinismE0ELb0ES3_N6thrust23THRUST_200600_302600_NS6detail15normal_iteratorINS9_10device_ptrIiEEEESE_SE_iNS9_4plusIvEENS9_8equal_toIvEEiEE10hipError_tPvRmT2_T3_T4_T5_mT6_T7_P12ihipStream_tbENKUlT_T0_E_clISt17integral_constantIbLb1EESY_IbLb0EEEEDaSU_SV_EUlSU_E_NS1_11comp_targetILNS1_3genE8ELNS1_11target_archE1030ELNS1_3gpuE2ELNS1_3repE0EEENS1_30default_config_static_selectorELNS0_4arch9wavefront6targetE0EEEvT1_.has_indirect_call, 0
	.section	.AMDGPU.csdata,"",@progbits
; Kernel info:
; codeLenInByte = 4
; TotalNumSgprs: 0
; NumVgprs: 0
; ScratchSize: 0
; MemoryBound: 0
; FloatMode: 240
; IeeeMode: 1
; LDSByteSize: 0 bytes/workgroup (compile time only)
; SGPRBlocks: 0
; VGPRBlocks: 0
; NumSGPRsForWavesPerEU: 1
; NumVGPRsForWavesPerEU: 1
; Occupancy: 16
; WaveLimiterHint : 0
; COMPUTE_PGM_RSRC2:SCRATCH_EN: 0
; COMPUTE_PGM_RSRC2:USER_SGPR: 6
; COMPUTE_PGM_RSRC2:TRAP_HANDLER: 0
; COMPUTE_PGM_RSRC2:TGID_X_EN: 1
; COMPUTE_PGM_RSRC2:TGID_Y_EN: 0
; COMPUTE_PGM_RSRC2:TGID_Z_EN: 0
; COMPUTE_PGM_RSRC2:TIDIG_COMP_CNT: 0
	.section	.text._ZN7rocprim17ROCPRIM_400000_NS6detail30init_device_scan_by_key_kernelINS1_19lookback_scan_stateINS0_5tupleIJibEEELb0ELb1EEEN6thrust23THRUST_200600_302600_NS6detail15normal_iteratorINS8_10device_ptrIiEEEEjNS1_16block_id_wrapperIjLb1EEEEEvT_jjPNSG_10value_typeET0_PNSt15iterator_traitsISJ_E10value_typeEmT1_T2_,"axG",@progbits,_ZN7rocprim17ROCPRIM_400000_NS6detail30init_device_scan_by_key_kernelINS1_19lookback_scan_stateINS0_5tupleIJibEEELb0ELb1EEEN6thrust23THRUST_200600_302600_NS6detail15normal_iteratorINS8_10device_ptrIiEEEEjNS1_16block_id_wrapperIjLb1EEEEEvT_jjPNSG_10value_typeET0_PNSt15iterator_traitsISJ_E10value_typeEmT1_T2_,comdat
	.protected	_ZN7rocprim17ROCPRIM_400000_NS6detail30init_device_scan_by_key_kernelINS1_19lookback_scan_stateINS0_5tupleIJibEEELb0ELb1EEEN6thrust23THRUST_200600_302600_NS6detail15normal_iteratorINS8_10device_ptrIiEEEEjNS1_16block_id_wrapperIjLb1EEEEEvT_jjPNSG_10value_typeET0_PNSt15iterator_traitsISJ_E10value_typeEmT1_T2_ ; -- Begin function _ZN7rocprim17ROCPRIM_400000_NS6detail30init_device_scan_by_key_kernelINS1_19lookback_scan_stateINS0_5tupleIJibEEELb0ELb1EEEN6thrust23THRUST_200600_302600_NS6detail15normal_iteratorINS8_10device_ptrIiEEEEjNS1_16block_id_wrapperIjLb1EEEEEvT_jjPNSG_10value_typeET0_PNSt15iterator_traitsISJ_E10value_typeEmT1_T2_
	.globl	_ZN7rocprim17ROCPRIM_400000_NS6detail30init_device_scan_by_key_kernelINS1_19lookback_scan_stateINS0_5tupleIJibEEELb0ELb1EEEN6thrust23THRUST_200600_302600_NS6detail15normal_iteratorINS8_10device_ptrIiEEEEjNS1_16block_id_wrapperIjLb1EEEEEvT_jjPNSG_10value_typeET0_PNSt15iterator_traitsISJ_E10value_typeEmT1_T2_
	.p2align	8
	.type	_ZN7rocprim17ROCPRIM_400000_NS6detail30init_device_scan_by_key_kernelINS1_19lookback_scan_stateINS0_5tupleIJibEEELb0ELb1EEEN6thrust23THRUST_200600_302600_NS6detail15normal_iteratorINS8_10device_ptrIiEEEEjNS1_16block_id_wrapperIjLb1EEEEEvT_jjPNSG_10value_typeET0_PNSt15iterator_traitsISJ_E10value_typeEmT1_T2_,@function
_ZN7rocprim17ROCPRIM_400000_NS6detail30init_device_scan_by_key_kernelINS1_19lookback_scan_stateINS0_5tupleIJibEEELb0ELb1EEEN6thrust23THRUST_200600_302600_NS6detail15normal_iteratorINS8_10device_ptrIiEEEEjNS1_16block_id_wrapperIjLb1EEEEEvT_jjPNSG_10value_typeET0_PNSt15iterator_traitsISJ_E10value_typeEmT1_T2_: ; @_ZN7rocprim17ROCPRIM_400000_NS6detail30init_device_scan_by_key_kernelINS1_19lookback_scan_stateINS0_5tupleIJibEEELb0ELb1EEEN6thrust23THRUST_200600_302600_NS6detail15normal_iteratorINS8_10device_ptrIiEEEEjNS1_16block_id_wrapperIjLb1EEEEEvT_jjPNSG_10value_typeET0_PNSt15iterator_traitsISJ_E10value_typeEmT1_T2_
; %bb.0:
	s_clause 0x2
	s_load_dword s0, s[4:5], 0x4c
	s_load_dwordx8 s[8:15], s[4:5], 0x0
	s_load_dword s7, s[4:5], 0x40
	s_waitcnt lgkmcnt(0)
	s_and_b32 s16, s0, 0xffff
	s_cmp_eq_u64 s[12:13], 0
	v_mad_u64_u32 v[4:5], null, s6, s16, v[0:1]
	s_cbranch_scc1 .LBB153_8
; %bb.1:
	s_cmp_lt_u32 s11, s10
	s_mov_b32 s1, 0
	s_cselect_b32 s0, s11, 0
	s_mov_b32 s2, exec_lo
	v_cmpx_eq_u32_e64 s0, v4
	s_cbranch_execz .LBB153_7
; %bb.2:
	s_add_i32 s0, s11, 32
	v_mov_b32_e32 v6, 0
	s_lshl_b64 s[0:1], s[0:1], 4
	s_mov_b32 s3, exec_lo
	s_add_u32 s0, s8, s0
	s_addc_u32 s1, s9, s1
	v_mov_b32_e32 v0, s0
	v_mov_b32_e32 v1, s1
	;;#ASMSTART
	global_load_dwordx4 v[0:3], v[0:1] off glc dlc	
s_waitcnt vmcnt(0)
	;;#ASMEND
	v_and_b32_e32 v5, 0xff, v2
	v_cmpx_eq_u64_e32 0, v[5:6]
	s_cbranch_execz .LBB153_6
; %bb.3:
	v_mov_b32_e32 v8, s1
	v_mov_b32_e32 v7, s0
	s_mov_b32 s0, 0
.LBB153_4:                              ; =>This Inner Loop Header: Depth=1
	;;#ASMSTART
	global_load_dwordx4 v[0:3], v[7:8] off glc dlc	
s_waitcnt vmcnt(0)
	;;#ASMEND
	v_and_b32_e32 v5, 0xff, v2
	v_cmp_ne_u64_e32 vcc_lo, 0, v[5:6]
	s_or_b32 s0, vcc_lo, s0
	s_andn2_b32 exec_lo, exec_lo, s0
	s_cbranch_execnz .LBB153_4
; %bb.5:
	s_or_b32 exec_lo, exec_lo, s0
.LBB153_6:
	s_or_b32 exec_lo, exec_lo, s3
	v_mov_b32_e32 v2, 0
	global_store_dword v2, v0, s[12:13]
	global_store_byte v2, v1, s[12:13] offset:4
.LBB153_7:
	s_or_b32 exec_lo, exec_lo, s2
.LBB153_8:
	s_mov_b32 s0, exec_lo
	v_cmpx_eq_u32_e32 0, v4
	s_cbranch_execz .LBB153_10
; %bb.9:
	s_load_dwordx2 s[2:3], s[4:5], 0x38
	v_mov_b32_e32 v0, 0
	s_waitcnt lgkmcnt(0)
	global_store_dword v0, v0, s[2:3]
.LBB153_10:
	s_or_b32 exec_lo, exec_lo, s0
	s_mov_b32 s0, exec_lo
	v_cmpx_gt_u32_e64 s10, v4
	s_cbranch_execz .LBB153_12
; %bb.11:
	v_add_nc_u32_e32 v0, 32, v4
	v_mov_b32_e32 v1, 0
	v_lshlrev_b64 v[5:6], 4, v[0:1]
	v_mov_b32_e32 v0, v1
	v_mov_b32_e32 v2, v1
	;; [unrolled: 1-line block ×3, first 2 shown]
	v_add_co_u32 v5, vcc_lo, s8, v5
	v_add_co_ci_u32_e64 v6, null, s9, v6, vcc_lo
	global_store_dwordx4 v[5:6], v[0:3], off
.LBB153_12:
	s_or_b32 exec_lo, exec_lo, s0
	v_mov_b32_e32 v5, 0
	s_mov_b32 s0, exec_lo
	v_cmpx_gt_u32_e32 32, v4
	s_cbranch_execz .LBB153_14
; %bb.13:
	v_lshlrev_b64 v[6:7], 4, v[4:5]
	v_mov_b32_e32 v2, 0xff
	v_mov_b32_e32 v0, v5
	;; [unrolled: 1-line block ×4, first 2 shown]
	v_add_co_u32 v6, vcc_lo, s8, v6
	v_add_co_ci_u32_e64 v7, null, s9, v7, vcc_lo
	global_store_dwordx4 v[6:7], v[0:3], off
.LBB153_14:
	s_or_b32 exec_lo, exec_lo, s0
	s_load_dwordx2 s[2:3], s[4:5], 0x28
	s_mov_b32 s0, exec_lo
	s_waitcnt lgkmcnt(0)
	v_cmpx_gt_u64_e64 s[2:3], v[4:5]
	s_cbranch_execz .LBB153_17
; %bb.15:
	s_clause 0x1
	s_load_dword s6, s[4:5], 0x30
	s_load_dwordx2 s[8:9], s[4:5], 0x20
	s_mov_b32 s1, 0
	v_lshlrev_b64 v[2:3], 2, v[4:5]
	s_mul_i32 s4, s7, s16
	s_waitcnt lgkmcnt(0)
	v_mad_u64_u32 v[0:1], null, s6, v4, 0
	s_add_i32 s0, s6, -1
	s_mul_hi_u32 s7, s6, s4
	s_lshl_b64 s[10:11], s[0:1], 2
	s_mul_i32 s6, s6, s4
	s_add_u32 s0, s14, s10
	s_addc_u32 s5, s15, s11
	v_lshlrev_b64 v[0:1], 2, v[0:1]
	s_lshl_b64 s[6:7], s[6:7], 2
	v_add_co_u32 v0, vcc_lo, s0, v0
	v_add_co_ci_u32_e64 v1, null, s5, v1, vcc_lo
	v_add_co_u32 v2, vcc_lo, s8, v2
	v_add_co_ci_u32_e64 v3, null, s9, v3, vcc_lo
	s_mov_b32 s5, s1
	s_lshl_b64 s[8:9], s[4:5], 2
	.p2align	6
.LBB153_16:                             ; =>This Inner Loop Header: Depth=1
	global_load_dword v6, v[0:1], off
	v_add_co_u32 v4, vcc_lo, v4, s4
	v_add_co_ci_u32_e64 v5, null, 0, v5, vcc_lo
	v_add_co_u32 v0, vcc_lo, v0, s6
	v_add_co_ci_u32_e64 v1, null, s7, v1, vcc_lo
	v_cmp_le_u64_e32 vcc_lo, s[2:3], v[4:5]
	s_or_b32 s1, vcc_lo, s1
	s_waitcnt vmcnt(0)
	global_store_dword v[2:3], v6, off
	v_add_co_u32 v2, s0, v2, s8
	v_add_co_ci_u32_e64 v3, null, s9, v3, s0
	s_andn2_b32 exec_lo, exec_lo, s1
	s_cbranch_execnz .LBB153_16
.LBB153_17:
	s_endpgm
	.section	.rodata,"a",@progbits
	.p2align	6, 0x0
	.amdhsa_kernel _ZN7rocprim17ROCPRIM_400000_NS6detail30init_device_scan_by_key_kernelINS1_19lookback_scan_stateINS0_5tupleIJibEEELb0ELb1EEEN6thrust23THRUST_200600_302600_NS6detail15normal_iteratorINS8_10device_ptrIiEEEEjNS1_16block_id_wrapperIjLb1EEEEEvT_jjPNSG_10value_typeET0_PNSt15iterator_traitsISJ_E10value_typeEmT1_T2_
		.amdhsa_group_segment_fixed_size 0
		.amdhsa_private_segment_fixed_size 0
		.amdhsa_kernarg_size 320
		.amdhsa_user_sgpr_count 6
		.amdhsa_user_sgpr_private_segment_buffer 1
		.amdhsa_user_sgpr_dispatch_ptr 0
		.amdhsa_user_sgpr_queue_ptr 0
		.amdhsa_user_sgpr_kernarg_segment_ptr 1
		.amdhsa_user_sgpr_dispatch_id 0
		.amdhsa_user_sgpr_flat_scratch_init 0
		.amdhsa_user_sgpr_private_segment_size 0
		.amdhsa_wavefront_size32 1
		.amdhsa_uses_dynamic_stack 0
		.amdhsa_system_sgpr_private_segment_wavefront_offset 0
		.amdhsa_system_sgpr_workgroup_id_x 1
		.amdhsa_system_sgpr_workgroup_id_y 0
		.amdhsa_system_sgpr_workgroup_id_z 0
		.amdhsa_system_sgpr_workgroup_info 0
		.amdhsa_system_vgpr_workitem_id 0
		.amdhsa_next_free_vgpr 9
		.amdhsa_next_free_sgpr 17
		.amdhsa_reserve_vcc 1
		.amdhsa_reserve_flat_scratch 0
		.amdhsa_float_round_mode_32 0
		.amdhsa_float_round_mode_16_64 0
		.amdhsa_float_denorm_mode_32 3
		.amdhsa_float_denorm_mode_16_64 3
		.amdhsa_dx10_clamp 1
		.amdhsa_ieee_mode 1
		.amdhsa_fp16_overflow 0
		.amdhsa_workgroup_processor_mode 1
		.amdhsa_memory_ordered 1
		.amdhsa_forward_progress 1
		.amdhsa_shared_vgpr_count 0
		.amdhsa_exception_fp_ieee_invalid_op 0
		.amdhsa_exception_fp_denorm_src 0
		.amdhsa_exception_fp_ieee_div_zero 0
		.amdhsa_exception_fp_ieee_overflow 0
		.amdhsa_exception_fp_ieee_underflow 0
		.amdhsa_exception_fp_ieee_inexact 0
		.amdhsa_exception_int_div_zero 0
	.end_amdhsa_kernel
	.section	.text._ZN7rocprim17ROCPRIM_400000_NS6detail30init_device_scan_by_key_kernelINS1_19lookback_scan_stateINS0_5tupleIJibEEELb0ELb1EEEN6thrust23THRUST_200600_302600_NS6detail15normal_iteratorINS8_10device_ptrIiEEEEjNS1_16block_id_wrapperIjLb1EEEEEvT_jjPNSG_10value_typeET0_PNSt15iterator_traitsISJ_E10value_typeEmT1_T2_,"axG",@progbits,_ZN7rocprim17ROCPRIM_400000_NS6detail30init_device_scan_by_key_kernelINS1_19lookback_scan_stateINS0_5tupleIJibEEELb0ELb1EEEN6thrust23THRUST_200600_302600_NS6detail15normal_iteratorINS8_10device_ptrIiEEEEjNS1_16block_id_wrapperIjLb1EEEEEvT_jjPNSG_10value_typeET0_PNSt15iterator_traitsISJ_E10value_typeEmT1_T2_,comdat
.Lfunc_end153:
	.size	_ZN7rocprim17ROCPRIM_400000_NS6detail30init_device_scan_by_key_kernelINS1_19lookback_scan_stateINS0_5tupleIJibEEELb0ELb1EEEN6thrust23THRUST_200600_302600_NS6detail15normal_iteratorINS8_10device_ptrIiEEEEjNS1_16block_id_wrapperIjLb1EEEEEvT_jjPNSG_10value_typeET0_PNSt15iterator_traitsISJ_E10value_typeEmT1_T2_, .Lfunc_end153-_ZN7rocprim17ROCPRIM_400000_NS6detail30init_device_scan_by_key_kernelINS1_19lookback_scan_stateINS0_5tupleIJibEEELb0ELb1EEEN6thrust23THRUST_200600_302600_NS6detail15normal_iteratorINS8_10device_ptrIiEEEEjNS1_16block_id_wrapperIjLb1EEEEEvT_jjPNSG_10value_typeET0_PNSt15iterator_traitsISJ_E10value_typeEmT1_T2_
                                        ; -- End function
	.set _ZN7rocprim17ROCPRIM_400000_NS6detail30init_device_scan_by_key_kernelINS1_19lookback_scan_stateINS0_5tupleIJibEEELb0ELb1EEEN6thrust23THRUST_200600_302600_NS6detail15normal_iteratorINS8_10device_ptrIiEEEEjNS1_16block_id_wrapperIjLb1EEEEEvT_jjPNSG_10value_typeET0_PNSt15iterator_traitsISJ_E10value_typeEmT1_T2_.num_vgpr, 9
	.set _ZN7rocprim17ROCPRIM_400000_NS6detail30init_device_scan_by_key_kernelINS1_19lookback_scan_stateINS0_5tupleIJibEEELb0ELb1EEEN6thrust23THRUST_200600_302600_NS6detail15normal_iteratorINS8_10device_ptrIiEEEEjNS1_16block_id_wrapperIjLb1EEEEEvT_jjPNSG_10value_typeET0_PNSt15iterator_traitsISJ_E10value_typeEmT1_T2_.num_agpr, 0
	.set _ZN7rocprim17ROCPRIM_400000_NS6detail30init_device_scan_by_key_kernelINS1_19lookback_scan_stateINS0_5tupleIJibEEELb0ELb1EEEN6thrust23THRUST_200600_302600_NS6detail15normal_iteratorINS8_10device_ptrIiEEEEjNS1_16block_id_wrapperIjLb1EEEEEvT_jjPNSG_10value_typeET0_PNSt15iterator_traitsISJ_E10value_typeEmT1_T2_.numbered_sgpr, 17
	.set _ZN7rocprim17ROCPRIM_400000_NS6detail30init_device_scan_by_key_kernelINS1_19lookback_scan_stateINS0_5tupleIJibEEELb0ELb1EEEN6thrust23THRUST_200600_302600_NS6detail15normal_iteratorINS8_10device_ptrIiEEEEjNS1_16block_id_wrapperIjLb1EEEEEvT_jjPNSG_10value_typeET0_PNSt15iterator_traitsISJ_E10value_typeEmT1_T2_.num_named_barrier, 0
	.set _ZN7rocprim17ROCPRIM_400000_NS6detail30init_device_scan_by_key_kernelINS1_19lookback_scan_stateINS0_5tupleIJibEEELb0ELb1EEEN6thrust23THRUST_200600_302600_NS6detail15normal_iteratorINS8_10device_ptrIiEEEEjNS1_16block_id_wrapperIjLb1EEEEEvT_jjPNSG_10value_typeET0_PNSt15iterator_traitsISJ_E10value_typeEmT1_T2_.private_seg_size, 0
	.set _ZN7rocprim17ROCPRIM_400000_NS6detail30init_device_scan_by_key_kernelINS1_19lookback_scan_stateINS0_5tupleIJibEEELb0ELb1EEEN6thrust23THRUST_200600_302600_NS6detail15normal_iteratorINS8_10device_ptrIiEEEEjNS1_16block_id_wrapperIjLb1EEEEEvT_jjPNSG_10value_typeET0_PNSt15iterator_traitsISJ_E10value_typeEmT1_T2_.uses_vcc, 1
	.set _ZN7rocprim17ROCPRIM_400000_NS6detail30init_device_scan_by_key_kernelINS1_19lookback_scan_stateINS0_5tupleIJibEEELb0ELb1EEEN6thrust23THRUST_200600_302600_NS6detail15normal_iteratorINS8_10device_ptrIiEEEEjNS1_16block_id_wrapperIjLb1EEEEEvT_jjPNSG_10value_typeET0_PNSt15iterator_traitsISJ_E10value_typeEmT1_T2_.uses_flat_scratch, 0
	.set _ZN7rocprim17ROCPRIM_400000_NS6detail30init_device_scan_by_key_kernelINS1_19lookback_scan_stateINS0_5tupleIJibEEELb0ELb1EEEN6thrust23THRUST_200600_302600_NS6detail15normal_iteratorINS8_10device_ptrIiEEEEjNS1_16block_id_wrapperIjLb1EEEEEvT_jjPNSG_10value_typeET0_PNSt15iterator_traitsISJ_E10value_typeEmT1_T2_.has_dyn_sized_stack, 0
	.set _ZN7rocprim17ROCPRIM_400000_NS6detail30init_device_scan_by_key_kernelINS1_19lookback_scan_stateINS0_5tupleIJibEEELb0ELb1EEEN6thrust23THRUST_200600_302600_NS6detail15normal_iteratorINS8_10device_ptrIiEEEEjNS1_16block_id_wrapperIjLb1EEEEEvT_jjPNSG_10value_typeET0_PNSt15iterator_traitsISJ_E10value_typeEmT1_T2_.has_recursion, 0
	.set _ZN7rocprim17ROCPRIM_400000_NS6detail30init_device_scan_by_key_kernelINS1_19lookback_scan_stateINS0_5tupleIJibEEELb0ELb1EEEN6thrust23THRUST_200600_302600_NS6detail15normal_iteratorINS8_10device_ptrIiEEEEjNS1_16block_id_wrapperIjLb1EEEEEvT_jjPNSG_10value_typeET0_PNSt15iterator_traitsISJ_E10value_typeEmT1_T2_.has_indirect_call, 0
	.section	.AMDGPU.csdata,"",@progbits
; Kernel info:
; codeLenInByte = 728
; TotalNumSgprs: 19
; NumVgprs: 9
; ScratchSize: 0
; MemoryBound: 0
; FloatMode: 240
; IeeeMode: 1
; LDSByteSize: 0 bytes/workgroup (compile time only)
; SGPRBlocks: 0
; VGPRBlocks: 1
; NumSGPRsForWavesPerEU: 19
; NumVGPRsForWavesPerEU: 9
; Occupancy: 16
; WaveLimiterHint : 0
; COMPUTE_PGM_RSRC2:SCRATCH_EN: 0
; COMPUTE_PGM_RSRC2:USER_SGPR: 6
; COMPUTE_PGM_RSRC2:TRAP_HANDLER: 0
; COMPUTE_PGM_RSRC2:TGID_X_EN: 1
; COMPUTE_PGM_RSRC2:TGID_Y_EN: 0
; COMPUTE_PGM_RSRC2:TGID_Z_EN: 0
; COMPUTE_PGM_RSRC2:TIDIG_COMP_CNT: 0
	.section	.text._ZN7rocprim17ROCPRIM_400000_NS6detail30init_device_scan_by_key_kernelINS1_19lookback_scan_stateINS0_5tupleIJibEEELb0ELb1EEENS1_16block_id_wrapperIjLb1EEEEEvT_jjPNS9_10value_typeET0_,"axG",@progbits,_ZN7rocprim17ROCPRIM_400000_NS6detail30init_device_scan_by_key_kernelINS1_19lookback_scan_stateINS0_5tupleIJibEEELb0ELb1EEENS1_16block_id_wrapperIjLb1EEEEEvT_jjPNS9_10value_typeET0_,comdat
	.protected	_ZN7rocprim17ROCPRIM_400000_NS6detail30init_device_scan_by_key_kernelINS1_19lookback_scan_stateINS0_5tupleIJibEEELb0ELb1EEENS1_16block_id_wrapperIjLb1EEEEEvT_jjPNS9_10value_typeET0_ ; -- Begin function _ZN7rocprim17ROCPRIM_400000_NS6detail30init_device_scan_by_key_kernelINS1_19lookback_scan_stateINS0_5tupleIJibEEELb0ELb1EEENS1_16block_id_wrapperIjLb1EEEEEvT_jjPNS9_10value_typeET0_
	.globl	_ZN7rocprim17ROCPRIM_400000_NS6detail30init_device_scan_by_key_kernelINS1_19lookback_scan_stateINS0_5tupleIJibEEELb0ELb1EEENS1_16block_id_wrapperIjLb1EEEEEvT_jjPNS9_10value_typeET0_
	.p2align	8
	.type	_ZN7rocprim17ROCPRIM_400000_NS6detail30init_device_scan_by_key_kernelINS1_19lookback_scan_stateINS0_5tupleIJibEEELb0ELb1EEENS1_16block_id_wrapperIjLb1EEEEEvT_jjPNS9_10value_typeET0_,@function
_ZN7rocprim17ROCPRIM_400000_NS6detail30init_device_scan_by_key_kernelINS1_19lookback_scan_stateINS0_5tupleIJibEEELb0ELb1EEENS1_16block_id_wrapperIjLb1EEEEEvT_jjPNS9_10value_typeET0_: ; @_ZN7rocprim17ROCPRIM_400000_NS6detail30init_device_scan_by_key_kernelINS1_19lookback_scan_stateINS0_5tupleIJibEEELb0ELb1EEENS1_16block_id_wrapperIjLb1EEEEEvT_jjPNS9_10value_typeET0_
; %bb.0:
	s_clause 0x1
	s_load_dword s0, s[4:5], 0x2c
	s_load_dwordx8 s[8:15], s[4:5], 0x0
	s_waitcnt lgkmcnt(0)
	s_and_b32 s0, s0, 0xffff
	s_cmp_eq_u64 s[12:13], 0
	v_mad_u64_u32 v[0:1], null, s6, s0, v[0:1]
	s_cbranch_scc1 .LBB154_8
; %bb.1:
	s_cmp_lt_u32 s11, s10
	s_mov_b32 s1, 0
	s_cselect_b32 s0, s11, 0
	s_mov_b32 s2, exec_lo
	v_cmpx_eq_u32_e64 s0, v0
	s_cbranch_execz .LBB154_7
; %bb.2:
	s_add_i32 s0, s11, 32
	v_mov_b32_e32 v5, 0
	s_lshl_b64 s[0:1], s[0:1], 4
	s_mov_b32 s3, exec_lo
	s_add_u32 s0, s8, s0
	s_addc_u32 s1, s9, s1
	v_mov_b32_e32 v2, s1
	v_mov_b32_e32 v1, s0
	;;#ASMSTART
	global_load_dwordx4 v[1:4], v[1:2] off glc dlc	
s_waitcnt vmcnt(0)
	;;#ASMEND
	v_and_b32_e32 v4, 0xff, v3
	v_cmpx_eq_u64_e32 0, v[4:5]
	s_cbranch_execz .LBB154_6
; %bb.3:
	v_mov_b32_e32 v7, s1
	v_mov_b32_e32 v6, s0
	s_mov_b32 s0, 0
.LBB154_4:                              ; =>This Inner Loop Header: Depth=1
	;;#ASMSTART
	global_load_dwordx4 v[1:4], v[6:7] off glc dlc	
s_waitcnt vmcnt(0)
	;;#ASMEND
	v_and_b32_e32 v4, 0xff, v3
	v_cmp_ne_u64_e32 vcc_lo, 0, v[4:5]
	s_or_b32 s0, vcc_lo, s0
	s_andn2_b32 exec_lo, exec_lo, s0
	s_cbranch_execnz .LBB154_4
; %bb.5:
	s_or_b32 exec_lo, exec_lo, s0
.LBB154_6:
	s_or_b32 exec_lo, exec_lo, s3
	v_mov_b32_e32 v3, 0
	global_store_dword v3, v1, s[12:13]
	global_store_byte v3, v2, s[12:13] offset:4
.LBB154_7:
	s_or_b32 exec_lo, exec_lo, s2
.LBB154_8:
	s_mov_b32 s0, exec_lo
	v_cmpx_eq_u32_e32 0, v0
	s_cbranch_execz .LBB154_10
; %bb.9:
	v_mov_b32_e32 v1, 0
	global_store_dword v1, v1, s[14:15]
.LBB154_10:
	s_or_b32 exec_lo, exec_lo, s0
	s_mov_b32 s0, exec_lo
	v_cmpx_gt_u32_e64 s10, v0
	s_cbranch_execz .LBB154_12
; %bb.11:
	v_add_nc_u32_e32 v1, 32, v0
	v_mov_b32_e32 v2, 0
	v_lshlrev_b64 v[4:5], 4, v[1:2]
	v_mov_b32_e32 v1, v2
	v_mov_b32_e32 v3, v2
	v_add_co_u32 v6, vcc_lo, s8, v4
	v_add_co_ci_u32_e64 v7, null, s9, v5, vcc_lo
	v_mov_b32_e32 v4, v2
	global_store_dwordx4 v[6:7], v[1:4], off
.LBB154_12:
	s_or_b32 exec_lo, exec_lo, s0
	s_mov_b32 s0, exec_lo
	v_cmpx_gt_u32_e32 32, v0
	s_cbranch_execz .LBB154_14
; %bb.13:
	v_mov_b32_e32 v1, 0
	v_mov_b32_e32 v2, 0xff
	v_lshlrev_b64 v[3:4], 4, v[0:1]
	v_mov_b32_e32 v0, v1
	v_add_co_u32 v5, vcc_lo, s8, v3
	v_add_co_ci_u32_e64 v6, null, s9, v4, vcc_lo
	v_mov_b32_e32 v3, v1
	global_store_dwordx4 v[5:6], v[0:3], off
.LBB154_14:
	s_endpgm
	.section	.rodata,"a",@progbits
	.p2align	6, 0x0
	.amdhsa_kernel _ZN7rocprim17ROCPRIM_400000_NS6detail30init_device_scan_by_key_kernelINS1_19lookback_scan_stateINS0_5tupleIJibEEELb0ELb1EEENS1_16block_id_wrapperIjLb1EEEEEvT_jjPNS9_10value_typeET0_
		.amdhsa_group_segment_fixed_size 0
		.amdhsa_private_segment_fixed_size 0
		.amdhsa_kernarg_size 288
		.amdhsa_user_sgpr_count 6
		.amdhsa_user_sgpr_private_segment_buffer 1
		.amdhsa_user_sgpr_dispatch_ptr 0
		.amdhsa_user_sgpr_queue_ptr 0
		.amdhsa_user_sgpr_kernarg_segment_ptr 1
		.amdhsa_user_sgpr_dispatch_id 0
		.amdhsa_user_sgpr_flat_scratch_init 0
		.amdhsa_user_sgpr_private_segment_size 0
		.amdhsa_wavefront_size32 1
		.amdhsa_uses_dynamic_stack 0
		.amdhsa_system_sgpr_private_segment_wavefront_offset 0
		.amdhsa_system_sgpr_workgroup_id_x 1
		.amdhsa_system_sgpr_workgroup_id_y 0
		.amdhsa_system_sgpr_workgroup_id_z 0
		.amdhsa_system_sgpr_workgroup_info 0
		.amdhsa_system_vgpr_workitem_id 0
		.amdhsa_next_free_vgpr 8
		.amdhsa_next_free_sgpr 16
		.amdhsa_reserve_vcc 1
		.amdhsa_reserve_flat_scratch 0
		.amdhsa_float_round_mode_32 0
		.amdhsa_float_round_mode_16_64 0
		.amdhsa_float_denorm_mode_32 3
		.amdhsa_float_denorm_mode_16_64 3
		.amdhsa_dx10_clamp 1
		.amdhsa_ieee_mode 1
		.amdhsa_fp16_overflow 0
		.amdhsa_workgroup_processor_mode 1
		.amdhsa_memory_ordered 1
		.amdhsa_forward_progress 1
		.amdhsa_shared_vgpr_count 0
		.amdhsa_exception_fp_ieee_invalid_op 0
		.amdhsa_exception_fp_denorm_src 0
		.amdhsa_exception_fp_ieee_div_zero 0
		.amdhsa_exception_fp_ieee_overflow 0
		.amdhsa_exception_fp_ieee_underflow 0
		.amdhsa_exception_fp_ieee_inexact 0
		.amdhsa_exception_int_div_zero 0
	.end_amdhsa_kernel
	.section	.text._ZN7rocprim17ROCPRIM_400000_NS6detail30init_device_scan_by_key_kernelINS1_19lookback_scan_stateINS0_5tupleIJibEEELb0ELb1EEENS1_16block_id_wrapperIjLb1EEEEEvT_jjPNS9_10value_typeET0_,"axG",@progbits,_ZN7rocprim17ROCPRIM_400000_NS6detail30init_device_scan_by_key_kernelINS1_19lookback_scan_stateINS0_5tupleIJibEEELb0ELb1EEENS1_16block_id_wrapperIjLb1EEEEEvT_jjPNS9_10value_typeET0_,comdat
.Lfunc_end154:
	.size	_ZN7rocprim17ROCPRIM_400000_NS6detail30init_device_scan_by_key_kernelINS1_19lookback_scan_stateINS0_5tupleIJibEEELb0ELb1EEENS1_16block_id_wrapperIjLb1EEEEEvT_jjPNS9_10value_typeET0_, .Lfunc_end154-_ZN7rocprim17ROCPRIM_400000_NS6detail30init_device_scan_by_key_kernelINS1_19lookback_scan_stateINS0_5tupleIJibEEELb0ELb1EEENS1_16block_id_wrapperIjLb1EEEEEvT_jjPNS9_10value_typeET0_
                                        ; -- End function
	.set _ZN7rocprim17ROCPRIM_400000_NS6detail30init_device_scan_by_key_kernelINS1_19lookback_scan_stateINS0_5tupleIJibEEELb0ELb1EEENS1_16block_id_wrapperIjLb1EEEEEvT_jjPNS9_10value_typeET0_.num_vgpr, 8
	.set _ZN7rocprim17ROCPRIM_400000_NS6detail30init_device_scan_by_key_kernelINS1_19lookback_scan_stateINS0_5tupleIJibEEELb0ELb1EEENS1_16block_id_wrapperIjLb1EEEEEvT_jjPNS9_10value_typeET0_.num_agpr, 0
	.set _ZN7rocprim17ROCPRIM_400000_NS6detail30init_device_scan_by_key_kernelINS1_19lookback_scan_stateINS0_5tupleIJibEEELb0ELb1EEENS1_16block_id_wrapperIjLb1EEEEEvT_jjPNS9_10value_typeET0_.numbered_sgpr, 16
	.set _ZN7rocprim17ROCPRIM_400000_NS6detail30init_device_scan_by_key_kernelINS1_19lookback_scan_stateINS0_5tupleIJibEEELb0ELb1EEENS1_16block_id_wrapperIjLb1EEEEEvT_jjPNS9_10value_typeET0_.num_named_barrier, 0
	.set _ZN7rocprim17ROCPRIM_400000_NS6detail30init_device_scan_by_key_kernelINS1_19lookback_scan_stateINS0_5tupleIJibEEELb0ELb1EEENS1_16block_id_wrapperIjLb1EEEEEvT_jjPNS9_10value_typeET0_.private_seg_size, 0
	.set _ZN7rocprim17ROCPRIM_400000_NS6detail30init_device_scan_by_key_kernelINS1_19lookback_scan_stateINS0_5tupleIJibEEELb0ELb1EEENS1_16block_id_wrapperIjLb1EEEEEvT_jjPNS9_10value_typeET0_.uses_vcc, 1
	.set _ZN7rocprim17ROCPRIM_400000_NS6detail30init_device_scan_by_key_kernelINS1_19lookback_scan_stateINS0_5tupleIJibEEELb0ELb1EEENS1_16block_id_wrapperIjLb1EEEEEvT_jjPNS9_10value_typeET0_.uses_flat_scratch, 0
	.set _ZN7rocprim17ROCPRIM_400000_NS6detail30init_device_scan_by_key_kernelINS1_19lookback_scan_stateINS0_5tupleIJibEEELb0ELb1EEENS1_16block_id_wrapperIjLb1EEEEEvT_jjPNS9_10value_typeET0_.has_dyn_sized_stack, 0
	.set _ZN7rocprim17ROCPRIM_400000_NS6detail30init_device_scan_by_key_kernelINS1_19lookback_scan_stateINS0_5tupleIJibEEELb0ELb1EEENS1_16block_id_wrapperIjLb1EEEEEvT_jjPNS9_10value_typeET0_.has_recursion, 0
	.set _ZN7rocprim17ROCPRIM_400000_NS6detail30init_device_scan_by_key_kernelINS1_19lookback_scan_stateINS0_5tupleIJibEEELb0ELb1EEENS1_16block_id_wrapperIjLb1EEEEEvT_jjPNS9_10value_typeET0_.has_indirect_call, 0
	.section	.AMDGPU.csdata,"",@progbits
; Kernel info:
; codeLenInByte = 440
; TotalNumSgprs: 18
; NumVgprs: 8
; ScratchSize: 0
; MemoryBound: 0
; FloatMode: 240
; IeeeMode: 1
; LDSByteSize: 0 bytes/workgroup (compile time only)
; SGPRBlocks: 0
; VGPRBlocks: 0
; NumSGPRsForWavesPerEU: 18
; NumVGPRsForWavesPerEU: 8
; Occupancy: 16
; WaveLimiterHint : 0
; COMPUTE_PGM_RSRC2:SCRATCH_EN: 0
; COMPUTE_PGM_RSRC2:USER_SGPR: 6
; COMPUTE_PGM_RSRC2:TRAP_HANDLER: 0
; COMPUTE_PGM_RSRC2:TGID_X_EN: 1
; COMPUTE_PGM_RSRC2:TGID_Y_EN: 0
; COMPUTE_PGM_RSRC2:TGID_Z_EN: 0
; COMPUTE_PGM_RSRC2:TIDIG_COMP_CNT: 0
	.section	.text._ZN7rocprim17ROCPRIM_400000_NS6detail17trampoline_kernelINS0_14default_configENS1_27scan_by_key_config_selectorIiiEEZZNS1_16scan_by_key_implILNS1_25lookback_scan_determinismE0ELb0ES3_N6thrust23THRUST_200600_302600_NS6detail15normal_iteratorINS9_10device_ptrIiEEEESE_SE_iNS9_4plusIvEENS9_8equal_toIvEEiEE10hipError_tPvRmT2_T3_T4_T5_mT6_T7_P12ihipStream_tbENKUlT_T0_E_clISt17integral_constantIbLb0EESY_IbLb1EEEEDaSU_SV_EUlSU_E_NS1_11comp_targetILNS1_3genE0ELNS1_11target_archE4294967295ELNS1_3gpuE0ELNS1_3repE0EEENS1_30default_config_static_selectorELNS0_4arch9wavefront6targetE0EEEvT1_,"axG",@progbits,_ZN7rocprim17ROCPRIM_400000_NS6detail17trampoline_kernelINS0_14default_configENS1_27scan_by_key_config_selectorIiiEEZZNS1_16scan_by_key_implILNS1_25lookback_scan_determinismE0ELb0ES3_N6thrust23THRUST_200600_302600_NS6detail15normal_iteratorINS9_10device_ptrIiEEEESE_SE_iNS9_4plusIvEENS9_8equal_toIvEEiEE10hipError_tPvRmT2_T3_T4_T5_mT6_T7_P12ihipStream_tbENKUlT_T0_E_clISt17integral_constantIbLb0EESY_IbLb1EEEEDaSU_SV_EUlSU_E_NS1_11comp_targetILNS1_3genE0ELNS1_11target_archE4294967295ELNS1_3gpuE0ELNS1_3repE0EEENS1_30default_config_static_selectorELNS0_4arch9wavefront6targetE0EEEvT1_,comdat
	.protected	_ZN7rocprim17ROCPRIM_400000_NS6detail17trampoline_kernelINS0_14default_configENS1_27scan_by_key_config_selectorIiiEEZZNS1_16scan_by_key_implILNS1_25lookback_scan_determinismE0ELb0ES3_N6thrust23THRUST_200600_302600_NS6detail15normal_iteratorINS9_10device_ptrIiEEEESE_SE_iNS9_4plusIvEENS9_8equal_toIvEEiEE10hipError_tPvRmT2_T3_T4_T5_mT6_T7_P12ihipStream_tbENKUlT_T0_E_clISt17integral_constantIbLb0EESY_IbLb1EEEEDaSU_SV_EUlSU_E_NS1_11comp_targetILNS1_3genE0ELNS1_11target_archE4294967295ELNS1_3gpuE0ELNS1_3repE0EEENS1_30default_config_static_selectorELNS0_4arch9wavefront6targetE0EEEvT1_ ; -- Begin function _ZN7rocprim17ROCPRIM_400000_NS6detail17trampoline_kernelINS0_14default_configENS1_27scan_by_key_config_selectorIiiEEZZNS1_16scan_by_key_implILNS1_25lookback_scan_determinismE0ELb0ES3_N6thrust23THRUST_200600_302600_NS6detail15normal_iteratorINS9_10device_ptrIiEEEESE_SE_iNS9_4plusIvEENS9_8equal_toIvEEiEE10hipError_tPvRmT2_T3_T4_T5_mT6_T7_P12ihipStream_tbENKUlT_T0_E_clISt17integral_constantIbLb0EESY_IbLb1EEEEDaSU_SV_EUlSU_E_NS1_11comp_targetILNS1_3genE0ELNS1_11target_archE4294967295ELNS1_3gpuE0ELNS1_3repE0EEENS1_30default_config_static_selectorELNS0_4arch9wavefront6targetE0EEEvT1_
	.globl	_ZN7rocprim17ROCPRIM_400000_NS6detail17trampoline_kernelINS0_14default_configENS1_27scan_by_key_config_selectorIiiEEZZNS1_16scan_by_key_implILNS1_25lookback_scan_determinismE0ELb0ES3_N6thrust23THRUST_200600_302600_NS6detail15normal_iteratorINS9_10device_ptrIiEEEESE_SE_iNS9_4plusIvEENS9_8equal_toIvEEiEE10hipError_tPvRmT2_T3_T4_T5_mT6_T7_P12ihipStream_tbENKUlT_T0_E_clISt17integral_constantIbLb0EESY_IbLb1EEEEDaSU_SV_EUlSU_E_NS1_11comp_targetILNS1_3genE0ELNS1_11target_archE4294967295ELNS1_3gpuE0ELNS1_3repE0EEENS1_30default_config_static_selectorELNS0_4arch9wavefront6targetE0EEEvT1_
	.p2align	8
	.type	_ZN7rocprim17ROCPRIM_400000_NS6detail17trampoline_kernelINS0_14default_configENS1_27scan_by_key_config_selectorIiiEEZZNS1_16scan_by_key_implILNS1_25lookback_scan_determinismE0ELb0ES3_N6thrust23THRUST_200600_302600_NS6detail15normal_iteratorINS9_10device_ptrIiEEEESE_SE_iNS9_4plusIvEENS9_8equal_toIvEEiEE10hipError_tPvRmT2_T3_T4_T5_mT6_T7_P12ihipStream_tbENKUlT_T0_E_clISt17integral_constantIbLb0EESY_IbLb1EEEEDaSU_SV_EUlSU_E_NS1_11comp_targetILNS1_3genE0ELNS1_11target_archE4294967295ELNS1_3gpuE0ELNS1_3repE0EEENS1_30default_config_static_selectorELNS0_4arch9wavefront6targetE0EEEvT1_,@function
_ZN7rocprim17ROCPRIM_400000_NS6detail17trampoline_kernelINS0_14default_configENS1_27scan_by_key_config_selectorIiiEEZZNS1_16scan_by_key_implILNS1_25lookback_scan_determinismE0ELb0ES3_N6thrust23THRUST_200600_302600_NS6detail15normal_iteratorINS9_10device_ptrIiEEEESE_SE_iNS9_4plusIvEENS9_8equal_toIvEEiEE10hipError_tPvRmT2_T3_T4_T5_mT6_T7_P12ihipStream_tbENKUlT_T0_E_clISt17integral_constantIbLb0EESY_IbLb1EEEEDaSU_SV_EUlSU_E_NS1_11comp_targetILNS1_3genE0ELNS1_11target_archE4294967295ELNS1_3gpuE0ELNS1_3repE0EEENS1_30default_config_static_selectorELNS0_4arch9wavefront6targetE0EEEvT1_: ; @_ZN7rocprim17ROCPRIM_400000_NS6detail17trampoline_kernelINS0_14default_configENS1_27scan_by_key_config_selectorIiiEEZZNS1_16scan_by_key_implILNS1_25lookback_scan_determinismE0ELb0ES3_N6thrust23THRUST_200600_302600_NS6detail15normal_iteratorINS9_10device_ptrIiEEEESE_SE_iNS9_4plusIvEENS9_8equal_toIvEEiEE10hipError_tPvRmT2_T3_T4_T5_mT6_T7_P12ihipStream_tbENKUlT_T0_E_clISt17integral_constantIbLb0EESY_IbLb1EEEEDaSU_SV_EUlSU_E_NS1_11comp_targetILNS1_3genE0ELNS1_11target_archE4294967295ELNS1_3gpuE0ELNS1_3repE0EEENS1_30default_config_static_selectorELNS0_4arch9wavefront6targetE0EEEvT1_
; %bb.0:
	.section	.rodata,"a",@progbits
	.p2align	6, 0x0
	.amdhsa_kernel _ZN7rocprim17ROCPRIM_400000_NS6detail17trampoline_kernelINS0_14default_configENS1_27scan_by_key_config_selectorIiiEEZZNS1_16scan_by_key_implILNS1_25lookback_scan_determinismE0ELb0ES3_N6thrust23THRUST_200600_302600_NS6detail15normal_iteratorINS9_10device_ptrIiEEEESE_SE_iNS9_4plusIvEENS9_8equal_toIvEEiEE10hipError_tPvRmT2_T3_T4_T5_mT6_T7_P12ihipStream_tbENKUlT_T0_E_clISt17integral_constantIbLb0EESY_IbLb1EEEEDaSU_SV_EUlSU_E_NS1_11comp_targetILNS1_3genE0ELNS1_11target_archE4294967295ELNS1_3gpuE0ELNS1_3repE0EEENS1_30default_config_static_selectorELNS0_4arch9wavefront6targetE0EEEvT1_
		.amdhsa_group_segment_fixed_size 0
		.amdhsa_private_segment_fixed_size 0
		.amdhsa_kernarg_size 112
		.amdhsa_user_sgpr_count 6
		.amdhsa_user_sgpr_private_segment_buffer 1
		.amdhsa_user_sgpr_dispatch_ptr 0
		.amdhsa_user_sgpr_queue_ptr 0
		.amdhsa_user_sgpr_kernarg_segment_ptr 1
		.amdhsa_user_sgpr_dispatch_id 0
		.amdhsa_user_sgpr_flat_scratch_init 0
		.amdhsa_user_sgpr_private_segment_size 0
		.amdhsa_wavefront_size32 1
		.amdhsa_uses_dynamic_stack 0
		.amdhsa_system_sgpr_private_segment_wavefront_offset 0
		.amdhsa_system_sgpr_workgroup_id_x 1
		.amdhsa_system_sgpr_workgroup_id_y 0
		.amdhsa_system_sgpr_workgroup_id_z 0
		.amdhsa_system_sgpr_workgroup_info 0
		.amdhsa_system_vgpr_workitem_id 0
		.amdhsa_next_free_vgpr 1
		.amdhsa_next_free_sgpr 1
		.amdhsa_reserve_vcc 0
		.amdhsa_reserve_flat_scratch 0
		.amdhsa_float_round_mode_32 0
		.amdhsa_float_round_mode_16_64 0
		.amdhsa_float_denorm_mode_32 3
		.amdhsa_float_denorm_mode_16_64 3
		.amdhsa_dx10_clamp 1
		.amdhsa_ieee_mode 1
		.amdhsa_fp16_overflow 0
		.amdhsa_workgroup_processor_mode 1
		.amdhsa_memory_ordered 1
		.amdhsa_forward_progress 1
		.amdhsa_shared_vgpr_count 0
		.amdhsa_exception_fp_ieee_invalid_op 0
		.amdhsa_exception_fp_denorm_src 0
		.amdhsa_exception_fp_ieee_div_zero 0
		.amdhsa_exception_fp_ieee_overflow 0
		.amdhsa_exception_fp_ieee_underflow 0
		.amdhsa_exception_fp_ieee_inexact 0
		.amdhsa_exception_int_div_zero 0
	.end_amdhsa_kernel
	.section	.text._ZN7rocprim17ROCPRIM_400000_NS6detail17trampoline_kernelINS0_14default_configENS1_27scan_by_key_config_selectorIiiEEZZNS1_16scan_by_key_implILNS1_25lookback_scan_determinismE0ELb0ES3_N6thrust23THRUST_200600_302600_NS6detail15normal_iteratorINS9_10device_ptrIiEEEESE_SE_iNS9_4plusIvEENS9_8equal_toIvEEiEE10hipError_tPvRmT2_T3_T4_T5_mT6_T7_P12ihipStream_tbENKUlT_T0_E_clISt17integral_constantIbLb0EESY_IbLb1EEEEDaSU_SV_EUlSU_E_NS1_11comp_targetILNS1_3genE0ELNS1_11target_archE4294967295ELNS1_3gpuE0ELNS1_3repE0EEENS1_30default_config_static_selectorELNS0_4arch9wavefront6targetE0EEEvT1_,"axG",@progbits,_ZN7rocprim17ROCPRIM_400000_NS6detail17trampoline_kernelINS0_14default_configENS1_27scan_by_key_config_selectorIiiEEZZNS1_16scan_by_key_implILNS1_25lookback_scan_determinismE0ELb0ES3_N6thrust23THRUST_200600_302600_NS6detail15normal_iteratorINS9_10device_ptrIiEEEESE_SE_iNS9_4plusIvEENS9_8equal_toIvEEiEE10hipError_tPvRmT2_T3_T4_T5_mT6_T7_P12ihipStream_tbENKUlT_T0_E_clISt17integral_constantIbLb0EESY_IbLb1EEEEDaSU_SV_EUlSU_E_NS1_11comp_targetILNS1_3genE0ELNS1_11target_archE4294967295ELNS1_3gpuE0ELNS1_3repE0EEENS1_30default_config_static_selectorELNS0_4arch9wavefront6targetE0EEEvT1_,comdat
.Lfunc_end155:
	.size	_ZN7rocprim17ROCPRIM_400000_NS6detail17trampoline_kernelINS0_14default_configENS1_27scan_by_key_config_selectorIiiEEZZNS1_16scan_by_key_implILNS1_25lookback_scan_determinismE0ELb0ES3_N6thrust23THRUST_200600_302600_NS6detail15normal_iteratorINS9_10device_ptrIiEEEESE_SE_iNS9_4plusIvEENS9_8equal_toIvEEiEE10hipError_tPvRmT2_T3_T4_T5_mT6_T7_P12ihipStream_tbENKUlT_T0_E_clISt17integral_constantIbLb0EESY_IbLb1EEEEDaSU_SV_EUlSU_E_NS1_11comp_targetILNS1_3genE0ELNS1_11target_archE4294967295ELNS1_3gpuE0ELNS1_3repE0EEENS1_30default_config_static_selectorELNS0_4arch9wavefront6targetE0EEEvT1_, .Lfunc_end155-_ZN7rocprim17ROCPRIM_400000_NS6detail17trampoline_kernelINS0_14default_configENS1_27scan_by_key_config_selectorIiiEEZZNS1_16scan_by_key_implILNS1_25lookback_scan_determinismE0ELb0ES3_N6thrust23THRUST_200600_302600_NS6detail15normal_iteratorINS9_10device_ptrIiEEEESE_SE_iNS9_4plusIvEENS9_8equal_toIvEEiEE10hipError_tPvRmT2_T3_T4_T5_mT6_T7_P12ihipStream_tbENKUlT_T0_E_clISt17integral_constantIbLb0EESY_IbLb1EEEEDaSU_SV_EUlSU_E_NS1_11comp_targetILNS1_3genE0ELNS1_11target_archE4294967295ELNS1_3gpuE0ELNS1_3repE0EEENS1_30default_config_static_selectorELNS0_4arch9wavefront6targetE0EEEvT1_
                                        ; -- End function
	.set _ZN7rocprim17ROCPRIM_400000_NS6detail17trampoline_kernelINS0_14default_configENS1_27scan_by_key_config_selectorIiiEEZZNS1_16scan_by_key_implILNS1_25lookback_scan_determinismE0ELb0ES3_N6thrust23THRUST_200600_302600_NS6detail15normal_iteratorINS9_10device_ptrIiEEEESE_SE_iNS9_4plusIvEENS9_8equal_toIvEEiEE10hipError_tPvRmT2_T3_T4_T5_mT6_T7_P12ihipStream_tbENKUlT_T0_E_clISt17integral_constantIbLb0EESY_IbLb1EEEEDaSU_SV_EUlSU_E_NS1_11comp_targetILNS1_3genE0ELNS1_11target_archE4294967295ELNS1_3gpuE0ELNS1_3repE0EEENS1_30default_config_static_selectorELNS0_4arch9wavefront6targetE0EEEvT1_.num_vgpr, 0
	.set _ZN7rocprim17ROCPRIM_400000_NS6detail17trampoline_kernelINS0_14default_configENS1_27scan_by_key_config_selectorIiiEEZZNS1_16scan_by_key_implILNS1_25lookback_scan_determinismE0ELb0ES3_N6thrust23THRUST_200600_302600_NS6detail15normal_iteratorINS9_10device_ptrIiEEEESE_SE_iNS9_4plusIvEENS9_8equal_toIvEEiEE10hipError_tPvRmT2_T3_T4_T5_mT6_T7_P12ihipStream_tbENKUlT_T0_E_clISt17integral_constantIbLb0EESY_IbLb1EEEEDaSU_SV_EUlSU_E_NS1_11comp_targetILNS1_3genE0ELNS1_11target_archE4294967295ELNS1_3gpuE0ELNS1_3repE0EEENS1_30default_config_static_selectorELNS0_4arch9wavefront6targetE0EEEvT1_.num_agpr, 0
	.set _ZN7rocprim17ROCPRIM_400000_NS6detail17trampoline_kernelINS0_14default_configENS1_27scan_by_key_config_selectorIiiEEZZNS1_16scan_by_key_implILNS1_25lookback_scan_determinismE0ELb0ES3_N6thrust23THRUST_200600_302600_NS6detail15normal_iteratorINS9_10device_ptrIiEEEESE_SE_iNS9_4plusIvEENS9_8equal_toIvEEiEE10hipError_tPvRmT2_T3_T4_T5_mT6_T7_P12ihipStream_tbENKUlT_T0_E_clISt17integral_constantIbLb0EESY_IbLb1EEEEDaSU_SV_EUlSU_E_NS1_11comp_targetILNS1_3genE0ELNS1_11target_archE4294967295ELNS1_3gpuE0ELNS1_3repE0EEENS1_30default_config_static_selectorELNS0_4arch9wavefront6targetE0EEEvT1_.numbered_sgpr, 0
	.set _ZN7rocprim17ROCPRIM_400000_NS6detail17trampoline_kernelINS0_14default_configENS1_27scan_by_key_config_selectorIiiEEZZNS1_16scan_by_key_implILNS1_25lookback_scan_determinismE0ELb0ES3_N6thrust23THRUST_200600_302600_NS6detail15normal_iteratorINS9_10device_ptrIiEEEESE_SE_iNS9_4plusIvEENS9_8equal_toIvEEiEE10hipError_tPvRmT2_T3_T4_T5_mT6_T7_P12ihipStream_tbENKUlT_T0_E_clISt17integral_constantIbLb0EESY_IbLb1EEEEDaSU_SV_EUlSU_E_NS1_11comp_targetILNS1_3genE0ELNS1_11target_archE4294967295ELNS1_3gpuE0ELNS1_3repE0EEENS1_30default_config_static_selectorELNS0_4arch9wavefront6targetE0EEEvT1_.num_named_barrier, 0
	.set _ZN7rocprim17ROCPRIM_400000_NS6detail17trampoline_kernelINS0_14default_configENS1_27scan_by_key_config_selectorIiiEEZZNS1_16scan_by_key_implILNS1_25lookback_scan_determinismE0ELb0ES3_N6thrust23THRUST_200600_302600_NS6detail15normal_iteratorINS9_10device_ptrIiEEEESE_SE_iNS9_4plusIvEENS9_8equal_toIvEEiEE10hipError_tPvRmT2_T3_T4_T5_mT6_T7_P12ihipStream_tbENKUlT_T0_E_clISt17integral_constantIbLb0EESY_IbLb1EEEEDaSU_SV_EUlSU_E_NS1_11comp_targetILNS1_3genE0ELNS1_11target_archE4294967295ELNS1_3gpuE0ELNS1_3repE0EEENS1_30default_config_static_selectorELNS0_4arch9wavefront6targetE0EEEvT1_.private_seg_size, 0
	.set _ZN7rocprim17ROCPRIM_400000_NS6detail17trampoline_kernelINS0_14default_configENS1_27scan_by_key_config_selectorIiiEEZZNS1_16scan_by_key_implILNS1_25lookback_scan_determinismE0ELb0ES3_N6thrust23THRUST_200600_302600_NS6detail15normal_iteratorINS9_10device_ptrIiEEEESE_SE_iNS9_4plusIvEENS9_8equal_toIvEEiEE10hipError_tPvRmT2_T3_T4_T5_mT6_T7_P12ihipStream_tbENKUlT_T0_E_clISt17integral_constantIbLb0EESY_IbLb1EEEEDaSU_SV_EUlSU_E_NS1_11comp_targetILNS1_3genE0ELNS1_11target_archE4294967295ELNS1_3gpuE0ELNS1_3repE0EEENS1_30default_config_static_selectorELNS0_4arch9wavefront6targetE0EEEvT1_.uses_vcc, 0
	.set _ZN7rocprim17ROCPRIM_400000_NS6detail17trampoline_kernelINS0_14default_configENS1_27scan_by_key_config_selectorIiiEEZZNS1_16scan_by_key_implILNS1_25lookback_scan_determinismE0ELb0ES3_N6thrust23THRUST_200600_302600_NS6detail15normal_iteratorINS9_10device_ptrIiEEEESE_SE_iNS9_4plusIvEENS9_8equal_toIvEEiEE10hipError_tPvRmT2_T3_T4_T5_mT6_T7_P12ihipStream_tbENKUlT_T0_E_clISt17integral_constantIbLb0EESY_IbLb1EEEEDaSU_SV_EUlSU_E_NS1_11comp_targetILNS1_3genE0ELNS1_11target_archE4294967295ELNS1_3gpuE0ELNS1_3repE0EEENS1_30default_config_static_selectorELNS0_4arch9wavefront6targetE0EEEvT1_.uses_flat_scratch, 0
	.set _ZN7rocprim17ROCPRIM_400000_NS6detail17trampoline_kernelINS0_14default_configENS1_27scan_by_key_config_selectorIiiEEZZNS1_16scan_by_key_implILNS1_25lookback_scan_determinismE0ELb0ES3_N6thrust23THRUST_200600_302600_NS6detail15normal_iteratorINS9_10device_ptrIiEEEESE_SE_iNS9_4plusIvEENS9_8equal_toIvEEiEE10hipError_tPvRmT2_T3_T4_T5_mT6_T7_P12ihipStream_tbENKUlT_T0_E_clISt17integral_constantIbLb0EESY_IbLb1EEEEDaSU_SV_EUlSU_E_NS1_11comp_targetILNS1_3genE0ELNS1_11target_archE4294967295ELNS1_3gpuE0ELNS1_3repE0EEENS1_30default_config_static_selectorELNS0_4arch9wavefront6targetE0EEEvT1_.has_dyn_sized_stack, 0
	.set _ZN7rocprim17ROCPRIM_400000_NS6detail17trampoline_kernelINS0_14default_configENS1_27scan_by_key_config_selectorIiiEEZZNS1_16scan_by_key_implILNS1_25lookback_scan_determinismE0ELb0ES3_N6thrust23THRUST_200600_302600_NS6detail15normal_iteratorINS9_10device_ptrIiEEEESE_SE_iNS9_4plusIvEENS9_8equal_toIvEEiEE10hipError_tPvRmT2_T3_T4_T5_mT6_T7_P12ihipStream_tbENKUlT_T0_E_clISt17integral_constantIbLb0EESY_IbLb1EEEEDaSU_SV_EUlSU_E_NS1_11comp_targetILNS1_3genE0ELNS1_11target_archE4294967295ELNS1_3gpuE0ELNS1_3repE0EEENS1_30default_config_static_selectorELNS0_4arch9wavefront6targetE0EEEvT1_.has_recursion, 0
	.set _ZN7rocprim17ROCPRIM_400000_NS6detail17trampoline_kernelINS0_14default_configENS1_27scan_by_key_config_selectorIiiEEZZNS1_16scan_by_key_implILNS1_25lookback_scan_determinismE0ELb0ES3_N6thrust23THRUST_200600_302600_NS6detail15normal_iteratorINS9_10device_ptrIiEEEESE_SE_iNS9_4plusIvEENS9_8equal_toIvEEiEE10hipError_tPvRmT2_T3_T4_T5_mT6_T7_P12ihipStream_tbENKUlT_T0_E_clISt17integral_constantIbLb0EESY_IbLb1EEEEDaSU_SV_EUlSU_E_NS1_11comp_targetILNS1_3genE0ELNS1_11target_archE4294967295ELNS1_3gpuE0ELNS1_3repE0EEENS1_30default_config_static_selectorELNS0_4arch9wavefront6targetE0EEEvT1_.has_indirect_call, 0
	.section	.AMDGPU.csdata,"",@progbits
; Kernel info:
; codeLenInByte = 0
; TotalNumSgprs: 0
; NumVgprs: 0
; ScratchSize: 0
; MemoryBound: 0
; FloatMode: 240
; IeeeMode: 1
; LDSByteSize: 0 bytes/workgroup (compile time only)
; SGPRBlocks: 0
; VGPRBlocks: 0
; NumSGPRsForWavesPerEU: 1
; NumVGPRsForWavesPerEU: 1
; Occupancy: 16
; WaveLimiterHint : 0
; COMPUTE_PGM_RSRC2:SCRATCH_EN: 0
; COMPUTE_PGM_RSRC2:USER_SGPR: 6
; COMPUTE_PGM_RSRC2:TRAP_HANDLER: 0
; COMPUTE_PGM_RSRC2:TGID_X_EN: 1
; COMPUTE_PGM_RSRC2:TGID_Y_EN: 0
; COMPUTE_PGM_RSRC2:TGID_Z_EN: 0
; COMPUTE_PGM_RSRC2:TIDIG_COMP_CNT: 0
	.section	.text._ZN7rocprim17ROCPRIM_400000_NS6detail17trampoline_kernelINS0_14default_configENS1_27scan_by_key_config_selectorIiiEEZZNS1_16scan_by_key_implILNS1_25lookback_scan_determinismE0ELb0ES3_N6thrust23THRUST_200600_302600_NS6detail15normal_iteratorINS9_10device_ptrIiEEEESE_SE_iNS9_4plusIvEENS9_8equal_toIvEEiEE10hipError_tPvRmT2_T3_T4_T5_mT6_T7_P12ihipStream_tbENKUlT_T0_E_clISt17integral_constantIbLb0EESY_IbLb1EEEEDaSU_SV_EUlSU_E_NS1_11comp_targetILNS1_3genE10ELNS1_11target_archE1201ELNS1_3gpuE5ELNS1_3repE0EEENS1_30default_config_static_selectorELNS0_4arch9wavefront6targetE0EEEvT1_,"axG",@progbits,_ZN7rocprim17ROCPRIM_400000_NS6detail17trampoline_kernelINS0_14default_configENS1_27scan_by_key_config_selectorIiiEEZZNS1_16scan_by_key_implILNS1_25lookback_scan_determinismE0ELb0ES3_N6thrust23THRUST_200600_302600_NS6detail15normal_iteratorINS9_10device_ptrIiEEEESE_SE_iNS9_4plusIvEENS9_8equal_toIvEEiEE10hipError_tPvRmT2_T3_T4_T5_mT6_T7_P12ihipStream_tbENKUlT_T0_E_clISt17integral_constantIbLb0EESY_IbLb1EEEEDaSU_SV_EUlSU_E_NS1_11comp_targetILNS1_3genE10ELNS1_11target_archE1201ELNS1_3gpuE5ELNS1_3repE0EEENS1_30default_config_static_selectorELNS0_4arch9wavefront6targetE0EEEvT1_,comdat
	.protected	_ZN7rocprim17ROCPRIM_400000_NS6detail17trampoline_kernelINS0_14default_configENS1_27scan_by_key_config_selectorIiiEEZZNS1_16scan_by_key_implILNS1_25lookback_scan_determinismE0ELb0ES3_N6thrust23THRUST_200600_302600_NS6detail15normal_iteratorINS9_10device_ptrIiEEEESE_SE_iNS9_4plusIvEENS9_8equal_toIvEEiEE10hipError_tPvRmT2_T3_T4_T5_mT6_T7_P12ihipStream_tbENKUlT_T0_E_clISt17integral_constantIbLb0EESY_IbLb1EEEEDaSU_SV_EUlSU_E_NS1_11comp_targetILNS1_3genE10ELNS1_11target_archE1201ELNS1_3gpuE5ELNS1_3repE0EEENS1_30default_config_static_selectorELNS0_4arch9wavefront6targetE0EEEvT1_ ; -- Begin function _ZN7rocprim17ROCPRIM_400000_NS6detail17trampoline_kernelINS0_14default_configENS1_27scan_by_key_config_selectorIiiEEZZNS1_16scan_by_key_implILNS1_25lookback_scan_determinismE0ELb0ES3_N6thrust23THRUST_200600_302600_NS6detail15normal_iteratorINS9_10device_ptrIiEEEESE_SE_iNS9_4plusIvEENS9_8equal_toIvEEiEE10hipError_tPvRmT2_T3_T4_T5_mT6_T7_P12ihipStream_tbENKUlT_T0_E_clISt17integral_constantIbLb0EESY_IbLb1EEEEDaSU_SV_EUlSU_E_NS1_11comp_targetILNS1_3genE10ELNS1_11target_archE1201ELNS1_3gpuE5ELNS1_3repE0EEENS1_30default_config_static_selectorELNS0_4arch9wavefront6targetE0EEEvT1_
	.globl	_ZN7rocprim17ROCPRIM_400000_NS6detail17trampoline_kernelINS0_14default_configENS1_27scan_by_key_config_selectorIiiEEZZNS1_16scan_by_key_implILNS1_25lookback_scan_determinismE0ELb0ES3_N6thrust23THRUST_200600_302600_NS6detail15normal_iteratorINS9_10device_ptrIiEEEESE_SE_iNS9_4plusIvEENS9_8equal_toIvEEiEE10hipError_tPvRmT2_T3_T4_T5_mT6_T7_P12ihipStream_tbENKUlT_T0_E_clISt17integral_constantIbLb0EESY_IbLb1EEEEDaSU_SV_EUlSU_E_NS1_11comp_targetILNS1_3genE10ELNS1_11target_archE1201ELNS1_3gpuE5ELNS1_3repE0EEENS1_30default_config_static_selectorELNS0_4arch9wavefront6targetE0EEEvT1_
	.p2align	8
	.type	_ZN7rocprim17ROCPRIM_400000_NS6detail17trampoline_kernelINS0_14default_configENS1_27scan_by_key_config_selectorIiiEEZZNS1_16scan_by_key_implILNS1_25lookback_scan_determinismE0ELb0ES3_N6thrust23THRUST_200600_302600_NS6detail15normal_iteratorINS9_10device_ptrIiEEEESE_SE_iNS9_4plusIvEENS9_8equal_toIvEEiEE10hipError_tPvRmT2_T3_T4_T5_mT6_T7_P12ihipStream_tbENKUlT_T0_E_clISt17integral_constantIbLb0EESY_IbLb1EEEEDaSU_SV_EUlSU_E_NS1_11comp_targetILNS1_3genE10ELNS1_11target_archE1201ELNS1_3gpuE5ELNS1_3repE0EEENS1_30default_config_static_selectorELNS0_4arch9wavefront6targetE0EEEvT1_,@function
_ZN7rocprim17ROCPRIM_400000_NS6detail17trampoline_kernelINS0_14default_configENS1_27scan_by_key_config_selectorIiiEEZZNS1_16scan_by_key_implILNS1_25lookback_scan_determinismE0ELb0ES3_N6thrust23THRUST_200600_302600_NS6detail15normal_iteratorINS9_10device_ptrIiEEEESE_SE_iNS9_4plusIvEENS9_8equal_toIvEEiEE10hipError_tPvRmT2_T3_T4_T5_mT6_T7_P12ihipStream_tbENKUlT_T0_E_clISt17integral_constantIbLb0EESY_IbLb1EEEEDaSU_SV_EUlSU_E_NS1_11comp_targetILNS1_3genE10ELNS1_11target_archE1201ELNS1_3gpuE5ELNS1_3repE0EEENS1_30default_config_static_selectorELNS0_4arch9wavefront6targetE0EEEvT1_: ; @_ZN7rocprim17ROCPRIM_400000_NS6detail17trampoline_kernelINS0_14default_configENS1_27scan_by_key_config_selectorIiiEEZZNS1_16scan_by_key_implILNS1_25lookback_scan_determinismE0ELb0ES3_N6thrust23THRUST_200600_302600_NS6detail15normal_iteratorINS9_10device_ptrIiEEEESE_SE_iNS9_4plusIvEENS9_8equal_toIvEEiEE10hipError_tPvRmT2_T3_T4_T5_mT6_T7_P12ihipStream_tbENKUlT_T0_E_clISt17integral_constantIbLb0EESY_IbLb1EEEEDaSU_SV_EUlSU_E_NS1_11comp_targetILNS1_3genE10ELNS1_11target_archE1201ELNS1_3gpuE5ELNS1_3repE0EEENS1_30default_config_static_selectorELNS0_4arch9wavefront6targetE0EEEvT1_
; %bb.0:
	.section	.rodata,"a",@progbits
	.p2align	6, 0x0
	.amdhsa_kernel _ZN7rocprim17ROCPRIM_400000_NS6detail17trampoline_kernelINS0_14default_configENS1_27scan_by_key_config_selectorIiiEEZZNS1_16scan_by_key_implILNS1_25lookback_scan_determinismE0ELb0ES3_N6thrust23THRUST_200600_302600_NS6detail15normal_iteratorINS9_10device_ptrIiEEEESE_SE_iNS9_4plusIvEENS9_8equal_toIvEEiEE10hipError_tPvRmT2_T3_T4_T5_mT6_T7_P12ihipStream_tbENKUlT_T0_E_clISt17integral_constantIbLb0EESY_IbLb1EEEEDaSU_SV_EUlSU_E_NS1_11comp_targetILNS1_3genE10ELNS1_11target_archE1201ELNS1_3gpuE5ELNS1_3repE0EEENS1_30default_config_static_selectorELNS0_4arch9wavefront6targetE0EEEvT1_
		.amdhsa_group_segment_fixed_size 0
		.amdhsa_private_segment_fixed_size 0
		.amdhsa_kernarg_size 112
		.amdhsa_user_sgpr_count 6
		.amdhsa_user_sgpr_private_segment_buffer 1
		.amdhsa_user_sgpr_dispatch_ptr 0
		.amdhsa_user_sgpr_queue_ptr 0
		.amdhsa_user_sgpr_kernarg_segment_ptr 1
		.amdhsa_user_sgpr_dispatch_id 0
		.amdhsa_user_sgpr_flat_scratch_init 0
		.amdhsa_user_sgpr_private_segment_size 0
		.amdhsa_wavefront_size32 1
		.amdhsa_uses_dynamic_stack 0
		.amdhsa_system_sgpr_private_segment_wavefront_offset 0
		.amdhsa_system_sgpr_workgroup_id_x 1
		.amdhsa_system_sgpr_workgroup_id_y 0
		.amdhsa_system_sgpr_workgroup_id_z 0
		.amdhsa_system_sgpr_workgroup_info 0
		.amdhsa_system_vgpr_workitem_id 0
		.amdhsa_next_free_vgpr 1
		.amdhsa_next_free_sgpr 1
		.amdhsa_reserve_vcc 0
		.amdhsa_reserve_flat_scratch 0
		.amdhsa_float_round_mode_32 0
		.amdhsa_float_round_mode_16_64 0
		.amdhsa_float_denorm_mode_32 3
		.amdhsa_float_denorm_mode_16_64 3
		.amdhsa_dx10_clamp 1
		.amdhsa_ieee_mode 1
		.amdhsa_fp16_overflow 0
		.amdhsa_workgroup_processor_mode 1
		.amdhsa_memory_ordered 1
		.amdhsa_forward_progress 1
		.amdhsa_shared_vgpr_count 0
		.amdhsa_exception_fp_ieee_invalid_op 0
		.amdhsa_exception_fp_denorm_src 0
		.amdhsa_exception_fp_ieee_div_zero 0
		.amdhsa_exception_fp_ieee_overflow 0
		.amdhsa_exception_fp_ieee_underflow 0
		.amdhsa_exception_fp_ieee_inexact 0
		.amdhsa_exception_int_div_zero 0
	.end_amdhsa_kernel
	.section	.text._ZN7rocprim17ROCPRIM_400000_NS6detail17trampoline_kernelINS0_14default_configENS1_27scan_by_key_config_selectorIiiEEZZNS1_16scan_by_key_implILNS1_25lookback_scan_determinismE0ELb0ES3_N6thrust23THRUST_200600_302600_NS6detail15normal_iteratorINS9_10device_ptrIiEEEESE_SE_iNS9_4plusIvEENS9_8equal_toIvEEiEE10hipError_tPvRmT2_T3_T4_T5_mT6_T7_P12ihipStream_tbENKUlT_T0_E_clISt17integral_constantIbLb0EESY_IbLb1EEEEDaSU_SV_EUlSU_E_NS1_11comp_targetILNS1_3genE10ELNS1_11target_archE1201ELNS1_3gpuE5ELNS1_3repE0EEENS1_30default_config_static_selectorELNS0_4arch9wavefront6targetE0EEEvT1_,"axG",@progbits,_ZN7rocprim17ROCPRIM_400000_NS6detail17trampoline_kernelINS0_14default_configENS1_27scan_by_key_config_selectorIiiEEZZNS1_16scan_by_key_implILNS1_25lookback_scan_determinismE0ELb0ES3_N6thrust23THRUST_200600_302600_NS6detail15normal_iteratorINS9_10device_ptrIiEEEESE_SE_iNS9_4plusIvEENS9_8equal_toIvEEiEE10hipError_tPvRmT2_T3_T4_T5_mT6_T7_P12ihipStream_tbENKUlT_T0_E_clISt17integral_constantIbLb0EESY_IbLb1EEEEDaSU_SV_EUlSU_E_NS1_11comp_targetILNS1_3genE10ELNS1_11target_archE1201ELNS1_3gpuE5ELNS1_3repE0EEENS1_30default_config_static_selectorELNS0_4arch9wavefront6targetE0EEEvT1_,comdat
.Lfunc_end156:
	.size	_ZN7rocprim17ROCPRIM_400000_NS6detail17trampoline_kernelINS0_14default_configENS1_27scan_by_key_config_selectorIiiEEZZNS1_16scan_by_key_implILNS1_25lookback_scan_determinismE0ELb0ES3_N6thrust23THRUST_200600_302600_NS6detail15normal_iteratorINS9_10device_ptrIiEEEESE_SE_iNS9_4plusIvEENS9_8equal_toIvEEiEE10hipError_tPvRmT2_T3_T4_T5_mT6_T7_P12ihipStream_tbENKUlT_T0_E_clISt17integral_constantIbLb0EESY_IbLb1EEEEDaSU_SV_EUlSU_E_NS1_11comp_targetILNS1_3genE10ELNS1_11target_archE1201ELNS1_3gpuE5ELNS1_3repE0EEENS1_30default_config_static_selectorELNS0_4arch9wavefront6targetE0EEEvT1_, .Lfunc_end156-_ZN7rocprim17ROCPRIM_400000_NS6detail17trampoline_kernelINS0_14default_configENS1_27scan_by_key_config_selectorIiiEEZZNS1_16scan_by_key_implILNS1_25lookback_scan_determinismE0ELb0ES3_N6thrust23THRUST_200600_302600_NS6detail15normal_iteratorINS9_10device_ptrIiEEEESE_SE_iNS9_4plusIvEENS9_8equal_toIvEEiEE10hipError_tPvRmT2_T3_T4_T5_mT6_T7_P12ihipStream_tbENKUlT_T0_E_clISt17integral_constantIbLb0EESY_IbLb1EEEEDaSU_SV_EUlSU_E_NS1_11comp_targetILNS1_3genE10ELNS1_11target_archE1201ELNS1_3gpuE5ELNS1_3repE0EEENS1_30default_config_static_selectorELNS0_4arch9wavefront6targetE0EEEvT1_
                                        ; -- End function
	.set _ZN7rocprim17ROCPRIM_400000_NS6detail17trampoline_kernelINS0_14default_configENS1_27scan_by_key_config_selectorIiiEEZZNS1_16scan_by_key_implILNS1_25lookback_scan_determinismE0ELb0ES3_N6thrust23THRUST_200600_302600_NS6detail15normal_iteratorINS9_10device_ptrIiEEEESE_SE_iNS9_4plusIvEENS9_8equal_toIvEEiEE10hipError_tPvRmT2_T3_T4_T5_mT6_T7_P12ihipStream_tbENKUlT_T0_E_clISt17integral_constantIbLb0EESY_IbLb1EEEEDaSU_SV_EUlSU_E_NS1_11comp_targetILNS1_3genE10ELNS1_11target_archE1201ELNS1_3gpuE5ELNS1_3repE0EEENS1_30default_config_static_selectorELNS0_4arch9wavefront6targetE0EEEvT1_.num_vgpr, 0
	.set _ZN7rocprim17ROCPRIM_400000_NS6detail17trampoline_kernelINS0_14default_configENS1_27scan_by_key_config_selectorIiiEEZZNS1_16scan_by_key_implILNS1_25lookback_scan_determinismE0ELb0ES3_N6thrust23THRUST_200600_302600_NS6detail15normal_iteratorINS9_10device_ptrIiEEEESE_SE_iNS9_4plusIvEENS9_8equal_toIvEEiEE10hipError_tPvRmT2_T3_T4_T5_mT6_T7_P12ihipStream_tbENKUlT_T0_E_clISt17integral_constantIbLb0EESY_IbLb1EEEEDaSU_SV_EUlSU_E_NS1_11comp_targetILNS1_3genE10ELNS1_11target_archE1201ELNS1_3gpuE5ELNS1_3repE0EEENS1_30default_config_static_selectorELNS0_4arch9wavefront6targetE0EEEvT1_.num_agpr, 0
	.set _ZN7rocprim17ROCPRIM_400000_NS6detail17trampoline_kernelINS0_14default_configENS1_27scan_by_key_config_selectorIiiEEZZNS1_16scan_by_key_implILNS1_25lookback_scan_determinismE0ELb0ES3_N6thrust23THRUST_200600_302600_NS6detail15normal_iteratorINS9_10device_ptrIiEEEESE_SE_iNS9_4plusIvEENS9_8equal_toIvEEiEE10hipError_tPvRmT2_T3_T4_T5_mT6_T7_P12ihipStream_tbENKUlT_T0_E_clISt17integral_constantIbLb0EESY_IbLb1EEEEDaSU_SV_EUlSU_E_NS1_11comp_targetILNS1_3genE10ELNS1_11target_archE1201ELNS1_3gpuE5ELNS1_3repE0EEENS1_30default_config_static_selectorELNS0_4arch9wavefront6targetE0EEEvT1_.numbered_sgpr, 0
	.set _ZN7rocprim17ROCPRIM_400000_NS6detail17trampoline_kernelINS0_14default_configENS1_27scan_by_key_config_selectorIiiEEZZNS1_16scan_by_key_implILNS1_25lookback_scan_determinismE0ELb0ES3_N6thrust23THRUST_200600_302600_NS6detail15normal_iteratorINS9_10device_ptrIiEEEESE_SE_iNS9_4plusIvEENS9_8equal_toIvEEiEE10hipError_tPvRmT2_T3_T4_T5_mT6_T7_P12ihipStream_tbENKUlT_T0_E_clISt17integral_constantIbLb0EESY_IbLb1EEEEDaSU_SV_EUlSU_E_NS1_11comp_targetILNS1_3genE10ELNS1_11target_archE1201ELNS1_3gpuE5ELNS1_3repE0EEENS1_30default_config_static_selectorELNS0_4arch9wavefront6targetE0EEEvT1_.num_named_barrier, 0
	.set _ZN7rocprim17ROCPRIM_400000_NS6detail17trampoline_kernelINS0_14default_configENS1_27scan_by_key_config_selectorIiiEEZZNS1_16scan_by_key_implILNS1_25lookback_scan_determinismE0ELb0ES3_N6thrust23THRUST_200600_302600_NS6detail15normal_iteratorINS9_10device_ptrIiEEEESE_SE_iNS9_4plusIvEENS9_8equal_toIvEEiEE10hipError_tPvRmT2_T3_T4_T5_mT6_T7_P12ihipStream_tbENKUlT_T0_E_clISt17integral_constantIbLb0EESY_IbLb1EEEEDaSU_SV_EUlSU_E_NS1_11comp_targetILNS1_3genE10ELNS1_11target_archE1201ELNS1_3gpuE5ELNS1_3repE0EEENS1_30default_config_static_selectorELNS0_4arch9wavefront6targetE0EEEvT1_.private_seg_size, 0
	.set _ZN7rocprim17ROCPRIM_400000_NS6detail17trampoline_kernelINS0_14default_configENS1_27scan_by_key_config_selectorIiiEEZZNS1_16scan_by_key_implILNS1_25lookback_scan_determinismE0ELb0ES3_N6thrust23THRUST_200600_302600_NS6detail15normal_iteratorINS9_10device_ptrIiEEEESE_SE_iNS9_4plusIvEENS9_8equal_toIvEEiEE10hipError_tPvRmT2_T3_T4_T5_mT6_T7_P12ihipStream_tbENKUlT_T0_E_clISt17integral_constantIbLb0EESY_IbLb1EEEEDaSU_SV_EUlSU_E_NS1_11comp_targetILNS1_3genE10ELNS1_11target_archE1201ELNS1_3gpuE5ELNS1_3repE0EEENS1_30default_config_static_selectorELNS0_4arch9wavefront6targetE0EEEvT1_.uses_vcc, 0
	.set _ZN7rocprim17ROCPRIM_400000_NS6detail17trampoline_kernelINS0_14default_configENS1_27scan_by_key_config_selectorIiiEEZZNS1_16scan_by_key_implILNS1_25lookback_scan_determinismE0ELb0ES3_N6thrust23THRUST_200600_302600_NS6detail15normal_iteratorINS9_10device_ptrIiEEEESE_SE_iNS9_4plusIvEENS9_8equal_toIvEEiEE10hipError_tPvRmT2_T3_T4_T5_mT6_T7_P12ihipStream_tbENKUlT_T0_E_clISt17integral_constantIbLb0EESY_IbLb1EEEEDaSU_SV_EUlSU_E_NS1_11comp_targetILNS1_3genE10ELNS1_11target_archE1201ELNS1_3gpuE5ELNS1_3repE0EEENS1_30default_config_static_selectorELNS0_4arch9wavefront6targetE0EEEvT1_.uses_flat_scratch, 0
	.set _ZN7rocprim17ROCPRIM_400000_NS6detail17trampoline_kernelINS0_14default_configENS1_27scan_by_key_config_selectorIiiEEZZNS1_16scan_by_key_implILNS1_25lookback_scan_determinismE0ELb0ES3_N6thrust23THRUST_200600_302600_NS6detail15normal_iteratorINS9_10device_ptrIiEEEESE_SE_iNS9_4plusIvEENS9_8equal_toIvEEiEE10hipError_tPvRmT2_T3_T4_T5_mT6_T7_P12ihipStream_tbENKUlT_T0_E_clISt17integral_constantIbLb0EESY_IbLb1EEEEDaSU_SV_EUlSU_E_NS1_11comp_targetILNS1_3genE10ELNS1_11target_archE1201ELNS1_3gpuE5ELNS1_3repE0EEENS1_30default_config_static_selectorELNS0_4arch9wavefront6targetE0EEEvT1_.has_dyn_sized_stack, 0
	.set _ZN7rocprim17ROCPRIM_400000_NS6detail17trampoline_kernelINS0_14default_configENS1_27scan_by_key_config_selectorIiiEEZZNS1_16scan_by_key_implILNS1_25lookback_scan_determinismE0ELb0ES3_N6thrust23THRUST_200600_302600_NS6detail15normal_iteratorINS9_10device_ptrIiEEEESE_SE_iNS9_4plusIvEENS9_8equal_toIvEEiEE10hipError_tPvRmT2_T3_T4_T5_mT6_T7_P12ihipStream_tbENKUlT_T0_E_clISt17integral_constantIbLb0EESY_IbLb1EEEEDaSU_SV_EUlSU_E_NS1_11comp_targetILNS1_3genE10ELNS1_11target_archE1201ELNS1_3gpuE5ELNS1_3repE0EEENS1_30default_config_static_selectorELNS0_4arch9wavefront6targetE0EEEvT1_.has_recursion, 0
	.set _ZN7rocprim17ROCPRIM_400000_NS6detail17trampoline_kernelINS0_14default_configENS1_27scan_by_key_config_selectorIiiEEZZNS1_16scan_by_key_implILNS1_25lookback_scan_determinismE0ELb0ES3_N6thrust23THRUST_200600_302600_NS6detail15normal_iteratorINS9_10device_ptrIiEEEESE_SE_iNS9_4plusIvEENS9_8equal_toIvEEiEE10hipError_tPvRmT2_T3_T4_T5_mT6_T7_P12ihipStream_tbENKUlT_T0_E_clISt17integral_constantIbLb0EESY_IbLb1EEEEDaSU_SV_EUlSU_E_NS1_11comp_targetILNS1_3genE10ELNS1_11target_archE1201ELNS1_3gpuE5ELNS1_3repE0EEENS1_30default_config_static_selectorELNS0_4arch9wavefront6targetE0EEEvT1_.has_indirect_call, 0
	.section	.AMDGPU.csdata,"",@progbits
; Kernel info:
; codeLenInByte = 0
; TotalNumSgprs: 0
; NumVgprs: 0
; ScratchSize: 0
; MemoryBound: 0
; FloatMode: 240
; IeeeMode: 1
; LDSByteSize: 0 bytes/workgroup (compile time only)
; SGPRBlocks: 0
; VGPRBlocks: 0
; NumSGPRsForWavesPerEU: 1
; NumVGPRsForWavesPerEU: 1
; Occupancy: 16
; WaveLimiterHint : 0
; COMPUTE_PGM_RSRC2:SCRATCH_EN: 0
; COMPUTE_PGM_RSRC2:USER_SGPR: 6
; COMPUTE_PGM_RSRC2:TRAP_HANDLER: 0
; COMPUTE_PGM_RSRC2:TGID_X_EN: 1
; COMPUTE_PGM_RSRC2:TGID_Y_EN: 0
; COMPUTE_PGM_RSRC2:TGID_Z_EN: 0
; COMPUTE_PGM_RSRC2:TIDIG_COMP_CNT: 0
	.section	.text._ZN7rocprim17ROCPRIM_400000_NS6detail17trampoline_kernelINS0_14default_configENS1_27scan_by_key_config_selectorIiiEEZZNS1_16scan_by_key_implILNS1_25lookback_scan_determinismE0ELb0ES3_N6thrust23THRUST_200600_302600_NS6detail15normal_iteratorINS9_10device_ptrIiEEEESE_SE_iNS9_4plusIvEENS9_8equal_toIvEEiEE10hipError_tPvRmT2_T3_T4_T5_mT6_T7_P12ihipStream_tbENKUlT_T0_E_clISt17integral_constantIbLb0EESY_IbLb1EEEEDaSU_SV_EUlSU_E_NS1_11comp_targetILNS1_3genE5ELNS1_11target_archE942ELNS1_3gpuE9ELNS1_3repE0EEENS1_30default_config_static_selectorELNS0_4arch9wavefront6targetE0EEEvT1_,"axG",@progbits,_ZN7rocprim17ROCPRIM_400000_NS6detail17trampoline_kernelINS0_14default_configENS1_27scan_by_key_config_selectorIiiEEZZNS1_16scan_by_key_implILNS1_25lookback_scan_determinismE0ELb0ES3_N6thrust23THRUST_200600_302600_NS6detail15normal_iteratorINS9_10device_ptrIiEEEESE_SE_iNS9_4plusIvEENS9_8equal_toIvEEiEE10hipError_tPvRmT2_T3_T4_T5_mT6_T7_P12ihipStream_tbENKUlT_T0_E_clISt17integral_constantIbLb0EESY_IbLb1EEEEDaSU_SV_EUlSU_E_NS1_11comp_targetILNS1_3genE5ELNS1_11target_archE942ELNS1_3gpuE9ELNS1_3repE0EEENS1_30default_config_static_selectorELNS0_4arch9wavefront6targetE0EEEvT1_,comdat
	.protected	_ZN7rocprim17ROCPRIM_400000_NS6detail17trampoline_kernelINS0_14default_configENS1_27scan_by_key_config_selectorIiiEEZZNS1_16scan_by_key_implILNS1_25lookback_scan_determinismE0ELb0ES3_N6thrust23THRUST_200600_302600_NS6detail15normal_iteratorINS9_10device_ptrIiEEEESE_SE_iNS9_4plusIvEENS9_8equal_toIvEEiEE10hipError_tPvRmT2_T3_T4_T5_mT6_T7_P12ihipStream_tbENKUlT_T0_E_clISt17integral_constantIbLb0EESY_IbLb1EEEEDaSU_SV_EUlSU_E_NS1_11comp_targetILNS1_3genE5ELNS1_11target_archE942ELNS1_3gpuE9ELNS1_3repE0EEENS1_30default_config_static_selectorELNS0_4arch9wavefront6targetE0EEEvT1_ ; -- Begin function _ZN7rocprim17ROCPRIM_400000_NS6detail17trampoline_kernelINS0_14default_configENS1_27scan_by_key_config_selectorIiiEEZZNS1_16scan_by_key_implILNS1_25lookback_scan_determinismE0ELb0ES3_N6thrust23THRUST_200600_302600_NS6detail15normal_iteratorINS9_10device_ptrIiEEEESE_SE_iNS9_4plusIvEENS9_8equal_toIvEEiEE10hipError_tPvRmT2_T3_T4_T5_mT6_T7_P12ihipStream_tbENKUlT_T0_E_clISt17integral_constantIbLb0EESY_IbLb1EEEEDaSU_SV_EUlSU_E_NS1_11comp_targetILNS1_3genE5ELNS1_11target_archE942ELNS1_3gpuE9ELNS1_3repE0EEENS1_30default_config_static_selectorELNS0_4arch9wavefront6targetE0EEEvT1_
	.globl	_ZN7rocprim17ROCPRIM_400000_NS6detail17trampoline_kernelINS0_14default_configENS1_27scan_by_key_config_selectorIiiEEZZNS1_16scan_by_key_implILNS1_25lookback_scan_determinismE0ELb0ES3_N6thrust23THRUST_200600_302600_NS6detail15normal_iteratorINS9_10device_ptrIiEEEESE_SE_iNS9_4plusIvEENS9_8equal_toIvEEiEE10hipError_tPvRmT2_T3_T4_T5_mT6_T7_P12ihipStream_tbENKUlT_T0_E_clISt17integral_constantIbLb0EESY_IbLb1EEEEDaSU_SV_EUlSU_E_NS1_11comp_targetILNS1_3genE5ELNS1_11target_archE942ELNS1_3gpuE9ELNS1_3repE0EEENS1_30default_config_static_selectorELNS0_4arch9wavefront6targetE0EEEvT1_
	.p2align	8
	.type	_ZN7rocprim17ROCPRIM_400000_NS6detail17trampoline_kernelINS0_14default_configENS1_27scan_by_key_config_selectorIiiEEZZNS1_16scan_by_key_implILNS1_25lookback_scan_determinismE0ELb0ES3_N6thrust23THRUST_200600_302600_NS6detail15normal_iteratorINS9_10device_ptrIiEEEESE_SE_iNS9_4plusIvEENS9_8equal_toIvEEiEE10hipError_tPvRmT2_T3_T4_T5_mT6_T7_P12ihipStream_tbENKUlT_T0_E_clISt17integral_constantIbLb0EESY_IbLb1EEEEDaSU_SV_EUlSU_E_NS1_11comp_targetILNS1_3genE5ELNS1_11target_archE942ELNS1_3gpuE9ELNS1_3repE0EEENS1_30default_config_static_selectorELNS0_4arch9wavefront6targetE0EEEvT1_,@function
_ZN7rocprim17ROCPRIM_400000_NS6detail17trampoline_kernelINS0_14default_configENS1_27scan_by_key_config_selectorIiiEEZZNS1_16scan_by_key_implILNS1_25lookback_scan_determinismE0ELb0ES3_N6thrust23THRUST_200600_302600_NS6detail15normal_iteratorINS9_10device_ptrIiEEEESE_SE_iNS9_4plusIvEENS9_8equal_toIvEEiEE10hipError_tPvRmT2_T3_T4_T5_mT6_T7_P12ihipStream_tbENKUlT_T0_E_clISt17integral_constantIbLb0EESY_IbLb1EEEEDaSU_SV_EUlSU_E_NS1_11comp_targetILNS1_3genE5ELNS1_11target_archE942ELNS1_3gpuE9ELNS1_3repE0EEENS1_30default_config_static_selectorELNS0_4arch9wavefront6targetE0EEEvT1_: ; @_ZN7rocprim17ROCPRIM_400000_NS6detail17trampoline_kernelINS0_14default_configENS1_27scan_by_key_config_selectorIiiEEZZNS1_16scan_by_key_implILNS1_25lookback_scan_determinismE0ELb0ES3_N6thrust23THRUST_200600_302600_NS6detail15normal_iteratorINS9_10device_ptrIiEEEESE_SE_iNS9_4plusIvEENS9_8equal_toIvEEiEE10hipError_tPvRmT2_T3_T4_T5_mT6_T7_P12ihipStream_tbENKUlT_T0_E_clISt17integral_constantIbLb0EESY_IbLb1EEEEDaSU_SV_EUlSU_E_NS1_11comp_targetILNS1_3genE5ELNS1_11target_archE942ELNS1_3gpuE9ELNS1_3repE0EEENS1_30default_config_static_selectorELNS0_4arch9wavefront6targetE0EEEvT1_
; %bb.0:
	.section	.rodata,"a",@progbits
	.p2align	6, 0x0
	.amdhsa_kernel _ZN7rocprim17ROCPRIM_400000_NS6detail17trampoline_kernelINS0_14default_configENS1_27scan_by_key_config_selectorIiiEEZZNS1_16scan_by_key_implILNS1_25lookback_scan_determinismE0ELb0ES3_N6thrust23THRUST_200600_302600_NS6detail15normal_iteratorINS9_10device_ptrIiEEEESE_SE_iNS9_4plusIvEENS9_8equal_toIvEEiEE10hipError_tPvRmT2_T3_T4_T5_mT6_T7_P12ihipStream_tbENKUlT_T0_E_clISt17integral_constantIbLb0EESY_IbLb1EEEEDaSU_SV_EUlSU_E_NS1_11comp_targetILNS1_3genE5ELNS1_11target_archE942ELNS1_3gpuE9ELNS1_3repE0EEENS1_30default_config_static_selectorELNS0_4arch9wavefront6targetE0EEEvT1_
		.amdhsa_group_segment_fixed_size 0
		.amdhsa_private_segment_fixed_size 0
		.amdhsa_kernarg_size 112
		.amdhsa_user_sgpr_count 6
		.amdhsa_user_sgpr_private_segment_buffer 1
		.amdhsa_user_sgpr_dispatch_ptr 0
		.amdhsa_user_sgpr_queue_ptr 0
		.amdhsa_user_sgpr_kernarg_segment_ptr 1
		.amdhsa_user_sgpr_dispatch_id 0
		.amdhsa_user_sgpr_flat_scratch_init 0
		.amdhsa_user_sgpr_private_segment_size 0
		.amdhsa_wavefront_size32 1
		.amdhsa_uses_dynamic_stack 0
		.amdhsa_system_sgpr_private_segment_wavefront_offset 0
		.amdhsa_system_sgpr_workgroup_id_x 1
		.amdhsa_system_sgpr_workgroup_id_y 0
		.amdhsa_system_sgpr_workgroup_id_z 0
		.amdhsa_system_sgpr_workgroup_info 0
		.amdhsa_system_vgpr_workitem_id 0
		.amdhsa_next_free_vgpr 1
		.amdhsa_next_free_sgpr 1
		.amdhsa_reserve_vcc 0
		.amdhsa_reserve_flat_scratch 0
		.amdhsa_float_round_mode_32 0
		.amdhsa_float_round_mode_16_64 0
		.amdhsa_float_denorm_mode_32 3
		.amdhsa_float_denorm_mode_16_64 3
		.amdhsa_dx10_clamp 1
		.amdhsa_ieee_mode 1
		.amdhsa_fp16_overflow 0
		.amdhsa_workgroup_processor_mode 1
		.amdhsa_memory_ordered 1
		.amdhsa_forward_progress 1
		.amdhsa_shared_vgpr_count 0
		.amdhsa_exception_fp_ieee_invalid_op 0
		.amdhsa_exception_fp_denorm_src 0
		.amdhsa_exception_fp_ieee_div_zero 0
		.amdhsa_exception_fp_ieee_overflow 0
		.amdhsa_exception_fp_ieee_underflow 0
		.amdhsa_exception_fp_ieee_inexact 0
		.amdhsa_exception_int_div_zero 0
	.end_amdhsa_kernel
	.section	.text._ZN7rocprim17ROCPRIM_400000_NS6detail17trampoline_kernelINS0_14default_configENS1_27scan_by_key_config_selectorIiiEEZZNS1_16scan_by_key_implILNS1_25lookback_scan_determinismE0ELb0ES3_N6thrust23THRUST_200600_302600_NS6detail15normal_iteratorINS9_10device_ptrIiEEEESE_SE_iNS9_4plusIvEENS9_8equal_toIvEEiEE10hipError_tPvRmT2_T3_T4_T5_mT6_T7_P12ihipStream_tbENKUlT_T0_E_clISt17integral_constantIbLb0EESY_IbLb1EEEEDaSU_SV_EUlSU_E_NS1_11comp_targetILNS1_3genE5ELNS1_11target_archE942ELNS1_3gpuE9ELNS1_3repE0EEENS1_30default_config_static_selectorELNS0_4arch9wavefront6targetE0EEEvT1_,"axG",@progbits,_ZN7rocprim17ROCPRIM_400000_NS6detail17trampoline_kernelINS0_14default_configENS1_27scan_by_key_config_selectorIiiEEZZNS1_16scan_by_key_implILNS1_25lookback_scan_determinismE0ELb0ES3_N6thrust23THRUST_200600_302600_NS6detail15normal_iteratorINS9_10device_ptrIiEEEESE_SE_iNS9_4plusIvEENS9_8equal_toIvEEiEE10hipError_tPvRmT2_T3_T4_T5_mT6_T7_P12ihipStream_tbENKUlT_T0_E_clISt17integral_constantIbLb0EESY_IbLb1EEEEDaSU_SV_EUlSU_E_NS1_11comp_targetILNS1_3genE5ELNS1_11target_archE942ELNS1_3gpuE9ELNS1_3repE0EEENS1_30default_config_static_selectorELNS0_4arch9wavefront6targetE0EEEvT1_,comdat
.Lfunc_end157:
	.size	_ZN7rocprim17ROCPRIM_400000_NS6detail17trampoline_kernelINS0_14default_configENS1_27scan_by_key_config_selectorIiiEEZZNS1_16scan_by_key_implILNS1_25lookback_scan_determinismE0ELb0ES3_N6thrust23THRUST_200600_302600_NS6detail15normal_iteratorINS9_10device_ptrIiEEEESE_SE_iNS9_4plusIvEENS9_8equal_toIvEEiEE10hipError_tPvRmT2_T3_T4_T5_mT6_T7_P12ihipStream_tbENKUlT_T0_E_clISt17integral_constantIbLb0EESY_IbLb1EEEEDaSU_SV_EUlSU_E_NS1_11comp_targetILNS1_3genE5ELNS1_11target_archE942ELNS1_3gpuE9ELNS1_3repE0EEENS1_30default_config_static_selectorELNS0_4arch9wavefront6targetE0EEEvT1_, .Lfunc_end157-_ZN7rocprim17ROCPRIM_400000_NS6detail17trampoline_kernelINS0_14default_configENS1_27scan_by_key_config_selectorIiiEEZZNS1_16scan_by_key_implILNS1_25lookback_scan_determinismE0ELb0ES3_N6thrust23THRUST_200600_302600_NS6detail15normal_iteratorINS9_10device_ptrIiEEEESE_SE_iNS9_4plusIvEENS9_8equal_toIvEEiEE10hipError_tPvRmT2_T3_T4_T5_mT6_T7_P12ihipStream_tbENKUlT_T0_E_clISt17integral_constantIbLb0EESY_IbLb1EEEEDaSU_SV_EUlSU_E_NS1_11comp_targetILNS1_3genE5ELNS1_11target_archE942ELNS1_3gpuE9ELNS1_3repE0EEENS1_30default_config_static_selectorELNS0_4arch9wavefront6targetE0EEEvT1_
                                        ; -- End function
	.set _ZN7rocprim17ROCPRIM_400000_NS6detail17trampoline_kernelINS0_14default_configENS1_27scan_by_key_config_selectorIiiEEZZNS1_16scan_by_key_implILNS1_25lookback_scan_determinismE0ELb0ES3_N6thrust23THRUST_200600_302600_NS6detail15normal_iteratorINS9_10device_ptrIiEEEESE_SE_iNS9_4plusIvEENS9_8equal_toIvEEiEE10hipError_tPvRmT2_T3_T4_T5_mT6_T7_P12ihipStream_tbENKUlT_T0_E_clISt17integral_constantIbLb0EESY_IbLb1EEEEDaSU_SV_EUlSU_E_NS1_11comp_targetILNS1_3genE5ELNS1_11target_archE942ELNS1_3gpuE9ELNS1_3repE0EEENS1_30default_config_static_selectorELNS0_4arch9wavefront6targetE0EEEvT1_.num_vgpr, 0
	.set _ZN7rocprim17ROCPRIM_400000_NS6detail17trampoline_kernelINS0_14default_configENS1_27scan_by_key_config_selectorIiiEEZZNS1_16scan_by_key_implILNS1_25lookback_scan_determinismE0ELb0ES3_N6thrust23THRUST_200600_302600_NS6detail15normal_iteratorINS9_10device_ptrIiEEEESE_SE_iNS9_4plusIvEENS9_8equal_toIvEEiEE10hipError_tPvRmT2_T3_T4_T5_mT6_T7_P12ihipStream_tbENKUlT_T0_E_clISt17integral_constantIbLb0EESY_IbLb1EEEEDaSU_SV_EUlSU_E_NS1_11comp_targetILNS1_3genE5ELNS1_11target_archE942ELNS1_3gpuE9ELNS1_3repE0EEENS1_30default_config_static_selectorELNS0_4arch9wavefront6targetE0EEEvT1_.num_agpr, 0
	.set _ZN7rocprim17ROCPRIM_400000_NS6detail17trampoline_kernelINS0_14default_configENS1_27scan_by_key_config_selectorIiiEEZZNS1_16scan_by_key_implILNS1_25lookback_scan_determinismE0ELb0ES3_N6thrust23THRUST_200600_302600_NS6detail15normal_iteratorINS9_10device_ptrIiEEEESE_SE_iNS9_4plusIvEENS9_8equal_toIvEEiEE10hipError_tPvRmT2_T3_T4_T5_mT6_T7_P12ihipStream_tbENKUlT_T0_E_clISt17integral_constantIbLb0EESY_IbLb1EEEEDaSU_SV_EUlSU_E_NS1_11comp_targetILNS1_3genE5ELNS1_11target_archE942ELNS1_3gpuE9ELNS1_3repE0EEENS1_30default_config_static_selectorELNS0_4arch9wavefront6targetE0EEEvT1_.numbered_sgpr, 0
	.set _ZN7rocprim17ROCPRIM_400000_NS6detail17trampoline_kernelINS0_14default_configENS1_27scan_by_key_config_selectorIiiEEZZNS1_16scan_by_key_implILNS1_25lookback_scan_determinismE0ELb0ES3_N6thrust23THRUST_200600_302600_NS6detail15normal_iteratorINS9_10device_ptrIiEEEESE_SE_iNS9_4plusIvEENS9_8equal_toIvEEiEE10hipError_tPvRmT2_T3_T4_T5_mT6_T7_P12ihipStream_tbENKUlT_T0_E_clISt17integral_constantIbLb0EESY_IbLb1EEEEDaSU_SV_EUlSU_E_NS1_11comp_targetILNS1_3genE5ELNS1_11target_archE942ELNS1_3gpuE9ELNS1_3repE0EEENS1_30default_config_static_selectorELNS0_4arch9wavefront6targetE0EEEvT1_.num_named_barrier, 0
	.set _ZN7rocprim17ROCPRIM_400000_NS6detail17trampoline_kernelINS0_14default_configENS1_27scan_by_key_config_selectorIiiEEZZNS1_16scan_by_key_implILNS1_25lookback_scan_determinismE0ELb0ES3_N6thrust23THRUST_200600_302600_NS6detail15normal_iteratorINS9_10device_ptrIiEEEESE_SE_iNS9_4plusIvEENS9_8equal_toIvEEiEE10hipError_tPvRmT2_T3_T4_T5_mT6_T7_P12ihipStream_tbENKUlT_T0_E_clISt17integral_constantIbLb0EESY_IbLb1EEEEDaSU_SV_EUlSU_E_NS1_11comp_targetILNS1_3genE5ELNS1_11target_archE942ELNS1_3gpuE9ELNS1_3repE0EEENS1_30default_config_static_selectorELNS0_4arch9wavefront6targetE0EEEvT1_.private_seg_size, 0
	.set _ZN7rocprim17ROCPRIM_400000_NS6detail17trampoline_kernelINS0_14default_configENS1_27scan_by_key_config_selectorIiiEEZZNS1_16scan_by_key_implILNS1_25lookback_scan_determinismE0ELb0ES3_N6thrust23THRUST_200600_302600_NS6detail15normal_iteratorINS9_10device_ptrIiEEEESE_SE_iNS9_4plusIvEENS9_8equal_toIvEEiEE10hipError_tPvRmT2_T3_T4_T5_mT6_T7_P12ihipStream_tbENKUlT_T0_E_clISt17integral_constantIbLb0EESY_IbLb1EEEEDaSU_SV_EUlSU_E_NS1_11comp_targetILNS1_3genE5ELNS1_11target_archE942ELNS1_3gpuE9ELNS1_3repE0EEENS1_30default_config_static_selectorELNS0_4arch9wavefront6targetE0EEEvT1_.uses_vcc, 0
	.set _ZN7rocprim17ROCPRIM_400000_NS6detail17trampoline_kernelINS0_14default_configENS1_27scan_by_key_config_selectorIiiEEZZNS1_16scan_by_key_implILNS1_25lookback_scan_determinismE0ELb0ES3_N6thrust23THRUST_200600_302600_NS6detail15normal_iteratorINS9_10device_ptrIiEEEESE_SE_iNS9_4plusIvEENS9_8equal_toIvEEiEE10hipError_tPvRmT2_T3_T4_T5_mT6_T7_P12ihipStream_tbENKUlT_T0_E_clISt17integral_constantIbLb0EESY_IbLb1EEEEDaSU_SV_EUlSU_E_NS1_11comp_targetILNS1_3genE5ELNS1_11target_archE942ELNS1_3gpuE9ELNS1_3repE0EEENS1_30default_config_static_selectorELNS0_4arch9wavefront6targetE0EEEvT1_.uses_flat_scratch, 0
	.set _ZN7rocprim17ROCPRIM_400000_NS6detail17trampoline_kernelINS0_14default_configENS1_27scan_by_key_config_selectorIiiEEZZNS1_16scan_by_key_implILNS1_25lookback_scan_determinismE0ELb0ES3_N6thrust23THRUST_200600_302600_NS6detail15normal_iteratorINS9_10device_ptrIiEEEESE_SE_iNS9_4plusIvEENS9_8equal_toIvEEiEE10hipError_tPvRmT2_T3_T4_T5_mT6_T7_P12ihipStream_tbENKUlT_T0_E_clISt17integral_constantIbLb0EESY_IbLb1EEEEDaSU_SV_EUlSU_E_NS1_11comp_targetILNS1_3genE5ELNS1_11target_archE942ELNS1_3gpuE9ELNS1_3repE0EEENS1_30default_config_static_selectorELNS0_4arch9wavefront6targetE0EEEvT1_.has_dyn_sized_stack, 0
	.set _ZN7rocprim17ROCPRIM_400000_NS6detail17trampoline_kernelINS0_14default_configENS1_27scan_by_key_config_selectorIiiEEZZNS1_16scan_by_key_implILNS1_25lookback_scan_determinismE0ELb0ES3_N6thrust23THRUST_200600_302600_NS6detail15normal_iteratorINS9_10device_ptrIiEEEESE_SE_iNS9_4plusIvEENS9_8equal_toIvEEiEE10hipError_tPvRmT2_T3_T4_T5_mT6_T7_P12ihipStream_tbENKUlT_T0_E_clISt17integral_constantIbLb0EESY_IbLb1EEEEDaSU_SV_EUlSU_E_NS1_11comp_targetILNS1_3genE5ELNS1_11target_archE942ELNS1_3gpuE9ELNS1_3repE0EEENS1_30default_config_static_selectorELNS0_4arch9wavefront6targetE0EEEvT1_.has_recursion, 0
	.set _ZN7rocprim17ROCPRIM_400000_NS6detail17trampoline_kernelINS0_14default_configENS1_27scan_by_key_config_selectorIiiEEZZNS1_16scan_by_key_implILNS1_25lookback_scan_determinismE0ELb0ES3_N6thrust23THRUST_200600_302600_NS6detail15normal_iteratorINS9_10device_ptrIiEEEESE_SE_iNS9_4plusIvEENS9_8equal_toIvEEiEE10hipError_tPvRmT2_T3_T4_T5_mT6_T7_P12ihipStream_tbENKUlT_T0_E_clISt17integral_constantIbLb0EESY_IbLb1EEEEDaSU_SV_EUlSU_E_NS1_11comp_targetILNS1_3genE5ELNS1_11target_archE942ELNS1_3gpuE9ELNS1_3repE0EEENS1_30default_config_static_selectorELNS0_4arch9wavefront6targetE0EEEvT1_.has_indirect_call, 0
	.section	.AMDGPU.csdata,"",@progbits
; Kernel info:
; codeLenInByte = 0
; TotalNumSgprs: 0
; NumVgprs: 0
; ScratchSize: 0
; MemoryBound: 0
; FloatMode: 240
; IeeeMode: 1
; LDSByteSize: 0 bytes/workgroup (compile time only)
; SGPRBlocks: 0
; VGPRBlocks: 0
; NumSGPRsForWavesPerEU: 1
; NumVGPRsForWavesPerEU: 1
; Occupancy: 16
; WaveLimiterHint : 0
; COMPUTE_PGM_RSRC2:SCRATCH_EN: 0
; COMPUTE_PGM_RSRC2:USER_SGPR: 6
; COMPUTE_PGM_RSRC2:TRAP_HANDLER: 0
; COMPUTE_PGM_RSRC2:TGID_X_EN: 1
; COMPUTE_PGM_RSRC2:TGID_Y_EN: 0
; COMPUTE_PGM_RSRC2:TGID_Z_EN: 0
; COMPUTE_PGM_RSRC2:TIDIG_COMP_CNT: 0
	.section	.text._ZN7rocprim17ROCPRIM_400000_NS6detail17trampoline_kernelINS0_14default_configENS1_27scan_by_key_config_selectorIiiEEZZNS1_16scan_by_key_implILNS1_25lookback_scan_determinismE0ELb0ES3_N6thrust23THRUST_200600_302600_NS6detail15normal_iteratorINS9_10device_ptrIiEEEESE_SE_iNS9_4plusIvEENS9_8equal_toIvEEiEE10hipError_tPvRmT2_T3_T4_T5_mT6_T7_P12ihipStream_tbENKUlT_T0_E_clISt17integral_constantIbLb0EESY_IbLb1EEEEDaSU_SV_EUlSU_E_NS1_11comp_targetILNS1_3genE4ELNS1_11target_archE910ELNS1_3gpuE8ELNS1_3repE0EEENS1_30default_config_static_selectorELNS0_4arch9wavefront6targetE0EEEvT1_,"axG",@progbits,_ZN7rocprim17ROCPRIM_400000_NS6detail17trampoline_kernelINS0_14default_configENS1_27scan_by_key_config_selectorIiiEEZZNS1_16scan_by_key_implILNS1_25lookback_scan_determinismE0ELb0ES3_N6thrust23THRUST_200600_302600_NS6detail15normal_iteratorINS9_10device_ptrIiEEEESE_SE_iNS9_4plusIvEENS9_8equal_toIvEEiEE10hipError_tPvRmT2_T3_T4_T5_mT6_T7_P12ihipStream_tbENKUlT_T0_E_clISt17integral_constantIbLb0EESY_IbLb1EEEEDaSU_SV_EUlSU_E_NS1_11comp_targetILNS1_3genE4ELNS1_11target_archE910ELNS1_3gpuE8ELNS1_3repE0EEENS1_30default_config_static_selectorELNS0_4arch9wavefront6targetE0EEEvT1_,comdat
	.protected	_ZN7rocprim17ROCPRIM_400000_NS6detail17trampoline_kernelINS0_14default_configENS1_27scan_by_key_config_selectorIiiEEZZNS1_16scan_by_key_implILNS1_25lookback_scan_determinismE0ELb0ES3_N6thrust23THRUST_200600_302600_NS6detail15normal_iteratorINS9_10device_ptrIiEEEESE_SE_iNS9_4plusIvEENS9_8equal_toIvEEiEE10hipError_tPvRmT2_T3_T4_T5_mT6_T7_P12ihipStream_tbENKUlT_T0_E_clISt17integral_constantIbLb0EESY_IbLb1EEEEDaSU_SV_EUlSU_E_NS1_11comp_targetILNS1_3genE4ELNS1_11target_archE910ELNS1_3gpuE8ELNS1_3repE0EEENS1_30default_config_static_selectorELNS0_4arch9wavefront6targetE0EEEvT1_ ; -- Begin function _ZN7rocprim17ROCPRIM_400000_NS6detail17trampoline_kernelINS0_14default_configENS1_27scan_by_key_config_selectorIiiEEZZNS1_16scan_by_key_implILNS1_25lookback_scan_determinismE0ELb0ES3_N6thrust23THRUST_200600_302600_NS6detail15normal_iteratorINS9_10device_ptrIiEEEESE_SE_iNS9_4plusIvEENS9_8equal_toIvEEiEE10hipError_tPvRmT2_T3_T4_T5_mT6_T7_P12ihipStream_tbENKUlT_T0_E_clISt17integral_constantIbLb0EESY_IbLb1EEEEDaSU_SV_EUlSU_E_NS1_11comp_targetILNS1_3genE4ELNS1_11target_archE910ELNS1_3gpuE8ELNS1_3repE0EEENS1_30default_config_static_selectorELNS0_4arch9wavefront6targetE0EEEvT1_
	.globl	_ZN7rocprim17ROCPRIM_400000_NS6detail17trampoline_kernelINS0_14default_configENS1_27scan_by_key_config_selectorIiiEEZZNS1_16scan_by_key_implILNS1_25lookback_scan_determinismE0ELb0ES3_N6thrust23THRUST_200600_302600_NS6detail15normal_iteratorINS9_10device_ptrIiEEEESE_SE_iNS9_4plusIvEENS9_8equal_toIvEEiEE10hipError_tPvRmT2_T3_T4_T5_mT6_T7_P12ihipStream_tbENKUlT_T0_E_clISt17integral_constantIbLb0EESY_IbLb1EEEEDaSU_SV_EUlSU_E_NS1_11comp_targetILNS1_3genE4ELNS1_11target_archE910ELNS1_3gpuE8ELNS1_3repE0EEENS1_30default_config_static_selectorELNS0_4arch9wavefront6targetE0EEEvT1_
	.p2align	8
	.type	_ZN7rocprim17ROCPRIM_400000_NS6detail17trampoline_kernelINS0_14default_configENS1_27scan_by_key_config_selectorIiiEEZZNS1_16scan_by_key_implILNS1_25lookback_scan_determinismE0ELb0ES3_N6thrust23THRUST_200600_302600_NS6detail15normal_iteratorINS9_10device_ptrIiEEEESE_SE_iNS9_4plusIvEENS9_8equal_toIvEEiEE10hipError_tPvRmT2_T3_T4_T5_mT6_T7_P12ihipStream_tbENKUlT_T0_E_clISt17integral_constantIbLb0EESY_IbLb1EEEEDaSU_SV_EUlSU_E_NS1_11comp_targetILNS1_3genE4ELNS1_11target_archE910ELNS1_3gpuE8ELNS1_3repE0EEENS1_30default_config_static_selectorELNS0_4arch9wavefront6targetE0EEEvT1_,@function
_ZN7rocprim17ROCPRIM_400000_NS6detail17trampoline_kernelINS0_14default_configENS1_27scan_by_key_config_selectorIiiEEZZNS1_16scan_by_key_implILNS1_25lookback_scan_determinismE0ELb0ES3_N6thrust23THRUST_200600_302600_NS6detail15normal_iteratorINS9_10device_ptrIiEEEESE_SE_iNS9_4plusIvEENS9_8equal_toIvEEiEE10hipError_tPvRmT2_T3_T4_T5_mT6_T7_P12ihipStream_tbENKUlT_T0_E_clISt17integral_constantIbLb0EESY_IbLb1EEEEDaSU_SV_EUlSU_E_NS1_11comp_targetILNS1_3genE4ELNS1_11target_archE910ELNS1_3gpuE8ELNS1_3repE0EEENS1_30default_config_static_selectorELNS0_4arch9wavefront6targetE0EEEvT1_: ; @_ZN7rocprim17ROCPRIM_400000_NS6detail17trampoline_kernelINS0_14default_configENS1_27scan_by_key_config_selectorIiiEEZZNS1_16scan_by_key_implILNS1_25lookback_scan_determinismE0ELb0ES3_N6thrust23THRUST_200600_302600_NS6detail15normal_iteratorINS9_10device_ptrIiEEEESE_SE_iNS9_4plusIvEENS9_8equal_toIvEEiEE10hipError_tPvRmT2_T3_T4_T5_mT6_T7_P12ihipStream_tbENKUlT_T0_E_clISt17integral_constantIbLb0EESY_IbLb1EEEEDaSU_SV_EUlSU_E_NS1_11comp_targetILNS1_3genE4ELNS1_11target_archE910ELNS1_3gpuE8ELNS1_3repE0EEENS1_30default_config_static_selectorELNS0_4arch9wavefront6targetE0EEEvT1_
; %bb.0:
	.section	.rodata,"a",@progbits
	.p2align	6, 0x0
	.amdhsa_kernel _ZN7rocprim17ROCPRIM_400000_NS6detail17trampoline_kernelINS0_14default_configENS1_27scan_by_key_config_selectorIiiEEZZNS1_16scan_by_key_implILNS1_25lookback_scan_determinismE0ELb0ES3_N6thrust23THRUST_200600_302600_NS6detail15normal_iteratorINS9_10device_ptrIiEEEESE_SE_iNS9_4plusIvEENS9_8equal_toIvEEiEE10hipError_tPvRmT2_T3_T4_T5_mT6_T7_P12ihipStream_tbENKUlT_T0_E_clISt17integral_constantIbLb0EESY_IbLb1EEEEDaSU_SV_EUlSU_E_NS1_11comp_targetILNS1_3genE4ELNS1_11target_archE910ELNS1_3gpuE8ELNS1_3repE0EEENS1_30default_config_static_selectorELNS0_4arch9wavefront6targetE0EEEvT1_
		.amdhsa_group_segment_fixed_size 0
		.amdhsa_private_segment_fixed_size 0
		.amdhsa_kernarg_size 112
		.amdhsa_user_sgpr_count 6
		.amdhsa_user_sgpr_private_segment_buffer 1
		.amdhsa_user_sgpr_dispatch_ptr 0
		.amdhsa_user_sgpr_queue_ptr 0
		.amdhsa_user_sgpr_kernarg_segment_ptr 1
		.amdhsa_user_sgpr_dispatch_id 0
		.amdhsa_user_sgpr_flat_scratch_init 0
		.amdhsa_user_sgpr_private_segment_size 0
		.amdhsa_wavefront_size32 1
		.amdhsa_uses_dynamic_stack 0
		.amdhsa_system_sgpr_private_segment_wavefront_offset 0
		.amdhsa_system_sgpr_workgroup_id_x 1
		.amdhsa_system_sgpr_workgroup_id_y 0
		.amdhsa_system_sgpr_workgroup_id_z 0
		.amdhsa_system_sgpr_workgroup_info 0
		.amdhsa_system_vgpr_workitem_id 0
		.amdhsa_next_free_vgpr 1
		.amdhsa_next_free_sgpr 1
		.amdhsa_reserve_vcc 0
		.amdhsa_reserve_flat_scratch 0
		.amdhsa_float_round_mode_32 0
		.amdhsa_float_round_mode_16_64 0
		.amdhsa_float_denorm_mode_32 3
		.amdhsa_float_denorm_mode_16_64 3
		.amdhsa_dx10_clamp 1
		.amdhsa_ieee_mode 1
		.amdhsa_fp16_overflow 0
		.amdhsa_workgroup_processor_mode 1
		.amdhsa_memory_ordered 1
		.amdhsa_forward_progress 1
		.amdhsa_shared_vgpr_count 0
		.amdhsa_exception_fp_ieee_invalid_op 0
		.amdhsa_exception_fp_denorm_src 0
		.amdhsa_exception_fp_ieee_div_zero 0
		.amdhsa_exception_fp_ieee_overflow 0
		.amdhsa_exception_fp_ieee_underflow 0
		.amdhsa_exception_fp_ieee_inexact 0
		.amdhsa_exception_int_div_zero 0
	.end_amdhsa_kernel
	.section	.text._ZN7rocprim17ROCPRIM_400000_NS6detail17trampoline_kernelINS0_14default_configENS1_27scan_by_key_config_selectorIiiEEZZNS1_16scan_by_key_implILNS1_25lookback_scan_determinismE0ELb0ES3_N6thrust23THRUST_200600_302600_NS6detail15normal_iteratorINS9_10device_ptrIiEEEESE_SE_iNS9_4plusIvEENS9_8equal_toIvEEiEE10hipError_tPvRmT2_T3_T4_T5_mT6_T7_P12ihipStream_tbENKUlT_T0_E_clISt17integral_constantIbLb0EESY_IbLb1EEEEDaSU_SV_EUlSU_E_NS1_11comp_targetILNS1_3genE4ELNS1_11target_archE910ELNS1_3gpuE8ELNS1_3repE0EEENS1_30default_config_static_selectorELNS0_4arch9wavefront6targetE0EEEvT1_,"axG",@progbits,_ZN7rocprim17ROCPRIM_400000_NS6detail17trampoline_kernelINS0_14default_configENS1_27scan_by_key_config_selectorIiiEEZZNS1_16scan_by_key_implILNS1_25lookback_scan_determinismE0ELb0ES3_N6thrust23THRUST_200600_302600_NS6detail15normal_iteratorINS9_10device_ptrIiEEEESE_SE_iNS9_4plusIvEENS9_8equal_toIvEEiEE10hipError_tPvRmT2_T3_T4_T5_mT6_T7_P12ihipStream_tbENKUlT_T0_E_clISt17integral_constantIbLb0EESY_IbLb1EEEEDaSU_SV_EUlSU_E_NS1_11comp_targetILNS1_3genE4ELNS1_11target_archE910ELNS1_3gpuE8ELNS1_3repE0EEENS1_30default_config_static_selectorELNS0_4arch9wavefront6targetE0EEEvT1_,comdat
.Lfunc_end158:
	.size	_ZN7rocprim17ROCPRIM_400000_NS6detail17trampoline_kernelINS0_14default_configENS1_27scan_by_key_config_selectorIiiEEZZNS1_16scan_by_key_implILNS1_25lookback_scan_determinismE0ELb0ES3_N6thrust23THRUST_200600_302600_NS6detail15normal_iteratorINS9_10device_ptrIiEEEESE_SE_iNS9_4plusIvEENS9_8equal_toIvEEiEE10hipError_tPvRmT2_T3_T4_T5_mT6_T7_P12ihipStream_tbENKUlT_T0_E_clISt17integral_constantIbLb0EESY_IbLb1EEEEDaSU_SV_EUlSU_E_NS1_11comp_targetILNS1_3genE4ELNS1_11target_archE910ELNS1_3gpuE8ELNS1_3repE0EEENS1_30default_config_static_selectorELNS0_4arch9wavefront6targetE0EEEvT1_, .Lfunc_end158-_ZN7rocprim17ROCPRIM_400000_NS6detail17trampoline_kernelINS0_14default_configENS1_27scan_by_key_config_selectorIiiEEZZNS1_16scan_by_key_implILNS1_25lookback_scan_determinismE0ELb0ES3_N6thrust23THRUST_200600_302600_NS6detail15normal_iteratorINS9_10device_ptrIiEEEESE_SE_iNS9_4plusIvEENS9_8equal_toIvEEiEE10hipError_tPvRmT2_T3_T4_T5_mT6_T7_P12ihipStream_tbENKUlT_T0_E_clISt17integral_constantIbLb0EESY_IbLb1EEEEDaSU_SV_EUlSU_E_NS1_11comp_targetILNS1_3genE4ELNS1_11target_archE910ELNS1_3gpuE8ELNS1_3repE0EEENS1_30default_config_static_selectorELNS0_4arch9wavefront6targetE0EEEvT1_
                                        ; -- End function
	.set _ZN7rocprim17ROCPRIM_400000_NS6detail17trampoline_kernelINS0_14default_configENS1_27scan_by_key_config_selectorIiiEEZZNS1_16scan_by_key_implILNS1_25lookback_scan_determinismE0ELb0ES3_N6thrust23THRUST_200600_302600_NS6detail15normal_iteratorINS9_10device_ptrIiEEEESE_SE_iNS9_4plusIvEENS9_8equal_toIvEEiEE10hipError_tPvRmT2_T3_T4_T5_mT6_T7_P12ihipStream_tbENKUlT_T0_E_clISt17integral_constantIbLb0EESY_IbLb1EEEEDaSU_SV_EUlSU_E_NS1_11comp_targetILNS1_3genE4ELNS1_11target_archE910ELNS1_3gpuE8ELNS1_3repE0EEENS1_30default_config_static_selectorELNS0_4arch9wavefront6targetE0EEEvT1_.num_vgpr, 0
	.set _ZN7rocprim17ROCPRIM_400000_NS6detail17trampoline_kernelINS0_14default_configENS1_27scan_by_key_config_selectorIiiEEZZNS1_16scan_by_key_implILNS1_25lookback_scan_determinismE0ELb0ES3_N6thrust23THRUST_200600_302600_NS6detail15normal_iteratorINS9_10device_ptrIiEEEESE_SE_iNS9_4plusIvEENS9_8equal_toIvEEiEE10hipError_tPvRmT2_T3_T4_T5_mT6_T7_P12ihipStream_tbENKUlT_T0_E_clISt17integral_constantIbLb0EESY_IbLb1EEEEDaSU_SV_EUlSU_E_NS1_11comp_targetILNS1_3genE4ELNS1_11target_archE910ELNS1_3gpuE8ELNS1_3repE0EEENS1_30default_config_static_selectorELNS0_4arch9wavefront6targetE0EEEvT1_.num_agpr, 0
	.set _ZN7rocprim17ROCPRIM_400000_NS6detail17trampoline_kernelINS0_14default_configENS1_27scan_by_key_config_selectorIiiEEZZNS1_16scan_by_key_implILNS1_25lookback_scan_determinismE0ELb0ES3_N6thrust23THRUST_200600_302600_NS6detail15normal_iteratorINS9_10device_ptrIiEEEESE_SE_iNS9_4plusIvEENS9_8equal_toIvEEiEE10hipError_tPvRmT2_T3_T4_T5_mT6_T7_P12ihipStream_tbENKUlT_T0_E_clISt17integral_constantIbLb0EESY_IbLb1EEEEDaSU_SV_EUlSU_E_NS1_11comp_targetILNS1_3genE4ELNS1_11target_archE910ELNS1_3gpuE8ELNS1_3repE0EEENS1_30default_config_static_selectorELNS0_4arch9wavefront6targetE0EEEvT1_.numbered_sgpr, 0
	.set _ZN7rocprim17ROCPRIM_400000_NS6detail17trampoline_kernelINS0_14default_configENS1_27scan_by_key_config_selectorIiiEEZZNS1_16scan_by_key_implILNS1_25lookback_scan_determinismE0ELb0ES3_N6thrust23THRUST_200600_302600_NS6detail15normal_iteratorINS9_10device_ptrIiEEEESE_SE_iNS9_4plusIvEENS9_8equal_toIvEEiEE10hipError_tPvRmT2_T3_T4_T5_mT6_T7_P12ihipStream_tbENKUlT_T0_E_clISt17integral_constantIbLb0EESY_IbLb1EEEEDaSU_SV_EUlSU_E_NS1_11comp_targetILNS1_3genE4ELNS1_11target_archE910ELNS1_3gpuE8ELNS1_3repE0EEENS1_30default_config_static_selectorELNS0_4arch9wavefront6targetE0EEEvT1_.num_named_barrier, 0
	.set _ZN7rocprim17ROCPRIM_400000_NS6detail17trampoline_kernelINS0_14default_configENS1_27scan_by_key_config_selectorIiiEEZZNS1_16scan_by_key_implILNS1_25lookback_scan_determinismE0ELb0ES3_N6thrust23THRUST_200600_302600_NS6detail15normal_iteratorINS9_10device_ptrIiEEEESE_SE_iNS9_4plusIvEENS9_8equal_toIvEEiEE10hipError_tPvRmT2_T3_T4_T5_mT6_T7_P12ihipStream_tbENKUlT_T0_E_clISt17integral_constantIbLb0EESY_IbLb1EEEEDaSU_SV_EUlSU_E_NS1_11comp_targetILNS1_3genE4ELNS1_11target_archE910ELNS1_3gpuE8ELNS1_3repE0EEENS1_30default_config_static_selectorELNS0_4arch9wavefront6targetE0EEEvT1_.private_seg_size, 0
	.set _ZN7rocprim17ROCPRIM_400000_NS6detail17trampoline_kernelINS0_14default_configENS1_27scan_by_key_config_selectorIiiEEZZNS1_16scan_by_key_implILNS1_25lookback_scan_determinismE0ELb0ES3_N6thrust23THRUST_200600_302600_NS6detail15normal_iteratorINS9_10device_ptrIiEEEESE_SE_iNS9_4plusIvEENS9_8equal_toIvEEiEE10hipError_tPvRmT2_T3_T4_T5_mT6_T7_P12ihipStream_tbENKUlT_T0_E_clISt17integral_constantIbLb0EESY_IbLb1EEEEDaSU_SV_EUlSU_E_NS1_11comp_targetILNS1_3genE4ELNS1_11target_archE910ELNS1_3gpuE8ELNS1_3repE0EEENS1_30default_config_static_selectorELNS0_4arch9wavefront6targetE0EEEvT1_.uses_vcc, 0
	.set _ZN7rocprim17ROCPRIM_400000_NS6detail17trampoline_kernelINS0_14default_configENS1_27scan_by_key_config_selectorIiiEEZZNS1_16scan_by_key_implILNS1_25lookback_scan_determinismE0ELb0ES3_N6thrust23THRUST_200600_302600_NS6detail15normal_iteratorINS9_10device_ptrIiEEEESE_SE_iNS9_4plusIvEENS9_8equal_toIvEEiEE10hipError_tPvRmT2_T3_T4_T5_mT6_T7_P12ihipStream_tbENKUlT_T0_E_clISt17integral_constantIbLb0EESY_IbLb1EEEEDaSU_SV_EUlSU_E_NS1_11comp_targetILNS1_3genE4ELNS1_11target_archE910ELNS1_3gpuE8ELNS1_3repE0EEENS1_30default_config_static_selectorELNS0_4arch9wavefront6targetE0EEEvT1_.uses_flat_scratch, 0
	.set _ZN7rocprim17ROCPRIM_400000_NS6detail17trampoline_kernelINS0_14default_configENS1_27scan_by_key_config_selectorIiiEEZZNS1_16scan_by_key_implILNS1_25lookback_scan_determinismE0ELb0ES3_N6thrust23THRUST_200600_302600_NS6detail15normal_iteratorINS9_10device_ptrIiEEEESE_SE_iNS9_4plusIvEENS9_8equal_toIvEEiEE10hipError_tPvRmT2_T3_T4_T5_mT6_T7_P12ihipStream_tbENKUlT_T0_E_clISt17integral_constantIbLb0EESY_IbLb1EEEEDaSU_SV_EUlSU_E_NS1_11comp_targetILNS1_3genE4ELNS1_11target_archE910ELNS1_3gpuE8ELNS1_3repE0EEENS1_30default_config_static_selectorELNS0_4arch9wavefront6targetE0EEEvT1_.has_dyn_sized_stack, 0
	.set _ZN7rocprim17ROCPRIM_400000_NS6detail17trampoline_kernelINS0_14default_configENS1_27scan_by_key_config_selectorIiiEEZZNS1_16scan_by_key_implILNS1_25lookback_scan_determinismE0ELb0ES3_N6thrust23THRUST_200600_302600_NS6detail15normal_iteratorINS9_10device_ptrIiEEEESE_SE_iNS9_4plusIvEENS9_8equal_toIvEEiEE10hipError_tPvRmT2_T3_T4_T5_mT6_T7_P12ihipStream_tbENKUlT_T0_E_clISt17integral_constantIbLb0EESY_IbLb1EEEEDaSU_SV_EUlSU_E_NS1_11comp_targetILNS1_3genE4ELNS1_11target_archE910ELNS1_3gpuE8ELNS1_3repE0EEENS1_30default_config_static_selectorELNS0_4arch9wavefront6targetE0EEEvT1_.has_recursion, 0
	.set _ZN7rocprim17ROCPRIM_400000_NS6detail17trampoline_kernelINS0_14default_configENS1_27scan_by_key_config_selectorIiiEEZZNS1_16scan_by_key_implILNS1_25lookback_scan_determinismE0ELb0ES3_N6thrust23THRUST_200600_302600_NS6detail15normal_iteratorINS9_10device_ptrIiEEEESE_SE_iNS9_4plusIvEENS9_8equal_toIvEEiEE10hipError_tPvRmT2_T3_T4_T5_mT6_T7_P12ihipStream_tbENKUlT_T0_E_clISt17integral_constantIbLb0EESY_IbLb1EEEEDaSU_SV_EUlSU_E_NS1_11comp_targetILNS1_3genE4ELNS1_11target_archE910ELNS1_3gpuE8ELNS1_3repE0EEENS1_30default_config_static_selectorELNS0_4arch9wavefront6targetE0EEEvT1_.has_indirect_call, 0
	.section	.AMDGPU.csdata,"",@progbits
; Kernel info:
; codeLenInByte = 0
; TotalNumSgprs: 0
; NumVgprs: 0
; ScratchSize: 0
; MemoryBound: 0
; FloatMode: 240
; IeeeMode: 1
; LDSByteSize: 0 bytes/workgroup (compile time only)
; SGPRBlocks: 0
; VGPRBlocks: 0
; NumSGPRsForWavesPerEU: 1
; NumVGPRsForWavesPerEU: 1
; Occupancy: 16
; WaveLimiterHint : 0
; COMPUTE_PGM_RSRC2:SCRATCH_EN: 0
; COMPUTE_PGM_RSRC2:USER_SGPR: 6
; COMPUTE_PGM_RSRC2:TRAP_HANDLER: 0
; COMPUTE_PGM_RSRC2:TGID_X_EN: 1
; COMPUTE_PGM_RSRC2:TGID_Y_EN: 0
; COMPUTE_PGM_RSRC2:TGID_Z_EN: 0
; COMPUTE_PGM_RSRC2:TIDIG_COMP_CNT: 0
	.section	.text._ZN7rocprim17ROCPRIM_400000_NS6detail17trampoline_kernelINS0_14default_configENS1_27scan_by_key_config_selectorIiiEEZZNS1_16scan_by_key_implILNS1_25lookback_scan_determinismE0ELb0ES3_N6thrust23THRUST_200600_302600_NS6detail15normal_iteratorINS9_10device_ptrIiEEEESE_SE_iNS9_4plusIvEENS9_8equal_toIvEEiEE10hipError_tPvRmT2_T3_T4_T5_mT6_T7_P12ihipStream_tbENKUlT_T0_E_clISt17integral_constantIbLb0EESY_IbLb1EEEEDaSU_SV_EUlSU_E_NS1_11comp_targetILNS1_3genE3ELNS1_11target_archE908ELNS1_3gpuE7ELNS1_3repE0EEENS1_30default_config_static_selectorELNS0_4arch9wavefront6targetE0EEEvT1_,"axG",@progbits,_ZN7rocprim17ROCPRIM_400000_NS6detail17trampoline_kernelINS0_14default_configENS1_27scan_by_key_config_selectorIiiEEZZNS1_16scan_by_key_implILNS1_25lookback_scan_determinismE0ELb0ES3_N6thrust23THRUST_200600_302600_NS6detail15normal_iteratorINS9_10device_ptrIiEEEESE_SE_iNS9_4plusIvEENS9_8equal_toIvEEiEE10hipError_tPvRmT2_T3_T4_T5_mT6_T7_P12ihipStream_tbENKUlT_T0_E_clISt17integral_constantIbLb0EESY_IbLb1EEEEDaSU_SV_EUlSU_E_NS1_11comp_targetILNS1_3genE3ELNS1_11target_archE908ELNS1_3gpuE7ELNS1_3repE0EEENS1_30default_config_static_selectorELNS0_4arch9wavefront6targetE0EEEvT1_,comdat
	.protected	_ZN7rocprim17ROCPRIM_400000_NS6detail17trampoline_kernelINS0_14default_configENS1_27scan_by_key_config_selectorIiiEEZZNS1_16scan_by_key_implILNS1_25lookback_scan_determinismE0ELb0ES3_N6thrust23THRUST_200600_302600_NS6detail15normal_iteratorINS9_10device_ptrIiEEEESE_SE_iNS9_4plusIvEENS9_8equal_toIvEEiEE10hipError_tPvRmT2_T3_T4_T5_mT6_T7_P12ihipStream_tbENKUlT_T0_E_clISt17integral_constantIbLb0EESY_IbLb1EEEEDaSU_SV_EUlSU_E_NS1_11comp_targetILNS1_3genE3ELNS1_11target_archE908ELNS1_3gpuE7ELNS1_3repE0EEENS1_30default_config_static_selectorELNS0_4arch9wavefront6targetE0EEEvT1_ ; -- Begin function _ZN7rocprim17ROCPRIM_400000_NS6detail17trampoline_kernelINS0_14default_configENS1_27scan_by_key_config_selectorIiiEEZZNS1_16scan_by_key_implILNS1_25lookback_scan_determinismE0ELb0ES3_N6thrust23THRUST_200600_302600_NS6detail15normal_iteratorINS9_10device_ptrIiEEEESE_SE_iNS9_4plusIvEENS9_8equal_toIvEEiEE10hipError_tPvRmT2_T3_T4_T5_mT6_T7_P12ihipStream_tbENKUlT_T0_E_clISt17integral_constantIbLb0EESY_IbLb1EEEEDaSU_SV_EUlSU_E_NS1_11comp_targetILNS1_3genE3ELNS1_11target_archE908ELNS1_3gpuE7ELNS1_3repE0EEENS1_30default_config_static_selectorELNS0_4arch9wavefront6targetE0EEEvT1_
	.globl	_ZN7rocprim17ROCPRIM_400000_NS6detail17trampoline_kernelINS0_14default_configENS1_27scan_by_key_config_selectorIiiEEZZNS1_16scan_by_key_implILNS1_25lookback_scan_determinismE0ELb0ES3_N6thrust23THRUST_200600_302600_NS6detail15normal_iteratorINS9_10device_ptrIiEEEESE_SE_iNS9_4plusIvEENS9_8equal_toIvEEiEE10hipError_tPvRmT2_T3_T4_T5_mT6_T7_P12ihipStream_tbENKUlT_T0_E_clISt17integral_constantIbLb0EESY_IbLb1EEEEDaSU_SV_EUlSU_E_NS1_11comp_targetILNS1_3genE3ELNS1_11target_archE908ELNS1_3gpuE7ELNS1_3repE0EEENS1_30default_config_static_selectorELNS0_4arch9wavefront6targetE0EEEvT1_
	.p2align	8
	.type	_ZN7rocprim17ROCPRIM_400000_NS6detail17trampoline_kernelINS0_14default_configENS1_27scan_by_key_config_selectorIiiEEZZNS1_16scan_by_key_implILNS1_25lookback_scan_determinismE0ELb0ES3_N6thrust23THRUST_200600_302600_NS6detail15normal_iteratorINS9_10device_ptrIiEEEESE_SE_iNS9_4plusIvEENS9_8equal_toIvEEiEE10hipError_tPvRmT2_T3_T4_T5_mT6_T7_P12ihipStream_tbENKUlT_T0_E_clISt17integral_constantIbLb0EESY_IbLb1EEEEDaSU_SV_EUlSU_E_NS1_11comp_targetILNS1_3genE3ELNS1_11target_archE908ELNS1_3gpuE7ELNS1_3repE0EEENS1_30default_config_static_selectorELNS0_4arch9wavefront6targetE0EEEvT1_,@function
_ZN7rocprim17ROCPRIM_400000_NS6detail17trampoline_kernelINS0_14default_configENS1_27scan_by_key_config_selectorIiiEEZZNS1_16scan_by_key_implILNS1_25lookback_scan_determinismE0ELb0ES3_N6thrust23THRUST_200600_302600_NS6detail15normal_iteratorINS9_10device_ptrIiEEEESE_SE_iNS9_4plusIvEENS9_8equal_toIvEEiEE10hipError_tPvRmT2_T3_T4_T5_mT6_T7_P12ihipStream_tbENKUlT_T0_E_clISt17integral_constantIbLb0EESY_IbLb1EEEEDaSU_SV_EUlSU_E_NS1_11comp_targetILNS1_3genE3ELNS1_11target_archE908ELNS1_3gpuE7ELNS1_3repE0EEENS1_30default_config_static_selectorELNS0_4arch9wavefront6targetE0EEEvT1_: ; @_ZN7rocprim17ROCPRIM_400000_NS6detail17trampoline_kernelINS0_14default_configENS1_27scan_by_key_config_selectorIiiEEZZNS1_16scan_by_key_implILNS1_25lookback_scan_determinismE0ELb0ES3_N6thrust23THRUST_200600_302600_NS6detail15normal_iteratorINS9_10device_ptrIiEEEESE_SE_iNS9_4plusIvEENS9_8equal_toIvEEiEE10hipError_tPvRmT2_T3_T4_T5_mT6_T7_P12ihipStream_tbENKUlT_T0_E_clISt17integral_constantIbLb0EESY_IbLb1EEEEDaSU_SV_EUlSU_E_NS1_11comp_targetILNS1_3genE3ELNS1_11target_archE908ELNS1_3gpuE7ELNS1_3repE0EEENS1_30default_config_static_selectorELNS0_4arch9wavefront6targetE0EEEvT1_
; %bb.0:
	.section	.rodata,"a",@progbits
	.p2align	6, 0x0
	.amdhsa_kernel _ZN7rocprim17ROCPRIM_400000_NS6detail17trampoline_kernelINS0_14default_configENS1_27scan_by_key_config_selectorIiiEEZZNS1_16scan_by_key_implILNS1_25lookback_scan_determinismE0ELb0ES3_N6thrust23THRUST_200600_302600_NS6detail15normal_iteratorINS9_10device_ptrIiEEEESE_SE_iNS9_4plusIvEENS9_8equal_toIvEEiEE10hipError_tPvRmT2_T3_T4_T5_mT6_T7_P12ihipStream_tbENKUlT_T0_E_clISt17integral_constantIbLb0EESY_IbLb1EEEEDaSU_SV_EUlSU_E_NS1_11comp_targetILNS1_3genE3ELNS1_11target_archE908ELNS1_3gpuE7ELNS1_3repE0EEENS1_30default_config_static_selectorELNS0_4arch9wavefront6targetE0EEEvT1_
		.amdhsa_group_segment_fixed_size 0
		.amdhsa_private_segment_fixed_size 0
		.amdhsa_kernarg_size 112
		.amdhsa_user_sgpr_count 6
		.amdhsa_user_sgpr_private_segment_buffer 1
		.amdhsa_user_sgpr_dispatch_ptr 0
		.amdhsa_user_sgpr_queue_ptr 0
		.amdhsa_user_sgpr_kernarg_segment_ptr 1
		.amdhsa_user_sgpr_dispatch_id 0
		.amdhsa_user_sgpr_flat_scratch_init 0
		.amdhsa_user_sgpr_private_segment_size 0
		.amdhsa_wavefront_size32 1
		.amdhsa_uses_dynamic_stack 0
		.amdhsa_system_sgpr_private_segment_wavefront_offset 0
		.amdhsa_system_sgpr_workgroup_id_x 1
		.amdhsa_system_sgpr_workgroup_id_y 0
		.amdhsa_system_sgpr_workgroup_id_z 0
		.amdhsa_system_sgpr_workgroup_info 0
		.amdhsa_system_vgpr_workitem_id 0
		.amdhsa_next_free_vgpr 1
		.amdhsa_next_free_sgpr 1
		.amdhsa_reserve_vcc 0
		.amdhsa_reserve_flat_scratch 0
		.amdhsa_float_round_mode_32 0
		.amdhsa_float_round_mode_16_64 0
		.amdhsa_float_denorm_mode_32 3
		.amdhsa_float_denorm_mode_16_64 3
		.amdhsa_dx10_clamp 1
		.amdhsa_ieee_mode 1
		.amdhsa_fp16_overflow 0
		.amdhsa_workgroup_processor_mode 1
		.amdhsa_memory_ordered 1
		.amdhsa_forward_progress 1
		.amdhsa_shared_vgpr_count 0
		.amdhsa_exception_fp_ieee_invalid_op 0
		.amdhsa_exception_fp_denorm_src 0
		.amdhsa_exception_fp_ieee_div_zero 0
		.amdhsa_exception_fp_ieee_overflow 0
		.amdhsa_exception_fp_ieee_underflow 0
		.amdhsa_exception_fp_ieee_inexact 0
		.amdhsa_exception_int_div_zero 0
	.end_amdhsa_kernel
	.section	.text._ZN7rocprim17ROCPRIM_400000_NS6detail17trampoline_kernelINS0_14default_configENS1_27scan_by_key_config_selectorIiiEEZZNS1_16scan_by_key_implILNS1_25lookback_scan_determinismE0ELb0ES3_N6thrust23THRUST_200600_302600_NS6detail15normal_iteratorINS9_10device_ptrIiEEEESE_SE_iNS9_4plusIvEENS9_8equal_toIvEEiEE10hipError_tPvRmT2_T3_T4_T5_mT6_T7_P12ihipStream_tbENKUlT_T0_E_clISt17integral_constantIbLb0EESY_IbLb1EEEEDaSU_SV_EUlSU_E_NS1_11comp_targetILNS1_3genE3ELNS1_11target_archE908ELNS1_3gpuE7ELNS1_3repE0EEENS1_30default_config_static_selectorELNS0_4arch9wavefront6targetE0EEEvT1_,"axG",@progbits,_ZN7rocprim17ROCPRIM_400000_NS6detail17trampoline_kernelINS0_14default_configENS1_27scan_by_key_config_selectorIiiEEZZNS1_16scan_by_key_implILNS1_25lookback_scan_determinismE0ELb0ES3_N6thrust23THRUST_200600_302600_NS6detail15normal_iteratorINS9_10device_ptrIiEEEESE_SE_iNS9_4plusIvEENS9_8equal_toIvEEiEE10hipError_tPvRmT2_T3_T4_T5_mT6_T7_P12ihipStream_tbENKUlT_T0_E_clISt17integral_constantIbLb0EESY_IbLb1EEEEDaSU_SV_EUlSU_E_NS1_11comp_targetILNS1_3genE3ELNS1_11target_archE908ELNS1_3gpuE7ELNS1_3repE0EEENS1_30default_config_static_selectorELNS0_4arch9wavefront6targetE0EEEvT1_,comdat
.Lfunc_end159:
	.size	_ZN7rocprim17ROCPRIM_400000_NS6detail17trampoline_kernelINS0_14default_configENS1_27scan_by_key_config_selectorIiiEEZZNS1_16scan_by_key_implILNS1_25lookback_scan_determinismE0ELb0ES3_N6thrust23THRUST_200600_302600_NS6detail15normal_iteratorINS9_10device_ptrIiEEEESE_SE_iNS9_4plusIvEENS9_8equal_toIvEEiEE10hipError_tPvRmT2_T3_T4_T5_mT6_T7_P12ihipStream_tbENKUlT_T0_E_clISt17integral_constantIbLb0EESY_IbLb1EEEEDaSU_SV_EUlSU_E_NS1_11comp_targetILNS1_3genE3ELNS1_11target_archE908ELNS1_3gpuE7ELNS1_3repE0EEENS1_30default_config_static_selectorELNS0_4arch9wavefront6targetE0EEEvT1_, .Lfunc_end159-_ZN7rocprim17ROCPRIM_400000_NS6detail17trampoline_kernelINS0_14default_configENS1_27scan_by_key_config_selectorIiiEEZZNS1_16scan_by_key_implILNS1_25lookback_scan_determinismE0ELb0ES3_N6thrust23THRUST_200600_302600_NS6detail15normal_iteratorINS9_10device_ptrIiEEEESE_SE_iNS9_4plusIvEENS9_8equal_toIvEEiEE10hipError_tPvRmT2_T3_T4_T5_mT6_T7_P12ihipStream_tbENKUlT_T0_E_clISt17integral_constantIbLb0EESY_IbLb1EEEEDaSU_SV_EUlSU_E_NS1_11comp_targetILNS1_3genE3ELNS1_11target_archE908ELNS1_3gpuE7ELNS1_3repE0EEENS1_30default_config_static_selectorELNS0_4arch9wavefront6targetE0EEEvT1_
                                        ; -- End function
	.set _ZN7rocprim17ROCPRIM_400000_NS6detail17trampoline_kernelINS0_14default_configENS1_27scan_by_key_config_selectorIiiEEZZNS1_16scan_by_key_implILNS1_25lookback_scan_determinismE0ELb0ES3_N6thrust23THRUST_200600_302600_NS6detail15normal_iteratorINS9_10device_ptrIiEEEESE_SE_iNS9_4plusIvEENS9_8equal_toIvEEiEE10hipError_tPvRmT2_T3_T4_T5_mT6_T7_P12ihipStream_tbENKUlT_T0_E_clISt17integral_constantIbLb0EESY_IbLb1EEEEDaSU_SV_EUlSU_E_NS1_11comp_targetILNS1_3genE3ELNS1_11target_archE908ELNS1_3gpuE7ELNS1_3repE0EEENS1_30default_config_static_selectorELNS0_4arch9wavefront6targetE0EEEvT1_.num_vgpr, 0
	.set _ZN7rocprim17ROCPRIM_400000_NS6detail17trampoline_kernelINS0_14default_configENS1_27scan_by_key_config_selectorIiiEEZZNS1_16scan_by_key_implILNS1_25lookback_scan_determinismE0ELb0ES3_N6thrust23THRUST_200600_302600_NS6detail15normal_iteratorINS9_10device_ptrIiEEEESE_SE_iNS9_4plusIvEENS9_8equal_toIvEEiEE10hipError_tPvRmT2_T3_T4_T5_mT6_T7_P12ihipStream_tbENKUlT_T0_E_clISt17integral_constantIbLb0EESY_IbLb1EEEEDaSU_SV_EUlSU_E_NS1_11comp_targetILNS1_3genE3ELNS1_11target_archE908ELNS1_3gpuE7ELNS1_3repE0EEENS1_30default_config_static_selectorELNS0_4arch9wavefront6targetE0EEEvT1_.num_agpr, 0
	.set _ZN7rocprim17ROCPRIM_400000_NS6detail17trampoline_kernelINS0_14default_configENS1_27scan_by_key_config_selectorIiiEEZZNS1_16scan_by_key_implILNS1_25lookback_scan_determinismE0ELb0ES3_N6thrust23THRUST_200600_302600_NS6detail15normal_iteratorINS9_10device_ptrIiEEEESE_SE_iNS9_4plusIvEENS9_8equal_toIvEEiEE10hipError_tPvRmT2_T3_T4_T5_mT6_T7_P12ihipStream_tbENKUlT_T0_E_clISt17integral_constantIbLb0EESY_IbLb1EEEEDaSU_SV_EUlSU_E_NS1_11comp_targetILNS1_3genE3ELNS1_11target_archE908ELNS1_3gpuE7ELNS1_3repE0EEENS1_30default_config_static_selectorELNS0_4arch9wavefront6targetE0EEEvT1_.numbered_sgpr, 0
	.set _ZN7rocprim17ROCPRIM_400000_NS6detail17trampoline_kernelINS0_14default_configENS1_27scan_by_key_config_selectorIiiEEZZNS1_16scan_by_key_implILNS1_25lookback_scan_determinismE0ELb0ES3_N6thrust23THRUST_200600_302600_NS6detail15normal_iteratorINS9_10device_ptrIiEEEESE_SE_iNS9_4plusIvEENS9_8equal_toIvEEiEE10hipError_tPvRmT2_T3_T4_T5_mT6_T7_P12ihipStream_tbENKUlT_T0_E_clISt17integral_constantIbLb0EESY_IbLb1EEEEDaSU_SV_EUlSU_E_NS1_11comp_targetILNS1_3genE3ELNS1_11target_archE908ELNS1_3gpuE7ELNS1_3repE0EEENS1_30default_config_static_selectorELNS0_4arch9wavefront6targetE0EEEvT1_.num_named_barrier, 0
	.set _ZN7rocprim17ROCPRIM_400000_NS6detail17trampoline_kernelINS0_14default_configENS1_27scan_by_key_config_selectorIiiEEZZNS1_16scan_by_key_implILNS1_25lookback_scan_determinismE0ELb0ES3_N6thrust23THRUST_200600_302600_NS6detail15normal_iteratorINS9_10device_ptrIiEEEESE_SE_iNS9_4plusIvEENS9_8equal_toIvEEiEE10hipError_tPvRmT2_T3_T4_T5_mT6_T7_P12ihipStream_tbENKUlT_T0_E_clISt17integral_constantIbLb0EESY_IbLb1EEEEDaSU_SV_EUlSU_E_NS1_11comp_targetILNS1_3genE3ELNS1_11target_archE908ELNS1_3gpuE7ELNS1_3repE0EEENS1_30default_config_static_selectorELNS0_4arch9wavefront6targetE0EEEvT1_.private_seg_size, 0
	.set _ZN7rocprim17ROCPRIM_400000_NS6detail17trampoline_kernelINS0_14default_configENS1_27scan_by_key_config_selectorIiiEEZZNS1_16scan_by_key_implILNS1_25lookback_scan_determinismE0ELb0ES3_N6thrust23THRUST_200600_302600_NS6detail15normal_iteratorINS9_10device_ptrIiEEEESE_SE_iNS9_4plusIvEENS9_8equal_toIvEEiEE10hipError_tPvRmT2_T3_T4_T5_mT6_T7_P12ihipStream_tbENKUlT_T0_E_clISt17integral_constantIbLb0EESY_IbLb1EEEEDaSU_SV_EUlSU_E_NS1_11comp_targetILNS1_3genE3ELNS1_11target_archE908ELNS1_3gpuE7ELNS1_3repE0EEENS1_30default_config_static_selectorELNS0_4arch9wavefront6targetE0EEEvT1_.uses_vcc, 0
	.set _ZN7rocprim17ROCPRIM_400000_NS6detail17trampoline_kernelINS0_14default_configENS1_27scan_by_key_config_selectorIiiEEZZNS1_16scan_by_key_implILNS1_25lookback_scan_determinismE0ELb0ES3_N6thrust23THRUST_200600_302600_NS6detail15normal_iteratorINS9_10device_ptrIiEEEESE_SE_iNS9_4plusIvEENS9_8equal_toIvEEiEE10hipError_tPvRmT2_T3_T4_T5_mT6_T7_P12ihipStream_tbENKUlT_T0_E_clISt17integral_constantIbLb0EESY_IbLb1EEEEDaSU_SV_EUlSU_E_NS1_11comp_targetILNS1_3genE3ELNS1_11target_archE908ELNS1_3gpuE7ELNS1_3repE0EEENS1_30default_config_static_selectorELNS0_4arch9wavefront6targetE0EEEvT1_.uses_flat_scratch, 0
	.set _ZN7rocprim17ROCPRIM_400000_NS6detail17trampoline_kernelINS0_14default_configENS1_27scan_by_key_config_selectorIiiEEZZNS1_16scan_by_key_implILNS1_25lookback_scan_determinismE0ELb0ES3_N6thrust23THRUST_200600_302600_NS6detail15normal_iteratorINS9_10device_ptrIiEEEESE_SE_iNS9_4plusIvEENS9_8equal_toIvEEiEE10hipError_tPvRmT2_T3_T4_T5_mT6_T7_P12ihipStream_tbENKUlT_T0_E_clISt17integral_constantIbLb0EESY_IbLb1EEEEDaSU_SV_EUlSU_E_NS1_11comp_targetILNS1_3genE3ELNS1_11target_archE908ELNS1_3gpuE7ELNS1_3repE0EEENS1_30default_config_static_selectorELNS0_4arch9wavefront6targetE0EEEvT1_.has_dyn_sized_stack, 0
	.set _ZN7rocprim17ROCPRIM_400000_NS6detail17trampoline_kernelINS0_14default_configENS1_27scan_by_key_config_selectorIiiEEZZNS1_16scan_by_key_implILNS1_25lookback_scan_determinismE0ELb0ES3_N6thrust23THRUST_200600_302600_NS6detail15normal_iteratorINS9_10device_ptrIiEEEESE_SE_iNS9_4plusIvEENS9_8equal_toIvEEiEE10hipError_tPvRmT2_T3_T4_T5_mT6_T7_P12ihipStream_tbENKUlT_T0_E_clISt17integral_constantIbLb0EESY_IbLb1EEEEDaSU_SV_EUlSU_E_NS1_11comp_targetILNS1_3genE3ELNS1_11target_archE908ELNS1_3gpuE7ELNS1_3repE0EEENS1_30default_config_static_selectorELNS0_4arch9wavefront6targetE0EEEvT1_.has_recursion, 0
	.set _ZN7rocprim17ROCPRIM_400000_NS6detail17trampoline_kernelINS0_14default_configENS1_27scan_by_key_config_selectorIiiEEZZNS1_16scan_by_key_implILNS1_25lookback_scan_determinismE0ELb0ES3_N6thrust23THRUST_200600_302600_NS6detail15normal_iteratorINS9_10device_ptrIiEEEESE_SE_iNS9_4plusIvEENS9_8equal_toIvEEiEE10hipError_tPvRmT2_T3_T4_T5_mT6_T7_P12ihipStream_tbENKUlT_T0_E_clISt17integral_constantIbLb0EESY_IbLb1EEEEDaSU_SV_EUlSU_E_NS1_11comp_targetILNS1_3genE3ELNS1_11target_archE908ELNS1_3gpuE7ELNS1_3repE0EEENS1_30default_config_static_selectorELNS0_4arch9wavefront6targetE0EEEvT1_.has_indirect_call, 0
	.section	.AMDGPU.csdata,"",@progbits
; Kernel info:
; codeLenInByte = 0
; TotalNumSgprs: 0
; NumVgprs: 0
; ScratchSize: 0
; MemoryBound: 0
; FloatMode: 240
; IeeeMode: 1
; LDSByteSize: 0 bytes/workgroup (compile time only)
; SGPRBlocks: 0
; VGPRBlocks: 0
; NumSGPRsForWavesPerEU: 1
; NumVGPRsForWavesPerEU: 1
; Occupancy: 16
; WaveLimiterHint : 0
; COMPUTE_PGM_RSRC2:SCRATCH_EN: 0
; COMPUTE_PGM_RSRC2:USER_SGPR: 6
; COMPUTE_PGM_RSRC2:TRAP_HANDLER: 0
; COMPUTE_PGM_RSRC2:TGID_X_EN: 1
; COMPUTE_PGM_RSRC2:TGID_Y_EN: 0
; COMPUTE_PGM_RSRC2:TGID_Z_EN: 0
; COMPUTE_PGM_RSRC2:TIDIG_COMP_CNT: 0
	.section	.text._ZN7rocprim17ROCPRIM_400000_NS6detail17trampoline_kernelINS0_14default_configENS1_27scan_by_key_config_selectorIiiEEZZNS1_16scan_by_key_implILNS1_25lookback_scan_determinismE0ELb0ES3_N6thrust23THRUST_200600_302600_NS6detail15normal_iteratorINS9_10device_ptrIiEEEESE_SE_iNS9_4plusIvEENS9_8equal_toIvEEiEE10hipError_tPvRmT2_T3_T4_T5_mT6_T7_P12ihipStream_tbENKUlT_T0_E_clISt17integral_constantIbLb0EESY_IbLb1EEEEDaSU_SV_EUlSU_E_NS1_11comp_targetILNS1_3genE2ELNS1_11target_archE906ELNS1_3gpuE6ELNS1_3repE0EEENS1_30default_config_static_selectorELNS0_4arch9wavefront6targetE0EEEvT1_,"axG",@progbits,_ZN7rocprim17ROCPRIM_400000_NS6detail17trampoline_kernelINS0_14default_configENS1_27scan_by_key_config_selectorIiiEEZZNS1_16scan_by_key_implILNS1_25lookback_scan_determinismE0ELb0ES3_N6thrust23THRUST_200600_302600_NS6detail15normal_iteratorINS9_10device_ptrIiEEEESE_SE_iNS9_4plusIvEENS9_8equal_toIvEEiEE10hipError_tPvRmT2_T3_T4_T5_mT6_T7_P12ihipStream_tbENKUlT_T0_E_clISt17integral_constantIbLb0EESY_IbLb1EEEEDaSU_SV_EUlSU_E_NS1_11comp_targetILNS1_3genE2ELNS1_11target_archE906ELNS1_3gpuE6ELNS1_3repE0EEENS1_30default_config_static_selectorELNS0_4arch9wavefront6targetE0EEEvT1_,comdat
	.protected	_ZN7rocprim17ROCPRIM_400000_NS6detail17trampoline_kernelINS0_14default_configENS1_27scan_by_key_config_selectorIiiEEZZNS1_16scan_by_key_implILNS1_25lookback_scan_determinismE0ELb0ES3_N6thrust23THRUST_200600_302600_NS6detail15normal_iteratorINS9_10device_ptrIiEEEESE_SE_iNS9_4plusIvEENS9_8equal_toIvEEiEE10hipError_tPvRmT2_T3_T4_T5_mT6_T7_P12ihipStream_tbENKUlT_T0_E_clISt17integral_constantIbLb0EESY_IbLb1EEEEDaSU_SV_EUlSU_E_NS1_11comp_targetILNS1_3genE2ELNS1_11target_archE906ELNS1_3gpuE6ELNS1_3repE0EEENS1_30default_config_static_selectorELNS0_4arch9wavefront6targetE0EEEvT1_ ; -- Begin function _ZN7rocprim17ROCPRIM_400000_NS6detail17trampoline_kernelINS0_14default_configENS1_27scan_by_key_config_selectorIiiEEZZNS1_16scan_by_key_implILNS1_25lookback_scan_determinismE0ELb0ES3_N6thrust23THRUST_200600_302600_NS6detail15normal_iteratorINS9_10device_ptrIiEEEESE_SE_iNS9_4plusIvEENS9_8equal_toIvEEiEE10hipError_tPvRmT2_T3_T4_T5_mT6_T7_P12ihipStream_tbENKUlT_T0_E_clISt17integral_constantIbLb0EESY_IbLb1EEEEDaSU_SV_EUlSU_E_NS1_11comp_targetILNS1_3genE2ELNS1_11target_archE906ELNS1_3gpuE6ELNS1_3repE0EEENS1_30default_config_static_selectorELNS0_4arch9wavefront6targetE0EEEvT1_
	.globl	_ZN7rocprim17ROCPRIM_400000_NS6detail17trampoline_kernelINS0_14default_configENS1_27scan_by_key_config_selectorIiiEEZZNS1_16scan_by_key_implILNS1_25lookback_scan_determinismE0ELb0ES3_N6thrust23THRUST_200600_302600_NS6detail15normal_iteratorINS9_10device_ptrIiEEEESE_SE_iNS9_4plusIvEENS9_8equal_toIvEEiEE10hipError_tPvRmT2_T3_T4_T5_mT6_T7_P12ihipStream_tbENKUlT_T0_E_clISt17integral_constantIbLb0EESY_IbLb1EEEEDaSU_SV_EUlSU_E_NS1_11comp_targetILNS1_3genE2ELNS1_11target_archE906ELNS1_3gpuE6ELNS1_3repE0EEENS1_30default_config_static_selectorELNS0_4arch9wavefront6targetE0EEEvT1_
	.p2align	8
	.type	_ZN7rocprim17ROCPRIM_400000_NS6detail17trampoline_kernelINS0_14default_configENS1_27scan_by_key_config_selectorIiiEEZZNS1_16scan_by_key_implILNS1_25lookback_scan_determinismE0ELb0ES3_N6thrust23THRUST_200600_302600_NS6detail15normal_iteratorINS9_10device_ptrIiEEEESE_SE_iNS9_4plusIvEENS9_8equal_toIvEEiEE10hipError_tPvRmT2_T3_T4_T5_mT6_T7_P12ihipStream_tbENKUlT_T0_E_clISt17integral_constantIbLb0EESY_IbLb1EEEEDaSU_SV_EUlSU_E_NS1_11comp_targetILNS1_3genE2ELNS1_11target_archE906ELNS1_3gpuE6ELNS1_3repE0EEENS1_30default_config_static_selectorELNS0_4arch9wavefront6targetE0EEEvT1_,@function
_ZN7rocprim17ROCPRIM_400000_NS6detail17trampoline_kernelINS0_14default_configENS1_27scan_by_key_config_selectorIiiEEZZNS1_16scan_by_key_implILNS1_25lookback_scan_determinismE0ELb0ES3_N6thrust23THRUST_200600_302600_NS6detail15normal_iteratorINS9_10device_ptrIiEEEESE_SE_iNS9_4plusIvEENS9_8equal_toIvEEiEE10hipError_tPvRmT2_T3_T4_T5_mT6_T7_P12ihipStream_tbENKUlT_T0_E_clISt17integral_constantIbLb0EESY_IbLb1EEEEDaSU_SV_EUlSU_E_NS1_11comp_targetILNS1_3genE2ELNS1_11target_archE906ELNS1_3gpuE6ELNS1_3repE0EEENS1_30default_config_static_selectorELNS0_4arch9wavefront6targetE0EEEvT1_: ; @_ZN7rocprim17ROCPRIM_400000_NS6detail17trampoline_kernelINS0_14default_configENS1_27scan_by_key_config_selectorIiiEEZZNS1_16scan_by_key_implILNS1_25lookback_scan_determinismE0ELb0ES3_N6thrust23THRUST_200600_302600_NS6detail15normal_iteratorINS9_10device_ptrIiEEEESE_SE_iNS9_4plusIvEENS9_8equal_toIvEEiEE10hipError_tPvRmT2_T3_T4_T5_mT6_T7_P12ihipStream_tbENKUlT_T0_E_clISt17integral_constantIbLb0EESY_IbLb1EEEEDaSU_SV_EUlSU_E_NS1_11comp_targetILNS1_3genE2ELNS1_11target_archE906ELNS1_3gpuE6ELNS1_3repE0EEENS1_30default_config_static_selectorELNS0_4arch9wavefront6targetE0EEEvT1_
; %bb.0:
	.section	.rodata,"a",@progbits
	.p2align	6, 0x0
	.amdhsa_kernel _ZN7rocprim17ROCPRIM_400000_NS6detail17trampoline_kernelINS0_14default_configENS1_27scan_by_key_config_selectorIiiEEZZNS1_16scan_by_key_implILNS1_25lookback_scan_determinismE0ELb0ES3_N6thrust23THRUST_200600_302600_NS6detail15normal_iteratorINS9_10device_ptrIiEEEESE_SE_iNS9_4plusIvEENS9_8equal_toIvEEiEE10hipError_tPvRmT2_T3_T4_T5_mT6_T7_P12ihipStream_tbENKUlT_T0_E_clISt17integral_constantIbLb0EESY_IbLb1EEEEDaSU_SV_EUlSU_E_NS1_11comp_targetILNS1_3genE2ELNS1_11target_archE906ELNS1_3gpuE6ELNS1_3repE0EEENS1_30default_config_static_selectorELNS0_4arch9wavefront6targetE0EEEvT1_
		.amdhsa_group_segment_fixed_size 0
		.amdhsa_private_segment_fixed_size 0
		.amdhsa_kernarg_size 112
		.amdhsa_user_sgpr_count 6
		.amdhsa_user_sgpr_private_segment_buffer 1
		.amdhsa_user_sgpr_dispatch_ptr 0
		.amdhsa_user_sgpr_queue_ptr 0
		.amdhsa_user_sgpr_kernarg_segment_ptr 1
		.amdhsa_user_sgpr_dispatch_id 0
		.amdhsa_user_sgpr_flat_scratch_init 0
		.amdhsa_user_sgpr_private_segment_size 0
		.amdhsa_wavefront_size32 1
		.amdhsa_uses_dynamic_stack 0
		.amdhsa_system_sgpr_private_segment_wavefront_offset 0
		.amdhsa_system_sgpr_workgroup_id_x 1
		.amdhsa_system_sgpr_workgroup_id_y 0
		.amdhsa_system_sgpr_workgroup_id_z 0
		.amdhsa_system_sgpr_workgroup_info 0
		.amdhsa_system_vgpr_workitem_id 0
		.amdhsa_next_free_vgpr 1
		.amdhsa_next_free_sgpr 1
		.amdhsa_reserve_vcc 0
		.amdhsa_reserve_flat_scratch 0
		.amdhsa_float_round_mode_32 0
		.amdhsa_float_round_mode_16_64 0
		.amdhsa_float_denorm_mode_32 3
		.amdhsa_float_denorm_mode_16_64 3
		.amdhsa_dx10_clamp 1
		.amdhsa_ieee_mode 1
		.amdhsa_fp16_overflow 0
		.amdhsa_workgroup_processor_mode 1
		.amdhsa_memory_ordered 1
		.amdhsa_forward_progress 1
		.amdhsa_shared_vgpr_count 0
		.amdhsa_exception_fp_ieee_invalid_op 0
		.amdhsa_exception_fp_denorm_src 0
		.amdhsa_exception_fp_ieee_div_zero 0
		.amdhsa_exception_fp_ieee_overflow 0
		.amdhsa_exception_fp_ieee_underflow 0
		.amdhsa_exception_fp_ieee_inexact 0
		.amdhsa_exception_int_div_zero 0
	.end_amdhsa_kernel
	.section	.text._ZN7rocprim17ROCPRIM_400000_NS6detail17trampoline_kernelINS0_14default_configENS1_27scan_by_key_config_selectorIiiEEZZNS1_16scan_by_key_implILNS1_25lookback_scan_determinismE0ELb0ES3_N6thrust23THRUST_200600_302600_NS6detail15normal_iteratorINS9_10device_ptrIiEEEESE_SE_iNS9_4plusIvEENS9_8equal_toIvEEiEE10hipError_tPvRmT2_T3_T4_T5_mT6_T7_P12ihipStream_tbENKUlT_T0_E_clISt17integral_constantIbLb0EESY_IbLb1EEEEDaSU_SV_EUlSU_E_NS1_11comp_targetILNS1_3genE2ELNS1_11target_archE906ELNS1_3gpuE6ELNS1_3repE0EEENS1_30default_config_static_selectorELNS0_4arch9wavefront6targetE0EEEvT1_,"axG",@progbits,_ZN7rocprim17ROCPRIM_400000_NS6detail17trampoline_kernelINS0_14default_configENS1_27scan_by_key_config_selectorIiiEEZZNS1_16scan_by_key_implILNS1_25lookback_scan_determinismE0ELb0ES3_N6thrust23THRUST_200600_302600_NS6detail15normal_iteratorINS9_10device_ptrIiEEEESE_SE_iNS9_4plusIvEENS9_8equal_toIvEEiEE10hipError_tPvRmT2_T3_T4_T5_mT6_T7_P12ihipStream_tbENKUlT_T0_E_clISt17integral_constantIbLb0EESY_IbLb1EEEEDaSU_SV_EUlSU_E_NS1_11comp_targetILNS1_3genE2ELNS1_11target_archE906ELNS1_3gpuE6ELNS1_3repE0EEENS1_30default_config_static_selectorELNS0_4arch9wavefront6targetE0EEEvT1_,comdat
.Lfunc_end160:
	.size	_ZN7rocprim17ROCPRIM_400000_NS6detail17trampoline_kernelINS0_14default_configENS1_27scan_by_key_config_selectorIiiEEZZNS1_16scan_by_key_implILNS1_25lookback_scan_determinismE0ELb0ES3_N6thrust23THRUST_200600_302600_NS6detail15normal_iteratorINS9_10device_ptrIiEEEESE_SE_iNS9_4plusIvEENS9_8equal_toIvEEiEE10hipError_tPvRmT2_T3_T4_T5_mT6_T7_P12ihipStream_tbENKUlT_T0_E_clISt17integral_constantIbLb0EESY_IbLb1EEEEDaSU_SV_EUlSU_E_NS1_11comp_targetILNS1_3genE2ELNS1_11target_archE906ELNS1_3gpuE6ELNS1_3repE0EEENS1_30default_config_static_selectorELNS0_4arch9wavefront6targetE0EEEvT1_, .Lfunc_end160-_ZN7rocprim17ROCPRIM_400000_NS6detail17trampoline_kernelINS0_14default_configENS1_27scan_by_key_config_selectorIiiEEZZNS1_16scan_by_key_implILNS1_25lookback_scan_determinismE0ELb0ES3_N6thrust23THRUST_200600_302600_NS6detail15normal_iteratorINS9_10device_ptrIiEEEESE_SE_iNS9_4plusIvEENS9_8equal_toIvEEiEE10hipError_tPvRmT2_T3_T4_T5_mT6_T7_P12ihipStream_tbENKUlT_T0_E_clISt17integral_constantIbLb0EESY_IbLb1EEEEDaSU_SV_EUlSU_E_NS1_11comp_targetILNS1_3genE2ELNS1_11target_archE906ELNS1_3gpuE6ELNS1_3repE0EEENS1_30default_config_static_selectorELNS0_4arch9wavefront6targetE0EEEvT1_
                                        ; -- End function
	.set _ZN7rocprim17ROCPRIM_400000_NS6detail17trampoline_kernelINS0_14default_configENS1_27scan_by_key_config_selectorIiiEEZZNS1_16scan_by_key_implILNS1_25lookback_scan_determinismE0ELb0ES3_N6thrust23THRUST_200600_302600_NS6detail15normal_iteratorINS9_10device_ptrIiEEEESE_SE_iNS9_4plusIvEENS9_8equal_toIvEEiEE10hipError_tPvRmT2_T3_T4_T5_mT6_T7_P12ihipStream_tbENKUlT_T0_E_clISt17integral_constantIbLb0EESY_IbLb1EEEEDaSU_SV_EUlSU_E_NS1_11comp_targetILNS1_3genE2ELNS1_11target_archE906ELNS1_3gpuE6ELNS1_3repE0EEENS1_30default_config_static_selectorELNS0_4arch9wavefront6targetE0EEEvT1_.num_vgpr, 0
	.set _ZN7rocprim17ROCPRIM_400000_NS6detail17trampoline_kernelINS0_14default_configENS1_27scan_by_key_config_selectorIiiEEZZNS1_16scan_by_key_implILNS1_25lookback_scan_determinismE0ELb0ES3_N6thrust23THRUST_200600_302600_NS6detail15normal_iteratorINS9_10device_ptrIiEEEESE_SE_iNS9_4plusIvEENS9_8equal_toIvEEiEE10hipError_tPvRmT2_T3_T4_T5_mT6_T7_P12ihipStream_tbENKUlT_T0_E_clISt17integral_constantIbLb0EESY_IbLb1EEEEDaSU_SV_EUlSU_E_NS1_11comp_targetILNS1_3genE2ELNS1_11target_archE906ELNS1_3gpuE6ELNS1_3repE0EEENS1_30default_config_static_selectorELNS0_4arch9wavefront6targetE0EEEvT1_.num_agpr, 0
	.set _ZN7rocprim17ROCPRIM_400000_NS6detail17trampoline_kernelINS0_14default_configENS1_27scan_by_key_config_selectorIiiEEZZNS1_16scan_by_key_implILNS1_25lookback_scan_determinismE0ELb0ES3_N6thrust23THRUST_200600_302600_NS6detail15normal_iteratorINS9_10device_ptrIiEEEESE_SE_iNS9_4plusIvEENS9_8equal_toIvEEiEE10hipError_tPvRmT2_T3_T4_T5_mT6_T7_P12ihipStream_tbENKUlT_T0_E_clISt17integral_constantIbLb0EESY_IbLb1EEEEDaSU_SV_EUlSU_E_NS1_11comp_targetILNS1_3genE2ELNS1_11target_archE906ELNS1_3gpuE6ELNS1_3repE0EEENS1_30default_config_static_selectorELNS0_4arch9wavefront6targetE0EEEvT1_.numbered_sgpr, 0
	.set _ZN7rocprim17ROCPRIM_400000_NS6detail17trampoline_kernelINS0_14default_configENS1_27scan_by_key_config_selectorIiiEEZZNS1_16scan_by_key_implILNS1_25lookback_scan_determinismE0ELb0ES3_N6thrust23THRUST_200600_302600_NS6detail15normal_iteratorINS9_10device_ptrIiEEEESE_SE_iNS9_4plusIvEENS9_8equal_toIvEEiEE10hipError_tPvRmT2_T3_T4_T5_mT6_T7_P12ihipStream_tbENKUlT_T0_E_clISt17integral_constantIbLb0EESY_IbLb1EEEEDaSU_SV_EUlSU_E_NS1_11comp_targetILNS1_3genE2ELNS1_11target_archE906ELNS1_3gpuE6ELNS1_3repE0EEENS1_30default_config_static_selectorELNS0_4arch9wavefront6targetE0EEEvT1_.num_named_barrier, 0
	.set _ZN7rocprim17ROCPRIM_400000_NS6detail17trampoline_kernelINS0_14default_configENS1_27scan_by_key_config_selectorIiiEEZZNS1_16scan_by_key_implILNS1_25lookback_scan_determinismE0ELb0ES3_N6thrust23THRUST_200600_302600_NS6detail15normal_iteratorINS9_10device_ptrIiEEEESE_SE_iNS9_4plusIvEENS9_8equal_toIvEEiEE10hipError_tPvRmT2_T3_T4_T5_mT6_T7_P12ihipStream_tbENKUlT_T0_E_clISt17integral_constantIbLb0EESY_IbLb1EEEEDaSU_SV_EUlSU_E_NS1_11comp_targetILNS1_3genE2ELNS1_11target_archE906ELNS1_3gpuE6ELNS1_3repE0EEENS1_30default_config_static_selectorELNS0_4arch9wavefront6targetE0EEEvT1_.private_seg_size, 0
	.set _ZN7rocprim17ROCPRIM_400000_NS6detail17trampoline_kernelINS0_14default_configENS1_27scan_by_key_config_selectorIiiEEZZNS1_16scan_by_key_implILNS1_25lookback_scan_determinismE0ELb0ES3_N6thrust23THRUST_200600_302600_NS6detail15normal_iteratorINS9_10device_ptrIiEEEESE_SE_iNS9_4plusIvEENS9_8equal_toIvEEiEE10hipError_tPvRmT2_T3_T4_T5_mT6_T7_P12ihipStream_tbENKUlT_T0_E_clISt17integral_constantIbLb0EESY_IbLb1EEEEDaSU_SV_EUlSU_E_NS1_11comp_targetILNS1_3genE2ELNS1_11target_archE906ELNS1_3gpuE6ELNS1_3repE0EEENS1_30default_config_static_selectorELNS0_4arch9wavefront6targetE0EEEvT1_.uses_vcc, 0
	.set _ZN7rocprim17ROCPRIM_400000_NS6detail17trampoline_kernelINS0_14default_configENS1_27scan_by_key_config_selectorIiiEEZZNS1_16scan_by_key_implILNS1_25lookback_scan_determinismE0ELb0ES3_N6thrust23THRUST_200600_302600_NS6detail15normal_iteratorINS9_10device_ptrIiEEEESE_SE_iNS9_4plusIvEENS9_8equal_toIvEEiEE10hipError_tPvRmT2_T3_T4_T5_mT6_T7_P12ihipStream_tbENKUlT_T0_E_clISt17integral_constantIbLb0EESY_IbLb1EEEEDaSU_SV_EUlSU_E_NS1_11comp_targetILNS1_3genE2ELNS1_11target_archE906ELNS1_3gpuE6ELNS1_3repE0EEENS1_30default_config_static_selectorELNS0_4arch9wavefront6targetE0EEEvT1_.uses_flat_scratch, 0
	.set _ZN7rocprim17ROCPRIM_400000_NS6detail17trampoline_kernelINS0_14default_configENS1_27scan_by_key_config_selectorIiiEEZZNS1_16scan_by_key_implILNS1_25lookback_scan_determinismE0ELb0ES3_N6thrust23THRUST_200600_302600_NS6detail15normal_iteratorINS9_10device_ptrIiEEEESE_SE_iNS9_4plusIvEENS9_8equal_toIvEEiEE10hipError_tPvRmT2_T3_T4_T5_mT6_T7_P12ihipStream_tbENKUlT_T0_E_clISt17integral_constantIbLb0EESY_IbLb1EEEEDaSU_SV_EUlSU_E_NS1_11comp_targetILNS1_3genE2ELNS1_11target_archE906ELNS1_3gpuE6ELNS1_3repE0EEENS1_30default_config_static_selectorELNS0_4arch9wavefront6targetE0EEEvT1_.has_dyn_sized_stack, 0
	.set _ZN7rocprim17ROCPRIM_400000_NS6detail17trampoline_kernelINS0_14default_configENS1_27scan_by_key_config_selectorIiiEEZZNS1_16scan_by_key_implILNS1_25lookback_scan_determinismE0ELb0ES3_N6thrust23THRUST_200600_302600_NS6detail15normal_iteratorINS9_10device_ptrIiEEEESE_SE_iNS9_4plusIvEENS9_8equal_toIvEEiEE10hipError_tPvRmT2_T3_T4_T5_mT6_T7_P12ihipStream_tbENKUlT_T0_E_clISt17integral_constantIbLb0EESY_IbLb1EEEEDaSU_SV_EUlSU_E_NS1_11comp_targetILNS1_3genE2ELNS1_11target_archE906ELNS1_3gpuE6ELNS1_3repE0EEENS1_30default_config_static_selectorELNS0_4arch9wavefront6targetE0EEEvT1_.has_recursion, 0
	.set _ZN7rocprim17ROCPRIM_400000_NS6detail17trampoline_kernelINS0_14default_configENS1_27scan_by_key_config_selectorIiiEEZZNS1_16scan_by_key_implILNS1_25lookback_scan_determinismE0ELb0ES3_N6thrust23THRUST_200600_302600_NS6detail15normal_iteratorINS9_10device_ptrIiEEEESE_SE_iNS9_4plusIvEENS9_8equal_toIvEEiEE10hipError_tPvRmT2_T3_T4_T5_mT6_T7_P12ihipStream_tbENKUlT_T0_E_clISt17integral_constantIbLb0EESY_IbLb1EEEEDaSU_SV_EUlSU_E_NS1_11comp_targetILNS1_3genE2ELNS1_11target_archE906ELNS1_3gpuE6ELNS1_3repE0EEENS1_30default_config_static_selectorELNS0_4arch9wavefront6targetE0EEEvT1_.has_indirect_call, 0
	.section	.AMDGPU.csdata,"",@progbits
; Kernel info:
; codeLenInByte = 0
; TotalNumSgprs: 0
; NumVgprs: 0
; ScratchSize: 0
; MemoryBound: 0
; FloatMode: 240
; IeeeMode: 1
; LDSByteSize: 0 bytes/workgroup (compile time only)
; SGPRBlocks: 0
; VGPRBlocks: 0
; NumSGPRsForWavesPerEU: 1
; NumVGPRsForWavesPerEU: 1
; Occupancy: 16
; WaveLimiterHint : 0
; COMPUTE_PGM_RSRC2:SCRATCH_EN: 0
; COMPUTE_PGM_RSRC2:USER_SGPR: 6
; COMPUTE_PGM_RSRC2:TRAP_HANDLER: 0
; COMPUTE_PGM_RSRC2:TGID_X_EN: 1
; COMPUTE_PGM_RSRC2:TGID_Y_EN: 0
; COMPUTE_PGM_RSRC2:TGID_Z_EN: 0
; COMPUTE_PGM_RSRC2:TIDIG_COMP_CNT: 0
	.section	.text._ZN7rocprim17ROCPRIM_400000_NS6detail17trampoline_kernelINS0_14default_configENS1_27scan_by_key_config_selectorIiiEEZZNS1_16scan_by_key_implILNS1_25lookback_scan_determinismE0ELb0ES3_N6thrust23THRUST_200600_302600_NS6detail15normal_iteratorINS9_10device_ptrIiEEEESE_SE_iNS9_4plusIvEENS9_8equal_toIvEEiEE10hipError_tPvRmT2_T3_T4_T5_mT6_T7_P12ihipStream_tbENKUlT_T0_E_clISt17integral_constantIbLb0EESY_IbLb1EEEEDaSU_SV_EUlSU_E_NS1_11comp_targetILNS1_3genE10ELNS1_11target_archE1200ELNS1_3gpuE4ELNS1_3repE0EEENS1_30default_config_static_selectorELNS0_4arch9wavefront6targetE0EEEvT1_,"axG",@progbits,_ZN7rocprim17ROCPRIM_400000_NS6detail17trampoline_kernelINS0_14default_configENS1_27scan_by_key_config_selectorIiiEEZZNS1_16scan_by_key_implILNS1_25lookback_scan_determinismE0ELb0ES3_N6thrust23THRUST_200600_302600_NS6detail15normal_iteratorINS9_10device_ptrIiEEEESE_SE_iNS9_4plusIvEENS9_8equal_toIvEEiEE10hipError_tPvRmT2_T3_T4_T5_mT6_T7_P12ihipStream_tbENKUlT_T0_E_clISt17integral_constantIbLb0EESY_IbLb1EEEEDaSU_SV_EUlSU_E_NS1_11comp_targetILNS1_3genE10ELNS1_11target_archE1200ELNS1_3gpuE4ELNS1_3repE0EEENS1_30default_config_static_selectorELNS0_4arch9wavefront6targetE0EEEvT1_,comdat
	.protected	_ZN7rocprim17ROCPRIM_400000_NS6detail17trampoline_kernelINS0_14default_configENS1_27scan_by_key_config_selectorIiiEEZZNS1_16scan_by_key_implILNS1_25lookback_scan_determinismE0ELb0ES3_N6thrust23THRUST_200600_302600_NS6detail15normal_iteratorINS9_10device_ptrIiEEEESE_SE_iNS9_4plusIvEENS9_8equal_toIvEEiEE10hipError_tPvRmT2_T3_T4_T5_mT6_T7_P12ihipStream_tbENKUlT_T0_E_clISt17integral_constantIbLb0EESY_IbLb1EEEEDaSU_SV_EUlSU_E_NS1_11comp_targetILNS1_3genE10ELNS1_11target_archE1200ELNS1_3gpuE4ELNS1_3repE0EEENS1_30default_config_static_selectorELNS0_4arch9wavefront6targetE0EEEvT1_ ; -- Begin function _ZN7rocprim17ROCPRIM_400000_NS6detail17trampoline_kernelINS0_14default_configENS1_27scan_by_key_config_selectorIiiEEZZNS1_16scan_by_key_implILNS1_25lookback_scan_determinismE0ELb0ES3_N6thrust23THRUST_200600_302600_NS6detail15normal_iteratorINS9_10device_ptrIiEEEESE_SE_iNS9_4plusIvEENS9_8equal_toIvEEiEE10hipError_tPvRmT2_T3_T4_T5_mT6_T7_P12ihipStream_tbENKUlT_T0_E_clISt17integral_constantIbLb0EESY_IbLb1EEEEDaSU_SV_EUlSU_E_NS1_11comp_targetILNS1_3genE10ELNS1_11target_archE1200ELNS1_3gpuE4ELNS1_3repE0EEENS1_30default_config_static_selectorELNS0_4arch9wavefront6targetE0EEEvT1_
	.globl	_ZN7rocprim17ROCPRIM_400000_NS6detail17trampoline_kernelINS0_14default_configENS1_27scan_by_key_config_selectorIiiEEZZNS1_16scan_by_key_implILNS1_25lookback_scan_determinismE0ELb0ES3_N6thrust23THRUST_200600_302600_NS6detail15normal_iteratorINS9_10device_ptrIiEEEESE_SE_iNS9_4plusIvEENS9_8equal_toIvEEiEE10hipError_tPvRmT2_T3_T4_T5_mT6_T7_P12ihipStream_tbENKUlT_T0_E_clISt17integral_constantIbLb0EESY_IbLb1EEEEDaSU_SV_EUlSU_E_NS1_11comp_targetILNS1_3genE10ELNS1_11target_archE1200ELNS1_3gpuE4ELNS1_3repE0EEENS1_30default_config_static_selectorELNS0_4arch9wavefront6targetE0EEEvT1_
	.p2align	8
	.type	_ZN7rocprim17ROCPRIM_400000_NS6detail17trampoline_kernelINS0_14default_configENS1_27scan_by_key_config_selectorIiiEEZZNS1_16scan_by_key_implILNS1_25lookback_scan_determinismE0ELb0ES3_N6thrust23THRUST_200600_302600_NS6detail15normal_iteratorINS9_10device_ptrIiEEEESE_SE_iNS9_4plusIvEENS9_8equal_toIvEEiEE10hipError_tPvRmT2_T3_T4_T5_mT6_T7_P12ihipStream_tbENKUlT_T0_E_clISt17integral_constantIbLb0EESY_IbLb1EEEEDaSU_SV_EUlSU_E_NS1_11comp_targetILNS1_3genE10ELNS1_11target_archE1200ELNS1_3gpuE4ELNS1_3repE0EEENS1_30default_config_static_selectorELNS0_4arch9wavefront6targetE0EEEvT1_,@function
_ZN7rocprim17ROCPRIM_400000_NS6detail17trampoline_kernelINS0_14default_configENS1_27scan_by_key_config_selectorIiiEEZZNS1_16scan_by_key_implILNS1_25lookback_scan_determinismE0ELb0ES3_N6thrust23THRUST_200600_302600_NS6detail15normal_iteratorINS9_10device_ptrIiEEEESE_SE_iNS9_4plusIvEENS9_8equal_toIvEEiEE10hipError_tPvRmT2_T3_T4_T5_mT6_T7_P12ihipStream_tbENKUlT_T0_E_clISt17integral_constantIbLb0EESY_IbLb1EEEEDaSU_SV_EUlSU_E_NS1_11comp_targetILNS1_3genE10ELNS1_11target_archE1200ELNS1_3gpuE4ELNS1_3repE0EEENS1_30default_config_static_selectorELNS0_4arch9wavefront6targetE0EEEvT1_: ; @_ZN7rocprim17ROCPRIM_400000_NS6detail17trampoline_kernelINS0_14default_configENS1_27scan_by_key_config_selectorIiiEEZZNS1_16scan_by_key_implILNS1_25lookback_scan_determinismE0ELb0ES3_N6thrust23THRUST_200600_302600_NS6detail15normal_iteratorINS9_10device_ptrIiEEEESE_SE_iNS9_4plusIvEENS9_8equal_toIvEEiEE10hipError_tPvRmT2_T3_T4_T5_mT6_T7_P12ihipStream_tbENKUlT_T0_E_clISt17integral_constantIbLb0EESY_IbLb1EEEEDaSU_SV_EUlSU_E_NS1_11comp_targetILNS1_3genE10ELNS1_11target_archE1200ELNS1_3gpuE4ELNS1_3repE0EEENS1_30default_config_static_selectorELNS0_4arch9wavefront6targetE0EEEvT1_
; %bb.0:
	.section	.rodata,"a",@progbits
	.p2align	6, 0x0
	.amdhsa_kernel _ZN7rocprim17ROCPRIM_400000_NS6detail17trampoline_kernelINS0_14default_configENS1_27scan_by_key_config_selectorIiiEEZZNS1_16scan_by_key_implILNS1_25lookback_scan_determinismE0ELb0ES3_N6thrust23THRUST_200600_302600_NS6detail15normal_iteratorINS9_10device_ptrIiEEEESE_SE_iNS9_4plusIvEENS9_8equal_toIvEEiEE10hipError_tPvRmT2_T3_T4_T5_mT6_T7_P12ihipStream_tbENKUlT_T0_E_clISt17integral_constantIbLb0EESY_IbLb1EEEEDaSU_SV_EUlSU_E_NS1_11comp_targetILNS1_3genE10ELNS1_11target_archE1200ELNS1_3gpuE4ELNS1_3repE0EEENS1_30default_config_static_selectorELNS0_4arch9wavefront6targetE0EEEvT1_
		.amdhsa_group_segment_fixed_size 0
		.amdhsa_private_segment_fixed_size 0
		.amdhsa_kernarg_size 112
		.amdhsa_user_sgpr_count 6
		.amdhsa_user_sgpr_private_segment_buffer 1
		.amdhsa_user_sgpr_dispatch_ptr 0
		.amdhsa_user_sgpr_queue_ptr 0
		.amdhsa_user_sgpr_kernarg_segment_ptr 1
		.amdhsa_user_sgpr_dispatch_id 0
		.amdhsa_user_sgpr_flat_scratch_init 0
		.amdhsa_user_sgpr_private_segment_size 0
		.amdhsa_wavefront_size32 1
		.amdhsa_uses_dynamic_stack 0
		.amdhsa_system_sgpr_private_segment_wavefront_offset 0
		.amdhsa_system_sgpr_workgroup_id_x 1
		.amdhsa_system_sgpr_workgroup_id_y 0
		.amdhsa_system_sgpr_workgroup_id_z 0
		.amdhsa_system_sgpr_workgroup_info 0
		.amdhsa_system_vgpr_workitem_id 0
		.amdhsa_next_free_vgpr 1
		.amdhsa_next_free_sgpr 1
		.amdhsa_reserve_vcc 0
		.amdhsa_reserve_flat_scratch 0
		.amdhsa_float_round_mode_32 0
		.amdhsa_float_round_mode_16_64 0
		.amdhsa_float_denorm_mode_32 3
		.amdhsa_float_denorm_mode_16_64 3
		.amdhsa_dx10_clamp 1
		.amdhsa_ieee_mode 1
		.amdhsa_fp16_overflow 0
		.amdhsa_workgroup_processor_mode 1
		.amdhsa_memory_ordered 1
		.amdhsa_forward_progress 1
		.amdhsa_shared_vgpr_count 0
		.amdhsa_exception_fp_ieee_invalid_op 0
		.amdhsa_exception_fp_denorm_src 0
		.amdhsa_exception_fp_ieee_div_zero 0
		.amdhsa_exception_fp_ieee_overflow 0
		.amdhsa_exception_fp_ieee_underflow 0
		.amdhsa_exception_fp_ieee_inexact 0
		.amdhsa_exception_int_div_zero 0
	.end_amdhsa_kernel
	.section	.text._ZN7rocprim17ROCPRIM_400000_NS6detail17trampoline_kernelINS0_14default_configENS1_27scan_by_key_config_selectorIiiEEZZNS1_16scan_by_key_implILNS1_25lookback_scan_determinismE0ELb0ES3_N6thrust23THRUST_200600_302600_NS6detail15normal_iteratorINS9_10device_ptrIiEEEESE_SE_iNS9_4plusIvEENS9_8equal_toIvEEiEE10hipError_tPvRmT2_T3_T4_T5_mT6_T7_P12ihipStream_tbENKUlT_T0_E_clISt17integral_constantIbLb0EESY_IbLb1EEEEDaSU_SV_EUlSU_E_NS1_11comp_targetILNS1_3genE10ELNS1_11target_archE1200ELNS1_3gpuE4ELNS1_3repE0EEENS1_30default_config_static_selectorELNS0_4arch9wavefront6targetE0EEEvT1_,"axG",@progbits,_ZN7rocprim17ROCPRIM_400000_NS6detail17trampoline_kernelINS0_14default_configENS1_27scan_by_key_config_selectorIiiEEZZNS1_16scan_by_key_implILNS1_25lookback_scan_determinismE0ELb0ES3_N6thrust23THRUST_200600_302600_NS6detail15normal_iteratorINS9_10device_ptrIiEEEESE_SE_iNS9_4plusIvEENS9_8equal_toIvEEiEE10hipError_tPvRmT2_T3_T4_T5_mT6_T7_P12ihipStream_tbENKUlT_T0_E_clISt17integral_constantIbLb0EESY_IbLb1EEEEDaSU_SV_EUlSU_E_NS1_11comp_targetILNS1_3genE10ELNS1_11target_archE1200ELNS1_3gpuE4ELNS1_3repE0EEENS1_30default_config_static_selectorELNS0_4arch9wavefront6targetE0EEEvT1_,comdat
.Lfunc_end161:
	.size	_ZN7rocprim17ROCPRIM_400000_NS6detail17trampoline_kernelINS0_14default_configENS1_27scan_by_key_config_selectorIiiEEZZNS1_16scan_by_key_implILNS1_25lookback_scan_determinismE0ELb0ES3_N6thrust23THRUST_200600_302600_NS6detail15normal_iteratorINS9_10device_ptrIiEEEESE_SE_iNS9_4plusIvEENS9_8equal_toIvEEiEE10hipError_tPvRmT2_T3_T4_T5_mT6_T7_P12ihipStream_tbENKUlT_T0_E_clISt17integral_constantIbLb0EESY_IbLb1EEEEDaSU_SV_EUlSU_E_NS1_11comp_targetILNS1_3genE10ELNS1_11target_archE1200ELNS1_3gpuE4ELNS1_3repE0EEENS1_30default_config_static_selectorELNS0_4arch9wavefront6targetE0EEEvT1_, .Lfunc_end161-_ZN7rocprim17ROCPRIM_400000_NS6detail17trampoline_kernelINS0_14default_configENS1_27scan_by_key_config_selectorIiiEEZZNS1_16scan_by_key_implILNS1_25lookback_scan_determinismE0ELb0ES3_N6thrust23THRUST_200600_302600_NS6detail15normal_iteratorINS9_10device_ptrIiEEEESE_SE_iNS9_4plusIvEENS9_8equal_toIvEEiEE10hipError_tPvRmT2_T3_T4_T5_mT6_T7_P12ihipStream_tbENKUlT_T0_E_clISt17integral_constantIbLb0EESY_IbLb1EEEEDaSU_SV_EUlSU_E_NS1_11comp_targetILNS1_3genE10ELNS1_11target_archE1200ELNS1_3gpuE4ELNS1_3repE0EEENS1_30default_config_static_selectorELNS0_4arch9wavefront6targetE0EEEvT1_
                                        ; -- End function
	.set _ZN7rocprim17ROCPRIM_400000_NS6detail17trampoline_kernelINS0_14default_configENS1_27scan_by_key_config_selectorIiiEEZZNS1_16scan_by_key_implILNS1_25lookback_scan_determinismE0ELb0ES3_N6thrust23THRUST_200600_302600_NS6detail15normal_iteratorINS9_10device_ptrIiEEEESE_SE_iNS9_4plusIvEENS9_8equal_toIvEEiEE10hipError_tPvRmT2_T3_T4_T5_mT6_T7_P12ihipStream_tbENKUlT_T0_E_clISt17integral_constantIbLb0EESY_IbLb1EEEEDaSU_SV_EUlSU_E_NS1_11comp_targetILNS1_3genE10ELNS1_11target_archE1200ELNS1_3gpuE4ELNS1_3repE0EEENS1_30default_config_static_selectorELNS0_4arch9wavefront6targetE0EEEvT1_.num_vgpr, 0
	.set _ZN7rocprim17ROCPRIM_400000_NS6detail17trampoline_kernelINS0_14default_configENS1_27scan_by_key_config_selectorIiiEEZZNS1_16scan_by_key_implILNS1_25lookback_scan_determinismE0ELb0ES3_N6thrust23THRUST_200600_302600_NS6detail15normal_iteratorINS9_10device_ptrIiEEEESE_SE_iNS9_4plusIvEENS9_8equal_toIvEEiEE10hipError_tPvRmT2_T3_T4_T5_mT6_T7_P12ihipStream_tbENKUlT_T0_E_clISt17integral_constantIbLb0EESY_IbLb1EEEEDaSU_SV_EUlSU_E_NS1_11comp_targetILNS1_3genE10ELNS1_11target_archE1200ELNS1_3gpuE4ELNS1_3repE0EEENS1_30default_config_static_selectorELNS0_4arch9wavefront6targetE0EEEvT1_.num_agpr, 0
	.set _ZN7rocprim17ROCPRIM_400000_NS6detail17trampoline_kernelINS0_14default_configENS1_27scan_by_key_config_selectorIiiEEZZNS1_16scan_by_key_implILNS1_25lookback_scan_determinismE0ELb0ES3_N6thrust23THRUST_200600_302600_NS6detail15normal_iteratorINS9_10device_ptrIiEEEESE_SE_iNS9_4plusIvEENS9_8equal_toIvEEiEE10hipError_tPvRmT2_T3_T4_T5_mT6_T7_P12ihipStream_tbENKUlT_T0_E_clISt17integral_constantIbLb0EESY_IbLb1EEEEDaSU_SV_EUlSU_E_NS1_11comp_targetILNS1_3genE10ELNS1_11target_archE1200ELNS1_3gpuE4ELNS1_3repE0EEENS1_30default_config_static_selectorELNS0_4arch9wavefront6targetE0EEEvT1_.numbered_sgpr, 0
	.set _ZN7rocprim17ROCPRIM_400000_NS6detail17trampoline_kernelINS0_14default_configENS1_27scan_by_key_config_selectorIiiEEZZNS1_16scan_by_key_implILNS1_25lookback_scan_determinismE0ELb0ES3_N6thrust23THRUST_200600_302600_NS6detail15normal_iteratorINS9_10device_ptrIiEEEESE_SE_iNS9_4plusIvEENS9_8equal_toIvEEiEE10hipError_tPvRmT2_T3_T4_T5_mT6_T7_P12ihipStream_tbENKUlT_T0_E_clISt17integral_constantIbLb0EESY_IbLb1EEEEDaSU_SV_EUlSU_E_NS1_11comp_targetILNS1_3genE10ELNS1_11target_archE1200ELNS1_3gpuE4ELNS1_3repE0EEENS1_30default_config_static_selectorELNS0_4arch9wavefront6targetE0EEEvT1_.num_named_barrier, 0
	.set _ZN7rocprim17ROCPRIM_400000_NS6detail17trampoline_kernelINS0_14default_configENS1_27scan_by_key_config_selectorIiiEEZZNS1_16scan_by_key_implILNS1_25lookback_scan_determinismE0ELb0ES3_N6thrust23THRUST_200600_302600_NS6detail15normal_iteratorINS9_10device_ptrIiEEEESE_SE_iNS9_4plusIvEENS9_8equal_toIvEEiEE10hipError_tPvRmT2_T3_T4_T5_mT6_T7_P12ihipStream_tbENKUlT_T0_E_clISt17integral_constantIbLb0EESY_IbLb1EEEEDaSU_SV_EUlSU_E_NS1_11comp_targetILNS1_3genE10ELNS1_11target_archE1200ELNS1_3gpuE4ELNS1_3repE0EEENS1_30default_config_static_selectorELNS0_4arch9wavefront6targetE0EEEvT1_.private_seg_size, 0
	.set _ZN7rocprim17ROCPRIM_400000_NS6detail17trampoline_kernelINS0_14default_configENS1_27scan_by_key_config_selectorIiiEEZZNS1_16scan_by_key_implILNS1_25lookback_scan_determinismE0ELb0ES3_N6thrust23THRUST_200600_302600_NS6detail15normal_iteratorINS9_10device_ptrIiEEEESE_SE_iNS9_4plusIvEENS9_8equal_toIvEEiEE10hipError_tPvRmT2_T3_T4_T5_mT6_T7_P12ihipStream_tbENKUlT_T0_E_clISt17integral_constantIbLb0EESY_IbLb1EEEEDaSU_SV_EUlSU_E_NS1_11comp_targetILNS1_3genE10ELNS1_11target_archE1200ELNS1_3gpuE4ELNS1_3repE0EEENS1_30default_config_static_selectorELNS0_4arch9wavefront6targetE0EEEvT1_.uses_vcc, 0
	.set _ZN7rocprim17ROCPRIM_400000_NS6detail17trampoline_kernelINS0_14default_configENS1_27scan_by_key_config_selectorIiiEEZZNS1_16scan_by_key_implILNS1_25lookback_scan_determinismE0ELb0ES3_N6thrust23THRUST_200600_302600_NS6detail15normal_iteratorINS9_10device_ptrIiEEEESE_SE_iNS9_4plusIvEENS9_8equal_toIvEEiEE10hipError_tPvRmT2_T3_T4_T5_mT6_T7_P12ihipStream_tbENKUlT_T0_E_clISt17integral_constantIbLb0EESY_IbLb1EEEEDaSU_SV_EUlSU_E_NS1_11comp_targetILNS1_3genE10ELNS1_11target_archE1200ELNS1_3gpuE4ELNS1_3repE0EEENS1_30default_config_static_selectorELNS0_4arch9wavefront6targetE0EEEvT1_.uses_flat_scratch, 0
	.set _ZN7rocprim17ROCPRIM_400000_NS6detail17trampoline_kernelINS0_14default_configENS1_27scan_by_key_config_selectorIiiEEZZNS1_16scan_by_key_implILNS1_25lookback_scan_determinismE0ELb0ES3_N6thrust23THRUST_200600_302600_NS6detail15normal_iteratorINS9_10device_ptrIiEEEESE_SE_iNS9_4plusIvEENS9_8equal_toIvEEiEE10hipError_tPvRmT2_T3_T4_T5_mT6_T7_P12ihipStream_tbENKUlT_T0_E_clISt17integral_constantIbLb0EESY_IbLb1EEEEDaSU_SV_EUlSU_E_NS1_11comp_targetILNS1_3genE10ELNS1_11target_archE1200ELNS1_3gpuE4ELNS1_3repE0EEENS1_30default_config_static_selectorELNS0_4arch9wavefront6targetE0EEEvT1_.has_dyn_sized_stack, 0
	.set _ZN7rocprim17ROCPRIM_400000_NS6detail17trampoline_kernelINS0_14default_configENS1_27scan_by_key_config_selectorIiiEEZZNS1_16scan_by_key_implILNS1_25lookback_scan_determinismE0ELb0ES3_N6thrust23THRUST_200600_302600_NS6detail15normal_iteratorINS9_10device_ptrIiEEEESE_SE_iNS9_4plusIvEENS9_8equal_toIvEEiEE10hipError_tPvRmT2_T3_T4_T5_mT6_T7_P12ihipStream_tbENKUlT_T0_E_clISt17integral_constantIbLb0EESY_IbLb1EEEEDaSU_SV_EUlSU_E_NS1_11comp_targetILNS1_3genE10ELNS1_11target_archE1200ELNS1_3gpuE4ELNS1_3repE0EEENS1_30default_config_static_selectorELNS0_4arch9wavefront6targetE0EEEvT1_.has_recursion, 0
	.set _ZN7rocprim17ROCPRIM_400000_NS6detail17trampoline_kernelINS0_14default_configENS1_27scan_by_key_config_selectorIiiEEZZNS1_16scan_by_key_implILNS1_25lookback_scan_determinismE0ELb0ES3_N6thrust23THRUST_200600_302600_NS6detail15normal_iteratorINS9_10device_ptrIiEEEESE_SE_iNS9_4plusIvEENS9_8equal_toIvEEiEE10hipError_tPvRmT2_T3_T4_T5_mT6_T7_P12ihipStream_tbENKUlT_T0_E_clISt17integral_constantIbLb0EESY_IbLb1EEEEDaSU_SV_EUlSU_E_NS1_11comp_targetILNS1_3genE10ELNS1_11target_archE1200ELNS1_3gpuE4ELNS1_3repE0EEENS1_30default_config_static_selectorELNS0_4arch9wavefront6targetE0EEEvT1_.has_indirect_call, 0
	.section	.AMDGPU.csdata,"",@progbits
; Kernel info:
; codeLenInByte = 0
; TotalNumSgprs: 0
; NumVgprs: 0
; ScratchSize: 0
; MemoryBound: 0
; FloatMode: 240
; IeeeMode: 1
; LDSByteSize: 0 bytes/workgroup (compile time only)
; SGPRBlocks: 0
; VGPRBlocks: 0
; NumSGPRsForWavesPerEU: 1
; NumVGPRsForWavesPerEU: 1
; Occupancy: 16
; WaveLimiterHint : 0
; COMPUTE_PGM_RSRC2:SCRATCH_EN: 0
; COMPUTE_PGM_RSRC2:USER_SGPR: 6
; COMPUTE_PGM_RSRC2:TRAP_HANDLER: 0
; COMPUTE_PGM_RSRC2:TGID_X_EN: 1
; COMPUTE_PGM_RSRC2:TGID_Y_EN: 0
; COMPUTE_PGM_RSRC2:TGID_Z_EN: 0
; COMPUTE_PGM_RSRC2:TIDIG_COMP_CNT: 0
	.section	.text._ZN7rocprim17ROCPRIM_400000_NS6detail17trampoline_kernelINS0_14default_configENS1_27scan_by_key_config_selectorIiiEEZZNS1_16scan_by_key_implILNS1_25lookback_scan_determinismE0ELb0ES3_N6thrust23THRUST_200600_302600_NS6detail15normal_iteratorINS9_10device_ptrIiEEEESE_SE_iNS9_4plusIvEENS9_8equal_toIvEEiEE10hipError_tPvRmT2_T3_T4_T5_mT6_T7_P12ihipStream_tbENKUlT_T0_E_clISt17integral_constantIbLb0EESY_IbLb1EEEEDaSU_SV_EUlSU_E_NS1_11comp_targetILNS1_3genE9ELNS1_11target_archE1100ELNS1_3gpuE3ELNS1_3repE0EEENS1_30default_config_static_selectorELNS0_4arch9wavefront6targetE0EEEvT1_,"axG",@progbits,_ZN7rocprim17ROCPRIM_400000_NS6detail17trampoline_kernelINS0_14default_configENS1_27scan_by_key_config_selectorIiiEEZZNS1_16scan_by_key_implILNS1_25lookback_scan_determinismE0ELb0ES3_N6thrust23THRUST_200600_302600_NS6detail15normal_iteratorINS9_10device_ptrIiEEEESE_SE_iNS9_4plusIvEENS9_8equal_toIvEEiEE10hipError_tPvRmT2_T3_T4_T5_mT6_T7_P12ihipStream_tbENKUlT_T0_E_clISt17integral_constantIbLb0EESY_IbLb1EEEEDaSU_SV_EUlSU_E_NS1_11comp_targetILNS1_3genE9ELNS1_11target_archE1100ELNS1_3gpuE3ELNS1_3repE0EEENS1_30default_config_static_selectorELNS0_4arch9wavefront6targetE0EEEvT1_,comdat
	.protected	_ZN7rocprim17ROCPRIM_400000_NS6detail17trampoline_kernelINS0_14default_configENS1_27scan_by_key_config_selectorIiiEEZZNS1_16scan_by_key_implILNS1_25lookback_scan_determinismE0ELb0ES3_N6thrust23THRUST_200600_302600_NS6detail15normal_iteratorINS9_10device_ptrIiEEEESE_SE_iNS9_4plusIvEENS9_8equal_toIvEEiEE10hipError_tPvRmT2_T3_T4_T5_mT6_T7_P12ihipStream_tbENKUlT_T0_E_clISt17integral_constantIbLb0EESY_IbLb1EEEEDaSU_SV_EUlSU_E_NS1_11comp_targetILNS1_3genE9ELNS1_11target_archE1100ELNS1_3gpuE3ELNS1_3repE0EEENS1_30default_config_static_selectorELNS0_4arch9wavefront6targetE0EEEvT1_ ; -- Begin function _ZN7rocprim17ROCPRIM_400000_NS6detail17trampoline_kernelINS0_14default_configENS1_27scan_by_key_config_selectorIiiEEZZNS1_16scan_by_key_implILNS1_25lookback_scan_determinismE0ELb0ES3_N6thrust23THRUST_200600_302600_NS6detail15normal_iteratorINS9_10device_ptrIiEEEESE_SE_iNS9_4plusIvEENS9_8equal_toIvEEiEE10hipError_tPvRmT2_T3_T4_T5_mT6_T7_P12ihipStream_tbENKUlT_T0_E_clISt17integral_constantIbLb0EESY_IbLb1EEEEDaSU_SV_EUlSU_E_NS1_11comp_targetILNS1_3genE9ELNS1_11target_archE1100ELNS1_3gpuE3ELNS1_3repE0EEENS1_30default_config_static_selectorELNS0_4arch9wavefront6targetE0EEEvT1_
	.globl	_ZN7rocprim17ROCPRIM_400000_NS6detail17trampoline_kernelINS0_14default_configENS1_27scan_by_key_config_selectorIiiEEZZNS1_16scan_by_key_implILNS1_25lookback_scan_determinismE0ELb0ES3_N6thrust23THRUST_200600_302600_NS6detail15normal_iteratorINS9_10device_ptrIiEEEESE_SE_iNS9_4plusIvEENS9_8equal_toIvEEiEE10hipError_tPvRmT2_T3_T4_T5_mT6_T7_P12ihipStream_tbENKUlT_T0_E_clISt17integral_constantIbLb0EESY_IbLb1EEEEDaSU_SV_EUlSU_E_NS1_11comp_targetILNS1_3genE9ELNS1_11target_archE1100ELNS1_3gpuE3ELNS1_3repE0EEENS1_30default_config_static_selectorELNS0_4arch9wavefront6targetE0EEEvT1_
	.p2align	8
	.type	_ZN7rocprim17ROCPRIM_400000_NS6detail17trampoline_kernelINS0_14default_configENS1_27scan_by_key_config_selectorIiiEEZZNS1_16scan_by_key_implILNS1_25lookback_scan_determinismE0ELb0ES3_N6thrust23THRUST_200600_302600_NS6detail15normal_iteratorINS9_10device_ptrIiEEEESE_SE_iNS9_4plusIvEENS9_8equal_toIvEEiEE10hipError_tPvRmT2_T3_T4_T5_mT6_T7_P12ihipStream_tbENKUlT_T0_E_clISt17integral_constantIbLb0EESY_IbLb1EEEEDaSU_SV_EUlSU_E_NS1_11comp_targetILNS1_3genE9ELNS1_11target_archE1100ELNS1_3gpuE3ELNS1_3repE0EEENS1_30default_config_static_selectorELNS0_4arch9wavefront6targetE0EEEvT1_,@function
_ZN7rocprim17ROCPRIM_400000_NS6detail17trampoline_kernelINS0_14default_configENS1_27scan_by_key_config_selectorIiiEEZZNS1_16scan_by_key_implILNS1_25lookback_scan_determinismE0ELb0ES3_N6thrust23THRUST_200600_302600_NS6detail15normal_iteratorINS9_10device_ptrIiEEEESE_SE_iNS9_4plusIvEENS9_8equal_toIvEEiEE10hipError_tPvRmT2_T3_T4_T5_mT6_T7_P12ihipStream_tbENKUlT_T0_E_clISt17integral_constantIbLb0EESY_IbLb1EEEEDaSU_SV_EUlSU_E_NS1_11comp_targetILNS1_3genE9ELNS1_11target_archE1100ELNS1_3gpuE3ELNS1_3repE0EEENS1_30default_config_static_selectorELNS0_4arch9wavefront6targetE0EEEvT1_: ; @_ZN7rocprim17ROCPRIM_400000_NS6detail17trampoline_kernelINS0_14default_configENS1_27scan_by_key_config_selectorIiiEEZZNS1_16scan_by_key_implILNS1_25lookback_scan_determinismE0ELb0ES3_N6thrust23THRUST_200600_302600_NS6detail15normal_iteratorINS9_10device_ptrIiEEEESE_SE_iNS9_4plusIvEENS9_8equal_toIvEEiEE10hipError_tPvRmT2_T3_T4_T5_mT6_T7_P12ihipStream_tbENKUlT_T0_E_clISt17integral_constantIbLb0EESY_IbLb1EEEEDaSU_SV_EUlSU_E_NS1_11comp_targetILNS1_3genE9ELNS1_11target_archE1100ELNS1_3gpuE3ELNS1_3repE0EEENS1_30default_config_static_selectorELNS0_4arch9wavefront6targetE0EEEvT1_
; %bb.0:
	.section	.rodata,"a",@progbits
	.p2align	6, 0x0
	.amdhsa_kernel _ZN7rocprim17ROCPRIM_400000_NS6detail17trampoline_kernelINS0_14default_configENS1_27scan_by_key_config_selectorIiiEEZZNS1_16scan_by_key_implILNS1_25lookback_scan_determinismE0ELb0ES3_N6thrust23THRUST_200600_302600_NS6detail15normal_iteratorINS9_10device_ptrIiEEEESE_SE_iNS9_4plusIvEENS9_8equal_toIvEEiEE10hipError_tPvRmT2_T3_T4_T5_mT6_T7_P12ihipStream_tbENKUlT_T0_E_clISt17integral_constantIbLb0EESY_IbLb1EEEEDaSU_SV_EUlSU_E_NS1_11comp_targetILNS1_3genE9ELNS1_11target_archE1100ELNS1_3gpuE3ELNS1_3repE0EEENS1_30default_config_static_selectorELNS0_4arch9wavefront6targetE0EEEvT1_
		.amdhsa_group_segment_fixed_size 0
		.amdhsa_private_segment_fixed_size 0
		.amdhsa_kernarg_size 112
		.amdhsa_user_sgpr_count 6
		.amdhsa_user_sgpr_private_segment_buffer 1
		.amdhsa_user_sgpr_dispatch_ptr 0
		.amdhsa_user_sgpr_queue_ptr 0
		.amdhsa_user_sgpr_kernarg_segment_ptr 1
		.amdhsa_user_sgpr_dispatch_id 0
		.amdhsa_user_sgpr_flat_scratch_init 0
		.amdhsa_user_sgpr_private_segment_size 0
		.amdhsa_wavefront_size32 1
		.amdhsa_uses_dynamic_stack 0
		.amdhsa_system_sgpr_private_segment_wavefront_offset 0
		.amdhsa_system_sgpr_workgroup_id_x 1
		.amdhsa_system_sgpr_workgroup_id_y 0
		.amdhsa_system_sgpr_workgroup_id_z 0
		.amdhsa_system_sgpr_workgroup_info 0
		.amdhsa_system_vgpr_workitem_id 0
		.amdhsa_next_free_vgpr 1
		.amdhsa_next_free_sgpr 1
		.amdhsa_reserve_vcc 0
		.amdhsa_reserve_flat_scratch 0
		.amdhsa_float_round_mode_32 0
		.amdhsa_float_round_mode_16_64 0
		.amdhsa_float_denorm_mode_32 3
		.amdhsa_float_denorm_mode_16_64 3
		.amdhsa_dx10_clamp 1
		.amdhsa_ieee_mode 1
		.amdhsa_fp16_overflow 0
		.amdhsa_workgroup_processor_mode 1
		.amdhsa_memory_ordered 1
		.amdhsa_forward_progress 1
		.amdhsa_shared_vgpr_count 0
		.amdhsa_exception_fp_ieee_invalid_op 0
		.amdhsa_exception_fp_denorm_src 0
		.amdhsa_exception_fp_ieee_div_zero 0
		.amdhsa_exception_fp_ieee_overflow 0
		.amdhsa_exception_fp_ieee_underflow 0
		.amdhsa_exception_fp_ieee_inexact 0
		.amdhsa_exception_int_div_zero 0
	.end_amdhsa_kernel
	.section	.text._ZN7rocprim17ROCPRIM_400000_NS6detail17trampoline_kernelINS0_14default_configENS1_27scan_by_key_config_selectorIiiEEZZNS1_16scan_by_key_implILNS1_25lookback_scan_determinismE0ELb0ES3_N6thrust23THRUST_200600_302600_NS6detail15normal_iteratorINS9_10device_ptrIiEEEESE_SE_iNS9_4plusIvEENS9_8equal_toIvEEiEE10hipError_tPvRmT2_T3_T4_T5_mT6_T7_P12ihipStream_tbENKUlT_T0_E_clISt17integral_constantIbLb0EESY_IbLb1EEEEDaSU_SV_EUlSU_E_NS1_11comp_targetILNS1_3genE9ELNS1_11target_archE1100ELNS1_3gpuE3ELNS1_3repE0EEENS1_30default_config_static_selectorELNS0_4arch9wavefront6targetE0EEEvT1_,"axG",@progbits,_ZN7rocprim17ROCPRIM_400000_NS6detail17trampoline_kernelINS0_14default_configENS1_27scan_by_key_config_selectorIiiEEZZNS1_16scan_by_key_implILNS1_25lookback_scan_determinismE0ELb0ES3_N6thrust23THRUST_200600_302600_NS6detail15normal_iteratorINS9_10device_ptrIiEEEESE_SE_iNS9_4plusIvEENS9_8equal_toIvEEiEE10hipError_tPvRmT2_T3_T4_T5_mT6_T7_P12ihipStream_tbENKUlT_T0_E_clISt17integral_constantIbLb0EESY_IbLb1EEEEDaSU_SV_EUlSU_E_NS1_11comp_targetILNS1_3genE9ELNS1_11target_archE1100ELNS1_3gpuE3ELNS1_3repE0EEENS1_30default_config_static_selectorELNS0_4arch9wavefront6targetE0EEEvT1_,comdat
.Lfunc_end162:
	.size	_ZN7rocprim17ROCPRIM_400000_NS6detail17trampoline_kernelINS0_14default_configENS1_27scan_by_key_config_selectorIiiEEZZNS1_16scan_by_key_implILNS1_25lookback_scan_determinismE0ELb0ES3_N6thrust23THRUST_200600_302600_NS6detail15normal_iteratorINS9_10device_ptrIiEEEESE_SE_iNS9_4plusIvEENS9_8equal_toIvEEiEE10hipError_tPvRmT2_T3_T4_T5_mT6_T7_P12ihipStream_tbENKUlT_T0_E_clISt17integral_constantIbLb0EESY_IbLb1EEEEDaSU_SV_EUlSU_E_NS1_11comp_targetILNS1_3genE9ELNS1_11target_archE1100ELNS1_3gpuE3ELNS1_3repE0EEENS1_30default_config_static_selectorELNS0_4arch9wavefront6targetE0EEEvT1_, .Lfunc_end162-_ZN7rocprim17ROCPRIM_400000_NS6detail17trampoline_kernelINS0_14default_configENS1_27scan_by_key_config_selectorIiiEEZZNS1_16scan_by_key_implILNS1_25lookback_scan_determinismE0ELb0ES3_N6thrust23THRUST_200600_302600_NS6detail15normal_iteratorINS9_10device_ptrIiEEEESE_SE_iNS9_4plusIvEENS9_8equal_toIvEEiEE10hipError_tPvRmT2_T3_T4_T5_mT6_T7_P12ihipStream_tbENKUlT_T0_E_clISt17integral_constantIbLb0EESY_IbLb1EEEEDaSU_SV_EUlSU_E_NS1_11comp_targetILNS1_3genE9ELNS1_11target_archE1100ELNS1_3gpuE3ELNS1_3repE0EEENS1_30default_config_static_selectorELNS0_4arch9wavefront6targetE0EEEvT1_
                                        ; -- End function
	.set _ZN7rocprim17ROCPRIM_400000_NS6detail17trampoline_kernelINS0_14default_configENS1_27scan_by_key_config_selectorIiiEEZZNS1_16scan_by_key_implILNS1_25lookback_scan_determinismE0ELb0ES3_N6thrust23THRUST_200600_302600_NS6detail15normal_iteratorINS9_10device_ptrIiEEEESE_SE_iNS9_4plusIvEENS9_8equal_toIvEEiEE10hipError_tPvRmT2_T3_T4_T5_mT6_T7_P12ihipStream_tbENKUlT_T0_E_clISt17integral_constantIbLb0EESY_IbLb1EEEEDaSU_SV_EUlSU_E_NS1_11comp_targetILNS1_3genE9ELNS1_11target_archE1100ELNS1_3gpuE3ELNS1_3repE0EEENS1_30default_config_static_selectorELNS0_4arch9wavefront6targetE0EEEvT1_.num_vgpr, 0
	.set _ZN7rocprim17ROCPRIM_400000_NS6detail17trampoline_kernelINS0_14default_configENS1_27scan_by_key_config_selectorIiiEEZZNS1_16scan_by_key_implILNS1_25lookback_scan_determinismE0ELb0ES3_N6thrust23THRUST_200600_302600_NS6detail15normal_iteratorINS9_10device_ptrIiEEEESE_SE_iNS9_4plusIvEENS9_8equal_toIvEEiEE10hipError_tPvRmT2_T3_T4_T5_mT6_T7_P12ihipStream_tbENKUlT_T0_E_clISt17integral_constantIbLb0EESY_IbLb1EEEEDaSU_SV_EUlSU_E_NS1_11comp_targetILNS1_3genE9ELNS1_11target_archE1100ELNS1_3gpuE3ELNS1_3repE0EEENS1_30default_config_static_selectorELNS0_4arch9wavefront6targetE0EEEvT1_.num_agpr, 0
	.set _ZN7rocprim17ROCPRIM_400000_NS6detail17trampoline_kernelINS0_14default_configENS1_27scan_by_key_config_selectorIiiEEZZNS1_16scan_by_key_implILNS1_25lookback_scan_determinismE0ELb0ES3_N6thrust23THRUST_200600_302600_NS6detail15normal_iteratorINS9_10device_ptrIiEEEESE_SE_iNS9_4plusIvEENS9_8equal_toIvEEiEE10hipError_tPvRmT2_T3_T4_T5_mT6_T7_P12ihipStream_tbENKUlT_T0_E_clISt17integral_constantIbLb0EESY_IbLb1EEEEDaSU_SV_EUlSU_E_NS1_11comp_targetILNS1_3genE9ELNS1_11target_archE1100ELNS1_3gpuE3ELNS1_3repE0EEENS1_30default_config_static_selectorELNS0_4arch9wavefront6targetE0EEEvT1_.numbered_sgpr, 0
	.set _ZN7rocprim17ROCPRIM_400000_NS6detail17trampoline_kernelINS0_14default_configENS1_27scan_by_key_config_selectorIiiEEZZNS1_16scan_by_key_implILNS1_25lookback_scan_determinismE0ELb0ES3_N6thrust23THRUST_200600_302600_NS6detail15normal_iteratorINS9_10device_ptrIiEEEESE_SE_iNS9_4plusIvEENS9_8equal_toIvEEiEE10hipError_tPvRmT2_T3_T4_T5_mT6_T7_P12ihipStream_tbENKUlT_T0_E_clISt17integral_constantIbLb0EESY_IbLb1EEEEDaSU_SV_EUlSU_E_NS1_11comp_targetILNS1_3genE9ELNS1_11target_archE1100ELNS1_3gpuE3ELNS1_3repE0EEENS1_30default_config_static_selectorELNS0_4arch9wavefront6targetE0EEEvT1_.num_named_barrier, 0
	.set _ZN7rocprim17ROCPRIM_400000_NS6detail17trampoline_kernelINS0_14default_configENS1_27scan_by_key_config_selectorIiiEEZZNS1_16scan_by_key_implILNS1_25lookback_scan_determinismE0ELb0ES3_N6thrust23THRUST_200600_302600_NS6detail15normal_iteratorINS9_10device_ptrIiEEEESE_SE_iNS9_4plusIvEENS9_8equal_toIvEEiEE10hipError_tPvRmT2_T3_T4_T5_mT6_T7_P12ihipStream_tbENKUlT_T0_E_clISt17integral_constantIbLb0EESY_IbLb1EEEEDaSU_SV_EUlSU_E_NS1_11comp_targetILNS1_3genE9ELNS1_11target_archE1100ELNS1_3gpuE3ELNS1_3repE0EEENS1_30default_config_static_selectorELNS0_4arch9wavefront6targetE0EEEvT1_.private_seg_size, 0
	.set _ZN7rocprim17ROCPRIM_400000_NS6detail17trampoline_kernelINS0_14default_configENS1_27scan_by_key_config_selectorIiiEEZZNS1_16scan_by_key_implILNS1_25lookback_scan_determinismE0ELb0ES3_N6thrust23THRUST_200600_302600_NS6detail15normal_iteratorINS9_10device_ptrIiEEEESE_SE_iNS9_4plusIvEENS9_8equal_toIvEEiEE10hipError_tPvRmT2_T3_T4_T5_mT6_T7_P12ihipStream_tbENKUlT_T0_E_clISt17integral_constantIbLb0EESY_IbLb1EEEEDaSU_SV_EUlSU_E_NS1_11comp_targetILNS1_3genE9ELNS1_11target_archE1100ELNS1_3gpuE3ELNS1_3repE0EEENS1_30default_config_static_selectorELNS0_4arch9wavefront6targetE0EEEvT1_.uses_vcc, 0
	.set _ZN7rocprim17ROCPRIM_400000_NS6detail17trampoline_kernelINS0_14default_configENS1_27scan_by_key_config_selectorIiiEEZZNS1_16scan_by_key_implILNS1_25lookback_scan_determinismE0ELb0ES3_N6thrust23THRUST_200600_302600_NS6detail15normal_iteratorINS9_10device_ptrIiEEEESE_SE_iNS9_4plusIvEENS9_8equal_toIvEEiEE10hipError_tPvRmT2_T3_T4_T5_mT6_T7_P12ihipStream_tbENKUlT_T0_E_clISt17integral_constantIbLb0EESY_IbLb1EEEEDaSU_SV_EUlSU_E_NS1_11comp_targetILNS1_3genE9ELNS1_11target_archE1100ELNS1_3gpuE3ELNS1_3repE0EEENS1_30default_config_static_selectorELNS0_4arch9wavefront6targetE0EEEvT1_.uses_flat_scratch, 0
	.set _ZN7rocprim17ROCPRIM_400000_NS6detail17trampoline_kernelINS0_14default_configENS1_27scan_by_key_config_selectorIiiEEZZNS1_16scan_by_key_implILNS1_25lookback_scan_determinismE0ELb0ES3_N6thrust23THRUST_200600_302600_NS6detail15normal_iteratorINS9_10device_ptrIiEEEESE_SE_iNS9_4plusIvEENS9_8equal_toIvEEiEE10hipError_tPvRmT2_T3_T4_T5_mT6_T7_P12ihipStream_tbENKUlT_T0_E_clISt17integral_constantIbLb0EESY_IbLb1EEEEDaSU_SV_EUlSU_E_NS1_11comp_targetILNS1_3genE9ELNS1_11target_archE1100ELNS1_3gpuE3ELNS1_3repE0EEENS1_30default_config_static_selectorELNS0_4arch9wavefront6targetE0EEEvT1_.has_dyn_sized_stack, 0
	.set _ZN7rocprim17ROCPRIM_400000_NS6detail17trampoline_kernelINS0_14default_configENS1_27scan_by_key_config_selectorIiiEEZZNS1_16scan_by_key_implILNS1_25lookback_scan_determinismE0ELb0ES3_N6thrust23THRUST_200600_302600_NS6detail15normal_iteratorINS9_10device_ptrIiEEEESE_SE_iNS9_4plusIvEENS9_8equal_toIvEEiEE10hipError_tPvRmT2_T3_T4_T5_mT6_T7_P12ihipStream_tbENKUlT_T0_E_clISt17integral_constantIbLb0EESY_IbLb1EEEEDaSU_SV_EUlSU_E_NS1_11comp_targetILNS1_3genE9ELNS1_11target_archE1100ELNS1_3gpuE3ELNS1_3repE0EEENS1_30default_config_static_selectorELNS0_4arch9wavefront6targetE0EEEvT1_.has_recursion, 0
	.set _ZN7rocprim17ROCPRIM_400000_NS6detail17trampoline_kernelINS0_14default_configENS1_27scan_by_key_config_selectorIiiEEZZNS1_16scan_by_key_implILNS1_25lookback_scan_determinismE0ELb0ES3_N6thrust23THRUST_200600_302600_NS6detail15normal_iteratorINS9_10device_ptrIiEEEESE_SE_iNS9_4plusIvEENS9_8equal_toIvEEiEE10hipError_tPvRmT2_T3_T4_T5_mT6_T7_P12ihipStream_tbENKUlT_T0_E_clISt17integral_constantIbLb0EESY_IbLb1EEEEDaSU_SV_EUlSU_E_NS1_11comp_targetILNS1_3genE9ELNS1_11target_archE1100ELNS1_3gpuE3ELNS1_3repE0EEENS1_30default_config_static_selectorELNS0_4arch9wavefront6targetE0EEEvT1_.has_indirect_call, 0
	.section	.AMDGPU.csdata,"",@progbits
; Kernel info:
; codeLenInByte = 0
; TotalNumSgprs: 0
; NumVgprs: 0
; ScratchSize: 0
; MemoryBound: 0
; FloatMode: 240
; IeeeMode: 1
; LDSByteSize: 0 bytes/workgroup (compile time only)
; SGPRBlocks: 0
; VGPRBlocks: 0
; NumSGPRsForWavesPerEU: 1
; NumVGPRsForWavesPerEU: 1
; Occupancy: 16
; WaveLimiterHint : 0
; COMPUTE_PGM_RSRC2:SCRATCH_EN: 0
; COMPUTE_PGM_RSRC2:USER_SGPR: 6
; COMPUTE_PGM_RSRC2:TRAP_HANDLER: 0
; COMPUTE_PGM_RSRC2:TGID_X_EN: 1
; COMPUTE_PGM_RSRC2:TGID_Y_EN: 0
; COMPUTE_PGM_RSRC2:TGID_Z_EN: 0
; COMPUTE_PGM_RSRC2:TIDIG_COMP_CNT: 0
	.section	.text._ZN7rocprim17ROCPRIM_400000_NS6detail17trampoline_kernelINS0_14default_configENS1_27scan_by_key_config_selectorIiiEEZZNS1_16scan_by_key_implILNS1_25lookback_scan_determinismE0ELb0ES3_N6thrust23THRUST_200600_302600_NS6detail15normal_iteratorINS9_10device_ptrIiEEEESE_SE_iNS9_4plusIvEENS9_8equal_toIvEEiEE10hipError_tPvRmT2_T3_T4_T5_mT6_T7_P12ihipStream_tbENKUlT_T0_E_clISt17integral_constantIbLb0EESY_IbLb1EEEEDaSU_SV_EUlSU_E_NS1_11comp_targetILNS1_3genE8ELNS1_11target_archE1030ELNS1_3gpuE2ELNS1_3repE0EEENS1_30default_config_static_selectorELNS0_4arch9wavefront6targetE0EEEvT1_,"axG",@progbits,_ZN7rocprim17ROCPRIM_400000_NS6detail17trampoline_kernelINS0_14default_configENS1_27scan_by_key_config_selectorIiiEEZZNS1_16scan_by_key_implILNS1_25lookback_scan_determinismE0ELb0ES3_N6thrust23THRUST_200600_302600_NS6detail15normal_iteratorINS9_10device_ptrIiEEEESE_SE_iNS9_4plusIvEENS9_8equal_toIvEEiEE10hipError_tPvRmT2_T3_T4_T5_mT6_T7_P12ihipStream_tbENKUlT_T0_E_clISt17integral_constantIbLb0EESY_IbLb1EEEEDaSU_SV_EUlSU_E_NS1_11comp_targetILNS1_3genE8ELNS1_11target_archE1030ELNS1_3gpuE2ELNS1_3repE0EEENS1_30default_config_static_selectorELNS0_4arch9wavefront6targetE0EEEvT1_,comdat
	.protected	_ZN7rocprim17ROCPRIM_400000_NS6detail17trampoline_kernelINS0_14default_configENS1_27scan_by_key_config_selectorIiiEEZZNS1_16scan_by_key_implILNS1_25lookback_scan_determinismE0ELb0ES3_N6thrust23THRUST_200600_302600_NS6detail15normal_iteratorINS9_10device_ptrIiEEEESE_SE_iNS9_4plusIvEENS9_8equal_toIvEEiEE10hipError_tPvRmT2_T3_T4_T5_mT6_T7_P12ihipStream_tbENKUlT_T0_E_clISt17integral_constantIbLb0EESY_IbLb1EEEEDaSU_SV_EUlSU_E_NS1_11comp_targetILNS1_3genE8ELNS1_11target_archE1030ELNS1_3gpuE2ELNS1_3repE0EEENS1_30default_config_static_selectorELNS0_4arch9wavefront6targetE0EEEvT1_ ; -- Begin function _ZN7rocprim17ROCPRIM_400000_NS6detail17trampoline_kernelINS0_14default_configENS1_27scan_by_key_config_selectorIiiEEZZNS1_16scan_by_key_implILNS1_25lookback_scan_determinismE0ELb0ES3_N6thrust23THRUST_200600_302600_NS6detail15normal_iteratorINS9_10device_ptrIiEEEESE_SE_iNS9_4plusIvEENS9_8equal_toIvEEiEE10hipError_tPvRmT2_T3_T4_T5_mT6_T7_P12ihipStream_tbENKUlT_T0_E_clISt17integral_constantIbLb0EESY_IbLb1EEEEDaSU_SV_EUlSU_E_NS1_11comp_targetILNS1_3genE8ELNS1_11target_archE1030ELNS1_3gpuE2ELNS1_3repE0EEENS1_30default_config_static_selectorELNS0_4arch9wavefront6targetE0EEEvT1_
	.globl	_ZN7rocprim17ROCPRIM_400000_NS6detail17trampoline_kernelINS0_14default_configENS1_27scan_by_key_config_selectorIiiEEZZNS1_16scan_by_key_implILNS1_25lookback_scan_determinismE0ELb0ES3_N6thrust23THRUST_200600_302600_NS6detail15normal_iteratorINS9_10device_ptrIiEEEESE_SE_iNS9_4plusIvEENS9_8equal_toIvEEiEE10hipError_tPvRmT2_T3_T4_T5_mT6_T7_P12ihipStream_tbENKUlT_T0_E_clISt17integral_constantIbLb0EESY_IbLb1EEEEDaSU_SV_EUlSU_E_NS1_11comp_targetILNS1_3genE8ELNS1_11target_archE1030ELNS1_3gpuE2ELNS1_3repE0EEENS1_30default_config_static_selectorELNS0_4arch9wavefront6targetE0EEEvT1_
	.p2align	8
	.type	_ZN7rocprim17ROCPRIM_400000_NS6detail17trampoline_kernelINS0_14default_configENS1_27scan_by_key_config_selectorIiiEEZZNS1_16scan_by_key_implILNS1_25lookback_scan_determinismE0ELb0ES3_N6thrust23THRUST_200600_302600_NS6detail15normal_iteratorINS9_10device_ptrIiEEEESE_SE_iNS9_4plusIvEENS9_8equal_toIvEEiEE10hipError_tPvRmT2_T3_T4_T5_mT6_T7_P12ihipStream_tbENKUlT_T0_E_clISt17integral_constantIbLb0EESY_IbLb1EEEEDaSU_SV_EUlSU_E_NS1_11comp_targetILNS1_3genE8ELNS1_11target_archE1030ELNS1_3gpuE2ELNS1_3repE0EEENS1_30default_config_static_selectorELNS0_4arch9wavefront6targetE0EEEvT1_,@function
_ZN7rocprim17ROCPRIM_400000_NS6detail17trampoline_kernelINS0_14default_configENS1_27scan_by_key_config_selectorIiiEEZZNS1_16scan_by_key_implILNS1_25lookback_scan_determinismE0ELb0ES3_N6thrust23THRUST_200600_302600_NS6detail15normal_iteratorINS9_10device_ptrIiEEEESE_SE_iNS9_4plusIvEENS9_8equal_toIvEEiEE10hipError_tPvRmT2_T3_T4_T5_mT6_T7_P12ihipStream_tbENKUlT_T0_E_clISt17integral_constantIbLb0EESY_IbLb1EEEEDaSU_SV_EUlSU_E_NS1_11comp_targetILNS1_3genE8ELNS1_11target_archE1030ELNS1_3gpuE2ELNS1_3repE0EEENS1_30default_config_static_selectorELNS0_4arch9wavefront6targetE0EEEvT1_: ; @_ZN7rocprim17ROCPRIM_400000_NS6detail17trampoline_kernelINS0_14default_configENS1_27scan_by_key_config_selectorIiiEEZZNS1_16scan_by_key_implILNS1_25lookback_scan_determinismE0ELb0ES3_N6thrust23THRUST_200600_302600_NS6detail15normal_iteratorINS9_10device_ptrIiEEEESE_SE_iNS9_4plusIvEENS9_8equal_toIvEEiEE10hipError_tPvRmT2_T3_T4_T5_mT6_T7_P12ihipStream_tbENKUlT_T0_E_clISt17integral_constantIbLb0EESY_IbLb1EEEEDaSU_SV_EUlSU_E_NS1_11comp_targetILNS1_3genE8ELNS1_11target_archE1030ELNS1_3gpuE2ELNS1_3repE0EEENS1_30default_config_static_selectorELNS0_4arch9wavefront6targetE0EEEvT1_
; %bb.0:
	s_clause 0x1
	s_load_dwordx4 s[24:27], s[4:5], 0x28
	s_load_dwordx2 s[28:29], s[4:5], 0x38
	v_cmp_ne_u32_e64 s1, 0, v0
	v_cmp_eq_u32_e64 s0, 0, v0
	s_and_saveexec_b32 s2, s0
	s_cbranch_execz .LBB163_4
; %bb.1:
	s_mov_b32 s6, exec_lo
	s_mov_b32 s3, exec_lo
	v_mbcnt_lo_u32_b32 v1, s6, 0
                                        ; implicit-def: $vgpr2
	v_cmpx_eq_u32_e32 0, v1
	s_cbranch_execz .LBB163_3
; %bb.2:
	s_load_dwordx2 s[8:9], s[4:5], 0x68
	s_bcnt1_i32_b32 s6, s6
	v_mov_b32_e32 v2, 0
	v_mov_b32_e32 v3, s6
	s_waitcnt lgkmcnt(0)
	global_atomic_add v2, v2, v3, s[8:9] glc
.LBB163_3:
	s_or_b32 exec_lo, exec_lo, s3
	s_waitcnt vmcnt(0)
	v_readfirstlane_b32 s3, v2
	v_mov_b32_e32 v2, 0
	v_add_nc_u32_e32 v1, s3, v1
	ds_write_b32 v2, v1
.LBB163_4:
	s_or_b32 exec_lo, exec_lo, s2
	v_mov_b32_e32 v1, 0
	s_clause 0x2
	s_load_dwordx8 s[8:15], s[4:5], 0x0
	s_load_dword s30, s[4:5], 0x40
	s_load_dwordx8 s[16:23], s[4:5], 0x48
	s_waitcnt lgkmcnt(0)
	s_barrier
	buffer_gl0_inv
	ds_read_b32 v1, v1
	s_waitcnt lgkmcnt(0)
	s_barrier
	buffer_gl0_inv
	s_barrier
	buffer_gl0_inv
	s_lshl_b64 s[6:7], s[10:11], 2
	s_mul_i32 s2, s29, s30
	s_add_u32 s4, s8, s6
	s_addc_u32 s5, s9, s7
	s_mul_hi_u32 s3, s28, s30
	s_add_u32 s12, s12, s6
	v_readfirstlane_b32 s27, v1
	s_addc_u32 s13, s13, s7
	s_add_i32 s33, s3, s2
	s_cmp_lg_u64 s[20:21], 0
	s_mov_b32 s3, 0
	s_mul_i32 s2, s27, 0x300
	s_cselect_b32 s31, -1, 0
	s_lshl_b64 s[8:9], s[2:3], 2
	s_mul_i32 s2, s28, s30
	s_add_u32 s10, s4, s8
	s_addc_u32 s11, s5, s9
	s_add_u32 s5, s12, s8
	s_addc_u32 s30, s13, s9
	;; [unrolled: 2-line block ×3, first 2 shown]
	s_add_u32 s16, s16, -1
	s_addc_u32 s17, s17, -1
	s_mul_i32 s21, s16, 0xfffffd00
	v_cmp_ge_u64_e64 s20, s[12:13], s[16:17]
	s_and_b32 vcc_lo, exec_lo, s20
	s_cbranch_vccz .LBB163_26
; %bb.5:
	v_mov_b32_e32 v1, s10
	v_mov_b32_e32 v2, s11
	s_add_i32 s33, s21, s26
	v_cmp_gt_u32_e64 s2, s33, v0
	flat_load_dword v2, v[1:2]
	s_waitcnt vmcnt(0) lgkmcnt(0)
	v_mov_b32_e32 v3, v2
	s_and_saveexec_b32 s3, s2
	s_cbranch_execz .LBB163_7
; %bb.6:
	v_lshlrev_b32_e32 v1, 2, v0
	v_add_co_u32 v3, s4, s10, v1
	v_add_co_ci_u32_e64 v4, null, s11, 0, s4
	flat_load_dword v3, v[3:4]
.LBB163_7:
	s_or_b32 exec_lo, exec_lo, s3
	v_or_b32_e32 v1, 0x100, v0
	v_mov_b32_e32 v4, v2
	v_cmp_gt_u32_e64 s3, s33, v1
	s_and_saveexec_b32 s4, s3
	s_cbranch_execz .LBB163_9
; %bb.8:
	v_lshlrev_b32_e32 v1, 2, v0
	v_add_co_u32 v4, s16, s10, v1
	v_add_co_ci_u32_e64 v5, null, s11, 0, s16
	flat_load_dword v4, v[4:5] offset:1024
.LBB163_9:
	s_or_b32 exec_lo, exec_lo, s4
	v_or_b32_e32 v1, 0x200, v0
	v_cmp_gt_u32_e64 s4, s33, v1
	v_lshlrev_b32_e32 v8, 2, v1
	s_and_saveexec_b32 s16, s4
	s_cbranch_execz .LBB163_11
; %bb.10:
	v_add_co_u32 v1, s17, s10, v8
	v_add_co_ci_u32_e64 v2, null, s11, 0, s17
	flat_load_dword v2, v[1:2]
.LBB163_11:
	s_or_b32 exec_lo, exec_lo, s16
	v_lshlrev_b32_e32 v9, 2, v0
	v_lshlrev_b32_e32 v1, 3, v0
	s_cmp_eq_u64 s[12:13], 0
	s_mov_b64 s[16:17], s[10:11]
	s_waitcnt vmcnt(0) lgkmcnt(0)
	ds_write2st64_b32 v9, v3, v4 offset1:4
	v_add_nc_u32_e32 v7, v9, v1
	ds_write_b32 v9, v2 offset:2048
	s_waitcnt lgkmcnt(0)
	s_barrier
	buffer_gl0_inv
	ds_read2_b32 v[4:5], v7 offset1:1
	ds_read_b32 v6, v7 offset:8
	s_cbranch_scc1 .LBB163_15
; %bb.12:
	s_andn2_b32 vcc_lo, exec_lo, s31
	s_cbranch_vccnz .LBB163_105
; %bb.13:
	s_lshl_b64 s[16:17], s[12:13], 2
	s_add_u32 s16, s22, s16
	s_addc_u32 s17, s23, s17
	s_add_u32 s16, s16, -4
	s_addc_u32 s17, s17, -1
	s_cbranch_execnz .LBB163_15
.LBB163_14:
	s_add_u32 s16, s10, -4
	s_addc_u32 s17, s11, -1
.LBB163_15:
	v_mov_b32_e32 v2, s16
	v_mov_b32_e32 v3, s17
	flat_load_dword v13, v[2:3]
	v_sub_nc_u32_e32 v2, v7, v1
	s_waitcnt lgkmcnt(1)
	ds_write_b32 v2, v6 offset:3072
	s_waitcnt vmcnt(0) lgkmcnt(0)
	s_barrier
	buffer_gl0_inv
	s_and_saveexec_b32 s16, s1
; %bb.16:
	v_sub_nc_u32_e32 v1, 0, v1
	v_add_nc_u32_e32 v1, v7, v1
	ds_read_b32 v13, v1 offset:3068
; %bb.17:
	s_or_b32 exec_lo, exec_lo, s16
	v_mov_b32_e32 v1, 0
	s_waitcnt lgkmcnt(0)
	s_barrier
	buffer_gl0_inv
	v_mov_b32_e32 v2, v1
	v_mov_b32_e32 v3, v1
	s_and_saveexec_b32 s16, s2
	s_cbranch_execnz .LBB163_103
; %bb.18:
	s_or_b32 exec_lo, exec_lo, s16
	s_and_saveexec_b32 s2, s3
	s_cbranch_execnz .LBB163_104
.LBB163_19:
	s_or_b32 exec_lo, exec_lo, s2
	s_and_saveexec_b32 s2, s4
	s_cbranch_execz .LBB163_21
.LBB163_20:
	v_add_co_u32 v10, s3, s5, v8
	v_add_co_ci_u32_e64 v11, null, s30, 0, s3
	flat_load_dword v3, v[10:11]
.LBB163_21:
	s_or_b32 exec_lo, exec_lo, s2
	s_waitcnt vmcnt(0) lgkmcnt(0)
	ds_write2st64_b32 v9, v1, v2 offset1:4
	ds_write_b32 v9, v3 offset:2048
	v_mov_b32_e32 v9, 0
	v_mov_b32_e32 v11, 0
	v_mul_u32_u24_e32 v8, 3, v0
	v_mov_b32_e32 v10, 0
	v_mov_b32_e32 v12, 0
	s_mov_b32 s16, 0
	s_mov_b32 s3, 0
	s_mov_b32 s17, exec_lo
	s_waitcnt lgkmcnt(0)
	s_barrier
	buffer_gl0_inv
                                        ; implicit-def: $sgpr4
                                        ; implicit-def: $vgpr2
	v_cmpx_gt_u32_e64 s33, v8
	s_cbranch_execz .LBB163_25
; %bb.22:
	ds_read_b32 v9, v7
	v_cmp_ne_u32_e32 vcc_lo, v13, v4
	v_mov_b32_e32 v11, 0
	v_add_nc_u32_e32 v1, 1, v8
	v_mov_b32_e32 v12, 0
	s_mov_b32 s2, 0
	v_cndmask_b32_e64 v10, 0, 1, vcc_lo
	s_mov_b32 s3, exec_lo
                                        ; implicit-def: $sgpr4
                                        ; implicit-def: $vgpr2
	v_cmpx_gt_u32_e64 s33, v1
	s_xor_b32 s3, exec_lo, s3
	s_cbranch_execz .LBB163_24
; %bb.23:
	ds_read2_b32 v[1:2], v7 offset0:1 offset1:2
	v_add_nc_u32_e32 v3, 2, v8
	v_cmp_ne_u32_e64 s2, v4, v5
	v_cmp_ne_u32_e64 s4, v5, v6
	v_cmp_gt_u32_e32 vcc_lo, s33, v3
	v_cndmask_b32_e64 v12, 0, 1, s2
	s_and_b32 s2, vcc_lo, exec_lo
	s_waitcnt lgkmcnt(0)
	v_mov_b32_e32 v11, v1
.LBB163_24:
	s_or_b32 exec_lo, exec_lo, s3
	s_and_b32 s3, s2, exec_lo
.LBB163_25:
	s_or_b32 exec_lo, exec_lo, s17
	v_lshlrev_b32_e32 v18, 2, v0
	v_lshlrev_b32_e32 v19, 3, v0
	s_and_b32 vcc_lo, exec_lo, s16
	s_cbranch_vccnz .LBB163_27
	s_branch .LBB163_35
.LBB163_26:
                                        ; implicit-def: $sgpr4
                                        ; implicit-def: $vgpr2
                                        ; implicit-def: $vgpr9_vgpr10
                                        ; implicit-def: $vgpr11_vgpr12
	v_lshlrev_b32_e32 v18, 2, v0
	v_lshlrev_b32_e32 v19, 3, v0
	s_cbranch_execz .LBB163_35
.LBB163_27:
	v_add_co_u32 v1, s2, s10, v18
	v_add_co_ci_u32_e64 v2, null, s11, 0, s2
	s_cmp_eq_u64 s[12:13], 0
	v_add_co_u32 v3, vcc_lo, 0x800, v1
	v_add_co_ci_u32_e64 v4, null, 0, v2, vcc_lo
	s_clause 0x2
	flat_load_dword v5, v[1:2]
	flat_load_dword v2, v[1:2] offset:1024
	flat_load_dword v3, v[3:4]
	v_add_nc_u32_e32 v1, v18, v19
	s_waitcnt vmcnt(1) lgkmcnt(1)
	ds_write2st64_b32 v18, v5, v2 offset1:4
	s_waitcnt vmcnt(0) lgkmcnt(1)
	ds_write_b32 v18, v3 offset:2048
	s_waitcnt lgkmcnt(0)
	s_barrier
	buffer_gl0_inv
	ds_read2_b32 v[3:4], v1 offset1:1
	ds_read_b32 v5, v1 offset:8
	s_cbranch_scc1 .LBB163_32
; %bb.28:
	s_andn2_b32 vcc_lo, exec_lo, s31
	s_cbranch_vccnz .LBB163_106
; %bb.29:
	s_lshl_b64 s[2:3], s[12:13], 2
	s_add_u32 s2, s22, s2
	s_addc_u32 s3, s23, s3
	s_add_u32 s2, s2, -4
	s_addc_u32 s3, s3, -1
	s_cbranch_execnz .LBB163_31
.LBB163_30:
	s_add_u32 s2, s10, -4
	s_addc_u32 s3, s11, -1
.LBB163_31:
	s_mov_b64 s[10:11], s[2:3]
.LBB163_32:
	v_mov_b32_e32 v6, s10
	v_mov_b32_e32 v7, s11
	v_sub_nc_u32_e32 v2, v1, v19
	flat_load_dword v6, v[6:7]
	s_waitcnt lgkmcnt(1)
	ds_write_b32 v2, v5 offset:3072
	s_waitcnt vmcnt(0) lgkmcnt(0)
	s_barrier
	buffer_gl0_inv
	s_and_saveexec_b32 s2, s1
; %bb.33:
	v_sub_nc_u32_e32 v2, 0, v19
	v_add_nc_u32_e32 v2, v1, v2
	ds_read_b32 v6, v2 offset:3068
; %bb.34:
	s_or_b32 exec_lo, exec_lo, s2
	v_add_co_u32 v7, s2, s5, v18
	v_add_co_ci_u32_e64 v8, null, s30, 0, s2
	s_waitcnt lgkmcnt(0)
	v_add_co_u32 v9, vcc_lo, 0x800, v7
	v_add_co_ci_u32_e64 v10, null, 0, v8, vcc_lo
	s_barrier
	buffer_gl0_inv
	s_clause 0x2
	flat_load_dword v2, v[7:8]
	flat_load_dword v7, v[7:8] offset:1024
	flat_load_dword v8, v[9:10]
	v_cmp_ne_u32_e32 vcc_lo, v6, v3
	v_cmp_ne_u32_e64 s4, v4, v5
	s_mov_b32 s3, -1
	s_waitcnt vmcnt(1) lgkmcnt(1)
	ds_write2st64_b32 v18, v2, v7 offset1:4
	s_waitcnt vmcnt(0) lgkmcnt(1)
	ds_write_b32 v18, v8 offset:2048
	s_waitcnt lgkmcnt(0)
	s_barrier
	buffer_gl0_inv
	ds_read2_b32 v[7:8], v1 offset1:1
	ds_read_b32 v2, v1 offset:8
	v_cndmask_b32_e64 v10, 0, 1, vcc_lo
	v_cmp_ne_u32_e32 vcc_lo, v3, v4
	v_cndmask_b32_e64 v12, 0, 1, vcc_lo
	s_waitcnt lgkmcnt(1)
	v_mov_b32_e32 v9, v7
	v_mov_b32_e32 v11, v8
.LBB163_35:
	v_mov_b32_e32 v13, 0
	v_mov_b32_e32 v14, 0
	s_and_saveexec_b32 s2, s3
	s_cbranch_execz .LBB163_37
; %bb.36:
	v_cndmask_b32_e64 v14, 0, 1, s4
	s_waitcnt lgkmcnt(0)
	v_mov_b32_e32 v13, v2
.LBB163_37:
	s_or_b32 exec_lo, exec_lo, s2
	v_or_b32_e32 v23, v12, v14
	v_mbcnt_lo_u32_b32 v20, -1, 0
	v_lshrrev_b32_e32 v21, 5, v0
	v_or_b32_e32 v22, 31, v0
	s_cmp_lg_u32 s27, 0
	s_mov_b32 s4, 0
	s_waitcnt lgkmcnt(0)
	s_barrier
	buffer_gl0_inv
	s_cbranch_scc0 .LBB163_63
; %bb.38:
	v_and_b32_e32 v2, 0xff, v23
	v_mov_b32_e32 v1, 0
	s_mov_b32 s5, 1
	v_and_b32_e32 v8, 15, v20
	v_cmp_gt_u64_e64 s2, s[4:5], v[11:12]
	v_cmp_gt_u64_e64 s3, s[4:5], v[13:14]
	v_cmp_eq_u64_e32 vcc_lo, 0, v[1:2]
	v_cndmask_b32_e64 v3, 0, v9, s2
	v_cndmask_b32_e32 v2, 1, v10, vcc_lo
	v_add_nc_u32_e32 v3, v3, v11
	v_and_b32_e32 v4, 0xff, v2
	v_and_b32_e32 v6, 1, v2
	v_cndmask_b32_e64 v3, 0, v3, s3
	v_mov_b32_dpp v5, v4 row_shr:1 row_mask:0xf bank_mask:0xf
	v_cmp_eq_u32_e32 vcc_lo, 1, v6
	v_add_nc_u32_e32 v3, v3, v13
	v_and_b32_e32 v5, 1, v5
	v_mov_b32_dpp v7, v3 row_shr:1 row_mask:0xf bank_mask:0xf
	v_cndmask_b32_e64 v5, v5, 1, vcc_lo
	v_cmp_eq_u16_e32 vcc_lo, 0, v4
	v_cndmask_b32_e32 v6, 0, v7, vcc_lo
	v_cmp_eq_u32_e32 vcc_lo, 0, v8
	v_cndmask_b32_e32 v4, v5, v4, vcc_lo
	v_cndmask_b32_e32 v2, v5, v2, vcc_lo
	v_cndmask_b32_e64 v6, v6, 0, vcc_lo
	v_mov_b32_dpp v5, v4 row_shr:2 row_mask:0xf bank_mask:0xf
	v_and_b32_e32 v7, 1, v2
	v_add_nc_u32_e32 v3, v6, v3
	v_cmp_eq_u16_sdwa s4, v2, v1 src0_sel:BYTE_0 src1_sel:DWORD
	v_and_b32_e32 v5, 1, v5
	v_cmp_eq_u32_e32 vcc_lo, 1, v7
	v_cndmask_b32_e64 v5, v5, 1, vcc_lo
	v_cmp_lt_u32_e32 vcc_lo, 1, v8
	v_cndmask_b32_e32 v7, v2, v5, vcc_lo
	v_cndmask_b32_e32 v4, v4, v5, vcc_lo
	v_mov_b32_dpp v2, v3 row_shr:2 row_mask:0xf bank_mask:0xf
	s_and_b32 vcc_lo, vcc_lo, s4
	v_and_b32_e32 v6, 1, v7
	v_mov_b32_dpp v5, v4 row_shr:4 row_mask:0xf bank_mask:0xf
	v_cndmask_b32_e32 v2, 0, v2, vcc_lo
	v_cmp_eq_u16_sdwa s4, v7, v1 src0_sel:BYTE_0 src1_sel:DWORD
	v_cmp_eq_u32_e32 vcc_lo, 1, v6
	v_and_b32_e32 v5, 1, v5
	v_add_nc_u32_e32 v2, v2, v3
	v_cndmask_b32_e64 v5, v5, 1, vcc_lo
	v_cmp_lt_u32_e32 vcc_lo, 3, v8
	v_cndmask_b32_e32 v3, v7, v5, vcc_lo
	v_cndmask_b32_e32 v4, v4, v5, vcc_lo
	v_mov_b32_dpp v5, v2 row_shr:4 row_mask:0xf bank_mask:0xf
	s_and_b32 vcc_lo, vcc_lo, s4
	v_and_b32_e32 v7, 1, v3
	v_mov_b32_dpp v6, v4 row_shr:8 row_mask:0xf bank_mask:0xf
	v_cndmask_b32_e32 v5, 0, v5, vcc_lo
	v_cmp_eq_u16_sdwa s4, v3, v1 src0_sel:BYTE_0 src1_sel:DWORD
	v_cmp_eq_u32_e32 vcc_lo, 1, v7
	v_and_b32_e32 v6, 1, v6
	v_add_nc_u32_e32 v2, v5, v2
	v_bfe_i32 v7, v20, 4, 1
	v_cndmask_b32_e64 v5, v6, 1, vcc_lo
	v_cmp_lt_u32_e32 vcc_lo, 7, v8
	v_mov_b32_dpp v6, v2 row_shr:8 row_mask:0xf bank_mask:0xf
	s_and_b32 s4, vcc_lo, s4
	v_cndmask_b32_e32 v4, v4, v5, vcc_lo
	v_cndmask_b32_e64 v6, 0, v6, s4
	v_cndmask_b32_e32 v3, v3, v5, vcc_lo
	ds_swizzle_b32 v5, v4 offset:swizzle(BROADCAST,32,15)
	v_add_nc_u32_e32 v2, v6, v2
	v_and_b32_e32 v8, 1, v3
	v_cmp_eq_u16_sdwa vcc_lo, v3, v1 src0_sel:BYTE_0 src1_sel:DWORD
	v_and_b32_e32 v3, 16, v20
	ds_swizzle_b32 v6, v2 offset:swizzle(BROADCAST,32,15)
	v_cmp_eq_u32_e64 s4, 0, v3
	s_waitcnt lgkmcnt(1)
	v_and_b32_e32 v5, 1, v5
	s_waitcnt lgkmcnt(0)
	v_cndmask_b32_e32 v1, 0, v6, vcc_lo
	v_cmp_eq_u32_e32 vcc_lo, 1, v8
	v_and_b32_e32 v1, v7, v1
	v_cndmask_b32_e64 v5, v5, 1, vcc_lo
	v_add_nc_u32_e32 v3, v1, v2
	v_cndmask_b32_e64 v4, v5, v4, s4
	v_lshlrev_b32_e32 v5, 3, v21
	s_mov_b32 s4, exec_lo
	v_cmpx_eq_u32_e64 v0, v22
	s_cbranch_execz .LBB163_40
; %bb.39:
	ds_write_b32 v5, v3
	ds_write_b8 v5, v4 offset:4
.LBB163_40:
	s_or_b32 exec_lo, exec_lo, s4
	s_mov_b32 s4, exec_lo
	s_waitcnt lgkmcnt(0)
	s_barrier
	buffer_gl0_inv
	v_cmpx_gt_u32_e32 8, v0
	s_cbranch_execz .LBB163_46
; %bb.41:
	ds_read_b64 v[1:2], v19
	v_and_b32_e32 v6, 7, v20
	s_mov_b32 s5, exec_lo
	s_waitcnt lgkmcnt(0)
	v_and_b32_e32 v7, 0xffffff00, v2
	v_mov_b32_dpp v15, v1 row_shr:1 row_mask:0xf bank_mask:0xf
	v_mov_b32_dpp v16, v2 row_shr:1 row_mask:0xf bank_mask:0xf
	v_mov_b32_e32 v8, v2
	v_cmpx_ne_u32_e32 0, v6
	s_cbranch_execz .LBB163_43
; %bb.42:
	v_mov_b32_e32 v8, 0
	v_and_b32_e32 v17, 1, v2
	v_and_b32_e32 v16, 1, v16
	v_cmp_eq_u16_sdwa vcc_lo, v2, v8 src0_sel:BYTE_0 src1_sel:DWORD
	v_cndmask_b32_e32 v2, 0, v15, vcc_lo
	v_cmp_eq_u32_e32 vcc_lo, 1, v17
	v_add_nc_u32_e32 v1, v2, v1
	v_cndmask_b32_e64 v15, v16, 1, vcc_lo
	v_or_b32_sdwa v8, v7, v15 dst_sel:DWORD dst_unused:UNUSED_PAD src0_sel:DWORD src1_sel:WORD_0
	v_mov_b32_e32 v2, v15
.LBB163_43:
	s_or_b32 exec_lo, exec_lo, s5
	v_mov_b32_dpp v15, v1 row_shr:2 row_mask:0xf bank_mask:0xf
	v_mov_b32_dpp v16, v8 row_shr:2 row_mask:0xf bank_mask:0xf
	s_mov_b32 s5, exec_lo
	v_cmpx_lt_u32_e32 1, v6
	s_cbranch_execz .LBB163_45
; %bb.44:
	v_mov_b32_e32 v8, 0
	v_and_b32_e32 v17, 1, v2
	v_and_b32_e32 v16, 1, v16
	v_cmp_eq_u16_sdwa vcc_lo, v2, v8 src0_sel:BYTE_0 src1_sel:DWORD
	v_cndmask_b32_e32 v2, 0, v15, vcc_lo
	v_cmp_eq_u32_e32 vcc_lo, 1, v17
	v_add_nc_u32_e32 v1, v2, v1
	v_cndmask_b32_e64 v15, v16, 1, vcc_lo
	v_or_b32_sdwa v8, v7, v15 dst_sel:DWORD dst_unused:UNUSED_PAD src0_sel:DWORD src1_sel:WORD_0
	v_mov_b32_e32 v2, v15
.LBB163_45:
	s_or_b32 exec_lo, exec_lo, s5
	v_mov_b32_dpp v7, v8 row_shr:4 row_mask:0xf bank_mask:0xf
	v_and_b32_e32 v15, 1, v2
	v_mov_b32_e32 v8, 0
	v_and_b32_e32 v7, 1, v7
	v_cmp_eq_u32_e32 vcc_lo, 1, v15
	v_cmp_eq_u16_sdwa s5, v2, v8 src0_sel:BYTE_0 src1_sel:DWORD
	v_cndmask_b32_e64 v7, v7, 1, vcc_lo
	v_cmp_lt_u32_e32 vcc_lo, 3, v6
	v_mov_b32_dpp v6, v1 row_shr:4 row_mask:0xf bank_mask:0xf
	v_cndmask_b32_e32 v2, v2, v7, vcc_lo
	s_and_b32 vcc_lo, vcc_lo, s5
	v_cndmask_b32_e32 v6, 0, v6, vcc_lo
	v_add_nc_u32_e32 v1, v6, v1
	ds_write_b32 v19, v1
	ds_write_b8 v19, v2 offset:4
.LBB163_46:
	s_or_b32 exec_lo, exec_lo, s4
	v_mov_b32_e32 v24, 0
	v_mov_b32_e32 v25, 0
	s_mov_b32 s5, exec_lo
	v_cmp_gt_u32_e32 vcc_lo, 32, v0
	s_waitcnt lgkmcnt(0)
	s_barrier
	buffer_gl0_inv
	v_cmpx_lt_u32_e32 31, v0
	s_cbranch_execz .LBB163_48
; %bb.47:
	v_add_nc_u32_e32 v1, -8, v5
	v_cmp_eq_u32_e64 s4, 0, v4
	v_and_b32_e32 v2, 1, v4
	ds_read_b32 v24, v1
	v_add_nc_u32_e32 v1, -4, v5
	ds_read_u8 v25, v1
	s_waitcnt lgkmcnt(1)
	v_cndmask_b32_e64 v1, 0, v24, s4
	v_cmp_eq_u32_e64 s4, 1, v2
	v_add_nc_u32_e32 v3, v1, v3
	s_waitcnt lgkmcnt(0)
	v_cndmask_b32_e64 v4, v25, 1, s4
.LBB163_48:
	s_or_b32 exec_lo, exec_lo, s5
	v_sub_co_u32 v1, s4, v20, 1
	v_cmp_gt_i32_e64 s5, 0, v1
	v_cndmask_b32_e64 v1, v1, v20, s5
	v_lshlrev_b32_e32 v1, 2, v1
	ds_bpermute_b32 v26, v1, v3
	ds_bpermute_b32 v27, v1, v4
	s_and_saveexec_b32 s12, vcc_lo
	s_cbranch_execz .LBB163_68
; %bb.49:
	v_mov_b32_e32 v4, 0
	ds_read_b64 v[1:2], v4 offset:56
	s_and_saveexec_b32 s5, s4
	s_cbranch_execz .LBB163_51
; %bb.50:
	s_add_i32 s10, s27, 32
	s_mov_b32 s11, 0
	v_mov_b32_e32 v3, 1
	s_lshl_b64 s[10:11], s[10:11], 4
	s_add_u32 s10, s24, s10
	s_addc_u32 s11, s25, s11
	v_mov_b32_e32 v5, s10
	v_mov_b32_e32 v6, s11
	s_waitcnt lgkmcnt(0)
	;;#ASMSTART
	global_store_dwordx4 v[5:6], v[1:4] off	
s_waitcnt vmcnt(0)
	;;#ASMEND
.LBB163_51:
	s_or_b32 exec_lo, exec_lo, s5
	v_xad_u32 v15, v20, -1, s27
	s_mov_b32 s10, 0
	v_add_nc_u32_e32 v3, 32, v15
	v_lshlrev_b64 v[5:6], 4, v[3:4]
	v_add_co_u32 v16, vcc_lo, s24, v5
	v_add_co_ci_u32_e64 v17, null, s25, v6, vcc_lo
	;;#ASMSTART
	global_load_dwordx4 v[5:8], v[16:17] off glc dlc	
s_waitcnt vmcnt(0)
	;;#ASMEND
	v_and_b32_e32 v6, 0xff, v6
	v_cmp_eq_u16_sdwa s11, v7, v4 src0_sel:BYTE_0 src1_sel:DWORD
	s_and_saveexec_b32 s5, s11
	s_cbranch_execz .LBB163_55
; %bb.52:
	v_mov_b32_e32 v3, 0
.LBB163_53:                             ; =>This Inner Loop Header: Depth=1
	;;#ASMSTART
	global_load_dwordx4 v[5:8], v[16:17] off glc dlc	
s_waitcnt vmcnt(0)
	;;#ASMEND
	v_cmp_ne_u16_sdwa s11, v7, v3 src0_sel:BYTE_0 src1_sel:DWORD
	s_or_b32 s10, s11, s10
	s_andn2_b32 exec_lo, exec_lo, s10
	s_cbranch_execnz .LBB163_53
; %bb.54:
	s_or_b32 exec_lo, exec_lo, s10
	v_and_b32_e32 v6, 0xff, v6
.LBB163_55:
	s_or_b32 exec_lo, exec_lo, s5
	v_cmp_ne_u32_e32 vcc_lo, 31, v20
	v_mov_b32_e32 v28, 2
	v_lshlrev_b32_e64 v29, v20, -1
	v_and_b32_e32 v8, 1, v6
	s_mov_b32 s10, 0
	v_add_co_ci_u32_e64 v3, null, 0, v20, vcc_lo
	v_cmp_eq_u16_sdwa s5, v7, v28 src0_sel:BYTE_0 src1_sel:DWORD
	v_cmp_eq_u32_e32 vcc_lo, 1, v8
	s_mov_b32 s11, 1
	v_lshlrev_b32_e32 v17, 2, v3
	v_add_nc_u32_e32 v37, 8, v20
	v_and_or_b32 v4, s5, v29, 0x80000000
	v_cmp_gt_u64_e64 s5, s[10:11], v[5:6]
	v_lshl_or_b32 v38, v20, 2, 64
	ds_bpermute_b32 v3, v17, v6
	ds_bpermute_b32 v16, v17, v5
	v_ffbl_b32_e32 v4, v4
	v_add_nc_u32_e32 v39, 16, v20
	s_waitcnt lgkmcnt(1)
	v_and_b32_e32 v3, 1, v3
	v_cndmask_b32_e64 v3, v3, 1, vcc_lo
	v_cmp_gt_u32_e32 vcc_lo, 30, v20
	v_and_b32_e32 v31, 0xffff, v3
	v_cndmask_b32_e64 v8, 0, 2, vcc_lo
	v_cmp_lt_u32_e32 vcc_lo, v20, v4
	v_add_lshl_u32 v30, v8, v20, 2
	v_cndmask_b32_e32 v8, v6, v31, vcc_lo
	v_cndmask_b32_e32 v3, v6, v3, vcc_lo
	s_and_b32 vcc_lo, vcc_lo, s5
	s_waitcnt lgkmcnt(0)
	v_cndmask_b32_e32 v6, 0, v16, vcc_lo
	ds_bpermute_b32 v31, v30, v8
	v_and_b32_e32 v16, 1, v3
	v_add_nc_u32_e32 v5, v6, v5
	v_cmp_eq_u32_e32 vcc_lo, 1, v16
	v_mov_b32_e32 v16, 0
	ds_bpermute_b32 v6, v30, v5
	v_cmp_eq_u16_sdwa s5, v3, v16 src0_sel:BYTE_0 src1_sel:DWORD
	s_waitcnt lgkmcnt(1)
	v_and_b32_e32 v32, 1, v31
	v_add_nc_u32_e32 v31, 2, v20
	v_cndmask_b32_e64 v33, v32, 1, vcc_lo
	v_cmp_gt_u32_e32 vcc_lo, 28, v20
	v_and_b32_e32 v34, 0xffff, v33
	v_cndmask_b32_e64 v32, 0, 4, vcc_lo
	v_cmp_gt_u32_e32 vcc_lo, v31, v4
	v_add_lshl_u32 v32, v32, v20, 2
	v_cndmask_b32_e32 v8, v34, v8, vcc_lo
	v_cndmask_b32_e32 v35, v33, v3, vcc_lo
	s_waitcnt lgkmcnt(0)
	v_cndmask_b32_e64 v3, 0, v6, s5
	v_add_nc_u32_e32 v33, 4, v20
	ds_bpermute_b32 v6, v32, v8
	v_and_b32_e32 v34, 1, v35
	v_cndmask_b32_e64 v3, v3, 0, vcc_lo
	v_cmp_eq_u16_sdwa s5, v35, v16 src0_sel:BYTE_0 src1_sel:DWORD
	v_cmp_eq_u32_e32 vcc_lo, 1, v34
	v_add_nc_u32_e32 v3, v3, v5
	ds_bpermute_b32 v5, v32, v3
	s_waitcnt lgkmcnt(1)
	v_and_b32_e32 v6, 1, v6
	v_cndmask_b32_e64 v6, v6, 1, vcc_lo
	v_cmp_gt_u32_e32 vcc_lo, 24, v20
	v_and_b32_e32 v36, 0xffff, v6
	v_cndmask_b32_e64 v34, 0, 8, vcc_lo
	v_cmp_gt_u32_e32 vcc_lo, v33, v4
	s_waitcnt lgkmcnt(0)
	v_cndmask_b32_e64 v5, 0, v5, s5
	v_add_lshl_u32 v34, v34, v20, 2
	v_cndmask_b32_e32 v8, v36, v8, vcc_lo
	v_cndmask_b32_e32 v6, v6, v35, vcc_lo
	v_cndmask_b32_e64 v5, v5, 0, vcc_lo
	ds_bpermute_b32 v35, v34, v8
	v_and_b32_e32 v36, 1, v6
	v_add_nc_u32_e32 v3, v5, v3
	v_cmp_eq_u32_e32 vcc_lo, 1, v36
	ds_bpermute_b32 v5, v34, v3
	s_waitcnt lgkmcnt(1)
	v_and_b32_e32 v35, 1, v35
	v_cndmask_b32_e64 v35, v35, 1, vcc_lo
	v_cmp_eq_u16_sdwa vcc_lo, v6, v16 src0_sel:BYTE_0 src1_sel:DWORD
	v_and_b32_e32 v36, 0xffff, v35
	s_waitcnt lgkmcnt(0)
	v_cndmask_b32_e32 v5, 0, v5, vcc_lo
	v_cmp_gt_u32_e32 vcc_lo, v37, v4
	v_cndmask_b32_e64 v5, v5, 0, vcc_lo
	v_cndmask_b32_e32 v8, v36, v8, vcc_lo
	v_cndmask_b32_e32 v6, v35, v6, vcc_lo
	v_add_nc_u32_e32 v3, v5, v3
	ds_bpermute_b32 v5, v38, v8
	v_and_b32_e32 v35, 1, v6
	v_cmp_eq_u16_sdwa vcc_lo, v6, v16 src0_sel:BYTE_0 src1_sel:DWORD
	ds_bpermute_b32 v8, v38, v3
	s_waitcnt lgkmcnt(1)
	v_and_b32_e32 v5, 1, v5
	s_waitcnt lgkmcnt(0)
	v_cndmask_b32_e32 v8, 0, v8, vcc_lo
	v_cmp_eq_u32_e32 vcc_lo, 1, v35
	v_cndmask_b32_e64 v5, v5, 1, vcc_lo
	v_cmp_gt_u32_e32 vcc_lo, v39, v4
	v_cndmask_b32_e32 v4, v5, v6, vcc_lo
	v_cndmask_b32_e64 v5, v8, 0, vcc_lo
	v_add_nc_u32_e32 v3, v5, v3
	s_branch .LBB163_59
.LBB163_56:                             ;   in Loop: Header=BB163_59 Depth=1
	s_or_b32 exec_lo, exec_lo, s13
	v_and_b32_e32 v6, 0xff, v6
.LBB163_57:                             ;   in Loop: Header=BB163_59 Depth=1
	s_or_b32 exec_lo, exec_lo, s5
	ds_bpermute_b32 v3, v17, v6
	v_cmp_eq_u16_sdwa s5, v7, v28 src0_sel:BYTE_0 src1_sel:DWORD
	v_and_b32_e32 v4, 1, v6
	v_subrev_nc_u32_e32 v15, 32, v15
	v_and_or_b32 v8, s5, v29, 0x80000000
	v_cmp_eq_u32_e32 vcc_lo, 1, v4
	v_cmp_gt_u64_e64 s5, s[10:11], v[5:6]
	v_ffbl_b32_e32 v4, v8
	ds_bpermute_b32 v8, v17, v5
	s_waitcnt lgkmcnt(1)
	v_and_b32_e32 v3, 1, v3
	v_cndmask_b32_e64 v3, v3, 1, vcc_lo
	v_cmp_lt_u32_e32 vcc_lo, v20, v4
	v_and_b32_e32 v40, 0xffff, v3
	v_cndmask_b32_e32 v3, v6, v3, vcc_lo
	v_cndmask_b32_e32 v40, v6, v40, vcc_lo
	s_and_b32 vcc_lo, vcc_lo, s5
	v_cmp_eq_u16_sdwa s5, v3, v16 src0_sel:BYTE_0 src1_sel:DWORD
	s_waitcnt lgkmcnt(0)
	v_cndmask_b32_e32 v6, 0, v8, vcc_lo
	v_and_b32_e32 v8, 1, v3
	ds_bpermute_b32 v41, v30, v40
	v_add_nc_u32_e32 v5, v6, v5
	v_cmp_eq_u32_e32 vcc_lo, 1, v8
	ds_bpermute_b32 v6, v30, v5
	s_waitcnt lgkmcnt(1)
	v_and_b32_e32 v41, 1, v41
	v_cndmask_b32_e64 v8, v41, 1, vcc_lo
	v_cmp_gt_u32_e32 vcc_lo, v31, v4
	v_and_b32_e32 v41, 0xffff, v8
	v_cndmask_b32_e32 v8, v8, v3, vcc_lo
	s_waitcnt lgkmcnt(0)
	v_cndmask_b32_e64 v3, 0, v6, s5
	v_cndmask_b32_e32 v40, v41, v40, vcc_lo
	v_and_b32_e32 v41, 1, v8
	v_cndmask_b32_e64 v3, v3, 0, vcc_lo
	v_cmp_eq_u16_sdwa s5, v8, v16 src0_sel:BYTE_0 src1_sel:DWORD
	ds_bpermute_b32 v6, v32, v40
	v_cmp_eq_u32_e32 vcc_lo, 1, v41
	v_add_nc_u32_e32 v3, v3, v5
	ds_bpermute_b32 v5, v32, v3
	s_waitcnt lgkmcnt(1)
	v_and_b32_e32 v6, 1, v6
	v_cndmask_b32_e64 v6, v6, 1, vcc_lo
	v_cmp_gt_u32_e32 vcc_lo, v33, v4
	s_waitcnt lgkmcnt(0)
	v_cndmask_b32_e64 v5, 0, v5, s5
	s_mov_b32 s5, 0
	v_and_b32_e32 v41, 0xffff, v6
	v_cndmask_b32_e32 v6, v6, v8, vcc_lo
	v_cndmask_b32_e64 v5, v5, 0, vcc_lo
	v_cndmask_b32_e32 v8, v41, v40, vcc_lo
	v_and_b32_e32 v41, 1, v6
	v_add_nc_u32_e32 v3, v5, v3
	ds_bpermute_b32 v40, v34, v8
	v_cmp_eq_u32_e32 vcc_lo, 1, v41
	ds_bpermute_b32 v5, v34, v3
	s_waitcnt lgkmcnt(1)
	v_and_b32_e32 v40, 1, v40
	v_cndmask_b32_e64 v40, v40, 1, vcc_lo
	v_cmp_eq_u16_sdwa vcc_lo, v6, v16 src0_sel:BYTE_0 src1_sel:DWORD
	v_and_b32_e32 v41, 0xffff, v40
	s_waitcnt lgkmcnt(0)
	v_cndmask_b32_e32 v5, 0, v5, vcc_lo
	v_cmp_gt_u32_e32 vcc_lo, v37, v4
	v_cndmask_b32_e64 v5, v5, 0, vcc_lo
	v_cndmask_b32_e32 v8, v41, v8, vcc_lo
	v_cndmask_b32_e32 v6, v40, v6, vcc_lo
	v_add_nc_u32_e32 v3, v5, v3
	ds_bpermute_b32 v5, v38, v8
	v_and_b32_e32 v40, 1, v6
	ds_bpermute_b32 v8, v38, v3
	v_cmp_eq_u32_e32 vcc_lo, 1, v40
	s_waitcnt lgkmcnt(1)
	v_cndmask_b32_e64 v5, v5, 1, vcc_lo
	v_cmp_eq_u16_sdwa vcc_lo, v6, v16 src0_sel:BYTE_0 src1_sel:DWORD
	s_waitcnt lgkmcnt(0)
	v_cndmask_b32_e32 v8, 0, v8, vcc_lo
	v_cmp_gt_u32_e32 vcc_lo, v39, v4
	v_cndmask_b32_e32 v4, v5, v6, vcc_lo
	v_cndmask_b32_e64 v5, v8, 0, vcc_lo
	v_cmp_eq_u16_sdwa vcc_lo, v35, v16 src0_sel:BYTE_0 src1_sel:DWORD
	v_and_b32_e32 v4, 1, v4
	v_add_nc_u32_e32 v3, v5, v3
	v_and_b32_e32 v5, 1, v35
	v_cndmask_b32_e32 v3, 0, v3, vcc_lo
	v_cmp_eq_u32_e32 vcc_lo, 1, v5
	v_add_nc_u32_e32 v3, v3, v36
	v_cndmask_b32_e64 v4, v4, 1, vcc_lo
.LBB163_58:                             ;   in Loop: Header=BB163_59 Depth=1
	s_and_b32 vcc_lo, exec_lo, s5
	s_cbranch_vccnz .LBB163_64
.LBB163_59:                             ; =>This Loop Header: Depth=1
                                        ;     Child Loop BB163_62 Depth 2
	v_cmp_ne_u16_sdwa s5, v7, v28 src0_sel:BYTE_0 src1_sel:DWORD
	v_mov_b32_e32 v35, v4
	v_mov_b32_e32 v36, v3
                                        ; implicit-def: $vgpr4
                                        ; implicit-def: $vgpr3
                                        ; implicit-def: $vgpr7
	s_cmp_lg_u32 s5, exec_lo
	s_mov_b32 s5, -1
	s_cbranch_scc1 .LBB163_58
; %bb.60:                               ;   in Loop: Header=BB163_59 Depth=1
	v_lshlrev_b64 v[3:4], 4, v[15:16]
	v_add_co_u32 v3, vcc_lo, s24, v3
	v_add_co_ci_u32_e64 v4, null, s25, v4, vcc_lo
	;;#ASMSTART
	global_load_dwordx4 v[5:8], v[3:4] off glc dlc	
s_waitcnt vmcnt(0)
	;;#ASMEND
	v_and_b32_e32 v6, 0xff, v6
	v_cmp_eq_u16_sdwa s13, v7, v16 src0_sel:BYTE_0 src1_sel:DWORD
	s_and_saveexec_b32 s5, s13
	s_cbranch_execz .LBB163_57
; %bb.61:                               ;   in Loop: Header=BB163_59 Depth=1
	s_mov_b32 s13, 0
.LBB163_62:                             ;   Parent Loop BB163_59 Depth=1
                                        ; =>  This Inner Loop Header: Depth=2
	;;#ASMSTART
	global_load_dwordx4 v[5:8], v[3:4] off glc dlc	
s_waitcnt vmcnt(0)
	;;#ASMEND
	v_cmp_ne_u16_sdwa s16, v7, v16 src0_sel:BYTE_0 src1_sel:DWORD
	s_or_b32 s13, s16, s13
	s_andn2_b32 exec_lo, exec_lo, s13
	s_cbranch_execnz .LBB163_62
	s_branch .LBB163_56
.LBB163_63:
                                        ; implicit-def: $vgpr7
                                        ; implicit-def: $vgpr5
                                        ; implicit-def: $vgpr6
	s_cbranch_execnz .LBB163_69
	s_branch .LBB163_86
.LBB163_64:
	s_and_saveexec_b32 s5, s4
	s_cbranch_execz .LBB163_66
; %bb.65:
	v_mov_b32_e32 v4, 0
	v_and_b32_e32 v3, 1, v2
	s_mov_b32 s11, 0
	s_add_i32 s10, s27, 32
	v_and_b32_e32 v5, 1, v35
	v_cmp_eq_u32_sdwa vcc_lo, v2, v4 src0_sel:BYTE_0 src1_sel:DWORD
	s_lshl_b64 s[10:11], s[10:11], 4
	s_add_u32 s10, s24, s10
	s_addc_u32 s11, s25, s11
	v_cndmask_b32_e32 v2, 0, v36, vcc_lo
	v_cmp_eq_u32_e32 vcc_lo, 1, v3
	v_mov_b32_e32 v3, 2
	v_add_nc_u32_e32 v1, v2, v1
	v_cndmask_b32_e64 v2, v5, 1, vcc_lo
	v_mov_b32_e32 v5, s10
	v_mov_b32_e32 v6, s11
	;;#ASMSTART
	global_store_dwordx4 v[5:6], v[1:4] off	
s_waitcnt vmcnt(0)
	;;#ASMEND
.LBB163_66:
	s_or_b32 exec_lo, exec_lo, s5
	s_and_b32 exec_lo, exec_lo, s0
	s_cbranch_execz .LBB163_68
; %bb.67:
	v_mov_b32_e32 v1, 0
	ds_write_b32 v1, v36 offset:56
	ds_write_b8 v1, v35 offset:60
.LBB163_68:
	s_or_b32 exec_lo, exec_lo, s12
	v_mov_b32_e32 v1, 0
	s_waitcnt lgkmcnt(0)
	v_cndmask_b32_e64 v2, v27, v25, s4
	v_and_b32_e32 v4, 1, v10
	s_barrier
	buffer_gl0_inv
	ds_read_b32 v3, v1 offset:56
	v_and_b32_e32 v2, 1, v2
	v_cmp_eq_u32_e32 vcc_lo, 1, v4
	v_cndmask_b32_e64 v5, v26, v24, s4
	s_mov_b32 s5, 1
	s_mov_b32 s4, 0
	v_cndmask_b32_e64 v2, v2, 1, vcc_lo
	v_cmp_gt_u64_e32 vcc_lo, s[4:5], v[9:10]
	v_cndmask_b32_e64 v2, v2, v10, s0
	v_cndmask_b32_e32 v4, 0, v5, vcc_lo
	v_cmp_eq_u16_sdwa vcc_lo, v2, v1 src0_sel:BYTE_0 src1_sel:DWORD
	v_cndmask_b32_e64 v4, v4, 0, s0
	s_waitcnt lgkmcnt(0)
	v_cndmask_b32_e32 v1, 0, v3, vcc_lo
	v_add3_u32 v7, v4, v9, v1
	v_cndmask_b32_e64 v1, 0, v7, s2
	v_add_nc_u32_e32 v5, v1, v11
	v_cndmask_b32_e64 v1, 0, v5, s3
	v_add_nc_u32_e32 v6, v1, v13
	s_branch .LBB163_86
.LBB163_69:
	s_cmp_lg_u64 s[28:29], 0
	s_cselect_b32 s2, -1, 0
	s_cmp_lg_u64 s[18:19], 0
	s_cselect_b32 s3, -1, 0
	s_and_b32 s2, s2, s3
	s_and_b32 s3, s0, s2
	s_and_saveexec_b32 s2, s3
	s_cbranch_execz .LBB163_71
; %bb.70:
	v_mov_b32_e32 v1, 0
	s_mov_b32 s4, 0
	s_mov_b32 s5, 1
	s_clause 0x1
	global_load_dword v2, v1, s[18:19]
	global_load_ubyte v3, v1, s[18:19] offset:4
	v_cmp_gt_u64_e32 vcc_lo, s[4:5], v[9:10]
	s_waitcnt vmcnt(1)
	v_cndmask_b32_e32 v4, 0, v2, vcc_lo
	v_and_b32_e32 v2, 1, v10
	s_waitcnt vmcnt(0)
	v_and_b32_e32 v3, 1, v3
	v_add_nc_u32_e32 v9, v4, v9
	v_cmp_eq_u64_e32 vcc_lo, 0, v[1:2]
	v_cndmask_b32_e32 v10, 1, v3, vcc_lo
.LBB163_71:
	s_or_b32 exec_lo, exec_lo, s2
	v_and_b32_e32 v2, 0xff, v23
	v_mov_b32_e32 v1, 0
	s_mov_b32 s4, 0
	s_mov_b32 s5, 1
	v_and_b32_e32 v7, 15, v20
	v_cmp_eq_u64_e32 vcc_lo, 0, v[1:2]
	v_cmp_eq_u32_e64 s3, 0, v7
	v_cndmask_b32_e32 v2, 1, v10, vcc_lo
	v_cmp_gt_u64_e32 vcc_lo, s[4:5], v[11:12]
	v_and_b32_e32 v3, 0xff, v2
	v_and_b32_e32 v6, 1, v2
	v_cndmask_b32_e32 v5, 0, v9, vcc_lo
	v_mov_b32_dpp v4, v3 row_shr:1 row_mask:0xf bank_mask:0xf
	v_cmp_eq_u32_e64 s2, 1, v6
	v_add_nc_u32_e32 v5, v5, v11
	v_and_b32_e32 v4, 1, v4
	v_cndmask_b32_e64 v4, v4, 1, s2
	v_cmp_gt_u64_e64 s2, s[4:5], v[13:14]
	v_cmp_eq_u16_e64 s4, 0, v3
	v_cndmask_b32_e64 v8, v4, v3, s3
	v_cndmask_b32_e64 v2, v4, v2, s3
	;; [unrolled: 1-line block ×3, first 2 shown]
	v_mov_b32_dpp v4, v8 row_shr:2 row_mask:0xf bank_mask:0xf
	v_and_b32_e32 v14, 1, v2
	v_add_nc_u32_e32 v6, v6, v13
	v_and_b32_e32 v4, 1, v4
	v_mov_b32_dpp v12, v6 row_shr:1 row_mask:0xf bank_mask:0xf
	v_cndmask_b32_e64 v3, 0, v12, s4
	v_cmp_eq_u32_e64 s4, 1, v14
	v_cndmask_b32_e64 v3, v3, 0, s3
	v_cndmask_b32_e64 v4, v4, 1, s4
	v_cmp_lt_u32_e64 s4, 1, v7
	v_cmp_eq_u16_sdwa s3, v2, v1 src0_sel:BYTE_0 src1_sel:DWORD
	v_add_nc_u32_e32 v3, v3, v6
	v_cndmask_b32_e64 v12, v2, v4, s4
	v_cndmask_b32_e64 v4, v8, v4, s4
	s_and_b32 s3, s4, s3
	v_mov_b32_dpp v2, v3 row_shr:2 row_mask:0xf bank_mask:0xf
	v_and_b32_e32 v14, 1, v12
	v_mov_b32_dpp v8, v4 row_shr:4 row_mask:0xf bank_mask:0xf
	v_cmp_eq_u16_sdwa s4, v12, v1 src0_sel:BYTE_0 src1_sel:DWORD
	v_cndmask_b32_e64 v2, 0, v2, s3
	v_cmp_eq_u32_e64 s3, 1, v14
	v_and_b32_e32 v8, 1, v8
	v_add_nc_u32_e32 v2, v2, v3
	v_cndmask_b32_e64 v8, v8, 1, s3
	v_cmp_lt_u32_e64 s3, 3, v7
	v_cndmask_b32_e64 v3, v12, v8, s3
	v_cndmask_b32_e64 v4, v4, v8, s3
	v_mov_b32_dpp v8, v2 row_shr:4 row_mask:0xf bank_mask:0xf
	s_and_b32 s3, s3, s4
	v_and_b32_e32 v14, 1, v3
	v_mov_b32_dpp v12, v4 row_shr:8 row_mask:0xf bank_mask:0xf
	v_cndmask_b32_e64 v8, 0, v8, s3
	v_cmp_eq_u16_sdwa s4, v3, v1 src0_sel:BYTE_0 src1_sel:DWORD
	v_cmp_eq_u32_e64 s3, 1, v14
	v_and_b32_e32 v12, 1, v12
	v_add_nc_u32_e32 v2, v8, v2
	v_cndmask_b32_e64 v8, v12, 1, s3
	v_cmp_lt_u32_e64 s3, 7, v7
	v_mov_b32_dpp v7, v2 row_shr:8 row_mask:0xf bank_mask:0xf
	v_bfe_i32 v12, v20, 4, 1
	s_and_b32 s4, s3, s4
	v_cndmask_b32_e64 v4, v4, v8, s3
	v_cndmask_b32_e64 v7, 0, v7, s4
	;; [unrolled: 1-line block ×3, first 2 shown]
	s_mov_b32 s4, exec_lo
	v_add_nc_u32_e32 v2, v7, v2
	ds_swizzle_b32 v7, v4 offset:swizzle(BROADCAST,32,15)
	v_and_b32_e32 v14, 1, v3
	v_cmp_eq_u16_sdwa s3, v3, v1 src0_sel:BYTE_0 src1_sel:DWORD
	v_and_b32_e32 v3, 16, v20
	ds_swizzle_b32 v8, v2 offset:swizzle(BROADCAST,32,15)
	s_waitcnt lgkmcnt(1)
	v_and_b32_e32 v7, 1, v7
	s_waitcnt lgkmcnt(0)
	v_cndmask_b32_e64 v1, 0, v8, s3
	v_cmp_eq_u32_e64 s3, 1, v14
	v_and_b32_e32 v1, v12, v1
	v_cndmask_b32_e64 v7, v7, 1, s3
	v_cmp_eq_u32_e64 s3, 0, v3
	v_add_nc_u32_e32 v3, v1, v2
	v_cndmask_b32_e64 v4, v7, v4, s3
	v_cmpx_eq_u32_e64 v0, v22
	s_cbranch_execz .LBB163_73
; %bb.72:
	v_lshlrev_b32_e32 v1, 3, v21
	ds_write_b32 v1, v3
	ds_write_b8 v1, v4 offset:4
.LBB163_73:
	s_or_b32 exec_lo, exec_lo, s4
	s_mov_b32 s4, exec_lo
	s_waitcnt lgkmcnt(0)
	s_barrier
	buffer_gl0_inv
	v_cmpx_gt_u32_e32 8, v0
	s_cbranch_execz .LBB163_79
; %bb.74:
	ds_read_b64 v[1:2], v19
	v_and_b32_e32 v7, 7, v20
	s_mov_b32 s5, exec_lo
	s_waitcnt lgkmcnt(0)
	v_and_b32_e32 v8, 0xffffff00, v2
	v_mov_b32_dpp v14, v1 row_shr:1 row_mask:0xf bank_mask:0xf
	v_mov_b32_dpp v15, v2 row_shr:1 row_mask:0xf bank_mask:0xf
	v_mov_b32_e32 v12, v2
	v_cmpx_ne_u32_e32 0, v7
	s_cbranch_execz .LBB163_76
; %bb.75:
	v_mov_b32_e32 v12, 0
	v_and_b32_e32 v16, 1, v2
	v_and_b32_e32 v15, 1, v15
	v_cmp_eq_u16_sdwa s3, v2, v12 src0_sel:BYTE_0 src1_sel:DWORD
	v_cndmask_b32_e64 v2, 0, v14, s3
	v_cmp_eq_u32_e64 s3, 1, v16
	v_add_nc_u32_e32 v1, v2, v1
	v_cndmask_b32_e64 v14, v15, 1, s3
	v_or_b32_sdwa v12, v8, v14 dst_sel:DWORD dst_unused:UNUSED_PAD src0_sel:DWORD src1_sel:WORD_0
	v_mov_b32_e32 v2, v14
.LBB163_76:
	s_or_b32 exec_lo, exec_lo, s5
	v_mov_b32_dpp v14, v1 row_shr:2 row_mask:0xf bank_mask:0xf
	v_mov_b32_dpp v15, v12 row_shr:2 row_mask:0xf bank_mask:0xf
	s_mov_b32 s5, exec_lo
	v_cmpx_lt_u32_e32 1, v7
	s_cbranch_execz .LBB163_78
; %bb.77:
	v_mov_b32_e32 v12, 0
	v_and_b32_e32 v16, 1, v2
	v_and_b32_e32 v15, 1, v15
	v_cmp_eq_u16_sdwa s3, v2, v12 src0_sel:BYTE_0 src1_sel:DWORD
	v_cndmask_b32_e64 v2, 0, v14, s3
	v_cmp_eq_u32_e64 s3, 1, v16
	v_add_nc_u32_e32 v1, v2, v1
	v_cndmask_b32_e64 v14, v15, 1, s3
	v_or_b32_sdwa v12, v8, v14 dst_sel:DWORD dst_unused:UNUSED_PAD src0_sel:DWORD src1_sel:WORD_0
	v_mov_b32_e32 v2, v14
.LBB163_78:
	s_or_b32 exec_lo, exec_lo, s5
	v_mov_b32_dpp v8, v12 row_shr:4 row_mask:0xf bank_mask:0xf
	v_and_b32_e32 v14, 1, v2
	v_mov_b32_e32 v12, 0
	v_and_b32_e32 v8, 1, v8
	v_cmp_eq_u32_e64 s3, 1, v14
	v_cmp_eq_u16_sdwa s5, v2, v12 src0_sel:BYTE_0 src1_sel:DWORD
	v_cndmask_b32_e64 v8, v8, 1, s3
	v_cmp_lt_u32_e64 s3, 3, v7
	v_mov_b32_dpp v7, v1 row_shr:4 row_mask:0xf bank_mask:0xf
	v_cndmask_b32_e64 v2, v2, v8, s3
	s_and_b32 s3, s3, s5
	v_cndmask_b32_e64 v7, 0, v7, s3
	v_add_nc_u32_e32 v1, v7, v1
	ds_write_b32 v19, v1
	ds_write_b8 v19, v2 offset:4
.LBB163_79:
	s_or_b32 exec_lo, exec_lo, s4
	v_mov_b32_e32 v1, 0
	s_mov_b32 s4, exec_lo
	s_waitcnt lgkmcnt(0)
	s_barrier
	buffer_gl0_inv
	v_cmpx_lt_u32_e32 31, v0
	s_cbranch_execz .LBB163_81
; %bb.80:
	v_lshl_add_u32 v1, v21, 3, -8
	v_cmp_eq_u32_e64 s3, 0, v4
	ds_read_b32 v1, v1
	s_waitcnt lgkmcnt(0)
	v_cndmask_b32_e64 v2, 0, v1, s3
	v_add_nc_u32_e32 v3, v2, v3
.LBB163_81:
	s_or_b32 exec_lo, exec_lo, s4
	v_add_nc_u32_e32 v2, -1, v20
	s_mov_b32 s4, 0
	v_cmp_gt_i32_e64 s3, 0, v2
	v_cndmask_b32_e64 v2, v2, v20, s3
	v_lshlrev_b32_e32 v2, 2, v2
	ds_bpermute_b32 v2, v2, v3
	s_and_saveexec_b32 s3, s1
	s_cbranch_execz .LBB163_83
; %bb.82:
	v_cmp_eq_u32_e64 s1, 0, v20
	s_mov_b32 s5, 1
	;;#ASMSTART
	;;#ASMEND
	s_waitcnt lgkmcnt(0)
	v_cndmask_b32_e64 v1, v2, v1, s1
	v_cmp_gt_u64_e64 s1, s[4:5], v[9:10]
	v_cndmask_b32_e64 v1, 0, v1, s1
	v_add_nc_u32_e32 v9, v1, v9
	v_cndmask_b32_e32 v1, 0, v9, vcc_lo
	v_add_nc_u32_e32 v5, v1, v11
	v_cndmask_b32_e64 v1, 0, v5, s2
	v_add_nc_u32_e32 v6, v1, v13
.LBB163_83:
	s_or_b32 exec_lo, exec_lo, s3
	s_and_saveexec_b32 s1, s0
	s_cbranch_execz .LBB163_85
; %bb.84:
	v_mov_b32_e32 v4, 0
	s_add_u32 s2, s24, 0x200
	s_addc_u32 s3, s25, 0
	v_mov_b32_e32 v3, 2
	v_mov_b32_e32 v8, s3
	ds_read_b32 v1, v4 offset:56
	s_waitcnt lgkmcnt(1)
	ds_read_u8 v2, v4 offset:60
	v_mov_b32_e32 v7, s2
	s_waitcnt lgkmcnt(0)
	;;#ASMSTART
	global_store_dwordx4 v[7:8], v[1:4] off	
s_waitcnt vmcnt(0)
	;;#ASMEND
.LBB163_85:
	s_or_b32 exec_lo, exec_lo, s1
	v_mov_b32_e32 v7, v9
.LBB163_86:
	s_add_u32 s0, s14, s6
	v_mov_b32_e32 v3, 0
	s_addc_u32 s1, s15, s7
	s_add_u32 s0, s0, s8
	s_addc_u32 s1, s1, s9
	s_and_b32 vcc_lo, exec_lo, s20
	s_cbranch_vccz .LBB163_98
; %bb.87:
	v_mul_u32_u24_e32 v1, 3, v0
	v_mov_b32_e32 v4, 0
	s_waitcnt lgkmcnt(0)
	v_mov_b32_e32 v2, 0
	s_add_i32 s21, s21, s26
	s_mov_b32 s2, exec_lo
	v_cmpx_gt_u32_e64 s21, v1
	s_cbranch_execz .LBB163_93
; %bb.88:
	v_add_nc_u32_e32 v3, 1, v1
	v_mov_b32_e32 v2, 0
	v_mov_b32_e32 v4, 0
	s_mov_b32 s3, exec_lo
	v_cmpx_gt_u32_e64 s21, v3
	s_cbranch_execz .LBB163_92
; %bb.89:
	v_add_nc_u32_e32 v2, 2, v1
	v_cmp_gt_u32_e32 vcc_lo, s21, v2
	v_mov_b32_e32 v2, 0
	s_and_saveexec_b32 s4, vcc_lo
; %bb.90:
	v_mov_b32_e32 v2, v6
; %bb.91:
	s_or_b32 exec_lo, exec_lo, s4
	v_mov_b32_e32 v4, v5
.LBB163_92:
	s_or_b32 exec_lo, exec_lo, s3
	v_mov_b32_e32 v3, v7
.LBB163_93:
	s_or_b32 exec_lo, exec_lo, s2
	v_lshlrev_b32_e32 v8, 2, v1
	s_barrier
	buffer_gl0_inv
	v_sub_nc_u32_e32 v1, v8, v19
	ds_write2_b32 v8, v3, v4 offset1:1
	ds_write_b32 v8, v2 offset:8
	s_waitcnt lgkmcnt(0)
	s_barrier
	buffer_gl0_inv
	ds_read2st64_b32 v[1:2], v1 offset0:4 offset1:8
	v_add_co_u32 v3, s2, s0, v18
	v_add_co_ci_u32_e64 v4, null, s1, 0, s2
	s_mov_b32 s2, exec_lo
	v_cmpx_gt_u32_e64 s21, v0
	s_cbranch_execz .LBB163_95
; %bb.94:
	v_sub_nc_u32_e32 v9, 0, v19
	v_add_nc_u32_e32 v8, v8, v9
	ds_read_b32 v8, v8
	s_waitcnt lgkmcnt(0)
	flat_store_dword v[3:4], v8
.LBB163_95:
	s_or_b32 exec_lo, exec_lo, s2
	v_or_b32_e32 v8, 0x100, v0
	s_mov_b32 s2, exec_lo
	v_cmpx_gt_u32_e64 s21, v8
	s_cbranch_execz .LBB163_97
; %bb.96:
	s_waitcnt lgkmcnt(0)
	flat_store_dword v[3:4], v1 offset:1024
.LBB163_97:
	s_or_b32 exec_lo, exec_lo, s2
	s_waitcnt lgkmcnt(0)
	v_or_b32_e32 v1, 0x200, v0
	v_cmp_gt_u32_e64 s2, s21, v1
	s_branch .LBB163_100
.LBB163_98:
	s_mov_b32 s2, 0
                                        ; implicit-def: $vgpr2
	s_cbranch_execz .LBB163_100
; %bb.99:
	v_mul_u32_u24_e32 v1, 12, v0
	s_waitcnt lgkmcnt(0)
	s_waitcnt_vscnt null, 0x0
	s_barrier
	buffer_gl0_inv
	s_or_b32 s2, s2, exec_lo
	v_sub_nc_u32_e32 v2, v1, v19
	ds_write2_b32 v1, v7, v5 offset1:1
	ds_write_b32 v1, v6 offset:8
	s_waitcnt lgkmcnt(0)
	s_barrier
	buffer_gl0_inv
	ds_read2st64_b32 v[3:4], v2 offset1:4
	ds_read_b32 v2, v2 offset:2048
	v_add_co_u32 v5, s3, s0, v18
	v_add_co_ci_u32_e64 v6, null, s1, 0, s3
	s_waitcnt lgkmcnt(1)
	flat_store_dword v[5:6], v3
	flat_store_dword v[5:6], v4 offset:1024
.LBB163_100:
	s_and_saveexec_b32 s3, s2
	s_cbranch_execnz .LBB163_102
; %bb.101:
	s_endpgm
.LBB163_102:
	v_lshlrev_b32_e32 v0, 2, v0
	v_add_co_u32 v0, s0, s0, v0
	v_add_co_ci_u32_e64 v1, null, s1, 0, s0
	v_add_co_u32 v0, vcc_lo, 0x800, v0
	v_add_co_ci_u32_e64 v1, null, 0, v1, vcc_lo
	s_waitcnt lgkmcnt(0)
	flat_store_dword v[0:1], v2
	s_endpgm
.LBB163_103:
	v_add_co_u32 v2, s2, s5, v9
	v_add_co_ci_u32_e64 v3, null, s30, 0, s2
	v_mov_b32_e32 v11, v1
	v_mov_b32_e32 v12, v1
	flat_load_dword v10, v[2:3]
	s_waitcnt vmcnt(0) lgkmcnt(0)
	v_mov_b32_e32 v1, v10
	v_mov_b32_e32 v2, v11
	;; [unrolled: 1-line block ×3, first 2 shown]
	s_or_b32 exec_lo, exec_lo, s16
	s_and_saveexec_b32 s2, s3
	s_cbranch_execz .LBB163_19
.LBB163_104:
	v_add_co_u32 v10, s3, s5, v9
	v_add_co_ci_u32_e64 v11, null, s30, 0, s3
	flat_load_dword v2, v[10:11] offset:1024
	s_or_b32 exec_lo, exec_lo, s2
	s_and_saveexec_b32 s2, s4
	s_cbranch_execnz .LBB163_20
	s_branch .LBB163_21
.LBB163_105:
                                        ; implicit-def: $sgpr16_sgpr17
	s_branch .LBB163_14
.LBB163_106:
                                        ; implicit-def: $sgpr2_sgpr3
	s_branch .LBB163_30
	.section	.rodata,"a",@progbits
	.p2align	6, 0x0
	.amdhsa_kernel _ZN7rocprim17ROCPRIM_400000_NS6detail17trampoline_kernelINS0_14default_configENS1_27scan_by_key_config_selectorIiiEEZZNS1_16scan_by_key_implILNS1_25lookback_scan_determinismE0ELb0ES3_N6thrust23THRUST_200600_302600_NS6detail15normal_iteratorINS9_10device_ptrIiEEEESE_SE_iNS9_4plusIvEENS9_8equal_toIvEEiEE10hipError_tPvRmT2_T3_T4_T5_mT6_T7_P12ihipStream_tbENKUlT_T0_E_clISt17integral_constantIbLb0EESY_IbLb1EEEEDaSU_SV_EUlSU_E_NS1_11comp_targetILNS1_3genE8ELNS1_11target_archE1030ELNS1_3gpuE2ELNS1_3repE0EEENS1_30default_config_static_selectorELNS0_4arch9wavefront6targetE0EEEvT1_
		.amdhsa_group_segment_fixed_size 5120
		.amdhsa_private_segment_fixed_size 0
		.amdhsa_kernarg_size 112
		.amdhsa_user_sgpr_count 6
		.amdhsa_user_sgpr_private_segment_buffer 1
		.amdhsa_user_sgpr_dispatch_ptr 0
		.amdhsa_user_sgpr_queue_ptr 0
		.amdhsa_user_sgpr_kernarg_segment_ptr 1
		.amdhsa_user_sgpr_dispatch_id 0
		.amdhsa_user_sgpr_flat_scratch_init 0
		.amdhsa_user_sgpr_private_segment_size 0
		.amdhsa_wavefront_size32 1
		.amdhsa_uses_dynamic_stack 0
		.amdhsa_system_sgpr_private_segment_wavefront_offset 0
		.amdhsa_system_sgpr_workgroup_id_x 1
		.amdhsa_system_sgpr_workgroup_id_y 0
		.amdhsa_system_sgpr_workgroup_id_z 0
		.amdhsa_system_sgpr_workgroup_info 0
		.amdhsa_system_vgpr_workitem_id 0
		.amdhsa_next_free_vgpr 42
		.amdhsa_next_free_sgpr 34
		.amdhsa_reserve_vcc 1
		.amdhsa_reserve_flat_scratch 1
		.amdhsa_float_round_mode_32 0
		.amdhsa_float_round_mode_16_64 0
		.amdhsa_float_denorm_mode_32 3
		.amdhsa_float_denorm_mode_16_64 3
		.amdhsa_dx10_clamp 1
		.amdhsa_ieee_mode 1
		.amdhsa_fp16_overflow 0
		.amdhsa_workgroup_processor_mode 1
		.amdhsa_memory_ordered 1
		.amdhsa_forward_progress 1
		.amdhsa_shared_vgpr_count 0
		.amdhsa_exception_fp_ieee_invalid_op 0
		.amdhsa_exception_fp_denorm_src 0
		.amdhsa_exception_fp_ieee_div_zero 0
		.amdhsa_exception_fp_ieee_overflow 0
		.amdhsa_exception_fp_ieee_underflow 0
		.amdhsa_exception_fp_ieee_inexact 0
		.amdhsa_exception_int_div_zero 0
	.end_amdhsa_kernel
	.section	.text._ZN7rocprim17ROCPRIM_400000_NS6detail17trampoline_kernelINS0_14default_configENS1_27scan_by_key_config_selectorIiiEEZZNS1_16scan_by_key_implILNS1_25lookback_scan_determinismE0ELb0ES3_N6thrust23THRUST_200600_302600_NS6detail15normal_iteratorINS9_10device_ptrIiEEEESE_SE_iNS9_4plusIvEENS9_8equal_toIvEEiEE10hipError_tPvRmT2_T3_T4_T5_mT6_T7_P12ihipStream_tbENKUlT_T0_E_clISt17integral_constantIbLb0EESY_IbLb1EEEEDaSU_SV_EUlSU_E_NS1_11comp_targetILNS1_3genE8ELNS1_11target_archE1030ELNS1_3gpuE2ELNS1_3repE0EEENS1_30default_config_static_selectorELNS0_4arch9wavefront6targetE0EEEvT1_,"axG",@progbits,_ZN7rocprim17ROCPRIM_400000_NS6detail17trampoline_kernelINS0_14default_configENS1_27scan_by_key_config_selectorIiiEEZZNS1_16scan_by_key_implILNS1_25lookback_scan_determinismE0ELb0ES3_N6thrust23THRUST_200600_302600_NS6detail15normal_iteratorINS9_10device_ptrIiEEEESE_SE_iNS9_4plusIvEENS9_8equal_toIvEEiEE10hipError_tPvRmT2_T3_T4_T5_mT6_T7_P12ihipStream_tbENKUlT_T0_E_clISt17integral_constantIbLb0EESY_IbLb1EEEEDaSU_SV_EUlSU_E_NS1_11comp_targetILNS1_3genE8ELNS1_11target_archE1030ELNS1_3gpuE2ELNS1_3repE0EEENS1_30default_config_static_selectorELNS0_4arch9wavefront6targetE0EEEvT1_,comdat
.Lfunc_end163:
	.size	_ZN7rocprim17ROCPRIM_400000_NS6detail17trampoline_kernelINS0_14default_configENS1_27scan_by_key_config_selectorIiiEEZZNS1_16scan_by_key_implILNS1_25lookback_scan_determinismE0ELb0ES3_N6thrust23THRUST_200600_302600_NS6detail15normal_iteratorINS9_10device_ptrIiEEEESE_SE_iNS9_4plusIvEENS9_8equal_toIvEEiEE10hipError_tPvRmT2_T3_T4_T5_mT6_T7_P12ihipStream_tbENKUlT_T0_E_clISt17integral_constantIbLb0EESY_IbLb1EEEEDaSU_SV_EUlSU_E_NS1_11comp_targetILNS1_3genE8ELNS1_11target_archE1030ELNS1_3gpuE2ELNS1_3repE0EEENS1_30default_config_static_selectorELNS0_4arch9wavefront6targetE0EEEvT1_, .Lfunc_end163-_ZN7rocprim17ROCPRIM_400000_NS6detail17trampoline_kernelINS0_14default_configENS1_27scan_by_key_config_selectorIiiEEZZNS1_16scan_by_key_implILNS1_25lookback_scan_determinismE0ELb0ES3_N6thrust23THRUST_200600_302600_NS6detail15normal_iteratorINS9_10device_ptrIiEEEESE_SE_iNS9_4plusIvEENS9_8equal_toIvEEiEE10hipError_tPvRmT2_T3_T4_T5_mT6_T7_P12ihipStream_tbENKUlT_T0_E_clISt17integral_constantIbLb0EESY_IbLb1EEEEDaSU_SV_EUlSU_E_NS1_11comp_targetILNS1_3genE8ELNS1_11target_archE1030ELNS1_3gpuE2ELNS1_3repE0EEENS1_30default_config_static_selectorELNS0_4arch9wavefront6targetE0EEEvT1_
                                        ; -- End function
	.set _ZN7rocprim17ROCPRIM_400000_NS6detail17trampoline_kernelINS0_14default_configENS1_27scan_by_key_config_selectorIiiEEZZNS1_16scan_by_key_implILNS1_25lookback_scan_determinismE0ELb0ES3_N6thrust23THRUST_200600_302600_NS6detail15normal_iteratorINS9_10device_ptrIiEEEESE_SE_iNS9_4plusIvEENS9_8equal_toIvEEiEE10hipError_tPvRmT2_T3_T4_T5_mT6_T7_P12ihipStream_tbENKUlT_T0_E_clISt17integral_constantIbLb0EESY_IbLb1EEEEDaSU_SV_EUlSU_E_NS1_11comp_targetILNS1_3genE8ELNS1_11target_archE1030ELNS1_3gpuE2ELNS1_3repE0EEENS1_30default_config_static_selectorELNS0_4arch9wavefront6targetE0EEEvT1_.num_vgpr, 42
	.set _ZN7rocprim17ROCPRIM_400000_NS6detail17trampoline_kernelINS0_14default_configENS1_27scan_by_key_config_selectorIiiEEZZNS1_16scan_by_key_implILNS1_25lookback_scan_determinismE0ELb0ES3_N6thrust23THRUST_200600_302600_NS6detail15normal_iteratorINS9_10device_ptrIiEEEESE_SE_iNS9_4plusIvEENS9_8equal_toIvEEiEE10hipError_tPvRmT2_T3_T4_T5_mT6_T7_P12ihipStream_tbENKUlT_T0_E_clISt17integral_constantIbLb0EESY_IbLb1EEEEDaSU_SV_EUlSU_E_NS1_11comp_targetILNS1_3genE8ELNS1_11target_archE1030ELNS1_3gpuE2ELNS1_3repE0EEENS1_30default_config_static_selectorELNS0_4arch9wavefront6targetE0EEEvT1_.num_agpr, 0
	.set _ZN7rocprim17ROCPRIM_400000_NS6detail17trampoline_kernelINS0_14default_configENS1_27scan_by_key_config_selectorIiiEEZZNS1_16scan_by_key_implILNS1_25lookback_scan_determinismE0ELb0ES3_N6thrust23THRUST_200600_302600_NS6detail15normal_iteratorINS9_10device_ptrIiEEEESE_SE_iNS9_4plusIvEENS9_8equal_toIvEEiEE10hipError_tPvRmT2_T3_T4_T5_mT6_T7_P12ihipStream_tbENKUlT_T0_E_clISt17integral_constantIbLb0EESY_IbLb1EEEEDaSU_SV_EUlSU_E_NS1_11comp_targetILNS1_3genE8ELNS1_11target_archE1030ELNS1_3gpuE2ELNS1_3repE0EEENS1_30default_config_static_selectorELNS0_4arch9wavefront6targetE0EEEvT1_.numbered_sgpr, 34
	.set _ZN7rocprim17ROCPRIM_400000_NS6detail17trampoline_kernelINS0_14default_configENS1_27scan_by_key_config_selectorIiiEEZZNS1_16scan_by_key_implILNS1_25lookback_scan_determinismE0ELb0ES3_N6thrust23THRUST_200600_302600_NS6detail15normal_iteratorINS9_10device_ptrIiEEEESE_SE_iNS9_4plusIvEENS9_8equal_toIvEEiEE10hipError_tPvRmT2_T3_T4_T5_mT6_T7_P12ihipStream_tbENKUlT_T0_E_clISt17integral_constantIbLb0EESY_IbLb1EEEEDaSU_SV_EUlSU_E_NS1_11comp_targetILNS1_3genE8ELNS1_11target_archE1030ELNS1_3gpuE2ELNS1_3repE0EEENS1_30default_config_static_selectorELNS0_4arch9wavefront6targetE0EEEvT1_.num_named_barrier, 0
	.set _ZN7rocprim17ROCPRIM_400000_NS6detail17trampoline_kernelINS0_14default_configENS1_27scan_by_key_config_selectorIiiEEZZNS1_16scan_by_key_implILNS1_25lookback_scan_determinismE0ELb0ES3_N6thrust23THRUST_200600_302600_NS6detail15normal_iteratorINS9_10device_ptrIiEEEESE_SE_iNS9_4plusIvEENS9_8equal_toIvEEiEE10hipError_tPvRmT2_T3_T4_T5_mT6_T7_P12ihipStream_tbENKUlT_T0_E_clISt17integral_constantIbLb0EESY_IbLb1EEEEDaSU_SV_EUlSU_E_NS1_11comp_targetILNS1_3genE8ELNS1_11target_archE1030ELNS1_3gpuE2ELNS1_3repE0EEENS1_30default_config_static_selectorELNS0_4arch9wavefront6targetE0EEEvT1_.private_seg_size, 0
	.set _ZN7rocprim17ROCPRIM_400000_NS6detail17trampoline_kernelINS0_14default_configENS1_27scan_by_key_config_selectorIiiEEZZNS1_16scan_by_key_implILNS1_25lookback_scan_determinismE0ELb0ES3_N6thrust23THRUST_200600_302600_NS6detail15normal_iteratorINS9_10device_ptrIiEEEESE_SE_iNS9_4plusIvEENS9_8equal_toIvEEiEE10hipError_tPvRmT2_T3_T4_T5_mT6_T7_P12ihipStream_tbENKUlT_T0_E_clISt17integral_constantIbLb0EESY_IbLb1EEEEDaSU_SV_EUlSU_E_NS1_11comp_targetILNS1_3genE8ELNS1_11target_archE1030ELNS1_3gpuE2ELNS1_3repE0EEENS1_30default_config_static_selectorELNS0_4arch9wavefront6targetE0EEEvT1_.uses_vcc, 1
	.set _ZN7rocprim17ROCPRIM_400000_NS6detail17trampoline_kernelINS0_14default_configENS1_27scan_by_key_config_selectorIiiEEZZNS1_16scan_by_key_implILNS1_25lookback_scan_determinismE0ELb0ES3_N6thrust23THRUST_200600_302600_NS6detail15normal_iteratorINS9_10device_ptrIiEEEESE_SE_iNS9_4plusIvEENS9_8equal_toIvEEiEE10hipError_tPvRmT2_T3_T4_T5_mT6_T7_P12ihipStream_tbENKUlT_T0_E_clISt17integral_constantIbLb0EESY_IbLb1EEEEDaSU_SV_EUlSU_E_NS1_11comp_targetILNS1_3genE8ELNS1_11target_archE1030ELNS1_3gpuE2ELNS1_3repE0EEENS1_30default_config_static_selectorELNS0_4arch9wavefront6targetE0EEEvT1_.uses_flat_scratch, 1
	.set _ZN7rocprim17ROCPRIM_400000_NS6detail17trampoline_kernelINS0_14default_configENS1_27scan_by_key_config_selectorIiiEEZZNS1_16scan_by_key_implILNS1_25lookback_scan_determinismE0ELb0ES3_N6thrust23THRUST_200600_302600_NS6detail15normal_iteratorINS9_10device_ptrIiEEEESE_SE_iNS9_4plusIvEENS9_8equal_toIvEEiEE10hipError_tPvRmT2_T3_T4_T5_mT6_T7_P12ihipStream_tbENKUlT_T0_E_clISt17integral_constantIbLb0EESY_IbLb1EEEEDaSU_SV_EUlSU_E_NS1_11comp_targetILNS1_3genE8ELNS1_11target_archE1030ELNS1_3gpuE2ELNS1_3repE0EEENS1_30default_config_static_selectorELNS0_4arch9wavefront6targetE0EEEvT1_.has_dyn_sized_stack, 0
	.set _ZN7rocprim17ROCPRIM_400000_NS6detail17trampoline_kernelINS0_14default_configENS1_27scan_by_key_config_selectorIiiEEZZNS1_16scan_by_key_implILNS1_25lookback_scan_determinismE0ELb0ES3_N6thrust23THRUST_200600_302600_NS6detail15normal_iteratorINS9_10device_ptrIiEEEESE_SE_iNS9_4plusIvEENS9_8equal_toIvEEiEE10hipError_tPvRmT2_T3_T4_T5_mT6_T7_P12ihipStream_tbENKUlT_T0_E_clISt17integral_constantIbLb0EESY_IbLb1EEEEDaSU_SV_EUlSU_E_NS1_11comp_targetILNS1_3genE8ELNS1_11target_archE1030ELNS1_3gpuE2ELNS1_3repE0EEENS1_30default_config_static_selectorELNS0_4arch9wavefront6targetE0EEEvT1_.has_recursion, 0
	.set _ZN7rocprim17ROCPRIM_400000_NS6detail17trampoline_kernelINS0_14default_configENS1_27scan_by_key_config_selectorIiiEEZZNS1_16scan_by_key_implILNS1_25lookback_scan_determinismE0ELb0ES3_N6thrust23THRUST_200600_302600_NS6detail15normal_iteratorINS9_10device_ptrIiEEEESE_SE_iNS9_4plusIvEENS9_8equal_toIvEEiEE10hipError_tPvRmT2_T3_T4_T5_mT6_T7_P12ihipStream_tbENKUlT_T0_E_clISt17integral_constantIbLb0EESY_IbLb1EEEEDaSU_SV_EUlSU_E_NS1_11comp_targetILNS1_3genE8ELNS1_11target_archE1030ELNS1_3gpuE2ELNS1_3repE0EEENS1_30default_config_static_selectorELNS0_4arch9wavefront6targetE0EEEvT1_.has_indirect_call, 0
	.section	.AMDGPU.csdata,"",@progbits
; Kernel info:
; codeLenInByte = 6332
; TotalNumSgprs: 36
; NumVgprs: 42
; ScratchSize: 0
; MemoryBound: 0
; FloatMode: 240
; IeeeMode: 1
; LDSByteSize: 5120 bytes/workgroup (compile time only)
; SGPRBlocks: 0
; VGPRBlocks: 5
; NumSGPRsForWavesPerEU: 36
; NumVGPRsForWavesPerEU: 42
; Occupancy: 16
; WaveLimiterHint : 1
; COMPUTE_PGM_RSRC2:SCRATCH_EN: 0
; COMPUTE_PGM_RSRC2:USER_SGPR: 6
; COMPUTE_PGM_RSRC2:TRAP_HANDLER: 0
; COMPUTE_PGM_RSRC2:TGID_X_EN: 1
; COMPUTE_PGM_RSRC2:TGID_Y_EN: 0
; COMPUTE_PGM_RSRC2:TGID_Z_EN: 0
; COMPUTE_PGM_RSRC2:TIDIG_COMP_CNT: 0
	.section	.text._ZN7rocprim17ROCPRIM_400000_NS6detail17trampoline_kernelINS0_14default_configENS1_27scan_by_key_config_selectorIiiEEZZNS1_16scan_by_key_implILNS1_25lookback_scan_determinismE0ELb0ES3_N6thrust23THRUST_200600_302600_NS6detail15normal_iteratorINS9_10device_ptrIiEEEESE_SE_iNS9_10multipliesIiEENS9_8equal_toIiEEiEE10hipError_tPvRmT2_T3_T4_T5_mT6_T7_P12ihipStream_tbENKUlT_T0_E_clISt17integral_constantIbLb0EESZ_EEDaSU_SV_EUlSU_E_NS1_11comp_targetILNS1_3genE0ELNS1_11target_archE4294967295ELNS1_3gpuE0ELNS1_3repE0EEENS1_30default_config_static_selectorELNS0_4arch9wavefront6targetE0EEEvT1_,"axG",@progbits,_ZN7rocprim17ROCPRIM_400000_NS6detail17trampoline_kernelINS0_14default_configENS1_27scan_by_key_config_selectorIiiEEZZNS1_16scan_by_key_implILNS1_25lookback_scan_determinismE0ELb0ES3_N6thrust23THRUST_200600_302600_NS6detail15normal_iteratorINS9_10device_ptrIiEEEESE_SE_iNS9_10multipliesIiEENS9_8equal_toIiEEiEE10hipError_tPvRmT2_T3_T4_T5_mT6_T7_P12ihipStream_tbENKUlT_T0_E_clISt17integral_constantIbLb0EESZ_EEDaSU_SV_EUlSU_E_NS1_11comp_targetILNS1_3genE0ELNS1_11target_archE4294967295ELNS1_3gpuE0ELNS1_3repE0EEENS1_30default_config_static_selectorELNS0_4arch9wavefront6targetE0EEEvT1_,comdat
	.protected	_ZN7rocprim17ROCPRIM_400000_NS6detail17trampoline_kernelINS0_14default_configENS1_27scan_by_key_config_selectorIiiEEZZNS1_16scan_by_key_implILNS1_25lookback_scan_determinismE0ELb0ES3_N6thrust23THRUST_200600_302600_NS6detail15normal_iteratorINS9_10device_ptrIiEEEESE_SE_iNS9_10multipliesIiEENS9_8equal_toIiEEiEE10hipError_tPvRmT2_T3_T4_T5_mT6_T7_P12ihipStream_tbENKUlT_T0_E_clISt17integral_constantIbLb0EESZ_EEDaSU_SV_EUlSU_E_NS1_11comp_targetILNS1_3genE0ELNS1_11target_archE4294967295ELNS1_3gpuE0ELNS1_3repE0EEENS1_30default_config_static_selectorELNS0_4arch9wavefront6targetE0EEEvT1_ ; -- Begin function _ZN7rocprim17ROCPRIM_400000_NS6detail17trampoline_kernelINS0_14default_configENS1_27scan_by_key_config_selectorIiiEEZZNS1_16scan_by_key_implILNS1_25lookback_scan_determinismE0ELb0ES3_N6thrust23THRUST_200600_302600_NS6detail15normal_iteratorINS9_10device_ptrIiEEEESE_SE_iNS9_10multipliesIiEENS9_8equal_toIiEEiEE10hipError_tPvRmT2_T3_T4_T5_mT6_T7_P12ihipStream_tbENKUlT_T0_E_clISt17integral_constantIbLb0EESZ_EEDaSU_SV_EUlSU_E_NS1_11comp_targetILNS1_3genE0ELNS1_11target_archE4294967295ELNS1_3gpuE0ELNS1_3repE0EEENS1_30default_config_static_selectorELNS0_4arch9wavefront6targetE0EEEvT1_
	.globl	_ZN7rocprim17ROCPRIM_400000_NS6detail17trampoline_kernelINS0_14default_configENS1_27scan_by_key_config_selectorIiiEEZZNS1_16scan_by_key_implILNS1_25lookback_scan_determinismE0ELb0ES3_N6thrust23THRUST_200600_302600_NS6detail15normal_iteratorINS9_10device_ptrIiEEEESE_SE_iNS9_10multipliesIiEENS9_8equal_toIiEEiEE10hipError_tPvRmT2_T3_T4_T5_mT6_T7_P12ihipStream_tbENKUlT_T0_E_clISt17integral_constantIbLb0EESZ_EEDaSU_SV_EUlSU_E_NS1_11comp_targetILNS1_3genE0ELNS1_11target_archE4294967295ELNS1_3gpuE0ELNS1_3repE0EEENS1_30default_config_static_selectorELNS0_4arch9wavefront6targetE0EEEvT1_
	.p2align	8
	.type	_ZN7rocprim17ROCPRIM_400000_NS6detail17trampoline_kernelINS0_14default_configENS1_27scan_by_key_config_selectorIiiEEZZNS1_16scan_by_key_implILNS1_25lookback_scan_determinismE0ELb0ES3_N6thrust23THRUST_200600_302600_NS6detail15normal_iteratorINS9_10device_ptrIiEEEESE_SE_iNS9_10multipliesIiEENS9_8equal_toIiEEiEE10hipError_tPvRmT2_T3_T4_T5_mT6_T7_P12ihipStream_tbENKUlT_T0_E_clISt17integral_constantIbLb0EESZ_EEDaSU_SV_EUlSU_E_NS1_11comp_targetILNS1_3genE0ELNS1_11target_archE4294967295ELNS1_3gpuE0ELNS1_3repE0EEENS1_30default_config_static_selectorELNS0_4arch9wavefront6targetE0EEEvT1_,@function
_ZN7rocprim17ROCPRIM_400000_NS6detail17trampoline_kernelINS0_14default_configENS1_27scan_by_key_config_selectorIiiEEZZNS1_16scan_by_key_implILNS1_25lookback_scan_determinismE0ELb0ES3_N6thrust23THRUST_200600_302600_NS6detail15normal_iteratorINS9_10device_ptrIiEEEESE_SE_iNS9_10multipliesIiEENS9_8equal_toIiEEiEE10hipError_tPvRmT2_T3_T4_T5_mT6_T7_P12ihipStream_tbENKUlT_T0_E_clISt17integral_constantIbLb0EESZ_EEDaSU_SV_EUlSU_E_NS1_11comp_targetILNS1_3genE0ELNS1_11target_archE4294967295ELNS1_3gpuE0ELNS1_3repE0EEENS1_30default_config_static_selectorELNS0_4arch9wavefront6targetE0EEEvT1_: ; @_ZN7rocprim17ROCPRIM_400000_NS6detail17trampoline_kernelINS0_14default_configENS1_27scan_by_key_config_selectorIiiEEZZNS1_16scan_by_key_implILNS1_25lookback_scan_determinismE0ELb0ES3_N6thrust23THRUST_200600_302600_NS6detail15normal_iteratorINS9_10device_ptrIiEEEESE_SE_iNS9_10multipliesIiEENS9_8equal_toIiEEiEE10hipError_tPvRmT2_T3_T4_T5_mT6_T7_P12ihipStream_tbENKUlT_T0_E_clISt17integral_constantIbLb0EESZ_EEDaSU_SV_EUlSU_E_NS1_11comp_targetILNS1_3genE0ELNS1_11target_archE4294967295ELNS1_3gpuE0ELNS1_3repE0EEENS1_30default_config_static_selectorELNS0_4arch9wavefront6targetE0EEEvT1_
; %bb.0:
	.section	.rodata,"a",@progbits
	.p2align	6, 0x0
	.amdhsa_kernel _ZN7rocprim17ROCPRIM_400000_NS6detail17trampoline_kernelINS0_14default_configENS1_27scan_by_key_config_selectorIiiEEZZNS1_16scan_by_key_implILNS1_25lookback_scan_determinismE0ELb0ES3_N6thrust23THRUST_200600_302600_NS6detail15normal_iteratorINS9_10device_ptrIiEEEESE_SE_iNS9_10multipliesIiEENS9_8equal_toIiEEiEE10hipError_tPvRmT2_T3_T4_T5_mT6_T7_P12ihipStream_tbENKUlT_T0_E_clISt17integral_constantIbLb0EESZ_EEDaSU_SV_EUlSU_E_NS1_11comp_targetILNS1_3genE0ELNS1_11target_archE4294967295ELNS1_3gpuE0ELNS1_3repE0EEENS1_30default_config_static_selectorELNS0_4arch9wavefront6targetE0EEEvT1_
		.amdhsa_group_segment_fixed_size 0
		.amdhsa_private_segment_fixed_size 0
		.amdhsa_kernarg_size 112
		.amdhsa_user_sgpr_count 6
		.amdhsa_user_sgpr_private_segment_buffer 1
		.amdhsa_user_sgpr_dispatch_ptr 0
		.amdhsa_user_sgpr_queue_ptr 0
		.amdhsa_user_sgpr_kernarg_segment_ptr 1
		.amdhsa_user_sgpr_dispatch_id 0
		.amdhsa_user_sgpr_flat_scratch_init 0
		.amdhsa_user_sgpr_private_segment_size 0
		.amdhsa_wavefront_size32 1
		.amdhsa_uses_dynamic_stack 0
		.amdhsa_system_sgpr_private_segment_wavefront_offset 0
		.amdhsa_system_sgpr_workgroup_id_x 1
		.amdhsa_system_sgpr_workgroup_id_y 0
		.amdhsa_system_sgpr_workgroup_id_z 0
		.amdhsa_system_sgpr_workgroup_info 0
		.amdhsa_system_vgpr_workitem_id 0
		.amdhsa_next_free_vgpr 1
		.amdhsa_next_free_sgpr 1
		.amdhsa_reserve_vcc 0
		.amdhsa_reserve_flat_scratch 0
		.amdhsa_float_round_mode_32 0
		.amdhsa_float_round_mode_16_64 0
		.amdhsa_float_denorm_mode_32 3
		.amdhsa_float_denorm_mode_16_64 3
		.amdhsa_dx10_clamp 1
		.amdhsa_ieee_mode 1
		.amdhsa_fp16_overflow 0
		.amdhsa_workgroup_processor_mode 1
		.amdhsa_memory_ordered 1
		.amdhsa_forward_progress 1
		.amdhsa_shared_vgpr_count 0
		.amdhsa_exception_fp_ieee_invalid_op 0
		.amdhsa_exception_fp_denorm_src 0
		.amdhsa_exception_fp_ieee_div_zero 0
		.amdhsa_exception_fp_ieee_overflow 0
		.amdhsa_exception_fp_ieee_underflow 0
		.amdhsa_exception_fp_ieee_inexact 0
		.amdhsa_exception_int_div_zero 0
	.end_amdhsa_kernel
	.section	.text._ZN7rocprim17ROCPRIM_400000_NS6detail17trampoline_kernelINS0_14default_configENS1_27scan_by_key_config_selectorIiiEEZZNS1_16scan_by_key_implILNS1_25lookback_scan_determinismE0ELb0ES3_N6thrust23THRUST_200600_302600_NS6detail15normal_iteratorINS9_10device_ptrIiEEEESE_SE_iNS9_10multipliesIiEENS9_8equal_toIiEEiEE10hipError_tPvRmT2_T3_T4_T5_mT6_T7_P12ihipStream_tbENKUlT_T0_E_clISt17integral_constantIbLb0EESZ_EEDaSU_SV_EUlSU_E_NS1_11comp_targetILNS1_3genE0ELNS1_11target_archE4294967295ELNS1_3gpuE0ELNS1_3repE0EEENS1_30default_config_static_selectorELNS0_4arch9wavefront6targetE0EEEvT1_,"axG",@progbits,_ZN7rocprim17ROCPRIM_400000_NS6detail17trampoline_kernelINS0_14default_configENS1_27scan_by_key_config_selectorIiiEEZZNS1_16scan_by_key_implILNS1_25lookback_scan_determinismE0ELb0ES3_N6thrust23THRUST_200600_302600_NS6detail15normal_iteratorINS9_10device_ptrIiEEEESE_SE_iNS9_10multipliesIiEENS9_8equal_toIiEEiEE10hipError_tPvRmT2_T3_T4_T5_mT6_T7_P12ihipStream_tbENKUlT_T0_E_clISt17integral_constantIbLb0EESZ_EEDaSU_SV_EUlSU_E_NS1_11comp_targetILNS1_3genE0ELNS1_11target_archE4294967295ELNS1_3gpuE0ELNS1_3repE0EEENS1_30default_config_static_selectorELNS0_4arch9wavefront6targetE0EEEvT1_,comdat
.Lfunc_end164:
	.size	_ZN7rocprim17ROCPRIM_400000_NS6detail17trampoline_kernelINS0_14default_configENS1_27scan_by_key_config_selectorIiiEEZZNS1_16scan_by_key_implILNS1_25lookback_scan_determinismE0ELb0ES3_N6thrust23THRUST_200600_302600_NS6detail15normal_iteratorINS9_10device_ptrIiEEEESE_SE_iNS9_10multipliesIiEENS9_8equal_toIiEEiEE10hipError_tPvRmT2_T3_T4_T5_mT6_T7_P12ihipStream_tbENKUlT_T0_E_clISt17integral_constantIbLb0EESZ_EEDaSU_SV_EUlSU_E_NS1_11comp_targetILNS1_3genE0ELNS1_11target_archE4294967295ELNS1_3gpuE0ELNS1_3repE0EEENS1_30default_config_static_selectorELNS0_4arch9wavefront6targetE0EEEvT1_, .Lfunc_end164-_ZN7rocprim17ROCPRIM_400000_NS6detail17trampoline_kernelINS0_14default_configENS1_27scan_by_key_config_selectorIiiEEZZNS1_16scan_by_key_implILNS1_25lookback_scan_determinismE0ELb0ES3_N6thrust23THRUST_200600_302600_NS6detail15normal_iteratorINS9_10device_ptrIiEEEESE_SE_iNS9_10multipliesIiEENS9_8equal_toIiEEiEE10hipError_tPvRmT2_T3_T4_T5_mT6_T7_P12ihipStream_tbENKUlT_T0_E_clISt17integral_constantIbLb0EESZ_EEDaSU_SV_EUlSU_E_NS1_11comp_targetILNS1_3genE0ELNS1_11target_archE4294967295ELNS1_3gpuE0ELNS1_3repE0EEENS1_30default_config_static_selectorELNS0_4arch9wavefront6targetE0EEEvT1_
                                        ; -- End function
	.set _ZN7rocprim17ROCPRIM_400000_NS6detail17trampoline_kernelINS0_14default_configENS1_27scan_by_key_config_selectorIiiEEZZNS1_16scan_by_key_implILNS1_25lookback_scan_determinismE0ELb0ES3_N6thrust23THRUST_200600_302600_NS6detail15normal_iteratorINS9_10device_ptrIiEEEESE_SE_iNS9_10multipliesIiEENS9_8equal_toIiEEiEE10hipError_tPvRmT2_T3_T4_T5_mT6_T7_P12ihipStream_tbENKUlT_T0_E_clISt17integral_constantIbLb0EESZ_EEDaSU_SV_EUlSU_E_NS1_11comp_targetILNS1_3genE0ELNS1_11target_archE4294967295ELNS1_3gpuE0ELNS1_3repE0EEENS1_30default_config_static_selectorELNS0_4arch9wavefront6targetE0EEEvT1_.num_vgpr, 0
	.set _ZN7rocprim17ROCPRIM_400000_NS6detail17trampoline_kernelINS0_14default_configENS1_27scan_by_key_config_selectorIiiEEZZNS1_16scan_by_key_implILNS1_25lookback_scan_determinismE0ELb0ES3_N6thrust23THRUST_200600_302600_NS6detail15normal_iteratorINS9_10device_ptrIiEEEESE_SE_iNS9_10multipliesIiEENS9_8equal_toIiEEiEE10hipError_tPvRmT2_T3_T4_T5_mT6_T7_P12ihipStream_tbENKUlT_T0_E_clISt17integral_constantIbLb0EESZ_EEDaSU_SV_EUlSU_E_NS1_11comp_targetILNS1_3genE0ELNS1_11target_archE4294967295ELNS1_3gpuE0ELNS1_3repE0EEENS1_30default_config_static_selectorELNS0_4arch9wavefront6targetE0EEEvT1_.num_agpr, 0
	.set _ZN7rocprim17ROCPRIM_400000_NS6detail17trampoline_kernelINS0_14default_configENS1_27scan_by_key_config_selectorIiiEEZZNS1_16scan_by_key_implILNS1_25lookback_scan_determinismE0ELb0ES3_N6thrust23THRUST_200600_302600_NS6detail15normal_iteratorINS9_10device_ptrIiEEEESE_SE_iNS9_10multipliesIiEENS9_8equal_toIiEEiEE10hipError_tPvRmT2_T3_T4_T5_mT6_T7_P12ihipStream_tbENKUlT_T0_E_clISt17integral_constantIbLb0EESZ_EEDaSU_SV_EUlSU_E_NS1_11comp_targetILNS1_3genE0ELNS1_11target_archE4294967295ELNS1_3gpuE0ELNS1_3repE0EEENS1_30default_config_static_selectorELNS0_4arch9wavefront6targetE0EEEvT1_.numbered_sgpr, 0
	.set _ZN7rocprim17ROCPRIM_400000_NS6detail17trampoline_kernelINS0_14default_configENS1_27scan_by_key_config_selectorIiiEEZZNS1_16scan_by_key_implILNS1_25lookback_scan_determinismE0ELb0ES3_N6thrust23THRUST_200600_302600_NS6detail15normal_iteratorINS9_10device_ptrIiEEEESE_SE_iNS9_10multipliesIiEENS9_8equal_toIiEEiEE10hipError_tPvRmT2_T3_T4_T5_mT6_T7_P12ihipStream_tbENKUlT_T0_E_clISt17integral_constantIbLb0EESZ_EEDaSU_SV_EUlSU_E_NS1_11comp_targetILNS1_3genE0ELNS1_11target_archE4294967295ELNS1_3gpuE0ELNS1_3repE0EEENS1_30default_config_static_selectorELNS0_4arch9wavefront6targetE0EEEvT1_.num_named_barrier, 0
	.set _ZN7rocprim17ROCPRIM_400000_NS6detail17trampoline_kernelINS0_14default_configENS1_27scan_by_key_config_selectorIiiEEZZNS1_16scan_by_key_implILNS1_25lookback_scan_determinismE0ELb0ES3_N6thrust23THRUST_200600_302600_NS6detail15normal_iteratorINS9_10device_ptrIiEEEESE_SE_iNS9_10multipliesIiEENS9_8equal_toIiEEiEE10hipError_tPvRmT2_T3_T4_T5_mT6_T7_P12ihipStream_tbENKUlT_T0_E_clISt17integral_constantIbLb0EESZ_EEDaSU_SV_EUlSU_E_NS1_11comp_targetILNS1_3genE0ELNS1_11target_archE4294967295ELNS1_3gpuE0ELNS1_3repE0EEENS1_30default_config_static_selectorELNS0_4arch9wavefront6targetE0EEEvT1_.private_seg_size, 0
	.set _ZN7rocprim17ROCPRIM_400000_NS6detail17trampoline_kernelINS0_14default_configENS1_27scan_by_key_config_selectorIiiEEZZNS1_16scan_by_key_implILNS1_25lookback_scan_determinismE0ELb0ES3_N6thrust23THRUST_200600_302600_NS6detail15normal_iteratorINS9_10device_ptrIiEEEESE_SE_iNS9_10multipliesIiEENS9_8equal_toIiEEiEE10hipError_tPvRmT2_T3_T4_T5_mT6_T7_P12ihipStream_tbENKUlT_T0_E_clISt17integral_constantIbLb0EESZ_EEDaSU_SV_EUlSU_E_NS1_11comp_targetILNS1_3genE0ELNS1_11target_archE4294967295ELNS1_3gpuE0ELNS1_3repE0EEENS1_30default_config_static_selectorELNS0_4arch9wavefront6targetE0EEEvT1_.uses_vcc, 0
	.set _ZN7rocprim17ROCPRIM_400000_NS6detail17trampoline_kernelINS0_14default_configENS1_27scan_by_key_config_selectorIiiEEZZNS1_16scan_by_key_implILNS1_25lookback_scan_determinismE0ELb0ES3_N6thrust23THRUST_200600_302600_NS6detail15normal_iteratorINS9_10device_ptrIiEEEESE_SE_iNS9_10multipliesIiEENS9_8equal_toIiEEiEE10hipError_tPvRmT2_T3_T4_T5_mT6_T7_P12ihipStream_tbENKUlT_T0_E_clISt17integral_constantIbLb0EESZ_EEDaSU_SV_EUlSU_E_NS1_11comp_targetILNS1_3genE0ELNS1_11target_archE4294967295ELNS1_3gpuE0ELNS1_3repE0EEENS1_30default_config_static_selectorELNS0_4arch9wavefront6targetE0EEEvT1_.uses_flat_scratch, 0
	.set _ZN7rocprim17ROCPRIM_400000_NS6detail17trampoline_kernelINS0_14default_configENS1_27scan_by_key_config_selectorIiiEEZZNS1_16scan_by_key_implILNS1_25lookback_scan_determinismE0ELb0ES3_N6thrust23THRUST_200600_302600_NS6detail15normal_iteratorINS9_10device_ptrIiEEEESE_SE_iNS9_10multipliesIiEENS9_8equal_toIiEEiEE10hipError_tPvRmT2_T3_T4_T5_mT6_T7_P12ihipStream_tbENKUlT_T0_E_clISt17integral_constantIbLb0EESZ_EEDaSU_SV_EUlSU_E_NS1_11comp_targetILNS1_3genE0ELNS1_11target_archE4294967295ELNS1_3gpuE0ELNS1_3repE0EEENS1_30default_config_static_selectorELNS0_4arch9wavefront6targetE0EEEvT1_.has_dyn_sized_stack, 0
	.set _ZN7rocprim17ROCPRIM_400000_NS6detail17trampoline_kernelINS0_14default_configENS1_27scan_by_key_config_selectorIiiEEZZNS1_16scan_by_key_implILNS1_25lookback_scan_determinismE0ELb0ES3_N6thrust23THRUST_200600_302600_NS6detail15normal_iteratorINS9_10device_ptrIiEEEESE_SE_iNS9_10multipliesIiEENS9_8equal_toIiEEiEE10hipError_tPvRmT2_T3_T4_T5_mT6_T7_P12ihipStream_tbENKUlT_T0_E_clISt17integral_constantIbLb0EESZ_EEDaSU_SV_EUlSU_E_NS1_11comp_targetILNS1_3genE0ELNS1_11target_archE4294967295ELNS1_3gpuE0ELNS1_3repE0EEENS1_30default_config_static_selectorELNS0_4arch9wavefront6targetE0EEEvT1_.has_recursion, 0
	.set _ZN7rocprim17ROCPRIM_400000_NS6detail17trampoline_kernelINS0_14default_configENS1_27scan_by_key_config_selectorIiiEEZZNS1_16scan_by_key_implILNS1_25lookback_scan_determinismE0ELb0ES3_N6thrust23THRUST_200600_302600_NS6detail15normal_iteratorINS9_10device_ptrIiEEEESE_SE_iNS9_10multipliesIiEENS9_8equal_toIiEEiEE10hipError_tPvRmT2_T3_T4_T5_mT6_T7_P12ihipStream_tbENKUlT_T0_E_clISt17integral_constantIbLb0EESZ_EEDaSU_SV_EUlSU_E_NS1_11comp_targetILNS1_3genE0ELNS1_11target_archE4294967295ELNS1_3gpuE0ELNS1_3repE0EEENS1_30default_config_static_selectorELNS0_4arch9wavefront6targetE0EEEvT1_.has_indirect_call, 0
	.section	.AMDGPU.csdata,"",@progbits
; Kernel info:
; codeLenInByte = 0
; TotalNumSgprs: 0
; NumVgprs: 0
; ScratchSize: 0
; MemoryBound: 0
; FloatMode: 240
; IeeeMode: 1
; LDSByteSize: 0 bytes/workgroup (compile time only)
; SGPRBlocks: 0
; VGPRBlocks: 0
; NumSGPRsForWavesPerEU: 1
; NumVGPRsForWavesPerEU: 1
; Occupancy: 16
; WaveLimiterHint : 0
; COMPUTE_PGM_RSRC2:SCRATCH_EN: 0
; COMPUTE_PGM_RSRC2:USER_SGPR: 6
; COMPUTE_PGM_RSRC2:TRAP_HANDLER: 0
; COMPUTE_PGM_RSRC2:TGID_X_EN: 1
; COMPUTE_PGM_RSRC2:TGID_Y_EN: 0
; COMPUTE_PGM_RSRC2:TGID_Z_EN: 0
; COMPUTE_PGM_RSRC2:TIDIG_COMP_CNT: 0
	.section	.text._ZN7rocprim17ROCPRIM_400000_NS6detail17trampoline_kernelINS0_14default_configENS1_27scan_by_key_config_selectorIiiEEZZNS1_16scan_by_key_implILNS1_25lookback_scan_determinismE0ELb0ES3_N6thrust23THRUST_200600_302600_NS6detail15normal_iteratorINS9_10device_ptrIiEEEESE_SE_iNS9_10multipliesIiEENS9_8equal_toIiEEiEE10hipError_tPvRmT2_T3_T4_T5_mT6_T7_P12ihipStream_tbENKUlT_T0_E_clISt17integral_constantIbLb0EESZ_EEDaSU_SV_EUlSU_E_NS1_11comp_targetILNS1_3genE10ELNS1_11target_archE1201ELNS1_3gpuE5ELNS1_3repE0EEENS1_30default_config_static_selectorELNS0_4arch9wavefront6targetE0EEEvT1_,"axG",@progbits,_ZN7rocprim17ROCPRIM_400000_NS6detail17trampoline_kernelINS0_14default_configENS1_27scan_by_key_config_selectorIiiEEZZNS1_16scan_by_key_implILNS1_25lookback_scan_determinismE0ELb0ES3_N6thrust23THRUST_200600_302600_NS6detail15normal_iteratorINS9_10device_ptrIiEEEESE_SE_iNS9_10multipliesIiEENS9_8equal_toIiEEiEE10hipError_tPvRmT2_T3_T4_T5_mT6_T7_P12ihipStream_tbENKUlT_T0_E_clISt17integral_constantIbLb0EESZ_EEDaSU_SV_EUlSU_E_NS1_11comp_targetILNS1_3genE10ELNS1_11target_archE1201ELNS1_3gpuE5ELNS1_3repE0EEENS1_30default_config_static_selectorELNS0_4arch9wavefront6targetE0EEEvT1_,comdat
	.protected	_ZN7rocprim17ROCPRIM_400000_NS6detail17trampoline_kernelINS0_14default_configENS1_27scan_by_key_config_selectorIiiEEZZNS1_16scan_by_key_implILNS1_25lookback_scan_determinismE0ELb0ES3_N6thrust23THRUST_200600_302600_NS6detail15normal_iteratorINS9_10device_ptrIiEEEESE_SE_iNS9_10multipliesIiEENS9_8equal_toIiEEiEE10hipError_tPvRmT2_T3_T4_T5_mT6_T7_P12ihipStream_tbENKUlT_T0_E_clISt17integral_constantIbLb0EESZ_EEDaSU_SV_EUlSU_E_NS1_11comp_targetILNS1_3genE10ELNS1_11target_archE1201ELNS1_3gpuE5ELNS1_3repE0EEENS1_30default_config_static_selectorELNS0_4arch9wavefront6targetE0EEEvT1_ ; -- Begin function _ZN7rocprim17ROCPRIM_400000_NS6detail17trampoline_kernelINS0_14default_configENS1_27scan_by_key_config_selectorIiiEEZZNS1_16scan_by_key_implILNS1_25lookback_scan_determinismE0ELb0ES3_N6thrust23THRUST_200600_302600_NS6detail15normal_iteratorINS9_10device_ptrIiEEEESE_SE_iNS9_10multipliesIiEENS9_8equal_toIiEEiEE10hipError_tPvRmT2_T3_T4_T5_mT6_T7_P12ihipStream_tbENKUlT_T0_E_clISt17integral_constantIbLb0EESZ_EEDaSU_SV_EUlSU_E_NS1_11comp_targetILNS1_3genE10ELNS1_11target_archE1201ELNS1_3gpuE5ELNS1_3repE0EEENS1_30default_config_static_selectorELNS0_4arch9wavefront6targetE0EEEvT1_
	.globl	_ZN7rocprim17ROCPRIM_400000_NS6detail17trampoline_kernelINS0_14default_configENS1_27scan_by_key_config_selectorIiiEEZZNS1_16scan_by_key_implILNS1_25lookback_scan_determinismE0ELb0ES3_N6thrust23THRUST_200600_302600_NS6detail15normal_iteratorINS9_10device_ptrIiEEEESE_SE_iNS9_10multipliesIiEENS9_8equal_toIiEEiEE10hipError_tPvRmT2_T3_T4_T5_mT6_T7_P12ihipStream_tbENKUlT_T0_E_clISt17integral_constantIbLb0EESZ_EEDaSU_SV_EUlSU_E_NS1_11comp_targetILNS1_3genE10ELNS1_11target_archE1201ELNS1_3gpuE5ELNS1_3repE0EEENS1_30default_config_static_selectorELNS0_4arch9wavefront6targetE0EEEvT1_
	.p2align	8
	.type	_ZN7rocprim17ROCPRIM_400000_NS6detail17trampoline_kernelINS0_14default_configENS1_27scan_by_key_config_selectorIiiEEZZNS1_16scan_by_key_implILNS1_25lookback_scan_determinismE0ELb0ES3_N6thrust23THRUST_200600_302600_NS6detail15normal_iteratorINS9_10device_ptrIiEEEESE_SE_iNS9_10multipliesIiEENS9_8equal_toIiEEiEE10hipError_tPvRmT2_T3_T4_T5_mT6_T7_P12ihipStream_tbENKUlT_T0_E_clISt17integral_constantIbLb0EESZ_EEDaSU_SV_EUlSU_E_NS1_11comp_targetILNS1_3genE10ELNS1_11target_archE1201ELNS1_3gpuE5ELNS1_3repE0EEENS1_30default_config_static_selectorELNS0_4arch9wavefront6targetE0EEEvT1_,@function
_ZN7rocprim17ROCPRIM_400000_NS6detail17trampoline_kernelINS0_14default_configENS1_27scan_by_key_config_selectorIiiEEZZNS1_16scan_by_key_implILNS1_25lookback_scan_determinismE0ELb0ES3_N6thrust23THRUST_200600_302600_NS6detail15normal_iteratorINS9_10device_ptrIiEEEESE_SE_iNS9_10multipliesIiEENS9_8equal_toIiEEiEE10hipError_tPvRmT2_T3_T4_T5_mT6_T7_P12ihipStream_tbENKUlT_T0_E_clISt17integral_constantIbLb0EESZ_EEDaSU_SV_EUlSU_E_NS1_11comp_targetILNS1_3genE10ELNS1_11target_archE1201ELNS1_3gpuE5ELNS1_3repE0EEENS1_30default_config_static_selectorELNS0_4arch9wavefront6targetE0EEEvT1_: ; @_ZN7rocprim17ROCPRIM_400000_NS6detail17trampoline_kernelINS0_14default_configENS1_27scan_by_key_config_selectorIiiEEZZNS1_16scan_by_key_implILNS1_25lookback_scan_determinismE0ELb0ES3_N6thrust23THRUST_200600_302600_NS6detail15normal_iteratorINS9_10device_ptrIiEEEESE_SE_iNS9_10multipliesIiEENS9_8equal_toIiEEiEE10hipError_tPvRmT2_T3_T4_T5_mT6_T7_P12ihipStream_tbENKUlT_T0_E_clISt17integral_constantIbLb0EESZ_EEDaSU_SV_EUlSU_E_NS1_11comp_targetILNS1_3genE10ELNS1_11target_archE1201ELNS1_3gpuE5ELNS1_3repE0EEENS1_30default_config_static_selectorELNS0_4arch9wavefront6targetE0EEEvT1_
; %bb.0:
	.section	.rodata,"a",@progbits
	.p2align	6, 0x0
	.amdhsa_kernel _ZN7rocprim17ROCPRIM_400000_NS6detail17trampoline_kernelINS0_14default_configENS1_27scan_by_key_config_selectorIiiEEZZNS1_16scan_by_key_implILNS1_25lookback_scan_determinismE0ELb0ES3_N6thrust23THRUST_200600_302600_NS6detail15normal_iteratorINS9_10device_ptrIiEEEESE_SE_iNS9_10multipliesIiEENS9_8equal_toIiEEiEE10hipError_tPvRmT2_T3_T4_T5_mT6_T7_P12ihipStream_tbENKUlT_T0_E_clISt17integral_constantIbLb0EESZ_EEDaSU_SV_EUlSU_E_NS1_11comp_targetILNS1_3genE10ELNS1_11target_archE1201ELNS1_3gpuE5ELNS1_3repE0EEENS1_30default_config_static_selectorELNS0_4arch9wavefront6targetE0EEEvT1_
		.amdhsa_group_segment_fixed_size 0
		.amdhsa_private_segment_fixed_size 0
		.amdhsa_kernarg_size 112
		.amdhsa_user_sgpr_count 6
		.amdhsa_user_sgpr_private_segment_buffer 1
		.amdhsa_user_sgpr_dispatch_ptr 0
		.amdhsa_user_sgpr_queue_ptr 0
		.amdhsa_user_sgpr_kernarg_segment_ptr 1
		.amdhsa_user_sgpr_dispatch_id 0
		.amdhsa_user_sgpr_flat_scratch_init 0
		.amdhsa_user_sgpr_private_segment_size 0
		.amdhsa_wavefront_size32 1
		.amdhsa_uses_dynamic_stack 0
		.amdhsa_system_sgpr_private_segment_wavefront_offset 0
		.amdhsa_system_sgpr_workgroup_id_x 1
		.amdhsa_system_sgpr_workgroup_id_y 0
		.amdhsa_system_sgpr_workgroup_id_z 0
		.amdhsa_system_sgpr_workgroup_info 0
		.amdhsa_system_vgpr_workitem_id 0
		.amdhsa_next_free_vgpr 1
		.amdhsa_next_free_sgpr 1
		.amdhsa_reserve_vcc 0
		.amdhsa_reserve_flat_scratch 0
		.amdhsa_float_round_mode_32 0
		.amdhsa_float_round_mode_16_64 0
		.amdhsa_float_denorm_mode_32 3
		.amdhsa_float_denorm_mode_16_64 3
		.amdhsa_dx10_clamp 1
		.amdhsa_ieee_mode 1
		.amdhsa_fp16_overflow 0
		.amdhsa_workgroup_processor_mode 1
		.amdhsa_memory_ordered 1
		.amdhsa_forward_progress 1
		.amdhsa_shared_vgpr_count 0
		.amdhsa_exception_fp_ieee_invalid_op 0
		.amdhsa_exception_fp_denorm_src 0
		.amdhsa_exception_fp_ieee_div_zero 0
		.amdhsa_exception_fp_ieee_overflow 0
		.amdhsa_exception_fp_ieee_underflow 0
		.amdhsa_exception_fp_ieee_inexact 0
		.amdhsa_exception_int_div_zero 0
	.end_amdhsa_kernel
	.section	.text._ZN7rocprim17ROCPRIM_400000_NS6detail17trampoline_kernelINS0_14default_configENS1_27scan_by_key_config_selectorIiiEEZZNS1_16scan_by_key_implILNS1_25lookback_scan_determinismE0ELb0ES3_N6thrust23THRUST_200600_302600_NS6detail15normal_iteratorINS9_10device_ptrIiEEEESE_SE_iNS9_10multipliesIiEENS9_8equal_toIiEEiEE10hipError_tPvRmT2_T3_T4_T5_mT6_T7_P12ihipStream_tbENKUlT_T0_E_clISt17integral_constantIbLb0EESZ_EEDaSU_SV_EUlSU_E_NS1_11comp_targetILNS1_3genE10ELNS1_11target_archE1201ELNS1_3gpuE5ELNS1_3repE0EEENS1_30default_config_static_selectorELNS0_4arch9wavefront6targetE0EEEvT1_,"axG",@progbits,_ZN7rocprim17ROCPRIM_400000_NS6detail17trampoline_kernelINS0_14default_configENS1_27scan_by_key_config_selectorIiiEEZZNS1_16scan_by_key_implILNS1_25lookback_scan_determinismE0ELb0ES3_N6thrust23THRUST_200600_302600_NS6detail15normal_iteratorINS9_10device_ptrIiEEEESE_SE_iNS9_10multipliesIiEENS9_8equal_toIiEEiEE10hipError_tPvRmT2_T3_T4_T5_mT6_T7_P12ihipStream_tbENKUlT_T0_E_clISt17integral_constantIbLb0EESZ_EEDaSU_SV_EUlSU_E_NS1_11comp_targetILNS1_3genE10ELNS1_11target_archE1201ELNS1_3gpuE5ELNS1_3repE0EEENS1_30default_config_static_selectorELNS0_4arch9wavefront6targetE0EEEvT1_,comdat
.Lfunc_end165:
	.size	_ZN7rocprim17ROCPRIM_400000_NS6detail17trampoline_kernelINS0_14default_configENS1_27scan_by_key_config_selectorIiiEEZZNS1_16scan_by_key_implILNS1_25lookback_scan_determinismE0ELb0ES3_N6thrust23THRUST_200600_302600_NS6detail15normal_iteratorINS9_10device_ptrIiEEEESE_SE_iNS9_10multipliesIiEENS9_8equal_toIiEEiEE10hipError_tPvRmT2_T3_T4_T5_mT6_T7_P12ihipStream_tbENKUlT_T0_E_clISt17integral_constantIbLb0EESZ_EEDaSU_SV_EUlSU_E_NS1_11comp_targetILNS1_3genE10ELNS1_11target_archE1201ELNS1_3gpuE5ELNS1_3repE0EEENS1_30default_config_static_selectorELNS0_4arch9wavefront6targetE0EEEvT1_, .Lfunc_end165-_ZN7rocprim17ROCPRIM_400000_NS6detail17trampoline_kernelINS0_14default_configENS1_27scan_by_key_config_selectorIiiEEZZNS1_16scan_by_key_implILNS1_25lookback_scan_determinismE0ELb0ES3_N6thrust23THRUST_200600_302600_NS6detail15normal_iteratorINS9_10device_ptrIiEEEESE_SE_iNS9_10multipliesIiEENS9_8equal_toIiEEiEE10hipError_tPvRmT2_T3_T4_T5_mT6_T7_P12ihipStream_tbENKUlT_T0_E_clISt17integral_constantIbLb0EESZ_EEDaSU_SV_EUlSU_E_NS1_11comp_targetILNS1_3genE10ELNS1_11target_archE1201ELNS1_3gpuE5ELNS1_3repE0EEENS1_30default_config_static_selectorELNS0_4arch9wavefront6targetE0EEEvT1_
                                        ; -- End function
	.set _ZN7rocprim17ROCPRIM_400000_NS6detail17trampoline_kernelINS0_14default_configENS1_27scan_by_key_config_selectorIiiEEZZNS1_16scan_by_key_implILNS1_25lookback_scan_determinismE0ELb0ES3_N6thrust23THRUST_200600_302600_NS6detail15normal_iteratorINS9_10device_ptrIiEEEESE_SE_iNS9_10multipliesIiEENS9_8equal_toIiEEiEE10hipError_tPvRmT2_T3_T4_T5_mT6_T7_P12ihipStream_tbENKUlT_T0_E_clISt17integral_constantIbLb0EESZ_EEDaSU_SV_EUlSU_E_NS1_11comp_targetILNS1_3genE10ELNS1_11target_archE1201ELNS1_3gpuE5ELNS1_3repE0EEENS1_30default_config_static_selectorELNS0_4arch9wavefront6targetE0EEEvT1_.num_vgpr, 0
	.set _ZN7rocprim17ROCPRIM_400000_NS6detail17trampoline_kernelINS0_14default_configENS1_27scan_by_key_config_selectorIiiEEZZNS1_16scan_by_key_implILNS1_25lookback_scan_determinismE0ELb0ES3_N6thrust23THRUST_200600_302600_NS6detail15normal_iteratorINS9_10device_ptrIiEEEESE_SE_iNS9_10multipliesIiEENS9_8equal_toIiEEiEE10hipError_tPvRmT2_T3_T4_T5_mT6_T7_P12ihipStream_tbENKUlT_T0_E_clISt17integral_constantIbLb0EESZ_EEDaSU_SV_EUlSU_E_NS1_11comp_targetILNS1_3genE10ELNS1_11target_archE1201ELNS1_3gpuE5ELNS1_3repE0EEENS1_30default_config_static_selectorELNS0_4arch9wavefront6targetE0EEEvT1_.num_agpr, 0
	.set _ZN7rocprim17ROCPRIM_400000_NS6detail17trampoline_kernelINS0_14default_configENS1_27scan_by_key_config_selectorIiiEEZZNS1_16scan_by_key_implILNS1_25lookback_scan_determinismE0ELb0ES3_N6thrust23THRUST_200600_302600_NS6detail15normal_iteratorINS9_10device_ptrIiEEEESE_SE_iNS9_10multipliesIiEENS9_8equal_toIiEEiEE10hipError_tPvRmT2_T3_T4_T5_mT6_T7_P12ihipStream_tbENKUlT_T0_E_clISt17integral_constantIbLb0EESZ_EEDaSU_SV_EUlSU_E_NS1_11comp_targetILNS1_3genE10ELNS1_11target_archE1201ELNS1_3gpuE5ELNS1_3repE0EEENS1_30default_config_static_selectorELNS0_4arch9wavefront6targetE0EEEvT1_.numbered_sgpr, 0
	.set _ZN7rocprim17ROCPRIM_400000_NS6detail17trampoline_kernelINS0_14default_configENS1_27scan_by_key_config_selectorIiiEEZZNS1_16scan_by_key_implILNS1_25lookback_scan_determinismE0ELb0ES3_N6thrust23THRUST_200600_302600_NS6detail15normal_iteratorINS9_10device_ptrIiEEEESE_SE_iNS9_10multipliesIiEENS9_8equal_toIiEEiEE10hipError_tPvRmT2_T3_T4_T5_mT6_T7_P12ihipStream_tbENKUlT_T0_E_clISt17integral_constantIbLb0EESZ_EEDaSU_SV_EUlSU_E_NS1_11comp_targetILNS1_3genE10ELNS1_11target_archE1201ELNS1_3gpuE5ELNS1_3repE0EEENS1_30default_config_static_selectorELNS0_4arch9wavefront6targetE0EEEvT1_.num_named_barrier, 0
	.set _ZN7rocprim17ROCPRIM_400000_NS6detail17trampoline_kernelINS0_14default_configENS1_27scan_by_key_config_selectorIiiEEZZNS1_16scan_by_key_implILNS1_25lookback_scan_determinismE0ELb0ES3_N6thrust23THRUST_200600_302600_NS6detail15normal_iteratorINS9_10device_ptrIiEEEESE_SE_iNS9_10multipliesIiEENS9_8equal_toIiEEiEE10hipError_tPvRmT2_T3_T4_T5_mT6_T7_P12ihipStream_tbENKUlT_T0_E_clISt17integral_constantIbLb0EESZ_EEDaSU_SV_EUlSU_E_NS1_11comp_targetILNS1_3genE10ELNS1_11target_archE1201ELNS1_3gpuE5ELNS1_3repE0EEENS1_30default_config_static_selectorELNS0_4arch9wavefront6targetE0EEEvT1_.private_seg_size, 0
	.set _ZN7rocprim17ROCPRIM_400000_NS6detail17trampoline_kernelINS0_14default_configENS1_27scan_by_key_config_selectorIiiEEZZNS1_16scan_by_key_implILNS1_25lookback_scan_determinismE0ELb0ES3_N6thrust23THRUST_200600_302600_NS6detail15normal_iteratorINS9_10device_ptrIiEEEESE_SE_iNS9_10multipliesIiEENS9_8equal_toIiEEiEE10hipError_tPvRmT2_T3_T4_T5_mT6_T7_P12ihipStream_tbENKUlT_T0_E_clISt17integral_constantIbLb0EESZ_EEDaSU_SV_EUlSU_E_NS1_11comp_targetILNS1_3genE10ELNS1_11target_archE1201ELNS1_3gpuE5ELNS1_3repE0EEENS1_30default_config_static_selectorELNS0_4arch9wavefront6targetE0EEEvT1_.uses_vcc, 0
	.set _ZN7rocprim17ROCPRIM_400000_NS6detail17trampoline_kernelINS0_14default_configENS1_27scan_by_key_config_selectorIiiEEZZNS1_16scan_by_key_implILNS1_25lookback_scan_determinismE0ELb0ES3_N6thrust23THRUST_200600_302600_NS6detail15normal_iteratorINS9_10device_ptrIiEEEESE_SE_iNS9_10multipliesIiEENS9_8equal_toIiEEiEE10hipError_tPvRmT2_T3_T4_T5_mT6_T7_P12ihipStream_tbENKUlT_T0_E_clISt17integral_constantIbLb0EESZ_EEDaSU_SV_EUlSU_E_NS1_11comp_targetILNS1_3genE10ELNS1_11target_archE1201ELNS1_3gpuE5ELNS1_3repE0EEENS1_30default_config_static_selectorELNS0_4arch9wavefront6targetE0EEEvT1_.uses_flat_scratch, 0
	.set _ZN7rocprim17ROCPRIM_400000_NS6detail17trampoline_kernelINS0_14default_configENS1_27scan_by_key_config_selectorIiiEEZZNS1_16scan_by_key_implILNS1_25lookback_scan_determinismE0ELb0ES3_N6thrust23THRUST_200600_302600_NS6detail15normal_iteratorINS9_10device_ptrIiEEEESE_SE_iNS9_10multipliesIiEENS9_8equal_toIiEEiEE10hipError_tPvRmT2_T3_T4_T5_mT6_T7_P12ihipStream_tbENKUlT_T0_E_clISt17integral_constantIbLb0EESZ_EEDaSU_SV_EUlSU_E_NS1_11comp_targetILNS1_3genE10ELNS1_11target_archE1201ELNS1_3gpuE5ELNS1_3repE0EEENS1_30default_config_static_selectorELNS0_4arch9wavefront6targetE0EEEvT1_.has_dyn_sized_stack, 0
	.set _ZN7rocprim17ROCPRIM_400000_NS6detail17trampoline_kernelINS0_14default_configENS1_27scan_by_key_config_selectorIiiEEZZNS1_16scan_by_key_implILNS1_25lookback_scan_determinismE0ELb0ES3_N6thrust23THRUST_200600_302600_NS6detail15normal_iteratorINS9_10device_ptrIiEEEESE_SE_iNS9_10multipliesIiEENS9_8equal_toIiEEiEE10hipError_tPvRmT2_T3_T4_T5_mT6_T7_P12ihipStream_tbENKUlT_T0_E_clISt17integral_constantIbLb0EESZ_EEDaSU_SV_EUlSU_E_NS1_11comp_targetILNS1_3genE10ELNS1_11target_archE1201ELNS1_3gpuE5ELNS1_3repE0EEENS1_30default_config_static_selectorELNS0_4arch9wavefront6targetE0EEEvT1_.has_recursion, 0
	.set _ZN7rocprim17ROCPRIM_400000_NS6detail17trampoline_kernelINS0_14default_configENS1_27scan_by_key_config_selectorIiiEEZZNS1_16scan_by_key_implILNS1_25lookback_scan_determinismE0ELb0ES3_N6thrust23THRUST_200600_302600_NS6detail15normal_iteratorINS9_10device_ptrIiEEEESE_SE_iNS9_10multipliesIiEENS9_8equal_toIiEEiEE10hipError_tPvRmT2_T3_T4_T5_mT6_T7_P12ihipStream_tbENKUlT_T0_E_clISt17integral_constantIbLb0EESZ_EEDaSU_SV_EUlSU_E_NS1_11comp_targetILNS1_3genE10ELNS1_11target_archE1201ELNS1_3gpuE5ELNS1_3repE0EEENS1_30default_config_static_selectorELNS0_4arch9wavefront6targetE0EEEvT1_.has_indirect_call, 0
	.section	.AMDGPU.csdata,"",@progbits
; Kernel info:
; codeLenInByte = 0
; TotalNumSgprs: 0
; NumVgprs: 0
; ScratchSize: 0
; MemoryBound: 0
; FloatMode: 240
; IeeeMode: 1
; LDSByteSize: 0 bytes/workgroup (compile time only)
; SGPRBlocks: 0
; VGPRBlocks: 0
; NumSGPRsForWavesPerEU: 1
; NumVGPRsForWavesPerEU: 1
; Occupancy: 16
; WaveLimiterHint : 0
; COMPUTE_PGM_RSRC2:SCRATCH_EN: 0
; COMPUTE_PGM_RSRC2:USER_SGPR: 6
; COMPUTE_PGM_RSRC2:TRAP_HANDLER: 0
; COMPUTE_PGM_RSRC2:TGID_X_EN: 1
; COMPUTE_PGM_RSRC2:TGID_Y_EN: 0
; COMPUTE_PGM_RSRC2:TGID_Z_EN: 0
; COMPUTE_PGM_RSRC2:TIDIG_COMP_CNT: 0
	.section	.text._ZN7rocprim17ROCPRIM_400000_NS6detail17trampoline_kernelINS0_14default_configENS1_27scan_by_key_config_selectorIiiEEZZNS1_16scan_by_key_implILNS1_25lookback_scan_determinismE0ELb0ES3_N6thrust23THRUST_200600_302600_NS6detail15normal_iteratorINS9_10device_ptrIiEEEESE_SE_iNS9_10multipliesIiEENS9_8equal_toIiEEiEE10hipError_tPvRmT2_T3_T4_T5_mT6_T7_P12ihipStream_tbENKUlT_T0_E_clISt17integral_constantIbLb0EESZ_EEDaSU_SV_EUlSU_E_NS1_11comp_targetILNS1_3genE5ELNS1_11target_archE942ELNS1_3gpuE9ELNS1_3repE0EEENS1_30default_config_static_selectorELNS0_4arch9wavefront6targetE0EEEvT1_,"axG",@progbits,_ZN7rocprim17ROCPRIM_400000_NS6detail17trampoline_kernelINS0_14default_configENS1_27scan_by_key_config_selectorIiiEEZZNS1_16scan_by_key_implILNS1_25lookback_scan_determinismE0ELb0ES3_N6thrust23THRUST_200600_302600_NS6detail15normal_iteratorINS9_10device_ptrIiEEEESE_SE_iNS9_10multipliesIiEENS9_8equal_toIiEEiEE10hipError_tPvRmT2_T3_T4_T5_mT6_T7_P12ihipStream_tbENKUlT_T0_E_clISt17integral_constantIbLb0EESZ_EEDaSU_SV_EUlSU_E_NS1_11comp_targetILNS1_3genE5ELNS1_11target_archE942ELNS1_3gpuE9ELNS1_3repE0EEENS1_30default_config_static_selectorELNS0_4arch9wavefront6targetE0EEEvT1_,comdat
	.protected	_ZN7rocprim17ROCPRIM_400000_NS6detail17trampoline_kernelINS0_14default_configENS1_27scan_by_key_config_selectorIiiEEZZNS1_16scan_by_key_implILNS1_25lookback_scan_determinismE0ELb0ES3_N6thrust23THRUST_200600_302600_NS6detail15normal_iteratorINS9_10device_ptrIiEEEESE_SE_iNS9_10multipliesIiEENS9_8equal_toIiEEiEE10hipError_tPvRmT2_T3_T4_T5_mT6_T7_P12ihipStream_tbENKUlT_T0_E_clISt17integral_constantIbLb0EESZ_EEDaSU_SV_EUlSU_E_NS1_11comp_targetILNS1_3genE5ELNS1_11target_archE942ELNS1_3gpuE9ELNS1_3repE0EEENS1_30default_config_static_selectorELNS0_4arch9wavefront6targetE0EEEvT1_ ; -- Begin function _ZN7rocprim17ROCPRIM_400000_NS6detail17trampoline_kernelINS0_14default_configENS1_27scan_by_key_config_selectorIiiEEZZNS1_16scan_by_key_implILNS1_25lookback_scan_determinismE0ELb0ES3_N6thrust23THRUST_200600_302600_NS6detail15normal_iteratorINS9_10device_ptrIiEEEESE_SE_iNS9_10multipliesIiEENS9_8equal_toIiEEiEE10hipError_tPvRmT2_T3_T4_T5_mT6_T7_P12ihipStream_tbENKUlT_T0_E_clISt17integral_constantIbLb0EESZ_EEDaSU_SV_EUlSU_E_NS1_11comp_targetILNS1_3genE5ELNS1_11target_archE942ELNS1_3gpuE9ELNS1_3repE0EEENS1_30default_config_static_selectorELNS0_4arch9wavefront6targetE0EEEvT1_
	.globl	_ZN7rocprim17ROCPRIM_400000_NS6detail17trampoline_kernelINS0_14default_configENS1_27scan_by_key_config_selectorIiiEEZZNS1_16scan_by_key_implILNS1_25lookback_scan_determinismE0ELb0ES3_N6thrust23THRUST_200600_302600_NS6detail15normal_iteratorINS9_10device_ptrIiEEEESE_SE_iNS9_10multipliesIiEENS9_8equal_toIiEEiEE10hipError_tPvRmT2_T3_T4_T5_mT6_T7_P12ihipStream_tbENKUlT_T0_E_clISt17integral_constantIbLb0EESZ_EEDaSU_SV_EUlSU_E_NS1_11comp_targetILNS1_3genE5ELNS1_11target_archE942ELNS1_3gpuE9ELNS1_3repE0EEENS1_30default_config_static_selectorELNS0_4arch9wavefront6targetE0EEEvT1_
	.p2align	8
	.type	_ZN7rocprim17ROCPRIM_400000_NS6detail17trampoline_kernelINS0_14default_configENS1_27scan_by_key_config_selectorIiiEEZZNS1_16scan_by_key_implILNS1_25lookback_scan_determinismE0ELb0ES3_N6thrust23THRUST_200600_302600_NS6detail15normal_iteratorINS9_10device_ptrIiEEEESE_SE_iNS9_10multipliesIiEENS9_8equal_toIiEEiEE10hipError_tPvRmT2_T3_T4_T5_mT6_T7_P12ihipStream_tbENKUlT_T0_E_clISt17integral_constantIbLb0EESZ_EEDaSU_SV_EUlSU_E_NS1_11comp_targetILNS1_3genE5ELNS1_11target_archE942ELNS1_3gpuE9ELNS1_3repE0EEENS1_30default_config_static_selectorELNS0_4arch9wavefront6targetE0EEEvT1_,@function
_ZN7rocprim17ROCPRIM_400000_NS6detail17trampoline_kernelINS0_14default_configENS1_27scan_by_key_config_selectorIiiEEZZNS1_16scan_by_key_implILNS1_25lookback_scan_determinismE0ELb0ES3_N6thrust23THRUST_200600_302600_NS6detail15normal_iteratorINS9_10device_ptrIiEEEESE_SE_iNS9_10multipliesIiEENS9_8equal_toIiEEiEE10hipError_tPvRmT2_T3_T4_T5_mT6_T7_P12ihipStream_tbENKUlT_T0_E_clISt17integral_constantIbLb0EESZ_EEDaSU_SV_EUlSU_E_NS1_11comp_targetILNS1_3genE5ELNS1_11target_archE942ELNS1_3gpuE9ELNS1_3repE0EEENS1_30default_config_static_selectorELNS0_4arch9wavefront6targetE0EEEvT1_: ; @_ZN7rocprim17ROCPRIM_400000_NS6detail17trampoline_kernelINS0_14default_configENS1_27scan_by_key_config_selectorIiiEEZZNS1_16scan_by_key_implILNS1_25lookback_scan_determinismE0ELb0ES3_N6thrust23THRUST_200600_302600_NS6detail15normal_iteratorINS9_10device_ptrIiEEEESE_SE_iNS9_10multipliesIiEENS9_8equal_toIiEEiEE10hipError_tPvRmT2_T3_T4_T5_mT6_T7_P12ihipStream_tbENKUlT_T0_E_clISt17integral_constantIbLb0EESZ_EEDaSU_SV_EUlSU_E_NS1_11comp_targetILNS1_3genE5ELNS1_11target_archE942ELNS1_3gpuE9ELNS1_3repE0EEENS1_30default_config_static_selectorELNS0_4arch9wavefront6targetE0EEEvT1_
; %bb.0:
	.section	.rodata,"a",@progbits
	.p2align	6, 0x0
	.amdhsa_kernel _ZN7rocprim17ROCPRIM_400000_NS6detail17trampoline_kernelINS0_14default_configENS1_27scan_by_key_config_selectorIiiEEZZNS1_16scan_by_key_implILNS1_25lookback_scan_determinismE0ELb0ES3_N6thrust23THRUST_200600_302600_NS6detail15normal_iteratorINS9_10device_ptrIiEEEESE_SE_iNS9_10multipliesIiEENS9_8equal_toIiEEiEE10hipError_tPvRmT2_T3_T4_T5_mT6_T7_P12ihipStream_tbENKUlT_T0_E_clISt17integral_constantIbLb0EESZ_EEDaSU_SV_EUlSU_E_NS1_11comp_targetILNS1_3genE5ELNS1_11target_archE942ELNS1_3gpuE9ELNS1_3repE0EEENS1_30default_config_static_selectorELNS0_4arch9wavefront6targetE0EEEvT1_
		.amdhsa_group_segment_fixed_size 0
		.amdhsa_private_segment_fixed_size 0
		.amdhsa_kernarg_size 112
		.amdhsa_user_sgpr_count 6
		.amdhsa_user_sgpr_private_segment_buffer 1
		.amdhsa_user_sgpr_dispatch_ptr 0
		.amdhsa_user_sgpr_queue_ptr 0
		.amdhsa_user_sgpr_kernarg_segment_ptr 1
		.amdhsa_user_sgpr_dispatch_id 0
		.amdhsa_user_sgpr_flat_scratch_init 0
		.amdhsa_user_sgpr_private_segment_size 0
		.amdhsa_wavefront_size32 1
		.amdhsa_uses_dynamic_stack 0
		.amdhsa_system_sgpr_private_segment_wavefront_offset 0
		.amdhsa_system_sgpr_workgroup_id_x 1
		.amdhsa_system_sgpr_workgroup_id_y 0
		.amdhsa_system_sgpr_workgroup_id_z 0
		.amdhsa_system_sgpr_workgroup_info 0
		.amdhsa_system_vgpr_workitem_id 0
		.amdhsa_next_free_vgpr 1
		.amdhsa_next_free_sgpr 1
		.amdhsa_reserve_vcc 0
		.amdhsa_reserve_flat_scratch 0
		.amdhsa_float_round_mode_32 0
		.amdhsa_float_round_mode_16_64 0
		.amdhsa_float_denorm_mode_32 3
		.amdhsa_float_denorm_mode_16_64 3
		.amdhsa_dx10_clamp 1
		.amdhsa_ieee_mode 1
		.amdhsa_fp16_overflow 0
		.amdhsa_workgroup_processor_mode 1
		.amdhsa_memory_ordered 1
		.amdhsa_forward_progress 1
		.amdhsa_shared_vgpr_count 0
		.amdhsa_exception_fp_ieee_invalid_op 0
		.amdhsa_exception_fp_denorm_src 0
		.amdhsa_exception_fp_ieee_div_zero 0
		.amdhsa_exception_fp_ieee_overflow 0
		.amdhsa_exception_fp_ieee_underflow 0
		.amdhsa_exception_fp_ieee_inexact 0
		.amdhsa_exception_int_div_zero 0
	.end_amdhsa_kernel
	.section	.text._ZN7rocprim17ROCPRIM_400000_NS6detail17trampoline_kernelINS0_14default_configENS1_27scan_by_key_config_selectorIiiEEZZNS1_16scan_by_key_implILNS1_25lookback_scan_determinismE0ELb0ES3_N6thrust23THRUST_200600_302600_NS6detail15normal_iteratorINS9_10device_ptrIiEEEESE_SE_iNS9_10multipliesIiEENS9_8equal_toIiEEiEE10hipError_tPvRmT2_T3_T4_T5_mT6_T7_P12ihipStream_tbENKUlT_T0_E_clISt17integral_constantIbLb0EESZ_EEDaSU_SV_EUlSU_E_NS1_11comp_targetILNS1_3genE5ELNS1_11target_archE942ELNS1_3gpuE9ELNS1_3repE0EEENS1_30default_config_static_selectorELNS0_4arch9wavefront6targetE0EEEvT1_,"axG",@progbits,_ZN7rocprim17ROCPRIM_400000_NS6detail17trampoline_kernelINS0_14default_configENS1_27scan_by_key_config_selectorIiiEEZZNS1_16scan_by_key_implILNS1_25lookback_scan_determinismE0ELb0ES3_N6thrust23THRUST_200600_302600_NS6detail15normal_iteratorINS9_10device_ptrIiEEEESE_SE_iNS9_10multipliesIiEENS9_8equal_toIiEEiEE10hipError_tPvRmT2_T3_T4_T5_mT6_T7_P12ihipStream_tbENKUlT_T0_E_clISt17integral_constantIbLb0EESZ_EEDaSU_SV_EUlSU_E_NS1_11comp_targetILNS1_3genE5ELNS1_11target_archE942ELNS1_3gpuE9ELNS1_3repE0EEENS1_30default_config_static_selectorELNS0_4arch9wavefront6targetE0EEEvT1_,comdat
.Lfunc_end166:
	.size	_ZN7rocprim17ROCPRIM_400000_NS6detail17trampoline_kernelINS0_14default_configENS1_27scan_by_key_config_selectorIiiEEZZNS1_16scan_by_key_implILNS1_25lookback_scan_determinismE0ELb0ES3_N6thrust23THRUST_200600_302600_NS6detail15normal_iteratorINS9_10device_ptrIiEEEESE_SE_iNS9_10multipliesIiEENS9_8equal_toIiEEiEE10hipError_tPvRmT2_T3_T4_T5_mT6_T7_P12ihipStream_tbENKUlT_T0_E_clISt17integral_constantIbLb0EESZ_EEDaSU_SV_EUlSU_E_NS1_11comp_targetILNS1_3genE5ELNS1_11target_archE942ELNS1_3gpuE9ELNS1_3repE0EEENS1_30default_config_static_selectorELNS0_4arch9wavefront6targetE0EEEvT1_, .Lfunc_end166-_ZN7rocprim17ROCPRIM_400000_NS6detail17trampoline_kernelINS0_14default_configENS1_27scan_by_key_config_selectorIiiEEZZNS1_16scan_by_key_implILNS1_25lookback_scan_determinismE0ELb0ES3_N6thrust23THRUST_200600_302600_NS6detail15normal_iteratorINS9_10device_ptrIiEEEESE_SE_iNS9_10multipliesIiEENS9_8equal_toIiEEiEE10hipError_tPvRmT2_T3_T4_T5_mT6_T7_P12ihipStream_tbENKUlT_T0_E_clISt17integral_constantIbLb0EESZ_EEDaSU_SV_EUlSU_E_NS1_11comp_targetILNS1_3genE5ELNS1_11target_archE942ELNS1_3gpuE9ELNS1_3repE0EEENS1_30default_config_static_selectorELNS0_4arch9wavefront6targetE0EEEvT1_
                                        ; -- End function
	.set _ZN7rocprim17ROCPRIM_400000_NS6detail17trampoline_kernelINS0_14default_configENS1_27scan_by_key_config_selectorIiiEEZZNS1_16scan_by_key_implILNS1_25lookback_scan_determinismE0ELb0ES3_N6thrust23THRUST_200600_302600_NS6detail15normal_iteratorINS9_10device_ptrIiEEEESE_SE_iNS9_10multipliesIiEENS9_8equal_toIiEEiEE10hipError_tPvRmT2_T3_T4_T5_mT6_T7_P12ihipStream_tbENKUlT_T0_E_clISt17integral_constantIbLb0EESZ_EEDaSU_SV_EUlSU_E_NS1_11comp_targetILNS1_3genE5ELNS1_11target_archE942ELNS1_3gpuE9ELNS1_3repE0EEENS1_30default_config_static_selectorELNS0_4arch9wavefront6targetE0EEEvT1_.num_vgpr, 0
	.set _ZN7rocprim17ROCPRIM_400000_NS6detail17trampoline_kernelINS0_14default_configENS1_27scan_by_key_config_selectorIiiEEZZNS1_16scan_by_key_implILNS1_25lookback_scan_determinismE0ELb0ES3_N6thrust23THRUST_200600_302600_NS6detail15normal_iteratorINS9_10device_ptrIiEEEESE_SE_iNS9_10multipliesIiEENS9_8equal_toIiEEiEE10hipError_tPvRmT2_T3_T4_T5_mT6_T7_P12ihipStream_tbENKUlT_T0_E_clISt17integral_constantIbLb0EESZ_EEDaSU_SV_EUlSU_E_NS1_11comp_targetILNS1_3genE5ELNS1_11target_archE942ELNS1_3gpuE9ELNS1_3repE0EEENS1_30default_config_static_selectorELNS0_4arch9wavefront6targetE0EEEvT1_.num_agpr, 0
	.set _ZN7rocprim17ROCPRIM_400000_NS6detail17trampoline_kernelINS0_14default_configENS1_27scan_by_key_config_selectorIiiEEZZNS1_16scan_by_key_implILNS1_25lookback_scan_determinismE0ELb0ES3_N6thrust23THRUST_200600_302600_NS6detail15normal_iteratorINS9_10device_ptrIiEEEESE_SE_iNS9_10multipliesIiEENS9_8equal_toIiEEiEE10hipError_tPvRmT2_T3_T4_T5_mT6_T7_P12ihipStream_tbENKUlT_T0_E_clISt17integral_constantIbLb0EESZ_EEDaSU_SV_EUlSU_E_NS1_11comp_targetILNS1_3genE5ELNS1_11target_archE942ELNS1_3gpuE9ELNS1_3repE0EEENS1_30default_config_static_selectorELNS0_4arch9wavefront6targetE0EEEvT1_.numbered_sgpr, 0
	.set _ZN7rocprim17ROCPRIM_400000_NS6detail17trampoline_kernelINS0_14default_configENS1_27scan_by_key_config_selectorIiiEEZZNS1_16scan_by_key_implILNS1_25lookback_scan_determinismE0ELb0ES3_N6thrust23THRUST_200600_302600_NS6detail15normal_iteratorINS9_10device_ptrIiEEEESE_SE_iNS9_10multipliesIiEENS9_8equal_toIiEEiEE10hipError_tPvRmT2_T3_T4_T5_mT6_T7_P12ihipStream_tbENKUlT_T0_E_clISt17integral_constantIbLb0EESZ_EEDaSU_SV_EUlSU_E_NS1_11comp_targetILNS1_3genE5ELNS1_11target_archE942ELNS1_3gpuE9ELNS1_3repE0EEENS1_30default_config_static_selectorELNS0_4arch9wavefront6targetE0EEEvT1_.num_named_barrier, 0
	.set _ZN7rocprim17ROCPRIM_400000_NS6detail17trampoline_kernelINS0_14default_configENS1_27scan_by_key_config_selectorIiiEEZZNS1_16scan_by_key_implILNS1_25lookback_scan_determinismE0ELb0ES3_N6thrust23THRUST_200600_302600_NS6detail15normal_iteratorINS9_10device_ptrIiEEEESE_SE_iNS9_10multipliesIiEENS9_8equal_toIiEEiEE10hipError_tPvRmT2_T3_T4_T5_mT6_T7_P12ihipStream_tbENKUlT_T0_E_clISt17integral_constantIbLb0EESZ_EEDaSU_SV_EUlSU_E_NS1_11comp_targetILNS1_3genE5ELNS1_11target_archE942ELNS1_3gpuE9ELNS1_3repE0EEENS1_30default_config_static_selectorELNS0_4arch9wavefront6targetE0EEEvT1_.private_seg_size, 0
	.set _ZN7rocprim17ROCPRIM_400000_NS6detail17trampoline_kernelINS0_14default_configENS1_27scan_by_key_config_selectorIiiEEZZNS1_16scan_by_key_implILNS1_25lookback_scan_determinismE0ELb0ES3_N6thrust23THRUST_200600_302600_NS6detail15normal_iteratorINS9_10device_ptrIiEEEESE_SE_iNS9_10multipliesIiEENS9_8equal_toIiEEiEE10hipError_tPvRmT2_T3_T4_T5_mT6_T7_P12ihipStream_tbENKUlT_T0_E_clISt17integral_constantIbLb0EESZ_EEDaSU_SV_EUlSU_E_NS1_11comp_targetILNS1_3genE5ELNS1_11target_archE942ELNS1_3gpuE9ELNS1_3repE0EEENS1_30default_config_static_selectorELNS0_4arch9wavefront6targetE0EEEvT1_.uses_vcc, 0
	.set _ZN7rocprim17ROCPRIM_400000_NS6detail17trampoline_kernelINS0_14default_configENS1_27scan_by_key_config_selectorIiiEEZZNS1_16scan_by_key_implILNS1_25lookback_scan_determinismE0ELb0ES3_N6thrust23THRUST_200600_302600_NS6detail15normal_iteratorINS9_10device_ptrIiEEEESE_SE_iNS9_10multipliesIiEENS9_8equal_toIiEEiEE10hipError_tPvRmT2_T3_T4_T5_mT6_T7_P12ihipStream_tbENKUlT_T0_E_clISt17integral_constantIbLb0EESZ_EEDaSU_SV_EUlSU_E_NS1_11comp_targetILNS1_3genE5ELNS1_11target_archE942ELNS1_3gpuE9ELNS1_3repE0EEENS1_30default_config_static_selectorELNS0_4arch9wavefront6targetE0EEEvT1_.uses_flat_scratch, 0
	.set _ZN7rocprim17ROCPRIM_400000_NS6detail17trampoline_kernelINS0_14default_configENS1_27scan_by_key_config_selectorIiiEEZZNS1_16scan_by_key_implILNS1_25lookback_scan_determinismE0ELb0ES3_N6thrust23THRUST_200600_302600_NS6detail15normal_iteratorINS9_10device_ptrIiEEEESE_SE_iNS9_10multipliesIiEENS9_8equal_toIiEEiEE10hipError_tPvRmT2_T3_T4_T5_mT6_T7_P12ihipStream_tbENKUlT_T0_E_clISt17integral_constantIbLb0EESZ_EEDaSU_SV_EUlSU_E_NS1_11comp_targetILNS1_3genE5ELNS1_11target_archE942ELNS1_3gpuE9ELNS1_3repE0EEENS1_30default_config_static_selectorELNS0_4arch9wavefront6targetE0EEEvT1_.has_dyn_sized_stack, 0
	.set _ZN7rocprim17ROCPRIM_400000_NS6detail17trampoline_kernelINS0_14default_configENS1_27scan_by_key_config_selectorIiiEEZZNS1_16scan_by_key_implILNS1_25lookback_scan_determinismE0ELb0ES3_N6thrust23THRUST_200600_302600_NS6detail15normal_iteratorINS9_10device_ptrIiEEEESE_SE_iNS9_10multipliesIiEENS9_8equal_toIiEEiEE10hipError_tPvRmT2_T3_T4_T5_mT6_T7_P12ihipStream_tbENKUlT_T0_E_clISt17integral_constantIbLb0EESZ_EEDaSU_SV_EUlSU_E_NS1_11comp_targetILNS1_3genE5ELNS1_11target_archE942ELNS1_3gpuE9ELNS1_3repE0EEENS1_30default_config_static_selectorELNS0_4arch9wavefront6targetE0EEEvT1_.has_recursion, 0
	.set _ZN7rocprim17ROCPRIM_400000_NS6detail17trampoline_kernelINS0_14default_configENS1_27scan_by_key_config_selectorIiiEEZZNS1_16scan_by_key_implILNS1_25lookback_scan_determinismE0ELb0ES3_N6thrust23THRUST_200600_302600_NS6detail15normal_iteratorINS9_10device_ptrIiEEEESE_SE_iNS9_10multipliesIiEENS9_8equal_toIiEEiEE10hipError_tPvRmT2_T3_T4_T5_mT6_T7_P12ihipStream_tbENKUlT_T0_E_clISt17integral_constantIbLb0EESZ_EEDaSU_SV_EUlSU_E_NS1_11comp_targetILNS1_3genE5ELNS1_11target_archE942ELNS1_3gpuE9ELNS1_3repE0EEENS1_30default_config_static_selectorELNS0_4arch9wavefront6targetE0EEEvT1_.has_indirect_call, 0
	.section	.AMDGPU.csdata,"",@progbits
; Kernel info:
; codeLenInByte = 0
; TotalNumSgprs: 0
; NumVgprs: 0
; ScratchSize: 0
; MemoryBound: 0
; FloatMode: 240
; IeeeMode: 1
; LDSByteSize: 0 bytes/workgroup (compile time only)
; SGPRBlocks: 0
; VGPRBlocks: 0
; NumSGPRsForWavesPerEU: 1
; NumVGPRsForWavesPerEU: 1
; Occupancy: 16
; WaveLimiterHint : 0
; COMPUTE_PGM_RSRC2:SCRATCH_EN: 0
; COMPUTE_PGM_RSRC2:USER_SGPR: 6
; COMPUTE_PGM_RSRC2:TRAP_HANDLER: 0
; COMPUTE_PGM_RSRC2:TGID_X_EN: 1
; COMPUTE_PGM_RSRC2:TGID_Y_EN: 0
; COMPUTE_PGM_RSRC2:TGID_Z_EN: 0
; COMPUTE_PGM_RSRC2:TIDIG_COMP_CNT: 0
	.section	.text._ZN7rocprim17ROCPRIM_400000_NS6detail17trampoline_kernelINS0_14default_configENS1_27scan_by_key_config_selectorIiiEEZZNS1_16scan_by_key_implILNS1_25lookback_scan_determinismE0ELb0ES3_N6thrust23THRUST_200600_302600_NS6detail15normal_iteratorINS9_10device_ptrIiEEEESE_SE_iNS9_10multipliesIiEENS9_8equal_toIiEEiEE10hipError_tPvRmT2_T3_T4_T5_mT6_T7_P12ihipStream_tbENKUlT_T0_E_clISt17integral_constantIbLb0EESZ_EEDaSU_SV_EUlSU_E_NS1_11comp_targetILNS1_3genE4ELNS1_11target_archE910ELNS1_3gpuE8ELNS1_3repE0EEENS1_30default_config_static_selectorELNS0_4arch9wavefront6targetE0EEEvT1_,"axG",@progbits,_ZN7rocprim17ROCPRIM_400000_NS6detail17trampoline_kernelINS0_14default_configENS1_27scan_by_key_config_selectorIiiEEZZNS1_16scan_by_key_implILNS1_25lookback_scan_determinismE0ELb0ES3_N6thrust23THRUST_200600_302600_NS6detail15normal_iteratorINS9_10device_ptrIiEEEESE_SE_iNS9_10multipliesIiEENS9_8equal_toIiEEiEE10hipError_tPvRmT2_T3_T4_T5_mT6_T7_P12ihipStream_tbENKUlT_T0_E_clISt17integral_constantIbLb0EESZ_EEDaSU_SV_EUlSU_E_NS1_11comp_targetILNS1_3genE4ELNS1_11target_archE910ELNS1_3gpuE8ELNS1_3repE0EEENS1_30default_config_static_selectorELNS0_4arch9wavefront6targetE0EEEvT1_,comdat
	.protected	_ZN7rocprim17ROCPRIM_400000_NS6detail17trampoline_kernelINS0_14default_configENS1_27scan_by_key_config_selectorIiiEEZZNS1_16scan_by_key_implILNS1_25lookback_scan_determinismE0ELb0ES3_N6thrust23THRUST_200600_302600_NS6detail15normal_iteratorINS9_10device_ptrIiEEEESE_SE_iNS9_10multipliesIiEENS9_8equal_toIiEEiEE10hipError_tPvRmT2_T3_T4_T5_mT6_T7_P12ihipStream_tbENKUlT_T0_E_clISt17integral_constantIbLb0EESZ_EEDaSU_SV_EUlSU_E_NS1_11comp_targetILNS1_3genE4ELNS1_11target_archE910ELNS1_3gpuE8ELNS1_3repE0EEENS1_30default_config_static_selectorELNS0_4arch9wavefront6targetE0EEEvT1_ ; -- Begin function _ZN7rocprim17ROCPRIM_400000_NS6detail17trampoline_kernelINS0_14default_configENS1_27scan_by_key_config_selectorIiiEEZZNS1_16scan_by_key_implILNS1_25lookback_scan_determinismE0ELb0ES3_N6thrust23THRUST_200600_302600_NS6detail15normal_iteratorINS9_10device_ptrIiEEEESE_SE_iNS9_10multipliesIiEENS9_8equal_toIiEEiEE10hipError_tPvRmT2_T3_T4_T5_mT6_T7_P12ihipStream_tbENKUlT_T0_E_clISt17integral_constantIbLb0EESZ_EEDaSU_SV_EUlSU_E_NS1_11comp_targetILNS1_3genE4ELNS1_11target_archE910ELNS1_3gpuE8ELNS1_3repE0EEENS1_30default_config_static_selectorELNS0_4arch9wavefront6targetE0EEEvT1_
	.globl	_ZN7rocprim17ROCPRIM_400000_NS6detail17trampoline_kernelINS0_14default_configENS1_27scan_by_key_config_selectorIiiEEZZNS1_16scan_by_key_implILNS1_25lookback_scan_determinismE0ELb0ES3_N6thrust23THRUST_200600_302600_NS6detail15normal_iteratorINS9_10device_ptrIiEEEESE_SE_iNS9_10multipliesIiEENS9_8equal_toIiEEiEE10hipError_tPvRmT2_T3_T4_T5_mT6_T7_P12ihipStream_tbENKUlT_T0_E_clISt17integral_constantIbLb0EESZ_EEDaSU_SV_EUlSU_E_NS1_11comp_targetILNS1_3genE4ELNS1_11target_archE910ELNS1_3gpuE8ELNS1_3repE0EEENS1_30default_config_static_selectorELNS0_4arch9wavefront6targetE0EEEvT1_
	.p2align	8
	.type	_ZN7rocprim17ROCPRIM_400000_NS6detail17trampoline_kernelINS0_14default_configENS1_27scan_by_key_config_selectorIiiEEZZNS1_16scan_by_key_implILNS1_25lookback_scan_determinismE0ELb0ES3_N6thrust23THRUST_200600_302600_NS6detail15normal_iteratorINS9_10device_ptrIiEEEESE_SE_iNS9_10multipliesIiEENS9_8equal_toIiEEiEE10hipError_tPvRmT2_T3_T4_T5_mT6_T7_P12ihipStream_tbENKUlT_T0_E_clISt17integral_constantIbLb0EESZ_EEDaSU_SV_EUlSU_E_NS1_11comp_targetILNS1_3genE4ELNS1_11target_archE910ELNS1_3gpuE8ELNS1_3repE0EEENS1_30default_config_static_selectorELNS0_4arch9wavefront6targetE0EEEvT1_,@function
_ZN7rocprim17ROCPRIM_400000_NS6detail17trampoline_kernelINS0_14default_configENS1_27scan_by_key_config_selectorIiiEEZZNS1_16scan_by_key_implILNS1_25lookback_scan_determinismE0ELb0ES3_N6thrust23THRUST_200600_302600_NS6detail15normal_iteratorINS9_10device_ptrIiEEEESE_SE_iNS9_10multipliesIiEENS9_8equal_toIiEEiEE10hipError_tPvRmT2_T3_T4_T5_mT6_T7_P12ihipStream_tbENKUlT_T0_E_clISt17integral_constantIbLb0EESZ_EEDaSU_SV_EUlSU_E_NS1_11comp_targetILNS1_3genE4ELNS1_11target_archE910ELNS1_3gpuE8ELNS1_3repE0EEENS1_30default_config_static_selectorELNS0_4arch9wavefront6targetE0EEEvT1_: ; @_ZN7rocprim17ROCPRIM_400000_NS6detail17trampoline_kernelINS0_14default_configENS1_27scan_by_key_config_selectorIiiEEZZNS1_16scan_by_key_implILNS1_25lookback_scan_determinismE0ELb0ES3_N6thrust23THRUST_200600_302600_NS6detail15normal_iteratorINS9_10device_ptrIiEEEESE_SE_iNS9_10multipliesIiEENS9_8equal_toIiEEiEE10hipError_tPvRmT2_T3_T4_T5_mT6_T7_P12ihipStream_tbENKUlT_T0_E_clISt17integral_constantIbLb0EESZ_EEDaSU_SV_EUlSU_E_NS1_11comp_targetILNS1_3genE4ELNS1_11target_archE910ELNS1_3gpuE8ELNS1_3repE0EEENS1_30default_config_static_selectorELNS0_4arch9wavefront6targetE0EEEvT1_
; %bb.0:
	.section	.rodata,"a",@progbits
	.p2align	6, 0x0
	.amdhsa_kernel _ZN7rocprim17ROCPRIM_400000_NS6detail17trampoline_kernelINS0_14default_configENS1_27scan_by_key_config_selectorIiiEEZZNS1_16scan_by_key_implILNS1_25lookback_scan_determinismE0ELb0ES3_N6thrust23THRUST_200600_302600_NS6detail15normal_iteratorINS9_10device_ptrIiEEEESE_SE_iNS9_10multipliesIiEENS9_8equal_toIiEEiEE10hipError_tPvRmT2_T3_T4_T5_mT6_T7_P12ihipStream_tbENKUlT_T0_E_clISt17integral_constantIbLb0EESZ_EEDaSU_SV_EUlSU_E_NS1_11comp_targetILNS1_3genE4ELNS1_11target_archE910ELNS1_3gpuE8ELNS1_3repE0EEENS1_30default_config_static_selectorELNS0_4arch9wavefront6targetE0EEEvT1_
		.amdhsa_group_segment_fixed_size 0
		.amdhsa_private_segment_fixed_size 0
		.amdhsa_kernarg_size 112
		.amdhsa_user_sgpr_count 6
		.amdhsa_user_sgpr_private_segment_buffer 1
		.amdhsa_user_sgpr_dispatch_ptr 0
		.amdhsa_user_sgpr_queue_ptr 0
		.amdhsa_user_sgpr_kernarg_segment_ptr 1
		.amdhsa_user_sgpr_dispatch_id 0
		.amdhsa_user_sgpr_flat_scratch_init 0
		.amdhsa_user_sgpr_private_segment_size 0
		.amdhsa_wavefront_size32 1
		.amdhsa_uses_dynamic_stack 0
		.amdhsa_system_sgpr_private_segment_wavefront_offset 0
		.amdhsa_system_sgpr_workgroup_id_x 1
		.amdhsa_system_sgpr_workgroup_id_y 0
		.amdhsa_system_sgpr_workgroup_id_z 0
		.amdhsa_system_sgpr_workgroup_info 0
		.amdhsa_system_vgpr_workitem_id 0
		.amdhsa_next_free_vgpr 1
		.amdhsa_next_free_sgpr 1
		.amdhsa_reserve_vcc 0
		.amdhsa_reserve_flat_scratch 0
		.amdhsa_float_round_mode_32 0
		.amdhsa_float_round_mode_16_64 0
		.amdhsa_float_denorm_mode_32 3
		.amdhsa_float_denorm_mode_16_64 3
		.amdhsa_dx10_clamp 1
		.amdhsa_ieee_mode 1
		.amdhsa_fp16_overflow 0
		.amdhsa_workgroup_processor_mode 1
		.amdhsa_memory_ordered 1
		.amdhsa_forward_progress 1
		.amdhsa_shared_vgpr_count 0
		.amdhsa_exception_fp_ieee_invalid_op 0
		.amdhsa_exception_fp_denorm_src 0
		.amdhsa_exception_fp_ieee_div_zero 0
		.amdhsa_exception_fp_ieee_overflow 0
		.amdhsa_exception_fp_ieee_underflow 0
		.amdhsa_exception_fp_ieee_inexact 0
		.amdhsa_exception_int_div_zero 0
	.end_amdhsa_kernel
	.section	.text._ZN7rocprim17ROCPRIM_400000_NS6detail17trampoline_kernelINS0_14default_configENS1_27scan_by_key_config_selectorIiiEEZZNS1_16scan_by_key_implILNS1_25lookback_scan_determinismE0ELb0ES3_N6thrust23THRUST_200600_302600_NS6detail15normal_iteratorINS9_10device_ptrIiEEEESE_SE_iNS9_10multipliesIiEENS9_8equal_toIiEEiEE10hipError_tPvRmT2_T3_T4_T5_mT6_T7_P12ihipStream_tbENKUlT_T0_E_clISt17integral_constantIbLb0EESZ_EEDaSU_SV_EUlSU_E_NS1_11comp_targetILNS1_3genE4ELNS1_11target_archE910ELNS1_3gpuE8ELNS1_3repE0EEENS1_30default_config_static_selectorELNS0_4arch9wavefront6targetE0EEEvT1_,"axG",@progbits,_ZN7rocprim17ROCPRIM_400000_NS6detail17trampoline_kernelINS0_14default_configENS1_27scan_by_key_config_selectorIiiEEZZNS1_16scan_by_key_implILNS1_25lookback_scan_determinismE0ELb0ES3_N6thrust23THRUST_200600_302600_NS6detail15normal_iteratorINS9_10device_ptrIiEEEESE_SE_iNS9_10multipliesIiEENS9_8equal_toIiEEiEE10hipError_tPvRmT2_T3_T4_T5_mT6_T7_P12ihipStream_tbENKUlT_T0_E_clISt17integral_constantIbLb0EESZ_EEDaSU_SV_EUlSU_E_NS1_11comp_targetILNS1_3genE4ELNS1_11target_archE910ELNS1_3gpuE8ELNS1_3repE0EEENS1_30default_config_static_selectorELNS0_4arch9wavefront6targetE0EEEvT1_,comdat
.Lfunc_end167:
	.size	_ZN7rocprim17ROCPRIM_400000_NS6detail17trampoline_kernelINS0_14default_configENS1_27scan_by_key_config_selectorIiiEEZZNS1_16scan_by_key_implILNS1_25lookback_scan_determinismE0ELb0ES3_N6thrust23THRUST_200600_302600_NS6detail15normal_iteratorINS9_10device_ptrIiEEEESE_SE_iNS9_10multipliesIiEENS9_8equal_toIiEEiEE10hipError_tPvRmT2_T3_T4_T5_mT6_T7_P12ihipStream_tbENKUlT_T0_E_clISt17integral_constantIbLb0EESZ_EEDaSU_SV_EUlSU_E_NS1_11comp_targetILNS1_3genE4ELNS1_11target_archE910ELNS1_3gpuE8ELNS1_3repE0EEENS1_30default_config_static_selectorELNS0_4arch9wavefront6targetE0EEEvT1_, .Lfunc_end167-_ZN7rocprim17ROCPRIM_400000_NS6detail17trampoline_kernelINS0_14default_configENS1_27scan_by_key_config_selectorIiiEEZZNS1_16scan_by_key_implILNS1_25lookback_scan_determinismE0ELb0ES3_N6thrust23THRUST_200600_302600_NS6detail15normal_iteratorINS9_10device_ptrIiEEEESE_SE_iNS9_10multipliesIiEENS9_8equal_toIiEEiEE10hipError_tPvRmT2_T3_T4_T5_mT6_T7_P12ihipStream_tbENKUlT_T0_E_clISt17integral_constantIbLb0EESZ_EEDaSU_SV_EUlSU_E_NS1_11comp_targetILNS1_3genE4ELNS1_11target_archE910ELNS1_3gpuE8ELNS1_3repE0EEENS1_30default_config_static_selectorELNS0_4arch9wavefront6targetE0EEEvT1_
                                        ; -- End function
	.set _ZN7rocprim17ROCPRIM_400000_NS6detail17trampoline_kernelINS0_14default_configENS1_27scan_by_key_config_selectorIiiEEZZNS1_16scan_by_key_implILNS1_25lookback_scan_determinismE0ELb0ES3_N6thrust23THRUST_200600_302600_NS6detail15normal_iteratorINS9_10device_ptrIiEEEESE_SE_iNS9_10multipliesIiEENS9_8equal_toIiEEiEE10hipError_tPvRmT2_T3_T4_T5_mT6_T7_P12ihipStream_tbENKUlT_T0_E_clISt17integral_constantIbLb0EESZ_EEDaSU_SV_EUlSU_E_NS1_11comp_targetILNS1_3genE4ELNS1_11target_archE910ELNS1_3gpuE8ELNS1_3repE0EEENS1_30default_config_static_selectorELNS0_4arch9wavefront6targetE0EEEvT1_.num_vgpr, 0
	.set _ZN7rocprim17ROCPRIM_400000_NS6detail17trampoline_kernelINS0_14default_configENS1_27scan_by_key_config_selectorIiiEEZZNS1_16scan_by_key_implILNS1_25lookback_scan_determinismE0ELb0ES3_N6thrust23THRUST_200600_302600_NS6detail15normal_iteratorINS9_10device_ptrIiEEEESE_SE_iNS9_10multipliesIiEENS9_8equal_toIiEEiEE10hipError_tPvRmT2_T3_T4_T5_mT6_T7_P12ihipStream_tbENKUlT_T0_E_clISt17integral_constantIbLb0EESZ_EEDaSU_SV_EUlSU_E_NS1_11comp_targetILNS1_3genE4ELNS1_11target_archE910ELNS1_3gpuE8ELNS1_3repE0EEENS1_30default_config_static_selectorELNS0_4arch9wavefront6targetE0EEEvT1_.num_agpr, 0
	.set _ZN7rocprim17ROCPRIM_400000_NS6detail17trampoline_kernelINS0_14default_configENS1_27scan_by_key_config_selectorIiiEEZZNS1_16scan_by_key_implILNS1_25lookback_scan_determinismE0ELb0ES3_N6thrust23THRUST_200600_302600_NS6detail15normal_iteratorINS9_10device_ptrIiEEEESE_SE_iNS9_10multipliesIiEENS9_8equal_toIiEEiEE10hipError_tPvRmT2_T3_T4_T5_mT6_T7_P12ihipStream_tbENKUlT_T0_E_clISt17integral_constantIbLb0EESZ_EEDaSU_SV_EUlSU_E_NS1_11comp_targetILNS1_3genE4ELNS1_11target_archE910ELNS1_3gpuE8ELNS1_3repE0EEENS1_30default_config_static_selectorELNS0_4arch9wavefront6targetE0EEEvT1_.numbered_sgpr, 0
	.set _ZN7rocprim17ROCPRIM_400000_NS6detail17trampoline_kernelINS0_14default_configENS1_27scan_by_key_config_selectorIiiEEZZNS1_16scan_by_key_implILNS1_25lookback_scan_determinismE0ELb0ES3_N6thrust23THRUST_200600_302600_NS6detail15normal_iteratorINS9_10device_ptrIiEEEESE_SE_iNS9_10multipliesIiEENS9_8equal_toIiEEiEE10hipError_tPvRmT2_T3_T4_T5_mT6_T7_P12ihipStream_tbENKUlT_T0_E_clISt17integral_constantIbLb0EESZ_EEDaSU_SV_EUlSU_E_NS1_11comp_targetILNS1_3genE4ELNS1_11target_archE910ELNS1_3gpuE8ELNS1_3repE0EEENS1_30default_config_static_selectorELNS0_4arch9wavefront6targetE0EEEvT1_.num_named_barrier, 0
	.set _ZN7rocprim17ROCPRIM_400000_NS6detail17trampoline_kernelINS0_14default_configENS1_27scan_by_key_config_selectorIiiEEZZNS1_16scan_by_key_implILNS1_25lookback_scan_determinismE0ELb0ES3_N6thrust23THRUST_200600_302600_NS6detail15normal_iteratorINS9_10device_ptrIiEEEESE_SE_iNS9_10multipliesIiEENS9_8equal_toIiEEiEE10hipError_tPvRmT2_T3_T4_T5_mT6_T7_P12ihipStream_tbENKUlT_T0_E_clISt17integral_constantIbLb0EESZ_EEDaSU_SV_EUlSU_E_NS1_11comp_targetILNS1_3genE4ELNS1_11target_archE910ELNS1_3gpuE8ELNS1_3repE0EEENS1_30default_config_static_selectorELNS0_4arch9wavefront6targetE0EEEvT1_.private_seg_size, 0
	.set _ZN7rocprim17ROCPRIM_400000_NS6detail17trampoline_kernelINS0_14default_configENS1_27scan_by_key_config_selectorIiiEEZZNS1_16scan_by_key_implILNS1_25lookback_scan_determinismE0ELb0ES3_N6thrust23THRUST_200600_302600_NS6detail15normal_iteratorINS9_10device_ptrIiEEEESE_SE_iNS9_10multipliesIiEENS9_8equal_toIiEEiEE10hipError_tPvRmT2_T3_T4_T5_mT6_T7_P12ihipStream_tbENKUlT_T0_E_clISt17integral_constantIbLb0EESZ_EEDaSU_SV_EUlSU_E_NS1_11comp_targetILNS1_3genE4ELNS1_11target_archE910ELNS1_3gpuE8ELNS1_3repE0EEENS1_30default_config_static_selectorELNS0_4arch9wavefront6targetE0EEEvT1_.uses_vcc, 0
	.set _ZN7rocprim17ROCPRIM_400000_NS6detail17trampoline_kernelINS0_14default_configENS1_27scan_by_key_config_selectorIiiEEZZNS1_16scan_by_key_implILNS1_25lookback_scan_determinismE0ELb0ES3_N6thrust23THRUST_200600_302600_NS6detail15normal_iteratorINS9_10device_ptrIiEEEESE_SE_iNS9_10multipliesIiEENS9_8equal_toIiEEiEE10hipError_tPvRmT2_T3_T4_T5_mT6_T7_P12ihipStream_tbENKUlT_T0_E_clISt17integral_constantIbLb0EESZ_EEDaSU_SV_EUlSU_E_NS1_11comp_targetILNS1_3genE4ELNS1_11target_archE910ELNS1_3gpuE8ELNS1_3repE0EEENS1_30default_config_static_selectorELNS0_4arch9wavefront6targetE0EEEvT1_.uses_flat_scratch, 0
	.set _ZN7rocprim17ROCPRIM_400000_NS6detail17trampoline_kernelINS0_14default_configENS1_27scan_by_key_config_selectorIiiEEZZNS1_16scan_by_key_implILNS1_25lookback_scan_determinismE0ELb0ES3_N6thrust23THRUST_200600_302600_NS6detail15normal_iteratorINS9_10device_ptrIiEEEESE_SE_iNS9_10multipliesIiEENS9_8equal_toIiEEiEE10hipError_tPvRmT2_T3_T4_T5_mT6_T7_P12ihipStream_tbENKUlT_T0_E_clISt17integral_constantIbLb0EESZ_EEDaSU_SV_EUlSU_E_NS1_11comp_targetILNS1_3genE4ELNS1_11target_archE910ELNS1_3gpuE8ELNS1_3repE0EEENS1_30default_config_static_selectorELNS0_4arch9wavefront6targetE0EEEvT1_.has_dyn_sized_stack, 0
	.set _ZN7rocprim17ROCPRIM_400000_NS6detail17trampoline_kernelINS0_14default_configENS1_27scan_by_key_config_selectorIiiEEZZNS1_16scan_by_key_implILNS1_25lookback_scan_determinismE0ELb0ES3_N6thrust23THRUST_200600_302600_NS6detail15normal_iteratorINS9_10device_ptrIiEEEESE_SE_iNS9_10multipliesIiEENS9_8equal_toIiEEiEE10hipError_tPvRmT2_T3_T4_T5_mT6_T7_P12ihipStream_tbENKUlT_T0_E_clISt17integral_constantIbLb0EESZ_EEDaSU_SV_EUlSU_E_NS1_11comp_targetILNS1_3genE4ELNS1_11target_archE910ELNS1_3gpuE8ELNS1_3repE0EEENS1_30default_config_static_selectorELNS0_4arch9wavefront6targetE0EEEvT1_.has_recursion, 0
	.set _ZN7rocprim17ROCPRIM_400000_NS6detail17trampoline_kernelINS0_14default_configENS1_27scan_by_key_config_selectorIiiEEZZNS1_16scan_by_key_implILNS1_25lookback_scan_determinismE0ELb0ES3_N6thrust23THRUST_200600_302600_NS6detail15normal_iteratorINS9_10device_ptrIiEEEESE_SE_iNS9_10multipliesIiEENS9_8equal_toIiEEiEE10hipError_tPvRmT2_T3_T4_T5_mT6_T7_P12ihipStream_tbENKUlT_T0_E_clISt17integral_constantIbLb0EESZ_EEDaSU_SV_EUlSU_E_NS1_11comp_targetILNS1_3genE4ELNS1_11target_archE910ELNS1_3gpuE8ELNS1_3repE0EEENS1_30default_config_static_selectorELNS0_4arch9wavefront6targetE0EEEvT1_.has_indirect_call, 0
	.section	.AMDGPU.csdata,"",@progbits
; Kernel info:
; codeLenInByte = 0
; TotalNumSgprs: 0
; NumVgprs: 0
; ScratchSize: 0
; MemoryBound: 0
; FloatMode: 240
; IeeeMode: 1
; LDSByteSize: 0 bytes/workgroup (compile time only)
; SGPRBlocks: 0
; VGPRBlocks: 0
; NumSGPRsForWavesPerEU: 1
; NumVGPRsForWavesPerEU: 1
; Occupancy: 16
; WaveLimiterHint : 0
; COMPUTE_PGM_RSRC2:SCRATCH_EN: 0
; COMPUTE_PGM_RSRC2:USER_SGPR: 6
; COMPUTE_PGM_RSRC2:TRAP_HANDLER: 0
; COMPUTE_PGM_RSRC2:TGID_X_EN: 1
; COMPUTE_PGM_RSRC2:TGID_Y_EN: 0
; COMPUTE_PGM_RSRC2:TGID_Z_EN: 0
; COMPUTE_PGM_RSRC2:TIDIG_COMP_CNT: 0
	.section	.text._ZN7rocprim17ROCPRIM_400000_NS6detail17trampoline_kernelINS0_14default_configENS1_27scan_by_key_config_selectorIiiEEZZNS1_16scan_by_key_implILNS1_25lookback_scan_determinismE0ELb0ES3_N6thrust23THRUST_200600_302600_NS6detail15normal_iteratorINS9_10device_ptrIiEEEESE_SE_iNS9_10multipliesIiEENS9_8equal_toIiEEiEE10hipError_tPvRmT2_T3_T4_T5_mT6_T7_P12ihipStream_tbENKUlT_T0_E_clISt17integral_constantIbLb0EESZ_EEDaSU_SV_EUlSU_E_NS1_11comp_targetILNS1_3genE3ELNS1_11target_archE908ELNS1_3gpuE7ELNS1_3repE0EEENS1_30default_config_static_selectorELNS0_4arch9wavefront6targetE0EEEvT1_,"axG",@progbits,_ZN7rocprim17ROCPRIM_400000_NS6detail17trampoline_kernelINS0_14default_configENS1_27scan_by_key_config_selectorIiiEEZZNS1_16scan_by_key_implILNS1_25lookback_scan_determinismE0ELb0ES3_N6thrust23THRUST_200600_302600_NS6detail15normal_iteratorINS9_10device_ptrIiEEEESE_SE_iNS9_10multipliesIiEENS9_8equal_toIiEEiEE10hipError_tPvRmT2_T3_T4_T5_mT6_T7_P12ihipStream_tbENKUlT_T0_E_clISt17integral_constantIbLb0EESZ_EEDaSU_SV_EUlSU_E_NS1_11comp_targetILNS1_3genE3ELNS1_11target_archE908ELNS1_3gpuE7ELNS1_3repE0EEENS1_30default_config_static_selectorELNS0_4arch9wavefront6targetE0EEEvT1_,comdat
	.protected	_ZN7rocprim17ROCPRIM_400000_NS6detail17trampoline_kernelINS0_14default_configENS1_27scan_by_key_config_selectorIiiEEZZNS1_16scan_by_key_implILNS1_25lookback_scan_determinismE0ELb0ES3_N6thrust23THRUST_200600_302600_NS6detail15normal_iteratorINS9_10device_ptrIiEEEESE_SE_iNS9_10multipliesIiEENS9_8equal_toIiEEiEE10hipError_tPvRmT2_T3_T4_T5_mT6_T7_P12ihipStream_tbENKUlT_T0_E_clISt17integral_constantIbLb0EESZ_EEDaSU_SV_EUlSU_E_NS1_11comp_targetILNS1_3genE3ELNS1_11target_archE908ELNS1_3gpuE7ELNS1_3repE0EEENS1_30default_config_static_selectorELNS0_4arch9wavefront6targetE0EEEvT1_ ; -- Begin function _ZN7rocprim17ROCPRIM_400000_NS6detail17trampoline_kernelINS0_14default_configENS1_27scan_by_key_config_selectorIiiEEZZNS1_16scan_by_key_implILNS1_25lookback_scan_determinismE0ELb0ES3_N6thrust23THRUST_200600_302600_NS6detail15normal_iteratorINS9_10device_ptrIiEEEESE_SE_iNS9_10multipliesIiEENS9_8equal_toIiEEiEE10hipError_tPvRmT2_T3_T4_T5_mT6_T7_P12ihipStream_tbENKUlT_T0_E_clISt17integral_constantIbLb0EESZ_EEDaSU_SV_EUlSU_E_NS1_11comp_targetILNS1_3genE3ELNS1_11target_archE908ELNS1_3gpuE7ELNS1_3repE0EEENS1_30default_config_static_selectorELNS0_4arch9wavefront6targetE0EEEvT1_
	.globl	_ZN7rocprim17ROCPRIM_400000_NS6detail17trampoline_kernelINS0_14default_configENS1_27scan_by_key_config_selectorIiiEEZZNS1_16scan_by_key_implILNS1_25lookback_scan_determinismE0ELb0ES3_N6thrust23THRUST_200600_302600_NS6detail15normal_iteratorINS9_10device_ptrIiEEEESE_SE_iNS9_10multipliesIiEENS9_8equal_toIiEEiEE10hipError_tPvRmT2_T3_T4_T5_mT6_T7_P12ihipStream_tbENKUlT_T0_E_clISt17integral_constantIbLb0EESZ_EEDaSU_SV_EUlSU_E_NS1_11comp_targetILNS1_3genE3ELNS1_11target_archE908ELNS1_3gpuE7ELNS1_3repE0EEENS1_30default_config_static_selectorELNS0_4arch9wavefront6targetE0EEEvT1_
	.p2align	8
	.type	_ZN7rocprim17ROCPRIM_400000_NS6detail17trampoline_kernelINS0_14default_configENS1_27scan_by_key_config_selectorIiiEEZZNS1_16scan_by_key_implILNS1_25lookback_scan_determinismE0ELb0ES3_N6thrust23THRUST_200600_302600_NS6detail15normal_iteratorINS9_10device_ptrIiEEEESE_SE_iNS9_10multipliesIiEENS9_8equal_toIiEEiEE10hipError_tPvRmT2_T3_T4_T5_mT6_T7_P12ihipStream_tbENKUlT_T0_E_clISt17integral_constantIbLb0EESZ_EEDaSU_SV_EUlSU_E_NS1_11comp_targetILNS1_3genE3ELNS1_11target_archE908ELNS1_3gpuE7ELNS1_3repE0EEENS1_30default_config_static_selectorELNS0_4arch9wavefront6targetE0EEEvT1_,@function
_ZN7rocprim17ROCPRIM_400000_NS6detail17trampoline_kernelINS0_14default_configENS1_27scan_by_key_config_selectorIiiEEZZNS1_16scan_by_key_implILNS1_25lookback_scan_determinismE0ELb0ES3_N6thrust23THRUST_200600_302600_NS6detail15normal_iteratorINS9_10device_ptrIiEEEESE_SE_iNS9_10multipliesIiEENS9_8equal_toIiEEiEE10hipError_tPvRmT2_T3_T4_T5_mT6_T7_P12ihipStream_tbENKUlT_T0_E_clISt17integral_constantIbLb0EESZ_EEDaSU_SV_EUlSU_E_NS1_11comp_targetILNS1_3genE3ELNS1_11target_archE908ELNS1_3gpuE7ELNS1_3repE0EEENS1_30default_config_static_selectorELNS0_4arch9wavefront6targetE0EEEvT1_: ; @_ZN7rocprim17ROCPRIM_400000_NS6detail17trampoline_kernelINS0_14default_configENS1_27scan_by_key_config_selectorIiiEEZZNS1_16scan_by_key_implILNS1_25lookback_scan_determinismE0ELb0ES3_N6thrust23THRUST_200600_302600_NS6detail15normal_iteratorINS9_10device_ptrIiEEEESE_SE_iNS9_10multipliesIiEENS9_8equal_toIiEEiEE10hipError_tPvRmT2_T3_T4_T5_mT6_T7_P12ihipStream_tbENKUlT_T0_E_clISt17integral_constantIbLb0EESZ_EEDaSU_SV_EUlSU_E_NS1_11comp_targetILNS1_3genE3ELNS1_11target_archE908ELNS1_3gpuE7ELNS1_3repE0EEENS1_30default_config_static_selectorELNS0_4arch9wavefront6targetE0EEEvT1_
; %bb.0:
	.section	.rodata,"a",@progbits
	.p2align	6, 0x0
	.amdhsa_kernel _ZN7rocprim17ROCPRIM_400000_NS6detail17trampoline_kernelINS0_14default_configENS1_27scan_by_key_config_selectorIiiEEZZNS1_16scan_by_key_implILNS1_25lookback_scan_determinismE0ELb0ES3_N6thrust23THRUST_200600_302600_NS6detail15normal_iteratorINS9_10device_ptrIiEEEESE_SE_iNS9_10multipliesIiEENS9_8equal_toIiEEiEE10hipError_tPvRmT2_T3_T4_T5_mT6_T7_P12ihipStream_tbENKUlT_T0_E_clISt17integral_constantIbLb0EESZ_EEDaSU_SV_EUlSU_E_NS1_11comp_targetILNS1_3genE3ELNS1_11target_archE908ELNS1_3gpuE7ELNS1_3repE0EEENS1_30default_config_static_selectorELNS0_4arch9wavefront6targetE0EEEvT1_
		.amdhsa_group_segment_fixed_size 0
		.amdhsa_private_segment_fixed_size 0
		.amdhsa_kernarg_size 112
		.amdhsa_user_sgpr_count 6
		.amdhsa_user_sgpr_private_segment_buffer 1
		.amdhsa_user_sgpr_dispatch_ptr 0
		.amdhsa_user_sgpr_queue_ptr 0
		.amdhsa_user_sgpr_kernarg_segment_ptr 1
		.amdhsa_user_sgpr_dispatch_id 0
		.amdhsa_user_sgpr_flat_scratch_init 0
		.amdhsa_user_sgpr_private_segment_size 0
		.amdhsa_wavefront_size32 1
		.amdhsa_uses_dynamic_stack 0
		.amdhsa_system_sgpr_private_segment_wavefront_offset 0
		.amdhsa_system_sgpr_workgroup_id_x 1
		.amdhsa_system_sgpr_workgroup_id_y 0
		.amdhsa_system_sgpr_workgroup_id_z 0
		.amdhsa_system_sgpr_workgroup_info 0
		.amdhsa_system_vgpr_workitem_id 0
		.amdhsa_next_free_vgpr 1
		.amdhsa_next_free_sgpr 1
		.amdhsa_reserve_vcc 0
		.amdhsa_reserve_flat_scratch 0
		.amdhsa_float_round_mode_32 0
		.amdhsa_float_round_mode_16_64 0
		.amdhsa_float_denorm_mode_32 3
		.amdhsa_float_denorm_mode_16_64 3
		.amdhsa_dx10_clamp 1
		.amdhsa_ieee_mode 1
		.amdhsa_fp16_overflow 0
		.amdhsa_workgroup_processor_mode 1
		.amdhsa_memory_ordered 1
		.amdhsa_forward_progress 1
		.amdhsa_shared_vgpr_count 0
		.amdhsa_exception_fp_ieee_invalid_op 0
		.amdhsa_exception_fp_denorm_src 0
		.amdhsa_exception_fp_ieee_div_zero 0
		.amdhsa_exception_fp_ieee_overflow 0
		.amdhsa_exception_fp_ieee_underflow 0
		.amdhsa_exception_fp_ieee_inexact 0
		.amdhsa_exception_int_div_zero 0
	.end_amdhsa_kernel
	.section	.text._ZN7rocprim17ROCPRIM_400000_NS6detail17trampoline_kernelINS0_14default_configENS1_27scan_by_key_config_selectorIiiEEZZNS1_16scan_by_key_implILNS1_25lookback_scan_determinismE0ELb0ES3_N6thrust23THRUST_200600_302600_NS6detail15normal_iteratorINS9_10device_ptrIiEEEESE_SE_iNS9_10multipliesIiEENS9_8equal_toIiEEiEE10hipError_tPvRmT2_T3_T4_T5_mT6_T7_P12ihipStream_tbENKUlT_T0_E_clISt17integral_constantIbLb0EESZ_EEDaSU_SV_EUlSU_E_NS1_11comp_targetILNS1_3genE3ELNS1_11target_archE908ELNS1_3gpuE7ELNS1_3repE0EEENS1_30default_config_static_selectorELNS0_4arch9wavefront6targetE0EEEvT1_,"axG",@progbits,_ZN7rocprim17ROCPRIM_400000_NS6detail17trampoline_kernelINS0_14default_configENS1_27scan_by_key_config_selectorIiiEEZZNS1_16scan_by_key_implILNS1_25lookback_scan_determinismE0ELb0ES3_N6thrust23THRUST_200600_302600_NS6detail15normal_iteratorINS9_10device_ptrIiEEEESE_SE_iNS9_10multipliesIiEENS9_8equal_toIiEEiEE10hipError_tPvRmT2_T3_T4_T5_mT6_T7_P12ihipStream_tbENKUlT_T0_E_clISt17integral_constantIbLb0EESZ_EEDaSU_SV_EUlSU_E_NS1_11comp_targetILNS1_3genE3ELNS1_11target_archE908ELNS1_3gpuE7ELNS1_3repE0EEENS1_30default_config_static_selectorELNS0_4arch9wavefront6targetE0EEEvT1_,comdat
.Lfunc_end168:
	.size	_ZN7rocprim17ROCPRIM_400000_NS6detail17trampoline_kernelINS0_14default_configENS1_27scan_by_key_config_selectorIiiEEZZNS1_16scan_by_key_implILNS1_25lookback_scan_determinismE0ELb0ES3_N6thrust23THRUST_200600_302600_NS6detail15normal_iteratorINS9_10device_ptrIiEEEESE_SE_iNS9_10multipliesIiEENS9_8equal_toIiEEiEE10hipError_tPvRmT2_T3_T4_T5_mT6_T7_P12ihipStream_tbENKUlT_T0_E_clISt17integral_constantIbLb0EESZ_EEDaSU_SV_EUlSU_E_NS1_11comp_targetILNS1_3genE3ELNS1_11target_archE908ELNS1_3gpuE7ELNS1_3repE0EEENS1_30default_config_static_selectorELNS0_4arch9wavefront6targetE0EEEvT1_, .Lfunc_end168-_ZN7rocprim17ROCPRIM_400000_NS6detail17trampoline_kernelINS0_14default_configENS1_27scan_by_key_config_selectorIiiEEZZNS1_16scan_by_key_implILNS1_25lookback_scan_determinismE0ELb0ES3_N6thrust23THRUST_200600_302600_NS6detail15normal_iteratorINS9_10device_ptrIiEEEESE_SE_iNS9_10multipliesIiEENS9_8equal_toIiEEiEE10hipError_tPvRmT2_T3_T4_T5_mT6_T7_P12ihipStream_tbENKUlT_T0_E_clISt17integral_constantIbLb0EESZ_EEDaSU_SV_EUlSU_E_NS1_11comp_targetILNS1_3genE3ELNS1_11target_archE908ELNS1_3gpuE7ELNS1_3repE0EEENS1_30default_config_static_selectorELNS0_4arch9wavefront6targetE0EEEvT1_
                                        ; -- End function
	.set _ZN7rocprim17ROCPRIM_400000_NS6detail17trampoline_kernelINS0_14default_configENS1_27scan_by_key_config_selectorIiiEEZZNS1_16scan_by_key_implILNS1_25lookback_scan_determinismE0ELb0ES3_N6thrust23THRUST_200600_302600_NS6detail15normal_iteratorINS9_10device_ptrIiEEEESE_SE_iNS9_10multipliesIiEENS9_8equal_toIiEEiEE10hipError_tPvRmT2_T3_T4_T5_mT6_T7_P12ihipStream_tbENKUlT_T0_E_clISt17integral_constantIbLb0EESZ_EEDaSU_SV_EUlSU_E_NS1_11comp_targetILNS1_3genE3ELNS1_11target_archE908ELNS1_3gpuE7ELNS1_3repE0EEENS1_30default_config_static_selectorELNS0_4arch9wavefront6targetE0EEEvT1_.num_vgpr, 0
	.set _ZN7rocprim17ROCPRIM_400000_NS6detail17trampoline_kernelINS0_14default_configENS1_27scan_by_key_config_selectorIiiEEZZNS1_16scan_by_key_implILNS1_25lookback_scan_determinismE0ELb0ES3_N6thrust23THRUST_200600_302600_NS6detail15normal_iteratorINS9_10device_ptrIiEEEESE_SE_iNS9_10multipliesIiEENS9_8equal_toIiEEiEE10hipError_tPvRmT2_T3_T4_T5_mT6_T7_P12ihipStream_tbENKUlT_T0_E_clISt17integral_constantIbLb0EESZ_EEDaSU_SV_EUlSU_E_NS1_11comp_targetILNS1_3genE3ELNS1_11target_archE908ELNS1_3gpuE7ELNS1_3repE0EEENS1_30default_config_static_selectorELNS0_4arch9wavefront6targetE0EEEvT1_.num_agpr, 0
	.set _ZN7rocprim17ROCPRIM_400000_NS6detail17trampoline_kernelINS0_14default_configENS1_27scan_by_key_config_selectorIiiEEZZNS1_16scan_by_key_implILNS1_25lookback_scan_determinismE0ELb0ES3_N6thrust23THRUST_200600_302600_NS6detail15normal_iteratorINS9_10device_ptrIiEEEESE_SE_iNS9_10multipliesIiEENS9_8equal_toIiEEiEE10hipError_tPvRmT2_T3_T4_T5_mT6_T7_P12ihipStream_tbENKUlT_T0_E_clISt17integral_constantIbLb0EESZ_EEDaSU_SV_EUlSU_E_NS1_11comp_targetILNS1_3genE3ELNS1_11target_archE908ELNS1_3gpuE7ELNS1_3repE0EEENS1_30default_config_static_selectorELNS0_4arch9wavefront6targetE0EEEvT1_.numbered_sgpr, 0
	.set _ZN7rocprim17ROCPRIM_400000_NS6detail17trampoline_kernelINS0_14default_configENS1_27scan_by_key_config_selectorIiiEEZZNS1_16scan_by_key_implILNS1_25lookback_scan_determinismE0ELb0ES3_N6thrust23THRUST_200600_302600_NS6detail15normal_iteratorINS9_10device_ptrIiEEEESE_SE_iNS9_10multipliesIiEENS9_8equal_toIiEEiEE10hipError_tPvRmT2_T3_T4_T5_mT6_T7_P12ihipStream_tbENKUlT_T0_E_clISt17integral_constantIbLb0EESZ_EEDaSU_SV_EUlSU_E_NS1_11comp_targetILNS1_3genE3ELNS1_11target_archE908ELNS1_3gpuE7ELNS1_3repE0EEENS1_30default_config_static_selectorELNS0_4arch9wavefront6targetE0EEEvT1_.num_named_barrier, 0
	.set _ZN7rocprim17ROCPRIM_400000_NS6detail17trampoline_kernelINS0_14default_configENS1_27scan_by_key_config_selectorIiiEEZZNS1_16scan_by_key_implILNS1_25lookback_scan_determinismE0ELb0ES3_N6thrust23THRUST_200600_302600_NS6detail15normal_iteratorINS9_10device_ptrIiEEEESE_SE_iNS9_10multipliesIiEENS9_8equal_toIiEEiEE10hipError_tPvRmT2_T3_T4_T5_mT6_T7_P12ihipStream_tbENKUlT_T0_E_clISt17integral_constantIbLb0EESZ_EEDaSU_SV_EUlSU_E_NS1_11comp_targetILNS1_3genE3ELNS1_11target_archE908ELNS1_3gpuE7ELNS1_3repE0EEENS1_30default_config_static_selectorELNS0_4arch9wavefront6targetE0EEEvT1_.private_seg_size, 0
	.set _ZN7rocprim17ROCPRIM_400000_NS6detail17trampoline_kernelINS0_14default_configENS1_27scan_by_key_config_selectorIiiEEZZNS1_16scan_by_key_implILNS1_25lookback_scan_determinismE0ELb0ES3_N6thrust23THRUST_200600_302600_NS6detail15normal_iteratorINS9_10device_ptrIiEEEESE_SE_iNS9_10multipliesIiEENS9_8equal_toIiEEiEE10hipError_tPvRmT2_T3_T4_T5_mT6_T7_P12ihipStream_tbENKUlT_T0_E_clISt17integral_constantIbLb0EESZ_EEDaSU_SV_EUlSU_E_NS1_11comp_targetILNS1_3genE3ELNS1_11target_archE908ELNS1_3gpuE7ELNS1_3repE0EEENS1_30default_config_static_selectorELNS0_4arch9wavefront6targetE0EEEvT1_.uses_vcc, 0
	.set _ZN7rocprim17ROCPRIM_400000_NS6detail17trampoline_kernelINS0_14default_configENS1_27scan_by_key_config_selectorIiiEEZZNS1_16scan_by_key_implILNS1_25lookback_scan_determinismE0ELb0ES3_N6thrust23THRUST_200600_302600_NS6detail15normal_iteratorINS9_10device_ptrIiEEEESE_SE_iNS9_10multipliesIiEENS9_8equal_toIiEEiEE10hipError_tPvRmT2_T3_T4_T5_mT6_T7_P12ihipStream_tbENKUlT_T0_E_clISt17integral_constantIbLb0EESZ_EEDaSU_SV_EUlSU_E_NS1_11comp_targetILNS1_3genE3ELNS1_11target_archE908ELNS1_3gpuE7ELNS1_3repE0EEENS1_30default_config_static_selectorELNS0_4arch9wavefront6targetE0EEEvT1_.uses_flat_scratch, 0
	.set _ZN7rocprim17ROCPRIM_400000_NS6detail17trampoline_kernelINS0_14default_configENS1_27scan_by_key_config_selectorIiiEEZZNS1_16scan_by_key_implILNS1_25lookback_scan_determinismE0ELb0ES3_N6thrust23THRUST_200600_302600_NS6detail15normal_iteratorINS9_10device_ptrIiEEEESE_SE_iNS9_10multipliesIiEENS9_8equal_toIiEEiEE10hipError_tPvRmT2_T3_T4_T5_mT6_T7_P12ihipStream_tbENKUlT_T0_E_clISt17integral_constantIbLb0EESZ_EEDaSU_SV_EUlSU_E_NS1_11comp_targetILNS1_3genE3ELNS1_11target_archE908ELNS1_3gpuE7ELNS1_3repE0EEENS1_30default_config_static_selectorELNS0_4arch9wavefront6targetE0EEEvT1_.has_dyn_sized_stack, 0
	.set _ZN7rocprim17ROCPRIM_400000_NS6detail17trampoline_kernelINS0_14default_configENS1_27scan_by_key_config_selectorIiiEEZZNS1_16scan_by_key_implILNS1_25lookback_scan_determinismE0ELb0ES3_N6thrust23THRUST_200600_302600_NS6detail15normal_iteratorINS9_10device_ptrIiEEEESE_SE_iNS9_10multipliesIiEENS9_8equal_toIiEEiEE10hipError_tPvRmT2_T3_T4_T5_mT6_T7_P12ihipStream_tbENKUlT_T0_E_clISt17integral_constantIbLb0EESZ_EEDaSU_SV_EUlSU_E_NS1_11comp_targetILNS1_3genE3ELNS1_11target_archE908ELNS1_3gpuE7ELNS1_3repE0EEENS1_30default_config_static_selectorELNS0_4arch9wavefront6targetE0EEEvT1_.has_recursion, 0
	.set _ZN7rocprim17ROCPRIM_400000_NS6detail17trampoline_kernelINS0_14default_configENS1_27scan_by_key_config_selectorIiiEEZZNS1_16scan_by_key_implILNS1_25lookback_scan_determinismE0ELb0ES3_N6thrust23THRUST_200600_302600_NS6detail15normal_iteratorINS9_10device_ptrIiEEEESE_SE_iNS9_10multipliesIiEENS9_8equal_toIiEEiEE10hipError_tPvRmT2_T3_T4_T5_mT6_T7_P12ihipStream_tbENKUlT_T0_E_clISt17integral_constantIbLb0EESZ_EEDaSU_SV_EUlSU_E_NS1_11comp_targetILNS1_3genE3ELNS1_11target_archE908ELNS1_3gpuE7ELNS1_3repE0EEENS1_30default_config_static_selectorELNS0_4arch9wavefront6targetE0EEEvT1_.has_indirect_call, 0
	.section	.AMDGPU.csdata,"",@progbits
; Kernel info:
; codeLenInByte = 0
; TotalNumSgprs: 0
; NumVgprs: 0
; ScratchSize: 0
; MemoryBound: 0
; FloatMode: 240
; IeeeMode: 1
; LDSByteSize: 0 bytes/workgroup (compile time only)
; SGPRBlocks: 0
; VGPRBlocks: 0
; NumSGPRsForWavesPerEU: 1
; NumVGPRsForWavesPerEU: 1
; Occupancy: 16
; WaveLimiterHint : 0
; COMPUTE_PGM_RSRC2:SCRATCH_EN: 0
; COMPUTE_PGM_RSRC2:USER_SGPR: 6
; COMPUTE_PGM_RSRC2:TRAP_HANDLER: 0
; COMPUTE_PGM_RSRC2:TGID_X_EN: 1
; COMPUTE_PGM_RSRC2:TGID_Y_EN: 0
; COMPUTE_PGM_RSRC2:TGID_Z_EN: 0
; COMPUTE_PGM_RSRC2:TIDIG_COMP_CNT: 0
	.section	.text._ZN7rocprim17ROCPRIM_400000_NS6detail17trampoline_kernelINS0_14default_configENS1_27scan_by_key_config_selectorIiiEEZZNS1_16scan_by_key_implILNS1_25lookback_scan_determinismE0ELb0ES3_N6thrust23THRUST_200600_302600_NS6detail15normal_iteratorINS9_10device_ptrIiEEEESE_SE_iNS9_10multipliesIiEENS9_8equal_toIiEEiEE10hipError_tPvRmT2_T3_T4_T5_mT6_T7_P12ihipStream_tbENKUlT_T0_E_clISt17integral_constantIbLb0EESZ_EEDaSU_SV_EUlSU_E_NS1_11comp_targetILNS1_3genE2ELNS1_11target_archE906ELNS1_3gpuE6ELNS1_3repE0EEENS1_30default_config_static_selectorELNS0_4arch9wavefront6targetE0EEEvT1_,"axG",@progbits,_ZN7rocprim17ROCPRIM_400000_NS6detail17trampoline_kernelINS0_14default_configENS1_27scan_by_key_config_selectorIiiEEZZNS1_16scan_by_key_implILNS1_25lookback_scan_determinismE0ELb0ES3_N6thrust23THRUST_200600_302600_NS6detail15normal_iteratorINS9_10device_ptrIiEEEESE_SE_iNS9_10multipliesIiEENS9_8equal_toIiEEiEE10hipError_tPvRmT2_T3_T4_T5_mT6_T7_P12ihipStream_tbENKUlT_T0_E_clISt17integral_constantIbLb0EESZ_EEDaSU_SV_EUlSU_E_NS1_11comp_targetILNS1_3genE2ELNS1_11target_archE906ELNS1_3gpuE6ELNS1_3repE0EEENS1_30default_config_static_selectorELNS0_4arch9wavefront6targetE0EEEvT1_,comdat
	.protected	_ZN7rocprim17ROCPRIM_400000_NS6detail17trampoline_kernelINS0_14default_configENS1_27scan_by_key_config_selectorIiiEEZZNS1_16scan_by_key_implILNS1_25lookback_scan_determinismE0ELb0ES3_N6thrust23THRUST_200600_302600_NS6detail15normal_iteratorINS9_10device_ptrIiEEEESE_SE_iNS9_10multipliesIiEENS9_8equal_toIiEEiEE10hipError_tPvRmT2_T3_T4_T5_mT6_T7_P12ihipStream_tbENKUlT_T0_E_clISt17integral_constantIbLb0EESZ_EEDaSU_SV_EUlSU_E_NS1_11comp_targetILNS1_3genE2ELNS1_11target_archE906ELNS1_3gpuE6ELNS1_3repE0EEENS1_30default_config_static_selectorELNS0_4arch9wavefront6targetE0EEEvT1_ ; -- Begin function _ZN7rocprim17ROCPRIM_400000_NS6detail17trampoline_kernelINS0_14default_configENS1_27scan_by_key_config_selectorIiiEEZZNS1_16scan_by_key_implILNS1_25lookback_scan_determinismE0ELb0ES3_N6thrust23THRUST_200600_302600_NS6detail15normal_iteratorINS9_10device_ptrIiEEEESE_SE_iNS9_10multipliesIiEENS9_8equal_toIiEEiEE10hipError_tPvRmT2_T3_T4_T5_mT6_T7_P12ihipStream_tbENKUlT_T0_E_clISt17integral_constantIbLb0EESZ_EEDaSU_SV_EUlSU_E_NS1_11comp_targetILNS1_3genE2ELNS1_11target_archE906ELNS1_3gpuE6ELNS1_3repE0EEENS1_30default_config_static_selectorELNS0_4arch9wavefront6targetE0EEEvT1_
	.globl	_ZN7rocprim17ROCPRIM_400000_NS6detail17trampoline_kernelINS0_14default_configENS1_27scan_by_key_config_selectorIiiEEZZNS1_16scan_by_key_implILNS1_25lookback_scan_determinismE0ELb0ES3_N6thrust23THRUST_200600_302600_NS6detail15normal_iteratorINS9_10device_ptrIiEEEESE_SE_iNS9_10multipliesIiEENS9_8equal_toIiEEiEE10hipError_tPvRmT2_T3_T4_T5_mT6_T7_P12ihipStream_tbENKUlT_T0_E_clISt17integral_constantIbLb0EESZ_EEDaSU_SV_EUlSU_E_NS1_11comp_targetILNS1_3genE2ELNS1_11target_archE906ELNS1_3gpuE6ELNS1_3repE0EEENS1_30default_config_static_selectorELNS0_4arch9wavefront6targetE0EEEvT1_
	.p2align	8
	.type	_ZN7rocprim17ROCPRIM_400000_NS6detail17trampoline_kernelINS0_14default_configENS1_27scan_by_key_config_selectorIiiEEZZNS1_16scan_by_key_implILNS1_25lookback_scan_determinismE0ELb0ES3_N6thrust23THRUST_200600_302600_NS6detail15normal_iteratorINS9_10device_ptrIiEEEESE_SE_iNS9_10multipliesIiEENS9_8equal_toIiEEiEE10hipError_tPvRmT2_T3_T4_T5_mT6_T7_P12ihipStream_tbENKUlT_T0_E_clISt17integral_constantIbLb0EESZ_EEDaSU_SV_EUlSU_E_NS1_11comp_targetILNS1_3genE2ELNS1_11target_archE906ELNS1_3gpuE6ELNS1_3repE0EEENS1_30default_config_static_selectorELNS0_4arch9wavefront6targetE0EEEvT1_,@function
_ZN7rocprim17ROCPRIM_400000_NS6detail17trampoline_kernelINS0_14default_configENS1_27scan_by_key_config_selectorIiiEEZZNS1_16scan_by_key_implILNS1_25lookback_scan_determinismE0ELb0ES3_N6thrust23THRUST_200600_302600_NS6detail15normal_iteratorINS9_10device_ptrIiEEEESE_SE_iNS9_10multipliesIiEENS9_8equal_toIiEEiEE10hipError_tPvRmT2_T3_T4_T5_mT6_T7_P12ihipStream_tbENKUlT_T0_E_clISt17integral_constantIbLb0EESZ_EEDaSU_SV_EUlSU_E_NS1_11comp_targetILNS1_3genE2ELNS1_11target_archE906ELNS1_3gpuE6ELNS1_3repE0EEENS1_30default_config_static_selectorELNS0_4arch9wavefront6targetE0EEEvT1_: ; @_ZN7rocprim17ROCPRIM_400000_NS6detail17trampoline_kernelINS0_14default_configENS1_27scan_by_key_config_selectorIiiEEZZNS1_16scan_by_key_implILNS1_25lookback_scan_determinismE0ELb0ES3_N6thrust23THRUST_200600_302600_NS6detail15normal_iteratorINS9_10device_ptrIiEEEESE_SE_iNS9_10multipliesIiEENS9_8equal_toIiEEiEE10hipError_tPvRmT2_T3_T4_T5_mT6_T7_P12ihipStream_tbENKUlT_T0_E_clISt17integral_constantIbLb0EESZ_EEDaSU_SV_EUlSU_E_NS1_11comp_targetILNS1_3genE2ELNS1_11target_archE906ELNS1_3gpuE6ELNS1_3repE0EEENS1_30default_config_static_selectorELNS0_4arch9wavefront6targetE0EEEvT1_
; %bb.0:
	.section	.rodata,"a",@progbits
	.p2align	6, 0x0
	.amdhsa_kernel _ZN7rocprim17ROCPRIM_400000_NS6detail17trampoline_kernelINS0_14default_configENS1_27scan_by_key_config_selectorIiiEEZZNS1_16scan_by_key_implILNS1_25lookback_scan_determinismE0ELb0ES3_N6thrust23THRUST_200600_302600_NS6detail15normal_iteratorINS9_10device_ptrIiEEEESE_SE_iNS9_10multipliesIiEENS9_8equal_toIiEEiEE10hipError_tPvRmT2_T3_T4_T5_mT6_T7_P12ihipStream_tbENKUlT_T0_E_clISt17integral_constantIbLb0EESZ_EEDaSU_SV_EUlSU_E_NS1_11comp_targetILNS1_3genE2ELNS1_11target_archE906ELNS1_3gpuE6ELNS1_3repE0EEENS1_30default_config_static_selectorELNS0_4arch9wavefront6targetE0EEEvT1_
		.amdhsa_group_segment_fixed_size 0
		.amdhsa_private_segment_fixed_size 0
		.amdhsa_kernarg_size 112
		.amdhsa_user_sgpr_count 6
		.amdhsa_user_sgpr_private_segment_buffer 1
		.amdhsa_user_sgpr_dispatch_ptr 0
		.amdhsa_user_sgpr_queue_ptr 0
		.amdhsa_user_sgpr_kernarg_segment_ptr 1
		.amdhsa_user_sgpr_dispatch_id 0
		.amdhsa_user_sgpr_flat_scratch_init 0
		.amdhsa_user_sgpr_private_segment_size 0
		.amdhsa_wavefront_size32 1
		.amdhsa_uses_dynamic_stack 0
		.amdhsa_system_sgpr_private_segment_wavefront_offset 0
		.amdhsa_system_sgpr_workgroup_id_x 1
		.amdhsa_system_sgpr_workgroup_id_y 0
		.amdhsa_system_sgpr_workgroup_id_z 0
		.amdhsa_system_sgpr_workgroup_info 0
		.amdhsa_system_vgpr_workitem_id 0
		.amdhsa_next_free_vgpr 1
		.amdhsa_next_free_sgpr 1
		.amdhsa_reserve_vcc 0
		.amdhsa_reserve_flat_scratch 0
		.amdhsa_float_round_mode_32 0
		.amdhsa_float_round_mode_16_64 0
		.amdhsa_float_denorm_mode_32 3
		.amdhsa_float_denorm_mode_16_64 3
		.amdhsa_dx10_clamp 1
		.amdhsa_ieee_mode 1
		.amdhsa_fp16_overflow 0
		.amdhsa_workgroup_processor_mode 1
		.amdhsa_memory_ordered 1
		.amdhsa_forward_progress 1
		.amdhsa_shared_vgpr_count 0
		.amdhsa_exception_fp_ieee_invalid_op 0
		.amdhsa_exception_fp_denorm_src 0
		.amdhsa_exception_fp_ieee_div_zero 0
		.amdhsa_exception_fp_ieee_overflow 0
		.amdhsa_exception_fp_ieee_underflow 0
		.amdhsa_exception_fp_ieee_inexact 0
		.amdhsa_exception_int_div_zero 0
	.end_amdhsa_kernel
	.section	.text._ZN7rocprim17ROCPRIM_400000_NS6detail17trampoline_kernelINS0_14default_configENS1_27scan_by_key_config_selectorIiiEEZZNS1_16scan_by_key_implILNS1_25lookback_scan_determinismE0ELb0ES3_N6thrust23THRUST_200600_302600_NS6detail15normal_iteratorINS9_10device_ptrIiEEEESE_SE_iNS9_10multipliesIiEENS9_8equal_toIiEEiEE10hipError_tPvRmT2_T3_T4_T5_mT6_T7_P12ihipStream_tbENKUlT_T0_E_clISt17integral_constantIbLb0EESZ_EEDaSU_SV_EUlSU_E_NS1_11comp_targetILNS1_3genE2ELNS1_11target_archE906ELNS1_3gpuE6ELNS1_3repE0EEENS1_30default_config_static_selectorELNS0_4arch9wavefront6targetE0EEEvT1_,"axG",@progbits,_ZN7rocprim17ROCPRIM_400000_NS6detail17trampoline_kernelINS0_14default_configENS1_27scan_by_key_config_selectorIiiEEZZNS1_16scan_by_key_implILNS1_25lookback_scan_determinismE0ELb0ES3_N6thrust23THRUST_200600_302600_NS6detail15normal_iteratorINS9_10device_ptrIiEEEESE_SE_iNS9_10multipliesIiEENS9_8equal_toIiEEiEE10hipError_tPvRmT2_T3_T4_T5_mT6_T7_P12ihipStream_tbENKUlT_T0_E_clISt17integral_constantIbLb0EESZ_EEDaSU_SV_EUlSU_E_NS1_11comp_targetILNS1_3genE2ELNS1_11target_archE906ELNS1_3gpuE6ELNS1_3repE0EEENS1_30default_config_static_selectorELNS0_4arch9wavefront6targetE0EEEvT1_,comdat
.Lfunc_end169:
	.size	_ZN7rocprim17ROCPRIM_400000_NS6detail17trampoline_kernelINS0_14default_configENS1_27scan_by_key_config_selectorIiiEEZZNS1_16scan_by_key_implILNS1_25lookback_scan_determinismE0ELb0ES3_N6thrust23THRUST_200600_302600_NS6detail15normal_iteratorINS9_10device_ptrIiEEEESE_SE_iNS9_10multipliesIiEENS9_8equal_toIiEEiEE10hipError_tPvRmT2_T3_T4_T5_mT6_T7_P12ihipStream_tbENKUlT_T0_E_clISt17integral_constantIbLb0EESZ_EEDaSU_SV_EUlSU_E_NS1_11comp_targetILNS1_3genE2ELNS1_11target_archE906ELNS1_3gpuE6ELNS1_3repE0EEENS1_30default_config_static_selectorELNS0_4arch9wavefront6targetE0EEEvT1_, .Lfunc_end169-_ZN7rocprim17ROCPRIM_400000_NS6detail17trampoline_kernelINS0_14default_configENS1_27scan_by_key_config_selectorIiiEEZZNS1_16scan_by_key_implILNS1_25lookback_scan_determinismE0ELb0ES3_N6thrust23THRUST_200600_302600_NS6detail15normal_iteratorINS9_10device_ptrIiEEEESE_SE_iNS9_10multipliesIiEENS9_8equal_toIiEEiEE10hipError_tPvRmT2_T3_T4_T5_mT6_T7_P12ihipStream_tbENKUlT_T0_E_clISt17integral_constantIbLb0EESZ_EEDaSU_SV_EUlSU_E_NS1_11comp_targetILNS1_3genE2ELNS1_11target_archE906ELNS1_3gpuE6ELNS1_3repE0EEENS1_30default_config_static_selectorELNS0_4arch9wavefront6targetE0EEEvT1_
                                        ; -- End function
	.set _ZN7rocprim17ROCPRIM_400000_NS6detail17trampoline_kernelINS0_14default_configENS1_27scan_by_key_config_selectorIiiEEZZNS1_16scan_by_key_implILNS1_25lookback_scan_determinismE0ELb0ES3_N6thrust23THRUST_200600_302600_NS6detail15normal_iteratorINS9_10device_ptrIiEEEESE_SE_iNS9_10multipliesIiEENS9_8equal_toIiEEiEE10hipError_tPvRmT2_T3_T4_T5_mT6_T7_P12ihipStream_tbENKUlT_T0_E_clISt17integral_constantIbLb0EESZ_EEDaSU_SV_EUlSU_E_NS1_11comp_targetILNS1_3genE2ELNS1_11target_archE906ELNS1_3gpuE6ELNS1_3repE0EEENS1_30default_config_static_selectorELNS0_4arch9wavefront6targetE0EEEvT1_.num_vgpr, 0
	.set _ZN7rocprim17ROCPRIM_400000_NS6detail17trampoline_kernelINS0_14default_configENS1_27scan_by_key_config_selectorIiiEEZZNS1_16scan_by_key_implILNS1_25lookback_scan_determinismE0ELb0ES3_N6thrust23THRUST_200600_302600_NS6detail15normal_iteratorINS9_10device_ptrIiEEEESE_SE_iNS9_10multipliesIiEENS9_8equal_toIiEEiEE10hipError_tPvRmT2_T3_T4_T5_mT6_T7_P12ihipStream_tbENKUlT_T0_E_clISt17integral_constantIbLb0EESZ_EEDaSU_SV_EUlSU_E_NS1_11comp_targetILNS1_3genE2ELNS1_11target_archE906ELNS1_3gpuE6ELNS1_3repE0EEENS1_30default_config_static_selectorELNS0_4arch9wavefront6targetE0EEEvT1_.num_agpr, 0
	.set _ZN7rocprim17ROCPRIM_400000_NS6detail17trampoline_kernelINS0_14default_configENS1_27scan_by_key_config_selectorIiiEEZZNS1_16scan_by_key_implILNS1_25lookback_scan_determinismE0ELb0ES3_N6thrust23THRUST_200600_302600_NS6detail15normal_iteratorINS9_10device_ptrIiEEEESE_SE_iNS9_10multipliesIiEENS9_8equal_toIiEEiEE10hipError_tPvRmT2_T3_T4_T5_mT6_T7_P12ihipStream_tbENKUlT_T0_E_clISt17integral_constantIbLb0EESZ_EEDaSU_SV_EUlSU_E_NS1_11comp_targetILNS1_3genE2ELNS1_11target_archE906ELNS1_3gpuE6ELNS1_3repE0EEENS1_30default_config_static_selectorELNS0_4arch9wavefront6targetE0EEEvT1_.numbered_sgpr, 0
	.set _ZN7rocprim17ROCPRIM_400000_NS6detail17trampoline_kernelINS0_14default_configENS1_27scan_by_key_config_selectorIiiEEZZNS1_16scan_by_key_implILNS1_25lookback_scan_determinismE0ELb0ES3_N6thrust23THRUST_200600_302600_NS6detail15normal_iteratorINS9_10device_ptrIiEEEESE_SE_iNS9_10multipliesIiEENS9_8equal_toIiEEiEE10hipError_tPvRmT2_T3_T4_T5_mT6_T7_P12ihipStream_tbENKUlT_T0_E_clISt17integral_constantIbLb0EESZ_EEDaSU_SV_EUlSU_E_NS1_11comp_targetILNS1_3genE2ELNS1_11target_archE906ELNS1_3gpuE6ELNS1_3repE0EEENS1_30default_config_static_selectorELNS0_4arch9wavefront6targetE0EEEvT1_.num_named_barrier, 0
	.set _ZN7rocprim17ROCPRIM_400000_NS6detail17trampoline_kernelINS0_14default_configENS1_27scan_by_key_config_selectorIiiEEZZNS1_16scan_by_key_implILNS1_25lookback_scan_determinismE0ELb0ES3_N6thrust23THRUST_200600_302600_NS6detail15normal_iteratorINS9_10device_ptrIiEEEESE_SE_iNS9_10multipliesIiEENS9_8equal_toIiEEiEE10hipError_tPvRmT2_T3_T4_T5_mT6_T7_P12ihipStream_tbENKUlT_T0_E_clISt17integral_constantIbLb0EESZ_EEDaSU_SV_EUlSU_E_NS1_11comp_targetILNS1_3genE2ELNS1_11target_archE906ELNS1_3gpuE6ELNS1_3repE0EEENS1_30default_config_static_selectorELNS0_4arch9wavefront6targetE0EEEvT1_.private_seg_size, 0
	.set _ZN7rocprim17ROCPRIM_400000_NS6detail17trampoline_kernelINS0_14default_configENS1_27scan_by_key_config_selectorIiiEEZZNS1_16scan_by_key_implILNS1_25lookback_scan_determinismE0ELb0ES3_N6thrust23THRUST_200600_302600_NS6detail15normal_iteratorINS9_10device_ptrIiEEEESE_SE_iNS9_10multipliesIiEENS9_8equal_toIiEEiEE10hipError_tPvRmT2_T3_T4_T5_mT6_T7_P12ihipStream_tbENKUlT_T0_E_clISt17integral_constantIbLb0EESZ_EEDaSU_SV_EUlSU_E_NS1_11comp_targetILNS1_3genE2ELNS1_11target_archE906ELNS1_3gpuE6ELNS1_3repE0EEENS1_30default_config_static_selectorELNS0_4arch9wavefront6targetE0EEEvT1_.uses_vcc, 0
	.set _ZN7rocprim17ROCPRIM_400000_NS6detail17trampoline_kernelINS0_14default_configENS1_27scan_by_key_config_selectorIiiEEZZNS1_16scan_by_key_implILNS1_25lookback_scan_determinismE0ELb0ES3_N6thrust23THRUST_200600_302600_NS6detail15normal_iteratorINS9_10device_ptrIiEEEESE_SE_iNS9_10multipliesIiEENS9_8equal_toIiEEiEE10hipError_tPvRmT2_T3_T4_T5_mT6_T7_P12ihipStream_tbENKUlT_T0_E_clISt17integral_constantIbLb0EESZ_EEDaSU_SV_EUlSU_E_NS1_11comp_targetILNS1_3genE2ELNS1_11target_archE906ELNS1_3gpuE6ELNS1_3repE0EEENS1_30default_config_static_selectorELNS0_4arch9wavefront6targetE0EEEvT1_.uses_flat_scratch, 0
	.set _ZN7rocprim17ROCPRIM_400000_NS6detail17trampoline_kernelINS0_14default_configENS1_27scan_by_key_config_selectorIiiEEZZNS1_16scan_by_key_implILNS1_25lookback_scan_determinismE0ELb0ES3_N6thrust23THRUST_200600_302600_NS6detail15normal_iteratorINS9_10device_ptrIiEEEESE_SE_iNS9_10multipliesIiEENS9_8equal_toIiEEiEE10hipError_tPvRmT2_T3_T4_T5_mT6_T7_P12ihipStream_tbENKUlT_T0_E_clISt17integral_constantIbLb0EESZ_EEDaSU_SV_EUlSU_E_NS1_11comp_targetILNS1_3genE2ELNS1_11target_archE906ELNS1_3gpuE6ELNS1_3repE0EEENS1_30default_config_static_selectorELNS0_4arch9wavefront6targetE0EEEvT1_.has_dyn_sized_stack, 0
	.set _ZN7rocprim17ROCPRIM_400000_NS6detail17trampoline_kernelINS0_14default_configENS1_27scan_by_key_config_selectorIiiEEZZNS1_16scan_by_key_implILNS1_25lookback_scan_determinismE0ELb0ES3_N6thrust23THRUST_200600_302600_NS6detail15normal_iteratorINS9_10device_ptrIiEEEESE_SE_iNS9_10multipliesIiEENS9_8equal_toIiEEiEE10hipError_tPvRmT2_T3_T4_T5_mT6_T7_P12ihipStream_tbENKUlT_T0_E_clISt17integral_constantIbLb0EESZ_EEDaSU_SV_EUlSU_E_NS1_11comp_targetILNS1_3genE2ELNS1_11target_archE906ELNS1_3gpuE6ELNS1_3repE0EEENS1_30default_config_static_selectorELNS0_4arch9wavefront6targetE0EEEvT1_.has_recursion, 0
	.set _ZN7rocprim17ROCPRIM_400000_NS6detail17trampoline_kernelINS0_14default_configENS1_27scan_by_key_config_selectorIiiEEZZNS1_16scan_by_key_implILNS1_25lookback_scan_determinismE0ELb0ES3_N6thrust23THRUST_200600_302600_NS6detail15normal_iteratorINS9_10device_ptrIiEEEESE_SE_iNS9_10multipliesIiEENS9_8equal_toIiEEiEE10hipError_tPvRmT2_T3_T4_T5_mT6_T7_P12ihipStream_tbENKUlT_T0_E_clISt17integral_constantIbLb0EESZ_EEDaSU_SV_EUlSU_E_NS1_11comp_targetILNS1_3genE2ELNS1_11target_archE906ELNS1_3gpuE6ELNS1_3repE0EEENS1_30default_config_static_selectorELNS0_4arch9wavefront6targetE0EEEvT1_.has_indirect_call, 0
	.section	.AMDGPU.csdata,"",@progbits
; Kernel info:
; codeLenInByte = 0
; TotalNumSgprs: 0
; NumVgprs: 0
; ScratchSize: 0
; MemoryBound: 0
; FloatMode: 240
; IeeeMode: 1
; LDSByteSize: 0 bytes/workgroup (compile time only)
; SGPRBlocks: 0
; VGPRBlocks: 0
; NumSGPRsForWavesPerEU: 1
; NumVGPRsForWavesPerEU: 1
; Occupancy: 16
; WaveLimiterHint : 0
; COMPUTE_PGM_RSRC2:SCRATCH_EN: 0
; COMPUTE_PGM_RSRC2:USER_SGPR: 6
; COMPUTE_PGM_RSRC2:TRAP_HANDLER: 0
; COMPUTE_PGM_RSRC2:TGID_X_EN: 1
; COMPUTE_PGM_RSRC2:TGID_Y_EN: 0
; COMPUTE_PGM_RSRC2:TGID_Z_EN: 0
; COMPUTE_PGM_RSRC2:TIDIG_COMP_CNT: 0
	.section	.text._ZN7rocprim17ROCPRIM_400000_NS6detail17trampoline_kernelINS0_14default_configENS1_27scan_by_key_config_selectorIiiEEZZNS1_16scan_by_key_implILNS1_25lookback_scan_determinismE0ELb0ES3_N6thrust23THRUST_200600_302600_NS6detail15normal_iteratorINS9_10device_ptrIiEEEESE_SE_iNS9_10multipliesIiEENS9_8equal_toIiEEiEE10hipError_tPvRmT2_T3_T4_T5_mT6_T7_P12ihipStream_tbENKUlT_T0_E_clISt17integral_constantIbLb0EESZ_EEDaSU_SV_EUlSU_E_NS1_11comp_targetILNS1_3genE10ELNS1_11target_archE1200ELNS1_3gpuE4ELNS1_3repE0EEENS1_30default_config_static_selectorELNS0_4arch9wavefront6targetE0EEEvT1_,"axG",@progbits,_ZN7rocprim17ROCPRIM_400000_NS6detail17trampoline_kernelINS0_14default_configENS1_27scan_by_key_config_selectorIiiEEZZNS1_16scan_by_key_implILNS1_25lookback_scan_determinismE0ELb0ES3_N6thrust23THRUST_200600_302600_NS6detail15normal_iteratorINS9_10device_ptrIiEEEESE_SE_iNS9_10multipliesIiEENS9_8equal_toIiEEiEE10hipError_tPvRmT2_T3_T4_T5_mT6_T7_P12ihipStream_tbENKUlT_T0_E_clISt17integral_constantIbLb0EESZ_EEDaSU_SV_EUlSU_E_NS1_11comp_targetILNS1_3genE10ELNS1_11target_archE1200ELNS1_3gpuE4ELNS1_3repE0EEENS1_30default_config_static_selectorELNS0_4arch9wavefront6targetE0EEEvT1_,comdat
	.protected	_ZN7rocprim17ROCPRIM_400000_NS6detail17trampoline_kernelINS0_14default_configENS1_27scan_by_key_config_selectorIiiEEZZNS1_16scan_by_key_implILNS1_25lookback_scan_determinismE0ELb0ES3_N6thrust23THRUST_200600_302600_NS6detail15normal_iteratorINS9_10device_ptrIiEEEESE_SE_iNS9_10multipliesIiEENS9_8equal_toIiEEiEE10hipError_tPvRmT2_T3_T4_T5_mT6_T7_P12ihipStream_tbENKUlT_T0_E_clISt17integral_constantIbLb0EESZ_EEDaSU_SV_EUlSU_E_NS1_11comp_targetILNS1_3genE10ELNS1_11target_archE1200ELNS1_3gpuE4ELNS1_3repE0EEENS1_30default_config_static_selectorELNS0_4arch9wavefront6targetE0EEEvT1_ ; -- Begin function _ZN7rocprim17ROCPRIM_400000_NS6detail17trampoline_kernelINS0_14default_configENS1_27scan_by_key_config_selectorIiiEEZZNS1_16scan_by_key_implILNS1_25lookback_scan_determinismE0ELb0ES3_N6thrust23THRUST_200600_302600_NS6detail15normal_iteratorINS9_10device_ptrIiEEEESE_SE_iNS9_10multipliesIiEENS9_8equal_toIiEEiEE10hipError_tPvRmT2_T3_T4_T5_mT6_T7_P12ihipStream_tbENKUlT_T0_E_clISt17integral_constantIbLb0EESZ_EEDaSU_SV_EUlSU_E_NS1_11comp_targetILNS1_3genE10ELNS1_11target_archE1200ELNS1_3gpuE4ELNS1_3repE0EEENS1_30default_config_static_selectorELNS0_4arch9wavefront6targetE0EEEvT1_
	.globl	_ZN7rocprim17ROCPRIM_400000_NS6detail17trampoline_kernelINS0_14default_configENS1_27scan_by_key_config_selectorIiiEEZZNS1_16scan_by_key_implILNS1_25lookback_scan_determinismE0ELb0ES3_N6thrust23THRUST_200600_302600_NS6detail15normal_iteratorINS9_10device_ptrIiEEEESE_SE_iNS9_10multipliesIiEENS9_8equal_toIiEEiEE10hipError_tPvRmT2_T3_T4_T5_mT6_T7_P12ihipStream_tbENKUlT_T0_E_clISt17integral_constantIbLb0EESZ_EEDaSU_SV_EUlSU_E_NS1_11comp_targetILNS1_3genE10ELNS1_11target_archE1200ELNS1_3gpuE4ELNS1_3repE0EEENS1_30default_config_static_selectorELNS0_4arch9wavefront6targetE0EEEvT1_
	.p2align	8
	.type	_ZN7rocprim17ROCPRIM_400000_NS6detail17trampoline_kernelINS0_14default_configENS1_27scan_by_key_config_selectorIiiEEZZNS1_16scan_by_key_implILNS1_25lookback_scan_determinismE0ELb0ES3_N6thrust23THRUST_200600_302600_NS6detail15normal_iteratorINS9_10device_ptrIiEEEESE_SE_iNS9_10multipliesIiEENS9_8equal_toIiEEiEE10hipError_tPvRmT2_T3_T4_T5_mT6_T7_P12ihipStream_tbENKUlT_T0_E_clISt17integral_constantIbLb0EESZ_EEDaSU_SV_EUlSU_E_NS1_11comp_targetILNS1_3genE10ELNS1_11target_archE1200ELNS1_3gpuE4ELNS1_3repE0EEENS1_30default_config_static_selectorELNS0_4arch9wavefront6targetE0EEEvT1_,@function
_ZN7rocprim17ROCPRIM_400000_NS6detail17trampoline_kernelINS0_14default_configENS1_27scan_by_key_config_selectorIiiEEZZNS1_16scan_by_key_implILNS1_25lookback_scan_determinismE0ELb0ES3_N6thrust23THRUST_200600_302600_NS6detail15normal_iteratorINS9_10device_ptrIiEEEESE_SE_iNS9_10multipliesIiEENS9_8equal_toIiEEiEE10hipError_tPvRmT2_T3_T4_T5_mT6_T7_P12ihipStream_tbENKUlT_T0_E_clISt17integral_constantIbLb0EESZ_EEDaSU_SV_EUlSU_E_NS1_11comp_targetILNS1_3genE10ELNS1_11target_archE1200ELNS1_3gpuE4ELNS1_3repE0EEENS1_30default_config_static_selectorELNS0_4arch9wavefront6targetE0EEEvT1_: ; @_ZN7rocprim17ROCPRIM_400000_NS6detail17trampoline_kernelINS0_14default_configENS1_27scan_by_key_config_selectorIiiEEZZNS1_16scan_by_key_implILNS1_25lookback_scan_determinismE0ELb0ES3_N6thrust23THRUST_200600_302600_NS6detail15normal_iteratorINS9_10device_ptrIiEEEESE_SE_iNS9_10multipliesIiEENS9_8equal_toIiEEiEE10hipError_tPvRmT2_T3_T4_T5_mT6_T7_P12ihipStream_tbENKUlT_T0_E_clISt17integral_constantIbLb0EESZ_EEDaSU_SV_EUlSU_E_NS1_11comp_targetILNS1_3genE10ELNS1_11target_archE1200ELNS1_3gpuE4ELNS1_3repE0EEENS1_30default_config_static_selectorELNS0_4arch9wavefront6targetE0EEEvT1_
; %bb.0:
	.section	.rodata,"a",@progbits
	.p2align	6, 0x0
	.amdhsa_kernel _ZN7rocprim17ROCPRIM_400000_NS6detail17trampoline_kernelINS0_14default_configENS1_27scan_by_key_config_selectorIiiEEZZNS1_16scan_by_key_implILNS1_25lookback_scan_determinismE0ELb0ES3_N6thrust23THRUST_200600_302600_NS6detail15normal_iteratorINS9_10device_ptrIiEEEESE_SE_iNS9_10multipliesIiEENS9_8equal_toIiEEiEE10hipError_tPvRmT2_T3_T4_T5_mT6_T7_P12ihipStream_tbENKUlT_T0_E_clISt17integral_constantIbLb0EESZ_EEDaSU_SV_EUlSU_E_NS1_11comp_targetILNS1_3genE10ELNS1_11target_archE1200ELNS1_3gpuE4ELNS1_3repE0EEENS1_30default_config_static_selectorELNS0_4arch9wavefront6targetE0EEEvT1_
		.amdhsa_group_segment_fixed_size 0
		.amdhsa_private_segment_fixed_size 0
		.amdhsa_kernarg_size 112
		.amdhsa_user_sgpr_count 6
		.amdhsa_user_sgpr_private_segment_buffer 1
		.amdhsa_user_sgpr_dispatch_ptr 0
		.amdhsa_user_sgpr_queue_ptr 0
		.amdhsa_user_sgpr_kernarg_segment_ptr 1
		.amdhsa_user_sgpr_dispatch_id 0
		.amdhsa_user_sgpr_flat_scratch_init 0
		.amdhsa_user_sgpr_private_segment_size 0
		.amdhsa_wavefront_size32 1
		.amdhsa_uses_dynamic_stack 0
		.amdhsa_system_sgpr_private_segment_wavefront_offset 0
		.amdhsa_system_sgpr_workgroup_id_x 1
		.amdhsa_system_sgpr_workgroup_id_y 0
		.amdhsa_system_sgpr_workgroup_id_z 0
		.amdhsa_system_sgpr_workgroup_info 0
		.amdhsa_system_vgpr_workitem_id 0
		.amdhsa_next_free_vgpr 1
		.amdhsa_next_free_sgpr 1
		.amdhsa_reserve_vcc 0
		.amdhsa_reserve_flat_scratch 0
		.amdhsa_float_round_mode_32 0
		.amdhsa_float_round_mode_16_64 0
		.amdhsa_float_denorm_mode_32 3
		.amdhsa_float_denorm_mode_16_64 3
		.amdhsa_dx10_clamp 1
		.amdhsa_ieee_mode 1
		.amdhsa_fp16_overflow 0
		.amdhsa_workgroup_processor_mode 1
		.amdhsa_memory_ordered 1
		.amdhsa_forward_progress 1
		.amdhsa_shared_vgpr_count 0
		.amdhsa_exception_fp_ieee_invalid_op 0
		.amdhsa_exception_fp_denorm_src 0
		.amdhsa_exception_fp_ieee_div_zero 0
		.amdhsa_exception_fp_ieee_overflow 0
		.amdhsa_exception_fp_ieee_underflow 0
		.amdhsa_exception_fp_ieee_inexact 0
		.amdhsa_exception_int_div_zero 0
	.end_amdhsa_kernel
	.section	.text._ZN7rocprim17ROCPRIM_400000_NS6detail17trampoline_kernelINS0_14default_configENS1_27scan_by_key_config_selectorIiiEEZZNS1_16scan_by_key_implILNS1_25lookback_scan_determinismE0ELb0ES3_N6thrust23THRUST_200600_302600_NS6detail15normal_iteratorINS9_10device_ptrIiEEEESE_SE_iNS9_10multipliesIiEENS9_8equal_toIiEEiEE10hipError_tPvRmT2_T3_T4_T5_mT6_T7_P12ihipStream_tbENKUlT_T0_E_clISt17integral_constantIbLb0EESZ_EEDaSU_SV_EUlSU_E_NS1_11comp_targetILNS1_3genE10ELNS1_11target_archE1200ELNS1_3gpuE4ELNS1_3repE0EEENS1_30default_config_static_selectorELNS0_4arch9wavefront6targetE0EEEvT1_,"axG",@progbits,_ZN7rocprim17ROCPRIM_400000_NS6detail17trampoline_kernelINS0_14default_configENS1_27scan_by_key_config_selectorIiiEEZZNS1_16scan_by_key_implILNS1_25lookback_scan_determinismE0ELb0ES3_N6thrust23THRUST_200600_302600_NS6detail15normal_iteratorINS9_10device_ptrIiEEEESE_SE_iNS9_10multipliesIiEENS9_8equal_toIiEEiEE10hipError_tPvRmT2_T3_T4_T5_mT6_T7_P12ihipStream_tbENKUlT_T0_E_clISt17integral_constantIbLb0EESZ_EEDaSU_SV_EUlSU_E_NS1_11comp_targetILNS1_3genE10ELNS1_11target_archE1200ELNS1_3gpuE4ELNS1_3repE0EEENS1_30default_config_static_selectorELNS0_4arch9wavefront6targetE0EEEvT1_,comdat
.Lfunc_end170:
	.size	_ZN7rocprim17ROCPRIM_400000_NS6detail17trampoline_kernelINS0_14default_configENS1_27scan_by_key_config_selectorIiiEEZZNS1_16scan_by_key_implILNS1_25lookback_scan_determinismE0ELb0ES3_N6thrust23THRUST_200600_302600_NS6detail15normal_iteratorINS9_10device_ptrIiEEEESE_SE_iNS9_10multipliesIiEENS9_8equal_toIiEEiEE10hipError_tPvRmT2_T3_T4_T5_mT6_T7_P12ihipStream_tbENKUlT_T0_E_clISt17integral_constantIbLb0EESZ_EEDaSU_SV_EUlSU_E_NS1_11comp_targetILNS1_3genE10ELNS1_11target_archE1200ELNS1_3gpuE4ELNS1_3repE0EEENS1_30default_config_static_selectorELNS0_4arch9wavefront6targetE0EEEvT1_, .Lfunc_end170-_ZN7rocprim17ROCPRIM_400000_NS6detail17trampoline_kernelINS0_14default_configENS1_27scan_by_key_config_selectorIiiEEZZNS1_16scan_by_key_implILNS1_25lookback_scan_determinismE0ELb0ES3_N6thrust23THRUST_200600_302600_NS6detail15normal_iteratorINS9_10device_ptrIiEEEESE_SE_iNS9_10multipliesIiEENS9_8equal_toIiEEiEE10hipError_tPvRmT2_T3_T4_T5_mT6_T7_P12ihipStream_tbENKUlT_T0_E_clISt17integral_constantIbLb0EESZ_EEDaSU_SV_EUlSU_E_NS1_11comp_targetILNS1_3genE10ELNS1_11target_archE1200ELNS1_3gpuE4ELNS1_3repE0EEENS1_30default_config_static_selectorELNS0_4arch9wavefront6targetE0EEEvT1_
                                        ; -- End function
	.set _ZN7rocprim17ROCPRIM_400000_NS6detail17trampoline_kernelINS0_14default_configENS1_27scan_by_key_config_selectorIiiEEZZNS1_16scan_by_key_implILNS1_25lookback_scan_determinismE0ELb0ES3_N6thrust23THRUST_200600_302600_NS6detail15normal_iteratorINS9_10device_ptrIiEEEESE_SE_iNS9_10multipliesIiEENS9_8equal_toIiEEiEE10hipError_tPvRmT2_T3_T4_T5_mT6_T7_P12ihipStream_tbENKUlT_T0_E_clISt17integral_constantIbLb0EESZ_EEDaSU_SV_EUlSU_E_NS1_11comp_targetILNS1_3genE10ELNS1_11target_archE1200ELNS1_3gpuE4ELNS1_3repE0EEENS1_30default_config_static_selectorELNS0_4arch9wavefront6targetE0EEEvT1_.num_vgpr, 0
	.set _ZN7rocprim17ROCPRIM_400000_NS6detail17trampoline_kernelINS0_14default_configENS1_27scan_by_key_config_selectorIiiEEZZNS1_16scan_by_key_implILNS1_25lookback_scan_determinismE0ELb0ES3_N6thrust23THRUST_200600_302600_NS6detail15normal_iteratorINS9_10device_ptrIiEEEESE_SE_iNS9_10multipliesIiEENS9_8equal_toIiEEiEE10hipError_tPvRmT2_T3_T4_T5_mT6_T7_P12ihipStream_tbENKUlT_T0_E_clISt17integral_constantIbLb0EESZ_EEDaSU_SV_EUlSU_E_NS1_11comp_targetILNS1_3genE10ELNS1_11target_archE1200ELNS1_3gpuE4ELNS1_3repE0EEENS1_30default_config_static_selectorELNS0_4arch9wavefront6targetE0EEEvT1_.num_agpr, 0
	.set _ZN7rocprim17ROCPRIM_400000_NS6detail17trampoline_kernelINS0_14default_configENS1_27scan_by_key_config_selectorIiiEEZZNS1_16scan_by_key_implILNS1_25lookback_scan_determinismE0ELb0ES3_N6thrust23THRUST_200600_302600_NS6detail15normal_iteratorINS9_10device_ptrIiEEEESE_SE_iNS9_10multipliesIiEENS9_8equal_toIiEEiEE10hipError_tPvRmT2_T3_T4_T5_mT6_T7_P12ihipStream_tbENKUlT_T0_E_clISt17integral_constantIbLb0EESZ_EEDaSU_SV_EUlSU_E_NS1_11comp_targetILNS1_3genE10ELNS1_11target_archE1200ELNS1_3gpuE4ELNS1_3repE0EEENS1_30default_config_static_selectorELNS0_4arch9wavefront6targetE0EEEvT1_.numbered_sgpr, 0
	.set _ZN7rocprim17ROCPRIM_400000_NS6detail17trampoline_kernelINS0_14default_configENS1_27scan_by_key_config_selectorIiiEEZZNS1_16scan_by_key_implILNS1_25lookback_scan_determinismE0ELb0ES3_N6thrust23THRUST_200600_302600_NS6detail15normal_iteratorINS9_10device_ptrIiEEEESE_SE_iNS9_10multipliesIiEENS9_8equal_toIiEEiEE10hipError_tPvRmT2_T3_T4_T5_mT6_T7_P12ihipStream_tbENKUlT_T0_E_clISt17integral_constantIbLb0EESZ_EEDaSU_SV_EUlSU_E_NS1_11comp_targetILNS1_3genE10ELNS1_11target_archE1200ELNS1_3gpuE4ELNS1_3repE0EEENS1_30default_config_static_selectorELNS0_4arch9wavefront6targetE0EEEvT1_.num_named_barrier, 0
	.set _ZN7rocprim17ROCPRIM_400000_NS6detail17trampoline_kernelINS0_14default_configENS1_27scan_by_key_config_selectorIiiEEZZNS1_16scan_by_key_implILNS1_25lookback_scan_determinismE0ELb0ES3_N6thrust23THRUST_200600_302600_NS6detail15normal_iteratorINS9_10device_ptrIiEEEESE_SE_iNS9_10multipliesIiEENS9_8equal_toIiEEiEE10hipError_tPvRmT2_T3_T4_T5_mT6_T7_P12ihipStream_tbENKUlT_T0_E_clISt17integral_constantIbLb0EESZ_EEDaSU_SV_EUlSU_E_NS1_11comp_targetILNS1_3genE10ELNS1_11target_archE1200ELNS1_3gpuE4ELNS1_3repE0EEENS1_30default_config_static_selectorELNS0_4arch9wavefront6targetE0EEEvT1_.private_seg_size, 0
	.set _ZN7rocprim17ROCPRIM_400000_NS6detail17trampoline_kernelINS0_14default_configENS1_27scan_by_key_config_selectorIiiEEZZNS1_16scan_by_key_implILNS1_25lookback_scan_determinismE0ELb0ES3_N6thrust23THRUST_200600_302600_NS6detail15normal_iteratorINS9_10device_ptrIiEEEESE_SE_iNS9_10multipliesIiEENS9_8equal_toIiEEiEE10hipError_tPvRmT2_T3_T4_T5_mT6_T7_P12ihipStream_tbENKUlT_T0_E_clISt17integral_constantIbLb0EESZ_EEDaSU_SV_EUlSU_E_NS1_11comp_targetILNS1_3genE10ELNS1_11target_archE1200ELNS1_3gpuE4ELNS1_3repE0EEENS1_30default_config_static_selectorELNS0_4arch9wavefront6targetE0EEEvT1_.uses_vcc, 0
	.set _ZN7rocprim17ROCPRIM_400000_NS6detail17trampoline_kernelINS0_14default_configENS1_27scan_by_key_config_selectorIiiEEZZNS1_16scan_by_key_implILNS1_25lookback_scan_determinismE0ELb0ES3_N6thrust23THRUST_200600_302600_NS6detail15normal_iteratorINS9_10device_ptrIiEEEESE_SE_iNS9_10multipliesIiEENS9_8equal_toIiEEiEE10hipError_tPvRmT2_T3_T4_T5_mT6_T7_P12ihipStream_tbENKUlT_T0_E_clISt17integral_constantIbLb0EESZ_EEDaSU_SV_EUlSU_E_NS1_11comp_targetILNS1_3genE10ELNS1_11target_archE1200ELNS1_3gpuE4ELNS1_3repE0EEENS1_30default_config_static_selectorELNS0_4arch9wavefront6targetE0EEEvT1_.uses_flat_scratch, 0
	.set _ZN7rocprim17ROCPRIM_400000_NS6detail17trampoline_kernelINS0_14default_configENS1_27scan_by_key_config_selectorIiiEEZZNS1_16scan_by_key_implILNS1_25lookback_scan_determinismE0ELb0ES3_N6thrust23THRUST_200600_302600_NS6detail15normal_iteratorINS9_10device_ptrIiEEEESE_SE_iNS9_10multipliesIiEENS9_8equal_toIiEEiEE10hipError_tPvRmT2_T3_T4_T5_mT6_T7_P12ihipStream_tbENKUlT_T0_E_clISt17integral_constantIbLb0EESZ_EEDaSU_SV_EUlSU_E_NS1_11comp_targetILNS1_3genE10ELNS1_11target_archE1200ELNS1_3gpuE4ELNS1_3repE0EEENS1_30default_config_static_selectorELNS0_4arch9wavefront6targetE0EEEvT1_.has_dyn_sized_stack, 0
	.set _ZN7rocprim17ROCPRIM_400000_NS6detail17trampoline_kernelINS0_14default_configENS1_27scan_by_key_config_selectorIiiEEZZNS1_16scan_by_key_implILNS1_25lookback_scan_determinismE0ELb0ES3_N6thrust23THRUST_200600_302600_NS6detail15normal_iteratorINS9_10device_ptrIiEEEESE_SE_iNS9_10multipliesIiEENS9_8equal_toIiEEiEE10hipError_tPvRmT2_T3_T4_T5_mT6_T7_P12ihipStream_tbENKUlT_T0_E_clISt17integral_constantIbLb0EESZ_EEDaSU_SV_EUlSU_E_NS1_11comp_targetILNS1_3genE10ELNS1_11target_archE1200ELNS1_3gpuE4ELNS1_3repE0EEENS1_30default_config_static_selectorELNS0_4arch9wavefront6targetE0EEEvT1_.has_recursion, 0
	.set _ZN7rocprim17ROCPRIM_400000_NS6detail17trampoline_kernelINS0_14default_configENS1_27scan_by_key_config_selectorIiiEEZZNS1_16scan_by_key_implILNS1_25lookback_scan_determinismE0ELb0ES3_N6thrust23THRUST_200600_302600_NS6detail15normal_iteratorINS9_10device_ptrIiEEEESE_SE_iNS9_10multipliesIiEENS9_8equal_toIiEEiEE10hipError_tPvRmT2_T3_T4_T5_mT6_T7_P12ihipStream_tbENKUlT_T0_E_clISt17integral_constantIbLb0EESZ_EEDaSU_SV_EUlSU_E_NS1_11comp_targetILNS1_3genE10ELNS1_11target_archE1200ELNS1_3gpuE4ELNS1_3repE0EEENS1_30default_config_static_selectorELNS0_4arch9wavefront6targetE0EEEvT1_.has_indirect_call, 0
	.section	.AMDGPU.csdata,"",@progbits
; Kernel info:
; codeLenInByte = 0
; TotalNumSgprs: 0
; NumVgprs: 0
; ScratchSize: 0
; MemoryBound: 0
; FloatMode: 240
; IeeeMode: 1
; LDSByteSize: 0 bytes/workgroup (compile time only)
; SGPRBlocks: 0
; VGPRBlocks: 0
; NumSGPRsForWavesPerEU: 1
; NumVGPRsForWavesPerEU: 1
; Occupancy: 16
; WaveLimiterHint : 0
; COMPUTE_PGM_RSRC2:SCRATCH_EN: 0
; COMPUTE_PGM_RSRC2:USER_SGPR: 6
; COMPUTE_PGM_RSRC2:TRAP_HANDLER: 0
; COMPUTE_PGM_RSRC2:TGID_X_EN: 1
; COMPUTE_PGM_RSRC2:TGID_Y_EN: 0
; COMPUTE_PGM_RSRC2:TGID_Z_EN: 0
; COMPUTE_PGM_RSRC2:TIDIG_COMP_CNT: 0
	.section	.text._ZN7rocprim17ROCPRIM_400000_NS6detail17trampoline_kernelINS0_14default_configENS1_27scan_by_key_config_selectorIiiEEZZNS1_16scan_by_key_implILNS1_25lookback_scan_determinismE0ELb0ES3_N6thrust23THRUST_200600_302600_NS6detail15normal_iteratorINS9_10device_ptrIiEEEESE_SE_iNS9_10multipliesIiEENS9_8equal_toIiEEiEE10hipError_tPvRmT2_T3_T4_T5_mT6_T7_P12ihipStream_tbENKUlT_T0_E_clISt17integral_constantIbLb0EESZ_EEDaSU_SV_EUlSU_E_NS1_11comp_targetILNS1_3genE9ELNS1_11target_archE1100ELNS1_3gpuE3ELNS1_3repE0EEENS1_30default_config_static_selectorELNS0_4arch9wavefront6targetE0EEEvT1_,"axG",@progbits,_ZN7rocprim17ROCPRIM_400000_NS6detail17trampoline_kernelINS0_14default_configENS1_27scan_by_key_config_selectorIiiEEZZNS1_16scan_by_key_implILNS1_25lookback_scan_determinismE0ELb0ES3_N6thrust23THRUST_200600_302600_NS6detail15normal_iteratorINS9_10device_ptrIiEEEESE_SE_iNS9_10multipliesIiEENS9_8equal_toIiEEiEE10hipError_tPvRmT2_T3_T4_T5_mT6_T7_P12ihipStream_tbENKUlT_T0_E_clISt17integral_constantIbLb0EESZ_EEDaSU_SV_EUlSU_E_NS1_11comp_targetILNS1_3genE9ELNS1_11target_archE1100ELNS1_3gpuE3ELNS1_3repE0EEENS1_30default_config_static_selectorELNS0_4arch9wavefront6targetE0EEEvT1_,comdat
	.protected	_ZN7rocprim17ROCPRIM_400000_NS6detail17trampoline_kernelINS0_14default_configENS1_27scan_by_key_config_selectorIiiEEZZNS1_16scan_by_key_implILNS1_25lookback_scan_determinismE0ELb0ES3_N6thrust23THRUST_200600_302600_NS6detail15normal_iteratorINS9_10device_ptrIiEEEESE_SE_iNS9_10multipliesIiEENS9_8equal_toIiEEiEE10hipError_tPvRmT2_T3_T4_T5_mT6_T7_P12ihipStream_tbENKUlT_T0_E_clISt17integral_constantIbLb0EESZ_EEDaSU_SV_EUlSU_E_NS1_11comp_targetILNS1_3genE9ELNS1_11target_archE1100ELNS1_3gpuE3ELNS1_3repE0EEENS1_30default_config_static_selectorELNS0_4arch9wavefront6targetE0EEEvT1_ ; -- Begin function _ZN7rocprim17ROCPRIM_400000_NS6detail17trampoline_kernelINS0_14default_configENS1_27scan_by_key_config_selectorIiiEEZZNS1_16scan_by_key_implILNS1_25lookback_scan_determinismE0ELb0ES3_N6thrust23THRUST_200600_302600_NS6detail15normal_iteratorINS9_10device_ptrIiEEEESE_SE_iNS9_10multipliesIiEENS9_8equal_toIiEEiEE10hipError_tPvRmT2_T3_T4_T5_mT6_T7_P12ihipStream_tbENKUlT_T0_E_clISt17integral_constantIbLb0EESZ_EEDaSU_SV_EUlSU_E_NS1_11comp_targetILNS1_3genE9ELNS1_11target_archE1100ELNS1_3gpuE3ELNS1_3repE0EEENS1_30default_config_static_selectorELNS0_4arch9wavefront6targetE0EEEvT1_
	.globl	_ZN7rocprim17ROCPRIM_400000_NS6detail17trampoline_kernelINS0_14default_configENS1_27scan_by_key_config_selectorIiiEEZZNS1_16scan_by_key_implILNS1_25lookback_scan_determinismE0ELb0ES3_N6thrust23THRUST_200600_302600_NS6detail15normal_iteratorINS9_10device_ptrIiEEEESE_SE_iNS9_10multipliesIiEENS9_8equal_toIiEEiEE10hipError_tPvRmT2_T3_T4_T5_mT6_T7_P12ihipStream_tbENKUlT_T0_E_clISt17integral_constantIbLb0EESZ_EEDaSU_SV_EUlSU_E_NS1_11comp_targetILNS1_3genE9ELNS1_11target_archE1100ELNS1_3gpuE3ELNS1_3repE0EEENS1_30default_config_static_selectorELNS0_4arch9wavefront6targetE0EEEvT1_
	.p2align	8
	.type	_ZN7rocprim17ROCPRIM_400000_NS6detail17trampoline_kernelINS0_14default_configENS1_27scan_by_key_config_selectorIiiEEZZNS1_16scan_by_key_implILNS1_25lookback_scan_determinismE0ELb0ES3_N6thrust23THRUST_200600_302600_NS6detail15normal_iteratorINS9_10device_ptrIiEEEESE_SE_iNS9_10multipliesIiEENS9_8equal_toIiEEiEE10hipError_tPvRmT2_T3_T4_T5_mT6_T7_P12ihipStream_tbENKUlT_T0_E_clISt17integral_constantIbLb0EESZ_EEDaSU_SV_EUlSU_E_NS1_11comp_targetILNS1_3genE9ELNS1_11target_archE1100ELNS1_3gpuE3ELNS1_3repE0EEENS1_30default_config_static_selectorELNS0_4arch9wavefront6targetE0EEEvT1_,@function
_ZN7rocprim17ROCPRIM_400000_NS6detail17trampoline_kernelINS0_14default_configENS1_27scan_by_key_config_selectorIiiEEZZNS1_16scan_by_key_implILNS1_25lookback_scan_determinismE0ELb0ES3_N6thrust23THRUST_200600_302600_NS6detail15normal_iteratorINS9_10device_ptrIiEEEESE_SE_iNS9_10multipliesIiEENS9_8equal_toIiEEiEE10hipError_tPvRmT2_T3_T4_T5_mT6_T7_P12ihipStream_tbENKUlT_T0_E_clISt17integral_constantIbLb0EESZ_EEDaSU_SV_EUlSU_E_NS1_11comp_targetILNS1_3genE9ELNS1_11target_archE1100ELNS1_3gpuE3ELNS1_3repE0EEENS1_30default_config_static_selectorELNS0_4arch9wavefront6targetE0EEEvT1_: ; @_ZN7rocprim17ROCPRIM_400000_NS6detail17trampoline_kernelINS0_14default_configENS1_27scan_by_key_config_selectorIiiEEZZNS1_16scan_by_key_implILNS1_25lookback_scan_determinismE0ELb0ES3_N6thrust23THRUST_200600_302600_NS6detail15normal_iteratorINS9_10device_ptrIiEEEESE_SE_iNS9_10multipliesIiEENS9_8equal_toIiEEiEE10hipError_tPvRmT2_T3_T4_T5_mT6_T7_P12ihipStream_tbENKUlT_T0_E_clISt17integral_constantIbLb0EESZ_EEDaSU_SV_EUlSU_E_NS1_11comp_targetILNS1_3genE9ELNS1_11target_archE1100ELNS1_3gpuE3ELNS1_3repE0EEENS1_30default_config_static_selectorELNS0_4arch9wavefront6targetE0EEEvT1_
; %bb.0:
	.section	.rodata,"a",@progbits
	.p2align	6, 0x0
	.amdhsa_kernel _ZN7rocprim17ROCPRIM_400000_NS6detail17trampoline_kernelINS0_14default_configENS1_27scan_by_key_config_selectorIiiEEZZNS1_16scan_by_key_implILNS1_25lookback_scan_determinismE0ELb0ES3_N6thrust23THRUST_200600_302600_NS6detail15normal_iteratorINS9_10device_ptrIiEEEESE_SE_iNS9_10multipliesIiEENS9_8equal_toIiEEiEE10hipError_tPvRmT2_T3_T4_T5_mT6_T7_P12ihipStream_tbENKUlT_T0_E_clISt17integral_constantIbLb0EESZ_EEDaSU_SV_EUlSU_E_NS1_11comp_targetILNS1_3genE9ELNS1_11target_archE1100ELNS1_3gpuE3ELNS1_3repE0EEENS1_30default_config_static_selectorELNS0_4arch9wavefront6targetE0EEEvT1_
		.amdhsa_group_segment_fixed_size 0
		.amdhsa_private_segment_fixed_size 0
		.amdhsa_kernarg_size 112
		.amdhsa_user_sgpr_count 6
		.amdhsa_user_sgpr_private_segment_buffer 1
		.amdhsa_user_sgpr_dispatch_ptr 0
		.amdhsa_user_sgpr_queue_ptr 0
		.amdhsa_user_sgpr_kernarg_segment_ptr 1
		.amdhsa_user_sgpr_dispatch_id 0
		.amdhsa_user_sgpr_flat_scratch_init 0
		.amdhsa_user_sgpr_private_segment_size 0
		.amdhsa_wavefront_size32 1
		.amdhsa_uses_dynamic_stack 0
		.amdhsa_system_sgpr_private_segment_wavefront_offset 0
		.amdhsa_system_sgpr_workgroup_id_x 1
		.amdhsa_system_sgpr_workgroup_id_y 0
		.amdhsa_system_sgpr_workgroup_id_z 0
		.amdhsa_system_sgpr_workgroup_info 0
		.amdhsa_system_vgpr_workitem_id 0
		.amdhsa_next_free_vgpr 1
		.amdhsa_next_free_sgpr 1
		.amdhsa_reserve_vcc 0
		.amdhsa_reserve_flat_scratch 0
		.amdhsa_float_round_mode_32 0
		.amdhsa_float_round_mode_16_64 0
		.amdhsa_float_denorm_mode_32 3
		.amdhsa_float_denorm_mode_16_64 3
		.amdhsa_dx10_clamp 1
		.amdhsa_ieee_mode 1
		.amdhsa_fp16_overflow 0
		.amdhsa_workgroup_processor_mode 1
		.amdhsa_memory_ordered 1
		.amdhsa_forward_progress 1
		.amdhsa_shared_vgpr_count 0
		.amdhsa_exception_fp_ieee_invalid_op 0
		.amdhsa_exception_fp_denorm_src 0
		.amdhsa_exception_fp_ieee_div_zero 0
		.amdhsa_exception_fp_ieee_overflow 0
		.amdhsa_exception_fp_ieee_underflow 0
		.amdhsa_exception_fp_ieee_inexact 0
		.amdhsa_exception_int_div_zero 0
	.end_amdhsa_kernel
	.section	.text._ZN7rocprim17ROCPRIM_400000_NS6detail17trampoline_kernelINS0_14default_configENS1_27scan_by_key_config_selectorIiiEEZZNS1_16scan_by_key_implILNS1_25lookback_scan_determinismE0ELb0ES3_N6thrust23THRUST_200600_302600_NS6detail15normal_iteratorINS9_10device_ptrIiEEEESE_SE_iNS9_10multipliesIiEENS9_8equal_toIiEEiEE10hipError_tPvRmT2_T3_T4_T5_mT6_T7_P12ihipStream_tbENKUlT_T0_E_clISt17integral_constantIbLb0EESZ_EEDaSU_SV_EUlSU_E_NS1_11comp_targetILNS1_3genE9ELNS1_11target_archE1100ELNS1_3gpuE3ELNS1_3repE0EEENS1_30default_config_static_selectorELNS0_4arch9wavefront6targetE0EEEvT1_,"axG",@progbits,_ZN7rocprim17ROCPRIM_400000_NS6detail17trampoline_kernelINS0_14default_configENS1_27scan_by_key_config_selectorIiiEEZZNS1_16scan_by_key_implILNS1_25lookback_scan_determinismE0ELb0ES3_N6thrust23THRUST_200600_302600_NS6detail15normal_iteratorINS9_10device_ptrIiEEEESE_SE_iNS9_10multipliesIiEENS9_8equal_toIiEEiEE10hipError_tPvRmT2_T3_T4_T5_mT6_T7_P12ihipStream_tbENKUlT_T0_E_clISt17integral_constantIbLb0EESZ_EEDaSU_SV_EUlSU_E_NS1_11comp_targetILNS1_3genE9ELNS1_11target_archE1100ELNS1_3gpuE3ELNS1_3repE0EEENS1_30default_config_static_selectorELNS0_4arch9wavefront6targetE0EEEvT1_,comdat
.Lfunc_end171:
	.size	_ZN7rocprim17ROCPRIM_400000_NS6detail17trampoline_kernelINS0_14default_configENS1_27scan_by_key_config_selectorIiiEEZZNS1_16scan_by_key_implILNS1_25lookback_scan_determinismE0ELb0ES3_N6thrust23THRUST_200600_302600_NS6detail15normal_iteratorINS9_10device_ptrIiEEEESE_SE_iNS9_10multipliesIiEENS9_8equal_toIiEEiEE10hipError_tPvRmT2_T3_T4_T5_mT6_T7_P12ihipStream_tbENKUlT_T0_E_clISt17integral_constantIbLb0EESZ_EEDaSU_SV_EUlSU_E_NS1_11comp_targetILNS1_3genE9ELNS1_11target_archE1100ELNS1_3gpuE3ELNS1_3repE0EEENS1_30default_config_static_selectorELNS0_4arch9wavefront6targetE0EEEvT1_, .Lfunc_end171-_ZN7rocprim17ROCPRIM_400000_NS6detail17trampoline_kernelINS0_14default_configENS1_27scan_by_key_config_selectorIiiEEZZNS1_16scan_by_key_implILNS1_25lookback_scan_determinismE0ELb0ES3_N6thrust23THRUST_200600_302600_NS6detail15normal_iteratorINS9_10device_ptrIiEEEESE_SE_iNS9_10multipliesIiEENS9_8equal_toIiEEiEE10hipError_tPvRmT2_T3_T4_T5_mT6_T7_P12ihipStream_tbENKUlT_T0_E_clISt17integral_constantIbLb0EESZ_EEDaSU_SV_EUlSU_E_NS1_11comp_targetILNS1_3genE9ELNS1_11target_archE1100ELNS1_3gpuE3ELNS1_3repE0EEENS1_30default_config_static_selectorELNS0_4arch9wavefront6targetE0EEEvT1_
                                        ; -- End function
	.set _ZN7rocprim17ROCPRIM_400000_NS6detail17trampoline_kernelINS0_14default_configENS1_27scan_by_key_config_selectorIiiEEZZNS1_16scan_by_key_implILNS1_25lookback_scan_determinismE0ELb0ES3_N6thrust23THRUST_200600_302600_NS6detail15normal_iteratorINS9_10device_ptrIiEEEESE_SE_iNS9_10multipliesIiEENS9_8equal_toIiEEiEE10hipError_tPvRmT2_T3_T4_T5_mT6_T7_P12ihipStream_tbENKUlT_T0_E_clISt17integral_constantIbLb0EESZ_EEDaSU_SV_EUlSU_E_NS1_11comp_targetILNS1_3genE9ELNS1_11target_archE1100ELNS1_3gpuE3ELNS1_3repE0EEENS1_30default_config_static_selectorELNS0_4arch9wavefront6targetE0EEEvT1_.num_vgpr, 0
	.set _ZN7rocprim17ROCPRIM_400000_NS6detail17trampoline_kernelINS0_14default_configENS1_27scan_by_key_config_selectorIiiEEZZNS1_16scan_by_key_implILNS1_25lookback_scan_determinismE0ELb0ES3_N6thrust23THRUST_200600_302600_NS6detail15normal_iteratorINS9_10device_ptrIiEEEESE_SE_iNS9_10multipliesIiEENS9_8equal_toIiEEiEE10hipError_tPvRmT2_T3_T4_T5_mT6_T7_P12ihipStream_tbENKUlT_T0_E_clISt17integral_constantIbLb0EESZ_EEDaSU_SV_EUlSU_E_NS1_11comp_targetILNS1_3genE9ELNS1_11target_archE1100ELNS1_3gpuE3ELNS1_3repE0EEENS1_30default_config_static_selectorELNS0_4arch9wavefront6targetE0EEEvT1_.num_agpr, 0
	.set _ZN7rocprim17ROCPRIM_400000_NS6detail17trampoline_kernelINS0_14default_configENS1_27scan_by_key_config_selectorIiiEEZZNS1_16scan_by_key_implILNS1_25lookback_scan_determinismE0ELb0ES3_N6thrust23THRUST_200600_302600_NS6detail15normal_iteratorINS9_10device_ptrIiEEEESE_SE_iNS9_10multipliesIiEENS9_8equal_toIiEEiEE10hipError_tPvRmT2_T3_T4_T5_mT6_T7_P12ihipStream_tbENKUlT_T0_E_clISt17integral_constantIbLb0EESZ_EEDaSU_SV_EUlSU_E_NS1_11comp_targetILNS1_3genE9ELNS1_11target_archE1100ELNS1_3gpuE3ELNS1_3repE0EEENS1_30default_config_static_selectorELNS0_4arch9wavefront6targetE0EEEvT1_.numbered_sgpr, 0
	.set _ZN7rocprim17ROCPRIM_400000_NS6detail17trampoline_kernelINS0_14default_configENS1_27scan_by_key_config_selectorIiiEEZZNS1_16scan_by_key_implILNS1_25lookback_scan_determinismE0ELb0ES3_N6thrust23THRUST_200600_302600_NS6detail15normal_iteratorINS9_10device_ptrIiEEEESE_SE_iNS9_10multipliesIiEENS9_8equal_toIiEEiEE10hipError_tPvRmT2_T3_T4_T5_mT6_T7_P12ihipStream_tbENKUlT_T0_E_clISt17integral_constantIbLb0EESZ_EEDaSU_SV_EUlSU_E_NS1_11comp_targetILNS1_3genE9ELNS1_11target_archE1100ELNS1_3gpuE3ELNS1_3repE0EEENS1_30default_config_static_selectorELNS0_4arch9wavefront6targetE0EEEvT1_.num_named_barrier, 0
	.set _ZN7rocprim17ROCPRIM_400000_NS6detail17trampoline_kernelINS0_14default_configENS1_27scan_by_key_config_selectorIiiEEZZNS1_16scan_by_key_implILNS1_25lookback_scan_determinismE0ELb0ES3_N6thrust23THRUST_200600_302600_NS6detail15normal_iteratorINS9_10device_ptrIiEEEESE_SE_iNS9_10multipliesIiEENS9_8equal_toIiEEiEE10hipError_tPvRmT2_T3_T4_T5_mT6_T7_P12ihipStream_tbENKUlT_T0_E_clISt17integral_constantIbLb0EESZ_EEDaSU_SV_EUlSU_E_NS1_11comp_targetILNS1_3genE9ELNS1_11target_archE1100ELNS1_3gpuE3ELNS1_3repE0EEENS1_30default_config_static_selectorELNS0_4arch9wavefront6targetE0EEEvT1_.private_seg_size, 0
	.set _ZN7rocprim17ROCPRIM_400000_NS6detail17trampoline_kernelINS0_14default_configENS1_27scan_by_key_config_selectorIiiEEZZNS1_16scan_by_key_implILNS1_25lookback_scan_determinismE0ELb0ES3_N6thrust23THRUST_200600_302600_NS6detail15normal_iteratorINS9_10device_ptrIiEEEESE_SE_iNS9_10multipliesIiEENS9_8equal_toIiEEiEE10hipError_tPvRmT2_T3_T4_T5_mT6_T7_P12ihipStream_tbENKUlT_T0_E_clISt17integral_constantIbLb0EESZ_EEDaSU_SV_EUlSU_E_NS1_11comp_targetILNS1_3genE9ELNS1_11target_archE1100ELNS1_3gpuE3ELNS1_3repE0EEENS1_30default_config_static_selectorELNS0_4arch9wavefront6targetE0EEEvT1_.uses_vcc, 0
	.set _ZN7rocprim17ROCPRIM_400000_NS6detail17trampoline_kernelINS0_14default_configENS1_27scan_by_key_config_selectorIiiEEZZNS1_16scan_by_key_implILNS1_25lookback_scan_determinismE0ELb0ES3_N6thrust23THRUST_200600_302600_NS6detail15normal_iteratorINS9_10device_ptrIiEEEESE_SE_iNS9_10multipliesIiEENS9_8equal_toIiEEiEE10hipError_tPvRmT2_T3_T4_T5_mT6_T7_P12ihipStream_tbENKUlT_T0_E_clISt17integral_constantIbLb0EESZ_EEDaSU_SV_EUlSU_E_NS1_11comp_targetILNS1_3genE9ELNS1_11target_archE1100ELNS1_3gpuE3ELNS1_3repE0EEENS1_30default_config_static_selectorELNS0_4arch9wavefront6targetE0EEEvT1_.uses_flat_scratch, 0
	.set _ZN7rocprim17ROCPRIM_400000_NS6detail17trampoline_kernelINS0_14default_configENS1_27scan_by_key_config_selectorIiiEEZZNS1_16scan_by_key_implILNS1_25lookback_scan_determinismE0ELb0ES3_N6thrust23THRUST_200600_302600_NS6detail15normal_iteratorINS9_10device_ptrIiEEEESE_SE_iNS9_10multipliesIiEENS9_8equal_toIiEEiEE10hipError_tPvRmT2_T3_T4_T5_mT6_T7_P12ihipStream_tbENKUlT_T0_E_clISt17integral_constantIbLb0EESZ_EEDaSU_SV_EUlSU_E_NS1_11comp_targetILNS1_3genE9ELNS1_11target_archE1100ELNS1_3gpuE3ELNS1_3repE0EEENS1_30default_config_static_selectorELNS0_4arch9wavefront6targetE0EEEvT1_.has_dyn_sized_stack, 0
	.set _ZN7rocprim17ROCPRIM_400000_NS6detail17trampoline_kernelINS0_14default_configENS1_27scan_by_key_config_selectorIiiEEZZNS1_16scan_by_key_implILNS1_25lookback_scan_determinismE0ELb0ES3_N6thrust23THRUST_200600_302600_NS6detail15normal_iteratorINS9_10device_ptrIiEEEESE_SE_iNS9_10multipliesIiEENS9_8equal_toIiEEiEE10hipError_tPvRmT2_T3_T4_T5_mT6_T7_P12ihipStream_tbENKUlT_T0_E_clISt17integral_constantIbLb0EESZ_EEDaSU_SV_EUlSU_E_NS1_11comp_targetILNS1_3genE9ELNS1_11target_archE1100ELNS1_3gpuE3ELNS1_3repE0EEENS1_30default_config_static_selectorELNS0_4arch9wavefront6targetE0EEEvT1_.has_recursion, 0
	.set _ZN7rocprim17ROCPRIM_400000_NS6detail17trampoline_kernelINS0_14default_configENS1_27scan_by_key_config_selectorIiiEEZZNS1_16scan_by_key_implILNS1_25lookback_scan_determinismE0ELb0ES3_N6thrust23THRUST_200600_302600_NS6detail15normal_iteratorINS9_10device_ptrIiEEEESE_SE_iNS9_10multipliesIiEENS9_8equal_toIiEEiEE10hipError_tPvRmT2_T3_T4_T5_mT6_T7_P12ihipStream_tbENKUlT_T0_E_clISt17integral_constantIbLb0EESZ_EEDaSU_SV_EUlSU_E_NS1_11comp_targetILNS1_3genE9ELNS1_11target_archE1100ELNS1_3gpuE3ELNS1_3repE0EEENS1_30default_config_static_selectorELNS0_4arch9wavefront6targetE0EEEvT1_.has_indirect_call, 0
	.section	.AMDGPU.csdata,"",@progbits
; Kernel info:
; codeLenInByte = 0
; TotalNumSgprs: 0
; NumVgprs: 0
; ScratchSize: 0
; MemoryBound: 0
; FloatMode: 240
; IeeeMode: 1
; LDSByteSize: 0 bytes/workgroup (compile time only)
; SGPRBlocks: 0
; VGPRBlocks: 0
; NumSGPRsForWavesPerEU: 1
; NumVGPRsForWavesPerEU: 1
; Occupancy: 16
; WaveLimiterHint : 0
; COMPUTE_PGM_RSRC2:SCRATCH_EN: 0
; COMPUTE_PGM_RSRC2:USER_SGPR: 6
; COMPUTE_PGM_RSRC2:TRAP_HANDLER: 0
; COMPUTE_PGM_RSRC2:TGID_X_EN: 1
; COMPUTE_PGM_RSRC2:TGID_Y_EN: 0
; COMPUTE_PGM_RSRC2:TGID_Z_EN: 0
; COMPUTE_PGM_RSRC2:TIDIG_COMP_CNT: 0
	.section	.text._ZN7rocprim17ROCPRIM_400000_NS6detail17trampoline_kernelINS0_14default_configENS1_27scan_by_key_config_selectorIiiEEZZNS1_16scan_by_key_implILNS1_25lookback_scan_determinismE0ELb0ES3_N6thrust23THRUST_200600_302600_NS6detail15normal_iteratorINS9_10device_ptrIiEEEESE_SE_iNS9_10multipliesIiEENS9_8equal_toIiEEiEE10hipError_tPvRmT2_T3_T4_T5_mT6_T7_P12ihipStream_tbENKUlT_T0_E_clISt17integral_constantIbLb0EESZ_EEDaSU_SV_EUlSU_E_NS1_11comp_targetILNS1_3genE8ELNS1_11target_archE1030ELNS1_3gpuE2ELNS1_3repE0EEENS1_30default_config_static_selectorELNS0_4arch9wavefront6targetE0EEEvT1_,"axG",@progbits,_ZN7rocprim17ROCPRIM_400000_NS6detail17trampoline_kernelINS0_14default_configENS1_27scan_by_key_config_selectorIiiEEZZNS1_16scan_by_key_implILNS1_25lookback_scan_determinismE0ELb0ES3_N6thrust23THRUST_200600_302600_NS6detail15normal_iteratorINS9_10device_ptrIiEEEESE_SE_iNS9_10multipliesIiEENS9_8equal_toIiEEiEE10hipError_tPvRmT2_T3_T4_T5_mT6_T7_P12ihipStream_tbENKUlT_T0_E_clISt17integral_constantIbLb0EESZ_EEDaSU_SV_EUlSU_E_NS1_11comp_targetILNS1_3genE8ELNS1_11target_archE1030ELNS1_3gpuE2ELNS1_3repE0EEENS1_30default_config_static_selectorELNS0_4arch9wavefront6targetE0EEEvT1_,comdat
	.protected	_ZN7rocprim17ROCPRIM_400000_NS6detail17trampoline_kernelINS0_14default_configENS1_27scan_by_key_config_selectorIiiEEZZNS1_16scan_by_key_implILNS1_25lookback_scan_determinismE0ELb0ES3_N6thrust23THRUST_200600_302600_NS6detail15normal_iteratorINS9_10device_ptrIiEEEESE_SE_iNS9_10multipliesIiEENS9_8equal_toIiEEiEE10hipError_tPvRmT2_T3_T4_T5_mT6_T7_P12ihipStream_tbENKUlT_T0_E_clISt17integral_constantIbLb0EESZ_EEDaSU_SV_EUlSU_E_NS1_11comp_targetILNS1_3genE8ELNS1_11target_archE1030ELNS1_3gpuE2ELNS1_3repE0EEENS1_30default_config_static_selectorELNS0_4arch9wavefront6targetE0EEEvT1_ ; -- Begin function _ZN7rocprim17ROCPRIM_400000_NS6detail17trampoline_kernelINS0_14default_configENS1_27scan_by_key_config_selectorIiiEEZZNS1_16scan_by_key_implILNS1_25lookback_scan_determinismE0ELb0ES3_N6thrust23THRUST_200600_302600_NS6detail15normal_iteratorINS9_10device_ptrIiEEEESE_SE_iNS9_10multipliesIiEENS9_8equal_toIiEEiEE10hipError_tPvRmT2_T3_T4_T5_mT6_T7_P12ihipStream_tbENKUlT_T0_E_clISt17integral_constantIbLb0EESZ_EEDaSU_SV_EUlSU_E_NS1_11comp_targetILNS1_3genE8ELNS1_11target_archE1030ELNS1_3gpuE2ELNS1_3repE0EEENS1_30default_config_static_selectorELNS0_4arch9wavefront6targetE0EEEvT1_
	.globl	_ZN7rocprim17ROCPRIM_400000_NS6detail17trampoline_kernelINS0_14default_configENS1_27scan_by_key_config_selectorIiiEEZZNS1_16scan_by_key_implILNS1_25lookback_scan_determinismE0ELb0ES3_N6thrust23THRUST_200600_302600_NS6detail15normal_iteratorINS9_10device_ptrIiEEEESE_SE_iNS9_10multipliesIiEENS9_8equal_toIiEEiEE10hipError_tPvRmT2_T3_T4_T5_mT6_T7_P12ihipStream_tbENKUlT_T0_E_clISt17integral_constantIbLb0EESZ_EEDaSU_SV_EUlSU_E_NS1_11comp_targetILNS1_3genE8ELNS1_11target_archE1030ELNS1_3gpuE2ELNS1_3repE0EEENS1_30default_config_static_selectorELNS0_4arch9wavefront6targetE0EEEvT1_
	.p2align	8
	.type	_ZN7rocprim17ROCPRIM_400000_NS6detail17trampoline_kernelINS0_14default_configENS1_27scan_by_key_config_selectorIiiEEZZNS1_16scan_by_key_implILNS1_25lookback_scan_determinismE0ELb0ES3_N6thrust23THRUST_200600_302600_NS6detail15normal_iteratorINS9_10device_ptrIiEEEESE_SE_iNS9_10multipliesIiEENS9_8equal_toIiEEiEE10hipError_tPvRmT2_T3_T4_T5_mT6_T7_P12ihipStream_tbENKUlT_T0_E_clISt17integral_constantIbLb0EESZ_EEDaSU_SV_EUlSU_E_NS1_11comp_targetILNS1_3genE8ELNS1_11target_archE1030ELNS1_3gpuE2ELNS1_3repE0EEENS1_30default_config_static_selectorELNS0_4arch9wavefront6targetE0EEEvT1_,@function
_ZN7rocprim17ROCPRIM_400000_NS6detail17trampoline_kernelINS0_14default_configENS1_27scan_by_key_config_selectorIiiEEZZNS1_16scan_by_key_implILNS1_25lookback_scan_determinismE0ELb0ES3_N6thrust23THRUST_200600_302600_NS6detail15normal_iteratorINS9_10device_ptrIiEEEESE_SE_iNS9_10multipliesIiEENS9_8equal_toIiEEiEE10hipError_tPvRmT2_T3_T4_T5_mT6_T7_P12ihipStream_tbENKUlT_T0_E_clISt17integral_constantIbLb0EESZ_EEDaSU_SV_EUlSU_E_NS1_11comp_targetILNS1_3genE8ELNS1_11target_archE1030ELNS1_3gpuE2ELNS1_3repE0EEENS1_30default_config_static_selectorELNS0_4arch9wavefront6targetE0EEEvT1_: ; @_ZN7rocprim17ROCPRIM_400000_NS6detail17trampoline_kernelINS0_14default_configENS1_27scan_by_key_config_selectorIiiEEZZNS1_16scan_by_key_implILNS1_25lookback_scan_determinismE0ELb0ES3_N6thrust23THRUST_200600_302600_NS6detail15normal_iteratorINS9_10device_ptrIiEEEESE_SE_iNS9_10multipliesIiEENS9_8equal_toIiEEiEE10hipError_tPvRmT2_T3_T4_T5_mT6_T7_P12ihipStream_tbENKUlT_T0_E_clISt17integral_constantIbLb0EESZ_EEDaSU_SV_EUlSU_E_NS1_11comp_targetILNS1_3genE8ELNS1_11target_archE1030ELNS1_3gpuE2ELNS1_3repE0EEENS1_30default_config_static_selectorELNS0_4arch9wavefront6targetE0EEEvT1_
; %bb.0:
	s_clause 0x4
	s_load_dwordx8 s[8:15], s[4:5], 0x0
	s_load_dwordx2 s[28:29], s[4:5], 0x38
	s_load_dword s2, s[4:5], 0x40
	s_load_dwordx8 s[16:23], s[4:5], 0x48
	s_load_dwordx4 s[24:27], s[4:5], 0x28
	s_mov_b32 s1, 0
	s_waitcnt lgkmcnt(0)
	s_barrier
	buffer_gl0_inv
	s_lshl_b64 s[4:5], s[10:11], 2
	s_add_u32 s7, s8, s4
	s_mul_i32 s0, s29, s2
	s_mul_hi_u32 s3, s28, s2
	s_addc_u32 s11, s9, s5
	s_add_u32 s12, s12, s4
	s_addc_u32 s13, s13, s5
	s_add_i32 s30, s3, s0
	s_cmp_lg_u64 s[20:21], 0
	s_mul_i32 s0, s6, 0x300
	s_cselect_b32 s27, -1, 0
	s_lshl_b64 s[8:9], s[0:1], 2
	s_mul_i32 s0, s28, s2
	s_add_u32 s10, s7, s8
	s_addc_u32 s11, s11, s9
	s_add_u32 s3, s12, s8
	s_addc_u32 s7, s13, s9
	;; [unrolled: 2-line block ×3, first 2 shown]
	s_add_u32 s16, s16, -1
	s_addc_u32 s17, s17, -1
	s_mul_i32 s21, s16, 0xfffffd00
	v_cmp_ge_u64_e64 s20, s[12:13], s[16:17]
	s_and_b32 vcc_lo, exec_lo, s20
	s_cbranch_vccz .LBB172_22
; %bb.1:
	v_mov_b32_e32 v1, s10
	v_mov_b32_e32 v2, s11
	s_add_i32 s30, s21, s26
	v_cmp_gt_u32_e64 s0, s30, v0
	flat_load_dword v2, v[1:2]
	s_waitcnt vmcnt(0) lgkmcnt(0)
	v_mov_b32_e32 v3, v2
	s_and_saveexec_b32 s1, s0
	s_cbranch_execz .LBB172_3
; %bb.2:
	v_lshlrev_b32_e32 v1, 2, v0
	v_add_co_u32 v3, s2, s10, v1
	v_add_co_ci_u32_e64 v4, null, s11, 0, s2
	flat_load_dword v3, v[3:4]
.LBB172_3:
	s_or_b32 exec_lo, exec_lo, s1
	v_or_b32_e32 v1, 0x100, v0
	v_mov_b32_e32 v4, v2
	v_cmp_gt_u32_e64 s1, s30, v1
	s_and_saveexec_b32 s2, s1
	s_cbranch_execz .LBB172_5
; %bb.4:
	v_lshlrev_b32_e32 v1, 2, v0
	v_add_co_u32 v4, s16, s10, v1
	v_add_co_ci_u32_e64 v5, null, s11, 0, s16
	flat_load_dword v4, v[4:5] offset:1024
.LBB172_5:
	s_or_b32 exec_lo, exec_lo, s2
	v_or_b32_e32 v1, 0x200, v0
	v_cmp_gt_u32_e64 s2, s30, v1
	v_lshlrev_b32_e32 v8, 2, v1
	s_and_saveexec_b32 s16, s2
	s_cbranch_execz .LBB172_7
; %bb.6:
	v_add_co_u32 v1, s17, s10, v8
	v_add_co_ci_u32_e64 v2, null, s11, 0, s17
	flat_load_dword v2, v[1:2]
.LBB172_7:
	s_or_b32 exec_lo, exec_lo, s16
	v_lshlrev_b32_e32 v9, 2, v0
	v_lshlrev_b32_e32 v1, 3, v0
	s_cmp_eq_u64 s[12:13], 0
	s_mov_b64 s[16:17], s[10:11]
	s_waitcnt vmcnt(0) lgkmcnt(0)
	ds_write2st64_b32 v9, v3, v4 offset1:4
	v_add_nc_u32_e32 v7, v9, v1
	ds_write_b32 v9, v2 offset:2048
	s_waitcnt lgkmcnt(0)
	s_barrier
	buffer_gl0_inv
	ds_read2_b32 v[4:5], v7 offset1:1
	ds_read_b32 v6, v7 offset:8
	s_cbranch_scc1 .LBB172_11
; %bb.8:
	s_andn2_b32 vcc_lo, exec_lo, s27
	s_cbranch_vccnz .LBB172_147
; %bb.9:
	s_lshl_b64 s[16:17], s[12:13], 2
	s_add_u32 s16, s22, s16
	s_addc_u32 s17, s23, s17
	s_add_u32 s16, s16, -4
	s_addc_u32 s17, s17, -1
	s_cbranch_execnz .LBB172_11
.LBB172_10:
	s_add_u32 s16, s10, -4
	s_addc_u32 s17, s11, -1
.LBB172_11:
	v_mov_b32_e32 v2, s16
	v_mov_b32_e32 v3, s17
	s_mov_b32 s16, exec_lo
	flat_load_dword v13, v[2:3]
	v_sub_nc_u32_e32 v2, v7, v1
	s_waitcnt lgkmcnt(1)
	ds_write_b32 v2, v6 offset:3072
	s_waitcnt vmcnt(0) lgkmcnt(0)
	s_barrier
	buffer_gl0_inv
	v_cmpx_ne_u32_e32 0, v0
; %bb.12:
	v_sub_nc_u32_e32 v1, 0, v1
	v_add_nc_u32_e32 v1, v7, v1
	ds_read_b32 v13, v1 offset:3068
; %bb.13:
	s_or_b32 exec_lo, exec_lo, s16
	v_mov_b32_e32 v1, 0
	s_waitcnt lgkmcnt(0)
	s_barrier
	buffer_gl0_inv
	v_mov_b32_e32 v2, v1
	v_mov_b32_e32 v3, v1
	s_and_saveexec_b32 s16, s0
	s_cbranch_execnz .LBB172_145
; %bb.14:
	s_or_b32 exec_lo, exec_lo, s16
	s_and_saveexec_b32 s0, s1
	s_cbranch_execnz .LBB172_146
.LBB172_15:
	s_or_b32 exec_lo, exec_lo, s0
	s_and_saveexec_b32 s0, s2
	s_cbranch_execz .LBB172_17
.LBB172_16:
	v_add_co_u32 v10, s1, s3, v8
	v_add_co_ci_u32_e64 v11, null, s7, 0, s1
	flat_load_dword v3, v[10:11]
.LBB172_17:
	s_or_b32 exec_lo, exec_lo, s0
	s_waitcnt vmcnt(0) lgkmcnt(0)
	ds_write2st64_b32 v9, v1, v2 offset1:4
	ds_write_b32 v9, v3 offset:2048
	v_mov_b32_e32 v9, 0
	v_mov_b32_e32 v11, 0
	v_mul_u32_u24_e32 v8, 3, v0
	v_mov_b32_e32 v10, 0
	v_mov_b32_e32 v12, 0
	s_mov_b32 s16, 0
	s_mov_b32 s1, 0
	s_mov_b32 s17, exec_lo
	s_waitcnt lgkmcnt(0)
	s_barrier
	buffer_gl0_inv
                                        ; implicit-def: $sgpr2
                                        ; implicit-def: $vgpr2
	v_cmpx_gt_u32_e64 s30, v8
	s_cbranch_execz .LBB172_21
; %bb.18:
	ds_read_b32 v9, v7
	v_cmp_ne_u32_e32 vcc_lo, v13, v4
	v_mov_b32_e32 v11, 0
	v_add_nc_u32_e32 v1, 1, v8
	v_mov_b32_e32 v12, 0
	s_mov_b32 s0, 0
	v_cndmask_b32_e64 v10, 0, 1, vcc_lo
	s_mov_b32 s1, exec_lo
                                        ; implicit-def: $sgpr2
                                        ; implicit-def: $vgpr2
	v_cmpx_gt_u32_e64 s30, v1
	s_xor_b32 s1, exec_lo, s1
	s_cbranch_execz .LBB172_20
; %bb.19:
	ds_read2_b32 v[1:2], v7 offset0:1 offset1:2
	v_add_nc_u32_e32 v3, 2, v8
	v_cmp_ne_u32_e64 s0, v4, v5
	v_cmp_ne_u32_e64 s2, v5, v6
	v_cmp_gt_u32_e32 vcc_lo, s30, v3
	v_cndmask_b32_e64 v12, 0, 1, s0
	s_and_b32 s0, vcc_lo, exec_lo
	s_waitcnt lgkmcnt(0)
	v_mov_b32_e32 v11, v1
.LBB172_20:
	s_or_b32 exec_lo, exec_lo, s1
	s_and_b32 s1, s0, exec_lo
.LBB172_21:
	s_or_b32 exec_lo, exec_lo, s17
	v_lshlrev_b32_e32 v18, 2, v0
	v_lshlrev_b32_e32 v19, 3, v0
	s_and_b32 vcc_lo, exec_lo, s16
	s_cbranch_vccnz .LBB172_23
	s_branch .LBB172_31
.LBB172_22:
                                        ; implicit-def: $sgpr2
                                        ; implicit-def: $vgpr2
                                        ; implicit-def: $vgpr9_vgpr10
                                        ; implicit-def: $vgpr11_vgpr12
	v_lshlrev_b32_e32 v18, 2, v0
	v_lshlrev_b32_e32 v19, 3, v0
	s_cbranch_execz .LBB172_31
.LBB172_23:
	v_add_co_u32 v1, s0, s10, v18
	v_add_co_ci_u32_e64 v2, null, s11, 0, s0
	s_cmp_eq_u64 s[12:13], 0
	v_add_co_u32 v3, vcc_lo, 0x800, v1
	v_add_co_ci_u32_e64 v4, null, 0, v2, vcc_lo
	s_clause 0x2
	flat_load_dword v5, v[1:2]
	flat_load_dword v2, v[1:2] offset:1024
	flat_load_dword v3, v[3:4]
	v_add_nc_u32_e32 v1, v18, v19
	s_waitcnt vmcnt(1) lgkmcnt(1)
	ds_write2st64_b32 v18, v5, v2 offset1:4
	s_waitcnt vmcnt(0) lgkmcnt(1)
	ds_write_b32 v18, v3 offset:2048
	s_waitcnt lgkmcnt(0)
	s_barrier
	buffer_gl0_inv
	ds_read2_b32 v[3:4], v1 offset1:1
	ds_read_b32 v5, v1 offset:8
	s_cbranch_scc1 .LBB172_28
; %bb.24:
	s_andn2_b32 vcc_lo, exec_lo, s27
	s_cbranch_vccnz .LBB172_148
; %bb.25:
	s_lshl_b64 s[0:1], s[12:13], 2
	s_add_u32 s0, s22, s0
	s_addc_u32 s1, s23, s1
	s_add_u32 s0, s0, -4
	s_addc_u32 s1, s1, -1
	s_cbranch_execnz .LBB172_27
.LBB172_26:
	s_add_u32 s0, s10, -4
	s_addc_u32 s1, s11, -1
.LBB172_27:
	s_mov_b64 s[10:11], s[0:1]
.LBB172_28:
	v_mov_b32_e32 v6, s10
	v_mov_b32_e32 v7, s11
	v_sub_nc_u32_e32 v2, v1, v19
	s_mov_b32 s0, exec_lo
	flat_load_dword v6, v[6:7]
	s_waitcnt lgkmcnt(1)
	ds_write_b32 v2, v5 offset:3072
	s_waitcnt vmcnt(0) lgkmcnt(0)
	s_barrier
	buffer_gl0_inv
	v_cmpx_ne_u32_e32 0, v0
; %bb.29:
	v_sub_nc_u32_e32 v2, 0, v19
	v_add_nc_u32_e32 v2, v1, v2
	ds_read_b32 v6, v2 offset:3068
; %bb.30:
	s_or_b32 exec_lo, exec_lo, s0
	v_add_co_u32 v7, s0, s3, v18
	v_add_co_ci_u32_e64 v8, null, s7, 0, s0
	s_waitcnt lgkmcnt(0)
	v_add_co_u32 v9, vcc_lo, 0x800, v7
	v_add_co_ci_u32_e64 v10, null, 0, v8, vcc_lo
	s_barrier
	buffer_gl0_inv
	s_clause 0x2
	flat_load_dword v2, v[7:8]
	flat_load_dword v7, v[7:8] offset:1024
	flat_load_dword v8, v[9:10]
	v_cmp_ne_u32_e32 vcc_lo, v6, v3
	v_cmp_ne_u32_e64 s2, v4, v5
	s_mov_b32 s1, -1
	s_waitcnt vmcnt(1) lgkmcnt(1)
	ds_write2st64_b32 v18, v2, v7 offset1:4
	s_waitcnt vmcnt(0) lgkmcnt(1)
	ds_write_b32 v18, v8 offset:2048
	s_waitcnt lgkmcnt(0)
	s_barrier
	buffer_gl0_inv
	ds_read2_b32 v[7:8], v1 offset1:1
	ds_read_b32 v2, v1 offset:8
	v_cndmask_b32_e64 v10, 0, 1, vcc_lo
	v_cmp_ne_u32_e32 vcc_lo, v3, v4
	v_cndmask_b32_e64 v12, 0, 1, vcc_lo
	s_waitcnt lgkmcnt(1)
	v_mov_b32_e32 v9, v7
	v_mov_b32_e32 v11, v8
.LBB172_31:
	v_mov_b32_e32 v13, 0
	v_mov_b32_e32 v14, 0
	s_and_saveexec_b32 s0, s1
	s_cbranch_execz .LBB172_33
; %bb.32:
	v_cndmask_b32_e64 v14, 0, 1, s2
	s_waitcnt lgkmcnt(0)
	v_mov_b32_e32 v13, v2
.LBB172_33:
	s_or_b32 exec_lo, exec_lo, s0
	v_or_b32_e32 v21, v12, v14
	v_mbcnt_lo_u32_b32 v20, -1, 0
	s_cmp_lg_u32 s6, 0
	s_mov_b32 s2, 0
	s_waitcnt lgkmcnt(0)
	s_barrier
	buffer_gl0_inv
	s_cbranch_scc0 .LBB172_91
; %bb.34:
	s_mov_b32 s3, 1
	v_and_b32_e32 v2, 0xff, v21
	v_cmp_gt_u64_e64 s0, s[2:3], v[11:12]
	v_cmp_gt_u64_e64 s1, s[2:3], v[13:14]
	v_and_b32_e32 v5, 15, v20
	s_mov_b32 s2, exec_lo
	v_cndmask_b32_e64 v1, 1, v9, s0
	v_mul_lo_u32 v3, v1, v11
	v_mov_b32_e32 v1, 0
	v_cmp_eq_u64_e32 vcc_lo, 0, v[1:2]
	v_cndmask_b32_e64 v3, 1, v3, s1
	v_cndmask_b32_e32 v2, 1, v10, vcc_lo
	v_mul_lo_u32 v3, v3, v13
	v_and_b32_e32 v4, 0xff, v2
	v_mov_b32_dpp v6, v3 row_shr:1 row_mask:0xf bank_mask:0xf
	v_mov_b32_dpp v7, v4 row_shr:1 row_mask:0xf bank_mask:0xf
	v_cmpx_ne_u32_e32 0, v5
	s_cbranch_execz .LBB172_36
; %bb.35:
	v_and_b32_e32 v4, 1, v2
	v_cmp_eq_u16_sdwa vcc_lo, v2, v1 src0_sel:BYTE_0 src1_sel:DWORD
	v_and_b32_e32 v7, 1, v7
	v_cndmask_b32_e32 v1, 1, v6, vcc_lo
	v_cmp_eq_u32_e32 vcc_lo, 1, v4
	v_mul_lo_u32 v3, v1, v3
	v_cndmask_b32_e64 v4, v7, 1, vcc_lo
	v_mov_b32_e32 v2, v4
.LBB172_36:
	s_or_b32 exec_lo, exec_lo, s2
	v_mov_b32_dpp v1, v3 row_shr:2 row_mask:0xf bank_mask:0xf
	v_mov_b32_dpp v6, v4 row_shr:2 row_mask:0xf bank_mask:0xf
	s_mov_b32 s2, exec_lo
	v_cmpx_lt_u32_e32 1, v5
	s_cbranch_execz .LBB172_38
; %bb.37:
	v_mov_b32_e32 v4, 0
	v_and_b32_e32 v7, 1, v2
	v_and_b32_e32 v6, 1, v6
	v_cmp_eq_u16_sdwa vcc_lo, v2, v4 src0_sel:BYTE_0 src1_sel:DWORD
	v_cndmask_b32_e32 v1, 1, v1, vcc_lo
	v_cmp_eq_u32_e32 vcc_lo, 1, v7
	v_mul_lo_u32 v3, v1, v3
	v_cndmask_b32_e64 v2, v6, 1, vcc_lo
	v_mov_b32_e32 v4, v2
.LBB172_38:
	s_or_b32 exec_lo, exec_lo, s2
	v_mov_b32_dpp v1, v3 row_shr:4 row_mask:0xf bank_mask:0xf
	v_mov_b32_dpp v6, v4 row_shr:4 row_mask:0xf bank_mask:0xf
	s_mov_b32 s2, exec_lo
	v_cmpx_lt_u32_e32 3, v5
	s_cbranch_execz .LBB172_40
; %bb.39:
	v_mov_b32_e32 v4, 0
	v_and_b32_e32 v7, 1, v2
	v_and_b32_e32 v6, 1, v6
	v_cmp_eq_u16_sdwa vcc_lo, v2, v4 src0_sel:BYTE_0 src1_sel:DWORD
	v_cndmask_b32_e32 v1, 1, v1, vcc_lo
	v_cmp_eq_u32_e32 vcc_lo, 1, v7
	v_mul_lo_u32 v3, v1, v3
	v_cndmask_b32_e64 v2, v6, 1, vcc_lo
	v_mov_b32_e32 v4, v2
.LBB172_40:
	;; [unrolled: 17-line block ×3, first 2 shown]
	s_or_b32 exec_lo, exec_lo, s2
	ds_swizzle_b32 v5, v3 offset:swizzle(BROADCAST,32,15)
	ds_swizzle_b32 v1, v4 offset:swizzle(BROADCAST,32,15)
	v_and_b32_e32 v6, 16, v20
	s_mov_b32 s2, exec_lo
	v_cmpx_ne_u32_e32 0, v6
	s_cbranch_execz .LBB172_44
; %bb.43:
	v_mov_b32_e32 v4, 0
	s_waitcnt lgkmcnt(0)
	v_and_b32_e32 v1, 1, v1
	v_cmp_eq_u16_sdwa vcc_lo, v2, v4 src0_sel:BYTE_0 src1_sel:DWORD
	v_and_b32_e32 v2, 1, v2
	v_cndmask_b32_e32 v4, 1, v5, vcc_lo
	v_cmp_eq_u32_e32 vcc_lo, 1, v2
	v_mul_lo_u32 v3, v4, v3
	v_cndmask_b32_e64 v4, v1, 1, vcc_lo
.LBB172_44:
	s_or_b32 exec_lo, exec_lo, s2
	v_lshrrev_b32_e32 v2, 5, v0
	s_waitcnt lgkmcnt(0)
	v_or_b32_e32 v1, 31, v0
	s_mov_b32 s2, exec_lo
	v_lshlrev_b32_e32 v5, 3, v2
	v_cmpx_eq_u32_e64 v0, v1
	s_cbranch_execz .LBB172_46
; %bb.45:
	ds_write_b32 v5, v3
	ds_write_b8 v5, v4 offset:4
.LBB172_46:
	s_or_b32 exec_lo, exec_lo, s2
	s_mov_b32 s2, exec_lo
	s_waitcnt lgkmcnt(0)
	s_barrier
	buffer_gl0_inv
	v_cmpx_gt_u32_e32 8, v0
	s_cbranch_execz .LBB172_54
; %bb.47:
	ds_read_b64 v[1:2], v19
	v_and_b32_e32 v6, 7, v20
	s_mov_b32 s3, exec_lo
	s_waitcnt lgkmcnt(0)
	v_and_b32_e32 v7, 0xffffff00, v2
	v_mov_b32_dpp v15, v1 row_shr:1 row_mask:0xf bank_mask:0xf
	v_mov_b32_dpp v16, v2 row_shr:1 row_mask:0xf bank_mask:0xf
	v_mov_b32_e32 v8, v2
	v_cmpx_ne_u32_e32 0, v6
	s_cbranch_execz .LBB172_49
; %bb.48:
	v_mov_b32_e32 v8, 0
	v_and_b32_e32 v17, 1, v2
	v_and_b32_e32 v16, 1, v16
	v_cmp_eq_u16_sdwa vcc_lo, v2, v8 src0_sel:BYTE_0 src1_sel:DWORD
	v_cndmask_b32_e32 v8, 1, v15, vcc_lo
	v_cmp_eq_u32_e32 vcc_lo, 1, v17
	v_mul_lo_u32 v1, v8, v1
	v_cndmask_b32_e64 v2, v16, 1, vcc_lo
	v_or_b32_sdwa v8, v7, v2 dst_sel:DWORD dst_unused:UNUSED_PAD src0_sel:DWORD src1_sel:WORD_0
.LBB172_49:
	s_or_b32 exec_lo, exec_lo, s3
	v_mov_b32_dpp v15, v1 row_shr:2 row_mask:0xf bank_mask:0xf
	v_mov_b32_dpp v16, v8 row_shr:2 row_mask:0xf bank_mask:0xf
	s_mov_b32 s3, exec_lo
	v_cmpx_lt_u32_e32 1, v6
	s_cbranch_execz .LBB172_51
; %bb.50:
	v_mov_b32_e32 v8, 0
	v_and_b32_e32 v17, 1, v2
	v_and_b32_e32 v16, 1, v16
	v_cmp_eq_u16_sdwa vcc_lo, v2, v8 src0_sel:BYTE_0 src1_sel:DWORD
	v_cndmask_b32_e32 v8, 1, v15, vcc_lo
	v_cmp_eq_u32_e32 vcc_lo, 1, v17
	v_mul_lo_u32 v1, v8, v1
	v_cndmask_b32_e64 v2, v16, 1, vcc_lo
	v_or_b32_sdwa v8, v7, v2 dst_sel:DWORD dst_unused:UNUSED_PAD src0_sel:DWORD src1_sel:WORD_0
.LBB172_51:
	s_or_b32 exec_lo, exec_lo, s3
	v_mov_b32_dpp v15, v1 row_shr:4 row_mask:0xf bank_mask:0xf
	v_mov_b32_dpp v7, v8 row_shr:4 row_mask:0xf bank_mask:0xf
	s_mov_b32 s3, exec_lo
	v_cmpx_lt_u32_e32 3, v6
	s_cbranch_execz .LBB172_53
; %bb.52:
	v_mov_b32_e32 v6, 0
	v_and_b32_e32 v7, 1, v7
	v_cmp_eq_u16_sdwa vcc_lo, v2, v6 src0_sel:BYTE_0 src1_sel:DWORD
	v_and_b32_e32 v2, 1, v2
	v_cndmask_b32_e32 v6, 1, v15, vcc_lo
	v_cmp_eq_u32_e32 vcc_lo, 1, v2
	v_mul_lo_u32 v1, v6, v1
	v_cndmask_b32_e64 v2, v7, 1, vcc_lo
.LBB172_53:
	s_or_b32 exec_lo, exec_lo, s3
	ds_write_b32 v19, v1
	ds_write_b8 v19, v2 offset:4
.LBB172_54:
	s_or_b32 exec_lo, exec_lo, s2
	v_mov_b32_e32 v23, 0
	v_mov_b32_e32 v22, 0
	s_mov_b32 s3, exec_lo
	v_cmp_gt_u32_e32 vcc_lo, 32, v0
	s_waitcnt lgkmcnt(0)
	s_barrier
	buffer_gl0_inv
	v_cmpx_lt_u32_e32 31, v0
	s_cbranch_execz .LBB172_56
; %bb.55:
	v_add_nc_u32_e32 v1, -8, v5
	v_cmp_eq_u32_e64 s2, 0, v4
	v_and_b32_e32 v2, 1, v4
	ds_read_b32 v23, v1
	v_add_nc_u32_e32 v1, -4, v5
	ds_read_u8 v22, v1
	s_waitcnt lgkmcnt(1)
	v_cndmask_b32_e64 v1, 1, v23, s2
	v_cmp_eq_u32_e64 s2, 1, v2
	v_mul_lo_u32 v3, v1, v3
	s_waitcnt lgkmcnt(0)
	v_cndmask_b32_e64 v4, v22, 1, s2
.LBB172_56:
	s_or_b32 exec_lo, exec_lo, s3
	v_sub_co_u32 v1, s2, v20, 1
	v_cmp_gt_i32_e64 s3, 0, v1
	v_cndmask_b32_e64 v1, v1, v20, s3
	v_lshlrev_b32_e32 v1, 2, v1
	ds_bpermute_b32 v25, v1, v3
	ds_bpermute_b32 v24, v1, v4
	s_and_saveexec_b32 s3, vcc_lo
	s_cbranch_execz .LBB172_96
; %bb.57:
	v_mov_b32_e32 v4, 0
	ds_read_b64 v[1:2], v4 offset:56
	s_and_saveexec_b32 s7, s2
	s_cbranch_execz .LBB172_59
; %bb.58:
	s_add_i32 s10, s6, 32
	s_mov_b32 s11, 0
	v_mov_b32_e32 v3, 1
	s_lshl_b64 s[10:11], s[10:11], 4
	s_add_u32 s10, s24, s10
	s_addc_u32 s11, s25, s11
	v_mov_b32_e32 v5, s10
	v_mov_b32_e32 v6, s11
	s_waitcnt lgkmcnt(0)
	;;#ASMSTART
	global_store_dwordx4 v[5:6], v[1:4] off	
s_waitcnt vmcnt(0)
	;;#ASMEND
.LBB172_59:
	s_or_b32 exec_lo, exec_lo, s7
	v_xad_u32 v15, v20, -1, s6
	s_mov_b32 s10, 0
	v_add_nc_u32_e32 v3, 32, v15
	v_lshlrev_b64 v[5:6], 4, v[3:4]
	v_add_co_u32 v16, vcc_lo, s24, v5
	v_add_co_ci_u32_e64 v17, null, s25, v6, vcc_lo
	;;#ASMSTART
	global_load_dwordx4 v[5:8], v[16:17] off glc dlc	
s_waitcnt vmcnt(0)
	;;#ASMEND
	v_and_b32_e32 v6, 0xff, v6
	v_cmp_eq_u16_sdwa s11, v7, v4 src0_sel:BYTE_0 src1_sel:DWORD
	s_and_saveexec_b32 s7, s11
	s_cbranch_execz .LBB172_63
; %bb.60:
	v_mov_b32_e32 v3, 0
.LBB172_61:                             ; =>This Inner Loop Header: Depth=1
	;;#ASMSTART
	global_load_dwordx4 v[5:8], v[16:17] off glc dlc	
s_waitcnt vmcnt(0)
	;;#ASMEND
	v_cmp_ne_u16_sdwa s11, v7, v3 src0_sel:BYTE_0 src1_sel:DWORD
	s_or_b32 s10, s11, s10
	s_andn2_b32 exec_lo, exec_lo, s10
	s_cbranch_execnz .LBB172_61
; %bb.62:
	s_or_b32 exec_lo, exec_lo, s10
	v_and_b32_e32 v6, 0xff, v6
.LBB172_63:
	s_or_b32 exec_lo, exec_lo, s7
	v_cmp_ne_u32_e32 vcc_lo, 31, v20
	v_mov_b32_e32 v4, 2
	v_lshlrev_b32_e64 v26, v20, -1
	s_mov_b32 s10, 0
	v_add_co_ci_u32_e64 v3, null, 0, v20, vcc_lo
	v_cmp_eq_u16_sdwa s7, v7, v4 src0_sel:BYTE_0 src1_sel:DWORD
	v_mov_b32_e32 v4, v6
	v_lshlrev_b32_e32 v17, 2, v3
	v_and_or_b32 v3, s7, v26, 0x80000000
	s_mov_b32 s7, exec_lo
	ds_bpermute_b32 v8, v17, v5
	ds_bpermute_b32 v16, v17, v6
	v_ffbl_b32_e32 v3, v3
	v_cmpx_lt_u32_e64 v20, v3
	s_cbranch_execz .LBB172_65
; %bb.64:
	s_mov_b32 s11, 1
	v_and_b32_e32 v4, 1, v6
	v_cmp_gt_u64_e32 vcc_lo, s[10:11], v[5:6]
	s_waitcnt lgkmcnt(0)
	v_and_b32_e32 v16, 1, v16
	v_cndmask_b32_e32 v8, 1, v8, vcc_lo
	v_cmp_eq_u32_e32 vcc_lo, 1, v4
	v_mul_lo_u32 v5, v8, v5
	v_cndmask_b32_e64 v6, v16, 1, vcc_lo
	v_and_b32_e32 v4, 0xffff, v6
.LBB172_65:
	s_or_b32 exec_lo, exec_lo, s7
	v_cmp_gt_u32_e32 vcc_lo, 30, v20
	v_add_nc_u32_e32 v28, 2, v20
	s_mov_b32 s7, exec_lo
	s_waitcnt lgkmcnt(1)
	v_cndmask_b32_e64 v8, 0, 2, vcc_lo
	v_add_lshl_u32 v27, v8, v20, 2
	ds_bpermute_b32 v8, v27, v5
	s_waitcnt lgkmcnt(1)
	ds_bpermute_b32 v16, v27, v4
	v_cmpx_le_u32_e64 v28, v3
	s_cbranch_execz .LBB172_67
; %bb.66:
	v_and_b32_e32 v4, 1, v6
	v_cmp_eq_u16_e32 vcc_lo, 0, v6
	s_waitcnt lgkmcnt(0)
	v_and_b32_e32 v16, 1, v16
	v_cndmask_b32_e32 v8, 1, v8, vcc_lo
	v_cmp_eq_u32_e32 vcc_lo, 1, v4
	v_mul_lo_u32 v5, v8, v5
	v_cndmask_b32_e64 v6, v16, 1, vcc_lo
	v_and_b32_e32 v4, 0xffff, v6
.LBB172_67:
	s_or_b32 exec_lo, exec_lo, s7
	v_cmp_gt_u32_e32 vcc_lo, 28, v20
	v_add_nc_u32_e32 v30, 4, v20
	s_mov_b32 s7, exec_lo
	s_waitcnt lgkmcnt(1)
	v_cndmask_b32_e64 v8, 0, 4, vcc_lo
	v_add_lshl_u32 v29, v8, v20, 2
	ds_bpermute_b32 v8, v29, v5
	s_waitcnt lgkmcnt(1)
	ds_bpermute_b32 v16, v29, v4
	v_cmpx_le_u32_e64 v30, v3
	s_cbranch_execz .LBB172_69
; %bb.68:
	v_and_b32_e32 v4, 1, v6
	v_cmp_eq_u16_e32 vcc_lo, 0, v6
	s_waitcnt lgkmcnt(0)
	v_and_b32_e32 v16, 1, v16
	v_cndmask_b32_e32 v8, 1, v8, vcc_lo
	v_cmp_eq_u32_e32 vcc_lo, 1, v4
	v_mul_lo_u32 v5, v8, v5
	v_cndmask_b32_e64 v6, v16, 1, vcc_lo
	v_and_b32_e32 v4, 0xffff, v6
.LBB172_69:
	;; [unrolled: 23-line block ×3, first 2 shown]
	s_or_b32 exec_lo, exec_lo, s7
	v_lshl_or_b32 v35, v20, 2, 64
	v_add_nc_u32_e32 v36, 16, v20
	s_mov_b32 s7, exec_lo
	s_waitcnt lgkmcnt(1)
	ds_bpermute_b32 v8, v35, v5
	ds_bpermute_b32 v4, v35, v4
	v_cmpx_le_u32_e64 v36, v3
	s_cbranch_execz .LBB172_73
; %bb.72:
	v_cmp_eq_u16_e32 vcc_lo, 0, v6
	v_and_b32_e32 v6, 1, v6
	s_waitcnt lgkmcnt(0)
	v_and_b32_e32 v4, 1, v4
	v_cndmask_b32_e32 v3, 1, v8, vcc_lo
	v_cmp_eq_u32_e32 vcc_lo, 1, v6
	v_mul_lo_u32 v5, v3, v5
	v_cndmask_b32_e64 v6, v4, 1, vcc_lo
.LBB172_73:
	s_or_b32 exec_lo, exec_lo, s7
	s_waitcnt lgkmcnt(2)
	v_mov_b32_e32 v16, 0
	v_mov_b32_e32 v37, 2
	s_mov_b32 s10, 0
	s_mov_b32 s11, 1
	s_branch .LBB172_76
.LBB172_74:                             ;   in Loop: Header=BB172_76 Depth=1
	s_or_b32 exec_lo, exec_lo, s7
	v_cmp_eq_u16_sdwa vcc_lo, v33, v16 src0_sel:BYTE_0 src1_sel:DWORD
	s_waitcnt lgkmcnt(0)
	v_and_b32_e32 v4, 1, v33
	v_and_b32_e32 v6, 1, v6
	v_subrev_nc_u32_e32 v15, 32, v15
	s_mov_b32 s7, 0
	v_cndmask_b32_e32 v3, 1, v5, vcc_lo
	v_cmp_eq_u32_e32 vcc_lo, 1, v4
	v_mul_lo_u32 v5, v3, v34
	v_cndmask_b32_e64 v6, v6, 1, vcc_lo
.LBB172_75:                             ;   in Loop: Header=BB172_76 Depth=1
	s_and_b32 vcc_lo, exec_lo, s7
	s_cbranch_vccnz .LBB172_92
.LBB172_76:                             ; =>This Loop Header: Depth=1
                                        ;     Child Loop BB172_79 Depth 2
	v_cmp_ne_u16_sdwa s7, v7, v37 src0_sel:BYTE_0 src1_sel:DWORD
	v_mov_b32_e32 v33, v6
	v_mov_b32_e32 v34, v5
                                        ; implicit-def: $vgpr6
	s_cmp_lg_u32 s7, exec_lo
	s_mov_b32 s7, -1
	s_cbranch_scc1 .LBB172_75
; %bb.77:                               ;   in Loop: Header=BB172_76 Depth=1
	s_waitcnt lgkmcnt(0)
	v_lshlrev_b64 v[3:4], 4, v[15:16]
	v_add_co_u32 v3, vcc_lo, s24, v3
	v_add_co_ci_u32_e64 v4, null, s25, v4, vcc_lo
	;;#ASMSTART
	global_load_dwordx4 v[5:8], v[3:4] off glc dlc	
s_waitcnt vmcnt(0)
	;;#ASMEND
	v_and_b32_e32 v6, 0xff, v6
	v_cmp_eq_u16_sdwa s12, v7, v16 src0_sel:BYTE_0 src1_sel:DWORD
	s_and_saveexec_b32 s7, s12
	s_cbranch_execz .LBB172_81
; %bb.78:                               ;   in Loop: Header=BB172_76 Depth=1
	s_mov_b32 s12, 0
.LBB172_79:                             ;   Parent Loop BB172_76 Depth=1
                                        ; =>  This Inner Loop Header: Depth=2
	;;#ASMSTART
	global_load_dwordx4 v[5:8], v[3:4] off glc dlc	
s_waitcnt vmcnt(0)
	;;#ASMEND
	v_cmp_ne_u16_sdwa s13, v7, v16 src0_sel:BYTE_0 src1_sel:DWORD
	s_or_b32 s12, s13, s12
	s_andn2_b32 exec_lo, exec_lo, s12
	s_cbranch_execnz .LBB172_79
; %bb.80:                               ;   in Loop: Header=BB172_76 Depth=1
	s_or_b32 exec_lo, exec_lo, s12
	v_and_b32_e32 v6, 0xff, v6
.LBB172_81:                             ;   in Loop: Header=BB172_76 Depth=1
	s_or_b32 exec_lo, exec_lo, s7
	ds_bpermute_b32 v8, v17, v5
	ds_bpermute_b32 v38, v17, v6
	v_cmp_eq_u16_sdwa s7, v7, v37 src0_sel:BYTE_0 src1_sel:DWORD
	v_mov_b32_e32 v4, v6
	v_and_or_b32 v3, s7, v26, 0x80000000
	s_mov_b32 s7, exec_lo
	v_ffbl_b32_e32 v3, v3
	v_cmpx_lt_u32_e64 v20, v3
	s_cbranch_execz .LBB172_83
; %bb.82:                               ;   in Loop: Header=BB172_76 Depth=1
	v_cmp_gt_u64_e32 vcc_lo, s[10:11], v[5:6]
	v_and_b32_e32 v4, 1, v6
	s_waitcnt lgkmcnt(0)
	v_and_b32_e32 v38, 1, v38
	v_cndmask_b32_e32 v8, 1, v8, vcc_lo
	v_cmp_eq_u32_e32 vcc_lo, 1, v4
	v_mul_lo_u32 v5, v8, v5
	v_cndmask_b32_e64 v6, v38, 1, vcc_lo
	v_and_b32_e32 v4, 0xffff, v6
.LBB172_83:                             ;   in Loop: Header=BB172_76 Depth=1
	s_or_b32 exec_lo, exec_lo, s7
	s_waitcnt lgkmcnt(1)
	ds_bpermute_b32 v8, v27, v5
	s_waitcnt lgkmcnt(1)
	ds_bpermute_b32 v38, v27, v4
	s_mov_b32 s7, exec_lo
	v_cmpx_le_u32_e64 v28, v3
	s_cbranch_execz .LBB172_85
; %bb.84:                               ;   in Loop: Header=BB172_76 Depth=1
	v_and_b32_e32 v4, 1, v6
	v_cmp_eq_u16_e32 vcc_lo, 0, v6
	s_waitcnt lgkmcnt(0)
	v_and_b32_e32 v38, 1, v38
	v_cndmask_b32_e32 v8, 1, v8, vcc_lo
	v_cmp_eq_u32_e32 vcc_lo, 1, v4
	v_mul_lo_u32 v5, v8, v5
	v_cndmask_b32_e64 v6, v38, 1, vcc_lo
	v_and_b32_e32 v4, 0xffff, v6
.LBB172_85:                             ;   in Loop: Header=BB172_76 Depth=1
	s_or_b32 exec_lo, exec_lo, s7
	s_waitcnt lgkmcnt(1)
	ds_bpermute_b32 v8, v29, v5
	s_waitcnt lgkmcnt(1)
	ds_bpermute_b32 v38, v29, v4
	s_mov_b32 s7, exec_lo
	v_cmpx_le_u32_e64 v30, v3
	s_cbranch_execz .LBB172_87
; %bb.86:                               ;   in Loop: Header=BB172_76 Depth=1
	v_and_b32_e32 v4, 1, v6
	v_cmp_eq_u16_e32 vcc_lo, 0, v6
	s_waitcnt lgkmcnt(0)
	v_and_b32_e32 v38, 1, v38
	v_cndmask_b32_e32 v8, 1, v8, vcc_lo
	v_cmp_eq_u32_e32 vcc_lo, 1, v4
	v_mul_lo_u32 v5, v8, v5
	v_cndmask_b32_e64 v6, v38, 1, vcc_lo
	v_and_b32_e32 v4, 0xffff, v6
.LBB172_87:                             ;   in Loop: Header=BB172_76 Depth=1
	;; [unrolled: 19-line block ×3, first 2 shown]
	s_or_b32 exec_lo, exec_lo, s7
	s_waitcnt lgkmcnt(1)
	ds_bpermute_b32 v8, v35, v5
	ds_bpermute_b32 v4, v35, v4
	s_mov_b32 s7, exec_lo
	v_cmpx_le_u32_e64 v36, v3
	s_cbranch_execz .LBB172_74
; %bb.90:                               ;   in Loop: Header=BB172_76 Depth=1
	v_cmp_eq_u16_e32 vcc_lo, 0, v6
	v_and_b32_e32 v6, 1, v6
	s_waitcnt lgkmcnt(1)
	v_cndmask_b32_e32 v3, 1, v8, vcc_lo
	v_cmp_eq_u32_e32 vcc_lo, 1, v6
	v_mul_lo_u32 v5, v3, v5
	s_waitcnt lgkmcnt(0)
	v_cndmask_b32_e64 v6, v4, 1, vcc_lo
	s_branch .LBB172_74
.LBB172_91:
                                        ; implicit-def: $vgpr7
                                        ; implicit-def: $vgpr5
                                        ; implicit-def: $vgpr6
	s_cbranch_execnz .LBB172_99
	s_branch .LBB172_128
.LBB172_92:
	s_and_saveexec_b32 s7, s2
	s_cbranch_execz .LBB172_94
; %bb.93:
	s_waitcnt lgkmcnt(0)
	v_mov_b32_e32 v4, 0
	v_and_b32_e32 v3, 1, v2
	s_mov_b32 s11, 0
	s_add_i32 s10, s6, 32
	v_and_b32_e32 v5, 1, v33
	v_cmp_eq_u32_sdwa vcc_lo, v2, v4 src0_sel:BYTE_0 src1_sel:DWORD
	s_lshl_b64 s[10:11], s[10:11], 4
	s_add_u32 s10, s24, s10
	s_addc_u32 s11, s25, s11
	v_cndmask_b32_e32 v2, 1, v34, vcc_lo
	v_cmp_eq_u32_e32 vcc_lo, 1, v3
	v_mov_b32_e32 v3, 2
	v_mul_lo_u32 v1, v2, v1
	v_cndmask_b32_e64 v2, v5, 1, vcc_lo
	v_mov_b32_e32 v5, s10
	v_mov_b32_e32 v6, s11
	;;#ASMSTART
	global_store_dwordx4 v[5:6], v[1:4] off	
s_waitcnt vmcnt(0)
	;;#ASMEND
.LBB172_94:
	s_or_b32 exec_lo, exec_lo, s7
	v_cmp_eq_u32_e32 vcc_lo, 0, v0
	s_and_b32 exec_lo, exec_lo, vcc_lo
	s_cbranch_execz .LBB172_96
; %bb.95:
	v_mov_b32_e32 v1, 0
	ds_write_b32 v1, v34 offset:56
	ds_write_b8 v1, v33 offset:60
.LBB172_96:
	s_or_b32 exec_lo, exec_lo, s3
	v_mov_b32_e32 v1, 0
	s_waitcnt lgkmcnt(0)
	s_barrier
	buffer_gl0_inv
	v_mov_b32_e32 v4, v10
	ds_read_b32 v2, v1 offset:56
	v_mov_b32_e32 v3, v9
	s_mov_b32 s3, 0
	s_mov_b32 s6, exec_lo
	v_cmpx_ne_u32_e32 0, v0
	s_cbranch_execz .LBB172_98
; %bb.97:
	s_mov_b32 s10, 0
	s_mov_b32 s11, 1
	v_cndmask_b32_e64 v3, v25, v23, s2
	v_cmp_gt_u64_e32 vcc_lo, s[10:11], v[9:10]
	v_cndmask_b32_e64 v4, v24, v22, s2
	v_and_b32_e32 v5, 1, v10
	v_and_b32_e32 v4, 1, v4
	v_cndmask_b32_e32 v3, 1, v3, vcc_lo
	v_cmp_eq_u32_e32 vcc_lo, 1, v5
	v_mul_lo_u32 v3, v3, v9
	v_cndmask_b32_e64 v4, v4, 1, vcc_lo
.LBB172_98:
	s_or_b32 exec_lo, exec_lo, s6
	v_cmp_eq_u16_sdwa vcc_lo, v4, v1 src0_sel:BYTE_0 src1_sel:DWORD
	s_waitcnt lgkmcnt(0)
	v_cndmask_b32_e32 v1, 1, v2, vcc_lo
	v_mul_lo_u32 v7, v1, v3
	v_cndmask_b32_e64 v1, 1, v7, s0
	v_mul_lo_u32 v5, v1, v11
	v_cndmask_b32_e64 v1, 1, v5, s1
	v_mul_lo_u32 v6, v1, v13
	s_and_b32 vcc_lo, exec_lo, s3
	s_cbranch_vccz .LBB172_128
.LBB172_99:
	s_cmp_lg_u64 s[28:29], 0
	v_cmp_eq_u32_e32 vcc_lo, 0, v0
	s_cselect_b32 s1, -1, 0
	s_cmp_lg_u64 s[18:19], 0
	v_cmp_ne_u32_e64 s0, 0, v0
	s_cselect_b32 s2, -1, 0
	s_and_b32 s1, s1, s2
	s_mov_b32 s2, 0
	s_and_b32 s1, vcc_lo, s1
	s_and_saveexec_b32 s6, s1
	s_cbranch_execz .LBB172_101
; %bb.100:
	v_mov_b32_e32 v1, 0
	s_mov_b32 s3, 1
	s_clause 0x1
	global_load_dword v2, v1, s[18:19]
	global_load_ubyte v3, v1, s[18:19] offset:4
	v_cmp_gt_u64_e64 s1, s[2:3], v[9:10]
	s_waitcnt vmcnt(1)
	v_cndmask_b32_e64 v4, 1, v2, s1
	v_and_b32_e32 v2, 1, v10
	s_waitcnt vmcnt(0)
	v_and_b32_e32 v3, 1, v3
	v_mul_lo_u32 v9, v4, v9
	v_cmp_eq_u64_e64 s1, 0, v[1:2]
	v_cndmask_b32_e64 v10, 1, v3, s1
.LBB172_101:
	s_or_b32 exec_lo, exec_lo, s6
	s_mov_b32 s3, 1
	v_and_b32_e32 v2, 0xff, v21
	v_cmp_gt_u64_e64 s1, s[2:3], v[11:12]
	v_cmp_gt_u64_e64 s2, s[2:3], v[13:14]
	v_and_b32_e32 v7, 15, v20
	s_mov_b32 s6, exec_lo
	v_cndmask_b32_e64 v1, 1, v9, s1
	v_mul_lo_u32 v5, v1, v11
	v_mov_b32_e32 v1, 0
	v_cmp_eq_u64_e64 s3, 0, v[1:2]
	v_cndmask_b32_e64 v3, 1, v5, s2
	v_cndmask_b32_e64 v2, 1, v10, s3
	v_mul_lo_u32 v6, v3, v13
	v_and_b32_e32 v4, 0xff, v2
	v_mov_b32_dpp v8, v6 row_shr:1 row_mask:0xf bank_mask:0xf
	v_mov_b32_dpp v12, v4 row_shr:1 row_mask:0xf bank_mask:0xf
	v_mov_b32_e32 v3, v6
	v_cmpx_ne_u32_e32 0, v7
	s_cbranch_execz .LBB172_103
; %bb.102:
	v_and_b32_e32 v3, 1, v2
	v_cmp_eq_u16_sdwa s3, v2, v1 src0_sel:BYTE_0 src1_sel:DWORD
	v_and_b32_e32 v4, 1, v12
	v_cndmask_b32_e64 v1, 1, v8, s3
	v_cmp_eq_u32_e64 s3, 1, v3
	v_mul_lo_u32 v3, v1, v6
	v_cndmask_b32_e64 v4, v4, 1, s3
	v_mov_b32_e32 v2, v4
.LBB172_103:
	s_or_b32 exec_lo, exec_lo, s6
	v_mov_b32_dpp v1, v3 row_shr:2 row_mask:0xf bank_mask:0xf
	v_mov_b32_dpp v8, v4 row_shr:2 row_mask:0xf bank_mask:0xf
	s_mov_b32 s6, exec_lo
	v_cmpx_lt_u32_e32 1, v7
	s_cbranch_execz .LBB172_105
; %bb.104:
	v_mov_b32_e32 v4, 0
	v_and_b32_e32 v12, 1, v2
	v_and_b32_e32 v8, 1, v8
	v_cmp_eq_u16_sdwa s3, v2, v4 src0_sel:BYTE_0 src1_sel:DWORD
	v_cndmask_b32_e64 v1, 1, v1, s3
	v_cmp_eq_u32_e64 s3, 1, v12
	v_mul_lo_u32 v3, v1, v3
	v_cndmask_b32_e64 v2, v8, 1, s3
	v_mov_b32_e32 v4, v2
.LBB172_105:
	s_or_b32 exec_lo, exec_lo, s6
	v_mov_b32_dpp v1, v3 row_shr:4 row_mask:0xf bank_mask:0xf
	v_mov_b32_dpp v8, v4 row_shr:4 row_mask:0xf bank_mask:0xf
	s_mov_b32 s6, exec_lo
	v_cmpx_lt_u32_e32 3, v7
	s_cbranch_execz .LBB172_107
; %bb.106:
	v_mov_b32_e32 v4, 0
	v_and_b32_e32 v12, 1, v2
	v_and_b32_e32 v8, 1, v8
	v_cmp_eq_u16_sdwa s3, v2, v4 src0_sel:BYTE_0 src1_sel:DWORD
	v_cndmask_b32_e64 v1, 1, v1, s3
	v_cmp_eq_u32_e64 s3, 1, v12
	v_mul_lo_u32 v3, v1, v3
	v_cndmask_b32_e64 v2, v8, 1, s3
	v_mov_b32_e32 v4, v2
.LBB172_107:
	;; [unrolled: 17-line block ×3, first 2 shown]
	s_or_b32 exec_lo, exec_lo, s6
	ds_swizzle_b32 v7, v3 offset:swizzle(BROADCAST,32,15)
	ds_swizzle_b32 v1, v4 offset:swizzle(BROADCAST,32,15)
	v_and_b32_e32 v8, 16, v20
	s_mov_b32 s6, exec_lo
	v_cmpx_ne_u32_e32 0, v8
	s_cbranch_execz .LBB172_111
; %bb.110:
	v_mov_b32_e32 v4, 0
	s_waitcnt lgkmcnt(0)
	v_and_b32_e32 v1, 1, v1
	v_cmp_eq_u16_sdwa s3, v2, v4 src0_sel:BYTE_0 src1_sel:DWORD
	v_and_b32_e32 v2, 1, v2
	v_cndmask_b32_e64 v4, 1, v7, s3
	v_cmp_eq_u32_e64 s3, 1, v2
	v_mul_lo_u32 v3, v4, v3
	v_cndmask_b32_e64 v4, v1, 1, s3
.LBB172_111:
	s_or_b32 exec_lo, exec_lo, s6
	s_waitcnt lgkmcnt(0)
	v_or_b32_e32 v1, 31, v0
	v_lshrrev_b32_e32 v7, 5, v0
	s_mov_b32 s6, exec_lo
	v_cmpx_eq_u32_e64 v0, v1
	s_cbranch_execz .LBB172_113
; %bb.112:
	v_lshlrev_b32_e32 v1, 3, v7
	ds_write_b32 v1, v3
	ds_write_b8 v1, v4 offset:4
.LBB172_113:
	s_or_b32 exec_lo, exec_lo, s6
	s_mov_b32 s6, exec_lo
	s_waitcnt lgkmcnt(0)
	s_barrier
	buffer_gl0_inv
	v_cmpx_gt_u32_e32 8, v0
	s_cbranch_execz .LBB172_121
; %bb.114:
	ds_read_b64 v[1:2], v19
	v_and_b32_e32 v8, 7, v20
	s_mov_b32 s7, exec_lo
	s_waitcnt lgkmcnt(0)
	v_and_b32_e32 v12, 0xffffff00, v2
	v_mov_b32_dpp v15, v1 row_shr:1 row_mask:0xf bank_mask:0xf
	v_mov_b32_dpp v16, v2 row_shr:1 row_mask:0xf bank_mask:0xf
	v_mov_b32_e32 v14, v2
	v_cmpx_ne_u32_e32 0, v8
	s_cbranch_execz .LBB172_116
; %bb.115:
	v_mov_b32_e32 v14, 0
	v_and_b32_e32 v17, 1, v2
	v_and_b32_e32 v16, 1, v16
	v_cmp_eq_u16_sdwa s3, v2, v14 src0_sel:BYTE_0 src1_sel:DWORD
	v_cndmask_b32_e64 v14, 1, v15, s3
	v_cmp_eq_u32_e64 s3, 1, v17
	v_mul_lo_u32 v1, v14, v1
	v_cndmask_b32_e64 v2, v16, 1, s3
	v_or_b32_sdwa v14, v12, v2 dst_sel:DWORD dst_unused:UNUSED_PAD src0_sel:DWORD src1_sel:WORD_0
.LBB172_116:
	s_or_b32 exec_lo, exec_lo, s7
	v_mov_b32_dpp v15, v1 row_shr:2 row_mask:0xf bank_mask:0xf
	v_mov_b32_dpp v16, v14 row_shr:2 row_mask:0xf bank_mask:0xf
	s_mov_b32 s7, exec_lo
	v_cmpx_lt_u32_e32 1, v8
	s_cbranch_execz .LBB172_118
; %bb.117:
	v_mov_b32_e32 v14, 0
	v_and_b32_e32 v17, 1, v2
	v_and_b32_e32 v16, 1, v16
	v_cmp_eq_u16_sdwa s3, v2, v14 src0_sel:BYTE_0 src1_sel:DWORD
	v_cndmask_b32_e64 v14, 1, v15, s3
	v_cmp_eq_u32_e64 s3, 1, v17
	v_mul_lo_u32 v1, v14, v1
	v_cndmask_b32_e64 v2, v16, 1, s3
	v_or_b32_sdwa v14, v12, v2 dst_sel:DWORD dst_unused:UNUSED_PAD src0_sel:DWORD src1_sel:WORD_0
.LBB172_118:
	s_or_b32 exec_lo, exec_lo, s7
	v_mov_b32_dpp v15, v1 row_shr:4 row_mask:0xf bank_mask:0xf
	v_mov_b32_dpp v12, v14 row_shr:4 row_mask:0xf bank_mask:0xf
	s_mov_b32 s7, exec_lo
	v_cmpx_lt_u32_e32 3, v8
	s_cbranch_execz .LBB172_120
; %bb.119:
	v_mov_b32_e32 v8, 0
	v_and_b32_e32 v12, 1, v12
	v_cmp_eq_u16_sdwa s3, v2, v8 src0_sel:BYTE_0 src1_sel:DWORD
	v_and_b32_e32 v2, 1, v2
	v_cndmask_b32_e64 v8, 1, v15, s3
	v_cmp_eq_u32_e64 s3, 1, v2
	v_mul_lo_u32 v1, v8, v1
	v_cndmask_b32_e64 v2, v12, 1, s3
.LBB172_120:
	s_or_b32 exec_lo, exec_lo, s7
	ds_write_b32 v19, v1
	ds_write_b8 v19, v2 offset:4
.LBB172_121:
	s_or_b32 exec_lo, exec_lo, s6
	v_mov_b32_e32 v1, 0
	s_mov_b32 s6, exec_lo
	s_waitcnt lgkmcnt(0)
	s_barrier
	buffer_gl0_inv
	v_cmpx_lt_u32_e32 31, v0
	s_cbranch_execz .LBB172_123
; %bb.122:
	v_lshl_add_u32 v1, v7, 3, -8
	v_cmp_eq_u32_e64 s3, 0, v4
	ds_read_b32 v1, v1
	s_waitcnt lgkmcnt(0)
	v_cndmask_b32_e64 v2, 1, v1, s3
	v_mul_lo_u32 v3, v2, v3
.LBB172_123:
	s_or_b32 exec_lo, exec_lo, s6
	v_add_nc_u32_e32 v2, -1, v20
	s_mov_b32 s6, 0
	v_cmp_gt_i32_e64 s3, 0, v2
	v_cndmask_b32_e64 v2, v2, v20, s3
	v_lshlrev_b32_e32 v2, 2, v2
	ds_bpermute_b32 v2, v2, v3
	s_and_saveexec_b32 s3, s0
	s_cbranch_execz .LBB172_125
; %bb.124:
	v_cmp_eq_u32_e64 s0, 0, v20
	s_mov_b32 s7, 1
	;;#ASMSTART
	;;#ASMEND
	s_waitcnt lgkmcnt(0)
	v_cndmask_b32_e64 v1, v2, v1, s0
	v_cmp_gt_u64_e64 s0, s[6:7], v[9:10]
	v_cndmask_b32_e64 v1, 1, v1, s0
	v_mul_lo_u32 v9, v1, v9
	v_cndmask_b32_e64 v1, 1, v9, s1
	v_mul_lo_u32 v5, v1, v11
	;; [unrolled: 2-line block ×3, first 2 shown]
.LBB172_125:
	s_or_b32 exec_lo, exec_lo, s3
	s_and_saveexec_b32 s0, vcc_lo
	s_cbranch_execz .LBB172_127
; %bb.126:
	v_mov_b32_e32 v4, 0
	s_add_u32 s2, s24, 0x200
	s_addc_u32 s3, s25, 0
	v_mov_b32_e32 v3, 2
	v_mov_b32_e32 v8, s3
	ds_read_b32 v1, v4 offset:56
	s_waitcnt lgkmcnt(1)
	ds_read_u8 v2, v4 offset:60
	v_mov_b32_e32 v7, s2
	s_waitcnt lgkmcnt(0)
	;;#ASMSTART
	global_store_dwordx4 v[7:8], v[1:4] off	
s_waitcnt vmcnt(0)
	;;#ASMEND
.LBB172_127:
	s_or_b32 exec_lo, exec_lo, s0
	v_mov_b32_e32 v7, v9
.LBB172_128:
	s_add_u32 s0, s14, s4
	v_mov_b32_e32 v3, 0
	s_addc_u32 s1, s15, s5
	s_add_u32 s0, s0, s8
	s_addc_u32 s1, s1, s9
	s_and_b32 vcc_lo, exec_lo, s20
	s_cbranch_vccz .LBB172_140
; %bb.129:
	v_mul_u32_u24_e32 v1, 3, v0
	v_mov_b32_e32 v4, 0
	s_waitcnt lgkmcnt(0)
	v_mov_b32_e32 v2, 0
	s_add_i32 s21, s21, s26
	s_mov_b32 s2, exec_lo
	v_cmpx_gt_u32_e64 s21, v1
	s_cbranch_execz .LBB172_135
; %bb.130:
	v_add_nc_u32_e32 v3, 1, v1
	v_mov_b32_e32 v2, 0
	v_mov_b32_e32 v4, 0
	s_mov_b32 s3, exec_lo
	v_cmpx_gt_u32_e64 s21, v3
	s_cbranch_execz .LBB172_134
; %bb.131:
	v_add_nc_u32_e32 v2, 2, v1
	v_cmp_gt_u32_e32 vcc_lo, s21, v2
	v_mov_b32_e32 v2, 0
	s_and_saveexec_b32 s4, vcc_lo
; %bb.132:
	v_mov_b32_e32 v2, v6
; %bb.133:
	s_or_b32 exec_lo, exec_lo, s4
	v_mov_b32_e32 v4, v5
.LBB172_134:
	s_or_b32 exec_lo, exec_lo, s3
	v_mov_b32_e32 v3, v7
.LBB172_135:
	s_or_b32 exec_lo, exec_lo, s2
	v_lshlrev_b32_e32 v8, 2, v1
	s_barrier
	buffer_gl0_inv
	v_sub_nc_u32_e32 v1, v8, v19
	ds_write2_b32 v8, v3, v4 offset1:1
	ds_write_b32 v8, v2 offset:8
	s_waitcnt lgkmcnt(0)
	s_barrier
	buffer_gl0_inv
	ds_read2st64_b32 v[1:2], v1 offset0:4 offset1:8
	v_add_co_u32 v3, s2, s0, v18
	v_add_co_ci_u32_e64 v4, null, s1, 0, s2
	s_mov_b32 s2, exec_lo
	v_cmpx_gt_u32_e64 s21, v0
	s_cbranch_execz .LBB172_137
; %bb.136:
	v_sub_nc_u32_e32 v9, 0, v19
	v_add_nc_u32_e32 v8, v8, v9
	ds_read_b32 v8, v8
	s_waitcnt lgkmcnt(0)
	flat_store_dword v[3:4], v8
.LBB172_137:
	s_or_b32 exec_lo, exec_lo, s2
	v_or_b32_e32 v8, 0x100, v0
	s_mov_b32 s2, exec_lo
	v_cmpx_gt_u32_e64 s21, v8
	s_cbranch_execz .LBB172_139
; %bb.138:
	s_waitcnt lgkmcnt(0)
	flat_store_dword v[3:4], v1 offset:1024
.LBB172_139:
	s_or_b32 exec_lo, exec_lo, s2
	s_waitcnt lgkmcnt(0)
	v_or_b32_e32 v1, 0x200, v0
	v_cmp_gt_u32_e64 s2, s21, v1
	s_branch .LBB172_142
.LBB172_140:
	s_mov_b32 s2, 0
                                        ; implicit-def: $vgpr2
	s_cbranch_execz .LBB172_142
; %bb.141:
	v_mul_u32_u24_e32 v1, 12, v0
	s_waitcnt lgkmcnt(0)
	s_waitcnt_vscnt null, 0x0
	s_barrier
	buffer_gl0_inv
	s_or_b32 s2, s2, exec_lo
	v_sub_nc_u32_e32 v2, v1, v19
	ds_write2_b32 v1, v7, v5 offset1:1
	ds_write_b32 v1, v6 offset:8
	s_waitcnt lgkmcnt(0)
	s_barrier
	buffer_gl0_inv
	ds_read2st64_b32 v[3:4], v2 offset1:4
	ds_read_b32 v2, v2 offset:2048
	v_add_co_u32 v5, s3, s0, v18
	v_add_co_ci_u32_e64 v6, null, s1, 0, s3
	s_waitcnt lgkmcnt(1)
	flat_store_dword v[5:6], v3
	flat_store_dword v[5:6], v4 offset:1024
.LBB172_142:
	s_and_saveexec_b32 s3, s2
	s_cbranch_execnz .LBB172_144
; %bb.143:
	s_endpgm
.LBB172_144:
	v_lshlrev_b32_e32 v0, 2, v0
	v_add_co_u32 v0, s0, s0, v0
	v_add_co_ci_u32_e64 v1, null, s1, 0, s0
	v_add_co_u32 v0, vcc_lo, 0x800, v0
	v_add_co_ci_u32_e64 v1, null, 0, v1, vcc_lo
	s_waitcnt lgkmcnt(0)
	flat_store_dword v[0:1], v2
	s_endpgm
.LBB172_145:
	v_add_co_u32 v2, s0, s3, v9
	v_add_co_ci_u32_e64 v3, null, s7, 0, s0
	v_mov_b32_e32 v11, v1
	v_mov_b32_e32 v12, v1
	flat_load_dword v10, v[2:3]
	s_waitcnt vmcnt(0) lgkmcnt(0)
	v_mov_b32_e32 v1, v10
	v_mov_b32_e32 v2, v11
	;; [unrolled: 1-line block ×3, first 2 shown]
	s_or_b32 exec_lo, exec_lo, s16
	s_and_saveexec_b32 s0, s1
	s_cbranch_execz .LBB172_15
.LBB172_146:
	v_add_co_u32 v10, s1, s3, v9
	v_add_co_ci_u32_e64 v11, null, s7, 0, s1
	flat_load_dword v2, v[10:11] offset:1024
	s_or_b32 exec_lo, exec_lo, s0
	s_and_saveexec_b32 s0, s2
	s_cbranch_execnz .LBB172_16
	s_branch .LBB172_17
.LBB172_147:
                                        ; implicit-def: $sgpr16_sgpr17
	s_branch .LBB172_10
.LBB172_148:
                                        ; implicit-def: $sgpr0_sgpr1
	s_branch .LBB172_26
	.section	.rodata,"a",@progbits
	.p2align	6, 0x0
	.amdhsa_kernel _ZN7rocprim17ROCPRIM_400000_NS6detail17trampoline_kernelINS0_14default_configENS1_27scan_by_key_config_selectorIiiEEZZNS1_16scan_by_key_implILNS1_25lookback_scan_determinismE0ELb0ES3_N6thrust23THRUST_200600_302600_NS6detail15normal_iteratorINS9_10device_ptrIiEEEESE_SE_iNS9_10multipliesIiEENS9_8equal_toIiEEiEE10hipError_tPvRmT2_T3_T4_T5_mT6_T7_P12ihipStream_tbENKUlT_T0_E_clISt17integral_constantIbLb0EESZ_EEDaSU_SV_EUlSU_E_NS1_11comp_targetILNS1_3genE8ELNS1_11target_archE1030ELNS1_3gpuE2ELNS1_3repE0EEENS1_30default_config_static_selectorELNS0_4arch9wavefront6targetE0EEEvT1_
		.amdhsa_group_segment_fixed_size 5120
		.amdhsa_private_segment_fixed_size 0
		.amdhsa_kernarg_size 112
		.amdhsa_user_sgpr_count 6
		.amdhsa_user_sgpr_private_segment_buffer 1
		.amdhsa_user_sgpr_dispatch_ptr 0
		.amdhsa_user_sgpr_queue_ptr 0
		.amdhsa_user_sgpr_kernarg_segment_ptr 1
		.amdhsa_user_sgpr_dispatch_id 0
		.amdhsa_user_sgpr_flat_scratch_init 0
		.amdhsa_user_sgpr_private_segment_size 0
		.amdhsa_wavefront_size32 1
		.amdhsa_uses_dynamic_stack 0
		.amdhsa_system_sgpr_private_segment_wavefront_offset 0
		.amdhsa_system_sgpr_workgroup_id_x 1
		.amdhsa_system_sgpr_workgroup_id_y 0
		.amdhsa_system_sgpr_workgroup_id_z 0
		.amdhsa_system_sgpr_workgroup_info 0
		.amdhsa_system_vgpr_workitem_id 0
		.amdhsa_next_free_vgpr 39
		.amdhsa_next_free_sgpr 31
		.amdhsa_reserve_vcc 1
		.amdhsa_reserve_flat_scratch 1
		.amdhsa_float_round_mode_32 0
		.amdhsa_float_round_mode_16_64 0
		.amdhsa_float_denorm_mode_32 3
		.amdhsa_float_denorm_mode_16_64 3
		.amdhsa_dx10_clamp 1
		.amdhsa_ieee_mode 1
		.amdhsa_fp16_overflow 0
		.amdhsa_workgroup_processor_mode 1
		.amdhsa_memory_ordered 1
		.amdhsa_forward_progress 1
		.amdhsa_shared_vgpr_count 0
		.amdhsa_exception_fp_ieee_invalid_op 0
		.amdhsa_exception_fp_denorm_src 0
		.amdhsa_exception_fp_ieee_div_zero 0
		.amdhsa_exception_fp_ieee_overflow 0
		.amdhsa_exception_fp_ieee_underflow 0
		.amdhsa_exception_fp_ieee_inexact 0
		.amdhsa_exception_int_div_zero 0
	.end_amdhsa_kernel
	.section	.text._ZN7rocprim17ROCPRIM_400000_NS6detail17trampoline_kernelINS0_14default_configENS1_27scan_by_key_config_selectorIiiEEZZNS1_16scan_by_key_implILNS1_25lookback_scan_determinismE0ELb0ES3_N6thrust23THRUST_200600_302600_NS6detail15normal_iteratorINS9_10device_ptrIiEEEESE_SE_iNS9_10multipliesIiEENS9_8equal_toIiEEiEE10hipError_tPvRmT2_T3_T4_T5_mT6_T7_P12ihipStream_tbENKUlT_T0_E_clISt17integral_constantIbLb0EESZ_EEDaSU_SV_EUlSU_E_NS1_11comp_targetILNS1_3genE8ELNS1_11target_archE1030ELNS1_3gpuE2ELNS1_3repE0EEENS1_30default_config_static_selectorELNS0_4arch9wavefront6targetE0EEEvT1_,"axG",@progbits,_ZN7rocprim17ROCPRIM_400000_NS6detail17trampoline_kernelINS0_14default_configENS1_27scan_by_key_config_selectorIiiEEZZNS1_16scan_by_key_implILNS1_25lookback_scan_determinismE0ELb0ES3_N6thrust23THRUST_200600_302600_NS6detail15normal_iteratorINS9_10device_ptrIiEEEESE_SE_iNS9_10multipliesIiEENS9_8equal_toIiEEiEE10hipError_tPvRmT2_T3_T4_T5_mT6_T7_P12ihipStream_tbENKUlT_T0_E_clISt17integral_constantIbLb0EESZ_EEDaSU_SV_EUlSU_E_NS1_11comp_targetILNS1_3genE8ELNS1_11target_archE1030ELNS1_3gpuE2ELNS1_3repE0EEENS1_30default_config_static_selectorELNS0_4arch9wavefront6targetE0EEEvT1_,comdat
.Lfunc_end172:
	.size	_ZN7rocprim17ROCPRIM_400000_NS6detail17trampoline_kernelINS0_14default_configENS1_27scan_by_key_config_selectorIiiEEZZNS1_16scan_by_key_implILNS1_25lookback_scan_determinismE0ELb0ES3_N6thrust23THRUST_200600_302600_NS6detail15normal_iteratorINS9_10device_ptrIiEEEESE_SE_iNS9_10multipliesIiEENS9_8equal_toIiEEiEE10hipError_tPvRmT2_T3_T4_T5_mT6_T7_P12ihipStream_tbENKUlT_T0_E_clISt17integral_constantIbLb0EESZ_EEDaSU_SV_EUlSU_E_NS1_11comp_targetILNS1_3genE8ELNS1_11target_archE1030ELNS1_3gpuE2ELNS1_3repE0EEENS1_30default_config_static_selectorELNS0_4arch9wavefront6targetE0EEEvT1_, .Lfunc_end172-_ZN7rocprim17ROCPRIM_400000_NS6detail17trampoline_kernelINS0_14default_configENS1_27scan_by_key_config_selectorIiiEEZZNS1_16scan_by_key_implILNS1_25lookback_scan_determinismE0ELb0ES3_N6thrust23THRUST_200600_302600_NS6detail15normal_iteratorINS9_10device_ptrIiEEEESE_SE_iNS9_10multipliesIiEENS9_8equal_toIiEEiEE10hipError_tPvRmT2_T3_T4_T5_mT6_T7_P12ihipStream_tbENKUlT_T0_E_clISt17integral_constantIbLb0EESZ_EEDaSU_SV_EUlSU_E_NS1_11comp_targetILNS1_3genE8ELNS1_11target_archE1030ELNS1_3gpuE2ELNS1_3repE0EEENS1_30default_config_static_selectorELNS0_4arch9wavefront6targetE0EEEvT1_
                                        ; -- End function
	.set _ZN7rocprim17ROCPRIM_400000_NS6detail17trampoline_kernelINS0_14default_configENS1_27scan_by_key_config_selectorIiiEEZZNS1_16scan_by_key_implILNS1_25lookback_scan_determinismE0ELb0ES3_N6thrust23THRUST_200600_302600_NS6detail15normal_iteratorINS9_10device_ptrIiEEEESE_SE_iNS9_10multipliesIiEENS9_8equal_toIiEEiEE10hipError_tPvRmT2_T3_T4_T5_mT6_T7_P12ihipStream_tbENKUlT_T0_E_clISt17integral_constantIbLb0EESZ_EEDaSU_SV_EUlSU_E_NS1_11comp_targetILNS1_3genE8ELNS1_11target_archE1030ELNS1_3gpuE2ELNS1_3repE0EEENS1_30default_config_static_selectorELNS0_4arch9wavefront6targetE0EEEvT1_.num_vgpr, 39
	.set _ZN7rocprim17ROCPRIM_400000_NS6detail17trampoline_kernelINS0_14default_configENS1_27scan_by_key_config_selectorIiiEEZZNS1_16scan_by_key_implILNS1_25lookback_scan_determinismE0ELb0ES3_N6thrust23THRUST_200600_302600_NS6detail15normal_iteratorINS9_10device_ptrIiEEEESE_SE_iNS9_10multipliesIiEENS9_8equal_toIiEEiEE10hipError_tPvRmT2_T3_T4_T5_mT6_T7_P12ihipStream_tbENKUlT_T0_E_clISt17integral_constantIbLb0EESZ_EEDaSU_SV_EUlSU_E_NS1_11comp_targetILNS1_3genE8ELNS1_11target_archE1030ELNS1_3gpuE2ELNS1_3repE0EEENS1_30default_config_static_selectorELNS0_4arch9wavefront6targetE0EEEvT1_.num_agpr, 0
	.set _ZN7rocprim17ROCPRIM_400000_NS6detail17trampoline_kernelINS0_14default_configENS1_27scan_by_key_config_selectorIiiEEZZNS1_16scan_by_key_implILNS1_25lookback_scan_determinismE0ELb0ES3_N6thrust23THRUST_200600_302600_NS6detail15normal_iteratorINS9_10device_ptrIiEEEESE_SE_iNS9_10multipliesIiEENS9_8equal_toIiEEiEE10hipError_tPvRmT2_T3_T4_T5_mT6_T7_P12ihipStream_tbENKUlT_T0_E_clISt17integral_constantIbLb0EESZ_EEDaSU_SV_EUlSU_E_NS1_11comp_targetILNS1_3genE8ELNS1_11target_archE1030ELNS1_3gpuE2ELNS1_3repE0EEENS1_30default_config_static_selectorELNS0_4arch9wavefront6targetE0EEEvT1_.numbered_sgpr, 31
	.set _ZN7rocprim17ROCPRIM_400000_NS6detail17trampoline_kernelINS0_14default_configENS1_27scan_by_key_config_selectorIiiEEZZNS1_16scan_by_key_implILNS1_25lookback_scan_determinismE0ELb0ES3_N6thrust23THRUST_200600_302600_NS6detail15normal_iteratorINS9_10device_ptrIiEEEESE_SE_iNS9_10multipliesIiEENS9_8equal_toIiEEiEE10hipError_tPvRmT2_T3_T4_T5_mT6_T7_P12ihipStream_tbENKUlT_T0_E_clISt17integral_constantIbLb0EESZ_EEDaSU_SV_EUlSU_E_NS1_11comp_targetILNS1_3genE8ELNS1_11target_archE1030ELNS1_3gpuE2ELNS1_3repE0EEENS1_30default_config_static_selectorELNS0_4arch9wavefront6targetE0EEEvT1_.num_named_barrier, 0
	.set _ZN7rocprim17ROCPRIM_400000_NS6detail17trampoline_kernelINS0_14default_configENS1_27scan_by_key_config_selectorIiiEEZZNS1_16scan_by_key_implILNS1_25lookback_scan_determinismE0ELb0ES3_N6thrust23THRUST_200600_302600_NS6detail15normal_iteratorINS9_10device_ptrIiEEEESE_SE_iNS9_10multipliesIiEENS9_8equal_toIiEEiEE10hipError_tPvRmT2_T3_T4_T5_mT6_T7_P12ihipStream_tbENKUlT_T0_E_clISt17integral_constantIbLb0EESZ_EEDaSU_SV_EUlSU_E_NS1_11comp_targetILNS1_3genE8ELNS1_11target_archE1030ELNS1_3gpuE2ELNS1_3repE0EEENS1_30default_config_static_selectorELNS0_4arch9wavefront6targetE0EEEvT1_.private_seg_size, 0
	.set _ZN7rocprim17ROCPRIM_400000_NS6detail17trampoline_kernelINS0_14default_configENS1_27scan_by_key_config_selectorIiiEEZZNS1_16scan_by_key_implILNS1_25lookback_scan_determinismE0ELb0ES3_N6thrust23THRUST_200600_302600_NS6detail15normal_iteratorINS9_10device_ptrIiEEEESE_SE_iNS9_10multipliesIiEENS9_8equal_toIiEEiEE10hipError_tPvRmT2_T3_T4_T5_mT6_T7_P12ihipStream_tbENKUlT_T0_E_clISt17integral_constantIbLb0EESZ_EEDaSU_SV_EUlSU_E_NS1_11comp_targetILNS1_3genE8ELNS1_11target_archE1030ELNS1_3gpuE2ELNS1_3repE0EEENS1_30default_config_static_selectorELNS0_4arch9wavefront6targetE0EEEvT1_.uses_vcc, 1
	.set _ZN7rocprim17ROCPRIM_400000_NS6detail17trampoline_kernelINS0_14default_configENS1_27scan_by_key_config_selectorIiiEEZZNS1_16scan_by_key_implILNS1_25lookback_scan_determinismE0ELb0ES3_N6thrust23THRUST_200600_302600_NS6detail15normal_iteratorINS9_10device_ptrIiEEEESE_SE_iNS9_10multipliesIiEENS9_8equal_toIiEEiEE10hipError_tPvRmT2_T3_T4_T5_mT6_T7_P12ihipStream_tbENKUlT_T0_E_clISt17integral_constantIbLb0EESZ_EEDaSU_SV_EUlSU_E_NS1_11comp_targetILNS1_3genE8ELNS1_11target_archE1030ELNS1_3gpuE2ELNS1_3repE0EEENS1_30default_config_static_selectorELNS0_4arch9wavefront6targetE0EEEvT1_.uses_flat_scratch, 1
	.set _ZN7rocprim17ROCPRIM_400000_NS6detail17trampoline_kernelINS0_14default_configENS1_27scan_by_key_config_selectorIiiEEZZNS1_16scan_by_key_implILNS1_25lookback_scan_determinismE0ELb0ES3_N6thrust23THRUST_200600_302600_NS6detail15normal_iteratorINS9_10device_ptrIiEEEESE_SE_iNS9_10multipliesIiEENS9_8equal_toIiEEiEE10hipError_tPvRmT2_T3_T4_T5_mT6_T7_P12ihipStream_tbENKUlT_T0_E_clISt17integral_constantIbLb0EESZ_EEDaSU_SV_EUlSU_E_NS1_11comp_targetILNS1_3genE8ELNS1_11target_archE1030ELNS1_3gpuE2ELNS1_3repE0EEENS1_30default_config_static_selectorELNS0_4arch9wavefront6targetE0EEEvT1_.has_dyn_sized_stack, 0
	.set _ZN7rocprim17ROCPRIM_400000_NS6detail17trampoline_kernelINS0_14default_configENS1_27scan_by_key_config_selectorIiiEEZZNS1_16scan_by_key_implILNS1_25lookback_scan_determinismE0ELb0ES3_N6thrust23THRUST_200600_302600_NS6detail15normal_iteratorINS9_10device_ptrIiEEEESE_SE_iNS9_10multipliesIiEENS9_8equal_toIiEEiEE10hipError_tPvRmT2_T3_T4_T5_mT6_T7_P12ihipStream_tbENKUlT_T0_E_clISt17integral_constantIbLb0EESZ_EEDaSU_SV_EUlSU_E_NS1_11comp_targetILNS1_3genE8ELNS1_11target_archE1030ELNS1_3gpuE2ELNS1_3repE0EEENS1_30default_config_static_selectorELNS0_4arch9wavefront6targetE0EEEvT1_.has_recursion, 0
	.set _ZN7rocprim17ROCPRIM_400000_NS6detail17trampoline_kernelINS0_14default_configENS1_27scan_by_key_config_selectorIiiEEZZNS1_16scan_by_key_implILNS1_25lookback_scan_determinismE0ELb0ES3_N6thrust23THRUST_200600_302600_NS6detail15normal_iteratorINS9_10device_ptrIiEEEESE_SE_iNS9_10multipliesIiEENS9_8equal_toIiEEiEE10hipError_tPvRmT2_T3_T4_T5_mT6_T7_P12ihipStream_tbENKUlT_T0_E_clISt17integral_constantIbLb0EESZ_EEDaSU_SV_EUlSU_E_NS1_11comp_targetILNS1_3genE8ELNS1_11target_archE1030ELNS1_3gpuE2ELNS1_3repE0EEENS1_30default_config_static_selectorELNS0_4arch9wavefront6targetE0EEEvT1_.has_indirect_call, 0
	.section	.AMDGPU.csdata,"",@progbits
; Kernel info:
; codeLenInByte = 6408
; TotalNumSgprs: 33
; NumVgprs: 39
; ScratchSize: 0
; MemoryBound: 0
; FloatMode: 240
; IeeeMode: 1
; LDSByteSize: 5120 bytes/workgroup (compile time only)
; SGPRBlocks: 0
; VGPRBlocks: 4
; NumSGPRsForWavesPerEU: 33
; NumVGPRsForWavesPerEU: 39
; Occupancy: 16
; WaveLimiterHint : 1
; COMPUTE_PGM_RSRC2:SCRATCH_EN: 0
; COMPUTE_PGM_RSRC2:USER_SGPR: 6
; COMPUTE_PGM_RSRC2:TRAP_HANDLER: 0
; COMPUTE_PGM_RSRC2:TGID_X_EN: 1
; COMPUTE_PGM_RSRC2:TGID_Y_EN: 0
; COMPUTE_PGM_RSRC2:TGID_Z_EN: 0
; COMPUTE_PGM_RSRC2:TIDIG_COMP_CNT: 0
	.section	.text._ZN7rocprim17ROCPRIM_400000_NS6detail17trampoline_kernelINS0_14default_configENS1_27scan_by_key_config_selectorIiiEEZZNS1_16scan_by_key_implILNS1_25lookback_scan_determinismE0ELb0ES3_N6thrust23THRUST_200600_302600_NS6detail15normal_iteratorINS9_10device_ptrIiEEEESE_SE_iNS9_10multipliesIiEENS9_8equal_toIiEEiEE10hipError_tPvRmT2_T3_T4_T5_mT6_T7_P12ihipStream_tbENKUlT_T0_E_clISt17integral_constantIbLb1EESZ_EEDaSU_SV_EUlSU_E_NS1_11comp_targetILNS1_3genE0ELNS1_11target_archE4294967295ELNS1_3gpuE0ELNS1_3repE0EEENS1_30default_config_static_selectorELNS0_4arch9wavefront6targetE0EEEvT1_,"axG",@progbits,_ZN7rocprim17ROCPRIM_400000_NS6detail17trampoline_kernelINS0_14default_configENS1_27scan_by_key_config_selectorIiiEEZZNS1_16scan_by_key_implILNS1_25lookback_scan_determinismE0ELb0ES3_N6thrust23THRUST_200600_302600_NS6detail15normal_iteratorINS9_10device_ptrIiEEEESE_SE_iNS9_10multipliesIiEENS9_8equal_toIiEEiEE10hipError_tPvRmT2_T3_T4_T5_mT6_T7_P12ihipStream_tbENKUlT_T0_E_clISt17integral_constantIbLb1EESZ_EEDaSU_SV_EUlSU_E_NS1_11comp_targetILNS1_3genE0ELNS1_11target_archE4294967295ELNS1_3gpuE0ELNS1_3repE0EEENS1_30default_config_static_selectorELNS0_4arch9wavefront6targetE0EEEvT1_,comdat
	.protected	_ZN7rocprim17ROCPRIM_400000_NS6detail17trampoline_kernelINS0_14default_configENS1_27scan_by_key_config_selectorIiiEEZZNS1_16scan_by_key_implILNS1_25lookback_scan_determinismE0ELb0ES3_N6thrust23THRUST_200600_302600_NS6detail15normal_iteratorINS9_10device_ptrIiEEEESE_SE_iNS9_10multipliesIiEENS9_8equal_toIiEEiEE10hipError_tPvRmT2_T3_T4_T5_mT6_T7_P12ihipStream_tbENKUlT_T0_E_clISt17integral_constantIbLb1EESZ_EEDaSU_SV_EUlSU_E_NS1_11comp_targetILNS1_3genE0ELNS1_11target_archE4294967295ELNS1_3gpuE0ELNS1_3repE0EEENS1_30default_config_static_selectorELNS0_4arch9wavefront6targetE0EEEvT1_ ; -- Begin function _ZN7rocprim17ROCPRIM_400000_NS6detail17trampoline_kernelINS0_14default_configENS1_27scan_by_key_config_selectorIiiEEZZNS1_16scan_by_key_implILNS1_25lookback_scan_determinismE0ELb0ES3_N6thrust23THRUST_200600_302600_NS6detail15normal_iteratorINS9_10device_ptrIiEEEESE_SE_iNS9_10multipliesIiEENS9_8equal_toIiEEiEE10hipError_tPvRmT2_T3_T4_T5_mT6_T7_P12ihipStream_tbENKUlT_T0_E_clISt17integral_constantIbLb1EESZ_EEDaSU_SV_EUlSU_E_NS1_11comp_targetILNS1_3genE0ELNS1_11target_archE4294967295ELNS1_3gpuE0ELNS1_3repE0EEENS1_30default_config_static_selectorELNS0_4arch9wavefront6targetE0EEEvT1_
	.globl	_ZN7rocprim17ROCPRIM_400000_NS6detail17trampoline_kernelINS0_14default_configENS1_27scan_by_key_config_selectorIiiEEZZNS1_16scan_by_key_implILNS1_25lookback_scan_determinismE0ELb0ES3_N6thrust23THRUST_200600_302600_NS6detail15normal_iteratorINS9_10device_ptrIiEEEESE_SE_iNS9_10multipliesIiEENS9_8equal_toIiEEiEE10hipError_tPvRmT2_T3_T4_T5_mT6_T7_P12ihipStream_tbENKUlT_T0_E_clISt17integral_constantIbLb1EESZ_EEDaSU_SV_EUlSU_E_NS1_11comp_targetILNS1_3genE0ELNS1_11target_archE4294967295ELNS1_3gpuE0ELNS1_3repE0EEENS1_30default_config_static_selectorELNS0_4arch9wavefront6targetE0EEEvT1_
	.p2align	8
	.type	_ZN7rocprim17ROCPRIM_400000_NS6detail17trampoline_kernelINS0_14default_configENS1_27scan_by_key_config_selectorIiiEEZZNS1_16scan_by_key_implILNS1_25lookback_scan_determinismE0ELb0ES3_N6thrust23THRUST_200600_302600_NS6detail15normal_iteratorINS9_10device_ptrIiEEEESE_SE_iNS9_10multipliesIiEENS9_8equal_toIiEEiEE10hipError_tPvRmT2_T3_T4_T5_mT6_T7_P12ihipStream_tbENKUlT_T0_E_clISt17integral_constantIbLb1EESZ_EEDaSU_SV_EUlSU_E_NS1_11comp_targetILNS1_3genE0ELNS1_11target_archE4294967295ELNS1_3gpuE0ELNS1_3repE0EEENS1_30default_config_static_selectorELNS0_4arch9wavefront6targetE0EEEvT1_,@function
_ZN7rocprim17ROCPRIM_400000_NS6detail17trampoline_kernelINS0_14default_configENS1_27scan_by_key_config_selectorIiiEEZZNS1_16scan_by_key_implILNS1_25lookback_scan_determinismE0ELb0ES3_N6thrust23THRUST_200600_302600_NS6detail15normal_iteratorINS9_10device_ptrIiEEEESE_SE_iNS9_10multipliesIiEENS9_8equal_toIiEEiEE10hipError_tPvRmT2_T3_T4_T5_mT6_T7_P12ihipStream_tbENKUlT_T0_E_clISt17integral_constantIbLb1EESZ_EEDaSU_SV_EUlSU_E_NS1_11comp_targetILNS1_3genE0ELNS1_11target_archE4294967295ELNS1_3gpuE0ELNS1_3repE0EEENS1_30default_config_static_selectorELNS0_4arch9wavefront6targetE0EEEvT1_: ; @_ZN7rocprim17ROCPRIM_400000_NS6detail17trampoline_kernelINS0_14default_configENS1_27scan_by_key_config_selectorIiiEEZZNS1_16scan_by_key_implILNS1_25lookback_scan_determinismE0ELb0ES3_N6thrust23THRUST_200600_302600_NS6detail15normal_iteratorINS9_10device_ptrIiEEEESE_SE_iNS9_10multipliesIiEENS9_8equal_toIiEEiEE10hipError_tPvRmT2_T3_T4_T5_mT6_T7_P12ihipStream_tbENKUlT_T0_E_clISt17integral_constantIbLb1EESZ_EEDaSU_SV_EUlSU_E_NS1_11comp_targetILNS1_3genE0ELNS1_11target_archE4294967295ELNS1_3gpuE0ELNS1_3repE0EEENS1_30default_config_static_selectorELNS0_4arch9wavefront6targetE0EEEvT1_
; %bb.0:
	.section	.rodata,"a",@progbits
	.p2align	6, 0x0
	.amdhsa_kernel _ZN7rocprim17ROCPRIM_400000_NS6detail17trampoline_kernelINS0_14default_configENS1_27scan_by_key_config_selectorIiiEEZZNS1_16scan_by_key_implILNS1_25lookback_scan_determinismE0ELb0ES3_N6thrust23THRUST_200600_302600_NS6detail15normal_iteratorINS9_10device_ptrIiEEEESE_SE_iNS9_10multipliesIiEENS9_8equal_toIiEEiEE10hipError_tPvRmT2_T3_T4_T5_mT6_T7_P12ihipStream_tbENKUlT_T0_E_clISt17integral_constantIbLb1EESZ_EEDaSU_SV_EUlSU_E_NS1_11comp_targetILNS1_3genE0ELNS1_11target_archE4294967295ELNS1_3gpuE0ELNS1_3repE0EEENS1_30default_config_static_selectorELNS0_4arch9wavefront6targetE0EEEvT1_
		.amdhsa_group_segment_fixed_size 0
		.amdhsa_private_segment_fixed_size 0
		.amdhsa_kernarg_size 112
		.amdhsa_user_sgpr_count 6
		.amdhsa_user_sgpr_private_segment_buffer 1
		.amdhsa_user_sgpr_dispatch_ptr 0
		.amdhsa_user_sgpr_queue_ptr 0
		.amdhsa_user_sgpr_kernarg_segment_ptr 1
		.amdhsa_user_sgpr_dispatch_id 0
		.amdhsa_user_sgpr_flat_scratch_init 0
		.amdhsa_user_sgpr_private_segment_size 0
		.amdhsa_wavefront_size32 1
		.amdhsa_uses_dynamic_stack 0
		.amdhsa_system_sgpr_private_segment_wavefront_offset 0
		.amdhsa_system_sgpr_workgroup_id_x 1
		.amdhsa_system_sgpr_workgroup_id_y 0
		.amdhsa_system_sgpr_workgroup_id_z 0
		.amdhsa_system_sgpr_workgroup_info 0
		.amdhsa_system_vgpr_workitem_id 0
		.amdhsa_next_free_vgpr 1
		.amdhsa_next_free_sgpr 1
		.amdhsa_reserve_vcc 0
		.amdhsa_reserve_flat_scratch 0
		.amdhsa_float_round_mode_32 0
		.amdhsa_float_round_mode_16_64 0
		.amdhsa_float_denorm_mode_32 3
		.amdhsa_float_denorm_mode_16_64 3
		.amdhsa_dx10_clamp 1
		.amdhsa_ieee_mode 1
		.amdhsa_fp16_overflow 0
		.amdhsa_workgroup_processor_mode 1
		.amdhsa_memory_ordered 1
		.amdhsa_forward_progress 1
		.amdhsa_shared_vgpr_count 0
		.amdhsa_exception_fp_ieee_invalid_op 0
		.amdhsa_exception_fp_denorm_src 0
		.amdhsa_exception_fp_ieee_div_zero 0
		.amdhsa_exception_fp_ieee_overflow 0
		.amdhsa_exception_fp_ieee_underflow 0
		.amdhsa_exception_fp_ieee_inexact 0
		.amdhsa_exception_int_div_zero 0
	.end_amdhsa_kernel
	.section	.text._ZN7rocprim17ROCPRIM_400000_NS6detail17trampoline_kernelINS0_14default_configENS1_27scan_by_key_config_selectorIiiEEZZNS1_16scan_by_key_implILNS1_25lookback_scan_determinismE0ELb0ES3_N6thrust23THRUST_200600_302600_NS6detail15normal_iteratorINS9_10device_ptrIiEEEESE_SE_iNS9_10multipliesIiEENS9_8equal_toIiEEiEE10hipError_tPvRmT2_T3_T4_T5_mT6_T7_P12ihipStream_tbENKUlT_T0_E_clISt17integral_constantIbLb1EESZ_EEDaSU_SV_EUlSU_E_NS1_11comp_targetILNS1_3genE0ELNS1_11target_archE4294967295ELNS1_3gpuE0ELNS1_3repE0EEENS1_30default_config_static_selectorELNS0_4arch9wavefront6targetE0EEEvT1_,"axG",@progbits,_ZN7rocprim17ROCPRIM_400000_NS6detail17trampoline_kernelINS0_14default_configENS1_27scan_by_key_config_selectorIiiEEZZNS1_16scan_by_key_implILNS1_25lookback_scan_determinismE0ELb0ES3_N6thrust23THRUST_200600_302600_NS6detail15normal_iteratorINS9_10device_ptrIiEEEESE_SE_iNS9_10multipliesIiEENS9_8equal_toIiEEiEE10hipError_tPvRmT2_T3_T4_T5_mT6_T7_P12ihipStream_tbENKUlT_T0_E_clISt17integral_constantIbLb1EESZ_EEDaSU_SV_EUlSU_E_NS1_11comp_targetILNS1_3genE0ELNS1_11target_archE4294967295ELNS1_3gpuE0ELNS1_3repE0EEENS1_30default_config_static_selectorELNS0_4arch9wavefront6targetE0EEEvT1_,comdat
.Lfunc_end173:
	.size	_ZN7rocprim17ROCPRIM_400000_NS6detail17trampoline_kernelINS0_14default_configENS1_27scan_by_key_config_selectorIiiEEZZNS1_16scan_by_key_implILNS1_25lookback_scan_determinismE0ELb0ES3_N6thrust23THRUST_200600_302600_NS6detail15normal_iteratorINS9_10device_ptrIiEEEESE_SE_iNS9_10multipliesIiEENS9_8equal_toIiEEiEE10hipError_tPvRmT2_T3_T4_T5_mT6_T7_P12ihipStream_tbENKUlT_T0_E_clISt17integral_constantIbLb1EESZ_EEDaSU_SV_EUlSU_E_NS1_11comp_targetILNS1_3genE0ELNS1_11target_archE4294967295ELNS1_3gpuE0ELNS1_3repE0EEENS1_30default_config_static_selectorELNS0_4arch9wavefront6targetE0EEEvT1_, .Lfunc_end173-_ZN7rocprim17ROCPRIM_400000_NS6detail17trampoline_kernelINS0_14default_configENS1_27scan_by_key_config_selectorIiiEEZZNS1_16scan_by_key_implILNS1_25lookback_scan_determinismE0ELb0ES3_N6thrust23THRUST_200600_302600_NS6detail15normal_iteratorINS9_10device_ptrIiEEEESE_SE_iNS9_10multipliesIiEENS9_8equal_toIiEEiEE10hipError_tPvRmT2_T3_T4_T5_mT6_T7_P12ihipStream_tbENKUlT_T0_E_clISt17integral_constantIbLb1EESZ_EEDaSU_SV_EUlSU_E_NS1_11comp_targetILNS1_3genE0ELNS1_11target_archE4294967295ELNS1_3gpuE0ELNS1_3repE0EEENS1_30default_config_static_selectorELNS0_4arch9wavefront6targetE0EEEvT1_
                                        ; -- End function
	.set _ZN7rocprim17ROCPRIM_400000_NS6detail17trampoline_kernelINS0_14default_configENS1_27scan_by_key_config_selectorIiiEEZZNS1_16scan_by_key_implILNS1_25lookback_scan_determinismE0ELb0ES3_N6thrust23THRUST_200600_302600_NS6detail15normal_iteratorINS9_10device_ptrIiEEEESE_SE_iNS9_10multipliesIiEENS9_8equal_toIiEEiEE10hipError_tPvRmT2_T3_T4_T5_mT6_T7_P12ihipStream_tbENKUlT_T0_E_clISt17integral_constantIbLb1EESZ_EEDaSU_SV_EUlSU_E_NS1_11comp_targetILNS1_3genE0ELNS1_11target_archE4294967295ELNS1_3gpuE0ELNS1_3repE0EEENS1_30default_config_static_selectorELNS0_4arch9wavefront6targetE0EEEvT1_.num_vgpr, 0
	.set _ZN7rocprim17ROCPRIM_400000_NS6detail17trampoline_kernelINS0_14default_configENS1_27scan_by_key_config_selectorIiiEEZZNS1_16scan_by_key_implILNS1_25lookback_scan_determinismE0ELb0ES3_N6thrust23THRUST_200600_302600_NS6detail15normal_iteratorINS9_10device_ptrIiEEEESE_SE_iNS9_10multipliesIiEENS9_8equal_toIiEEiEE10hipError_tPvRmT2_T3_T4_T5_mT6_T7_P12ihipStream_tbENKUlT_T0_E_clISt17integral_constantIbLb1EESZ_EEDaSU_SV_EUlSU_E_NS1_11comp_targetILNS1_3genE0ELNS1_11target_archE4294967295ELNS1_3gpuE0ELNS1_3repE0EEENS1_30default_config_static_selectorELNS0_4arch9wavefront6targetE0EEEvT1_.num_agpr, 0
	.set _ZN7rocprim17ROCPRIM_400000_NS6detail17trampoline_kernelINS0_14default_configENS1_27scan_by_key_config_selectorIiiEEZZNS1_16scan_by_key_implILNS1_25lookback_scan_determinismE0ELb0ES3_N6thrust23THRUST_200600_302600_NS6detail15normal_iteratorINS9_10device_ptrIiEEEESE_SE_iNS9_10multipliesIiEENS9_8equal_toIiEEiEE10hipError_tPvRmT2_T3_T4_T5_mT6_T7_P12ihipStream_tbENKUlT_T0_E_clISt17integral_constantIbLb1EESZ_EEDaSU_SV_EUlSU_E_NS1_11comp_targetILNS1_3genE0ELNS1_11target_archE4294967295ELNS1_3gpuE0ELNS1_3repE0EEENS1_30default_config_static_selectorELNS0_4arch9wavefront6targetE0EEEvT1_.numbered_sgpr, 0
	.set _ZN7rocprim17ROCPRIM_400000_NS6detail17trampoline_kernelINS0_14default_configENS1_27scan_by_key_config_selectorIiiEEZZNS1_16scan_by_key_implILNS1_25lookback_scan_determinismE0ELb0ES3_N6thrust23THRUST_200600_302600_NS6detail15normal_iteratorINS9_10device_ptrIiEEEESE_SE_iNS9_10multipliesIiEENS9_8equal_toIiEEiEE10hipError_tPvRmT2_T3_T4_T5_mT6_T7_P12ihipStream_tbENKUlT_T0_E_clISt17integral_constantIbLb1EESZ_EEDaSU_SV_EUlSU_E_NS1_11comp_targetILNS1_3genE0ELNS1_11target_archE4294967295ELNS1_3gpuE0ELNS1_3repE0EEENS1_30default_config_static_selectorELNS0_4arch9wavefront6targetE0EEEvT1_.num_named_barrier, 0
	.set _ZN7rocprim17ROCPRIM_400000_NS6detail17trampoline_kernelINS0_14default_configENS1_27scan_by_key_config_selectorIiiEEZZNS1_16scan_by_key_implILNS1_25lookback_scan_determinismE0ELb0ES3_N6thrust23THRUST_200600_302600_NS6detail15normal_iteratorINS9_10device_ptrIiEEEESE_SE_iNS9_10multipliesIiEENS9_8equal_toIiEEiEE10hipError_tPvRmT2_T3_T4_T5_mT6_T7_P12ihipStream_tbENKUlT_T0_E_clISt17integral_constantIbLb1EESZ_EEDaSU_SV_EUlSU_E_NS1_11comp_targetILNS1_3genE0ELNS1_11target_archE4294967295ELNS1_3gpuE0ELNS1_3repE0EEENS1_30default_config_static_selectorELNS0_4arch9wavefront6targetE0EEEvT1_.private_seg_size, 0
	.set _ZN7rocprim17ROCPRIM_400000_NS6detail17trampoline_kernelINS0_14default_configENS1_27scan_by_key_config_selectorIiiEEZZNS1_16scan_by_key_implILNS1_25lookback_scan_determinismE0ELb0ES3_N6thrust23THRUST_200600_302600_NS6detail15normal_iteratorINS9_10device_ptrIiEEEESE_SE_iNS9_10multipliesIiEENS9_8equal_toIiEEiEE10hipError_tPvRmT2_T3_T4_T5_mT6_T7_P12ihipStream_tbENKUlT_T0_E_clISt17integral_constantIbLb1EESZ_EEDaSU_SV_EUlSU_E_NS1_11comp_targetILNS1_3genE0ELNS1_11target_archE4294967295ELNS1_3gpuE0ELNS1_3repE0EEENS1_30default_config_static_selectorELNS0_4arch9wavefront6targetE0EEEvT1_.uses_vcc, 0
	.set _ZN7rocprim17ROCPRIM_400000_NS6detail17trampoline_kernelINS0_14default_configENS1_27scan_by_key_config_selectorIiiEEZZNS1_16scan_by_key_implILNS1_25lookback_scan_determinismE0ELb0ES3_N6thrust23THRUST_200600_302600_NS6detail15normal_iteratorINS9_10device_ptrIiEEEESE_SE_iNS9_10multipliesIiEENS9_8equal_toIiEEiEE10hipError_tPvRmT2_T3_T4_T5_mT6_T7_P12ihipStream_tbENKUlT_T0_E_clISt17integral_constantIbLb1EESZ_EEDaSU_SV_EUlSU_E_NS1_11comp_targetILNS1_3genE0ELNS1_11target_archE4294967295ELNS1_3gpuE0ELNS1_3repE0EEENS1_30default_config_static_selectorELNS0_4arch9wavefront6targetE0EEEvT1_.uses_flat_scratch, 0
	.set _ZN7rocprim17ROCPRIM_400000_NS6detail17trampoline_kernelINS0_14default_configENS1_27scan_by_key_config_selectorIiiEEZZNS1_16scan_by_key_implILNS1_25lookback_scan_determinismE0ELb0ES3_N6thrust23THRUST_200600_302600_NS6detail15normal_iteratorINS9_10device_ptrIiEEEESE_SE_iNS9_10multipliesIiEENS9_8equal_toIiEEiEE10hipError_tPvRmT2_T3_T4_T5_mT6_T7_P12ihipStream_tbENKUlT_T0_E_clISt17integral_constantIbLb1EESZ_EEDaSU_SV_EUlSU_E_NS1_11comp_targetILNS1_3genE0ELNS1_11target_archE4294967295ELNS1_3gpuE0ELNS1_3repE0EEENS1_30default_config_static_selectorELNS0_4arch9wavefront6targetE0EEEvT1_.has_dyn_sized_stack, 0
	.set _ZN7rocprim17ROCPRIM_400000_NS6detail17trampoline_kernelINS0_14default_configENS1_27scan_by_key_config_selectorIiiEEZZNS1_16scan_by_key_implILNS1_25lookback_scan_determinismE0ELb0ES3_N6thrust23THRUST_200600_302600_NS6detail15normal_iteratorINS9_10device_ptrIiEEEESE_SE_iNS9_10multipliesIiEENS9_8equal_toIiEEiEE10hipError_tPvRmT2_T3_T4_T5_mT6_T7_P12ihipStream_tbENKUlT_T0_E_clISt17integral_constantIbLb1EESZ_EEDaSU_SV_EUlSU_E_NS1_11comp_targetILNS1_3genE0ELNS1_11target_archE4294967295ELNS1_3gpuE0ELNS1_3repE0EEENS1_30default_config_static_selectorELNS0_4arch9wavefront6targetE0EEEvT1_.has_recursion, 0
	.set _ZN7rocprim17ROCPRIM_400000_NS6detail17trampoline_kernelINS0_14default_configENS1_27scan_by_key_config_selectorIiiEEZZNS1_16scan_by_key_implILNS1_25lookback_scan_determinismE0ELb0ES3_N6thrust23THRUST_200600_302600_NS6detail15normal_iteratorINS9_10device_ptrIiEEEESE_SE_iNS9_10multipliesIiEENS9_8equal_toIiEEiEE10hipError_tPvRmT2_T3_T4_T5_mT6_T7_P12ihipStream_tbENKUlT_T0_E_clISt17integral_constantIbLb1EESZ_EEDaSU_SV_EUlSU_E_NS1_11comp_targetILNS1_3genE0ELNS1_11target_archE4294967295ELNS1_3gpuE0ELNS1_3repE0EEENS1_30default_config_static_selectorELNS0_4arch9wavefront6targetE0EEEvT1_.has_indirect_call, 0
	.section	.AMDGPU.csdata,"",@progbits
; Kernel info:
; codeLenInByte = 0
; TotalNumSgprs: 0
; NumVgprs: 0
; ScratchSize: 0
; MemoryBound: 0
; FloatMode: 240
; IeeeMode: 1
; LDSByteSize: 0 bytes/workgroup (compile time only)
; SGPRBlocks: 0
; VGPRBlocks: 0
; NumSGPRsForWavesPerEU: 1
; NumVGPRsForWavesPerEU: 1
; Occupancy: 16
; WaveLimiterHint : 0
; COMPUTE_PGM_RSRC2:SCRATCH_EN: 0
; COMPUTE_PGM_RSRC2:USER_SGPR: 6
; COMPUTE_PGM_RSRC2:TRAP_HANDLER: 0
; COMPUTE_PGM_RSRC2:TGID_X_EN: 1
; COMPUTE_PGM_RSRC2:TGID_Y_EN: 0
; COMPUTE_PGM_RSRC2:TGID_Z_EN: 0
; COMPUTE_PGM_RSRC2:TIDIG_COMP_CNT: 0
	.section	.text._ZN7rocprim17ROCPRIM_400000_NS6detail17trampoline_kernelINS0_14default_configENS1_27scan_by_key_config_selectorIiiEEZZNS1_16scan_by_key_implILNS1_25lookback_scan_determinismE0ELb0ES3_N6thrust23THRUST_200600_302600_NS6detail15normal_iteratorINS9_10device_ptrIiEEEESE_SE_iNS9_10multipliesIiEENS9_8equal_toIiEEiEE10hipError_tPvRmT2_T3_T4_T5_mT6_T7_P12ihipStream_tbENKUlT_T0_E_clISt17integral_constantIbLb1EESZ_EEDaSU_SV_EUlSU_E_NS1_11comp_targetILNS1_3genE10ELNS1_11target_archE1201ELNS1_3gpuE5ELNS1_3repE0EEENS1_30default_config_static_selectorELNS0_4arch9wavefront6targetE0EEEvT1_,"axG",@progbits,_ZN7rocprim17ROCPRIM_400000_NS6detail17trampoline_kernelINS0_14default_configENS1_27scan_by_key_config_selectorIiiEEZZNS1_16scan_by_key_implILNS1_25lookback_scan_determinismE0ELb0ES3_N6thrust23THRUST_200600_302600_NS6detail15normal_iteratorINS9_10device_ptrIiEEEESE_SE_iNS9_10multipliesIiEENS9_8equal_toIiEEiEE10hipError_tPvRmT2_T3_T4_T5_mT6_T7_P12ihipStream_tbENKUlT_T0_E_clISt17integral_constantIbLb1EESZ_EEDaSU_SV_EUlSU_E_NS1_11comp_targetILNS1_3genE10ELNS1_11target_archE1201ELNS1_3gpuE5ELNS1_3repE0EEENS1_30default_config_static_selectorELNS0_4arch9wavefront6targetE0EEEvT1_,comdat
	.protected	_ZN7rocprim17ROCPRIM_400000_NS6detail17trampoline_kernelINS0_14default_configENS1_27scan_by_key_config_selectorIiiEEZZNS1_16scan_by_key_implILNS1_25lookback_scan_determinismE0ELb0ES3_N6thrust23THRUST_200600_302600_NS6detail15normal_iteratorINS9_10device_ptrIiEEEESE_SE_iNS9_10multipliesIiEENS9_8equal_toIiEEiEE10hipError_tPvRmT2_T3_T4_T5_mT6_T7_P12ihipStream_tbENKUlT_T0_E_clISt17integral_constantIbLb1EESZ_EEDaSU_SV_EUlSU_E_NS1_11comp_targetILNS1_3genE10ELNS1_11target_archE1201ELNS1_3gpuE5ELNS1_3repE0EEENS1_30default_config_static_selectorELNS0_4arch9wavefront6targetE0EEEvT1_ ; -- Begin function _ZN7rocprim17ROCPRIM_400000_NS6detail17trampoline_kernelINS0_14default_configENS1_27scan_by_key_config_selectorIiiEEZZNS1_16scan_by_key_implILNS1_25lookback_scan_determinismE0ELb0ES3_N6thrust23THRUST_200600_302600_NS6detail15normal_iteratorINS9_10device_ptrIiEEEESE_SE_iNS9_10multipliesIiEENS9_8equal_toIiEEiEE10hipError_tPvRmT2_T3_T4_T5_mT6_T7_P12ihipStream_tbENKUlT_T0_E_clISt17integral_constantIbLb1EESZ_EEDaSU_SV_EUlSU_E_NS1_11comp_targetILNS1_3genE10ELNS1_11target_archE1201ELNS1_3gpuE5ELNS1_3repE0EEENS1_30default_config_static_selectorELNS0_4arch9wavefront6targetE0EEEvT1_
	.globl	_ZN7rocprim17ROCPRIM_400000_NS6detail17trampoline_kernelINS0_14default_configENS1_27scan_by_key_config_selectorIiiEEZZNS1_16scan_by_key_implILNS1_25lookback_scan_determinismE0ELb0ES3_N6thrust23THRUST_200600_302600_NS6detail15normal_iteratorINS9_10device_ptrIiEEEESE_SE_iNS9_10multipliesIiEENS9_8equal_toIiEEiEE10hipError_tPvRmT2_T3_T4_T5_mT6_T7_P12ihipStream_tbENKUlT_T0_E_clISt17integral_constantIbLb1EESZ_EEDaSU_SV_EUlSU_E_NS1_11comp_targetILNS1_3genE10ELNS1_11target_archE1201ELNS1_3gpuE5ELNS1_3repE0EEENS1_30default_config_static_selectorELNS0_4arch9wavefront6targetE0EEEvT1_
	.p2align	8
	.type	_ZN7rocprim17ROCPRIM_400000_NS6detail17trampoline_kernelINS0_14default_configENS1_27scan_by_key_config_selectorIiiEEZZNS1_16scan_by_key_implILNS1_25lookback_scan_determinismE0ELb0ES3_N6thrust23THRUST_200600_302600_NS6detail15normal_iteratorINS9_10device_ptrIiEEEESE_SE_iNS9_10multipliesIiEENS9_8equal_toIiEEiEE10hipError_tPvRmT2_T3_T4_T5_mT6_T7_P12ihipStream_tbENKUlT_T0_E_clISt17integral_constantIbLb1EESZ_EEDaSU_SV_EUlSU_E_NS1_11comp_targetILNS1_3genE10ELNS1_11target_archE1201ELNS1_3gpuE5ELNS1_3repE0EEENS1_30default_config_static_selectorELNS0_4arch9wavefront6targetE0EEEvT1_,@function
_ZN7rocprim17ROCPRIM_400000_NS6detail17trampoline_kernelINS0_14default_configENS1_27scan_by_key_config_selectorIiiEEZZNS1_16scan_by_key_implILNS1_25lookback_scan_determinismE0ELb0ES3_N6thrust23THRUST_200600_302600_NS6detail15normal_iteratorINS9_10device_ptrIiEEEESE_SE_iNS9_10multipliesIiEENS9_8equal_toIiEEiEE10hipError_tPvRmT2_T3_T4_T5_mT6_T7_P12ihipStream_tbENKUlT_T0_E_clISt17integral_constantIbLb1EESZ_EEDaSU_SV_EUlSU_E_NS1_11comp_targetILNS1_3genE10ELNS1_11target_archE1201ELNS1_3gpuE5ELNS1_3repE0EEENS1_30default_config_static_selectorELNS0_4arch9wavefront6targetE0EEEvT1_: ; @_ZN7rocprim17ROCPRIM_400000_NS6detail17trampoline_kernelINS0_14default_configENS1_27scan_by_key_config_selectorIiiEEZZNS1_16scan_by_key_implILNS1_25lookback_scan_determinismE0ELb0ES3_N6thrust23THRUST_200600_302600_NS6detail15normal_iteratorINS9_10device_ptrIiEEEESE_SE_iNS9_10multipliesIiEENS9_8equal_toIiEEiEE10hipError_tPvRmT2_T3_T4_T5_mT6_T7_P12ihipStream_tbENKUlT_T0_E_clISt17integral_constantIbLb1EESZ_EEDaSU_SV_EUlSU_E_NS1_11comp_targetILNS1_3genE10ELNS1_11target_archE1201ELNS1_3gpuE5ELNS1_3repE0EEENS1_30default_config_static_selectorELNS0_4arch9wavefront6targetE0EEEvT1_
; %bb.0:
	.section	.rodata,"a",@progbits
	.p2align	6, 0x0
	.amdhsa_kernel _ZN7rocprim17ROCPRIM_400000_NS6detail17trampoline_kernelINS0_14default_configENS1_27scan_by_key_config_selectorIiiEEZZNS1_16scan_by_key_implILNS1_25lookback_scan_determinismE0ELb0ES3_N6thrust23THRUST_200600_302600_NS6detail15normal_iteratorINS9_10device_ptrIiEEEESE_SE_iNS9_10multipliesIiEENS9_8equal_toIiEEiEE10hipError_tPvRmT2_T3_T4_T5_mT6_T7_P12ihipStream_tbENKUlT_T0_E_clISt17integral_constantIbLb1EESZ_EEDaSU_SV_EUlSU_E_NS1_11comp_targetILNS1_3genE10ELNS1_11target_archE1201ELNS1_3gpuE5ELNS1_3repE0EEENS1_30default_config_static_selectorELNS0_4arch9wavefront6targetE0EEEvT1_
		.amdhsa_group_segment_fixed_size 0
		.amdhsa_private_segment_fixed_size 0
		.amdhsa_kernarg_size 112
		.amdhsa_user_sgpr_count 6
		.amdhsa_user_sgpr_private_segment_buffer 1
		.amdhsa_user_sgpr_dispatch_ptr 0
		.amdhsa_user_sgpr_queue_ptr 0
		.amdhsa_user_sgpr_kernarg_segment_ptr 1
		.amdhsa_user_sgpr_dispatch_id 0
		.amdhsa_user_sgpr_flat_scratch_init 0
		.amdhsa_user_sgpr_private_segment_size 0
		.amdhsa_wavefront_size32 1
		.amdhsa_uses_dynamic_stack 0
		.amdhsa_system_sgpr_private_segment_wavefront_offset 0
		.amdhsa_system_sgpr_workgroup_id_x 1
		.amdhsa_system_sgpr_workgroup_id_y 0
		.amdhsa_system_sgpr_workgroup_id_z 0
		.amdhsa_system_sgpr_workgroup_info 0
		.amdhsa_system_vgpr_workitem_id 0
		.amdhsa_next_free_vgpr 1
		.amdhsa_next_free_sgpr 1
		.amdhsa_reserve_vcc 0
		.amdhsa_reserve_flat_scratch 0
		.amdhsa_float_round_mode_32 0
		.amdhsa_float_round_mode_16_64 0
		.amdhsa_float_denorm_mode_32 3
		.amdhsa_float_denorm_mode_16_64 3
		.amdhsa_dx10_clamp 1
		.amdhsa_ieee_mode 1
		.amdhsa_fp16_overflow 0
		.amdhsa_workgroup_processor_mode 1
		.amdhsa_memory_ordered 1
		.amdhsa_forward_progress 1
		.amdhsa_shared_vgpr_count 0
		.amdhsa_exception_fp_ieee_invalid_op 0
		.amdhsa_exception_fp_denorm_src 0
		.amdhsa_exception_fp_ieee_div_zero 0
		.amdhsa_exception_fp_ieee_overflow 0
		.amdhsa_exception_fp_ieee_underflow 0
		.amdhsa_exception_fp_ieee_inexact 0
		.amdhsa_exception_int_div_zero 0
	.end_amdhsa_kernel
	.section	.text._ZN7rocprim17ROCPRIM_400000_NS6detail17trampoline_kernelINS0_14default_configENS1_27scan_by_key_config_selectorIiiEEZZNS1_16scan_by_key_implILNS1_25lookback_scan_determinismE0ELb0ES3_N6thrust23THRUST_200600_302600_NS6detail15normal_iteratorINS9_10device_ptrIiEEEESE_SE_iNS9_10multipliesIiEENS9_8equal_toIiEEiEE10hipError_tPvRmT2_T3_T4_T5_mT6_T7_P12ihipStream_tbENKUlT_T0_E_clISt17integral_constantIbLb1EESZ_EEDaSU_SV_EUlSU_E_NS1_11comp_targetILNS1_3genE10ELNS1_11target_archE1201ELNS1_3gpuE5ELNS1_3repE0EEENS1_30default_config_static_selectorELNS0_4arch9wavefront6targetE0EEEvT1_,"axG",@progbits,_ZN7rocprim17ROCPRIM_400000_NS6detail17trampoline_kernelINS0_14default_configENS1_27scan_by_key_config_selectorIiiEEZZNS1_16scan_by_key_implILNS1_25lookback_scan_determinismE0ELb0ES3_N6thrust23THRUST_200600_302600_NS6detail15normal_iteratorINS9_10device_ptrIiEEEESE_SE_iNS9_10multipliesIiEENS9_8equal_toIiEEiEE10hipError_tPvRmT2_T3_T4_T5_mT6_T7_P12ihipStream_tbENKUlT_T0_E_clISt17integral_constantIbLb1EESZ_EEDaSU_SV_EUlSU_E_NS1_11comp_targetILNS1_3genE10ELNS1_11target_archE1201ELNS1_3gpuE5ELNS1_3repE0EEENS1_30default_config_static_selectorELNS0_4arch9wavefront6targetE0EEEvT1_,comdat
.Lfunc_end174:
	.size	_ZN7rocprim17ROCPRIM_400000_NS6detail17trampoline_kernelINS0_14default_configENS1_27scan_by_key_config_selectorIiiEEZZNS1_16scan_by_key_implILNS1_25lookback_scan_determinismE0ELb0ES3_N6thrust23THRUST_200600_302600_NS6detail15normal_iteratorINS9_10device_ptrIiEEEESE_SE_iNS9_10multipliesIiEENS9_8equal_toIiEEiEE10hipError_tPvRmT2_T3_T4_T5_mT6_T7_P12ihipStream_tbENKUlT_T0_E_clISt17integral_constantIbLb1EESZ_EEDaSU_SV_EUlSU_E_NS1_11comp_targetILNS1_3genE10ELNS1_11target_archE1201ELNS1_3gpuE5ELNS1_3repE0EEENS1_30default_config_static_selectorELNS0_4arch9wavefront6targetE0EEEvT1_, .Lfunc_end174-_ZN7rocprim17ROCPRIM_400000_NS6detail17trampoline_kernelINS0_14default_configENS1_27scan_by_key_config_selectorIiiEEZZNS1_16scan_by_key_implILNS1_25lookback_scan_determinismE0ELb0ES3_N6thrust23THRUST_200600_302600_NS6detail15normal_iteratorINS9_10device_ptrIiEEEESE_SE_iNS9_10multipliesIiEENS9_8equal_toIiEEiEE10hipError_tPvRmT2_T3_T4_T5_mT6_T7_P12ihipStream_tbENKUlT_T0_E_clISt17integral_constantIbLb1EESZ_EEDaSU_SV_EUlSU_E_NS1_11comp_targetILNS1_3genE10ELNS1_11target_archE1201ELNS1_3gpuE5ELNS1_3repE0EEENS1_30default_config_static_selectorELNS0_4arch9wavefront6targetE0EEEvT1_
                                        ; -- End function
	.set _ZN7rocprim17ROCPRIM_400000_NS6detail17trampoline_kernelINS0_14default_configENS1_27scan_by_key_config_selectorIiiEEZZNS1_16scan_by_key_implILNS1_25lookback_scan_determinismE0ELb0ES3_N6thrust23THRUST_200600_302600_NS6detail15normal_iteratorINS9_10device_ptrIiEEEESE_SE_iNS9_10multipliesIiEENS9_8equal_toIiEEiEE10hipError_tPvRmT2_T3_T4_T5_mT6_T7_P12ihipStream_tbENKUlT_T0_E_clISt17integral_constantIbLb1EESZ_EEDaSU_SV_EUlSU_E_NS1_11comp_targetILNS1_3genE10ELNS1_11target_archE1201ELNS1_3gpuE5ELNS1_3repE0EEENS1_30default_config_static_selectorELNS0_4arch9wavefront6targetE0EEEvT1_.num_vgpr, 0
	.set _ZN7rocprim17ROCPRIM_400000_NS6detail17trampoline_kernelINS0_14default_configENS1_27scan_by_key_config_selectorIiiEEZZNS1_16scan_by_key_implILNS1_25lookback_scan_determinismE0ELb0ES3_N6thrust23THRUST_200600_302600_NS6detail15normal_iteratorINS9_10device_ptrIiEEEESE_SE_iNS9_10multipliesIiEENS9_8equal_toIiEEiEE10hipError_tPvRmT2_T3_T4_T5_mT6_T7_P12ihipStream_tbENKUlT_T0_E_clISt17integral_constantIbLb1EESZ_EEDaSU_SV_EUlSU_E_NS1_11comp_targetILNS1_3genE10ELNS1_11target_archE1201ELNS1_3gpuE5ELNS1_3repE0EEENS1_30default_config_static_selectorELNS0_4arch9wavefront6targetE0EEEvT1_.num_agpr, 0
	.set _ZN7rocprim17ROCPRIM_400000_NS6detail17trampoline_kernelINS0_14default_configENS1_27scan_by_key_config_selectorIiiEEZZNS1_16scan_by_key_implILNS1_25lookback_scan_determinismE0ELb0ES3_N6thrust23THRUST_200600_302600_NS6detail15normal_iteratorINS9_10device_ptrIiEEEESE_SE_iNS9_10multipliesIiEENS9_8equal_toIiEEiEE10hipError_tPvRmT2_T3_T4_T5_mT6_T7_P12ihipStream_tbENKUlT_T0_E_clISt17integral_constantIbLb1EESZ_EEDaSU_SV_EUlSU_E_NS1_11comp_targetILNS1_3genE10ELNS1_11target_archE1201ELNS1_3gpuE5ELNS1_3repE0EEENS1_30default_config_static_selectorELNS0_4arch9wavefront6targetE0EEEvT1_.numbered_sgpr, 0
	.set _ZN7rocprim17ROCPRIM_400000_NS6detail17trampoline_kernelINS0_14default_configENS1_27scan_by_key_config_selectorIiiEEZZNS1_16scan_by_key_implILNS1_25lookback_scan_determinismE0ELb0ES3_N6thrust23THRUST_200600_302600_NS6detail15normal_iteratorINS9_10device_ptrIiEEEESE_SE_iNS9_10multipliesIiEENS9_8equal_toIiEEiEE10hipError_tPvRmT2_T3_T4_T5_mT6_T7_P12ihipStream_tbENKUlT_T0_E_clISt17integral_constantIbLb1EESZ_EEDaSU_SV_EUlSU_E_NS1_11comp_targetILNS1_3genE10ELNS1_11target_archE1201ELNS1_3gpuE5ELNS1_3repE0EEENS1_30default_config_static_selectorELNS0_4arch9wavefront6targetE0EEEvT1_.num_named_barrier, 0
	.set _ZN7rocprim17ROCPRIM_400000_NS6detail17trampoline_kernelINS0_14default_configENS1_27scan_by_key_config_selectorIiiEEZZNS1_16scan_by_key_implILNS1_25lookback_scan_determinismE0ELb0ES3_N6thrust23THRUST_200600_302600_NS6detail15normal_iteratorINS9_10device_ptrIiEEEESE_SE_iNS9_10multipliesIiEENS9_8equal_toIiEEiEE10hipError_tPvRmT2_T3_T4_T5_mT6_T7_P12ihipStream_tbENKUlT_T0_E_clISt17integral_constantIbLb1EESZ_EEDaSU_SV_EUlSU_E_NS1_11comp_targetILNS1_3genE10ELNS1_11target_archE1201ELNS1_3gpuE5ELNS1_3repE0EEENS1_30default_config_static_selectorELNS0_4arch9wavefront6targetE0EEEvT1_.private_seg_size, 0
	.set _ZN7rocprim17ROCPRIM_400000_NS6detail17trampoline_kernelINS0_14default_configENS1_27scan_by_key_config_selectorIiiEEZZNS1_16scan_by_key_implILNS1_25lookback_scan_determinismE0ELb0ES3_N6thrust23THRUST_200600_302600_NS6detail15normal_iteratorINS9_10device_ptrIiEEEESE_SE_iNS9_10multipliesIiEENS9_8equal_toIiEEiEE10hipError_tPvRmT2_T3_T4_T5_mT6_T7_P12ihipStream_tbENKUlT_T0_E_clISt17integral_constantIbLb1EESZ_EEDaSU_SV_EUlSU_E_NS1_11comp_targetILNS1_3genE10ELNS1_11target_archE1201ELNS1_3gpuE5ELNS1_3repE0EEENS1_30default_config_static_selectorELNS0_4arch9wavefront6targetE0EEEvT1_.uses_vcc, 0
	.set _ZN7rocprim17ROCPRIM_400000_NS6detail17trampoline_kernelINS0_14default_configENS1_27scan_by_key_config_selectorIiiEEZZNS1_16scan_by_key_implILNS1_25lookback_scan_determinismE0ELb0ES3_N6thrust23THRUST_200600_302600_NS6detail15normal_iteratorINS9_10device_ptrIiEEEESE_SE_iNS9_10multipliesIiEENS9_8equal_toIiEEiEE10hipError_tPvRmT2_T3_T4_T5_mT6_T7_P12ihipStream_tbENKUlT_T0_E_clISt17integral_constantIbLb1EESZ_EEDaSU_SV_EUlSU_E_NS1_11comp_targetILNS1_3genE10ELNS1_11target_archE1201ELNS1_3gpuE5ELNS1_3repE0EEENS1_30default_config_static_selectorELNS0_4arch9wavefront6targetE0EEEvT1_.uses_flat_scratch, 0
	.set _ZN7rocprim17ROCPRIM_400000_NS6detail17trampoline_kernelINS0_14default_configENS1_27scan_by_key_config_selectorIiiEEZZNS1_16scan_by_key_implILNS1_25lookback_scan_determinismE0ELb0ES3_N6thrust23THRUST_200600_302600_NS6detail15normal_iteratorINS9_10device_ptrIiEEEESE_SE_iNS9_10multipliesIiEENS9_8equal_toIiEEiEE10hipError_tPvRmT2_T3_T4_T5_mT6_T7_P12ihipStream_tbENKUlT_T0_E_clISt17integral_constantIbLb1EESZ_EEDaSU_SV_EUlSU_E_NS1_11comp_targetILNS1_3genE10ELNS1_11target_archE1201ELNS1_3gpuE5ELNS1_3repE0EEENS1_30default_config_static_selectorELNS0_4arch9wavefront6targetE0EEEvT1_.has_dyn_sized_stack, 0
	.set _ZN7rocprim17ROCPRIM_400000_NS6detail17trampoline_kernelINS0_14default_configENS1_27scan_by_key_config_selectorIiiEEZZNS1_16scan_by_key_implILNS1_25lookback_scan_determinismE0ELb0ES3_N6thrust23THRUST_200600_302600_NS6detail15normal_iteratorINS9_10device_ptrIiEEEESE_SE_iNS9_10multipliesIiEENS9_8equal_toIiEEiEE10hipError_tPvRmT2_T3_T4_T5_mT6_T7_P12ihipStream_tbENKUlT_T0_E_clISt17integral_constantIbLb1EESZ_EEDaSU_SV_EUlSU_E_NS1_11comp_targetILNS1_3genE10ELNS1_11target_archE1201ELNS1_3gpuE5ELNS1_3repE0EEENS1_30default_config_static_selectorELNS0_4arch9wavefront6targetE0EEEvT1_.has_recursion, 0
	.set _ZN7rocprim17ROCPRIM_400000_NS6detail17trampoline_kernelINS0_14default_configENS1_27scan_by_key_config_selectorIiiEEZZNS1_16scan_by_key_implILNS1_25lookback_scan_determinismE0ELb0ES3_N6thrust23THRUST_200600_302600_NS6detail15normal_iteratorINS9_10device_ptrIiEEEESE_SE_iNS9_10multipliesIiEENS9_8equal_toIiEEiEE10hipError_tPvRmT2_T3_T4_T5_mT6_T7_P12ihipStream_tbENKUlT_T0_E_clISt17integral_constantIbLb1EESZ_EEDaSU_SV_EUlSU_E_NS1_11comp_targetILNS1_3genE10ELNS1_11target_archE1201ELNS1_3gpuE5ELNS1_3repE0EEENS1_30default_config_static_selectorELNS0_4arch9wavefront6targetE0EEEvT1_.has_indirect_call, 0
	.section	.AMDGPU.csdata,"",@progbits
; Kernel info:
; codeLenInByte = 0
; TotalNumSgprs: 0
; NumVgprs: 0
; ScratchSize: 0
; MemoryBound: 0
; FloatMode: 240
; IeeeMode: 1
; LDSByteSize: 0 bytes/workgroup (compile time only)
; SGPRBlocks: 0
; VGPRBlocks: 0
; NumSGPRsForWavesPerEU: 1
; NumVGPRsForWavesPerEU: 1
; Occupancy: 16
; WaveLimiterHint : 0
; COMPUTE_PGM_RSRC2:SCRATCH_EN: 0
; COMPUTE_PGM_RSRC2:USER_SGPR: 6
; COMPUTE_PGM_RSRC2:TRAP_HANDLER: 0
; COMPUTE_PGM_RSRC2:TGID_X_EN: 1
; COMPUTE_PGM_RSRC2:TGID_Y_EN: 0
; COMPUTE_PGM_RSRC2:TGID_Z_EN: 0
; COMPUTE_PGM_RSRC2:TIDIG_COMP_CNT: 0
	.section	.text._ZN7rocprim17ROCPRIM_400000_NS6detail17trampoline_kernelINS0_14default_configENS1_27scan_by_key_config_selectorIiiEEZZNS1_16scan_by_key_implILNS1_25lookback_scan_determinismE0ELb0ES3_N6thrust23THRUST_200600_302600_NS6detail15normal_iteratorINS9_10device_ptrIiEEEESE_SE_iNS9_10multipliesIiEENS9_8equal_toIiEEiEE10hipError_tPvRmT2_T3_T4_T5_mT6_T7_P12ihipStream_tbENKUlT_T0_E_clISt17integral_constantIbLb1EESZ_EEDaSU_SV_EUlSU_E_NS1_11comp_targetILNS1_3genE5ELNS1_11target_archE942ELNS1_3gpuE9ELNS1_3repE0EEENS1_30default_config_static_selectorELNS0_4arch9wavefront6targetE0EEEvT1_,"axG",@progbits,_ZN7rocprim17ROCPRIM_400000_NS6detail17trampoline_kernelINS0_14default_configENS1_27scan_by_key_config_selectorIiiEEZZNS1_16scan_by_key_implILNS1_25lookback_scan_determinismE0ELb0ES3_N6thrust23THRUST_200600_302600_NS6detail15normal_iteratorINS9_10device_ptrIiEEEESE_SE_iNS9_10multipliesIiEENS9_8equal_toIiEEiEE10hipError_tPvRmT2_T3_T4_T5_mT6_T7_P12ihipStream_tbENKUlT_T0_E_clISt17integral_constantIbLb1EESZ_EEDaSU_SV_EUlSU_E_NS1_11comp_targetILNS1_3genE5ELNS1_11target_archE942ELNS1_3gpuE9ELNS1_3repE0EEENS1_30default_config_static_selectorELNS0_4arch9wavefront6targetE0EEEvT1_,comdat
	.protected	_ZN7rocprim17ROCPRIM_400000_NS6detail17trampoline_kernelINS0_14default_configENS1_27scan_by_key_config_selectorIiiEEZZNS1_16scan_by_key_implILNS1_25lookback_scan_determinismE0ELb0ES3_N6thrust23THRUST_200600_302600_NS6detail15normal_iteratorINS9_10device_ptrIiEEEESE_SE_iNS9_10multipliesIiEENS9_8equal_toIiEEiEE10hipError_tPvRmT2_T3_T4_T5_mT6_T7_P12ihipStream_tbENKUlT_T0_E_clISt17integral_constantIbLb1EESZ_EEDaSU_SV_EUlSU_E_NS1_11comp_targetILNS1_3genE5ELNS1_11target_archE942ELNS1_3gpuE9ELNS1_3repE0EEENS1_30default_config_static_selectorELNS0_4arch9wavefront6targetE0EEEvT1_ ; -- Begin function _ZN7rocprim17ROCPRIM_400000_NS6detail17trampoline_kernelINS0_14default_configENS1_27scan_by_key_config_selectorIiiEEZZNS1_16scan_by_key_implILNS1_25lookback_scan_determinismE0ELb0ES3_N6thrust23THRUST_200600_302600_NS6detail15normal_iteratorINS9_10device_ptrIiEEEESE_SE_iNS9_10multipliesIiEENS9_8equal_toIiEEiEE10hipError_tPvRmT2_T3_T4_T5_mT6_T7_P12ihipStream_tbENKUlT_T0_E_clISt17integral_constantIbLb1EESZ_EEDaSU_SV_EUlSU_E_NS1_11comp_targetILNS1_3genE5ELNS1_11target_archE942ELNS1_3gpuE9ELNS1_3repE0EEENS1_30default_config_static_selectorELNS0_4arch9wavefront6targetE0EEEvT1_
	.globl	_ZN7rocprim17ROCPRIM_400000_NS6detail17trampoline_kernelINS0_14default_configENS1_27scan_by_key_config_selectorIiiEEZZNS1_16scan_by_key_implILNS1_25lookback_scan_determinismE0ELb0ES3_N6thrust23THRUST_200600_302600_NS6detail15normal_iteratorINS9_10device_ptrIiEEEESE_SE_iNS9_10multipliesIiEENS9_8equal_toIiEEiEE10hipError_tPvRmT2_T3_T4_T5_mT6_T7_P12ihipStream_tbENKUlT_T0_E_clISt17integral_constantIbLb1EESZ_EEDaSU_SV_EUlSU_E_NS1_11comp_targetILNS1_3genE5ELNS1_11target_archE942ELNS1_3gpuE9ELNS1_3repE0EEENS1_30default_config_static_selectorELNS0_4arch9wavefront6targetE0EEEvT1_
	.p2align	8
	.type	_ZN7rocprim17ROCPRIM_400000_NS6detail17trampoline_kernelINS0_14default_configENS1_27scan_by_key_config_selectorIiiEEZZNS1_16scan_by_key_implILNS1_25lookback_scan_determinismE0ELb0ES3_N6thrust23THRUST_200600_302600_NS6detail15normal_iteratorINS9_10device_ptrIiEEEESE_SE_iNS9_10multipliesIiEENS9_8equal_toIiEEiEE10hipError_tPvRmT2_T3_T4_T5_mT6_T7_P12ihipStream_tbENKUlT_T0_E_clISt17integral_constantIbLb1EESZ_EEDaSU_SV_EUlSU_E_NS1_11comp_targetILNS1_3genE5ELNS1_11target_archE942ELNS1_3gpuE9ELNS1_3repE0EEENS1_30default_config_static_selectorELNS0_4arch9wavefront6targetE0EEEvT1_,@function
_ZN7rocprim17ROCPRIM_400000_NS6detail17trampoline_kernelINS0_14default_configENS1_27scan_by_key_config_selectorIiiEEZZNS1_16scan_by_key_implILNS1_25lookback_scan_determinismE0ELb0ES3_N6thrust23THRUST_200600_302600_NS6detail15normal_iteratorINS9_10device_ptrIiEEEESE_SE_iNS9_10multipliesIiEENS9_8equal_toIiEEiEE10hipError_tPvRmT2_T3_T4_T5_mT6_T7_P12ihipStream_tbENKUlT_T0_E_clISt17integral_constantIbLb1EESZ_EEDaSU_SV_EUlSU_E_NS1_11comp_targetILNS1_3genE5ELNS1_11target_archE942ELNS1_3gpuE9ELNS1_3repE0EEENS1_30default_config_static_selectorELNS0_4arch9wavefront6targetE0EEEvT1_: ; @_ZN7rocprim17ROCPRIM_400000_NS6detail17trampoline_kernelINS0_14default_configENS1_27scan_by_key_config_selectorIiiEEZZNS1_16scan_by_key_implILNS1_25lookback_scan_determinismE0ELb0ES3_N6thrust23THRUST_200600_302600_NS6detail15normal_iteratorINS9_10device_ptrIiEEEESE_SE_iNS9_10multipliesIiEENS9_8equal_toIiEEiEE10hipError_tPvRmT2_T3_T4_T5_mT6_T7_P12ihipStream_tbENKUlT_T0_E_clISt17integral_constantIbLb1EESZ_EEDaSU_SV_EUlSU_E_NS1_11comp_targetILNS1_3genE5ELNS1_11target_archE942ELNS1_3gpuE9ELNS1_3repE0EEENS1_30default_config_static_selectorELNS0_4arch9wavefront6targetE0EEEvT1_
; %bb.0:
	.section	.rodata,"a",@progbits
	.p2align	6, 0x0
	.amdhsa_kernel _ZN7rocprim17ROCPRIM_400000_NS6detail17trampoline_kernelINS0_14default_configENS1_27scan_by_key_config_selectorIiiEEZZNS1_16scan_by_key_implILNS1_25lookback_scan_determinismE0ELb0ES3_N6thrust23THRUST_200600_302600_NS6detail15normal_iteratorINS9_10device_ptrIiEEEESE_SE_iNS9_10multipliesIiEENS9_8equal_toIiEEiEE10hipError_tPvRmT2_T3_T4_T5_mT6_T7_P12ihipStream_tbENKUlT_T0_E_clISt17integral_constantIbLb1EESZ_EEDaSU_SV_EUlSU_E_NS1_11comp_targetILNS1_3genE5ELNS1_11target_archE942ELNS1_3gpuE9ELNS1_3repE0EEENS1_30default_config_static_selectorELNS0_4arch9wavefront6targetE0EEEvT1_
		.amdhsa_group_segment_fixed_size 0
		.amdhsa_private_segment_fixed_size 0
		.amdhsa_kernarg_size 112
		.amdhsa_user_sgpr_count 6
		.amdhsa_user_sgpr_private_segment_buffer 1
		.amdhsa_user_sgpr_dispatch_ptr 0
		.amdhsa_user_sgpr_queue_ptr 0
		.amdhsa_user_sgpr_kernarg_segment_ptr 1
		.amdhsa_user_sgpr_dispatch_id 0
		.amdhsa_user_sgpr_flat_scratch_init 0
		.amdhsa_user_sgpr_private_segment_size 0
		.amdhsa_wavefront_size32 1
		.amdhsa_uses_dynamic_stack 0
		.amdhsa_system_sgpr_private_segment_wavefront_offset 0
		.amdhsa_system_sgpr_workgroup_id_x 1
		.amdhsa_system_sgpr_workgroup_id_y 0
		.amdhsa_system_sgpr_workgroup_id_z 0
		.amdhsa_system_sgpr_workgroup_info 0
		.amdhsa_system_vgpr_workitem_id 0
		.amdhsa_next_free_vgpr 1
		.amdhsa_next_free_sgpr 1
		.amdhsa_reserve_vcc 0
		.amdhsa_reserve_flat_scratch 0
		.amdhsa_float_round_mode_32 0
		.amdhsa_float_round_mode_16_64 0
		.amdhsa_float_denorm_mode_32 3
		.amdhsa_float_denorm_mode_16_64 3
		.amdhsa_dx10_clamp 1
		.amdhsa_ieee_mode 1
		.amdhsa_fp16_overflow 0
		.amdhsa_workgroup_processor_mode 1
		.amdhsa_memory_ordered 1
		.amdhsa_forward_progress 1
		.amdhsa_shared_vgpr_count 0
		.amdhsa_exception_fp_ieee_invalid_op 0
		.amdhsa_exception_fp_denorm_src 0
		.amdhsa_exception_fp_ieee_div_zero 0
		.amdhsa_exception_fp_ieee_overflow 0
		.amdhsa_exception_fp_ieee_underflow 0
		.amdhsa_exception_fp_ieee_inexact 0
		.amdhsa_exception_int_div_zero 0
	.end_amdhsa_kernel
	.section	.text._ZN7rocprim17ROCPRIM_400000_NS6detail17trampoline_kernelINS0_14default_configENS1_27scan_by_key_config_selectorIiiEEZZNS1_16scan_by_key_implILNS1_25lookback_scan_determinismE0ELb0ES3_N6thrust23THRUST_200600_302600_NS6detail15normal_iteratorINS9_10device_ptrIiEEEESE_SE_iNS9_10multipliesIiEENS9_8equal_toIiEEiEE10hipError_tPvRmT2_T3_T4_T5_mT6_T7_P12ihipStream_tbENKUlT_T0_E_clISt17integral_constantIbLb1EESZ_EEDaSU_SV_EUlSU_E_NS1_11comp_targetILNS1_3genE5ELNS1_11target_archE942ELNS1_3gpuE9ELNS1_3repE0EEENS1_30default_config_static_selectorELNS0_4arch9wavefront6targetE0EEEvT1_,"axG",@progbits,_ZN7rocprim17ROCPRIM_400000_NS6detail17trampoline_kernelINS0_14default_configENS1_27scan_by_key_config_selectorIiiEEZZNS1_16scan_by_key_implILNS1_25lookback_scan_determinismE0ELb0ES3_N6thrust23THRUST_200600_302600_NS6detail15normal_iteratorINS9_10device_ptrIiEEEESE_SE_iNS9_10multipliesIiEENS9_8equal_toIiEEiEE10hipError_tPvRmT2_T3_T4_T5_mT6_T7_P12ihipStream_tbENKUlT_T0_E_clISt17integral_constantIbLb1EESZ_EEDaSU_SV_EUlSU_E_NS1_11comp_targetILNS1_3genE5ELNS1_11target_archE942ELNS1_3gpuE9ELNS1_3repE0EEENS1_30default_config_static_selectorELNS0_4arch9wavefront6targetE0EEEvT1_,comdat
.Lfunc_end175:
	.size	_ZN7rocprim17ROCPRIM_400000_NS6detail17trampoline_kernelINS0_14default_configENS1_27scan_by_key_config_selectorIiiEEZZNS1_16scan_by_key_implILNS1_25lookback_scan_determinismE0ELb0ES3_N6thrust23THRUST_200600_302600_NS6detail15normal_iteratorINS9_10device_ptrIiEEEESE_SE_iNS9_10multipliesIiEENS9_8equal_toIiEEiEE10hipError_tPvRmT2_T3_T4_T5_mT6_T7_P12ihipStream_tbENKUlT_T0_E_clISt17integral_constantIbLb1EESZ_EEDaSU_SV_EUlSU_E_NS1_11comp_targetILNS1_3genE5ELNS1_11target_archE942ELNS1_3gpuE9ELNS1_3repE0EEENS1_30default_config_static_selectorELNS0_4arch9wavefront6targetE0EEEvT1_, .Lfunc_end175-_ZN7rocprim17ROCPRIM_400000_NS6detail17trampoline_kernelINS0_14default_configENS1_27scan_by_key_config_selectorIiiEEZZNS1_16scan_by_key_implILNS1_25lookback_scan_determinismE0ELb0ES3_N6thrust23THRUST_200600_302600_NS6detail15normal_iteratorINS9_10device_ptrIiEEEESE_SE_iNS9_10multipliesIiEENS9_8equal_toIiEEiEE10hipError_tPvRmT2_T3_T4_T5_mT6_T7_P12ihipStream_tbENKUlT_T0_E_clISt17integral_constantIbLb1EESZ_EEDaSU_SV_EUlSU_E_NS1_11comp_targetILNS1_3genE5ELNS1_11target_archE942ELNS1_3gpuE9ELNS1_3repE0EEENS1_30default_config_static_selectorELNS0_4arch9wavefront6targetE0EEEvT1_
                                        ; -- End function
	.set _ZN7rocprim17ROCPRIM_400000_NS6detail17trampoline_kernelINS0_14default_configENS1_27scan_by_key_config_selectorIiiEEZZNS1_16scan_by_key_implILNS1_25lookback_scan_determinismE0ELb0ES3_N6thrust23THRUST_200600_302600_NS6detail15normal_iteratorINS9_10device_ptrIiEEEESE_SE_iNS9_10multipliesIiEENS9_8equal_toIiEEiEE10hipError_tPvRmT2_T3_T4_T5_mT6_T7_P12ihipStream_tbENKUlT_T0_E_clISt17integral_constantIbLb1EESZ_EEDaSU_SV_EUlSU_E_NS1_11comp_targetILNS1_3genE5ELNS1_11target_archE942ELNS1_3gpuE9ELNS1_3repE0EEENS1_30default_config_static_selectorELNS0_4arch9wavefront6targetE0EEEvT1_.num_vgpr, 0
	.set _ZN7rocprim17ROCPRIM_400000_NS6detail17trampoline_kernelINS0_14default_configENS1_27scan_by_key_config_selectorIiiEEZZNS1_16scan_by_key_implILNS1_25lookback_scan_determinismE0ELb0ES3_N6thrust23THRUST_200600_302600_NS6detail15normal_iteratorINS9_10device_ptrIiEEEESE_SE_iNS9_10multipliesIiEENS9_8equal_toIiEEiEE10hipError_tPvRmT2_T3_T4_T5_mT6_T7_P12ihipStream_tbENKUlT_T0_E_clISt17integral_constantIbLb1EESZ_EEDaSU_SV_EUlSU_E_NS1_11comp_targetILNS1_3genE5ELNS1_11target_archE942ELNS1_3gpuE9ELNS1_3repE0EEENS1_30default_config_static_selectorELNS0_4arch9wavefront6targetE0EEEvT1_.num_agpr, 0
	.set _ZN7rocprim17ROCPRIM_400000_NS6detail17trampoline_kernelINS0_14default_configENS1_27scan_by_key_config_selectorIiiEEZZNS1_16scan_by_key_implILNS1_25lookback_scan_determinismE0ELb0ES3_N6thrust23THRUST_200600_302600_NS6detail15normal_iteratorINS9_10device_ptrIiEEEESE_SE_iNS9_10multipliesIiEENS9_8equal_toIiEEiEE10hipError_tPvRmT2_T3_T4_T5_mT6_T7_P12ihipStream_tbENKUlT_T0_E_clISt17integral_constantIbLb1EESZ_EEDaSU_SV_EUlSU_E_NS1_11comp_targetILNS1_3genE5ELNS1_11target_archE942ELNS1_3gpuE9ELNS1_3repE0EEENS1_30default_config_static_selectorELNS0_4arch9wavefront6targetE0EEEvT1_.numbered_sgpr, 0
	.set _ZN7rocprim17ROCPRIM_400000_NS6detail17trampoline_kernelINS0_14default_configENS1_27scan_by_key_config_selectorIiiEEZZNS1_16scan_by_key_implILNS1_25lookback_scan_determinismE0ELb0ES3_N6thrust23THRUST_200600_302600_NS6detail15normal_iteratorINS9_10device_ptrIiEEEESE_SE_iNS9_10multipliesIiEENS9_8equal_toIiEEiEE10hipError_tPvRmT2_T3_T4_T5_mT6_T7_P12ihipStream_tbENKUlT_T0_E_clISt17integral_constantIbLb1EESZ_EEDaSU_SV_EUlSU_E_NS1_11comp_targetILNS1_3genE5ELNS1_11target_archE942ELNS1_3gpuE9ELNS1_3repE0EEENS1_30default_config_static_selectorELNS0_4arch9wavefront6targetE0EEEvT1_.num_named_barrier, 0
	.set _ZN7rocprim17ROCPRIM_400000_NS6detail17trampoline_kernelINS0_14default_configENS1_27scan_by_key_config_selectorIiiEEZZNS1_16scan_by_key_implILNS1_25lookback_scan_determinismE0ELb0ES3_N6thrust23THRUST_200600_302600_NS6detail15normal_iteratorINS9_10device_ptrIiEEEESE_SE_iNS9_10multipliesIiEENS9_8equal_toIiEEiEE10hipError_tPvRmT2_T3_T4_T5_mT6_T7_P12ihipStream_tbENKUlT_T0_E_clISt17integral_constantIbLb1EESZ_EEDaSU_SV_EUlSU_E_NS1_11comp_targetILNS1_3genE5ELNS1_11target_archE942ELNS1_3gpuE9ELNS1_3repE0EEENS1_30default_config_static_selectorELNS0_4arch9wavefront6targetE0EEEvT1_.private_seg_size, 0
	.set _ZN7rocprim17ROCPRIM_400000_NS6detail17trampoline_kernelINS0_14default_configENS1_27scan_by_key_config_selectorIiiEEZZNS1_16scan_by_key_implILNS1_25lookback_scan_determinismE0ELb0ES3_N6thrust23THRUST_200600_302600_NS6detail15normal_iteratorINS9_10device_ptrIiEEEESE_SE_iNS9_10multipliesIiEENS9_8equal_toIiEEiEE10hipError_tPvRmT2_T3_T4_T5_mT6_T7_P12ihipStream_tbENKUlT_T0_E_clISt17integral_constantIbLb1EESZ_EEDaSU_SV_EUlSU_E_NS1_11comp_targetILNS1_3genE5ELNS1_11target_archE942ELNS1_3gpuE9ELNS1_3repE0EEENS1_30default_config_static_selectorELNS0_4arch9wavefront6targetE0EEEvT1_.uses_vcc, 0
	.set _ZN7rocprim17ROCPRIM_400000_NS6detail17trampoline_kernelINS0_14default_configENS1_27scan_by_key_config_selectorIiiEEZZNS1_16scan_by_key_implILNS1_25lookback_scan_determinismE0ELb0ES3_N6thrust23THRUST_200600_302600_NS6detail15normal_iteratorINS9_10device_ptrIiEEEESE_SE_iNS9_10multipliesIiEENS9_8equal_toIiEEiEE10hipError_tPvRmT2_T3_T4_T5_mT6_T7_P12ihipStream_tbENKUlT_T0_E_clISt17integral_constantIbLb1EESZ_EEDaSU_SV_EUlSU_E_NS1_11comp_targetILNS1_3genE5ELNS1_11target_archE942ELNS1_3gpuE9ELNS1_3repE0EEENS1_30default_config_static_selectorELNS0_4arch9wavefront6targetE0EEEvT1_.uses_flat_scratch, 0
	.set _ZN7rocprim17ROCPRIM_400000_NS6detail17trampoline_kernelINS0_14default_configENS1_27scan_by_key_config_selectorIiiEEZZNS1_16scan_by_key_implILNS1_25lookback_scan_determinismE0ELb0ES3_N6thrust23THRUST_200600_302600_NS6detail15normal_iteratorINS9_10device_ptrIiEEEESE_SE_iNS9_10multipliesIiEENS9_8equal_toIiEEiEE10hipError_tPvRmT2_T3_T4_T5_mT6_T7_P12ihipStream_tbENKUlT_T0_E_clISt17integral_constantIbLb1EESZ_EEDaSU_SV_EUlSU_E_NS1_11comp_targetILNS1_3genE5ELNS1_11target_archE942ELNS1_3gpuE9ELNS1_3repE0EEENS1_30default_config_static_selectorELNS0_4arch9wavefront6targetE0EEEvT1_.has_dyn_sized_stack, 0
	.set _ZN7rocprim17ROCPRIM_400000_NS6detail17trampoline_kernelINS0_14default_configENS1_27scan_by_key_config_selectorIiiEEZZNS1_16scan_by_key_implILNS1_25lookback_scan_determinismE0ELb0ES3_N6thrust23THRUST_200600_302600_NS6detail15normal_iteratorINS9_10device_ptrIiEEEESE_SE_iNS9_10multipliesIiEENS9_8equal_toIiEEiEE10hipError_tPvRmT2_T3_T4_T5_mT6_T7_P12ihipStream_tbENKUlT_T0_E_clISt17integral_constantIbLb1EESZ_EEDaSU_SV_EUlSU_E_NS1_11comp_targetILNS1_3genE5ELNS1_11target_archE942ELNS1_3gpuE9ELNS1_3repE0EEENS1_30default_config_static_selectorELNS0_4arch9wavefront6targetE0EEEvT1_.has_recursion, 0
	.set _ZN7rocprim17ROCPRIM_400000_NS6detail17trampoline_kernelINS0_14default_configENS1_27scan_by_key_config_selectorIiiEEZZNS1_16scan_by_key_implILNS1_25lookback_scan_determinismE0ELb0ES3_N6thrust23THRUST_200600_302600_NS6detail15normal_iteratorINS9_10device_ptrIiEEEESE_SE_iNS9_10multipliesIiEENS9_8equal_toIiEEiEE10hipError_tPvRmT2_T3_T4_T5_mT6_T7_P12ihipStream_tbENKUlT_T0_E_clISt17integral_constantIbLb1EESZ_EEDaSU_SV_EUlSU_E_NS1_11comp_targetILNS1_3genE5ELNS1_11target_archE942ELNS1_3gpuE9ELNS1_3repE0EEENS1_30default_config_static_selectorELNS0_4arch9wavefront6targetE0EEEvT1_.has_indirect_call, 0
	.section	.AMDGPU.csdata,"",@progbits
; Kernel info:
; codeLenInByte = 0
; TotalNumSgprs: 0
; NumVgprs: 0
; ScratchSize: 0
; MemoryBound: 0
; FloatMode: 240
; IeeeMode: 1
; LDSByteSize: 0 bytes/workgroup (compile time only)
; SGPRBlocks: 0
; VGPRBlocks: 0
; NumSGPRsForWavesPerEU: 1
; NumVGPRsForWavesPerEU: 1
; Occupancy: 16
; WaveLimiterHint : 0
; COMPUTE_PGM_RSRC2:SCRATCH_EN: 0
; COMPUTE_PGM_RSRC2:USER_SGPR: 6
; COMPUTE_PGM_RSRC2:TRAP_HANDLER: 0
; COMPUTE_PGM_RSRC2:TGID_X_EN: 1
; COMPUTE_PGM_RSRC2:TGID_Y_EN: 0
; COMPUTE_PGM_RSRC2:TGID_Z_EN: 0
; COMPUTE_PGM_RSRC2:TIDIG_COMP_CNT: 0
	.section	.text._ZN7rocprim17ROCPRIM_400000_NS6detail17trampoline_kernelINS0_14default_configENS1_27scan_by_key_config_selectorIiiEEZZNS1_16scan_by_key_implILNS1_25lookback_scan_determinismE0ELb0ES3_N6thrust23THRUST_200600_302600_NS6detail15normal_iteratorINS9_10device_ptrIiEEEESE_SE_iNS9_10multipliesIiEENS9_8equal_toIiEEiEE10hipError_tPvRmT2_T3_T4_T5_mT6_T7_P12ihipStream_tbENKUlT_T0_E_clISt17integral_constantIbLb1EESZ_EEDaSU_SV_EUlSU_E_NS1_11comp_targetILNS1_3genE4ELNS1_11target_archE910ELNS1_3gpuE8ELNS1_3repE0EEENS1_30default_config_static_selectorELNS0_4arch9wavefront6targetE0EEEvT1_,"axG",@progbits,_ZN7rocprim17ROCPRIM_400000_NS6detail17trampoline_kernelINS0_14default_configENS1_27scan_by_key_config_selectorIiiEEZZNS1_16scan_by_key_implILNS1_25lookback_scan_determinismE0ELb0ES3_N6thrust23THRUST_200600_302600_NS6detail15normal_iteratorINS9_10device_ptrIiEEEESE_SE_iNS9_10multipliesIiEENS9_8equal_toIiEEiEE10hipError_tPvRmT2_T3_T4_T5_mT6_T7_P12ihipStream_tbENKUlT_T0_E_clISt17integral_constantIbLb1EESZ_EEDaSU_SV_EUlSU_E_NS1_11comp_targetILNS1_3genE4ELNS1_11target_archE910ELNS1_3gpuE8ELNS1_3repE0EEENS1_30default_config_static_selectorELNS0_4arch9wavefront6targetE0EEEvT1_,comdat
	.protected	_ZN7rocprim17ROCPRIM_400000_NS6detail17trampoline_kernelINS0_14default_configENS1_27scan_by_key_config_selectorIiiEEZZNS1_16scan_by_key_implILNS1_25lookback_scan_determinismE0ELb0ES3_N6thrust23THRUST_200600_302600_NS6detail15normal_iteratorINS9_10device_ptrIiEEEESE_SE_iNS9_10multipliesIiEENS9_8equal_toIiEEiEE10hipError_tPvRmT2_T3_T4_T5_mT6_T7_P12ihipStream_tbENKUlT_T0_E_clISt17integral_constantIbLb1EESZ_EEDaSU_SV_EUlSU_E_NS1_11comp_targetILNS1_3genE4ELNS1_11target_archE910ELNS1_3gpuE8ELNS1_3repE0EEENS1_30default_config_static_selectorELNS0_4arch9wavefront6targetE0EEEvT1_ ; -- Begin function _ZN7rocprim17ROCPRIM_400000_NS6detail17trampoline_kernelINS0_14default_configENS1_27scan_by_key_config_selectorIiiEEZZNS1_16scan_by_key_implILNS1_25lookback_scan_determinismE0ELb0ES3_N6thrust23THRUST_200600_302600_NS6detail15normal_iteratorINS9_10device_ptrIiEEEESE_SE_iNS9_10multipliesIiEENS9_8equal_toIiEEiEE10hipError_tPvRmT2_T3_T4_T5_mT6_T7_P12ihipStream_tbENKUlT_T0_E_clISt17integral_constantIbLb1EESZ_EEDaSU_SV_EUlSU_E_NS1_11comp_targetILNS1_3genE4ELNS1_11target_archE910ELNS1_3gpuE8ELNS1_3repE0EEENS1_30default_config_static_selectorELNS0_4arch9wavefront6targetE0EEEvT1_
	.globl	_ZN7rocprim17ROCPRIM_400000_NS6detail17trampoline_kernelINS0_14default_configENS1_27scan_by_key_config_selectorIiiEEZZNS1_16scan_by_key_implILNS1_25lookback_scan_determinismE0ELb0ES3_N6thrust23THRUST_200600_302600_NS6detail15normal_iteratorINS9_10device_ptrIiEEEESE_SE_iNS9_10multipliesIiEENS9_8equal_toIiEEiEE10hipError_tPvRmT2_T3_T4_T5_mT6_T7_P12ihipStream_tbENKUlT_T0_E_clISt17integral_constantIbLb1EESZ_EEDaSU_SV_EUlSU_E_NS1_11comp_targetILNS1_3genE4ELNS1_11target_archE910ELNS1_3gpuE8ELNS1_3repE0EEENS1_30default_config_static_selectorELNS0_4arch9wavefront6targetE0EEEvT1_
	.p2align	8
	.type	_ZN7rocprim17ROCPRIM_400000_NS6detail17trampoline_kernelINS0_14default_configENS1_27scan_by_key_config_selectorIiiEEZZNS1_16scan_by_key_implILNS1_25lookback_scan_determinismE0ELb0ES3_N6thrust23THRUST_200600_302600_NS6detail15normal_iteratorINS9_10device_ptrIiEEEESE_SE_iNS9_10multipliesIiEENS9_8equal_toIiEEiEE10hipError_tPvRmT2_T3_T4_T5_mT6_T7_P12ihipStream_tbENKUlT_T0_E_clISt17integral_constantIbLb1EESZ_EEDaSU_SV_EUlSU_E_NS1_11comp_targetILNS1_3genE4ELNS1_11target_archE910ELNS1_3gpuE8ELNS1_3repE0EEENS1_30default_config_static_selectorELNS0_4arch9wavefront6targetE0EEEvT1_,@function
_ZN7rocprim17ROCPRIM_400000_NS6detail17trampoline_kernelINS0_14default_configENS1_27scan_by_key_config_selectorIiiEEZZNS1_16scan_by_key_implILNS1_25lookback_scan_determinismE0ELb0ES3_N6thrust23THRUST_200600_302600_NS6detail15normal_iteratorINS9_10device_ptrIiEEEESE_SE_iNS9_10multipliesIiEENS9_8equal_toIiEEiEE10hipError_tPvRmT2_T3_T4_T5_mT6_T7_P12ihipStream_tbENKUlT_T0_E_clISt17integral_constantIbLb1EESZ_EEDaSU_SV_EUlSU_E_NS1_11comp_targetILNS1_3genE4ELNS1_11target_archE910ELNS1_3gpuE8ELNS1_3repE0EEENS1_30default_config_static_selectorELNS0_4arch9wavefront6targetE0EEEvT1_: ; @_ZN7rocprim17ROCPRIM_400000_NS6detail17trampoline_kernelINS0_14default_configENS1_27scan_by_key_config_selectorIiiEEZZNS1_16scan_by_key_implILNS1_25lookback_scan_determinismE0ELb0ES3_N6thrust23THRUST_200600_302600_NS6detail15normal_iteratorINS9_10device_ptrIiEEEESE_SE_iNS9_10multipliesIiEENS9_8equal_toIiEEiEE10hipError_tPvRmT2_T3_T4_T5_mT6_T7_P12ihipStream_tbENKUlT_T0_E_clISt17integral_constantIbLb1EESZ_EEDaSU_SV_EUlSU_E_NS1_11comp_targetILNS1_3genE4ELNS1_11target_archE910ELNS1_3gpuE8ELNS1_3repE0EEENS1_30default_config_static_selectorELNS0_4arch9wavefront6targetE0EEEvT1_
; %bb.0:
	.section	.rodata,"a",@progbits
	.p2align	6, 0x0
	.amdhsa_kernel _ZN7rocprim17ROCPRIM_400000_NS6detail17trampoline_kernelINS0_14default_configENS1_27scan_by_key_config_selectorIiiEEZZNS1_16scan_by_key_implILNS1_25lookback_scan_determinismE0ELb0ES3_N6thrust23THRUST_200600_302600_NS6detail15normal_iteratorINS9_10device_ptrIiEEEESE_SE_iNS9_10multipliesIiEENS9_8equal_toIiEEiEE10hipError_tPvRmT2_T3_T4_T5_mT6_T7_P12ihipStream_tbENKUlT_T0_E_clISt17integral_constantIbLb1EESZ_EEDaSU_SV_EUlSU_E_NS1_11comp_targetILNS1_3genE4ELNS1_11target_archE910ELNS1_3gpuE8ELNS1_3repE0EEENS1_30default_config_static_selectorELNS0_4arch9wavefront6targetE0EEEvT1_
		.amdhsa_group_segment_fixed_size 0
		.amdhsa_private_segment_fixed_size 0
		.amdhsa_kernarg_size 112
		.amdhsa_user_sgpr_count 6
		.amdhsa_user_sgpr_private_segment_buffer 1
		.amdhsa_user_sgpr_dispatch_ptr 0
		.amdhsa_user_sgpr_queue_ptr 0
		.amdhsa_user_sgpr_kernarg_segment_ptr 1
		.amdhsa_user_sgpr_dispatch_id 0
		.amdhsa_user_sgpr_flat_scratch_init 0
		.amdhsa_user_sgpr_private_segment_size 0
		.amdhsa_wavefront_size32 1
		.amdhsa_uses_dynamic_stack 0
		.amdhsa_system_sgpr_private_segment_wavefront_offset 0
		.amdhsa_system_sgpr_workgroup_id_x 1
		.amdhsa_system_sgpr_workgroup_id_y 0
		.amdhsa_system_sgpr_workgroup_id_z 0
		.amdhsa_system_sgpr_workgroup_info 0
		.amdhsa_system_vgpr_workitem_id 0
		.amdhsa_next_free_vgpr 1
		.amdhsa_next_free_sgpr 1
		.amdhsa_reserve_vcc 0
		.amdhsa_reserve_flat_scratch 0
		.amdhsa_float_round_mode_32 0
		.amdhsa_float_round_mode_16_64 0
		.amdhsa_float_denorm_mode_32 3
		.amdhsa_float_denorm_mode_16_64 3
		.amdhsa_dx10_clamp 1
		.amdhsa_ieee_mode 1
		.amdhsa_fp16_overflow 0
		.amdhsa_workgroup_processor_mode 1
		.amdhsa_memory_ordered 1
		.amdhsa_forward_progress 1
		.amdhsa_shared_vgpr_count 0
		.amdhsa_exception_fp_ieee_invalid_op 0
		.amdhsa_exception_fp_denorm_src 0
		.amdhsa_exception_fp_ieee_div_zero 0
		.amdhsa_exception_fp_ieee_overflow 0
		.amdhsa_exception_fp_ieee_underflow 0
		.amdhsa_exception_fp_ieee_inexact 0
		.amdhsa_exception_int_div_zero 0
	.end_amdhsa_kernel
	.section	.text._ZN7rocprim17ROCPRIM_400000_NS6detail17trampoline_kernelINS0_14default_configENS1_27scan_by_key_config_selectorIiiEEZZNS1_16scan_by_key_implILNS1_25lookback_scan_determinismE0ELb0ES3_N6thrust23THRUST_200600_302600_NS6detail15normal_iteratorINS9_10device_ptrIiEEEESE_SE_iNS9_10multipliesIiEENS9_8equal_toIiEEiEE10hipError_tPvRmT2_T3_T4_T5_mT6_T7_P12ihipStream_tbENKUlT_T0_E_clISt17integral_constantIbLb1EESZ_EEDaSU_SV_EUlSU_E_NS1_11comp_targetILNS1_3genE4ELNS1_11target_archE910ELNS1_3gpuE8ELNS1_3repE0EEENS1_30default_config_static_selectorELNS0_4arch9wavefront6targetE0EEEvT1_,"axG",@progbits,_ZN7rocprim17ROCPRIM_400000_NS6detail17trampoline_kernelINS0_14default_configENS1_27scan_by_key_config_selectorIiiEEZZNS1_16scan_by_key_implILNS1_25lookback_scan_determinismE0ELb0ES3_N6thrust23THRUST_200600_302600_NS6detail15normal_iteratorINS9_10device_ptrIiEEEESE_SE_iNS9_10multipliesIiEENS9_8equal_toIiEEiEE10hipError_tPvRmT2_T3_T4_T5_mT6_T7_P12ihipStream_tbENKUlT_T0_E_clISt17integral_constantIbLb1EESZ_EEDaSU_SV_EUlSU_E_NS1_11comp_targetILNS1_3genE4ELNS1_11target_archE910ELNS1_3gpuE8ELNS1_3repE0EEENS1_30default_config_static_selectorELNS0_4arch9wavefront6targetE0EEEvT1_,comdat
.Lfunc_end176:
	.size	_ZN7rocprim17ROCPRIM_400000_NS6detail17trampoline_kernelINS0_14default_configENS1_27scan_by_key_config_selectorIiiEEZZNS1_16scan_by_key_implILNS1_25lookback_scan_determinismE0ELb0ES3_N6thrust23THRUST_200600_302600_NS6detail15normal_iteratorINS9_10device_ptrIiEEEESE_SE_iNS9_10multipliesIiEENS9_8equal_toIiEEiEE10hipError_tPvRmT2_T3_T4_T5_mT6_T7_P12ihipStream_tbENKUlT_T0_E_clISt17integral_constantIbLb1EESZ_EEDaSU_SV_EUlSU_E_NS1_11comp_targetILNS1_3genE4ELNS1_11target_archE910ELNS1_3gpuE8ELNS1_3repE0EEENS1_30default_config_static_selectorELNS0_4arch9wavefront6targetE0EEEvT1_, .Lfunc_end176-_ZN7rocprim17ROCPRIM_400000_NS6detail17trampoline_kernelINS0_14default_configENS1_27scan_by_key_config_selectorIiiEEZZNS1_16scan_by_key_implILNS1_25lookback_scan_determinismE0ELb0ES3_N6thrust23THRUST_200600_302600_NS6detail15normal_iteratorINS9_10device_ptrIiEEEESE_SE_iNS9_10multipliesIiEENS9_8equal_toIiEEiEE10hipError_tPvRmT2_T3_T4_T5_mT6_T7_P12ihipStream_tbENKUlT_T0_E_clISt17integral_constantIbLb1EESZ_EEDaSU_SV_EUlSU_E_NS1_11comp_targetILNS1_3genE4ELNS1_11target_archE910ELNS1_3gpuE8ELNS1_3repE0EEENS1_30default_config_static_selectorELNS0_4arch9wavefront6targetE0EEEvT1_
                                        ; -- End function
	.set _ZN7rocprim17ROCPRIM_400000_NS6detail17trampoline_kernelINS0_14default_configENS1_27scan_by_key_config_selectorIiiEEZZNS1_16scan_by_key_implILNS1_25lookback_scan_determinismE0ELb0ES3_N6thrust23THRUST_200600_302600_NS6detail15normal_iteratorINS9_10device_ptrIiEEEESE_SE_iNS9_10multipliesIiEENS9_8equal_toIiEEiEE10hipError_tPvRmT2_T3_T4_T5_mT6_T7_P12ihipStream_tbENKUlT_T0_E_clISt17integral_constantIbLb1EESZ_EEDaSU_SV_EUlSU_E_NS1_11comp_targetILNS1_3genE4ELNS1_11target_archE910ELNS1_3gpuE8ELNS1_3repE0EEENS1_30default_config_static_selectorELNS0_4arch9wavefront6targetE0EEEvT1_.num_vgpr, 0
	.set _ZN7rocprim17ROCPRIM_400000_NS6detail17trampoline_kernelINS0_14default_configENS1_27scan_by_key_config_selectorIiiEEZZNS1_16scan_by_key_implILNS1_25lookback_scan_determinismE0ELb0ES3_N6thrust23THRUST_200600_302600_NS6detail15normal_iteratorINS9_10device_ptrIiEEEESE_SE_iNS9_10multipliesIiEENS9_8equal_toIiEEiEE10hipError_tPvRmT2_T3_T4_T5_mT6_T7_P12ihipStream_tbENKUlT_T0_E_clISt17integral_constantIbLb1EESZ_EEDaSU_SV_EUlSU_E_NS1_11comp_targetILNS1_3genE4ELNS1_11target_archE910ELNS1_3gpuE8ELNS1_3repE0EEENS1_30default_config_static_selectorELNS0_4arch9wavefront6targetE0EEEvT1_.num_agpr, 0
	.set _ZN7rocprim17ROCPRIM_400000_NS6detail17trampoline_kernelINS0_14default_configENS1_27scan_by_key_config_selectorIiiEEZZNS1_16scan_by_key_implILNS1_25lookback_scan_determinismE0ELb0ES3_N6thrust23THRUST_200600_302600_NS6detail15normal_iteratorINS9_10device_ptrIiEEEESE_SE_iNS9_10multipliesIiEENS9_8equal_toIiEEiEE10hipError_tPvRmT2_T3_T4_T5_mT6_T7_P12ihipStream_tbENKUlT_T0_E_clISt17integral_constantIbLb1EESZ_EEDaSU_SV_EUlSU_E_NS1_11comp_targetILNS1_3genE4ELNS1_11target_archE910ELNS1_3gpuE8ELNS1_3repE0EEENS1_30default_config_static_selectorELNS0_4arch9wavefront6targetE0EEEvT1_.numbered_sgpr, 0
	.set _ZN7rocprim17ROCPRIM_400000_NS6detail17trampoline_kernelINS0_14default_configENS1_27scan_by_key_config_selectorIiiEEZZNS1_16scan_by_key_implILNS1_25lookback_scan_determinismE0ELb0ES3_N6thrust23THRUST_200600_302600_NS6detail15normal_iteratorINS9_10device_ptrIiEEEESE_SE_iNS9_10multipliesIiEENS9_8equal_toIiEEiEE10hipError_tPvRmT2_T3_T4_T5_mT6_T7_P12ihipStream_tbENKUlT_T0_E_clISt17integral_constantIbLb1EESZ_EEDaSU_SV_EUlSU_E_NS1_11comp_targetILNS1_3genE4ELNS1_11target_archE910ELNS1_3gpuE8ELNS1_3repE0EEENS1_30default_config_static_selectorELNS0_4arch9wavefront6targetE0EEEvT1_.num_named_barrier, 0
	.set _ZN7rocprim17ROCPRIM_400000_NS6detail17trampoline_kernelINS0_14default_configENS1_27scan_by_key_config_selectorIiiEEZZNS1_16scan_by_key_implILNS1_25lookback_scan_determinismE0ELb0ES3_N6thrust23THRUST_200600_302600_NS6detail15normal_iteratorINS9_10device_ptrIiEEEESE_SE_iNS9_10multipliesIiEENS9_8equal_toIiEEiEE10hipError_tPvRmT2_T3_T4_T5_mT6_T7_P12ihipStream_tbENKUlT_T0_E_clISt17integral_constantIbLb1EESZ_EEDaSU_SV_EUlSU_E_NS1_11comp_targetILNS1_3genE4ELNS1_11target_archE910ELNS1_3gpuE8ELNS1_3repE0EEENS1_30default_config_static_selectorELNS0_4arch9wavefront6targetE0EEEvT1_.private_seg_size, 0
	.set _ZN7rocprim17ROCPRIM_400000_NS6detail17trampoline_kernelINS0_14default_configENS1_27scan_by_key_config_selectorIiiEEZZNS1_16scan_by_key_implILNS1_25lookback_scan_determinismE0ELb0ES3_N6thrust23THRUST_200600_302600_NS6detail15normal_iteratorINS9_10device_ptrIiEEEESE_SE_iNS9_10multipliesIiEENS9_8equal_toIiEEiEE10hipError_tPvRmT2_T3_T4_T5_mT6_T7_P12ihipStream_tbENKUlT_T0_E_clISt17integral_constantIbLb1EESZ_EEDaSU_SV_EUlSU_E_NS1_11comp_targetILNS1_3genE4ELNS1_11target_archE910ELNS1_3gpuE8ELNS1_3repE0EEENS1_30default_config_static_selectorELNS0_4arch9wavefront6targetE0EEEvT1_.uses_vcc, 0
	.set _ZN7rocprim17ROCPRIM_400000_NS6detail17trampoline_kernelINS0_14default_configENS1_27scan_by_key_config_selectorIiiEEZZNS1_16scan_by_key_implILNS1_25lookback_scan_determinismE0ELb0ES3_N6thrust23THRUST_200600_302600_NS6detail15normal_iteratorINS9_10device_ptrIiEEEESE_SE_iNS9_10multipliesIiEENS9_8equal_toIiEEiEE10hipError_tPvRmT2_T3_T4_T5_mT6_T7_P12ihipStream_tbENKUlT_T0_E_clISt17integral_constantIbLb1EESZ_EEDaSU_SV_EUlSU_E_NS1_11comp_targetILNS1_3genE4ELNS1_11target_archE910ELNS1_3gpuE8ELNS1_3repE0EEENS1_30default_config_static_selectorELNS0_4arch9wavefront6targetE0EEEvT1_.uses_flat_scratch, 0
	.set _ZN7rocprim17ROCPRIM_400000_NS6detail17trampoline_kernelINS0_14default_configENS1_27scan_by_key_config_selectorIiiEEZZNS1_16scan_by_key_implILNS1_25lookback_scan_determinismE0ELb0ES3_N6thrust23THRUST_200600_302600_NS6detail15normal_iteratorINS9_10device_ptrIiEEEESE_SE_iNS9_10multipliesIiEENS9_8equal_toIiEEiEE10hipError_tPvRmT2_T3_T4_T5_mT6_T7_P12ihipStream_tbENKUlT_T0_E_clISt17integral_constantIbLb1EESZ_EEDaSU_SV_EUlSU_E_NS1_11comp_targetILNS1_3genE4ELNS1_11target_archE910ELNS1_3gpuE8ELNS1_3repE0EEENS1_30default_config_static_selectorELNS0_4arch9wavefront6targetE0EEEvT1_.has_dyn_sized_stack, 0
	.set _ZN7rocprim17ROCPRIM_400000_NS6detail17trampoline_kernelINS0_14default_configENS1_27scan_by_key_config_selectorIiiEEZZNS1_16scan_by_key_implILNS1_25lookback_scan_determinismE0ELb0ES3_N6thrust23THRUST_200600_302600_NS6detail15normal_iteratorINS9_10device_ptrIiEEEESE_SE_iNS9_10multipliesIiEENS9_8equal_toIiEEiEE10hipError_tPvRmT2_T3_T4_T5_mT6_T7_P12ihipStream_tbENKUlT_T0_E_clISt17integral_constantIbLb1EESZ_EEDaSU_SV_EUlSU_E_NS1_11comp_targetILNS1_3genE4ELNS1_11target_archE910ELNS1_3gpuE8ELNS1_3repE0EEENS1_30default_config_static_selectorELNS0_4arch9wavefront6targetE0EEEvT1_.has_recursion, 0
	.set _ZN7rocprim17ROCPRIM_400000_NS6detail17trampoline_kernelINS0_14default_configENS1_27scan_by_key_config_selectorIiiEEZZNS1_16scan_by_key_implILNS1_25lookback_scan_determinismE0ELb0ES3_N6thrust23THRUST_200600_302600_NS6detail15normal_iteratorINS9_10device_ptrIiEEEESE_SE_iNS9_10multipliesIiEENS9_8equal_toIiEEiEE10hipError_tPvRmT2_T3_T4_T5_mT6_T7_P12ihipStream_tbENKUlT_T0_E_clISt17integral_constantIbLb1EESZ_EEDaSU_SV_EUlSU_E_NS1_11comp_targetILNS1_3genE4ELNS1_11target_archE910ELNS1_3gpuE8ELNS1_3repE0EEENS1_30default_config_static_selectorELNS0_4arch9wavefront6targetE0EEEvT1_.has_indirect_call, 0
	.section	.AMDGPU.csdata,"",@progbits
; Kernel info:
; codeLenInByte = 0
; TotalNumSgprs: 0
; NumVgprs: 0
; ScratchSize: 0
; MemoryBound: 0
; FloatMode: 240
; IeeeMode: 1
; LDSByteSize: 0 bytes/workgroup (compile time only)
; SGPRBlocks: 0
; VGPRBlocks: 0
; NumSGPRsForWavesPerEU: 1
; NumVGPRsForWavesPerEU: 1
; Occupancy: 16
; WaveLimiterHint : 0
; COMPUTE_PGM_RSRC2:SCRATCH_EN: 0
; COMPUTE_PGM_RSRC2:USER_SGPR: 6
; COMPUTE_PGM_RSRC2:TRAP_HANDLER: 0
; COMPUTE_PGM_RSRC2:TGID_X_EN: 1
; COMPUTE_PGM_RSRC2:TGID_Y_EN: 0
; COMPUTE_PGM_RSRC2:TGID_Z_EN: 0
; COMPUTE_PGM_RSRC2:TIDIG_COMP_CNT: 0
	.section	.text._ZN7rocprim17ROCPRIM_400000_NS6detail17trampoline_kernelINS0_14default_configENS1_27scan_by_key_config_selectorIiiEEZZNS1_16scan_by_key_implILNS1_25lookback_scan_determinismE0ELb0ES3_N6thrust23THRUST_200600_302600_NS6detail15normal_iteratorINS9_10device_ptrIiEEEESE_SE_iNS9_10multipliesIiEENS9_8equal_toIiEEiEE10hipError_tPvRmT2_T3_T4_T5_mT6_T7_P12ihipStream_tbENKUlT_T0_E_clISt17integral_constantIbLb1EESZ_EEDaSU_SV_EUlSU_E_NS1_11comp_targetILNS1_3genE3ELNS1_11target_archE908ELNS1_3gpuE7ELNS1_3repE0EEENS1_30default_config_static_selectorELNS0_4arch9wavefront6targetE0EEEvT1_,"axG",@progbits,_ZN7rocprim17ROCPRIM_400000_NS6detail17trampoline_kernelINS0_14default_configENS1_27scan_by_key_config_selectorIiiEEZZNS1_16scan_by_key_implILNS1_25lookback_scan_determinismE0ELb0ES3_N6thrust23THRUST_200600_302600_NS6detail15normal_iteratorINS9_10device_ptrIiEEEESE_SE_iNS9_10multipliesIiEENS9_8equal_toIiEEiEE10hipError_tPvRmT2_T3_T4_T5_mT6_T7_P12ihipStream_tbENKUlT_T0_E_clISt17integral_constantIbLb1EESZ_EEDaSU_SV_EUlSU_E_NS1_11comp_targetILNS1_3genE3ELNS1_11target_archE908ELNS1_3gpuE7ELNS1_3repE0EEENS1_30default_config_static_selectorELNS0_4arch9wavefront6targetE0EEEvT1_,comdat
	.protected	_ZN7rocprim17ROCPRIM_400000_NS6detail17trampoline_kernelINS0_14default_configENS1_27scan_by_key_config_selectorIiiEEZZNS1_16scan_by_key_implILNS1_25lookback_scan_determinismE0ELb0ES3_N6thrust23THRUST_200600_302600_NS6detail15normal_iteratorINS9_10device_ptrIiEEEESE_SE_iNS9_10multipliesIiEENS9_8equal_toIiEEiEE10hipError_tPvRmT2_T3_T4_T5_mT6_T7_P12ihipStream_tbENKUlT_T0_E_clISt17integral_constantIbLb1EESZ_EEDaSU_SV_EUlSU_E_NS1_11comp_targetILNS1_3genE3ELNS1_11target_archE908ELNS1_3gpuE7ELNS1_3repE0EEENS1_30default_config_static_selectorELNS0_4arch9wavefront6targetE0EEEvT1_ ; -- Begin function _ZN7rocprim17ROCPRIM_400000_NS6detail17trampoline_kernelINS0_14default_configENS1_27scan_by_key_config_selectorIiiEEZZNS1_16scan_by_key_implILNS1_25lookback_scan_determinismE0ELb0ES3_N6thrust23THRUST_200600_302600_NS6detail15normal_iteratorINS9_10device_ptrIiEEEESE_SE_iNS9_10multipliesIiEENS9_8equal_toIiEEiEE10hipError_tPvRmT2_T3_T4_T5_mT6_T7_P12ihipStream_tbENKUlT_T0_E_clISt17integral_constantIbLb1EESZ_EEDaSU_SV_EUlSU_E_NS1_11comp_targetILNS1_3genE3ELNS1_11target_archE908ELNS1_3gpuE7ELNS1_3repE0EEENS1_30default_config_static_selectorELNS0_4arch9wavefront6targetE0EEEvT1_
	.globl	_ZN7rocprim17ROCPRIM_400000_NS6detail17trampoline_kernelINS0_14default_configENS1_27scan_by_key_config_selectorIiiEEZZNS1_16scan_by_key_implILNS1_25lookback_scan_determinismE0ELb0ES3_N6thrust23THRUST_200600_302600_NS6detail15normal_iteratorINS9_10device_ptrIiEEEESE_SE_iNS9_10multipliesIiEENS9_8equal_toIiEEiEE10hipError_tPvRmT2_T3_T4_T5_mT6_T7_P12ihipStream_tbENKUlT_T0_E_clISt17integral_constantIbLb1EESZ_EEDaSU_SV_EUlSU_E_NS1_11comp_targetILNS1_3genE3ELNS1_11target_archE908ELNS1_3gpuE7ELNS1_3repE0EEENS1_30default_config_static_selectorELNS0_4arch9wavefront6targetE0EEEvT1_
	.p2align	8
	.type	_ZN7rocprim17ROCPRIM_400000_NS6detail17trampoline_kernelINS0_14default_configENS1_27scan_by_key_config_selectorIiiEEZZNS1_16scan_by_key_implILNS1_25lookback_scan_determinismE0ELb0ES3_N6thrust23THRUST_200600_302600_NS6detail15normal_iteratorINS9_10device_ptrIiEEEESE_SE_iNS9_10multipliesIiEENS9_8equal_toIiEEiEE10hipError_tPvRmT2_T3_T4_T5_mT6_T7_P12ihipStream_tbENKUlT_T0_E_clISt17integral_constantIbLb1EESZ_EEDaSU_SV_EUlSU_E_NS1_11comp_targetILNS1_3genE3ELNS1_11target_archE908ELNS1_3gpuE7ELNS1_3repE0EEENS1_30default_config_static_selectorELNS0_4arch9wavefront6targetE0EEEvT1_,@function
_ZN7rocprim17ROCPRIM_400000_NS6detail17trampoline_kernelINS0_14default_configENS1_27scan_by_key_config_selectorIiiEEZZNS1_16scan_by_key_implILNS1_25lookback_scan_determinismE0ELb0ES3_N6thrust23THRUST_200600_302600_NS6detail15normal_iteratorINS9_10device_ptrIiEEEESE_SE_iNS9_10multipliesIiEENS9_8equal_toIiEEiEE10hipError_tPvRmT2_T3_T4_T5_mT6_T7_P12ihipStream_tbENKUlT_T0_E_clISt17integral_constantIbLb1EESZ_EEDaSU_SV_EUlSU_E_NS1_11comp_targetILNS1_3genE3ELNS1_11target_archE908ELNS1_3gpuE7ELNS1_3repE0EEENS1_30default_config_static_selectorELNS0_4arch9wavefront6targetE0EEEvT1_: ; @_ZN7rocprim17ROCPRIM_400000_NS6detail17trampoline_kernelINS0_14default_configENS1_27scan_by_key_config_selectorIiiEEZZNS1_16scan_by_key_implILNS1_25lookback_scan_determinismE0ELb0ES3_N6thrust23THRUST_200600_302600_NS6detail15normal_iteratorINS9_10device_ptrIiEEEESE_SE_iNS9_10multipliesIiEENS9_8equal_toIiEEiEE10hipError_tPvRmT2_T3_T4_T5_mT6_T7_P12ihipStream_tbENKUlT_T0_E_clISt17integral_constantIbLb1EESZ_EEDaSU_SV_EUlSU_E_NS1_11comp_targetILNS1_3genE3ELNS1_11target_archE908ELNS1_3gpuE7ELNS1_3repE0EEENS1_30default_config_static_selectorELNS0_4arch9wavefront6targetE0EEEvT1_
; %bb.0:
	.section	.rodata,"a",@progbits
	.p2align	6, 0x0
	.amdhsa_kernel _ZN7rocprim17ROCPRIM_400000_NS6detail17trampoline_kernelINS0_14default_configENS1_27scan_by_key_config_selectorIiiEEZZNS1_16scan_by_key_implILNS1_25lookback_scan_determinismE0ELb0ES3_N6thrust23THRUST_200600_302600_NS6detail15normal_iteratorINS9_10device_ptrIiEEEESE_SE_iNS9_10multipliesIiEENS9_8equal_toIiEEiEE10hipError_tPvRmT2_T3_T4_T5_mT6_T7_P12ihipStream_tbENKUlT_T0_E_clISt17integral_constantIbLb1EESZ_EEDaSU_SV_EUlSU_E_NS1_11comp_targetILNS1_3genE3ELNS1_11target_archE908ELNS1_3gpuE7ELNS1_3repE0EEENS1_30default_config_static_selectorELNS0_4arch9wavefront6targetE0EEEvT1_
		.amdhsa_group_segment_fixed_size 0
		.amdhsa_private_segment_fixed_size 0
		.amdhsa_kernarg_size 112
		.amdhsa_user_sgpr_count 6
		.amdhsa_user_sgpr_private_segment_buffer 1
		.amdhsa_user_sgpr_dispatch_ptr 0
		.amdhsa_user_sgpr_queue_ptr 0
		.amdhsa_user_sgpr_kernarg_segment_ptr 1
		.amdhsa_user_sgpr_dispatch_id 0
		.amdhsa_user_sgpr_flat_scratch_init 0
		.amdhsa_user_sgpr_private_segment_size 0
		.amdhsa_wavefront_size32 1
		.amdhsa_uses_dynamic_stack 0
		.amdhsa_system_sgpr_private_segment_wavefront_offset 0
		.amdhsa_system_sgpr_workgroup_id_x 1
		.amdhsa_system_sgpr_workgroup_id_y 0
		.amdhsa_system_sgpr_workgroup_id_z 0
		.amdhsa_system_sgpr_workgroup_info 0
		.amdhsa_system_vgpr_workitem_id 0
		.amdhsa_next_free_vgpr 1
		.amdhsa_next_free_sgpr 1
		.amdhsa_reserve_vcc 0
		.amdhsa_reserve_flat_scratch 0
		.amdhsa_float_round_mode_32 0
		.amdhsa_float_round_mode_16_64 0
		.amdhsa_float_denorm_mode_32 3
		.amdhsa_float_denorm_mode_16_64 3
		.amdhsa_dx10_clamp 1
		.amdhsa_ieee_mode 1
		.amdhsa_fp16_overflow 0
		.amdhsa_workgroup_processor_mode 1
		.amdhsa_memory_ordered 1
		.amdhsa_forward_progress 1
		.amdhsa_shared_vgpr_count 0
		.amdhsa_exception_fp_ieee_invalid_op 0
		.amdhsa_exception_fp_denorm_src 0
		.amdhsa_exception_fp_ieee_div_zero 0
		.amdhsa_exception_fp_ieee_overflow 0
		.amdhsa_exception_fp_ieee_underflow 0
		.amdhsa_exception_fp_ieee_inexact 0
		.amdhsa_exception_int_div_zero 0
	.end_amdhsa_kernel
	.section	.text._ZN7rocprim17ROCPRIM_400000_NS6detail17trampoline_kernelINS0_14default_configENS1_27scan_by_key_config_selectorIiiEEZZNS1_16scan_by_key_implILNS1_25lookback_scan_determinismE0ELb0ES3_N6thrust23THRUST_200600_302600_NS6detail15normal_iteratorINS9_10device_ptrIiEEEESE_SE_iNS9_10multipliesIiEENS9_8equal_toIiEEiEE10hipError_tPvRmT2_T3_T4_T5_mT6_T7_P12ihipStream_tbENKUlT_T0_E_clISt17integral_constantIbLb1EESZ_EEDaSU_SV_EUlSU_E_NS1_11comp_targetILNS1_3genE3ELNS1_11target_archE908ELNS1_3gpuE7ELNS1_3repE0EEENS1_30default_config_static_selectorELNS0_4arch9wavefront6targetE0EEEvT1_,"axG",@progbits,_ZN7rocprim17ROCPRIM_400000_NS6detail17trampoline_kernelINS0_14default_configENS1_27scan_by_key_config_selectorIiiEEZZNS1_16scan_by_key_implILNS1_25lookback_scan_determinismE0ELb0ES3_N6thrust23THRUST_200600_302600_NS6detail15normal_iteratorINS9_10device_ptrIiEEEESE_SE_iNS9_10multipliesIiEENS9_8equal_toIiEEiEE10hipError_tPvRmT2_T3_T4_T5_mT6_T7_P12ihipStream_tbENKUlT_T0_E_clISt17integral_constantIbLb1EESZ_EEDaSU_SV_EUlSU_E_NS1_11comp_targetILNS1_3genE3ELNS1_11target_archE908ELNS1_3gpuE7ELNS1_3repE0EEENS1_30default_config_static_selectorELNS0_4arch9wavefront6targetE0EEEvT1_,comdat
.Lfunc_end177:
	.size	_ZN7rocprim17ROCPRIM_400000_NS6detail17trampoline_kernelINS0_14default_configENS1_27scan_by_key_config_selectorIiiEEZZNS1_16scan_by_key_implILNS1_25lookback_scan_determinismE0ELb0ES3_N6thrust23THRUST_200600_302600_NS6detail15normal_iteratorINS9_10device_ptrIiEEEESE_SE_iNS9_10multipliesIiEENS9_8equal_toIiEEiEE10hipError_tPvRmT2_T3_T4_T5_mT6_T7_P12ihipStream_tbENKUlT_T0_E_clISt17integral_constantIbLb1EESZ_EEDaSU_SV_EUlSU_E_NS1_11comp_targetILNS1_3genE3ELNS1_11target_archE908ELNS1_3gpuE7ELNS1_3repE0EEENS1_30default_config_static_selectorELNS0_4arch9wavefront6targetE0EEEvT1_, .Lfunc_end177-_ZN7rocprim17ROCPRIM_400000_NS6detail17trampoline_kernelINS0_14default_configENS1_27scan_by_key_config_selectorIiiEEZZNS1_16scan_by_key_implILNS1_25lookback_scan_determinismE0ELb0ES3_N6thrust23THRUST_200600_302600_NS6detail15normal_iteratorINS9_10device_ptrIiEEEESE_SE_iNS9_10multipliesIiEENS9_8equal_toIiEEiEE10hipError_tPvRmT2_T3_T4_T5_mT6_T7_P12ihipStream_tbENKUlT_T0_E_clISt17integral_constantIbLb1EESZ_EEDaSU_SV_EUlSU_E_NS1_11comp_targetILNS1_3genE3ELNS1_11target_archE908ELNS1_3gpuE7ELNS1_3repE0EEENS1_30default_config_static_selectorELNS0_4arch9wavefront6targetE0EEEvT1_
                                        ; -- End function
	.set _ZN7rocprim17ROCPRIM_400000_NS6detail17trampoline_kernelINS0_14default_configENS1_27scan_by_key_config_selectorIiiEEZZNS1_16scan_by_key_implILNS1_25lookback_scan_determinismE0ELb0ES3_N6thrust23THRUST_200600_302600_NS6detail15normal_iteratorINS9_10device_ptrIiEEEESE_SE_iNS9_10multipliesIiEENS9_8equal_toIiEEiEE10hipError_tPvRmT2_T3_T4_T5_mT6_T7_P12ihipStream_tbENKUlT_T0_E_clISt17integral_constantIbLb1EESZ_EEDaSU_SV_EUlSU_E_NS1_11comp_targetILNS1_3genE3ELNS1_11target_archE908ELNS1_3gpuE7ELNS1_3repE0EEENS1_30default_config_static_selectorELNS0_4arch9wavefront6targetE0EEEvT1_.num_vgpr, 0
	.set _ZN7rocprim17ROCPRIM_400000_NS6detail17trampoline_kernelINS0_14default_configENS1_27scan_by_key_config_selectorIiiEEZZNS1_16scan_by_key_implILNS1_25lookback_scan_determinismE0ELb0ES3_N6thrust23THRUST_200600_302600_NS6detail15normal_iteratorINS9_10device_ptrIiEEEESE_SE_iNS9_10multipliesIiEENS9_8equal_toIiEEiEE10hipError_tPvRmT2_T3_T4_T5_mT6_T7_P12ihipStream_tbENKUlT_T0_E_clISt17integral_constantIbLb1EESZ_EEDaSU_SV_EUlSU_E_NS1_11comp_targetILNS1_3genE3ELNS1_11target_archE908ELNS1_3gpuE7ELNS1_3repE0EEENS1_30default_config_static_selectorELNS0_4arch9wavefront6targetE0EEEvT1_.num_agpr, 0
	.set _ZN7rocprim17ROCPRIM_400000_NS6detail17trampoline_kernelINS0_14default_configENS1_27scan_by_key_config_selectorIiiEEZZNS1_16scan_by_key_implILNS1_25lookback_scan_determinismE0ELb0ES3_N6thrust23THRUST_200600_302600_NS6detail15normal_iteratorINS9_10device_ptrIiEEEESE_SE_iNS9_10multipliesIiEENS9_8equal_toIiEEiEE10hipError_tPvRmT2_T3_T4_T5_mT6_T7_P12ihipStream_tbENKUlT_T0_E_clISt17integral_constantIbLb1EESZ_EEDaSU_SV_EUlSU_E_NS1_11comp_targetILNS1_3genE3ELNS1_11target_archE908ELNS1_3gpuE7ELNS1_3repE0EEENS1_30default_config_static_selectorELNS0_4arch9wavefront6targetE0EEEvT1_.numbered_sgpr, 0
	.set _ZN7rocprim17ROCPRIM_400000_NS6detail17trampoline_kernelINS0_14default_configENS1_27scan_by_key_config_selectorIiiEEZZNS1_16scan_by_key_implILNS1_25lookback_scan_determinismE0ELb0ES3_N6thrust23THRUST_200600_302600_NS6detail15normal_iteratorINS9_10device_ptrIiEEEESE_SE_iNS9_10multipliesIiEENS9_8equal_toIiEEiEE10hipError_tPvRmT2_T3_T4_T5_mT6_T7_P12ihipStream_tbENKUlT_T0_E_clISt17integral_constantIbLb1EESZ_EEDaSU_SV_EUlSU_E_NS1_11comp_targetILNS1_3genE3ELNS1_11target_archE908ELNS1_3gpuE7ELNS1_3repE0EEENS1_30default_config_static_selectorELNS0_4arch9wavefront6targetE0EEEvT1_.num_named_barrier, 0
	.set _ZN7rocprim17ROCPRIM_400000_NS6detail17trampoline_kernelINS0_14default_configENS1_27scan_by_key_config_selectorIiiEEZZNS1_16scan_by_key_implILNS1_25lookback_scan_determinismE0ELb0ES3_N6thrust23THRUST_200600_302600_NS6detail15normal_iteratorINS9_10device_ptrIiEEEESE_SE_iNS9_10multipliesIiEENS9_8equal_toIiEEiEE10hipError_tPvRmT2_T3_T4_T5_mT6_T7_P12ihipStream_tbENKUlT_T0_E_clISt17integral_constantIbLb1EESZ_EEDaSU_SV_EUlSU_E_NS1_11comp_targetILNS1_3genE3ELNS1_11target_archE908ELNS1_3gpuE7ELNS1_3repE0EEENS1_30default_config_static_selectorELNS0_4arch9wavefront6targetE0EEEvT1_.private_seg_size, 0
	.set _ZN7rocprim17ROCPRIM_400000_NS6detail17trampoline_kernelINS0_14default_configENS1_27scan_by_key_config_selectorIiiEEZZNS1_16scan_by_key_implILNS1_25lookback_scan_determinismE0ELb0ES3_N6thrust23THRUST_200600_302600_NS6detail15normal_iteratorINS9_10device_ptrIiEEEESE_SE_iNS9_10multipliesIiEENS9_8equal_toIiEEiEE10hipError_tPvRmT2_T3_T4_T5_mT6_T7_P12ihipStream_tbENKUlT_T0_E_clISt17integral_constantIbLb1EESZ_EEDaSU_SV_EUlSU_E_NS1_11comp_targetILNS1_3genE3ELNS1_11target_archE908ELNS1_3gpuE7ELNS1_3repE0EEENS1_30default_config_static_selectorELNS0_4arch9wavefront6targetE0EEEvT1_.uses_vcc, 0
	.set _ZN7rocprim17ROCPRIM_400000_NS6detail17trampoline_kernelINS0_14default_configENS1_27scan_by_key_config_selectorIiiEEZZNS1_16scan_by_key_implILNS1_25lookback_scan_determinismE0ELb0ES3_N6thrust23THRUST_200600_302600_NS6detail15normal_iteratorINS9_10device_ptrIiEEEESE_SE_iNS9_10multipliesIiEENS9_8equal_toIiEEiEE10hipError_tPvRmT2_T3_T4_T5_mT6_T7_P12ihipStream_tbENKUlT_T0_E_clISt17integral_constantIbLb1EESZ_EEDaSU_SV_EUlSU_E_NS1_11comp_targetILNS1_3genE3ELNS1_11target_archE908ELNS1_3gpuE7ELNS1_3repE0EEENS1_30default_config_static_selectorELNS0_4arch9wavefront6targetE0EEEvT1_.uses_flat_scratch, 0
	.set _ZN7rocprim17ROCPRIM_400000_NS6detail17trampoline_kernelINS0_14default_configENS1_27scan_by_key_config_selectorIiiEEZZNS1_16scan_by_key_implILNS1_25lookback_scan_determinismE0ELb0ES3_N6thrust23THRUST_200600_302600_NS6detail15normal_iteratorINS9_10device_ptrIiEEEESE_SE_iNS9_10multipliesIiEENS9_8equal_toIiEEiEE10hipError_tPvRmT2_T3_T4_T5_mT6_T7_P12ihipStream_tbENKUlT_T0_E_clISt17integral_constantIbLb1EESZ_EEDaSU_SV_EUlSU_E_NS1_11comp_targetILNS1_3genE3ELNS1_11target_archE908ELNS1_3gpuE7ELNS1_3repE0EEENS1_30default_config_static_selectorELNS0_4arch9wavefront6targetE0EEEvT1_.has_dyn_sized_stack, 0
	.set _ZN7rocprim17ROCPRIM_400000_NS6detail17trampoline_kernelINS0_14default_configENS1_27scan_by_key_config_selectorIiiEEZZNS1_16scan_by_key_implILNS1_25lookback_scan_determinismE0ELb0ES3_N6thrust23THRUST_200600_302600_NS6detail15normal_iteratorINS9_10device_ptrIiEEEESE_SE_iNS9_10multipliesIiEENS9_8equal_toIiEEiEE10hipError_tPvRmT2_T3_T4_T5_mT6_T7_P12ihipStream_tbENKUlT_T0_E_clISt17integral_constantIbLb1EESZ_EEDaSU_SV_EUlSU_E_NS1_11comp_targetILNS1_3genE3ELNS1_11target_archE908ELNS1_3gpuE7ELNS1_3repE0EEENS1_30default_config_static_selectorELNS0_4arch9wavefront6targetE0EEEvT1_.has_recursion, 0
	.set _ZN7rocprim17ROCPRIM_400000_NS6detail17trampoline_kernelINS0_14default_configENS1_27scan_by_key_config_selectorIiiEEZZNS1_16scan_by_key_implILNS1_25lookback_scan_determinismE0ELb0ES3_N6thrust23THRUST_200600_302600_NS6detail15normal_iteratorINS9_10device_ptrIiEEEESE_SE_iNS9_10multipliesIiEENS9_8equal_toIiEEiEE10hipError_tPvRmT2_T3_T4_T5_mT6_T7_P12ihipStream_tbENKUlT_T0_E_clISt17integral_constantIbLb1EESZ_EEDaSU_SV_EUlSU_E_NS1_11comp_targetILNS1_3genE3ELNS1_11target_archE908ELNS1_3gpuE7ELNS1_3repE0EEENS1_30default_config_static_selectorELNS0_4arch9wavefront6targetE0EEEvT1_.has_indirect_call, 0
	.section	.AMDGPU.csdata,"",@progbits
; Kernel info:
; codeLenInByte = 0
; TotalNumSgprs: 0
; NumVgprs: 0
; ScratchSize: 0
; MemoryBound: 0
; FloatMode: 240
; IeeeMode: 1
; LDSByteSize: 0 bytes/workgroup (compile time only)
; SGPRBlocks: 0
; VGPRBlocks: 0
; NumSGPRsForWavesPerEU: 1
; NumVGPRsForWavesPerEU: 1
; Occupancy: 16
; WaveLimiterHint : 0
; COMPUTE_PGM_RSRC2:SCRATCH_EN: 0
; COMPUTE_PGM_RSRC2:USER_SGPR: 6
; COMPUTE_PGM_RSRC2:TRAP_HANDLER: 0
; COMPUTE_PGM_RSRC2:TGID_X_EN: 1
; COMPUTE_PGM_RSRC2:TGID_Y_EN: 0
; COMPUTE_PGM_RSRC2:TGID_Z_EN: 0
; COMPUTE_PGM_RSRC2:TIDIG_COMP_CNT: 0
	.section	.text._ZN7rocprim17ROCPRIM_400000_NS6detail17trampoline_kernelINS0_14default_configENS1_27scan_by_key_config_selectorIiiEEZZNS1_16scan_by_key_implILNS1_25lookback_scan_determinismE0ELb0ES3_N6thrust23THRUST_200600_302600_NS6detail15normal_iteratorINS9_10device_ptrIiEEEESE_SE_iNS9_10multipliesIiEENS9_8equal_toIiEEiEE10hipError_tPvRmT2_T3_T4_T5_mT6_T7_P12ihipStream_tbENKUlT_T0_E_clISt17integral_constantIbLb1EESZ_EEDaSU_SV_EUlSU_E_NS1_11comp_targetILNS1_3genE2ELNS1_11target_archE906ELNS1_3gpuE6ELNS1_3repE0EEENS1_30default_config_static_selectorELNS0_4arch9wavefront6targetE0EEEvT1_,"axG",@progbits,_ZN7rocprim17ROCPRIM_400000_NS6detail17trampoline_kernelINS0_14default_configENS1_27scan_by_key_config_selectorIiiEEZZNS1_16scan_by_key_implILNS1_25lookback_scan_determinismE0ELb0ES3_N6thrust23THRUST_200600_302600_NS6detail15normal_iteratorINS9_10device_ptrIiEEEESE_SE_iNS9_10multipliesIiEENS9_8equal_toIiEEiEE10hipError_tPvRmT2_T3_T4_T5_mT6_T7_P12ihipStream_tbENKUlT_T0_E_clISt17integral_constantIbLb1EESZ_EEDaSU_SV_EUlSU_E_NS1_11comp_targetILNS1_3genE2ELNS1_11target_archE906ELNS1_3gpuE6ELNS1_3repE0EEENS1_30default_config_static_selectorELNS0_4arch9wavefront6targetE0EEEvT1_,comdat
	.protected	_ZN7rocprim17ROCPRIM_400000_NS6detail17trampoline_kernelINS0_14default_configENS1_27scan_by_key_config_selectorIiiEEZZNS1_16scan_by_key_implILNS1_25lookback_scan_determinismE0ELb0ES3_N6thrust23THRUST_200600_302600_NS6detail15normal_iteratorINS9_10device_ptrIiEEEESE_SE_iNS9_10multipliesIiEENS9_8equal_toIiEEiEE10hipError_tPvRmT2_T3_T4_T5_mT6_T7_P12ihipStream_tbENKUlT_T0_E_clISt17integral_constantIbLb1EESZ_EEDaSU_SV_EUlSU_E_NS1_11comp_targetILNS1_3genE2ELNS1_11target_archE906ELNS1_3gpuE6ELNS1_3repE0EEENS1_30default_config_static_selectorELNS0_4arch9wavefront6targetE0EEEvT1_ ; -- Begin function _ZN7rocprim17ROCPRIM_400000_NS6detail17trampoline_kernelINS0_14default_configENS1_27scan_by_key_config_selectorIiiEEZZNS1_16scan_by_key_implILNS1_25lookback_scan_determinismE0ELb0ES3_N6thrust23THRUST_200600_302600_NS6detail15normal_iteratorINS9_10device_ptrIiEEEESE_SE_iNS9_10multipliesIiEENS9_8equal_toIiEEiEE10hipError_tPvRmT2_T3_T4_T5_mT6_T7_P12ihipStream_tbENKUlT_T0_E_clISt17integral_constantIbLb1EESZ_EEDaSU_SV_EUlSU_E_NS1_11comp_targetILNS1_3genE2ELNS1_11target_archE906ELNS1_3gpuE6ELNS1_3repE0EEENS1_30default_config_static_selectorELNS0_4arch9wavefront6targetE0EEEvT1_
	.globl	_ZN7rocprim17ROCPRIM_400000_NS6detail17trampoline_kernelINS0_14default_configENS1_27scan_by_key_config_selectorIiiEEZZNS1_16scan_by_key_implILNS1_25lookback_scan_determinismE0ELb0ES3_N6thrust23THRUST_200600_302600_NS6detail15normal_iteratorINS9_10device_ptrIiEEEESE_SE_iNS9_10multipliesIiEENS9_8equal_toIiEEiEE10hipError_tPvRmT2_T3_T4_T5_mT6_T7_P12ihipStream_tbENKUlT_T0_E_clISt17integral_constantIbLb1EESZ_EEDaSU_SV_EUlSU_E_NS1_11comp_targetILNS1_3genE2ELNS1_11target_archE906ELNS1_3gpuE6ELNS1_3repE0EEENS1_30default_config_static_selectorELNS0_4arch9wavefront6targetE0EEEvT1_
	.p2align	8
	.type	_ZN7rocprim17ROCPRIM_400000_NS6detail17trampoline_kernelINS0_14default_configENS1_27scan_by_key_config_selectorIiiEEZZNS1_16scan_by_key_implILNS1_25lookback_scan_determinismE0ELb0ES3_N6thrust23THRUST_200600_302600_NS6detail15normal_iteratorINS9_10device_ptrIiEEEESE_SE_iNS9_10multipliesIiEENS9_8equal_toIiEEiEE10hipError_tPvRmT2_T3_T4_T5_mT6_T7_P12ihipStream_tbENKUlT_T0_E_clISt17integral_constantIbLb1EESZ_EEDaSU_SV_EUlSU_E_NS1_11comp_targetILNS1_3genE2ELNS1_11target_archE906ELNS1_3gpuE6ELNS1_3repE0EEENS1_30default_config_static_selectorELNS0_4arch9wavefront6targetE0EEEvT1_,@function
_ZN7rocprim17ROCPRIM_400000_NS6detail17trampoline_kernelINS0_14default_configENS1_27scan_by_key_config_selectorIiiEEZZNS1_16scan_by_key_implILNS1_25lookback_scan_determinismE0ELb0ES3_N6thrust23THRUST_200600_302600_NS6detail15normal_iteratorINS9_10device_ptrIiEEEESE_SE_iNS9_10multipliesIiEENS9_8equal_toIiEEiEE10hipError_tPvRmT2_T3_T4_T5_mT6_T7_P12ihipStream_tbENKUlT_T0_E_clISt17integral_constantIbLb1EESZ_EEDaSU_SV_EUlSU_E_NS1_11comp_targetILNS1_3genE2ELNS1_11target_archE906ELNS1_3gpuE6ELNS1_3repE0EEENS1_30default_config_static_selectorELNS0_4arch9wavefront6targetE0EEEvT1_: ; @_ZN7rocprim17ROCPRIM_400000_NS6detail17trampoline_kernelINS0_14default_configENS1_27scan_by_key_config_selectorIiiEEZZNS1_16scan_by_key_implILNS1_25lookback_scan_determinismE0ELb0ES3_N6thrust23THRUST_200600_302600_NS6detail15normal_iteratorINS9_10device_ptrIiEEEESE_SE_iNS9_10multipliesIiEENS9_8equal_toIiEEiEE10hipError_tPvRmT2_T3_T4_T5_mT6_T7_P12ihipStream_tbENKUlT_T0_E_clISt17integral_constantIbLb1EESZ_EEDaSU_SV_EUlSU_E_NS1_11comp_targetILNS1_3genE2ELNS1_11target_archE906ELNS1_3gpuE6ELNS1_3repE0EEENS1_30default_config_static_selectorELNS0_4arch9wavefront6targetE0EEEvT1_
; %bb.0:
	.section	.rodata,"a",@progbits
	.p2align	6, 0x0
	.amdhsa_kernel _ZN7rocprim17ROCPRIM_400000_NS6detail17trampoline_kernelINS0_14default_configENS1_27scan_by_key_config_selectorIiiEEZZNS1_16scan_by_key_implILNS1_25lookback_scan_determinismE0ELb0ES3_N6thrust23THRUST_200600_302600_NS6detail15normal_iteratorINS9_10device_ptrIiEEEESE_SE_iNS9_10multipliesIiEENS9_8equal_toIiEEiEE10hipError_tPvRmT2_T3_T4_T5_mT6_T7_P12ihipStream_tbENKUlT_T0_E_clISt17integral_constantIbLb1EESZ_EEDaSU_SV_EUlSU_E_NS1_11comp_targetILNS1_3genE2ELNS1_11target_archE906ELNS1_3gpuE6ELNS1_3repE0EEENS1_30default_config_static_selectorELNS0_4arch9wavefront6targetE0EEEvT1_
		.amdhsa_group_segment_fixed_size 0
		.amdhsa_private_segment_fixed_size 0
		.amdhsa_kernarg_size 112
		.amdhsa_user_sgpr_count 6
		.amdhsa_user_sgpr_private_segment_buffer 1
		.amdhsa_user_sgpr_dispatch_ptr 0
		.amdhsa_user_sgpr_queue_ptr 0
		.amdhsa_user_sgpr_kernarg_segment_ptr 1
		.amdhsa_user_sgpr_dispatch_id 0
		.amdhsa_user_sgpr_flat_scratch_init 0
		.amdhsa_user_sgpr_private_segment_size 0
		.amdhsa_wavefront_size32 1
		.amdhsa_uses_dynamic_stack 0
		.amdhsa_system_sgpr_private_segment_wavefront_offset 0
		.amdhsa_system_sgpr_workgroup_id_x 1
		.amdhsa_system_sgpr_workgroup_id_y 0
		.amdhsa_system_sgpr_workgroup_id_z 0
		.amdhsa_system_sgpr_workgroup_info 0
		.amdhsa_system_vgpr_workitem_id 0
		.amdhsa_next_free_vgpr 1
		.amdhsa_next_free_sgpr 1
		.amdhsa_reserve_vcc 0
		.amdhsa_reserve_flat_scratch 0
		.amdhsa_float_round_mode_32 0
		.amdhsa_float_round_mode_16_64 0
		.amdhsa_float_denorm_mode_32 3
		.amdhsa_float_denorm_mode_16_64 3
		.amdhsa_dx10_clamp 1
		.amdhsa_ieee_mode 1
		.amdhsa_fp16_overflow 0
		.amdhsa_workgroup_processor_mode 1
		.amdhsa_memory_ordered 1
		.amdhsa_forward_progress 1
		.amdhsa_shared_vgpr_count 0
		.amdhsa_exception_fp_ieee_invalid_op 0
		.amdhsa_exception_fp_denorm_src 0
		.amdhsa_exception_fp_ieee_div_zero 0
		.amdhsa_exception_fp_ieee_overflow 0
		.amdhsa_exception_fp_ieee_underflow 0
		.amdhsa_exception_fp_ieee_inexact 0
		.amdhsa_exception_int_div_zero 0
	.end_amdhsa_kernel
	.section	.text._ZN7rocprim17ROCPRIM_400000_NS6detail17trampoline_kernelINS0_14default_configENS1_27scan_by_key_config_selectorIiiEEZZNS1_16scan_by_key_implILNS1_25lookback_scan_determinismE0ELb0ES3_N6thrust23THRUST_200600_302600_NS6detail15normal_iteratorINS9_10device_ptrIiEEEESE_SE_iNS9_10multipliesIiEENS9_8equal_toIiEEiEE10hipError_tPvRmT2_T3_T4_T5_mT6_T7_P12ihipStream_tbENKUlT_T0_E_clISt17integral_constantIbLb1EESZ_EEDaSU_SV_EUlSU_E_NS1_11comp_targetILNS1_3genE2ELNS1_11target_archE906ELNS1_3gpuE6ELNS1_3repE0EEENS1_30default_config_static_selectorELNS0_4arch9wavefront6targetE0EEEvT1_,"axG",@progbits,_ZN7rocprim17ROCPRIM_400000_NS6detail17trampoline_kernelINS0_14default_configENS1_27scan_by_key_config_selectorIiiEEZZNS1_16scan_by_key_implILNS1_25lookback_scan_determinismE0ELb0ES3_N6thrust23THRUST_200600_302600_NS6detail15normal_iteratorINS9_10device_ptrIiEEEESE_SE_iNS9_10multipliesIiEENS9_8equal_toIiEEiEE10hipError_tPvRmT2_T3_T4_T5_mT6_T7_P12ihipStream_tbENKUlT_T0_E_clISt17integral_constantIbLb1EESZ_EEDaSU_SV_EUlSU_E_NS1_11comp_targetILNS1_3genE2ELNS1_11target_archE906ELNS1_3gpuE6ELNS1_3repE0EEENS1_30default_config_static_selectorELNS0_4arch9wavefront6targetE0EEEvT1_,comdat
.Lfunc_end178:
	.size	_ZN7rocprim17ROCPRIM_400000_NS6detail17trampoline_kernelINS0_14default_configENS1_27scan_by_key_config_selectorIiiEEZZNS1_16scan_by_key_implILNS1_25lookback_scan_determinismE0ELb0ES3_N6thrust23THRUST_200600_302600_NS6detail15normal_iteratorINS9_10device_ptrIiEEEESE_SE_iNS9_10multipliesIiEENS9_8equal_toIiEEiEE10hipError_tPvRmT2_T3_T4_T5_mT6_T7_P12ihipStream_tbENKUlT_T0_E_clISt17integral_constantIbLb1EESZ_EEDaSU_SV_EUlSU_E_NS1_11comp_targetILNS1_3genE2ELNS1_11target_archE906ELNS1_3gpuE6ELNS1_3repE0EEENS1_30default_config_static_selectorELNS0_4arch9wavefront6targetE0EEEvT1_, .Lfunc_end178-_ZN7rocprim17ROCPRIM_400000_NS6detail17trampoline_kernelINS0_14default_configENS1_27scan_by_key_config_selectorIiiEEZZNS1_16scan_by_key_implILNS1_25lookback_scan_determinismE0ELb0ES3_N6thrust23THRUST_200600_302600_NS6detail15normal_iteratorINS9_10device_ptrIiEEEESE_SE_iNS9_10multipliesIiEENS9_8equal_toIiEEiEE10hipError_tPvRmT2_T3_T4_T5_mT6_T7_P12ihipStream_tbENKUlT_T0_E_clISt17integral_constantIbLb1EESZ_EEDaSU_SV_EUlSU_E_NS1_11comp_targetILNS1_3genE2ELNS1_11target_archE906ELNS1_3gpuE6ELNS1_3repE0EEENS1_30default_config_static_selectorELNS0_4arch9wavefront6targetE0EEEvT1_
                                        ; -- End function
	.set _ZN7rocprim17ROCPRIM_400000_NS6detail17trampoline_kernelINS0_14default_configENS1_27scan_by_key_config_selectorIiiEEZZNS1_16scan_by_key_implILNS1_25lookback_scan_determinismE0ELb0ES3_N6thrust23THRUST_200600_302600_NS6detail15normal_iteratorINS9_10device_ptrIiEEEESE_SE_iNS9_10multipliesIiEENS9_8equal_toIiEEiEE10hipError_tPvRmT2_T3_T4_T5_mT6_T7_P12ihipStream_tbENKUlT_T0_E_clISt17integral_constantIbLb1EESZ_EEDaSU_SV_EUlSU_E_NS1_11comp_targetILNS1_3genE2ELNS1_11target_archE906ELNS1_3gpuE6ELNS1_3repE0EEENS1_30default_config_static_selectorELNS0_4arch9wavefront6targetE0EEEvT1_.num_vgpr, 0
	.set _ZN7rocprim17ROCPRIM_400000_NS6detail17trampoline_kernelINS0_14default_configENS1_27scan_by_key_config_selectorIiiEEZZNS1_16scan_by_key_implILNS1_25lookback_scan_determinismE0ELb0ES3_N6thrust23THRUST_200600_302600_NS6detail15normal_iteratorINS9_10device_ptrIiEEEESE_SE_iNS9_10multipliesIiEENS9_8equal_toIiEEiEE10hipError_tPvRmT2_T3_T4_T5_mT6_T7_P12ihipStream_tbENKUlT_T0_E_clISt17integral_constantIbLb1EESZ_EEDaSU_SV_EUlSU_E_NS1_11comp_targetILNS1_3genE2ELNS1_11target_archE906ELNS1_3gpuE6ELNS1_3repE0EEENS1_30default_config_static_selectorELNS0_4arch9wavefront6targetE0EEEvT1_.num_agpr, 0
	.set _ZN7rocprim17ROCPRIM_400000_NS6detail17trampoline_kernelINS0_14default_configENS1_27scan_by_key_config_selectorIiiEEZZNS1_16scan_by_key_implILNS1_25lookback_scan_determinismE0ELb0ES3_N6thrust23THRUST_200600_302600_NS6detail15normal_iteratorINS9_10device_ptrIiEEEESE_SE_iNS9_10multipliesIiEENS9_8equal_toIiEEiEE10hipError_tPvRmT2_T3_T4_T5_mT6_T7_P12ihipStream_tbENKUlT_T0_E_clISt17integral_constantIbLb1EESZ_EEDaSU_SV_EUlSU_E_NS1_11comp_targetILNS1_3genE2ELNS1_11target_archE906ELNS1_3gpuE6ELNS1_3repE0EEENS1_30default_config_static_selectorELNS0_4arch9wavefront6targetE0EEEvT1_.numbered_sgpr, 0
	.set _ZN7rocprim17ROCPRIM_400000_NS6detail17trampoline_kernelINS0_14default_configENS1_27scan_by_key_config_selectorIiiEEZZNS1_16scan_by_key_implILNS1_25lookback_scan_determinismE0ELb0ES3_N6thrust23THRUST_200600_302600_NS6detail15normal_iteratorINS9_10device_ptrIiEEEESE_SE_iNS9_10multipliesIiEENS9_8equal_toIiEEiEE10hipError_tPvRmT2_T3_T4_T5_mT6_T7_P12ihipStream_tbENKUlT_T0_E_clISt17integral_constantIbLb1EESZ_EEDaSU_SV_EUlSU_E_NS1_11comp_targetILNS1_3genE2ELNS1_11target_archE906ELNS1_3gpuE6ELNS1_3repE0EEENS1_30default_config_static_selectorELNS0_4arch9wavefront6targetE0EEEvT1_.num_named_barrier, 0
	.set _ZN7rocprim17ROCPRIM_400000_NS6detail17trampoline_kernelINS0_14default_configENS1_27scan_by_key_config_selectorIiiEEZZNS1_16scan_by_key_implILNS1_25lookback_scan_determinismE0ELb0ES3_N6thrust23THRUST_200600_302600_NS6detail15normal_iteratorINS9_10device_ptrIiEEEESE_SE_iNS9_10multipliesIiEENS9_8equal_toIiEEiEE10hipError_tPvRmT2_T3_T4_T5_mT6_T7_P12ihipStream_tbENKUlT_T0_E_clISt17integral_constantIbLb1EESZ_EEDaSU_SV_EUlSU_E_NS1_11comp_targetILNS1_3genE2ELNS1_11target_archE906ELNS1_3gpuE6ELNS1_3repE0EEENS1_30default_config_static_selectorELNS0_4arch9wavefront6targetE0EEEvT1_.private_seg_size, 0
	.set _ZN7rocprim17ROCPRIM_400000_NS6detail17trampoline_kernelINS0_14default_configENS1_27scan_by_key_config_selectorIiiEEZZNS1_16scan_by_key_implILNS1_25lookback_scan_determinismE0ELb0ES3_N6thrust23THRUST_200600_302600_NS6detail15normal_iteratorINS9_10device_ptrIiEEEESE_SE_iNS9_10multipliesIiEENS9_8equal_toIiEEiEE10hipError_tPvRmT2_T3_T4_T5_mT6_T7_P12ihipStream_tbENKUlT_T0_E_clISt17integral_constantIbLb1EESZ_EEDaSU_SV_EUlSU_E_NS1_11comp_targetILNS1_3genE2ELNS1_11target_archE906ELNS1_3gpuE6ELNS1_3repE0EEENS1_30default_config_static_selectorELNS0_4arch9wavefront6targetE0EEEvT1_.uses_vcc, 0
	.set _ZN7rocprim17ROCPRIM_400000_NS6detail17trampoline_kernelINS0_14default_configENS1_27scan_by_key_config_selectorIiiEEZZNS1_16scan_by_key_implILNS1_25lookback_scan_determinismE0ELb0ES3_N6thrust23THRUST_200600_302600_NS6detail15normal_iteratorINS9_10device_ptrIiEEEESE_SE_iNS9_10multipliesIiEENS9_8equal_toIiEEiEE10hipError_tPvRmT2_T3_T4_T5_mT6_T7_P12ihipStream_tbENKUlT_T0_E_clISt17integral_constantIbLb1EESZ_EEDaSU_SV_EUlSU_E_NS1_11comp_targetILNS1_3genE2ELNS1_11target_archE906ELNS1_3gpuE6ELNS1_3repE0EEENS1_30default_config_static_selectorELNS0_4arch9wavefront6targetE0EEEvT1_.uses_flat_scratch, 0
	.set _ZN7rocprim17ROCPRIM_400000_NS6detail17trampoline_kernelINS0_14default_configENS1_27scan_by_key_config_selectorIiiEEZZNS1_16scan_by_key_implILNS1_25lookback_scan_determinismE0ELb0ES3_N6thrust23THRUST_200600_302600_NS6detail15normal_iteratorINS9_10device_ptrIiEEEESE_SE_iNS9_10multipliesIiEENS9_8equal_toIiEEiEE10hipError_tPvRmT2_T3_T4_T5_mT6_T7_P12ihipStream_tbENKUlT_T0_E_clISt17integral_constantIbLb1EESZ_EEDaSU_SV_EUlSU_E_NS1_11comp_targetILNS1_3genE2ELNS1_11target_archE906ELNS1_3gpuE6ELNS1_3repE0EEENS1_30default_config_static_selectorELNS0_4arch9wavefront6targetE0EEEvT1_.has_dyn_sized_stack, 0
	.set _ZN7rocprim17ROCPRIM_400000_NS6detail17trampoline_kernelINS0_14default_configENS1_27scan_by_key_config_selectorIiiEEZZNS1_16scan_by_key_implILNS1_25lookback_scan_determinismE0ELb0ES3_N6thrust23THRUST_200600_302600_NS6detail15normal_iteratorINS9_10device_ptrIiEEEESE_SE_iNS9_10multipliesIiEENS9_8equal_toIiEEiEE10hipError_tPvRmT2_T3_T4_T5_mT6_T7_P12ihipStream_tbENKUlT_T0_E_clISt17integral_constantIbLb1EESZ_EEDaSU_SV_EUlSU_E_NS1_11comp_targetILNS1_3genE2ELNS1_11target_archE906ELNS1_3gpuE6ELNS1_3repE0EEENS1_30default_config_static_selectorELNS0_4arch9wavefront6targetE0EEEvT1_.has_recursion, 0
	.set _ZN7rocprim17ROCPRIM_400000_NS6detail17trampoline_kernelINS0_14default_configENS1_27scan_by_key_config_selectorIiiEEZZNS1_16scan_by_key_implILNS1_25lookback_scan_determinismE0ELb0ES3_N6thrust23THRUST_200600_302600_NS6detail15normal_iteratorINS9_10device_ptrIiEEEESE_SE_iNS9_10multipliesIiEENS9_8equal_toIiEEiEE10hipError_tPvRmT2_T3_T4_T5_mT6_T7_P12ihipStream_tbENKUlT_T0_E_clISt17integral_constantIbLb1EESZ_EEDaSU_SV_EUlSU_E_NS1_11comp_targetILNS1_3genE2ELNS1_11target_archE906ELNS1_3gpuE6ELNS1_3repE0EEENS1_30default_config_static_selectorELNS0_4arch9wavefront6targetE0EEEvT1_.has_indirect_call, 0
	.section	.AMDGPU.csdata,"",@progbits
; Kernel info:
; codeLenInByte = 0
; TotalNumSgprs: 0
; NumVgprs: 0
; ScratchSize: 0
; MemoryBound: 0
; FloatMode: 240
; IeeeMode: 1
; LDSByteSize: 0 bytes/workgroup (compile time only)
; SGPRBlocks: 0
; VGPRBlocks: 0
; NumSGPRsForWavesPerEU: 1
; NumVGPRsForWavesPerEU: 1
; Occupancy: 16
; WaveLimiterHint : 0
; COMPUTE_PGM_RSRC2:SCRATCH_EN: 0
; COMPUTE_PGM_RSRC2:USER_SGPR: 6
; COMPUTE_PGM_RSRC2:TRAP_HANDLER: 0
; COMPUTE_PGM_RSRC2:TGID_X_EN: 1
; COMPUTE_PGM_RSRC2:TGID_Y_EN: 0
; COMPUTE_PGM_RSRC2:TGID_Z_EN: 0
; COMPUTE_PGM_RSRC2:TIDIG_COMP_CNT: 0
	.section	.text._ZN7rocprim17ROCPRIM_400000_NS6detail17trampoline_kernelINS0_14default_configENS1_27scan_by_key_config_selectorIiiEEZZNS1_16scan_by_key_implILNS1_25lookback_scan_determinismE0ELb0ES3_N6thrust23THRUST_200600_302600_NS6detail15normal_iteratorINS9_10device_ptrIiEEEESE_SE_iNS9_10multipliesIiEENS9_8equal_toIiEEiEE10hipError_tPvRmT2_T3_T4_T5_mT6_T7_P12ihipStream_tbENKUlT_T0_E_clISt17integral_constantIbLb1EESZ_EEDaSU_SV_EUlSU_E_NS1_11comp_targetILNS1_3genE10ELNS1_11target_archE1200ELNS1_3gpuE4ELNS1_3repE0EEENS1_30default_config_static_selectorELNS0_4arch9wavefront6targetE0EEEvT1_,"axG",@progbits,_ZN7rocprim17ROCPRIM_400000_NS6detail17trampoline_kernelINS0_14default_configENS1_27scan_by_key_config_selectorIiiEEZZNS1_16scan_by_key_implILNS1_25lookback_scan_determinismE0ELb0ES3_N6thrust23THRUST_200600_302600_NS6detail15normal_iteratorINS9_10device_ptrIiEEEESE_SE_iNS9_10multipliesIiEENS9_8equal_toIiEEiEE10hipError_tPvRmT2_T3_T4_T5_mT6_T7_P12ihipStream_tbENKUlT_T0_E_clISt17integral_constantIbLb1EESZ_EEDaSU_SV_EUlSU_E_NS1_11comp_targetILNS1_3genE10ELNS1_11target_archE1200ELNS1_3gpuE4ELNS1_3repE0EEENS1_30default_config_static_selectorELNS0_4arch9wavefront6targetE0EEEvT1_,comdat
	.protected	_ZN7rocprim17ROCPRIM_400000_NS6detail17trampoline_kernelINS0_14default_configENS1_27scan_by_key_config_selectorIiiEEZZNS1_16scan_by_key_implILNS1_25lookback_scan_determinismE0ELb0ES3_N6thrust23THRUST_200600_302600_NS6detail15normal_iteratorINS9_10device_ptrIiEEEESE_SE_iNS9_10multipliesIiEENS9_8equal_toIiEEiEE10hipError_tPvRmT2_T3_T4_T5_mT6_T7_P12ihipStream_tbENKUlT_T0_E_clISt17integral_constantIbLb1EESZ_EEDaSU_SV_EUlSU_E_NS1_11comp_targetILNS1_3genE10ELNS1_11target_archE1200ELNS1_3gpuE4ELNS1_3repE0EEENS1_30default_config_static_selectorELNS0_4arch9wavefront6targetE0EEEvT1_ ; -- Begin function _ZN7rocprim17ROCPRIM_400000_NS6detail17trampoline_kernelINS0_14default_configENS1_27scan_by_key_config_selectorIiiEEZZNS1_16scan_by_key_implILNS1_25lookback_scan_determinismE0ELb0ES3_N6thrust23THRUST_200600_302600_NS6detail15normal_iteratorINS9_10device_ptrIiEEEESE_SE_iNS9_10multipliesIiEENS9_8equal_toIiEEiEE10hipError_tPvRmT2_T3_T4_T5_mT6_T7_P12ihipStream_tbENKUlT_T0_E_clISt17integral_constantIbLb1EESZ_EEDaSU_SV_EUlSU_E_NS1_11comp_targetILNS1_3genE10ELNS1_11target_archE1200ELNS1_3gpuE4ELNS1_3repE0EEENS1_30default_config_static_selectorELNS0_4arch9wavefront6targetE0EEEvT1_
	.globl	_ZN7rocprim17ROCPRIM_400000_NS6detail17trampoline_kernelINS0_14default_configENS1_27scan_by_key_config_selectorIiiEEZZNS1_16scan_by_key_implILNS1_25lookback_scan_determinismE0ELb0ES3_N6thrust23THRUST_200600_302600_NS6detail15normal_iteratorINS9_10device_ptrIiEEEESE_SE_iNS9_10multipliesIiEENS9_8equal_toIiEEiEE10hipError_tPvRmT2_T3_T4_T5_mT6_T7_P12ihipStream_tbENKUlT_T0_E_clISt17integral_constantIbLb1EESZ_EEDaSU_SV_EUlSU_E_NS1_11comp_targetILNS1_3genE10ELNS1_11target_archE1200ELNS1_3gpuE4ELNS1_3repE0EEENS1_30default_config_static_selectorELNS0_4arch9wavefront6targetE0EEEvT1_
	.p2align	8
	.type	_ZN7rocprim17ROCPRIM_400000_NS6detail17trampoline_kernelINS0_14default_configENS1_27scan_by_key_config_selectorIiiEEZZNS1_16scan_by_key_implILNS1_25lookback_scan_determinismE0ELb0ES3_N6thrust23THRUST_200600_302600_NS6detail15normal_iteratorINS9_10device_ptrIiEEEESE_SE_iNS9_10multipliesIiEENS9_8equal_toIiEEiEE10hipError_tPvRmT2_T3_T4_T5_mT6_T7_P12ihipStream_tbENKUlT_T0_E_clISt17integral_constantIbLb1EESZ_EEDaSU_SV_EUlSU_E_NS1_11comp_targetILNS1_3genE10ELNS1_11target_archE1200ELNS1_3gpuE4ELNS1_3repE0EEENS1_30default_config_static_selectorELNS0_4arch9wavefront6targetE0EEEvT1_,@function
_ZN7rocprim17ROCPRIM_400000_NS6detail17trampoline_kernelINS0_14default_configENS1_27scan_by_key_config_selectorIiiEEZZNS1_16scan_by_key_implILNS1_25lookback_scan_determinismE0ELb0ES3_N6thrust23THRUST_200600_302600_NS6detail15normal_iteratorINS9_10device_ptrIiEEEESE_SE_iNS9_10multipliesIiEENS9_8equal_toIiEEiEE10hipError_tPvRmT2_T3_T4_T5_mT6_T7_P12ihipStream_tbENKUlT_T0_E_clISt17integral_constantIbLb1EESZ_EEDaSU_SV_EUlSU_E_NS1_11comp_targetILNS1_3genE10ELNS1_11target_archE1200ELNS1_3gpuE4ELNS1_3repE0EEENS1_30default_config_static_selectorELNS0_4arch9wavefront6targetE0EEEvT1_: ; @_ZN7rocprim17ROCPRIM_400000_NS6detail17trampoline_kernelINS0_14default_configENS1_27scan_by_key_config_selectorIiiEEZZNS1_16scan_by_key_implILNS1_25lookback_scan_determinismE0ELb0ES3_N6thrust23THRUST_200600_302600_NS6detail15normal_iteratorINS9_10device_ptrIiEEEESE_SE_iNS9_10multipliesIiEENS9_8equal_toIiEEiEE10hipError_tPvRmT2_T3_T4_T5_mT6_T7_P12ihipStream_tbENKUlT_T0_E_clISt17integral_constantIbLb1EESZ_EEDaSU_SV_EUlSU_E_NS1_11comp_targetILNS1_3genE10ELNS1_11target_archE1200ELNS1_3gpuE4ELNS1_3repE0EEENS1_30default_config_static_selectorELNS0_4arch9wavefront6targetE0EEEvT1_
; %bb.0:
	.section	.rodata,"a",@progbits
	.p2align	6, 0x0
	.amdhsa_kernel _ZN7rocprim17ROCPRIM_400000_NS6detail17trampoline_kernelINS0_14default_configENS1_27scan_by_key_config_selectorIiiEEZZNS1_16scan_by_key_implILNS1_25lookback_scan_determinismE0ELb0ES3_N6thrust23THRUST_200600_302600_NS6detail15normal_iteratorINS9_10device_ptrIiEEEESE_SE_iNS9_10multipliesIiEENS9_8equal_toIiEEiEE10hipError_tPvRmT2_T3_T4_T5_mT6_T7_P12ihipStream_tbENKUlT_T0_E_clISt17integral_constantIbLb1EESZ_EEDaSU_SV_EUlSU_E_NS1_11comp_targetILNS1_3genE10ELNS1_11target_archE1200ELNS1_3gpuE4ELNS1_3repE0EEENS1_30default_config_static_selectorELNS0_4arch9wavefront6targetE0EEEvT1_
		.amdhsa_group_segment_fixed_size 0
		.amdhsa_private_segment_fixed_size 0
		.amdhsa_kernarg_size 112
		.amdhsa_user_sgpr_count 6
		.amdhsa_user_sgpr_private_segment_buffer 1
		.amdhsa_user_sgpr_dispatch_ptr 0
		.amdhsa_user_sgpr_queue_ptr 0
		.amdhsa_user_sgpr_kernarg_segment_ptr 1
		.amdhsa_user_sgpr_dispatch_id 0
		.amdhsa_user_sgpr_flat_scratch_init 0
		.amdhsa_user_sgpr_private_segment_size 0
		.amdhsa_wavefront_size32 1
		.amdhsa_uses_dynamic_stack 0
		.amdhsa_system_sgpr_private_segment_wavefront_offset 0
		.amdhsa_system_sgpr_workgroup_id_x 1
		.amdhsa_system_sgpr_workgroup_id_y 0
		.amdhsa_system_sgpr_workgroup_id_z 0
		.amdhsa_system_sgpr_workgroup_info 0
		.amdhsa_system_vgpr_workitem_id 0
		.amdhsa_next_free_vgpr 1
		.amdhsa_next_free_sgpr 1
		.amdhsa_reserve_vcc 0
		.amdhsa_reserve_flat_scratch 0
		.amdhsa_float_round_mode_32 0
		.amdhsa_float_round_mode_16_64 0
		.amdhsa_float_denorm_mode_32 3
		.amdhsa_float_denorm_mode_16_64 3
		.amdhsa_dx10_clamp 1
		.amdhsa_ieee_mode 1
		.amdhsa_fp16_overflow 0
		.amdhsa_workgroup_processor_mode 1
		.amdhsa_memory_ordered 1
		.amdhsa_forward_progress 1
		.amdhsa_shared_vgpr_count 0
		.amdhsa_exception_fp_ieee_invalid_op 0
		.amdhsa_exception_fp_denorm_src 0
		.amdhsa_exception_fp_ieee_div_zero 0
		.amdhsa_exception_fp_ieee_overflow 0
		.amdhsa_exception_fp_ieee_underflow 0
		.amdhsa_exception_fp_ieee_inexact 0
		.amdhsa_exception_int_div_zero 0
	.end_amdhsa_kernel
	.section	.text._ZN7rocprim17ROCPRIM_400000_NS6detail17trampoline_kernelINS0_14default_configENS1_27scan_by_key_config_selectorIiiEEZZNS1_16scan_by_key_implILNS1_25lookback_scan_determinismE0ELb0ES3_N6thrust23THRUST_200600_302600_NS6detail15normal_iteratorINS9_10device_ptrIiEEEESE_SE_iNS9_10multipliesIiEENS9_8equal_toIiEEiEE10hipError_tPvRmT2_T3_T4_T5_mT6_T7_P12ihipStream_tbENKUlT_T0_E_clISt17integral_constantIbLb1EESZ_EEDaSU_SV_EUlSU_E_NS1_11comp_targetILNS1_3genE10ELNS1_11target_archE1200ELNS1_3gpuE4ELNS1_3repE0EEENS1_30default_config_static_selectorELNS0_4arch9wavefront6targetE0EEEvT1_,"axG",@progbits,_ZN7rocprim17ROCPRIM_400000_NS6detail17trampoline_kernelINS0_14default_configENS1_27scan_by_key_config_selectorIiiEEZZNS1_16scan_by_key_implILNS1_25lookback_scan_determinismE0ELb0ES3_N6thrust23THRUST_200600_302600_NS6detail15normal_iteratorINS9_10device_ptrIiEEEESE_SE_iNS9_10multipliesIiEENS9_8equal_toIiEEiEE10hipError_tPvRmT2_T3_T4_T5_mT6_T7_P12ihipStream_tbENKUlT_T0_E_clISt17integral_constantIbLb1EESZ_EEDaSU_SV_EUlSU_E_NS1_11comp_targetILNS1_3genE10ELNS1_11target_archE1200ELNS1_3gpuE4ELNS1_3repE0EEENS1_30default_config_static_selectorELNS0_4arch9wavefront6targetE0EEEvT1_,comdat
.Lfunc_end179:
	.size	_ZN7rocprim17ROCPRIM_400000_NS6detail17trampoline_kernelINS0_14default_configENS1_27scan_by_key_config_selectorIiiEEZZNS1_16scan_by_key_implILNS1_25lookback_scan_determinismE0ELb0ES3_N6thrust23THRUST_200600_302600_NS6detail15normal_iteratorINS9_10device_ptrIiEEEESE_SE_iNS9_10multipliesIiEENS9_8equal_toIiEEiEE10hipError_tPvRmT2_T3_T4_T5_mT6_T7_P12ihipStream_tbENKUlT_T0_E_clISt17integral_constantIbLb1EESZ_EEDaSU_SV_EUlSU_E_NS1_11comp_targetILNS1_3genE10ELNS1_11target_archE1200ELNS1_3gpuE4ELNS1_3repE0EEENS1_30default_config_static_selectorELNS0_4arch9wavefront6targetE0EEEvT1_, .Lfunc_end179-_ZN7rocprim17ROCPRIM_400000_NS6detail17trampoline_kernelINS0_14default_configENS1_27scan_by_key_config_selectorIiiEEZZNS1_16scan_by_key_implILNS1_25lookback_scan_determinismE0ELb0ES3_N6thrust23THRUST_200600_302600_NS6detail15normal_iteratorINS9_10device_ptrIiEEEESE_SE_iNS9_10multipliesIiEENS9_8equal_toIiEEiEE10hipError_tPvRmT2_T3_T4_T5_mT6_T7_P12ihipStream_tbENKUlT_T0_E_clISt17integral_constantIbLb1EESZ_EEDaSU_SV_EUlSU_E_NS1_11comp_targetILNS1_3genE10ELNS1_11target_archE1200ELNS1_3gpuE4ELNS1_3repE0EEENS1_30default_config_static_selectorELNS0_4arch9wavefront6targetE0EEEvT1_
                                        ; -- End function
	.set _ZN7rocprim17ROCPRIM_400000_NS6detail17trampoline_kernelINS0_14default_configENS1_27scan_by_key_config_selectorIiiEEZZNS1_16scan_by_key_implILNS1_25lookback_scan_determinismE0ELb0ES3_N6thrust23THRUST_200600_302600_NS6detail15normal_iteratorINS9_10device_ptrIiEEEESE_SE_iNS9_10multipliesIiEENS9_8equal_toIiEEiEE10hipError_tPvRmT2_T3_T4_T5_mT6_T7_P12ihipStream_tbENKUlT_T0_E_clISt17integral_constantIbLb1EESZ_EEDaSU_SV_EUlSU_E_NS1_11comp_targetILNS1_3genE10ELNS1_11target_archE1200ELNS1_3gpuE4ELNS1_3repE0EEENS1_30default_config_static_selectorELNS0_4arch9wavefront6targetE0EEEvT1_.num_vgpr, 0
	.set _ZN7rocprim17ROCPRIM_400000_NS6detail17trampoline_kernelINS0_14default_configENS1_27scan_by_key_config_selectorIiiEEZZNS1_16scan_by_key_implILNS1_25lookback_scan_determinismE0ELb0ES3_N6thrust23THRUST_200600_302600_NS6detail15normal_iteratorINS9_10device_ptrIiEEEESE_SE_iNS9_10multipliesIiEENS9_8equal_toIiEEiEE10hipError_tPvRmT2_T3_T4_T5_mT6_T7_P12ihipStream_tbENKUlT_T0_E_clISt17integral_constantIbLb1EESZ_EEDaSU_SV_EUlSU_E_NS1_11comp_targetILNS1_3genE10ELNS1_11target_archE1200ELNS1_3gpuE4ELNS1_3repE0EEENS1_30default_config_static_selectorELNS0_4arch9wavefront6targetE0EEEvT1_.num_agpr, 0
	.set _ZN7rocprim17ROCPRIM_400000_NS6detail17trampoline_kernelINS0_14default_configENS1_27scan_by_key_config_selectorIiiEEZZNS1_16scan_by_key_implILNS1_25lookback_scan_determinismE0ELb0ES3_N6thrust23THRUST_200600_302600_NS6detail15normal_iteratorINS9_10device_ptrIiEEEESE_SE_iNS9_10multipliesIiEENS9_8equal_toIiEEiEE10hipError_tPvRmT2_T3_T4_T5_mT6_T7_P12ihipStream_tbENKUlT_T0_E_clISt17integral_constantIbLb1EESZ_EEDaSU_SV_EUlSU_E_NS1_11comp_targetILNS1_3genE10ELNS1_11target_archE1200ELNS1_3gpuE4ELNS1_3repE0EEENS1_30default_config_static_selectorELNS0_4arch9wavefront6targetE0EEEvT1_.numbered_sgpr, 0
	.set _ZN7rocprim17ROCPRIM_400000_NS6detail17trampoline_kernelINS0_14default_configENS1_27scan_by_key_config_selectorIiiEEZZNS1_16scan_by_key_implILNS1_25lookback_scan_determinismE0ELb0ES3_N6thrust23THRUST_200600_302600_NS6detail15normal_iteratorINS9_10device_ptrIiEEEESE_SE_iNS9_10multipliesIiEENS9_8equal_toIiEEiEE10hipError_tPvRmT2_T3_T4_T5_mT6_T7_P12ihipStream_tbENKUlT_T0_E_clISt17integral_constantIbLb1EESZ_EEDaSU_SV_EUlSU_E_NS1_11comp_targetILNS1_3genE10ELNS1_11target_archE1200ELNS1_3gpuE4ELNS1_3repE0EEENS1_30default_config_static_selectorELNS0_4arch9wavefront6targetE0EEEvT1_.num_named_barrier, 0
	.set _ZN7rocprim17ROCPRIM_400000_NS6detail17trampoline_kernelINS0_14default_configENS1_27scan_by_key_config_selectorIiiEEZZNS1_16scan_by_key_implILNS1_25lookback_scan_determinismE0ELb0ES3_N6thrust23THRUST_200600_302600_NS6detail15normal_iteratorINS9_10device_ptrIiEEEESE_SE_iNS9_10multipliesIiEENS9_8equal_toIiEEiEE10hipError_tPvRmT2_T3_T4_T5_mT6_T7_P12ihipStream_tbENKUlT_T0_E_clISt17integral_constantIbLb1EESZ_EEDaSU_SV_EUlSU_E_NS1_11comp_targetILNS1_3genE10ELNS1_11target_archE1200ELNS1_3gpuE4ELNS1_3repE0EEENS1_30default_config_static_selectorELNS0_4arch9wavefront6targetE0EEEvT1_.private_seg_size, 0
	.set _ZN7rocprim17ROCPRIM_400000_NS6detail17trampoline_kernelINS0_14default_configENS1_27scan_by_key_config_selectorIiiEEZZNS1_16scan_by_key_implILNS1_25lookback_scan_determinismE0ELb0ES3_N6thrust23THRUST_200600_302600_NS6detail15normal_iteratorINS9_10device_ptrIiEEEESE_SE_iNS9_10multipliesIiEENS9_8equal_toIiEEiEE10hipError_tPvRmT2_T3_T4_T5_mT6_T7_P12ihipStream_tbENKUlT_T0_E_clISt17integral_constantIbLb1EESZ_EEDaSU_SV_EUlSU_E_NS1_11comp_targetILNS1_3genE10ELNS1_11target_archE1200ELNS1_3gpuE4ELNS1_3repE0EEENS1_30default_config_static_selectorELNS0_4arch9wavefront6targetE0EEEvT1_.uses_vcc, 0
	.set _ZN7rocprim17ROCPRIM_400000_NS6detail17trampoline_kernelINS0_14default_configENS1_27scan_by_key_config_selectorIiiEEZZNS1_16scan_by_key_implILNS1_25lookback_scan_determinismE0ELb0ES3_N6thrust23THRUST_200600_302600_NS6detail15normal_iteratorINS9_10device_ptrIiEEEESE_SE_iNS9_10multipliesIiEENS9_8equal_toIiEEiEE10hipError_tPvRmT2_T3_T4_T5_mT6_T7_P12ihipStream_tbENKUlT_T0_E_clISt17integral_constantIbLb1EESZ_EEDaSU_SV_EUlSU_E_NS1_11comp_targetILNS1_3genE10ELNS1_11target_archE1200ELNS1_3gpuE4ELNS1_3repE0EEENS1_30default_config_static_selectorELNS0_4arch9wavefront6targetE0EEEvT1_.uses_flat_scratch, 0
	.set _ZN7rocprim17ROCPRIM_400000_NS6detail17trampoline_kernelINS0_14default_configENS1_27scan_by_key_config_selectorIiiEEZZNS1_16scan_by_key_implILNS1_25lookback_scan_determinismE0ELb0ES3_N6thrust23THRUST_200600_302600_NS6detail15normal_iteratorINS9_10device_ptrIiEEEESE_SE_iNS9_10multipliesIiEENS9_8equal_toIiEEiEE10hipError_tPvRmT2_T3_T4_T5_mT6_T7_P12ihipStream_tbENKUlT_T0_E_clISt17integral_constantIbLb1EESZ_EEDaSU_SV_EUlSU_E_NS1_11comp_targetILNS1_3genE10ELNS1_11target_archE1200ELNS1_3gpuE4ELNS1_3repE0EEENS1_30default_config_static_selectorELNS0_4arch9wavefront6targetE0EEEvT1_.has_dyn_sized_stack, 0
	.set _ZN7rocprim17ROCPRIM_400000_NS6detail17trampoline_kernelINS0_14default_configENS1_27scan_by_key_config_selectorIiiEEZZNS1_16scan_by_key_implILNS1_25lookback_scan_determinismE0ELb0ES3_N6thrust23THRUST_200600_302600_NS6detail15normal_iteratorINS9_10device_ptrIiEEEESE_SE_iNS9_10multipliesIiEENS9_8equal_toIiEEiEE10hipError_tPvRmT2_T3_T4_T5_mT6_T7_P12ihipStream_tbENKUlT_T0_E_clISt17integral_constantIbLb1EESZ_EEDaSU_SV_EUlSU_E_NS1_11comp_targetILNS1_3genE10ELNS1_11target_archE1200ELNS1_3gpuE4ELNS1_3repE0EEENS1_30default_config_static_selectorELNS0_4arch9wavefront6targetE0EEEvT1_.has_recursion, 0
	.set _ZN7rocprim17ROCPRIM_400000_NS6detail17trampoline_kernelINS0_14default_configENS1_27scan_by_key_config_selectorIiiEEZZNS1_16scan_by_key_implILNS1_25lookback_scan_determinismE0ELb0ES3_N6thrust23THRUST_200600_302600_NS6detail15normal_iteratorINS9_10device_ptrIiEEEESE_SE_iNS9_10multipliesIiEENS9_8equal_toIiEEiEE10hipError_tPvRmT2_T3_T4_T5_mT6_T7_P12ihipStream_tbENKUlT_T0_E_clISt17integral_constantIbLb1EESZ_EEDaSU_SV_EUlSU_E_NS1_11comp_targetILNS1_3genE10ELNS1_11target_archE1200ELNS1_3gpuE4ELNS1_3repE0EEENS1_30default_config_static_selectorELNS0_4arch9wavefront6targetE0EEEvT1_.has_indirect_call, 0
	.section	.AMDGPU.csdata,"",@progbits
; Kernel info:
; codeLenInByte = 0
; TotalNumSgprs: 0
; NumVgprs: 0
; ScratchSize: 0
; MemoryBound: 0
; FloatMode: 240
; IeeeMode: 1
; LDSByteSize: 0 bytes/workgroup (compile time only)
; SGPRBlocks: 0
; VGPRBlocks: 0
; NumSGPRsForWavesPerEU: 1
; NumVGPRsForWavesPerEU: 1
; Occupancy: 16
; WaveLimiterHint : 0
; COMPUTE_PGM_RSRC2:SCRATCH_EN: 0
; COMPUTE_PGM_RSRC2:USER_SGPR: 6
; COMPUTE_PGM_RSRC2:TRAP_HANDLER: 0
; COMPUTE_PGM_RSRC2:TGID_X_EN: 1
; COMPUTE_PGM_RSRC2:TGID_Y_EN: 0
; COMPUTE_PGM_RSRC2:TGID_Z_EN: 0
; COMPUTE_PGM_RSRC2:TIDIG_COMP_CNT: 0
	.section	.text._ZN7rocprim17ROCPRIM_400000_NS6detail17trampoline_kernelINS0_14default_configENS1_27scan_by_key_config_selectorIiiEEZZNS1_16scan_by_key_implILNS1_25lookback_scan_determinismE0ELb0ES3_N6thrust23THRUST_200600_302600_NS6detail15normal_iteratorINS9_10device_ptrIiEEEESE_SE_iNS9_10multipliesIiEENS9_8equal_toIiEEiEE10hipError_tPvRmT2_T3_T4_T5_mT6_T7_P12ihipStream_tbENKUlT_T0_E_clISt17integral_constantIbLb1EESZ_EEDaSU_SV_EUlSU_E_NS1_11comp_targetILNS1_3genE9ELNS1_11target_archE1100ELNS1_3gpuE3ELNS1_3repE0EEENS1_30default_config_static_selectorELNS0_4arch9wavefront6targetE0EEEvT1_,"axG",@progbits,_ZN7rocprim17ROCPRIM_400000_NS6detail17trampoline_kernelINS0_14default_configENS1_27scan_by_key_config_selectorIiiEEZZNS1_16scan_by_key_implILNS1_25lookback_scan_determinismE0ELb0ES3_N6thrust23THRUST_200600_302600_NS6detail15normal_iteratorINS9_10device_ptrIiEEEESE_SE_iNS9_10multipliesIiEENS9_8equal_toIiEEiEE10hipError_tPvRmT2_T3_T4_T5_mT6_T7_P12ihipStream_tbENKUlT_T0_E_clISt17integral_constantIbLb1EESZ_EEDaSU_SV_EUlSU_E_NS1_11comp_targetILNS1_3genE9ELNS1_11target_archE1100ELNS1_3gpuE3ELNS1_3repE0EEENS1_30default_config_static_selectorELNS0_4arch9wavefront6targetE0EEEvT1_,comdat
	.protected	_ZN7rocprim17ROCPRIM_400000_NS6detail17trampoline_kernelINS0_14default_configENS1_27scan_by_key_config_selectorIiiEEZZNS1_16scan_by_key_implILNS1_25lookback_scan_determinismE0ELb0ES3_N6thrust23THRUST_200600_302600_NS6detail15normal_iteratorINS9_10device_ptrIiEEEESE_SE_iNS9_10multipliesIiEENS9_8equal_toIiEEiEE10hipError_tPvRmT2_T3_T4_T5_mT6_T7_P12ihipStream_tbENKUlT_T0_E_clISt17integral_constantIbLb1EESZ_EEDaSU_SV_EUlSU_E_NS1_11comp_targetILNS1_3genE9ELNS1_11target_archE1100ELNS1_3gpuE3ELNS1_3repE0EEENS1_30default_config_static_selectorELNS0_4arch9wavefront6targetE0EEEvT1_ ; -- Begin function _ZN7rocprim17ROCPRIM_400000_NS6detail17trampoline_kernelINS0_14default_configENS1_27scan_by_key_config_selectorIiiEEZZNS1_16scan_by_key_implILNS1_25lookback_scan_determinismE0ELb0ES3_N6thrust23THRUST_200600_302600_NS6detail15normal_iteratorINS9_10device_ptrIiEEEESE_SE_iNS9_10multipliesIiEENS9_8equal_toIiEEiEE10hipError_tPvRmT2_T3_T4_T5_mT6_T7_P12ihipStream_tbENKUlT_T0_E_clISt17integral_constantIbLb1EESZ_EEDaSU_SV_EUlSU_E_NS1_11comp_targetILNS1_3genE9ELNS1_11target_archE1100ELNS1_3gpuE3ELNS1_3repE0EEENS1_30default_config_static_selectorELNS0_4arch9wavefront6targetE0EEEvT1_
	.globl	_ZN7rocprim17ROCPRIM_400000_NS6detail17trampoline_kernelINS0_14default_configENS1_27scan_by_key_config_selectorIiiEEZZNS1_16scan_by_key_implILNS1_25lookback_scan_determinismE0ELb0ES3_N6thrust23THRUST_200600_302600_NS6detail15normal_iteratorINS9_10device_ptrIiEEEESE_SE_iNS9_10multipliesIiEENS9_8equal_toIiEEiEE10hipError_tPvRmT2_T3_T4_T5_mT6_T7_P12ihipStream_tbENKUlT_T0_E_clISt17integral_constantIbLb1EESZ_EEDaSU_SV_EUlSU_E_NS1_11comp_targetILNS1_3genE9ELNS1_11target_archE1100ELNS1_3gpuE3ELNS1_3repE0EEENS1_30default_config_static_selectorELNS0_4arch9wavefront6targetE0EEEvT1_
	.p2align	8
	.type	_ZN7rocprim17ROCPRIM_400000_NS6detail17trampoline_kernelINS0_14default_configENS1_27scan_by_key_config_selectorIiiEEZZNS1_16scan_by_key_implILNS1_25lookback_scan_determinismE0ELb0ES3_N6thrust23THRUST_200600_302600_NS6detail15normal_iteratorINS9_10device_ptrIiEEEESE_SE_iNS9_10multipliesIiEENS9_8equal_toIiEEiEE10hipError_tPvRmT2_T3_T4_T5_mT6_T7_P12ihipStream_tbENKUlT_T0_E_clISt17integral_constantIbLb1EESZ_EEDaSU_SV_EUlSU_E_NS1_11comp_targetILNS1_3genE9ELNS1_11target_archE1100ELNS1_3gpuE3ELNS1_3repE0EEENS1_30default_config_static_selectorELNS0_4arch9wavefront6targetE0EEEvT1_,@function
_ZN7rocprim17ROCPRIM_400000_NS6detail17trampoline_kernelINS0_14default_configENS1_27scan_by_key_config_selectorIiiEEZZNS1_16scan_by_key_implILNS1_25lookback_scan_determinismE0ELb0ES3_N6thrust23THRUST_200600_302600_NS6detail15normal_iteratorINS9_10device_ptrIiEEEESE_SE_iNS9_10multipliesIiEENS9_8equal_toIiEEiEE10hipError_tPvRmT2_T3_T4_T5_mT6_T7_P12ihipStream_tbENKUlT_T0_E_clISt17integral_constantIbLb1EESZ_EEDaSU_SV_EUlSU_E_NS1_11comp_targetILNS1_3genE9ELNS1_11target_archE1100ELNS1_3gpuE3ELNS1_3repE0EEENS1_30default_config_static_selectorELNS0_4arch9wavefront6targetE0EEEvT1_: ; @_ZN7rocprim17ROCPRIM_400000_NS6detail17trampoline_kernelINS0_14default_configENS1_27scan_by_key_config_selectorIiiEEZZNS1_16scan_by_key_implILNS1_25lookback_scan_determinismE0ELb0ES3_N6thrust23THRUST_200600_302600_NS6detail15normal_iteratorINS9_10device_ptrIiEEEESE_SE_iNS9_10multipliesIiEENS9_8equal_toIiEEiEE10hipError_tPvRmT2_T3_T4_T5_mT6_T7_P12ihipStream_tbENKUlT_T0_E_clISt17integral_constantIbLb1EESZ_EEDaSU_SV_EUlSU_E_NS1_11comp_targetILNS1_3genE9ELNS1_11target_archE1100ELNS1_3gpuE3ELNS1_3repE0EEENS1_30default_config_static_selectorELNS0_4arch9wavefront6targetE0EEEvT1_
; %bb.0:
	.section	.rodata,"a",@progbits
	.p2align	6, 0x0
	.amdhsa_kernel _ZN7rocprim17ROCPRIM_400000_NS6detail17trampoline_kernelINS0_14default_configENS1_27scan_by_key_config_selectorIiiEEZZNS1_16scan_by_key_implILNS1_25lookback_scan_determinismE0ELb0ES3_N6thrust23THRUST_200600_302600_NS6detail15normal_iteratorINS9_10device_ptrIiEEEESE_SE_iNS9_10multipliesIiEENS9_8equal_toIiEEiEE10hipError_tPvRmT2_T3_T4_T5_mT6_T7_P12ihipStream_tbENKUlT_T0_E_clISt17integral_constantIbLb1EESZ_EEDaSU_SV_EUlSU_E_NS1_11comp_targetILNS1_3genE9ELNS1_11target_archE1100ELNS1_3gpuE3ELNS1_3repE0EEENS1_30default_config_static_selectorELNS0_4arch9wavefront6targetE0EEEvT1_
		.amdhsa_group_segment_fixed_size 0
		.amdhsa_private_segment_fixed_size 0
		.amdhsa_kernarg_size 112
		.amdhsa_user_sgpr_count 6
		.amdhsa_user_sgpr_private_segment_buffer 1
		.amdhsa_user_sgpr_dispatch_ptr 0
		.amdhsa_user_sgpr_queue_ptr 0
		.amdhsa_user_sgpr_kernarg_segment_ptr 1
		.amdhsa_user_sgpr_dispatch_id 0
		.amdhsa_user_sgpr_flat_scratch_init 0
		.amdhsa_user_sgpr_private_segment_size 0
		.amdhsa_wavefront_size32 1
		.amdhsa_uses_dynamic_stack 0
		.amdhsa_system_sgpr_private_segment_wavefront_offset 0
		.amdhsa_system_sgpr_workgroup_id_x 1
		.amdhsa_system_sgpr_workgroup_id_y 0
		.amdhsa_system_sgpr_workgroup_id_z 0
		.amdhsa_system_sgpr_workgroup_info 0
		.amdhsa_system_vgpr_workitem_id 0
		.amdhsa_next_free_vgpr 1
		.amdhsa_next_free_sgpr 1
		.amdhsa_reserve_vcc 0
		.amdhsa_reserve_flat_scratch 0
		.amdhsa_float_round_mode_32 0
		.amdhsa_float_round_mode_16_64 0
		.amdhsa_float_denorm_mode_32 3
		.amdhsa_float_denorm_mode_16_64 3
		.amdhsa_dx10_clamp 1
		.amdhsa_ieee_mode 1
		.amdhsa_fp16_overflow 0
		.amdhsa_workgroup_processor_mode 1
		.amdhsa_memory_ordered 1
		.amdhsa_forward_progress 1
		.amdhsa_shared_vgpr_count 0
		.amdhsa_exception_fp_ieee_invalid_op 0
		.amdhsa_exception_fp_denorm_src 0
		.amdhsa_exception_fp_ieee_div_zero 0
		.amdhsa_exception_fp_ieee_overflow 0
		.amdhsa_exception_fp_ieee_underflow 0
		.amdhsa_exception_fp_ieee_inexact 0
		.amdhsa_exception_int_div_zero 0
	.end_amdhsa_kernel
	.section	.text._ZN7rocprim17ROCPRIM_400000_NS6detail17trampoline_kernelINS0_14default_configENS1_27scan_by_key_config_selectorIiiEEZZNS1_16scan_by_key_implILNS1_25lookback_scan_determinismE0ELb0ES3_N6thrust23THRUST_200600_302600_NS6detail15normal_iteratorINS9_10device_ptrIiEEEESE_SE_iNS9_10multipliesIiEENS9_8equal_toIiEEiEE10hipError_tPvRmT2_T3_T4_T5_mT6_T7_P12ihipStream_tbENKUlT_T0_E_clISt17integral_constantIbLb1EESZ_EEDaSU_SV_EUlSU_E_NS1_11comp_targetILNS1_3genE9ELNS1_11target_archE1100ELNS1_3gpuE3ELNS1_3repE0EEENS1_30default_config_static_selectorELNS0_4arch9wavefront6targetE0EEEvT1_,"axG",@progbits,_ZN7rocprim17ROCPRIM_400000_NS6detail17trampoline_kernelINS0_14default_configENS1_27scan_by_key_config_selectorIiiEEZZNS1_16scan_by_key_implILNS1_25lookback_scan_determinismE0ELb0ES3_N6thrust23THRUST_200600_302600_NS6detail15normal_iteratorINS9_10device_ptrIiEEEESE_SE_iNS9_10multipliesIiEENS9_8equal_toIiEEiEE10hipError_tPvRmT2_T3_T4_T5_mT6_T7_P12ihipStream_tbENKUlT_T0_E_clISt17integral_constantIbLb1EESZ_EEDaSU_SV_EUlSU_E_NS1_11comp_targetILNS1_3genE9ELNS1_11target_archE1100ELNS1_3gpuE3ELNS1_3repE0EEENS1_30default_config_static_selectorELNS0_4arch9wavefront6targetE0EEEvT1_,comdat
.Lfunc_end180:
	.size	_ZN7rocprim17ROCPRIM_400000_NS6detail17trampoline_kernelINS0_14default_configENS1_27scan_by_key_config_selectorIiiEEZZNS1_16scan_by_key_implILNS1_25lookback_scan_determinismE0ELb0ES3_N6thrust23THRUST_200600_302600_NS6detail15normal_iteratorINS9_10device_ptrIiEEEESE_SE_iNS9_10multipliesIiEENS9_8equal_toIiEEiEE10hipError_tPvRmT2_T3_T4_T5_mT6_T7_P12ihipStream_tbENKUlT_T0_E_clISt17integral_constantIbLb1EESZ_EEDaSU_SV_EUlSU_E_NS1_11comp_targetILNS1_3genE9ELNS1_11target_archE1100ELNS1_3gpuE3ELNS1_3repE0EEENS1_30default_config_static_selectorELNS0_4arch9wavefront6targetE0EEEvT1_, .Lfunc_end180-_ZN7rocprim17ROCPRIM_400000_NS6detail17trampoline_kernelINS0_14default_configENS1_27scan_by_key_config_selectorIiiEEZZNS1_16scan_by_key_implILNS1_25lookback_scan_determinismE0ELb0ES3_N6thrust23THRUST_200600_302600_NS6detail15normal_iteratorINS9_10device_ptrIiEEEESE_SE_iNS9_10multipliesIiEENS9_8equal_toIiEEiEE10hipError_tPvRmT2_T3_T4_T5_mT6_T7_P12ihipStream_tbENKUlT_T0_E_clISt17integral_constantIbLb1EESZ_EEDaSU_SV_EUlSU_E_NS1_11comp_targetILNS1_3genE9ELNS1_11target_archE1100ELNS1_3gpuE3ELNS1_3repE0EEENS1_30default_config_static_selectorELNS0_4arch9wavefront6targetE0EEEvT1_
                                        ; -- End function
	.set _ZN7rocprim17ROCPRIM_400000_NS6detail17trampoline_kernelINS0_14default_configENS1_27scan_by_key_config_selectorIiiEEZZNS1_16scan_by_key_implILNS1_25lookback_scan_determinismE0ELb0ES3_N6thrust23THRUST_200600_302600_NS6detail15normal_iteratorINS9_10device_ptrIiEEEESE_SE_iNS9_10multipliesIiEENS9_8equal_toIiEEiEE10hipError_tPvRmT2_T3_T4_T5_mT6_T7_P12ihipStream_tbENKUlT_T0_E_clISt17integral_constantIbLb1EESZ_EEDaSU_SV_EUlSU_E_NS1_11comp_targetILNS1_3genE9ELNS1_11target_archE1100ELNS1_3gpuE3ELNS1_3repE0EEENS1_30default_config_static_selectorELNS0_4arch9wavefront6targetE0EEEvT1_.num_vgpr, 0
	.set _ZN7rocprim17ROCPRIM_400000_NS6detail17trampoline_kernelINS0_14default_configENS1_27scan_by_key_config_selectorIiiEEZZNS1_16scan_by_key_implILNS1_25lookback_scan_determinismE0ELb0ES3_N6thrust23THRUST_200600_302600_NS6detail15normal_iteratorINS9_10device_ptrIiEEEESE_SE_iNS9_10multipliesIiEENS9_8equal_toIiEEiEE10hipError_tPvRmT2_T3_T4_T5_mT6_T7_P12ihipStream_tbENKUlT_T0_E_clISt17integral_constantIbLb1EESZ_EEDaSU_SV_EUlSU_E_NS1_11comp_targetILNS1_3genE9ELNS1_11target_archE1100ELNS1_3gpuE3ELNS1_3repE0EEENS1_30default_config_static_selectorELNS0_4arch9wavefront6targetE0EEEvT1_.num_agpr, 0
	.set _ZN7rocprim17ROCPRIM_400000_NS6detail17trampoline_kernelINS0_14default_configENS1_27scan_by_key_config_selectorIiiEEZZNS1_16scan_by_key_implILNS1_25lookback_scan_determinismE0ELb0ES3_N6thrust23THRUST_200600_302600_NS6detail15normal_iteratorINS9_10device_ptrIiEEEESE_SE_iNS9_10multipliesIiEENS9_8equal_toIiEEiEE10hipError_tPvRmT2_T3_T4_T5_mT6_T7_P12ihipStream_tbENKUlT_T0_E_clISt17integral_constantIbLb1EESZ_EEDaSU_SV_EUlSU_E_NS1_11comp_targetILNS1_3genE9ELNS1_11target_archE1100ELNS1_3gpuE3ELNS1_3repE0EEENS1_30default_config_static_selectorELNS0_4arch9wavefront6targetE0EEEvT1_.numbered_sgpr, 0
	.set _ZN7rocprim17ROCPRIM_400000_NS6detail17trampoline_kernelINS0_14default_configENS1_27scan_by_key_config_selectorIiiEEZZNS1_16scan_by_key_implILNS1_25lookback_scan_determinismE0ELb0ES3_N6thrust23THRUST_200600_302600_NS6detail15normal_iteratorINS9_10device_ptrIiEEEESE_SE_iNS9_10multipliesIiEENS9_8equal_toIiEEiEE10hipError_tPvRmT2_T3_T4_T5_mT6_T7_P12ihipStream_tbENKUlT_T0_E_clISt17integral_constantIbLb1EESZ_EEDaSU_SV_EUlSU_E_NS1_11comp_targetILNS1_3genE9ELNS1_11target_archE1100ELNS1_3gpuE3ELNS1_3repE0EEENS1_30default_config_static_selectorELNS0_4arch9wavefront6targetE0EEEvT1_.num_named_barrier, 0
	.set _ZN7rocprim17ROCPRIM_400000_NS6detail17trampoline_kernelINS0_14default_configENS1_27scan_by_key_config_selectorIiiEEZZNS1_16scan_by_key_implILNS1_25lookback_scan_determinismE0ELb0ES3_N6thrust23THRUST_200600_302600_NS6detail15normal_iteratorINS9_10device_ptrIiEEEESE_SE_iNS9_10multipliesIiEENS9_8equal_toIiEEiEE10hipError_tPvRmT2_T3_T4_T5_mT6_T7_P12ihipStream_tbENKUlT_T0_E_clISt17integral_constantIbLb1EESZ_EEDaSU_SV_EUlSU_E_NS1_11comp_targetILNS1_3genE9ELNS1_11target_archE1100ELNS1_3gpuE3ELNS1_3repE0EEENS1_30default_config_static_selectorELNS0_4arch9wavefront6targetE0EEEvT1_.private_seg_size, 0
	.set _ZN7rocprim17ROCPRIM_400000_NS6detail17trampoline_kernelINS0_14default_configENS1_27scan_by_key_config_selectorIiiEEZZNS1_16scan_by_key_implILNS1_25lookback_scan_determinismE0ELb0ES3_N6thrust23THRUST_200600_302600_NS6detail15normal_iteratorINS9_10device_ptrIiEEEESE_SE_iNS9_10multipliesIiEENS9_8equal_toIiEEiEE10hipError_tPvRmT2_T3_T4_T5_mT6_T7_P12ihipStream_tbENKUlT_T0_E_clISt17integral_constantIbLb1EESZ_EEDaSU_SV_EUlSU_E_NS1_11comp_targetILNS1_3genE9ELNS1_11target_archE1100ELNS1_3gpuE3ELNS1_3repE0EEENS1_30default_config_static_selectorELNS0_4arch9wavefront6targetE0EEEvT1_.uses_vcc, 0
	.set _ZN7rocprim17ROCPRIM_400000_NS6detail17trampoline_kernelINS0_14default_configENS1_27scan_by_key_config_selectorIiiEEZZNS1_16scan_by_key_implILNS1_25lookback_scan_determinismE0ELb0ES3_N6thrust23THRUST_200600_302600_NS6detail15normal_iteratorINS9_10device_ptrIiEEEESE_SE_iNS9_10multipliesIiEENS9_8equal_toIiEEiEE10hipError_tPvRmT2_T3_T4_T5_mT6_T7_P12ihipStream_tbENKUlT_T0_E_clISt17integral_constantIbLb1EESZ_EEDaSU_SV_EUlSU_E_NS1_11comp_targetILNS1_3genE9ELNS1_11target_archE1100ELNS1_3gpuE3ELNS1_3repE0EEENS1_30default_config_static_selectorELNS0_4arch9wavefront6targetE0EEEvT1_.uses_flat_scratch, 0
	.set _ZN7rocprim17ROCPRIM_400000_NS6detail17trampoline_kernelINS0_14default_configENS1_27scan_by_key_config_selectorIiiEEZZNS1_16scan_by_key_implILNS1_25lookback_scan_determinismE0ELb0ES3_N6thrust23THRUST_200600_302600_NS6detail15normal_iteratorINS9_10device_ptrIiEEEESE_SE_iNS9_10multipliesIiEENS9_8equal_toIiEEiEE10hipError_tPvRmT2_T3_T4_T5_mT6_T7_P12ihipStream_tbENKUlT_T0_E_clISt17integral_constantIbLb1EESZ_EEDaSU_SV_EUlSU_E_NS1_11comp_targetILNS1_3genE9ELNS1_11target_archE1100ELNS1_3gpuE3ELNS1_3repE0EEENS1_30default_config_static_selectorELNS0_4arch9wavefront6targetE0EEEvT1_.has_dyn_sized_stack, 0
	.set _ZN7rocprim17ROCPRIM_400000_NS6detail17trampoline_kernelINS0_14default_configENS1_27scan_by_key_config_selectorIiiEEZZNS1_16scan_by_key_implILNS1_25lookback_scan_determinismE0ELb0ES3_N6thrust23THRUST_200600_302600_NS6detail15normal_iteratorINS9_10device_ptrIiEEEESE_SE_iNS9_10multipliesIiEENS9_8equal_toIiEEiEE10hipError_tPvRmT2_T3_T4_T5_mT6_T7_P12ihipStream_tbENKUlT_T0_E_clISt17integral_constantIbLb1EESZ_EEDaSU_SV_EUlSU_E_NS1_11comp_targetILNS1_3genE9ELNS1_11target_archE1100ELNS1_3gpuE3ELNS1_3repE0EEENS1_30default_config_static_selectorELNS0_4arch9wavefront6targetE0EEEvT1_.has_recursion, 0
	.set _ZN7rocprim17ROCPRIM_400000_NS6detail17trampoline_kernelINS0_14default_configENS1_27scan_by_key_config_selectorIiiEEZZNS1_16scan_by_key_implILNS1_25lookback_scan_determinismE0ELb0ES3_N6thrust23THRUST_200600_302600_NS6detail15normal_iteratorINS9_10device_ptrIiEEEESE_SE_iNS9_10multipliesIiEENS9_8equal_toIiEEiEE10hipError_tPvRmT2_T3_T4_T5_mT6_T7_P12ihipStream_tbENKUlT_T0_E_clISt17integral_constantIbLb1EESZ_EEDaSU_SV_EUlSU_E_NS1_11comp_targetILNS1_3genE9ELNS1_11target_archE1100ELNS1_3gpuE3ELNS1_3repE0EEENS1_30default_config_static_selectorELNS0_4arch9wavefront6targetE0EEEvT1_.has_indirect_call, 0
	.section	.AMDGPU.csdata,"",@progbits
; Kernel info:
; codeLenInByte = 0
; TotalNumSgprs: 0
; NumVgprs: 0
; ScratchSize: 0
; MemoryBound: 0
; FloatMode: 240
; IeeeMode: 1
; LDSByteSize: 0 bytes/workgroup (compile time only)
; SGPRBlocks: 0
; VGPRBlocks: 0
; NumSGPRsForWavesPerEU: 1
; NumVGPRsForWavesPerEU: 1
; Occupancy: 16
; WaveLimiterHint : 0
; COMPUTE_PGM_RSRC2:SCRATCH_EN: 0
; COMPUTE_PGM_RSRC2:USER_SGPR: 6
; COMPUTE_PGM_RSRC2:TRAP_HANDLER: 0
; COMPUTE_PGM_RSRC2:TGID_X_EN: 1
; COMPUTE_PGM_RSRC2:TGID_Y_EN: 0
; COMPUTE_PGM_RSRC2:TGID_Z_EN: 0
; COMPUTE_PGM_RSRC2:TIDIG_COMP_CNT: 0
	.section	.text._ZN7rocprim17ROCPRIM_400000_NS6detail17trampoline_kernelINS0_14default_configENS1_27scan_by_key_config_selectorIiiEEZZNS1_16scan_by_key_implILNS1_25lookback_scan_determinismE0ELb0ES3_N6thrust23THRUST_200600_302600_NS6detail15normal_iteratorINS9_10device_ptrIiEEEESE_SE_iNS9_10multipliesIiEENS9_8equal_toIiEEiEE10hipError_tPvRmT2_T3_T4_T5_mT6_T7_P12ihipStream_tbENKUlT_T0_E_clISt17integral_constantIbLb1EESZ_EEDaSU_SV_EUlSU_E_NS1_11comp_targetILNS1_3genE8ELNS1_11target_archE1030ELNS1_3gpuE2ELNS1_3repE0EEENS1_30default_config_static_selectorELNS0_4arch9wavefront6targetE0EEEvT1_,"axG",@progbits,_ZN7rocprim17ROCPRIM_400000_NS6detail17trampoline_kernelINS0_14default_configENS1_27scan_by_key_config_selectorIiiEEZZNS1_16scan_by_key_implILNS1_25lookback_scan_determinismE0ELb0ES3_N6thrust23THRUST_200600_302600_NS6detail15normal_iteratorINS9_10device_ptrIiEEEESE_SE_iNS9_10multipliesIiEENS9_8equal_toIiEEiEE10hipError_tPvRmT2_T3_T4_T5_mT6_T7_P12ihipStream_tbENKUlT_T0_E_clISt17integral_constantIbLb1EESZ_EEDaSU_SV_EUlSU_E_NS1_11comp_targetILNS1_3genE8ELNS1_11target_archE1030ELNS1_3gpuE2ELNS1_3repE0EEENS1_30default_config_static_selectorELNS0_4arch9wavefront6targetE0EEEvT1_,comdat
	.protected	_ZN7rocprim17ROCPRIM_400000_NS6detail17trampoline_kernelINS0_14default_configENS1_27scan_by_key_config_selectorIiiEEZZNS1_16scan_by_key_implILNS1_25lookback_scan_determinismE0ELb0ES3_N6thrust23THRUST_200600_302600_NS6detail15normal_iteratorINS9_10device_ptrIiEEEESE_SE_iNS9_10multipliesIiEENS9_8equal_toIiEEiEE10hipError_tPvRmT2_T3_T4_T5_mT6_T7_P12ihipStream_tbENKUlT_T0_E_clISt17integral_constantIbLb1EESZ_EEDaSU_SV_EUlSU_E_NS1_11comp_targetILNS1_3genE8ELNS1_11target_archE1030ELNS1_3gpuE2ELNS1_3repE0EEENS1_30default_config_static_selectorELNS0_4arch9wavefront6targetE0EEEvT1_ ; -- Begin function _ZN7rocprim17ROCPRIM_400000_NS6detail17trampoline_kernelINS0_14default_configENS1_27scan_by_key_config_selectorIiiEEZZNS1_16scan_by_key_implILNS1_25lookback_scan_determinismE0ELb0ES3_N6thrust23THRUST_200600_302600_NS6detail15normal_iteratorINS9_10device_ptrIiEEEESE_SE_iNS9_10multipliesIiEENS9_8equal_toIiEEiEE10hipError_tPvRmT2_T3_T4_T5_mT6_T7_P12ihipStream_tbENKUlT_T0_E_clISt17integral_constantIbLb1EESZ_EEDaSU_SV_EUlSU_E_NS1_11comp_targetILNS1_3genE8ELNS1_11target_archE1030ELNS1_3gpuE2ELNS1_3repE0EEENS1_30default_config_static_selectorELNS0_4arch9wavefront6targetE0EEEvT1_
	.globl	_ZN7rocprim17ROCPRIM_400000_NS6detail17trampoline_kernelINS0_14default_configENS1_27scan_by_key_config_selectorIiiEEZZNS1_16scan_by_key_implILNS1_25lookback_scan_determinismE0ELb0ES3_N6thrust23THRUST_200600_302600_NS6detail15normal_iteratorINS9_10device_ptrIiEEEESE_SE_iNS9_10multipliesIiEENS9_8equal_toIiEEiEE10hipError_tPvRmT2_T3_T4_T5_mT6_T7_P12ihipStream_tbENKUlT_T0_E_clISt17integral_constantIbLb1EESZ_EEDaSU_SV_EUlSU_E_NS1_11comp_targetILNS1_3genE8ELNS1_11target_archE1030ELNS1_3gpuE2ELNS1_3repE0EEENS1_30default_config_static_selectorELNS0_4arch9wavefront6targetE0EEEvT1_
	.p2align	8
	.type	_ZN7rocprim17ROCPRIM_400000_NS6detail17trampoline_kernelINS0_14default_configENS1_27scan_by_key_config_selectorIiiEEZZNS1_16scan_by_key_implILNS1_25lookback_scan_determinismE0ELb0ES3_N6thrust23THRUST_200600_302600_NS6detail15normal_iteratorINS9_10device_ptrIiEEEESE_SE_iNS9_10multipliesIiEENS9_8equal_toIiEEiEE10hipError_tPvRmT2_T3_T4_T5_mT6_T7_P12ihipStream_tbENKUlT_T0_E_clISt17integral_constantIbLb1EESZ_EEDaSU_SV_EUlSU_E_NS1_11comp_targetILNS1_3genE8ELNS1_11target_archE1030ELNS1_3gpuE2ELNS1_3repE0EEENS1_30default_config_static_selectorELNS0_4arch9wavefront6targetE0EEEvT1_,@function
_ZN7rocprim17ROCPRIM_400000_NS6detail17trampoline_kernelINS0_14default_configENS1_27scan_by_key_config_selectorIiiEEZZNS1_16scan_by_key_implILNS1_25lookback_scan_determinismE0ELb0ES3_N6thrust23THRUST_200600_302600_NS6detail15normal_iteratorINS9_10device_ptrIiEEEESE_SE_iNS9_10multipliesIiEENS9_8equal_toIiEEiEE10hipError_tPvRmT2_T3_T4_T5_mT6_T7_P12ihipStream_tbENKUlT_T0_E_clISt17integral_constantIbLb1EESZ_EEDaSU_SV_EUlSU_E_NS1_11comp_targetILNS1_3genE8ELNS1_11target_archE1030ELNS1_3gpuE2ELNS1_3repE0EEENS1_30default_config_static_selectorELNS0_4arch9wavefront6targetE0EEEvT1_: ; @_ZN7rocprim17ROCPRIM_400000_NS6detail17trampoline_kernelINS0_14default_configENS1_27scan_by_key_config_selectorIiiEEZZNS1_16scan_by_key_implILNS1_25lookback_scan_determinismE0ELb0ES3_N6thrust23THRUST_200600_302600_NS6detail15normal_iteratorINS9_10device_ptrIiEEEESE_SE_iNS9_10multipliesIiEENS9_8equal_toIiEEiEE10hipError_tPvRmT2_T3_T4_T5_mT6_T7_P12ihipStream_tbENKUlT_T0_E_clISt17integral_constantIbLb1EESZ_EEDaSU_SV_EUlSU_E_NS1_11comp_targetILNS1_3genE8ELNS1_11target_archE1030ELNS1_3gpuE2ELNS1_3repE0EEENS1_30default_config_static_selectorELNS0_4arch9wavefront6targetE0EEEvT1_
; %bb.0:
	s_endpgm
	.section	.rodata,"a",@progbits
	.p2align	6, 0x0
	.amdhsa_kernel _ZN7rocprim17ROCPRIM_400000_NS6detail17trampoline_kernelINS0_14default_configENS1_27scan_by_key_config_selectorIiiEEZZNS1_16scan_by_key_implILNS1_25lookback_scan_determinismE0ELb0ES3_N6thrust23THRUST_200600_302600_NS6detail15normal_iteratorINS9_10device_ptrIiEEEESE_SE_iNS9_10multipliesIiEENS9_8equal_toIiEEiEE10hipError_tPvRmT2_T3_T4_T5_mT6_T7_P12ihipStream_tbENKUlT_T0_E_clISt17integral_constantIbLb1EESZ_EEDaSU_SV_EUlSU_E_NS1_11comp_targetILNS1_3genE8ELNS1_11target_archE1030ELNS1_3gpuE2ELNS1_3repE0EEENS1_30default_config_static_selectorELNS0_4arch9wavefront6targetE0EEEvT1_
		.amdhsa_group_segment_fixed_size 0
		.amdhsa_private_segment_fixed_size 0
		.amdhsa_kernarg_size 112
		.amdhsa_user_sgpr_count 6
		.amdhsa_user_sgpr_private_segment_buffer 1
		.amdhsa_user_sgpr_dispatch_ptr 0
		.amdhsa_user_sgpr_queue_ptr 0
		.amdhsa_user_sgpr_kernarg_segment_ptr 1
		.amdhsa_user_sgpr_dispatch_id 0
		.amdhsa_user_sgpr_flat_scratch_init 0
		.amdhsa_user_sgpr_private_segment_size 0
		.amdhsa_wavefront_size32 1
		.amdhsa_uses_dynamic_stack 0
		.amdhsa_system_sgpr_private_segment_wavefront_offset 0
		.amdhsa_system_sgpr_workgroup_id_x 1
		.amdhsa_system_sgpr_workgroup_id_y 0
		.amdhsa_system_sgpr_workgroup_id_z 0
		.amdhsa_system_sgpr_workgroup_info 0
		.amdhsa_system_vgpr_workitem_id 0
		.amdhsa_next_free_vgpr 1
		.amdhsa_next_free_sgpr 1
		.amdhsa_reserve_vcc 0
		.amdhsa_reserve_flat_scratch 0
		.amdhsa_float_round_mode_32 0
		.amdhsa_float_round_mode_16_64 0
		.amdhsa_float_denorm_mode_32 3
		.amdhsa_float_denorm_mode_16_64 3
		.amdhsa_dx10_clamp 1
		.amdhsa_ieee_mode 1
		.amdhsa_fp16_overflow 0
		.amdhsa_workgroup_processor_mode 1
		.amdhsa_memory_ordered 1
		.amdhsa_forward_progress 1
		.amdhsa_shared_vgpr_count 0
		.amdhsa_exception_fp_ieee_invalid_op 0
		.amdhsa_exception_fp_denorm_src 0
		.amdhsa_exception_fp_ieee_div_zero 0
		.amdhsa_exception_fp_ieee_overflow 0
		.amdhsa_exception_fp_ieee_underflow 0
		.amdhsa_exception_fp_ieee_inexact 0
		.amdhsa_exception_int_div_zero 0
	.end_amdhsa_kernel
	.section	.text._ZN7rocprim17ROCPRIM_400000_NS6detail17trampoline_kernelINS0_14default_configENS1_27scan_by_key_config_selectorIiiEEZZNS1_16scan_by_key_implILNS1_25lookback_scan_determinismE0ELb0ES3_N6thrust23THRUST_200600_302600_NS6detail15normal_iteratorINS9_10device_ptrIiEEEESE_SE_iNS9_10multipliesIiEENS9_8equal_toIiEEiEE10hipError_tPvRmT2_T3_T4_T5_mT6_T7_P12ihipStream_tbENKUlT_T0_E_clISt17integral_constantIbLb1EESZ_EEDaSU_SV_EUlSU_E_NS1_11comp_targetILNS1_3genE8ELNS1_11target_archE1030ELNS1_3gpuE2ELNS1_3repE0EEENS1_30default_config_static_selectorELNS0_4arch9wavefront6targetE0EEEvT1_,"axG",@progbits,_ZN7rocprim17ROCPRIM_400000_NS6detail17trampoline_kernelINS0_14default_configENS1_27scan_by_key_config_selectorIiiEEZZNS1_16scan_by_key_implILNS1_25lookback_scan_determinismE0ELb0ES3_N6thrust23THRUST_200600_302600_NS6detail15normal_iteratorINS9_10device_ptrIiEEEESE_SE_iNS9_10multipliesIiEENS9_8equal_toIiEEiEE10hipError_tPvRmT2_T3_T4_T5_mT6_T7_P12ihipStream_tbENKUlT_T0_E_clISt17integral_constantIbLb1EESZ_EEDaSU_SV_EUlSU_E_NS1_11comp_targetILNS1_3genE8ELNS1_11target_archE1030ELNS1_3gpuE2ELNS1_3repE0EEENS1_30default_config_static_selectorELNS0_4arch9wavefront6targetE0EEEvT1_,comdat
.Lfunc_end181:
	.size	_ZN7rocprim17ROCPRIM_400000_NS6detail17trampoline_kernelINS0_14default_configENS1_27scan_by_key_config_selectorIiiEEZZNS1_16scan_by_key_implILNS1_25lookback_scan_determinismE0ELb0ES3_N6thrust23THRUST_200600_302600_NS6detail15normal_iteratorINS9_10device_ptrIiEEEESE_SE_iNS9_10multipliesIiEENS9_8equal_toIiEEiEE10hipError_tPvRmT2_T3_T4_T5_mT6_T7_P12ihipStream_tbENKUlT_T0_E_clISt17integral_constantIbLb1EESZ_EEDaSU_SV_EUlSU_E_NS1_11comp_targetILNS1_3genE8ELNS1_11target_archE1030ELNS1_3gpuE2ELNS1_3repE0EEENS1_30default_config_static_selectorELNS0_4arch9wavefront6targetE0EEEvT1_, .Lfunc_end181-_ZN7rocprim17ROCPRIM_400000_NS6detail17trampoline_kernelINS0_14default_configENS1_27scan_by_key_config_selectorIiiEEZZNS1_16scan_by_key_implILNS1_25lookback_scan_determinismE0ELb0ES3_N6thrust23THRUST_200600_302600_NS6detail15normal_iteratorINS9_10device_ptrIiEEEESE_SE_iNS9_10multipliesIiEENS9_8equal_toIiEEiEE10hipError_tPvRmT2_T3_T4_T5_mT6_T7_P12ihipStream_tbENKUlT_T0_E_clISt17integral_constantIbLb1EESZ_EEDaSU_SV_EUlSU_E_NS1_11comp_targetILNS1_3genE8ELNS1_11target_archE1030ELNS1_3gpuE2ELNS1_3repE0EEENS1_30default_config_static_selectorELNS0_4arch9wavefront6targetE0EEEvT1_
                                        ; -- End function
	.set _ZN7rocprim17ROCPRIM_400000_NS6detail17trampoline_kernelINS0_14default_configENS1_27scan_by_key_config_selectorIiiEEZZNS1_16scan_by_key_implILNS1_25lookback_scan_determinismE0ELb0ES3_N6thrust23THRUST_200600_302600_NS6detail15normal_iteratorINS9_10device_ptrIiEEEESE_SE_iNS9_10multipliesIiEENS9_8equal_toIiEEiEE10hipError_tPvRmT2_T3_T4_T5_mT6_T7_P12ihipStream_tbENKUlT_T0_E_clISt17integral_constantIbLb1EESZ_EEDaSU_SV_EUlSU_E_NS1_11comp_targetILNS1_3genE8ELNS1_11target_archE1030ELNS1_3gpuE2ELNS1_3repE0EEENS1_30default_config_static_selectorELNS0_4arch9wavefront6targetE0EEEvT1_.num_vgpr, 0
	.set _ZN7rocprim17ROCPRIM_400000_NS6detail17trampoline_kernelINS0_14default_configENS1_27scan_by_key_config_selectorIiiEEZZNS1_16scan_by_key_implILNS1_25lookback_scan_determinismE0ELb0ES3_N6thrust23THRUST_200600_302600_NS6detail15normal_iteratorINS9_10device_ptrIiEEEESE_SE_iNS9_10multipliesIiEENS9_8equal_toIiEEiEE10hipError_tPvRmT2_T3_T4_T5_mT6_T7_P12ihipStream_tbENKUlT_T0_E_clISt17integral_constantIbLb1EESZ_EEDaSU_SV_EUlSU_E_NS1_11comp_targetILNS1_3genE8ELNS1_11target_archE1030ELNS1_3gpuE2ELNS1_3repE0EEENS1_30default_config_static_selectorELNS0_4arch9wavefront6targetE0EEEvT1_.num_agpr, 0
	.set _ZN7rocprim17ROCPRIM_400000_NS6detail17trampoline_kernelINS0_14default_configENS1_27scan_by_key_config_selectorIiiEEZZNS1_16scan_by_key_implILNS1_25lookback_scan_determinismE0ELb0ES3_N6thrust23THRUST_200600_302600_NS6detail15normal_iteratorINS9_10device_ptrIiEEEESE_SE_iNS9_10multipliesIiEENS9_8equal_toIiEEiEE10hipError_tPvRmT2_T3_T4_T5_mT6_T7_P12ihipStream_tbENKUlT_T0_E_clISt17integral_constantIbLb1EESZ_EEDaSU_SV_EUlSU_E_NS1_11comp_targetILNS1_3genE8ELNS1_11target_archE1030ELNS1_3gpuE2ELNS1_3repE0EEENS1_30default_config_static_selectorELNS0_4arch9wavefront6targetE0EEEvT1_.numbered_sgpr, 0
	.set _ZN7rocprim17ROCPRIM_400000_NS6detail17trampoline_kernelINS0_14default_configENS1_27scan_by_key_config_selectorIiiEEZZNS1_16scan_by_key_implILNS1_25lookback_scan_determinismE0ELb0ES3_N6thrust23THRUST_200600_302600_NS6detail15normal_iteratorINS9_10device_ptrIiEEEESE_SE_iNS9_10multipliesIiEENS9_8equal_toIiEEiEE10hipError_tPvRmT2_T3_T4_T5_mT6_T7_P12ihipStream_tbENKUlT_T0_E_clISt17integral_constantIbLb1EESZ_EEDaSU_SV_EUlSU_E_NS1_11comp_targetILNS1_3genE8ELNS1_11target_archE1030ELNS1_3gpuE2ELNS1_3repE0EEENS1_30default_config_static_selectorELNS0_4arch9wavefront6targetE0EEEvT1_.num_named_barrier, 0
	.set _ZN7rocprim17ROCPRIM_400000_NS6detail17trampoline_kernelINS0_14default_configENS1_27scan_by_key_config_selectorIiiEEZZNS1_16scan_by_key_implILNS1_25lookback_scan_determinismE0ELb0ES3_N6thrust23THRUST_200600_302600_NS6detail15normal_iteratorINS9_10device_ptrIiEEEESE_SE_iNS9_10multipliesIiEENS9_8equal_toIiEEiEE10hipError_tPvRmT2_T3_T4_T5_mT6_T7_P12ihipStream_tbENKUlT_T0_E_clISt17integral_constantIbLb1EESZ_EEDaSU_SV_EUlSU_E_NS1_11comp_targetILNS1_3genE8ELNS1_11target_archE1030ELNS1_3gpuE2ELNS1_3repE0EEENS1_30default_config_static_selectorELNS0_4arch9wavefront6targetE0EEEvT1_.private_seg_size, 0
	.set _ZN7rocprim17ROCPRIM_400000_NS6detail17trampoline_kernelINS0_14default_configENS1_27scan_by_key_config_selectorIiiEEZZNS1_16scan_by_key_implILNS1_25lookback_scan_determinismE0ELb0ES3_N6thrust23THRUST_200600_302600_NS6detail15normal_iteratorINS9_10device_ptrIiEEEESE_SE_iNS9_10multipliesIiEENS9_8equal_toIiEEiEE10hipError_tPvRmT2_T3_T4_T5_mT6_T7_P12ihipStream_tbENKUlT_T0_E_clISt17integral_constantIbLb1EESZ_EEDaSU_SV_EUlSU_E_NS1_11comp_targetILNS1_3genE8ELNS1_11target_archE1030ELNS1_3gpuE2ELNS1_3repE0EEENS1_30default_config_static_selectorELNS0_4arch9wavefront6targetE0EEEvT1_.uses_vcc, 0
	.set _ZN7rocprim17ROCPRIM_400000_NS6detail17trampoline_kernelINS0_14default_configENS1_27scan_by_key_config_selectorIiiEEZZNS1_16scan_by_key_implILNS1_25lookback_scan_determinismE0ELb0ES3_N6thrust23THRUST_200600_302600_NS6detail15normal_iteratorINS9_10device_ptrIiEEEESE_SE_iNS9_10multipliesIiEENS9_8equal_toIiEEiEE10hipError_tPvRmT2_T3_T4_T5_mT6_T7_P12ihipStream_tbENKUlT_T0_E_clISt17integral_constantIbLb1EESZ_EEDaSU_SV_EUlSU_E_NS1_11comp_targetILNS1_3genE8ELNS1_11target_archE1030ELNS1_3gpuE2ELNS1_3repE0EEENS1_30default_config_static_selectorELNS0_4arch9wavefront6targetE0EEEvT1_.uses_flat_scratch, 0
	.set _ZN7rocprim17ROCPRIM_400000_NS6detail17trampoline_kernelINS0_14default_configENS1_27scan_by_key_config_selectorIiiEEZZNS1_16scan_by_key_implILNS1_25lookback_scan_determinismE0ELb0ES3_N6thrust23THRUST_200600_302600_NS6detail15normal_iteratorINS9_10device_ptrIiEEEESE_SE_iNS9_10multipliesIiEENS9_8equal_toIiEEiEE10hipError_tPvRmT2_T3_T4_T5_mT6_T7_P12ihipStream_tbENKUlT_T0_E_clISt17integral_constantIbLb1EESZ_EEDaSU_SV_EUlSU_E_NS1_11comp_targetILNS1_3genE8ELNS1_11target_archE1030ELNS1_3gpuE2ELNS1_3repE0EEENS1_30default_config_static_selectorELNS0_4arch9wavefront6targetE0EEEvT1_.has_dyn_sized_stack, 0
	.set _ZN7rocprim17ROCPRIM_400000_NS6detail17trampoline_kernelINS0_14default_configENS1_27scan_by_key_config_selectorIiiEEZZNS1_16scan_by_key_implILNS1_25lookback_scan_determinismE0ELb0ES3_N6thrust23THRUST_200600_302600_NS6detail15normal_iteratorINS9_10device_ptrIiEEEESE_SE_iNS9_10multipliesIiEENS9_8equal_toIiEEiEE10hipError_tPvRmT2_T3_T4_T5_mT6_T7_P12ihipStream_tbENKUlT_T0_E_clISt17integral_constantIbLb1EESZ_EEDaSU_SV_EUlSU_E_NS1_11comp_targetILNS1_3genE8ELNS1_11target_archE1030ELNS1_3gpuE2ELNS1_3repE0EEENS1_30default_config_static_selectorELNS0_4arch9wavefront6targetE0EEEvT1_.has_recursion, 0
	.set _ZN7rocprim17ROCPRIM_400000_NS6detail17trampoline_kernelINS0_14default_configENS1_27scan_by_key_config_selectorIiiEEZZNS1_16scan_by_key_implILNS1_25lookback_scan_determinismE0ELb0ES3_N6thrust23THRUST_200600_302600_NS6detail15normal_iteratorINS9_10device_ptrIiEEEESE_SE_iNS9_10multipliesIiEENS9_8equal_toIiEEiEE10hipError_tPvRmT2_T3_T4_T5_mT6_T7_P12ihipStream_tbENKUlT_T0_E_clISt17integral_constantIbLb1EESZ_EEDaSU_SV_EUlSU_E_NS1_11comp_targetILNS1_3genE8ELNS1_11target_archE1030ELNS1_3gpuE2ELNS1_3repE0EEENS1_30default_config_static_selectorELNS0_4arch9wavefront6targetE0EEEvT1_.has_indirect_call, 0
	.section	.AMDGPU.csdata,"",@progbits
; Kernel info:
; codeLenInByte = 4
; TotalNumSgprs: 0
; NumVgprs: 0
; ScratchSize: 0
; MemoryBound: 0
; FloatMode: 240
; IeeeMode: 1
; LDSByteSize: 0 bytes/workgroup (compile time only)
; SGPRBlocks: 0
; VGPRBlocks: 0
; NumSGPRsForWavesPerEU: 1
; NumVGPRsForWavesPerEU: 1
; Occupancy: 16
; WaveLimiterHint : 0
; COMPUTE_PGM_RSRC2:SCRATCH_EN: 0
; COMPUTE_PGM_RSRC2:USER_SGPR: 6
; COMPUTE_PGM_RSRC2:TRAP_HANDLER: 0
; COMPUTE_PGM_RSRC2:TGID_X_EN: 1
; COMPUTE_PGM_RSRC2:TGID_Y_EN: 0
; COMPUTE_PGM_RSRC2:TGID_Z_EN: 0
; COMPUTE_PGM_RSRC2:TIDIG_COMP_CNT: 0
	.section	.text._ZN7rocprim17ROCPRIM_400000_NS6detail17trampoline_kernelINS0_14default_configENS1_27scan_by_key_config_selectorIiiEEZZNS1_16scan_by_key_implILNS1_25lookback_scan_determinismE0ELb0ES3_N6thrust23THRUST_200600_302600_NS6detail15normal_iteratorINS9_10device_ptrIiEEEESE_SE_iNS9_10multipliesIiEENS9_8equal_toIiEEiEE10hipError_tPvRmT2_T3_T4_T5_mT6_T7_P12ihipStream_tbENKUlT_T0_E_clISt17integral_constantIbLb1EESY_IbLb0EEEEDaSU_SV_EUlSU_E_NS1_11comp_targetILNS1_3genE0ELNS1_11target_archE4294967295ELNS1_3gpuE0ELNS1_3repE0EEENS1_30default_config_static_selectorELNS0_4arch9wavefront6targetE0EEEvT1_,"axG",@progbits,_ZN7rocprim17ROCPRIM_400000_NS6detail17trampoline_kernelINS0_14default_configENS1_27scan_by_key_config_selectorIiiEEZZNS1_16scan_by_key_implILNS1_25lookback_scan_determinismE0ELb0ES3_N6thrust23THRUST_200600_302600_NS6detail15normal_iteratorINS9_10device_ptrIiEEEESE_SE_iNS9_10multipliesIiEENS9_8equal_toIiEEiEE10hipError_tPvRmT2_T3_T4_T5_mT6_T7_P12ihipStream_tbENKUlT_T0_E_clISt17integral_constantIbLb1EESY_IbLb0EEEEDaSU_SV_EUlSU_E_NS1_11comp_targetILNS1_3genE0ELNS1_11target_archE4294967295ELNS1_3gpuE0ELNS1_3repE0EEENS1_30default_config_static_selectorELNS0_4arch9wavefront6targetE0EEEvT1_,comdat
	.protected	_ZN7rocprim17ROCPRIM_400000_NS6detail17trampoline_kernelINS0_14default_configENS1_27scan_by_key_config_selectorIiiEEZZNS1_16scan_by_key_implILNS1_25lookback_scan_determinismE0ELb0ES3_N6thrust23THRUST_200600_302600_NS6detail15normal_iteratorINS9_10device_ptrIiEEEESE_SE_iNS9_10multipliesIiEENS9_8equal_toIiEEiEE10hipError_tPvRmT2_T3_T4_T5_mT6_T7_P12ihipStream_tbENKUlT_T0_E_clISt17integral_constantIbLb1EESY_IbLb0EEEEDaSU_SV_EUlSU_E_NS1_11comp_targetILNS1_3genE0ELNS1_11target_archE4294967295ELNS1_3gpuE0ELNS1_3repE0EEENS1_30default_config_static_selectorELNS0_4arch9wavefront6targetE0EEEvT1_ ; -- Begin function _ZN7rocprim17ROCPRIM_400000_NS6detail17trampoline_kernelINS0_14default_configENS1_27scan_by_key_config_selectorIiiEEZZNS1_16scan_by_key_implILNS1_25lookback_scan_determinismE0ELb0ES3_N6thrust23THRUST_200600_302600_NS6detail15normal_iteratorINS9_10device_ptrIiEEEESE_SE_iNS9_10multipliesIiEENS9_8equal_toIiEEiEE10hipError_tPvRmT2_T3_T4_T5_mT6_T7_P12ihipStream_tbENKUlT_T0_E_clISt17integral_constantIbLb1EESY_IbLb0EEEEDaSU_SV_EUlSU_E_NS1_11comp_targetILNS1_3genE0ELNS1_11target_archE4294967295ELNS1_3gpuE0ELNS1_3repE0EEENS1_30default_config_static_selectorELNS0_4arch9wavefront6targetE0EEEvT1_
	.globl	_ZN7rocprim17ROCPRIM_400000_NS6detail17trampoline_kernelINS0_14default_configENS1_27scan_by_key_config_selectorIiiEEZZNS1_16scan_by_key_implILNS1_25lookback_scan_determinismE0ELb0ES3_N6thrust23THRUST_200600_302600_NS6detail15normal_iteratorINS9_10device_ptrIiEEEESE_SE_iNS9_10multipliesIiEENS9_8equal_toIiEEiEE10hipError_tPvRmT2_T3_T4_T5_mT6_T7_P12ihipStream_tbENKUlT_T0_E_clISt17integral_constantIbLb1EESY_IbLb0EEEEDaSU_SV_EUlSU_E_NS1_11comp_targetILNS1_3genE0ELNS1_11target_archE4294967295ELNS1_3gpuE0ELNS1_3repE0EEENS1_30default_config_static_selectorELNS0_4arch9wavefront6targetE0EEEvT1_
	.p2align	8
	.type	_ZN7rocprim17ROCPRIM_400000_NS6detail17trampoline_kernelINS0_14default_configENS1_27scan_by_key_config_selectorIiiEEZZNS1_16scan_by_key_implILNS1_25lookback_scan_determinismE0ELb0ES3_N6thrust23THRUST_200600_302600_NS6detail15normal_iteratorINS9_10device_ptrIiEEEESE_SE_iNS9_10multipliesIiEENS9_8equal_toIiEEiEE10hipError_tPvRmT2_T3_T4_T5_mT6_T7_P12ihipStream_tbENKUlT_T0_E_clISt17integral_constantIbLb1EESY_IbLb0EEEEDaSU_SV_EUlSU_E_NS1_11comp_targetILNS1_3genE0ELNS1_11target_archE4294967295ELNS1_3gpuE0ELNS1_3repE0EEENS1_30default_config_static_selectorELNS0_4arch9wavefront6targetE0EEEvT1_,@function
_ZN7rocprim17ROCPRIM_400000_NS6detail17trampoline_kernelINS0_14default_configENS1_27scan_by_key_config_selectorIiiEEZZNS1_16scan_by_key_implILNS1_25lookback_scan_determinismE0ELb0ES3_N6thrust23THRUST_200600_302600_NS6detail15normal_iteratorINS9_10device_ptrIiEEEESE_SE_iNS9_10multipliesIiEENS9_8equal_toIiEEiEE10hipError_tPvRmT2_T3_T4_T5_mT6_T7_P12ihipStream_tbENKUlT_T0_E_clISt17integral_constantIbLb1EESY_IbLb0EEEEDaSU_SV_EUlSU_E_NS1_11comp_targetILNS1_3genE0ELNS1_11target_archE4294967295ELNS1_3gpuE0ELNS1_3repE0EEENS1_30default_config_static_selectorELNS0_4arch9wavefront6targetE0EEEvT1_: ; @_ZN7rocprim17ROCPRIM_400000_NS6detail17trampoline_kernelINS0_14default_configENS1_27scan_by_key_config_selectorIiiEEZZNS1_16scan_by_key_implILNS1_25lookback_scan_determinismE0ELb0ES3_N6thrust23THRUST_200600_302600_NS6detail15normal_iteratorINS9_10device_ptrIiEEEESE_SE_iNS9_10multipliesIiEENS9_8equal_toIiEEiEE10hipError_tPvRmT2_T3_T4_T5_mT6_T7_P12ihipStream_tbENKUlT_T0_E_clISt17integral_constantIbLb1EESY_IbLb0EEEEDaSU_SV_EUlSU_E_NS1_11comp_targetILNS1_3genE0ELNS1_11target_archE4294967295ELNS1_3gpuE0ELNS1_3repE0EEENS1_30default_config_static_selectorELNS0_4arch9wavefront6targetE0EEEvT1_
; %bb.0:
	.section	.rodata,"a",@progbits
	.p2align	6, 0x0
	.amdhsa_kernel _ZN7rocprim17ROCPRIM_400000_NS6detail17trampoline_kernelINS0_14default_configENS1_27scan_by_key_config_selectorIiiEEZZNS1_16scan_by_key_implILNS1_25lookback_scan_determinismE0ELb0ES3_N6thrust23THRUST_200600_302600_NS6detail15normal_iteratorINS9_10device_ptrIiEEEESE_SE_iNS9_10multipliesIiEENS9_8equal_toIiEEiEE10hipError_tPvRmT2_T3_T4_T5_mT6_T7_P12ihipStream_tbENKUlT_T0_E_clISt17integral_constantIbLb1EESY_IbLb0EEEEDaSU_SV_EUlSU_E_NS1_11comp_targetILNS1_3genE0ELNS1_11target_archE4294967295ELNS1_3gpuE0ELNS1_3repE0EEENS1_30default_config_static_selectorELNS0_4arch9wavefront6targetE0EEEvT1_
		.amdhsa_group_segment_fixed_size 0
		.amdhsa_private_segment_fixed_size 0
		.amdhsa_kernarg_size 112
		.amdhsa_user_sgpr_count 6
		.amdhsa_user_sgpr_private_segment_buffer 1
		.amdhsa_user_sgpr_dispatch_ptr 0
		.amdhsa_user_sgpr_queue_ptr 0
		.amdhsa_user_sgpr_kernarg_segment_ptr 1
		.amdhsa_user_sgpr_dispatch_id 0
		.amdhsa_user_sgpr_flat_scratch_init 0
		.amdhsa_user_sgpr_private_segment_size 0
		.amdhsa_wavefront_size32 1
		.amdhsa_uses_dynamic_stack 0
		.amdhsa_system_sgpr_private_segment_wavefront_offset 0
		.amdhsa_system_sgpr_workgroup_id_x 1
		.amdhsa_system_sgpr_workgroup_id_y 0
		.amdhsa_system_sgpr_workgroup_id_z 0
		.amdhsa_system_sgpr_workgroup_info 0
		.amdhsa_system_vgpr_workitem_id 0
		.amdhsa_next_free_vgpr 1
		.amdhsa_next_free_sgpr 1
		.amdhsa_reserve_vcc 0
		.amdhsa_reserve_flat_scratch 0
		.amdhsa_float_round_mode_32 0
		.amdhsa_float_round_mode_16_64 0
		.amdhsa_float_denorm_mode_32 3
		.amdhsa_float_denorm_mode_16_64 3
		.amdhsa_dx10_clamp 1
		.amdhsa_ieee_mode 1
		.amdhsa_fp16_overflow 0
		.amdhsa_workgroup_processor_mode 1
		.amdhsa_memory_ordered 1
		.amdhsa_forward_progress 1
		.amdhsa_shared_vgpr_count 0
		.amdhsa_exception_fp_ieee_invalid_op 0
		.amdhsa_exception_fp_denorm_src 0
		.amdhsa_exception_fp_ieee_div_zero 0
		.amdhsa_exception_fp_ieee_overflow 0
		.amdhsa_exception_fp_ieee_underflow 0
		.amdhsa_exception_fp_ieee_inexact 0
		.amdhsa_exception_int_div_zero 0
	.end_amdhsa_kernel
	.section	.text._ZN7rocprim17ROCPRIM_400000_NS6detail17trampoline_kernelINS0_14default_configENS1_27scan_by_key_config_selectorIiiEEZZNS1_16scan_by_key_implILNS1_25lookback_scan_determinismE0ELb0ES3_N6thrust23THRUST_200600_302600_NS6detail15normal_iteratorINS9_10device_ptrIiEEEESE_SE_iNS9_10multipliesIiEENS9_8equal_toIiEEiEE10hipError_tPvRmT2_T3_T4_T5_mT6_T7_P12ihipStream_tbENKUlT_T0_E_clISt17integral_constantIbLb1EESY_IbLb0EEEEDaSU_SV_EUlSU_E_NS1_11comp_targetILNS1_3genE0ELNS1_11target_archE4294967295ELNS1_3gpuE0ELNS1_3repE0EEENS1_30default_config_static_selectorELNS0_4arch9wavefront6targetE0EEEvT1_,"axG",@progbits,_ZN7rocprim17ROCPRIM_400000_NS6detail17trampoline_kernelINS0_14default_configENS1_27scan_by_key_config_selectorIiiEEZZNS1_16scan_by_key_implILNS1_25lookback_scan_determinismE0ELb0ES3_N6thrust23THRUST_200600_302600_NS6detail15normal_iteratorINS9_10device_ptrIiEEEESE_SE_iNS9_10multipliesIiEENS9_8equal_toIiEEiEE10hipError_tPvRmT2_T3_T4_T5_mT6_T7_P12ihipStream_tbENKUlT_T0_E_clISt17integral_constantIbLb1EESY_IbLb0EEEEDaSU_SV_EUlSU_E_NS1_11comp_targetILNS1_3genE0ELNS1_11target_archE4294967295ELNS1_3gpuE0ELNS1_3repE0EEENS1_30default_config_static_selectorELNS0_4arch9wavefront6targetE0EEEvT1_,comdat
.Lfunc_end182:
	.size	_ZN7rocprim17ROCPRIM_400000_NS6detail17trampoline_kernelINS0_14default_configENS1_27scan_by_key_config_selectorIiiEEZZNS1_16scan_by_key_implILNS1_25lookback_scan_determinismE0ELb0ES3_N6thrust23THRUST_200600_302600_NS6detail15normal_iteratorINS9_10device_ptrIiEEEESE_SE_iNS9_10multipliesIiEENS9_8equal_toIiEEiEE10hipError_tPvRmT2_T3_T4_T5_mT6_T7_P12ihipStream_tbENKUlT_T0_E_clISt17integral_constantIbLb1EESY_IbLb0EEEEDaSU_SV_EUlSU_E_NS1_11comp_targetILNS1_3genE0ELNS1_11target_archE4294967295ELNS1_3gpuE0ELNS1_3repE0EEENS1_30default_config_static_selectorELNS0_4arch9wavefront6targetE0EEEvT1_, .Lfunc_end182-_ZN7rocprim17ROCPRIM_400000_NS6detail17trampoline_kernelINS0_14default_configENS1_27scan_by_key_config_selectorIiiEEZZNS1_16scan_by_key_implILNS1_25lookback_scan_determinismE0ELb0ES3_N6thrust23THRUST_200600_302600_NS6detail15normal_iteratorINS9_10device_ptrIiEEEESE_SE_iNS9_10multipliesIiEENS9_8equal_toIiEEiEE10hipError_tPvRmT2_T3_T4_T5_mT6_T7_P12ihipStream_tbENKUlT_T0_E_clISt17integral_constantIbLb1EESY_IbLb0EEEEDaSU_SV_EUlSU_E_NS1_11comp_targetILNS1_3genE0ELNS1_11target_archE4294967295ELNS1_3gpuE0ELNS1_3repE0EEENS1_30default_config_static_selectorELNS0_4arch9wavefront6targetE0EEEvT1_
                                        ; -- End function
	.set _ZN7rocprim17ROCPRIM_400000_NS6detail17trampoline_kernelINS0_14default_configENS1_27scan_by_key_config_selectorIiiEEZZNS1_16scan_by_key_implILNS1_25lookback_scan_determinismE0ELb0ES3_N6thrust23THRUST_200600_302600_NS6detail15normal_iteratorINS9_10device_ptrIiEEEESE_SE_iNS9_10multipliesIiEENS9_8equal_toIiEEiEE10hipError_tPvRmT2_T3_T4_T5_mT6_T7_P12ihipStream_tbENKUlT_T0_E_clISt17integral_constantIbLb1EESY_IbLb0EEEEDaSU_SV_EUlSU_E_NS1_11comp_targetILNS1_3genE0ELNS1_11target_archE4294967295ELNS1_3gpuE0ELNS1_3repE0EEENS1_30default_config_static_selectorELNS0_4arch9wavefront6targetE0EEEvT1_.num_vgpr, 0
	.set _ZN7rocprim17ROCPRIM_400000_NS6detail17trampoline_kernelINS0_14default_configENS1_27scan_by_key_config_selectorIiiEEZZNS1_16scan_by_key_implILNS1_25lookback_scan_determinismE0ELb0ES3_N6thrust23THRUST_200600_302600_NS6detail15normal_iteratorINS9_10device_ptrIiEEEESE_SE_iNS9_10multipliesIiEENS9_8equal_toIiEEiEE10hipError_tPvRmT2_T3_T4_T5_mT6_T7_P12ihipStream_tbENKUlT_T0_E_clISt17integral_constantIbLb1EESY_IbLb0EEEEDaSU_SV_EUlSU_E_NS1_11comp_targetILNS1_3genE0ELNS1_11target_archE4294967295ELNS1_3gpuE0ELNS1_3repE0EEENS1_30default_config_static_selectorELNS0_4arch9wavefront6targetE0EEEvT1_.num_agpr, 0
	.set _ZN7rocprim17ROCPRIM_400000_NS6detail17trampoline_kernelINS0_14default_configENS1_27scan_by_key_config_selectorIiiEEZZNS1_16scan_by_key_implILNS1_25lookback_scan_determinismE0ELb0ES3_N6thrust23THRUST_200600_302600_NS6detail15normal_iteratorINS9_10device_ptrIiEEEESE_SE_iNS9_10multipliesIiEENS9_8equal_toIiEEiEE10hipError_tPvRmT2_T3_T4_T5_mT6_T7_P12ihipStream_tbENKUlT_T0_E_clISt17integral_constantIbLb1EESY_IbLb0EEEEDaSU_SV_EUlSU_E_NS1_11comp_targetILNS1_3genE0ELNS1_11target_archE4294967295ELNS1_3gpuE0ELNS1_3repE0EEENS1_30default_config_static_selectorELNS0_4arch9wavefront6targetE0EEEvT1_.numbered_sgpr, 0
	.set _ZN7rocprim17ROCPRIM_400000_NS6detail17trampoline_kernelINS0_14default_configENS1_27scan_by_key_config_selectorIiiEEZZNS1_16scan_by_key_implILNS1_25lookback_scan_determinismE0ELb0ES3_N6thrust23THRUST_200600_302600_NS6detail15normal_iteratorINS9_10device_ptrIiEEEESE_SE_iNS9_10multipliesIiEENS9_8equal_toIiEEiEE10hipError_tPvRmT2_T3_T4_T5_mT6_T7_P12ihipStream_tbENKUlT_T0_E_clISt17integral_constantIbLb1EESY_IbLb0EEEEDaSU_SV_EUlSU_E_NS1_11comp_targetILNS1_3genE0ELNS1_11target_archE4294967295ELNS1_3gpuE0ELNS1_3repE0EEENS1_30default_config_static_selectorELNS0_4arch9wavefront6targetE0EEEvT1_.num_named_barrier, 0
	.set _ZN7rocprim17ROCPRIM_400000_NS6detail17trampoline_kernelINS0_14default_configENS1_27scan_by_key_config_selectorIiiEEZZNS1_16scan_by_key_implILNS1_25lookback_scan_determinismE0ELb0ES3_N6thrust23THRUST_200600_302600_NS6detail15normal_iteratorINS9_10device_ptrIiEEEESE_SE_iNS9_10multipliesIiEENS9_8equal_toIiEEiEE10hipError_tPvRmT2_T3_T4_T5_mT6_T7_P12ihipStream_tbENKUlT_T0_E_clISt17integral_constantIbLb1EESY_IbLb0EEEEDaSU_SV_EUlSU_E_NS1_11comp_targetILNS1_3genE0ELNS1_11target_archE4294967295ELNS1_3gpuE0ELNS1_3repE0EEENS1_30default_config_static_selectorELNS0_4arch9wavefront6targetE0EEEvT1_.private_seg_size, 0
	.set _ZN7rocprim17ROCPRIM_400000_NS6detail17trampoline_kernelINS0_14default_configENS1_27scan_by_key_config_selectorIiiEEZZNS1_16scan_by_key_implILNS1_25lookback_scan_determinismE0ELb0ES3_N6thrust23THRUST_200600_302600_NS6detail15normal_iteratorINS9_10device_ptrIiEEEESE_SE_iNS9_10multipliesIiEENS9_8equal_toIiEEiEE10hipError_tPvRmT2_T3_T4_T5_mT6_T7_P12ihipStream_tbENKUlT_T0_E_clISt17integral_constantIbLb1EESY_IbLb0EEEEDaSU_SV_EUlSU_E_NS1_11comp_targetILNS1_3genE0ELNS1_11target_archE4294967295ELNS1_3gpuE0ELNS1_3repE0EEENS1_30default_config_static_selectorELNS0_4arch9wavefront6targetE0EEEvT1_.uses_vcc, 0
	.set _ZN7rocprim17ROCPRIM_400000_NS6detail17trampoline_kernelINS0_14default_configENS1_27scan_by_key_config_selectorIiiEEZZNS1_16scan_by_key_implILNS1_25lookback_scan_determinismE0ELb0ES3_N6thrust23THRUST_200600_302600_NS6detail15normal_iteratorINS9_10device_ptrIiEEEESE_SE_iNS9_10multipliesIiEENS9_8equal_toIiEEiEE10hipError_tPvRmT2_T3_T4_T5_mT6_T7_P12ihipStream_tbENKUlT_T0_E_clISt17integral_constantIbLb1EESY_IbLb0EEEEDaSU_SV_EUlSU_E_NS1_11comp_targetILNS1_3genE0ELNS1_11target_archE4294967295ELNS1_3gpuE0ELNS1_3repE0EEENS1_30default_config_static_selectorELNS0_4arch9wavefront6targetE0EEEvT1_.uses_flat_scratch, 0
	.set _ZN7rocprim17ROCPRIM_400000_NS6detail17trampoline_kernelINS0_14default_configENS1_27scan_by_key_config_selectorIiiEEZZNS1_16scan_by_key_implILNS1_25lookback_scan_determinismE0ELb0ES3_N6thrust23THRUST_200600_302600_NS6detail15normal_iteratorINS9_10device_ptrIiEEEESE_SE_iNS9_10multipliesIiEENS9_8equal_toIiEEiEE10hipError_tPvRmT2_T3_T4_T5_mT6_T7_P12ihipStream_tbENKUlT_T0_E_clISt17integral_constantIbLb1EESY_IbLb0EEEEDaSU_SV_EUlSU_E_NS1_11comp_targetILNS1_3genE0ELNS1_11target_archE4294967295ELNS1_3gpuE0ELNS1_3repE0EEENS1_30default_config_static_selectorELNS0_4arch9wavefront6targetE0EEEvT1_.has_dyn_sized_stack, 0
	.set _ZN7rocprim17ROCPRIM_400000_NS6detail17trampoline_kernelINS0_14default_configENS1_27scan_by_key_config_selectorIiiEEZZNS1_16scan_by_key_implILNS1_25lookback_scan_determinismE0ELb0ES3_N6thrust23THRUST_200600_302600_NS6detail15normal_iteratorINS9_10device_ptrIiEEEESE_SE_iNS9_10multipliesIiEENS9_8equal_toIiEEiEE10hipError_tPvRmT2_T3_T4_T5_mT6_T7_P12ihipStream_tbENKUlT_T0_E_clISt17integral_constantIbLb1EESY_IbLb0EEEEDaSU_SV_EUlSU_E_NS1_11comp_targetILNS1_3genE0ELNS1_11target_archE4294967295ELNS1_3gpuE0ELNS1_3repE0EEENS1_30default_config_static_selectorELNS0_4arch9wavefront6targetE0EEEvT1_.has_recursion, 0
	.set _ZN7rocprim17ROCPRIM_400000_NS6detail17trampoline_kernelINS0_14default_configENS1_27scan_by_key_config_selectorIiiEEZZNS1_16scan_by_key_implILNS1_25lookback_scan_determinismE0ELb0ES3_N6thrust23THRUST_200600_302600_NS6detail15normal_iteratorINS9_10device_ptrIiEEEESE_SE_iNS9_10multipliesIiEENS9_8equal_toIiEEiEE10hipError_tPvRmT2_T3_T4_T5_mT6_T7_P12ihipStream_tbENKUlT_T0_E_clISt17integral_constantIbLb1EESY_IbLb0EEEEDaSU_SV_EUlSU_E_NS1_11comp_targetILNS1_3genE0ELNS1_11target_archE4294967295ELNS1_3gpuE0ELNS1_3repE0EEENS1_30default_config_static_selectorELNS0_4arch9wavefront6targetE0EEEvT1_.has_indirect_call, 0
	.section	.AMDGPU.csdata,"",@progbits
; Kernel info:
; codeLenInByte = 0
; TotalNumSgprs: 0
; NumVgprs: 0
; ScratchSize: 0
; MemoryBound: 0
; FloatMode: 240
; IeeeMode: 1
; LDSByteSize: 0 bytes/workgroup (compile time only)
; SGPRBlocks: 0
; VGPRBlocks: 0
; NumSGPRsForWavesPerEU: 1
; NumVGPRsForWavesPerEU: 1
; Occupancy: 16
; WaveLimiterHint : 0
; COMPUTE_PGM_RSRC2:SCRATCH_EN: 0
; COMPUTE_PGM_RSRC2:USER_SGPR: 6
; COMPUTE_PGM_RSRC2:TRAP_HANDLER: 0
; COMPUTE_PGM_RSRC2:TGID_X_EN: 1
; COMPUTE_PGM_RSRC2:TGID_Y_EN: 0
; COMPUTE_PGM_RSRC2:TGID_Z_EN: 0
; COMPUTE_PGM_RSRC2:TIDIG_COMP_CNT: 0
	.section	.text._ZN7rocprim17ROCPRIM_400000_NS6detail17trampoline_kernelINS0_14default_configENS1_27scan_by_key_config_selectorIiiEEZZNS1_16scan_by_key_implILNS1_25lookback_scan_determinismE0ELb0ES3_N6thrust23THRUST_200600_302600_NS6detail15normal_iteratorINS9_10device_ptrIiEEEESE_SE_iNS9_10multipliesIiEENS9_8equal_toIiEEiEE10hipError_tPvRmT2_T3_T4_T5_mT6_T7_P12ihipStream_tbENKUlT_T0_E_clISt17integral_constantIbLb1EESY_IbLb0EEEEDaSU_SV_EUlSU_E_NS1_11comp_targetILNS1_3genE10ELNS1_11target_archE1201ELNS1_3gpuE5ELNS1_3repE0EEENS1_30default_config_static_selectorELNS0_4arch9wavefront6targetE0EEEvT1_,"axG",@progbits,_ZN7rocprim17ROCPRIM_400000_NS6detail17trampoline_kernelINS0_14default_configENS1_27scan_by_key_config_selectorIiiEEZZNS1_16scan_by_key_implILNS1_25lookback_scan_determinismE0ELb0ES3_N6thrust23THRUST_200600_302600_NS6detail15normal_iteratorINS9_10device_ptrIiEEEESE_SE_iNS9_10multipliesIiEENS9_8equal_toIiEEiEE10hipError_tPvRmT2_T3_T4_T5_mT6_T7_P12ihipStream_tbENKUlT_T0_E_clISt17integral_constantIbLb1EESY_IbLb0EEEEDaSU_SV_EUlSU_E_NS1_11comp_targetILNS1_3genE10ELNS1_11target_archE1201ELNS1_3gpuE5ELNS1_3repE0EEENS1_30default_config_static_selectorELNS0_4arch9wavefront6targetE0EEEvT1_,comdat
	.protected	_ZN7rocprim17ROCPRIM_400000_NS6detail17trampoline_kernelINS0_14default_configENS1_27scan_by_key_config_selectorIiiEEZZNS1_16scan_by_key_implILNS1_25lookback_scan_determinismE0ELb0ES3_N6thrust23THRUST_200600_302600_NS6detail15normal_iteratorINS9_10device_ptrIiEEEESE_SE_iNS9_10multipliesIiEENS9_8equal_toIiEEiEE10hipError_tPvRmT2_T3_T4_T5_mT6_T7_P12ihipStream_tbENKUlT_T0_E_clISt17integral_constantIbLb1EESY_IbLb0EEEEDaSU_SV_EUlSU_E_NS1_11comp_targetILNS1_3genE10ELNS1_11target_archE1201ELNS1_3gpuE5ELNS1_3repE0EEENS1_30default_config_static_selectorELNS0_4arch9wavefront6targetE0EEEvT1_ ; -- Begin function _ZN7rocprim17ROCPRIM_400000_NS6detail17trampoline_kernelINS0_14default_configENS1_27scan_by_key_config_selectorIiiEEZZNS1_16scan_by_key_implILNS1_25lookback_scan_determinismE0ELb0ES3_N6thrust23THRUST_200600_302600_NS6detail15normal_iteratorINS9_10device_ptrIiEEEESE_SE_iNS9_10multipliesIiEENS9_8equal_toIiEEiEE10hipError_tPvRmT2_T3_T4_T5_mT6_T7_P12ihipStream_tbENKUlT_T0_E_clISt17integral_constantIbLb1EESY_IbLb0EEEEDaSU_SV_EUlSU_E_NS1_11comp_targetILNS1_3genE10ELNS1_11target_archE1201ELNS1_3gpuE5ELNS1_3repE0EEENS1_30default_config_static_selectorELNS0_4arch9wavefront6targetE0EEEvT1_
	.globl	_ZN7rocprim17ROCPRIM_400000_NS6detail17trampoline_kernelINS0_14default_configENS1_27scan_by_key_config_selectorIiiEEZZNS1_16scan_by_key_implILNS1_25lookback_scan_determinismE0ELb0ES3_N6thrust23THRUST_200600_302600_NS6detail15normal_iteratorINS9_10device_ptrIiEEEESE_SE_iNS9_10multipliesIiEENS9_8equal_toIiEEiEE10hipError_tPvRmT2_T3_T4_T5_mT6_T7_P12ihipStream_tbENKUlT_T0_E_clISt17integral_constantIbLb1EESY_IbLb0EEEEDaSU_SV_EUlSU_E_NS1_11comp_targetILNS1_3genE10ELNS1_11target_archE1201ELNS1_3gpuE5ELNS1_3repE0EEENS1_30default_config_static_selectorELNS0_4arch9wavefront6targetE0EEEvT1_
	.p2align	8
	.type	_ZN7rocprim17ROCPRIM_400000_NS6detail17trampoline_kernelINS0_14default_configENS1_27scan_by_key_config_selectorIiiEEZZNS1_16scan_by_key_implILNS1_25lookback_scan_determinismE0ELb0ES3_N6thrust23THRUST_200600_302600_NS6detail15normal_iteratorINS9_10device_ptrIiEEEESE_SE_iNS9_10multipliesIiEENS9_8equal_toIiEEiEE10hipError_tPvRmT2_T3_T4_T5_mT6_T7_P12ihipStream_tbENKUlT_T0_E_clISt17integral_constantIbLb1EESY_IbLb0EEEEDaSU_SV_EUlSU_E_NS1_11comp_targetILNS1_3genE10ELNS1_11target_archE1201ELNS1_3gpuE5ELNS1_3repE0EEENS1_30default_config_static_selectorELNS0_4arch9wavefront6targetE0EEEvT1_,@function
_ZN7rocprim17ROCPRIM_400000_NS6detail17trampoline_kernelINS0_14default_configENS1_27scan_by_key_config_selectorIiiEEZZNS1_16scan_by_key_implILNS1_25lookback_scan_determinismE0ELb0ES3_N6thrust23THRUST_200600_302600_NS6detail15normal_iteratorINS9_10device_ptrIiEEEESE_SE_iNS9_10multipliesIiEENS9_8equal_toIiEEiEE10hipError_tPvRmT2_T3_T4_T5_mT6_T7_P12ihipStream_tbENKUlT_T0_E_clISt17integral_constantIbLb1EESY_IbLb0EEEEDaSU_SV_EUlSU_E_NS1_11comp_targetILNS1_3genE10ELNS1_11target_archE1201ELNS1_3gpuE5ELNS1_3repE0EEENS1_30default_config_static_selectorELNS0_4arch9wavefront6targetE0EEEvT1_: ; @_ZN7rocprim17ROCPRIM_400000_NS6detail17trampoline_kernelINS0_14default_configENS1_27scan_by_key_config_selectorIiiEEZZNS1_16scan_by_key_implILNS1_25lookback_scan_determinismE0ELb0ES3_N6thrust23THRUST_200600_302600_NS6detail15normal_iteratorINS9_10device_ptrIiEEEESE_SE_iNS9_10multipliesIiEENS9_8equal_toIiEEiEE10hipError_tPvRmT2_T3_T4_T5_mT6_T7_P12ihipStream_tbENKUlT_T0_E_clISt17integral_constantIbLb1EESY_IbLb0EEEEDaSU_SV_EUlSU_E_NS1_11comp_targetILNS1_3genE10ELNS1_11target_archE1201ELNS1_3gpuE5ELNS1_3repE0EEENS1_30default_config_static_selectorELNS0_4arch9wavefront6targetE0EEEvT1_
; %bb.0:
	.section	.rodata,"a",@progbits
	.p2align	6, 0x0
	.amdhsa_kernel _ZN7rocprim17ROCPRIM_400000_NS6detail17trampoline_kernelINS0_14default_configENS1_27scan_by_key_config_selectorIiiEEZZNS1_16scan_by_key_implILNS1_25lookback_scan_determinismE0ELb0ES3_N6thrust23THRUST_200600_302600_NS6detail15normal_iteratorINS9_10device_ptrIiEEEESE_SE_iNS9_10multipliesIiEENS9_8equal_toIiEEiEE10hipError_tPvRmT2_T3_T4_T5_mT6_T7_P12ihipStream_tbENKUlT_T0_E_clISt17integral_constantIbLb1EESY_IbLb0EEEEDaSU_SV_EUlSU_E_NS1_11comp_targetILNS1_3genE10ELNS1_11target_archE1201ELNS1_3gpuE5ELNS1_3repE0EEENS1_30default_config_static_selectorELNS0_4arch9wavefront6targetE0EEEvT1_
		.amdhsa_group_segment_fixed_size 0
		.amdhsa_private_segment_fixed_size 0
		.amdhsa_kernarg_size 112
		.amdhsa_user_sgpr_count 6
		.amdhsa_user_sgpr_private_segment_buffer 1
		.amdhsa_user_sgpr_dispatch_ptr 0
		.amdhsa_user_sgpr_queue_ptr 0
		.amdhsa_user_sgpr_kernarg_segment_ptr 1
		.amdhsa_user_sgpr_dispatch_id 0
		.amdhsa_user_sgpr_flat_scratch_init 0
		.amdhsa_user_sgpr_private_segment_size 0
		.amdhsa_wavefront_size32 1
		.amdhsa_uses_dynamic_stack 0
		.amdhsa_system_sgpr_private_segment_wavefront_offset 0
		.amdhsa_system_sgpr_workgroup_id_x 1
		.amdhsa_system_sgpr_workgroup_id_y 0
		.amdhsa_system_sgpr_workgroup_id_z 0
		.amdhsa_system_sgpr_workgroup_info 0
		.amdhsa_system_vgpr_workitem_id 0
		.amdhsa_next_free_vgpr 1
		.amdhsa_next_free_sgpr 1
		.amdhsa_reserve_vcc 0
		.amdhsa_reserve_flat_scratch 0
		.amdhsa_float_round_mode_32 0
		.amdhsa_float_round_mode_16_64 0
		.amdhsa_float_denorm_mode_32 3
		.amdhsa_float_denorm_mode_16_64 3
		.amdhsa_dx10_clamp 1
		.amdhsa_ieee_mode 1
		.amdhsa_fp16_overflow 0
		.amdhsa_workgroup_processor_mode 1
		.amdhsa_memory_ordered 1
		.amdhsa_forward_progress 1
		.amdhsa_shared_vgpr_count 0
		.amdhsa_exception_fp_ieee_invalid_op 0
		.amdhsa_exception_fp_denorm_src 0
		.amdhsa_exception_fp_ieee_div_zero 0
		.amdhsa_exception_fp_ieee_overflow 0
		.amdhsa_exception_fp_ieee_underflow 0
		.amdhsa_exception_fp_ieee_inexact 0
		.amdhsa_exception_int_div_zero 0
	.end_amdhsa_kernel
	.section	.text._ZN7rocprim17ROCPRIM_400000_NS6detail17trampoline_kernelINS0_14default_configENS1_27scan_by_key_config_selectorIiiEEZZNS1_16scan_by_key_implILNS1_25lookback_scan_determinismE0ELb0ES3_N6thrust23THRUST_200600_302600_NS6detail15normal_iteratorINS9_10device_ptrIiEEEESE_SE_iNS9_10multipliesIiEENS9_8equal_toIiEEiEE10hipError_tPvRmT2_T3_T4_T5_mT6_T7_P12ihipStream_tbENKUlT_T0_E_clISt17integral_constantIbLb1EESY_IbLb0EEEEDaSU_SV_EUlSU_E_NS1_11comp_targetILNS1_3genE10ELNS1_11target_archE1201ELNS1_3gpuE5ELNS1_3repE0EEENS1_30default_config_static_selectorELNS0_4arch9wavefront6targetE0EEEvT1_,"axG",@progbits,_ZN7rocprim17ROCPRIM_400000_NS6detail17trampoline_kernelINS0_14default_configENS1_27scan_by_key_config_selectorIiiEEZZNS1_16scan_by_key_implILNS1_25lookback_scan_determinismE0ELb0ES3_N6thrust23THRUST_200600_302600_NS6detail15normal_iteratorINS9_10device_ptrIiEEEESE_SE_iNS9_10multipliesIiEENS9_8equal_toIiEEiEE10hipError_tPvRmT2_T3_T4_T5_mT6_T7_P12ihipStream_tbENKUlT_T0_E_clISt17integral_constantIbLb1EESY_IbLb0EEEEDaSU_SV_EUlSU_E_NS1_11comp_targetILNS1_3genE10ELNS1_11target_archE1201ELNS1_3gpuE5ELNS1_3repE0EEENS1_30default_config_static_selectorELNS0_4arch9wavefront6targetE0EEEvT1_,comdat
.Lfunc_end183:
	.size	_ZN7rocprim17ROCPRIM_400000_NS6detail17trampoline_kernelINS0_14default_configENS1_27scan_by_key_config_selectorIiiEEZZNS1_16scan_by_key_implILNS1_25lookback_scan_determinismE0ELb0ES3_N6thrust23THRUST_200600_302600_NS6detail15normal_iteratorINS9_10device_ptrIiEEEESE_SE_iNS9_10multipliesIiEENS9_8equal_toIiEEiEE10hipError_tPvRmT2_T3_T4_T5_mT6_T7_P12ihipStream_tbENKUlT_T0_E_clISt17integral_constantIbLb1EESY_IbLb0EEEEDaSU_SV_EUlSU_E_NS1_11comp_targetILNS1_3genE10ELNS1_11target_archE1201ELNS1_3gpuE5ELNS1_3repE0EEENS1_30default_config_static_selectorELNS0_4arch9wavefront6targetE0EEEvT1_, .Lfunc_end183-_ZN7rocprim17ROCPRIM_400000_NS6detail17trampoline_kernelINS0_14default_configENS1_27scan_by_key_config_selectorIiiEEZZNS1_16scan_by_key_implILNS1_25lookback_scan_determinismE0ELb0ES3_N6thrust23THRUST_200600_302600_NS6detail15normal_iteratorINS9_10device_ptrIiEEEESE_SE_iNS9_10multipliesIiEENS9_8equal_toIiEEiEE10hipError_tPvRmT2_T3_T4_T5_mT6_T7_P12ihipStream_tbENKUlT_T0_E_clISt17integral_constantIbLb1EESY_IbLb0EEEEDaSU_SV_EUlSU_E_NS1_11comp_targetILNS1_3genE10ELNS1_11target_archE1201ELNS1_3gpuE5ELNS1_3repE0EEENS1_30default_config_static_selectorELNS0_4arch9wavefront6targetE0EEEvT1_
                                        ; -- End function
	.set _ZN7rocprim17ROCPRIM_400000_NS6detail17trampoline_kernelINS0_14default_configENS1_27scan_by_key_config_selectorIiiEEZZNS1_16scan_by_key_implILNS1_25lookback_scan_determinismE0ELb0ES3_N6thrust23THRUST_200600_302600_NS6detail15normal_iteratorINS9_10device_ptrIiEEEESE_SE_iNS9_10multipliesIiEENS9_8equal_toIiEEiEE10hipError_tPvRmT2_T3_T4_T5_mT6_T7_P12ihipStream_tbENKUlT_T0_E_clISt17integral_constantIbLb1EESY_IbLb0EEEEDaSU_SV_EUlSU_E_NS1_11comp_targetILNS1_3genE10ELNS1_11target_archE1201ELNS1_3gpuE5ELNS1_3repE0EEENS1_30default_config_static_selectorELNS0_4arch9wavefront6targetE0EEEvT1_.num_vgpr, 0
	.set _ZN7rocprim17ROCPRIM_400000_NS6detail17trampoline_kernelINS0_14default_configENS1_27scan_by_key_config_selectorIiiEEZZNS1_16scan_by_key_implILNS1_25lookback_scan_determinismE0ELb0ES3_N6thrust23THRUST_200600_302600_NS6detail15normal_iteratorINS9_10device_ptrIiEEEESE_SE_iNS9_10multipliesIiEENS9_8equal_toIiEEiEE10hipError_tPvRmT2_T3_T4_T5_mT6_T7_P12ihipStream_tbENKUlT_T0_E_clISt17integral_constantIbLb1EESY_IbLb0EEEEDaSU_SV_EUlSU_E_NS1_11comp_targetILNS1_3genE10ELNS1_11target_archE1201ELNS1_3gpuE5ELNS1_3repE0EEENS1_30default_config_static_selectorELNS0_4arch9wavefront6targetE0EEEvT1_.num_agpr, 0
	.set _ZN7rocprim17ROCPRIM_400000_NS6detail17trampoline_kernelINS0_14default_configENS1_27scan_by_key_config_selectorIiiEEZZNS1_16scan_by_key_implILNS1_25lookback_scan_determinismE0ELb0ES3_N6thrust23THRUST_200600_302600_NS6detail15normal_iteratorINS9_10device_ptrIiEEEESE_SE_iNS9_10multipliesIiEENS9_8equal_toIiEEiEE10hipError_tPvRmT2_T3_T4_T5_mT6_T7_P12ihipStream_tbENKUlT_T0_E_clISt17integral_constantIbLb1EESY_IbLb0EEEEDaSU_SV_EUlSU_E_NS1_11comp_targetILNS1_3genE10ELNS1_11target_archE1201ELNS1_3gpuE5ELNS1_3repE0EEENS1_30default_config_static_selectorELNS0_4arch9wavefront6targetE0EEEvT1_.numbered_sgpr, 0
	.set _ZN7rocprim17ROCPRIM_400000_NS6detail17trampoline_kernelINS0_14default_configENS1_27scan_by_key_config_selectorIiiEEZZNS1_16scan_by_key_implILNS1_25lookback_scan_determinismE0ELb0ES3_N6thrust23THRUST_200600_302600_NS6detail15normal_iteratorINS9_10device_ptrIiEEEESE_SE_iNS9_10multipliesIiEENS9_8equal_toIiEEiEE10hipError_tPvRmT2_T3_T4_T5_mT6_T7_P12ihipStream_tbENKUlT_T0_E_clISt17integral_constantIbLb1EESY_IbLb0EEEEDaSU_SV_EUlSU_E_NS1_11comp_targetILNS1_3genE10ELNS1_11target_archE1201ELNS1_3gpuE5ELNS1_3repE0EEENS1_30default_config_static_selectorELNS0_4arch9wavefront6targetE0EEEvT1_.num_named_barrier, 0
	.set _ZN7rocprim17ROCPRIM_400000_NS6detail17trampoline_kernelINS0_14default_configENS1_27scan_by_key_config_selectorIiiEEZZNS1_16scan_by_key_implILNS1_25lookback_scan_determinismE0ELb0ES3_N6thrust23THRUST_200600_302600_NS6detail15normal_iteratorINS9_10device_ptrIiEEEESE_SE_iNS9_10multipliesIiEENS9_8equal_toIiEEiEE10hipError_tPvRmT2_T3_T4_T5_mT6_T7_P12ihipStream_tbENKUlT_T0_E_clISt17integral_constantIbLb1EESY_IbLb0EEEEDaSU_SV_EUlSU_E_NS1_11comp_targetILNS1_3genE10ELNS1_11target_archE1201ELNS1_3gpuE5ELNS1_3repE0EEENS1_30default_config_static_selectorELNS0_4arch9wavefront6targetE0EEEvT1_.private_seg_size, 0
	.set _ZN7rocprim17ROCPRIM_400000_NS6detail17trampoline_kernelINS0_14default_configENS1_27scan_by_key_config_selectorIiiEEZZNS1_16scan_by_key_implILNS1_25lookback_scan_determinismE0ELb0ES3_N6thrust23THRUST_200600_302600_NS6detail15normal_iteratorINS9_10device_ptrIiEEEESE_SE_iNS9_10multipliesIiEENS9_8equal_toIiEEiEE10hipError_tPvRmT2_T3_T4_T5_mT6_T7_P12ihipStream_tbENKUlT_T0_E_clISt17integral_constantIbLb1EESY_IbLb0EEEEDaSU_SV_EUlSU_E_NS1_11comp_targetILNS1_3genE10ELNS1_11target_archE1201ELNS1_3gpuE5ELNS1_3repE0EEENS1_30default_config_static_selectorELNS0_4arch9wavefront6targetE0EEEvT1_.uses_vcc, 0
	.set _ZN7rocprim17ROCPRIM_400000_NS6detail17trampoline_kernelINS0_14default_configENS1_27scan_by_key_config_selectorIiiEEZZNS1_16scan_by_key_implILNS1_25lookback_scan_determinismE0ELb0ES3_N6thrust23THRUST_200600_302600_NS6detail15normal_iteratorINS9_10device_ptrIiEEEESE_SE_iNS9_10multipliesIiEENS9_8equal_toIiEEiEE10hipError_tPvRmT2_T3_T4_T5_mT6_T7_P12ihipStream_tbENKUlT_T0_E_clISt17integral_constantIbLb1EESY_IbLb0EEEEDaSU_SV_EUlSU_E_NS1_11comp_targetILNS1_3genE10ELNS1_11target_archE1201ELNS1_3gpuE5ELNS1_3repE0EEENS1_30default_config_static_selectorELNS0_4arch9wavefront6targetE0EEEvT1_.uses_flat_scratch, 0
	.set _ZN7rocprim17ROCPRIM_400000_NS6detail17trampoline_kernelINS0_14default_configENS1_27scan_by_key_config_selectorIiiEEZZNS1_16scan_by_key_implILNS1_25lookback_scan_determinismE0ELb0ES3_N6thrust23THRUST_200600_302600_NS6detail15normal_iteratorINS9_10device_ptrIiEEEESE_SE_iNS9_10multipliesIiEENS9_8equal_toIiEEiEE10hipError_tPvRmT2_T3_T4_T5_mT6_T7_P12ihipStream_tbENKUlT_T0_E_clISt17integral_constantIbLb1EESY_IbLb0EEEEDaSU_SV_EUlSU_E_NS1_11comp_targetILNS1_3genE10ELNS1_11target_archE1201ELNS1_3gpuE5ELNS1_3repE0EEENS1_30default_config_static_selectorELNS0_4arch9wavefront6targetE0EEEvT1_.has_dyn_sized_stack, 0
	.set _ZN7rocprim17ROCPRIM_400000_NS6detail17trampoline_kernelINS0_14default_configENS1_27scan_by_key_config_selectorIiiEEZZNS1_16scan_by_key_implILNS1_25lookback_scan_determinismE0ELb0ES3_N6thrust23THRUST_200600_302600_NS6detail15normal_iteratorINS9_10device_ptrIiEEEESE_SE_iNS9_10multipliesIiEENS9_8equal_toIiEEiEE10hipError_tPvRmT2_T3_T4_T5_mT6_T7_P12ihipStream_tbENKUlT_T0_E_clISt17integral_constantIbLb1EESY_IbLb0EEEEDaSU_SV_EUlSU_E_NS1_11comp_targetILNS1_3genE10ELNS1_11target_archE1201ELNS1_3gpuE5ELNS1_3repE0EEENS1_30default_config_static_selectorELNS0_4arch9wavefront6targetE0EEEvT1_.has_recursion, 0
	.set _ZN7rocprim17ROCPRIM_400000_NS6detail17trampoline_kernelINS0_14default_configENS1_27scan_by_key_config_selectorIiiEEZZNS1_16scan_by_key_implILNS1_25lookback_scan_determinismE0ELb0ES3_N6thrust23THRUST_200600_302600_NS6detail15normal_iteratorINS9_10device_ptrIiEEEESE_SE_iNS9_10multipliesIiEENS9_8equal_toIiEEiEE10hipError_tPvRmT2_T3_T4_T5_mT6_T7_P12ihipStream_tbENKUlT_T0_E_clISt17integral_constantIbLb1EESY_IbLb0EEEEDaSU_SV_EUlSU_E_NS1_11comp_targetILNS1_3genE10ELNS1_11target_archE1201ELNS1_3gpuE5ELNS1_3repE0EEENS1_30default_config_static_selectorELNS0_4arch9wavefront6targetE0EEEvT1_.has_indirect_call, 0
	.section	.AMDGPU.csdata,"",@progbits
; Kernel info:
; codeLenInByte = 0
; TotalNumSgprs: 0
; NumVgprs: 0
; ScratchSize: 0
; MemoryBound: 0
; FloatMode: 240
; IeeeMode: 1
; LDSByteSize: 0 bytes/workgroup (compile time only)
; SGPRBlocks: 0
; VGPRBlocks: 0
; NumSGPRsForWavesPerEU: 1
; NumVGPRsForWavesPerEU: 1
; Occupancy: 16
; WaveLimiterHint : 0
; COMPUTE_PGM_RSRC2:SCRATCH_EN: 0
; COMPUTE_PGM_RSRC2:USER_SGPR: 6
; COMPUTE_PGM_RSRC2:TRAP_HANDLER: 0
; COMPUTE_PGM_RSRC2:TGID_X_EN: 1
; COMPUTE_PGM_RSRC2:TGID_Y_EN: 0
; COMPUTE_PGM_RSRC2:TGID_Z_EN: 0
; COMPUTE_PGM_RSRC2:TIDIG_COMP_CNT: 0
	.section	.text._ZN7rocprim17ROCPRIM_400000_NS6detail17trampoline_kernelINS0_14default_configENS1_27scan_by_key_config_selectorIiiEEZZNS1_16scan_by_key_implILNS1_25lookback_scan_determinismE0ELb0ES3_N6thrust23THRUST_200600_302600_NS6detail15normal_iteratorINS9_10device_ptrIiEEEESE_SE_iNS9_10multipliesIiEENS9_8equal_toIiEEiEE10hipError_tPvRmT2_T3_T4_T5_mT6_T7_P12ihipStream_tbENKUlT_T0_E_clISt17integral_constantIbLb1EESY_IbLb0EEEEDaSU_SV_EUlSU_E_NS1_11comp_targetILNS1_3genE5ELNS1_11target_archE942ELNS1_3gpuE9ELNS1_3repE0EEENS1_30default_config_static_selectorELNS0_4arch9wavefront6targetE0EEEvT1_,"axG",@progbits,_ZN7rocprim17ROCPRIM_400000_NS6detail17trampoline_kernelINS0_14default_configENS1_27scan_by_key_config_selectorIiiEEZZNS1_16scan_by_key_implILNS1_25lookback_scan_determinismE0ELb0ES3_N6thrust23THRUST_200600_302600_NS6detail15normal_iteratorINS9_10device_ptrIiEEEESE_SE_iNS9_10multipliesIiEENS9_8equal_toIiEEiEE10hipError_tPvRmT2_T3_T4_T5_mT6_T7_P12ihipStream_tbENKUlT_T0_E_clISt17integral_constantIbLb1EESY_IbLb0EEEEDaSU_SV_EUlSU_E_NS1_11comp_targetILNS1_3genE5ELNS1_11target_archE942ELNS1_3gpuE9ELNS1_3repE0EEENS1_30default_config_static_selectorELNS0_4arch9wavefront6targetE0EEEvT1_,comdat
	.protected	_ZN7rocprim17ROCPRIM_400000_NS6detail17trampoline_kernelINS0_14default_configENS1_27scan_by_key_config_selectorIiiEEZZNS1_16scan_by_key_implILNS1_25lookback_scan_determinismE0ELb0ES3_N6thrust23THRUST_200600_302600_NS6detail15normal_iteratorINS9_10device_ptrIiEEEESE_SE_iNS9_10multipliesIiEENS9_8equal_toIiEEiEE10hipError_tPvRmT2_T3_T4_T5_mT6_T7_P12ihipStream_tbENKUlT_T0_E_clISt17integral_constantIbLb1EESY_IbLb0EEEEDaSU_SV_EUlSU_E_NS1_11comp_targetILNS1_3genE5ELNS1_11target_archE942ELNS1_3gpuE9ELNS1_3repE0EEENS1_30default_config_static_selectorELNS0_4arch9wavefront6targetE0EEEvT1_ ; -- Begin function _ZN7rocprim17ROCPRIM_400000_NS6detail17trampoline_kernelINS0_14default_configENS1_27scan_by_key_config_selectorIiiEEZZNS1_16scan_by_key_implILNS1_25lookback_scan_determinismE0ELb0ES3_N6thrust23THRUST_200600_302600_NS6detail15normal_iteratorINS9_10device_ptrIiEEEESE_SE_iNS9_10multipliesIiEENS9_8equal_toIiEEiEE10hipError_tPvRmT2_T3_T4_T5_mT6_T7_P12ihipStream_tbENKUlT_T0_E_clISt17integral_constantIbLb1EESY_IbLb0EEEEDaSU_SV_EUlSU_E_NS1_11comp_targetILNS1_3genE5ELNS1_11target_archE942ELNS1_3gpuE9ELNS1_3repE0EEENS1_30default_config_static_selectorELNS0_4arch9wavefront6targetE0EEEvT1_
	.globl	_ZN7rocprim17ROCPRIM_400000_NS6detail17trampoline_kernelINS0_14default_configENS1_27scan_by_key_config_selectorIiiEEZZNS1_16scan_by_key_implILNS1_25lookback_scan_determinismE0ELb0ES3_N6thrust23THRUST_200600_302600_NS6detail15normal_iteratorINS9_10device_ptrIiEEEESE_SE_iNS9_10multipliesIiEENS9_8equal_toIiEEiEE10hipError_tPvRmT2_T3_T4_T5_mT6_T7_P12ihipStream_tbENKUlT_T0_E_clISt17integral_constantIbLb1EESY_IbLb0EEEEDaSU_SV_EUlSU_E_NS1_11comp_targetILNS1_3genE5ELNS1_11target_archE942ELNS1_3gpuE9ELNS1_3repE0EEENS1_30default_config_static_selectorELNS0_4arch9wavefront6targetE0EEEvT1_
	.p2align	8
	.type	_ZN7rocprim17ROCPRIM_400000_NS6detail17trampoline_kernelINS0_14default_configENS1_27scan_by_key_config_selectorIiiEEZZNS1_16scan_by_key_implILNS1_25lookback_scan_determinismE0ELb0ES3_N6thrust23THRUST_200600_302600_NS6detail15normal_iteratorINS9_10device_ptrIiEEEESE_SE_iNS9_10multipliesIiEENS9_8equal_toIiEEiEE10hipError_tPvRmT2_T3_T4_T5_mT6_T7_P12ihipStream_tbENKUlT_T0_E_clISt17integral_constantIbLb1EESY_IbLb0EEEEDaSU_SV_EUlSU_E_NS1_11comp_targetILNS1_3genE5ELNS1_11target_archE942ELNS1_3gpuE9ELNS1_3repE0EEENS1_30default_config_static_selectorELNS0_4arch9wavefront6targetE0EEEvT1_,@function
_ZN7rocprim17ROCPRIM_400000_NS6detail17trampoline_kernelINS0_14default_configENS1_27scan_by_key_config_selectorIiiEEZZNS1_16scan_by_key_implILNS1_25lookback_scan_determinismE0ELb0ES3_N6thrust23THRUST_200600_302600_NS6detail15normal_iteratorINS9_10device_ptrIiEEEESE_SE_iNS9_10multipliesIiEENS9_8equal_toIiEEiEE10hipError_tPvRmT2_T3_T4_T5_mT6_T7_P12ihipStream_tbENKUlT_T0_E_clISt17integral_constantIbLb1EESY_IbLb0EEEEDaSU_SV_EUlSU_E_NS1_11comp_targetILNS1_3genE5ELNS1_11target_archE942ELNS1_3gpuE9ELNS1_3repE0EEENS1_30default_config_static_selectorELNS0_4arch9wavefront6targetE0EEEvT1_: ; @_ZN7rocprim17ROCPRIM_400000_NS6detail17trampoline_kernelINS0_14default_configENS1_27scan_by_key_config_selectorIiiEEZZNS1_16scan_by_key_implILNS1_25lookback_scan_determinismE0ELb0ES3_N6thrust23THRUST_200600_302600_NS6detail15normal_iteratorINS9_10device_ptrIiEEEESE_SE_iNS9_10multipliesIiEENS9_8equal_toIiEEiEE10hipError_tPvRmT2_T3_T4_T5_mT6_T7_P12ihipStream_tbENKUlT_T0_E_clISt17integral_constantIbLb1EESY_IbLb0EEEEDaSU_SV_EUlSU_E_NS1_11comp_targetILNS1_3genE5ELNS1_11target_archE942ELNS1_3gpuE9ELNS1_3repE0EEENS1_30default_config_static_selectorELNS0_4arch9wavefront6targetE0EEEvT1_
; %bb.0:
	.section	.rodata,"a",@progbits
	.p2align	6, 0x0
	.amdhsa_kernel _ZN7rocprim17ROCPRIM_400000_NS6detail17trampoline_kernelINS0_14default_configENS1_27scan_by_key_config_selectorIiiEEZZNS1_16scan_by_key_implILNS1_25lookback_scan_determinismE0ELb0ES3_N6thrust23THRUST_200600_302600_NS6detail15normal_iteratorINS9_10device_ptrIiEEEESE_SE_iNS9_10multipliesIiEENS9_8equal_toIiEEiEE10hipError_tPvRmT2_T3_T4_T5_mT6_T7_P12ihipStream_tbENKUlT_T0_E_clISt17integral_constantIbLb1EESY_IbLb0EEEEDaSU_SV_EUlSU_E_NS1_11comp_targetILNS1_3genE5ELNS1_11target_archE942ELNS1_3gpuE9ELNS1_3repE0EEENS1_30default_config_static_selectorELNS0_4arch9wavefront6targetE0EEEvT1_
		.amdhsa_group_segment_fixed_size 0
		.amdhsa_private_segment_fixed_size 0
		.amdhsa_kernarg_size 112
		.amdhsa_user_sgpr_count 6
		.amdhsa_user_sgpr_private_segment_buffer 1
		.amdhsa_user_sgpr_dispatch_ptr 0
		.amdhsa_user_sgpr_queue_ptr 0
		.amdhsa_user_sgpr_kernarg_segment_ptr 1
		.amdhsa_user_sgpr_dispatch_id 0
		.amdhsa_user_sgpr_flat_scratch_init 0
		.amdhsa_user_sgpr_private_segment_size 0
		.amdhsa_wavefront_size32 1
		.amdhsa_uses_dynamic_stack 0
		.amdhsa_system_sgpr_private_segment_wavefront_offset 0
		.amdhsa_system_sgpr_workgroup_id_x 1
		.amdhsa_system_sgpr_workgroup_id_y 0
		.amdhsa_system_sgpr_workgroup_id_z 0
		.amdhsa_system_sgpr_workgroup_info 0
		.amdhsa_system_vgpr_workitem_id 0
		.amdhsa_next_free_vgpr 1
		.amdhsa_next_free_sgpr 1
		.amdhsa_reserve_vcc 0
		.amdhsa_reserve_flat_scratch 0
		.amdhsa_float_round_mode_32 0
		.amdhsa_float_round_mode_16_64 0
		.amdhsa_float_denorm_mode_32 3
		.amdhsa_float_denorm_mode_16_64 3
		.amdhsa_dx10_clamp 1
		.amdhsa_ieee_mode 1
		.amdhsa_fp16_overflow 0
		.amdhsa_workgroup_processor_mode 1
		.amdhsa_memory_ordered 1
		.amdhsa_forward_progress 1
		.amdhsa_shared_vgpr_count 0
		.amdhsa_exception_fp_ieee_invalid_op 0
		.amdhsa_exception_fp_denorm_src 0
		.amdhsa_exception_fp_ieee_div_zero 0
		.amdhsa_exception_fp_ieee_overflow 0
		.amdhsa_exception_fp_ieee_underflow 0
		.amdhsa_exception_fp_ieee_inexact 0
		.amdhsa_exception_int_div_zero 0
	.end_amdhsa_kernel
	.section	.text._ZN7rocprim17ROCPRIM_400000_NS6detail17trampoline_kernelINS0_14default_configENS1_27scan_by_key_config_selectorIiiEEZZNS1_16scan_by_key_implILNS1_25lookback_scan_determinismE0ELb0ES3_N6thrust23THRUST_200600_302600_NS6detail15normal_iteratorINS9_10device_ptrIiEEEESE_SE_iNS9_10multipliesIiEENS9_8equal_toIiEEiEE10hipError_tPvRmT2_T3_T4_T5_mT6_T7_P12ihipStream_tbENKUlT_T0_E_clISt17integral_constantIbLb1EESY_IbLb0EEEEDaSU_SV_EUlSU_E_NS1_11comp_targetILNS1_3genE5ELNS1_11target_archE942ELNS1_3gpuE9ELNS1_3repE0EEENS1_30default_config_static_selectorELNS0_4arch9wavefront6targetE0EEEvT1_,"axG",@progbits,_ZN7rocprim17ROCPRIM_400000_NS6detail17trampoline_kernelINS0_14default_configENS1_27scan_by_key_config_selectorIiiEEZZNS1_16scan_by_key_implILNS1_25lookback_scan_determinismE0ELb0ES3_N6thrust23THRUST_200600_302600_NS6detail15normal_iteratorINS9_10device_ptrIiEEEESE_SE_iNS9_10multipliesIiEENS9_8equal_toIiEEiEE10hipError_tPvRmT2_T3_T4_T5_mT6_T7_P12ihipStream_tbENKUlT_T0_E_clISt17integral_constantIbLb1EESY_IbLb0EEEEDaSU_SV_EUlSU_E_NS1_11comp_targetILNS1_3genE5ELNS1_11target_archE942ELNS1_3gpuE9ELNS1_3repE0EEENS1_30default_config_static_selectorELNS0_4arch9wavefront6targetE0EEEvT1_,comdat
.Lfunc_end184:
	.size	_ZN7rocprim17ROCPRIM_400000_NS6detail17trampoline_kernelINS0_14default_configENS1_27scan_by_key_config_selectorIiiEEZZNS1_16scan_by_key_implILNS1_25lookback_scan_determinismE0ELb0ES3_N6thrust23THRUST_200600_302600_NS6detail15normal_iteratorINS9_10device_ptrIiEEEESE_SE_iNS9_10multipliesIiEENS9_8equal_toIiEEiEE10hipError_tPvRmT2_T3_T4_T5_mT6_T7_P12ihipStream_tbENKUlT_T0_E_clISt17integral_constantIbLb1EESY_IbLb0EEEEDaSU_SV_EUlSU_E_NS1_11comp_targetILNS1_3genE5ELNS1_11target_archE942ELNS1_3gpuE9ELNS1_3repE0EEENS1_30default_config_static_selectorELNS0_4arch9wavefront6targetE0EEEvT1_, .Lfunc_end184-_ZN7rocprim17ROCPRIM_400000_NS6detail17trampoline_kernelINS0_14default_configENS1_27scan_by_key_config_selectorIiiEEZZNS1_16scan_by_key_implILNS1_25lookback_scan_determinismE0ELb0ES3_N6thrust23THRUST_200600_302600_NS6detail15normal_iteratorINS9_10device_ptrIiEEEESE_SE_iNS9_10multipliesIiEENS9_8equal_toIiEEiEE10hipError_tPvRmT2_T3_T4_T5_mT6_T7_P12ihipStream_tbENKUlT_T0_E_clISt17integral_constantIbLb1EESY_IbLb0EEEEDaSU_SV_EUlSU_E_NS1_11comp_targetILNS1_3genE5ELNS1_11target_archE942ELNS1_3gpuE9ELNS1_3repE0EEENS1_30default_config_static_selectorELNS0_4arch9wavefront6targetE0EEEvT1_
                                        ; -- End function
	.set _ZN7rocprim17ROCPRIM_400000_NS6detail17trampoline_kernelINS0_14default_configENS1_27scan_by_key_config_selectorIiiEEZZNS1_16scan_by_key_implILNS1_25lookback_scan_determinismE0ELb0ES3_N6thrust23THRUST_200600_302600_NS6detail15normal_iteratorINS9_10device_ptrIiEEEESE_SE_iNS9_10multipliesIiEENS9_8equal_toIiEEiEE10hipError_tPvRmT2_T3_T4_T5_mT6_T7_P12ihipStream_tbENKUlT_T0_E_clISt17integral_constantIbLb1EESY_IbLb0EEEEDaSU_SV_EUlSU_E_NS1_11comp_targetILNS1_3genE5ELNS1_11target_archE942ELNS1_3gpuE9ELNS1_3repE0EEENS1_30default_config_static_selectorELNS0_4arch9wavefront6targetE0EEEvT1_.num_vgpr, 0
	.set _ZN7rocprim17ROCPRIM_400000_NS6detail17trampoline_kernelINS0_14default_configENS1_27scan_by_key_config_selectorIiiEEZZNS1_16scan_by_key_implILNS1_25lookback_scan_determinismE0ELb0ES3_N6thrust23THRUST_200600_302600_NS6detail15normal_iteratorINS9_10device_ptrIiEEEESE_SE_iNS9_10multipliesIiEENS9_8equal_toIiEEiEE10hipError_tPvRmT2_T3_T4_T5_mT6_T7_P12ihipStream_tbENKUlT_T0_E_clISt17integral_constantIbLb1EESY_IbLb0EEEEDaSU_SV_EUlSU_E_NS1_11comp_targetILNS1_3genE5ELNS1_11target_archE942ELNS1_3gpuE9ELNS1_3repE0EEENS1_30default_config_static_selectorELNS0_4arch9wavefront6targetE0EEEvT1_.num_agpr, 0
	.set _ZN7rocprim17ROCPRIM_400000_NS6detail17trampoline_kernelINS0_14default_configENS1_27scan_by_key_config_selectorIiiEEZZNS1_16scan_by_key_implILNS1_25lookback_scan_determinismE0ELb0ES3_N6thrust23THRUST_200600_302600_NS6detail15normal_iteratorINS9_10device_ptrIiEEEESE_SE_iNS9_10multipliesIiEENS9_8equal_toIiEEiEE10hipError_tPvRmT2_T3_T4_T5_mT6_T7_P12ihipStream_tbENKUlT_T0_E_clISt17integral_constantIbLb1EESY_IbLb0EEEEDaSU_SV_EUlSU_E_NS1_11comp_targetILNS1_3genE5ELNS1_11target_archE942ELNS1_3gpuE9ELNS1_3repE0EEENS1_30default_config_static_selectorELNS0_4arch9wavefront6targetE0EEEvT1_.numbered_sgpr, 0
	.set _ZN7rocprim17ROCPRIM_400000_NS6detail17trampoline_kernelINS0_14default_configENS1_27scan_by_key_config_selectorIiiEEZZNS1_16scan_by_key_implILNS1_25lookback_scan_determinismE0ELb0ES3_N6thrust23THRUST_200600_302600_NS6detail15normal_iteratorINS9_10device_ptrIiEEEESE_SE_iNS9_10multipliesIiEENS9_8equal_toIiEEiEE10hipError_tPvRmT2_T3_T4_T5_mT6_T7_P12ihipStream_tbENKUlT_T0_E_clISt17integral_constantIbLb1EESY_IbLb0EEEEDaSU_SV_EUlSU_E_NS1_11comp_targetILNS1_3genE5ELNS1_11target_archE942ELNS1_3gpuE9ELNS1_3repE0EEENS1_30default_config_static_selectorELNS0_4arch9wavefront6targetE0EEEvT1_.num_named_barrier, 0
	.set _ZN7rocprim17ROCPRIM_400000_NS6detail17trampoline_kernelINS0_14default_configENS1_27scan_by_key_config_selectorIiiEEZZNS1_16scan_by_key_implILNS1_25lookback_scan_determinismE0ELb0ES3_N6thrust23THRUST_200600_302600_NS6detail15normal_iteratorINS9_10device_ptrIiEEEESE_SE_iNS9_10multipliesIiEENS9_8equal_toIiEEiEE10hipError_tPvRmT2_T3_T4_T5_mT6_T7_P12ihipStream_tbENKUlT_T0_E_clISt17integral_constantIbLb1EESY_IbLb0EEEEDaSU_SV_EUlSU_E_NS1_11comp_targetILNS1_3genE5ELNS1_11target_archE942ELNS1_3gpuE9ELNS1_3repE0EEENS1_30default_config_static_selectorELNS0_4arch9wavefront6targetE0EEEvT1_.private_seg_size, 0
	.set _ZN7rocprim17ROCPRIM_400000_NS6detail17trampoline_kernelINS0_14default_configENS1_27scan_by_key_config_selectorIiiEEZZNS1_16scan_by_key_implILNS1_25lookback_scan_determinismE0ELb0ES3_N6thrust23THRUST_200600_302600_NS6detail15normal_iteratorINS9_10device_ptrIiEEEESE_SE_iNS9_10multipliesIiEENS9_8equal_toIiEEiEE10hipError_tPvRmT2_T3_T4_T5_mT6_T7_P12ihipStream_tbENKUlT_T0_E_clISt17integral_constantIbLb1EESY_IbLb0EEEEDaSU_SV_EUlSU_E_NS1_11comp_targetILNS1_3genE5ELNS1_11target_archE942ELNS1_3gpuE9ELNS1_3repE0EEENS1_30default_config_static_selectorELNS0_4arch9wavefront6targetE0EEEvT1_.uses_vcc, 0
	.set _ZN7rocprim17ROCPRIM_400000_NS6detail17trampoline_kernelINS0_14default_configENS1_27scan_by_key_config_selectorIiiEEZZNS1_16scan_by_key_implILNS1_25lookback_scan_determinismE0ELb0ES3_N6thrust23THRUST_200600_302600_NS6detail15normal_iteratorINS9_10device_ptrIiEEEESE_SE_iNS9_10multipliesIiEENS9_8equal_toIiEEiEE10hipError_tPvRmT2_T3_T4_T5_mT6_T7_P12ihipStream_tbENKUlT_T0_E_clISt17integral_constantIbLb1EESY_IbLb0EEEEDaSU_SV_EUlSU_E_NS1_11comp_targetILNS1_3genE5ELNS1_11target_archE942ELNS1_3gpuE9ELNS1_3repE0EEENS1_30default_config_static_selectorELNS0_4arch9wavefront6targetE0EEEvT1_.uses_flat_scratch, 0
	.set _ZN7rocprim17ROCPRIM_400000_NS6detail17trampoline_kernelINS0_14default_configENS1_27scan_by_key_config_selectorIiiEEZZNS1_16scan_by_key_implILNS1_25lookback_scan_determinismE0ELb0ES3_N6thrust23THRUST_200600_302600_NS6detail15normal_iteratorINS9_10device_ptrIiEEEESE_SE_iNS9_10multipliesIiEENS9_8equal_toIiEEiEE10hipError_tPvRmT2_T3_T4_T5_mT6_T7_P12ihipStream_tbENKUlT_T0_E_clISt17integral_constantIbLb1EESY_IbLb0EEEEDaSU_SV_EUlSU_E_NS1_11comp_targetILNS1_3genE5ELNS1_11target_archE942ELNS1_3gpuE9ELNS1_3repE0EEENS1_30default_config_static_selectorELNS0_4arch9wavefront6targetE0EEEvT1_.has_dyn_sized_stack, 0
	.set _ZN7rocprim17ROCPRIM_400000_NS6detail17trampoline_kernelINS0_14default_configENS1_27scan_by_key_config_selectorIiiEEZZNS1_16scan_by_key_implILNS1_25lookback_scan_determinismE0ELb0ES3_N6thrust23THRUST_200600_302600_NS6detail15normal_iteratorINS9_10device_ptrIiEEEESE_SE_iNS9_10multipliesIiEENS9_8equal_toIiEEiEE10hipError_tPvRmT2_T3_T4_T5_mT6_T7_P12ihipStream_tbENKUlT_T0_E_clISt17integral_constantIbLb1EESY_IbLb0EEEEDaSU_SV_EUlSU_E_NS1_11comp_targetILNS1_3genE5ELNS1_11target_archE942ELNS1_3gpuE9ELNS1_3repE0EEENS1_30default_config_static_selectorELNS0_4arch9wavefront6targetE0EEEvT1_.has_recursion, 0
	.set _ZN7rocprim17ROCPRIM_400000_NS6detail17trampoline_kernelINS0_14default_configENS1_27scan_by_key_config_selectorIiiEEZZNS1_16scan_by_key_implILNS1_25lookback_scan_determinismE0ELb0ES3_N6thrust23THRUST_200600_302600_NS6detail15normal_iteratorINS9_10device_ptrIiEEEESE_SE_iNS9_10multipliesIiEENS9_8equal_toIiEEiEE10hipError_tPvRmT2_T3_T4_T5_mT6_T7_P12ihipStream_tbENKUlT_T0_E_clISt17integral_constantIbLb1EESY_IbLb0EEEEDaSU_SV_EUlSU_E_NS1_11comp_targetILNS1_3genE5ELNS1_11target_archE942ELNS1_3gpuE9ELNS1_3repE0EEENS1_30default_config_static_selectorELNS0_4arch9wavefront6targetE0EEEvT1_.has_indirect_call, 0
	.section	.AMDGPU.csdata,"",@progbits
; Kernel info:
; codeLenInByte = 0
; TotalNumSgprs: 0
; NumVgprs: 0
; ScratchSize: 0
; MemoryBound: 0
; FloatMode: 240
; IeeeMode: 1
; LDSByteSize: 0 bytes/workgroup (compile time only)
; SGPRBlocks: 0
; VGPRBlocks: 0
; NumSGPRsForWavesPerEU: 1
; NumVGPRsForWavesPerEU: 1
; Occupancy: 16
; WaveLimiterHint : 0
; COMPUTE_PGM_RSRC2:SCRATCH_EN: 0
; COMPUTE_PGM_RSRC2:USER_SGPR: 6
; COMPUTE_PGM_RSRC2:TRAP_HANDLER: 0
; COMPUTE_PGM_RSRC2:TGID_X_EN: 1
; COMPUTE_PGM_RSRC2:TGID_Y_EN: 0
; COMPUTE_PGM_RSRC2:TGID_Z_EN: 0
; COMPUTE_PGM_RSRC2:TIDIG_COMP_CNT: 0
	.section	.text._ZN7rocprim17ROCPRIM_400000_NS6detail17trampoline_kernelINS0_14default_configENS1_27scan_by_key_config_selectorIiiEEZZNS1_16scan_by_key_implILNS1_25lookback_scan_determinismE0ELb0ES3_N6thrust23THRUST_200600_302600_NS6detail15normal_iteratorINS9_10device_ptrIiEEEESE_SE_iNS9_10multipliesIiEENS9_8equal_toIiEEiEE10hipError_tPvRmT2_T3_T4_T5_mT6_T7_P12ihipStream_tbENKUlT_T0_E_clISt17integral_constantIbLb1EESY_IbLb0EEEEDaSU_SV_EUlSU_E_NS1_11comp_targetILNS1_3genE4ELNS1_11target_archE910ELNS1_3gpuE8ELNS1_3repE0EEENS1_30default_config_static_selectorELNS0_4arch9wavefront6targetE0EEEvT1_,"axG",@progbits,_ZN7rocprim17ROCPRIM_400000_NS6detail17trampoline_kernelINS0_14default_configENS1_27scan_by_key_config_selectorIiiEEZZNS1_16scan_by_key_implILNS1_25lookback_scan_determinismE0ELb0ES3_N6thrust23THRUST_200600_302600_NS6detail15normal_iteratorINS9_10device_ptrIiEEEESE_SE_iNS9_10multipliesIiEENS9_8equal_toIiEEiEE10hipError_tPvRmT2_T3_T4_T5_mT6_T7_P12ihipStream_tbENKUlT_T0_E_clISt17integral_constantIbLb1EESY_IbLb0EEEEDaSU_SV_EUlSU_E_NS1_11comp_targetILNS1_3genE4ELNS1_11target_archE910ELNS1_3gpuE8ELNS1_3repE0EEENS1_30default_config_static_selectorELNS0_4arch9wavefront6targetE0EEEvT1_,comdat
	.protected	_ZN7rocprim17ROCPRIM_400000_NS6detail17trampoline_kernelINS0_14default_configENS1_27scan_by_key_config_selectorIiiEEZZNS1_16scan_by_key_implILNS1_25lookback_scan_determinismE0ELb0ES3_N6thrust23THRUST_200600_302600_NS6detail15normal_iteratorINS9_10device_ptrIiEEEESE_SE_iNS9_10multipliesIiEENS9_8equal_toIiEEiEE10hipError_tPvRmT2_T3_T4_T5_mT6_T7_P12ihipStream_tbENKUlT_T0_E_clISt17integral_constantIbLb1EESY_IbLb0EEEEDaSU_SV_EUlSU_E_NS1_11comp_targetILNS1_3genE4ELNS1_11target_archE910ELNS1_3gpuE8ELNS1_3repE0EEENS1_30default_config_static_selectorELNS0_4arch9wavefront6targetE0EEEvT1_ ; -- Begin function _ZN7rocprim17ROCPRIM_400000_NS6detail17trampoline_kernelINS0_14default_configENS1_27scan_by_key_config_selectorIiiEEZZNS1_16scan_by_key_implILNS1_25lookback_scan_determinismE0ELb0ES3_N6thrust23THRUST_200600_302600_NS6detail15normal_iteratorINS9_10device_ptrIiEEEESE_SE_iNS9_10multipliesIiEENS9_8equal_toIiEEiEE10hipError_tPvRmT2_T3_T4_T5_mT6_T7_P12ihipStream_tbENKUlT_T0_E_clISt17integral_constantIbLb1EESY_IbLb0EEEEDaSU_SV_EUlSU_E_NS1_11comp_targetILNS1_3genE4ELNS1_11target_archE910ELNS1_3gpuE8ELNS1_3repE0EEENS1_30default_config_static_selectorELNS0_4arch9wavefront6targetE0EEEvT1_
	.globl	_ZN7rocprim17ROCPRIM_400000_NS6detail17trampoline_kernelINS0_14default_configENS1_27scan_by_key_config_selectorIiiEEZZNS1_16scan_by_key_implILNS1_25lookback_scan_determinismE0ELb0ES3_N6thrust23THRUST_200600_302600_NS6detail15normal_iteratorINS9_10device_ptrIiEEEESE_SE_iNS9_10multipliesIiEENS9_8equal_toIiEEiEE10hipError_tPvRmT2_T3_T4_T5_mT6_T7_P12ihipStream_tbENKUlT_T0_E_clISt17integral_constantIbLb1EESY_IbLb0EEEEDaSU_SV_EUlSU_E_NS1_11comp_targetILNS1_3genE4ELNS1_11target_archE910ELNS1_3gpuE8ELNS1_3repE0EEENS1_30default_config_static_selectorELNS0_4arch9wavefront6targetE0EEEvT1_
	.p2align	8
	.type	_ZN7rocprim17ROCPRIM_400000_NS6detail17trampoline_kernelINS0_14default_configENS1_27scan_by_key_config_selectorIiiEEZZNS1_16scan_by_key_implILNS1_25lookback_scan_determinismE0ELb0ES3_N6thrust23THRUST_200600_302600_NS6detail15normal_iteratorINS9_10device_ptrIiEEEESE_SE_iNS9_10multipliesIiEENS9_8equal_toIiEEiEE10hipError_tPvRmT2_T3_T4_T5_mT6_T7_P12ihipStream_tbENKUlT_T0_E_clISt17integral_constantIbLb1EESY_IbLb0EEEEDaSU_SV_EUlSU_E_NS1_11comp_targetILNS1_3genE4ELNS1_11target_archE910ELNS1_3gpuE8ELNS1_3repE0EEENS1_30default_config_static_selectorELNS0_4arch9wavefront6targetE0EEEvT1_,@function
_ZN7rocprim17ROCPRIM_400000_NS6detail17trampoline_kernelINS0_14default_configENS1_27scan_by_key_config_selectorIiiEEZZNS1_16scan_by_key_implILNS1_25lookback_scan_determinismE0ELb0ES3_N6thrust23THRUST_200600_302600_NS6detail15normal_iteratorINS9_10device_ptrIiEEEESE_SE_iNS9_10multipliesIiEENS9_8equal_toIiEEiEE10hipError_tPvRmT2_T3_T4_T5_mT6_T7_P12ihipStream_tbENKUlT_T0_E_clISt17integral_constantIbLb1EESY_IbLb0EEEEDaSU_SV_EUlSU_E_NS1_11comp_targetILNS1_3genE4ELNS1_11target_archE910ELNS1_3gpuE8ELNS1_3repE0EEENS1_30default_config_static_selectorELNS0_4arch9wavefront6targetE0EEEvT1_: ; @_ZN7rocprim17ROCPRIM_400000_NS6detail17trampoline_kernelINS0_14default_configENS1_27scan_by_key_config_selectorIiiEEZZNS1_16scan_by_key_implILNS1_25lookback_scan_determinismE0ELb0ES3_N6thrust23THRUST_200600_302600_NS6detail15normal_iteratorINS9_10device_ptrIiEEEESE_SE_iNS9_10multipliesIiEENS9_8equal_toIiEEiEE10hipError_tPvRmT2_T3_T4_T5_mT6_T7_P12ihipStream_tbENKUlT_T0_E_clISt17integral_constantIbLb1EESY_IbLb0EEEEDaSU_SV_EUlSU_E_NS1_11comp_targetILNS1_3genE4ELNS1_11target_archE910ELNS1_3gpuE8ELNS1_3repE0EEENS1_30default_config_static_selectorELNS0_4arch9wavefront6targetE0EEEvT1_
; %bb.0:
	.section	.rodata,"a",@progbits
	.p2align	6, 0x0
	.amdhsa_kernel _ZN7rocprim17ROCPRIM_400000_NS6detail17trampoline_kernelINS0_14default_configENS1_27scan_by_key_config_selectorIiiEEZZNS1_16scan_by_key_implILNS1_25lookback_scan_determinismE0ELb0ES3_N6thrust23THRUST_200600_302600_NS6detail15normal_iteratorINS9_10device_ptrIiEEEESE_SE_iNS9_10multipliesIiEENS9_8equal_toIiEEiEE10hipError_tPvRmT2_T3_T4_T5_mT6_T7_P12ihipStream_tbENKUlT_T0_E_clISt17integral_constantIbLb1EESY_IbLb0EEEEDaSU_SV_EUlSU_E_NS1_11comp_targetILNS1_3genE4ELNS1_11target_archE910ELNS1_3gpuE8ELNS1_3repE0EEENS1_30default_config_static_selectorELNS0_4arch9wavefront6targetE0EEEvT1_
		.amdhsa_group_segment_fixed_size 0
		.amdhsa_private_segment_fixed_size 0
		.amdhsa_kernarg_size 112
		.amdhsa_user_sgpr_count 6
		.amdhsa_user_sgpr_private_segment_buffer 1
		.amdhsa_user_sgpr_dispatch_ptr 0
		.amdhsa_user_sgpr_queue_ptr 0
		.amdhsa_user_sgpr_kernarg_segment_ptr 1
		.amdhsa_user_sgpr_dispatch_id 0
		.amdhsa_user_sgpr_flat_scratch_init 0
		.amdhsa_user_sgpr_private_segment_size 0
		.amdhsa_wavefront_size32 1
		.amdhsa_uses_dynamic_stack 0
		.amdhsa_system_sgpr_private_segment_wavefront_offset 0
		.amdhsa_system_sgpr_workgroup_id_x 1
		.amdhsa_system_sgpr_workgroup_id_y 0
		.amdhsa_system_sgpr_workgroup_id_z 0
		.amdhsa_system_sgpr_workgroup_info 0
		.amdhsa_system_vgpr_workitem_id 0
		.amdhsa_next_free_vgpr 1
		.amdhsa_next_free_sgpr 1
		.amdhsa_reserve_vcc 0
		.amdhsa_reserve_flat_scratch 0
		.amdhsa_float_round_mode_32 0
		.amdhsa_float_round_mode_16_64 0
		.amdhsa_float_denorm_mode_32 3
		.amdhsa_float_denorm_mode_16_64 3
		.amdhsa_dx10_clamp 1
		.amdhsa_ieee_mode 1
		.amdhsa_fp16_overflow 0
		.amdhsa_workgroup_processor_mode 1
		.amdhsa_memory_ordered 1
		.amdhsa_forward_progress 1
		.amdhsa_shared_vgpr_count 0
		.amdhsa_exception_fp_ieee_invalid_op 0
		.amdhsa_exception_fp_denorm_src 0
		.amdhsa_exception_fp_ieee_div_zero 0
		.amdhsa_exception_fp_ieee_overflow 0
		.amdhsa_exception_fp_ieee_underflow 0
		.amdhsa_exception_fp_ieee_inexact 0
		.amdhsa_exception_int_div_zero 0
	.end_amdhsa_kernel
	.section	.text._ZN7rocprim17ROCPRIM_400000_NS6detail17trampoline_kernelINS0_14default_configENS1_27scan_by_key_config_selectorIiiEEZZNS1_16scan_by_key_implILNS1_25lookback_scan_determinismE0ELb0ES3_N6thrust23THRUST_200600_302600_NS6detail15normal_iteratorINS9_10device_ptrIiEEEESE_SE_iNS9_10multipliesIiEENS9_8equal_toIiEEiEE10hipError_tPvRmT2_T3_T4_T5_mT6_T7_P12ihipStream_tbENKUlT_T0_E_clISt17integral_constantIbLb1EESY_IbLb0EEEEDaSU_SV_EUlSU_E_NS1_11comp_targetILNS1_3genE4ELNS1_11target_archE910ELNS1_3gpuE8ELNS1_3repE0EEENS1_30default_config_static_selectorELNS0_4arch9wavefront6targetE0EEEvT1_,"axG",@progbits,_ZN7rocprim17ROCPRIM_400000_NS6detail17trampoline_kernelINS0_14default_configENS1_27scan_by_key_config_selectorIiiEEZZNS1_16scan_by_key_implILNS1_25lookback_scan_determinismE0ELb0ES3_N6thrust23THRUST_200600_302600_NS6detail15normal_iteratorINS9_10device_ptrIiEEEESE_SE_iNS9_10multipliesIiEENS9_8equal_toIiEEiEE10hipError_tPvRmT2_T3_T4_T5_mT6_T7_P12ihipStream_tbENKUlT_T0_E_clISt17integral_constantIbLb1EESY_IbLb0EEEEDaSU_SV_EUlSU_E_NS1_11comp_targetILNS1_3genE4ELNS1_11target_archE910ELNS1_3gpuE8ELNS1_3repE0EEENS1_30default_config_static_selectorELNS0_4arch9wavefront6targetE0EEEvT1_,comdat
.Lfunc_end185:
	.size	_ZN7rocprim17ROCPRIM_400000_NS6detail17trampoline_kernelINS0_14default_configENS1_27scan_by_key_config_selectorIiiEEZZNS1_16scan_by_key_implILNS1_25lookback_scan_determinismE0ELb0ES3_N6thrust23THRUST_200600_302600_NS6detail15normal_iteratorINS9_10device_ptrIiEEEESE_SE_iNS9_10multipliesIiEENS9_8equal_toIiEEiEE10hipError_tPvRmT2_T3_T4_T5_mT6_T7_P12ihipStream_tbENKUlT_T0_E_clISt17integral_constantIbLb1EESY_IbLb0EEEEDaSU_SV_EUlSU_E_NS1_11comp_targetILNS1_3genE4ELNS1_11target_archE910ELNS1_3gpuE8ELNS1_3repE0EEENS1_30default_config_static_selectorELNS0_4arch9wavefront6targetE0EEEvT1_, .Lfunc_end185-_ZN7rocprim17ROCPRIM_400000_NS6detail17trampoline_kernelINS0_14default_configENS1_27scan_by_key_config_selectorIiiEEZZNS1_16scan_by_key_implILNS1_25lookback_scan_determinismE0ELb0ES3_N6thrust23THRUST_200600_302600_NS6detail15normal_iteratorINS9_10device_ptrIiEEEESE_SE_iNS9_10multipliesIiEENS9_8equal_toIiEEiEE10hipError_tPvRmT2_T3_T4_T5_mT6_T7_P12ihipStream_tbENKUlT_T0_E_clISt17integral_constantIbLb1EESY_IbLb0EEEEDaSU_SV_EUlSU_E_NS1_11comp_targetILNS1_3genE4ELNS1_11target_archE910ELNS1_3gpuE8ELNS1_3repE0EEENS1_30default_config_static_selectorELNS0_4arch9wavefront6targetE0EEEvT1_
                                        ; -- End function
	.set _ZN7rocprim17ROCPRIM_400000_NS6detail17trampoline_kernelINS0_14default_configENS1_27scan_by_key_config_selectorIiiEEZZNS1_16scan_by_key_implILNS1_25lookback_scan_determinismE0ELb0ES3_N6thrust23THRUST_200600_302600_NS6detail15normal_iteratorINS9_10device_ptrIiEEEESE_SE_iNS9_10multipliesIiEENS9_8equal_toIiEEiEE10hipError_tPvRmT2_T3_T4_T5_mT6_T7_P12ihipStream_tbENKUlT_T0_E_clISt17integral_constantIbLb1EESY_IbLb0EEEEDaSU_SV_EUlSU_E_NS1_11comp_targetILNS1_3genE4ELNS1_11target_archE910ELNS1_3gpuE8ELNS1_3repE0EEENS1_30default_config_static_selectorELNS0_4arch9wavefront6targetE0EEEvT1_.num_vgpr, 0
	.set _ZN7rocprim17ROCPRIM_400000_NS6detail17trampoline_kernelINS0_14default_configENS1_27scan_by_key_config_selectorIiiEEZZNS1_16scan_by_key_implILNS1_25lookback_scan_determinismE0ELb0ES3_N6thrust23THRUST_200600_302600_NS6detail15normal_iteratorINS9_10device_ptrIiEEEESE_SE_iNS9_10multipliesIiEENS9_8equal_toIiEEiEE10hipError_tPvRmT2_T3_T4_T5_mT6_T7_P12ihipStream_tbENKUlT_T0_E_clISt17integral_constantIbLb1EESY_IbLb0EEEEDaSU_SV_EUlSU_E_NS1_11comp_targetILNS1_3genE4ELNS1_11target_archE910ELNS1_3gpuE8ELNS1_3repE0EEENS1_30default_config_static_selectorELNS0_4arch9wavefront6targetE0EEEvT1_.num_agpr, 0
	.set _ZN7rocprim17ROCPRIM_400000_NS6detail17trampoline_kernelINS0_14default_configENS1_27scan_by_key_config_selectorIiiEEZZNS1_16scan_by_key_implILNS1_25lookback_scan_determinismE0ELb0ES3_N6thrust23THRUST_200600_302600_NS6detail15normal_iteratorINS9_10device_ptrIiEEEESE_SE_iNS9_10multipliesIiEENS9_8equal_toIiEEiEE10hipError_tPvRmT2_T3_T4_T5_mT6_T7_P12ihipStream_tbENKUlT_T0_E_clISt17integral_constantIbLb1EESY_IbLb0EEEEDaSU_SV_EUlSU_E_NS1_11comp_targetILNS1_3genE4ELNS1_11target_archE910ELNS1_3gpuE8ELNS1_3repE0EEENS1_30default_config_static_selectorELNS0_4arch9wavefront6targetE0EEEvT1_.numbered_sgpr, 0
	.set _ZN7rocprim17ROCPRIM_400000_NS6detail17trampoline_kernelINS0_14default_configENS1_27scan_by_key_config_selectorIiiEEZZNS1_16scan_by_key_implILNS1_25lookback_scan_determinismE0ELb0ES3_N6thrust23THRUST_200600_302600_NS6detail15normal_iteratorINS9_10device_ptrIiEEEESE_SE_iNS9_10multipliesIiEENS9_8equal_toIiEEiEE10hipError_tPvRmT2_T3_T4_T5_mT6_T7_P12ihipStream_tbENKUlT_T0_E_clISt17integral_constantIbLb1EESY_IbLb0EEEEDaSU_SV_EUlSU_E_NS1_11comp_targetILNS1_3genE4ELNS1_11target_archE910ELNS1_3gpuE8ELNS1_3repE0EEENS1_30default_config_static_selectorELNS0_4arch9wavefront6targetE0EEEvT1_.num_named_barrier, 0
	.set _ZN7rocprim17ROCPRIM_400000_NS6detail17trampoline_kernelINS0_14default_configENS1_27scan_by_key_config_selectorIiiEEZZNS1_16scan_by_key_implILNS1_25lookback_scan_determinismE0ELb0ES3_N6thrust23THRUST_200600_302600_NS6detail15normal_iteratorINS9_10device_ptrIiEEEESE_SE_iNS9_10multipliesIiEENS9_8equal_toIiEEiEE10hipError_tPvRmT2_T3_T4_T5_mT6_T7_P12ihipStream_tbENKUlT_T0_E_clISt17integral_constantIbLb1EESY_IbLb0EEEEDaSU_SV_EUlSU_E_NS1_11comp_targetILNS1_3genE4ELNS1_11target_archE910ELNS1_3gpuE8ELNS1_3repE0EEENS1_30default_config_static_selectorELNS0_4arch9wavefront6targetE0EEEvT1_.private_seg_size, 0
	.set _ZN7rocprim17ROCPRIM_400000_NS6detail17trampoline_kernelINS0_14default_configENS1_27scan_by_key_config_selectorIiiEEZZNS1_16scan_by_key_implILNS1_25lookback_scan_determinismE0ELb0ES3_N6thrust23THRUST_200600_302600_NS6detail15normal_iteratorINS9_10device_ptrIiEEEESE_SE_iNS9_10multipliesIiEENS9_8equal_toIiEEiEE10hipError_tPvRmT2_T3_T4_T5_mT6_T7_P12ihipStream_tbENKUlT_T0_E_clISt17integral_constantIbLb1EESY_IbLb0EEEEDaSU_SV_EUlSU_E_NS1_11comp_targetILNS1_3genE4ELNS1_11target_archE910ELNS1_3gpuE8ELNS1_3repE0EEENS1_30default_config_static_selectorELNS0_4arch9wavefront6targetE0EEEvT1_.uses_vcc, 0
	.set _ZN7rocprim17ROCPRIM_400000_NS6detail17trampoline_kernelINS0_14default_configENS1_27scan_by_key_config_selectorIiiEEZZNS1_16scan_by_key_implILNS1_25lookback_scan_determinismE0ELb0ES3_N6thrust23THRUST_200600_302600_NS6detail15normal_iteratorINS9_10device_ptrIiEEEESE_SE_iNS9_10multipliesIiEENS9_8equal_toIiEEiEE10hipError_tPvRmT2_T3_T4_T5_mT6_T7_P12ihipStream_tbENKUlT_T0_E_clISt17integral_constantIbLb1EESY_IbLb0EEEEDaSU_SV_EUlSU_E_NS1_11comp_targetILNS1_3genE4ELNS1_11target_archE910ELNS1_3gpuE8ELNS1_3repE0EEENS1_30default_config_static_selectorELNS0_4arch9wavefront6targetE0EEEvT1_.uses_flat_scratch, 0
	.set _ZN7rocprim17ROCPRIM_400000_NS6detail17trampoline_kernelINS0_14default_configENS1_27scan_by_key_config_selectorIiiEEZZNS1_16scan_by_key_implILNS1_25lookback_scan_determinismE0ELb0ES3_N6thrust23THRUST_200600_302600_NS6detail15normal_iteratorINS9_10device_ptrIiEEEESE_SE_iNS9_10multipliesIiEENS9_8equal_toIiEEiEE10hipError_tPvRmT2_T3_T4_T5_mT6_T7_P12ihipStream_tbENKUlT_T0_E_clISt17integral_constantIbLb1EESY_IbLb0EEEEDaSU_SV_EUlSU_E_NS1_11comp_targetILNS1_3genE4ELNS1_11target_archE910ELNS1_3gpuE8ELNS1_3repE0EEENS1_30default_config_static_selectorELNS0_4arch9wavefront6targetE0EEEvT1_.has_dyn_sized_stack, 0
	.set _ZN7rocprim17ROCPRIM_400000_NS6detail17trampoline_kernelINS0_14default_configENS1_27scan_by_key_config_selectorIiiEEZZNS1_16scan_by_key_implILNS1_25lookback_scan_determinismE0ELb0ES3_N6thrust23THRUST_200600_302600_NS6detail15normal_iteratorINS9_10device_ptrIiEEEESE_SE_iNS9_10multipliesIiEENS9_8equal_toIiEEiEE10hipError_tPvRmT2_T3_T4_T5_mT6_T7_P12ihipStream_tbENKUlT_T0_E_clISt17integral_constantIbLb1EESY_IbLb0EEEEDaSU_SV_EUlSU_E_NS1_11comp_targetILNS1_3genE4ELNS1_11target_archE910ELNS1_3gpuE8ELNS1_3repE0EEENS1_30default_config_static_selectorELNS0_4arch9wavefront6targetE0EEEvT1_.has_recursion, 0
	.set _ZN7rocprim17ROCPRIM_400000_NS6detail17trampoline_kernelINS0_14default_configENS1_27scan_by_key_config_selectorIiiEEZZNS1_16scan_by_key_implILNS1_25lookback_scan_determinismE0ELb0ES3_N6thrust23THRUST_200600_302600_NS6detail15normal_iteratorINS9_10device_ptrIiEEEESE_SE_iNS9_10multipliesIiEENS9_8equal_toIiEEiEE10hipError_tPvRmT2_T3_T4_T5_mT6_T7_P12ihipStream_tbENKUlT_T0_E_clISt17integral_constantIbLb1EESY_IbLb0EEEEDaSU_SV_EUlSU_E_NS1_11comp_targetILNS1_3genE4ELNS1_11target_archE910ELNS1_3gpuE8ELNS1_3repE0EEENS1_30default_config_static_selectorELNS0_4arch9wavefront6targetE0EEEvT1_.has_indirect_call, 0
	.section	.AMDGPU.csdata,"",@progbits
; Kernel info:
; codeLenInByte = 0
; TotalNumSgprs: 0
; NumVgprs: 0
; ScratchSize: 0
; MemoryBound: 0
; FloatMode: 240
; IeeeMode: 1
; LDSByteSize: 0 bytes/workgroup (compile time only)
; SGPRBlocks: 0
; VGPRBlocks: 0
; NumSGPRsForWavesPerEU: 1
; NumVGPRsForWavesPerEU: 1
; Occupancy: 16
; WaveLimiterHint : 0
; COMPUTE_PGM_RSRC2:SCRATCH_EN: 0
; COMPUTE_PGM_RSRC2:USER_SGPR: 6
; COMPUTE_PGM_RSRC2:TRAP_HANDLER: 0
; COMPUTE_PGM_RSRC2:TGID_X_EN: 1
; COMPUTE_PGM_RSRC2:TGID_Y_EN: 0
; COMPUTE_PGM_RSRC2:TGID_Z_EN: 0
; COMPUTE_PGM_RSRC2:TIDIG_COMP_CNT: 0
	.section	.text._ZN7rocprim17ROCPRIM_400000_NS6detail17trampoline_kernelINS0_14default_configENS1_27scan_by_key_config_selectorIiiEEZZNS1_16scan_by_key_implILNS1_25lookback_scan_determinismE0ELb0ES3_N6thrust23THRUST_200600_302600_NS6detail15normal_iteratorINS9_10device_ptrIiEEEESE_SE_iNS9_10multipliesIiEENS9_8equal_toIiEEiEE10hipError_tPvRmT2_T3_T4_T5_mT6_T7_P12ihipStream_tbENKUlT_T0_E_clISt17integral_constantIbLb1EESY_IbLb0EEEEDaSU_SV_EUlSU_E_NS1_11comp_targetILNS1_3genE3ELNS1_11target_archE908ELNS1_3gpuE7ELNS1_3repE0EEENS1_30default_config_static_selectorELNS0_4arch9wavefront6targetE0EEEvT1_,"axG",@progbits,_ZN7rocprim17ROCPRIM_400000_NS6detail17trampoline_kernelINS0_14default_configENS1_27scan_by_key_config_selectorIiiEEZZNS1_16scan_by_key_implILNS1_25lookback_scan_determinismE0ELb0ES3_N6thrust23THRUST_200600_302600_NS6detail15normal_iteratorINS9_10device_ptrIiEEEESE_SE_iNS9_10multipliesIiEENS9_8equal_toIiEEiEE10hipError_tPvRmT2_T3_T4_T5_mT6_T7_P12ihipStream_tbENKUlT_T0_E_clISt17integral_constantIbLb1EESY_IbLb0EEEEDaSU_SV_EUlSU_E_NS1_11comp_targetILNS1_3genE3ELNS1_11target_archE908ELNS1_3gpuE7ELNS1_3repE0EEENS1_30default_config_static_selectorELNS0_4arch9wavefront6targetE0EEEvT1_,comdat
	.protected	_ZN7rocprim17ROCPRIM_400000_NS6detail17trampoline_kernelINS0_14default_configENS1_27scan_by_key_config_selectorIiiEEZZNS1_16scan_by_key_implILNS1_25lookback_scan_determinismE0ELb0ES3_N6thrust23THRUST_200600_302600_NS6detail15normal_iteratorINS9_10device_ptrIiEEEESE_SE_iNS9_10multipliesIiEENS9_8equal_toIiEEiEE10hipError_tPvRmT2_T3_T4_T5_mT6_T7_P12ihipStream_tbENKUlT_T0_E_clISt17integral_constantIbLb1EESY_IbLb0EEEEDaSU_SV_EUlSU_E_NS1_11comp_targetILNS1_3genE3ELNS1_11target_archE908ELNS1_3gpuE7ELNS1_3repE0EEENS1_30default_config_static_selectorELNS0_4arch9wavefront6targetE0EEEvT1_ ; -- Begin function _ZN7rocprim17ROCPRIM_400000_NS6detail17trampoline_kernelINS0_14default_configENS1_27scan_by_key_config_selectorIiiEEZZNS1_16scan_by_key_implILNS1_25lookback_scan_determinismE0ELb0ES3_N6thrust23THRUST_200600_302600_NS6detail15normal_iteratorINS9_10device_ptrIiEEEESE_SE_iNS9_10multipliesIiEENS9_8equal_toIiEEiEE10hipError_tPvRmT2_T3_T4_T5_mT6_T7_P12ihipStream_tbENKUlT_T0_E_clISt17integral_constantIbLb1EESY_IbLb0EEEEDaSU_SV_EUlSU_E_NS1_11comp_targetILNS1_3genE3ELNS1_11target_archE908ELNS1_3gpuE7ELNS1_3repE0EEENS1_30default_config_static_selectorELNS0_4arch9wavefront6targetE0EEEvT1_
	.globl	_ZN7rocprim17ROCPRIM_400000_NS6detail17trampoline_kernelINS0_14default_configENS1_27scan_by_key_config_selectorIiiEEZZNS1_16scan_by_key_implILNS1_25lookback_scan_determinismE0ELb0ES3_N6thrust23THRUST_200600_302600_NS6detail15normal_iteratorINS9_10device_ptrIiEEEESE_SE_iNS9_10multipliesIiEENS9_8equal_toIiEEiEE10hipError_tPvRmT2_T3_T4_T5_mT6_T7_P12ihipStream_tbENKUlT_T0_E_clISt17integral_constantIbLb1EESY_IbLb0EEEEDaSU_SV_EUlSU_E_NS1_11comp_targetILNS1_3genE3ELNS1_11target_archE908ELNS1_3gpuE7ELNS1_3repE0EEENS1_30default_config_static_selectorELNS0_4arch9wavefront6targetE0EEEvT1_
	.p2align	8
	.type	_ZN7rocprim17ROCPRIM_400000_NS6detail17trampoline_kernelINS0_14default_configENS1_27scan_by_key_config_selectorIiiEEZZNS1_16scan_by_key_implILNS1_25lookback_scan_determinismE0ELb0ES3_N6thrust23THRUST_200600_302600_NS6detail15normal_iteratorINS9_10device_ptrIiEEEESE_SE_iNS9_10multipliesIiEENS9_8equal_toIiEEiEE10hipError_tPvRmT2_T3_T4_T5_mT6_T7_P12ihipStream_tbENKUlT_T0_E_clISt17integral_constantIbLb1EESY_IbLb0EEEEDaSU_SV_EUlSU_E_NS1_11comp_targetILNS1_3genE3ELNS1_11target_archE908ELNS1_3gpuE7ELNS1_3repE0EEENS1_30default_config_static_selectorELNS0_4arch9wavefront6targetE0EEEvT1_,@function
_ZN7rocprim17ROCPRIM_400000_NS6detail17trampoline_kernelINS0_14default_configENS1_27scan_by_key_config_selectorIiiEEZZNS1_16scan_by_key_implILNS1_25lookback_scan_determinismE0ELb0ES3_N6thrust23THRUST_200600_302600_NS6detail15normal_iteratorINS9_10device_ptrIiEEEESE_SE_iNS9_10multipliesIiEENS9_8equal_toIiEEiEE10hipError_tPvRmT2_T3_T4_T5_mT6_T7_P12ihipStream_tbENKUlT_T0_E_clISt17integral_constantIbLb1EESY_IbLb0EEEEDaSU_SV_EUlSU_E_NS1_11comp_targetILNS1_3genE3ELNS1_11target_archE908ELNS1_3gpuE7ELNS1_3repE0EEENS1_30default_config_static_selectorELNS0_4arch9wavefront6targetE0EEEvT1_: ; @_ZN7rocprim17ROCPRIM_400000_NS6detail17trampoline_kernelINS0_14default_configENS1_27scan_by_key_config_selectorIiiEEZZNS1_16scan_by_key_implILNS1_25lookback_scan_determinismE0ELb0ES3_N6thrust23THRUST_200600_302600_NS6detail15normal_iteratorINS9_10device_ptrIiEEEESE_SE_iNS9_10multipliesIiEENS9_8equal_toIiEEiEE10hipError_tPvRmT2_T3_T4_T5_mT6_T7_P12ihipStream_tbENKUlT_T0_E_clISt17integral_constantIbLb1EESY_IbLb0EEEEDaSU_SV_EUlSU_E_NS1_11comp_targetILNS1_3genE3ELNS1_11target_archE908ELNS1_3gpuE7ELNS1_3repE0EEENS1_30default_config_static_selectorELNS0_4arch9wavefront6targetE0EEEvT1_
; %bb.0:
	.section	.rodata,"a",@progbits
	.p2align	6, 0x0
	.amdhsa_kernel _ZN7rocprim17ROCPRIM_400000_NS6detail17trampoline_kernelINS0_14default_configENS1_27scan_by_key_config_selectorIiiEEZZNS1_16scan_by_key_implILNS1_25lookback_scan_determinismE0ELb0ES3_N6thrust23THRUST_200600_302600_NS6detail15normal_iteratorINS9_10device_ptrIiEEEESE_SE_iNS9_10multipliesIiEENS9_8equal_toIiEEiEE10hipError_tPvRmT2_T3_T4_T5_mT6_T7_P12ihipStream_tbENKUlT_T0_E_clISt17integral_constantIbLb1EESY_IbLb0EEEEDaSU_SV_EUlSU_E_NS1_11comp_targetILNS1_3genE3ELNS1_11target_archE908ELNS1_3gpuE7ELNS1_3repE0EEENS1_30default_config_static_selectorELNS0_4arch9wavefront6targetE0EEEvT1_
		.amdhsa_group_segment_fixed_size 0
		.amdhsa_private_segment_fixed_size 0
		.amdhsa_kernarg_size 112
		.amdhsa_user_sgpr_count 6
		.amdhsa_user_sgpr_private_segment_buffer 1
		.amdhsa_user_sgpr_dispatch_ptr 0
		.amdhsa_user_sgpr_queue_ptr 0
		.amdhsa_user_sgpr_kernarg_segment_ptr 1
		.amdhsa_user_sgpr_dispatch_id 0
		.amdhsa_user_sgpr_flat_scratch_init 0
		.amdhsa_user_sgpr_private_segment_size 0
		.amdhsa_wavefront_size32 1
		.amdhsa_uses_dynamic_stack 0
		.amdhsa_system_sgpr_private_segment_wavefront_offset 0
		.amdhsa_system_sgpr_workgroup_id_x 1
		.amdhsa_system_sgpr_workgroup_id_y 0
		.amdhsa_system_sgpr_workgroup_id_z 0
		.amdhsa_system_sgpr_workgroup_info 0
		.amdhsa_system_vgpr_workitem_id 0
		.amdhsa_next_free_vgpr 1
		.amdhsa_next_free_sgpr 1
		.amdhsa_reserve_vcc 0
		.amdhsa_reserve_flat_scratch 0
		.amdhsa_float_round_mode_32 0
		.amdhsa_float_round_mode_16_64 0
		.amdhsa_float_denorm_mode_32 3
		.amdhsa_float_denorm_mode_16_64 3
		.amdhsa_dx10_clamp 1
		.amdhsa_ieee_mode 1
		.amdhsa_fp16_overflow 0
		.amdhsa_workgroup_processor_mode 1
		.amdhsa_memory_ordered 1
		.amdhsa_forward_progress 1
		.amdhsa_shared_vgpr_count 0
		.amdhsa_exception_fp_ieee_invalid_op 0
		.amdhsa_exception_fp_denorm_src 0
		.amdhsa_exception_fp_ieee_div_zero 0
		.amdhsa_exception_fp_ieee_overflow 0
		.amdhsa_exception_fp_ieee_underflow 0
		.amdhsa_exception_fp_ieee_inexact 0
		.amdhsa_exception_int_div_zero 0
	.end_amdhsa_kernel
	.section	.text._ZN7rocprim17ROCPRIM_400000_NS6detail17trampoline_kernelINS0_14default_configENS1_27scan_by_key_config_selectorIiiEEZZNS1_16scan_by_key_implILNS1_25lookback_scan_determinismE0ELb0ES3_N6thrust23THRUST_200600_302600_NS6detail15normal_iteratorINS9_10device_ptrIiEEEESE_SE_iNS9_10multipliesIiEENS9_8equal_toIiEEiEE10hipError_tPvRmT2_T3_T4_T5_mT6_T7_P12ihipStream_tbENKUlT_T0_E_clISt17integral_constantIbLb1EESY_IbLb0EEEEDaSU_SV_EUlSU_E_NS1_11comp_targetILNS1_3genE3ELNS1_11target_archE908ELNS1_3gpuE7ELNS1_3repE0EEENS1_30default_config_static_selectorELNS0_4arch9wavefront6targetE0EEEvT1_,"axG",@progbits,_ZN7rocprim17ROCPRIM_400000_NS6detail17trampoline_kernelINS0_14default_configENS1_27scan_by_key_config_selectorIiiEEZZNS1_16scan_by_key_implILNS1_25lookback_scan_determinismE0ELb0ES3_N6thrust23THRUST_200600_302600_NS6detail15normal_iteratorINS9_10device_ptrIiEEEESE_SE_iNS9_10multipliesIiEENS9_8equal_toIiEEiEE10hipError_tPvRmT2_T3_T4_T5_mT6_T7_P12ihipStream_tbENKUlT_T0_E_clISt17integral_constantIbLb1EESY_IbLb0EEEEDaSU_SV_EUlSU_E_NS1_11comp_targetILNS1_3genE3ELNS1_11target_archE908ELNS1_3gpuE7ELNS1_3repE0EEENS1_30default_config_static_selectorELNS0_4arch9wavefront6targetE0EEEvT1_,comdat
.Lfunc_end186:
	.size	_ZN7rocprim17ROCPRIM_400000_NS6detail17trampoline_kernelINS0_14default_configENS1_27scan_by_key_config_selectorIiiEEZZNS1_16scan_by_key_implILNS1_25lookback_scan_determinismE0ELb0ES3_N6thrust23THRUST_200600_302600_NS6detail15normal_iteratorINS9_10device_ptrIiEEEESE_SE_iNS9_10multipliesIiEENS9_8equal_toIiEEiEE10hipError_tPvRmT2_T3_T4_T5_mT6_T7_P12ihipStream_tbENKUlT_T0_E_clISt17integral_constantIbLb1EESY_IbLb0EEEEDaSU_SV_EUlSU_E_NS1_11comp_targetILNS1_3genE3ELNS1_11target_archE908ELNS1_3gpuE7ELNS1_3repE0EEENS1_30default_config_static_selectorELNS0_4arch9wavefront6targetE0EEEvT1_, .Lfunc_end186-_ZN7rocprim17ROCPRIM_400000_NS6detail17trampoline_kernelINS0_14default_configENS1_27scan_by_key_config_selectorIiiEEZZNS1_16scan_by_key_implILNS1_25lookback_scan_determinismE0ELb0ES3_N6thrust23THRUST_200600_302600_NS6detail15normal_iteratorINS9_10device_ptrIiEEEESE_SE_iNS9_10multipliesIiEENS9_8equal_toIiEEiEE10hipError_tPvRmT2_T3_T4_T5_mT6_T7_P12ihipStream_tbENKUlT_T0_E_clISt17integral_constantIbLb1EESY_IbLb0EEEEDaSU_SV_EUlSU_E_NS1_11comp_targetILNS1_3genE3ELNS1_11target_archE908ELNS1_3gpuE7ELNS1_3repE0EEENS1_30default_config_static_selectorELNS0_4arch9wavefront6targetE0EEEvT1_
                                        ; -- End function
	.set _ZN7rocprim17ROCPRIM_400000_NS6detail17trampoline_kernelINS0_14default_configENS1_27scan_by_key_config_selectorIiiEEZZNS1_16scan_by_key_implILNS1_25lookback_scan_determinismE0ELb0ES3_N6thrust23THRUST_200600_302600_NS6detail15normal_iteratorINS9_10device_ptrIiEEEESE_SE_iNS9_10multipliesIiEENS9_8equal_toIiEEiEE10hipError_tPvRmT2_T3_T4_T5_mT6_T7_P12ihipStream_tbENKUlT_T0_E_clISt17integral_constantIbLb1EESY_IbLb0EEEEDaSU_SV_EUlSU_E_NS1_11comp_targetILNS1_3genE3ELNS1_11target_archE908ELNS1_3gpuE7ELNS1_3repE0EEENS1_30default_config_static_selectorELNS0_4arch9wavefront6targetE0EEEvT1_.num_vgpr, 0
	.set _ZN7rocprim17ROCPRIM_400000_NS6detail17trampoline_kernelINS0_14default_configENS1_27scan_by_key_config_selectorIiiEEZZNS1_16scan_by_key_implILNS1_25lookback_scan_determinismE0ELb0ES3_N6thrust23THRUST_200600_302600_NS6detail15normal_iteratorINS9_10device_ptrIiEEEESE_SE_iNS9_10multipliesIiEENS9_8equal_toIiEEiEE10hipError_tPvRmT2_T3_T4_T5_mT6_T7_P12ihipStream_tbENKUlT_T0_E_clISt17integral_constantIbLb1EESY_IbLb0EEEEDaSU_SV_EUlSU_E_NS1_11comp_targetILNS1_3genE3ELNS1_11target_archE908ELNS1_3gpuE7ELNS1_3repE0EEENS1_30default_config_static_selectorELNS0_4arch9wavefront6targetE0EEEvT1_.num_agpr, 0
	.set _ZN7rocprim17ROCPRIM_400000_NS6detail17trampoline_kernelINS0_14default_configENS1_27scan_by_key_config_selectorIiiEEZZNS1_16scan_by_key_implILNS1_25lookback_scan_determinismE0ELb0ES3_N6thrust23THRUST_200600_302600_NS6detail15normal_iteratorINS9_10device_ptrIiEEEESE_SE_iNS9_10multipliesIiEENS9_8equal_toIiEEiEE10hipError_tPvRmT2_T3_T4_T5_mT6_T7_P12ihipStream_tbENKUlT_T0_E_clISt17integral_constantIbLb1EESY_IbLb0EEEEDaSU_SV_EUlSU_E_NS1_11comp_targetILNS1_3genE3ELNS1_11target_archE908ELNS1_3gpuE7ELNS1_3repE0EEENS1_30default_config_static_selectorELNS0_4arch9wavefront6targetE0EEEvT1_.numbered_sgpr, 0
	.set _ZN7rocprim17ROCPRIM_400000_NS6detail17trampoline_kernelINS0_14default_configENS1_27scan_by_key_config_selectorIiiEEZZNS1_16scan_by_key_implILNS1_25lookback_scan_determinismE0ELb0ES3_N6thrust23THRUST_200600_302600_NS6detail15normal_iteratorINS9_10device_ptrIiEEEESE_SE_iNS9_10multipliesIiEENS9_8equal_toIiEEiEE10hipError_tPvRmT2_T3_T4_T5_mT6_T7_P12ihipStream_tbENKUlT_T0_E_clISt17integral_constantIbLb1EESY_IbLb0EEEEDaSU_SV_EUlSU_E_NS1_11comp_targetILNS1_3genE3ELNS1_11target_archE908ELNS1_3gpuE7ELNS1_3repE0EEENS1_30default_config_static_selectorELNS0_4arch9wavefront6targetE0EEEvT1_.num_named_barrier, 0
	.set _ZN7rocprim17ROCPRIM_400000_NS6detail17trampoline_kernelINS0_14default_configENS1_27scan_by_key_config_selectorIiiEEZZNS1_16scan_by_key_implILNS1_25lookback_scan_determinismE0ELb0ES3_N6thrust23THRUST_200600_302600_NS6detail15normal_iteratorINS9_10device_ptrIiEEEESE_SE_iNS9_10multipliesIiEENS9_8equal_toIiEEiEE10hipError_tPvRmT2_T3_T4_T5_mT6_T7_P12ihipStream_tbENKUlT_T0_E_clISt17integral_constantIbLb1EESY_IbLb0EEEEDaSU_SV_EUlSU_E_NS1_11comp_targetILNS1_3genE3ELNS1_11target_archE908ELNS1_3gpuE7ELNS1_3repE0EEENS1_30default_config_static_selectorELNS0_4arch9wavefront6targetE0EEEvT1_.private_seg_size, 0
	.set _ZN7rocprim17ROCPRIM_400000_NS6detail17trampoline_kernelINS0_14default_configENS1_27scan_by_key_config_selectorIiiEEZZNS1_16scan_by_key_implILNS1_25lookback_scan_determinismE0ELb0ES3_N6thrust23THRUST_200600_302600_NS6detail15normal_iteratorINS9_10device_ptrIiEEEESE_SE_iNS9_10multipliesIiEENS9_8equal_toIiEEiEE10hipError_tPvRmT2_T3_T4_T5_mT6_T7_P12ihipStream_tbENKUlT_T0_E_clISt17integral_constantIbLb1EESY_IbLb0EEEEDaSU_SV_EUlSU_E_NS1_11comp_targetILNS1_3genE3ELNS1_11target_archE908ELNS1_3gpuE7ELNS1_3repE0EEENS1_30default_config_static_selectorELNS0_4arch9wavefront6targetE0EEEvT1_.uses_vcc, 0
	.set _ZN7rocprim17ROCPRIM_400000_NS6detail17trampoline_kernelINS0_14default_configENS1_27scan_by_key_config_selectorIiiEEZZNS1_16scan_by_key_implILNS1_25lookback_scan_determinismE0ELb0ES3_N6thrust23THRUST_200600_302600_NS6detail15normal_iteratorINS9_10device_ptrIiEEEESE_SE_iNS9_10multipliesIiEENS9_8equal_toIiEEiEE10hipError_tPvRmT2_T3_T4_T5_mT6_T7_P12ihipStream_tbENKUlT_T0_E_clISt17integral_constantIbLb1EESY_IbLb0EEEEDaSU_SV_EUlSU_E_NS1_11comp_targetILNS1_3genE3ELNS1_11target_archE908ELNS1_3gpuE7ELNS1_3repE0EEENS1_30default_config_static_selectorELNS0_4arch9wavefront6targetE0EEEvT1_.uses_flat_scratch, 0
	.set _ZN7rocprim17ROCPRIM_400000_NS6detail17trampoline_kernelINS0_14default_configENS1_27scan_by_key_config_selectorIiiEEZZNS1_16scan_by_key_implILNS1_25lookback_scan_determinismE0ELb0ES3_N6thrust23THRUST_200600_302600_NS6detail15normal_iteratorINS9_10device_ptrIiEEEESE_SE_iNS9_10multipliesIiEENS9_8equal_toIiEEiEE10hipError_tPvRmT2_T3_T4_T5_mT6_T7_P12ihipStream_tbENKUlT_T0_E_clISt17integral_constantIbLb1EESY_IbLb0EEEEDaSU_SV_EUlSU_E_NS1_11comp_targetILNS1_3genE3ELNS1_11target_archE908ELNS1_3gpuE7ELNS1_3repE0EEENS1_30default_config_static_selectorELNS0_4arch9wavefront6targetE0EEEvT1_.has_dyn_sized_stack, 0
	.set _ZN7rocprim17ROCPRIM_400000_NS6detail17trampoline_kernelINS0_14default_configENS1_27scan_by_key_config_selectorIiiEEZZNS1_16scan_by_key_implILNS1_25lookback_scan_determinismE0ELb0ES3_N6thrust23THRUST_200600_302600_NS6detail15normal_iteratorINS9_10device_ptrIiEEEESE_SE_iNS9_10multipliesIiEENS9_8equal_toIiEEiEE10hipError_tPvRmT2_T3_T4_T5_mT6_T7_P12ihipStream_tbENKUlT_T0_E_clISt17integral_constantIbLb1EESY_IbLb0EEEEDaSU_SV_EUlSU_E_NS1_11comp_targetILNS1_3genE3ELNS1_11target_archE908ELNS1_3gpuE7ELNS1_3repE0EEENS1_30default_config_static_selectorELNS0_4arch9wavefront6targetE0EEEvT1_.has_recursion, 0
	.set _ZN7rocprim17ROCPRIM_400000_NS6detail17trampoline_kernelINS0_14default_configENS1_27scan_by_key_config_selectorIiiEEZZNS1_16scan_by_key_implILNS1_25lookback_scan_determinismE0ELb0ES3_N6thrust23THRUST_200600_302600_NS6detail15normal_iteratorINS9_10device_ptrIiEEEESE_SE_iNS9_10multipliesIiEENS9_8equal_toIiEEiEE10hipError_tPvRmT2_T3_T4_T5_mT6_T7_P12ihipStream_tbENKUlT_T0_E_clISt17integral_constantIbLb1EESY_IbLb0EEEEDaSU_SV_EUlSU_E_NS1_11comp_targetILNS1_3genE3ELNS1_11target_archE908ELNS1_3gpuE7ELNS1_3repE0EEENS1_30default_config_static_selectorELNS0_4arch9wavefront6targetE0EEEvT1_.has_indirect_call, 0
	.section	.AMDGPU.csdata,"",@progbits
; Kernel info:
; codeLenInByte = 0
; TotalNumSgprs: 0
; NumVgprs: 0
; ScratchSize: 0
; MemoryBound: 0
; FloatMode: 240
; IeeeMode: 1
; LDSByteSize: 0 bytes/workgroup (compile time only)
; SGPRBlocks: 0
; VGPRBlocks: 0
; NumSGPRsForWavesPerEU: 1
; NumVGPRsForWavesPerEU: 1
; Occupancy: 16
; WaveLimiterHint : 0
; COMPUTE_PGM_RSRC2:SCRATCH_EN: 0
; COMPUTE_PGM_RSRC2:USER_SGPR: 6
; COMPUTE_PGM_RSRC2:TRAP_HANDLER: 0
; COMPUTE_PGM_RSRC2:TGID_X_EN: 1
; COMPUTE_PGM_RSRC2:TGID_Y_EN: 0
; COMPUTE_PGM_RSRC2:TGID_Z_EN: 0
; COMPUTE_PGM_RSRC2:TIDIG_COMP_CNT: 0
	.section	.text._ZN7rocprim17ROCPRIM_400000_NS6detail17trampoline_kernelINS0_14default_configENS1_27scan_by_key_config_selectorIiiEEZZNS1_16scan_by_key_implILNS1_25lookback_scan_determinismE0ELb0ES3_N6thrust23THRUST_200600_302600_NS6detail15normal_iteratorINS9_10device_ptrIiEEEESE_SE_iNS9_10multipliesIiEENS9_8equal_toIiEEiEE10hipError_tPvRmT2_T3_T4_T5_mT6_T7_P12ihipStream_tbENKUlT_T0_E_clISt17integral_constantIbLb1EESY_IbLb0EEEEDaSU_SV_EUlSU_E_NS1_11comp_targetILNS1_3genE2ELNS1_11target_archE906ELNS1_3gpuE6ELNS1_3repE0EEENS1_30default_config_static_selectorELNS0_4arch9wavefront6targetE0EEEvT1_,"axG",@progbits,_ZN7rocprim17ROCPRIM_400000_NS6detail17trampoline_kernelINS0_14default_configENS1_27scan_by_key_config_selectorIiiEEZZNS1_16scan_by_key_implILNS1_25lookback_scan_determinismE0ELb0ES3_N6thrust23THRUST_200600_302600_NS6detail15normal_iteratorINS9_10device_ptrIiEEEESE_SE_iNS9_10multipliesIiEENS9_8equal_toIiEEiEE10hipError_tPvRmT2_T3_T4_T5_mT6_T7_P12ihipStream_tbENKUlT_T0_E_clISt17integral_constantIbLb1EESY_IbLb0EEEEDaSU_SV_EUlSU_E_NS1_11comp_targetILNS1_3genE2ELNS1_11target_archE906ELNS1_3gpuE6ELNS1_3repE0EEENS1_30default_config_static_selectorELNS0_4arch9wavefront6targetE0EEEvT1_,comdat
	.protected	_ZN7rocprim17ROCPRIM_400000_NS6detail17trampoline_kernelINS0_14default_configENS1_27scan_by_key_config_selectorIiiEEZZNS1_16scan_by_key_implILNS1_25lookback_scan_determinismE0ELb0ES3_N6thrust23THRUST_200600_302600_NS6detail15normal_iteratorINS9_10device_ptrIiEEEESE_SE_iNS9_10multipliesIiEENS9_8equal_toIiEEiEE10hipError_tPvRmT2_T3_T4_T5_mT6_T7_P12ihipStream_tbENKUlT_T0_E_clISt17integral_constantIbLb1EESY_IbLb0EEEEDaSU_SV_EUlSU_E_NS1_11comp_targetILNS1_3genE2ELNS1_11target_archE906ELNS1_3gpuE6ELNS1_3repE0EEENS1_30default_config_static_selectorELNS0_4arch9wavefront6targetE0EEEvT1_ ; -- Begin function _ZN7rocprim17ROCPRIM_400000_NS6detail17trampoline_kernelINS0_14default_configENS1_27scan_by_key_config_selectorIiiEEZZNS1_16scan_by_key_implILNS1_25lookback_scan_determinismE0ELb0ES3_N6thrust23THRUST_200600_302600_NS6detail15normal_iteratorINS9_10device_ptrIiEEEESE_SE_iNS9_10multipliesIiEENS9_8equal_toIiEEiEE10hipError_tPvRmT2_T3_T4_T5_mT6_T7_P12ihipStream_tbENKUlT_T0_E_clISt17integral_constantIbLb1EESY_IbLb0EEEEDaSU_SV_EUlSU_E_NS1_11comp_targetILNS1_3genE2ELNS1_11target_archE906ELNS1_3gpuE6ELNS1_3repE0EEENS1_30default_config_static_selectorELNS0_4arch9wavefront6targetE0EEEvT1_
	.globl	_ZN7rocprim17ROCPRIM_400000_NS6detail17trampoline_kernelINS0_14default_configENS1_27scan_by_key_config_selectorIiiEEZZNS1_16scan_by_key_implILNS1_25lookback_scan_determinismE0ELb0ES3_N6thrust23THRUST_200600_302600_NS6detail15normal_iteratorINS9_10device_ptrIiEEEESE_SE_iNS9_10multipliesIiEENS9_8equal_toIiEEiEE10hipError_tPvRmT2_T3_T4_T5_mT6_T7_P12ihipStream_tbENKUlT_T0_E_clISt17integral_constantIbLb1EESY_IbLb0EEEEDaSU_SV_EUlSU_E_NS1_11comp_targetILNS1_3genE2ELNS1_11target_archE906ELNS1_3gpuE6ELNS1_3repE0EEENS1_30default_config_static_selectorELNS0_4arch9wavefront6targetE0EEEvT1_
	.p2align	8
	.type	_ZN7rocprim17ROCPRIM_400000_NS6detail17trampoline_kernelINS0_14default_configENS1_27scan_by_key_config_selectorIiiEEZZNS1_16scan_by_key_implILNS1_25lookback_scan_determinismE0ELb0ES3_N6thrust23THRUST_200600_302600_NS6detail15normal_iteratorINS9_10device_ptrIiEEEESE_SE_iNS9_10multipliesIiEENS9_8equal_toIiEEiEE10hipError_tPvRmT2_T3_T4_T5_mT6_T7_P12ihipStream_tbENKUlT_T0_E_clISt17integral_constantIbLb1EESY_IbLb0EEEEDaSU_SV_EUlSU_E_NS1_11comp_targetILNS1_3genE2ELNS1_11target_archE906ELNS1_3gpuE6ELNS1_3repE0EEENS1_30default_config_static_selectorELNS0_4arch9wavefront6targetE0EEEvT1_,@function
_ZN7rocprim17ROCPRIM_400000_NS6detail17trampoline_kernelINS0_14default_configENS1_27scan_by_key_config_selectorIiiEEZZNS1_16scan_by_key_implILNS1_25lookback_scan_determinismE0ELb0ES3_N6thrust23THRUST_200600_302600_NS6detail15normal_iteratorINS9_10device_ptrIiEEEESE_SE_iNS9_10multipliesIiEENS9_8equal_toIiEEiEE10hipError_tPvRmT2_T3_T4_T5_mT6_T7_P12ihipStream_tbENKUlT_T0_E_clISt17integral_constantIbLb1EESY_IbLb0EEEEDaSU_SV_EUlSU_E_NS1_11comp_targetILNS1_3genE2ELNS1_11target_archE906ELNS1_3gpuE6ELNS1_3repE0EEENS1_30default_config_static_selectorELNS0_4arch9wavefront6targetE0EEEvT1_: ; @_ZN7rocprim17ROCPRIM_400000_NS6detail17trampoline_kernelINS0_14default_configENS1_27scan_by_key_config_selectorIiiEEZZNS1_16scan_by_key_implILNS1_25lookback_scan_determinismE0ELb0ES3_N6thrust23THRUST_200600_302600_NS6detail15normal_iteratorINS9_10device_ptrIiEEEESE_SE_iNS9_10multipliesIiEENS9_8equal_toIiEEiEE10hipError_tPvRmT2_T3_T4_T5_mT6_T7_P12ihipStream_tbENKUlT_T0_E_clISt17integral_constantIbLb1EESY_IbLb0EEEEDaSU_SV_EUlSU_E_NS1_11comp_targetILNS1_3genE2ELNS1_11target_archE906ELNS1_3gpuE6ELNS1_3repE0EEENS1_30default_config_static_selectorELNS0_4arch9wavefront6targetE0EEEvT1_
; %bb.0:
	.section	.rodata,"a",@progbits
	.p2align	6, 0x0
	.amdhsa_kernel _ZN7rocprim17ROCPRIM_400000_NS6detail17trampoline_kernelINS0_14default_configENS1_27scan_by_key_config_selectorIiiEEZZNS1_16scan_by_key_implILNS1_25lookback_scan_determinismE0ELb0ES3_N6thrust23THRUST_200600_302600_NS6detail15normal_iteratorINS9_10device_ptrIiEEEESE_SE_iNS9_10multipliesIiEENS9_8equal_toIiEEiEE10hipError_tPvRmT2_T3_T4_T5_mT6_T7_P12ihipStream_tbENKUlT_T0_E_clISt17integral_constantIbLb1EESY_IbLb0EEEEDaSU_SV_EUlSU_E_NS1_11comp_targetILNS1_3genE2ELNS1_11target_archE906ELNS1_3gpuE6ELNS1_3repE0EEENS1_30default_config_static_selectorELNS0_4arch9wavefront6targetE0EEEvT1_
		.amdhsa_group_segment_fixed_size 0
		.amdhsa_private_segment_fixed_size 0
		.amdhsa_kernarg_size 112
		.amdhsa_user_sgpr_count 6
		.amdhsa_user_sgpr_private_segment_buffer 1
		.amdhsa_user_sgpr_dispatch_ptr 0
		.amdhsa_user_sgpr_queue_ptr 0
		.amdhsa_user_sgpr_kernarg_segment_ptr 1
		.amdhsa_user_sgpr_dispatch_id 0
		.amdhsa_user_sgpr_flat_scratch_init 0
		.amdhsa_user_sgpr_private_segment_size 0
		.amdhsa_wavefront_size32 1
		.amdhsa_uses_dynamic_stack 0
		.amdhsa_system_sgpr_private_segment_wavefront_offset 0
		.amdhsa_system_sgpr_workgroup_id_x 1
		.amdhsa_system_sgpr_workgroup_id_y 0
		.amdhsa_system_sgpr_workgroup_id_z 0
		.amdhsa_system_sgpr_workgroup_info 0
		.amdhsa_system_vgpr_workitem_id 0
		.amdhsa_next_free_vgpr 1
		.amdhsa_next_free_sgpr 1
		.amdhsa_reserve_vcc 0
		.amdhsa_reserve_flat_scratch 0
		.amdhsa_float_round_mode_32 0
		.amdhsa_float_round_mode_16_64 0
		.amdhsa_float_denorm_mode_32 3
		.amdhsa_float_denorm_mode_16_64 3
		.amdhsa_dx10_clamp 1
		.amdhsa_ieee_mode 1
		.amdhsa_fp16_overflow 0
		.amdhsa_workgroup_processor_mode 1
		.amdhsa_memory_ordered 1
		.amdhsa_forward_progress 1
		.amdhsa_shared_vgpr_count 0
		.amdhsa_exception_fp_ieee_invalid_op 0
		.amdhsa_exception_fp_denorm_src 0
		.amdhsa_exception_fp_ieee_div_zero 0
		.amdhsa_exception_fp_ieee_overflow 0
		.amdhsa_exception_fp_ieee_underflow 0
		.amdhsa_exception_fp_ieee_inexact 0
		.amdhsa_exception_int_div_zero 0
	.end_amdhsa_kernel
	.section	.text._ZN7rocprim17ROCPRIM_400000_NS6detail17trampoline_kernelINS0_14default_configENS1_27scan_by_key_config_selectorIiiEEZZNS1_16scan_by_key_implILNS1_25lookback_scan_determinismE0ELb0ES3_N6thrust23THRUST_200600_302600_NS6detail15normal_iteratorINS9_10device_ptrIiEEEESE_SE_iNS9_10multipliesIiEENS9_8equal_toIiEEiEE10hipError_tPvRmT2_T3_T4_T5_mT6_T7_P12ihipStream_tbENKUlT_T0_E_clISt17integral_constantIbLb1EESY_IbLb0EEEEDaSU_SV_EUlSU_E_NS1_11comp_targetILNS1_3genE2ELNS1_11target_archE906ELNS1_3gpuE6ELNS1_3repE0EEENS1_30default_config_static_selectorELNS0_4arch9wavefront6targetE0EEEvT1_,"axG",@progbits,_ZN7rocprim17ROCPRIM_400000_NS6detail17trampoline_kernelINS0_14default_configENS1_27scan_by_key_config_selectorIiiEEZZNS1_16scan_by_key_implILNS1_25lookback_scan_determinismE0ELb0ES3_N6thrust23THRUST_200600_302600_NS6detail15normal_iteratorINS9_10device_ptrIiEEEESE_SE_iNS9_10multipliesIiEENS9_8equal_toIiEEiEE10hipError_tPvRmT2_T3_T4_T5_mT6_T7_P12ihipStream_tbENKUlT_T0_E_clISt17integral_constantIbLb1EESY_IbLb0EEEEDaSU_SV_EUlSU_E_NS1_11comp_targetILNS1_3genE2ELNS1_11target_archE906ELNS1_3gpuE6ELNS1_3repE0EEENS1_30default_config_static_selectorELNS0_4arch9wavefront6targetE0EEEvT1_,comdat
.Lfunc_end187:
	.size	_ZN7rocprim17ROCPRIM_400000_NS6detail17trampoline_kernelINS0_14default_configENS1_27scan_by_key_config_selectorIiiEEZZNS1_16scan_by_key_implILNS1_25lookback_scan_determinismE0ELb0ES3_N6thrust23THRUST_200600_302600_NS6detail15normal_iteratorINS9_10device_ptrIiEEEESE_SE_iNS9_10multipliesIiEENS9_8equal_toIiEEiEE10hipError_tPvRmT2_T3_T4_T5_mT6_T7_P12ihipStream_tbENKUlT_T0_E_clISt17integral_constantIbLb1EESY_IbLb0EEEEDaSU_SV_EUlSU_E_NS1_11comp_targetILNS1_3genE2ELNS1_11target_archE906ELNS1_3gpuE6ELNS1_3repE0EEENS1_30default_config_static_selectorELNS0_4arch9wavefront6targetE0EEEvT1_, .Lfunc_end187-_ZN7rocprim17ROCPRIM_400000_NS6detail17trampoline_kernelINS0_14default_configENS1_27scan_by_key_config_selectorIiiEEZZNS1_16scan_by_key_implILNS1_25lookback_scan_determinismE0ELb0ES3_N6thrust23THRUST_200600_302600_NS6detail15normal_iteratorINS9_10device_ptrIiEEEESE_SE_iNS9_10multipliesIiEENS9_8equal_toIiEEiEE10hipError_tPvRmT2_T3_T4_T5_mT6_T7_P12ihipStream_tbENKUlT_T0_E_clISt17integral_constantIbLb1EESY_IbLb0EEEEDaSU_SV_EUlSU_E_NS1_11comp_targetILNS1_3genE2ELNS1_11target_archE906ELNS1_3gpuE6ELNS1_3repE0EEENS1_30default_config_static_selectorELNS0_4arch9wavefront6targetE0EEEvT1_
                                        ; -- End function
	.set _ZN7rocprim17ROCPRIM_400000_NS6detail17trampoline_kernelINS0_14default_configENS1_27scan_by_key_config_selectorIiiEEZZNS1_16scan_by_key_implILNS1_25lookback_scan_determinismE0ELb0ES3_N6thrust23THRUST_200600_302600_NS6detail15normal_iteratorINS9_10device_ptrIiEEEESE_SE_iNS9_10multipliesIiEENS9_8equal_toIiEEiEE10hipError_tPvRmT2_T3_T4_T5_mT6_T7_P12ihipStream_tbENKUlT_T0_E_clISt17integral_constantIbLb1EESY_IbLb0EEEEDaSU_SV_EUlSU_E_NS1_11comp_targetILNS1_3genE2ELNS1_11target_archE906ELNS1_3gpuE6ELNS1_3repE0EEENS1_30default_config_static_selectorELNS0_4arch9wavefront6targetE0EEEvT1_.num_vgpr, 0
	.set _ZN7rocprim17ROCPRIM_400000_NS6detail17trampoline_kernelINS0_14default_configENS1_27scan_by_key_config_selectorIiiEEZZNS1_16scan_by_key_implILNS1_25lookback_scan_determinismE0ELb0ES3_N6thrust23THRUST_200600_302600_NS6detail15normal_iteratorINS9_10device_ptrIiEEEESE_SE_iNS9_10multipliesIiEENS9_8equal_toIiEEiEE10hipError_tPvRmT2_T3_T4_T5_mT6_T7_P12ihipStream_tbENKUlT_T0_E_clISt17integral_constantIbLb1EESY_IbLb0EEEEDaSU_SV_EUlSU_E_NS1_11comp_targetILNS1_3genE2ELNS1_11target_archE906ELNS1_3gpuE6ELNS1_3repE0EEENS1_30default_config_static_selectorELNS0_4arch9wavefront6targetE0EEEvT1_.num_agpr, 0
	.set _ZN7rocprim17ROCPRIM_400000_NS6detail17trampoline_kernelINS0_14default_configENS1_27scan_by_key_config_selectorIiiEEZZNS1_16scan_by_key_implILNS1_25lookback_scan_determinismE0ELb0ES3_N6thrust23THRUST_200600_302600_NS6detail15normal_iteratorINS9_10device_ptrIiEEEESE_SE_iNS9_10multipliesIiEENS9_8equal_toIiEEiEE10hipError_tPvRmT2_T3_T4_T5_mT6_T7_P12ihipStream_tbENKUlT_T0_E_clISt17integral_constantIbLb1EESY_IbLb0EEEEDaSU_SV_EUlSU_E_NS1_11comp_targetILNS1_3genE2ELNS1_11target_archE906ELNS1_3gpuE6ELNS1_3repE0EEENS1_30default_config_static_selectorELNS0_4arch9wavefront6targetE0EEEvT1_.numbered_sgpr, 0
	.set _ZN7rocprim17ROCPRIM_400000_NS6detail17trampoline_kernelINS0_14default_configENS1_27scan_by_key_config_selectorIiiEEZZNS1_16scan_by_key_implILNS1_25lookback_scan_determinismE0ELb0ES3_N6thrust23THRUST_200600_302600_NS6detail15normal_iteratorINS9_10device_ptrIiEEEESE_SE_iNS9_10multipliesIiEENS9_8equal_toIiEEiEE10hipError_tPvRmT2_T3_T4_T5_mT6_T7_P12ihipStream_tbENKUlT_T0_E_clISt17integral_constantIbLb1EESY_IbLb0EEEEDaSU_SV_EUlSU_E_NS1_11comp_targetILNS1_3genE2ELNS1_11target_archE906ELNS1_3gpuE6ELNS1_3repE0EEENS1_30default_config_static_selectorELNS0_4arch9wavefront6targetE0EEEvT1_.num_named_barrier, 0
	.set _ZN7rocprim17ROCPRIM_400000_NS6detail17trampoline_kernelINS0_14default_configENS1_27scan_by_key_config_selectorIiiEEZZNS1_16scan_by_key_implILNS1_25lookback_scan_determinismE0ELb0ES3_N6thrust23THRUST_200600_302600_NS6detail15normal_iteratorINS9_10device_ptrIiEEEESE_SE_iNS9_10multipliesIiEENS9_8equal_toIiEEiEE10hipError_tPvRmT2_T3_T4_T5_mT6_T7_P12ihipStream_tbENKUlT_T0_E_clISt17integral_constantIbLb1EESY_IbLb0EEEEDaSU_SV_EUlSU_E_NS1_11comp_targetILNS1_3genE2ELNS1_11target_archE906ELNS1_3gpuE6ELNS1_3repE0EEENS1_30default_config_static_selectorELNS0_4arch9wavefront6targetE0EEEvT1_.private_seg_size, 0
	.set _ZN7rocprim17ROCPRIM_400000_NS6detail17trampoline_kernelINS0_14default_configENS1_27scan_by_key_config_selectorIiiEEZZNS1_16scan_by_key_implILNS1_25lookback_scan_determinismE0ELb0ES3_N6thrust23THRUST_200600_302600_NS6detail15normal_iteratorINS9_10device_ptrIiEEEESE_SE_iNS9_10multipliesIiEENS9_8equal_toIiEEiEE10hipError_tPvRmT2_T3_T4_T5_mT6_T7_P12ihipStream_tbENKUlT_T0_E_clISt17integral_constantIbLb1EESY_IbLb0EEEEDaSU_SV_EUlSU_E_NS1_11comp_targetILNS1_3genE2ELNS1_11target_archE906ELNS1_3gpuE6ELNS1_3repE0EEENS1_30default_config_static_selectorELNS0_4arch9wavefront6targetE0EEEvT1_.uses_vcc, 0
	.set _ZN7rocprim17ROCPRIM_400000_NS6detail17trampoline_kernelINS0_14default_configENS1_27scan_by_key_config_selectorIiiEEZZNS1_16scan_by_key_implILNS1_25lookback_scan_determinismE0ELb0ES3_N6thrust23THRUST_200600_302600_NS6detail15normal_iteratorINS9_10device_ptrIiEEEESE_SE_iNS9_10multipliesIiEENS9_8equal_toIiEEiEE10hipError_tPvRmT2_T3_T4_T5_mT6_T7_P12ihipStream_tbENKUlT_T0_E_clISt17integral_constantIbLb1EESY_IbLb0EEEEDaSU_SV_EUlSU_E_NS1_11comp_targetILNS1_3genE2ELNS1_11target_archE906ELNS1_3gpuE6ELNS1_3repE0EEENS1_30default_config_static_selectorELNS0_4arch9wavefront6targetE0EEEvT1_.uses_flat_scratch, 0
	.set _ZN7rocprim17ROCPRIM_400000_NS6detail17trampoline_kernelINS0_14default_configENS1_27scan_by_key_config_selectorIiiEEZZNS1_16scan_by_key_implILNS1_25lookback_scan_determinismE0ELb0ES3_N6thrust23THRUST_200600_302600_NS6detail15normal_iteratorINS9_10device_ptrIiEEEESE_SE_iNS9_10multipliesIiEENS9_8equal_toIiEEiEE10hipError_tPvRmT2_T3_T4_T5_mT6_T7_P12ihipStream_tbENKUlT_T0_E_clISt17integral_constantIbLb1EESY_IbLb0EEEEDaSU_SV_EUlSU_E_NS1_11comp_targetILNS1_3genE2ELNS1_11target_archE906ELNS1_3gpuE6ELNS1_3repE0EEENS1_30default_config_static_selectorELNS0_4arch9wavefront6targetE0EEEvT1_.has_dyn_sized_stack, 0
	.set _ZN7rocprim17ROCPRIM_400000_NS6detail17trampoline_kernelINS0_14default_configENS1_27scan_by_key_config_selectorIiiEEZZNS1_16scan_by_key_implILNS1_25lookback_scan_determinismE0ELb0ES3_N6thrust23THRUST_200600_302600_NS6detail15normal_iteratorINS9_10device_ptrIiEEEESE_SE_iNS9_10multipliesIiEENS9_8equal_toIiEEiEE10hipError_tPvRmT2_T3_T4_T5_mT6_T7_P12ihipStream_tbENKUlT_T0_E_clISt17integral_constantIbLb1EESY_IbLb0EEEEDaSU_SV_EUlSU_E_NS1_11comp_targetILNS1_3genE2ELNS1_11target_archE906ELNS1_3gpuE6ELNS1_3repE0EEENS1_30default_config_static_selectorELNS0_4arch9wavefront6targetE0EEEvT1_.has_recursion, 0
	.set _ZN7rocprim17ROCPRIM_400000_NS6detail17trampoline_kernelINS0_14default_configENS1_27scan_by_key_config_selectorIiiEEZZNS1_16scan_by_key_implILNS1_25lookback_scan_determinismE0ELb0ES3_N6thrust23THRUST_200600_302600_NS6detail15normal_iteratorINS9_10device_ptrIiEEEESE_SE_iNS9_10multipliesIiEENS9_8equal_toIiEEiEE10hipError_tPvRmT2_T3_T4_T5_mT6_T7_P12ihipStream_tbENKUlT_T0_E_clISt17integral_constantIbLb1EESY_IbLb0EEEEDaSU_SV_EUlSU_E_NS1_11comp_targetILNS1_3genE2ELNS1_11target_archE906ELNS1_3gpuE6ELNS1_3repE0EEENS1_30default_config_static_selectorELNS0_4arch9wavefront6targetE0EEEvT1_.has_indirect_call, 0
	.section	.AMDGPU.csdata,"",@progbits
; Kernel info:
; codeLenInByte = 0
; TotalNumSgprs: 0
; NumVgprs: 0
; ScratchSize: 0
; MemoryBound: 0
; FloatMode: 240
; IeeeMode: 1
; LDSByteSize: 0 bytes/workgroup (compile time only)
; SGPRBlocks: 0
; VGPRBlocks: 0
; NumSGPRsForWavesPerEU: 1
; NumVGPRsForWavesPerEU: 1
; Occupancy: 16
; WaveLimiterHint : 0
; COMPUTE_PGM_RSRC2:SCRATCH_EN: 0
; COMPUTE_PGM_RSRC2:USER_SGPR: 6
; COMPUTE_PGM_RSRC2:TRAP_HANDLER: 0
; COMPUTE_PGM_RSRC2:TGID_X_EN: 1
; COMPUTE_PGM_RSRC2:TGID_Y_EN: 0
; COMPUTE_PGM_RSRC2:TGID_Z_EN: 0
; COMPUTE_PGM_RSRC2:TIDIG_COMP_CNT: 0
	.section	.text._ZN7rocprim17ROCPRIM_400000_NS6detail17trampoline_kernelINS0_14default_configENS1_27scan_by_key_config_selectorIiiEEZZNS1_16scan_by_key_implILNS1_25lookback_scan_determinismE0ELb0ES3_N6thrust23THRUST_200600_302600_NS6detail15normal_iteratorINS9_10device_ptrIiEEEESE_SE_iNS9_10multipliesIiEENS9_8equal_toIiEEiEE10hipError_tPvRmT2_T3_T4_T5_mT6_T7_P12ihipStream_tbENKUlT_T0_E_clISt17integral_constantIbLb1EESY_IbLb0EEEEDaSU_SV_EUlSU_E_NS1_11comp_targetILNS1_3genE10ELNS1_11target_archE1200ELNS1_3gpuE4ELNS1_3repE0EEENS1_30default_config_static_selectorELNS0_4arch9wavefront6targetE0EEEvT1_,"axG",@progbits,_ZN7rocprim17ROCPRIM_400000_NS6detail17trampoline_kernelINS0_14default_configENS1_27scan_by_key_config_selectorIiiEEZZNS1_16scan_by_key_implILNS1_25lookback_scan_determinismE0ELb0ES3_N6thrust23THRUST_200600_302600_NS6detail15normal_iteratorINS9_10device_ptrIiEEEESE_SE_iNS9_10multipliesIiEENS9_8equal_toIiEEiEE10hipError_tPvRmT2_T3_T4_T5_mT6_T7_P12ihipStream_tbENKUlT_T0_E_clISt17integral_constantIbLb1EESY_IbLb0EEEEDaSU_SV_EUlSU_E_NS1_11comp_targetILNS1_3genE10ELNS1_11target_archE1200ELNS1_3gpuE4ELNS1_3repE0EEENS1_30default_config_static_selectorELNS0_4arch9wavefront6targetE0EEEvT1_,comdat
	.protected	_ZN7rocprim17ROCPRIM_400000_NS6detail17trampoline_kernelINS0_14default_configENS1_27scan_by_key_config_selectorIiiEEZZNS1_16scan_by_key_implILNS1_25lookback_scan_determinismE0ELb0ES3_N6thrust23THRUST_200600_302600_NS6detail15normal_iteratorINS9_10device_ptrIiEEEESE_SE_iNS9_10multipliesIiEENS9_8equal_toIiEEiEE10hipError_tPvRmT2_T3_T4_T5_mT6_T7_P12ihipStream_tbENKUlT_T0_E_clISt17integral_constantIbLb1EESY_IbLb0EEEEDaSU_SV_EUlSU_E_NS1_11comp_targetILNS1_3genE10ELNS1_11target_archE1200ELNS1_3gpuE4ELNS1_3repE0EEENS1_30default_config_static_selectorELNS0_4arch9wavefront6targetE0EEEvT1_ ; -- Begin function _ZN7rocprim17ROCPRIM_400000_NS6detail17trampoline_kernelINS0_14default_configENS1_27scan_by_key_config_selectorIiiEEZZNS1_16scan_by_key_implILNS1_25lookback_scan_determinismE0ELb0ES3_N6thrust23THRUST_200600_302600_NS6detail15normal_iteratorINS9_10device_ptrIiEEEESE_SE_iNS9_10multipliesIiEENS9_8equal_toIiEEiEE10hipError_tPvRmT2_T3_T4_T5_mT6_T7_P12ihipStream_tbENKUlT_T0_E_clISt17integral_constantIbLb1EESY_IbLb0EEEEDaSU_SV_EUlSU_E_NS1_11comp_targetILNS1_3genE10ELNS1_11target_archE1200ELNS1_3gpuE4ELNS1_3repE0EEENS1_30default_config_static_selectorELNS0_4arch9wavefront6targetE0EEEvT1_
	.globl	_ZN7rocprim17ROCPRIM_400000_NS6detail17trampoline_kernelINS0_14default_configENS1_27scan_by_key_config_selectorIiiEEZZNS1_16scan_by_key_implILNS1_25lookback_scan_determinismE0ELb0ES3_N6thrust23THRUST_200600_302600_NS6detail15normal_iteratorINS9_10device_ptrIiEEEESE_SE_iNS9_10multipliesIiEENS9_8equal_toIiEEiEE10hipError_tPvRmT2_T3_T4_T5_mT6_T7_P12ihipStream_tbENKUlT_T0_E_clISt17integral_constantIbLb1EESY_IbLb0EEEEDaSU_SV_EUlSU_E_NS1_11comp_targetILNS1_3genE10ELNS1_11target_archE1200ELNS1_3gpuE4ELNS1_3repE0EEENS1_30default_config_static_selectorELNS0_4arch9wavefront6targetE0EEEvT1_
	.p2align	8
	.type	_ZN7rocprim17ROCPRIM_400000_NS6detail17trampoline_kernelINS0_14default_configENS1_27scan_by_key_config_selectorIiiEEZZNS1_16scan_by_key_implILNS1_25lookback_scan_determinismE0ELb0ES3_N6thrust23THRUST_200600_302600_NS6detail15normal_iteratorINS9_10device_ptrIiEEEESE_SE_iNS9_10multipliesIiEENS9_8equal_toIiEEiEE10hipError_tPvRmT2_T3_T4_T5_mT6_T7_P12ihipStream_tbENKUlT_T0_E_clISt17integral_constantIbLb1EESY_IbLb0EEEEDaSU_SV_EUlSU_E_NS1_11comp_targetILNS1_3genE10ELNS1_11target_archE1200ELNS1_3gpuE4ELNS1_3repE0EEENS1_30default_config_static_selectorELNS0_4arch9wavefront6targetE0EEEvT1_,@function
_ZN7rocprim17ROCPRIM_400000_NS6detail17trampoline_kernelINS0_14default_configENS1_27scan_by_key_config_selectorIiiEEZZNS1_16scan_by_key_implILNS1_25lookback_scan_determinismE0ELb0ES3_N6thrust23THRUST_200600_302600_NS6detail15normal_iteratorINS9_10device_ptrIiEEEESE_SE_iNS9_10multipliesIiEENS9_8equal_toIiEEiEE10hipError_tPvRmT2_T3_T4_T5_mT6_T7_P12ihipStream_tbENKUlT_T0_E_clISt17integral_constantIbLb1EESY_IbLb0EEEEDaSU_SV_EUlSU_E_NS1_11comp_targetILNS1_3genE10ELNS1_11target_archE1200ELNS1_3gpuE4ELNS1_3repE0EEENS1_30default_config_static_selectorELNS0_4arch9wavefront6targetE0EEEvT1_: ; @_ZN7rocprim17ROCPRIM_400000_NS6detail17trampoline_kernelINS0_14default_configENS1_27scan_by_key_config_selectorIiiEEZZNS1_16scan_by_key_implILNS1_25lookback_scan_determinismE0ELb0ES3_N6thrust23THRUST_200600_302600_NS6detail15normal_iteratorINS9_10device_ptrIiEEEESE_SE_iNS9_10multipliesIiEENS9_8equal_toIiEEiEE10hipError_tPvRmT2_T3_T4_T5_mT6_T7_P12ihipStream_tbENKUlT_T0_E_clISt17integral_constantIbLb1EESY_IbLb0EEEEDaSU_SV_EUlSU_E_NS1_11comp_targetILNS1_3genE10ELNS1_11target_archE1200ELNS1_3gpuE4ELNS1_3repE0EEENS1_30default_config_static_selectorELNS0_4arch9wavefront6targetE0EEEvT1_
; %bb.0:
	.section	.rodata,"a",@progbits
	.p2align	6, 0x0
	.amdhsa_kernel _ZN7rocprim17ROCPRIM_400000_NS6detail17trampoline_kernelINS0_14default_configENS1_27scan_by_key_config_selectorIiiEEZZNS1_16scan_by_key_implILNS1_25lookback_scan_determinismE0ELb0ES3_N6thrust23THRUST_200600_302600_NS6detail15normal_iteratorINS9_10device_ptrIiEEEESE_SE_iNS9_10multipliesIiEENS9_8equal_toIiEEiEE10hipError_tPvRmT2_T3_T4_T5_mT6_T7_P12ihipStream_tbENKUlT_T0_E_clISt17integral_constantIbLb1EESY_IbLb0EEEEDaSU_SV_EUlSU_E_NS1_11comp_targetILNS1_3genE10ELNS1_11target_archE1200ELNS1_3gpuE4ELNS1_3repE0EEENS1_30default_config_static_selectorELNS0_4arch9wavefront6targetE0EEEvT1_
		.amdhsa_group_segment_fixed_size 0
		.amdhsa_private_segment_fixed_size 0
		.amdhsa_kernarg_size 112
		.amdhsa_user_sgpr_count 6
		.amdhsa_user_sgpr_private_segment_buffer 1
		.amdhsa_user_sgpr_dispatch_ptr 0
		.amdhsa_user_sgpr_queue_ptr 0
		.amdhsa_user_sgpr_kernarg_segment_ptr 1
		.amdhsa_user_sgpr_dispatch_id 0
		.amdhsa_user_sgpr_flat_scratch_init 0
		.amdhsa_user_sgpr_private_segment_size 0
		.amdhsa_wavefront_size32 1
		.amdhsa_uses_dynamic_stack 0
		.amdhsa_system_sgpr_private_segment_wavefront_offset 0
		.amdhsa_system_sgpr_workgroup_id_x 1
		.amdhsa_system_sgpr_workgroup_id_y 0
		.amdhsa_system_sgpr_workgroup_id_z 0
		.amdhsa_system_sgpr_workgroup_info 0
		.amdhsa_system_vgpr_workitem_id 0
		.amdhsa_next_free_vgpr 1
		.amdhsa_next_free_sgpr 1
		.amdhsa_reserve_vcc 0
		.amdhsa_reserve_flat_scratch 0
		.amdhsa_float_round_mode_32 0
		.amdhsa_float_round_mode_16_64 0
		.amdhsa_float_denorm_mode_32 3
		.amdhsa_float_denorm_mode_16_64 3
		.amdhsa_dx10_clamp 1
		.amdhsa_ieee_mode 1
		.amdhsa_fp16_overflow 0
		.amdhsa_workgroup_processor_mode 1
		.amdhsa_memory_ordered 1
		.amdhsa_forward_progress 1
		.amdhsa_shared_vgpr_count 0
		.amdhsa_exception_fp_ieee_invalid_op 0
		.amdhsa_exception_fp_denorm_src 0
		.amdhsa_exception_fp_ieee_div_zero 0
		.amdhsa_exception_fp_ieee_overflow 0
		.amdhsa_exception_fp_ieee_underflow 0
		.amdhsa_exception_fp_ieee_inexact 0
		.amdhsa_exception_int_div_zero 0
	.end_amdhsa_kernel
	.section	.text._ZN7rocprim17ROCPRIM_400000_NS6detail17trampoline_kernelINS0_14default_configENS1_27scan_by_key_config_selectorIiiEEZZNS1_16scan_by_key_implILNS1_25lookback_scan_determinismE0ELb0ES3_N6thrust23THRUST_200600_302600_NS6detail15normal_iteratorINS9_10device_ptrIiEEEESE_SE_iNS9_10multipliesIiEENS9_8equal_toIiEEiEE10hipError_tPvRmT2_T3_T4_T5_mT6_T7_P12ihipStream_tbENKUlT_T0_E_clISt17integral_constantIbLb1EESY_IbLb0EEEEDaSU_SV_EUlSU_E_NS1_11comp_targetILNS1_3genE10ELNS1_11target_archE1200ELNS1_3gpuE4ELNS1_3repE0EEENS1_30default_config_static_selectorELNS0_4arch9wavefront6targetE0EEEvT1_,"axG",@progbits,_ZN7rocprim17ROCPRIM_400000_NS6detail17trampoline_kernelINS0_14default_configENS1_27scan_by_key_config_selectorIiiEEZZNS1_16scan_by_key_implILNS1_25lookback_scan_determinismE0ELb0ES3_N6thrust23THRUST_200600_302600_NS6detail15normal_iteratorINS9_10device_ptrIiEEEESE_SE_iNS9_10multipliesIiEENS9_8equal_toIiEEiEE10hipError_tPvRmT2_T3_T4_T5_mT6_T7_P12ihipStream_tbENKUlT_T0_E_clISt17integral_constantIbLb1EESY_IbLb0EEEEDaSU_SV_EUlSU_E_NS1_11comp_targetILNS1_3genE10ELNS1_11target_archE1200ELNS1_3gpuE4ELNS1_3repE0EEENS1_30default_config_static_selectorELNS0_4arch9wavefront6targetE0EEEvT1_,comdat
.Lfunc_end188:
	.size	_ZN7rocprim17ROCPRIM_400000_NS6detail17trampoline_kernelINS0_14default_configENS1_27scan_by_key_config_selectorIiiEEZZNS1_16scan_by_key_implILNS1_25lookback_scan_determinismE0ELb0ES3_N6thrust23THRUST_200600_302600_NS6detail15normal_iteratorINS9_10device_ptrIiEEEESE_SE_iNS9_10multipliesIiEENS9_8equal_toIiEEiEE10hipError_tPvRmT2_T3_T4_T5_mT6_T7_P12ihipStream_tbENKUlT_T0_E_clISt17integral_constantIbLb1EESY_IbLb0EEEEDaSU_SV_EUlSU_E_NS1_11comp_targetILNS1_3genE10ELNS1_11target_archE1200ELNS1_3gpuE4ELNS1_3repE0EEENS1_30default_config_static_selectorELNS0_4arch9wavefront6targetE0EEEvT1_, .Lfunc_end188-_ZN7rocprim17ROCPRIM_400000_NS6detail17trampoline_kernelINS0_14default_configENS1_27scan_by_key_config_selectorIiiEEZZNS1_16scan_by_key_implILNS1_25lookback_scan_determinismE0ELb0ES3_N6thrust23THRUST_200600_302600_NS6detail15normal_iteratorINS9_10device_ptrIiEEEESE_SE_iNS9_10multipliesIiEENS9_8equal_toIiEEiEE10hipError_tPvRmT2_T3_T4_T5_mT6_T7_P12ihipStream_tbENKUlT_T0_E_clISt17integral_constantIbLb1EESY_IbLb0EEEEDaSU_SV_EUlSU_E_NS1_11comp_targetILNS1_3genE10ELNS1_11target_archE1200ELNS1_3gpuE4ELNS1_3repE0EEENS1_30default_config_static_selectorELNS0_4arch9wavefront6targetE0EEEvT1_
                                        ; -- End function
	.set _ZN7rocprim17ROCPRIM_400000_NS6detail17trampoline_kernelINS0_14default_configENS1_27scan_by_key_config_selectorIiiEEZZNS1_16scan_by_key_implILNS1_25lookback_scan_determinismE0ELb0ES3_N6thrust23THRUST_200600_302600_NS6detail15normal_iteratorINS9_10device_ptrIiEEEESE_SE_iNS9_10multipliesIiEENS9_8equal_toIiEEiEE10hipError_tPvRmT2_T3_T4_T5_mT6_T7_P12ihipStream_tbENKUlT_T0_E_clISt17integral_constantIbLb1EESY_IbLb0EEEEDaSU_SV_EUlSU_E_NS1_11comp_targetILNS1_3genE10ELNS1_11target_archE1200ELNS1_3gpuE4ELNS1_3repE0EEENS1_30default_config_static_selectorELNS0_4arch9wavefront6targetE0EEEvT1_.num_vgpr, 0
	.set _ZN7rocprim17ROCPRIM_400000_NS6detail17trampoline_kernelINS0_14default_configENS1_27scan_by_key_config_selectorIiiEEZZNS1_16scan_by_key_implILNS1_25lookback_scan_determinismE0ELb0ES3_N6thrust23THRUST_200600_302600_NS6detail15normal_iteratorINS9_10device_ptrIiEEEESE_SE_iNS9_10multipliesIiEENS9_8equal_toIiEEiEE10hipError_tPvRmT2_T3_T4_T5_mT6_T7_P12ihipStream_tbENKUlT_T0_E_clISt17integral_constantIbLb1EESY_IbLb0EEEEDaSU_SV_EUlSU_E_NS1_11comp_targetILNS1_3genE10ELNS1_11target_archE1200ELNS1_3gpuE4ELNS1_3repE0EEENS1_30default_config_static_selectorELNS0_4arch9wavefront6targetE0EEEvT1_.num_agpr, 0
	.set _ZN7rocprim17ROCPRIM_400000_NS6detail17trampoline_kernelINS0_14default_configENS1_27scan_by_key_config_selectorIiiEEZZNS1_16scan_by_key_implILNS1_25lookback_scan_determinismE0ELb0ES3_N6thrust23THRUST_200600_302600_NS6detail15normal_iteratorINS9_10device_ptrIiEEEESE_SE_iNS9_10multipliesIiEENS9_8equal_toIiEEiEE10hipError_tPvRmT2_T3_T4_T5_mT6_T7_P12ihipStream_tbENKUlT_T0_E_clISt17integral_constantIbLb1EESY_IbLb0EEEEDaSU_SV_EUlSU_E_NS1_11comp_targetILNS1_3genE10ELNS1_11target_archE1200ELNS1_3gpuE4ELNS1_3repE0EEENS1_30default_config_static_selectorELNS0_4arch9wavefront6targetE0EEEvT1_.numbered_sgpr, 0
	.set _ZN7rocprim17ROCPRIM_400000_NS6detail17trampoline_kernelINS0_14default_configENS1_27scan_by_key_config_selectorIiiEEZZNS1_16scan_by_key_implILNS1_25lookback_scan_determinismE0ELb0ES3_N6thrust23THRUST_200600_302600_NS6detail15normal_iteratorINS9_10device_ptrIiEEEESE_SE_iNS9_10multipliesIiEENS9_8equal_toIiEEiEE10hipError_tPvRmT2_T3_T4_T5_mT6_T7_P12ihipStream_tbENKUlT_T0_E_clISt17integral_constantIbLb1EESY_IbLb0EEEEDaSU_SV_EUlSU_E_NS1_11comp_targetILNS1_3genE10ELNS1_11target_archE1200ELNS1_3gpuE4ELNS1_3repE0EEENS1_30default_config_static_selectorELNS0_4arch9wavefront6targetE0EEEvT1_.num_named_barrier, 0
	.set _ZN7rocprim17ROCPRIM_400000_NS6detail17trampoline_kernelINS0_14default_configENS1_27scan_by_key_config_selectorIiiEEZZNS1_16scan_by_key_implILNS1_25lookback_scan_determinismE0ELb0ES3_N6thrust23THRUST_200600_302600_NS6detail15normal_iteratorINS9_10device_ptrIiEEEESE_SE_iNS9_10multipliesIiEENS9_8equal_toIiEEiEE10hipError_tPvRmT2_T3_T4_T5_mT6_T7_P12ihipStream_tbENKUlT_T0_E_clISt17integral_constantIbLb1EESY_IbLb0EEEEDaSU_SV_EUlSU_E_NS1_11comp_targetILNS1_3genE10ELNS1_11target_archE1200ELNS1_3gpuE4ELNS1_3repE0EEENS1_30default_config_static_selectorELNS0_4arch9wavefront6targetE0EEEvT1_.private_seg_size, 0
	.set _ZN7rocprim17ROCPRIM_400000_NS6detail17trampoline_kernelINS0_14default_configENS1_27scan_by_key_config_selectorIiiEEZZNS1_16scan_by_key_implILNS1_25lookback_scan_determinismE0ELb0ES3_N6thrust23THRUST_200600_302600_NS6detail15normal_iteratorINS9_10device_ptrIiEEEESE_SE_iNS9_10multipliesIiEENS9_8equal_toIiEEiEE10hipError_tPvRmT2_T3_T4_T5_mT6_T7_P12ihipStream_tbENKUlT_T0_E_clISt17integral_constantIbLb1EESY_IbLb0EEEEDaSU_SV_EUlSU_E_NS1_11comp_targetILNS1_3genE10ELNS1_11target_archE1200ELNS1_3gpuE4ELNS1_3repE0EEENS1_30default_config_static_selectorELNS0_4arch9wavefront6targetE0EEEvT1_.uses_vcc, 0
	.set _ZN7rocprim17ROCPRIM_400000_NS6detail17trampoline_kernelINS0_14default_configENS1_27scan_by_key_config_selectorIiiEEZZNS1_16scan_by_key_implILNS1_25lookback_scan_determinismE0ELb0ES3_N6thrust23THRUST_200600_302600_NS6detail15normal_iteratorINS9_10device_ptrIiEEEESE_SE_iNS9_10multipliesIiEENS9_8equal_toIiEEiEE10hipError_tPvRmT2_T3_T4_T5_mT6_T7_P12ihipStream_tbENKUlT_T0_E_clISt17integral_constantIbLb1EESY_IbLb0EEEEDaSU_SV_EUlSU_E_NS1_11comp_targetILNS1_3genE10ELNS1_11target_archE1200ELNS1_3gpuE4ELNS1_3repE0EEENS1_30default_config_static_selectorELNS0_4arch9wavefront6targetE0EEEvT1_.uses_flat_scratch, 0
	.set _ZN7rocprim17ROCPRIM_400000_NS6detail17trampoline_kernelINS0_14default_configENS1_27scan_by_key_config_selectorIiiEEZZNS1_16scan_by_key_implILNS1_25lookback_scan_determinismE0ELb0ES3_N6thrust23THRUST_200600_302600_NS6detail15normal_iteratorINS9_10device_ptrIiEEEESE_SE_iNS9_10multipliesIiEENS9_8equal_toIiEEiEE10hipError_tPvRmT2_T3_T4_T5_mT6_T7_P12ihipStream_tbENKUlT_T0_E_clISt17integral_constantIbLb1EESY_IbLb0EEEEDaSU_SV_EUlSU_E_NS1_11comp_targetILNS1_3genE10ELNS1_11target_archE1200ELNS1_3gpuE4ELNS1_3repE0EEENS1_30default_config_static_selectorELNS0_4arch9wavefront6targetE0EEEvT1_.has_dyn_sized_stack, 0
	.set _ZN7rocprim17ROCPRIM_400000_NS6detail17trampoline_kernelINS0_14default_configENS1_27scan_by_key_config_selectorIiiEEZZNS1_16scan_by_key_implILNS1_25lookback_scan_determinismE0ELb0ES3_N6thrust23THRUST_200600_302600_NS6detail15normal_iteratorINS9_10device_ptrIiEEEESE_SE_iNS9_10multipliesIiEENS9_8equal_toIiEEiEE10hipError_tPvRmT2_T3_T4_T5_mT6_T7_P12ihipStream_tbENKUlT_T0_E_clISt17integral_constantIbLb1EESY_IbLb0EEEEDaSU_SV_EUlSU_E_NS1_11comp_targetILNS1_3genE10ELNS1_11target_archE1200ELNS1_3gpuE4ELNS1_3repE0EEENS1_30default_config_static_selectorELNS0_4arch9wavefront6targetE0EEEvT1_.has_recursion, 0
	.set _ZN7rocprim17ROCPRIM_400000_NS6detail17trampoline_kernelINS0_14default_configENS1_27scan_by_key_config_selectorIiiEEZZNS1_16scan_by_key_implILNS1_25lookback_scan_determinismE0ELb0ES3_N6thrust23THRUST_200600_302600_NS6detail15normal_iteratorINS9_10device_ptrIiEEEESE_SE_iNS9_10multipliesIiEENS9_8equal_toIiEEiEE10hipError_tPvRmT2_T3_T4_T5_mT6_T7_P12ihipStream_tbENKUlT_T0_E_clISt17integral_constantIbLb1EESY_IbLb0EEEEDaSU_SV_EUlSU_E_NS1_11comp_targetILNS1_3genE10ELNS1_11target_archE1200ELNS1_3gpuE4ELNS1_3repE0EEENS1_30default_config_static_selectorELNS0_4arch9wavefront6targetE0EEEvT1_.has_indirect_call, 0
	.section	.AMDGPU.csdata,"",@progbits
; Kernel info:
; codeLenInByte = 0
; TotalNumSgprs: 0
; NumVgprs: 0
; ScratchSize: 0
; MemoryBound: 0
; FloatMode: 240
; IeeeMode: 1
; LDSByteSize: 0 bytes/workgroup (compile time only)
; SGPRBlocks: 0
; VGPRBlocks: 0
; NumSGPRsForWavesPerEU: 1
; NumVGPRsForWavesPerEU: 1
; Occupancy: 16
; WaveLimiterHint : 0
; COMPUTE_PGM_RSRC2:SCRATCH_EN: 0
; COMPUTE_PGM_RSRC2:USER_SGPR: 6
; COMPUTE_PGM_RSRC2:TRAP_HANDLER: 0
; COMPUTE_PGM_RSRC2:TGID_X_EN: 1
; COMPUTE_PGM_RSRC2:TGID_Y_EN: 0
; COMPUTE_PGM_RSRC2:TGID_Z_EN: 0
; COMPUTE_PGM_RSRC2:TIDIG_COMP_CNT: 0
	.section	.text._ZN7rocprim17ROCPRIM_400000_NS6detail17trampoline_kernelINS0_14default_configENS1_27scan_by_key_config_selectorIiiEEZZNS1_16scan_by_key_implILNS1_25lookback_scan_determinismE0ELb0ES3_N6thrust23THRUST_200600_302600_NS6detail15normal_iteratorINS9_10device_ptrIiEEEESE_SE_iNS9_10multipliesIiEENS9_8equal_toIiEEiEE10hipError_tPvRmT2_T3_T4_T5_mT6_T7_P12ihipStream_tbENKUlT_T0_E_clISt17integral_constantIbLb1EESY_IbLb0EEEEDaSU_SV_EUlSU_E_NS1_11comp_targetILNS1_3genE9ELNS1_11target_archE1100ELNS1_3gpuE3ELNS1_3repE0EEENS1_30default_config_static_selectorELNS0_4arch9wavefront6targetE0EEEvT1_,"axG",@progbits,_ZN7rocprim17ROCPRIM_400000_NS6detail17trampoline_kernelINS0_14default_configENS1_27scan_by_key_config_selectorIiiEEZZNS1_16scan_by_key_implILNS1_25lookback_scan_determinismE0ELb0ES3_N6thrust23THRUST_200600_302600_NS6detail15normal_iteratorINS9_10device_ptrIiEEEESE_SE_iNS9_10multipliesIiEENS9_8equal_toIiEEiEE10hipError_tPvRmT2_T3_T4_T5_mT6_T7_P12ihipStream_tbENKUlT_T0_E_clISt17integral_constantIbLb1EESY_IbLb0EEEEDaSU_SV_EUlSU_E_NS1_11comp_targetILNS1_3genE9ELNS1_11target_archE1100ELNS1_3gpuE3ELNS1_3repE0EEENS1_30default_config_static_selectorELNS0_4arch9wavefront6targetE0EEEvT1_,comdat
	.protected	_ZN7rocprim17ROCPRIM_400000_NS6detail17trampoline_kernelINS0_14default_configENS1_27scan_by_key_config_selectorIiiEEZZNS1_16scan_by_key_implILNS1_25lookback_scan_determinismE0ELb0ES3_N6thrust23THRUST_200600_302600_NS6detail15normal_iteratorINS9_10device_ptrIiEEEESE_SE_iNS9_10multipliesIiEENS9_8equal_toIiEEiEE10hipError_tPvRmT2_T3_T4_T5_mT6_T7_P12ihipStream_tbENKUlT_T0_E_clISt17integral_constantIbLb1EESY_IbLb0EEEEDaSU_SV_EUlSU_E_NS1_11comp_targetILNS1_3genE9ELNS1_11target_archE1100ELNS1_3gpuE3ELNS1_3repE0EEENS1_30default_config_static_selectorELNS0_4arch9wavefront6targetE0EEEvT1_ ; -- Begin function _ZN7rocprim17ROCPRIM_400000_NS6detail17trampoline_kernelINS0_14default_configENS1_27scan_by_key_config_selectorIiiEEZZNS1_16scan_by_key_implILNS1_25lookback_scan_determinismE0ELb0ES3_N6thrust23THRUST_200600_302600_NS6detail15normal_iteratorINS9_10device_ptrIiEEEESE_SE_iNS9_10multipliesIiEENS9_8equal_toIiEEiEE10hipError_tPvRmT2_T3_T4_T5_mT6_T7_P12ihipStream_tbENKUlT_T0_E_clISt17integral_constantIbLb1EESY_IbLb0EEEEDaSU_SV_EUlSU_E_NS1_11comp_targetILNS1_3genE9ELNS1_11target_archE1100ELNS1_3gpuE3ELNS1_3repE0EEENS1_30default_config_static_selectorELNS0_4arch9wavefront6targetE0EEEvT1_
	.globl	_ZN7rocprim17ROCPRIM_400000_NS6detail17trampoline_kernelINS0_14default_configENS1_27scan_by_key_config_selectorIiiEEZZNS1_16scan_by_key_implILNS1_25lookback_scan_determinismE0ELb0ES3_N6thrust23THRUST_200600_302600_NS6detail15normal_iteratorINS9_10device_ptrIiEEEESE_SE_iNS9_10multipliesIiEENS9_8equal_toIiEEiEE10hipError_tPvRmT2_T3_T4_T5_mT6_T7_P12ihipStream_tbENKUlT_T0_E_clISt17integral_constantIbLb1EESY_IbLb0EEEEDaSU_SV_EUlSU_E_NS1_11comp_targetILNS1_3genE9ELNS1_11target_archE1100ELNS1_3gpuE3ELNS1_3repE0EEENS1_30default_config_static_selectorELNS0_4arch9wavefront6targetE0EEEvT1_
	.p2align	8
	.type	_ZN7rocprim17ROCPRIM_400000_NS6detail17trampoline_kernelINS0_14default_configENS1_27scan_by_key_config_selectorIiiEEZZNS1_16scan_by_key_implILNS1_25lookback_scan_determinismE0ELb0ES3_N6thrust23THRUST_200600_302600_NS6detail15normal_iteratorINS9_10device_ptrIiEEEESE_SE_iNS9_10multipliesIiEENS9_8equal_toIiEEiEE10hipError_tPvRmT2_T3_T4_T5_mT6_T7_P12ihipStream_tbENKUlT_T0_E_clISt17integral_constantIbLb1EESY_IbLb0EEEEDaSU_SV_EUlSU_E_NS1_11comp_targetILNS1_3genE9ELNS1_11target_archE1100ELNS1_3gpuE3ELNS1_3repE0EEENS1_30default_config_static_selectorELNS0_4arch9wavefront6targetE0EEEvT1_,@function
_ZN7rocprim17ROCPRIM_400000_NS6detail17trampoline_kernelINS0_14default_configENS1_27scan_by_key_config_selectorIiiEEZZNS1_16scan_by_key_implILNS1_25lookback_scan_determinismE0ELb0ES3_N6thrust23THRUST_200600_302600_NS6detail15normal_iteratorINS9_10device_ptrIiEEEESE_SE_iNS9_10multipliesIiEENS9_8equal_toIiEEiEE10hipError_tPvRmT2_T3_T4_T5_mT6_T7_P12ihipStream_tbENKUlT_T0_E_clISt17integral_constantIbLb1EESY_IbLb0EEEEDaSU_SV_EUlSU_E_NS1_11comp_targetILNS1_3genE9ELNS1_11target_archE1100ELNS1_3gpuE3ELNS1_3repE0EEENS1_30default_config_static_selectorELNS0_4arch9wavefront6targetE0EEEvT1_: ; @_ZN7rocprim17ROCPRIM_400000_NS6detail17trampoline_kernelINS0_14default_configENS1_27scan_by_key_config_selectorIiiEEZZNS1_16scan_by_key_implILNS1_25lookback_scan_determinismE0ELb0ES3_N6thrust23THRUST_200600_302600_NS6detail15normal_iteratorINS9_10device_ptrIiEEEESE_SE_iNS9_10multipliesIiEENS9_8equal_toIiEEiEE10hipError_tPvRmT2_T3_T4_T5_mT6_T7_P12ihipStream_tbENKUlT_T0_E_clISt17integral_constantIbLb1EESY_IbLb0EEEEDaSU_SV_EUlSU_E_NS1_11comp_targetILNS1_3genE9ELNS1_11target_archE1100ELNS1_3gpuE3ELNS1_3repE0EEENS1_30default_config_static_selectorELNS0_4arch9wavefront6targetE0EEEvT1_
; %bb.0:
	.section	.rodata,"a",@progbits
	.p2align	6, 0x0
	.amdhsa_kernel _ZN7rocprim17ROCPRIM_400000_NS6detail17trampoline_kernelINS0_14default_configENS1_27scan_by_key_config_selectorIiiEEZZNS1_16scan_by_key_implILNS1_25lookback_scan_determinismE0ELb0ES3_N6thrust23THRUST_200600_302600_NS6detail15normal_iteratorINS9_10device_ptrIiEEEESE_SE_iNS9_10multipliesIiEENS9_8equal_toIiEEiEE10hipError_tPvRmT2_T3_T4_T5_mT6_T7_P12ihipStream_tbENKUlT_T0_E_clISt17integral_constantIbLb1EESY_IbLb0EEEEDaSU_SV_EUlSU_E_NS1_11comp_targetILNS1_3genE9ELNS1_11target_archE1100ELNS1_3gpuE3ELNS1_3repE0EEENS1_30default_config_static_selectorELNS0_4arch9wavefront6targetE0EEEvT1_
		.amdhsa_group_segment_fixed_size 0
		.amdhsa_private_segment_fixed_size 0
		.amdhsa_kernarg_size 112
		.amdhsa_user_sgpr_count 6
		.amdhsa_user_sgpr_private_segment_buffer 1
		.amdhsa_user_sgpr_dispatch_ptr 0
		.amdhsa_user_sgpr_queue_ptr 0
		.amdhsa_user_sgpr_kernarg_segment_ptr 1
		.amdhsa_user_sgpr_dispatch_id 0
		.amdhsa_user_sgpr_flat_scratch_init 0
		.amdhsa_user_sgpr_private_segment_size 0
		.amdhsa_wavefront_size32 1
		.amdhsa_uses_dynamic_stack 0
		.amdhsa_system_sgpr_private_segment_wavefront_offset 0
		.amdhsa_system_sgpr_workgroup_id_x 1
		.amdhsa_system_sgpr_workgroup_id_y 0
		.amdhsa_system_sgpr_workgroup_id_z 0
		.amdhsa_system_sgpr_workgroup_info 0
		.amdhsa_system_vgpr_workitem_id 0
		.amdhsa_next_free_vgpr 1
		.amdhsa_next_free_sgpr 1
		.amdhsa_reserve_vcc 0
		.amdhsa_reserve_flat_scratch 0
		.amdhsa_float_round_mode_32 0
		.amdhsa_float_round_mode_16_64 0
		.amdhsa_float_denorm_mode_32 3
		.amdhsa_float_denorm_mode_16_64 3
		.amdhsa_dx10_clamp 1
		.amdhsa_ieee_mode 1
		.amdhsa_fp16_overflow 0
		.amdhsa_workgroup_processor_mode 1
		.amdhsa_memory_ordered 1
		.amdhsa_forward_progress 1
		.amdhsa_shared_vgpr_count 0
		.amdhsa_exception_fp_ieee_invalid_op 0
		.amdhsa_exception_fp_denorm_src 0
		.amdhsa_exception_fp_ieee_div_zero 0
		.amdhsa_exception_fp_ieee_overflow 0
		.amdhsa_exception_fp_ieee_underflow 0
		.amdhsa_exception_fp_ieee_inexact 0
		.amdhsa_exception_int_div_zero 0
	.end_amdhsa_kernel
	.section	.text._ZN7rocprim17ROCPRIM_400000_NS6detail17trampoline_kernelINS0_14default_configENS1_27scan_by_key_config_selectorIiiEEZZNS1_16scan_by_key_implILNS1_25lookback_scan_determinismE0ELb0ES3_N6thrust23THRUST_200600_302600_NS6detail15normal_iteratorINS9_10device_ptrIiEEEESE_SE_iNS9_10multipliesIiEENS9_8equal_toIiEEiEE10hipError_tPvRmT2_T3_T4_T5_mT6_T7_P12ihipStream_tbENKUlT_T0_E_clISt17integral_constantIbLb1EESY_IbLb0EEEEDaSU_SV_EUlSU_E_NS1_11comp_targetILNS1_3genE9ELNS1_11target_archE1100ELNS1_3gpuE3ELNS1_3repE0EEENS1_30default_config_static_selectorELNS0_4arch9wavefront6targetE0EEEvT1_,"axG",@progbits,_ZN7rocprim17ROCPRIM_400000_NS6detail17trampoline_kernelINS0_14default_configENS1_27scan_by_key_config_selectorIiiEEZZNS1_16scan_by_key_implILNS1_25lookback_scan_determinismE0ELb0ES3_N6thrust23THRUST_200600_302600_NS6detail15normal_iteratorINS9_10device_ptrIiEEEESE_SE_iNS9_10multipliesIiEENS9_8equal_toIiEEiEE10hipError_tPvRmT2_T3_T4_T5_mT6_T7_P12ihipStream_tbENKUlT_T0_E_clISt17integral_constantIbLb1EESY_IbLb0EEEEDaSU_SV_EUlSU_E_NS1_11comp_targetILNS1_3genE9ELNS1_11target_archE1100ELNS1_3gpuE3ELNS1_3repE0EEENS1_30default_config_static_selectorELNS0_4arch9wavefront6targetE0EEEvT1_,comdat
.Lfunc_end189:
	.size	_ZN7rocprim17ROCPRIM_400000_NS6detail17trampoline_kernelINS0_14default_configENS1_27scan_by_key_config_selectorIiiEEZZNS1_16scan_by_key_implILNS1_25lookback_scan_determinismE0ELb0ES3_N6thrust23THRUST_200600_302600_NS6detail15normal_iteratorINS9_10device_ptrIiEEEESE_SE_iNS9_10multipliesIiEENS9_8equal_toIiEEiEE10hipError_tPvRmT2_T3_T4_T5_mT6_T7_P12ihipStream_tbENKUlT_T0_E_clISt17integral_constantIbLb1EESY_IbLb0EEEEDaSU_SV_EUlSU_E_NS1_11comp_targetILNS1_3genE9ELNS1_11target_archE1100ELNS1_3gpuE3ELNS1_3repE0EEENS1_30default_config_static_selectorELNS0_4arch9wavefront6targetE0EEEvT1_, .Lfunc_end189-_ZN7rocprim17ROCPRIM_400000_NS6detail17trampoline_kernelINS0_14default_configENS1_27scan_by_key_config_selectorIiiEEZZNS1_16scan_by_key_implILNS1_25lookback_scan_determinismE0ELb0ES3_N6thrust23THRUST_200600_302600_NS6detail15normal_iteratorINS9_10device_ptrIiEEEESE_SE_iNS9_10multipliesIiEENS9_8equal_toIiEEiEE10hipError_tPvRmT2_T3_T4_T5_mT6_T7_P12ihipStream_tbENKUlT_T0_E_clISt17integral_constantIbLb1EESY_IbLb0EEEEDaSU_SV_EUlSU_E_NS1_11comp_targetILNS1_3genE9ELNS1_11target_archE1100ELNS1_3gpuE3ELNS1_3repE0EEENS1_30default_config_static_selectorELNS0_4arch9wavefront6targetE0EEEvT1_
                                        ; -- End function
	.set _ZN7rocprim17ROCPRIM_400000_NS6detail17trampoline_kernelINS0_14default_configENS1_27scan_by_key_config_selectorIiiEEZZNS1_16scan_by_key_implILNS1_25lookback_scan_determinismE0ELb0ES3_N6thrust23THRUST_200600_302600_NS6detail15normal_iteratorINS9_10device_ptrIiEEEESE_SE_iNS9_10multipliesIiEENS9_8equal_toIiEEiEE10hipError_tPvRmT2_T3_T4_T5_mT6_T7_P12ihipStream_tbENKUlT_T0_E_clISt17integral_constantIbLb1EESY_IbLb0EEEEDaSU_SV_EUlSU_E_NS1_11comp_targetILNS1_3genE9ELNS1_11target_archE1100ELNS1_3gpuE3ELNS1_3repE0EEENS1_30default_config_static_selectorELNS0_4arch9wavefront6targetE0EEEvT1_.num_vgpr, 0
	.set _ZN7rocprim17ROCPRIM_400000_NS6detail17trampoline_kernelINS0_14default_configENS1_27scan_by_key_config_selectorIiiEEZZNS1_16scan_by_key_implILNS1_25lookback_scan_determinismE0ELb0ES3_N6thrust23THRUST_200600_302600_NS6detail15normal_iteratorINS9_10device_ptrIiEEEESE_SE_iNS9_10multipliesIiEENS9_8equal_toIiEEiEE10hipError_tPvRmT2_T3_T4_T5_mT6_T7_P12ihipStream_tbENKUlT_T0_E_clISt17integral_constantIbLb1EESY_IbLb0EEEEDaSU_SV_EUlSU_E_NS1_11comp_targetILNS1_3genE9ELNS1_11target_archE1100ELNS1_3gpuE3ELNS1_3repE0EEENS1_30default_config_static_selectorELNS0_4arch9wavefront6targetE0EEEvT1_.num_agpr, 0
	.set _ZN7rocprim17ROCPRIM_400000_NS6detail17trampoline_kernelINS0_14default_configENS1_27scan_by_key_config_selectorIiiEEZZNS1_16scan_by_key_implILNS1_25lookback_scan_determinismE0ELb0ES3_N6thrust23THRUST_200600_302600_NS6detail15normal_iteratorINS9_10device_ptrIiEEEESE_SE_iNS9_10multipliesIiEENS9_8equal_toIiEEiEE10hipError_tPvRmT2_T3_T4_T5_mT6_T7_P12ihipStream_tbENKUlT_T0_E_clISt17integral_constantIbLb1EESY_IbLb0EEEEDaSU_SV_EUlSU_E_NS1_11comp_targetILNS1_3genE9ELNS1_11target_archE1100ELNS1_3gpuE3ELNS1_3repE0EEENS1_30default_config_static_selectorELNS0_4arch9wavefront6targetE0EEEvT1_.numbered_sgpr, 0
	.set _ZN7rocprim17ROCPRIM_400000_NS6detail17trampoline_kernelINS0_14default_configENS1_27scan_by_key_config_selectorIiiEEZZNS1_16scan_by_key_implILNS1_25lookback_scan_determinismE0ELb0ES3_N6thrust23THRUST_200600_302600_NS6detail15normal_iteratorINS9_10device_ptrIiEEEESE_SE_iNS9_10multipliesIiEENS9_8equal_toIiEEiEE10hipError_tPvRmT2_T3_T4_T5_mT6_T7_P12ihipStream_tbENKUlT_T0_E_clISt17integral_constantIbLb1EESY_IbLb0EEEEDaSU_SV_EUlSU_E_NS1_11comp_targetILNS1_3genE9ELNS1_11target_archE1100ELNS1_3gpuE3ELNS1_3repE0EEENS1_30default_config_static_selectorELNS0_4arch9wavefront6targetE0EEEvT1_.num_named_barrier, 0
	.set _ZN7rocprim17ROCPRIM_400000_NS6detail17trampoline_kernelINS0_14default_configENS1_27scan_by_key_config_selectorIiiEEZZNS1_16scan_by_key_implILNS1_25lookback_scan_determinismE0ELb0ES3_N6thrust23THRUST_200600_302600_NS6detail15normal_iteratorINS9_10device_ptrIiEEEESE_SE_iNS9_10multipliesIiEENS9_8equal_toIiEEiEE10hipError_tPvRmT2_T3_T4_T5_mT6_T7_P12ihipStream_tbENKUlT_T0_E_clISt17integral_constantIbLb1EESY_IbLb0EEEEDaSU_SV_EUlSU_E_NS1_11comp_targetILNS1_3genE9ELNS1_11target_archE1100ELNS1_3gpuE3ELNS1_3repE0EEENS1_30default_config_static_selectorELNS0_4arch9wavefront6targetE0EEEvT1_.private_seg_size, 0
	.set _ZN7rocprim17ROCPRIM_400000_NS6detail17trampoline_kernelINS0_14default_configENS1_27scan_by_key_config_selectorIiiEEZZNS1_16scan_by_key_implILNS1_25lookback_scan_determinismE0ELb0ES3_N6thrust23THRUST_200600_302600_NS6detail15normal_iteratorINS9_10device_ptrIiEEEESE_SE_iNS9_10multipliesIiEENS9_8equal_toIiEEiEE10hipError_tPvRmT2_T3_T4_T5_mT6_T7_P12ihipStream_tbENKUlT_T0_E_clISt17integral_constantIbLb1EESY_IbLb0EEEEDaSU_SV_EUlSU_E_NS1_11comp_targetILNS1_3genE9ELNS1_11target_archE1100ELNS1_3gpuE3ELNS1_3repE0EEENS1_30default_config_static_selectorELNS0_4arch9wavefront6targetE0EEEvT1_.uses_vcc, 0
	.set _ZN7rocprim17ROCPRIM_400000_NS6detail17trampoline_kernelINS0_14default_configENS1_27scan_by_key_config_selectorIiiEEZZNS1_16scan_by_key_implILNS1_25lookback_scan_determinismE0ELb0ES3_N6thrust23THRUST_200600_302600_NS6detail15normal_iteratorINS9_10device_ptrIiEEEESE_SE_iNS9_10multipliesIiEENS9_8equal_toIiEEiEE10hipError_tPvRmT2_T3_T4_T5_mT6_T7_P12ihipStream_tbENKUlT_T0_E_clISt17integral_constantIbLb1EESY_IbLb0EEEEDaSU_SV_EUlSU_E_NS1_11comp_targetILNS1_3genE9ELNS1_11target_archE1100ELNS1_3gpuE3ELNS1_3repE0EEENS1_30default_config_static_selectorELNS0_4arch9wavefront6targetE0EEEvT1_.uses_flat_scratch, 0
	.set _ZN7rocprim17ROCPRIM_400000_NS6detail17trampoline_kernelINS0_14default_configENS1_27scan_by_key_config_selectorIiiEEZZNS1_16scan_by_key_implILNS1_25lookback_scan_determinismE0ELb0ES3_N6thrust23THRUST_200600_302600_NS6detail15normal_iteratorINS9_10device_ptrIiEEEESE_SE_iNS9_10multipliesIiEENS9_8equal_toIiEEiEE10hipError_tPvRmT2_T3_T4_T5_mT6_T7_P12ihipStream_tbENKUlT_T0_E_clISt17integral_constantIbLb1EESY_IbLb0EEEEDaSU_SV_EUlSU_E_NS1_11comp_targetILNS1_3genE9ELNS1_11target_archE1100ELNS1_3gpuE3ELNS1_3repE0EEENS1_30default_config_static_selectorELNS0_4arch9wavefront6targetE0EEEvT1_.has_dyn_sized_stack, 0
	.set _ZN7rocprim17ROCPRIM_400000_NS6detail17trampoline_kernelINS0_14default_configENS1_27scan_by_key_config_selectorIiiEEZZNS1_16scan_by_key_implILNS1_25lookback_scan_determinismE0ELb0ES3_N6thrust23THRUST_200600_302600_NS6detail15normal_iteratorINS9_10device_ptrIiEEEESE_SE_iNS9_10multipliesIiEENS9_8equal_toIiEEiEE10hipError_tPvRmT2_T3_T4_T5_mT6_T7_P12ihipStream_tbENKUlT_T0_E_clISt17integral_constantIbLb1EESY_IbLb0EEEEDaSU_SV_EUlSU_E_NS1_11comp_targetILNS1_3genE9ELNS1_11target_archE1100ELNS1_3gpuE3ELNS1_3repE0EEENS1_30default_config_static_selectorELNS0_4arch9wavefront6targetE0EEEvT1_.has_recursion, 0
	.set _ZN7rocprim17ROCPRIM_400000_NS6detail17trampoline_kernelINS0_14default_configENS1_27scan_by_key_config_selectorIiiEEZZNS1_16scan_by_key_implILNS1_25lookback_scan_determinismE0ELb0ES3_N6thrust23THRUST_200600_302600_NS6detail15normal_iteratorINS9_10device_ptrIiEEEESE_SE_iNS9_10multipliesIiEENS9_8equal_toIiEEiEE10hipError_tPvRmT2_T3_T4_T5_mT6_T7_P12ihipStream_tbENKUlT_T0_E_clISt17integral_constantIbLb1EESY_IbLb0EEEEDaSU_SV_EUlSU_E_NS1_11comp_targetILNS1_3genE9ELNS1_11target_archE1100ELNS1_3gpuE3ELNS1_3repE0EEENS1_30default_config_static_selectorELNS0_4arch9wavefront6targetE0EEEvT1_.has_indirect_call, 0
	.section	.AMDGPU.csdata,"",@progbits
; Kernel info:
; codeLenInByte = 0
; TotalNumSgprs: 0
; NumVgprs: 0
; ScratchSize: 0
; MemoryBound: 0
; FloatMode: 240
; IeeeMode: 1
; LDSByteSize: 0 bytes/workgroup (compile time only)
; SGPRBlocks: 0
; VGPRBlocks: 0
; NumSGPRsForWavesPerEU: 1
; NumVGPRsForWavesPerEU: 1
; Occupancy: 16
; WaveLimiterHint : 0
; COMPUTE_PGM_RSRC2:SCRATCH_EN: 0
; COMPUTE_PGM_RSRC2:USER_SGPR: 6
; COMPUTE_PGM_RSRC2:TRAP_HANDLER: 0
; COMPUTE_PGM_RSRC2:TGID_X_EN: 1
; COMPUTE_PGM_RSRC2:TGID_Y_EN: 0
; COMPUTE_PGM_RSRC2:TGID_Z_EN: 0
; COMPUTE_PGM_RSRC2:TIDIG_COMP_CNT: 0
	.section	.text._ZN7rocprim17ROCPRIM_400000_NS6detail17trampoline_kernelINS0_14default_configENS1_27scan_by_key_config_selectorIiiEEZZNS1_16scan_by_key_implILNS1_25lookback_scan_determinismE0ELb0ES3_N6thrust23THRUST_200600_302600_NS6detail15normal_iteratorINS9_10device_ptrIiEEEESE_SE_iNS9_10multipliesIiEENS9_8equal_toIiEEiEE10hipError_tPvRmT2_T3_T4_T5_mT6_T7_P12ihipStream_tbENKUlT_T0_E_clISt17integral_constantIbLb1EESY_IbLb0EEEEDaSU_SV_EUlSU_E_NS1_11comp_targetILNS1_3genE8ELNS1_11target_archE1030ELNS1_3gpuE2ELNS1_3repE0EEENS1_30default_config_static_selectorELNS0_4arch9wavefront6targetE0EEEvT1_,"axG",@progbits,_ZN7rocprim17ROCPRIM_400000_NS6detail17trampoline_kernelINS0_14default_configENS1_27scan_by_key_config_selectorIiiEEZZNS1_16scan_by_key_implILNS1_25lookback_scan_determinismE0ELb0ES3_N6thrust23THRUST_200600_302600_NS6detail15normal_iteratorINS9_10device_ptrIiEEEESE_SE_iNS9_10multipliesIiEENS9_8equal_toIiEEiEE10hipError_tPvRmT2_T3_T4_T5_mT6_T7_P12ihipStream_tbENKUlT_T0_E_clISt17integral_constantIbLb1EESY_IbLb0EEEEDaSU_SV_EUlSU_E_NS1_11comp_targetILNS1_3genE8ELNS1_11target_archE1030ELNS1_3gpuE2ELNS1_3repE0EEENS1_30default_config_static_selectorELNS0_4arch9wavefront6targetE0EEEvT1_,comdat
	.protected	_ZN7rocprim17ROCPRIM_400000_NS6detail17trampoline_kernelINS0_14default_configENS1_27scan_by_key_config_selectorIiiEEZZNS1_16scan_by_key_implILNS1_25lookback_scan_determinismE0ELb0ES3_N6thrust23THRUST_200600_302600_NS6detail15normal_iteratorINS9_10device_ptrIiEEEESE_SE_iNS9_10multipliesIiEENS9_8equal_toIiEEiEE10hipError_tPvRmT2_T3_T4_T5_mT6_T7_P12ihipStream_tbENKUlT_T0_E_clISt17integral_constantIbLb1EESY_IbLb0EEEEDaSU_SV_EUlSU_E_NS1_11comp_targetILNS1_3genE8ELNS1_11target_archE1030ELNS1_3gpuE2ELNS1_3repE0EEENS1_30default_config_static_selectorELNS0_4arch9wavefront6targetE0EEEvT1_ ; -- Begin function _ZN7rocprim17ROCPRIM_400000_NS6detail17trampoline_kernelINS0_14default_configENS1_27scan_by_key_config_selectorIiiEEZZNS1_16scan_by_key_implILNS1_25lookback_scan_determinismE0ELb0ES3_N6thrust23THRUST_200600_302600_NS6detail15normal_iteratorINS9_10device_ptrIiEEEESE_SE_iNS9_10multipliesIiEENS9_8equal_toIiEEiEE10hipError_tPvRmT2_T3_T4_T5_mT6_T7_P12ihipStream_tbENKUlT_T0_E_clISt17integral_constantIbLb1EESY_IbLb0EEEEDaSU_SV_EUlSU_E_NS1_11comp_targetILNS1_3genE8ELNS1_11target_archE1030ELNS1_3gpuE2ELNS1_3repE0EEENS1_30default_config_static_selectorELNS0_4arch9wavefront6targetE0EEEvT1_
	.globl	_ZN7rocprim17ROCPRIM_400000_NS6detail17trampoline_kernelINS0_14default_configENS1_27scan_by_key_config_selectorIiiEEZZNS1_16scan_by_key_implILNS1_25lookback_scan_determinismE0ELb0ES3_N6thrust23THRUST_200600_302600_NS6detail15normal_iteratorINS9_10device_ptrIiEEEESE_SE_iNS9_10multipliesIiEENS9_8equal_toIiEEiEE10hipError_tPvRmT2_T3_T4_T5_mT6_T7_P12ihipStream_tbENKUlT_T0_E_clISt17integral_constantIbLb1EESY_IbLb0EEEEDaSU_SV_EUlSU_E_NS1_11comp_targetILNS1_3genE8ELNS1_11target_archE1030ELNS1_3gpuE2ELNS1_3repE0EEENS1_30default_config_static_selectorELNS0_4arch9wavefront6targetE0EEEvT1_
	.p2align	8
	.type	_ZN7rocprim17ROCPRIM_400000_NS6detail17trampoline_kernelINS0_14default_configENS1_27scan_by_key_config_selectorIiiEEZZNS1_16scan_by_key_implILNS1_25lookback_scan_determinismE0ELb0ES3_N6thrust23THRUST_200600_302600_NS6detail15normal_iteratorINS9_10device_ptrIiEEEESE_SE_iNS9_10multipliesIiEENS9_8equal_toIiEEiEE10hipError_tPvRmT2_T3_T4_T5_mT6_T7_P12ihipStream_tbENKUlT_T0_E_clISt17integral_constantIbLb1EESY_IbLb0EEEEDaSU_SV_EUlSU_E_NS1_11comp_targetILNS1_3genE8ELNS1_11target_archE1030ELNS1_3gpuE2ELNS1_3repE0EEENS1_30default_config_static_selectorELNS0_4arch9wavefront6targetE0EEEvT1_,@function
_ZN7rocprim17ROCPRIM_400000_NS6detail17trampoline_kernelINS0_14default_configENS1_27scan_by_key_config_selectorIiiEEZZNS1_16scan_by_key_implILNS1_25lookback_scan_determinismE0ELb0ES3_N6thrust23THRUST_200600_302600_NS6detail15normal_iteratorINS9_10device_ptrIiEEEESE_SE_iNS9_10multipliesIiEENS9_8equal_toIiEEiEE10hipError_tPvRmT2_T3_T4_T5_mT6_T7_P12ihipStream_tbENKUlT_T0_E_clISt17integral_constantIbLb1EESY_IbLb0EEEEDaSU_SV_EUlSU_E_NS1_11comp_targetILNS1_3genE8ELNS1_11target_archE1030ELNS1_3gpuE2ELNS1_3repE0EEENS1_30default_config_static_selectorELNS0_4arch9wavefront6targetE0EEEvT1_: ; @_ZN7rocprim17ROCPRIM_400000_NS6detail17trampoline_kernelINS0_14default_configENS1_27scan_by_key_config_selectorIiiEEZZNS1_16scan_by_key_implILNS1_25lookback_scan_determinismE0ELb0ES3_N6thrust23THRUST_200600_302600_NS6detail15normal_iteratorINS9_10device_ptrIiEEEESE_SE_iNS9_10multipliesIiEENS9_8equal_toIiEEiEE10hipError_tPvRmT2_T3_T4_T5_mT6_T7_P12ihipStream_tbENKUlT_T0_E_clISt17integral_constantIbLb1EESY_IbLb0EEEEDaSU_SV_EUlSU_E_NS1_11comp_targetILNS1_3genE8ELNS1_11target_archE1030ELNS1_3gpuE2ELNS1_3repE0EEENS1_30default_config_static_selectorELNS0_4arch9wavefront6targetE0EEEvT1_
; %bb.0:
	s_endpgm
	.section	.rodata,"a",@progbits
	.p2align	6, 0x0
	.amdhsa_kernel _ZN7rocprim17ROCPRIM_400000_NS6detail17trampoline_kernelINS0_14default_configENS1_27scan_by_key_config_selectorIiiEEZZNS1_16scan_by_key_implILNS1_25lookback_scan_determinismE0ELb0ES3_N6thrust23THRUST_200600_302600_NS6detail15normal_iteratorINS9_10device_ptrIiEEEESE_SE_iNS9_10multipliesIiEENS9_8equal_toIiEEiEE10hipError_tPvRmT2_T3_T4_T5_mT6_T7_P12ihipStream_tbENKUlT_T0_E_clISt17integral_constantIbLb1EESY_IbLb0EEEEDaSU_SV_EUlSU_E_NS1_11comp_targetILNS1_3genE8ELNS1_11target_archE1030ELNS1_3gpuE2ELNS1_3repE0EEENS1_30default_config_static_selectorELNS0_4arch9wavefront6targetE0EEEvT1_
		.amdhsa_group_segment_fixed_size 0
		.amdhsa_private_segment_fixed_size 0
		.amdhsa_kernarg_size 112
		.amdhsa_user_sgpr_count 6
		.amdhsa_user_sgpr_private_segment_buffer 1
		.amdhsa_user_sgpr_dispatch_ptr 0
		.amdhsa_user_sgpr_queue_ptr 0
		.amdhsa_user_sgpr_kernarg_segment_ptr 1
		.amdhsa_user_sgpr_dispatch_id 0
		.amdhsa_user_sgpr_flat_scratch_init 0
		.amdhsa_user_sgpr_private_segment_size 0
		.amdhsa_wavefront_size32 1
		.amdhsa_uses_dynamic_stack 0
		.amdhsa_system_sgpr_private_segment_wavefront_offset 0
		.amdhsa_system_sgpr_workgroup_id_x 1
		.amdhsa_system_sgpr_workgroup_id_y 0
		.amdhsa_system_sgpr_workgroup_id_z 0
		.amdhsa_system_sgpr_workgroup_info 0
		.amdhsa_system_vgpr_workitem_id 0
		.amdhsa_next_free_vgpr 1
		.amdhsa_next_free_sgpr 1
		.amdhsa_reserve_vcc 0
		.amdhsa_reserve_flat_scratch 0
		.amdhsa_float_round_mode_32 0
		.amdhsa_float_round_mode_16_64 0
		.amdhsa_float_denorm_mode_32 3
		.amdhsa_float_denorm_mode_16_64 3
		.amdhsa_dx10_clamp 1
		.amdhsa_ieee_mode 1
		.amdhsa_fp16_overflow 0
		.amdhsa_workgroup_processor_mode 1
		.amdhsa_memory_ordered 1
		.amdhsa_forward_progress 1
		.amdhsa_shared_vgpr_count 0
		.amdhsa_exception_fp_ieee_invalid_op 0
		.amdhsa_exception_fp_denorm_src 0
		.amdhsa_exception_fp_ieee_div_zero 0
		.amdhsa_exception_fp_ieee_overflow 0
		.amdhsa_exception_fp_ieee_underflow 0
		.amdhsa_exception_fp_ieee_inexact 0
		.amdhsa_exception_int_div_zero 0
	.end_amdhsa_kernel
	.section	.text._ZN7rocprim17ROCPRIM_400000_NS6detail17trampoline_kernelINS0_14default_configENS1_27scan_by_key_config_selectorIiiEEZZNS1_16scan_by_key_implILNS1_25lookback_scan_determinismE0ELb0ES3_N6thrust23THRUST_200600_302600_NS6detail15normal_iteratorINS9_10device_ptrIiEEEESE_SE_iNS9_10multipliesIiEENS9_8equal_toIiEEiEE10hipError_tPvRmT2_T3_T4_T5_mT6_T7_P12ihipStream_tbENKUlT_T0_E_clISt17integral_constantIbLb1EESY_IbLb0EEEEDaSU_SV_EUlSU_E_NS1_11comp_targetILNS1_3genE8ELNS1_11target_archE1030ELNS1_3gpuE2ELNS1_3repE0EEENS1_30default_config_static_selectorELNS0_4arch9wavefront6targetE0EEEvT1_,"axG",@progbits,_ZN7rocprim17ROCPRIM_400000_NS6detail17trampoline_kernelINS0_14default_configENS1_27scan_by_key_config_selectorIiiEEZZNS1_16scan_by_key_implILNS1_25lookback_scan_determinismE0ELb0ES3_N6thrust23THRUST_200600_302600_NS6detail15normal_iteratorINS9_10device_ptrIiEEEESE_SE_iNS9_10multipliesIiEENS9_8equal_toIiEEiEE10hipError_tPvRmT2_T3_T4_T5_mT6_T7_P12ihipStream_tbENKUlT_T0_E_clISt17integral_constantIbLb1EESY_IbLb0EEEEDaSU_SV_EUlSU_E_NS1_11comp_targetILNS1_3genE8ELNS1_11target_archE1030ELNS1_3gpuE2ELNS1_3repE0EEENS1_30default_config_static_selectorELNS0_4arch9wavefront6targetE0EEEvT1_,comdat
.Lfunc_end190:
	.size	_ZN7rocprim17ROCPRIM_400000_NS6detail17trampoline_kernelINS0_14default_configENS1_27scan_by_key_config_selectorIiiEEZZNS1_16scan_by_key_implILNS1_25lookback_scan_determinismE0ELb0ES3_N6thrust23THRUST_200600_302600_NS6detail15normal_iteratorINS9_10device_ptrIiEEEESE_SE_iNS9_10multipliesIiEENS9_8equal_toIiEEiEE10hipError_tPvRmT2_T3_T4_T5_mT6_T7_P12ihipStream_tbENKUlT_T0_E_clISt17integral_constantIbLb1EESY_IbLb0EEEEDaSU_SV_EUlSU_E_NS1_11comp_targetILNS1_3genE8ELNS1_11target_archE1030ELNS1_3gpuE2ELNS1_3repE0EEENS1_30default_config_static_selectorELNS0_4arch9wavefront6targetE0EEEvT1_, .Lfunc_end190-_ZN7rocprim17ROCPRIM_400000_NS6detail17trampoline_kernelINS0_14default_configENS1_27scan_by_key_config_selectorIiiEEZZNS1_16scan_by_key_implILNS1_25lookback_scan_determinismE0ELb0ES3_N6thrust23THRUST_200600_302600_NS6detail15normal_iteratorINS9_10device_ptrIiEEEESE_SE_iNS9_10multipliesIiEENS9_8equal_toIiEEiEE10hipError_tPvRmT2_T3_T4_T5_mT6_T7_P12ihipStream_tbENKUlT_T0_E_clISt17integral_constantIbLb1EESY_IbLb0EEEEDaSU_SV_EUlSU_E_NS1_11comp_targetILNS1_3genE8ELNS1_11target_archE1030ELNS1_3gpuE2ELNS1_3repE0EEENS1_30default_config_static_selectorELNS0_4arch9wavefront6targetE0EEEvT1_
                                        ; -- End function
	.set _ZN7rocprim17ROCPRIM_400000_NS6detail17trampoline_kernelINS0_14default_configENS1_27scan_by_key_config_selectorIiiEEZZNS1_16scan_by_key_implILNS1_25lookback_scan_determinismE0ELb0ES3_N6thrust23THRUST_200600_302600_NS6detail15normal_iteratorINS9_10device_ptrIiEEEESE_SE_iNS9_10multipliesIiEENS9_8equal_toIiEEiEE10hipError_tPvRmT2_T3_T4_T5_mT6_T7_P12ihipStream_tbENKUlT_T0_E_clISt17integral_constantIbLb1EESY_IbLb0EEEEDaSU_SV_EUlSU_E_NS1_11comp_targetILNS1_3genE8ELNS1_11target_archE1030ELNS1_3gpuE2ELNS1_3repE0EEENS1_30default_config_static_selectorELNS0_4arch9wavefront6targetE0EEEvT1_.num_vgpr, 0
	.set _ZN7rocprim17ROCPRIM_400000_NS6detail17trampoline_kernelINS0_14default_configENS1_27scan_by_key_config_selectorIiiEEZZNS1_16scan_by_key_implILNS1_25lookback_scan_determinismE0ELb0ES3_N6thrust23THRUST_200600_302600_NS6detail15normal_iteratorINS9_10device_ptrIiEEEESE_SE_iNS9_10multipliesIiEENS9_8equal_toIiEEiEE10hipError_tPvRmT2_T3_T4_T5_mT6_T7_P12ihipStream_tbENKUlT_T0_E_clISt17integral_constantIbLb1EESY_IbLb0EEEEDaSU_SV_EUlSU_E_NS1_11comp_targetILNS1_3genE8ELNS1_11target_archE1030ELNS1_3gpuE2ELNS1_3repE0EEENS1_30default_config_static_selectorELNS0_4arch9wavefront6targetE0EEEvT1_.num_agpr, 0
	.set _ZN7rocprim17ROCPRIM_400000_NS6detail17trampoline_kernelINS0_14default_configENS1_27scan_by_key_config_selectorIiiEEZZNS1_16scan_by_key_implILNS1_25lookback_scan_determinismE0ELb0ES3_N6thrust23THRUST_200600_302600_NS6detail15normal_iteratorINS9_10device_ptrIiEEEESE_SE_iNS9_10multipliesIiEENS9_8equal_toIiEEiEE10hipError_tPvRmT2_T3_T4_T5_mT6_T7_P12ihipStream_tbENKUlT_T0_E_clISt17integral_constantIbLb1EESY_IbLb0EEEEDaSU_SV_EUlSU_E_NS1_11comp_targetILNS1_3genE8ELNS1_11target_archE1030ELNS1_3gpuE2ELNS1_3repE0EEENS1_30default_config_static_selectorELNS0_4arch9wavefront6targetE0EEEvT1_.numbered_sgpr, 0
	.set _ZN7rocprim17ROCPRIM_400000_NS6detail17trampoline_kernelINS0_14default_configENS1_27scan_by_key_config_selectorIiiEEZZNS1_16scan_by_key_implILNS1_25lookback_scan_determinismE0ELb0ES3_N6thrust23THRUST_200600_302600_NS6detail15normal_iteratorINS9_10device_ptrIiEEEESE_SE_iNS9_10multipliesIiEENS9_8equal_toIiEEiEE10hipError_tPvRmT2_T3_T4_T5_mT6_T7_P12ihipStream_tbENKUlT_T0_E_clISt17integral_constantIbLb1EESY_IbLb0EEEEDaSU_SV_EUlSU_E_NS1_11comp_targetILNS1_3genE8ELNS1_11target_archE1030ELNS1_3gpuE2ELNS1_3repE0EEENS1_30default_config_static_selectorELNS0_4arch9wavefront6targetE0EEEvT1_.num_named_barrier, 0
	.set _ZN7rocprim17ROCPRIM_400000_NS6detail17trampoline_kernelINS0_14default_configENS1_27scan_by_key_config_selectorIiiEEZZNS1_16scan_by_key_implILNS1_25lookback_scan_determinismE0ELb0ES3_N6thrust23THRUST_200600_302600_NS6detail15normal_iteratorINS9_10device_ptrIiEEEESE_SE_iNS9_10multipliesIiEENS9_8equal_toIiEEiEE10hipError_tPvRmT2_T3_T4_T5_mT6_T7_P12ihipStream_tbENKUlT_T0_E_clISt17integral_constantIbLb1EESY_IbLb0EEEEDaSU_SV_EUlSU_E_NS1_11comp_targetILNS1_3genE8ELNS1_11target_archE1030ELNS1_3gpuE2ELNS1_3repE0EEENS1_30default_config_static_selectorELNS0_4arch9wavefront6targetE0EEEvT1_.private_seg_size, 0
	.set _ZN7rocprim17ROCPRIM_400000_NS6detail17trampoline_kernelINS0_14default_configENS1_27scan_by_key_config_selectorIiiEEZZNS1_16scan_by_key_implILNS1_25lookback_scan_determinismE0ELb0ES3_N6thrust23THRUST_200600_302600_NS6detail15normal_iteratorINS9_10device_ptrIiEEEESE_SE_iNS9_10multipliesIiEENS9_8equal_toIiEEiEE10hipError_tPvRmT2_T3_T4_T5_mT6_T7_P12ihipStream_tbENKUlT_T0_E_clISt17integral_constantIbLb1EESY_IbLb0EEEEDaSU_SV_EUlSU_E_NS1_11comp_targetILNS1_3genE8ELNS1_11target_archE1030ELNS1_3gpuE2ELNS1_3repE0EEENS1_30default_config_static_selectorELNS0_4arch9wavefront6targetE0EEEvT1_.uses_vcc, 0
	.set _ZN7rocprim17ROCPRIM_400000_NS6detail17trampoline_kernelINS0_14default_configENS1_27scan_by_key_config_selectorIiiEEZZNS1_16scan_by_key_implILNS1_25lookback_scan_determinismE0ELb0ES3_N6thrust23THRUST_200600_302600_NS6detail15normal_iteratorINS9_10device_ptrIiEEEESE_SE_iNS9_10multipliesIiEENS9_8equal_toIiEEiEE10hipError_tPvRmT2_T3_T4_T5_mT6_T7_P12ihipStream_tbENKUlT_T0_E_clISt17integral_constantIbLb1EESY_IbLb0EEEEDaSU_SV_EUlSU_E_NS1_11comp_targetILNS1_3genE8ELNS1_11target_archE1030ELNS1_3gpuE2ELNS1_3repE0EEENS1_30default_config_static_selectorELNS0_4arch9wavefront6targetE0EEEvT1_.uses_flat_scratch, 0
	.set _ZN7rocprim17ROCPRIM_400000_NS6detail17trampoline_kernelINS0_14default_configENS1_27scan_by_key_config_selectorIiiEEZZNS1_16scan_by_key_implILNS1_25lookback_scan_determinismE0ELb0ES3_N6thrust23THRUST_200600_302600_NS6detail15normal_iteratorINS9_10device_ptrIiEEEESE_SE_iNS9_10multipliesIiEENS9_8equal_toIiEEiEE10hipError_tPvRmT2_T3_T4_T5_mT6_T7_P12ihipStream_tbENKUlT_T0_E_clISt17integral_constantIbLb1EESY_IbLb0EEEEDaSU_SV_EUlSU_E_NS1_11comp_targetILNS1_3genE8ELNS1_11target_archE1030ELNS1_3gpuE2ELNS1_3repE0EEENS1_30default_config_static_selectorELNS0_4arch9wavefront6targetE0EEEvT1_.has_dyn_sized_stack, 0
	.set _ZN7rocprim17ROCPRIM_400000_NS6detail17trampoline_kernelINS0_14default_configENS1_27scan_by_key_config_selectorIiiEEZZNS1_16scan_by_key_implILNS1_25lookback_scan_determinismE0ELb0ES3_N6thrust23THRUST_200600_302600_NS6detail15normal_iteratorINS9_10device_ptrIiEEEESE_SE_iNS9_10multipliesIiEENS9_8equal_toIiEEiEE10hipError_tPvRmT2_T3_T4_T5_mT6_T7_P12ihipStream_tbENKUlT_T0_E_clISt17integral_constantIbLb1EESY_IbLb0EEEEDaSU_SV_EUlSU_E_NS1_11comp_targetILNS1_3genE8ELNS1_11target_archE1030ELNS1_3gpuE2ELNS1_3repE0EEENS1_30default_config_static_selectorELNS0_4arch9wavefront6targetE0EEEvT1_.has_recursion, 0
	.set _ZN7rocprim17ROCPRIM_400000_NS6detail17trampoline_kernelINS0_14default_configENS1_27scan_by_key_config_selectorIiiEEZZNS1_16scan_by_key_implILNS1_25lookback_scan_determinismE0ELb0ES3_N6thrust23THRUST_200600_302600_NS6detail15normal_iteratorINS9_10device_ptrIiEEEESE_SE_iNS9_10multipliesIiEENS9_8equal_toIiEEiEE10hipError_tPvRmT2_T3_T4_T5_mT6_T7_P12ihipStream_tbENKUlT_T0_E_clISt17integral_constantIbLb1EESY_IbLb0EEEEDaSU_SV_EUlSU_E_NS1_11comp_targetILNS1_3genE8ELNS1_11target_archE1030ELNS1_3gpuE2ELNS1_3repE0EEENS1_30default_config_static_selectorELNS0_4arch9wavefront6targetE0EEEvT1_.has_indirect_call, 0
	.section	.AMDGPU.csdata,"",@progbits
; Kernel info:
; codeLenInByte = 4
; TotalNumSgprs: 0
; NumVgprs: 0
; ScratchSize: 0
; MemoryBound: 0
; FloatMode: 240
; IeeeMode: 1
; LDSByteSize: 0 bytes/workgroup (compile time only)
; SGPRBlocks: 0
; VGPRBlocks: 0
; NumSGPRsForWavesPerEU: 1
; NumVGPRsForWavesPerEU: 1
; Occupancy: 16
; WaveLimiterHint : 0
; COMPUTE_PGM_RSRC2:SCRATCH_EN: 0
; COMPUTE_PGM_RSRC2:USER_SGPR: 6
; COMPUTE_PGM_RSRC2:TRAP_HANDLER: 0
; COMPUTE_PGM_RSRC2:TGID_X_EN: 1
; COMPUTE_PGM_RSRC2:TGID_Y_EN: 0
; COMPUTE_PGM_RSRC2:TGID_Z_EN: 0
; COMPUTE_PGM_RSRC2:TIDIG_COMP_CNT: 0
	.section	.text._ZN7rocprim17ROCPRIM_400000_NS6detail17trampoline_kernelINS0_14default_configENS1_27scan_by_key_config_selectorIiiEEZZNS1_16scan_by_key_implILNS1_25lookback_scan_determinismE0ELb0ES3_N6thrust23THRUST_200600_302600_NS6detail15normal_iteratorINS9_10device_ptrIiEEEESE_SE_iNS9_10multipliesIiEENS9_8equal_toIiEEiEE10hipError_tPvRmT2_T3_T4_T5_mT6_T7_P12ihipStream_tbENKUlT_T0_E_clISt17integral_constantIbLb0EESY_IbLb1EEEEDaSU_SV_EUlSU_E_NS1_11comp_targetILNS1_3genE0ELNS1_11target_archE4294967295ELNS1_3gpuE0ELNS1_3repE0EEENS1_30default_config_static_selectorELNS0_4arch9wavefront6targetE0EEEvT1_,"axG",@progbits,_ZN7rocprim17ROCPRIM_400000_NS6detail17trampoline_kernelINS0_14default_configENS1_27scan_by_key_config_selectorIiiEEZZNS1_16scan_by_key_implILNS1_25lookback_scan_determinismE0ELb0ES3_N6thrust23THRUST_200600_302600_NS6detail15normal_iteratorINS9_10device_ptrIiEEEESE_SE_iNS9_10multipliesIiEENS9_8equal_toIiEEiEE10hipError_tPvRmT2_T3_T4_T5_mT6_T7_P12ihipStream_tbENKUlT_T0_E_clISt17integral_constantIbLb0EESY_IbLb1EEEEDaSU_SV_EUlSU_E_NS1_11comp_targetILNS1_3genE0ELNS1_11target_archE4294967295ELNS1_3gpuE0ELNS1_3repE0EEENS1_30default_config_static_selectorELNS0_4arch9wavefront6targetE0EEEvT1_,comdat
	.protected	_ZN7rocprim17ROCPRIM_400000_NS6detail17trampoline_kernelINS0_14default_configENS1_27scan_by_key_config_selectorIiiEEZZNS1_16scan_by_key_implILNS1_25lookback_scan_determinismE0ELb0ES3_N6thrust23THRUST_200600_302600_NS6detail15normal_iteratorINS9_10device_ptrIiEEEESE_SE_iNS9_10multipliesIiEENS9_8equal_toIiEEiEE10hipError_tPvRmT2_T3_T4_T5_mT6_T7_P12ihipStream_tbENKUlT_T0_E_clISt17integral_constantIbLb0EESY_IbLb1EEEEDaSU_SV_EUlSU_E_NS1_11comp_targetILNS1_3genE0ELNS1_11target_archE4294967295ELNS1_3gpuE0ELNS1_3repE0EEENS1_30default_config_static_selectorELNS0_4arch9wavefront6targetE0EEEvT1_ ; -- Begin function _ZN7rocprim17ROCPRIM_400000_NS6detail17trampoline_kernelINS0_14default_configENS1_27scan_by_key_config_selectorIiiEEZZNS1_16scan_by_key_implILNS1_25lookback_scan_determinismE0ELb0ES3_N6thrust23THRUST_200600_302600_NS6detail15normal_iteratorINS9_10device_ptrIiEEEESE_SE_iNS9_10multipliesIiEENS9_8equal_toIiEEiEE10hipError_tPvRmT2_T3_T4_T5_mT6_T7_P12ihipStream_tbENKUlT_T0_E_clISt17integral_constantIbLb0EESY_IbLb1EEEEDaSU_SV_EUlSU_E_NS1_11comp_targetILNS1_3genE0ELNS1_11target_archE4294967295ELNS1_3gpuE0ELNS1_3repE0EEENS1_30default_config_static_selectorELNS0_4arch9wavefront6targetE0EEEvT1_
	.globl	_ZN7rocprim17ROCPRIM_400000_NS6detail17trampoline_kernelINS0_14default_configENS1_27scan_by_key_config_selectorIiiEEZZNS1_16scan_by_key_implILNS1_25lookback_scan_determinismE0ELb0ES3_N6thrust23THRUST_200600_302600_NS6detail15normal_iteratorINS9_10device_ptrIiEEEESE_SE_iNS9_10multipliesIiEENS9_8equal_toIiEEiEE10hipError_tPvRmT2_T3_T4_T5_mT6_T7_P12ihipStream_tbENKUlT_T0_E_clISt17integral_constantIbLb0EESY_IbLb1EEEEDaSU_SV_EUlSU_E_NS1_11comp_targetILNS1_3genE0ELNS1_11target_archE4294967295ELNS1_3gpuE0ELNS1_3repE0EEENS1_30default_config_static_selectorELNS0_4arch9wavefront6targetE0EEEvT1_
	.p2align	8
	.type	_ZN7rocprim17ROCPRIM_400000_NS6detail17trampoline_kernelINS0_14default_configENS1_27scan_by_key_config_selectorIiiEEZZNS1_16scan_by_key_implILNS1_25lookback_scan_determinismE0ELb0ES3_N6thrust23THRUST_200600_302600_NS6detail15normal_iteratorINS9_10device_ptrIiEEEESE_SE_iNS9_10multipliesIiEENS9_8equal_toIiEEiEE10hipError_tPvRmT2_T3_T4_T5_mT6_T7_P12ihipStream_tbENKUlT_T0_E_clISt17integral_constantIbLb0EESY_IbLb1EEEEDaSU_SV_EUlSU_E_NS1_11comp_targetILNS1_3genE0ELNS1_11target_archE4294967295ELNS1_3gpuE0ELNS1_3repE0EEENS1_30default_config_static_selectorELNS0_4arch9wavefront6targetE0EEEvT1_,@function
_ZN7rocprim17ROCPRIM_400000_NS6detail17trampoline_kernelINS0_14default_configENS1_27scan_by_key_config_selectorIiiEEZZNS1_16scan_by_key_implILNS1_25lookback_scan_determinismE0ELb0ES3_N6thrust23THRUST_200600_302600_NS6detail15normal_iteratorINS9_10device_ptrIiEEEESE_SE_iNS9_10multipliesIiEENS9_8equal_toIiEEiEE10hipError_tPvRmT2_T3_T4_T5_mT6_T7_P12ihipStream_tbENKUlT_T0_E_clISt17integral_constantIbLb0EESY_IbLb1EEEEDaSU_SV_EUlSU_E_NS1_11comp_targetILNS1_3genE0ELNS1_11target_archE4294967295ELNS1_3gpuE0ELNS1_3repE0EEENS1_30default_config_static_selectorELNS0_4arch9wavefront6targetE0EEEvT1_: ; @_ZN7rocprim17ROCPRIM_400000_NS6detail17trampoline_kernelINS0_14default_configENS1_27scan_by_key_config_selectorIiiEEZZNS1_16scan_by_key_implILNS1_25lookback_scan_determinismE0ELb0ES3_N6thrust23THRUST_200600_302600_NS6detail15normal_iteratorINS9_10device_ptrIiEEEESE_SE_iNS9_10multipliesIiEENS9_8equal_toIiEEiEE10hipError_tPvRmT2_T3_T4_T5_mT6_T7_P12ihipStream_tbENKUlT_T0_E_clISt17integral_constantIbLb0EESY_IbLb1EEEEDaSU_SV_EUlSU_E_NS1_11comp_targetILNS1_3genE0ELNS1_11target_archE4294967295ELNS1_3gpuE0ELNS1_3repE0EEENS1_30default_config_static_selectorELNS0_4arch9wavefront6targetE0EEEvT1_
; %bb.0:
	.section	.rodata,"a",@progbits
	.p2align	6, 0x0
	.amdhsa_kernel _ZN7rocprim17ROCPRIM_400000_NS6detail17trampoline_kernelINS0_14default_configENS1_27scan_by_key_config_selectorIiiEEZZNS1_16scan_by_key_implILNS1_25lookback_scan_determinismE0ELb0ES3_N6thrust23THRUST_200600_302600_NS6detail15normal_iteratorINS9_10device_ptrIiEEEESE_SE_iNS9_10multipliesIiEENS9_8equal_toIiEEiEE10hipError_tPvRmT2_T3_T4_T5_mT6_T7_P12ihipStream_tbENKUlT_T0_E_clISt17integral_constantIbLb0EESY_IbLb1EEEEDaSU_SV_EUlSU_E_NS1_11comp_targetILNS1_3genE0ELNS1_11target_archE4294967295ELNS1_3gpuE0ELNS1_3repE0EEENS1_30default_config_static_selectorELNS0_4arch9wavefront6targetE0EEEvT1_
		.amdhsa_group_segment_fixed_size 0
		.amdhsa_private_segment_fixed_size 0
		.amdhsa_kernarg_size 112
		.amdhsa_user_sgpr_count 6
		.amdhsa_user_sgpr_private_segment_buffer 1
		.amdhsa_user_sgpr_dispatch_ptr 0
		.amdhsa_user_sgpr_queue_ptr 0
		.amdhsa_user_sgpr_kernarg_segment_ptr 1
		.amdhsa_user_sgpr_dispatch_id 0
		.amdhsa_user_sgpr_flat_scratch_init 0
		.amdhsa_user_sgpr_private_segment_size 0
		.amdhsa_wavefront_size32 1
		.amdhsa_uses_dynamic_stack 0
		.amdhsa_system_sgpr_private_segment_wavefront_offset 0
		.amdhsa_system_sgpr_workgroup_id_x 1
		.amdhsa_system_sgpr_workgroup_id_y 0
		.amdhsa_system_sgpr_workgroup_id_z 0
		.amdhsa_system_sgpr_workgroup_info 0
		.amdhsa_system_vgpr_workitem_id 0
		.amdhsa_next_free_vgpr 1
		.amdhsa_next_free_sgpr 1
		.amdhsa_reserve_vcc 0
		.amdhsa_reserve_flat_scratch 0
		.amdhsa_float_round_mode_32 0
		.amdhsa_float_round_mode_16_64 0
		.amdhsa_float_denorm_mode_32 3
		.amdhsa_float_denorm_mode_16_64 3
		.amdhsa_dx10_clamp 1
		.amdhsa_ieee_mode 1
		.amdhsa_fp16_overflow 0
		.amdhsa_workgroup_processor_mode 1
		.amdhsa_memory_ordered 1
		.amdhsa_forward_progress 1
		.amdhsa_shared_vgpr_count 0
		.amdhsa_exception_fp_ieee_invalid_op 0
		.amdhsa_exception_fp_denorm_src 0
		.amdhsa_exception_fp_ieee_div_zero 0
		.amdhsa_exception_fp_ieee_overflow 0
		.amdhsa_exception_fp_ieee_underflow 0
		.amdhsa_exception_fp_ieee_inexact 0
		.amdhsa_exception_int_div_zero 0
	.end_amdhsa_kernel
	.section	.text._ZN7rocprim17ROCPRIM_400000_NS6detail17trampoline_kernelINS0_14default_configENS1_27scan_by_key_config_selectorIiiEEZZNS1_16scan_by_key_implILNS1_25lookback_scan_determinismE0ELb0ES3_N6thrust23THRUST_200600_302600_NS6detail15normal_iteratorINS9_10device_ptrIiEEEESE_SE_iNS9_10multipliesIiEENS9_8equal_toIiEEiEE10hipError_tPvRmT2_T3_T4_T5_mT6_T7_P12ihipStream_tbENKUlT_T0_E_clISt17integral_constantIbLb0EESY_IbLb1EEEEDaSU_SV_EUlSU_E_NS1_11comp_targetILNS1_3genE0ELNS1_11target_archE4294967295ELNS1_3gpuE0ELNS1_3repE0EEENS1_30default_config_static_selectorELNS0_4arch9wavefront6targetE0EEEvT1_,"axG",@progbits,_ZN7rocprim17ROCPRIM_400000_NS6detail17trampoline_kernelINS0_14default_configENS1_27scan_by_key_config_selectorIiiEEZZNS1_16scan_by_key_implILNS1_25lookback_scan_determinismE0ELb0ES3_N6thrust23THRUST_200600_302600_NS6detail15normal_iteratorINS9_10device_ptrIiEEEESE_SE_iNS9_10multipliesIiEENS9_8equal_toIiEEiEE10hipError_tPvRmT2_T3_T4_T5_mT6_T7_P12ihipStream_tbENKUlT_T0_E_clISt17integral_constantIbLb0EESY_IbLb1EEEEDaSU_SV_EUlSU_E_NS1_11comp_targetILNS1_3genE0ELNS1_11target_archE4294967295ELNS1_3gpuE0ELNS1_3repE0EEENS1_30default_config_static_selectorELNS0_4arch9wavefront6targetE0EEEvT1_,comdat
.Lfunc_end191:
	.size	_ZN7rocprim17ROCPRIM_400000_NS6detail17trampoline_kernelINS0_14default_configENS1_27scan_by_key_config_selectorIiiEEZZNS1_16scan_by_key_implILNS1_25lookback_scan_determinismE0ELb0ES3_N6thrust23THRUST_200600_302600_NS6detail15normal_iteratorINS9_10device_ptrIiEEEESE_SE_iNS9_10multipliesIiEENS9_8equal_toIiEEiEE10hipError_tPvRmT2_T3_T4_T5_mT6_T7_P12ihipStream_tbENKUlT_T0_E_clISt17integral_constantIbLb0EESY_IbLb1EEEEDaSU_SV_EUlSU_E_NS1_11comp_targetILNS1_3genE0ELNS1_11target_archE4294967295ELNS1_3gpuE0ELNS1_3repE0EEENS1_30default_config_static_selectorELNS0_4arch9wavefront6targetE0EEEvT1_, .Lfunc_end191-_ZN7rocprim17ROCPRIM_400000_NS6detail17trampoline_kernelINS0_14default_configENS1_27scan_by_key_config_selectorIiiEEZZNS1_16scan_by_key_implILNS1_25lookback_scan_determinismE0ELb0ES3_N6thrust23THRUST_200600_302600_NS6detail15normal_iteratorINS9_10device_ptrIiEEEESE_SE_iNS9_10multipliesIiEENS9_8equal_toIiEEiEE10hipError_tPvRmT2_T3_T4_T5_mT6_T7_P12ihipStream_tbENKUlT_T0_E_clISt17integral_constantIbLb0EESY_IbLb1EEEEDaSU_SV_EUlSU_E_NS1_11comp_targetILNS1_3genE0ELNS1_11target_archE4294967295ELNS1_3gpuE0ELNS1_3repE0EEENS1_30default_config_static_selectorELNS0_4arch9wavefront6targetE0EEEvT1_
                                        ; -- End function
	.set _ZN7rocprim17ROCPRIM_400000_NS6detail17trampoline_kernelINS0_14default_configENS1_27scan_by_key_config_selectorIiiEEZZNS1_16scan_by_key_implILNS1_25lookback_scan_determinismE0ELb0ES3_N6thrust23THRUST_200600_302600_NS6detail15normal_iteratorINS9_10device_ptrIiEEEESE_SE_iNS9_10multipliesIiEENS9_8equal_toIiEEiEE10hipError_tPvRmT2_T3_T4_T5_mT6_T7_P12ihipStream_tbENKUlT_T0_E_clISt17integral_constantIbLb0EESY_IbLb1EEEEDaSU_SV_EUlSU_E_NS1_11comp_targetILNS1_3genE0ELNS1_11target_archE4294967295ELNS1_3gpuE0ELNS1_3repE0EEENS1_30default_config_static_selectorELNS0_4arch9wavefront6targetE0EEEvT1_.num_vgpr, 0
	.set _ZN7rocprim17ROCPRIM_400000_NS6detail17trampoline_kernelINS0_14default_configENS1_27scan_by_key_config_selectorIiiEEZZNS1_16scan_by_key_implILNS1_25lookback_scan_determinismE0ELb0ES3_N6thrust23THRUST_200600_302600_NS6detail15normal_iteratorINS9_10device_ptrIiEEEESE_SE_iNS9_10multipliesIiEENS9_8equal_toIiEEiEE10hipError_tPvRmT2_T3_T4_T5_mT6_T7_P12ihipStream_tbENKUlT_T0_E_clISt17integral_constantIbLb0EESY_IbLb1EEEEDaSU_SV_EUlSU_E_NS1_11comp_targetILNS1_3genE0ELNS1_11target_archE4294967295ELNS1_3gpuE0ELNS1_3repE0EEENS1_30default_config_static_selectorELNS0_4arch9wavefront6targetE0EEEvT1_.num_agpr, 0
	.set _ZN7rocprim17ROCPRIM_400000_NS6detail17trampoline_kernelINS0_14default_configENS1_27scan_by_key_config_selectorIiiEEZZNS1_16scan_by_key_implILNS1_25lookback_scan_determinismE0ELb0ES3_N6thrust23THRUST_200600_302600_NS6detail15normal_iteratorINS9_10device_ptrIiEEEESE_SE_iNS9_10multipliesIiEENS9_8equal_toIiEEiEE10hipError_tPvRmT2_T3_T4_T5_mT6_T7_P12ihipStream_tbENKUlT_T0_E_clISt17integral_constantIbLb0EESY_IbLb1EEEEDaSU_SV_EUlSU_E_NS1_11comp_targetILNS1_3genE0ELNS1_11target_archE4294967295ELNS1_3gpuE0ELNS1_3repE0EEENS1_30default_config_static_selectorELNS0_4arch9wavefront6targetE0EEEvT1_.numbered_sgpr, 0
	.set _ZN7rocprim17ROCPRIM_400000_NS6detail17trampoline_kernelINS0_14default_configENS1_27scan_by_key_config_selectorIiiEEZZNS1_16scan_by_key_implILNS1_25lookback_scan_determinismE0ELb0ES3_N6thrust23THRUST_200600_302600_NS6detail15normal_iteratorINS9_10device_ptrIiEEEESE_SE_iNS9_10multipliesIiEENS9_8equal_toIiEEiEE10hipError_tPvRmT2_T3_T4_T5_mT6_T7_P12ihipStream_tbENKUlT_T0_E_clISt17integral_constantIbLb0EESY_IbLb1EEEEDaSU_SV_EUlSU_E_NS1_11comp_targetILNS1_3genE0ELNS1_11target_archE4294967295ELNS1_3gpuE0ELNS1_3repE0EEENS1_30default_config_static_selectorELNS0_4arch9wavefront6targetE0EEEvT1_.num_named_barrier, 0
	.set _ZN7rocprim17ROCPRIM_400000_NS6detail17trampoline_kernelINS0_14default_configENS1_27scan_by_key_config_selectorIiiEEZZNS1_16scan_by_key_implILNS1_25lookback_scan_determinismE0ELb0ES3_N6thrust23THRUST_200600_302600_NS6detail15normal_iteratorINS9_10device_ptrIiEEEESE_SE_iNS9_10multipliesIiEENS9_8equal_toIiEEiEE10hipError_tPvRmT2_T3_T4_T5_mT6_T7_P12ihipStream_tbENKUlT_T0_E_clISt17integral_constantIbLb0EESY_IbLb1EEEEDaSU_SV_EUlSU_E_NS1_11comp_targetILNS1_3genE0ELNS1_11target_archE4294967295ELNS1_3gpuE0ELNS1_3repE0EEENS1_30default_config_static_selectorELNS0_4arch9wavefront6targetE0EEEvT1_.private_seg_size, 0
	.set _ZN7rocprim17ROCPRIM_400000_NS6detail17trampoline_kernelINS0_14default_configENS1_27scan_by_key_config_selectorIiiEEZZNS1_16scan_by_key_implILNS1_25lookback_scan_determinismE0ELb0ES3_N6thrust23THRUST_200600_302600_NS6detail15normal_iteratorINS9_10device_ptrIiEEEESE_SE_iNS9_10multipliesIiEENS9_8equal_toIiEEiEE10hipError_tPvRmT2_T3_T4_T5_mT6_T7_P12ihipStream_tbENKUlT_T0_E_clISt17integral_constantIbLb0EESY_IbLb1EEEEDaSU_SV_EUlSU_E_NS1_11comp_targetILNS1_3genE0ELNS1_11target_archE4294967295ELNS1_3gpuE0ELNS1_3repE0EEENS1_30default_config_static_selectorELNS0_4arch9wavefront6targetE0EEEvT1_.uses_vcc, 0
	.set _ZN7rocprim17ROCPRIM_400000_NS6detail17trampoline_kernelINS0_14default_configENS1_27scan_by_key_config_selectorIiiEEZZNS1_16scan_by_key_implILNS1_25lookback_scan_determinismE0ELb0ES3_N6thrust23THRUST_200600_302600_NS6detail15normal_iteratorINS9_10device_ptrIiEEEESE_SE_iNS9_10multipliesIiEENS9_8equal_toIiEEiEE10hipError_tPvRmT2_T3_T4_T5_mT6_T7_P12ihipStream_tbENKUlT_T0_E_clISt17integral_constantIbLb0EESY_IbLb1EEEEDaSU_SV_EUlSU_E_NS1_11comp_targetILNS1_3genE0ELNS1_11target_archE4294967295ELNS1_3gpuE0ELNS1_3repE0EEENS1_30default_config_static_selectorELNS0_4arch9wavefront6targetE0EEEvT1_.uses_flat_scratch, 0
	.set _ZN7rocprim17ROCPRIM_400000_NS6detail17trampoline_kernelINS0_14default_configENS1_27scan_by_key_config_selectorIiiEEZZNS1_16scan_by_key_implILNS1_25lookback_scan_determinismE0ELb0ES3_N6thrust23THRUST_200600_302600_NS6detail15normal_iteratorINS9_10device_ptrIiEEEESE_SE_iNS9_10multipliesIiEENS9_8equal_toIiEEiEE10hipError_tPvRmT2_T3_T4_T5_mT6_T7_P12ihipStream_tbENKUlT_T0_E_clISt17integral_constantIbLb0EESY_IbLb1EEEEDaSU_SV_EUlSU_E_NS1_11comp_targetILNS1_3genE0ELNS1_11target_archE4294967295ELNS1_3gpuE0ELNS1_3repE0EEENS1_30default_config_static_selectorELNS0_4arch9wavefront6targetE0EEEvT1_.has_dyn_sized_stack, 0
	.set _ZN7rocprim17ROCPRIM_400000_NS6detail17trampoline_kernelINS0_14default_configENS1_27scan_by_key_config_selectorIiiEEZZNS1_16scan_by_key_implILNS1_25lookback_scan_determinismE0ELb0ES3_N6thrust23THRUST_200600_302600_NS6detail15normal_iteratorINS9_10device_ptrIiEEEESE_SE_iNS9_10multipliesIiEENS9_8equal_toIiEEiEE10hipError_tPvRmT2_T3_T4_T5_mT6_T7_P12ihipStream_tbENKUlT_T0_E_clISt17integral_constantIbLb0EESY_IbLb1EEEEDaSU_SV_EUlSU_E_NS1_11comp_targetILNS1_3genE0ELNS1_11target_archE4294967295ELNS1_3gpuE0ELNS1_3repE0EEENS1_30default_config_static_selectorELNS0_4arch9wavefront6targetE0EEEvT1_.has_recursion, 0
	.set _ZN7rocprim17ROCPRIM_400000_NS6detail17trampoline_kernelINS0_14default_configENS1_27scan_by_key_config_selectorIiiEEZZNS1_16scan_by_key_implILNS1_25lookback_scan_determinismE0ELb0ES3_N6thrust23THRUST_200600_302600_NS6detail15normal_iteratorINS9_10device_ptrIiEEEESE_SE_iNS9_10multipliesIiEENS9_8equal_toIiEEiEE10hipError_tPvRmT2_T3_T4_T5_mT6_T7_P12ihipStream_tbENKUlT_T0_E_clISt17integral_constantIbLb0EESY_IbLb1EEEEDaSU_SV_EUlSU_E_NS1_11comp_targetILNS1_3genE0ELNS1_11target_archE4294967295ELNS1_3gpuE0ELNS1_3repE0EEENS1_30default_config_static_selectorELNS0_4arch9wavefront6targetE0EEEvT1_.has_indirect_call, 0
	.section	.AMDGPU.csdata,"",@progbits
; Kernel info:
; codeLenInByte = 0
; TotalNumSgprs: 0
; NumVgprs: 0
; ScratchSize: 0
; MemoryBound: 0
; FloatMode: 240
; IeeeMode: 1
; LDSByteSize: 0 bytes/workgroup (compile time only)
; SGPRBlocks: 0
; VGPRBlocks: 0
; NumSGPRsForWavesPerEU: 1
; NumVGPRsForWavesPerEU: 1
; Occupancy: 16
; WaveLimiterHint : 0
; COMPUTE_PGM_RSRC2:SCRATCH_EN: 0
; COMPUTE_PGM_RSRC2:USER_SGPR: 6
; COMPUTE_PGM_RSRC2:TRAP_HANDLER: 0
; COMPUTE_PGM_RSRC2:TGID_X_EN: 1
; COMPUTE_PGM_RSRC2:TGID_Y_EN: 0
; COMPUTE_PGM_RSRC2:TGID_Z_EN: 0
; COMPUTE_PGM_RSRC2:TIDIG_COMP_CNT: 0
	.section	.text._ZN7rocprim17ROCPRIM_400000_NS6detail17trampoline_kernelINS0_14default_configENS1_27scan_by_key_config_selectorIiiEEZZNS1_16scan_by_key_implILNS1_25lookback_scan_determinismE0ELb0ES3_N6thrust23THRUST_200600_302600_NS6detail15normal_iteratorINS9_10device_ptrIiEEEESE_SE_iNS9_10multipliesIiEENS9_8equal_toIiEEiEE10hipError_tPvRmT2_T3_T4_T5_mT6_T7_P12ihipStream_tbENKUlT_T0_E_clISt17integral_constantIbLb0EESY_IbLb1EEEEDaSU_SV_EUlSU_E_NS1_11comp_targetILNS1_3genE10ELNS1_11target_archE1201ELNS1_3gpuE5ELNS1_3repE0EEENS1_30default_config_static_selectorELNS0_4arch9wavefront6targetE0EEEvT1_,"axG",@progbits,_ZN7rocprim17ROCPRIM_400000_NS6detail17trampoline_kernelINS0_14default_configENS1_27scan_by_key_config_selectorIiiEEZZNS1_16scan_by_key_implILNS1_25lookback_scan_determinismE0ELb0ES3_N6thrust23THRUST_200600_302600_NS6detail15normal_iteratorINS9_10device_ptrIiEEEESE_SE_iNS9_10multipliesIiEENS9_8equal_toIiEEiEE10hipError_tPvRmT2_T3_T4_T5_mT6_T7_P12ihipStream_tbENKUlT_T0_E_clISt17integral_constantIbLb0EESY_IbLb1EEEEDaSU_SV_EUlSU_E_NS1_11comp_targetILNS1_3genE10ELNS1_11target_archE1201ELNS1_3gpuE5ELNS1_3repE0EEENS1_30default_config_static_selectorELNS0_4arch9wavefront6targetE0EEEvT1_,comdat
	.protected	_ZN7rocprim17ROCPRIM_400000_NS6detail17trampoline_kernelINS0_14default_configENS1_27scan_by_key_config_selectorIiiEEZZNS1_16scan_by_key_implILNS1_25lookback_scan_determinismE0ELb0ES3_N6thrust23THRUST_200600_302600_NS6detail15normal_iteratorINS9_10device_ptrIiEEEESE_SE_iNS9_10multipliesIiEENS9_8equal_toIiEEiEE10hipError_tPvRmT2_T3_T4_T5_mT6_T7_P12ihipStream_tbENKUlT_T0_E_clISt17integral_constantIbLb0EESY_IbLb1EEEEDaSU_SV_EUlSU_E_NS1_11comp_targetILNS1_3genE10ELNS1_11target_archE1201ELNS1_3gpuE5ELNS1_3repE0EEENS1_30default_config_static_selectorELNS0_4arch9wavefront6targetE0EEEvT1_ ; -- Begin function _ZN7rocprim17ROCPRIM_400000_NS6detail17trampoline_kernelINS0_14default_configENS1_27scan_by_key_config_selectorIiiEEZZNS1_16scan_by_key_implILNS1_25lookback_scan_determinismE0ELb0ES3_N6thrust23THRUST_200600_302600_NS6detail15normal_iteratorINS9_10device_ptrIiEEEESE_SE_iNS9_10multipliesIiEENS9_8equal_toIiEEiEE10hipError_tPvRmT2_T3_T4_T5_mT6_T7_P12ihipStream_tbENKUlT_T0_E_clISt17integral_constantIbLb0EESY_IbLb1EEEEDaSU_SV_EUlSU_E_NS1_11comp_targetILNS1_3genE10ELNS1_11target_archE1201ELNS1_3gpuE5ELNS1_3repE0EEENS1_30default_config_static_selectorELNS0_4arch9wavefront6targetE0EEEvT1_
	.globl	_ZN7rocprim17ROCPRIM_400000_NS6detail17trampoline_kernelINS0_14default_configENS1_27scan_by_key_config_selectorIiiEEZZNS1_16scan_by_key_implILNS1_25lookback_scan_determinismE0ELb0ES3_N6thrust23THRUST_200600_302600_NS6detail15normal_iteratorINS9_10device_ptrIiEEEESE_SE_iNS9_10multipliesIiEENS9_8equal_toIiEEiEE10hipError_tPvRmT2_T3_T4_T5_mT6_T7_P12ihipStream_tbENKUlT_T0_E_clISt17integral_constantIbLb0EESY_IbLb1EEEEDaSU_SV_EUlSU_E_NS1_11comp_targetILNS1_3genE10ELNS1_11target_archE1201ELNS1_3gpuE5ELNS1_3repE0EEENS1_30default_config_static_selectorELNS0_4arch9wavefront6targetE0EEEvT1_
	.p2align	8
	.type	_ZN7rocprim17ROCPRIM_400000_NS6detail17trampoline_kernelINS0_14default_configENS1_27scan_by_key_config_selectorIiiEEZZNS1_16scan_by_key_implILNS1_25lookback_scan_determinismE0ELb0ES3_N6thrust23THRUST_200600_302600_NS6detail15normal_iteratorINS9_10device_ptrIiEEEESE_SE_iNS9_10multipliesIiEENS9_8equal_toIiEEiEE10hipError_tPvRmT2_T3_T4_T5_mT6_T7_P12ihipStream_tbENKUlT_T0_E_clISt17integral_constantIbLb0EESY_IbLb1EEEEDaSU_SV_EUlSU_E_NS1_11comp_targetILNS1_3genE10ELNS1_11target_archE1201ELNS1_3gpuE5ELNS1_3repE0EEENS1_30default_config_static_selectorELNS0_4arch9wavefront6targetE0EEEvT1_,@function
_ZN7rocprim17ROCPRIM_400000_NS6detail17trampoline_kernelINS0_14default_configENS1_27scan_by_key_config_selectorIiiEEZZNS1_16scan_by_key_implILNS1_25lookback_scan_determinismE0ELb0ES3_N6thrust23THRUST_200600_302600_NS6detail15normal_iteratorINS9_10device_ptrIiEEEESE_SE_iNS9_10multipliesIiEENS9_8equal_toIiEEiEE10hipError_tPvRmT2_T3_T4_T5_mT6_T7_P12ihipStream_tbENKUlT_T0_E_clISt17integral_constantIbLb0EESY_IbLb1EEEEDaSU_SV_EUlSU_E_NS1_11comp_targetILNS1_3genE10ELNS1_11target_archE1201ELNS1_3gpuE5ELNS1_3repE0EEENS1_30default_config_static_selectorELNS0_4arch9wavefront6targetE0EEEvT1_: ; @_ZN7rocprim17ROCPRIM_400000_NS6detail17trampoline_kernelINS0_14default_configENS1_27scan_by_key_config_selectorIiiEEZZNS1_16scan_by_key_implILNS1_25lookback_scan_determinismE0ELb0ES3_N6thrust23THRUST_200600_302600_NS6detail15normal_iteratorINS9_10device_ptrIiEEEESE_SE_iNS9_10multipliesIiEENS9_8equal_toIiEEiEE10hipError_tPvRmT2_T3_T4_T5_mT6_T7_P12ihipStream_tbENKUlT_T0_E_clISt17integral_constantIbLb0EESY_IbLb1EEEEDaSU_SV_EUlSU_E_NS1_11comp_targetILNS1_3genE10ELNS1_11target_archE1201ELNS1_3gpuE5ELNS1_3repE0EEENS1_30default_config_static_selectorELNS0_4arch9wavefront6targetE0EEEvT1_
; %bb.0:
	.section	.rodata,"a",@progbits
	.p2align	6, 0x0
	.amdhsa_kernel _ZN7rocprim17ROCPRIM_400000_NS6detail17trampoline_kernelINS0_14default_configENS1_27scan_by_key_config_selectorIiiEEZZNS1_16scan_by_key_implILNS1_25lookback_scan_determinismE0ELb0ES3_N6thrust23THRUST_200600_302600_NS6detail15normal_iteratorINS9_10device_ptrIiEEEESE_SE_iNS9_10multipliesIiEENS9_8equal_toIiEEiEE10hipError_tPvRmT2_T3_T4_T5_mT6_T7_P12ihipStream_tbENKUlT_T0_E_clISt17integral_constantIbLb0EESY_IbLb1EEEEDaSU_SV_EUlSU_E_NS1_11comp_targetILNS1_3genE10ELNS1_11target_archE1201ELNS1_3gpuE5ELNS1_3repE0EEENS1_30default_config_static_selectorELNS0_4arch9wavefront6targetE0EEEvT1_
		.amdhsa_group_segment_fixed_size 0
		.amdhsa_private_segment_fixed_size 0
		.amdhsa_kernarg_size 112
		.amdhsa_user_sgpr_count 6
		.amdhsa_user_sgpr_private_segment_buffer 1
		.amdhsa_user_sgpr_dispatch_ptr 0
		.amdhsa_user_sgpr_queue_ptr 0
		.amdhsa_user_sgpr_kernarg_segment_ptr 1
		.amdhsa_user_sgpr_dispatch_id 0
		.amdhsa_user_sgpr_flat_scratch_init 0
		.amdhsa_user_sgpr_private_segment_size 0
		.amdhsa_wavefront_size32 1
		.amdhsa_uses_dynamic_stack 0
		.amdhsa_system_sgpr_private_segment_wavefront_offset 0
		.amdhsa_system_sgpr_workgroup_id_x 1
		.amdhsa_system_sgpr_workgroup_id_y 0
		.amdhsa_system_sgpr_workgroup_id_z 0
		.amdhsa_system_sgpr_workgroup_info 0
		.amdhsa_system_vgpr_workitem_id 0
		.amdhsa_next_free_vgpr 1
		.amdhsa_next_free_sgpr 1
		.amdhsa_reserve_vcc 0
		.amdhsa_reserve_flat_scratch 0
		.amdhsa_float_round_mode_32 0
		.amdhsa_float_round_mode_16_64 0
		.amdhsa_float_denorm_mode_32 3
		.amdhsa_float_denorm_mode_16_64 3
		.amdhsa_dx10_clamp 1
		.amdhsa_ieee_mode 1
		.amdhsa_fp16_overflow 0
		.amdhsa_workgroup_processor_mode 1
		.amdhsa_memory_ordered 1
		.amdhsa_forward_progress 1
		.amdhsa_shared_vgpr_count 0
		.amdhsa_exception_fp_ieee_invalid_op 0
		.amdhsa_exception_fp_denorm_src 0
		.amdhsa_exception_fp_ieee_div_zero 0
		.amdhsa_exception_fp_ieee_overflow 0
		.amdhsa_exception_fp_ieee_underflow 0
		.amdhsa_exception_fp_ieee_inexact 0
		.amdhsa_exception_int_div_zero 0
	.end_amdhsa_kernel
	.section	.text._ZN7rocprim17ROCPRIM_400000_NS6detail17trampoline_kernelINS0_14default_configENS1_27scan_by_key_config_selectorIiiEEZZNS1_16scan_by_key_implILNS1_25lookback_scan_determinismE0ELb0ES3_N6thrust23THRUST_200600_302600_NS6detail15normal_iteratorINS9_10device_ptrIiEEEESE_SE_iNS9_10multipliesIiEENS9_8equal_toIiEEiEE10hipError_tPvRmT2_T3_T4_T5_mT6_T7_P12ihipStream_tbENKUlT_T0_E_clISt17integral_constantIbLb0EESY_IbLb1EEEEDaSU_SV_EUlSU_E_NS1_11comp_targetILNS1_3genE10ELNS1_11target_archE1201ELNS1_3gpuE5ELNS1_3repE0EEENS1_30default_config_static_selectorELNS0_4arch9wavefront6targetE0EEEvT1_,"axG",@progbits,_ZN7rocprim17ROCPRIM_400000_NS6detail17trampoline_kernelINS0_14default_configENS1_27scan_by_key_config_selectorIiiEEZZNS1_16scan_by_key_implILNS1_25lookback_scan_determinismE0ELb0ES3_N6thrust23THRUST_200600_302600_NS6detail15normal_iteratorINS9_10device_ptrIiEEEESE_SE_iNS9_10multipliesIiEENS9_8equal_toIiEEiEE10hipError_tPvRmT2_T3_T4_T5_mT6_T7_P12ihipStream_tbENKUlT_T0_E_clISt17integral_constantIbLb0EESY_IbLb1EEEEDaSU_SV_EUlSU_E_NS1_11comp_targetILNS1_3genE10ELNS1_11target_archE1201ELNS1_3gpuE5ELNS1_3repE0EEENS1_30default_config_static_selectorELNS0_4arch9wavefront6targetE0EEEvT1_,comdat
.Lfunc_end192:
	.size	_ZN7rocprim17ROCPRIM_400000_NS6detail17trampoline_kernelINS0_14default_configENS1_27scan_by_key_config_selectorIiiEEZZNS1_16scan_by_key_implILNS1_25lookback_scan_determinismE0ELb0ES3_N6thrust23THRUST_200600_302600_NS6detail15normal_iteratorINS9_10device_ptrIiEEEESE_SE_iNS9_10multipliesIiEENS9_8equal_toIiEEiEE10hipError_tPvRmT2_T3_T4_T5_mT6_T7_P12ihipStream_tbENKUlT_T0_E_clISt17integral_constantIbLb0EESY_IbLb1EEEEDaSU_SV_EUlSU_E_NS1_11comp_targetILNS1_3genE10ELNS1_11target_archE1201ELNS1_3gpuE5ELNS1_3repE0EEENS1_30default_config_static_selectorELNS0_4arch9wavefront6targetE0EEEvT1_, .Lfunc_end192-_ZN7rocprim17ROCPRIM_400000_NS6detail17trampoline_kernelINS0_14default_configENS1_27scan_by_key_config_selectorIiiEEZZNS1_16scan_by_key_implILNS1_25lookback_scan_determinismE0ELb0ES3_N6thrust23THRUST_200600_302600_NS6detail15normal_iteratorINS9_10device_ptrIiEEEESE_SE_iNS9_10multipliesIiEENS9_8equal_toIiEEiEE10hipError_tPvRmT2_T3_T4_T5_mT6_T7_P12ihipStream_tbENKUlT_T0_E_clISt17integral_constantIbLb0EESY_IbLb1EEEEDaSU_SV_EUlSU_E_NS1_11comp_targetILNS1_3genE10ELNS1_11target_archE1201ELNS1_3gpuE5ELNS1_3repE0EEENS1_30default_config_static_selectorELNS0_4arch9wavefront6targetE0EEEvT1_
                                        ; -- End function
	.set _ZN7rocprim17ROCPRIM_400000_NS6detail17trampoline_kernelINS0_14default_configENS1_27scan_by_key_config_selectorIiiEEZZNS1_16scan_by_key_implILNS1_25lookback_scan_determinismE0ELb0ES3_N6thrust23THRUST_200600_302600_NS6detail15normal_iteratorINS9_10device_ptrIiEEEESE_SE_iNS9_10multipliesIiEENS9_8equal_toIiEEiEE10hipError_tPvRmT2_T3_T4_T5_mT6_T7_P12ihipStream_tbENKUlT_T0_E_clISt17integral_constantIbLb0EESY_IbLb1EEEEDaSU_SV_EUlSU_E_NS1_11comp_targetILNS1_3genE10ELNS1_11target_archE1201ELNS1_3gpuE5ELNS1_3repE0EEENS1_30default_config_static_selectorELNS0_4arch9wavefront6targetE0EEEvT1_.num_vgpr, 0
	.set _ZN7rocprim17ROCPRIM_400000_NS6detail17trampoline_kernelINS0_14default_configENS1_27scan_by_key_config_selectorIiiEEZZNS1_16scan_by_key_implILNS1_25lookback_scan_determinismE0ELb0ES3_N6thrust23THRUST_200600_302600_NS6detail15normal_iteratorINS9_10device_ptrIiEEEESE_SE_iNS9_10multipliesIiEENS9_8equal_toIiEEiEE10hipError_tPvRmT2_T3_T4_T5_mT6_T7_P12ihipStream_tbENKUlT_T0_E_clISt17integral_constantIbLb0EESY_IbLb1EEEEDaSU_SV_EUlSU_E_NS1_11comp_targetILNS1_3genE10ELNS1_11target_archE1201ELNS1_3gpuE5ELNS1_3repE0EEENS1_30default_config_static_selectorELNS0_4arch9wavefront6targetE0EEEvT1_.num_agpr, 0
	.set _ZN7rocprim17ROCPRIM_400000_NS6detail17trampoline_kernelINS0_14default_configENS1_27scan_by_key_config_selectorIiiEEZZNS1_16scan_by_key_implILNS1_25lookback_scan_determinismE0ELb0ES3_N6thrust23THRUST_200600_302600_NS6detail15normal_iteratorINS9_10device_ptrIiEEEESE_SE_iNS9_10multipliesIiEENS9_8equal_toIiEEiEE10hipError_tPvRmT2_T3_T4_T5_mT6_T7_P12ihipStream_tbENKUlT_T0_E_clISt17integral_constantIbLb0EESY_IbLb1EEEEDaSU_SV_EUlSU_E_NS1_11comp_targetILNS1_3genE10ELNS1_11target_archE1201ELNS1_3gpuE5ELNS1_3repE0EEENS1_30default_config_static_selectorELNS0_4arch9wavefront6targetE0EEEvT1_.numbered_sgpr, 0
	.set _ZN7rocprim17ROCPRIM_400000_NS6detail17trampoline_kernelINS0_14default_configENS1_27scan_by_key_config_selectorIiiEEZZNS1_16scan_by_key_implILNS1_25lookback_scan_determinismE0ELb0ES3_N6thrust23THRUST_200600_302600_NS6detail15normal_iteratorINS9_10device_ptrIiEEEESE_SE_iNS9_10multipliesIiEENS9_8equal_toIiEEiEE10hipError_tPvRmT2_T3_T4_T5_mT6_T7_P12ihipStream_tbENKUlT_T0_E_clISt17integral_constantIbLb0EESY_IbLb1EEEEDaSU_SV_EUlSU_E_NS1_11comp_targetILNS1_3genE10ELNS1_11target_archE1201ELNS1_3gpuE5ELNS1_3repE0EEENS1_30default_config_static_selectorELNS0_4arch9wavefront6targetE0EEEvT1_.num_named_barrier, 0
	.set _ZN7rocprim17ROCPRIM_400000_NS6detail17trampoline_kernelINS0_14default_configENS1_27scan_by_key_config_selectorIiiEEZZNS1_16scan_by_key_implILNS1_25lookback_scan_determinismE0ELb0ES3_N6thrust23THRUST_200600_302600_NS6detail15normal_iteratorINS9_10device_ptrIiEEEESE_SE_iNS9_10multipliesIiEENS9_8equal_toIiEEiEE10hipError_tPvRmT2_T3_T4_T5_mT6_T7_P12ihipStream_tbENKUlT_T0_E_clISt17integral_constantIbLb0EESY_IbLb1EEEEDaSU_SV_EUlSU_E_NS1_11comp_targetILNS1_3genE10ELNS1_11target_archE1201ELNS1_3gpuE5ELNS1_3repE0EEENS1_30default_config_static_selectorELNS0_4arch9wavefront6targetE0EEEvT1_.private_seg_size, 0
	.set _ZN7rocprim17ROCPRIM_400000_NS6detail17trampoline_kernelINS0_14default_configENS1_27scan_by_key_config_selectorIiiEEZZNS1_16scan_by_key_implILNS1_25lookback_scan_determinismE0ELb0ES3_N6thrust23THRUST_200600_302600_NS6detail15normal_iteratorINS9_10device_ptrIiEEEESE_SE_iNS9_10multipliesIiEENS9_8equal_toIiEEiEE10hipError_tPvRmT2_T3_T4_T5_mT6_T7_P12ihipStream_tbENKUlT_T0_E_clISt17integral_constantIbLb0EESY_IbLb1EEEEDaSU_SV_EUlSU_E_NS1_11comp_targetILNS1_3genE10ELNS1_11target_archE1201ELNS1_3gpuE5ELNS1_3repE0EEENS1_30default_config_static_selectorELNS0_4arch9wavefront6targetE0EEEvT1_.uses_vcc, 0
	.set _ZN7rocprim17ROCPRIM_400000_NS6detail17trampoline_kernelINS0_14default_configENS1_27scan_by_key_config_selectorIiiEEZZNS1_16scan_by_key_implILNS1_25lookback_scan_determinismE0ELb0ES3_N6thrust23THRUST_200600_302600_NS6detail15normal_iteratorINS9_10device_ptrIiEEEESE_SE_iNS9_10multipliesIiEENS9_8equal_toIiEEiEE10hipError_tPvRmT2_T3_T4_T5_mT6_T7_P12ihipStream_tbENKUlT_T0_E_clISt17integral_constantIbLb0EESY_IbLb1EEEEDaSU_SV_EUlSU_E_NS1_11comp_targetILNS1_3genE10ELNS1_11target_archE1201ELNS1_3gpuE5ELNS1_3repE0EEENS1_30default_config_static_selectorELNS0_4arch9wavefront6targetE0EEEvT1_.uses_flat_scratch, 0
	.set _ZN7rocprim17ROCPRIM_400000_NS6detail17trampoline_kernelINS0_14default_configENS1_27scan_by_key_config_selectorIiiEEZZNS1_16scan_by_key_implILNS1_25lookback_scan_determinismE0ELb0ES3_N6thrust23THRUST_200600_302600_NS6detail15normal_iteratorINS9_10device_ptrIiEEEESE_SE_iNS9_10multipliesIiEENS9_8equal_toIiEEiEE10hipError_tPvRmT2_T3_T4_T5_mT6_T7_P12ihipStream_tbENKUlT_T0_E_clISt17integral_constantIbLb0EESY_IbLb1EEEEDaSU_SV_EUlSU_E_NS1_11comp_targetILNS1_3genE10ELNS1_11target_archE1201ELNS1_3gpuE5ELNS1_3repE0EEENS1_30default_config_static_selectorELNS0_4arch9wavefront6targetE0EEEvT1_.has_dyn_sized_stack, 0
	.set _ZN7rocprim17ROCPRIM_400000_NS6detail17trampoline_kernelINS0_14default_configENS1_27scan_by_key_config_selectorIiiEEZZNS1_16scan_by_key_implILNS1_25lookback_scan_determinismE0ELb0ES3_N6thrust23THRUST_200600_302600_NS6detail15normal_iteratorINS9_10device_ptrIiEEEESE_SE_iNS9_10multipliesIiEENS9_8equal_toIiEEiEE10hipError_tPvRmT2_T3_T4_T5_mT6_T7_P12ihipStream_tbENKUlT_T0_E_clISt17integral_constantIbLb0EESY_IbLb1EEEEDaSU_SV_EUlSU_E_NS1_11comp_targetILNS1_3genE10ELNS1_11target_archE1201ELNS1_3gpuE5ELNS1_3repE0EEENS1_30default_config_static_selectorELNS0_4arch9wavefront6targetE0EEEvT1_.has_recursion, 0
	.set _ZN7rocprim17ROCPRIM_400000_NS6detail17trampoline_kernelINS0_14default_configENS1_27scan_by_key_config_selectorIiiEEZZNS1_16scan_by_key_implILNS1_25lookback_scan_determinismE0ELb0ES3_N6thrust23THRUST_200600_302600_NS6detail15normal_iteratorINS9_10device_ptrIiEEEESE_SE_iNS9_10multipliesIiEENS9_8equal_toIiEEiEE10hipError_tPvRmT2_T3_T4_T5_mT6_T7_P12ihipStream_tbENKUlT_T0_E_clISt17integral_constantIbLb0EESY_IbLb1EEEEDaSU_SV_EUlSU_E_NS1_11comp_targetILNS1_3genE10ELNS1_11target_archE1201ELNS1_3gpuE5ELNS1_3repE0EEENS1_30default_config_static_selectorELNS0_4arch9wavefront6targetE0EEEvT1_.has_indirect_call, 0
	.section	.AMDGPU.csdata,"",@progbits
; Kernel info:
; codeLenInByte = 0
; TotalNumSgprs: 0
; NumVgprs: 0
; ScratchSize: 0
; MemoryBound: 0
; FloatMode: 240
; IeeeMode: 1
; LDSByteSize: 0 bytes/workgroup (compile time only)
; SGPRBlocks: 0
; VGPRBlocks: 0
; NumSGPRsForWavesPerEU: 1
; NumVGPRsForWavesPerEU: 1
; Occupancy: 16
; WaveLimiterHint : 0
; COMPUTE_PGM_RSRC2:SCRATCH_EN: 0
; COMPUTE_PGM_RSRC2:USER_SGPR: 6
; COMPUTE_PGM_RSRC2:TRAP_HANDLER: 0
; COMPUTE_PGM_RSRC2:TGID_X_EN: 1
; COMPUTE_PGM_RSRC2:TGID_Y_EN: 0
; COMPUTE_PGM_RSRC2:TGID_Z_EN: 0
; COMPUTE_PGM_RSRC2:TIDIG_COMP_CNT: 0
	.section	.text._ZN7rocprim17ROCPRIM_400000_NS6detail17trampoline_kernelINS0_14default_configENS1_27scan_by_key_config_selectorIiiEEZZNS1_16scan_by_key_implILNS1_25lookback_scan_determinismE0ELb0ES3_N6thrust23THRUST_200600_302600_NS6detail15normal_iteratorINS9_10device_ptrIiEEEESE_SE_iNS9_10multipliesIiEENS9_8equal_toIiEEiEE10hipError_tPvRmT2_T3_T4_T5_mT6_T7_P12ihipStream_tbENKUlT_T0_E_clISt17integral_constantIbLb0EESY_IbLb1EEEEDaSU_SV_EUlSU_E_NS1_11comp_targetILNS1_3genE5ELNS1_11target_archE942ELNS1_3gpuE9ELNS1_3repE0EEENS1_30default_config_static_selectorELNS0_4arch9wavefront6targetE0EEEvT1_,"axG",@progbits,_ZN7rocprim17ROCPRIM_400000_NS6detail17trampoline_kernelINS0_14default_configENS1_27scan_by_key_config_selectorIiiEEZZNS1_16scan_by_key_implILNS1_25lookback_scan_determinismE0ELb0ES3_N6thrust23THRUST_200600_302600_NS6detail15normal_iteratorINS9_10device_ptrIiEEEESE_SE_iNS9_10multipliesIiEENS9_8equal_toIiEEiEE10hipError_tPvRmT2_T3_T4_T5_mT6_T7_P12ihipStream_tbENKUlT_T0_E_clISt17integral_constantIbLb0EESY_IbLb1EEEEDaSU_SV_EUlSU_E_NS1_11comp_targetILNS1_3genE5ELNS1_11target_archE942ELNS1_3gpuE9ELNS1_3repE0EEENS1_30default_config_static_selectorELNS0_4arch9wavefront6targetE0EEEvT1_,comdat
	.protected	_ZN7rocprim17ROCPRIM_400000_NS6detail17trampoline_kernelINS0_14default_configENS1_27scan_by_key_config_selectorIiiEEZZNS1_16scan_by_key_implILNS1_25lookback_scan_determinismE0ELb0ES3_N6thrust23THRUST_200600_302600_NS6detail15normal_iteratorINS9_10device_ptrIiEEEESE_SE_iNS9_10multipliesIiEENS9_8equal_toIiEEiEE10hipError_tPvRmT2_T3_T4_T5_mT6_T7_P12ihipStream_tbENKUlT_T0_E_clISt17integral_constantIbLb0EESY_IbLb1EEEEDaSU_SV_EUlSU_E_NS1_11comp_targetILNS1_3genE5ELNS1_11target_archE942ELNS1_3gpuE9ELNS1_3repE0EEENS1_30default_config_static_selectorELNS0_4arch9wavefront6targetE0EEEvT1_ ; -- Begin function _ZN7rocprim17ROCPRIM_400000_NS6detail17trampoline_kernelINS0_14default_configENS1_27scan_by_key_config_selectorIiiEEZZNS1_16scan_by_key_implILNS1_25lookback_scan_determinismE0ELb0ES3_N6thrust23THRUST_200600_302600_NS6detail15normal_iteratorINS9_10device_ptrIiEEEESE_SE_iNS9_10multipliesIiEENS9_8equal_toIiEEiEE10hipError_tPvRmT2_T3_T4_T5_mT6_T7_P12ihipStream_tbENKUlT_T0_E_clISt17integral_constantIbLb0EESY_IbLb1EEEEDaSU_SV_EUlSU_E_NS1_11comp_targetILNS1_3genE5ELNS1_11target_archE942ELNS1_3gpuE9ELNS1_3repE0EEENS1_30default_config_static_selectorELNS0_4arch9wavefront6targetE0EEEvT1_
	.globl	_ZN7rocprim17ROCPRIM_400000_NS6detail17trampoline_kernelINS0_14default_configENS1_27scan_by_key_config_selectorIiiEEZZNS1_16scan_by_key_implILNS1_25lookback_scan_determinismE0ELb0ES3_N6thrust23THRUST_200600_302600_NS6detail15normal_iteratorINS9_10device_ptrIiEEEESE_SE_iNS9_10multipliesIiEENS9_8equal_toIiEEiEE10hipError_tPvRmT2_T3_T4_T5_mT6_T7_P12ihipStream_tbENKUlT_T0_E_clISt17integral_constantIbLb0EESY_IbLb1EEEEDaSU_SV_EUlSU_E_NS1_11comp_targetILNS1_3genE5ELNS1_11target_archE942ELNS1_3gpuE9ELNS1_3repE0EEENS1_30default_config_static_selectorELNS0_4arch9wavefront6targetE0EEEvT1_
	.p2align	8
	.type	_ZN7rocprim17ROCPRIM_400000_NS6detail17trampoline_kernelINS0_14default_configENS1_27scan_by_key_config_selectorIiiEEZZNS1_16scan_by_key_implILNS1_25lookback_scan_determinismE0ELb0ES3_N6thrust23THRUST_200600_302600_NS6detail15normal_iteratorINS9_10device_ptrIiEEEESE_SE_iNS9_10multipliesIiEENS9_8equal_toIiEEiEE10hipError_tPvRmT2_T3_T4_T5_mT6_T7_P12ihipStream_tbENKUlT_T0_E_clISt17integral_constantIbLb0EESY_IbLb1EEEEDaSU_SV_EUlSU_E_NS1_11comp_targetILNS1_3genE5ELNS1_11target_archE942ELNS1_3gpuE9ELNS1_3repE0EEENS1_30default_config_static_selectorELNS0_4arch9wavefront6targetE0EEEvT1_,@function
_ZN7rocprim17ROCPRIM_400000_NS6detail17trampoline_kernelINS0_14default_configENS1_27scan_by_key_config_selectorIiiEEZZNS1_16scan_by_key_implILNS1_25lookback_scan_determinismE0ELb0ES3_N6thrust23THRUST_200600_302600_NS6detail15normal_iteratorINS9_10device_ptrIiEEEESE_SE_iNS9_10multipliesIiEENS9_8equal_toIiEEiEE10hipError_tPvRmT2_T3_T4_T5_mT6_T7_P12ihipStream_tbENKUlT_T0_E_clISt17integral_constantIbLb0EESY_IbLb1EEEEDaSU_SV_EUlSU_E_NS1_11comp_targetILNS1_3genE5ELNS1_11target_archE942ELNS1_3gpuE9ELNS1_3repE0EEENS1_30default_config_static_selectorELNS0_4arch9wavefront6targetE0EEEvT1_: ; @_ZN7rocprim17ROCPRIM_400000_NS6detail17trampoline_kernelINS0_14default_configENS1_27scan_by_key_config_selectorIiiEEZZNS1_16scan_by_key_implILNS1_25lookback_scan_determinismE0ELb0ES3_N6thrust23THRUST_200600_302600_NS6detail15normal_iteratorINS9_10device_ptrIiEEEESE_SE_iNS9_10multipliesIiEENS9_8equal_toIiEEiEE10hipError_tPvRmT2_T3_T4_T5_mT6_T7_P12ihipStream_tbENKUlT_T0_E_clISt17integral_constantIbLb0EESY_IbLb1EEEEDaSU_SV_EUlSU_E_NS1_11comp_targetILNS1_3genE5ELNS1_11target_archE942ELNS1_3gpuE9ELNS1_3repE0EEENS1_30default_config_static_selectorELNS0_4arch9wavefront6targetE0EEEvT1_
; %bb.0:
	.section	.rodata,"a",@progbits
	.p2align	6, 0x0
	.amdhsa_kernel _ZN7rocprim17ROCPRIM_400000_NS6detail17trampoline_kernelINS0_14default_configENS1_27scan_by_key_config_selectorIiiEEZZNS1_16scan_by_key_implILNS1_25lookback_scan_determinismE0ELb0ES3_N6thrust23THRUST_200600_302600_NS6detail15normal_iteratorINS9_10device_ptrIiEEEESE_SE_iNS9_10multipliesIiEENS9_8equal_toIiEEiEE10hipError_tPvRmT2_T3_T4_T5_mT6_T7_P12ihipStream_tbENKUlT_T0_E_clISt17integral_constantIbLb0EESY_IbLb1EEEEDaSU_SV_EUlSU_E_NS1_11comp_targetILNS1_3genE5ELNS1_11target_archE942ELNS1_3gpuE9ELNS1_3repE0EEENS1_30default_config_static_selectorELNS0_4arch9wavefront6targetE0EEEvT1_
		.amdhsa_group_segment_fixed_size 0
		.amdhsa_private_segment_fixed_size 0
		.amdhsa_kernarg_size 112
		.amdhsa_user_sgpr_count 6
		.amdhsa_user_sgpr_private_segment_buffer 1
		.amdhsa_user_sgpr_dispatch_ptr 0
		.amdhsa_user_sgpr_queue_ptr 0
		.amdhsa_user_sgpr_kernarg_segment_ptr 1
		.amdhsa_user_sgpr_dispatch_id 0
		.amdhsa_user_sgpr_flat_scratch_init 0
		.amdhsa_user_sgpr_private_segment_size 0
		.amdhsa_wavefront_size32 1
		.amdhsa_uses_dynamic_stack 0
		.amdhsa_system_sgpr_private_segment_wavefront_offset 0
		.amdhsa_system_sgpr_workgroup_id_x 1
		.amdhsa_system_sgpr_workgroup_id_y 0
		.amdhsa_system_sgpr_workgroup_id_z 0
		.amdhsa_system_sgpr_workgroup_info 0
		.amdhsa_system_vgpr_workitem_id 0
		.amdhsa_next_free_vgpr 1
		.amdhsa_next_free_sgpr 1
		.amdhsa_reserve_vcc 0
		.amdhsa_reserve_flat_scratch 0
		.amdhsa_float_round_mode_32 0
		.amdhsa_float_round_mode_16_64 0
		.amdhsa_float_denorm_mode_32 3
		.amdhsa_float_denorm_mode_16_64 3
		.amdhsa_dx10_clamp 1
		.amdhsa_ieee_mode 1
		.amdhsa_fp16_overflow 0
		.amdhsa_workgroup_processor_mode 1
		.amdhsa_memory_ordered 1
		.amdhsa_forward_progress 1
		.amdhsa_shared_vgpr_count 0
		.amdhsa_exception_fp_ieee_invalid_op 0
		.amdhsa_exception_fp_denorm_src 0
		.amdhsa_exception_fp_ieee_div_zero 0
		.amdhsa_exception_fp_ieee_overflow 0
		.amdhsa_exception_fp_ieee_underflow 0
		.amdhsa_exception_fp_ieee_inexact 0
		.amdhsa_exception_int_div_zero 0
	.end_amdhsa_kernel
	.section	.text._ZN7rocprim17ROCPRIM_400000_NS6detail17trampoline_kernelINS0_14default_configENS1_27scan_by_key_config_selectorIiiEEZZNS1_16scan_by_key_implILNS1_25lookback_scan_determinismE0ELb0ES3_N6thrust23THRUST_200600_302600_NS6detail15normal_iteratorINS9_10device_ptrIiEEEESE_SE_iNS9_10multipliesIiEENS9_8equal_toIiEEiEE10hipError_tPvRmT2_T3_T4_T5_mT6_T7_P12ihipStream_tbENKUlT_T0_E_clISt17integral_constantIbLb0EESY_IbLb1EEEEDaSU_SV_EUlSU_E_NS1_11comp_targetILNS1_3genE5ELNS1_11target_archE942ELNS1_3gpuE9ELNS1_3repE0EEENS1_30default_config_static_selectorELNS0_4arch9wavefront6targetE0EEEvT1_,"axG",@progbits,_ZN7rocprim17ROCPRIM_400000_NS6detail17trampoline_kernelINS0_14default_configENS1_27scan_by_key_config_selectorIiiEEZZNS1_16scan_by_key_implILNS1_25lookback_scan_determinismE0ELb0ES3_N6thrust23THRUST_200600_302600_NS6detail15normal_iteratorINS9_10device_ptrIiEEEESE_SE_iNS9_10multipliesIiEENS9_8equal_toIiEEiEE10hipError_tPvRmT2_T3_T4_T5_mT6_T7_P12ihipStream_tbENKUlT_T0_E_clISt17integral_constantIbLb0EESY_IbLb1EEEEDaSU_SV_EUlSU_E_NS1_11comp_targetILNS1_3genE5ELNS1_11target_archE942ELNS1_3gpuE9ELNS1_3repE0EEENS1_30default_config_static_selectorELNS0_4arch9wavefront6targetE0EEEvT1_,comdat
.Lfunc_end193:
	.size	_ZN7rocprim17ROCPRIM_400000_NS6detail17trampoline_kernelINS0_14default_configENS1_27scan_by_key_config_selectorIiiEEZZNS1_16scan_by_key_implILNS1_25lookback_scan_determinismE0ELb0ES3_N6thrust23THRUST_200600_302600_NS6detail15normal_iteratorINS9_10device_ptrIiEEEESE_SE_iNS9_10multipliesIiEENS9_8equal_toIiEEiEE10hipError_tPvRmT2_T3_T4_T5_mT6_T7_P12ihipStream_tbENKUlT_T0_E_clISt17integral_constantIbLb0EESY_IbLb1EEEEDaSU_SV_EUlSU_E_NS1_11comp_targetILNS1_3genE5ELNS1_11target_archE942ELNS1_3gpuE9ELNS1_3repE0EEENS1_30default_config_static_selectorELNS0_4arch9wavefront6targetE0EEEvT1_, .Lfunc_end193-_ZN7rocprim17ROCPRIM_400000_NS6detail17trampoline_kernelINS0_14default_configENS1_27scan_by_key_config_selectorIiiEEZZNS1_16scan_by_key_implILNS1_25lookback_scan_determinismE0ELb0ES3_N6thrust23THRUST_200600_302600_NS6detail15normal_iteratorINS9_10device_ptrIiEEEESE_SE_iNS9_10multipliesIiEENS9_8equal_toIiEEiEE10hipError_tPvRmT2_T3_T4_T5_mT6_T7_P12ihipStream_tbENKUlT_T0_E_clISt17integral_constantIbLb0EESY_IbLb1EEEEDaSU_SV_EUlSU_E_NS1_11comp_targetILNS1_3genE5ELNS1_11target_archE942ELNS1_3gpuE9ELNS1_3repE0EEENS1_30default_config_static_selectorELNS0_4arch9wavefront6targetE0EEEvT1_
                                        ; -- End function
	.set _ZN7rocprim17ROCPRIM_400000_NS6detail17trampoline_kernelINS0_14default_configENS1_27scan_by_key_config_selectorIiiEEZZNS1_16scan_by_key_implILNS1_25lookback_scan_determinismE0ELb0ES3_N6thrust23THRUST_200600_302600_NS6detail15normal_iteratorINS9_10device_ptrIiEEEESE_SE_iNS9_10multipliesIiEENS9_8equal_toIiEEiEE10hipError_tPvRmT2_T3_T4_T5_mT6_T7_P12ihipStream_tbENKUlT_T0_E_clISt17integral_constantIbLb0EESY_IbLb1EEEEDaSU_SV_EUlSU_E_NS1_11comp_targetILNS1_3genE5ELNS1_11target_archE942ELNS1_3gpuE9ELNS1_3repE0EEENS1_30default_config_static_selectorELNS0_4arch9wavefront6targetE0EEEvT1_.num_vgpr, 0
	.set _ZN7rocprim17ROCPRIM_400000_NS6detail17trampoline_kernelINS0_14default_configENS1_27scan_by_key_config_selectorIiiEEZZNS1_16scan_by_key_implILNS1_25lookback_scan_determinismE0ELb0ES3_N6thrust23THRUST_200600_302600_NS6detail15normal_iteratorINS9_10device_ptrIiEEEESE_SE_iNS9_10multipliesIiEENS9_8equal_toIiEEiEE10hipError_tPvRmT2_T3_T4_T5_mT6_T7_P12ihipStream_tbENKUlT_T0_E_clISt17integral_constantIbLb0EESY_IbLb1EEEEDaSU_SV_EUlSU_E_NS1_11comp_targetILNS1_3genE5ELNS1_11target_archE942ELNS1_3gpuE9ELNS1_3repE0EEENS1_30default_config_static_selectorELNS0_4arch9wavefront6targetE0EEEvT1_.num_agpr, 0
	.set _ZN7rocprim17ROCPRIM_400000_NS6detail17trampoline_kernelINS0_14default_configENS1_27scan_by_key_config_selectorIiiEEZZNS1_16scan_by_key_implILNS1_25lookback_scan_determinismE0ELb0ES3_N6thrust23THRUST_200600_302600_NS6detail15normal_iteratorINS9_10device_ptrIiEEEESE_SE_iNS9_10multipliesIiEENS9_8equal_toIiEEiEE10hipError_tPvRmT2_T3_T4_T5_mT6_T7_P12ihipStream_tbENKUlT_T0_E_clISt17integral_constantIbLb0EESY_IbLb1EEEEDaSU_SV_EUlSU_E_NS1_11comp_targetILNS1_3genE5ELNS1_11target_archE942ELNS1_3gpuE9ELNS1_3repE0EEENS1_30default_config_static_selectorELNS0_4arch9wavefront6targetE0EEEvT1_.numbered_sgpr, 0
	.set _ZN7rocprim17ROCPRIM_400000_NS6detail17trampoline_kernelINS0_14default_configENS1_27scan_by_key_config_selectorIiiEEZZNS1_16scan_by_key_implILNS1_25lookback_scan_determinismE0ELb0ES3_N6thrust23THRUST_200600_302600_NS6detail15normal_iteratorINS9_10device_ptrIiEEEESE_SE_iNS9_10multipliesIiEENS9_8equal_toIiEEiEE10hipError_tPvRmT2_T3_T4_T5_mT6_T7_P12ihipStream_tbENKUlT_T0_E_clISt17integral_constantIbLb0EESY_IbLb1EEEEDaSU_SV_EUlSU_E_NS1_11comp_targetILNS1_3genE5ELNS1_11target_archE942ELNS1_3gpuE9ELNS1_3repE0EEENS1_30default_config_static_selectorELNS0_4arch9wavefront6targetE0EEEvT1_.num_named_barrier, 0
	.set _ZN7rocprim17ROCPRIM_400000_NS6detail17trampoline_kernelINS0_14default_configENS1_27scan_by_key_config_selectorIiiEEZZNS1_16scan_by_key_implILNS1_25lookback_scan_determinismE0ELb0ES3_N6thrust23THRUST_200600_302600_NS6detail15normal_iteratorINS9_10device_ptrIiEEEESE_SE_iNS9_10multipliesIiEENS9_8equal_toIiEEiEE10hipError_tPvRmT2_T3_T4_T5_mT6_T7_P12ihipStream_tbENKUlT_T0_E_clISt17integral_constantIbLb0EESY_IbLb1EEEEDaSU_SV_EUlSU_E_NS1_11comp_targetILNS1_3genE5ELNS1_11target_archE942ELNS1_3gpuE9ELNS1_3repE0EEENS1_30default_config_static_selectorELNS0_4arch9wavefront6targetE0EEEvT1_.private_seg_size, 0
	.set _ZN7rocprim17ROCPRIM_400000_NS6detail17trampoline_kernelINS0_14default_configENS1_27scan_by_key_config_selectorIiiEEZZNS1_16scan_by_key_implILNS1_25lookback_scan_determinismE0ELb0ES3_N6thrust23THRUST_200600_302600_NS6detail15normal_iteratorINS9_10device_ptrIiEEEESE_SE_iNS9_10multipliesIiEENS9_8equal_toIiEEiEE10hipError_tPvRmT2_T3_T4_T5_mT6_T7_P12ihipStream_tbENKUlT_T0_E_clISt17integral_constantIbLb0EESY_IbLb1EEEEDaSU_SV_EUlSU_E_NS1_11comp_targetILNS1_3genE5ELNS1_11target_archE942ELNS1_3gpuE9ELNS1_3repE0EEENS1_30default_config_static_selectorELNS0_4arch9wavefront6targetE0EEEvT1_.uses_vcc, 0
	.set _ZN7rocprim17ROCPRIM_400000_NS6detail17trampoline_kernelINS0_14default_configENS1_27scan_by_key_config_selectorIiiEEZZNS1_16scan_by_key_implILNS1_25lookback_scan_determinismE0ELb0ES3_N6thrust23THRUST_200600_302600_NS6detail15normal_iteratorINS9_10device_ptrIiEEEESE_SE_iNS9_10multipliesIiEENS9_8equal_toIiEEiEE10hipError_tPvRmT2_T3_T4_T5_mT6_T7_P12ihipStream_tbENKUlT_T0_E_clISt17integral_constantIbLb0EESY_IbLb1EEEEDaSU_SV_EUlSU_E_NS1_11comp_targetILNS1_3genE5ELNS1_11target_archE942ELNS1_3gpuE9ELNS1_3repE0EEENS1_30default_config_static_selectorELNS0_4arch9wavefront6targetE0EEEvT1_.uses_flat_scratch, 0
	.set _ZN7rocprim17ROCPRIM_400000_NS6detail17trampoline_kernelINS0_14default_configENS1_27scan_by_key_config_selectorIiiEEZZNS1_16scan_by_key_implILNS1_25lookback_scan_determinismE0ELb0ES3_N6thrust23THRUST_200600_302600_NS6detail15normal_iteratorINS9_10device_ptrIiEEEESE_SE_iNS9_10multipliesIiEENS9_8equal_toIiEEiEE10hipError_tPvRmT2_T3_T4_T5_mT6_T7_P12ihipStream_tbENKUlT_T0_E_clISt17integral_constantIbLb0EESY_IbLb1EEEEDaSU_SV_EUlSU_E_NS1_11comp_targetILNS1_3genE5ELNS1_11target_archE942ELNS1_3gpuE9ELNS1_3repE0EEENS1_30default_config_static_selectorELNS0_4arch9wavefront6targetE0EEEvT1_.has_dyn_sized_stack, 0
	.set _ZN7rocprim17ROCPRIM_400000_NS6detail17trampoline_kernelINS0_14default_configENS1_27scan_by_key_config_selectorIiiEEZZNS1_16scan_by_key_implILNS1_25lookback_scan_determinismE0ELb0ES3_N6thrust23THRUST_200600_302600_NS6detail15normal_iteratorINS9_10device_ptrIiEEEESE_SE_iNS9_10multipliesIiEENS9_8equal_toIiEEiEE10hipError_tPvRmT2_T3_T4_T5_mT6_T7_P12ihipStream_tbENKUlT_T0_E_clISt17integral_constantIbLb0EESY_IbLb1EEEEDaSU_SV_EUlSU_E_NS1_11comp_targetILNS1_3genE5ELNS1_11target_archE942ELNS1_3gpuE9ELNS1_3repE0EEENS1_30default_config_static_selectorELNS0_4arch9wavefront6targetE0EEEvT1_.has_recursion, 0
	.set _ZN7rocprim17ROCPRIM_400000_NS6detail17trampoline_kernelINS0_14default_configENS1_27scan_by_key_config_selectorIiiEEZZNS1_16scan_by_key_implILNS1_25lookback_scan_determinismE0ELb0ES3_N6thrust23THRUST_200600_302600_NS6detail15normal_iteratorINS9_10device_ptrIiEEEESE_SE_iNS9_10multipliesIiEENS9_8equal_toIiEEiEE10hipError_tPvRmT2_T3_T4_T5_mT6_T7_P12ihipStream_tbENKUlT_T0_E_clISt17integral_constantIbLb0EESY_IbLb1EEEEDaSU_SV_EUlSU_E_NS1_11comp_targetILNS1_3genE5ELNS1_11target_archE942ELNS1_3gpuE9ELNS1_3repE0EEENS1_30default_config_static_selectorELNS0_4arch9wavefront6targetE0EEEvT1_.has_indirect_call, 0
	.section	.AMDGPU.csdata,"",@progbits
; Kernel info:
; codeLenInByte = 0
; TotalNumSgprs: 0
; NumVgprs: 0
; ScratchSize: 0
; MemoryBound: 0
; FloatMode: 240
; IeeeMode: 1
; LDSByteSize: 0 bytes/workgroup (compile time only)
; SGPRBlocks: 0
; VGPRBlocks: 0
; NumSGPRsForWavesPerEU: 1
; NumVGPRsForWavesPerEU: 1
; Occupancy: 16
; WaveLimiterHint : 0
; COMPUTE_PGM_RSRC2:SCRATCH_EN: 0
; COMPUTE_PGM_RSRC2:USER_SGPR: 6
; COMPUTE_PGM_RSRC2:TRAP_HANDLER: 0
; COMPUTE_PGM_RSRC2:TGID_X_EN: 1
; COMPUTE_PGM_RSRC2:TGID_Y_EN: 0
; COMPUTE_PGM_RSRC2:TGID_Z_EN: 0
; COMPUTE_PGM_RSRC2:TIDIG_COMP_CNT: 0
	.section	.text._ZN7rocprim17ROCPRIM_400000_NS6detail17trampoline_kernelINS0_14default_configENS1_27scan_by_key_config_selectorIiiEEZZNS1_16scan_by_key_implILNS1_25lookback_scan_determinismE0ELb0ES3_N6thrust23THRUST_200600_302600_NS6detail15normal_iteratorINS9_10device_ptrIiEEEESE_SE_iNS9_10multipliesIiEENS9_8equal_toIiEEiEE10hipError_tPvRmT2_T3_T4_T5_mT6_T7_P12ihipStream_tbENKUlT_T0_E_clISt17integral_constantIbLb0EESY_IbLb1EEEEDaSU_SV_EUlSU_E_NS1_11comp_targetILNS1_3genE4ELNS1_11target_archE910ELNS1_3gpuE8ELNS1_3repE0EEENS1_30default_config_static_selectorELNS0_4arch9wavefront6targetE0EEEvT1_,"axG",@progbits,_ZN7rocprim17ROCPRIM_400000_NS6detail17trampoline_kernelINS0_14default_configENS1_27scan_by_key_config_selectorIiiEEZZNS1_16scan_by_key_implILNS1_25lookback_scan_determinismE0ELb0ES3_N6thrust23THRUST_200600_302600_NS6detail15normal_iteratorINS9_10device_ptrIiEEEESE_SE_iNS9_10multipliesIiEENS9_8equal_toIiEEiEE10hipError_tPvRmT2_T3_T4_T5_mT6_T7_P12ihipStream_tbENKUlT_T0_E_clISt17integral_constantIbLb0EESY_IbLb1EEEEDaSU_SV_EUlSU_E_NS1_11comp_targetILNS1_3genE4ELNS1_11target_archE910ELNS1_3gpuE8ELNS1_3repE0EEENS1_30default_config_static_selectorELNS0_4arch9wavefront6targetE0EEEvT1_,comdat
	.protected	_ZN7rocprim17ROCPRIM_400000_NS6detail17trampoline_kernelINS0_14default_configENS1_27scan_by_key_config_selectorIiiEEZZNS1_16scan_by_key_implILNS1_25lookback_scan_determinismE0ELb0ES3_N6thrust23THRUST_200600_302600_NS6detail15normal_iteratorINS9_10device_ptrIiEEEESE_SE_iNS9_10multipliesIiEENS9_8equal_toIiEEiEE10hipError_tPvRmT2_T3_T4_T5_mT6_T7_P12ihipStream_tbENKUlT_T0_E_clISt17integral_constantIbLb0EESY_IbLb1EEEEDaSU_SV_EUlSU_E_NS1_11comp_targetILNS1_3genE4ELNS1_11target_archE910ELNS1_3gpuE8ELNS1_3repE0EEENS1_30default_config_static_selectorELNS0_4arch9wavefront6targetE0EEEvT1_ ; -- Begin function _ZN7rocprim17ROCPRIM_400000_NS6detail17trampoline_kernelINS0_14default_configENS1_27scan_by_key_config_selectorIiiEEZZNS1_16scan_by_key_implILNS1_25lookback_scan_determinismE0ELb0ES3_N6thrust23THRUST_200600_302600_NS6detail15normal_iteratorINS9_10device_ptrIiEEEESE_SE_iNS9_10multipliesIiEENS9_8equal_toIiEEiEE10hipError_tPvRmT2_T3_T4_T5_mT6_T7_P12ihipStream_tbENKUlT_T0_E_clISt17integral_constantIbLb0EESY_IbLb1EEEEDaSU_SV_EUlSU_E_NS1_11comp_targetILNS1_3genE4ELNS1_11target_archE910ELNS1_3gpuE8ELNS1_3repE0EEENS1_30default_config_static_selectorELNS0_4arch9wavefront6targetE0EEEvT1_
	.globl	_ZN7rocprim17ROCPRIM_400000_NS6detail17trampoline_kernelINS0_14default_configENS1_27scan_by_key_config_selectorIiiEEZZNS1_16scan_by_key_implILNS1_25lookback_scan_determinismE0ELb0ES3_N6thrust23THRUST_200600_302600_NS6detail15normal_iteratorINS9_10device_ptrIiEEEESE_SE_iNS9_10multipliesIiEENS9_8equal_toIiEEiEE10hipError_tPvRmT2_T3_T4_T5_mT6_T7_P12ihipStream_tbENKUlT_T0_E_clISt17integral_constantIbLb0EESY_IbLb1EEEEDaSU_SV_EUlSU_E_NS1_11comp_targetILNS1_3genE4ELNS1_11target_archE910ELNS1_3gpuE8ELNS1_3repE0EEENS1_30default_config_static_selectorELNS0_4arch9wavefront6targetE0EEEvT1_
	.p2align	8
	.type	_ZN7rocprim17ROCPRIM_400000_NS6detail17trampoline_kernelINS0_14default_configENS1_27scan_by_key_config_selectorIiiEEZZNS1_16scan_by_key_implILNS1_25lookback_scan_determinismE0ELb0ES3_N6thrust23THRUST_200600_302600_NS6detail15normal_iteratorINS9_10device_ptrIiEEEESE_SE_iNS9_10multipliesIiEENS9_8equal_toIiEEiEE10hipError_tPvRmT2_T3_T4_T5_mT6_T7_P12ihipStream_tbENKUlT_T0_E_clISt17integral_constantIbLb0EESY_IbLb1EEEEDaSU_SV_EUlSU_E_NS1_11comp_targetILNS1_3genE4ELNS1_11target_archE910ELNS1_3gpuE8ELNS1_3repE0EEENS1_30default_config_static_selectorELNS0_4arch9wavefront6targetE0EEEvT1_,@function
_ZN7rocprim17ROCPRIM_400000_NS6detail17trampoline_kernelINS0_14default_configENS1_27scan_by_key_config_selectorIiiEEZZNS1_16scan_by_key_implILNS1_25lookback_scan_determinismE0ELb0ES3_N6thrust23THRUST_200600_302600_NS6detail15normal_iteratorINS9_10device_ptrIiEEEESE_SE_iNS9_10multipliesIiEENS9_8equal_toIiEEiEE10hipError_tPvRmT2_T3_T4_T5_mT6_T7_P12ihipStream_tbENKUlT_T0_E_clISt17integral_constantIbLb0EESY_IbLb1EEEEDaSU_SV_EUlSU_E_NS1_11comp_targetILNS1_3genE4ELNS1_11target_archE910ELNS1_3gpuE8ELNS1_3repE0EEENS1_30default_config_static_selectorELNS0_4arch9wavefront6targetE0EEEvT1_: ; @_ZN7rocprim17ROCPRIM_400000_NS6detail17trampoline_kernelINS0_14default_configENS1_27scan_by_key_config_selectorIiiEEZZNS1_16scan_by_key_implILNS1_25lookback_scan_determinismE0ELb0ES3_N6thrust23THRUST_200600_302600_NS6detail15normal_iteratorINS9_10device_ptrIiEEEESE_SE_iNS9_10multipliesIiEENS9_8equal_toIiEEiEE10hipError_tPvRmT2_T3_T4_T5_mT6_T7_P12ihipStream_tbENKUlT_T0_E_clISt17integral_constantIbLb0EESY_IbLb1EEEEDaSU_SV_EUlSU_E_NS1_11comp_targetILNS1_3genE4ELNS1_11target_archE910ELNS1_3gpuE8ELNS1_3repE0EEENS1_30default_config_static_selectorELNS0_4arch9wavefront6targetE0EEEvT1_
; %bb.0:
	.section	.rodata,"a",@progbits
	.p2align	6, 0x0
	.amdhsa_kernel _ZN7rocprim17ROCPRIM_400000_NS6detail17trampoline_kernelINS0_14default_configENS1_27scan_by_key_config_selectorIiiEEZZNS1_16scan_by_key_implILNS1_25lookback_scan_determinismE0ELb0ES3_N6thrust23THRUST_200600_302600_NS6detail15normal_iteratorINS9_10device_ptrIiEEEESE_SE_iNS9_10multipliesIiEENS9_8equal_toIiEEiEE10hipError_tPvRmT2_T3_T4_T5_mT6_T7_P12ihipStream_tbENKUlT_T0_E_clISt17integral_constantIbLb0EESY_IbLb1EEEEDaSU_SV_EUlSU_E_NS1_11comp_targetILNS1_3genE4ELNS1_11target_archE910ELNS1_3gpuE8ELNS1_3repE0EEENS1_30default_config_static_selectorELNS0_4arch9wavefront6targetE0EEEvT1_
		.amdhsa_group_segment_fixed_size 0
		.amdhsa_private_segment_fixed_size 0
		.amdhsa_kernarg_size 112
		.amdhsa_user_sgpr_count 6
		.amdhsa_user_sgpr_private_segment_buffer 1
		.amdhsa_user_sgpr_dispatch_ptr 0
		.amdhsa_user_sgpr_queue_ptr 0
		.amdhsa_user_sgpr_kernarg_segment_ptr 1
		.amdhsa_user_sgpr_dispatch_id 0
		.amdhsa_user_sgpr_flat_scratch_init 0
		.amdhsa_user_sgpr_private_segment_size 0
		.amdhsa_wavefront_size32 1
		.amdhsa_uses_dynamic_stack 0
		.amdhsa_system_sgpr_private_segment_wavefront_offset 0
		.amdhsa_system_sgpr_workgroup_id_x 1
		.amdhsa_system_sgpr_workgroup_id_y 0
		.amdhsa_system_sgpr_workgroup_id_z 0
		.amdhsa_system_sgpr_workgroup_info 0
		.amdhsa_system_vgpr_workitem_id 0
		.amdhsa_next_free_vgpr 1
		.amdhsa_next_free_sgpr 1
		.amdhsa_reserve_vcc 0
		.amdhsa_reserve_flat_scratch 0
		.amdhsa_float_round_mode_32 0
		.amdhsa_float_round_mode_16_64 0
		.amdhsa_float_denorm_mode_32 3
		.amdhsa_float_denorm_mode_16_64 3
		.amdhsa_dx10_clamp 1
		.amdhsa_ieee_mode 1
		.amdhsa_fp16_overflow 0
		.amdhsa_workgroup_processor_mode 1
		.amdhsa_memory_ordered 1
		.amdhsa_forward_progress 1
		.amdhsa_shared_vgpr_count 0
		.amdhsa_exception_fp_ieee_invalid_op 0
		.amdhsa_exception_fp_denorm_src 0
		.amdhsa_exception_fp_ieee_div_zero 0
		.amdhsa_exception_fp_ieee_overflow 0
		.amdhsa_exception_fp_ieee_underflow 0
		.amdhsa_exception_fp_ieee_inexact 0
		.amdhsa_exception_int_div_zero 0
	.end_amdhsa_kernel
	.section	.text._ZN7rocprim17ROCPRIM_400000_NS6detail17trampoline_kernelINS0_14default_configENS1_27scan_by_key_config_selectorIiiEEZZNS1_16scan_by_key_implILNS1_25lookback_scan_determinismE0ELb0ES3_N6thrust23THRUST_200600_302600_NS6detail15normal_iteratorINS9_10device_ptrIiEEEESE_SE_iNS9_10multipliesIiEENS9_8equal_toIiEEiEE10hipError_tPvRmT2_T3_T4_T5_mT6_T7_P12ihipStream_tbENKUlT_T0_E_clISt17integral_constantIbLb0EESY_IbLb1EEEEDaSU_SV_EUlSU_E_NS1_11comp_targetILNS1_3genE4ELNS1_11target_archE910ELNS1_3gpuE8ELNS1_3repE0EEENS1_30default_config_static_selectorELNS0_4arch9wavefront6targetE0EEEvT1_,"axG",@progbits,_ZN7rocprim17ROCPRIM_400000_NS6detail17trampoline_kernelINS0_14default_configENS1_27scan_by_key_config_selectorIiiEEZZNS1_16scan_by_key_implILNS1_25lookback_scan_determinismE0ELb0ES3_N6thrust23THRUST_200600_302600_NS6detail15normal_iteratorINS9_10device_ptrIiEEEESE_SE_iNS9_10multipliesIiEENS9_8equal_toIiEEiEE10hipError_tPvRmT2_T3_T4_T5_mT6_T7_P12ihipStream_tbENKUlT_T0_E_clISt17integral_constantIbLb0EESY_IbLb1EEEEDaSU_SV_EUlSU_E_NS1_11comp_targetILNS1_3genE4ELNS1_11target_archE910ELNS1_3gpuE8ELNS1_3repE0EEENS1_30default_config_static_selectorELNS0_4arch9wavefront6targetE0EEEvT1_,comdat
.Lfunc_end194:
	.size	_ZN7rocprim17ROCPRIM_400000_NS6detail17trampoline_kernelINS0_14default_configENS1_27scan_by_key_config_selectorIiiEEZZNS1_16scan_by_key_implILNS1_25lookback_scan_determinismE0ELb0ES3_N6thrust23THRUST_200600_302600_NS6detail15normal_iteratorINS9_10device_ptrIiEEEESE_SE_iNS9_10multipliesIiEENS9_8equal_toIiEEiEE10hipError_tPvRmT2_T3_T4_T5_mT6_T7_P12ihipStream_tbENKUlT_T0_E_clISt17integral_constantIbLb0EESY_IbLb1EEEEDaSU_SV_EUlSU_E_NS1_11comp_targetILNS1_3genE4ELNS1_11target_archE910ELNS1_3gpuE8ELNS1_3repE0EEENS1_30default_config_static_selectorELNS0_4arch9wavefront6targetE0EEEvT1_, .Lfunc_end194-_ZN7rocprim17ROCPRIM_400000_NS6detail17trampoline_kernelINS0_14default_configENS1_27scan_by_key_config_selectorIiiEEZZNS1_16scan_by_key_implILNS1_25lookback_scan_determinismE0ELb0ES3_N6thrust23THRUST_200600_302600_NS6detail15normal_iteratorINS9_10device_ptrIiEEEESE_SE_iNS9_10multipliesIiEENS9_8equal_toIiEEiEE10hipError_tPvRmT2_T3_T4_T5_mT6_T7_P12ihipStream_tbENKUlT_T0_E_clISt17integral_constantIbLb0EESY_IbLb1EEEEDaSU_SV_EUlSU_E_NS1_11comp_targetILNS1_3genE4ELNS1_11target_archE910ELNS1_3gpuE8ELNS1_3repE0EEENS1_30default_config_static_selectorELNS0_4arch9wavefront6targetE0EEEvT1_
                                        ; -- End function
	.set _ZN7rocprim17ROCPRIM_400000_NS6detail17trampoline_kernelINS0_14default_configENS1_27scan_by_key_config_selectorIiiEEZZNS1_16scan_by_key_implILNS1_25lookback_scan_determinismE0ELb0ES3_N6thrust23THRUST_200600_302600_NS6detail15normal_iteratorINS9_10device_ptrIiEEEESE_SE_iNS9_10multipliesIiEENS9_8equal_toIiEEiEE10hipError_tPvRmT2_T3_T4_T5_mT6_T7_P12ihipStream_tbENKUlT_T0_E_clISt17integral_constantIbLb0EESY_IbLb1EEEEDaSU_SV_EUlSU_E_NS1_11comp_targetILNS1_3genE4ELNS1_11target_archE910ELNS1_3gpuE8ELNS1_3repE0EEENS1_30default_config_static_selectorELNS0_4arch9wavefront6targetE0EEEvT1_.num_vgpr, 0
	.set _ZN7rocprim17ROCPRIM_400000_NS6detail17trampoline_kernelINS0_14default_configENS1_27scan_by_key_config_selectorIiiEEZZNS1_16scan_by_key_implILNS1_25lookback_scan_determinismE0ELb0ES3_N6thrust23THRUST_200600_302600_NS6detail15normal_iteratorINS9_10device_ptrIiEEEESE_SE_iNS9_10multipliesIiEENS9_8equal_toIiEEiEE10hipError_tPvRmT2_T3_T4_T5_mT6_T7_P12ihipStream_tbENKUlT_T0_E_clISt17integral_constantIbLb0EESY_IbLb1EEEEDaSU_SV_EUlSU_E_NS1_11comp_targetILNS1_3genE4ELNS1_11target_archE910ELNS1_3gpuE8ELNS1_3repE0EEENS1_30default_config_static_selectorELNS0_4arch9wavefront6targetE0EEEvT1_.num_agpr, 0
	.set _ZN7rocprim17ROCPRIM_400000_NS6detail17trampoline_kernelINS0_14default_configENS1_27scan_by_key_config_selectorIiiEEZZNS1_16scan_by_key_implILNS1_25lookback_scan_determinismE0ELb0ES3_N6thrust23THRUST_200600_302600_NS6detail15normal_iteratorINS9_10device_ptrIiEEEESE_SE_iNS9_10multipliesIiEENS9_8equal_toIiEEiEE10hipError_tPvRmT2_T3_T4_T5_mT6_T7_P12ihipStream_tbENKUlT_T0_E_clISt17integral_constantIbLb0EESY_IbLb1EEEEDaSU_SV_EUlSU_E_NS1_11comp_targetILNS1_3genE4ELNS1_11target_archE910ELNS1_3gpuE8ELNS1_3repE0EEENS1_30default_config_static_selectorELNS0_4arch9wavefront6targetE0EEEvT1_.numbered_sgpr, 0
	.set _ZN7rocprim17ROCPRIM_400000_NS6detail17trampoline_kernelINS0_14default_configENS1_27scan_by_key_config_selectorIiiEEZZNS1_16scan_by_key_implILNS1_25lookback_scan_determinismE0ELb0ES3_N6thrust23THRUST_200600_302600_NS6detail15normal_iteratorINS9_10device_ptrIiEEEESE_SE_iNS9_10multipliesIiEENS9_8equal_toIiEEiEE10hipError_tPvRmT2_T3_T4_T5_mT6_T7_P12ihipStream_tbENKUlT_T0_E_clISt17integral_constantIbLb0EESY_IbLb1EEEEDaSU_SV_EUlSU_E_NS1_11comp_targetILNS1_3genE4ELNS1_11target_archE910ELNS1_3gpuE8ELNS1_3repE0EEENS1_30default_config_static_selectorELNS0_4arch9wavefront6targetE0EEEvT1_.num_named_barrier, 0
	.set _ZN7rocprim17ROCPRIM_400000_NS6detail17trampoline_kernelINS0_14default_configENS1_27scan_by_key_config_selectorIiiEEZZNS1_16scan_by_key_implILNS1_25lookback_scan_determinismE0ELb0ES3_N6thrust23THRUST_200600_302600_NS6detail15normal_iteratorINS9_10device_ptrIiEEEESE_SE_iNS9_10multipliesIiEENS9_8equal_toIiEEiEE10hipError_tPvRmT2_T3_T4_T5_mT6_T7_P12ihipStream_tbENKUlT_T0_E_clISt17integral_constantIbLb0EESY_IbLb1EEEEDaSU_SV_EUlSU_E_NS1_11comp_targetILNS1_3genE4ELNS1_11target_archE910ELNS1_3gpuE8ELNS1_3repE0EEENS1_30default_config_static_selectorELNS0_4arch9wavefront6targetE0EEEvT1_.private_seg_size, 0
	.set _ZN7rocprim17ROCPRIM_400000_NS6detail17trampoline_kernelINS0_14default_configENS1_27scan_by_key_config_selectorIiiEEZZNS1_16scan_by_key_implILNS1_25lookback_scan_determinismE0ELb0ES3_N6thrust23THRUST_200600_302600_NS6detail15normal_iteratorINS9_10device_ptrIiEEEESE_SE_iNS9_10multipliesIiEENS9_8equal_toIiEEiEE10hipError_tPvRmT2_T3_T4_T5_mT6_T7_P12ihipStream_tbENKUlT_T0_E_clISt17integral_constantIbLb0EESY_IbLb1EEEEDaSU_SV_EUlSU_E_NS1_11comp_targetILNS1_3genE4ELNS1_11target_archE910ELNS1_3gpuE8ELNS1_3repE0EEENS1_30default_config_static_selectorELNS0_4arch9wavefront6targetE0EEEvT1_.uses_vcc, 0
	.set _ZN7rocprim17ROCPRIM_400000_NS6detail17trampoline_kernelINS0_14default_configENS1_27scan_by_key_config_selectorIiiEEZZNS1_16scan_by_key_implILNS1_25lookback_scan_determinismE0ELb0ES3_N6thrust23THRUST_200600_302600_NS6detail15normal_iteratorINS9_10device_ptrIiEEEESE_SE_iNS9_10multipliesIiEENS9_8equal_toIiEEiEE10hipError_tPvRmT2_T3_T4_T5_mT6_T7_P12ihipStream_tbENKUlT_T0_E_clISt17integral_constantIbLb0EESY_IbLb1EEEEDaSU_SV_EUlSU_E_NS1_11comp_targetILNS1_3genE4ELNS1_11target_archE910ELNS1_3gpuE8ELNS1_3repE0EEENS1_30default_config_static_selectorELNS0_4arch9wavefront6targetE0EEEvT1_.uses_flat_scratch, 0
	.set _ZN7rocprim17ROCPRIM_400000_NS6detail17trampoline_kernelINS0_14default_configENS1_27scan_by_key_config_selectorIiiEEZZNS1_16scan_by_key_implILNS1_25lookback_scan_determinismE0ELb0ES3_N6thrust23THRUST_200600_302600_NS6detail15normal_iteratorINS9_10device_ptrIiEEEESE_SE_iNS9_10multipliesIiEENS9_8equal_toIiEEiEE10hipError_tPvRmT2_T3_T4_T5_mT6_T7_P12ihipStream_tbENKUlT_T0_E_clISt17integral_constantIbLb0EESY_IbLb1EEEEDaSU_SV_EUlSU_E_NS1_11comp_targetILNS1_3genE4ELNS1_11target_archE910ELNS1_3gpuE8ELNS1_3repE0EEENS1_30default_config_static_selectorELNS0_4arch9wavefront6targetE0EEEvT1_.has_dyn_sized_stack, 0
	.set _ZN7rocprim17ROCPRIM_400000_NS6detail17trampoline_kernelINS0_14default_configENS1_27scan_by_key_config_selectorIiiEEZZNS1_16scan_by_key_implILNS1_25lookback_scan_determinismE0ELb0ES3_N6thrust23THRUST_200600_302600_NS6detail15normal_iteratorINS9_10device_ptrIiEEEESE_SE_iNS9_10multipliesIiEENS9_8equal_toIiEEiEE10hipError_tPvRmT2_T3_T4_T5_mT6_T7_P12ihipStream_tbENKUlT_T0_E_clISt17integral_constantIbLb0EESY_IbLb1EEEEDaSU_SV_EUlSU_E_NS1_11comp_targetILNS1_3genE4ELNS1_11target_archE910ELNS1_3gpuE8ELNS1_3repE0EEENS1_30default_config_static_selectorELNS0_4arch9wavefront6targetE0EEEvT1_.has_recursion, 0
	.set _ZN7rocprim17ROCPRIM_400000_NS6detail17trampoline_kernelINS0_14default_configENS1_27scan_by_key_config_selectorIiiEEZZNS1_16scan_by_key_implILNS1_25lookback_scan_determinismE0ELb0ES3_N6thrust23THRUST_200600_302600_NS6detail15normal_iteratorINS9_10device_ptrIiEEEESE_SE_iNS9_10multipliesIiEENS9_8equal_toIiEEiEE10hipError_tPvRmT2_T3_T4_T5_mT6_T7_P12ihipStream_tbENKUlT_T0_E_clISt17integral_constantIbLb0EESY_IbLb1EEEEDaSU_SV_EUlSU_E_NS1_11comp_targetILNS1_3genE4ELNS1_11target_archE910ELNS1_3gpuE8ELNS1_3repE0EEENS1_30default_config_static_selectorELNS0_4arch9wavefront6targetE0EEEvT1_.has_indirect_call, 0
	.section	.AMDGPU.csdata,"",@progbits
; Kernel info:
; codeLenInByte = 0
; TotalNumSgprs: 0
; NumVgprs: 0
; ScratchSize: 0
; MemoryBound: 0
; FloatMode: 240
; IeeeMode: 1
; LDSByteSize: 0 bytes/workgroup (compile time only)
; SGPRBlocks: 0
; VGPRBlocks: 0
; NumSGPRsForWavesPerEU: 1
; NumVGPRsForWavesPerEU: 1
; Occupancy: 16
; WaveLimiterHint : 0
; COMPUTE_PGM_RSRC2:SCRATCH_EN: 0
; COMPUTE_PGM_RSRC2:USER_SGPR: 6
; COMPUTE_PGM_RSRC2:TRAP_HANDLER: 0
; COMPUTE_PGM_RSRC2:TGID_X_EN: 1
; COMPUTE_PGM_RSRC2:TGID_Y_EN: 0
; COMPUTE_PGM_RSRC2:TGID_Z_EN: 0
; COMPUTE_PGM_RSRC2:TIDIG_COMP_CNT: 0
	.section	.text._ZN7rocprim17ROCPRIM_400000_NS6detail17trampoline_kernelINS0_14default_configENS1_27scan_by_key_config_selectorIiiEEZZNS1_16scan_by_key_implILNS1_25lookback_scan_determinismE0ELb0ES3_N6thrust23THRUST_200600_302600_NS6detail15normal_iteratorINS9_10device_ptrIiEEEESE_SE_iNS9_10multipliesIiEENS9_8equal_toIiEEiEE10hipError_tPvRmT2_T3_T4_T5_mT6_T7_P12ihipStream_tbENKUlT_T0_E_clISt17integral_constantIbLb0EESY_IbLb1EEEEDaSU_SV_EUlSU_E_NS1_11comp_targetILNS1_3genE3ELNS1_11target_archE908ELNS1_3gpuE7ELNS1_3repE0EEENS1_30default_config_static_selectorELNS0_4arch9wavefront6targetE0EEEvT1_,"axG",@progbits,_ZN7rocprim17ROCPRIM_400000_NS6detail17trampoline_kernelINS0_14default_configENS1_27scan_by_key_config_selectorIiiEEZZNS1_16scan_by_key_implILNS1_25lookback_scan_determinismE0ELb0ES3_N6thrust23THRUST_200600_302600_NS6detail15normal_iteratorINS9_10device_ptrIiEEEESE_SE_iNS9_10multipliesIiEENS9_8equal_toIiEEiEE10hipError_tPvRmT2_T3_T4_T5_mT6_T7_P12ihipStream_tbENKUlT_T0_E_clISt17integral_constantIbLb0EESY_IbLb1EEEEDaSU_SV_EUlSU_E_NS1_11comp_targetILNS1_3genE3ELNS1_11target_archE908ELNS1_3gpuE7ELNS1_3repE0EEENS1_30default_config_static_selectorELNS0_4arch9wavefront6targetE0EEEvT1_,comdat
	.protected	_ZN7rocprim17ROCPRIM_400000_NS6detail17trampoline_kernelINS0_14default_configENS1_27scan_by_key_config_selectorIiiEEZZNS1_16scan_by_key_implILNS1_25lookback_scan_determinismE0ELb0ES3_N6thrust23THRUST_200600_302600_NS6detail15normal_iteratorINS9_10device_ptrIiEEEESE_SE_iNS9_10multipliesIiEENS9_8equal_toIiEEiEE10hipError_tPvRmT2_T3_T4_T5_mT6_T7_P12ihipStream_tbENKUlT_T0_E_clISt17integral_constantIbLb0EESY_IbLb1EEEEDaSU_SV_EUlSU_E_NS1_11comp_targetILNS1_3genE3ELNS1_11target_archE908ELNS1_3gpuE7ELNS1_3repE0EEENS1_30default_config_static_selectorELNS0_4arch9wavefront6targetE0EEEvT1_ ; -- Begin function _ZN7rocprim17ROCPRIM_400000_NS6detail17trampoline_kernelINS0_14default_configENS1_27scan_by_key_config_selectorIiiEEZZNS1_16scan_by_key_implILNS1_25lookback_scan_determinismE0ELb0ES3_N6thrust23THRUST_200600_302600_NS6detail15normal_iteratorINS9_10device_ptrIiEEEESE_SE_iNS9_10multipliesIiEENS9_8equal_toIiEEiEE10hipError_tPvRmT2_T3_T4_T5_mT6_T7_P12ihipStream_tbENKUlT_T0_E_clISt17integral_constantIbLb0EESY_IbLb1EEEEDaSU_SV_EUlSU_E_NS1_11comp_targetILNS1_3genE3ELNS1_11target_archE908ELNS1_3gpuE7ELNS1_3repE0EEENS1_30default_config_static_selectorELNS0_4arch9wavefront6targetE0EEEvT1_
	.globl	_ZN7rocprim17ROCPRIM_400000_NS6detail17trampoline_kernelINS0_14default_configENS1_27scan_by_key_config_selectorIiiEEZZNS1_16scan_by_key_implILNS1_25lookback_scan_determinismE0ELb0ES3_N6thrust23THRUST_200600_302600_NS6detail15normal_iteratorINS9_10device_ptrIiEEEESE_SE_iNS9_10multipliesIiEENS9_8equal_toIiEEiEE10hipError_tPvRmT2_T3_T4_T5_mT6_T7_P12ihipStream_tbENKUlT_T0_E_clISt17integral_constantIbLb0EESY_IbLb1EEEEDaSU_SV_EUlSU_E_NS1_11comp_targetILNS1_3genE3ELNS1_11target_archE908ELNS1_3gpuE7ELNS1_3repE0EEENS1_30default_config_static_selectorELNS0_4arch9wavefront6targetE0EEEvT1_
	.p2align	8
	.type	_ZN7rocprim17ROCPRIM_400000_NS6detail17trampoline_kernelINS0_14default_configENS1_27scan_by_key_config_selectorIiiEEZZNS1_16scan_by_key_implILNS1_25lookback_scan_determinismE0ELb0ES3_N6thrust23THRUST_200600_302600_NS6detail15normal_iteratorINS9_10device_ptrIiEEEESE_SE_iNS9_10multipliesIiEENS9_8equal_toIiEEiEE10hipError_tPvRmT2_T3_T4_T5_mT6_T7_P12ihipStream_tbENKUlT_T0_E_clISt17integral_constantIbLb0EESY_IbLb1EEEEDaSU_SV_EUlSU_E_NS1_11comp_targetILNS1_3genE3ELNS1_11target_archE908ELNS1_3gpuE7ELNS1_3repE0EEENS1_30default_config_static_selectorELNS0_4arch9wavefront6targetE0EEEvT1_,@function
_ZN7rocprim17ROCPRIM_400000_NS6detail17trampoline_kernelINS0_14default_configENS1_27scan_by_key_config_selectorIiiEEZZNS1_16scan_by_key_implILNS1_25lookback_scan_determinismE0ELb0ES3_N6thrust23THRUST_200600_302600_NS6detail15normal_iteratorINS9_10device_ptrIiEEEESE_SE_iNS9_10multipliesIiEENS9_8equal_toIiEEiEE10hipError_tPvRmT2_T3_T4_T5_mT6_T7_P12ihipStream_tbENKUlT_T0_E_clISt17integral_constantIbLb0EESY_IbLb1EEEEDaSU_SV_EUlSU_E_NS1_11comp_targetILNS1_3genE3ELNS1_11target_archE908ELNS1_3gpuE7ELNS1_3repE0EEENS1_30default_config_static_selectorELNS0_4arch9wavefront6targetE0EEEvT1_: ; @_ZN7rocprim17ROCPRIM_400000_NS6detail17trampoline_kernelINS0_14default_configENS1_27scan_by_key_config_selectorIiiEEZZNS1_16scan_by_key_implILNS1_25lookback_scan_determinismE0ELb0ES3_N6thrust23THRUST_200600_302600_NS6detail15normal_iteratorINS9_10device_ptrIiEEEESE_SE_iNS9_10multipliesIiEENS9_8equal_toIiEEiEE10hipError_tPvRmT2_T3_T4_T5_mT6_T7_P12ihipStream_tbENKUlT_T0_E_clISt17integral_constantIbLb0EESY_IbLb1EEEEDaSU_SV_EUlSU_E_NS1_11comp_targetILNS1_3genE3ELNS1_11target_archE908ELNS1_3gpuE7ELNS1_3repE0EEENS1_30default_config_static_selectorELNS0_4arch9wavefront6targetE0EEEvT1_
; %bb.0:
	.section	.rodata,"a",@progbits
	.p2align	6, 0x0
	.amdhsa_kernel _ZN7rocprim17ROCPRIM_400000_NS6detail17trampoline_kernelINS0_14default_configENS1_27scan_by_key_config_selectorIiiEEZZNS1_16scan_by_key_implILNS1_25lookback_scan_determinismE0ELb0ES3_N6thrust23THRUST_200600_302600_NS6detail15normal_iteratorINS9_10device_ptrIiEEEESE_SE_iNS9_10multipliesIiEENS9_8equal_toIiEEiEE10hipError_tPvRmT2_T3_T4_T5_mT6_T7_P12ihipStream_tbENKUlT_T0_E_clISt17integral_constantIbLb0EESY_IbLb1EEEEDaSU_SV_EUlSU_E_NS1_11comp_targetILNS1_3genE3ELNS1_11target_archE908ELNS1_3gpuE7ELNS1_3repE0EEENS1_30default_config_static_selectorELNS0_4arch9wavefront6targetE0EEEvT1_
		.amdhsa_group_segment_fixed_size 0
		.amdhsa_private_segment_fixed_size 0
		.amdhsa_kernarg_size 112
		.amdhsa_user_sgpr_count 6
		.amdhsa_user_sgpr_private_segment_buffer 1
		.amdhsa_user_sgpr_dispatch_ptr 0
		.amdhsa_user_sgpr_queue_ptr 0
		.amdhsa_user_sgpr_kernarg_segment_ptr 1
		.amdhsa_user_sgpr_dispatch_id 0
		.amdhsa_user_sgpr_flat_scratch_init 0
		.amdhsa_user_sgpr_private_segment_size 0
		.amdhsa_wavefront_size32 1
		.amdhsa_uses_dynamic_stack 0
		.amdhsa_system_sgpr_private_segment_wavefront_offset 0
		.amdhsa_system_sgpr_workgroup_id_x 1
		.amdhsa_system_sgpr_workgroup_id_y 0
		.amdhsa_system_sgpr_workgroup_id_z 0
		.amdhsa_system_sgpr_workgroup_info 0
		.amdhsa_system_vgpr_workitem_id 0
		.amdhsa_next_free_vgpr 1
		.amdhsa_next_free_sgpr 1
		.amdhsa_reserve_vcc 0
		.amdhsa_reserve_flat_scratch 0
		.amdhsa_float_round_mode_32 0
		.amdhsa_float_round_mode_16_64 0
		.amdhsa_float_denorm_mode_32 3
		.amdhsa_float_denorm_mode_16_64 3
		.amdhsa_dx10_clamp 1
		.amdhsa_ieee_mode 1
		.amdhsa_fp16_overflow 0
		.amdhsa_workgroup_processor_mode 1
		.amdhsa_memory_ordered 1
		.amdhsa_forward_progress 1
		.amdhsa_shared_vgpr_count 0
		.amdhsa_exception_fp_ieee_invalid_op 0
		.amdhsa_exception_fp_denorm_src 0
		.amdhsa_exception_fp_ieee_div_zero 0
		.amdhsa_exception_fp_ieee_overflow 0
		.amdhsa_exception_fp_ieee_underflow 0
		.amdhsa_exception_fp_ieee_inexact 0
		.amdhsa_exception_int_div_zero 0
	.end_amdhsa_kernel
	.section	.text._ZN7rocprim17ROCPRIM_400000_NS6detail17trampoline_kernelINS0_14default_configENS1_27scan_by_key_config_selectorIiiEEZZNS1_16scan_by_key_implILNS1_25lookback_scan_determinismE0ELb0ES3_N6thrust23THRUST_200600_302600_NS6detail15normal_iteratorINS9_10device_ptrIiEEEESE_SE_iNS9_10multipliesIiEENS9_8equal_toIiEEiEE10hipError_tPvRmT2_T3_T4_T5_mT6_T7_P12ihipStream_tbENKUlT_T0_E_clISt17integral_constantIbLb0EESY_IbLb1EEEEDaSU_SV_EUlSU_E_NS1_11comp_targetILNS1_3genE3ELNS1_11target_archE908ELNS1_3gpuE7ELNS1_3repE0EEENS1_30default_config_static_selectorELNS0_4arch9wavefront6targetE0EEEvT1_,"axG",@progbits,_ZN7rocprim17ROCPRIM_400000_NS6detail17trampoline_kernelINS0_14default_configENS1_27scan_by_key_config_selectorIiiEEZZNS1_16scan_by_key_implILNS1_25lookback_scan_determinismE0ELb0ES3_N6thrust23THRUST_200600_302600_NS6detail15normal_iteratorINS9_10device_ptrIiEEEESE_SE_iNS9_10multipliesIiEENS9_8equal_toIiEEiEE10hipError_tPvRmT2_T3_T4_T5_mT6_T7_P12ihipStream_tbENKUlT_T0_E_clISt17integral_constantIbLb0EESY_IbLb1EEEEDaSU_SV_EUlSU_E_NS1_11comp_targetILNS1_3genE3ELNS1_11target_archE908ELNS1_3gpuE7ELNS1_3repE0EEENS1_30default_config_static_selectorELNS0_4arch9wavefront6targetE0EEEvT1_,comdat
.Lfunc_end195:
	.size	_ZN7rocprim17ROCPRIM_400000_NS6detail17trampoline_kernelINS0_14default_configENS1_27scan_by_key_config_selectorIiiEEZZNS1_16scan_by_key_implILNS1_25lookback_scan_determinismE0ELb0ES3_N6thrust23THRUST_200600_302600_NS6detail15normal_iteratorINS9_10device_ptrIiEEEESE_SE_iNS9_10multipliesIiEENS9_8equal_toIiEEiEE10hipError_tPvRmT2_T3_T4_T5_mT6_T7_P12ihipStream_tbENKUlT_T0_E_clISt17integral_constantIbLb0EESY_IbLb1EEEEDaSU_SV_EUlSU_E_NS1_11comp_targetILNS1_3genE3ELNS1_11target_archE908ELNS1_3gpuE7ELNS1_3repE0EEENS1_30default_config_static_selectorELNS0_4arch9wavefront6targetE0EEEvT1_, .Lfunc_end195-_ZN7rocprim17ROCPRIM_400000_NS6detail17trampoline_kernelINS0_14default_configENS1_27scan_by_key_config_selectorIiiEEZZNS1_16scan_by_key_implILNS1_25lookback_scan_determinismE0ELb0ES3_N6thrust23THRUST_200600_302600_NS6detail15normal_iteratorINS9_10device_ptrIiEEEESE_SE_iNS9_10multipliesIiEENS9_8equal_toIiEEiEE10hipError_tPvRmT2_T3_T4_T5_mT6_T7_P12ihipStream_tbENKUlT_T0_E_clISt17integral_constantIbLb0EESY_IbLb1EEEEDaSU_SV_EUlSU_E_NS1_11comp_targetILNS1_3genE3ELNS1_11target_archE908ELNS1_3gpuE7ELNS1_3repE0EEENS1_30default_config_static_selectorELNS0_4arch9wavefront6targetE0EEEvT1_
                                        ; -- End function
	.set _ZN7rocprim17ROCPRIM_400000_NS6detail17trampoline_kernelINS0_14default_configENS1_27scan_by_key_config_selectorIiiEEZZNS1_16scan_by_key_implILNS1_25lookback_scan_determinismE0ELb0ES3_N6thrust23THRUST_200600_302600_NS6detail15normal_iteratorINS9_10device_ptrIiEEEESE_SE_iNS9_10multipliesIiEENS9_8equal_toIiEEiEE10hipError_tPvRmT2_T3_T4_T5_mT6_T7_P12ihipStream_tbENKUlT_T0_E_clISt17integral_constantIbLb0EESY_IbLb1EEEEDaSU_SV_EUlSU_E_NS1_11comp_targetILNS1_3genE3ELNS1_11target_archE908ELNS1_3gpuE7ELNS1_3repE0EEENS1_30default_config_static_selectorELNS0_4arch9wavefront6targetE0EEEvT1_.num_vgpr, 0
	.set _ZN7rocprim17ROCPRIM_400000_NS6detail17trampoline_kernelINS0_14default_configENS1_27scan_by_key_config_selectorIiiEEZZNS1_16scan_by_key_implILNS1_25lookback_scan_determinismE0ELb0ES3_N6thrust23THRUST_200600_302600_NS6detail15normal_iteratorINS9_10device_ptrIiEEEESE_SE_iNS9_10multipliesIiEENS9_8equal_toIiEEiEE10hipError_tPvRmT2_T3_T4_T5_mT6_T7_P12ihipStream_tbENKUlT_T0_E_clISt17integral_constantIbLb0EESY_IbLb1EEEEDaSU_SV_EUlSU_E_NS1_11comp_targetILNS1_3genE3ELNS1_11target_archE908ELNS1_3gpuE7ELNS1_3repE0EEENS1_30default_config_static_selectorELNS0_4arch9wavefront6targetE0EEEvT1_.num_agpr, 0
	.set _ZN7rocprim17ROCPRIM_400000_NS6detail17trampoline_kernelINS0_14default_configENS1_27scan_by_key_config_selectorIiiEEZZNS1_16scan_by_key_implILNS1_25lookback_scan_determinismE0ELb0ES3_N6thrust23THRUST_200600_302600_NS6detail15normal_iteratorINS9_10device_ptrIiEEEESE_SE_iNS9_10multipliesIiEENS9_8equal_toIiEEiEE10hipError_tPvRmT2_T3_T4_T5_mT6_T7_P12ihipStream_tbENKUlT_T0_E_clISt17integral_constantIbLb0EESY_IbLb1EEEEDaSU_SV_EUlSU_E_NS1_11comp_targetILNS1_3genE3ELNS1_11target_archE908ELNS1_3gpuE7ELNS1_3repE0EEENS1_30default_config_static_selectorELNS0_4arch9wavefront6targetE0EEEvT1_.numbered_sgpr, 0
	.set _ZN7rocprim17ROCPRIM_400000_NS6detail17trampoline_kernelINS0_14default_configENS1_27scan_by_key_config_selectorIiiEEZZNS1_16scan_by_key_implILNS1_25lookback_scan_determinismE0ELb0ES3_N6thrust23THRUST_200600_302600_NS6detail15normal_iteratorINS9_10device_ptrIiEEEESE_SE_iNS9_10multipliesIiEENS9_8equal_toIiEEiEE10hipError_tPvRmT2_T3_T4_T5_mT6_T7_P12ihipStream_tbENKUlT_T0_E_clISt17integral_constantIbLb0EESY_IbLb1EEEEDaSU_SV_EUlSU_E_NS1_11comp_targetILNS1_3genE3ELNS1_11target_archE908ELNS1_3gpuE7ELNS1_3repE0EEENS1_30default_config_static_selectorELNS0_4arch9wavefront6targetE0EEEvT1_.num_named_barrier, 0
	.set _ZN7rocprim17ROCPRIM_400000_NS6detail17trampoline_kernelINS0_14default_configENS1_27scan_by_key_config_selectorIiiEEZZNS1_16scan_by_key_implILNS1_25lookback_scan_determinismE0ELb0ES3_N6thrust23THRUST_200600_302600_NS6detail15normal_iteratorINS9_10device_ptrIiEEEESE_SE_iNS9_10multipliesIiEENS9_8equal_toIiEEiEE10hipError_tPvRmT2_T3_T4_T5_mT6_T7_P12ihipStream_tbENKUlT_T0_E_clISt17integral_constantIbLb0EESY_IbLb1EEEEDaSU_SV_EUlSU_E_NS1_11comp_targetILNS1_3genE3ELNS1_11target_archE908ELNS1_3gpuE7ELNS1_3repE0EEENS1_30default_config_static_selectorELNS0_4arch9wavefront6targetE0EEEvT1_.private_seg_size, 0
	.set _ZN7rocprim17ROCPRIM_400000_NS6detail17trampoline_kernelINS0_14default_configENS1_27scan_by_key_config_selectorIiiEEZZNS1_16scan_by_key_implILNS1_25lookback_scan_determinismE0ELb0ES3_N6thrust23THRUST_200600_302600_NS6detail15normal_iteratorINS9_10device_ptrIiEEEESE_SE_iNS9_10multipliesIiEENS9_8equal_toIiEEiEE10hipError_tPvRmT2_T3_T4_T5_mT6_T7_P12ihipStream_tbENKUlT_T0_E_clISt17integral_constantIbLb0EESY_IbLb1EEEEDaSU_SV_EUlSU_E_NS1_11comp_targetILNS1_3genE3ELNS1_11target_archE908ELNS1_3gpuE7ELNS1_3repE0EEENS1_30default_config_static_selectorELNS0_4arch9wavefront6targetE0EEEvT1_.uses_vcc, 0
	.set _ZN7rocprim17ROCPRIM_400000_NS6detail17trampoline_kernelINS0_14default_configENS1_27scan_by_key_config_selectorIiiEEZZNS1_16scan_by_key_implILNS1_25lookback_scan_determinismE0ELb0ES3_N6thrust23THRUST_200600_302600_NS6detail15normal_iteratorINS9_10device_ptrIiEEEESE_SE_iNS9_10multipliesIiEENS9_8equal_toIiEEiEE10hipError_tPvRmT2_T3_T4_T5_mT6_T7_P12ihipStream_tbENKUlT_T0_E_clISt17integral_constantIbLb0EESY_IbLb1EEEEDaSU_SV_EUlSU_E_NS1_11comp_targetILNS1_3genE3ELNS1_11target_archE908ELNS1_3gpuE7ELNS1_3repE0EEENS1_30default_config_static_selectorELNS0_4arch9wavefront6targetE0EEEvT1_.uses_flat_scratch, 0
	.set _ZN7rocprim17ROCPRIM_400000_NS6detail17trampoline_kernelINS0_14default_configENS1_27scan_by_key_config_selectorIiiEEZZNS1_16scan_by_key_implILNS1_25lookback_scan_determinismE0ELb0ES3_N6thrust23THRUST_200600_302600_NS6detail15normal_iteratorINS9_10device_ptrIiEEEESE_SE_iNS9_10multipliesIiEENS9_8equal_toIiEEiEE10hipError_tPvRmT2_T3_T4_T5_mT6_T7_P12ihipStream_tbENKUlT_T0_E_clISt17integral_constantIbLb0EESY_IbLb1EEEEDaSU_SV_EUlSU_E_NS1_11comp_targetILNS1_3genE3ELNS1_11target_archE908ELNS1_3gpuE7ELNS1_3repE0EEENS1_30default_config_static_selectorELNS0_4arch9wavefront6targetE0EEEvT1_.has_dyn_sized_stack, 0
	.set _ZN7rocprim17ROCPRIM_400000_NS6detail17trampoline_kernelINS0_14default_configENS1_27scan_by_key_config_selectorIiiEEZZNS1_16scan_by_key_implILNS1_25lookback_scan_determinismE0ELb0ES3_N6thrust23THRUST_200600_302600_NS6detail15normal_iteratorINS9_10device_ptrIiEEEESE_SE_iNS9_10multipliesIiEENS9_8equal_toIiEEiEE10hipError_tPvRmT2_T3_T4_T5_mT6_T7_P12ihipStream_tbENKUlT_T0_E_clISt17integral_constantIbLb0EESY_IbLb1EEEEDaSU_SV_EUlSU_E_NS1_11comp_targetILNS1_3genE3ELNS1_11target_archE908ELNS1_3gpuE7ELNS1_3repE0EEENS1_30default_config_static_selectorELNS0_4arch9wavefront6targetE0EEEvT1_.has_recursion, 0
	.set _ZN7rocprim17ROCPRIM_400000_NS6detail17trampoline_kernelINS0_14default_configENS1_27scan_by_key_config_selectorIiiEEZZNS1_16scan_by_key_implILNS1_25lookback_scan_determinismE0ELb0ES3_N6thrust23THRUST_200600_302600_NS6detail15normal_iteratorINS9_10device_ptrIiEEEESE_SE_iNS9_10multipliesIiEENS9_8equal_toIiEEiEE10hipError_tPvRmT2_T3_T4_T5_mT6_T7_P12ihipStream_tbENKUlT_T0_E_clISt17integral_constantIbLb0EESY_IbLb1EEEEDaSU_SV_EUlSU_E_NS1_11comp_targetILNS1_3genE3ELNS1_11target_archE908ELNS1_3gpuE7ELNS1_3repE0EEENS1_30default_config_static_selectorELNS0_4arch9wavefront6targetE0EEEvT1_.has_indirect_call, 0
	.section	.AMDGPU.csdata,"",@progbits
; Kernel info:
; codeLenInByte = 0
; TotalNumSgprs: 0
; NumVgprs: 0
; ScratchSize: 0
; MemoryBound: 0
; FloatMode: 240
; IeeeMode: 1
; LDSByteSize: 0 bytes/workgroup (compile time only)
; SGPRBlocks: 0
; VGPRBlocks: 0
; NumSGPRsForWavesPerEU: 1
; NumVGPRsForWavesPerEU: 1
; Occupancy: 16
; WaveLimiterHint : 0
; COMPUTE_PGM_RSRC2:SCRATCH_EN: 0
; COMPUTE_PGM_RSRC2:USER_SGPR: 6
; COMPUTE_PGM_RSRC2:TRAP_HANDLER: 0
; COMPUTE_PGM_RSRC2:TGID_X_EN: 1
; COMPUTE_PGM_RSRC2:TGID_Y_EN: 0
; COMPUTE_PGM_RSRC2:TGID_Z_EN: 0
; COMPUTE_PGM_RSRC2:TIDIG_COMP_CNT: 0
	.section	.text._ZN7rocprim17ROCPRIM_400000_NS6detail17trampoline_kernelINS0_14default_configENS1_27scan_by_key_config_selectorIiiEEZZNS1_16scan_by_key_implILNS1_25lookback_scan_determinismE0ELb0ES3_N6thrust23THRUST_200600_302600_NS6detail15normal_iteratorINS9_10device_ptrIiEEEESE_SE_iNS9_10multipliesIiEENS9_8equal_toIiEEiEE10hipError_tPvRmT2_T3_T4_T5_mT6_T7_P12ihipStream_tbENKUlT_T0_E_clISt17integral_constantIbLb0EESY_IbLb1EEEEDaSU_SV_EUlSU_E_NS1_11comp_targetILNS1_3genE2ELNS1_11target_archE906ELNS1_3gpuE6ELNS1_3repE0EEENS1_30default_config_static_selectorELNS0_4arch9wavefront6targetE0EEEvT1_,"axG",@progbits,_ZN7rocprim17ROCPRIM_400000_NS6detail17trampoline_kernelINS0_14default_configENS1_27scan_by_key_config_selectorIiiEEZZNS1_16scan_by_key_implILNS1_25lookback_scan_determinismE0ELb0ES3_N6thrust23THRUST_200600_302600_NS6detail15normal_iteratorINS9_10device_ptrIiEEEESE_SE_iNS9_10multipliesIiEENS9_8equal_toIiEEiEE10hipError_tPvRmT2_T3_T4_T5_mT6_T7_P12ihipStream_tbENKUlT_T0_E_clISt17integral_constantIbLb0EESY_IbLb1EEEEDaSU_SV_EUlSU_E_NS1_11comp_targetILNS1_3genE2ELNS1_11target_archE906ELNS1_3gpuE6ELNS1_3repE0EEENS1_30default_config_static_selectorELNS0_4arch9wavefront6targetE0EEEvT1_,comdat
	.protected	_ZN7rocprim17ROCPRIM_400000_NS6detail17trampoline_kernelINS0_14default_configENS1_27scan_by_key_config_selectorIiiEEZZNS1_16scan_by_key_implILNS1_25lookback_scan_determinismE0ELb0ES3_N6thrust23THRUST_200600_302600_NS6detail15normal_iteratorINS9_10device_ptrIiEEEESE_SE_iNS9_10multipliesIiEENS9_8equal_toIiEEiEE10hipError_tPvRmT2_T3_T4_T5_mT6_T7_P12ihipStream_tbENKUlT_T0_E_clISt17integral_constantIbLb0EESY_IbLb1EEEEDaSU_SV_EUlSU_E_NS1_11comp_targetILNS1_3genE2ELNS1_11target_archE906ELNS1_3gpuE6ELNS1_3repE0EEENS1_30default_config_static_selectorELNS0_4arch9wavefront6targetE0EEEvT1_ ; -- Begin function _ZN7rocprim17ROCPRIM_400000_NS6detail17trampoline_kernelINS0_14default_configENS1_27scan_by_key_config_selectorIiiEEZZNS1_16scan_by_key_implILNS1_25lookback_scan_determinismE0ELb0ES3_N6thrust23THRUST_200600_302600_NS6detail15normal_iteratorINS9_10device_ptrIiEEEESE_SE_iNS9_10multipliesIiEENS9_8equal_toIiEEiEE10hipError_tPvRmT2_T3_T4_T5_mT6_T7_P12ihipStream_tbENKUlT_T0_E_clISt17integral_constantIbLb0EESY_IbLb1EEEEDaSU_SV_EUlSU_E_NS1_11comp_targetILNS1_3genE2ELNS1_11target_archE906ELNS1_3gpuE6ELNS1_3repE0EEENS1_30default_config_static_selectorELNS0_4arch9wavefront6targetE0EEEvT1_
	.globl	_ZN7rocprim17ROCPRIM_400000_NS6detail17trampoline_kernelINS0_14default_configENS1_27scan_by_key_config_selectorIiiEEZZNS1_16scan_by_key_implILNS1_25lookback_scan_determinismE0ELb0ES3_N6thrust23THRUST_200600_302600_NS6detail15normal_iteratorINS9_10device_ptrIiEEEESE_SE_iNS9_10multipliesIiEENS9_8equal_toIiEEiEE10hipError_tPvRmT2_T3_T4_T5_mT6_T7_P12ihipStream_tbENKUlT_T0_E_clISt17integral_constantIbLb0EESY_IbLb1EEEEDaSU_SV_EUlSU_E_NS1_11comp_targetILNS1_3genE2ELNS1_11target_archE906ELNS1_3gpuE6ELNS1_3repE0EEENS1_30default_config_static_selectorELNS0_4arch9wavefront6targetE0EEEvT1_
	.p2align	8
	.type	_ZN7rocprim17ROCPRIM_400000_NS6detail17trampoline_kernelINS0_14default_configENS1_27scan_by_key_config_selectorIiiEEZZNS1_16scan_by_key_implILNS1_25lookback_scan_determinismE0ELb0ES3_N6thrust23THRUST_200600_302600_NS6detail15normal_iteratorINS9_10device_ptrIiEEEESE_SE_iNS9_10multipliesIiEENS9_8equal_toIiEEiEE10hipError_tPvRmT2_T3_T4_T5_mT6_T7_P12ihipStream_tbENKUlT_T0_E_clISt17integral_constantIbLb0EESY_IbLb1EEEEDaSU_SV_EUlSU_E_NS1_11comp_targetILNS1_3genE2ELNS1_11target_archE906ELNS1_3gpuE6ELNS1_3repE0EEENS1_30default_config_static_selectorELNS0_4arch9wavefront6targetE0EEEvT1_,@function
_ZN7rocprim17ROCPRIM_400000_NS6detail17trampoline_kernelINS0_14default_configENS1_27scan_by_key_config_selectorIiiEEZZNS1_16scan_by_key_implILNS1_25lookback_scan_determinismE0ELb0ES3_N6thrust23THRUST_200600_302600_NS6detail15normal_iteratorINS9_10device_ptrIiEEEESE_SE_iNS9_10multipliesIiEENS9_8equal_toIiEEiEE10hipError_tPvRmT2_T3_T4_T5_mT6_T7_P12ihipStream_tbENKUlT_T0_E_clISt17integral_constantIbLb0EESY_IbLb1EEEEDaSU_SV_EUlSU_E_NS1_11comp_targetILNS1_3genE2ELNS1_11target_archE906ELNS1_3gpuE6ELNS1_3repE0EEENS1_30default_config_static_selectorELNS0_4arch9wavefront6targetE0EEEvT1_: ; @_ZN7rocprim17ROCPRIM_400000_NS6detail17trampoline_kernelINS0_14default_configENS1_27scan_by_key_config_selectorIiiEEZZNS1_16scan_by_key_implILNS1_25lookback_scan_determinismE0ELb0ES3_N6thrust23THRUST_200600_302600_NS6detail15normal_iteratorINS9_10device_ptrIiEEEESE_SE_iNS9_10multipliesIiEENS9_8equal_toIiEEiEE10hipError_tPvRmT2_T3_T4_T5_mT6_T7_P12ihipStream_tbENKUlT_T0_E_clISt17integral_constantIbLb0EESY_IbLb1EEEEDaSU_SV_EUlSU_E_NS1_11comp_targetILNS1_3genE2ELNS1_11target_archE906ELNS1_3gpuE6ELNS1_3repE0EEENS1_30default_config_static_selectorELNS0_4arch9wavefront6targetE0EEEvT1_
; %bb.0:
	.section	.rodata,"a",@progbits
	.p2align	6, 0x0
	.amdhsa_kernel _ZN7rocprim17ROCPRIM_400000_NS6detail17trampoline_kernelINS0_14default_configENS1_27scan_by_key_config_selectorIiiEEZZNS1_16scan_by_key_implILNS1_25lookback_scan_determinismE0ELb0ES3_N6thrust23THRUST_200600_302600_NS6detail15normal_iteratorINS9_10device_ptrIiEEEESE_SE_iNS9_10multipliesIiEENS9_8equal_toIiEEiEE10hipError_tPvRmT2_T3_T4_T5_mT6_T7_P12ihipStream_tbENKUlT_T0_E_clISt17integral_constantIbLb0EESY_IbLb1EEEEDaSU_SV_EUlSU_E_NS1_11comp_targetILNS1_3genE2ELNS1_11target_archE906ELNS1_3gpuE6ELNS1_3repE0EEENS1_30default_config_static_selectorELNS0_4arch9wavefront6targetE0EEEvT1_
		.amdhsa_group_segment_fixed_size 0
		.amdhsa_private_segment_fixed_size 0
		.amdhsa_kernarg_size 112
		.amdhsa_user_sgpr_count 6
		.amdhsa_user_sgpr_private_segment_buffer 1
		.amdhsa_user_sgpr_dispatch_ptr 0
		.amdhsa_user_sgpr_queue_ptr 0
		.amdhsa_user_sgpr_kernarg_segment_ptr 1
		.amdhsa_user_sgpr_dispatch_id 0
		.amdhsa_user_sgpr_flat_scratch_init 0
		.amdhsa_user_sgpr_private_segment_size 0
		.amdhsa_wavefront_size32 1
		.amdhsa_uses_dynamic_stack 0
		.amdhsa_system_sgpr_private_segment_wavefront_offset 0
		.amdhsa_system_sgpr_workgroup_id_x 1
		.amdhsa_system_sgpr_workgroup_id_y 0
		.amdhsa_system_sgpr_workgroup_id_z 0
		.amdhsa_system_sgpr_workgroup_info 0
		.amdhsa_system_vgpr_workitem_id 0
		.amdhsa_next_free_vgpr 1
		.amdhsa_next_free_sgpr 1
		.amdhsa_reserve_vcc 0
		.amdhsa_reserve_flat_scratch 0
		.amdhsa_float_round_mode_32 0
		.amdhsa_float_round_mode_16_64 0
		.amdhsa_float_denorm_mode_32 3
		.amdhsa_float_denorm_mode_16_64 3
		.amdhsa_dx10_clamp 1
		.amdhsa_ieee_mode 1
		.amdhsa_fp16_overflow 0
		.amdhsa_workgroup_processor_mode 1
		.amdhsa_memory_ordered 1
		.amdhsa_forward_progress 1
		.amdhsa_shared_vgpr_count 0
		.amdhsa_exception_fp_ieee_invalid_op 0
		.amdhsa_exception_fp_denorm_src 0
		.amdhsa_exception_fp_ieee_div_zero 0
		.amdhsa_exception_fp_ieee_overflow 0
		.amdhsa_exception_fp_ieee_underflow 0
		.amdhsa_exception_fp_ieee_inexact 0
		.amdhsa_exception_int_div_zero 0
	.end_amdhsa_kernel
	.section	.text._ZN7rocprim17ROCPRIM_400000_NS6detail17trampoline_kernelINS0_14default_configENS1_27scan_by_key_config_selectorIiiEEZZNS1_16scan_by_key_implILNS1_25lookback_scan_determinismE0ELb0ES3_N6thrust23THRUST_200600_302600_NS6detail15normal_iteratorINS9_10device_ptrIiEEEESE_SE_iNS9_10multipliesIiEENS9_8equal_toIiEEiEE10hipError_tPvRmT2_T3_T4_T5_mT6_T7_P12ihipStream_tbENKUlT_T0_E_clISt17integral_constantIbLb0EESY_IbLb1EEEEDaSU_SV_EUlSU_E_NS1_11comp_targetILNS1_3genE2ELNS1_11target_archE906ELNS1_3gpuE6ELNS1_3repE0EEENS1_30default_config_static_selectorELNS0_4arch9wavefront6targetE0EEEvT1_,"axG",@progbits,_ZN7rocprim17ROCPRIM_400000_NS6detail17trampoline_kernelINS0_14default_configENS1_27scan_by_key_config_selectorIiiEEZZNS1_16scan_by_key_implILNS1_25lookback_scan_determinismE0ELb0ES3_N6thrust23THRUST_200600_302600_NS6detail15normal_iteratorINS9_10device_ptrIiEEEESE_SE_iNS9_10multipliesIiEENS9_8equal_toIiEEiEE10hipError_tPvRmT2_T3_T4_T5_mT6_T7_P12ihipStream_tbENKUlT_T0_E_clISt17integral_constantIbLb0EESY_IbLb1EEEEDaSU_SV_EUlSU_E_NS1_11comp_targetILNS1_3genE2ELNS1_11target_archE906ELNS1_3gpuE6ELNS1_3repE0EEENS1_30default_config_static_selectorELNS0_4arch9wavefront6targetE0EEEvT1_,comdat
.Lfunc_end196:
	.size	_ZN7rocprim17ROCPRIM_400000_NS6detail17trampoline_kernelINS0_14default_configENS1_27scan_by_key_config_selectorIiiEEZZNS1_16scan_by_key_implILNS1_25lookback_scan_determinismE0ELb0ES3_N6thrust23THRUST_200600_302600_NS6detail15normal_iteratorINS9_10device_ptrIiEEEESE_SE_iNS9_10multipliesIiEENS9_8equal_toIiEEiEE10hipError_tPvRmT2_T3_T4_T5_mT6_T7_P12ihipStream_tbENKUlT_T0_E_clISt17integral_constantIbLb0EESY_IbLb1EEEEDaSU_SV_EUlSU_E_NS1_11comp_targetILNS1_3genE2ELNS1_11target_archE906ELNS1_3gpuE6ELNS1_3repE0EEENS1_30default_config_static_selectorELNS0_4arch9wavefront6targetE0EEEvT1_, .Lfunc_end196-_ZN7rocprim17ROCPRIM_400000_NS6detail17trampoline_kernelINS0_14default_configENS1_27scan_by_key_config_selectorIiiEEZZNS1_16scan_by_key_implILNS1_25lookback_scan_determinismE0ELb0ES3_N6thrust23THRUST_200600_302600_NS6detail15normal_iteratorINS9_10device_ptrIiEEEESE_SE_iNS9_10multipliesIiEENS9_8equal_toIiEEiEE10hipError_tPvRmT2_T3_T4_T5_mT6_T7_P12ihipStream_tbENKUlT_T0_E_clISt17integral_constantIbLb0EESY_IbLb1EEEEDaSU_SV_EUlSU_E_NS1_11comp_targetILNS1_3genE2ELNS1_11target_archE906ELNS1_3gpuE6ELNS1_3repE0EEENS1_30default_config_static_selectorELNS0_4arch9wavefront6targetE0EEEvT1_
                                        ; -- End function
	.set _ZN7rocprim17ROCPRIM_400000_NS6detail17trampoline_kernelINS0_14default_configENS1_27scan_by_key_config_selectorIiiEEZZNS1_16scan_by_key_implILNS1_25lookback_scan_determinismE0ELb0ES3_N6thrust23THRUST_200600_302600_NS6detail15normal_iteratorINS9_10device_ptrIiEEEESE_SE_iNS9_10multipliesIiEENS9_8equal_toIiEEiEE10hipError_tPvRmT2_T3_T4_T5_mT6_T7_P12ihipStream_tbENKUlT_T0_E_clISt17integral_constantIbLb0EESY_IbLb1EEEEDaSU_SV_EUlSU_E_NS1_11comp_targetILNS1_3genE2ELNS1_11target_archE906ELNS1_3gpuE6ELNS1_3repE0EEENS1_30default_config_static_selectorELNS0_4arch9wavefront6targetE0EEEvT1_.num_vgpr, 0
	.set _ZN7rocprim17ROCPRIM_400000_NS6detail17trampoline_kernelINS0_14default_configENS1_27scan_by_key_config_selectorIiiEEZZNS1_16scan_by_key_implILNS1_25lookback_scan_determinismE0ELb0ES3_N6thrust23THRUST_200600_302600_NS6detail15normal_iteratorINS9_10device_ptrIiEEEESE_SE_iNS9_10multipliesIiEENS9_8equal_toIiEEiEE10hipError_tPvRmT2_T3_T4_T5_mT6_T7_P12ihipStream_tbENKUlT_T0_E_clISt17integral_constantIbLb0EESY_IbLb1EEEEDaSU_SV_EUlSU_E_NS1_11comp_targetILNS1_3genE2ELNS1_11target_archE906ELNS1_3gpuE6ELNS1_3repE0EEENS1_30default_config_static_selectorELNS0_4arch9wavefront6targetE0EEEvT1_.num_agpr, 0
	.set _ZN7rocprim17ROCPRIM_400000_NS6detail17trampoline_kernelINS0_14default_configENS1_27scan_by_key_config_selectorIiiEEZZNS1_16scan_by_key_implILNS1_25lookback_scan_determinismE0ELb0ES3_N6thrust23THRUST_200600_302600_NS6detail15normal_iteratorINS9_10device_ptrIiEEEESE_SE_iNS9_10multipliesIiEENS9_8equal_toIiEEiEE10hipError_tPvRmT2_T3_T4_T5_mT6_T7_P12ihipStream_tbENKUlT_T0_E_clISt17integral_constantIbLb0EESY_IbLb1EEEEDaSU_SV_EUlSU_E_NS1_11comp_targetILNS1_3genE2ELNS1_11target_archE906ELNS1_3gpuE6ELNS1_3repE0EEENS1_30default_config_static_selectorELNS0_4arch9wavefront6targetE0EEEvT1_.numbered_sgpr, 0
	.set _ZN7rocprim17ROCPRIM_400000_NS6detail17trampoline_kernelINS0_14default_configENS1_27scan_by_key_config_selectorIiiEEZZNS1_16scan_by_key_implILNS1_25lookback_scan_determinismE0ELb0ES3_N6thrust23THRUST_200600_302600_NS6detail15normal_iteratorINS9_10device_ptrIiEEEESE_SE_iNS9_10multipliesIiEENS9_8equal_toIiEEiEE10hipError_tPvRmT2_T3_T4_T5_mT6_T7_P12ihipStream_tbENKUlT_T0_E_clISt17integral_constantIbLb0EESY_IbLb1EEEEDaSU_SV_EUlSU_E_NS1_11comp_targetILNS1_3genE2ELNS1_11target_archE906ELNS1_3gpuE6ELNS1_3repE0EEENS1_30default_config_static_selectorELNS0_4arch9wavefront6targetE0EEEvT1_.num_named_barrier, 0
	.set _ZN7rocprim17ROCPRIM_400000_NS6detail17trampoline_kernelINS0_14default_configENS1_27scan_by_key_config_selectorIiiEEZZNS1_16scan_by_key_implILNS1_25lookback_scan_determinismE0ELb0ES3_N6thrust23THRUST_200600_302600_NS6detail15normal_iteratorINS9_10device_ptrIiEEEESE_SE_iNS9_10multipliesIiEENS9_8equal_toIiEEiEE10hipError_tPvRmT2_T3_T4_T5_mT6_T7_P12ihipStream_tbENKUlT_T0_E_clISt17integral_constantIbLb0EESY_IbLb1EEEEDaSU_SV_EUlSU_E_NS1_11comp_targetILNS1_3genE2ELNS1_11target_archE906ELNS1_3gpuE6ELNS1_3repE0EEENS1_30default_config_static_selectorELNS0_4arch9wavefront6targetE0EEEvT1_.private_seg_size, 0
	.set _ZN7rocprim17ROCPRIM_400000_NS6detail17trampoline_kernelINS0_14default_configENS1_27scan_by_key_config_selectorIiiEEZZNS1_16scan_by_key_implILNS1_25lookback_scan_determinismE0ELb0ES3_N6thrust23THRUST_200600_302600_NS6detail15normal_iteratorINS9_10device_ptrIiEEEESE_SE_iNS9_10multipliesIiEENS9_8equal_toIiEEiEE10hipError_tPvRmT2_T3_T4_T5_mT6_T7_P12ihipStream_tbENKUlT_T0_E_clISt17integral_constantIbLb0EESY_IbLb1EEEEDaSU_SV_EUlSU_E_NS1_11comp_targetILNS1_3genE2ELNS1_11target_archE906ELNS1_3gpuE6ELNS1_3repE0EEENS1_30default_config_static_selectorELNS0_4arch9wavefront6targetE0EEEvT1_.uses_vcc, 0
	.set _ZN7rocprim17ROCPRIM_400000_NS6detail17trampoline_kernelINS0_14default_configENS1_27scan_by_key_config_selectorIiiEEZZNS1_16scan_by_key_implILNS1_25lookback_scan_determinismE0ELb0ES3_N6thrust23THRUST_200600_302600_NS6detail15normal_iteratorINS9_10device_ptrIiEEEESE_SE_iNS9_10multipliesIiEENS9_8equal_toIiEEiEE10hipError_tPvRmT2_T3_T4_T5_mT6_T7_P12ihipStream_tbENKUlT_T0_E_clISt17integral_constantIbLb0EESY_IbLb1EEEEDaSU_SV_EUlSU_E_NS1_11comp_targetILNS1_3genE2ELNS1_11target_archE906ELNS1_3gpuE6ELNS1_3repE0EEENS1_30default_config_static_selectorELNS0_4arch9wavefront6targetE0EEEvT1_.uses_flat_scratch, 0
	.set _ZN7rocprim17ROCPRIM_400000_NS6detail17trampoline_kernelINS0_14default_configENS1_27scan_by_key_config_selectorIiiEEZZNS1_16scan_by_key_implILNS1_25lookback_scan_determinismE0ELb0ES3_N6thrust23THRUST_200600_302600_NS6detail15normal_iteratorINS9_10device_ptrIiEEEESE_SE_iNS9_10multipliesIiEENS9_8equal_toIiEEiEE10hipError_tPvRmT2_T3_T4_T5_mT6_T7_P12ihipStream_tbENKUlT_T0_E_clISt17integral_constantIbLb0EESY_IbLb1EEEEDaSU_SV_EUlSU_E_NS1_11comp_targetILNS1_3genE2ELNS1_11target_archE906ELNS1_3gpuE6ELNS1_3repE0EEENS1_30default_config_static_selectorELNS0_4arch9wavefront6targetE0EEEvT1_.has_dyn_sized_stack, 0
	.set _ZN7rocprim17ROCPRIM_400000_NS6detail17trampoline_kernelINS0_14default_configENS1_27scan_by_key_config_selectorIiiEEZZNS1_16scan_by_key_implILNS1_25lookback_scan_determinismE0ELb0ES3_N6thrust23THRUST_200600_302600_NS6detail15normal_iteratorINS9_10device_ptrIiEEEESE_SE_iNS9_10multipliesIiEENS9_8equal_toIiEEiEE10hipError_tPvRmT2_T3_T4_T5_mT6_T7_P12ihipStream_tbENKUlT_T0_E_clISt17integral_constantIbLb0EESY_IbLb1EEEEDaSU_SV_EUlSU_E_NS1_11comp_targetILNS1_3genE2ELNS1_11target_archE906ELNS1_3gpuE6ELNS1_3repE0EEENS1_30default_config_static_selectorELNS0_4arch9wavefront6targetE0EEEvT1_.has_recursion, 0
	.set _ZN7rocprim17ROCPRIM_400000_NS6detail17trampoline_kernelINS0_14default_configENS1_27scan_by_key_config_selectorIiiEEZZNS1_16scan_by_key_implILNS1_25lookback_scan_determinismE0ELb0ES3_N6thrust23THRUST_200600_302600_NS6detail15normal_iteratorINS9_10device_ptrIiEEEESE_SE_iNS9_10multipliesIiEENS9_8equal_toIiEEiEE10hipError_tPvRmT2_T3_T4_T5_mT6_T7_P12ihipStream_tbENKUlT_T0_E_clISt17integral_constantIbLb0EESY_IbLb1EEEEDaSU_SV_EUlSU_E_NS1_11comp_targetILNS1_3genE2ELNS1_11target_archE906ELNS1_3gpuE6ELNS1_3repE0EEENS1_30default_config_static_selectorELNS0_4arch9wavefront6targetE0EEEvT1_.has_indirect_call, 0
	.section	.AMDGPU.csdata,"",@progbits
; Kernel info:
; codeLenInByte = 0
; TotalNumSgprs: 0
; NumVgprs: 0
; ScratchSize: 0
; MemoryBound: 0
; FloatMode: 240
; IeeeMode: 1
; LDSByteSize: 0 bytes/workgroup (compile time only)
; SGPRBlocks: 0
; VGPRBlocks: 0
; NumSGPRsForWavesPerEU: 1
; NumVGPRsForWavesPerEU: 1
; Occupancy: 16
; WaveLimiterHint : 0
; COMPUTE_PGM_RSRC2:SCRATCH_EN: 0
; COMPUTE_PGM_RSRC2:USER_SGPR: 6
; COMPUTE_PGM_RSRC2:TRAP_HANDLER: 0
; COMPUTE_PGM_RSRC2:TGID_X_EN: 1
; COMPUTE_PGM_RSRC2:TGID_Y_EN: 0
; COMPUTE_PGM_RSRC2:TGID_Z_EN: 0
; COMPUTE_PGM_RSRC2:TIDIG_COMP_CNT: 0
	.section	.text._ZN7rocprim17ROCPRIM_400000_NS6detail17trampoline_kernelINS0_14default_configENS1_27scan_by_key_config_selectorIiiEEZZNS1_16scan_by_key_implILNS1_25lookback_scan_determinismE0ELb0ES3_N6thrust23THRUST_200600_302600_NS6detail15normal_iteratorINS9_10device_ptrIiEEEESE_SE_iNS9_10multipliesIiEENS9_8equal_toIiEEiEE10hipError_tPvRmT2_T3_T4_T5_mT6_T7_P12ihipStream_tbENKUlT_T0_E_clISt17integral_constantIbLb0EESY_IbLb1EEEEDaSU_SV_EUlSU_E_NS1_11comp_targetILNS1_3genE10ELNS1_11target_archE1200ELNS1_3gpuE4ELNS1_3repE0EEENS1_30default_config_static_selectorELNS0_4arch9wavefront6targetE0EEEvT1_,"axG",@progbits,_ZN7rocprim17ROCPRIM_400000_NS6detail17trampoline_kernelINS0_14default_configENS1_27scan_by_key_config_selectorIiiEEZZNS1_16scan_by_key_implILNS1_25lookback_scan_determinismE0ELb0ES3_N6thrust23THRUST_200600_302600_NS6detail15normal_iteratorINS9_10device_ptrIiEEEESE_SE_iNS9_10multipliesIiEENS9_8equal_toIiEEiEE10hipError_tPvRmT2_T3_T4_T5_mT6_T7_P12ihipStream_tbENKUlT_T0_E_clISt17integral_constantIbLb0EESY_IbLb1EEEEDaSU_SV_EUlSU_E_NS1_11comp_targetILNS1_3genE10ELNS1_11target_archE1200ELNS1_3gpuE4ELNS1_3repE0EEENS1_30default_config_static_selectorELNS0_4arch9wavefront6targetE0EEEvT1_,comdat
	.protected	_ZN7rocprim17ROCPRIM_400000_NS6detail17trampoline_kernelINS0_14default_configENS1_27scan_by_key_config_selectorIiiEEZZNS1_16scan_by_key_implILNS1_25lookback_scan_determinismE0ELb0ES3_N6thrust23THRUST_200600_302600_NS6detail15normal_iteratorINS9_10device_ptrIiEEEESE_SE_iNS9_10multipliesIiEENS9_8equal_toIiEEiEE10hipError_tPvRmT2_T3_T4_T5_mT6_T7_P12ihipStream_tbENKUlT_T0_E_clISt17integral_constantIbLb0EESY_IbLb1EEEEDaSU_SV_EUlSU_E_NS1_11comp_targetILNS1_3genE10ELNS1_11target_archE1200ELNS1_3gpuE4ELNS1_3repE0EEENS1_30default_config_static_selectorELNS0_4arch9wavefront6targetE0EEEvT1_ ; -- Begin function _ZN7rocprim17ROCPRIM_400000_NS6detail17trampoline_kernelINS0_14default_configENS1_27scan_by_key_config_selectorIiiEEZZNS1_16scan_by_key_implILNS1_25lookback_scan_determinismE0ELb0ES3_N6thrust23THRUST_200600_302600_NS6detail15normal_iteratorINS9_10device_ptrIiEEEESE_SE_iNS9_10multipliesIiEENS9_8equal_toIiEEiEE10hipError_tPvRmT2_T3_T4_T5_mT6_T7_P12ihipStream_tbENKUlT_T0_E_clISt17integral_constantIbLb0EESY_IbLb1EEEEDaSU_SV_EUlSU_E_NS1_11comp_targetILNS1_3genE10ELNS1_11target_archE1200ELNS1_3gpuE4ELNS1_3repE0EEENS1_30default_config_static_selectorELNS0_4arch9wavefront6targetE0EEEvT1_
	.globl	_ZN7rocprim17ROCPRIM_400000_NS6detail17trampoline_kernelINS0_14default_configENS1_27scan_by_key_config_selectorIiiEEZZNS1_16scan_by_key_implILNS1_25lookback_scan_determinismE0ELb0ES3_N6thrust23THRUST_200600_302600_NS6detail15normal_iteratorINS9_10device_ptrIiEEEESE_SE_iNS9_10multipliesIiEENS9_8equal_toIiEEiEE10hipError_tPvRmT2_T3_T4_T5_mT6_T7_P12ihipStream_tbENKUlT_T0_E_clISt17integral_constantIbLb0EESY_IbLb1EEEEDaSU_SV_EUlSU_E_NS1_11comp_targetILNS1_3genE10ELNS1_11target_archE1200ELNS1_3gpuE4ELNS1_3repE0EEENS1_30default_config_static_selectorELNS0_4arch9wavefront6targetE0EEEvT1_
	.p2align	8
	.type	_ZN7rocprim17ROCPRIM_400000_NS6detail17trampoline_kernelINS0_14default_configENS1_27scan_by_key_config_selectorIiiEEZZNS1_16scan_by_key_implILNS1_25lookback_scan_determinismE0ELb0ES3_N6thrust23THRUST_200600_302600_NS6detail15normal_iteratorINS9_10device_ptrIiEEEESE_SE_iNS9_10multipliesIiEENS9_8equal_toIiEEiEE10hipError_tPvRmT2_T3_T4_T5_mT6_T7_P12ihipStream_tbENKUlT_T0_E_clISt17integral_constantIbLb0EESY_IbLb1EEEEDaSU_SV_EUlSU_E_NS1_11comp_targetILNS1_3genE10ELNS1_11target_archE1200ELNS1_3gpuE4ELNS1_3repE0EEENS1_30default_config_static_selectorELNS0_4arch9wavefront6targetE0EEEvT1_,@function
_ZN7rocprim17ROCPRIM_400000_NS6detail17trampoline_kernelINS0_14default_configENS1_27scan_by_key_config_selectorIiiEEZZNS1_16scan_by_key_implILNS1_25lookback_scan_determinismE0ELb0ES3_N6thrust23THRUST_200600_302600_NS6detail15normal_iteratorINS9_10device_ptrIiEEEESE_SE_iNS9_10multipliesIiEENS9_8equal_toIiEEiEE10hipError_tPvRmT2_T3_T4_T5_mT6_T7_P12ihipStream_tbENKUlT_T0_E_clISt17integral_constantIbLb0EESY_IbLb1EEEEDaSU_SV_EUlSU_E_NS1_11comp_targetILNS1_3genE10ELNS1_11target_archE1200ELNS1_3gpuE4ELNS1_3repE0EEENS1_30default_config_static_selectorELNS0_4arch9wavefront6targetE0EEEvT1_: ; @_ZN7rocprim17ROCPRIM_400000_NS6detail17trampoline_kernelINS0_14default_configENS1_27scan_by_key_config_selectorIiiEEZZNS1_16scan_by_key_implILNS1_25lookback_scan_determinismE0ELb0ES3_N6thrust23THRUST_200600_302600_NS6detail15normal_iteratorINS9_10device_ptrIiEEEESE_SE_iNS9_10multipliesIiEENS9_8equal_toIiEEiEE10hipError_tPvRmT2_T3_T4_T5_mT6_T7_P12ihipStream_tbENKUlT_T0_E_clISt17integral_constantIbLb0EESY_IbLb1EEEEDaSU_SV_EUlSU_E_NS1_11comp_targetILNS1_3genE10ELNS1_11target_archE1200ELNS1_3gpuE4ELNS1_3repE0EEENS1_30default_config_static_selectorELNS0_4arch9wavefront6targetE0EEEvT1_
; %bb.0:
	.section	.rodata,"a",@progbits
	.p2align	6, 0x0
	.amdhsa_kernel _ZN7rocprim17ROCPRIM_400000_NS6detail17trampoline_kernelINS0_14default_configENS1_27scan_by_key_config_selectorIiiEEZZNS1_16scan_by_key_implILNS1_25lookback_scan_determinismE0ELb0ES3_N6thrust23THRUST_200600_302600_NS6detail15normal_iteratorINS9_10device_ptrIiEEEESE_SE_iNS9_10multipliesIiEENS9_8equal_toIiEEiEE10hipError_tPvRmT2_T3_T4_T5_mT6_T7_P12ihipStream_tbENKUlT_T0_E_clISt17integral_constantIbLb0EESY_IbLb1EEEEDaSU_SV_EUlSU_E_NS1_11comp_targetILNS1_3genE10ELNS1_11target_archE1200ELNS1_3gpuE4ELNS1_3repE0EEENS1_30default_config_static_selectorELNS0_4arch9wavefront6targetE0EEEvT1_
		.amdhsa_group_segment_fixed_size 0
		.amdhsa_private_segment_fixed_size 0
		.amdhsa_kernarg_size 112
		.amdhsa_user_sgpr_count 6
		.amdhsa_user_sgpr_private_segment_buffer 1
		.amdhsa_user_sgpr_dispatch_ptr 0
		.amdhsa_user_sgpr_queue_ptr 0
		.amdhsa_user_sgpr_kernarg_segment_ptr 1
		.amdhsa_user_sgpr_dispatch_id 0
		.amdhsa_user_sgpr_flat_scratch_init 0
		.amdhsa_user_sgpr_private_segment_size 0
		.amdhsa_wavefront_size32 1
		.amdhsa_uses_dynamic_stack 0
		.amdhsa_system_sgpr_private_segment_wavefront_offset 0
		.amdhsa_system_sgpr_workgroup_id_x 1
		.amdhsa_system_sgpr_workgroup_id_y 0
		.amdhsa_system_sgpr_workgroup_id_z 0
		.amdhsa_system_sgpr_workgroup_info 0
		.amdhsa_system_vgpr_workitem_id 0
		.amdhsa_next_free_vgpr 1
		.amdhsa_next_free_sgpr 1
		.amdhsa_reserve_vcc 0
		.amdhsa_reserve_flat_scratch 0
		.amdhsa_float_round_mode_32 0
		.amdhsa_float_round_mode_16_64 0
		.amdhsa_float_denorm_mode_32 3
		.amdhsa_float_denorm_mode_16_64 3
		.amdhsa_dx10_clamp 1
		.amdhsa_ieee_mode 1
		.amdhsa_fp16_overflow 0
		.amdhsa_workgroup_processor_mode 1
		.amdhsa_memory_ordered 1
		.amdhsa_forward_progress 1
		.amdhsa_shared_vgpr_count 0
		.amdhsa_exception_fp_ieee_invalid_op 0
		.amdhsa_exception_fp_denorm_src 0
		.amdhsa_exception_fp_ieee_div_zero 0
		.amdhsa_exception_fp_ieee_overflow 0
		.amdhsa_exception_fp_ieee_underflow 0
		.amdhsa_exception_fp_ieee_inexact 0
		.amdhsa_exception_int_div_zero 0
	.end_amdhsa_kernel
	.section	.text._ZN7rocprim17ROCPRIM_400000_NS6detail17trampoline_kernelINS0_14default_configENS1_27scan_by_key_config_selectorIiiEEZZNS1_16scan_by_key_implILNS1_25lookback_scan_determinismE0ELb0ES3_N6thrust23THRUST_200600_302600_NS6detail15normal_iteratorINS9_10device_ptrIiEEEESE_SE_iNS9_10multipliesIiEENS9_8equal_toIiEEiEE10hipError_tPvRmT2_T3_T4_T5_mT6_T7_P12ihipStream_tbENKUlT_T0_E_clISt17integral_constantIbLb0EESY_IbLb1EEEEDaSU_SV_EUlSU_E_NS1_11comp_targetILNS1_3genE10ELNS1_11target_archE1200ELNS1_3gpuE4ELNS1_3repE0EEENS1_30default_config_static_selectorELNS0_4arch9wavefront6targetE0EEEvT1_,"axG",@progbits,_ZN7rocprim17ROCPRIM_400000_NS6detail17trampoline_kernelINS0_14default_configENS1_27scan_by_key_config_selectorIiiEEZZNS1_16scan_by_key_implILNS1_25lookback_scan_determinismE0ELb0ES3_N6thrust23THRUST_200600_302600_NS6detail15normal_iteratorINS9_10device_ptrIiEEEESE_SE_iNS9_10multipliesIiEENS9_8equal_toIiEEiEE10hipError_tPvRmT2_T3_T4_T5_mT6_T7_P12ihipStream_tbENKUlT_T0_E_clISt17integral_constantIbLb0EESY_IbLb1EEEEDaSU_SV_EUlSU_E_NS1_11comp_targetILNS1_3genE10ELNS1_11target_archE1200ELNS1_3gpuE4ELNS1_3repE0EEENS1_30default_config_static_selectorELNS0_4arch9wavefront6targetE0EEEvT1_,comdat
.Lfunc_end197:
	.size	_ZN7rocprim17ROCPRIM_400000_NS6detail17trampoline_kernelINS0_14default_configENS1_27scan_by_key_config_selectorIiiEEZZNS1_16scan_by_key_implILNS1_25lookback_scan_determinismE0ELb0ES3_N6thrust23THRUST_200600_302600_NS6detail15normal_iteratorINS9_10device_ptrIiEEEESE_SE_iNS9_10multipliesIiEENS9_8equal_toIiEEiEE10hipError_tPvRmT2_T3_T4_T5_mT6_T7_P12ihipStream_tbENKUlT_T0_E_clISt17integral_constantIbLb0EESY_IbLb1EEEEDaSU_SV_EUlSU_E_NS1_11comp_targetILNS1_3genE10ELNS1_11target_archE1200ELNS1_3gpuE4ELNS1_3repE0EEENS1_30default_config_static_selectorELNS0_4arch9wavefront6targetE0EEEvT1_, .Lfunc_end197-_ZN7rocprim17ROCPRIM_400000_NS6detail17trampoline_kernelINS0_14default_configENS1_27scan_by_key_config_selectorIiiEEZZNS1_16scan_by_key_implILNS1_25lookback_scan_determinismE0ELb0ES3_N6thrust23THRUST_200600_302600_NS6detail15normal_iteratorINS9_10device_ptrIiEEEESE_SE_iNS9_10multipliesIiEENS9_8equal_toIiEEiEE10hipError_tPvRmT2_T3_T4_T5_mT6_T7_P12ihipStream_tbENKUlT_T0_E_clISt17integral_constantIbLb0EESY_IbLb1EEEEDaSU_SV_EUlSU_E_NS1_11comp_targetILNS1_3genE10ELNS1_11target_archE1200ELNS1_3gpuE4ELNS1_3repE0EEENS1_30default_config_static_selectorELNS0_4arch9wavefront6targetE0EEEvT1_
                                        ; -- End function
	.set _ZN7rocprim17ROCPRIM_400000_NS6detail17trampoline_kernelINS0_14default_configENS1_27scan_by_key_config_selectorIiiEEZZNS1_16scan_by_key_implILNS1_25lookback_scan_determinismE0ELb0ES3_N6thrust23THRUST_200600_302600_NS6detail15normal_iteratorINS9_10device_ptrIiEEEESE_SE_iNS9_10multipliesIiEENS9_8equal_toIiEEiEE10hipError_tPvRmT2_T3_T4_T5_mT6_T7_P12ihipStream_tbENKUlT_T0_E_clISt17integral_constantIbLb0EESY_IbLb1EEEEDaSU_SV_EUlSU_E_NS1_11comp_targetILNS1_3genE10ELNS1_11target_archE1200ELNS1_3gpuE4ELNS1_3repE0EEENS1_30default_config_static_selectorELNS0_4arch9wavefront6targetE0EEEvT1_.num_vgpr, 0
	.set _ZN7rocprim17ROCPRIM_400000_NS6detail17trampoline_kernelINS0_14default_configENS1_27scan_by_key_config_selectorIiiEEZZNS1_16scan_by_key_implILNS1_25lookback_scan_determinismE0ELb0ES3_N6thrust23THRUST_200600_302600_NS6detail15normal_iteratorINS9_10device_ptrIiEEEESE_SE_iNS9_10multipliesIiEENS9_8equal_toIiEEiEE10hipError_tPvRmT2_T3_T4_T5_mT6_T7_P12ihipStream_tbENKUlT_T0_E_clISt17integral_constantIbLb0EESY_IbLb1EEEEDaSU_SV_EUlSU_E_NS1_11comp_targetILNS1_3genE10ELNS1_11target_archE1200ELNS1_3gpuE4ELNS1_3repE0EEENS1_30default_config_static_selectorELNS0_4arch9wavefront6targetE0EEEvT1_.num_agpr, 0
	.set _ZN7rocprim17ROCPRIM_400000_NS6detail17trampoline_kernelINS0_14default_configENS1_27scan_by_key_config_selectorIiiEEZZNS1_16scan_by_key_implILNS1_25lookback_scan_determinismE0ELb0ES3_N6thrust23THRUST_200600_302600_NS6detail15normal_iteratorINS9_10device_ptrIiEEEESE_SE_iNS9_10multipliesIiEENS9_8equal_toIiEEiEE10hipError_tPvRmT2_T3_T4_T5_mT6_T7_P12ihipStream_tbENKUlT_T0_E_clISt17integral_constantIbLb0EESY_IbLb1EEEEDaSU_SV_EUlSU_E_NS1_11comp_targetILNS1_3genE10ELNS1_11target_archE1200ELNS1_3gpuE4ELNS1_3repE0EEENS1_30default_config_static_selectorELNS0_4arch9wavefront6targetE0EEEvT1_.numbered_sgpr, 0
	.set _ZN7rocprim17ROCPRIM_400000_NS6detail17trampoline_kernelINS0_14default_configENS1_27scan_by_key_config_selectorIiiEEZZNS1_16scan_by_key_implILNS1_25lookback_scan_determinismE0ELb0ES3_N6thrust23THRUST_200600_302600_NS6detail15normal_iteratorINS9_10device_ptrIiEEEESE_SE_iNS9_10multipliesIiEENS9_8equal_toIiEEiEE10hipError_tPvRmT2_T3_T4_T5_mT6_T7_P12ihipStream_tbENKUlT_T0_E_clISt17integral_constantIbLb0EESY_IbLb1EEEEDaSU_SV_EUlSU_E_NS1_11comp_targetILNS1_3genE10ELNS1_11target_archE1200ELNS1_3gpuE4ELNS1_3repE0EEENS1_30default_config_static_selectorELNS0_4arch9wavefront6targetE0EEEvT1_.num_named_barrier, 0
	.set _ZN7rocprim17ROCPRIM_400000_NS6detail17trampoline_kernelINS0_14default_configENS1_27scan_by_key_config_selectorIiiEEZZNS1_16scan_by_key_implILNS1_25lookback_scan_determinismE0ELb0ES3_N6thrust23THRUST_200600_302600_NS6detail15normal_iteratorINS9_10device_ptrIiEEEESE_SE_iNS9_10multipliesIiEENS9_8equal_toIiEEiEE10hipError_tPvRmT2_T3_T4_T5_mT6_T7_P12ihipStream_tbENKUlT_T0_E_clISt17integral_constantIbLb0EESY_IbLb1EEEEDaSU_SV_EUlSU_E_NS1_11comp_targetILNS1_3genE10ELNS1_11target_archE1200ELNS1_3gpuE4ELNS1_3repE0EEENS1_30default_config_static_selectorELNS0_4arch9wavefront6targetE0EEEvT1_.private_seg_size, 0
	.set _ZN7rocprim17ROCPRIM_400000_NS6detail17trampoline_kernelINS0_14default_configENS1_27scan_by_key_config_selectorIiiEEZZNS1_16scan_by_key_implILNS1_25lookback_scan_determinismE0ELb0ES3_N6thrust23THRUST_200600_302600_NS6detail15normal_iteratorINS9_10device_ptrIiEEEESE_SE_iNS9_10multipliesIiEENS9_8equal_toIiEEiEE10hipError_tPvRmT2_T3_T4_T5_mT6_T7_P12ihipStream_tbENKUlT_T0_E_clISt17integral_constantIbLb0EESY_IbLb1EEEEDaSU_SV_EUlSU_E_NS1_11comp_targetILNS1_3genE10ELNS1_11target_archE1200ELNS1_3gpuE4ELNS1_3repE0EEENS1_30default_config_static_selectorELNS0_4arch9wavefront6targetE0EEEvT1_.uses_vcc, 0
	.set _ZN7rocprim17ROCPRIM_400000_NS6detail17trampoline_kernelINS0_14default_configENS1_27scan_by_key_config_selectorIiiEEZZNS1_16scan_by_key_implILNS1_25lookback_scan_determinismE0ELb0ES3_N6thrust23THRUST_200600_302600_NS6detail15normal_iteratorINS9_10device_ptrIiEEEESE_SE_iNS9_10multipliesIiEENS9_8equal_toIiEEiEE10hipError_tPvRmT2_T3_T4_T5_mT6_T7_P12ihipStream_tbENKUlT_T0_E_clISt17integral_constantIbLb0EESY_IbLb1EEEEDaSU_SV_EUlSU_E_NS1_11comp_targetILNS1_3genE10ELNS1_11target_archE1200ELNS1_3gpuE4ELNS1_3repE0EEENS1_30default_config_static_selectorELNS0_4arch9wavefront6targetE0EEEvT1_.uses_flat_scratch, 0
	.set _ZN7rocprim17ROCPRIM_400000_NS6detail17trampoline_kernelINS0_14default_configENS1_27scan_by_key_config_selectorIiiEEZZNS1_16scan_by_key_implILNS1_25lookback_scan_determinismE0ELb0ES3_N6thrust23THRUST_200600_302600_NS6detail15normal_iteratorINS9_10device_ptrIiEEEESE_SE_iNS9_10multipliesIiEENS9_8equal_toIiEEiEE10hipError_tPvRmT2_T3_T4_T5_mT6_T7_P12ihipStream_tbENKUlT_T0_E_clISt17integral_constantIbLb0EESY_IbLb1EEEEDaSU_SV_EUlSU_E_NS1_11comp_targetILNS1_3genE10ELNS1_11target_archE1200ELNS1_3gpuE4ELNS1_3repE0EEENS1_30default_config_static_selectorELNS0_4arch9wavefront6targetE0EEEvT1_.has_dyn_sized_stack, 0
	.set _ZN7rocprim17ROCPRIM_400000_NS6detail17trampoline_kernelINS0_14default_configENS1_27scan_by_key_config_selectorIiiEEZZNS1_16scan_by_key_implILNS1_25lookback_scan_determinismE0ELb0ES3_N6thrust23THRUST_200600_302600_NS6detail15normal_iteratorINS9_10device_ptrIiEEEESE_SE_iNS9_10multipliesIiEENS9_8equal_toIiEEiEE10hipError_tPvRmT2_T3_T4_T5_mT6_T7_P12ihipStream_tbENKUlT_T0_E_clISt17integral_constantIbLb0EESY_IbLb1EEEEDaSU_SV_EUlSU_E_NS1_11comp_targetILNS1_3genE10ELNS1_11target_archE1200ELNS1_3gpuE4ELNS1_3repE0EEENS1_30default_config_static_selectorELNS0_4arch9wavefront6targetE0EEEvT1_.has_recursion, 0
	.set _ZN7rocprim17ROCPRIM_400000_NS6detail17trampoline_kernelINS0_14default_configENS1_27scan_by_key_config_selectorIiiEEZZNS1_16scan_by_key_implILNS1_25lookback_scan_determinismE0ELb0ES3_N6thrust23THRUST_200600_302600_NS6detail15normal_iteratorINS9_10device_ptrIiEEEESE_SE_iNS9_10multipliesIiEENS9_8equal_toIiEEiEE10hipError_tPvRmT2_T3_T4_T5_mT6_T7_P12ihipStream_tbENKUlT_T0_E_clISt17integral_constantIbLb0EESY_IbLb1EEEEDaSU_SV_EUlSU_E_NS1_11comp_targetILNS1_3genE10ELNS1_11target_archE1200ELNS1_3gpuE4ELNS1_3repE0EEENS1_30default_config_static_selectorELNS0_4arch9wavefront6targetE0EEEvT1_.has_indirect_call, 0
	.section	.AMDGPU.csdata,"",@progbits
; Kernel info:
; codeLenInByte = 0
; TotalNumSgprs: 0
; NumVgprs: 0
; ScratchSize: 0
; MemoryBound: 0
; FloatMode: 240
; IeeeMode: 1
; LDSByteSize: 0 bytes/workgroup (compile time only)
; SGPRBlocks: 0
; VGPRBlocks: 0
; NumSGPRsForWavesPerEU: 1
; NumVGPRsForWavesPerEU: 1
; Occupancy: 16
; WaveLimiterHint : 0
; COMPUTE_PGM_RSRC2:SCRATCH_EN: 0
; COMPUTE_PGM_RSRC2:USER_SGPR: 6
; COMPUTE_PGM_RSRC2:TRAP_HANDLER: 0
; COMPUTE_PGM_RSRC2:TGID_X_EN: 1
; COMPUTE_PGM_RSRC2:TGID_Y_EN: 0
; COMPUTE_PGM_RSRC2:TGID_Z_EN: 0
; COMPUTE_PGM_RSRC2:TIDIG_COMP_CNT: 0
	.section	.text._ZN7rocprim17ROCPRIM_400000_NS6detail17trampoline_kernelINS0_14default_configENS1_27scan_by_key_config_selectorIiiEEZZNS1_16scan_by_key_implILNS1_25lookback_scan_determinismE0ELb0ES3_N6thrust23THRUST_200600_302600_NS6detail15normal_iteratorINS9_10device_ptrIiEEEESE_SE_iNS9_10multipliesIiEENS9_8equal_toIiEEiEE10hipError_tPvRmT2_T3_T4_T5_mT6_T7_P12ihipStream_tbENKUlT_T0_E_clISt17integral_constantIbLb0EESY_IbLb1EEEEDaSU_SV_EUlSU_E_NS1_11comp_targetILNS1_3genE9ELNS1_11target_archE1100ELNS1_3gpuE3ELNS1_3repE0EEENS1_30default_config_static_selectorELNS0_4arch9wavefront6targetE0EEEvT1_,"axG",@progbits,_ZN7rocprim17ROCPRIM_400000_NS6detail17trampoline_kernelINS0_14default_configENS1_27scan_by_key_config_selectorIiiEEZZNS1_16scan_by_key_implILNS1_25lookback_scan_determinismE0ELb0ES3_N6thrust23THRUST_200600_302600_NS6detail15normal_iteratorINS9_10device_ptrIiEEEESE_SE_iNS9_10multipliesIiEENS9_8equal_toIiEEiEE10hipError_tPvRmT2_T3_T4_T5_mT6_T7_P12ihipStream_tbENKUlT_T0_E_clISt17integral_constantIbLb0EESY_IbLb1EEEEDaSU_SV_EUlSU_E_NS1_11comp_targetILNS1_3genE9ELNS1_11target_archE1100ELNS1_3gpuE3ELNS1_3repE0EEENS1_30default_config_static_selectorELNS0_4arch9wavefront6targetE0EEEvT1_,comdat
	.protected	_ZN7rocprim17ROCPRIM_400000_NS6detail17trampoline_kernelINS0_14default_configENS1_27scan_by_key_config_selectorIiiEEZZNS1_16scan_by_key_implILNS1_25lookback_scan_determinismE0ELb0ES3_N6thrust23THRUST_200600_302600_NS6detail15normal_iteratorINS9_10device_ptrIiEEEESE_SE_iNS9_10multipliesIiEENS9_8equal_toIiEEiEE10hipError_tPvRmT2_T3_T4_T5_mT6_T7_P12ihipStream_tbENKUlT_T0_E_clISt17integral_constantIbLb0EESY_IbLb1EEEEDaSU_SV_EUlSU_E_NS1_11comp_targetILNS1_3genE9ELNS1_11target_archE1100ELNS1_3gpuE3ELNS1_3repE0EEENS1_30default_config_static_selectorELNS0_4arch9wavefront6targetE0EEEvT1_ ; -- Begin function _ZN7rocprim17ROCPRIM_400000_NS6detail17trampoline_kernelINS0_14default_configENS1_27scan_by_key_config_selectorIiiEEZZNS1_16scan_by_key_implILNS1_25lookback_scan_determinismE0ELb0ES3_N6thrust23THRUST_200600_302600_NS6detail15normal_iteratorINS9_10device_ptrIiEEEESE_SE_iNS9_10multipliesIiEENS9_8equal_toIiEEiEE10hipError_tPvRmT2_T3_T4_T5_mT6_T7_P12ihipStream_tbENKUlT_T0_E_clISt17integral_constantIbLb0EESY_IbLb1EEEEDaSU_SV_EUlSU_E_NS1_11comp_targetILNS1_3genE9ELNS1_11target_archE1100ELNS1_3gpuE3ELNS1_3repE0EEENS1_30default_config_static_selectorELNS0_4arch9wavefront6targetE0EEEvT1_
	.globl	_ZN7rocprim17ROCPRIM_400000_NS6detail17trampoline_kernelINS0_14default_configENS1_27scan_by_key_config_selectorIiiEEZZNS1_16scan_by_key_implILNS1_25lookback_scan_determinismE0ELb0ES3_N6thrust23THRUST_200600_302600_NS6detail15normal_iteratorINS9_10device_ptrIiEEEESE_SE_iNS9_10multipliesIiEENS9_8equal_toIiEEiEE10hipError_tPvRmT2_T3_T4_T5_mT6_T7_P12ihipStream_tbENKUlT_T0_E_clISt17integral_constantIbLb0EESY_IbLb1EEEEDaSU_SV_EUlSU_E_NS1_11comp_targetILNS1_3genE9ELNS1_11target_archE1100ELNS1_3gpuE3ELNS1_3repE0EEENS1_30default_config_static_selectorELNS0_4arch9wavefront6targetE0EEEvT1_
	.p2align	8
	.type	_ZN7rocprim17ROCPRIM_400000_NS6detail17trampoline_kernelINS0_14default_configENS1_27scan_by_key_config_selectorIiiEEZZNS1_16scan_by_key_implILNS1_25lookback_scan_determinismE0ELb0ES3_N6thrust23THRUST_200600_302600_NS6detail15normal_iteratorINS9_10device_ptrIiEEEESE_SE_iNS9_10multipliesIiEENS9_8equal_toIiEEiEE10hipError_tPvRmT2_T3_T4_T5_mT6_T7_P12ihipStream_tbENKUlT_T0_E_clISt17integral_constantIbLb0EESY_IbLb1EEEEDaSU_SV_EUlSU_E_NS1_11comp_targetILNS1_3genE9ELNS1_11target_archE1100ELNS1_3gpuE3ELNS1_3repE0EEENS1_30default_config_static_selectorELNS0_4arch9wavefront6targetE0EEEvT1_,@function
_ZN7rocprim17ROCPRIM_400000_NS6detail17trampoline_kernelINS0_14default_configENS1_27scan_by_key_config_selectorIiiEEZZNS1_16scan_by_key_implILNS1_25lookback_scan_determinismE0ELb0ES3_N6thrust23THRUST_200600_302600_NS6detail15normal_iteratorINS9_10device_ptrIiEEEESE_SE_iNS9_10multipliesIiEENS9_8equal_toIiEEiEE10hipError_tPvRmT2_T3_T4_T5_mT6_T7_P12ihipStream_tbENKUlT_T0_E_clISt17integral_constantIbLb0EESY_IbLb1EEEEDaSU_SV_EUlSU_E_NS1_11comp_targetILNS1_3genE9ELNS1_11target_archE1100ELNS1_3gpuE3ELNS1_3repE0EEENS1_30default_config_static_selectorELNS0_4arch9wavefront6targetE0EEEvT1_: ; @_ZN7rocprim17ROCPRIM_400000_NS6detail17trampoline_kernelINS0_14default_configENS1_27scan_by_key_config_selectorIiiEEZZNS1_16scan_by_key_implILNS1_25lookback_scan_determinismE0ELb0ES3_N6thrust23THRUST_200600_302600_NS6detail15normal_iteratorINS9_10device_ptrIiEEEESE_SE_iNS9_10multipliesIiEENS9_8equal_toIiEEiEE10hipError_tPvRmT2_T3_T4_T5_mT6_T7_P12ihipStream_tbENKUlT_T0_E_clISt17integral_constantIbLb0EESY_IbLb1EEEEDaSU_SV_EUlSU_E_NS1_11comp_targetILNS1_3genE9ELNS1_11target_archE1100ELNS1_3gpuE3ELNS1_3repE0EEENS1_30default_config_static_selectorELNS0_4arch9wavefront6targetE0EEEvT1_
; %bb.0:
	.section	.rodata,"a",@progbits
	.p2align	6, 0x0
	.amdhsa_kernel _ZN7rocprim17ROCPRIM_400000_NS6detail17trampoline_kernelINS0_14default_configENS1_27scan_by_key_config_selectorIiiEEZZNS1_16scan_by_key_implILNS1_25lookback_scan_determinismE0ELb0ES3_N6thrust23THRUST_200600_302600_NS6detail15normal_iteratorINS9_10device_ptrIiEEEESE_SE_iNS9_10multipliesIiEENS9_8equal_toIiEEiEE10hipError_tPvRmT2_T3_T4_T5_mT6_T7_P12ihipStream_tbENKUlT_T0_E_clISt17integral_constantIbLb0EESY_IbLb1EEEEDaSU_SV_EUlSU_E_NS1_11comp_targetILNS1_3genE9ELNS1_11target_archE1100ELNS1_3gpuE3ELNS1_3repE0EEENS1_30default_config_static_selectorELNS0_4arch9wavefront6targetE0EEEvT1_
		.amdhsa_group_segment_fixed_size 0
		.amdhsa_private_segment_fixed_size 0
		.amdhsa_kernarg_size 112
		.amdhsa_user_sgpr_count 6
		.amdhsa_user_sgpr_private_segment_buffer 1
		.amdhsa_user_sgpr_dispatch_ptr 0
		.amdhsa_user_sgpr_queue_ptr 0
		.amdhsa_user_sgpr_kernarg_segment_ptr 1
		.amdhsa_user_sgpr_dispatch_id 0
		.amdhsa_user_sgpr_flat_scratch_init 0
		.amdhsa_user_sgpr_private_segment_size 0
		.amdhsa_wavefront_size32 1
		.amdhsa_uses_dynamic_stack 0
		.amdhsa_system_sgpr_private_segment_wavefront_offset 0
		.amdhsa_system_sgpr_workgroup_id_x 1
		.amdhsa_system_sgpr_workgroup_id_y 0
		.amdhsa_system_sgpr_workgroup_id_z 0
		.amdhsa_system_sgpr_workgroup_info 0
		.amdhsa_system_vgpr_workitem_id 0
		.amdhsa_next_free_vgpr 1
		.amdhsa_next_free_sgpr 1
		.amdhsa_reserve_vcc 0
		.amdhsa_reserve_flat_scratch 0
		.amdhsa_float_round_mode_32 0
		.amdhsa_float_round_mode_16_64 0
		.amdhsa_float_denorm_mode_32 3
		.amdhsa_float_denorm_mode_16_64 3
		.amdhsa_dx10_clamp 1
		.amdhsa_ieee_mode 1
		.amdhsa_fp16_overflow 0
		.amdhsa_workgroup_processor_mode 1
		.amdhsa_memory_ordered 1
		.amdhsa_forward_progress 1
		.amdhsa_shared_vgpr_count 0
		.amdhsa_exception_fp_ieee_invalid_op 0
		.amdhsa_exception_fp_denorm_src 0
		.amdhsa_exception_fp_ieee_div_zero 0
		.amdhsa_exception_fp_ieee_overflow 0
		.amdhsa_exception_fp_ieee_underflow 0
		.amdhsa_exception_fp_ieee_inexact 0
		.amdhsa_exception_int_div_zero 0
	.end_amdhsa_kernel
	.section	.text._ZN7rocprim17ROCPRIM_400000_NS6detail17trampoline_kernelINS0_14default_configENS1_27scan_by_key_config_selectorIiiEEZZNS1_16scan_by_key_implILNS1_25lookback_scan_determinismE0ELb0ES3_N6thrust23THRUST_200600_302600_NS6detail15normal_iteratorINS9_10device_ptrIiEEEESE_SE_iNS9_10multipliesIiEENS9_8equal_toIiEEiEE10hipError_tPvRmT2_T3_T4_T5_mT6_T7_P12ihipStream_tbENKUlT_T0_E_clISt17integral_constantIbLb0EESY_IbLb1EEEEDaSU_SV_EUlSU_E_NS1_11comp_targetILNS1_3genE9ELNS1_11target_archE1100ELNS1_3gpuE3ELNS1_3repE0EEENS1_30default_config_static_selectorELNS0_4arch9wavefront6targetE0EEEvT1_,"axG",@progbits,_ZN7rocprim17ROCPRIM_400000_NS6detail17trampoline_kernelINS0_14default_configENS1_27scan_by_key_config_selectorIiiEEZZNS1_16scan_by_key_implILNS1_25lookback_scan_determinismE0ELb0ES3_N6thrust23THRUST_200600_302600_NS6detail15normal_iteratorINS9_10device_ptrIiEEEESE_SE_iNS9_10multipliesIiEENS9_8equal_toIiEEiEE10hipError_tPvRmT2_T3_T4_T5_mT6_T7_P12ihipStream_tbENKUlT_T0_E_clISt17integral_constantIbLb0EESY_IbLb1EEEEDaSU_SV_EUlSU_E_NS1_11comp_targetILNS1_3genE9ELNS1_11target_archE1100ELNS1_3gpuE3ELNS1_3repE0EEENS1_30default_config_static_selectorELNS0_4arch9wavefront6targetE0EEEvT1_,comdat
.Lfunc_end198:
	.size	_ZN7rocprim17ROCPRIM_400000_NS6detail17trampoline_kernelINS0_14default_configENS1_27scan_by_key_config_selectorIiiEEZZNS1_16scan_by_key_implILNS1_25lookback_scan_determinismE0ELb0ES3_N6thrust23THRUST_200600_302600_NS6detail15normal_iteratorINS9_10device_ptrIiEEEESE_SE_iNS9_10multipliesIiEENS9_8equal_toIiEEiEE10hipError_tPvRmT2_T3_T4_T5_mT6_T7_P12ihipStream_tbENKUlT_T0_E_clISt17integral_constantIbLb0EESY_IbLb1EEEEDaSU_SV_EUlSU_E_NS1_11comp_targetILNS1_3genE9ELNS1_11target_archE1100ELNS1_3gpuE3ELNS1_3repE0EEENS1_30default_config_static_selectorELNS0_4arch9wavefront6targetE0EEEvT1_, .Lfunc_end198-_ZN7rocprim17ROCPRIM_400000_NS6detail17trampoline_kernelINS0_14default_configENS1_27scan_by_key_config_selectorIiiEEZZNS1_16scan_by_key_implILNS1_25lookback_scan_determinismE0ELb0ES3_N6thrust23THRUST_200600_302600_NS6detail15normal_iteratorINS9_10device_ptrIiEEEESE_SE_iNS9_10multipliesIiEENS9_8equal_toIiEEiEE10hipError_tPvRmT2_T3_T4_T5_mT6_T7_P12ihipStream_tbENKUlT_T0_E_clISt17integral_constantIbLb0EESY_IbLb1EEEEDaSU_SV_EUlSU_E_NS1_11comp_targetILNS1_3genE9ELNS1_11target_archE1100ELNS1_3gpuE3ELNS1_3repE0EEENS1_30default_config_static_selectorELNS0_4arch9wavefront6targetE0EEEvT1_
                                        ; -- End function
	.set _ZN7rocprim17ROCPRIM_400000_NS6detail17trampoline_kernelINS0_14default_configENS1_27scan_by_key_config_selectorIiiEEZZNS1_16scan_by_key_implILNS1_25lookback_scan_determinismE0ELb0ES3_N6thrust23THRUST_200600_302600_NS6detail15normal_iteratorINS9_10device_ptrIiEEEESE_SE_iNS9_10multipliesIiEENS9_8equal_toIiEEiEE10hipError_tPvRmT2_T3_T4_T5_mT6_T7_P12ihipStream_tbENKUlT_T0_E_clISt17integral_constantIbLb0EESY_IbLb1EEEEDaSU_SV_EUlSU_E_NS1_11comp_targetILNS1_3genE9ELNS1_11target_archE1100ELNS1_3gpuE3ELNS1_3repE0EEENS1_30default_config_static_selectorELNS0_4arch9wavefront6targetE0EEEvT1_.num_vgpr, 0
	.set _ZN7rocprim17ROCPRIM_400000_NS6detail17trampoline_kernelINS0_14default_configENS1_27scan_by_key_config_selectorIiiEEZZNS1_16scan_by_key_implILNS1_25lookback_scan_determinismE0ELb0ES3_N6thrust23THRUST_200600_302600_NS6detail15normal_iteratorINS9_10device_ptrIiEEEESE_SE_iNS9_10multipliesIiEENS9_8equal_toIiEEiEE10hipError_tPvRmT2_T3_T4_T5_mT6_T7_P12ihipStream_tbENKUlT_T0_E_clISt17integral_constantIbLb0EESY_IbLb1EEEEDaSU_SV_EUlSU_E_NS1_11comp_targetILNS1_3genE9ELNS1_11target_archE1100ELNS1_3gpuE3ELNS1_3repE0EEENS1_30default_config_static_selectorELNS0_4arch9wavefront6targetE0EEEvT1_.num_agpr, 0
	.set _ZN7rocprim17ROCPRIM_400000_NS6detail17trampoline_kernelINS0_14default_configENS1_27scan_by_key_config_selectorIiiEEZZNS1_16scan_by_key_implILNS1_25lookback_scan_determinismE0ELb0ES3_N6thrust23THRUST_200600_302600_NS6detail15normal_iteratorINS9_10device_ptrIiEEEESE_SE_iNS9_10multipliesIiEENS9_8equal_toIiEEiEE10hipError_tPvRmT2_T3_T4_T5_mT6_T7_P12ihipStream_tbENKUlT_T0_E_clISt17integral_constantIbLb0EESY_IbLb1EEEEDaSU_SV_EUlSU_E_NS1_11comp_targetILNS1_3genE9ELNS1_11target_archE1100ELNS1_3gpuE3ELNS1_3repE0EEENS1_30default_config_static_selectorELNS0_4arch9wavefront6targetE0EEEvT1_.numbered_sgpr, 0
	.set _ZN7rocprim17ROCPRIM_400000_NS6detail17trampoline_kernelINS0_14default_configENS1_27scan_by_key_config_selectorIiiEEZZNS1_16scan_by_key_implILNS1_25lookback_scan_determinismE0ELb0ES3_N6thrust23THRUST_200600_302600_NS6detail15normal_iteratorINS9_10device_ptrIiEEEESE_SE_iNS9_10multipliesIiEENS9_8equal_toIiEEiEE10hipError_tPvRmT2_T3_T4_T5_mT6_T7_P12ihipStream_tbENKUlT_T0_E_clISt17integral_constantIbLb0EESY_IbLb1EEEEDaSU_SV_EUlSU_E_NS1_11comp_targetILNS1_3genE9ELNS1_11target_archE1100ELNS1_3gpuE3ELNS1_3repE0EEENS1_30default_config_static_selectorELNS0_4arch9wavefront6targetE0EEEvT1_.num_named_barrier, 0
	.set _ZN7rocprim17ROCPRIM_400000_NS6detail17trampoline_kernelINS0_14default_configENS1_27scan_by_key_config_selectorIiiEEZZNS1_16scan_by_key_implILNS1_25lookback_scan_determinismE0ELb0ES3_N6thrust23THRUST_200600_302600_NS6detail15normal_iteratorINS9_10device_ptrIiEEEESE_SE_iNS9_10multipliesIiEENS9_8equal_toIiEEiEE10hipError_tPvRmT2_T3_T4_T5_mT6_T7_P12ihipStream_tbENKUlT_T0_E_clISt17integral_constantIbLb0EESY_IbLb1EEEEDaSU_SV_EUlSU_E_NS1_11comp_targetILNS1_3genE9ELNS1_11target_archE1100ELNS1_3gpuE3ELNS1_3repE0EEENS1_30default_config_static_selectorELNS0_4arch9wavefront6targetE0EEEvT1_.private_seg_size, 0
	.set _ZN7rocprim17ROCPRIM_400000_NS6detail17trampoline_kernelINS0_14default_configENS1_27scan_by_key_config_selectorIiiEEZZNS1_16scan_by_key_implILNS1_25lookback_scan_determinismE0ELb0ES3_N6thrust23THRUST_200600_302600_NS6detail15normal_iteratorINS9_10device_ptrIiEEEESE_SE_iNS9_10multipliesIiEENS9_8equal_toIiEEiEE10hipError_tPvRmT2_T3_T4_T5_mT6_T7_P12ihipStream_tbENKUlT_T0_E_clISt17integral_constantIbLb0EESY_IbLb1EEEEDaSU_SV_EUlSU_E_NS1_11comp_targetILNS1_3genE9ELNS1_11target_archE1100ELNS1_3gpuE3ELNS1_3repE0EEENS1_30default_config_static_selectorELNS0_4arch9wavefront6targetE0EEEvT1_.uses_vcc, 0
	.set _ZN7rocprim17ROCPRIM_400000_NS6detail17trampoline_kernelINS0_14default_configENS1_27scan_by_key_config_selectorIiiEEZZNS1_16scan_by_key_implILNS1_25lookback_scan_determinismE0ELb0ES3_N6thrust23THRUST_200600_302600_NS6detail15normal_iteratorINS9_10device_ptrIiEEEESE_SE_iNS9_10multipliesIiEENS9_8equal_toIiEEiEE10hipError_tPvRmT2_T3_T4_T5_mT6_T7_P12ihipStream_tbENKUlT_T0_E_clISt17integral_constantIbLb0EESY_IbLb1EEEEDaSU_SV_EUlSU_E_NS1_11comp_targetILNS1_3genE9ELNS1_11target_archE1100ELNS1_3gpuE3ELNS1_3repE0EEENS1_30default_config_static_selectorELNS0_4arch9wavefront6targetE0EEEvT1_.uses_flat_scratch, 0
	.set _ZN7rocprim17ROCPRIM_400000_NS6detail17trampoline_kernelINS0_14default_configENS1_27scan_by_key_config_selectorIiiEEZZNS1_16scan_by_key_implILNS1_25lookback_scan_determinismE0ELb0ES3_N6thrust23THRUST_200600_302600_NS6detail15normal_iteratorINS9_10device_ptrIiEEEESE_SE_iNS9_10multipliesIiEENS9_8equal_toIiEEiEE10hipError_tPvRmT2_T3_T4_T5_mT6_T7_P12ihipStream_tbENKUlT_T0_E_clISt17integral_constantIbLb0EESY_IbLb1EEEEDaSU_SV_EUlSU_E_NS1_11comp_targetILNS1_3genE9ELNS1_11target_archE1100ELNS1_3gpuE3ELNS1_3repE0EEENS1_30default_config_static_selectorELNS0_4arch9wavefront6targetE0EEEvT1_.has_dyn_sized_stack, 0
	.set _ZN7rocprim17ROCPRIM_400000_NS6detail17trampoline_kernelINS0_14default_configENS1_27scan_by_key_config_selectorIiiEEZZNS1_16scan_by_key_implILNS1_25lookback_scan_determinismE0ELb0ES3_N6thrust23THRUST_200600_302600_NS6detail15normal_iteratorINS9_10device_ptrIiEEEESE_SE_iNS9_10multipliesIiEENS9_8equal_toIiEEiEE10hipError_tPvRmT2_T3_T4_T5_mT6_T7_P12ihipStream_tbENKUlT_T0_E_clISt17integral_constantIbLb0EESY_IbLb1EEEEDaSU_SV_EUlSU_E_NS1_11comp_targetILNS1_3genE9ELNS1_11target_archE1100ELNS1_3gpuE3ELNS1_3repE0EEENS1_30default_config_static_selectorELNS0_4arch9wavefront6targetE0EEEvT1_.has_recursion, 0
	.set _ZN7rocprim17ROCPRIM_400000_NS6detail17trampoline_kernelINS0_14default_configENS1_27scan_by_key_config_selectorIiiEEZZNS1_16scan_by_key_implILNS1_25lookback_scan_determinismE0ELb0ES3_N6thrust23THRUST_200600_302600_NS6detail15normal_iteratorINS9_10device_ptrIiEEEESE_SE_iNS9_10multipliesIiEENS9_8equal_toIiEEiEE10hipError_tPvRmT2_T3_T4_T5_mT6_T7_P12ihipStream_tbENKUlT_T0_E_clISt17integral_constantIbLb0EESY_IbLb1EEEEDaSU_SV_EUlSU_E_NS1_11comp_targetILNS1_3genE9ELNS1_11target_archE1100ELNS1_3gpuE3ELNS1_3repE0EEENS1_30default_config_static_selectorELNS0_4arch9wavefront6targetE0EEEvT1_.has_indirect_call, 0
	.section	.AMDGPU.csdata,"",@progbits
; Kernel info:
; codeLenInByte = 0
; TotalNumSgprs: 0
; NumVgprs: 0
; ScratchSize: 0
; MemoryBound: 0
; FloatMode: 240
; IeeeMode: 1
; LDSByteSize: 0 bytes/workgroup (compile time only)
; SGPRBlocks: 0
; VGPRBlocks: 0
; NumSGPRsForWavesPerEU: 1
; NumVGPRsForWavesPerEU: 1
; Occupancy: 16
; WaveLimiterHint : 0
; COMPUTE_PGM_RSRC2:SCRATCH_EN: 0
; COMPUTE_PGM_RSRC2:USER_SGPR: 6
; COMPUTE_PGM_RSRC2:TRAP_HANDLER: 0
; COMPUTE_PGM_RSRC2:TGID_X_EN: 1
; COMPUTE_PGM_RSRC2:TGID_Y_EN: 0
; COMPUTE_PGM_RSRC2:TGID_Z_EN: 0
; COMPUTE_PGM_RSRC2:TIDIG_COMP_CNT: 0
	.section	.text._ZN7rocprim17ROCPRIM_400000_NS6detail17trampoline_kernelINS0_14default_configENS1_27scan_by_key_config_selectorIiiEEZZNS1_16scan_by_key_implILNS1_25lookback_scan_determinismE0ELb0ES3_N6thrust23THRUST_200600_302600_NS6detail15normal_iteratorINS9_10device_ptrIiEEEESE_SE_iNS9_10multipliesIiEENS9_8equal_toIiEEiEE10hipError_tPvRmT2_T3_T4_T5_mT6_T7_P12ihipStream_tbENKUlT_T0_E_clISt17integral_constantIbLb0EESY_IbLb1EEEEDaSU_SV_EUlSU_E_NS1_11comp_targetILNS1_3genE8ELNS1_11target_archE1030ELNS1_3gpuE2ELNS1_3repE0EEENS1_30default_config_static_selectorELNS0_4arch9wavefront6targetE0EEEvT1_,"axG",@progbits,_ZN7rocprim17ROCPRIM_400000_NS6detail17trampoline_kernelINS0_14default_configENS1_27scan_by_key_config_selectorIiiEEZZNS1_16scan_by_key_implILNS1_25lookback_scan_determinismE0ELb0ES3_N6thrust23THRUST_200600_302600_NS6detail15normal_iteratorINS9_10device_ptrIiEEEESE_SE_iNS9_10multipliesIiEENS9_8equal_toIiEEiEE10hipError_tPvRmT2_T3_T4_T5_mT6_T7_P12ihipStream_tbENKUlT_T0_E_clISt17integral_constantIbLb0EESY_IbLb1EEEEDaSU_SV_EUlSU_E_NS1_11comp_targetILNS1_3genE8ELNS1_11target_archE1030ELNS1_3gpuE2ELNS1_3repE0EEENS1_30default_config_static_selectorELNS0_4arch9wavefront6targetE0EEEvT1_,comdat
	.protected	_ZN7rocprim17ROCPRIM_400000_NS6detail17trampoline_kernelINS0_14default_configENS1_27scan_by_key_config_selectorIiiEEZZNS1_16scan_by_key_implILNS1_25lookback_scan_determinismE0ELb0ES3_N6thrust23THRUST_200600_302600_NS6detail15normal_iteratorINS9_10device_ptrIiEEEESE_SE_iNS9_10multipliesIiEENS9_8equal_toIiEEiEE10hipError_tPvRmT2_T3_T4_T5_mT6_T7_P12ihipStream_tbENKUlT_T0_E_clISt17integral_constantIbLb0EESY_IbLb1EEEEDaSU_SV_EUlSU_E_NS1_11comp_targetILNS1_3genE8ELNS1_11target_archE1030ELNS1_3gpuE2ELNS1_3repE0EEENS1_30default_config_static_selectorELNS0_4arch9wavefront6targetE0EEEvT1_ ; -- Begin function _ZN7rocprim17ROCPRIM_400000_NS6detail17trampoline_kernelINS0_14default_configENS1_27scan_by_key_config_selectorIiiEEZZNS1_16scan_by_key_implILNS1_25lookback_scan_determinismE0ELb0ES3_N6thrust23THRUST_200600_302600_NS6detail15normal_iteratorINS9_10device_ptrIiEEEESE_SE_iNS9_10multipliesIiEENS9_8equal_toIiEEiEE10hipError_tPvRmT2_T3_T4_T5_mT6_T7_P12ihipStream_tbENKUlT_T0_E_clISt17integral_constantIbLb0EESY_IbLb1EEEEDaSU_SV_EUlSU_E_NS1_11comp_targetILNS1_3genE8ELNS1_11target_archE1030ELNS1_3gpuE2ELNS1_3repE0EEENS1_30default_config_static_selectorELNS0_4arch9wavefront6targetE0EEEvT1_
	.globl	_ZN7rocprim17ROCPRIM_400000_NS6detail17trampoline_kernelINS0_14default_configENS1_27scan_by_key_config_selectorIiiEEZZNS1_16scan_by_key_implILNS1_25lookback_scan_determinismE0ELb0ES3_N6thrust23THRUST_200600_302600_NS6detail15normal_iteratorINS9_10device_ptrIiEEEESE_SE_iNS9_10multipliesIiEENS9_8equal_toIiEEiEE10hipError_tPvRmT2_T3_T4_T5_mT6_T7_P12ihipStream_tbENKUlT_T0_E_clISt17integral_constantIbLb0EESY_IbLb1EEEEDaSU_SV_EUlSU_E_NS1_11comp_targetILNS1_3genE8ELNS1_11target_archE1030ELNS1_3gpuE2ELNS1_3repE0EEENS1_30default_config_static_selectorELNS0_4arch9wavefront6targetE0EEEvT1_
	.p2align	8
	.type	_ZN7rocprim17ROCPRIM_400000_NS6detail17trampoline_kernelINS0_14default_configENS1_27scan_by_key_config_selectorIiiEEZZNS1_16scan_by_key_implILNS1_25lookback_scan_determinismE0ELb0ES3_N6thrust23THRUST_200600_302600_NS6detail15normal_iteratorINS9_10device_ptrIiEEEESE_SE_iNS9_10multipliesIiEENS9_8equal_toIiEEiEE10hipError_tPvRmT2_T3_T4_T5_mT6_T7_P12ihipStream_tbENKUlT_T0_E_clISt17integral_constantIbLb0EESY_IbLb1EEEEDaSU_SV_EUlSU_E_NS1_11comp_targetILNS1_3genE8ELNS1_11target_archE1030ELNS1_3gpuE2ELNS1_3repE0EEENS1_30default_config_static_selectorELNS0_4arch9wavefront6targetE0EEEvT1_,@function
_ZN7rocprim17ROCPRIM_400000_NS6detail17trampoline_kernelINS0_14default_configENS1_27scan_by_key_config_selectorIiiEEZZNS1_16scan_by_key_implILNS1_25lookback_scan_determinismE0ELb0ES3_N6thrust23THRUST_200600_302600_NS6detail15normal_iteratorINS9_10device_ptrIiEEEESE_SE_iNS9_10multipliesIiEENS9_8equal_toIiEEiEE10hipError_tPvRmT2_T3_T4_T5_mT6_T7_P12ihipStream_tbENKUlT_T0_E_clISt17integral_constantIbLb0EESY_IbLb1EEEEDaSU_SV_EUlSU_E_NS1_11comp_targetILNS1_3genE8ELNS1_11target_archE1030ELNS1_3gpuE2ELNS1_3repE0EEENS1_30default_config_static_selectorELNS0_4arch9wavefront6targetE0EEEvT1_: ; @_ZN7rocprim17ROCPRIM_400000_NS6detail17trampoline_kernelINS0_14default_configENS1_27scan_by_key_config_selectorIiiEEZZNS1_16scan_by_key_implILNS1_25lookback_scan_determinismE0ELb0ES3_N6thrust23THRUST_200600_302600_NS6detail15normal_iteratorINS9_10device_ptrIiEEEESE_SE_iNS9_10multipliesIiEENS9_8equal_toIiEEiEE10hipError_tPvRmT2_T3_T4_T5_mT6_T7_P12ihipStream_tbENKUlT_T0_E_clISt17integral_constantIbLb0EESY_IbLb1EEEEDaSU_SV_EUlSU_E_NS1_11comp_targetILNS1_3genE8ELNS1_11target_archE1030ELNS1_3gpuE2ELNS1_3repE0EEENS1_30default_config_static_selectorELNS0_4arch9wavefront6targetE0EEEvT1_
; %bb.0:
	s_clause 0x1
	s_load_dwordx4 s[24:27], s[4:5], 0x28
	s_load_dwordx2 s[28:29], s[4:5], 0x38
	v_cmp_ne_u32_e64 s1, 0, v0
	v_cmp_eq_u32_e64 s0, 0, v0
	s_and_saveexec_b32 s2, s0
	s_cbranch_execz .LBB199_4
; %bb.1:
	s_mov_b32 s6, exec_lo
	s_mov_b32 s3, exec_lo
	v_mbcnt_lo_u32_b32 v1, s6, 0
                                        ; implicit-def: $vgpr2
	v_cmpx_eq_u32_e32 0, v1
	s_cbranch_execz .LBB199_3
; %bb.2:
	s_load_dwordx2 s[8:9], s[4:5], 0x68
	s_bcnt1_i32_b32 s6, s6
	v_mov_b32_e32 v2, 0
	v_mov_b32_e32 v3, s6
	s_waitcnt lgkmcnt(0)
	global_atomic_add v2, v2, v3, s[8:9] glc
.LBB199_3:
	s_or_b32 exec_lo, exec_lo, s3
	s_waitcnt vmcnt(0)
	v_readfirstlane_b32 s3, v2
	v_mov_b32_e32 v2, 0
	v_add_nc_u32_e32 v1, s3, v1
	ds_write_b32 v2, v1
.LBB199_4:
	s_or_b32 exec_lo, exec_lo, s2
	v_mov_b32_e32 v1, 0
	s_clause 0x2
	s_load_dwordx8 s[8:15], s[4:5], 0x0
	s_load_dword s30, s[4:5], 0x40
	s_load_dwordx8 s[16:23], s[4:5], 0x48
	s_waitcnt lgkmcnt(0)
	s_barrier
	buffer_gl0_inv
	ds_read_b32 v1, v1
	s_waitcnt lgkmcnt(0)
	s_barrier
	buffer_gl0_inv
	s_barrier
	buffer_gl0_inv
	s_lshl_b64 s[6:7], s[10:11], 2
	s_mul_i32 s2, s29, s30
	s_add_u32 s4, s8, s6
	s_addc_u32 s5, s9, s7
	s_mul_hi_u32 s3, s28, s30
	s_add_u32 s12, s12, s6
	v_readfirstlane_b32 s27, v1
	s_addc_u32 s13, s13, s7
	s_add_i32 s33, s3, s2
	s_cmp_lg_u64 s[20:21], 0
	s_mov_b32 s3, 0
	s_mul_i32 s2, s27, 0x300
	s_cselect_b32 s31, -1, 0
	s_lshl_b64 s[8:9], s[2:3], 2
	s_mul_i32 s2, s28, s30
	s_add_u32 s10, s4, s8
	s_addc_u32 s11, s5, s9
	s_add_u32 s5, s12, s8
	s_addc_u32 s30, s13, s9
	;; [unrolled: 2-line block ×3, first 2 shown]
	s_add_u32 s16, s16, -1
	s_addc_u32 s17, s17, -1
	s_mul_i32 s21, s16, 0xfffffd00
	v_cmp_ge_u64_e64 s20, s[12:13], s[16:17]
	s_and_b32 vcc_lo, exec_lo, s20
	s_cbranch_vccz .LBB199_26
; %bb.5:
	v_mov_b32_e32 v1, s10
	v_mov_b32_e32 v2, s11
	s_add_i32 s33, s21, s26
	v_cmp_gt_u32_e64 s2, s33, v0
	flat_load_dword v2, v[1:2]
	s_waitcnt vmcnt(0) lgkmcnt(0)
	v_mov_b32_e32 v3, v2
	s_and_saveexec_b32 s3, s2
	s_cbranch_execz .LBB199_7
; %bb.6:
	v_lshlrev_b32_e32 v1, 2, v0
	v_add_co_u32 v3, s4, s10, v1
	v_add_co_ci_u32_e64 v4, null, s11, 0, s4
	flat_load_dword v3, v[3:4]
.LBB199_7:
	s_or_b32 exec_lo, exec_lo, s3
	v_or_b32_e32 v1, 0x100, v0
	v_mov_b32_e32 v4, v2
	v_cmp_gt_u32_e64 s3, s33, v1
	s_and_saveexec_b32 s4, s3
	s_cbranch_execz .LBB199_9
; %bb.8:
	v_lshlrev_b32_e32 v1, 2, v0
	v_add_co_u32 v4, s16, s10, v1
	v_add_co_ci_u32_e64 v5, null, s11, 0, s16
	flat_load_dword v4, v[4:5] offset:1024
.LBB199_9:
	s_or_b32 exec_lo, exec_lo, s4
	v_or_b32_e32 v1, 0x200, v0
	v_cmp_gt_u32_e64 s4, s33, v1
	v_lshlrev_b32_e32 v8, 2, v1
	s_and_saveexec_b32 s16, s4
	s_cbranch_execz .LBB199_11
; %bb.10:
	v_add_co_u32 v1, s17, s10, v8
	v_add_co_ci_u32_e64 v2, null, s11, 0, s17
	flat_load_dword v2, v[1:2]
.LBB199_11:
	s_or_b32 exec_lo, exec_lo, s16
	v_lshlrev_b32_e32 v9, 2, v0
	v_lshlrev_b32_e32 v1, 3, v0
	s_cmp_eq_u64 s[12:13], 0
	s_mov_b64 s[16:17], s[10:11]
	s_waitcnt vmcnt(0) lgkmcnt(0)
	ds_write2st64_b32 v9, v3, v4 offset1:4
	v_add_nc_u32_e32 v7, v9, v1
	ds_write_b32 v9, v2 offset:2048
	s_waitcnt lgkmcnt(0)
	s_barrier
	buffer_gl0_inv
	ds_read2_b32 v[4:5], v7 offset1:1
	ds_read_b32 v6, v7 offset:8
	s_cbranch_scc1 .LBB199_15
; %bb.12:
	s_andn2_b32 vcc_lo, exec_lo, s31
	s_cbranch_vccnz .LBB199_151
; %bb.13:
	s_lshl_b64 s[16:17], s[12:13], 2
	s_add_u32 s16, s22, s16
	s_addc_u32 s17, s23, s17
	s_add_u32 s16, s16, -4
	s_addc_u32 s17, s17, -1
	s_cbranch_execnz .LBB199_15
.LBB199_14:
	s_add_u32 s16, s10, -4
	s_addc_u32 s17, s11, -1
.LBB199_15:
	v_mov_b32_e32 v2, s16
	v_mov_b32_e32 v3, s17
	flat_load_dword v13, v[2:3]
	v_sub_nc_u32_e32 v2, v7, v1
	s_waitcnt lgkmcnt(1)
	ds_write_b32 v2, v6 offset:3072
	s_waitcnt vmcnt(0) lgkmcnt(0)
	s_barrier
	buffer_gl0_inv
	s_and_saveexec_b32 s16, s1
; %bb.16:
	v_sub_nc_u32_e32 v1, 0, v1
	v_add_nc_u32_e32 v1, v7, v1
	ds_read_b32 v13, v1 offset:3068
; %bb.17:
	s_or_b32 exec_lo, exec_lo, s16
	v_mov_b32_e32 v1, 0
	s_waitcnt lgkmcnt(0)
	s_barrier
	buffer_gl0_inv
	v_mov_b32_e32 v2, v1
	v_mov_b32_e32 v3, v1
	s_and_saveexec_b32 s16, s2
	s_cbranch_execnz .LBB199_149
; %bb.18:
	s_or_b32 exec_lo, exec_lo, s16
	s_and_saveexec_b32 s2, s3
	s_cbranch_execnz .LBB199_150
.LBB199_19:
	s_or_b32 exec_lo, exec_lo, s2
	s_and_saveexec_b32 s2, s4
	s_cbranch_execz .LBB199_21
.LBB199_20:
	v_add_co_u32 v10, s3, s5, v8
	v_add_co_ci_u32_e64 v11, null, s30, 0, s3
	flat_load_dword v3, v[10:11]
.LBB199_21:
	s_or_b32 exec_lo, exec_lo, s2
	s_waitcnt vmcnt(0) lgkmcnt(0)
	ds_write2st64_b32 v9, v1, v2 offset1:4
	ds_write_b32 v9, v3 offset:2048
	v_mov_b32_e32 v9, 0
	v_mov_b32_e32 v11, 0
	v_mul_u32_u24_e32 v8, 3, v0
	v_mov_b32_e32 v10, 0
	v_mov_b32_e32 v12, 0
	s_mov_b32 s16, 0
	s_mov_b32 s3, 0
	s_mov_b32 s17, exec_lo
	s_waitcnt lgkmcnt(0)
	s_barrier
	buffer_gl0_inv
                                        ; implicit-def: $sgpr4
                                        ; implicit-def: $vgpr2
	v_cmpx_gt_u32_e64 s33, v8
	s_cbranch_execz .LBB199_25
; %bb.22:
	ds_read_b32 v9, v7
	v_cmp_ne_u32_e32 vcc_lo, v13, v4
	v_mov_b32_e32 v11, 0
	v_add_nc_u32_e32 v1, 1, v8
	v_mov_b32_e32 v12, 0
	s_mov_b32 s2, 0
	v_cndmask_b32_e64 v10, 0, 1, vcc_lo
	s_mov_b32 s3, exec_lo
                                        ; implicit-def: $sgpr4
                                        ; implicit-def: $vgpr2
	v_cmpx_gt_u32_e64 s33, v1
	s_xor_b32 s3, exec_lo, s3
	s_cbranch_execz .LBB199_24
; %bb.23:
	ds_read2_b32 v[1:2], v7 offset0:1 offset1:2
	v_add_nc_u32_e32 v3, 2, v8
	v_cmp_ne_u32_e64 s2, v4, v5
	v_cmp_ne_u32_e64 s4, v5, v6
	v_cmp_gt_u32_e32 vcc_lo, s33, v3
	v_cndmask_b32_e64 v12, 0, 1, s2
	s_and_b32 s2, vcc_lo, exec_lo
	s_waitcnt lgkmcnt(0)
	v_mov_b32_e32 v11, v1
.LBB199_24:
	s_or_b32 exec_lo, exec_lo, s3
	s_and_b32 s3, s2, exec_lo
.LBB199_25:
	s_or_b32 exec_lo, exec_lo, s17
	v_lshlrev_b32_e32 v18, 2, v0
	v_lshlrev_b32_e32 v19, 3, v0
	s_and_b32 vcc_lo, exec_lo, s16
	s_cbranch_vccnz .LBB199_27
	s_branch .LBB199_35
.LBB199_26:
                                        ; implicit-def: $sgpr4
                                        ; implicit-def: $vgpr2
                                        ; implicit-def: $vgpr9_vgpr10
                                        ; implicit-def: $vgpr11_vgpr12
	v_lshlrev_b32_e32 v18, 2, v0
	v_lshlrev_b32_e32 v19, 3, v0
	s_cbranch_execz .LBB199_35
.LBB199_27:
	v_add_co_u32 v1, s2, s10, v18
	v_add_co_ci_u32_e64 v2, null, s11, 0, s2
	s_cmp_eq_u64 s[12:13], 0
	v_add_co_u32 v3, vcc_lo, 0x800, v1
	v_add_co_ci_u32_e64 v4, null, 0, v2, vcc_lo
	s_clause 0x2
	flat_load_dword v5, v[1:2]
	flat_load_dword v2, v[1:2] offset:1024
	flat_load_dword v3, v[3:4]
	v_add_nc_u32_e32 v1, v18, v19
	s_waitcnt vmcnt(1) lgkmcnt(1)
	ds_write2st64_b32 v18, v5, v2 offset1:4
	s_waitcnt vmcnt(0) lgkmcnt(1)
	ds_write_b32 v18, v3 offset:2048
	s_waitcnt lgkmcnt(0)
	s_barrier
	buffer_gl0_inv
	ds_read2_b32 v[3:4], v1 offset1:1
	ds_read_b32 v5, v1 offset:8
	s_cbranch_scc1 .LBB199_32
; %bb.28:
	s_andn2_b32 vcc_lo, exec_lo, s31
	s_cbranch_vccnz .LBB199_152
; %bb.29:
	s_lshl_b64 s[2:3], s[12:13], 2
	s_add_u32 s2, s22, s2
	s_addc_u32 s3, s23, s3
	s_add_u32 s2, s2, -4
	s_addc_u32 s3, s3, -1
	s_cbranch_execnz .LBB199_31
.LBB199_30:
	s_add_u32 s2, s10, -4
	s_addc_u32 s3, s11, -1
.LBB199_31:
	s_mov_b64 s[10:11], s[2:3]
.LBB199_32:
	v_mov_b32_e32 v6, s10
	v_mov_b32_e32 v7, s11
	v_sub_nc_u32_e32 v2, v1, v19
	flat_load_dword v6, v[6:7]
	s_waitcnt lgkmcnt(1)
	ds_write_b32 v2, v5 offset:3072
	s_waitcnt vmcnt(0) lgkmcnt(0)
	s_barrier
	buffer_gl0_inv
	s_and_saveexec_b32 s2, s1
; %bb.33:
	v_sub_nc_u32_e32 v2, 0, v19
	v_add_nc_u32_e32 v2, v1, v2
	ds_read_b32 v6, v2 offset:3068
; %bb.34:
	s_or_b32 exec_lo, exec_lo, s2
	v_add_co_u32 v7, s2, s5, v18
	v_add_co_ci_u32_e64 v8, null, s30, 0, s2
	s_waitcnt lgkmcnt(0)
	v_add_co_u32 v9, vcc_lo, 0x800, v7
	v_add_co_ci_u32_e64 v10, null, 0, v8, vcc_lo
	s_barrier
	buffer_gl0_inv
	s_clause 0x2
	flat_load_dword v2, v[7:8]
	flat_load_dword v7, v[7:8] offset:1024
	flat_load_dword v8, v[9:10]
	v_cmp_ne_u32_e32 vcc_lo, v6, v3
	v_cmp_ne_u32_e64 s4, v4, v5
	s_mov_b32 s3, -1
	s_waitcnt vmcnt(1) lgkmcnt(1)
	ds_write2st64_b32 v18, v2, v7 offset1:4
	s_waitcnt vmcnt(0) lgkmcnt(1)
	ds_write_b32 v18, v8 offset:2048
	s_waitcnt lgkmcnt(0)
	s_barrier
	buffer_gl0_inv
	ds_read2_b32 v[7:8], v1 offset1:1
	ds_read_b32 v2, v1 offset:8
	v_cndmask_b32_e64 v10, 0, 1, vcc_lo
	v_cmp_ne_u32_e32 vcc_lo, v3, v4
	v_cndmask_b32_e64 v12, 0, 1, vcc_lo
	s_waitcnt lgkmcnt(1)
	v_mov_b32_e32 v9, v7
	v_mov_b32_e32 v11, v8
.LBB199_35:
	v_mov_b32_e32 v13, 0
	v_mov_b32_e32 v14, 0
	s_and_saveexec_b32 s2, s3
	s_cbranch_execz .LBB199_37
; %bb.36:
	v_cndmask_b32_e64 v14, 0, 1, s4
	s_waitcnt lgkmcnt(0)
	v_mov_b32_e32 v13, v2
.LBB199_37:
	s_or_b32 exec_lo, exec_lo, s2
	v_or_b32_e32 v21, v12, v14
	v_mbcnt_lo_u32_b32 v20, -1, 0
	s_cmp_lg_u32 s27, 0
	s_mov_b32 s4, 0
	s_waitcnt lgkmcnt(0)
	s_barrier
	buffer_gl0_inv
	s_cbranch_scc0 .LBB199_95
; %bb.38:
	s_mov_b32 s5, 1
	v_and_b32_e32 v2, 0xff, v21
	v_cmp_gt_u64_e64 s2, s[4:5], v[11:12]
	v_cmp_gt_u64_e64 s3, s[4:5], v[13:14]
	v_and_b32_e32 v5, 15, v20
	s_mov_b32 s4, exec_lo
	v_cndmask_b32_e64 v1, 1, v9, s2
	v_mul_lo_u32 v3, v1, v11
	v_mov_b32_e32 v1, 0
	v_cmp_eq_u64_e32 vcc_lo, 0, v[1:2]
	v_cndmask_b32_e64 v3, 1, v3, s3
	v_cndmask_b32_e32 v2, 1, v10, vcc_lo
	v_mul_lo_u32 v3, v3, v13
	v_and_b32_e32 v4, 0xff, v2
	v_mov_b32_dpp v6, v3 row_shr:1 row_mask:0xf bank_mask:0xf
	v_mov_b32_dpp v7, v4 row_shr:1 row_mask:0xf bank_mask:0xf
	v_cmpx_ne_u32_e32 0, v5
	s_cbranch_execz .LBB199_40
; %bb.39:
	v_and_b32_e32 v4, 1, v2
	v_cmp_eq_u16_sdwa vcc_lo, v2, v1 src0_sel:BYTE_0 src1_sel:DWORD
	v_and_b32_e32 v7, 1, v7
	v_cndmask_b32_e32 v1, 1, v6, vcc_lo
	v_cmp_eq_u32_e32 vcc_lo, 1, v4
	v_mul_lo_u32 v3, v1, v3
	v_cndmask_b32_e64 v4, v7, 1, vcc_lo
	v_mov_b32_e32 v2, v4
.LBB199_40:
	s_or_b32 exec_lo, exec_lo, s4
	v_mov_b32_dpp v1, v3 row_shr:2 row_mask:0xf bank_mask:0xf
	v_mov_b32_dpp v6, v4 row_shr:2 row_mask:0xf bank_mask:0xf
	s_mov_b32 s4, exec_lo
	v_cmpx_lt_u32_e32 1, v5
	s_cbranch_execz .LBB199_42
; %bb.41:
	v_mov_b32_e32 v4, 0
	v_and_b32_e32 v7, 1, v2
	v_and_b32_e32 v6, 1, v6
	v_cmp_eq_u16_sdwa vcc_lo, v2, v4 src0_sel:BYTE_0 src1_sel:DWORD
	v_cndmask_b32_e32 v1, 1, v1, vcc_lo
	v_cmp_eq_u32_e32 vcc_lo, 1, v7
	v_mul_lo_u32 v3, v1, v3
	v_cndmask_b32_e64 v2, v6, 1, vcc_lo
	v_mov_b32_e32 v4, v2
.LBB199_42:
	s_or_b32 exec_lo, exec_lo, s4
	v_mov_b32_dpp v1, v3 row_shr:4 row_mask:0xf bank_mask:0xf
	v_mov_b32_dpp v6, v4 row_shr:4 row_mask:0xf bank_mask:0xf
	s_mov_b32 s4, exec_lo
	v_cmpx_lt_u32_e32 3, v5
	s_cbranch_execz .LBB199_44
; %bb.43:
	v_mov_b32_e32 v4, 0
	v_and_b32_e32 v7, 1, v2
	v_and_b32_e32 v6, 1, v6
	v_cmp_eq_u16_sdwa vcc_lo, v2, v4 src0_sel:BYTE_0 src1_sel:DWORD
	v_cndmask_b32_e32 v1, 1, v1, vcc_lo
	v_cmp_eq_u32_e32 vcc_lo, 1, v7
	v_mul_lo_u32 v3, v1, v3
	v_cndmask_b32_e64 v2, v6, 1, vcc_lo
	v_mov_b32_e32 v4, v2
.LBB199_44:
	;; [unrolled: 17-line block ×3, first 2 shown]
	s_or_b32 exec_lo, exec_lo, s4
	ds_swizzle_b32 v5, v3 offset:swizzle(BROADCAST,32,15)
	ds_swizzle_b32 v1, v4 offset:swizzle(BROADCAST,32,15)
	v_and_b32_e32 v6, 16, v20
	s_mov_b32 s4, exec_lo
	v_cmpx_ne_u32_e32 0, v6
	s_cbranch_execz .LBB199_48
; %bb.47:
	v_mov_b32_e32 v4, 0
	s_waitcnt lgkmcnt(0)
	v_and_b32_e32 v1, 1, v1
	v_cmp_eq_u16_sdwa vcc_lo, v2, v4 src0_sel:BYTE_0 src1_sel:DWORD
	v_and_b32_e32 v2, 1, v2
	v_cndmask_b32_e32 v4, 1, v5, vcc_lo
	v_cmp_eq_u32_e32 vcc_lo, 1, v2
	v_mul_lo_u32 v3, v4, v3
	v_cndmask_b32_e64 v4, v1, 1, vcc_lo
.LBB199_48:
	s_or_b32 exec_lo, exec_lo, s4
	v_lshrrev_b32_e32 v2, 5, v0
	s_waitcnt lgkmcnt(0)
	v_or_b32_e32 v1, 31, v0
	s_mov_b32 s4, exec_lo
	v_lshlrev_b32_e32 v5, 3, v2
	v_cmpx_eq_u32_e64 v0, v1
	s_cbranch_execz .LBB199_50
; %bb.49:
	ds_write_b32 v5, v3
	ds_write_b8 v5, v4 offset:4
.LBB199_50:
	s_or_b32 exec_lo, exec_lo, s4
	s_mov_b32 s4, exec_lo
	s_waitcnt lgkmcnt(0)
	s_barrier
	buffer_gl0_inv
	v_cmpx_gt_u32_e32 8, v0
	s_cbranch_execz .LBB199_58
; %bb.51:
	ds_read_b64 v[1:2], v19
	v_and_b32_e32 v6, 7, v20
	s_mov_b32 s5, exec_lo
	s_waitcnt lgkmcnt(0)
	v_and_b32_e32 v7, 0xffffff00, v2
	v_mov_b32_dpp v15, v1 row_shr:1 row_mask:0xf bank_mask:0xf
	v_mov_b32_dpp v16, v2 row_shr:1 row_mask:0xf bank_mask:0xf
	v_mov_b32_e32 v8, v2
	v_cmpx_ne_u32_e32 0, v6
	s_cbranch_execz .LBB199_53
; %bb.52:
	v_mov_b32_e32 v8, 0
	v_and_b32_e32 v17, 1, v2
	v_and_b32_e32 v16, 1, v16
	v_cmp_eq_u16_sdwa vcc_lo, v2, v8 src0_sel:BYTE_0 src1_sel:DWORD
	v_cndmask_b32_e32 v8, 1, v15, vcc_lo
	v_cmp_eq_u32_e32 vcc_lo, 1, v17
	v_mul_lo_u32 v1, v8, v1
	v_cndmask_b32_e64 v2, v16, 1, vcc_lo
	v_or_b32_sdwa v8, v7, v2 dst_sel:DWORD dst_unused:UNUSED_PAD src0_sel:DWORD src1_sel:WORD_0
.LBB199_53:
	s_or_b32 exec_lo, exec_lo, s5
	v_mov_b32_dpp v15, v1 row_shr:2 row_mask:0xf bank_mask:0xf
	v_mov_b32_dpp v16, v8 row_shr:2 row_mask:0xf bank_mask:0xf
	s_mov_b32 s5, exec_lo
	v_cmpx_lt_u32_e32 1, v6
	s_cbranch_execz .LBB199_55
; %bb.54:
	v_mov_b32_e32 v8, 0
	v_and_b32_e32 v17, 1, v2
	v_and_b32_e32 v16, 1, v16
	v_cmp_eq_u16_sdwa vcc_lo, v2, v8 src0_sel:BYTE_0 src1_sel:DWORD
	v_cndmask_b32_e32 v8, 1, v15, vcc_lo
	v_cmp_eq_u32_e32 vcc_lo, 1, v17
	v_mul_lo_u32 v1, v8, v1
	v_cndmask_b32_e64 v2, v16, 1, vcc_lo
	v_or_b32_sdwa v8, v7, v2 dst_sel:DWORD dst_unused:UNUSED_PAD src0_sel:DWORD src1_sel:WORD_0
.LBB199_55:
	s_or_b32 exec_lo, exec_lo, s5
	v_mov_b32_dpp v15, v1 row_shr:4 row_mask:0xf bank_mask:0xf
	v_mov_b32_dpp v7, v8 row_shr:4 row_mask:0xf bank_mask:0xf
	s_mov_b32 s5, exec_lo
	v_cmpx_lt_u32_e32 3, v6
	s_cbranch_execz .LBB199_57
; %bb.56:
	v_mov_b32_e32 v6, 0
	v_and_b32_e32 v7, 1, v7
	v_cmp_eq_u16_sdwa vcc_lo, v2, v6 src0_sel:BYTE_0 src1_sel:DWORD
	v_and_b32_e32 v2, 1, v2
	v_cndmask_b32_e32 v6, 1, v15, vcc_lo
	v_cmp_eq_u32_e32 vcc_lo, 1, v2
	v_mul_lo_u32 v1, v6, v1
	v_cndmask_b32_e64 v2, v7, 1, vcc_lo
.LBB199_57:
	s_or_b32 exec_lo, exec_lo, s5
	ds_write_b32 v19, v1
	ds_write_b8 v19, v2 offset:4
.LBB199_58:
	s_or_b32 exec_lo, exec_lo, s4
	v_mov_b32_e32 v23, 0
	v_mov_b32_e32 v22, 0
	s_mov_b32 s5, exec_lo
	v_cmp_gt_u32_e32 vcc_lo, 32, v0
	s_waitcnt lgkmcnt(0)
	s_barrier
	buffer_gl0_inv
	v_cmpx_lt_u32_e32 31, v0
	s_cbranch_execz .LBB199_60
; %bb.59:
	v_add_nc_u32_e32 v1, -8, v5
	v_cmp_eq_u32_e64 s4, 0, v4
	v_and_b32_e32 v2, 1, v4
	ds_read_b32 v23, v1
	v_add_nc_u32_e32 v1, -4, v5
	ds_read_u8 v22, v1
	s_waitcnt lgkmcnt(1)
	v_cndmask_b32_e64 v1, 1, v23, s4
	v_cmp_eq_u32_e64 s4, 1, v2
	v_mul_lo_u32 v3, v1, v3
	s_waitcnt lgkmcnt(0)
	v_cndmask_b32_e64 v4, v22, 1, s4
.LBB199_60:
	s_or_b32 exec_lo, exec_lo, s5
	v_sub_co_u32 v1, s4, v20, 1
	v_cmp_gt_i32_e64 s5, 0, v1
	v_cndmask_b32_e64 v1, v1, v20, s5
	v_lshlrev_b32_e32 v1, 2, v1
	ds_bpermute_b32 v25, v1, v3
	ds_bpermute_b32 v24, v1, v4
	s_and_saveexec_b32 s5, vcc_lo
	s_cbranch_execz .LBB199_100
; %bb.61:
	v_mov_b32_e32 v4, 0
	ds_read_b64 v[1:2], v4 offset:56
	s_and_saveexec_b32 s10, s4
	s_cbranch_execz .LBB199_63
; %bb.62:
	s_add_i32 s12, s27, 32
	s_mov_b32 s13, 0
	v_mov_b32_e32 v3, 1
	s_lshl_b64 s[12:13], s[12:13], 4
	s_add_u32 s12, s24, s12
	s_addc_u32 s13, s25, s13
	v_mov_b32_e32 v5, s12
	v_mov_b32_e32 v6, s13
	s_waitcnt lgkmcnt(0)
	;;#ASMSTART
	global_store_dwordx4 v[5:6], v[1:4] off	
s_waitcnt vmcnt(0)
	;;#ASMEND
.LBB199_63:
	s_or_b32 exec_lo, exec_lo, s10
	v_xad_u32 v15, v20, -1, s27
	s_mov_b32 s11, 0
	v_add_nc_u32_e32 v3, 32, v15
	v_lshlrev_b64 v[5:6], 4, v[3:4]
	v_add_co_u32 v16, vcc_lo, s24, v5
	v_add_co_ci_u32_e64 v17, null, s25, v6, vcc_lo
	;;#ASMSTART
	global_load_dwordx4 v[5:8], v[16:17] off glc dlc	
s_waitcnt vmcnt(0)
	;;#ASMEND
	v_and_b32_e32 v6, 0xff, v6
	v_cmp_eq_u16_sdwa s12, v7, v4 src0_sel:BYTE_0 src1_sel:DWORD
	s_and_saveexec_b32 s10, s12
	s_cbranch_execz .LBB199_67
; %bb.64:
	v_mov_b32_e32 v3, 0
.LBB199_65:                             ; =>This Inner Loop Header: Depth=1
	;;#ASMSTART
	global_load_dwordx4 v[5:8], v[16:17] off glc dlc	
s_waitcnt vmcnt(0)
	;;#ASMEND
	v_cmp_ne_u16_sdwa s12, v7, v3 src0_sel:BYTE_0 src1_sel:DWORD
	s_or_b32 s11, s12, s11
	s_andn2_b32 exec_lo, exec_lo, s11
	s_cbranch_execnz .LBB199_65
; %bb.66:
	s_or_b32 exec_lo, exec_lo, s11
	v_and_b32_e32 v6, 0xff, v6
.LBB199_67:
	s_or_b32 exec_lo, exec_lo, s10
	v_cmp_ne_u32_e32 vcc_lo, 31, v20
	v_mov_b32_e32 v4, 2
	v_lshlrev_b32_e64 v26, v20, -1
	s_mov_b32 s12, exec_lo
	v_add_co_ci_u32_e64 v3, null, 0, v20, vcc_lo
	v_cmp_eq_u16_sdwa s10, v7, v4 src0_sel:BYTE_0 src1_sel:DWORD
	v_mov_b32_e32 v4, v6
	v_lshlrev_b32_e32 v17, 2, v3
	v_and_or_b32 v3, s10, v26, 0x80000000
	s_mov_b32 s10, 0
	ds_bpermute_b32 v8, v17, v5
	ds_bpermute_b32 v16, v17, v6
	v_ffbl_b32_e32 v3, v3
	v_cmpx_lt_u32_e64 v20, v3
	s_cbranch_execz .LBB199_69
; %bb.68:
	s_mov_b32 s11, 1
	v_and_b32_e32 v4, 1, v6
	v_cmp_gt_u64_e32 vcc_lo, s[10:11], v[5:6]
	s_waitcnt lgkmcnt(0)
	v_and_b32_e32 v16, 1, v16
	v_cndmask_b32_e32 v8, 1, v8, vcc_lo
	v_cmp_eq_u32_e32 vcc_lo, 1, v4
	v_mul_lo_u32 v5, v8, v5
	v_cndmask_b32_e64 v6, v16, 1, vcc_lo
	v_and_b32_e32 v4, 0xffff, v6
.LBB199_69:
	s_or_b32 exec_lo, exec_lo, s12
	v_cmp_gt_u32_e32 vcc_lo, 30, v20
	v_add_nc_u32_e32 v28, 2, v20
	s_mov_b32 s10, exec_lo
	s_waitcnt lgkmcnt(1)
	v_cndmask_b32_e64 v8, 0, 2, vcc_lo
	v_add_lshl_u32 v27, v8, v20, 2
	ds_bpermute_b32 v8, v27, v5
	s_waitcnt lgkmcnt(1)
	ds_bpermute_b32 v16, v27, v4
	v_cmpx_le_u32_e64 v28, v3
	s_cbranch_execz .LBB199_71
; %bb.70:
	v_and_b32_e32 v4, 1, v6
	v_cmp_eq_u16_e32 vcc_lo, 0, v6
	s_waitcnt lgkmcnt(0)
	v_and_b32_e32 v16, 1, v16
	v_cndmask_b32_e32 v8, 1, v8, vcc_lo
	v_cmp_eq_u32_e32 vcc_lo, 1, v4
	v_mul_lo_u32 v5, v8, v5
	v_cndmask_b32_e64 v6, v16, 1, vcc_lo
	v_and_b32_e32 v4, 0xffff, v6
.LBB199_71:
	s_or_b32 exec_lo, exec_lo, s10
	v_cmp_gt_u32_e32 vcc_lo, 28, v20
	v_add_nc_u32_e32 v30, 4, v20
	s_mov_b32 s10, exec_lo
	s_waitcnt lgkmcnt(1)
	v_cndmask_b32_e64 v8, 0, 4, vcc_lo
	v_add_lshl_u32 v29, v8, v20, 2
	ds_bpermute_b32 v8, v29, v5
	s_waitcnt lgkmcnt(1)
	ds_bpermute_b32 v16, v29, v4
	v_cmpx_le_u32_e64 v30, v3
	s_cbranch_execz .LBB199_73
; %bb.72:
	v_and_b32_e32 v4, 1, v6
	v_cmp_eq_u16_e32 vcc_lo, 0, v6
	s_waitcnt lgkmcnt(0)
	v_and_b32_e32 v16, 1, v16
	v_cndmask_b32_e32 v8, 1, v8, vcc_lo
	v_cmp_eq_u32_e32 vcc_lo, 1, v4
	v_mul_lo_u32 v5, v8, v5
	v_cndmask_b32_e64 v6, v16, 1, vcc_lo
	v_and_b32_e32 v4, 0xffff, v6
.LBB199_73:
	;; [unrolled: 23-line block ×3, first 2 shown]
	s_or_b32 exec_lo, exec_lo, s10
	v_lshl_or_b32 v35, v20, 2, 64
	v_add_nc_u32_e32 v36, 16, v20
	s_mov_b32 s10, exec_lo
	s_waitcnt lgkmcnt(1)
	ds_bpermute_b32 v8, v35, v5
	ds_bpermute_b32 v4, v35, v4
	v_cmpx_le_u32_e64 v36, v3
	s_cbranch_execz .LBB199_77
; %bb.76:
	v_cmp_eq_u16_e32 vcc_lo, 0, v6
	v_and_b32_e32 v6, 1, v6
	s_waitcnt lgkmcnt(0)
	v_and_b32_e32 v4, 1, v4
	v_cndmask_b32_e32 v3, 1, v8, vcc_lo
	v_cmp_eq_u32_e32 vcc_lo, 1, v6
	v_mul_lo_u32 v5, v3, v5
	v_cndmask_b32_e64 v6, v4, 1, vcc_lo
.LBB199_77:
	s_or_b32 exec_lo, exec_lo, s10
	s_waitcnt lgkmcnt(2)
	v_mov_b32_e32 v16, 0
	v_mov_b32_e32 v37, 2
	s_mov_b32 s10, 0
	s_mov_b32 s11, 1
	s_branch .LBB199_80
.LBB199_78:                             ;   in Loop: Header=BB199_80 Depth=1
	s_or_b32 exec_lo, exec_lo, s12
	v_cmp_eq_u16_sdwa vcc_lo, v33, v16 src0_sel:BYTE_0 src1_sel:DWORD
	s_waitcnt lgkmcnt(0)
	v_and_b32_e32 v4, 1, v33
	v_and_b32_e32 v6, 1, v6
	v_subrev_nc_u32_e32 v15, 32, v15
	s_mov_b32 s12, 0
	v_cndmask_b32_e32 v3, 1, v5, vcc_lo
	v_cmp_eq_u32_e32 vcc_lo, 1, v4
	v_mul_lo_u32 v5, v3, v34
	v_cndmask_b32_e64 v6, v6, 1, vcc_lo
.LBB199_79:                             ;   in Loop: Header=BB199_80 Depth=1
	s_and_b32 vcc_lo, exec_lo, s12
	s_cbranch_vccnz .LBB199_96
.LBB199_80:                             ; =>This Loop Header: Depth=1
                                        ;     Child Loop BB199_83 Depth 2
	v_cmp_ne_u16_sdwa s12, v7, v37 src0_sel:BYTE_0 src1_sel:DWORD
	v_mov_b32_e32 v33, v6
	v_mov_b32_e32 v34, v5
                                        ; implicit-def: $vgpr6
	s_cmp_lg_u32 s12, exec_lo
	s_mov_b32 s12, -1
	s_cbranch_scc1 .LBB199_79
; %bb.81:                               ;   in Loop: Header=BB199_80 Depth=1
	s_waitcnt lgkmcnt(0)
	v_lshlrev_b64 v[3:4], 4, v[15:16]
	v_add_co_u32 v3, vcc_lo, s24, v3
	v_add_co_ci_u32_e64 v4, null, s25, v4, vcc_lo
	;;#ASMSTART
	global_load_dwordx4 v[5:8], v[3:4] off glc dlc	
s_waitcnt vmcnt(0)
	;;#ASMEND
	v_and_b32_e32 v6, 0xff, v6
	v_cmp_eq_u16_sdwa s13, v7, v16 src0_sel:BYTE_0 src1_sel:DWORD
	s_and_saveexec_b32 s12, s13
	s_cbranch_execz .LBB199_85
; %bb.82:                               ;   in Loop: Header=BB199_80 Depth=1
	s_mov_b32 s13, 0
.LBB199_83:                             ;   Parent Loop BB199_80 Depth=1
                                        ; =>  This Inner Loop Header: Depth=2
	;;#ASMSTART
	global_load_dwordx4 v[5:8], v[3:4] off glc dlc	
s_waitcnt vmcnt(0)
	;;#ASMEND
	v_cmp_ne_u16_sdwa s16, v7, v16 src0_sel:BYTE_0 src1_sel:DWORD
	s_or_b32 s13, s16, s13
	s_andn2_b32 exec_lo, exec_lo, s13
	s_cbranch_execnz .LBB199_83
; %bb.84:                               ;   in Loop: Header=BB199_80 Depth=1
	s_or_b32 exec_lo, exec_lo, s13
	v_and_b32_e32 v6, 0xff, v6
.LBB199_85:                             ;   in Loop: Header=BB199_80 Depth=1
	s_or_b32 exec_lo, exec_lo, s12
	ds_bpermute_b32 v8, v17, v5
	ds_bpermute_b32 v38, v17, v6
	v_cmp_eq_u16_sdwa s12, v7, v37 src0_sel:BYTE_0 src1_sel:DWORD
	v_mov_b32_e32 v4, v6
	v_and_or_b32 v3, s12, v26, 0x80000000
	s_mov_b32 s12, exec_lo
	v_ffbl_b32_e32 v3, v3
	v_cmpx_lt_u32_e64 v20, v3
	s_cbranch_execz .LBB199_87
; %bb.86:                               ;   in Loop: Header=BB199_80 Depth=1
	v_cmp_gt_u64_e32 vcc_lo, s[10:11], v[5:6]
	v_and_b32_e32 v4, 1, v6
	s_waitcnt lgkmcnt(0)
	v_and_b32_e32 v38, 1, v38
	v_cndmask_b32_e32 v8, 1, v8, vcc_lo
	v_cmp_eq_u32_e32 vcc_lo, 1, v4
	v_mul_lo_u32 v5, v8, v5
	v_cndmask_b32_e64 v6, v38, 1, vcc_lo
	v_and_b32_e32 v4, 0xffff, v6
.LBB199_87:                             ;   in Loop: Header=BB199_80 Depth=1
	s_or_b32 exec_lo, exec_lo, s12
	s_waitcnt lgkmcnt(1)
	ds_bpermute_b32 v8, v27, v5
	s_waitcnt lgkmcnt(1)
	ds_bpermute_b32 v38, v27, v4
	s_mov_b32 s12, exec_lo
	v_cmpx_le_u32_e64 v28, v3
	s_cbranch_execz .LBB199_89
; %bb.88:                               ;   in Loop: Header=BB199_80 Depth=1
	v_and_b32_e32 v4, 1, v6
	v_cmp_eq_u16_e32 vcc_lo, 0, v6
	s_waitcnt lgkmcnt(0)
	v_and_b32_e32 v38, 1, v38
	v_cndmask_b32_e32 v8, 1, v8, vcc_lo
	v_cmp_eq_u32_e32 vcc_lo, 1, v4
	v_mul_lo_u32 v5, v8, v5
	v_cndmask_b32_e64 v6, v38, 1, vcc_lo
	v_and_b32_e32 v4, 0xffff, v6
.LBB199_89:                             ;   in Loop: Header=BB199_80 Depth=1
	s_or_b32 exec_lo, exec_lo, s12
	s_waitcnt lgkmcnt(1)
	ds_bpermute_b32 v8, v29, v5
	s_waitcnt lgkmcnt(1)
	ds_bpermute_b32 v38, v29, v4
	s_mov_b32 s12, exec_lo
	v_cmpx_le_u32_e64 v30, v3
	s_cbranch_execz .LBB199_91
; %bb.90:                               ;   in Loop: Header=BB199_80 Depth=1
	v_and_b32_e32 v4, 1, v6
	v_cmp_eq_u16_e32 vcc_lo, 0, v6
	s_waitcnt lgkmcnt(0)
	v_and_b32_e32 v38, 1, v38
	v_cndmask_b32_e32 v8, 1, v8, vcc_lo
	v_cmp_eq_u32_e32 vcc_lo, 1, v4
	v_mul_lo_u32 v5, v8, v5
	v_cndmask_b32_e64 v6, v38, 1, vcc_lo
	v_and_b32_e32 v4, 0xffff, v6
.LBB199_91:                             ;   in Loop: Header=BB199_80 Depth=1
	;; [unrolled: 19-line block ×3, first 2 shown]
	s_or_b32 exec_lo, exec_lo, s12
	s_waitcnt lgkmcnt(1)
	ds_bpermute_b32 v8, v35, v5
	ds_bpermute_b32 v4, v35, v4
	s_mov_b32 s12, exec_lo
	v_cmpx_le_u32_e64 v36, v3
	s_cbranch_execz .LBB199_78
; %bb.94:                               ;   in Loop: Header=BB199_80 Depth=1
	v_cmp_eq_u16_e32 vcc_lo, 0, v6
	v_and_b32_e32 v6, 1, v6
	s_waitcnt lgkmcnt(1)
	v_cndmask_b32_e32 v3, 1, v8, vcc_lo
	v_cmp_eq_u32_e32 vcc_lo, 1, v6
	v_mul_lo_u32 v5, v3, v5
	s_waitcnt lgkmcnt(0)
	v_cndmask_b32_e64 v6, v4, 1, vcc_lo
	s_branch .LBB199_78
.LBB199_95:
                                        ; implicit-def: $vgpr7
                                        ; implicit-def: $vgpr5
                                        ; implicit-def: $vgpr6
	s_cbranch_execnz .LBB199_103
	s_branch .LBB199_132
.LBB199_96:
	s_and_saveexec_b32 s10, s4
	s_cbranch_execz .LBB199_98
; %bb.97:
	s_waitcnt lgkmcnt(0)
	v_mov_b32_e32 v4, 0
	v_and_b32_e32 v3, 1, v2
	s_mov_b32 s13, 0
	s_add_i32 s12, s27, 32
	v_and_b32_e32 v5, 1, v33
	v_cmp_eq_u32_sdwa vcc_lo, v2, v4 src0_sel:BYTE_0 src1_sel:DWORD
	s_lshl_b64 s[12:13], s[12:13], 4
	s_add_u32 s12, s24, s12
	s_addc_u32 s13, s25, s13
	v_cndmask_b32_e32 v2, 1, v34, vcc_lo
	v_cmp_eq_u32_e32 vcc_lo, 1, v3
	v_mov_b32_e32 v3, 2
	v_mul_lo_u32 v1, v2, v1
	v_cndmask_b32_e64 v2, v5, 1, vcc_lo
	v_mov_b32_e32 v5, s12
	v_mov_b32_e32 v6, s13
	;;#ASMSTART
	global_store_dwordx4 v[5:6], v[1:4] off	
s_waitcnt vmcnt(0)
	;;#ASMEND
.LBB199_98:
	s_or_b32 exec_lo, exec_lo, s10
	s_and_b32 exec_lo, exec_lo, s0
	s_cbranch_execz .LBB199_100
; %bb.99:
	v_mov_b32_e32 v1, 0
	ds_write_b32 v1, v34 offset:56
	ds_write_b8 v1, v33 offset:60
.LBB199_100:
	s_or_b32 exec_lo, exec_lo, s5
	v_mov_b32_e32 v1, 0
	s_waitcnt lgkmcnt(0)
	s_barrier
	buffer_gl0_inv
	v_mov_b32_e32 v4, v10
	ds_read_b32 v2, v1 offset:56
	v_mov_b32_e32 v3, v9
	s_and_saveexec_b32 s5, s1
	s_cbranch_execz .LBB199_102
; %bb.101:
	s_mov_b32 s10, 0
	s_mov_b32 s11, 1
	v_cndmask_b32_e64 v3, v25, v23, s4
	v_cmp_gt_u64_e32 vcc_lo, s[10:11], v[9:10]
	v_cndmask_b32_e64 v4, v24, v22, s4
	v_and_b32_e32 v5, 1, v10
	v_and_b32_e32 v4, 1, v4
	v_cndmask_b32_e32 v3, 1, v3, vcc_lo
	v_cmp_eq_u32_e32 vcc_lo, 1, v5
	v_mul_lo_u32 v3, v3, v9
	v_cndmask_b32_e64 v4, v4, 1, vcc_lo
.LBB199_102:
	s_or_b32 exec_lo, exec_lo, s5
	v_cmp_eq_u16_sdwa vcc_lo, v4, v1 src0_sel:BYTE_0 src1_sel:DWORD
	s_waitcnt lgkmcnt(0)
	v_cndmask_b32_e32 v1, 1, v2, vcc_lo
	v_mul_lo_u32 v7, v1, v3
	v_cndmask_b32_e64 v1, 1, v7, s2
	v_mul_lo_u32 v5, v1, v11
	v_cndmask_b32_e64 v1, 1, v5, s3
	v_mul_lo_u32 v6, v1, v13
	s_branch .LBB199_132
.LBB199_103:
	s_cmp_lg_u64 s[28:29], 0
	s_cselect_b32 s2, -1, 0
	s_cmp_lg_u64 s[18:19], 0
	s_cselect_b32 s3, -1, 0
	s_and_b32 s2, s2, s3
	s_and_b32 s3, s0, s2
	s_and_saveexec_b32 s2, s3
	s_cbranch_execz .LBB199_105
; %bb.104:
	v_mov_b32_e32 v1, 0
	s_mov_b32 s4, 0
	s_mov_b32 s5, 1
	s_clause 0x1
	global_load_dword v2, v1, s[18:19]
	global_load_ubyte v3, v1, s[18:19] offset:4
	v_cmp_gt_u64_e32 vcc_lo, s[4:5], v[9:10]
	s_waitcnt vmcnt(1)
	v_cndmask_b32_e32 v4, 1, v2, vcc_lo
	v_and_b32_e32 v2, 1, v10
	s_waitcnt vmcnt(0)
	v_and_b32_e32 v3, 1, v3
	v_mul_lo_u32 v9, v4, v9
	v_cmp_eq_u64_e32 vcc_lo, 0, v[1:2]
	v_cndmask_b32_e32 v10, 1, v3, vcc_lo
.LBB199_105:
	s_or_b32 exec_lo, exec_lo, s2
	s_mov_b32 s2, 0
	s_mov_b32 s3, 1
	v_and_b32_e32 v2, 0xff, v21
	v_cmp_gt_u64_e32 vcc_lo, s[2:3], v[11:12]
	v_cmp_gt_u64_e64 s2, s[2:3], v[13:14]
	v_and_b32_e32 v7, 15, v20
	s_mov_b32 s4, exec_lo
	v_cndmask_b32_e32 v1, 1, v9, vcc_lo
	v_mul_lo_u32 v5, v1, v11
	v_mov_b32_e32 v1, 0
	v_cmp_eq_u64_e64 s3, 0, v[1:2]
	v_cndmask_b32_e64 v3, 1, v5, s2
	v_cndmask_b32_e64 v2, 1, v10, s3
	v_mul_lo_u32 v6, v3, v13
	v_and_b32_e32 v4, 0xff, v2
	v_mov_b32_dpp v8, v6 row_shr:1 row_mask:0xf bank_mask:0xf
	v_mov_b32_dpp v12, v4 row_shr:1 row_mask:0xf bank_mask:0xf
	v_mov_b32_e32 v3, v6
	v_cmpx_ne_u32_e32 0, v7
	s_cbranch_execz .LBB199_107
; %bb.106:
	v_and_b32_e32 v3, 1, v2
	v_cmp_eq_u16_sdwa s3, v2, v1 src0_sel:BYTE_0 src1_sel:DWORD
	v_and_b32_e32 v4, 1, v12
	v_cndmask_b32_e64 v1, 1, v8, s3
	v_cmp_eq_u32_e64 s3, 1, v3
	v_mul_lo_u32 v3, v1, v6
	v_cndmask_b32_e64 v4, v4, 1, s3
	v_mov_b32_e32 v2, v4
.LBB199_107:
	s_or_b32 exec_lo, exec_lo, s4
	v_mov_b32_dpp v1, v3 row_shr:2 row_mask:0xf bank_mask:0xf
	v_mov_b32_dpp v8, v4 row_shr:2 row_mask:0xf bank_mask:0xf
	s_mov_b32 s4, exec_lo
	v_cmpx_lt_u32_e32 1, v7
	s_cbranch_execz .LBB199_109
; %bb.108:
	v_mov_b32_e32 v4, 0
	v_and_b32_e32 v12, 1, v2
	v_and_b32_e32 v8, 1, v8
	v_cmp_eq_u16_sdwa s3, v2, v4 src0_sel:BYTE_0 src1_sel:DWORD
	v_cndmask_b32_e64 v1, 1, v1, s3
	v_cmp_eq_u32_e64 s3, 1, v12
	v_mul_lo_u32 v3, v1, v3
	v_cndmask_b32_e64 v2, v8, 1, s3
	v_mov_b32_e32 v4, v2
.LBB199_109:
	s_or_b32 exec_lo, exec_lo, s4
	v_mov_b32_dpp v1, v3 row_shr:4 row_mask:0xf bank_mask:0xf
	v_mov_b32_dpp v8, v4 row_shr:4 row_mask:0xf bank_mask:0xf
	s_mov_b32 s4, exec_lo
	v_cmpx_lt_u32_e32 3, v7
	s_cbranch_execz .LBB199_111
; %bb.110:
	v_mov_b32_e32 v4, 0
	v_and_b32_e32 v12, 1, v2
	v_and_b32_e32 v8, 1, v8
	v_cmp_eq_u16_sdwa s3, v2, v4 src0_sel:BYTE_0 src1_sel:DWORD
	v_cndmask_b32_e64 v1, 1, v1, s3
	v_cmp_eq_u32_e64 s3, 1, v12
	v_mul_lo_u32 v3, v1, v3
	v_cndmask_b32_e64 v2, v8, 1, s3
	v_mov_b32_e32 v4, v2
.LBB199_111:
	s_or_b32 exec_lo, exec_lo, s4
	v_mov_b32_dpp v1, v3 row_shr:8 row_mask:0xf bank_mask:0xf
	v_mov_b32_dpp v8, v4 row_shr:8 row_mask:0xf bank_mask:0xf
	s_mov_b32 s4, exec_lo
	v_cmpx_lt_u32_e32 7, v7
	s_cbranch_execz .LBB199_113
; %bb.112:
	v_mov_b32_e32 v4, 0
	v_and_b32_e32 v7, 1, v2
	v_and_b32_e32 v8, 1, v8
	v_cmp_eq_u16_sdwa s3, v2, v4 src0_sel:BYTE_0 src1_sel:DWORD
	v_cndmask_b32_e64 v1, 1, v1, s3
	v_cmp_eq_u32_e64 s3, 1, v7
	v_mul_lo_u32 v3, v1, v3
	v_cndmask_b32_e64 v2, v8, 1, s3
	v_mov_b32_e32 v4, v2
.LBB199_113:
	s_or_b32 exec_lo, exec_lo, s4
	ds_swizzle_b32 v7, v3 offset:swizzle(BROADCAST,32,15)
	ds_swizzle_b32 v1, v4 offset:swizzle(BROADCAST,32,15)
	v_and_b32_e32 v8, 16, v20
	s_mov_b32 s4, exec_lo
	v_cmpx_ne_u32_e32 0, v8
	s_cbranch_execz .LBB199_115
; %bb.114:
	v_mov_b32_e32 v4, 0
	s_waitcnt lgkmcnt(0)
	v_and_b32_e32 v1, 1, v1
	v_cmp_eq_u16_sdwa s3, v2, v4 src0_sel:BYTE_0 src1_sel:DWORD
	v_and_b32_e32 v2, 1, v2
	v_cndmask_b32_e64 v4, 1, v7, s3
	v_cmp_eq_u32_e64 s3, 1, v2
	v_mul_lo_u32 v3, v4, v3
	v_cndmask_b32_e64 v4, v1, 1, s3
.LBB199_115:
	s_or_b32 exec_lo, exec_lo, s4
	s_waitcnt lgkmcnt(0)
	v_or_b32_e32 v1, 31, v0
	v_lshrrev_b32_e32 v7, 5, v0
	s_mov_b32 s4, exec_lo
	v_cmpx_eq_u32_e64 v0, v1
	s_cbranch_execz .LBB199_117
; %bb.116:
	v_lshlrev_b32_e32 v1, 3, v7
	ds_write_b32 v1, v3
	ds_write_b8 v1, v4 offset:4
.LBB199_117:
	s_or_b32 exec_lo, exec_lo, s4
	s_mov_b32 s4, exec_lo
	s_waitcnt lgkmcnt(0)
	s_barrier
	buffer_gl0_inv
	v_cmpx_gt_u32_e32 8, v0
	s_cbranch_execz .LBB199_125
; %bb.118:
	ds_read_b64 v[1:2], v19
	v_and_b32_e32 v8, 7, v20
	s_mov_b32 s5, exec_lo
	s_waitcnt lgkmcnt(0)
	v_and_b32_e32 v12, 0xffffff00, v2
	v_mov_b32_dpp v15, v1 row_shr:1 row_mask:0xf bank_mask:0xf
	v_mov_b32_dpp v16, v2 row_shr:1 row_mask:0xf bank_mask:0xf
	v_mov_b32_e32 v14, v2
	v_cmpx_ne_u32_e32 0, v8
	s_cbranch_execz .LBB199_120
; %bb.119:
	v_mov_b32_e32 v14, 0
	v_and_b32_e32 v17, 1, v2
	v_and_b32_e32 v16, 1, v16
	v_cmp_eq_u16_sdwa s3, v2, v14 src0_sel:BYTE_0 src1_sel:DWORD
	v_cndmask_b32_e64 v14, 1, v15, s3
	v_cmp_eq_u32_e64 s3, 1, v17
	v_mul_lo_u32 v1, v14, v1
	v_cndmask_b32_e64 v2, v16, 1, s3
	v_or_b32_sdwa v14, v12, v2 dst_sel:DWORD dst_unused:UNUSED_PAD src0_sel:DWORD src1_sel:WORD_0
.LBB199_120:
	s_or_b32 exec_lo, exec_lo, s5
	v_mov_b32_dpp v15, v1 row_shr:2 row_mask:0xf bank_mask:0xf
	v_mov_b32_dpp v16, v14 row_shr:2 row_mask:0xf bank_mask:0xf
	s_mov_b32 s5, exec_lo
	v_cmpx_lt_u32_e32 1, v8
	s_cbranch_execz .LBB199_122
; %bb.121:
	v_mov_b32_e32 v14, 0
	v_and_b32_e32 v17, 1, v2
	v_and_b32_e32 v16, 1, v16
	v_cmp_eq_u16_sdwa s3, v2, v14 src0_sel:BYTE_0 src1_sel:DWORD
	v_cndmask_b32_e64 v14, 1, v15, s3
	v_cmp_eq_u32_e64 s3, 1, v17
	v_mul_lo_u32 v1, v14, v1
	v_cndmask_b32_e64 v2, v16, 1, s3
	v_or_b32_sdwa v14, v12, v2 dst_sel:DWORD dst_unused:UNUSED_PAD src0_sel:DWORD src1_sel:WORD_0
.LBB199_122:
	s_or_b32 exec_lo, exec_lo, s5
	v_mov_b32_dpp v15, v1 row_shr:4 row_mask:0xf bank_mask:0xf
	v_mov_b32_dpp v12, v14 row_shr:4 row_mask:0xf bank_mask:0xf
	s_mov_b32 s5, exec_lo
	v_cmpx_lt_u32_e32 3, v8
	s_cbranch_execz .LBB199_124
; %bb.123:
	v_mov_b32_e32 v8, 0
	v_and_b32_e32 v12, 1, v12
	v_cmp_eq_u16_sdwa s3, v2, v8 src0_sel:BYTE_0 src1_sel:DWORD
	v_and_b32_e32 v2, 1, v2
	v_cndmask_b32_e64 v8, 1, v15, s3
	v_cmp_eq_u32_e64 s3, 1, v2
	v_mul_lo_u32 v1, v8, v1
	v_cndmask_b32_e64 v2, v12, 1, s3
.LBB199_124:
	s_or_b32 exec_lo, exec_lo, s5
	ds_write_b32 v19, v1
	ds_write_b8 v19, v2 offset:4
.LBB199_125:
	s_or_b32 exec_lo, exec_lo, s4
	v_mov_b32_e32 v1, 0
	s_mov_b32 s4, exec_lo
	s_waitcnt lgkmcnt(0)
	s_barrier
	buffer_gl0_inv
	v_cmpx_lt_u32_e32 31, v0
	s_cbranch_execz .LBB199_127
; %bb.126:
	v_lshl_add_u32 v1, v7, 3, -8
	v_cmp_eq_u32_e64 s3, 0, v4
	ds_read_b32 v1, v1
	s_waitcnt lgkmcnt(0)
	v_cndmask_b32_e64 v2, 1, v1, s3
	v_mul_lo_u32 v3, v2, v3
.LBB199_127:
	s_or_b32 exec_lo, exec_lo, s4
	v_add_nc_u32_e32 v2, -1, v20
	s_mov_b32 s4, 0
	v_cmp_gt_i32_e64 s3, 0, v2
	v_cndmask_b32_e64 v2, v2, v20, s3
	v_lshlrev_b32_e32 v2, 2, v2
	ds_bpermute_b32 v2, v2, v3
	s_and_saveexec_b32 s3, s1
	s_cbranch_execz .LBB199_129
; %bb.128:
	v_cmp_eq_u32_e64 s1, 0, v20
	s_mov_b32 s5, 1
	;;#ASMSTART
	;;#ASMEND
	s_waitcnt lgkmcnt(0)
	v_cndmask_b32_e64 v1, v2, v1, s1
	v_cmp_gt_u64_e64 s1, s[4:5], v[9:10]
	v_cndmask_b32_e64 v1, 1, v1, s1
	v_mul_lo_u32 v9, v1, v9
	v_cndmask_b32_e32 v1, 1, v9, vcc_lo
	v_mul_lo_u32 v5, v1, v11
	v_cndmask_b32_e64 v1, 1, v5, s2
	v_mul_lo_u32 v6, v1, v13
.LBB199_129:
	s_or_b32 exec_lo, exec_lo, s3
	s_and_saveexec_b32 s1, s0
	s_cbranch_execz .LBB199_131
; %bb.130:
	v_mov_b32_e32 v4, 0
	s_add_u32 s2, s24, 0x200
	s_addc_u32 s3, s25, 0
	v_mov_b32_e32 v3, 2
	v_mov_b32_e32 v8, s3
	ds_read_b32 v1, v4 offset:56
	s_waitcnt lgkmcnt(1)
	ds_read_u8 v2, v4 offset:60
	v_mov_b32_e32 v7, s2
	s_waitcnt lgkmcnt(0)
	;;#ASMSTART
	global_store_dwordx4 v[7:8], v[1:4] off	
s_waitcnt vmcnt(0)
	;;#ASMEND
.LBB199_131:
	s_or_b32 exec_lo, exec_lo, s1
	v_mov_b32_e32 v7, v9
.LBB199_132:
	s_add_u32 s0, s14, s6
	v_mov_b32_e32 v3, 0
	s_addc_u32 s1, s15, s7
	s_add_u32 s0, s0, s8
	s_addc_u32 s1, s1, s9
	s_and_b32 vcc_lo, exec_lo, s20
	s_cbranch_vccz .LBB199_144
; %bb.133:
	v_mul_u32_u24_e32 v1, 3, v0
	v_mov_b32_e32 v4, 0
	s_waitcnt lgkmcnt(0)
	v_mov_b32_e32 v2, 0
	s_add_i32 s21, s21, s26
	s_mov_b32 s2, exec_lo
	v_cmpx_gt_u32_e64 s21, v1
	s_cbranch_execz .LBB199_139
; %bb.134:
	v_add_nc_u32_e32 v3, 1, v1
	v_mov_b32_e32 v2, 0
	v_mov_b32_e32 v4, 0
	s_mov_b32 s3, exec_lo
	v_cmpx_gt_u32_e64 s21, v3
	s_cbranch_execz .LBB199_138
; %bb.135:
	v_add_nc_u32_e32 v2, 2, v1
	v_cmp_gt_u32_e32 vcc_lo, s21, v2
	v_mov_b32_e32 v2, 0
	s_and_saveexec_b32 s4, vcc_lo
; %bb.136:
	v_mov_b32_e32 v2, v6
; %bb.137:
	s_or_b32 exec_lo, exec_lo, s4
	v_mov_b32_e32 v4, v5
.LBB199_138:
	s_or_b32 exec_lo, exec_lo, s3
	v_mov_b32_e32 v3, v7
.LBB199_139:
	s_or_b32 exec_lo, exec_lo, s2
	v_lshlrev_b32_e32 v8, 2, v1
	s_barrier
	buffer_gl0_inv
	v_sub_nc_u32_e32 v1, v8, v19
	ds_write2_b32 v8, v3, v4 offset1:1
	ds_write_b32 v8, v2 offset:8
	s_waitcnt lgkmcnt(0)
	s_barrier
	buffer_gl0_inv
	ds_read2st64_b32 v[1:2], v1 offset0:4 offset1:8
	v_add_co_u32 v3, s2, s0, v18
	v_add_co_ci_u32_e64 v4, null, s1, 0, s2
	s_mov_b32 s2, exec_lo
	v_cmpx_gt_u32_e64 s21, v0
	s_cbranch_execz .LBB199_141
; %bb.140:
	v_sub_nc_u32_e32 v9, 0, v19
	v_add_nc_u32_e32 v8, v8, v9
	ds_read_b32 v8, v8
	s_waitcnt lgkmcnt(0)
	flat_store_dword v[3:4], v8
.LBB199_141:
	s_or_b32 exec_lo, exec_lo, s2
	v_or_b32_e32 v8, 0x100, v0
	s_mov_b32 s2, exec_lo
	v_cmpx_gt_u32_e64 s21, v8
	s_cbranch_execz .LBB199_143
; %bb.142:
	s_waitcnt lgkmcnt(0)
	flat_store_dword v[3:4], v1 offset:1024
.LBB199_143:
	s_or_b32 exec_lo, exec_lo, s2
	s_waitcnt lgkmcnt(0)
	v_or_b32_e32 v1, 0x200, v0
	v_cmp_gt_u32_e64 s2, s21, v1
	s_branch .LBB199_146
.LBB199_144:
	s_mov_b32 s2, 0
                                        ; implicit-def: $vgpr2
	s_cbranch_execz .LBB199_146
; %bb.145:
	v_mul_u32_u24_e32 v1, 12, v0
	s_waitcnt lgkmcnt(0)
	s_waitcnt_vscnt null, 0x0
	s_barrier
	buffer_gl0_inv
	s_or_b32 s2, s2, exec_lo
	v_sub_nc_u32_e32 v2, v1, v19
	ds_write2_b32 v1, v7, v5 offset1:1
	ds_write_b32 v1, v6 offset:8
	s_waitcnt lgkmcnt(0)
	s_barrier
	buffer_gl0_inv
	ds_read2st64_b32 v[3:4], v2 offset1:4
	ds_read_b32 v2, v2 offset:2048
	v_add_co_u32 v5, s3, s0, v18
	v_add_co_ci_u32_e64 v6, null, s1, 0, s3
	s_waitcnt lgkmcnt(1)
	flat_store_dword v[5:6], v3
	flat_store_dword v[5:6], v4 offset:1024
.LBB199_146:
	s_and_saveexec_b32 s3, s2
	s_cbranch_execnz .LBB199_148
; %bb.147:
	s_endpgm
.LBB199_148:
	v_lshlrev_b32_e32 v0, 2, v0
	v_add_co_u32 v0, s0, s0, v0
	v_add_co_ci_u32_e64 v1, null, s1, 0, s0
	v_add_co_u32 v0, vcc_lo, 0x800, v0
	v_add_co_ci_u32_e64 v1, null, 0, v1, vcc_lo
	s_waitcnt lgkmcnt(0)
	flat_store_dword v[0:1], v2
	s_endpgm
.LBB199_149:
	v_add_co_u32 v2, s2, s5, v9
	v_add_co_ci_u32_e64 v3, null, s30, 0, s2
	v_mov_b32_e32 v11, v1
	v_mov_b32_e32 v12, v1
	flat_load_dword v10, v[2:3]
	s_waitcnt vmcnt(0) lgkmcnt(0)
	v_mov_b32_e32 v1, v10
	v_mov_b32_e32 v2, v11
	;; [unrolled: 1-line block ×3, first 2 shown]
	s_or_b32 exec_lo, exec_lo, s16
	s_and_saveexec_b32 s2, s3
	s_cbranch_execz .LBB199_19
.LBB199_150:
	v_add_co_u32 v10, s3, s5, v9
	v_add_co_ci_u32_e64 v11, null, s30, 0, s3
	flat_load_dword v2, v[10:11] offset:1024
	s_or_b32 exec_lo, exec_lo, s2
	s_and_saveexec_b32 s2, s4
	s_cbranch_execnz .LBB199_20
	s_branch .LBB199_21
.LBB199_151:
                                        ; implicit-def: $sgpr16_sgpr17
	s_branch .LBB199_14
.LBB199_152:
                                        ; implicit-def: $sgpr2_sgpr3
	s_branch .LBB199_30
	.section	.rodata,"a",@progbits
	.p2align	6, 0x0
	.amdhsa_kernel _ZN7rocprim17ROCPRIM_400000_NS6detail17trampoline_kernelINS0_14default_configENS1_27scan_by_key_config_selectorIiiEEZZNS1_16scan_by_key_implILNS1_25lookback_scan_determinismE0ELb0ES3_N6thrust23THRUST_200600_302600_NS6detail15normal_iteratorINS9_10device_ptrIiEEEESE_SE_iNS9_10multipliesIiEENS9_8equal_toIiEEiEE10hipError_tPvRmT2_T3_T4_T5_mT6_T7_P12ihipStream_tbENKUlT_T0_E_clISt17integral_constantIbLb0EESY_IbLb1EEEEDaSU_SV_EUlSU_E_NS1_11comp_targetILNS1_3genE8ELNS1_11target_archE1030ELNS1_3gpuE2ELNS1_3repE0EEENS1_30default_config_static_selectorELNS0_4arch9wavefront6targetE0EEEvT1_
		.amdhsa_group_segment_fixed_size 5120
		.amdhsa_private_segment_fixed_size 0
		.amdhsa_kernarg_size 112
		.amdhsa_user_sgpr_count 6
		.amdhsa_user_sgpr_private_segment_buffer 1
		.amdhsa_user_sgpr_dispatch_ptr 0
		.amdhsa_user_sgpr_queue_ptr 0
		.amdhsa_user_sgpr_kernarg_segment_ptr 1
		.amdhsa_user_sgpr_dispatch_id 0
		.amdhsa_user_sgpr_flat_scratch_init 0
		.amdhsa_user_sgpr_private_segment_size 0
		.amdhsa_wavefront_size32 1
		.amdhsa_uses_dynamic_stack 0
		.amdhsa_system_sgpr_private_segment_wavefront_offset 0
		.amdhsa_system_sgpr_workgroup_id_x 1
		.amdhsa_system_sgpr_workgroup_id_y 0
		.amdhsa_system_sgpr_workgroup_id_z 0
		.amdhsa_system_sgpr_workgroup_info 0
		.amdhsa_system_vgpr_workitem_id 0
		.amdhsa_next_free_vgpr 39
		.amdhsa_next_free_sgpr 34
		.amdhsa_reserve_vcc 1
		.amdhsa_reserve_flat_scratch 1
		.amdhsa_float_round_mode_32 0
		.amdhsa_float_round_mode_16_64 0
		.amdhsa_float_denorm_mode_32 3
		.amdhsa_float_denorm_mode_16_64 3
		.amdhsa_dx10_clamp 1
		.amdhsa_ieee_mode 1
		.amdhsa_fp16_overflow 0
		.amdhsa_workgroup_processor_mode 1
		.amdhsa_memory_ordered 1
		.amdhsa_forward_progress 1
		.amdhsa_shared_vgpr_count 0
		.amdhsa_exception_fp_ieee_invalid_op 0
		.amdhsa_exception_fp_denorm_src 0
		.amdhsa_exception_fp_ieee_div_zero 0
		.amdhsa_exception_fp_ieee_overflow 0
		.amdhsa_exception_fp_ieee_underflow 0
		.amdhsa_exception_fp_ieee_inexact 0
		.amdhsa_exception_int_div_zero 0
	.end_amdhsa_kernel
	.section	.text._ZN7rocprim17ROCPRIM_400000_NS6detail17trampoline_kernelINS0_14default_configENS1_27scan_by_key_config_selectorIiiEEZZNS1_16scan_by_key_implILNS1_25lookback_scan_determinismE0ELb0ES3_N6thrust23THRUST_200600_302600_NS6detail15normal_iteratorINS9_10device_ptrIiEEEESE_SE_iNS9_10multipliesIiEENS9_8equal_toIiEEiEE10hipError_tPvRmT2_T3_T4_T5_mT6_T7_P12ihipStream_tbENKUlT_T0_E_clISt17integral_constantIbLb0EESY_IbLb1EEEEDaSU_SV_EUlSU_E_NS1_11comp_targetILNS1_3genE8ELNS1_11target_archE1030ELNS1_3gpuE2ELNS1_3repE0EEENS1_30default_config_static_selectorELNS0_4arch9wavefront6targetE0EEEvT1_,"axG",@progbits,_ZN7rocprim17ROCPRIM_400000_NS6detail17trampoline_kernelINS0_14default_configENS1_27scan_by_key_config_selectorIiiEEZZNS1_16scan_by_key_implILNS1_25lookback_scan_determinismE0ELb0ES3_N6thrust23THRUST_200600_302600_NS6detail15normal_iteratorINS9_10device_ptrIiEEEESE_SE_iNS9_10multipliesIiEENS9_8equal_toIiEEiEE10hipError_tPvRmT2_T3_T4_T5_mT6_T7_P12ihipStream_tbENKUlT_T0_E_clISt17integral_constantIbLb0EESY_IbLb1EEEEDaSU_SV_EUlSU_E_NS1_11comp_targetILNS1_3genE8ELNS1_11target_archE1030ELNS1_3gpuE2ELNS1_3repE0EEENS1_30default_config_static_selectorELNS0_4arch9wavefront6targetE0EEEvT1_,comdat
.Lfunc_end199:
	.size	_ZN7rocprim17ROCPRIM_400000_NS6detail17trampoline_kernelINS0_14default_configENS1_27scan_by_key_config_selectorIiiEEZZNS1_16scan_by_key_implILNS1_25lookback_scan_determinismE0ELb0ES3_N6thrust23THRUST_200600_302600_NS6detail15normal_iteratorINS9_10device_ptrIiEEEESE_SE_iNS9_10multipliesIiEENS9_8equal_toIiEEiEE10hipError_tPvRmT2_T3_T4_T5_mT6_T7_P12ihipStream_tbENKUlT_T0_E_clISt17integral_constantIbLb0EESY_IbLb1EEEEDaSU_SV_EUlSU_E_NS1_11comp_targetILNS1_3genE8ELNS1_11target_archE1030ELNS1_3gpuE2ELNS1_3repE0EEENS1_30default_config_static_selectorELNS0_4arch9wavefront6targetE0EEEvT1_, .Lfunc_end199-_ZN7rocprim17ROCPRIM_400000_NS6detail17trampoline_kernelINS0_14default_configENS1_27scan_by_key_config_selectorIiiEEZZNS1_16scan_by_key_implILNS1_25lookback_scan_determinismE0ELb0ES3_N6thrust23THRUST_200600_302600_NS6detail15normal_iteratorINS9_10device_ptrIiEEEESE_SE_iNS9_10multipliesIiEENS9_8equal_toIiEEiEE10hipError_tPvRmT2_T3_T4_T5_mT6_T7_P12ihipStream_tbENKUlT_T0_E_clISt17integral_constantIbLb0EESY_IbLb1EEEEDaSU_SV_EUlSU_E_NS1_11comp_targetILNS1_3genE8ELNS1_11target_archE1030ELNS1_3gpuE2ELNS1_3repE0EEENS1_30default_config_static_selectorELNS0_4arch9wavefront6targetE0EEEvT1_
                                        ; -- End function
	.set _ZN7rocprim17ROCPRIM_400000_NS6detail17trampoline_kernelINS0_14default_configENS1_27scan_by_key_config_selectorIiiEEZZNS1_16scan_by_key_implILNS1_25lookback_scan_determinismE0ELb0ES3_N6thrust23THRUST_200600_302600_NS6detail15normal_iteratorINS9_10device_ptrIiEEEESE_SE_iNS9_10multipliesIiEENS9_8equal_toIiEEiEE10hipError_tPvRmT2_T3_T4_T5_mT6_T7_P12ihipStream_tbENKUlT_T0_E_clISt17integral_constantIbLb0EESY_IbLb1EEEEDaSU_SV_EUlSU_E_NS1_11comp_targetILNS1_3genE8ELNS1_11target_archE1030ELNS1_3gpuE2ELNS1_3repE0EEENS1_30default_config_static_selectorELNS0_4arch9wavefront6targetE0EEEvT1_.num_vgpr, 39
	.set _ZN7rocprim17ROCPRIM_400000_NS6detail17trampoline_kernelINS0_14default_configENS1_27scan_by_key_config_selectorIiiEEZZNS1_16scan_by_key_implILNS1_25lookback_scan_determinismE0ELb0ES3_N6thrust23THRUST_200600_302600_NS6detail15normal_iteratorINS9_10device_ptrIiEEEESE_SE_iNS9_10multipliesIiEENS9_8equal_toIiEEiEE10hipError_tPvRmT2_T3_T4_T5_mT6_T7_P12ihipStream_tbENKUlT_T0_E_clISt17integral_constantIbLb0EESY_IbLb1EEEEDaSU_SV_EUlSU_E_NS1_11comp_targetILNS1_3genE8ELNS1_11target_archE1030ELNS1_3gpuE2ELNS1_3repE0EEENS1_30default_config_static_selectorELNS0_4arch9wavefront6targetE0EEEvT1_.num_agpr, 0
	.set _ZN7rocprim17ROCPRIM_400000_NS6detail17trampoline_kernelINS0_14default_configENS1_27scan_by_key_config_selectorIiiEEZZNS1_16scan_by_key_implILNS1_25lookback_scan_determinismE0ELb0ES3_N6thrust23THRUST_200600_302600_NS6detail15normal_iteratorINS9_10device_ptrIiEEEESE_SE_iNS9_10multipliesIiEENS9_8equal_toIiEEiEE10hipError_tPvRmT2_T3_T4_T5_mT6_T7_P12ihipStream_tbENKUlT_T0_E_clISt17integral_constantIbLb0EESY_IbLb1EEEEDaSU_SV_EUlSU_E_NS1_11comp_targetILNS1_3genE8ELNS1_11target_archE1030ELNS1_3gpuE2ELNS1_3repE0EEENS1_30default_config_static_selectorELNS0_4arch9wavefront6targetE0EEEvT1_.numbered_sgpr, 34
	.set _ZN7rocprim17ROCPRIM_400000_NS6detail17trampoline_kernelINS0_14default_configENS1_27scan_by_key_config_selectorIiiEEZZNS1_16scan_by_key_implILNS1_25lookback_scan_determinismE0ELb0ES3_N6thrust23THRUST_200600_302600_NS6detail15normal_iteratorINS9_10device_ptrIiEEEESE_SE_iNS9_10multipliesIiEENS9_8equal_toIiEEiEE10hipError_tPvRmT2_T3_T4_T5_mT6_T7_P12ihipStream_tbENKUlT_T0_E_clISt17integral_constantIbLb0EESY_IbLb1EEEEDaSU_SV_EUlSU_E_NS1_11comp_targetILNS1_3genE8ELNS1_11target_archE1030ELNS1_3gpuE2ELNS1_3repE0EEENS1_30default_config_static_selectorELNS0_4arch9wavefront6targetE0EEEvT1_.num_named_barrier, 0
	.set _ZN7rocprim17ROCPRIM_400000_NS6detail17trampoline_kernelINS0_14default_configENS1_27scan_by_key_config_selectorIiiEEZZNS1_16scan_by_key_implILNS1_25lookback_scan_determinismE0ELb0ES3_N6thrust23THRUST_200600_302600_NS6detail15normal_iteratorINS9_10device_ptrIiEEEESE_SE_iNS9_10multipliesIiEENS9_8equal_toIiEEiEE10hipError_tPvRmT2_T3_T4_T5_mT6_T7_P12ihipStream_tbENKUlT_T0_E_clISt17integral_constantIbLb0EESY_IbLb1EEEEDaSU_SV_EUlSU_E_NS1_11comp_targetILNS1_3genE8ELNS1_11target_archE1030ELNS1_3gpuE2ELNS1_3repE0EEENS1_30default_config_static_selectorELNS0_4arch9wavefront6targetE0EEEvT1_.private_seg_size, 0
	.set _ZN7rocprim17ROCPRIM_400000_NS6detail17trampoline_kernelINS0_14default_configENS1_27scan_by_key_config_selectorIiiEEZZNS1_16scan_by_key_implILNS1_25lookback_scan_determinismE0ELb0ES3_N6thrust23THRUST_200600_302600_NS6detail15normal_iteratorINS9_10device_ptrIiEEEESE_SE_iNS9_10multipliesIiEENS9_8equal_toIiEEiEE10hipError_tPvRmT2_T3_T4_T5_mT6_T7_P12ihipStream_tbENKUlT_T0_E_clISt17integral_constantIbLb0EESY_IbLb1EEEEDaSU_SV_EUlSU_E_NS1_11comp_targetILNS1_3genE8ELNS1_11target_archE1030ELNS1_3gpuE2ELNS1_3repE0EEENS1_30default_config_static_selectorELNS0_4arch9wavefront6targetE0EEEvT1_.uses_vcc, 1
	.set _ZN7rocprim17ROCPRIM_400000_NS6detail17trampoline_kernelINS0_14default_configENS1_27scan_by_key_config_selectorIiiEEZZNS1_16scan_by_key_implILNS1_25lookback_scan_determinismE0ELb0ES3_N6thrust23THRUST_200600_302600_NS6detail15normal_iteratorINS9_10device_ptrIiEEEESE_SE_iNS9_10multipliesIiEENS9_8equal_toIiEEiEE10hipError_tPvRmT2_T3_T4_T5_mT6_T7_P12ihipStream_tbENKUlT_T0_E_clISt17integral_constantIbLb0EESY_IbLb1EEEEDaSU_SV_EUlSU_E_NS1_11comp_targetILNS1_3genE8ELNS1_11target_archE1030ELNS1_3gpuE2ELNS1_3repE0EEENS1_30default_config_static_selectorELNS0_4arch9wavefront6targetE0EEEvT1_.uses_flat_scratch, 1
	.set _ZN7rocprim17ROCPRIM_400000_NS6detail17trampoline_kernelINS0_14default_configENS1_27scan_by_key_config_selectorIiiEEZZNS1_16scan_by_key_implILNS1_25lookback_scan_determinismE0ELb0ES3_N6thrust23THRUST_200600_302600_NS6detail15normal_iteratorINS9_10device_ptrIiEEEESE_SE_iNS9_10multipliesIiEENS9_8equal_toIiEEiEE10hipError_tPvRmT2_T3_T4_T5_mT6_T7_P12ihipStream_tbENKUlT_T0_E_clISt17integral_constantIbLb0EESY_IbLb1EEEEDaSU_SV_EUlSU_E_NS1_11comp_targetILNS1_3genE8ELNS1_11target_archE1030ELNS1_3gpuE2ELNS1_3repE0EEENS1_30default_config_static_selectorELNS0_4arch9wavefront6targetE0EEEvT1_.has_dyn_sized_stack, 0
	.set _ZN7rocprim17ROCPRIM_400000_NS6detail17trampoline_kernelINS0_14default_configENS1_27scan_by_key_config_selectorIiiEEZZNS1_16scan_by_key_implILNS1_25lookback_scan_determinismE0ELb0ES3_N6thrust23THRUST_200600_302600_NS6detail15normal_iteratorINS9_10device_ptrIiEEEESE_SE_iNS9_10multipliesIiEENS9_8equal_toIiEEiEE10hipError_tPvRmT2_T3_T4_T5_mT6_T7_P12ihipStream_tbENKUlT_T0_E_clISt17integral_constantIbLb0EESY_IbLb1EEEEDaSU_SV_EUlSU_E_NS1_11comp_targetILNS1_3genE8ELNS1_11target_archE1030ELNS1_3gpuE2ELNS1_3repE0EEENS1_30default_config_static_selectorELNS0_4arch9wavefront6targetE0EEEvT1_.has_recursion, 0
	.set _ZN7rocprim17ROCPRIM_400000_NS6detail17trampoline_kernelINS0_14default_configENS1_27scan_by_key_config_selectorIiiEEZZNS1_16scan_by_key_implILNS1_25lookback_scan_determinismE0ELb0ES3_N6thrust23THRUST_200600_302600_NS6detail15normal_iteratorINS9_10device_ptrIiEEEESE_SE_iNS9_10multipliesIiEENS9_8equal_toIiEEiEE10hipError_tPvRmT2_T3_T4_T5_mT6_T7_P12ihipStream_tbENKUlT_T0_E_clISt17integral_constantIbLb0EESY_IbLb1EEEEDaSU_SV_EUlSU_E_NS1_11comp_targetILNS1_3genE8ELNS1_11target_archE1030ELNS1_3gpuE2ELNS1_3repE0EEENS1_30default_config_static_selectorELNS0_4arch9wavefront6targetE0EEEvT1_.has_indirect_call, 0
	.section	.AMDGPU.csdata,"",@progbits
; Kernel info:
; codeLenInByte = 6508
; TotalNumSgprs: 36
; NumVgprs: 39
; ScratchSize: 0
; MemoryBound: 0
; FloatMode: 240
; IeeeMode: 1
; LDSByteSize: 5120 bytes/workgroup (compile time only)
; SGPRBlocks: 0
; VGPRBlocks: 4
; NumSGPRsForWavesPerEU: 36
; NumVGPRsForWavesPerEU: 39
; Occupancy: 16
; WaveLimiterHint : 1
; COMPUTE_PGM_RSRC2:SCRATCH_EN: 0
; COMPUTE_PGM_RSRC2:USER_SGPR: 6
; COMPUTE_PGM_RSRC2:TRAP_HANDLER: 0
; COMPUTE_PGM_RSRC2:TGID_X_EN: 1
; COMPUTE_PGM_RSRC2:TGID_Y_EN: 0
; COMPUTE_PGM_RSRC2:TGID_Z_EN: 0
; COMPUTE_PGM_RSRC2:TIDIG_COMP_CNT: 0
	.section	.text._ZN7rocprim17ROCPRIM_400000_NS6detail17trampoline_kernelINS0_14default_configENS1_27scan_by_key_config_selectorIiiEEZZNS1_16scan_by_key_implILNS1_25lookback_scan_determinismE0ELb0ES3_N6thrust23THRUST_200600_302600_NS6detail15normal_iteratorINS9_10device_ptrIiEEEESE_SE_iNS9_4plusIvEENS9_8equal_toIiEEiEE10hipError_tPvRmT2_T3_T4_T5_mT6_T7_P12ihipStream_tbENKUlT_T0_E_clISt17integral_constantIbLb0EESZ_EEDaSU_SV_EUlSU_E_NS1_11comp_targetILNS1_3genE0ELNS1_11target_archE4294967295ELNS1_3gpuE0ELNS1_3repE0EEENS1_30default_config_static_selectorELNS0_4arch9wavefront6targetE0EEEvT1_,"axG",@progbits,_ZN7rocprim17ROCPRIM_400000_NS6detail17trampoline_kernelINS0_14default_configENS1_27scan_by_key_config_selectorIiiEEZZNS1_16scan_by_key_implILNS1_25lookback_scan_determinismE0ELb0ES3_N6thrust23THRUST_200600_302600_NS6detail15normal_iteratorINS9_10device_ptrIiEEEESE_SE_iNS9_4plusIvEENS9_8equal_toIiEEiEE10hipError_tPvRmT2_T3_T4_T5_mT6_T7_P12ihipStream_tbENKUlT_T0_E_clISt17integral_constantIbLb0EESZ_EEDaSU_SV_EUlSU_E_NS1_11comp_targetILNS1_3genE0ELNS1_11target_archE4294967295ELNS1_3gpuE0ELNS1_3repE0EEENS1_30default_config_static_selectorELNS0_4arch9wavefront6targetE0EEEvT1_,comdat
	.protected	_ZN7rocprim17ROCPRIM_400000_NS6detail17trampoline_kernelINS0_14default_configENS1_27scan_by_key_config_selectorIiiEEZZNS1_16scan_by_key_implILNS1_25lookback_scan_determinismE0ELb0ES3_N6thrust23THRUST_200600_302600_NS6detail15normal_iteratorINS9_10device_ptrIiEEEESE_SE_iNS9_4plusIvEENS9_8equal_toIiEEiEE10hipError_tPvRmT2_T3_T4_T5_mT6_T7_P12ihipStream_tbENKUlT_T0_E_clISt17integral_constantIbLb0EESZ_EEDaSU_SV_EUlSU_E_NS1_11comp_targetILNS1_3genE0ELNS1_11target_archE4294967295ELNS1_3gpuE0ELNS1_3repE0EEENS1_30default_config_static_selectorELNS0_4arch9wavefront6targetE0EEEvT1_ ; -- Begin function _ZN7rocprim17ROCPRIM_400000_NS6detail17trampoline_kernelINS0_14default_configENS1_27scan_by_key_config_selectorIiiEEZZNS1_16scan_by_key_implILNS1_25lookback_scan_determinismE0ELb0ES3_N6thrust23THRUST_200600_302600_NS6detail15normal_iteratorINS9_10device_ptrIiEEEESE_SE_iNS9_4plusIvEENS9_8equal_toIiEEiEE10hipError_tPvRmT2_T3_T4_T5_mT6_T7_P12ihipStream_tbENKUlT_T0_E_clISt17integral_constantIbLb0EESZ_EEDaSU_SV_EUlSU_E_NS1_11comp_targetILNS1_3genE0ELNS1_11target_archE4294967295ELNS1_3gpuE0ELNS1_3repE0EEENS1_30default_config_static_selectorELNS0_4arch9wavefront6targetE0EEEvT1_
	.globl	_ZN7rocprim17ROCPRIM_400000_NS6detail17trampoline_kernelINS0_14default_configENS1_27scan_by_key_config_selectorIiiEEZZNS1_16scan_by_key_implILNS1_25lookback_scan_determinismE0ELb0ES3_N6thrust23THRUST_200600_302600_NS6detail15normal_iteratorINS9_10device_ptrIiEEEESE_SE_iNS9_4plusIvEENS9_8equal_toIiEEiEE10hipError_tPvRmT2_T3_T4_T5_mT6_T7_P12ihipStream_tbENKUlT_T0_E_clISt17integral_constantIbLb0EESZ_EEDaSU_SV_EUlSU_E_NS1_11comp_targetILNS1_3genE0ELNS1_11target_archE4294967295ELNS1_3gpuE0ELNS1_3repE0EEENS1_30default_config_static_selectorELNS0_4arch9wavefront6targetE0EEEvT1_
	.p2align	8
	.type	_ZN7rocprim17ROCPRIM_400000_NS6detail17trampoline_kernelINS0_14default_configENS1_27scan_by_key_config_selectorIiiEEZZNS1_16scan_by_key_implILNS1_25lookback_scan_determinismE0ELb0ES3_N6thrust23THRUST_200600_302600_NS6detail15normal_iteratorINS9_10device_ptrIiEEEESE_SE_iNS9_4plusIvEENS9_8equal_toIiEEiEE10hipError_tPvRmT2_T3_T4_T5_mT6_T7_P12ihipStream_tbENKUlT_T0_E_clISt17integral_constantIbLb0EESZ_EEDaSU_SV_EUlSU_E_NS1_11comp_targetILNS1_3genE0ELNS1_11target_archE4294967295ELNS1_3gpuE0ELNS1_3repE0EEENS1_30default_config_static_selectorELNS0_4arch9wavefront6targetE0EEEvT1_,@function
_ZN7rocprim17ROCPRIM_400000_NS6detail17trampoline_kernelINS0_14default_configENS1_27scan_by_key_config_selectorIiiEEZZNS1_16scan_by_key_implILNS1_25lookback_scan_determinismE0ELb0ES3_N6thrust23THRUST_200600_302600_NS6detail15normal_iteratorINS9_10device_ptrIiEEEESE_SE_iNS9_4plusIvEENS9_8equal_toIiEEiEE10hipError_tPvRmT2_T3_T4_T5_mT6_T7_P12ihipStream_tbENKUlT_T0_E_clISt17integral_constantIbLb0EESZ_EEDaSU_SV_EUlSU_E_NS1_11comp_targetILNS1_3genE0ELNS1_11target_archE4294967295ELNS1_3gpuE0ELNS1_3repE0EEENS1_30default_config_static_selectorELNS0_4arch9wavefront6targetE0EEEvT1_: ; @_ZN7rocprim17ROCPRIM_400000_NS6detail17trampoline_kernelINS0_14default_configENS1_27scan_by_key_config_selectorIiiEEZZNS1_16scan_by_key_implILNS1_25lookback_scan_determinismE0ELb0ES3_N6thrust23THRUST_200600_302600_NS6detail15normal_iteratorINS9_10device_ptrIiEEEESE_SE_iNS9_4plusIvEENS9_8equal_toIiEEiEE10hipError_tPvRmT2_T3_T4_T5_mT6_T7_P12ihipStream_tbENKUlT_T0_E_clISt17integral_constantIbLb0EESZ_EEDaSU_SV_EUlSU_E_NS1_11comp_targetILNS1_3genE0ELNS1_11target_archE4294967295ELNS1_3gpuE0ELNS1_3repE0EEENS1_30default_config_static_selectorELNS0_4arch9wavefront6targetE0EEEvT1_
; %bb.0:
	.section	.rodata,"a",@progbits
	.p2align	6, 0x0
	.amdhsa_kernel _ZN7rocprim17ROCPRIM_400000_NS6detail17trampoline_kernelINS0_14default_configENS1_27scan_by_key_config_selectorIiiEEZZNS1_16scan_by_key_implILNS1_25lookback_scan_determinismE0ELb0ES3_N6thrust23THRUST_200600_302600_NS6detail15normal_iteratorINS9_10device_ptrIiEEEESE_SE_iNS9_4plusIvEENS9_8equal_toIiEEiEE10hipError_tPvRmT2_T3_T4_T5_mT6_T7_P12ihipStream_tbENKUlT_T0_E_clISt17integral_constantIbLb0EESZ_EEDaSU_SV_EUlSU_E_NS1_11comp_targetILNS1_3genE0ELNS1_11target_archE4294967295ELNS1_3gpuE0ELNS1_3repE0EEENS1_30default_config_static_selectorELNS0_4arch9wavefront6targetE0EEEvT1_
		.amdhsa_group_segment_fixed_size 0
		.amdhsa_private_segment_fixed_size 0
		.amdhsa_kernarg_size 112
		.amdhsa_user_sgpr_count 6
		.amdhsa_user_sgpr_private_segment_buffer 1
		.amdhsa_user_sgpr_dispatch_ptr 0
		.amdhsa_user_sgpr_queue_ptr 0
		.amdhsa_user_sgpr_kernarg_segment_ptr 1
		.amdhsa_user_sgpr_dispatch_id 0
		.amdhsa_user_sgpr_flat_scratch_init 0
		.amdhsa_user_sgpr_private_segment_size 0
		.amdhsa_wavefront_size32 1
		.amdhsa_uses_dynamic_stack 0
		.amdhsa_system_sgpr_private_segment_wavefront_offset 0
		.amdhsa_system_sgpr_workgroup_id_x 1
		.amdhsa_system_sgpr_workgroup_id_y 0
		.amdhsa_system_sgpr_workgroup_id_z 0
		.amdhsa_system_sgpr_workgroup_info 0
		.amdhsa_system_vgpr_workitem_id 0
		.amdhsa_next_free_vgpr 1
		.amdhsa_next_free_sgpr 1
		.amdhsa_reserve_vcc 0
		.amdhsa_reserve_flat_scratch 0
		.amdhsa_float_round_mode_32 0
		.amdhsa_float_round_mode_16_64 0
		.amdhsa_float_denorm_mode_32 3
		.amdhsa_float_denorm_mode_16_64 3
		.amdhsa_dx10_clamp 1
		.amdhsa_ieee_mode 1
		.amdhsa_fp16_overflow 0
		.amdhsa_workgroup_processor_mode 1
		.amdhsa_memory_ordered 1
		.amdhsa_forward_progress 1
		.amdhsa_shared_vgpr_count 0
		.amdhsa_exception_fp_ieee_invalid_op 0
		.amdhsa_exception_fp_denorm_src 0
		.amdhsa_exception_fp_ieee_div_zero 0
		.amdhsa_exception_fp_ieee_overflow 0
		.amdhsa_exception_fp_ieee_underflow 0
		.amdhsa_exception_fp_ieee_inexact 0
		.amdhsa_exception_int_div_zero 0
	.end_amdhsa_kernel
	.section	.text._ZN7rocprim17ROCPRIM_400000_NS6detail17trampoline_kernelINS0_14default_configENS1_27scan_by_key_config_selectorIiiEEZZNS1_16scan_by_key_implILNS1_25lookback_scan_determinismE0ELb0ES3_N6thrust23THRUST_200600_302600_NS6detail15normal_iteratorINS9_10device_ptrIiEEEESE_SE_iNS9_4plusIvEENS9_8equal_toIiEEiEE10hipError_tPvRmT2_T3_T4_T5_mT6_T7_P12ihipStream_tbENKUlT_T0_E_clISt17integral_constantIbLb0EESZ_EEDaSU_SV_EUlSU_E_NS1_11comp_targetILNS1_3genE0ELNS1_11target_archE4294967295ELNS1_3gpuE0ELNS1_3repE0EEENS1_30default_config_static_selectorELNS0_4arch9wavefront6targetE0EEEvT1_,"axG",@progbits,_ZN7rocprim17ROCPRIM_400000_NS6detail17trampoline_kernelINS0_14default_configENS1_27scan_by_key_config_selectorIiiEEZZNS1_16scan_by_key_implILNS1_25lookback_scan_determinismE0ELb0ES3_N6thrust23THRUST_200600_302600_NS6detail15normal_iteratorINS9_10device_ptrIiEEEESE_SE_iNS9_4plusIvEENS9_8equal_toIiEEiEE10hipError_tPvRmT2_T3_T4_T5_mT6_T7_P12ihipStream_tbENKUlT_T0_E_clISt17integral_constantIbLb0EESZ_EEDaSU_SV_EUlSU_E_NS1_11comp_targetILNS1_3genE0ELNS1_11target_archE4294967295ELNS1_3gpuE0ELNS1_3repE0EEENS1_30default_config_static_selectorELNS0_4arch9wavefront6targetE0EEEvT1_,comdat
.Lfunc_end200:
	.size	_ZN7rocprim17ROCPRIM_400000_NS6detail17trampoline_kernelINS0_14default_configENS1_27scan_by_key_config_selectorIiiEEZZNS1_16scan_by_key_implILNS1_25lookback_scan_determinismE0ELb0ES3_N6thrust23THRUST_200600_302600_NS6detail15normal_iteratorINS9_10device_ptrIiEEEESE_SE_iNS9_4plusIvEENS9_8equal_toIiEEiEE10hipError_tPvRmT2_T3_T4_T5_mT6_T7_P12ihipStream_tbENKUlT_T0_E_clISt17integral_constantIbLb0EESZ_EEDaSU_SV_EUlSU_E_NS1_11comp_targetILNS1_3genE0ELNS1_11target_archE4294967295ELNS1_3gpuE0ELNS1_3repE0EEENS1_30default_config_static_selectorELNS0_4arch9wavefront6targetE0EEEvT1_, .Lfunc_end200-_ZN7rocprim17ROCPRIM_400000_NS6detail17trampoline_kernelINS0_14default_configENS1_27scan_by_key_config_selectorIiiEEZZNS1_16scan_by_key_implILNS1_25lookback_scan_determinismE0ELb0ES3_N6thrust23THRUST_200600_302600_NS6detail15normal_iteratorINS9_10device_ptrIiEEEESE_SE_iNS9_4plusIvEENS9_8equal_toIiEEiEE10hipError_tPvRmT2_T3_T4_T5_mT6_T7_P12ihipStream_tbENKUlT_T0_E_clISt17integral_constantIbLb0EESZ_EEDaSU_SV_EUlSU_E_NS1_11comp_targetILNS1_3genE0ELNS1_11target_archE4294967295ELNS1_3gpuE0ELNS1_3repE0EEENS1_30default_config_static_selectorELNS0_4arch9wavefront6targetE0EEEvT1_
                                        ; -- End function
	.set _ZN7rocprim17ROCPRIM_400000_NS6detail17trampoline_kernelINS0_14default_configENS1_27scan_by_key_config_selectorIiiEEZZNS1_16scan_by_key_implILNS1_25lookback_scan_determinismE0ELb0ES3_N6thrust23THRUST_200600_302600_NS6detail15normal_iteratorINS9_10device_ptrIiEEEESE_SE_iNS9_4plusIvEENS9_8equal_toIiEEiEE10hipError_tPvRmT2_T3_T4_T5_mT6_T7_P12ihipStream_tbENKUlT_T0_E_clISt17integral_constantIbLb0EESZ_EEDaSU_SV_EUlSU_E_NS1_11comp_targetILNS1_3genE0ELNS1_11target_archE4294967295ELNS1_3gpuE0ELNS1_3repE0EEENS1_30default_config_static_selectorELNS0_4arch9wavefront6targetE0EEEvT1_.num_vgpr, 0
	.set _ZN7rocprim17ROCPRIM_400000_NS6detail17trampoline_kernelINS0_14default_configENS1_27scan_by_key_config_selectorIiiEEZZNS1_16scan_by_key_implILNS1_25lookback_scan_determinismE0ELb0ES3_N6thrust23THRUST_200600_302600_NS6detail15normal_iteratorINS9_10device_ptrIiEEEESE_SE_iNS9_4plusIvEENS9_8equal_toIiEEiEE10hipError_tPvRmT2_T3_T4_T5_mT6_T7_P12ihipStream_tbENKUlT_T0_E_clISt17integral_constantIbLb0EESZ_EEDaSU_SV_EUlSU_E_NS1_11comp_targetILNS1_3genE0ELNS1_11target_archE4294967295ELNS1_3gpuE0ELNS1_3repE0EEENS1_30default_config_static_selectorELNS0_4arch9wavefront6targetE0EEEvT1_.num_agpr, 0
	.set _ZN7rocprim17ROCPRIM_400000_NS6detail17trampoline_kernelINS0_14default_configENS1_27scan_by_key_config_selectorIiiEEZZNS1_16scan_by_key_implILNS1_25lookback_scan_determinismE0ELb0ES3_N6thrust23THRUST_200600_302600_NS6detail15normal_iteratorINS9_10device_ptrIiEEEESE_SE_iNS9_4plusIvEENS9_8equal_toIiEEiEE10hipError_tPvRmT2_T3_T4_T5_mT6_T7_P12ihipStream_tbENKUlT_T0_E_clISt17integral_constantIbLb0EESZ_EEDaSU_SV_EUlSU_E_NS1_11comp_targetILNS1_3genE0ELNS1_11target_archE4294967295ELNS1_3gpuE0ELNS1_3repE0EEENS1_30default_config_static_selectorELNS0_4arch9wavefront6targetE0EEEvT1_.numbered_sgpr, 0
	.set _ZN7rocprim17ROCPRIM_400000_NS6detail17trampoline_kernelINS0_14default_configENS1_27scan_by_key_config_selectorIiiEEZZNS1_16scan_by_key_implILNS1_25lookback_scan_determinismE0ELb0ES3_N6thrust23THRUST_200600_302600_NS6detail15normal_iteratorINS9_10device_ptrIiEEEESE_SE_iNS9_4plusIvEENS9_8equal_toIiEEiEE10hipError_tPvRmT2_T3_T4_T5_mT6_T7_P12ihipStream_tbENKUlT_T0_E_clISt17integral_constantIbLb0EESZ_EEDaSU_SV_EUlSU_E_NS1_11comp_targetILNS1_3genE0ELNS1_11target_archE4294967295ELNS1_3gpuE0ELNS1_3repE0EEENS1_30default_config_static_selectorELNS0_4arch9wavefront6targetE0EEEvT1_.num_named_barrier, 0
	.set _ZN7rocprim17ROCPRIM_400000_NS6detail17trampoline_kernelINS0_14default_configENS1_27scan_by_key_config_selectorIiiEEZZNS1_16scan_by_key_implILNS1_25lookback_scan_determinismE0ELb0ES3_N6thrust23THRUST_200600_302600_NS6detail15normal_iteratorINS9_10device_ptrIiEEEESE_SE_iNS9_4plusIvEENS9_8equal_toIiEEiEE10hipError_tPvRmT2_T3_T4_T5_mT6_T7_P12ihipStream_tbENKUlT_T0_E_clISt17integral_constantIbLb0EESZ_EEDaSU_SV_EUlSU_E_NS1_11comp_targetILNS1_3genE0ELNS1_11target_archE4294967295ELNS1_3gpuE0ELNS1_3repE0EEENS1_30default_config_static_selectorELNS0_4arch9wavefront6targetE0EEEvT1_.private_seg_size, 0
	.set _ZN7rocprim17ROCPRIM_400000_NS6detail17trampoline_kernelINS0_14default_configENS1_27scan_by_key_config_selectorIiiEEZZNS1_16scan_by_key_implILNS1_25lookback_scan_determinismE0ELb0ES3_N6thrust23THRUST_200600_302600_NS6detail15normal_iteratorINS9_10device_ptrIiEEEESE_SE_iNS9_4plusIvEENS9_8equal_toIiEEiEE10hipError_tPvRmT2_T3_T4_T5_mT6_T7_P12ihipStream_tbENKUlT_T0_E_clISt17integral_constantIbLb0EESZ_EEDaSU_SV_EUlSU_E_NS1_11comp_targetILNS1_3genE0ELNS1_11target_archE4294967295ELNS1_3gpuE0ELNS1_3repE0EEENS1_30default_config_static_selectorELNS0_4arch9wavefront6targetE0EEEvT1_.uses_vcc, 0
	.set _ZN7rocprim17ROCPRIM_400000_NS6detail17trampoline_kernelINS0_14default_configENS1_27scan_by_key_config_selectorIiiEEZZNS1_16scan_by_key_implILNS1_25lookback_scan_determinismE0ELb0ES3_N6thrust23THRUST_200600_302600_NS6detail15normal_iteratorINS9_10device_ptrIiEEEESE_SE_iNS9_4plusIvEENS9_8equal_toIiEEiEE10hipError_tPvRmT2_T3_T4_T5_mT6_T7_P12ihipStream_tbENKUlT_T0_E_clISt17integral_constantIbLb0EESZ_EEDaSU_SV_EUlSU_E_NS1_11comp_targetILNS1_3genE0ELNS1_11target_archE4294967295ELNS1_3gpuE0ELNS1_3repE0EEENS1_30default_config_static_selectorELNS0_4arch9wavefront6targetE0EEEvT1_.uses_flat_scratch, 0
	.set _ZN7rocprim17ROCPRIM_400000_NS6detail17trampoline_kernelINS0_14default_configENS1_27scan_by_key_config_selectorIiiEEZZNS1_16scan_by_key_implILNS1_25lookback_scan_determinismE0ELb0ES3_N6thrust23THRUST_200600_302600_NS6detail15normal_iteratorINS9_10device_ptrIiEEEESE_SE_iNS9_4plusIvEENS9_8equal_toIiEEiEE10hipError_tPvRmT2_T3_T4_T5_mT6_T7_P12ihipStream_tbENKUlT_T0_E_clISt17integral_constantIbLb0EESZ_EEDaSU_SV_EUlSU_E_NS1_11comp_targetILNS1_3genE0ELNS1_11target_archE4294967295ELNS1_3gpuE0ELNS1_3repE0EEENS1_30default_config_static_selectorELNS0_4arch9wavefront6targetE0EEEvT1_.has_dyn_sized_stack, 0
	.set _ZN7rocprim17ROCPRIM_400000_NS6detail17trampoline_kernelINS0_14default_configENS1_27scan_by_key_config_selectorIiiEEZZNS1_16scan_by_key_implILNS1_25lookback_scan_determinismE0ELb0ES3_N6thrust23THRUST_200600_302600_NS6detail15normal_iteratorINS9_10device_ptrIiEEEESE_SE_iNS9_4plusIvEENS9_8equal_toIiEEiEE10hipError_tPvRmT2_T3_T4_T5_mT6_T7_P12ihipStream_tbENKUlT_T0_E_clISt17integral_constantIbLb0EESZ_EEDaSU_SV_EUlSU_E_NS1_11comp_targetILNS1_3genE0ELNS1_11target_archE4294967295ELNS1_3gpuE0ELNS1_3repE0EEENS1_30default_config_static_selectorELNS0_4arch9wavefront6targetE0EEEvT1_.has_recursion, 0
	.set _ZN7rocprim17ROCPRIM_400000_NS6detail17trampoline_kernelINS0_14default_configENS1_27scan_by_key_config_selectorIiiEEZZNS1_16scan_by_key_implILNS1_25lookback_scan_determinismE0ELb0ES3_N6thrust23THRUST_200600_302600_NS6detail15normal_iteratorINS9_10device_ptrIiEEEESE_SE_iNS9_4plusIvEENS9_8equal_toIiEEiEE10hipError_tPvRmT2_T3_T4_T5_mT6_T7_P12ihipStream_tbENKUlT_T0_E_clISt17integral_constantIbLb0EESZ_EEDaSU_SV_EUlSU_E_NS1_11comp_targetILNS1_3genE0ELNS1_11target_archE4294967295ELNS1_3gpuE0ELNS1_3repE0EEENS1_30default_config_static_selectorELNS0_4arch9wavefront6targetE0EEEvT1_.has_indirect_call, 0
	.section	.AMDGPU.csdata,"",@progbits
; Kernel info:
; codeLenInByte = 0
; TotalNumSgprs: 0
; NumVgprs: 0
; ScratchSize: 0
; MemoryBound: 0
; FloatMode: 240
; IeeeMode: 1
; LDSByteSize: 0 bytes/workgroup (compile time only)
; SGPRBlocks: 0
; VGPRBlocks: 0
; NumSGPRsForWavesPerEU: 1
; NumVGPRsForWavesPerEU: 1
; Occupancy: 16
; WaveLimiterHint : 0
; COMPUTE_PGM_RSRC2:SCRATCH_EN: 0
; COMPUTE_PGM_RSRC2:USER_SGPR: 6
; COMPUTE_PGM_RSRC2:TRAP_HANDLER: 0
; COMPUTE_PGM_RSRC2:TGID_X_EN: 1
; COMPUTE_PGM_RSRC2:TGID_Y_EN: 0
; COMPUTE_PGM_RSRC2:TGID_Z_EN: 0
; COMPUTE_PGM_RSRC2:TIDIG_COMP_CNT: 0
	.section	.text._ZN7rocprim17ROCPRIM_400000_NS6detail17trampoline_kernelINS0_14default_configENS1_27scan_by_key_config_selectorIiiEEZZNS1_16scan_by_key_implILNS1_25lookback_scan_determinismE0ELb0ES3_N6thrust23THRUST_200600_302600_NS6detail15normal_iteratorINS9_10device_ptrIiEEEESE_SE_iNS9_4plusIvEENS9_8equal_toIiEEiEE10hipError_tPvRmT2_T3_T4_T5_mT6_T7_P12ihipStream_tbENKUlT_T0_E_clISt17integral_constantIbLb0EESZ_EEDaSU_SV_EUlSU_E_NS1_11comp_targetILNS1_3genE10ELNS1_11target_archE1201ELNS1_3gpuE5ELNS1_3repE0EEENS1_30default_config_static_selectorELNS0_4arch9wavefront6targetE0EEEvT1_,"axG",@progbits,_ZN7rocprim17ROCPRIM_400000_NS6detail17trampoline_kernelINS0_14default_configENS1_27scan_by_key_config_selectorIiiEEZZNS1_16scan_by_key_implILNS1_25lookback_scan_determinismE0ELb0ES3_N6thrust23THRUST_200600_302600_NS6detail15normal_iteratorINS9_10device_ptrIiEEEESE_SE_iNS9_4plusIvEENS9_8equal_toIiEEiEE10hipError_tPvRmT2_T3_T4_T5_mT6_T7_P12ihipStream_tbENKUlT_T0_E_clISt17integral_constantIbLb0EESZ_EEDaSU_SV_EUlSU_E_NS1_11comp_targetILNS1_3genE10ELNS1_11target_archE1201ELNS1_3gpuE5ELNS1_3repE0EEENS1_30default_config_static_selectorELNS0_4arch9wavefront6targetE0EEEvT1_,comdat
	.protected	_ZN7rocprim17ROCPRIM_400000_NS6detail17trampoline_kernelINS0_14default_configENS1_27scan_by_key_config_selectorIiiEEZZNS1_16scan_by_key_implILNS1_25lookback_scan_determinismE0ELb0ES3_N6thrust23THRUST_200600_302600_NS6detail15normal_iteratorINS9_10device_ptrIiEEEESE_SE_iNS9_4plusIvEENS9_8equal_toIiEEiEE10hipError_tPvRmT2_T3_T4_T5_mT6_T7_P12ihipStream_tbENKUlT_T0_E_clISt17integral_constantIbLb0EESZ_EEDaSU_SV_EUlSU_E_NS1_11comp_targetILNS1_3genE10ELNS1_11target_archE1201ELNS1_3gpuE5ELNS1_3repE0EEENS1_30default_config_static_selectorELNS0_4arch9wavefront6targetE0EEEvT1_ ; -- Begin function _ZN7rocprim17ROCPRIM_400000_NS6detail17trampoline_kernelINS0_14default_configENS1_27scan_by_key_config_selectorIiiEEZZNS1_16scan_by_key_implILNS1_25lookback_scan_determinismE0ELb0ES3_N6thrust23THRUST_200600_302600_NS6detail15normal_iteratorINS9_10device_ptrIiEEEESE_SE_iNS9_4plusIvEENS9_8equal_toIiEEiEE10hipError_tPvRmT2_T3_T4_T5_mT6_T7_P12ihipStream_tbENKUlT_T0_E_clISt17integral_constantIbLb0EESZ_EEDaSU_SV_EUlSU_E_NS1_11comp_targetILNS1_3genE10ELNS1_11target_archE1201ELNS1_3gpuE5ELNS1_3repE0EEENS1_30default_config_static_selectorELNS0_4arch9wavefront6targetE0EEEvT1_
	.globl	_ZN7rocprim17ROCPRIM_400000_NS6detail17trampoline_kernelINS0_14default_configENS1_27scan_by_key_config_selectorIiiEEZZNS1_16scan_by_key_implILNS1_25lookback_scan_determinismE0ELb0ES3_N6thrust23THRUST_200600_302600_NS6detail15normal_iteratorINS9_10device_ptrIiEEEESE_SE_iNS9_4plusIvEENS9_8equal_toIiEEiEE10hipError_tPvRmT2_T3_T4_T5_mT6_T7_P12ihipStream_tbENKUlT_T0_E_clISt17integral_constantIbLb0EESZ_EEDaSU_SV_EUlSU_E_NS1_11comp_targetILNS1_3genE10ELNS1_11target_archE1201ELNS1_3gpuE5ELNS1_3repE0EEENS1_30default_config_static_selectorELNS0_4arch9wavefront6targetE0EEEvT1_
	.p2align	8
	.type	_ZN7rocprim17ROCPRIM_400000_NS6detail17trampoline_kernelINS0_14default_configENS1_27scan_by_key_config_selectorIiiEEZZNS1_16scan_by_key_implILNS1_25lookback_scan_determinismE0ELb0ES3_N6thrust23THRUST_200600_302600_NS6detail15normal_iteratorINS9_10device_ptrIiEEEESE_SE_iNS9_4plusIvEENS9_8equal_toIiEEiEE10hipError_tPvRmT2_T3_T4_T5_mT6_T7_P12ihipStream_tbENKUlT_T0_E_clISt17integral_constantIbLb0EESZ_EEDaSU_SV_EUlSU_E_NS1_11comp_targetILNS1_3genE10ELNS1_11target_archE1201ELNS1_3gpuE5ELNS1_3repE0EEENS1_30default_config_static_selectorELNS0_4arch9wavefront6targetE0EEEvT1_,@function
_ZN7rocprim17ROCPRIM_400000_NS6detail17trampoline_kernelINS0_14default_configENS1_27scan_by_key_config_selectorIiiEEZZNS1_16scan_by_key_implILNS1_25lookback_scan_determinismE0ELb0ES3_N6thrust23THRUST_200600_302600_NS6detail15normal_iteratorINS9_10device_ptrIiEEEESE_SE_iNS9_4plusIvEENS9_8equal_toIiEEiEE10hipError_tPvRmT2_T3_T4_T5_mT6_T7_P12ihipStream_tbENKUlT_T0_E_clISt17integral_constantIbLb0EESZ_EEDaSU_SV_EUlSU_E_NS1_11comp_targetILNS1_3genE10ELNS1_11target_archE1201ELNS1_3gpuE5ELNS1_3repE0EEENS1_30default_config_static_selectorELNS0_4arch9wavefront6targetE0EEEvT1_: ; @_ZN7rocprim17ROCPRIM_400000_NS6detail17trampoline_kernelINS0_14default_configENS1_27scan_by_key_config_selectorIiiEEZZNS1_16scan_by_key_implILNS1_25lookback_scan_determinismE0ELb0ES3_N6thrust23THRUST_200600_302600_NS6detail15normal_iteratorINS9_10device_ptrIiEEEESE_SE_iNS9_4plusIvEENS9_8equal_toIiEEiEE10hipError_tPvRmT2_T3_T4_T5_mT6_T7_P12ihipStream_tbENKUlT_T0_E_clISt17integral_constantIbLb0EESZ_EEDaSU_SV_EUlSU_E_NS1_11comp_targetILNS1_3genE10ELNS1_11target_archE1201ELNS1_3gpuE5ELNS1_3repE0EEENS1_30default_config_static_selectorELNS0_4arch9wavefront6targetE0EEEvT1_
; %bb.0:
	.section	.rodata,"a",@progbits
	.p2align	6, 0x0
	.amdhsa_kernel _ZN7rocprim17ROCPRIM_400000_NS6detail17trampoline_kernelINS0_14default_configENS1_27scan_by_key_config_selectorIiiEEZZNS1_16scan_by_key_implILNS1_25lookback_scan_determinismE0ELb0ES3_N6thrust23THRUST_200600_302600_NS6detail15normal_iteratorINS9_10device_ptrIiEEEESE_SE_iNS9_4plusIvEENS9_8equal_toIiEEiEE10hipError_tPvRmT2_T3_T4_T5_mT6_T7_P12ihipStream_tbENKUlT_T0_E_clISt17integral_constantIbLb0EESZ_EEDaSU_SV_EUlSU_E_NS1_11comp_targetILNS1_3genE10ELNS1_11target_archE1201ELNS1_3gpuE5ELNS1_3repE0EEENS1_30default_config_static_selectorELNS0_4arch9wavefront6targetE0EEEvT1_
		.amdhsa_group_segment_fixed_size 0
		.amdhsa_private_segment_fixed_size 0
		.amdhsa_kernarg_size 112
		.amdhsa_user_sgpr_count 6
		.amdhsa_user_sgpr_private_segment_buffer 1
		.amdhsa_user_sgpr_dispatch_ptr 0
		.amdhsa_user_sgpr_queue_ptr 0
		.amdhsa_user_sgpr_kernarg_segment_ptr 1
		.amdhsa_user_sgpr_dispatch_id 0
		.amdhsa_user_sgpr_flat_scratch_init 0
		.amdhsa_user_sgpr_private_segment_size 0
		.amdhsa_wavefront_size32 1
		.amdhsa_uses_dynamic_stack 0
		.amdhsa_system_sgpr_private_segment_wavefront_offset 0
		.amdhsa_system_sgpr_workgroup_id_x 1
		.amdhsa_system_sgpr_workgroup_id_y 0
		.amdhsa_system_sgpr_workgroup_id_z 0
		.amdhsa_system_sgpr_workgroup_info 0
		.amdhsa_system_vgpr_workitem_id 0
		.amdhsa_next_free_vgpr 1
		.amdhsa_next_free_sgpr 1
		.amdhsa_reserve_vcc 0
		.amdhsa_reserve_flat_scratch 0
		.amdhsa_float_round_mode_32 0
		.amdhsa_float_round_mode_16_64 0
		.amdhsa_float_denorm_mode_32 3
		.amdhsa_float_denorm_mode_16_64 3
		.amdhsa_dx10_clamp 1
		.amdhsa_ieee_mode 1
		.amdhsa_fp16_overflow 0
		.amdhsa_workgroup_processor_mode 1
		.amdhsa_memory_ordered 1
		.amdhsa_forward_progress 1
		.amdhsa_shared_vgpr_count 0
		.amdhsa_exception_fp_ieee_invalid_op 0
		.amdhsa_exception_fp_denorm_src 0
		.amdhsa_exception_fp_ieee_div_zero 0
		.amdhsa_exception_fp_ieee_overflow 0
		.amdhsa_exception_fp_ieee_underflow 0
		.amdhsa_exception_fp_ieee_inexact 0
		.amdhsa_exception_int_div_zero 0
	.end_amdhsa_kernel
	.section	.text._ZN7rocprim17ROCPRIM_400000_NS6detail17trampoline_kernelINS0_14default_configENS1_27scan_by_key_config_selectorIiiEEZZNS1_16scan_by_key_implILNS1_25lookback_scan_determinismE0ELb0ES3_N6thrust23THRUST_200600_302600_NS6detail15normal_iteratorINS9_10device_ptrIiEEEESE_SE_iNS9_4plusIvEENS9_8equal_toIiEEiEE10hipError_tPvRmT2_T3_T4_T5_mT6_T7_P12ihipStream_tbENKUlT_T0_E_clISt17integral_constantIbLb0EESZ_EEDaSU_SV_EUlSU_E_NS1_11comp_targetILNS1_3genE10ELNS1_11target_archE1201ELNS1_3gpuE5ELNS1_3repE0EEENS1_30default_config_static_selectorELNS0_4arch9wavefront6targetE0EEEvT1_,"axG",@progbits,_ZN7rocprim17ROCPRIM_400000_NS6detail17trampoline_kernelINS0_14default_configENS1_27scan_by_key_config_selectorIiiEEZZNS1_16scan_by_key_implILNS1_25lookback_scan_determinismE0ELb0ES3_N6thrust23THRUST_200600_302600_NS6detail15normal_iteratorINS9_10device_ptrIiEEEESE_SE_iNS9_4plusIvEENS9_8equal_toIiEEiEE10hipError_tPvRmT2_T3_T4_T5_mT6_T7_P12ihipStream_tbENKUlT_T0_E_clISt17integral_constantIbLb0EESZ_EEDaSU_SV_EUlSU_E_NS1_11comp_targetILNS1_3genE10ELNS1_11target_archE1201ELNS1_3gpuE5ELNS1_3repE0EEENS1_30default_config_static_selectorELNS0_4arch9wavefront6targetE0EEEvT1_,comdat
.Lfunc_end201:
	.size	_ZN7rocprim17ROCPRIM_400000_NS6detail17trampoline_kernelINS0_14default_configENS1_27scan_by_key_config_selectorIiiEEZZNS1_16scan_by_key_implILNS1_25lookback_scan_determinismE0ELb0ES3_N6thrust23THRUST_200600_302600_NS6detail15normal_iteratorINS9_10device_ptrIiEEEESE_SE_iNS9_4plusIvEENS9_8equal_toIiEEiEE10hipError_tPvRmT2_T3_T4_T5_mT6_T7_P12ihipStream_tbENKUlT_T0_E_clISt17integral_constantIbLb0EESZ_EEDaSU_SV_EUlSU_E_NS1_11comp_targetILNS1_3genE10ELNS1_11target_archE1201ELNS1_3gpuE5ELNS1_3repE0EEENS1_30default_config_static_selectorELNS0_4arch9wavefront6targetE0EEEvT1_, .Lfunc_end201-_ZN7rocprim17ROCPRIM_400000_NS6detail17trampoline_kernelINS0_14default_configENS1_27scan_by_key_config_selectorIiiEEZZNS1_16scan_by_key_implILNS1_25lookback_scan_determinismE0ELb0ES3_N6thrust23THRUST_200600_302600_NS6detail15normal_iteratorINS9_10device_ptrIiEEEESE_SE_iNS9_4plusIvEENS9_8equal_toIiEEiEE10hipError_tPvRmT2_T3_T4_T5_mT6_T7_P12ihipStream_tbENKUlT_T0_E_clISt17integral_constantIbLb0EESZ_EEDaSU_SV_EUlSU_E_NS1_11comp_targetILNS1_3genE10ELNS1_11target_archE1201ELNS1_3gpuE5ELNS1_3repE0EEENS1_30default_config_static_selectorELNS0_4arch9wavefront6targetE0EEEvT1_
                                        ; -- End function
	.set _ZN7rocprim17ROCPRIM_400000_NS6detail17trampoline_kernelINS0_14default_configENS1_27scan_by_key_config_selectorIiiEEZZNS1_16scan_by_key_implILNS1_25lookback_scan_determinismE0ELb0ES3_N6thrust23THRUST_200600_302600_NS6detail15normal_iteratorINS9_10device_ptrIiEEEESE_SE_iNS9_4plusIvEENS9_8equal_toIiEEiEE10hipError_tPvRmT2_T3_T4_T5_mT6_T7_P12ihipStream_tbENKUlT_T0_E_clISt17integral_constantIbLb0EESZ_EEDaSU_SV_EUlSU_E_NS1_11comp_targetILNS1_3genE10ELNS1_11target_archE1201ELNS1_3gpuE5ELNS1_3repE0EEENS1_30default_config_static_selectorELNS0_4arch9wavefront6targetE0EEEvT1_.num_vgpr, 0
	.set _ZN7rocprim17ROCPRIM_400000_NS6detail17trampoline_kernelINS0_14default_configENS1_27scan_by_key_config_selectorIiiEEZZNS1_16scan_by_key_implILNS1_25lookback_scan_determinismE0ELb0ES3_N6thrust23THRUST_200600_302600_NS6detail15normal_iteratorINS9_10device_ptrIiEEEESE_SE_iNS9_4plusIvEENS9_8equal_toIiEEiEE10hipError_tPvRmT2_T3_T4_T5_mT6_T7_P12ihipStream_tbENKUlT_T0_E_clISt17integral_constantIbLb0EESZ_EEDaSU_SV_EUlSU_E_NS1_11comp_targetILNS1_3genE10ELNS1_11target_archE1201ELNS1_3gpuE5ELNS1_3repE0EEENS1_30default_config_static_selectorELNS0_4arch9wavefront6targetE0EEEvT1_.num_agpr, 0
	.set _ZN7rocprim17ROCPRIM_400000_NS6detail17trampoline_kernelINS0_14default_configENS1_27scan_by_key_config_selectorIiiEEZZNS1_16scan_by_key_implILNS1_25lookback_scan_determinismE0ELb0ES3_N6thrust23THRUST_200600_302600_NS6detail15normal_iteratorINS9_10device_ptrIiEEEESE_SE_iNS9_4plusIvEENS9_8equal_toIiEEiEE10hipError_tPvRmT2_T3_T4_T5_mT6_T7_P12ihipStream_tbENKUlT_T0_E_clISt17integral_constantIbLb0EESZ_EEDaSU_SV_EUlSU_E_NS1_11comp_targetILNS1_3genE10ELNS1_11target_archE1201ELNS1_3gpuE5ELNS1_3repE0EEENS1_30default_config_static_selectorELNS0_4arch9wavefront6targetE0EEEvT1_.numbered_sgpr, 0
	.set _ZN7rocprim17ROCPRIM_400000_NS6detail17trampoline_kernelINS0_14default_configENS1_27scan_by_key_config_selectorIiiEEZZNS1_16scan_by_key_implILNS1_25lookback_scan_determinismE0ELb0ES3_N6thrust23THRUST_200600_302600_NS6detail15normal_iteratorINS9_10device_ptrIiEEEESE_SE_iNS9_4plusIvEENS9_8equal_toIiEEiEE10hipError_tPvRmT2_T3_T4_T5_mT6_T7_P12ihipStream_tbENKUlT_T0_E_clISt17integral_constantIbLb0EESZ_EEDaSU_SV_EUlSU_E_NS1_11comp_targetILNS1_3genE10ELNS1_11target_archE1201ELNS1_3gpuE5ELNS1_3repE0EEENS1_30default_config_static_selectorELNS0_4arch9wavefront6targetE0EEEvT1_.num_named_barrier, 0
	.set _ZN7rocprim17ROCPRIM_400000_NS6detail17trampoline_kernelINS0_14default_configENS1_27scan_by_key_config_selectorIiiEEZZNS1_16scan_by_key_implILNS1_25lookback_scan_determinismE0ELb0ES3_N6thrust23THRUST_200600_302600_NS6detail15normal_iteratorINS9_10device_ptrIiEEEESE_SE_iNS9_4plusIvEENS9_8equal_toIiEEiEE10hipError_tPvRmT2_T3_T4_T5_mT6_T7_P12ihipStream_tbENKUlT_T0_E_clISt17integral_constantIbLb0EESZ_EEDaSU_SV_EUlSU_E_NS1_11comp_targetILNS1_3genE10ELNS1_11target_archE1201ELNS1_3gpuE5ELNS1_3repE0EEENS1_30default_config_static_selectorELNS0_4arch9wavefront6targetE0EEEvT1_.private_seg_size, 0
	.set _ZN7rocprim17ROCPRIM_400000_NS6detail17trampoline_kernelINS0_14default_configENS1_27scan_by_key_config_selectorIiiEEZZNS1_16scan_by_key_implILNS1_25lookback_scan_determinismE0ELb0ES3_N6thrust23THRUST_200600_302600_NS6detail15normal_iteratorINS9_10device_ptrIiEEEESE_SE_iNS9_4plusIvEENS9_8equal_toIiEEiEE10hipError_tPvRmT2_T3_T4_T5_mT6_T7_P12ihipStream_tbENKUlT_T0_E_clISt17integral_constantIbLb0EESZ_EEDaSU_SV_EUlSU_E_NS1_11comp_targetILNS1_3genE10ELNS1_11target_archE1201ELNS1_3gpuE5ELNS1_3repE0EEENS1_30default_config_static_selectorELNS0_4arch9wavefront6targetE0EEEvT1_.uses_vcc, 0
	.set _ZN7rocprim17ROCPRIM_400000_NS6detail17trampoline_kernelINS0_14default_configENS1_27scan_by_key_config_selectorIiiEEZZNS1_16scan_by_key_implILNS1_25lookback_scan_determinismE0ELb0ES3_N6thrust23THRUST_200600_302600_NS6detail15normal_iteratorINS9_10device_ptrIiEEEESE_SE_iNS9_4plusIvEENS9_8equal_toIiEEiEE10hipError_tPvRmT2_T3_T4_T5_mT6_T7_P12ihipStream_tbENKUlT_T0_E_clISt17integral_constantIbLb0EESZ_EEDaSU_SV_EUlSU_E_NS1_11comp_targetILNS1_3genE10ELNS1_11target_archE1201ELNS1_3gpuE5ELNS1_3repE0EEENS1_30default_config_static_selectorELNS0_4arch9wavefront6targetE0EEEvT1_.uses_flat_scratch, 0
	.set _ZN7rocprim17ROCPRIM_400000_NS6detail17trampoline_kernelINS0_14default_configENS1_27scan_by_key_config_selectorIiiEEZZNS1_16scan_by_key_implILNS1_25lookback_scan_determinismE0ELb0ES3_N6thrust23THRUST_200600_302600_NS6detail15normal_iteratorINS9_10device_ptrIiEEEESE_SE_iNS9_4plusIvEENS9_8equal_toIiEEiEE10hipError_tPvRmT2_T3_T4_T5_mT6_T7_P12ihipStream_tbENKUlT_T0_E_clISt17integral_constantIbLb0EESZ_EEDaSU_SV_EUlSU_E_NS1_11comp_targetILNS1_3genE10ELNS1_11target_archE1201ELNS1_3gpuE5ELNS1_3repE0EEENS1_30default_config_static_selectorELNS0_4arch9wavefront6targetE0EEEvT1_.has_dyn_sized_stack, 0
	.set _ZN7rocprim17ROCPRIM_400000_NS6detail17trampoline_kernelINS0_14default_configENS1_27scan_by_key_config_selectorIiiEEZZNS1_16scan_by_key_implILNS1_25lookback_scan_determinismE0ELb0ES3_N6thrust23THRUST_200600_302600_NS6detail15normal_iteratorINS9_10device_ptrIiEEEESE_SE_iNS9_4plusIvEENS9_8equal_toIiEEiEE10hipError_tPvRmT2_T3_T4_T5_mT6_T7_P12ihipStream_tbENKUlT_T0_E_clISt17integral_constantIbLb0EESZ_EEDaSU_SV_EUlSU_E_NS1_11comp_targetILNS1_3genE10ELNS1_11target_archE1201ELNS1_3gpuE5ELNS1_3repE0EEENS1_30default_config_static_selectorELNS0_4arch9wavefront6targetE0EEEvT1_.has_recursion, 0
	.set _ZN7rocprim17ROCPRIM_400000_NS6detail17trampoline_kernelINS0_14default_configENS1_27scan_by_key_config_selectorIiiEEZZNS1_16scan_by_key_implILNS1_25lookback_scan_determinismE0ELb0ES3_N6thrust23THRUST_200600_302600_NS6detail15normal_iteratorINS9_10device_ptrIiEEEESE_SE_iNS9_4plusIvEENS9_8equal_toIiEEiEE10hipError_tPvRmT2_T3_T4_T5_mT6_T7_P12ihipStream_tbENKUlT_T0_E_clISt17integral_constantIbLb0EESZ_EEDaSU_SV_EUlSU_E_NS1_11comp_targetILNS1_3genE10ELNS1_11target_archE1201ELNS1_3gpuE5ELNS1_3repE0EEENS1_30default_config_static_selectorELNS0_4arch9wavefront6targetE0EEEvT1_.has_indirect_call, 0
	.section	.AMDGPU.csdata,"",@progbits
; Kernel info:
; codeLenInByte = 0
; TotalNumSgprs: 0
; NumVgprs: 0
; ScratchSize: 0
; MemoryBound: 0
; FloatMode: 240
; IeeeMode: 1
; LDSByteSize: 0 bytes/workgroup (compile time only)
; SGPRBlocks: 0
; VGPRBlocks: 0
; NumSGPRsForWavesPerEU: 1
; NumVGPRsForWavesPerEU: 1
; Occupancy: 16
; WaveLimiterHint : 0
; COMPUTE_PGM_RSRC2:SCRATCH_EN: 0
; COMPUTE_PGM_RSRC2:USER_SGPR: 6
; COMPUTE_PGM_RSRC2:TRAP_HANDLER: 0
; COMPUTE_PGM_RSRC2:TGID_X_EN: 1
; COMPUTE_PGM_RSRC2:TGID_Y_EN: 0
; COMPUTE_PGM_RSRC2:TGID_Z_EN: 0
; COMPUTE_PGM_RSRC2:TIDIG_COMP_CNT: 0
	.section	.text._ZN7rocprim17ROCPRIM_400000_NS6detail17trampoline_kernelINS0_14default_configENS1_27scan_by_key_config_selectorIiiEEZZNS1_16scan_by_key_implILNS1_25lookback_scan_determinismE0ELb0ES3_N6thrust23THRUST_200600_302600_NS6detail15normal_iteratorINS9_10device_ptrIiEEEESE_SE_iNS9_4plusIvEENS9_8equal_toIiEEiEE10hipError_tPvRmT2_T3_T4_T5_mT6_T7_P12ihipStream_tbENKUlT_T0_E_clISt17integral_constantIbLb0EESZ_EEDaSU_SV_EUlSU_E_NS1_11comp_targetILNS1_3genE5ELNS1_11target_archE942ELNS1_3gpuE9ELNS1_3repE0EEENS1_30default_config_static_selectorELNS0_4arch9wavefront6targetE0EEEvT1_,"axG",@progbits,_ZN7rocprim17ROCPRIM_400000_NS6detail17trampoline_kernelINS0_14default_configENS1_27scan_by_key_config_selectorIiiEEZZNS1_16scan_by_key_implILNS1_25lookback_scan_determinismE0ELb0ES3_N6thrust23THRUST_200600_302600_NS6detail15normal_iteratorINS9_10device_ptrIiEEEESE_SE_iNS9_4plusIvEENS9_8equal_toIiEEiEE10hipError_tPvRmT2_T3_T4_T5_mT6_T7_P12ihipStream_tbENKUlT_T0_E_clISt17integral_constantIbLb0EESZ_EEDaSU_SV_EUlSU_E_NS1_11comp_targetILNS1_3genE5ELNS1_11target_archE942ELNS1_3gpuE9ELNS1_3repE0EEENS1_30default_config_static_selectorELNS0_4arch9wavefront6targetE0EEEvT1_,comdat
	.protected	_ZN7rocprim17ROCPRIM_400000_NS6detail17trampoline_kernelINS0_14default_configENS1_27scan_by_key_config_selectorIiiEEZZNS1_16scan_by_key_implILNS1_25lookback_scan_determinismE0ELb0ES3_N6thrust23THRUST_200600_302600_NS6detail15normal_iteratorINS9_10device_ptrIiEEEESE_SE_iNS9_4plusIvEENS9_8equal_toIiEEiEE10hipError_tPvRmT2_T3_T4_T5_mT6_T7_P12ihipStream_tbENKUlT_T0_E_clISt17integral_constantIbLb0EESZ_EEDaSU_SV_EUlSU_E_NS1_11comp_targetILNS1_3genE5ELNS1_11target_archE942ELNS1_3gpuE9ELNS1_3repE0EEENS1_30default_config_static_selectorELNS0_4arch9wavefront6targetE0EEEvT1_ ; -- Begin function _ZN7rocprim17ROCPRIM_400000_NS6detail17trampoline_kernelINS0_14default_configENS1_27scan_by_key_config_selectorIiiEEZZNS1_16scan_by_key_implILNS1_25lookback_scan_determinismE0ELb0ES3_N6thrust23THRUST_200600_302600_NS6detail15normal_iteratorINS9_10device_ptrIiEEEESE_SE_iNS9_4plusIvEENS9_8equal_toIiEEiEE10hipError_tPvRmT2_T3_T4_T5_mT6_T7_P12ihipStream_tbENKUlT_T0_E_clISt17integral_constantIbLb0EESZ_EEDaSU_SV_EUlSU_E_NS1_11comp_targetILNS1_3genE5ELNS1_11target_archE942ELNS1_3gpuE9ELNS1_3repE0EEENS1_30default_config_static_selectorELNS0_4arch9wavefront6targetE0EEEvT1_
	.globl	_ZN7rocprim17ROCPRIM_400000_NS6detail17trampoline_kernelINS0_14default_configENS1_27scan_by_key_config_selectorIiiEEZZNS1_16scan_by_key_implILNS1_25lookback_scan_determinismE0ELb0ES3_N6thrust23THRUST_200600_302600_NS6detail15normal_iteratorINS9_10device_ptrIiEEEESE_SE_iNS9_4plusIvEENS9_8equal_toIiEEiEE10hipError_tPvRmT2_T3_T4_T5_mT6_T7_P12ihipStream_tbENKUlT_T0_E_clISt17integral_constantIbLb0EESZ_EEDaSU_SV_EUlSU_E_NS1_11comp_targetILNS1_3genE5ELNS1_11target_archE942ELNS1_3gpuE9ELNS1_3repE0EEENS1_30default_config_static_selectorELNS0_4arch9wavefront6targetE0EEEvT1_
	.p2align	8
	.type	_ZN7rocprim17ROCPRIM_400000_NS6detail17trampoline_kernelINS0_14default_configENS1_27scan_by_key_config_selectorIiiEEZZNS1_16scan_by_key_implILNS1_25lookback_scan_determinismE0ELb0ES3_N6thrust23THRUST_200600_302600_NS6detail15normal_iteratorINS9_10device_ptrIiEEEESE_SE_iNS9_4plusIvEENS9_8equal_toIiEEiEE10hipError_tPvRmT2_T3_T4_T5_mT6_T7_P12ihipStream_tbENKUlT_T0_E_clISt17integral_constantIbLb0EESZ_EEDaSU_SV_EUlSU_E_NS1_11comp_targetILNS1_3genE5ELNS1_11target_archE942ELNS1_3gpuE9ELNS1_3repE0EEENS1_30default_config_static_selectorELNS0_4arch9wavefront6targetE0EEEvT1_,@function
_ZN7rocprim17ROCPRIM_400000_NS6detail17trampoline_kernelINS0_14default_configENS1_27scan_by_key_config_selectorIiiEEZZNS1_16scan_by_key_implILNS1_25lookback_scan_determinismE0ELb0ES3_N6thrust23THRUST_200600_302600_NS6detail15normal_iteratorINS9_10device_ptrIiEEEESE_SE_iNS9_4plusIvEENS9_8equal_toIiEEiEE10hipError_tPvRmT2_T3_T4_T5_mT6_T7_P12ihipStream_tbENKUlT_T0_E_clISt17integral_constantIbLb0EESZ_EEDaSU_SV_EUlSU_E_NS1_11comp_targetILNS1_3genE5ELNS1_11target_archE942ELNS1_3gpuE9ELNS1_3repE0EEENS1_30default_config_static_selectorELNS0_4arch9wavefront6targetE0EEEvT1_: ; @_ZN7rocprim17ROCPRIM_400000_NS6detail17trampoline_kernelINS0_14default_configENS1_27scan_by_key_config_selectorIiiEEZZNS1_16scan_by_key_implILNS1_25lookback_scan_determinismE0ELb0ES3_N6thrust23THRUST_200600_302600_NS6detail15normal_iteratorINS9_10device_ptrIiEEEESE_SE_iNS9_4plusIvEENS9_8equal_toIiEEiEE10hipError_tPvRmT2_T3_T4_T5_mT6_T7_P12ihipStream_tbENKUlT_T0_E_clISt17integral_constantIbLb0EESZ_EEDaSU_SV_EUlSU_E_NS1_11comp_targetILNS1_3genE5ELNS1_11target_archE942ELNS1_3gpuE9ELNS1_3repE0EEENS1_30default_config_static_selectorELNS0_4arch9wavefront6targetE0EEEvT1_
; %bb.0:
	.section	.rodata,"a",@progbits
	.p2align	6, 0x0
	.amdhsa_kernel _ZN7rocprim17ROCPRIM_400000_NS6detail17trampoline_kernelINS0_14default_configENS1_27scan_by_key_config_selectorIiiEEZZNS1_16scan_by_key_implILNS1_25lookback_scan_determinismE0ELb0ES3_N6thrust23THRUST_200600_302600_NS6detail15normal_iteratorINS9_10device_ptrIiEEEESE_SE_iNS9_4plusIvEENS9_8equal_toIiEEiEE10hipError_tPvRmT2_T3_T4_T5_mT6_T7_P12ihipStream_tbENKUlT_T0_E_clISt17integral_constantIbLb0EESZ_EEDaSU_SV_EUlSU_E_NS1_11comp_targetILNS1_3genE5ELNS1_11target_archE942ELNS1_3gpuE9ELNS1_3repE0EEENS1_30default_config_static_selectorELNS0_4arch9wavefront6targetE0EEEvT1_
		.amdhsa_group_segment_fixed_size 0
		.amdhsa_private_segment_fixed_size 0
		.amdhsa_kernarg_size 112
		.amdhsa_user_sgpr_count 6
		.amdhsa_user_sgpr_private_segment_buffer 1
		.amdhsa_user_sgpr_dispatch_ptr 0
		.amdhsa_user_sgpr_queue_ptr 0
		.amdhsa_user_sgpr_kernarg_segment_ptr 1
		.amdhsa_user_sgpr_dispatch_id 0
		.amdhsa_user_sgpr_flat_scratch_init 0
		.amdhsa_user_sgpr_private_segment_size 0
		.amdhsa_wavefront_size32 1
		.amdhsa_uses_dynamic_stack 0
		.amdhsa_system_sgpr_private_segment_wavefront_offset 0
		.amdhsa_system_sgpr_workgroup_id_x 1
		.amdhsa_system_sgpr_workgroup_id_y 0
		.amdhsa_system_sgpr_workgroup_id_z 0
		.amdhsa_system_sgpr_workgroup_info 0
		.amdhsa_system_vgpr_workitem_id 0
		.amdhsa_next_free_vgpr 1
		.amdhsa_next_free_sgpr 1
		.amdhsa_reserve_vcc 0
		.amdhsa_reserve_flat_scratch 0
		.amdhsa_float_round_mode_32 0
		.amdhsa_float_round_mode_16_64 0
		.amdhsa_float_denorm_mode_32 3
		.amdhsa_float_denorm_mode_16_64 3
		.amdhsa_dx10_clamp 1
		.amdhsa_ieee_mode 1
		.amdhsa_fp16_overflow 0
		.amdhsa_workgroup_processor_mode 1
		.amdhsa_memory_ordered 1
		.amdhsa_forward_progress 1
		.amdhsa_shared_vgpr_count 0
		.amdhsa_exception_fp_ieee_invalid_op 0
		.amdhsa_exception_fp_denorm_src 0
		.amdhsa_exception_fp_ieee_div_zero 0
		.amdhsa_exception_fp_ieee_overflow 0
		.amdhsa_exception_fp_ieee_underflow 0
		.amdhsa_exception_fp_ieee_inexact 0
		.amdhsa_exception_int_div_zero 0
	.end_amdhsa_kernel
	.section	.text._ZN7rocprim17ROCPRIM_400000_NS6detail17trampoline_kernelINS0_14default_configENS1_27scan_by_key_config_selectorIiiEEZZNS1_16scan_by_key_implILNS1_25lookback_scan_determinismE0ELb0ES3_N6thrust23THRUST_200600_302600_NS6detail15normal_iteratorINS9_10device_ptrIiEEEESE_SE_iNS9_4plusIvEENS9_8equal_toIiEEiEE10hipError_tPvRmT2_T3_T4_T5_mT6_T7_P12ihipStream_tbENKUlT_T0_E_clISt17integral_constantIbLb0EESZ_EEDaSU_SV_EUlSU_E_NS1_11comp_targetILNS1_3genE5ELNS1_11target_archE942ELNS1_3gpuE9ELNS1_3repE0EEENS1_30default_config_static_selectorELNS0_4arch9wavefront6targetE0EEEvT1_,"axG",@progbits,_ZN7rocprim17ROCPRIM_400000_NS6detail17trampoline_kernelINS0_14default_configENS1_27scan_by_key_config_selectorIiiEEZZNS1_16scan_by_key_implILNS1_25lookback_scan_determinismE0ELb0ES3_N6thrust23THRUST_200600_302600_NS6detail15normal_iteratorINS9_10device_ptrIiEEEESE_SE_iNS9_4plusIvEENS9_8equal_toIiEEiEE10hipError_tPvRmT2_T3_T4_T5_mT6_T7_P12ihipStream_tbENKUlT_T0_E_clISt17integral_constantIbLb0EESZ_EEDaSU_SV_EUlSU_E_NS1_11comp_targetILNS1_3genE5ELNS1_11target_archE942ELNS1_3gpuE9ELNS1_3repE0EEENS1_30default_config_static_selectorELNS0_4arch9wavefront6targetE0EEEvT1_,comdat
.Lfunc_end202:
	.size	_ZN7rocprim17ROCPRIM_400000_NS6detail17trampoline_kernelINS0_14default_configENS1_27scan_by_key_config_selectorIiiEEZZNS1_16scan_by_key_implILNS1_25lookback_scan_determinismE0ELb0ES3_N6thrust23THRUST_200600_302600_NS6detail15normal_iteratorINS9_10device_ptrIiEEEESE_SE_iNS9_4plusIvEENS9_8equal_toIiEEiEE10hipError_tPvRmT2_T3_T4_T5_mT6_T7_P12ihipStream_tbENKUlT_T0_E_clISt17integral_constantIbLb0EESZ_EEDaSU_SV_EUlSU_E_NS1_11comp_targetILNS1_3genE5ELNS1_11target_archE942ELNS1_3gpuE9ELNS1_3repE0EEENS1_30default_config_static_selectorELNS0_4arch9wavefront6targetE0EEEvT1_, .Lfunc_end202-_ZN7rocprim17ROCPRIM_400000_NS6detail17trampoline_kernelINS0_14default_configENS1_27scan_by_key_config_selectorIiiEEZZNS1_16scan_by_key_implILNS1_25lookback_scan_determinismE0ELb0ES3_N6thrust23THRUST_200600_302600_NS6detail15normal_iteratorINS9_10device_ptrIiEEEESE_SE_iNS9_4plusIvEENS9_8equal_toIiEEiEE10hipError_tPvRmT2_T3_T4_T5_mT6_T7_P12ihipStream_tbENKUlT_T0_E_clISt17integral_constantIbLb0EESZ_EEDaSU_SV_EUlSU_E_NS1_11comp_targetILNS1_3genE5ELNS1_11target_archE942ELNS1_3gpuE9ELNS1_3repE0EEENS1_30default_config_static_selectorELNS0_4arch9wavefront6targetE0EEEvT1_
                                        ; -- End function
	.set _ZN7rocprim17ROCPRIM_400000_NS6detail17trampoline_kernelINS0_14default_configENS1_27scan_by_key_config_selectorIiiEEZZNS1_16scan_by_key_implILNS1_25lookback_scan_determinismE0ELb0ES3_N6thrust23THRUST_200600_302600_NS6detail15normal_iteratorINS9_10device_ptrIiEEEESE_SE_iNS9_4plusIvEENS9_8equal_toIiEEiEE10hipError_tPvRmT2_T3_T4_T5_mT6_T7_P12ihipStream_tbENKUlT_T0_E_clISt17integral_constantIbLb0EESZ_EEDaSU_SV_EUlSU_E_NS1_11comp_targetILNS1_3genE5ELNS1_11target_archE942ELNS1_3gpuE9ELNS1_3repE0EEENS1_30default_config_static_selectorELNS0_4arch9wavefront6targetE0EEEvT1_.num_vgpr, 0
	.set _ZN7rocprim17ROCPRIM_400000_NS6detail17trampoline_kernelINS0_14default_configENS1_27scan_by_key_config_selectorIiiEEZZNS1_16scan_by_key_implILNS1_25lookback_scan_determinismE0ELb0ES3_N6thrust23THRUST_200600_302600_NS6detail15normal_iteratorINS9_10device_ptrIiEEEESE_SE_iNS9_4plusIvEENS9_8equal_toIiEEiEE10hipError_tPvRmT2_T3_T4_T5_mT6_T7_P12ihipStream_tbENKUlT_T0_E_clISt17integral_constantIbLb0EESZ_EEDaSU_SV_EUlSU_E_NS1_11comp_targetILNS1_3genE5ELNS1_11target_archE942ELNS1_3gpuE9ELNS1_3repE0EEENS1_30default_config_static_selectorELNS0_4arch9wavefront6targetE0EEEvT1_.num_agpr, 0
	.set _ZN7rocprim17ROCPRIM_400000_NS6detail17trampoline_kernelINS0_14default_configENS1_27scan_by_key_config_selectorIiiEEZZNS1_16scan_by_key_implILNS1_25lookback_scan_determinismE0ELb0ES3_N6thrust23THRUST_200600_302600_NS6detail15normal_iteratorINS9_10device_ptrIiEEEESE_SE_iNS9_4plusIvEENS9_8equal_toIiEEiEE10hipError_tPvRmT2_T3_T4_T5_mT6_T7_P12ihipStream_tbENKUlT_T0_E_clISt17integral_constantIbLb0EESZ_EEDaSU_SV_EUlSU_E_NS1_11comp_targetILNS1_3genE5ELNS1_11target_archE942ELNS1_3gpuE9ELNS1_3repE0EEENS1_30default_config_static_selectorELNS0_4arch9wavefront6targetE0EEEvT1_.numbered_sgpr, 0
	.set _ZN7rocprim17ROCPRIM_400000_NS6detail17trampoline_kernelINS0_14default_configENS1_27scan_by_key_config_selectorIiiEEZZNS1_16scan_by_key_implILNS1_25lookback_scan_determinismE0ELb0ES3_N6thrust23THRUST_200600_302600_NS6detail15normal_iteratorINS9_10device_ptrIiEEEESE_SE_iNS9_4plusIvEENS9_8equal_toIiEEiEE10hipError_tPvRmT2_T3_T4_T5_mT6_T7_P12ihipStream_tbENKUlT_T0_E_clISt17integral_constantIbLb0EESZ_EEDaSU_SV_EUlSU_E_NS1_11comp_targetILNS1_3genE5ELNS1_11target_archE942ELNS1_3gpuE9ELNS1_3repE0EEENS1_30default_config_static_selectorELNS0_4arch9wavefront6targetE0EEEvT1_.num_named_barrier, 0
	.set _ZN7rocprim17ROCPRIM_400000_NS6detail17trampoline_kernelINS0_14default_configENS1_27scan_by_key_config_selectorIiiEEZZNS1_16scan_by_key_implILNS1_25lookback_scan_determinismE0ELb0ES3_N6thrust23THRUST_200600_302600_NS6detail15normal_iteratorINS9_10device_ptrIiEEEESE_SE_iNS9_4plusIvEENS9_8equal_toIiEEiEE10hipError_tPvRmT2_T3_T4_T5_mT6_T7_P12ihipStream_tbENKUlT_T0_E_clISt17integral_constantIbLb0EESZ_EEDaSU_SV_EUlSU_E_NS1_11comp_targetILNS1_3genE5ELNS1_11target_archE942ELNS1_3gpuE9ELNS1_3repE0EEENS1_30default_config_static_selectorELNS0_4arch9wavefront6targetE0EEEvT1_.private_seg_size, 0
	.set _ZN7rocprim17ROCPRIM_400000_NS6detail17trampoline_kernelINS0_14default_configENS1_27scan_by_key_config_selectorIiiEEZZNS1_16scan_by_key_implILNS1_25lookback_scan_determinismE0ELb0ES3_N6thrust23THRUST_200600_302600_NS6detail15normal_iteratorINS9_10device_ptrIiEEEESE_SE_iNS9_4plusIvEENS9_8equal_toIiEEiEE10hipError_tPvRmT2_T3_T4_T5_mT6_T7_P12ihipStream_tbENKUlT_T0_E_clISt17integral_constantIbLb0EESZ_EEDaSU_SV_EUlSU_E_NS1_11comp_targetILNS1_3genE5ELNS1_11target_archE942ELNS1_3gpuE9ELNS1_3repE0EEENS1_30default_config_static_selectorELNS0_4arch9wavefront6targetE0EEEvT1_.uses_vcc, 0
	.set _ZN7rocprim17ROCPRIM_400000_NS6detail17trampoline_kernelINS0_14default_configENS1_27scan_by_key_config_selectorIiiEEZZNS1_16scan_by_key_implILNS1_25lookback_scan_determinismE0ELb0ES3_N6thrust23THRUST_200600_302600_NS6detail15normal_iteratorINS9_10device_ptrIiEEEESE_SE_iNS9_4plusIvEENS9_8equal_toIiEEiEE10hipError_tPvRmT2_T3_T4_T5_mT6_T7_P12ihipStream_tbENKUlT_T0_E_clISt17integral_constantIbLb0EESZ_EEDaSU_SV_EUlSU_E_NS1_11comp_targetILNS1_3genE5ELNS1_11target_archE942ELNS1_3gpuE9ELNS1_3repE0EEENS1_30default_config_static_selectorELNS0_4arch9wavefront6targetE0EEEvT1_.uses_flat_scratch, 0
	.set _ZN7rocprim17ROCPRIM_400000_NS6detail17trampoline_kernelINS0_14default_configENS1_27scan_by_key_config_selectorIiiEEZZNS1_16scan_by_key_implILNS1_25lookback_scan_determinismE0ELb0ES3_N6thrust23THRUST_200600_302600_NS6detail15normal_iteratorINS9_10device_ptrIiEEEESE_SE_iNS9_4plusIvEENS9_8equal_toIiEEiEE10hipError_tPvRmT2_T3_T4_T5_mT6_T7_P12ihipStream_tbENKUlT_T0_E_clISt17integral_constantIbLb0EESZ_EEDaSU_SV_EUlSU_E_NS1_11comp_targetILNS1_3genE5ELNS1_11target_archE942ELNS1_3gpuE9ELNS1_3repE0EEENS1_30default_config_static_selectorELNS0_4arch9wavefront6targetE0EEEvT1_.has_dyn_sized_stack, 0
	.set _ZN7rocprim17ROCPRIM_400000_NS6detail17trampoline_kernelINS0_14default_configENS1_27scan_by_key_config_selectorIiiEEZZNS1_16scan_by_key_implILNS1_25lookback_scan_determinismE0ELb0ES3_N6thrust23THRUST_200600_302600_NS6detail15normal_iteratorINS9_10device_ptrIiEEEESE_SE_iNS9_4plusIvEENS9_8equal_toIiEEiEE10hipError_tPvRmT2_T3_T4_T5_mT6_T7_P12ihipStream_tbENKUlT_T0_E_clISt17integral_constantIbLb0EESZ_EEDaSU_SV_EUlSU_E_NS1_11comp_targetILNS1_3genE5ELNS1_11target_archE942ELNS1_3gpuE9ELNS1_3repE0EEENS1_30default_config_static_selectorELNS0_4arch9wavefront6targetE0EEEvT1_.has_recursion, 0
	.set _ZN7rocprim17ROCPRIM_400000_NS6detail17trampoline_kernelINS0_14default_configENS1_27scan_by_key_config_selectorIiiEEZZNS1_16scan_by_key_implILNS1_25lookback_scan_determinismE0ELb0ES3_N6thrust23THRUST_200600_302600_NS6detail15normal_iteratorINS9_10device_ptrIiEEEESE_SE_iNS9_4plusIvEENS9_8equal_toIiEEiEE10hipError_tPvRmT2_T3_T4_T5_mT6_T7_P12ihipStream_tbENKUlT_T0_E_clISt17integral_constantIbLb0EESZ_EEDaSU_SV_EUlSU_E_NS1_11comp_targetILNS1_3genE5ELNS1_11target_archE942ELNS1_3gpuE9ELNS1_3repE0EEENS1_30default_config_static_selectorELNS0_4arch9wavefront6targetE0EEEvT1_.has_indirect_call, 0
	.section	.AMDGPU.csdata,"",@progbits
; Kernel info:
; codeLenInByte = 0
; TotalNumSgprs: 0
; NumVgprs: 0
; ScratchSize: 0
; MemoryBound: 0
; FloatMode: 240
; IeeeMode: 1
; LDSByteSize: 0 bytes/workgroup (compile time only)
; SGPRBlocks: 0
; VGPRBlocks: 0
; NumSGPRsForWavesPerEU: 1
; NumVGPRsForWavesPerEU: 1
; Occupancy: 16
; WaveLimiterHint : 0
; COMPUTE_PGM_RSRC2:SCRATCH_EN: 0
; COMPUTE_PGM_RSRC2:USER_SGPR: 6
; COMPUTE_PGM_RSRC2:TRAP_HANDLER: 0
; COMPUTE_PGM_RSRC2:TGID_X_EN: 1
; COMPUTE_PGM_RSRC2:TGID_Y_EN: 0
; COMPUTE_PGM_RSRC2:TGID_Z_EN: 0
; COMPUTE_PGM_RSRC2:TIDIG_COMP_CNT: 0
	.section	.text._ZN7rocprim17ROCPRIM_400000_NS6detail17trampoline_kernelINS0_14default_configENS1_27scan_by_key_config_selectorIiiEEZZNS1_16scan_by_key_implILNS1_25lookback_scan_determinismE0ELb0ES3_N6thrust23THRUST_200600_302600_NS6detail15normal_iteratorINS9_10device_ptrIiEEEESE_SE_iNS9_4plusIvEENS9_8equal_toIiEEiEE10hipError_tPvRmT2_T3_T4_T5_mT6_T7_P12ihipStream_tbENKUlT_T0_E_clISt17integral_constantIbLb0EESZ_EEDaSU_SV_EUlSU_E_NS1_11comp_targetILNS1_3genE4ELNS1_11target_archE910ELNS1_3gpuE8ELNS1_3repE0EEENS1_30default_config_static_selectorELNS0_4arch9wavefront6targetE0EEEvT1_,"axG",@progbits,_ZN7rocprim17ROCPRIM_400000_NS6detail17trampoline_kernelINS0_14default_configENS1_27scan_by_key_config_selectorIiiEEZZNS1_16scan_by_key_implILNS1_25lookback_scan_determinismE0ELb0ES3_N6thrust23THRUST_200600_302600_NS6detail15normal_iteratorINS9_10device_ptrIiEEEESE_SE_iNS9_4plusIvEENS9_8equal_toIiEEiEE10hipError_tPvRmT2_T3_T4_T5_mT6_T7_P12ihipStream_tbENKUlT_T0_E_clISt17integral_constantIbLb0EESZ_EEDaSU_SV_EUlSU_E_NS1_11comp_targetILNS1_3genE4ELNS1_11target_archE910ELNS1_3gpuE8ELNS1_3repE0EEENS1_30default_config_static_selectorELNS0_4arch9wavefront6targetE0EEEvT1_,comdat
	.protected	_ZN7rocprim17ROCPRIM_400000_NS6detail17trampoline_kernelINS0_14default_configENS1_27scan_by_key_config_selectorIiiEEZZNS1_16scan_by_key_implILNS1_25lookback_scan_determinismE0ELb0ES3_N6thrust23THRUST_200600_302600_NS6detail15normal_iteratorINS9_10device_ptrIiEEEESE_SE_iNS9_4plusIvEENS9_8equal_toIiEEiEE10hipError_tPvRmT2_T3_T4_T5_mT6_T7_P12ihipStream_tbENKUlT_T0_E_clISt17integral_constantIbLb0EESZ_EEDaSU_SV_EUlSU_E_NS1_11comp_targetILNS1_3genE4ELNS1_11target_archE910ELNS1_3gpuE8ELNS1_3repE0EEENS1_30default_config_static_selectorELNS0_4arch9wavefront6targetE0EEEvT1_ ; -- Begin function _ZN7rocprim17ROCPRIM_400000_NS6detail17trampoline_kernelINS0_14default_configENS1_27scan_by_key_config_selectorIiiEEZZNS1_16scan_by_key_implILNS1_25lookback_scan_determinismE0ELb0ES3_N6thrust23THRUST_200600_302600_NS6detail15normal_iteratorINS9_10device_ptrIiEEEESE_SE_iNS9_4plusIvEENS9_8equal_toIiEEiEE10hipError_tPvRmT2_T3_T4_T5_mT6_T7_P12ihipStream_tbENKUlT_T0_E_clISt17integral_constantIbLb0EESZ_EEDaSU_SV_EUlSU_E_NS1_11comp_targetILNS1_3genE4ELNS1_11target_archE910ELNS1_3gpuE8ELNS1_3repE0EEENS1_30default_config_static_selectorELNS0_4arch9wavefront6targetE0EEEvT1_
	.globl	_ZN7rocprim17ROCPRIM_400000_NS6detail17trampoline_kernelINS0_14default_configENS1_27scan_by_key_config_selectorIiiEEZZNS1_16scan_by_key_implILNS1_25lookback_scan_determinismE0ELb0ES3_N6thrust23THRUST_200600_302600_NS6detail15normal_iteratorINS9_10device_ptrIiEEEESE_SE_iNS9_4plusIvEENS9_8equal_toIiEEiEE10hipError_tPvRmT2_T3_T4_T5_mT6_T7_P12ihipStream_tbENKUlT_T0_E_clISt17integral_constantIbLb0EESZ_EEDaSU_SV_EUlSU_E_NS1_11comp_targetILNS1_3genE4ELNS1_11target_archE910ELNS1_3gpuE8ELNS1_3repE0EEENS1_30default_config_static_selectorELNS0_4arch9wavefront6targetE0EEEvT1_
	.p2align	8
	.type	_ZN7rocprim17ROCPRIM_400000_NS6detail17trampoline_kernelINS0_14default_configENS1_27scan_by_key_config_selectorIiiEEZZNS1_16scan_by_key_implILNS1_25lookback_scan_determinismE0ELb0ES3_N6thrust23THRUST_200600_302600_NS6detail15normal_iteratorINS9_10device_ptrIiEEEESE_SE_iNS9_4plusIvEENS9_8equal_toIiEEiEE10hipError_tPvRmT2_T3_T4_T5_mT6_T7_P12ihipStream_tbENKUlT_T0_E_clISt17integral_constantIbLb0EESZ_EEDaSU_SV_EUlSU_E_NS1_11comp_targetILNS1_3genE4ELNS1_11target_archE910ELNS1_3gpuE8ELNS1_3repE0EEENS1_30default_config_static_selectorELNS0_4arch9wavefront6targetE0EEEvT1_,@function
_ZN7rocprim17ROCPRIM_400000_NS6detail17trampoline_kernelINS0_14default_configENS1_27scan_by_key_config_selectorIiiEEZZNS1_16scan_by_key_implILNS1_25lookback_scan_determinismE0ELb0ES3_N6thrust23THRUST_200600_302600_NS6detail15normal_iteratorINS9_10device_ptrIiEEEESE_SE_iNS9_4plusIvEENS9_8equal_toIiEEiEE10hipError_tPvRmT2_T3_T4_T5_mT6_T7_P12ihipStream_tbENKUlT_T0_E_clISt17integral_constantIbLb0EESZ_EEDaSU_SV_EUlSU_E_NS1_11comp_targetILNS1_3genE4ELNS1_11target_archE910ELNS1_3gpuE8ELNS1_3repE0EEENS1_30default_config_static_selectorELNS0_4arch9wavefront6targetE0EEEvT1_: ; @_ZN7rocprim17ROCPRIM_400000_NS6detail17trampoline_kernelINS0_14default_configENS1_27scan_by_key_config_selectorIiiEEZZNS1_16scan_by_key_implILNS1_25lookback_scan_determinismE0ELb0ES3_N6thrust23THRUST_200600_302600_NS6detail15normal_iteratorINS9_10device_ptrIiEEEESE_SE_iNS9_4plusIvEENS9_8equal_toIiEEiEE10hipError_tPvRmT2_T3_T4_T5_mT6_T7_P12ihipStream_tbENKUlT_T0_E_clISt17integral_constantIbLb0EESZ_EEDaSU_SV_EUlSU_E_NS1_11comp_targetILNS1_3genE4ELNS1_11target_archE910ELNS1_3gpuE8ELNS1_3repE0EEENS1_30default_config_static_selectorELNS0_4arch9wavefront6targetE0EEEvT1_
; %bb.0:
	.section	.rodata,"a",@progbits
	.p2align	6, 0x0
	.amdhsa_kernel _ZN7rocprim17ROCPRIM_400000_NS6detail17trampoline_kernelINS0_14default_configENS1_27scan_by_key_config_selectorIiiEEZZNS1_16scan_by_key_implILNS1_25lookback_scan_determinismE0ELb0ES3_N6thrust23THRUST_200600_302600_NS6detail15normal_iteratorINS9_10device_ptrIiEEEESE_SE_iNS9_4plusIvEENS9_8equal_toIiEEiEE10hipError_tPvRmT2_T3_T4_T5_mT6_T7_P12ihipStream_tbENKUlT_T0_E_clISt17integral_constantIbLb0EESZ_EEDaSU_SV_EUlSU_E_NS1_11comp_targetILNS1_3genE4ELNS1_11target_archE910ELNS1_3gpuE8ELNS1_3repE0EEENS1_30default_config_static_selectorELNS0_4arch9wavefront6targetE0EEEvT1_
		.amdhsa_group_segment_fixed_size 0
		.amdhsa_private_segment_fixed_size 0
		.amdhsa_kernarg_size 112
		.amdhsa_user_sgpr_count 6
		.amdhsa_user_sgpr_private_segment_buffer 1
		.amdhsa_user_sgpr_dispatch_ptr 0
		.amdhsa_user_sgpr_queue_ptr 0
		.amdhsa_user_sgpr_kernarg_segment_ptr 1
		.amdhsa_user_sgpr_dispatch_id 0
		.amdhsa_user_sgpr_flat_scratch_init 0
		.amdhsa_user_sgpr_private_segment_size 0
		.amdhsa_wavefront_size32 1
		.amdhsa_uses_dynamic_stack 0
		.amdhsa_system_sgpr_private_segment_wavefront_offset 0
		.amdhsa_system_sgpr_workgroup_id_x 1
		.amdhsa_system_sgpr_workgroup_id_y 0
		.amdhsa_system_sgpr_workgroup_id_z 0
		.amdhsa_system_sgpr_workgroup_info 0
		.amdhsa_system_vgpr_workitem_id 0
		.amdhsa_next_free_vgpr 1
		.amdhsa_next_free_sgpr 1
		.amdhsa_reserve_vcc 0
		.amdhsa_reserve_flat_scratch 0
		.amdhsa_float_round_mode_32 0
		.amdhsa_float_round_mode_16_64 0
		.amdhsa_float_denorm_mode_32 3
		.amdhsa_float_denorm_mode_16_64 3
		.amdhsa_dx10_clamp 1
		.amdhsa_ieee_mode 1
		.amdhsa_fp16_overflow 0
		.amdhsa_workgroup_processor_mode 1
		.amdhsa_memory_ordered 1
		.amdhsa_forward_progress 1
		.amdhsa_shared_vgpr_count 0
		.amdhsa_exception_fp_ieee_invalid_op 0
		.amdhsa_exception_fp_denorm_src 0
		.amdhsa_exception_fp_ieee_div_zero 0
		.amdhsa_exception_fp_ieee_overflow 0
		.amdhsa_exception_fp_ieee_underflow 0
		.amdhsa_exception_fp_ieee_inexact 0
		.amdhsa_exception_int_div_zero 0
	.end_amdhsa_kernel
	.section	.text._ZN7rocprim17ROCPRIM_400000_NS6detail17trampoline_kernelINS0_14default_configENS1_27scan_by_key_config_selectorIiiEEZZNS1_16scan_by_key_implILNS1_25lookback_scan_determinismE0ELb0ES3_N6thrust23THRUST_200600_302600_NS6detail15normal_iteratorINS9_10device_ptrIiEEEESE_SE_iNS9_4plusIvEENS9_8equal_toIiEEiEE10hipError_tPvRmT2_T3_T4_T5_mT6_T7_P12ihipStream_tbENKUlT_T0_E_clISt17integral_constantIbLb0EESZ_EEDaSU_SV_EUlSU_E_NS1_11comp_targetILNS1_3genE4ELNS1_11target_archE910ELNS1_3gpuE8ELNS1_3repE0EEENS1_30default_config_static_selectorELNS0_4arch9wavefront6targetE0EEEvT1_,"axG",@progbits,_ZN7rocprim17ROCPRIM_400000_NS6detail17trampoline_kernelINS0_14default_configENS1_27scan_by_key_config_selectorIiiEEZZNS1_16scan_by_key_implILNS1_25lookback_scan_determinismE0ELb0ES3_N6thrust23THRUST_200600_302600_NS6detail15normal_iteratorINS9_10device_ptrIiEEEESE_SE_iNS9_4plusIvEENS9_8equal_toIiEEiEE10hipError_tPvRmT2_T3_T4_T5_mT6_T7_P12ihipStream_tbENKUlT_T0_E_clISt17integral_constantIbLb0EESZ_EEDaSU_SV_EUlSU_E_NS1_11comp_targetILNS1_3genE4ELNS1_11target_archE910ELNS1_3gpuE8ELNS1_3repE0EEENS1_30default_config_static_selectorELNS0_4arch9wavefront6targetE0EEEvT1_,comdat
.Lfunc_end203:
	.size	_ZN7rocprim17ROCPRIM_400000_NS6detail17trampoline_kernelINS0_14default_configENS1_27scan_by_key_config_selectorIiiEEZZNS1_16scan_by_key_implILNS1_25lookback_scan_determinismE0ELb0ES3_N6thrust23THRUST_200600_302600_NS6detail15normal_iteratorINS9_10device_ptrIiEEEESE_SE_iNS9_4plusIvEENS9_8equal_toIiEEiEE10hipError_tPvRmT2_T3_T4_T5_mT6_T7_P12ihipStream_tbENKUlT_T0_E_clISt17integral_constantIbLb0EESZ_EEDaSU_SV_EUlSU_E_NS1_11comp_targetILNS1_3genE4ELNS1_11target_archE910ELNS1_3gpuE8ELNS1_3repE0EEENS1_30default_config_static_selectorELNS0_4arch9wavefront6targetE0EEEvT1_, .Lfunc_end203-_ZN7rocprim17ROCPRIM_400000_NS6detail17trampoline_kernelINS0_14default_configENS1_27scan_by_key_config_selectorIiiEEZZNS1_16scan_by_key_implILNS1_25lookback_scan_determinismE0ELb0ES3_N6thrust23THRUST_200600_302600_NS6detail15normal_iteratorINS9_10device_ptrIiEEEESE_SE_iNS9_4plusIvEENS9_8equal_toIiEEiEE10hipError_tPvRmT2_T3_T4_T5_mT6_T7_P12ihipStream_tbENKUlT_T0_E_clISt17integral_constantIbLb0EESZ_EEDaSU_SV_EUlSU_E_NS1_11comp_targetILNS1_3genE4ELNS1_11target_archE910ELNS1_3gpuE8ELNS1_3repE0EEENS1_30default_config_static_selectorELNS0_4arch9wavefront6targetE0EEEvT1_
                                        ; -- End function
	.set _ZN7rocprim17ROCPRIM_400000_NS6detail17trampoline_kernelINS0_14default_configENS1_27scan_by_key_config_selectorIiiEEZZNS1_16scan_by_key_implILNS1_25lookback_scan_determinismE0ELb0ES3_N6thrust23THRUST_200600_302600_NS6detail15normal_iteratorINS9_10device_ptrIiEEEESE_SE_iNS9_4plusIvEENS9_8equal_toIiEEiEE10hipError_tPvRmT2_T3_T4_T5_mT6_T7_P12ihipStream_tbENKUlT_T0_E_clISt17integral_constantIbLb0EESZ_EEDaSU_SV_EUlSU_E_NS1_11comp_targetILNS1_3genE4ELNS1_11target_archE910ELNS1_3gpuE8ELNS1_3repE0EEENS1_30default_config_static_selectorELNS0_4arch9wavefront6targetE0EEEvT1_.num_vgpr, 0
	.set _ZN7rocprim17ROCPRIM_400000_NS6detail17trampoline_kernelINS0_14default_configENS1_27scan_by_key_config_selectorIiiEEZZNS1_16scan_by_key_implILNS1_25lookback_scan_determinismE0ELb0ES3_N6thrust23THRUST_200600_302600_NS6detail15normal_iteratorINS9_10device_ptrIiEEEESE_SE_iNS9_4plusIvEENS9_8equal_toIiEEiEE10hipError_tPvRmT2_T3_T4_T5_mT6_T7_P12ihipStream_tbENKUlT_T0_E_clISt17integral_constantIbLb0EESZ_EEDaSU_SV_EUlSU_E_NS1_11comp_targetILNS1_3genE4ELNS1_11target_archE910ELNS1_3gpuE8ELNS1_3repE0EEENS1_30default_config_static_selectorELNS0_4arch9wavefront6targetE0EEEvT1_.num_agpr, 0
	.set _ZN7rocprim17ROCPRIM_400000_NS6detail17trampoline_kernelINS0_14default_configENS1_27scan_by_key_config_selectorIiiEEZZNS1_16scan_by_key_implILNS1_25lookback_scan_determinismE0ELb0ES3_N6thrust23THRUST_200600_302600_NS6detail15normal_iteratorINS9_10device_ptrIiEEEESE_SE_iNS9_4plusIvEENS9_8equal_toIiEEiEE10hipError_tPvRmT2_T3_T4_T5_mT6_T7_P12ihipStream_tbENKUlT_T0_E_clISt17integral_constantIbLb0EESZ_EEDaSU_SV_EUlSU_E_NS1_11comp_targetILNS1_3genE4ELNS1_11target_archE910ELNS1_3gpuE8ELNS1_3repE0EEENS1_30default_config_static_selectorELNS0_4arch9wavefront6targetE0EEEvT1_.numbered_sgpr, 0
	.set _ZN7rocprim17ROCPRIM_400000_NS6detail17trampoline_kernelINS0_14default_configENS1_27scan_by_key_config_selectorIiiEEZZNS1_16scan_by_key_implILNS1_25lookback_scan_determinismE0ELb0ES3_N6thrust23THRUST_200600_302600_NS6detail15normal_iteratorINS9_10device_ptrIiEEEESE_SE_iNS9_4plusIvEENS9_8equal_toIiEEiEE10hipError_tPvRmT2_T3_T4_T5_mT6_T7_P12ihipStream_tbENKUlT_T0_E_clISt17integral_constantIbLb0EESZ_EEDaSU_SV_EUlSU_E_NS1_11comp_targetILNS1_3genE4ELNS1_11target_archE910ELNS1_3gpuE8ELNS1_3repE0EEENS1_30default_config_static_selectorELNS0_4arch9wavefront6targetE0EEEvT1_.num_named_barrier, 0
	.set _ZN7rocprim17ROCPRIM_400000_NS6detail17trampoline_kernelINS0_14default_configENS1_27scan_by_key_config_selectorIiiEEZZNS1_16scan_by_key_implILNS1_25lookback_scan_determinismE0ELb0ES3_N6thrust23THRUST_200600_302600_NS6detail15normal_iteratorINS9_10device_ptrIiEEEESE_SE_iNS9_4plusIvEENS9_8equal_toIiEEiEE10hipError_tPvRmT2_T3_T4_T5_mT6_T7_P12ihipStream_tbENKUlT_T0_E_clISt17integral_constantIbLb0EESZ_EEDaSU_SV_EUlSU_E_NS1_11comp_targetILNS1_3genE4ELNS1_11target_archE910ELNS1_3gpuE8ELNS1_3repE0EEENS1_30default_config_static_selectorELNS0_4arch9wavefront6targetE0EEEvT1_.private_seg_size, 0
	.set _ZN7rocprim17ROCPRIM_400000_NS6detail17trampoline_kernelINS0_14default_configENS1_27scan_by_key_config_selectorIiiEEZZNS1_16scan_by_key_implILNS1_25lookback_scan_determinismE0ELb0ES3_N6thrust23THRUST_200600_302600_NS6detail15normal_iteratorINS9_10device_ptrIiEEEESE_SE_iNS9_4plusIvEENS9_8equal_toIiEEiEE10hipError_tPvRmT2_T3_T4_T5_mT6_T7_P12ihipStream_tbENKUlT_T0_E_clISt17integral_constantIbLb0EESZ_EEDaSU_SV_EUlSU_E_NS1_11comp_targetILNS1_3genE4ELNS1_11target_archE910ELNS1_3gpuE8ELNS1_3repE0EEENS1_30default_config_static_selectorELNS0_4arch9wavefront6targetE0EEEvT1_.uses_vcc, 0
	.set _ZN7rocprim17ROCPRIM_400000_NS6detail17trampoline_kernelINS0_14default_configENS1_27scan_by_key_config_selectorIiiEEZZNS1_16scan_by_key_implILNS1_25lookback_scan_determinismE0ELb0ES3_N6thrust23THRUST_200600_302600_NS6detail15normal_iteratorINS9_10device_ptrIiEEEESE_SE_iNS9_4plusIvEENS9_8equal_toIiEEiEE10hipError_tPvRmT2_T3_T4_T5_mT6_T7_P12ihipStream_tbENKUlT_T0_E_clISt17integral_constantIbLb0EESZ_EEDaSU_SV_EUlSU_E_NS1_11comp_targetILNS1_3genE4ELNS1_11target_archE910ELNS1_3gpuE8ELNS1_3repE0EEENS1_30default_config_static_selectorELNS0_4arch9wavefront6targetE0EEEvT1_.uses_flat_scratch, 0
	.set _ZN7rocprim17ROCPRIM_400000_NS6detail17trampoline_kernelINS0_14default_configENS1_27scan_by_key_config_selectorIiiEEZZNS1_16scan_by_key_implILNS1_25lookback_scan_determinismE0ELb0ES3_N6thrust23THRUST_200600_302600_NS6detail15normal_iteratorINS9_10device_ptrIiEEEESE_SE_iNS9_4plusIvEENS9_8equal_toIiEEiEE10hipError_tPvRmT2_T3_T4_T5_mT6_T7_P12ihipStream_tbENKUlT_T0_E_clISt17integral_constantIbLb0EESZ_EEDaSU_SV_EUlSU_E_NS1_11comp_targetILNS1_3genE4ELNS1_11target_archE910ELNS1_3gpuE8ELNS1_3repE0EEENS1_30default_config_static_selectorELNS0_4arch9wavefront6targetE0EEEvT1_.has_dyn_sized_stack, 0
	.set _ZN7rocprim17ROCPRIM_400000_NS6detail17trampoline_kernelINS0_14default_configENS1_27scan_by_key_config_selectorIiiEEZZNS1_16scan_by_key_implILNS1_25lookback_scan_determinismE0ELb0ES3_N6thrust23THRUST_200600_302600_NS6detail15normal_iteratorINS9_10device_ptrIiEEEESE_SE_iNS9_4plusIvEENS9_8equal_toIiEEiEE10hipError_tPvRmT2_T3_T4_T5_mT6_T7_P12ihipStream_tbENKUlT_T0_E_clISt17integral_constantIbLb0EESZ_EEDaSU_SV_EUlSU_E_NS1_11comp_targetILNS1_3genE4ELNS1_11target_archE910ELNS1_3gpuE8ELNS1_3repE0EEENS1_30default_config_static_selectorELNS0_4arch9wavefront6targetE0EEEvT1_.has_recursion, 0
	.set _ZN7rocprim17ROCPRIM_400000_NS6detail17trampoline_kernelINS0_14default_configENS1_27scan_by_key_config_selectorIiiEEZZNS1_16scan_by_key_implILNS1_25lookback_scan_determinismE0ELb0ES3_N6thrust23THRUST_200600_302600_NS6detail15normal_iteratorINS9_10device_ptrIiEEEESE_SE_iNS9_4plusIvEENS9_8equal_toIiEEiEE10hipError_tPvRmT2_T3_T4_T5_mT6_T7_P12ihipStream_tbENKUlT_T0_E_clISt17integral_constantIbLb0EESZ_EEDaSU_SV_EUlSU_E_NS1_11comp_targetILNS1_3genE4ELNS1_11target_archE910ELNS1_3gpuE8ELNS1_3repE0EEENS1_30default_config_static_selectorELNS0_4arch9wavefront6targetE0EEEvT1_.has_indirect_call, 0
	.section	.AMDGPU.csdata,"",@progbits
; Kernel info:
; codeLenInByte = 0
; TotalNumSgprs: 0
; NumVgprs: 0
; ScratchSize: 0
; MemoryBound: 0
; FloatMode: 240
; IeeeMode: 1
; LDSByteSize: 0 bytes/workgroup (compile time only)
; SGPRBlocks: 0
; VGPRBlocks: 0
; NumSGPRsForWavesPerEU: 1
; NumVGPRsForWavesPerEU: 1
; Occupancy: 16
; WaveLimiterHint : 0
; COMPUTE_PGM_RSRC2:SCRATCH_EN: 0
; COMPUTE_PGM_RSRC2:USER_SGPR: 6
; COMPUTE_PGM_RSRC2:TRAP_HANDLER: 0
; COMPUTE_PGM_RSRC2:TGID_X_EN: 1
; COMPUTE_PGM_RSRC2:TGID_Y_EN: 0
; COMPUTE_PGM_RSRC2:TGID_Z_EN: 0
; COMPUTE_PGM_RSRC2:TIDIG_COMP_CNT: 0
	.section	.text._ZN7rocprim17ROCPRIM_400000_NS6detail17trampoline_kernelINS0_14default_configENS1_27scan_by_key_config_selectorIiiEEZZNS1_16scan_by_key_implILNS1_25lookback_scan_determinismE0ELb0ES3_N6thrust23THRUST_200600_302600_NS6detail15normal_iteratorINS9_10device_ptrIiEEEESE_SE_iNS9_4plusIvEENS9_8equal_toIiEEiEE10hipError_tPvRmT2_T3_T4_T5_mT6_T7_P12ihipStream_tbENKUlT_T0_E_clISt17integral_constantIbLb0EESZ_EEDaSU_SV_EUlSU_E_NS1_11comp_targetILNS1_3genE3ELNS1_11target_archE908ELNS1_3gpuE7ELNS1_3repE0EEENS1_30default_config_static_selectorELNS0_4arch9wavefront6targetE0EEEvT1_,"axG",@progbits,_ZN7rocprim17ROCPRIM_400000_NS6detail17trampoline_kernelINS0_14default_configENS1_27scan_by_key_config_selectorIiiEEZZNS1_16scan_by_key_implILNS1_25lookback_scan_determinismE0ELb0ES3_N6thrust23THRUST_200600_302600_NS6detail15normal_iteratorINS9_10device_ptrIiEEEESE_SE_iNS9_4plusIvEENS9_8equal_toIiEEiEE10hipError_tPvRmT2_T3_T4_T5_mT6_T7_P12ihipStream_tbENKUlT_T0_E_clISt17integral_constantIbLb0EESZ_EEDaSU_SV_EUlSU_E_NS1_11comp_targetILNS1_3genE3ELNS1_11target_archE908ELNS1_3gpuE7ELNS1_3repE0EEENS1_30default_config_static_selectorELNS0_4arch9wavefront6targetE0EEEvT1_,comdat
	.protected	_ZN7rocprim17ROCPRIM_400000_NS6detail17trampoline_kernelINS0_14default_configENS1_27scan_by_key_config_selectorIiiEEZZNS1_16scan_by_key_implILNS1_25lookback_scan_determinismE0ELb0ES3_N6thrust23THRUST_200600_302600_NS6detail15normal_iteratorINS9_10device_ptrIiEEEESE_SE_iNS9_4plusIvEENS9_8equal_toIiEEiEE10hipError_tPvRmT2_T3_T4_T5_mT6_T7_P12ihipStream_tbENKUlT_T0_E_clISt17integral_constantIbLb0EESZ_EEDaSU_SV_EUlSU_E_NS1_11comp_targetILNS1_3genE3ELNS1_11target_archE908ELNS1_3gpuE7ELNS1_3repE0EEENS1_30default_config_static_selectorELNS0_4arch9wavefront6targetE0EEEvT1_ ; -- Begin function _ZN7rocprim17ROCPRIM_400000_NS6detail17trampoline_kernelINS0_14default_configENS1_27scan_by_key_config_selectorIiiEEZZNS1_16scan_by_key_implILNS1_25lookback_scan_determinismE0ELb0ES3_N6thrust23THRUST_200600_302600_NS6detail15normal_iteratorINS9_10device_ptrIiEEEESE_SE_iNS9_4plusIvEENS9_8equal_toIiEEiEE10hipError_tPvRmT2_T3_T4_T5_mT6_T7_P12ihipStream_tbENKUlT_T0_E_clISt17integral_constantIbLb0EESZ_EEDaSU_SV_EUlSU_E_NS1_11comp_targetILNS1_3genE3ELNS1_11target_archE908ELNS1_3gpuE7ELNS1_3repE0EEENS1_30default_config_static_selectorELNS0_4arch9wavefront6targetE0EEEvT1_
	.globl	_ZN7rocprim17ROCPRIM_400000_NS6detail17trampoline_kernelINS0_14default_configENS1_27scan_by_key_config_selectorIiiEEZZNS1_16scan_by_key_implILNS1_25lookback_scan_determinismE0ELb0ES3_N6thrust23THRUST_200600_302600_NS6detail15normal_iteratorINS9_10device_ptrIiEEEESE_SE_iNS9_4plusIvEENS9_8equal_toIiEEiEE10hipError_tPvRmT2_T3_T4_T5_mT6_T7_P12ihipStream_tbENKUlT_T0_E_clISt17integral_constantIbLb0EESZ_EEDaSU_SV_EUlSU_E_NS1_11comp_targetILNS1_3genE3ELNS1_11target_archE908ELNS1_3gpuE7ELNS1_3repE0EEENS1_30default_config_static_selectorELNS0_4arch9wavefront6targetE0EEEvT1_
	.p2align	8
	.type	_ZN7rocprim17ROCPRIM_400000_NS6detail17trampoline_kernelINS0_14default_configENS1_27scan_by_key_config_selectorIiiEEZZNS1_16scan_by_key_implILNS1_25lookback_scan_determinismE0ELb0ES3_N6thrust23THRUST_200600_302600_NS6detail15normal_iteratorINS9_10device_ptrIiEEEESE_SE_iNS9_4plusIvEENS9_8equal_toIiEEiEE10hipError_tPvRmT2_T3_T4_T5_mT6_T7_P12ihipStream_tbENKUlT_T0_E_clISt17integral_constantIbLb0EESZ_EEDaSU_SV_EUlSU_E_NS1_11comp_targetILNS1_3genE3ELNS1_11target_archE908ELNS1_3gpuE7ELNS1_3repE0EEENS1_30default_config_static_selectorELNS0_4arch9wavefront6targetE0EEEvT1_,@function
_ZN7rocprim17ROCPRIM_400000_NS6detail17trampoline_kernelINS0_14default_configENS1_27scan_by_key_config_selectorIiiEEZZNS1_16scan_by_key_implILNS1_25lookback_scan_determinismE0ELb0ES3_N6thrust23THRUST_200600_302600_NS6detail15normal_iteratorINS9_10device_ptrIiEEEESE_SE_iNS9_4plusIvEENS9_8equal_toIiEEiEE10hipError_tPvRmT2_T3_T4_T5_mT6_T7_P12ihipStream_tbENKUlT_T0_E_clISt17integral_constantIbLb0EESZ_EEDaSU_SV_EUlSU_E_NS1_11comp_targetILNS1_3genE3ELNS1_11target_archE908ELNS1_3gpuE7ELNS1_3repE0EEENS1_30default_config_static_selectorELNS0_4arch9wavefront6targetE0EEEvT1_: ; @_ZN7rocprim17ROCPRIM_400000_NS6detail17trampoline_kernelINS0_14default_configENS1_27scan_by_key_config_selectorIiiEEZZNS1_16scan_by_key_implILNS1_25lookback_scan_determinismE0ELb0ES3_N6thrust23THRUST_200600_302600_NS6detail15normal_iteratorINS9_10device_ptrIiEEEESE_SE_iNS9_4plusIvEENS9_8equal_toIiEEiEE10hipError_tPvRmT2_T3_T4_T5_mT6_T7_P12ihipStream_tbENKUlT_T0_E_clISt17integral_constantIbLb0EESZ_EEDaSU_SV_EUlSU_E_NS1_11comp_targetILNS1_3genE3ELNS1_11target_archE908ELNS1_3gpuE7ELNS1_3repE0EEENS1_30default_config_static_selectorELNS0_4arch9wavefront6targetE0EEEvT1_
; %bb.0:
	.section	.rodata,"a",@progbits
	.p2align	6, 0x0
	.amdhsa_kernel _ZN7rocprim17ROCPRIM_400000_NS6detail17trampoline_kernelINS0_14default_configENS1_27scan_by_key_config_selectorIiiEEZZNS1_16scan_by_key_implILNS1_25lookback_scan_determinismE0ELb0ES3_N6thrust23THRUST_200600_302600_NS6detail15normal_iteratorINS9_10device_ptrIiEEEESE_SE_iNS9_4plusIvEENS9_8equal_toIiEEiEE10hipError_tPvRmT2_T3_T4_T5_mT6_T7_P12ihipStream_tbENKUlT_T0_E_clISt17integral_constantIbLb0EESZ_EEDaSU_SV_EUlSU_E_NS1_11comp_targetILNS1_3genE3ELNS1_11target_archE908ELNS1_3gpuE7ELNS1_3repE0EEENS1_30default_config_static_selectorELNS0_4arch9wavefront6targetE0EEEvT1_
		.amdhsa_group_segment_fixed_size 0
		.amdhsa_private_segment_fixed_size 0
		.amdhsa_kernarg_size 112
		.amdhsa_user_sgpr_count 6
		.amdhsa_user_sgpr_private_segment_buffer 1
		.amdhsa_user_sgpr_dispatch_ptr 0
		.amdhsa_user_sgpr_queue_ptr 0
		.amdhsa_user_sgpr_kernarg_segment_ptr 1
		.amdhsa_user_sgpr_dispatch_id 0
		.amdhsa_user_sgpr_flat_scratch_init 0
		.amdhsa_user_sgpr_private_segment_size 0
		.amdhsa_wavefront_size32 1
		.amdhsa_uses_dynamic_stack 0
		.amdhsa_system_sgpr_private_segment_wavefront_offset 0
		.amdhsa_system_sgpr_workgroup_id_x 1
		.amdhsa_system_sgpr_workgroup_id_y 0
		.amdhsa_system_sgpr_workgroup_id_z 0
		.amdhsa_system_sgpr_workgroup_info 0
		.amdhsa_system_vgpr_workitem_id 0
		.amdhsa_next_free_vgpr 1
		.amdhsa_next_free_sgpr 1
		.amdhsa_reserve_vcc 0
		.amdhsa_reserve_flat_scratch 0
		.amdhsa_float_round_mode_32 0
		.amdhsa_float_round_mode_16_64 0
		.amdhsa_float_denorm_mode_32 3
		.amdhsa_float_denorm_mode_16_64 3
		.amdhsa_dx10_clamp 1
		.amdhsa_ieee_mode 1
		.amdhsa_fp16_overflow 0
		.amdhsa_workgroup_processor_mode 1
		.amdhsa_memory_ordered 1
		.amdhsa_forward_progress 1
		.amdhsa_shared_vgpr_count 0
		.amdhsa_exception_fp_ieee_invalid_op 0
		.amdhsa_exception_fp_denorm_src 0
		.amdhsa_exception_fp_ieee_div_zero 0
		.amdhsa_exception_fp_ieee_overflow 0
		.amdhsa_exception_fp_ieee_underflow 0
		.amdhsa_exception_fp_ieee_inexact 0
		.amdhsa_exception_int_div_zero 0
	.end_amdhsa_kernel
	.section	.text._ZN7rocprim17ROCPRIM_400000_NS6detail17trampoline_kernelINS0_14default_configENS1_27scan_by_key_config_selectorIiiEEZZNS1_16scan_by_key_implILNS1_25lookback_scan_determinismE0ELb0ES3_N6thrust23THRUST_200600_302600_NS6detail15normal_iteratorINS9_10device_ptrIiEEEESE_SE_iNS9_4plusIvEENS9_8equal_toIiEEiEE10hipError_tPvRmT2_T3_T4_T5_mT6_T7_P12ihipStream_tbENKUlT_T0_E_clISt17integral_constantIbLb0EESZ_EEDaSU_SV_EUlSU_E_NS1_11comp_targetILNS1_3genE3ELNS1_11target_archE908ELNS1_3gpuE7ELNS1_3repE0EEENS1_30default_config_static_selectorELNS0_4arch9wavefront6targetE0EEEvT1_,"axG",@progbits,_ZN7rocprim17ROCPRIM_400000_NS6detail17trampoline_kernelINS0_14default_configENS1_27scan_by_key_config_selectorIiiEEZZNS1_16scan_by_key_implILNS1_25lookback_scan_determinismE0ELb0ES3_N6thrust23THRUST_200600_302600_NS6detail15normal_iteratorINS9_10device_ptrIiEEEESE_SE_iNS9_4plusIvEENS9_8equal_toIiEEiEE10hipError_tPvRmT2_T3_T4_T5_mT6_T7_P12ihipStream_tbENKUlT_T0_E_clISt17integral_constantIbLb0EESZ_EEDaSU_SV_EUlSU_E_NS1_11comp_targetILNS1_3genE3ELNS1_11target_archE908ELNS1_3gpuE7ELNS1_3repE0EEENS1_30default_config_static_selectorELNS0_4arch9wavefront6targetE0EEEvT1_,comdat
.Lfunc_end204:
	.size	_ZN7rocprim17ROCPRIM_400000_NS6detail17trampoline_kernelINS0_14default_configENS1_27scan_by_key_config_selectorIiiEEZZNS1_16scan_by_key_implILNS1_25lookback_scan_determinismE0ELb0ES3_N6thrust23THRUST_200600_302600_NS6detail15normal_iteratorINS9_10device_ptrIiEEEESE_SE_iNS9_4plusIvEENS9_8equal_toIiEEiEE10hipError_tPvRmT2_T3_T4_T5_mT6_T7_P12ihipStream_tbENKUlT_T0_E_clISt17integral_constantIbLb0EESZ_EEDaSU_SV_EUlSU_E_NS1_11comp_targetILNS1_3genE3ELNS1_11target_archE908ELNS1_3gpuE7ELNS1_3repE0EEENS1_30default_config_static_selectorELNS0_4arch9wavefront6targetE0EEEvT1_, .Lfunc_end204-_ZN7rocprim17ROCPRIM_400000_NS6detail17trampoline_kernelINS0_14default_configENS1_27scan_by_key_config_selectorIiiEEZZNS1_16scan_by_key_implILNS1_25lookback_scan_determinismE0ELb0ES3_N6thrust23THRUST_200600_302600_NS6detail15normal_iteratorINS9_10device_ptrIiEEEESE_SE_iNS9_4plusIvEENS9_8equal_toIiEEiEE10hipError_tPvRmT2_T3_T4_T5_mT6_T7_P12ihipStream_tbENKUlT_T0_E_clISt17integral_constantIbLb0EESZ_EEDaSU_SV_EUlSU_E_NS1_11comp_targetILNS1_3genE3ELNS1_11target_archE908ELNS1_3gpuE7ELNS1_3repE0EEENS1_30default_config_static_selectorELNS0_4arch9wavefront6targetE0EEEvT1_
                                        ; -- End function
	.set _ZN7rocprim17ROCPRIM_400000_NS6detail17trampoline_kernelINS0_14default_configENS1_27scan_by_key_config_selectorIiiEEZZNS1_16scan_by_key_implILNS1_25lookback_scan_determinismE0ELb0ES3_N6thrust23THRUST_200600_302600_NS6detail15normal_iteratorINS9_10device_ptrIiEEEESE_SE_iNS9_4plusIvEENS9_8equal_toIiEEiEE10hipError_tPvRmT2_T3_T4_T5_mT6_T7_P12ihipStream_tbENKUlT_T0_E_clISt17integral_constantIbLb0EESZ_EEDaSU_SV_EUlSU_E_NS1_11comp_targetILNS1_3genE3ELNS1_11target_archE908ELNS1_3gpuE7ELNS1_3repE0EEENS1_30default_config_static_selectorELNS0_4arch9wavefront6targetE0EEEvT1_.num_vgpr, 0
	.set _ZN7rocprim17ROCPRIM_400000_NS6detail17trampoline_kernelINS0_14default_configENS1_27scan_by_key_config_selectorIiiEEZZNS1_16scan_by_key_implILNS1_25lookback_scan_determinismE0ELb0ES3_N6thrust23THRUST_200600_302600_NS6detail15normal_iteratorINS9_10device_ptrIiEEEESE_SE_iNS9_4plusIvEENS9_8equal_toIiEEiEE10hipError_tPvRmT2_T3_T4_T5_mT6_T7_P12ihipStream_tbENKUlT_T0_E_clISt17integral_constantIbLb0EESZ_EEDaSU_SV_EUlSU_E_NS1_11comp_targetILNS1_3genE3ELNS1_11target_archE908ELNS1_3gpuE7ELNS1_3repE0EEENS1_30default_config_static_selectorELNS0_4arch9wavefront6targetE0EEEvT1_.num_agpr, 0
	.set _ZN7rocprim17ROCPRIM_400000_NS6detail17trampoline_kernelINS0_14default_configENS1_27scan_by_key_config_selectorIiiEEZZNS1_16scan_by_key_implILNS1_25lookback_scan_determinismE0ELb0ES3_N6thrust23THRUST_200600_302600_NS6detail15normal_iteratorINS9_10device_ptrIiEEEESE_SE_iNS9_4plusIvEENS9_8equal_toIiEEiEE10hipError_tPvRmT2_T3_T4_T5_mT6_T7_P12ihipStream_tbENKUlT_T0_E_clISt17integral_constantIbLb0EESZ_EEDaSU_SV_EUlSU_E_NS1_11comp_targetILNS1_3genE3ELNS1_11target_archE908ELNS1_3gpuE7ELNS1_3repE0EEENS1_30default_config_static_selectorELNS0_4arch9wavefront6targetE0EEEvT1_.numbered_sgpr, 0
	.set _ZN7rocprim17ROCPRIM_400000_NS6detail17trampoline_kernelINS0_14default_configENS1_27scan_by_key_config_selectorIiiEEZZNS1_16scan_by_key_implILNS1_25lookback_scan_determinismE0ELb0ES3_N6thrust23THRUST_200600_302600_NS6detail15normal_iteratorINS9_10device_ptrIiEEEESE_SE_iNS9_4plusIvEENS9_8equal_toIiEEiEE10hipError_tPvRmT2_T3_T4_T5_mT6_T7_P12ihipStream_tbENKUlT_T0_E_clISt17integral_constantIbLb0EESZ_EEDaSU_SV_EUlSU_E_NS1_11comp_targetILNS1_3genE3ELNS1_11target_archE908ELNS1_3gpuE7ELNS1_3repE0EEENS1_30default_config_static_selectorELNS0_4arch9wavefront6targetE0EEEvT1_.num_named_barrier, 0
	.set _ZN7rocprim17ROCPRIM_400000_NS6detail17trampoline_kernelINS0_14default_configENS1_27scan_by_key_config_selectorIiiEEZZNS1_16scan_by_key_implILNS1_25lookback_scan_determinismE0ELb0ES3_N6thrust23THRUST_200600_302600_NS6detail15normal_iteratorINS9_10device_ptrIiEEEESE_SE_iNS9_4plusIvEENS9_8equal_toIiEEiEE10hipError_tPvRmT2_T3_T4_T5_mT6_T7_P12ihipStream_tbENKUlT_T0_E_clISt17integral_constantIbLb0EESZ_EEDaSU_SV_EUlSU_E_NS1_11comp_targetILNS1_3genE3ELNS1_11target_archE908ELNS1_3gpuE7ELNS1_3repE0EEENS1_30default_config_static_selectorELNS0_4arch9wavefront6targetE0EEEvT1_.private_seg_size, 0
	.set _ZN7rocprim17ROCPRIM_400000_NS6detail17trampoline_kernelINS0_14default_configENS1_27scan_by_key_config_selectorIiiEEZZNS1_16scan_by_key_implILNS1_25lookback_scan_determinismE0ELb0ES3_N6thrust23THRUST_200600_302600_NS6detail15normal_iteratorINS9_10device_ptrIiEEEESE_SE_iNS9_4plusIvEENS9_8equal_toIiEEiEE10hipError_tPvRmT2_T3_T4_T5_mT6_T7_P12ihipStream_tbENKUlT_T0_E_clISt17integral_constantIbLb0EESZ_EEDaSU_SV_EUlSU_E_NS1_11comp_targetILNS1_3genE3ELNS1_11target_archE908ELNS1_3gpuE7ELNS1_3repE0EEENS1_30default_config_static_selectorELNS0_4arch9wavefront6targetE0EEEvT1_.uses_vcc, 0
	.set _ZN7rocprim17ROCPRIM_400000_NS6detail17trampoline_kernelINS0_14default_configENS1_27scan_by_key_config_selectorIiiEEZZNS1_16scan_by_key_implILNS1_25lookback_scan_determinismE0ELb0ES3_N6thrust23THRUST_200600_302600_NS6detail15normal_iteratorINS9_10device_ptrIiEEEESE_SE_iNS9_4plusIvEENS9_8equal_toIiEEiEE10hipError_tPvRmT2_T3_T4_T5_mT6_T7_P12ihipStream_tbENKUlT_T0_E_clISt17integral_constantIbLb0EESZ_EEDaSU_SV_EUlSU_E_NS1_11comp_targetILNS1_3genE3ELNS1_11target_archE908ELNS1_3gpuE7ELNS1_3repE0EEENS1_30default_config_static_selectorELNS0_4arch9wavefront6targetE0EEEvT1_.uses_flat_scratch, 0
	.set _ZN7rocprim17ROCPRIM_400000_NS6detail17trampoline_kernelINS0_14default_configENS1_27scan_by_key_config_selectorIiiEEZZNS1_16scan_by_key_implILNS1_25lookback_scan_determinismE0ELb0ES3_N6thrust23THRUST_200600_302600_NS6detail15normal_iteratorINS9_10device_ptrIiEEEESE_SE_iNS9_4plusIvEENS9_8equal_toIiEEiEE10hipError_tPvRmT2_T3_T4_T5_mT6_T7_P12ihipStream_tbENKUlT_T0_E_clISt17integral_constantIbLb0EESZ_EEDaSU_SV_EUlSU_E_NS1_11comp_targetILNS1_3genE3ELNS1_11target_archE908ELNS1_3gpuE7ELNS1_3repE0EEENS1_30default_config_static_selectorELNS0_4arch9wavefront6targetE0EEEvT1_.has_dyn_sized_stack, 0
	.set _ZN7rocprim17ROCPRIM_400000_NS6detail17trampoline_kernelINS0_14default_configENS1_27scan_by_key_config_selectorIiiEEZZNS1_16scan_by_key_implILNS1_25lookback_scan_determinismE0ELb0ES3_N6thrust23THRUST_200600_302600_NS6detail15normal_iteratorINS9_10device_ptrIiEEEESE_SE_iNS9_4plusIvEENS9_8equal_toIiEEiEE10hipError_tPvRmT2_T3_T4_T5_mT6_T7_P12ihipStream_tbENKUlT_T0_E_clISt17integral_constantIbLb0EESZ_EEDaSU_SV_EUlSU_E_NS1_11comp_targetILNS1_3genE3ELNS1_11target_archE908ELNS1_3gpuE7ELNS1_3repE0EEENS1_30default_config_static_selectorELNS0_4arch9wavefront6targetE0EEEvT1_.has_recursion, 0
	.set _ZN7rocprim17ROCPRIM_400000_NS6detail17trampoline_kernelINS0_14default_configENS1_27scan_by_key_config_selectorIiiEEZZNS1_16scan_by_key_implILNS1_25lookback_scan_determinismE0ELb0ES3_N6thrust23THRUST_200600_302600_NS6detail15normal_iteratorINS9_10device_ptrIiEEEESE_SE_iNS9_4plusIvEENS9_8equal_toIiEEiEE10hipError_tPvRmT2_T3_T4_T5_mT6_T7_P12ihipStream_tbENKUlT_T0_E_clISt17integral_constantIbLb0EESZ_EEDaSU_SV_EUlSU_E_NS1_11comp_targetILNS1_3genE3ELNS1_11target_archE908ELNS1_3gpuE7ELNS1_3repE0EEENS1_30default_config_static_selectorELNS0_4arch9wavefront6targetE0EEEvT1_.has_indirect_call, 0
	.section	.AMDGPU.csdata,"",@progbits
; Kernel info:
; codeLenInByte = 0
; TotalNumSgprs: 0
; NumVgprs: 0
; ScratchSize: 0
; MemoryBound: 0
; FloatMode: 240
; IeeeMode: 1
; LDSByteSize: 0 bytes/workgroup (compile time only)
; SGPRBlocks: 0
; VGPRBlocks: 0
; NumSGPRsForWavesPerEU: 1
; NumVGPRsForWavesPerEU: 1
; Occupancy: 16
; WaveLimiterHint : 0
; COMPUTE_PGM_RSRC2:SCRATCH_EN: 0
; COMPUTE_PGM_RSRC2:USER_SGPR: 6
; COMPUTE_PGM_RSRC2:TRAP_HANDLER: 0
; COMPUTE_PGM_RSRC2:TGID_X_EN: 1
; COMPUTE_PGM_RSRC2:TGID_Y_EN: 0
; COMPUTE_PGM_RSRC2:TGID_Z_EN: 0
; COMPUTE_PGM_RSRC2:TIDIG_COMP_CNT: 0
	.section	.text._ZN7rocprim17ROCPRIM_400000_NS6detail17trampoline_kernelINS0_14default_configENS1_27scan_by_key_config_selectorIiiEEZZNS1_16scan_by_key_implILNS1_25lookback_scan_determinismE0ELb0ES3_N6thrust23THRUST_200600_302600_NS6detail15normal_iteratorINS9_10device_ptrIiEEEESE_SE_iNS9_4plusIvEENS9_8equal_toIiEEiEE10hipError_tPvRmT2_T3_T4_T5_mT6_T7_P12ihipStream_tbENKUlT_T0_E_clISt17integral_constantIbLb0EESZ_EEDaSU_SV_EUlSU_E_NS1_11comp_targetILNS1_3genE2ELNS1_11target_archE906ELNS1_3gpuE6ELNS1_3repE0EEENS1_30default_config_static_selectorELNS0_4arch9wavefront6targetE0EEEvT1_,"axG",@progbits,_ZN7rocprim17ROCPRIM_400000_NS6detail17trampoline_kernelINS0_14default_configENS1_27scan_by_key_config_selectorIiiEEZZNS1_16scan_by_key_implILNS1_25lookback_scan_determinismE0ELb0ES3_N6thrust23THRUST_200600_302600_NS6detail15normal_iteratorINS9_10device_ptrIiEEEESE_SE_iNS9_4plusIvEENS9_8equal_toIiEEiEE10hipError_tPvRmT2_T3_T4_T5_mT6_T7_P12ihipStream_tbENKUlT_T0_E_clISt17integral_constantIbLb0EESZ_EEDaSU_SV_EUlSU_E_NS1_11comp_targetILNS1_3genE2ELNS1_11target_archE906ELNS1_3gpuE6ELNS1_3repE0EEENS1_30default_config_static_selectorELNS0_4arch9wavefront6targetE0EEEvT1_,comdat
	.protected	_ZN7rocprim17ROCPRIM_400000_NS6detail17trampoline_kernelINS0_14default_configENS1_27scan_by_key_config_selectorIiiEEZZNS1_16scan_by_key_implILNS1_25lookback_scan_determinismE0ELb0ES3_N6thrust23THRUST_200600_302600_NS6detail15normal_iteratorINS9_10device_ptrIiEEEESE_SE_iNS9_4plusIvEENS9_8equal_toIiEEiEE10hipError_tPvRmT2_T3_T4_T5_mT6_T7_P12ihipStream_tbENKUlT_T0_E_clISt17integral_constantIbLb0EESZ_EEDaSU_SV_EUlSU_E_NS1_11comp_targetILNS1_3genE2ELNS1_11target_archE906ELNS1_3gpuE6ELNS1_3repE0EEENS1_30default_config_static_selectorELNS0_4arch9wavefront6targetE0EEEvT1_ ; -- Begin function _ZN7rocprim17ROCPRIM_400000_NS6detail17trampoline_kernelINS0_14default_configENS1_27scan_by_key_config_selectorIiiEEZZNS1_16scan_by_key_implILNS1_25lookback_scan_determinismE0ELb0ES3_N6thrust23THRUST_200600_302600_NS6detail15normal_iteratorINS9_10device_ptrIiEEEESE_SE_iNS9_4plusIvEENS9_8equal_toIiEEiEE10hipError_tPvRmT2_T3_T4_T5_mT6_T7_P12ihipStream_tbENKUlT_T0_E_clISt17integral_constantIbLb0EESZ_EEDaSU_SV_EUlSU_E_NS1_11comp_targetILNS1_3genE2ELNS1_11target_archE906ELNS1_3gpuE6ELNS1_3repE0EEENS1_30default_config_static_selectorELNS0_4arch9wavefront6targetE0EEEvT1_
	.globl	_ZN7rocprim17ROCPRIM_400000_NS6detail17trampoline_kernelINS0_14default_configENS1_27scan_by_key_config_selectorIiiEEZZNS1_16scan_by_key_implILNS1_25lookback_scan_determinismE0ELb0ES3_N6thrust23THRUST_200600_302600_NS6detail15normal_iteratorINS9_10device_ptrIiEEEESE_SE_iNS9_4plusIvEENS9_8equal_toIiEEiEE10hipError_tPvRmT2_T3_T4_T5_mT6_T7_P12ihipStream_tbENKUlT_T0_E_clISt17integral_constantIbLb0EESZ_EEDaSU_SV_EUlSU_E_NS1_11comp_targetILNS1_3genE2ELNS1_11target_archE906ELNS1_3gpuE6ELNS1_3repE0EEENS1_30default_config_static_selectorELNS0_4arch9wavefront6targetE0EEEvT1_
	.p2align	8
	.type	_ZN7rocprim17ROCPRIM_400000_NS6detail17trampoline_kernelINS0_14default_configENS1_27scan_by_key_config_selectorIiiEEZZNS1_16scan_by_key_implILNS1_25lookback_scan_determinismE0ELb0ES3_N6thrust23THRUST_200600_302600_NS6detail15normal_iteratorINS9_10device_ptrIiEEEESE_SE_iNS9_4plusIvEENS9_8equal_toIiEEiEE10hipError_tPvRmT2_T3_T4_T5_mT6_T7_P12ihipStream_tbENKUlT_T0_E_clISt17integral_constantIbLb0EESZ_EEDaSU_SV_EUlSU_E_NS1_11comp_targetILNS1_3genE2ELNS1_11target_archE906ELNS1_3gpuE6ELNS1_3repE0EEENS1_30default_config_static_selectorELNS0_4arch9wavefront6targetE0EEEvT1_,@function
_ZN7rocprim17ROCPRIM_400000_NS6detail17trampoline_kernelINS0_14default_configENS1_27scan_by_key_config_selectorIiiEEZZNS1_16scan_by_key_implILNS1_25lookback_scan_determinismE0ELb0ES3_N6thrust23THRUST_200600_302600_NS6detail15normal_iteratorINS9_10device_ptrIiEEEESE_SE_iNS9_4plusIvEENS9_8equal_toIiEEiEE10hipError_tPvRmT2_T3_T4_T5_mT6_T7_P12ihipStream_tbENKUlT_T0_E_clISt17integral_constantIbLb0EESZ_EEDaSU_SV_EUlSU_E_NS1_11comp_targetILNS1_3genE2ELNS1_11target_archE906ELNS1_3gpuE6ELNS1_3repE0EEENS1_30default_config_static_selectorELNS0_4arch9wavefront6targetE0EEEvT1_: ; @_ZN7rocprim17ROCPRIM_400000_NS6detail17trampoline_kernelINS0_14default_configENS1_27scan_by_key_config_selectorIiiEEZZNS1_16scan_by_key_implILNS1_25lookback_scan_determinismE0ELb0ES3_N6thrust23THRUST_200600_302600_NS6detail15normal_iteratorINS9_10device_ptrIiEEEESE_SE_iNS9_4plusIvEENS9_8equal_toIiEEiEE10hipError_tPvRmT2_T3_T4_T5_mT6_T7_P12ihipStream_tbENKUlT_T0_E_clISt17integral_constantIbLb0EESZ_EEDaSU_SV_EUlSU_E_NS1_11comp_targetILNS1_3genE2ELNS1_11target_archE906ELNS1_3gpuE6ELNS1_3repE0EEENS1_30default_config_static_selectorELNS0_4arch9wavefront6targetE0EEEvT1_
; %bb.0:
	.section	.rodata,"a",@progbits
	.p2align	6, 0x0
	.amdhsa_kernel _ZN7rocprim17ROCPRIM_400000_NS6detail17trampoline_kernelINS0_14default_configENS1_27scan_by_key_config_selectorIiiEEZZNS1_16scan_by_key_implILNS1_25lookback_scan_determinismE0ELb0ES3_N6thrust23THRUST_200600_302600_NS6detail15normal_iteratorINS9_10device_ptrIiEEEESE_SE_iNS9_4plusIvEENS9_8equal_toIiEEiEE10hipError_tPvRmT2_T3_T4_T5_mT6_T7_P12ihipStream_tbENKUlT_T0_E_clISt17integral_constantIbLb0EESZ_EEDaSU_SV_EUlSU_E_NS1_11comp_targetILNS1_3genE2ELNS1_11target_archE906ELNS1_3gpuE6ELNS1_3repE0EEENS1_30default_config_static_selectorELNS0_4arch9wavefront6targetE0EEEvT1_
		.amdhsa_group_segment_fixed_size 0
		.amdhsa_private_segment_fixed_size 0
		.amdhsa_kernarg_size 112
		.amdhsa_user_sgpr_count 6
		.amdhsa_user_sgpr_private_segment_buffer 1
		.amdhsa_user_sgpr_dispatch_ptr 0
		.amdhsa_user_sgpr_queue_ptr 0
		.amdhsa_user_sgpr_kernarg_segment_ptr 1
		.amdhsa_user_sgpr_dispatch_id 0
		.amdhsa_user_sgpr_flat_scratch_init 0
		.amdhsa_user_sgpr_private_segment_size 0
		.amdhsa_wavefront_size32 1
		.amdhsa_uses_dynamic_stack 0
		.amdhsa_system_sgpr_private_segment_wavefront_offset 0
		.amdhsa_system_sgpr_workgroup_id_x 1
		.amdhsa_system_sgpr_workgroup_id_y 0
		.amdhsa_system_sgpr_workgroup_id_z 0
		.amdhsa_system_sgpr_workgroup_info 0
		.amdhsa_system_vgpr_workitem_id 0
		.amdhsa_next_free_vgpr 1
		.amdhsa_next_free_sgpr 1
		.amdhsa_reserve_vcc 0
		.amdhsa_reserve_flat_scratch 0
		.amdhsa_float_round_mode_32 0
		.amdhsa_float_round_mode_16_64 0
		.amdhsa_float_denorm_mode_32 3
		.amdhsa_float_denorm_mode_16_64 3
		.amdhsa_dx10_clamp 1
		.amdhsa_ieee_mode 1
		.amdhsa_fp16_overflow 0
		.amdhsa_workgroup_processor_mode 1
		.amdhsa_memory_ordered 1
		.amdhsa_forward_progress 1
		.amdhsa_shared_vgpr_count 0
		.amdhsa_exception_fp_ieee_invalid_op 0
		.amdhsa_exception_fp_denorm_src 0
		.amdhsa_exception_fp_ieee_div_zero 0
		.amdhsa_exception_fp_ieee_overflow 0
		.amdhsa_exception_fp_ieee_underflow 0
		.amdhsa_exception_fp_ieee_inexact 0
		.amdhsa_exception_int_div_zero 0
	.end_amdhsa_kernel
	.section	.text._ZN7rocprim17ROCPRIM_400000_NS6detail17trampoline_kernelINS0_14default_configENS1_27scan_by_key_config_selectorIiiEEZZNS1_16scan_by_key_implILNS1_25lookback_scan_determinismE0ELb0ES3_N6thrust23THRUST_200600_302600_NS6detail15normal_iteratorINS9_10device_ptrIiEEEESE_SE_iNS9_4plusIvEENS9_8equal_toIiEEiEE10hipError_tPvRmT2_T3_T4_T5_mT6_T7_P12ihipStream_tbENKUlT_T0_E_clISt17integral_constantIbLb0EESZ_EEDaSU_SV_EUlSU_E_NS1_11comp_targetILNS1_3genE2ELNS1_11target_archE906ELNS1_3gpuE6ELNS1_3repE0EEENS1_30default_config_static_selectorELNS0_4arch9wavefront6targetE0EEEvT1_,"axG",@progbits,_ZN7rocprim17ROCPRIM_400000_NS6detail17trampoline_kernelINS0_14default_configENS1_27scan_by_key_config_selectorIiiEEZZNS1_16scan_by_key_implILNS1_25lookback_scan_determinismE0ELb0ES3_N6thrust23THRUST_200600_302600_NS6detail15normal_iteratorINS9_10device_ptrIiEEEESE_SE_iNS9_4plusIvEENS9_8equal_toIiEEiEE10hipError_tPvRmT2_T3_T4_T5_mT6_T7_P12ihipStream_tbENKUlT_T0_E_clISt17integral_constantIbLb0EESZ_EEDaSU_SV_EUlSU_E_NS1_11comp_targetILNS1_3genE2ELNS1_11target_archE906ELNS1_3gpuE6ELNS1_3repE0EEENS1_30default_config_static_selectorELNS0_4arch9wavefront6targetE0EEEvT1_,comdat
.Lfunc_end205:
	.size	_ZN7rocprim17ROCPRIM_400000_NS6detail17trampoline_kernelINS0_14default_configENS1_27scan_by_key_config_selectorIiiEEZZNS1_16scan_by_key_implILNS1_25lookback_scan_determinismE0ELb0ES3_N6thrust23THRUST_200600_302600_NS6detail15normal_iteratorINS9_10device_ptrIiEEEESE_SE_iNS9_4plusIvEENS9_8equal_toIiEEiEE10hipError_tPvRmT2_T3_T4_T5_mT6_T7_P12ihipStream_tbENKUlT_T0_E_clISt17integral_constantIbLb0EESZ_EEDaSU_SV_EUlSU_E_NS1_11comp_targetILNS1_3genE2ELNS1_11target_archE906ELNS1_3gpuE6ELNS1_3repE0EEENS1_30default_config_static_selectorELNS0_4arch9wavefront6targetE0EEEvT1_, .Lfunc_end205-_ZN7rocprim17ROCPRIM_400000_NS6detail17trampoline_kernelINS0_14default_configENS1_27scan_by_key_config_selectorIiiEEZZNS1_16scan_by_key_implILNS1_25lookback_scan_determinismE0ELb0ES3_N6thrust23THRUST_200600_302600_NS6detail15normal_iteratorINS9_10device_ptrIiEEEESE_SE_iNS9_4plusIvEENS9_8equal_toIiEEiEE10hipError_tPvRmT2_T3_T4_T5_mT6_T7_P12ihipStream_tbENKUlT_T0_E_clISt17integral_constantIbLb0EESZ_EEDaSU_SV_EUlSU_E_NS1_11comp_targetILNS1_3genE2ELNS1_11target_archE906ELNS1_3gpuE6ELNS1_3repE0EEENS1_30default_config_static_selectorELNS0_4arch9wavefront6targetE0EEEvT1_
                                        ; -- End function
	.set _ZN7rocprim17ROCPRIM_400000_NS6detail17trampoline_kernelINS0_14default_configENS1_27scan_by_key_config_selectorIiiEEZZNS1_16scan_by_key_implILNS1_25lookback_scan_determinismE0ELb0ES3_N6thrust23THRUST_200600_302600_NS6detail15normal_iteratorINS9_10device_ptrIiEEEESE_SE_iNS9_4plusIvEENS9_8equal_toIiEEiEE10hipError_tPvRmT2_T3_T4_T5_mT6_T7_P12ihipStream_tbENKUlT_T0_E_clISt17integral_constantIbLb0EESZ_EEDaSU_SV_EUlSU_E_NS1_11comp_targetILNS1_3genE2ELNS1_11target_archE906ELNS1_3gpuE6ELNS1_3repE0EEENS1_30default_config_static_selectorELNS0_4arch9wavefront6targetE0EEEvT1_.num_vgpr, 0
	.set _ZN7rocprim17ROCPRIM_400000_NS6detail17trampoline_kernelINS0_14default_configENS1_27scan_by_key_config_selectorIiiEEZZNS1_16scan_by_key_implILNS1_25lookback_scan_determinismE0ELb0ES3_N6thrust23THRUST_200600_302600_NS6detail15normal_iteratorINS9_10device_ptrIiEEEESE_SE_iNS9_4plusIvEENS9_8equal_toIiEEiEE10hipError_tPvRmT2_T3_T4_T5_mT6_T7_P12ihipStream_tbENKUlT_T0_E_clISt17integral_constantIbLb0EESZ_EEDaSU_SV_EUlSU_E_NS1_11comp_targetILNS1_3genE2ELNS1_11target_archE906ELNS1_3gpuE6ELNS1_3repE0EEENS1_30default_config_static_selectorELNS0_4arch9wavefront6targetE0EEEvT1_.num_agpr, 0
	.set _ZN7rocprim17ROCPRIM_400000_NS6detail17trampoline_kernelINS0_14default_configENS1_27scan_by_key_config_selectorIiiEEZZNS1_16scan_by_key_implILNS1_25lookback_scan_determinismE0ELb0ES3_N6thrust23THRUST_200600_302600_NS6detail15normal_iteratorINS9_10device_ptrIiEEEESE_SE_iNS9_4plusIvEENS9_8equal_toIiEEiEE10hipError_tPvRmT2_T3_T4_T5_mT6_T7_P12ihipStream_tbENKUlT_T0_E_clISt17integral_constantIbLb0EESZ_EEDaSU_SV_EUlSU_E_NS1_11comp_targetILNS1_3genE2ELNS1_11target_archE906ELNS1_3gpuE6ELNS1_3repE0EEENS1_30default_config_static_selectorELNS0_4arch9wavefront6targetE0EEEvT1_.numbered_sgpr, 0
	.set _ZN7rocprim17ROCPRIM_400000_NS6detail17trampoline_kernelINS0_14default_configENS1_27scan_by_key_config_selectorIiiEEZZNS1_16scan_by_key_implILNS1_25lookback_scan_determinismE0ELb0ES3_N6thrust23THRUST_200600_302600_NS6detail15normal_iteratorINS9_10device_ptrIiEEEESE_SE_iNS9_4plusIvEENS9_8equal_toIiEEiEE10hipError_tPvRmT2_T3_T4_T5_mT6_T7_P12ihipStream_tbENKUlT_T0_E_clISt17integral_constantIbLb0EESZ_EEDaSU_SV_EUlSU_E_NS1_11comp_targetILNS1_3genE2ELNS1_11target_archE906ELNS1_3gpuE6ELNS1_3repE0EEENS1_30default_config_static_selectorELNS0_4arch9wavefront6targetE0EEEvT1_.num_named_barrier, 0
	.set _ZN7rocprim17ROCPRIM_400000_NS6detail17trampoline_kernelINS0_14default_configENS1_27scan_by_key_config_selectorIiiEEZZNS1_16scan_by_key_implILNS1_25lookback_scan_determinismE0ELb0ES3_N6thrust23THRUST_200600_302600_NS6detail15normal_iteratorINS9_10device_ptrIiEEEESE_SE_iNS9_4plusIvEENS9_8equal_toIiEEiEE10hipError_tPvRmT2_T3_T4_T5_mT6_T7_P12ihipStream_tbENKUlT_T0_E_clISt17integral_constantIbLb0EESZ_EEDaSU_SV_EUlSU_E_NS1_11comp_targetILNS1_3genE2ELNS1_11target_archE906ELNS1_3gpuE6ELNS1_3repE0EEENS1_30default_config_static_selectorELNS0_4arch9wavefront6targetE0EEEvT1_.private_seg_size, 0
	.set _ZN7rocprim17ROCPRIM_400000_NS6detail17trampoline_kernelINS0_14default_configENS1_27scan_by_key_config_selectorIiiEEZZNS1_16scan_by_key_implILNS1_25lookback_scan_determinismE0ELb0ES3_N6thrust23THRUST_200600_302600_NS6detail15normal_iteratorINS9_10device_ptrIiEEEESE_SE_iNS9_4plusIvEENS9_8equal_toIiEEiEE10hipError_tPvRmT2_T3_T4_T5_mT6_T7_P12ihipStream_tbENKUlT_T0_E_clISt17integral_constantIbLb0EESZ_EEDaSU_SV_EUlSU_E_NS1_11comp_targetILNS1_3genE2ELNS1_11target_archE906ELNS1_3gpuE6ELNS1_3repE0EEENS1_30default_config_static_selectorELNS0_4arch9wavefront6targetE0EEEvT1_.uses_vcc, 0
	.set _ZN7rocprim17ROCPRIM_400000_NS6detail17trampoline_kernelINS0_14default_configENS1_27scan_by_key_config_selectorIiiEEZZNS1_16scan_by_key_implILNS1_25lookback_scan_determinismE0ELb0ES3_N6thrust23THRUST_200600_302600_NS6detail15normal_iteratorINS9_10device_ptrIiEEEESE_SE_iNS9_4plusIvEENS9_8equal_toIiEEiEE10hipError_tPvRmT2_T3_T4_T5_mT6_T7_P12ihipStream_tbENKUlT_T0_E_clISt17integral_constantIbLb0EESZ_EEDaSU_SV_EUlSU_E_NS1_11comp_targetILNS1_3genE2ELNS1_11target_archE906ELNS1_3gpuE6ELNS1_3repE0EEENS1_30default_config_static_selectorELNS0_4arch9wavefront6targetE0EEEvT1_.uses_flat_scratch, 0
	.set _ZN7rocprim17ROCPRIM_400000_NS6detail17trampoline_kernelINS0_14default_configENS1_27scan_by_key_config_selectorIiiEEZZNS1_16scan_by_key_implILNS1_25lookback_scan_determinismE0ELb0ES3_N6thrust23THRUST_200600_302600_NS6detail15normal_iteratorINS9_10device_ptrIiEEEESE_SE_iNS9_4plusIvEENS9_8equal_toIiEEiEE10hipError_tPvRmT2_T3_T4_T5_mT6_T7_P12ihipStream_tbENKUlT_T0_E_clISt17integral_constantIbLb0EESZ_EEDaSU_SV_EUlSU_E_NS1_11comp_targetILNS1_3genE2ELNS1_11target_archE906ELNS1_3gpuE6ELNS1_3repE0EEENS1_30default_config_static_selectorELNS0_4arch9wavefront6targetE0EEEvT1_.has_dyn_sized_stack, 0
	.set _ZN7rocprim17ROCPRIM_400000_NS6detail17trampoline_kernelINS0_14default_configENS1_27scan_by_key_config_selectorIiiEEZZNS1_16scan_by_key_implILNS1_25lookback_scan_determinismE0ELb0ES3_N6thrust23THRUST_200600_302600_NS6detail15normal_iteratorINS9_10device_ptrIiEEEESE_SE_iNS9_4plusIvEENS9_8equal_toIiEEiEE10hipError_tPvRmT2_T3_T4_T5_mT6_T7_P12ihipStream_tbENKUlT_T0_E_clISt17integral_constantIbLb0EESZ_EEDaSU_SV_EUlSU_E_NS1_11comp_targetILNS1_3genE2ELNS1_11target_archE906ELNS1_3gpuE6ELNS1_3repE0EEENS1_30default_config_static_selectorELNS0_4arch9wavefront6targetE0EEEvT1_.has_recursion, 0
	.set _ZN7rocprim17ROCPRIM_400000_NS6detail17trampoline_kernelINS0_14default_configENS1_27scan_by_key_config_selectorIiiEEZZNS1_16scan_by_key_implILNS1_25lookback_scan_determinismE0ELb0ES3_N6thrust23THRUST_200600_302600_NS6detail15normal_iteratorINS9_10device_ptrIiEEEESE_SE_iNS9_4plusIvEENS9_8equal_toIiEEiEE10hipError_tPvRmT2_T3_T4_T5_mT6_T7_P12ihipStream_tbENKUlT_T0_E_clISt17integral_constantIbLb0EESZ_EEDaSU_SV_EUlSU_E_NS1_11comp_targetILNS1_3genE2ELNS1_11target_archE906ELNS1_3gpuE6ELNS1_3repE0EEENS1_30default_config_static_selectorELNS0_4arch9wavefront6targetE0EEEvT1_.has_indirect_call, 0
	.section	.AMDGPU.csdata,"",@progbits
; Kernel info:
; codeLenInByte = 0
; TotalNumSgprs: 0
; NumVgprs: 0
; ScratchSize: 0
; MemoryBound: 0
; FloatMode: 240
; IeeeMode: 1
; LDSByteSize: 0 bytes/workgroup (compile time only)
; SGPRBlocks: 0
; VGPRBlocks: 0
; NumSGPRsForWavesPerEU: 1
; NumVGPRsForWavesPerEU: 1
; Occupancy: 16
; WaveLimiterHint : 0
; COMPUTE_PGM_RSRC2:SCRATCH_EN: 0
; COMPUTE_PGM_RSRC2:USER_SGPR: 6
; COMPUTE_PGM_RSRC2:TRAP_HANDLER: 0
; COMPUTE_PGM_RSRC2:TGID_X_EN: 1
; COMPUTE_PGM_RSRC2:TGID_Y_EN: 0
; COMPUTE_PGM_RSRC2:TGID_Z_EN: 0
; COMPUTE_PGM_RSRC2:TIDIG_COMP_CNT: 0
	.section	.text._ZN7rocprim17ROCPRIM_400000_NS6detail17trampoline_kernelINS0_14default_configENS1_27scan_by_key_config_selectorIiiEEZZNS1_16scan_by_key_implILNS1_25lookback_scan_determinismE0ELb0ES3_N6thrust23THRUST_200600_302600_NS6detail15normal_iteratorINS9_10device_ptrIiEEEESE_SE_iNS9_4plusIvEENS9_8equal_toIiEEiEE10hipError_tPvRmT2_T3_T4_T5_mT6_T7_P12ihipStream_tbENKUlT_T0_E_clISt17integral_constantIbLb0EESZ_EEDaSU_SV_EUlSU_E_NS1_11comp_targetILNS1_3genE10ELNS1_11target_archE1200ELNS1_3gpuE4ELNS1_3repE0EEENS1_30default_config_static_selectorELNS0_4arch9wavefront6targetE0EEEvT1_,"axG",@progbits,_ZN7rocprim17ROCPRIM_400000_NS6detail17trampoline_kernelINS0_14default_configENS1_27scan_by_key_config_selectorIiiEEZZNS1_16scan_by_key_implILNS1_25lookback_scan_determinismE0ELb0ES3_N6thrust23THRUST_200600_302600_NS6detail15normal_iteratorINS9_10device_ptrIiEEEESE_SE_iNS9_4plusIvEENS9_8equal_toIiEEiEE10hipError_tPvRmT2_T3_T4_T5_mT6_T7_P12ihipStream_tbENKUlT_T0_E_clISt17integral_constantIbLb0EESZ_EEDaSU_SV_EUlSU_E_NS1_11comp_targetILNS1_3genE10ELNS1_11target_archE1200ELNS1_3gpuE4ELNS1_3repE0EEENS1_30default_config_static_selectorELNS0_4arch9wavefront6targetE0EEEvT1_,comdat
	.protected	_ZN7rocprim17ROCPRIM_400000_NS6detail17trampoline_kernelINS0_14default_configENS1_27scan_by_key_config_selectorIiiEEZZNS1_16scan_by_key_implILNS1_25lookback_scan_determinismE0ELb0ES3_N6thrust23THRUST_200600_302600_NS6detail15normal_iteratorINS9_10device_ptrIiEEEESE_SE_iNS9_4plusIvEENS9_8equal_toIiEEiEE10hipError_tPvRmT2_T3_T4_T5_mT6_T7_P12ihipStream_tbENKUlT_T0_E_clISt17integral_constantIbLb0EESZ_EEDaSU_SV_EUlSU_E_NS1_11comp_targetILNS1_3genE10ELNS1_11target_archE1200ELNS1_3gpuE4ELNS1_3repE0EEENS1_30default_config_static_selectorELNS0_4arch9wavefront6targetE0EEEvT1_ ; -- Begin function _ZN7rocprim17ROCPRIM_400000_NS6detail17trampoline_kernelINS0_14default_configENS1_27scan_by_key_config_selectorIiiEEZZNS1_16scan_by_key_implILNS1_25lookback_scan_determinismE0ELb0ES3_N6thrust23THRUST_200600_302600_NS6detail15normal_iteratorINS9_10device_ptrIiEEEESE_SE_iNS9_4plusIvEENS9_8equal_toIiEEiEE10hipError_tPvRmT2_T3_T4_T5_mT6_T7_P12ihipStream_tbENKUlT_T0_E_clISt17integral_constantIbLb0EESZ_EEDaSU_SV_EUlSU_E_NS1_11comp_targetILNS1_3genE10ELNS1_11target_archE1200ELNS1_3gpuE4ELNS1_3repE0EEENS1_30default_config_static_selectorELNS0_4arch9wavefront6targetE0EEEvT1_
	.globl	_ZN7rocprim17ROCPRIM_400000_NS6detail17trampoline_kernelINS0_14default_configENS1_27scan_by_key_config_selectorIiiEEZZNS1_16scan_by_key_implILNS1_25lookback_scan_determinismE0ELb0ES3_N6thrust23THRUST_200600_302600_NS6detail15normal_iteratorINS9_10device_ptrIiEEEESE_SE_iNS9_4plusIvEENS9_8equal_toIiEEiEE10hipError_tPvRmT2_T3_T4_T5_mT6_T7_P12ihipStream_tbENKUlT_T0_E_clISt17integral_constantIbLb0EESZ_EEDaSU_SV_EUlSU_E_NS1_11comp_targetILNS1_3genE10ELNS1_11target_archE1200ELNS1_3gpuE4ELNS1_3repE0EEENS1_30default_config_static_selectorELNS0_4arch9wavefront6targetE0EEEvT1_
	.p2align	8
	.type	_ZN7rocprim17ROCPRIM_400000_NS6detail17trampoline_kernelINS0_14default_configENS1_27scan_by_key_config_selectorIiiEEZZNS1_16scan_by_key_implILNS1_25lookback_scan_determinismE0ELb0ES3_N6thrust23THRUST_200600_302600_NS6detail15normal_iteratorINS9_10device_ptrIiEEEESE_SE_iNS9_4plusIvEENS9_8equal_toIiEEiEE10hipError_tPvRmT2_T3_T4_T5_mT6_T7_P12ihipStream_tbENKUlT_T0_E_clISt17integral_constantIbLb0EESZ_EEDaSU_SV_EUlSU_E_NS1_11comp_targetILNS1_3genE10ELNS1_11target_archE1200ELNS1_3gpuE4ELNS1_3repE0EEENS1_30default_config_static_selectorELNS0_4arch9wavefront6targetE0EEEvT1_,@function
_ZN7rocprim17ROCPRIM_400000_NS6detail17trampoline_kernelINS0_14default_configENS1_27scan_by_key_config_selectorIiiEEZZNS1_16scan_by_key_implILNS1_25lookback_scan_determinismE0ELb0ES3_N6thrust23THRUST_200600_302600_NS6detail15normal_iteratorINS9_10device_ptrIiEEEESE_SE_iNS9_4plusIvEENS9_8equal_toIiEEiEE10hipError_tPvRmT2_T3_T4_T5_mT6_T7_P12ihipStream_tbENKUlT_T0_E_clISt17integral_constantIbLb0EESZ_EEDaSU_SV_EUlSU_E_NS1_11comp_targetILNS1_3genE10ELNS1_11target_archE1200ELNS1_3gpuE4ELNS1_3repE0EEENS1_30default_config_static_selectorELNS0_4arch9wavefront6targetE0EEEvT1_: ; @_ZN7rocprim17ROCPRIM_400000_NS6detail17trampoline_kernelINS0_14default_configENS1_27scan_by_key_config_selectorIiiEEZZNS1_16scan_by_key_implILNS1_25lookback_scan_determinismE0ELb0ES3_N6thrust23THRUST_200600_302600_NS6detail15normal_iteratorINS9_10device_ptrIiEEEESE_SE_iNS9_4plusIvEENS9_8equal_toIiEEiEE10hipError_tPvRmT2_T3_T4_T5_mT6_T7_P12ihipStream_tbENKUlT_T0_E_clISt17integral_constantIbLb0EESZ_EEDaSU_SV_EUlSU_E_NS1_11comp_targetILNS1_3genE10ELNS1_11target_archE1200ELNS1_3gpuE4ELNS1_3repE0EEENS1_30default_config_static_selectorELNS0_4arch9wavefront6targetE0EEEvT1_
; %bb.0:
	.section	.rodata,"a",@progbits
	.p2align	6, 0x0
	.amdhsa_kernel _ZN7rocprim17ROCPRIM_400000_NS6detail17trampoline_kernelINS0_14default_configENS1_27scan_by_key_config_selectorIiiEEZZNS1_16scan_by_key_implILNS1_25lookback_scan_determinismE0ELb0ES3_N6thrust23THRUST_200600_302600_NS6detail15normal_iteratorINS9_10device_ptrIiEEEESE_SE_iNS9_4plusIvEENS9_8equal_toIiEEiEE10hipError_tPvRmT2_T3_T4_T5_mT6_T7_P12ihipStream_tbENKUlT_T0_E_clISt17integral_constantIbLb0EESZ_EEDaSU_SV_EUlSU_E_NS1_11comp_targetILNS1_3genE10ELNS1_11target_archE1200ELNS1_3gpuE4ELNS1_3repE0EEENS1_30default_config_static_selectorELNS0_4arch9wavefront6targetE0EEEvT1_
		.amdhsa_group_segment_fixed_size 0
		.amdhsa_private_segment_fixed_size 0
		.amdhsa_kernarg_size 112
		.amdhsa_user_sgpr_count 6
		.amdhsa_user_sgpr_private_segment_buffer 1
		.amdhsa_user_sgpr_dispatch_ptr 0
		.amdhsa_user_sgpr_queue_ptr 0
		.amdhsa_user_sgpr_kernarg_segment_ptr 1
		.amdhsa_user_sgpr_dispatch_id 0
		.amdhsa_user_sgpr_flat_scratch_init 0
		.amdhsa_user_sgpr_private_segment_size 0
		.amdhsa_wavefront_size32 1
		.amdhsa_uses_dynamic_stack 0
		.amdhsa_system_sgpr_private_segment_wavefront_offset 0
		.amdhsa_system_sgpr_workgroup_id_x 1
		.amdhsa_system_sgpr_workgroup_id_y 0
		.amdhsa_system_sgpr_workgroup_id_z 0
		.amdhsa_system_sgpr_workgroup_info 0
		.amdhsa_system_vgpr_workitem_id 0
		.amdhsa_next_free_vgpr 1
		.amdhsa_next_free_sgpr 1
		.amdhsa_reserve_vcc 0
		.amdhsa_reserve_flat_scratch 0
		.amdhsa_float_round_mode_32 0
		.amdhsa_float_round_mode_16_64 0
		.amdhsa_float_denorm_mode_32 3
		.amdhsa_float_denorm_mode_16_64 3
		.amdhsa_dx10_clamp 1
		.amdhsa_ieee_mode 1
		.amdhsa_fp16_overflow 0
		.amdhsa_workgroup_processor_mode 1
		.amdhsa_memory_ordered 1
		.amdhsa_forward_progress 1
		.amdhsa_shared_vgpr_count 0
		.amdhsa_exception_fp_ieee_invalid_op 0
		.amdhsa_exception_fp_denorm_src 0
		.amdhsa_exception_fp_ieee_div_zero 0
		.amdhsa_exception_fp_ieee_overflow 0
		.amdhsa_exception_fp_ieee_underflow 0
		.amdhsa_exception_fp_ieee_inexact 0
		.amdhsa_exception_int_div_zero 0
	.end_amdhsa_kernel
	.section	.text._ZN7rocprim17ROCPRIM_400000_NS6detail17trampoline_kernelINS0_14default_configENS1_27scan_by_key_config_selectorIiiEEZZNS1_16scan_by_key_implILNS1_25lookback_scan_determinismE0ELb0ES3_N6thrust23THRUST_200600_302600_NS6detail15normal_iteratorINS9_10device_ptrIiEEEESE_SE_iNS9_4plusIvEENS9_8equal_toIiEEiEE10hipError_tPvRmT2_T3_T4_T5_mT6_T7_P12ihipStream_tbENKUlT_T0_E_clISt17integral_constantIbLb0EESZ_EEDaSU_SV_EUlSU_E_NS1_11comp_targetILNS1_3genE10ELNS1_11target_archE1200ELNS1_3gpuE4ELNS1_3repE0EEENS1_30default_config_static_selectorELNS0_4arch9wavefront6targetE0EEEvT1_,"axG",@progbits,_ZN7rocprim17ROCPRIM_400000_NS6detail17trampoline_kernelINS0_14default_configENS1_27scan_by_key_config_selectorIiiEEZZNS1_16scan_by_key_implILNS1_25lookback_scan_determinismE0ELb0ES3_N6thrust23THRUST_200600_302600_NS6detail15normal_iteratorINS9_10device_ptrIiEEEESE_SE_iNS9_4plusIvEENS9_8equal_toIiEEiEE10hipError_tPvRmT2_T3_T4_T5_mT6_T7_P12ihipStream_tbENKUlT_T0_E_clISt17integral_constantIbLb0EESZ_EEDaSU_SV_EUlSU_E_NS1_11comp_targetILNS1_3genE10ELNS1_11target_archE1200ELNS1_3gpuE4ELNS1_3repE0EEENS1_30default_config_static_selectorELNS0_4arch9wavefront6targetE0EEEvT1_,comdat
.Lfunc_end206:
	.size	_ZN7rocprim17ROCPRIM_400000_NS6detail17trampoline_kernelINS0_14default_configENS1_27scan_by_key_config_selectorIiiEEZZNS1_16scan_by_key_implILNS1_25lookback_scan_determinismE0ELb0ES3_N6thrust23THRUST_200600_302600_NS6detail15normal_iteratorINS9_10device_ptrIiEEEESE_SE_iNS9_4plusIvEENS9_8equal_toIiEEiEE10hipError_tPvRmT2_T3_T4_T5_mT6_T7_P12ihipStream_tbENKUlT_T0_E_clISt17integral_constantIbLb0EESZ_EEDaSU_SV_EUlSU_E_NS1_11comp_targetILNS1_3genE10ELNS1_11target_archE1200ELNS1_3gpuE4ELNS1_3repE0EEENS1_30default_config_static_selectorELNS0_4arch9wavefront6targetE0EEEvT1_, .Lfunc_end206-_ZN7rocprim17ROCPRIM_400000_NS6detail17trampoline_kernelINS0_14default_configENS1_27scan_by_key_config_selectorIiiEEZZNS1_16scan_by_key_implILNS1_25lookback_scan_determinismE0ELb0ES3_N6thrust23THRUST_200600_302600_NS6detail15normal_iteratorINS9_10device_ptrIiEEEESE_SE_iNS9_4plusIvEENS9_8equal_toIiEEiEE10hipError_tPvRmT2_T3_T4_T5_mT6_T7_P12ihipStream_tbENKUlT_T0_E_clISt17integral_constantIbLb0EESZ_EEDaSU_SV_EUlSU_E_NS1_11comp_targetILNS1_3genE10ELNS1_11target_archE1200ELNS1_3gpuE4ELNS1_3repE0EEENS1_30default_config_static_selectorELNS0_4arch9wavefront6targetE0EEEvT1_
                                        ; -- End function
	.set _ZN7rocprim17ROCPRIM_400000_NS6detail17trampoline_kernelINS0_14default_configENS1_27scan_by_key_config_selectorIiiEEZZNS1_16scan_by_key_implILNS1_25lookback_scan_determinismE0ELb0ES3_N6thrust23THRUST_200600_302600_NS6detail15normal_iteratorINS9_10device_ptrIiEEEESE_SE_iNS9_4plusIvEENS9_8equal_toIiEEiEE10hipError_tPvRmT2_T3_T4_T5_mT6_T7_P12ihipStream_tbENKUlT_T0_E_clISt17integral_constantIbLb0EESZ_EEDaSU_SV_EUlSU_E_NS1_11comp_targetILNS1_3genE10ELNS1_11target_archE1200ELNS1_3gpuE4ELNS1_3repE0EEENS1_30default_config_static_selectorELNS0_4arch9wavefront6targetE0EEEvT1_.num_vgpr, 0
	.set _ZN7rocprim17ROCPRIM_400000_NS6detail17trampoline_kernelINS0_14default_configENS1_27scan_by_key_config_selectorIiiEEZZNS1_16scan_by_key_implILNS1_25lookback_scan_determinismE0ELb0ES3_N6thrust23THRUST_200600_302600_NS6detail15normal_iteratorINS9_10device_ptrIiEEEESE_SE_iNS9_4plusIvEENS9_8equal_toIiEEiEE10hipError_tPvRmT2_T3_T4_T5_mT6_T7_P12ihipStream_tbENKUlT_T0_E_clISt17integral_constantIbLb0EESZ_EEDaSU_SV_EUlSU_E_NS1_11comp_targetILNS1_3genE10ELNS1_11target_archE1200ELNS1_3gpuE4ELNS1_3repE0EEENS1_30default_config_static_selectorELNS0_4arch9wavefront6targetE0EEEvT1_.num_agpr, 0
	.set _ZN7rocprim17ROCPRIM_400000_NS6detail17trampoline_kernelINS0_14default_configENS1_27scan_by_key_config_selectorIiiEEZZNS1_16scan_by_key_implILNS1_25lookback_scan_determinismE0ELb0ES3_N6thrust23THRUST_200600_302600_NS6detail15normal_iteratorINS9_10device_ptrIiEEEESE_SE_iNS9_4plusIvEENS9_8equal_toIiEEiEE10hipError_tPvRmT2_T3_T4_T5_mT6_T7_P12ihipStream_tbENKUlT_T0_E_clISt17integral_constantIbLb0EESZ_EEDaSU_SV_EUlSU_E_NS1_11comp_targetILNS1_3genE10ELNS1_11target_archE1200ELNS1_3gpuE4ELNS1_3repE0EEENS1_30default_config_static_selectorELNS0_4arch9wavefront6targetE0EEEvT1_.numbered_sgpr, 0
	.set _ZN7rocprim17ROCPRIM_400000_NS6detail17trampoline_kernelINS0_14default_configENS1_27scan_by_key_config_selectorIiiEEZZNS1_16scan_by_key_implILNS1_25lookback_scan_determinismE0ELb0ES3_N6thrust23THRUST_200600_302600_NS6detail15normal_iteratorINS9_10device_ptrIiEEEESE_SE_iNS9_4plusIvEENS9_8equal_toIiEEiEE10hipError_tPvRmT2_T3_T4_T5_mT6_T7_P12ihipStream_tbENKUlT_T0_E_clISt17integral_constantIbLb0EESZ_EEDaSU_SV_EUlSU_E_NS1_11comp_targetILNS1_3genE10ELNS1_11target_archE1200ELNS1_3gpuE4ELNS1_3repE0EEENS1_30default_config_static_selectorELNS0_4arch9wavefront6targetE0EEEvT1_.num_named_barrier, 0
	.set _ZN7rocprim17ROCPRIM_400000_NS6detail17trampoline_kernelINS0_14default_configENS1_27scan_by_key_config_selectorIiiEEZZNS1_16scan_by_key_implILNS1_25lookback_scan_determinismE0ELb0ES3_N6thrust23THRUST_200600_302600_NS6detail15normal_iteratorINS9_10device_ptrIiEEEESE_SE_iNS9_4plusIvEENS9_8equal_toIiEEiEE10hipError_tPvRmT2_T3_T4_T5_mT6_T7_P12ihipStream_tbENKUlT_T0_E_clISt17integral_constantIbLb0EESZ_EEDaSU_SV_EUlSU_E_NS1_11comp_targetILNS1_3genE10ELNS1_11target_archE1200ELNS1_3gpuE4ELNS1_3repE0EEENS1_30default_config_static_selectorELNS0_4arch9wavefront6targetE0EEEvT1_.private_seg_size, 0
	.set _ZN7rocprim17ROCPRIM_400000_NS6detail17trampoline_kernelINS0_14default_configENS1_27scan_by_key_config_selectorIiiEEZZNS1_16scan_by_key_implILNS1_25lookback_scan_determinismE0ELb0ES3_N6thrust23THRUST_200600_302600_NS6detail15normal_iteratorINS9_10device_ptrIiEEEESE_SE_iNS9_4plusIvEENS9_8equal_toIiEEiEE10hipError_tPvRmT2_T3_T4_T5_mT6_T7_P12ihipStream_tbENKUlT_T0_E_clISt17integral_constantIbLb0EESZ_EEDaSU_SV_EUlSU_E_NS1_11comp_targetILNS1_3genE10ELNS1_11target_archE1200ELNS1_3gpuE4ELNS1_3repE0EEENS1_30default_config_static_selectorELNS0_4arch9wavefront6targetE0EEEvT1_.uses_vcc, 0
	.set _ZN7rocprim17ROCPRIM_400000_NS6detail17trampoline_kernelINS0_14default_configENS1_27scan_by_key_config_selectorIiiEEZZNS1_16scan_by_key_implILNS1_25lookback_scan_determinismE0ELb0ES3_N6thrust23THRUST_200600_302600_NS6detail15normal_iteratorINS9_10device_ptrIiEEEESE_SE_iNS9_4plusIvEENS9_8equal_toIiEEiEE10hipError_tPvRmT2_T3_T4_T5_mT6_T7_P12ihipStream_tbENKUlT_T0_E_clISt17integral_constantIbLb0EESZ_EEDaSU_SV_EUlSU_E_NS1_11comp_targetILNS1_3genE10ELNS1_11target_archE1200ELNS1_3gpuE4ELNS1_3repE0EEENS1_30default_config_static_selectorELNS0_4arch9wavefront6targetE0EEEvT1_.uses_flat_scratch, 0
	.set _ZN7rocprim17ROCPRIM_400000_NS6detail17trampoline_kernelINS0_14default_configENS1_27scan_by_key_config_selectorIiiEEZZNS1_16scan_by_key_implILNS1_25lookback_scan_determinismE0ELb0ES3_N6thrust23THRUST_200600_302600_NS6detail15normal_iteratorINS9_10device_ptrIiEEEESE_SE_iNS9_4plusIvEENS9_8equal_toIiEEiEE10hipError_tPvRmT2_T3_T4_T5_mT6_T7_P12ihipStream_tbENKUlT_T0_E_clISt17integral_constantIbLb0EESZ_EEDaSU_SV_EUlSU_E_NS1_11comp_targetILNS1_3genE10ELNS1_11target_archE1200ELNS1_3gpuE4ELNS1_3repE0EEENS1_30default_config_static_selectorELNS0_4arch9wavefront6targetE0EEEvT1_.has_dyn_sized_stack, 0
	.set _ZN7rocprim17ROCPRIM_400000_NS6detail17trampoline_kernelINS0_14default_configENS1_27scan_by_key_config_selectorIiiEEZZNS1_16scan_by_key_implILNS1_25lookback_scan_determinismE0ELb0ES3_N6thrust23THRUST_200600_302600_NS6detail15normal_iteratorINS9_10device_ptrIiEEEESE_SE_iNS9_4plusIvEENS9_8equal_toIiEEiEE10hipError_tPvRmT2_T3_T4_T5_mT6_T7_P12ihipStream_tbENKUlT_T0_E_clISt17integral_constantIbLb0EESZ_EEDaSU_SV_EUlSU_E_NS1_11comp_targetILNS1_3genE10ELNS1_11target_archE1200ELNS1_3gpuE4ELNS1_3repE0EEENS1_30default_config_static_selectorELNS0_4arch9wavefront6targetE0EEEvT1_.has_recursion, 0
	.set _ZN7rocprim17ROCPRIM_400000_NS6detail17trampoline_kernelINS0_14default_configENS1_27scan_by_key_config_selectorIiiEEZZNS1_16scan_by_key_implILNS1_25lookback_scan_determinismE0ELb0ES3_N6thrust23THRUST_200600_302600_NS6detail15normal_iteratorINS9_10device_ptrIiEEEESE_SE_iNS9_4plusIvEENS9_8equal_toIiEEiEE10hipError_tPvRmT2_T3_T4_T5_mT6_T7_P12ihipStream_tbENKUlT_T0_E_clISt17integral_constantIbLb0EESZ_EEDaSU_SV_EUlSU_E_NS1_11comp_targetILNS1_3genE10ELNS1_11target_archE1200ELNS1_3gpuE4ELNS1_3repE0EEENS1_30default_config_static_selectorELNS0_4arch9wavefront6targetE0EEEvT1_.has_indirect_call, 0
	.section	.AMDGPU.csdata,"",@progbits
; Kernel info:
; codeLenInByte = 0
; TotalNumSgprs: 0
; NumVgprs: 0
; ScratchSize: 0
; MemoryBound: 0
; FloatMode: 240
; IeeeMode: 1
; LDSByteSize: 0 bytes/workgroup (compile time only)
; SGPRBlocks: 0
; VGPRBlocks: 0
; NumSGPRsForWavesPerEU: 1
; NumVGPRsForWavesPerEU: 1
; Occupancy: 16
; WaveLimiterHint : 0
; COMPUTE_PGM_RSRC2:SCRATCH_EN: 0
; COMPUTE_PGM_RSRC2:USER_SGPR: 6
; COMPUTE_PGM_RSRC2:TRAP_HANDLER: 0
; COMPUTE_PGM_RSRC2:TGID_X_EN: 1
; COMPUTE_PGM_RSRC2:TGID_Y_EN: 0
; COMPUTE_PGM_RSRC2:TGID_Z_EN: 0
; COMPUTE_PGM_RSRC2:TIDIG_COMP_CNT: 0
	.section	.text._ZN7rocprim17ROCPRIM_400000_NS6detail17trampoline_kernelINS0_14default_configENS1_27scan_by_key_config_selectorIiiEEZZNS1_16scan_by_key_implILNS1_25lookback_scan_determinismE0ELb0ES3_N6thrust23THRUST_200600_302600_NS6detail15normal_iteratorINS9_10device_ptrIiEEEESE_SE_iNS9_4plusIvEENS9_8equal_toIiEEiEE10hipError_tPvRmT2_T3_T4_T5_mT6_T7_P12ihipStream_tbENKUlT_T0_E_clISt17integral_constantIbLb0EESZ_EEDaSU_SV_EUlSU_E_NS1_11comp_targetILNS1_3genE9ELNS1_11target_archE1100ELNS1_3gpuE3ELNS1_3repE0EEENS1_30default_config_static_selectorELNS0_4arch9wavefront6targetE0EEEvT1_,"axG",@progbits,_ZN7rocprim17ROCPRIM_400000_NS6detail17trampoline_kernelINS0_14default_configENS1_27scan_by_key_config_selectorIiiEEZZNS1_16scan_by_key_implILNS1_25lookback_scan_determinismE0ELb0ES3_N6thrust23THRUST_200600_302600_NS6detail15normal_iteratorINS9_10device_ptrIiEEEESE_SE_iNS9_4plusIvEENS9_8equal_toIiEEiEE10hipError_tPvRmT2_T3_T4_T5_mT6_T7_P12ihipStream_tbENKUlT_T0_E_clISt17integral_constantIbLb0EESZ_EEDaSU_SV_EUlSU_E_NS1_11comp_targetILNS1_3genE9ELNS1_11target_archE1100ELNS1_3gpuE3ELNS1_3repE0EEENS1_30default_config_static_selectorELNS0_4arch9wavefront6targetE0EEEvT1_,comdat
	.protected	_ZN7rocprim17ROCPRIM_400000_NS6detail17trampoline_kernelINS0_14default_configENS1_27scan_by_key_config_selectorIiiEEZZNS1_16scan_by_key_implILNS1_25lookback_scan_determinismE0ELb0ES3_N6thrust23THRUST_200600_302600_NS6detail15normal_iteratorINS9_10device_ptrIiEEEESE_SE_iNS9_4plusIvEENS9_8equal_toIiEEiEE10hipError_tPvRmT2_T3_T4_T5_mT6_T7_P12ihipStream_tbENKUlT_T0_E_clISt17integral_constantIbLb0EESZ_EEDaSU_SV_EUlSU_E_NS1_11comp_targetILNS1_3genE9ELNS1_11target_archE1100ELNS1_3gpuE3ELNS1_3repE0EEENS1_30default_config_static_selectorELNS0_4arch9wavefront6targetE0EEEvT1_ ; -- Begin function _ZN7rocprim17ROCPRIM_400000_NS6detail17trampoline_kernelINS0_14default_configENS1_27scan_by_key_config_selectorIiiEEZZNS1_16scan_by_key_implILNS1_25lookback_scan_determinismE0ELb0ES3_N6thrust23THRUST_200600_302600_NS6detail15normal_iteratorINS9_10device_ptrIiEEEESE_SE_iNS9_4plusIvEENS9_8equal_toIiEEiEE10hipError_tPvRmT2_T3_T4_T5_mT6_T7_P12ihipStream_tbENKUlT_T0_E_clISt17integral_constantIbLb0EESZ_EEDaSU_SV_EUlSU_E_NS1_11comp_targetILNS1_3genE9ELNS1_11target_archE1100ELNS1_3gpuE3ELNS1_3repE0EEENS1_30default_config_static_selectorELNS0_4arch9wavefront6targetE0EEEvT1_
	.globl	_ZN7rocprim17ROCPRIM_400000_NS6detail17trampoline_kernelINS0_14default_configENS1_27scan_by_key_config_selectorIiiEEZZNS1_16scan_by_key_implILNS1_25lookback_scan_determinismE0ELb0ES3_N6thrust23THRUST_200600_302600_NS6detail15normal_iteratorINS9_10device_ptrIiEEEESE_SE_iNS9_4plusIvEENS9_8equal_toIiEEiEE10hipError_tPvRmT2_T3_T4_T5_mT6_T7_P12ihipStream_tbENKUlT_T0_E_clISt17integral_constantIbLb0EESZ_EEDaSU_SV_EUlSU_E_NS1_11comp_targetILNS1_3genE9ELNS1_11target_archE1100ELNS1_3gpuE3ELNS1_3repE0EEENS1_30default_config_static_selectorELNS0_4arch9wavefront6targetE0EEEvT1_
	.p2align	8
	.type	_ZN7rocprim17ROCPRIM_400000_NS6detail17trampoline_kernelINS0_14default_configENS1_27scan_by_key_config_selectorIiiEEZZNS1_16scan_by_key_implILNS1_25lookback_scan_determinismE0ELb0ES3_N6thrust23THRUST_200600_302600_NS6detail15normal_iteratorINS9_10device_ptrIiEEEESE_SE_iNS9_4plusIvEENS9_8equal_toIiEEiEE10hipError_tPvRmT2_T3_T4_T5_mT6_T7_P12ihipStream_tbENKUlT_T0_E_clISt17integral_constantIbLb0EESZ_EEDaSU_SV_EUlSU_E_NS1_11comp_targetILNS1_3genE9ELNS1_11target_archE1100ELNS1_3gpuE3ELNS1_3repE0EEENS1_30default_config_static_selectorELNS0_4arch9wavefront6targetE0EEEvT1_,@function
_ZN7rocprim17ROCPRIM_400000_NS6detail17trampoline_kernelINS0_14default_configENS1_27scan_by_key_config_selectorIiiEEZZNS1_16scan_by_key_implILNS1_25lookback_scan_determinismE0ELb0ES3_N6thrust23THRUST_200600_302600_NS6detail15normal_iteratorINS9_10device_ptrIiEEEESE_SE_iNS9_4plusIvEENS9_8equal_toIiEEiEE10hipError_tPvRmT2_T3_T4_T5_mT6_T7_P12ihipStream_tbENKUlT_T0_E_clISt17integral_constantIbLb0EESZ_EEDaSU_SV_EUlSU_E_NS1_11comp_targetILNS1_3genE9ELNS1_11target_archE1100ELNS1_3gpuE3ELNS1_3repE0EEENS1_30default_config_static_selectorELNS0_4arch9wavefront6targetE0EEEvT1_: ; @_ZN7rocprim17ROCPRIM_400000_NS6detail17trampoline_kernelINS0_14default_configENS1_27scan_by_key_config_selectorIiiEEZZNS1_16scan_by_key_implILNS1_25lookback_scan_determinismE0ELb0ES3_N6thrust23THRUST_200600_302600_NS6detail15normal_iteratorINS9_10device_ptrIiEEEESE_SE_iNS9_4plusIvEENS9_8equal_toIiEEiEE10hipError_tPvRmT2_T3_T4_T5_mT6_T7_P12ihipStream_tbENKUlT_T0_E_clISt17integral_constantIbLb0EESZ_EEDaSU_SV_EUlSU_E_NS1_11comp_targetILNS1_3genE9ELNS1_11target_archE1100ELNS1_3gpuE3ELNS1_3repE0EEENS1_30default_config_static_selectorELNS0_4arch9wavefront6targetE0EEEvT1_
; %bb.0:
	.section	.rodata,"a",@progbits
	.p2align	6, 0x0
	.amdhsa_kernel _ZN7rocprim17ROCPRIM_400000_NS6detail17trampoline_kernelINS0_14default_configENS1_27scan_by_key_config_selectorIiiEEZZNS1_16scan_by_key_implILNS1_25lookback_scan_determinismE0ELb0ES3_N6thrust23THRUST_200600_302600_NS6detail15normal_iteratorINS9_10device_ptrIiEEEESE_SE_iNS9_4plusIvEENS9_8equal_toIiEEiEE10hipError_tPvRmT2_T3_T4_T5_mT6_T7_P12ihipStream_tbENKUlT_T0_E_clISt17integral_constantIbLb0EESZ_EEDaSU_SV_EUlSU_E_NS1_11comp_targetILNS1_3genE9ELNS1_11target_archE1100ELNS1_3gpuE3ELNS1_3repE0EEENS1_30default_config_static_selectorELNS0_4arch9wavefront6targetE0EEEvT1_
		.amdhsa_group_segment_fixed_size 0
		.amdhsa_private_segment_fixed_size 0
		.amdhsa_kernarg_size 112
		.amdhsa_user_sgpr_count 6
		.amdhsa_user_sgpr_private_segment_buffer 1
		.amdhsa_user_sgpr_dispatch_ptr 0
		.amdhsa_user_sgpr_queue_ptr 0
		.amdhsa_user_sgpr_kernarg_segment_ptr 1
		.amdhsa_user_sgpr_dispatch_id 0
		.amdhsa_user_sgpr_flat_scratch_init 0
		.amdhsa_user_sgpr_private_segment_size 0
		.amdhsa_wavefront_size32 1
		.amdhsa_uses_dynamic_stack 0
		.amdhsa_system_sgpr_private_segment_wavefront_offset 0
		.amdhsa_system_sgpr_workgroup_id_x 1
		.amdhsa_system_sgpr_workgroup_id_y 0
		.amdhsa_system_sgpr_workgroup_id_z 0
		.amdhsa_system_sgpr_workgroup_info 0
		.amdhsa_system_vgpr_workitem_id 0
		.amdhsa_next_free_vgpr 1
		.amdhsa_next_free_sgpr 1
		.amdhsa_reserve_vcc 0
		.amdhsa_reserve_flat_scratch 0
		.amdhsa_float_round_mode_32 0
		.amdhsa_float_round_mode_16_64 0
		.amdhsa_float_denorm_mode_32 3
		.amdhsa_float_denorm_mode_16_64 3
		.amdhsa_dx10_clamp 1
		.amdhsa_ieee_mode 1
		.amdhsa_fp16_overflow 0
		.amdhsa_workgroup_processor_mode 1
		.amdhsa_memory_ordered 1
		.amdhsa_forward_progress 1
		.amdhsa_shared_vgpr_count 0
		.amdhsa_exception_fp_ieee_invalid_op 0
		.amdhsa_exception_fp_denorm_src 0
		.amdhsa_exception_fp_ieee_div_zero 0
		.amdhsa_exception_fp_ieee_overflow 0
		.amdhsa_exception_fp_ieee_underflow 0
		.amdhsa_exception_fp_ieee_inexact 0
		.amdhsa_exception_int_div_zero 0
	.end_amdhsa_kernel
	.section	.text._ZN7rocprim17ROCPRIM_400000_NS6detail17trampoline_kernelINS0_14default_configENS1_27scan_by_key_config_selectorIiiEEZZNS1_16scan_by_key_implILNS1_25lookback_scan_determinismE0ELb0ES3_N6thrust23THRUST_200600_302600_NS6detail15normal_iteratorINS9_10device_ptrIiEEEESE_SE_iNS9_4plusIvEENS9_8equal_toIiEEiEE10hipError_tPvRmT2_T3_T4_T5_mT6_T7_P12ihipStream_tbENKUlT_T0_E_clISt17integral_constantIbLb0EESZ_EEDaSU_SV_EUlSU_E_NS1_11comp_targetILNS1_3genE9ELNS1_11target_archE1100ELNS1_3gpuE3ELNS1_3repE0EEENS1_30default_config_static_selectorELNS0_4arch9wavefront6targetE0EEEvT1_,"axG",@progbits,_ZN7rocprim17ROCPRIM_400000_NS6detail17trampoline_kernelINS0_14default_configENS1_27scan_by_key_config_selectorIiiEEZZNS1_16scan_by_key_implILNS1_25lookback_scan_determinismE0ELb0ES3_N6thrust23THRUST_200600_302600_NS6detail15normal_iteratorINS9_10device_ptrIiEEEESE_SE_iNS9_4plusIvEENS9_8equal_toIiEEiEE10hipError_tPvRmT2_T3_T4_T5_mT6_T7_P12ihipStream_tbENKUlT_T0_E_clISt17integral_constantIbLb0EESZ_EEDaSU_SV_EUlSU_E_NS1_11comp_targetILNS1_3genE9ELNS1_11target_archE1100ELNS1_3gpuE3ELNS1_3repE0EEENS1_30default_config_static_selectorELNS0_4arch9wavefront6targetE0EEEvT1_,comdat
.Lfunc_end207:
	.size	_ZN7rocprim17ROCPRIM_400000_NS6detail17trampoline_kernelINS0_14default_configENS1_27scan_by_key_config_selectorIiiEEZZNS1_16scan_by_key_implILNS1_25lookback_scan_determinismE0ELb0ES3_N6thrust23THRUST_200600_302600_NS6detail15normal_iteratorINS9_10device_ptrIiEEEESE_SE_iNS9_4plusIvEENS9_8equal_toIiEEiEE10hipError_tPvRmT2_T3_T4_T5_mT6_T7_P12ihipStream_tbENKUlT_T0_E_clISt17integral_constantIbLb0EESZ_EEDaSU_SV_EUlSU_E_NS1_11comp_targetILNS1_3genE9ELNS1_11target_archE1100ELNS1_3gpuE3ELNS1_3repE0EEENS1_30default_config_static_selectorELNS0_4arch9wavefront6targetE0EEEvT1_, .Lfunc_end207-_ZN7rocprim17ROCPRIM_400000_NS6detail17trampoline_kernelINS0_14default_configENS1_27scan_by_key_config_selectorIiiEEZZNS1_16scan_by_key_implILNS1_25lookback_scan_determinismE0ELb0ES3_N6thrust23THRUST_200600_302600_NS6detail15normal_iteratorINS9_10device_ptrIiEEEESE_SE_iNS9_4plusIvEENS9_8equal_toIiEEiEE10hipError_tPvRmT2_T3_T4_T5_mT6_T7_P12ihipStream_tbENKUlT_T0_E_clISt17integral_constantIbLb0EESZ_EEDaSU_SV_EUlSU_E_NS1_11comp_targetILNS1_3genE9ELNS1_11target_archE1100ELNS1_3gpuE3ELNS1_3repE0EEENS1_30default_config_static_selectorELNS0_4arch9wavefront6targetE0EEEvT1_
                                        ; -- End function
	.set _ZN7rocprim17ROCPRIM_400000_NS6detail17trampoline_kernelINS0_14default_configENS1_27scan_by_key_config_selectorIiiEEZZNS1_16scan_by_key_implILNS1_25lookback_scan_determinismE0ELb0ES3_N6thrust23THRUST_200600_302600_NS6detail15normal_iteratorINS9_10device_ptrIiEEEESE_SE_iNS9_4plusIvEENS9_8equal_toIiEEiEE10hipError_tPvRmT2_T3_T4_T5_mT6_T7_P12ihipStream_tbENKUlT_T0_E_clISt17integral_constantIbLb0EESZ_EEDaSU_SV_EUlSU_E_NS1_11comp_targetILNS1_3genE9ELNS1_11target_archE1100ELNS1_3gpuE3ELNS1_3repE0EEENS1_30default_config_static_selectorELNS0_4arch9wavefront6targetE0EEEvT1_.num_vgpr, 0
	.set _ZN7rocprim17ROCPRIM_400000_NS6detail17trampoline_kernelINS0_14default_configENS1_27scan_by_key_config_selectorIiiEEZZNS1_16scan_by_key_implILNS1_25lookback_scan_determinismE0ELb0ES3_N6thrust23THRUST_200600_302600_NS6detail15normal_iteratorINS9_10device_ptrIiEEEESE_SE_iNS9_4plusIvEENS9_8equal_toIiEEiEE10hipError_tPvRmT2_T3_T4_T5_mT6_T7_P12ihipStream_tbENKUlT_T0_E_clISt17integral_constantIbLb0EESZ_EEDaSU_SV_EUlSU_E_NS1_11comp_targetILNS1_3genE9ELNS1_11target_archE1100ELNS1_3gpuE3ELNS1_3repE0EEENS1_30default_config_static_selectorELNS0_4arch9wavefront6targetE0EEEvT1_.num_agpr, 0
	.set _ZN7rocprim17ROCPRIM_400000_NS6detail17trampoline_kernelINS0_14default_configENS1_27scan_by_key_config_selectorIiiEEZZNS1_16scan_by_key_implILNS1_25lookback_scan_determinismE0ELb0ES3_N6thrust23THRUST_200600_302600_NS6detail15normal_iteratorINS9_10device_ptrIiEEEESE_SE_iNS9_4plusIvEENS9_8equal_toIiEEiEE10hipError_tPvRmT2_T3_T4_T5_mT6_T7_P12ihipStream_tbENKUlT_T0_E_clISt17integral_constantIbLb0EESZ_EEDaSU_SV_EUlSU_E_NS1_11comp_targetILNS1_3genE9ELNS1_11target_archE1100ELNS1_3gpuE3ELNS1_3repE0EEENS1_30default_config_static_selectorELNS0_4arch9wavefront6targetE0EEEvT1_.numbered_sgpr, 0
	.set _ZN7rocprim17ROCPRIM_400000_NS6detail17trampoline_kernelINS0_14default_configENS1_27scan_by_key_config_selectorIiiEEZZNS1_16scan_by_key_implILNS1_25lookback_scan_determinismE0ELb0ES3_N6thrust23THRUST_200600_302600_NS6detail15normal_iteratorINS9_10device_ptrIiEEEESE_SE_iNS9_4plusIvEENS9_8equal_toIiEEiEE10hipError_tPvRmT2_T3_T4_T5_mT6_T7_P12ihipStream_tbENKUlT_T0_E_clISt17integral_constantIbLb0EESZ_EEDaSU_SV_EUlSU_E_NS1_11comp_targetILNS1_3genE9ELNS1_11target_archE1100ELNS1_3gpuE3ELNS1_3repE0EEENS1_30default_config_static_selectorELNS0_4arch9wavefront6targetE0EEEvT1_.num_named_barrier, 0
	.set _ZN7rocprim17ROCPRIM_400000_NS6detail17trampoline_kernelINS0_14default_configENS1_27scan_by_key_config_selectorIiiEEZZNS1_16scan_by_key_implILNS1_25lookback_scan_determinismE0ELb0ES3_N6thrust23THRUST_200600_302600_NS6detail15normal_iteratorINS9_10device_ptrIiEEEESE_SE_iNS9_4plusIvEENS9_8equal_toIiEEiEE10hipError_tPvRmT2_T3_T4_T5_mT6_T7_P12ihipStream_tbENKUlT_T0_E_clISt17integral_constantIbLb0EESZ_EEDaSU_SV_EUlSU_E_NS1_11comp_targetILNS1_3genE9ELNS1_11target_archE1100ELNS1_3gpuE3ELNS1_3repE0EEENS1_30default_config_static_selectorELNS0_4arch9wavefront6targetE0EEEvT1_.private_seg_size, 0
	.set _ZN7rocprim17ROCPRIM_400000_NS6detail17trampoline_kernelINS0_14default_configENS1_27scan_by_key_config_selectorIiiEEZZNS1_16scan_by_key_implILNS1_25lookback_scan_determinismE0ELb0ES3_N6thrust23THRUST_200600_302600_NS6detail15normal_iteratorINS9_10device_ptrIiEEEESE_SE_iNS9_4plusIvEENS9_8equal_toIiEEiEE10hipError_tPvRmT2_T3_T4_T5_mT6_T7_P12ihipStream_tbENKUlT_T0_E_clISt17integral_constantIbLb0EESZ_EEDaSU_SV_EUlSU_E_NS1_11comp_targetILNS1_3genE9ELNS1_11target_archE1100ELNS1_3gpuE3ELNS1_3repE0EEENS1_30default_config_static_selectorELNS0_4arch9wavefront6targetE0EEEvT1_.uses_vcc, 0
	.set _ZN7rocprim17ROCPRIM_400000_NS6detail17trampoline_kernelINS0_14default_configENS1_27scan_by_key_config_selectorIiiEEZZNS1_16scan_by_key_implILNS1_25lookback_scan_determinismE0ELb0ES3_N6thrust23THRUST_200600_302600_NS6detail15normal_iteratorINS9_10device_ptrIiEEEESE_SE_iNS9_4plusIvEENS9_8equal_toIiEEiEE10hipError_tPvRmT2_T3_T4_T5_mT6_T7_P12ihipStream_tbENKUlT_T0_E_clISt17integral_constantIbLb0EESZ_EEDaSU_SV_EUlSU_E_NS1_11comp_targetILNS1_3genE9ELNS1_11target_archE1100ELNS1_3gpuE3ELNS1_3repE0EEENS1_30default_config_static_selectorELNS0_4arch9wavefront6targetE0EEEvT1_.uses_flat_scratch, 0
	.set _ZN7rocprim17ROCPRIM_400000_NS6detail17trampoline_kernelINS0_14default_configENS1_27scan_by_key_config_selectorIiiEEZZNS1_16scan_by_key_implILNS1_25lookback_scan_determinismE0ELb0ES3_N6thrust23THRUST_200600_302600_NS6detail15normal_iteratorINS9_10device_ptrIiEEEESE_SE_iNS9_4plusIvEENS9_8equal_toIiEEiEE10hipError_tPvRmT2_T3_T4_T5_mT6_T7_P12ihipStream_tbENKUlT_T0_E_clISt17integral_constantIbLb0EESZ_EEDaSU_SV_EUlSU_E_NS1_11comp_targetILNS1_3genE9ELNS1_11target_archE1100ELNS1_3gpuE3ELNS1_3repE0EEENS1_30default_config_static_selectorELNS0_4arch9wavefront6targetE0EEEvT1_.has_dyn_sized_stack, 0
	.set _ZN7rocprim17ROCPRIM_400000_NS6detail17trampoline_kernelINS0_14default_configENS1_27scan_by_key_config_selectorIiiEEZZNS1_16scan_by_key_implILNS1_25lookback_scan_determinismE0ELb0ES3_N6thrust23THRUST_200600_302600_NS6detail15normal_iteratorINS9_10device_ptrIiEEEESE_SE_iNS9_4plusIvEENS9_8equal_toIiEEiEE10hipError_tPvRmT2_T3_T4_T5_mT6_T7_P12ihipStream_tbENKUlT_T0_E_clISt17integral_constantIbLb0EESZ_EEDaSU_SV_EUlSU_E_NS1_11comp_targetILNS1_3genE9ELNS1_11target_archE1100ELNS1_3gpuE3ELNS1_3repE0EEENS1_30default_config_static_selectorELNS0_4arch9wavefront6targetE0EEEvT1_.has_recursion, 0
	.set _ZN7rocprim17ROCPRIM_400000_NS6detail17trampoline_kernelINS0_14default_configENS1_27scan_by_key_config_selectorIiiEEZZNS1_16scan_by_key_implILNS1_25lookback_scan_determinismE0ELb0ES3_N6thrust23THRUST_200600_302600_NS6detail15normal_iteratorINS9_10device_ptrIiEEEESE_SE_iNS9_4plusIvEENS9_8equal_toIiEEiEE10hipError_tPvRmT2_T3_T4_T5_mT6_T7_P12ihipStream_tbENKUlT_T0_E_clISt17integral_constantIbLb0EESZ_EEDaSU_SV_EUlSU_E_NS1_11comp_targetILNS1_3genE9ELNS1_11target_archE1100ELNS1_3gpuE3ELNS1_3repE0EEENS1_30default_config_static_selectorELNS0_4arch9wavefront6targetE0EEEvT1_.has_indirect_call, 0
	.section	.AMDGPU.csdata,"",@progbits
; Kernel info:
; codeLenInByte = 0
; TotalNumSgprs: 0
; NumVgprs: 0
; ScratchSize: 0
; MemoryBound: 0
; FloatMode: 240
; IeeeMode: 1
; LDSByteSize: 0 bytes/workgroup (compile time only)
; SGPRBlocks: 0
; VGPRBlocks: 0
; NumSGPRsForWavesPerEU: 1
; NumVGPRsForWavesPerEU: 1
; Occupancy: 16
; WaveLimiterHint : 0
; COMPUTE_PGM_RSRC2:SCRATCH_EN: 0
; COMPUTE_PGM_RSRC2:USER_SGPR: 6
; COMPUTE_PGM_RSRC2:TRAP_HANDLER: 0
; COMPUTE_PGM_RSRC2:TGID_X_EN: 1
; COMPUTE_PGM_RSRC2:TGID_Y_EN: 0
; COMPUTE_PGM_RSRC2:TGID_Z_EN: 0
; COMPUTE_PGM_RSRC2:TIDIG_COMP_CNT: 0
	.section	.text._ZN7rocprim17ROCPRIM_400000_NS6detail17trampoline_kernelINS0_14default_configENS1_27scan_by_key_config_selectorIiiEEZZNS1_16scan_by_key_implILNS1_25lookback_scan_determinismE0ELb0ES3_N6thrust23THRUST_200600_302600_NS6detail15normal_iteratorINS9_10device_ptrIiEEEESE_SE_iNS9_4plusIvEENS9_8equal_toIiEEiEE10hipError_tPvRmT2_T3_T4_T5_mT6_T7_P12ihipStream_tbENKUlT_T0_E_clISt17integral_constantIbLb0EESZ_EEDaSU_SV_EUlSU_E_NS1_11comp_targetILNS1_3genE8ELNS1_11target_archE1030ELNS1_3gpuE2ELNS1_3repE0EEENS1_30default_config_static_selectorELNS0_4arch9wavefront6targetE0EEEvT1_,"axG",@progbits,_ZN7rocprim17ROCPRIM_400000_NS6detail17trampoline_kernelINS0_14default_configENS1_27scan_by_key_config_selectorIiiEEZZNS1_16scan_by_key_implILNS1_25lookback_scan_determinismE0ELb0ES3_N6thrust23THRUST_200600_302600_NS6detail15normal_iteratorINS9_10device_ptrIiEEEESE_SE_iNS9_4plusIvEENS9_8equal_toIiEEiEE10hipError_tPvRmT2_T3_T4_T5_mT6_T7_P12ihipStream_tbENKUlT_T0_E_clISt17integral_constantIbLb0EESZ_EEDaSU_SV_EUlSU_E_NS1_11comp_targetILNS1_3genE8ELNS1_11target_archE1030ELNS1_3gpuE2ELNS1_3repE0EEENS1_30default_config_static_selectorELNS0_4arch9wavefront6targetE0EEEvT1_,comdat
	.protected	_ZN7rocprim17ROCPRIM_400000_NS6detail17trampoline_kernelINS0_14default_configENS1_27scan_by_key_config_selectorIiiEEZZNS1_16scan_by_key_implILNS1_25lookback_scan_determinismE0ELb0ES3_N6thrust23THRUST_200600_302600_NS6detail15normal_iteratorINS9_10device_ptrIiEEEESE_SE_iNS9_4plusIvEENS9_8equal_toIiEEiEE10hipError_tPvRmT2_T3_T4_T5_mT6_T7_P12ihipStream_tbENKUlT_T0_E_clISt17integral_constantIbLb0EESZ_EEDaSU_SV_EUlSU_E_NS1_11comp_targetILNS1_3genE8ELNS1_11target_archE1030ELNS1_3gpuE2ELNS1_3repE0EEENS1_30default_config_static_selectorELNS0_4arch9wavefront6targetE0EEEvT1_ ; -- Begin function _ZN7rocprim17ROCPRIM_400000_NS6detail17trampoline_kernelINS0_14default_configENS1_27scan_by_key_config_selectorIiiEEZZNS1_16scan_by_key_implILNS1_25lookback_scan_determinismE0ELb0ES3_N6thrust23THRUST_200600_302600_NS6detail15normal_iteratorINS9_10device_ptrIiEEEESE_SE_iNS9_4plusIvEENS9_8equal_toIiEEiEE10hipError_tPvRmT2_T3_T4_T5_mT6_T7_P12ihipStream_tbENKUlT_T0_E_clISt17integral_constantIbLb0EESZ_EEDaSU_SV_EUlSU_E_NS1_11comp_targetILNS1_3genE8ELNS1_11target_archE1030ELNS1_3gpuE2ELNS1_3repE0EEENS1_30default_config_static_selectorELNS0_4arch9wavefront6targetE0EEEvT1_
	.globl	_ZN7rocprim17ROCPRIM_400000_NS6detail17trampoline_kernelINS0_14default_configENS1_27scan_by_key_config_selectorIiiEEZZNS1_16scan_by_key_implILNS1_25lookback_scan_determinismE0ELb0ES3_N6thrust23THRUST_200600_302600_NS6detail15normal_iteratorINS9_10device_ptrIiEEEESE_SE_iNS9_4plusIvEENS9_8equal_toIiEEiEE10hipError_tPvRmT2_T3_T4_T5_mT6_T7_P12ihipStream_tbENKUlT_T0_E_clISt17integral_constantIbLb0EESZ_EEDaSU_SV_EUlSU_E_NS1_11comp_targetILNS1_3genE8ELNS1_11target_archE1030ELNS1_3gpuE2ELNS1_3repE0EEENS1_30default_config_static_selectorELNS0_4arch9wavefront6targetE0EEEvT1_
	.p2align	8
	.type	_ZN7rocprim17ROCPRIM_400000_NS6detail17trampoline_kernelINS0_14default_configENS1_27scan_by_key_config_selectorIiiEEZZNS1_16scan_by_key_implILNS1_25lookback_scan_determinismE0ELb0ES3_N6thrust23THRUST_200600_302600_NS6detail15normal_iteratorINS9_10device_ptrIiEEEESE_SE_iNS9_4plusIvEENS9_8equal_toIiEEiEE10hipError_tPvRmT2_T3_T4_T5_mT6_T7_P12ihipStream_tbENKUlT_T0_E_clISt17integral_constantIbLb0EESZ_EEDaSU_SV_EUlSU_E_NS1_11comp_targetILNS1_3genE8ELNS1_11target_archE1030ELNS1_3gpuE2ELNS1_3repE0EEENS1_30default_config_static_selectorELNS0_4arch9wavefront6targetE0EEEvT1_,@function
_ZN7rocprim17ROCPRIM_400000_NS6detail17trampoline_kernelINS0_14default_configENS1_27scan_by_key_config_selectorIiiEEZZNS1_16scan_by_key_implILNS1_25lookback_scan_determinismE0ELb0ES3_N6thrust23THRUST_200600_302600_NS6detail15normal_iteratorINS9_10device_ptrIiEEEESE_SE_iNS9_4plusIvEENS9_8equal_toIiEEiEE10hipError_tPvRmT2_T3_T4_T5_mT6_T7_P12ihipStream_tbENKUlT_T0_E_clISt17integral_constantIbLb0EESZ_EEDaSU_SV_EUlSU_E_NS1_11comp_targetILNS1_3genE8ELNS1_11target_archE1030ELNS1_3gpuE2ELNS1_3repE0EEENS1_30default_config_static_selectorELNS0_4arch9wavefront6targetE0EEEvT1_: ; @_ZN7rocprim17ROCPRIM_400000_NS6detail17trampoline_kernelINS0_14default_configENS1_27scan_by_key_config_selectorIiiEEZZNS1_16scan_by_key_implILNS1_25lookback_scan_determinismE0ELb0ES3_N6thrust23THRUST_200600_302600_NS6detail15normal_iteratorINS9_10device_ptrIiEEEESE_SE_iNS9_4plusIvEENS9_8equal_toIiEEiEE10hipError_tPvRmT2_T3_T4_T5_mT6_T7_P12ihipStream_tbENKUlT_T0_E_clISt17integral_constantIbLb0EESZ_EEDaSU_SV_EUlSU_E_NS1_11comp_targetILNS1_3genE8ELNS1_11target_archE1030ELNS1_3gpuE2ELNS1_3repE0EEENS1_30default_config_static_selectorELNS0_4arch9wavefront6targetE0EEEvT1_
; %bb.0:
	s_clause 0x4
	s_load_dwordx8 s[8:15], s[4:5], 0x0
	s_load_dwordx2 s[28:29], s[4:5], 0x38
	s_load_dword s2, s[4:5], 0x40
	s_load_dwordx8 s[16:23], s[4:5], 0x48
	s_load_dwordx4 s[24:27], s[4:5], 0x28
	s_mov_b32 s1, 0
	s_waitcnt lgkmcnt(0)
	s_barrier
	buffer_gl0_inv
	s_lshl_b64 s[10:11], s[10:11], 2
	s_add_u32 s4, s8, s10
	s_mul_i32 s0, s29, s2
	s_mul_hi_u32 s3, s28, s2
	s_addc_u32 s5, s9, s11
	s_add_u32 s7, s12, s10
	s_addc_u32 s12, s13, s11
	s_add_i32 s13, s3, s0
	s_cmp_lg_u64 s[20:21], 0
	s_mul_i32 s0, s6, 0x300
	s_cselect_b32 s27, -1, 0
	s_lshl_b64 s[8:9], s[0:1], 2
	s_mul_i32 s0, s28, s2
	s_add_u32 s4, s4, s8
	s_addc_u32 s5, s5, s9
	s_add_u32 s3, s7, s8
	s_addc_u32 s21, s12, s9
	;; [unrolled: 2-line block ×3, first 2 shown]
	s_add_u32 s16, s16, -1
	s_addc_u32 s17, s17, -1
	s_mul_i32 s20, s16, 0xfffffd00
	v_cmp_ge_u64_e64 s7, s[12:13], s[16:17]
	s_and_b32 vcc_lo, exec_lo, s7
	s_cbranch_vccz .LBB208_22
; %bb.1:
	v_mov_b32_e32 v1, s4
	v_mov_b32_e32 v2, s5
	s_add_i32 s30, s20, s26
	v_cmp_gt_u32_e64 s0, s30, v0
	flat_load_dword v2, v[1:2]
	s_waitcnt vmcnt(0) lgkmcnt(0)
	v_mov_b32_e32 v3, v2
	s_and_saveexec_b32 s1, s0
	s_cbranch_execz .LBB208_3
; %bb.2:
	v_lshlrev_b32_e32 v1, 2, v0
	v_add_co_u32 v3, s2, s4, v1
	v_add_co_ci_u32_e64 v4, null, s5, 0, s2
	flat_load_dword v3, v[3:4]
.LBB208_3:
	s_or_b32 exec_lo, exec_lo, s1
	v_or_b32_e32 v1, 0x100, v0
	v_mov_b32_e32 v4, v2
	v_cmp_gt_u32_e64 s1, s30, v1
	s_and_saveexec_b32 s2, s1
	s_cbranch_execz .LBB208_5
; %bb.4:
	v_lshlrev_b32_e32 v1, 2, v0
	v_add_co_u32 v4, s16, s4, v1
	v_add_co_ci_u32_e64 v5, null, s5, 0, s16
	flat_load_dword v4, v[4:5] offset:1024
.LBB208_5:
	s_or_b32 exec_lo, exec_lo, s2
	v_or_b32_e32 v1, 0x200, v0
	v_cmp_gt_u32_e64 s2, s30, v1
	v_lshlrev_b32_e32 v8, 2, v1
	s_and_saveexec_b32 s16, s2
	s_cbranch_execz .LBB208_7
; %bb.6:
	v_add_co_u32 v1, s17, s4, v8
	v_add_co_ci_u32_e64 v2, null, s5, 0, s17
	flat_load_dword v2, v[1:2]
.LBB208_7:
	s_or_b32 exec_lo, exec_lo, s16
	v_lshlrev_b32_e32 v9, 2, v0
	v_lshlrev_b32_e32 v1, 3, v0
	s_cmp_eq_u64 s[12:13], 0
	s_mov_b64 s[16:17], s[4:5]
	s_waitcnt vmcnt(0) lgkmcnt(0)
	ds_write2st64_b32 v9, v3, v4 offset1:4
	v_add_nc_u32_e32 v7, v9, v1
	ds_write_b32 v9, v2 offset:2048
	s_waitcnt lgkmcnt(0)
	s_barrier
	buffer_gl0_inv
	ds_read2_b32 v[4:5], v7 offset1:1
	ds_read_b32 v6, v7 offset:8
	s_cbranch_scc1 .LBB208_11
; %bb.8:
	s_andn2_b32 vcc_lo, exec_lo, s27
	s_cbranch_vccnz .LBB208_101
; %bb.9:
	s_lshl_b64 s[16:17], s[12:13], 2
	s_add_u32 s16, s22, s16
	s_addc_u32 s17, s23, s17
	s_add_u32 s16, s16, -4
	s_addc_u32 s17, s17, -1
	s_cbranch_execnz .LBB208_11
.LBB208_10:
	s_add_u32 s16, s4, -4
	s_addc_u32 s17, s5, -1
.LBB208_11:
	v_mov_b32_e32 v2, s16
	v_mov_b32_e32 v3, s17
	s_mov_b32 s16, exec_lo
	flat_load_dword v13, v[2:3]
	v_sub_nc_u32_e32 v2, v7, v1
	s_waitcnt lgkmcnt(1)
	ds_write_b32 v2, v6 offset:3072
	s_waitcnt vmcnt(0) lgkmcnt(0)
	s_barrier
	buffer_gl0_inv
	v_cmpx_ne_u32_e32 0, v0
; %bb.12:
	v_sub_nc_u32_e32 v1, 0, v1
	v_add_nc_u32_e32 v1, v7, v1
	ds_read_b32 v13, v1 offset:3068
; %bb.13:
	s_or_b32 exec_lo, exec_lo, s16
	v_mov_b32_e32 v1, 0
	s_waitcnt lgkmcnt(0)
	s_barrier
	buffer_gl0_inv
	v_mov_b32_e32 v2, v1
	v_mov_b32_e32 v3, v1
	s_and_saveexec_b32 s16, s0
	s_cbranch_execnz .LBB208_99
; %bb.14:
	s_or_b32 exec_lo, exec_lo, s16
	s_and_saveexec_b32 s0, s1
	s_cbranch_execnz .LBB208_100
.LBB208_15:
	s_or_b32 exec_lo, exec_lo, s0
	s_and_saveexec_b32 s0, s2
	s_cbranch_execz .LBB208_17
.LBB208_16:
	v_add_co_u32 v10, s1, s3, v8
	v_add_co_ci_u32_e64 v11, null, s21, 0, s1
	flat_load_dword v3, v[10:11]
.LBB208_17:
	s_or_b32 exec_lo, exec_lo, s0
	s_waitcnt vmcnt(0) lgkmcnt(0)
	ds_write2st64_b32 v9, v1, v2 offset1:4
	ds_write_b32 v9, v3 offset:2048
	v_mov_b32_e32 v9, 0
	v_mov_b32_e32 v11, 0
	v_mul_u32_u24_e32 v8, 3, v0
	v_mov_b32_e32 v10, 0
	v_mov_b32_e32 v12, 0
	s_mov_b32 s16, 0
	s_mov_b32 s1, 0
	s_mov_b32 s17, exec_lo
	s_waitcnt lgkmcnt(0)
	s_barrier
	buffer_gl0_inv
                                        ; implicit-def: $sgpr2
                                        ; implicit-def: $vgpr2
	v_cmpx_gt_u32_e64 s30, v8
	s_cbranch_execz .LBB208_21
; %bb.18:
	ds_read_b32 v9, v7
	v_cmp_ne_u32_e32 vcc_lo, v13, v4
	v_mov_b32_e32 v11, 0
	v_add_nc_u32_e32 v1, 1, v8
	v_mov_b32_e32 v12, 0
	s_mov_b32 s0, 0
	v_cndmask_b32_e64 v10, 0, 1, vcc_lo
	s_mov_b32 s1, exec_lo
                                        ; implicit-def: $sgpr2
                                        ; implicit-def: $vgpr2
	v_cmpx_gt_u32_e64 s30, v1
	s_xor_b32 s1, exec_lo, s1
	s_cbranch_execz .LBB208_20
; %bb.19:
	ds_read2_b32 v[1:2], v7 offset0:1 offset1:2
	v_add_nc_u32_e32 v3, 2, v8
	v_cmp_ne_u32_e64 s0, v4, v5
	v_cmp_ne_u32_e64 s2, v5, v6
	v_cmp_gt_u32_e32 vcc_lo, s30, v3
	v_cndmask_b32_e64 v12, 0, 1, s0
	s_and_b32 s0, vcc_lo, exec_lo
	s_waitcnt lgkmcnt(0)
	v_mov_b32_e32 v11, v1
.LBB208_20:
	s_or_b32 exec_lo, exec_lo, s1
	s_and_b32 s1, s0, exec_lo
.LBB208_21:
	s_or_b32 exec_lo, exec_lo, s17
	v_lshlrev_b32_e32 v18, 2, v0
	v_lshlrev_b32_e32 v19, 3, v0
	s_and_b32 vcc_lo, exec_lo, s16
	s_cbranch_vccnz .LBB208_23
	s_branch .LBB208_31
.LBB208_22:
                                        ; implicit-def: $sgpr2
                                        ; implicit-def: $vgpr2
                                        ; implicit-def: $vgpr9_vgpr10
                                        ; implicit-def: $vgpr11_vgpr12
	v_lshlrev_b32_e32 v18, 2, v0
	v_lshlrev_b32_e32 v19, 3, v0
	s_cbranch_execz .LBB208_31
.LBB208_23:
	v_add_co_u32 v1, s0, s4, v18
	v_add_co_ci_u32_e64 v2, null, s5, 0, s0
	s_cmp_eq_u64 s[12:13], 0
	v_add_co_u32 v3, vcc_lo, 0x800, v1
	v_add_co_ci_u32_e64 v4, null, 0, v2, vcc_lo
	s_clause 0x2
	flat_load_dword v5, v[1:2]
	flat_load_dword v2, v[1:2] offset:1024
	flat_load_dword v3, v[3:4]
	v_add_nc_u32_e32 v1, v18, v19
	s_waitcnt vmcnt(1) lgkmcnt(1)
	ds_write2st64_b32 v18, v5, v2 offset1:4
	s_waitcnt vmcnt(0) lgkmcnt(1)
	ds_write_b32 v18, v3 offset:2048
	s_waitcnt lgkmcnt(0)
	s_barrier
	buffer_gl0_inv
	ds_read2_b32 v[3:4], v1 offset1:1
	ds_read_b32 v5, v1 offset:8
	s_cbranch_scc1 .LBB208_28
; %bb.24:
	s_andn2_b32 vcc_lo, exec_lo, s27
	s_cbranch_vccnz .LBB208_102
; %bb.25:
	s_lshl_b64 s[0:1], s[12:13], 2
	s_add_u32 s0, s22, s0
	s_addc_u32 s1, s23, s1
	s_add_u32 s0, s0, -4
	s_addc_u32 s1, s1, -1
	s_cbranch_execnz .LBB208_27
.LBB208_26:
	s_add_u32 s0, s4, -4
	s_addc_u32 s1, s5, -1
.LBB208_27:
	s_mov_b64 s[4:5], s[0:1]
.LBB208_28:
	v_mov_b32_e32 v7, s5
	v_mov_b32_e32 v6, s4
	v_sub_nc_u32_e32 v2, v1, v19
	s_mov_b32 s0, exec_lo
	flat_load_dword v6, v[6:7]
	s_waitcnt lgkmcnt(1)
	ds_write_b32 v2, v5 offset:3072
	s_waitcnt vmcnt(0) lgkmcnt(0)
	s_barrier
	buffer_gl0_inv
	v_cmpx_ne_u32_e32 0, v0
; %bb.29:
	v_sub_nc_u32_e32 v2, 0, v19
	v_add_nc_u32_e32 v2, v1, v2
	ds_read_b32 v6, v2 offset:3068
; %bb.30:
	s_or_b32 exec_lo, exec_lo, s0
	v_add_co_u32 v7, s0, s3, v18
	v_add_co_ci_u32_e64 v8, null, s21, 0, s0
	s_waitcnt lgkmcnt(0)
	v_add_co_u32 v9, vcc_lo, 0x800, v7
	v_add_co_ci_u32_e64 v10, null, 0, v8, vcc_lo
	s_barrier
	buffer_gl0_inv
	s_clause 0x2
	flat_load_dword v2, v[7:8]
	flat_load_dword v7, v[7:8] offset:1024
	flat_load_dword v8, v[9:10]
	v_cmp_ne_u32_e32 vcc_lo, v6, v3
	v_cmp_ne_u32_e64 s2, v4, v5
	s_mov_b32 s1, -1
	s_waitcnt vmcnt(1) lgkmcnt(1)
	ds_write2st64_b32 v18, v2, v7 offset1:4
	s_waitcnt vmcnt(0) lgkmcnt(1)
	ds_write_b32 v18, v8 offset:2048
	s_waitcnt lgkmcnt(0)
	s_barrier
	buffer_gl0_inv
	ds_read2_b32 v[7:8], v1 offset1:1
	ds_read_b32 v2, v1 offset:8
	v_cndmask_b32_e64 v10, 0, 1, vcc_lo
	v_cmp_ne_u32_e32 vcc_lo, v3, v4
	v_cndmask_b32_e64 v12, 0, 1, vcc_lo
	s_waitcnt lgkmcnt(1)
	v_mov_b32_e32 v9, v7
	v_mov_b32_e32 v11, v8
.LBB208_31:
	v_mov_b32_e32 v13, 0
	v_mov_b32_e32 v14, 0
	s_and_saveexec_b32 s0, s1
	s_cbranch_execz .LBB208_33
; %bb.32:
	v_cndmask_b32_e64 v14, 0, 1, s2
	s_waitcnt lgkmcnt(0)
	v_mov_b32_e32 v13, v2
.LBB208_33:
	s_or_b32 exec_lo, exec_lo, s0
	v_or_b32_e32 v23, v12, v14
	v_mbcnt_lo_u32_b32 v20, -1, 0
	v_lshrrev_b32_e32 v21, 5, v0
	v_or_b32_e32 v22, 31, v0
	s_cmp_lg_u32 s6, 0
	s_mov_b32 s2, 0
	s_waitcnt lgkmcnt(0)
	s_barrier
	buffer_gl0_inv
	s_cbranch_scc0 .LBB208_59
; %bb.34:
	v_and_b32_e32 v2, 0xff, v23
	v_mov_b32_e32 v1, 0
	s_mov_b32 s3, 1
	v_and_b32_e32 v8, 15, v20
	v_cmp_gt_u64_e64 s0, s[2:3], v[11:12]
	v_cmp_gt_u64_e64 s1, s[2:3], v[13:14]
	v_cmp_eq_u64_e32 vcc_lo, 0, v[1:2]
	v_cndmask_b32_e64 v3, 0, v9, s0
	v_cndmask_b32_e32 v2, 1, v10, vcc_lo
	v_add_nc_u32_e32 v3, v3, v11
	v_and_b32_e32 v4, 0xff, v2
	v_and_b32_e32 v6, 1, v2
	v_cndmask_b32_e64 v3, 0, v3, s1
	v_mov_b32_dpp v5, v4 row_shr:1 row_mask:0xf bank_mask:0xf
	v_cmp_eq_u32_e32 vcc_lo, 1, v6
	v_add_nc_u32_e32 v3, v3, v13
	v_and_b32_e32 v5, 1, v5
	v_mov_b32_dpp v7, v3 row_shr:1 row_mask:0xf bank_mask:0xf
	v_cndmask_b32_e64 v5, v5, 1, vcc_lo
	v_cmp_eq_u16_e32 vcc_lo, 0, v4
	v_cndmask_b32_e32 v6, 0, v7, vcc_lo
	v_cmp_eq_u32_e32 vcc_lo, 0, v8
	v_cndmask_b32_e32 v4, v5, v4, vcc_lo
	v_cndmask_b32_e32 v2, v5, v2, vcc_lo
	v_cndmask_b32_e64 v6, v6, 0, vcc_lo
	v_mov_b32_dpp v5, v4 row_shr:2 row_mask:0xf bank_mask:0xf
	v_and_b32_e32 v7, 1, v2
	v_add_nc_u32_e32 v3, v6, v3
	v_cmp_eq_u16_sdwa s2, v2, v1 src0_sel:BYTE_0 src1_sel:DWORD
	v_and_b32_e32 v5, 1, v5
	v_cmp_eq_u32_e32 vcc_lo, 1, v7
	v_cndmask_b32_e64 v5, v5, 1, vcc_lo
	v_cmp_lt_u32_e32 vcc_lo, 1, v8
	v_cndmask_b32_e32 v7, v2, v5, vcc_lo
	v_cndmask_b32_e32 v4, v4, v5, vcc_lo
	v_mov_b32_dpp v2, v3 row_shr:2 row_mask:0xf bank_mask:0xf
	s_and_b32 vcc_lo, vcc_lo, s2
	v_and_b32_e32 v6, 1, v7
	v_mov_b32_dpp v5, v4 row_shr:4 row_mask:0xf bank_mask:0xf
	v_cndmask_b32_e32 v2, 0, v2, vcc_lo
	v_cmp_eq_u16_sdwa s2, v7, v1 src0_sel:BYTE_0 src1_sel:DWORD
	v_cmp_eq_u32_e32 vcc_lo, 1, v6
	v_and_b32_e32 v5, 1, v5
	v_add_nc_u32_e32 v2, v2, v3
	v_cndmask_b32_e64 v5, v5, 1, vcc_lo
	v_cmp_lt_u32_e32 vcc_lo, 3, v8
	v_cndmask_b32_e32 v3, v7, v5, vcc_lo
	v_cndmask_b32_e32 v4, v4, v5, vcc_lo
	v_mov_b32_dpp v5, v2 row_shr:4 row_mask:0xf bank_mask:0xf
	s_and_b32 vcc_lo, vcc_lo, s2
	v_and_b32_e32 v7, 1, v3
	v_mov_b32_dpp v6, v4 row_shr:8 row_mask:0xf bank_mask:0xf
	v_cndmask_b32_e32 v5, 0, v5, vcc_lo
	v_cmp_eq_u16_sdwa s2, v3, v1 src0_sel:BYTE_0 src1_sel:DWORD
	v_cmp_eq_u32_e32 vcc_lo, 1, v7
	v_and_b32_e32 v6, 1, v6
	v_add_nc_u32_e32 v2, v5, v2
	v_bfe_i32 v7, v20, 4, 1
	v_cndmask_b32_e64 v5, v6, 1, vcc_lo
	v_cmp_lt_u32_e32 vcc_lo, 7, v8
	v_mov_b32_dpp v6, v2 row_shr:8 row_mask:0xf bank_mask:0xf
	s_and_b32 s2, vcc_lo, s2
	v_cndmask_b32_e32 v4, v4, v5, vcc_lo
	v_cndmask_b32_e64 v6, 0, v6, s2
	v_cndmask_b32_e32 v3, v3, v5, vcc_lo
	ds_swizzle_b32 v5, v4 offset:swizzle(BROADCAST,32,15)
	v_add_nc_u32_e32 v2, v6, v2
	v_and_b32_e32 v8, 1, v3
	v_cmp_eq_u16_sdwa vcc_lo, v3, v1 src0_sel:BYTE_0 src1_sel:DWORD
	v_and_b32_e32 v3, 16, v20
	ds_swizzle_b32 v6, v2 offset:swizzle(BROADCAST,32,15)
	v_cmp_eq_u32_e64 s2, 0, v3
	s_waitcnt lgkmcnt(1)
	v_and_b32_e32 v5, 1, v5
	s_waitcnt lgkmcnt(0)
	v_cndmask_b32_e32 v1, 0, v6, vcc_lo
	v_cmp_eq_u32_e32 vcc_lo, 1, v8
	v_and_b32_e32 v1, v7, v1
	v_cndmask_b32_e64 v5, v5, 1, vcc_lo
	v_add_nc_u32_e32 v3, v1, v2
	v_cndmask_b32_e64 v4, v5, v4, s2
	v_lshlrev_b32_e32 v5, 3, v21
	s_mov_b32 s2, exec_lo
	v_cmpx_eq_u32_e64 v0, v22
	s_cbranch_execz .LBB208_36
; %bb.35:
	ds_write_b32 v5, v3
	ds_write_b8 v5, v4 offset:4
.LBB208_36:
	s_or_b32 exec_lo, exec_lo, s2
	s_mov_b32 s2, exec_lo
	s_waitcnt lgkmcnt(0)
	s_barrier
	buffer_gl0_inv
	v_cmpx_gt_u32_e32 8, v0
	s_cbranch_execz .LBB208_42
; %bb.37:
	ds_read_b64 v[1:2], v19
	v_and_b32_e32 v6, 7, v20
	s_mov_b32 s3, exec_lo
	s_waitcnt lgkmcnt(0)
	v_and_b32_e32 v7, 0xffffff00, v2
	v_mov_b32_dpp v15, v1 row_shr:1 row_mask:0xf bank_mask:0xf
	v_mov_b32_dpp v16, v2 row_shr:1 row_mask:0xf bank_mask:0xf
	v_mov_b32_e32 v8, v2
	v_cmpx_ne_u32_e32 0, v6
	s_cbranch_execz .LBB208_39
; %bb.38:
	v_mov_b32_e32 v8, 0
	v_and_b32_e32 v17, 1, v2
	v_and_b32_e32 v16, 1, v16
	v_cmp_eq_u16_sdwa vcc_lo, v2, v8 src0_sel:BYTE_0 src1_sel:DWORD
	v_cndmask_b32_e32 v2, 0, v15, vcc_lo
	v_cmp_eq_u32_e32 vcc_lo, 1, v17
	v_add_nc_u32_e32 v1, v2, v1
	v_cndmask_b32_e64 v15, v16, 1, vcc_lo
	v_or_b32_sdwa v8, v7, v15 dst_sel:DWORD dst_unused:UNUSED_PAD src0_sel:DWORD src1_sel:WORD_0
	v_mov_b32_e32 v2, v15
.LBB208_39:
	s_or_b32 exec_lo, exec_lo, s3
	v_mov_b32_dpp v15, v1 row_shr:2 row_mask:0xf bank_mask:0xf
	v_mov_b32_dpp v16, v8 row_shr:2 row_mask:0xf bank_mask:0xf
	s_mov_b32 s3, exec_lo
	v_cmpx_lt_u32_e32 1, v6
	s_cbranch_execz .LBB208_41
; %bb.40:
	v_mov_b32_e32 v8, 0
	v_and_b32_e32 v17, 1, v2
	v_and_b32_e32 v16, 1, v16
	v_cmp_eq_u16_sdwa vcc_lo, v2, v8 src0_sel:BYTE_0 src1_sel:DWORD
	v_cndmask_b32_e32 v2, 0, v15, vcc_lo
	v_cmp_eq_u32_e32 vcc_lo, 1, v17
	v_add_nc_u32_e32 v1, v2, v1
	v_cndmask_b32_e64 v15, v16, 1, vcc_lo
	v_or_b32_sdwa v8, v7, v15 dst_sel:DWORD dst_unused:UNUSED_PAD src0_sel:DWORD src1_sel:WORD_0
	v_mov_b32_e32 v2, v15
.LBB208_41:
	s_or_b32 exec_lo, exec_lo, s3
	v_mov_b32_dpp v7, v8 row_shr:4 row_mask:0xf bank_mask:0xf
	v_and_b32_e32 v15, 1, v2
	v_mov_b32_e32 v8, 0
	v_and_b32_e32 v7, 1, v7
	v_cmp_eq_u32_e32 vcc_lo, 1, v15
	v_cmp_eq_u16_sdwa s3, v2, v8 src0_sel:BYTE_0 src1_sel:DWORD
	v_cndmask_b32_e64 v7, v7, 1, vcc_lo
	v_cmp_lt_u32_e32 vcc_lo, 3, v6
	v_mov_b32_dpp v6, v1 row_shr:4 row_mask:0xf bank_mask:0xf
	v_cndmask_b32_e32 v2, v2, v7, vcc_lo
	s_and_b32 vcc_lo, vcc_lo, s3
	v_cndmask_b32_e32 v6, 0, v6, vcc_lo
	v_add_nc_u32_e32 v1, v6, v1
	ds_write_b32 v19, v1
	ds_write_b8 v19, v2 offset:4
.LBB208_42:
	s_or_b32 exec_lo, exec_lo, s2
	v_mov_b32_e32 v24, 0
	v_mov_b32_e32 v25, 0
	s_mov_b32 s3, exec_lo
	v_cmp_gt_u32_e32 vcc_lo, 32, v0
	s_waitcnt lgkmcnt(0)
	s_barrier
	buffer_gl0_inv
	v_cmpx_lt_u32_e32 31, v0
	s_cbranch_execz .LBB208_44
; %bb.43:
	v_add_nc_u32_e32 v1, -8, v5
	v_cmp_eq_u32_e64 s2, 0, v4
	v_and_b32_e32 v2, 1, v4
	ds_read_b32 v24, v1
	v_add_nc_u32_e32 v1, -4, v5
	ds_read_u8 v25, v1
	s_waitcnt lgkmcnt(1)
	v_cndmask_b32_e64 v1, 0, v24, s2
	v_cmp_eq_u32_e64 s2, 1, v2
	v_add_nc_u32_e32 v3, v1, v3
	s_waitcnt lgkmcnt(0)
	v_cndmask_b32_e64 v4, v25, 1, s2
.LBB208_44:
	s_or_b32 exec_lo, exec_lo, s3
	v_sub_co_u32 v1, s2, v20, 1
	v_cmp_gt_i32_e64 s3, 0, v1
	v_cndmask_b32_e64 v1, v1, v20, s3
	v_lshlrev_b32_e32 v1, 2, v1
	ds_bpermute_b32 v26, v1, v3
	ds_bpermute_b32 v27, v1, v4
	s_and_saveexec_b32 s12, vcc_lo
	s_cbranch_execz .LBB208_64
; %bb.45:
	v_mov_b32_e32 v4, 0
	ds_read_b64 v[1:2], v4 offset:56
	s_and_saveexec_b32 s3, s2
	s_cbranch_execz .LBB208_47
; %bb.46:
	s_add_i32 s4, s6, 32
	s_mov_b32 s5, 0
	v_mov_b32_e32 v3, 1
	s_lshl_b64 s[4:5], s[4:5], 4
	s_add_u32 s4, s24, s4
	s_addc_u32 s5, s25, s5
	v_mov_b32_e32 v6, s5
	v_mov_b32_e32 v5, s4
	s_waitcnt lgkmcnt(0)
	;;#ASMSTART
	global_store_dwordx4 v[5:6], v[1:4] off	
s_waitcnt vmcnt(0)
	;;#ASMEND
.LBB208_47:
	s_or_b32 exec_lo, exec_lo, s3
	v_xad_u32 v15, v20, -1, s6
	s_mov_b32 s4, 0
	v_add_nc_u32_e32 v3, 32, v15
	v_lshlrev_b64 v[5:6], 4, v[3:4]
	v_add_co_u32 v16, vcc_lo, s24, v5
	v_add_co_ci_u32_e64 v17, null, s25, v6, vcc_lo
	;;#ASMSTART
	global_load_dwordx4 v[5:8], v[16:17] off glc dlc	
s_waitcnt vmcnt(0)
	;;#ASMEND
	v_and_b32_e32 v6, 0xff, v6
	v_cmp_eq_u16_sdwa s5, v7, v4 src0_sel:BYTE_0 src1_sel:DWORD
	s_and_saveexec_b32 s3, s5
	s_cbranch_execz .LBB208_51
; %bb.48:
	v_mov_b32_e32 v3, 0
.LBB208_49:                             ; =>This Inner Loop Header: Depth=1
	;;#ASMSTART
	global_load_dwordx4 v[5:8], v[16:17] off glc dlc	
s_waitcnt vmcnt(0)
	;;#ASMEND
	v_cmp_ne_u16_sdwa s5, v7, v3 src0_sel:BYTE_0 src1_sel:DWORD
	s_or_b32 s4, s5, s4
	s_andn2_b32 exec_lo, exec_lo, s4
	s_cbranch_execnz .LBB208_49
; %bb.50:
	s_or_b32 exec_lo, exec_lo, s4
	v_and_b32_e32 v6, 0xff, v6
.LBB208_51:
	s_or_b32 exec_lo, exec_lo, s3
	v_cmp_ne_u32_e32 vcc_lo, 31, v20
	v_mov_b32_e32 v28, 2
	v_lshlrev_b32_e64 v29, v20, -1
	v_and_b32_e32 v8, 1, v6
	s_mov_b32 s4, 0
	v_add_co_ci_u32_e64 v3, null, 0, v20, vcc_lo
	v_cmp_eq_u16_sdwa s3, v7, v28 src0_sel:BYTE_0 src1_sel:DWORD
	v_cmp_eq_u32_e32 vcc_lo, 1, v8
	s_mov_b32 s5, 1
	v_lshlrev_b32_e32 v17, 2, v3
	v_add_nc_u32_e32 v37, 8, v20
	v_and_or_b32 v4, s3, v29, 0x80000000
	v_cmp_gt_u64_e64 s3, s[4:5], v[5:6]
	v_lshl_or_b32 v38, v20, 2, 64
	ds_bpermute_b32 v3, v17, v6
	ds_bpermute_b32 v16, v17, v5
	v_ffbl_b32_e32 v4, v4
	v_add_nc_u32_e32 v39, 16, v20
	s_waitcnt lgkmcnt(1)
	v_and_b32_e32 v3, 1, v3
	v_cndmask_b32_e64 v3, v3, 1, vcc_lo
	v_cmp_gt_u32_e32 vcc_lo, 30, v20
	v_and_b32_e32 v31, 0xffff, v3
	v_cndmask_b32_e64 v8, 0, 2, vcc_lo
	v_cmp_lt_u32_e32 vcc_lo, v20, v4
	v_add_lshl_u32 v30, v8, v20, 2
	v_cndmask_b32_e32 v8, v6, v31, vcc_lo
	v_cndmask_b32_e32 v3, v6, v3, vcc_lo
	s_and_b32 vcc_lo, vcc_lo, s3
	s_waitcnt lgkmcnt(0)
	v_cndmask_b32_e32 v6, 0, v16, vcc_lo
	ds_bpermute_b32 v31, v30, v8
	v_and_b32_e32 v16, 1, v3
	v_add_nc_u32_e32 v5, v6, v5
	v_cmp_eq_u32_e32 vcc_lo, 1, v16
	v_mov_b32_e32 v16, 0
	ds_bpermute_b32 v6, v30, v5
	v_cmp_eq_u16_sdwa s3, v3, v16 src0_sel:BYTE_0 src1_sel:DWORD
	s_waitcnt lgkmcnt(1)
	v_and_b32_e32 v32, 1, v31
	v_add_nc_u32_e32 v31, 2, v20
	v_cndmask_b32_e64 v33, v32, 1, vcc_lo
	v_cmp_gt_u32_e32 vcc_lo, 28, v20
	v_and_b32_e32 v34, 0xffff, v33
	v_cndmask_b32_e64 v32, 0, 4, vcc_lo
	v_cmp_gt_u32_e32 vcc_lo, v31, v4
	v_add_lshl_u32 v32, v32, v20, 2
	v_cndmask_b32_e32 v8, v34, v8, vcc_lo
	v_cndmask_b32_e32 v35, v33, v3, vcc_lo
	s_waitcnt lgkmcnt(0)
	v_cndmask_b32_e64 v3, 0, v6, s3
	v_add_nc_u32_e32 v33, 4, v20
	ds_bpermute_b32 v6, v32, v8
	v_and_b32_e32 v34, 1, v35
	v_cndmask_b32_e64 v3, v3, 0, vcc_lo
	v_cmp_eq_u16_sdwa s3, v35, v16 src0_sel:BYTE_0 src1_sel:DWORD
	v_cmp_eq_u32_e32 vcc_lo, 1, v34
	v_add_nc_u32_e32 v3, v3, v5
	ds_bpermute_b32 v5, v32, v3
	s_waitcnt lgkmcnt(1)
	v_and_b32_e32 v6, 1, v6
	v_cndmask_b32_e64 v6, v6, 1, vcc_lo
	v_cmp_gt_u32_e32 vcc_lo, 24, v20
	v_and_b32_e32 v36, 0xffff, v6
	v_cndmask_b32_e64 v34, 0, 8, vcc_lo
	v_cmp_gt_u32_e32 vcc_lo, v33, v4
	s_waitcnt lgkmcnt(0)
	v_cndmask_b32_e64 v5, 0, v5, s3
	v_add_lshl_u32 v34, v34, v20, 2
	v_cndmask_b32_e32 v8, v36, v8, vcc_lo
	v_cndmask_b32_e32 v6, v6, v35, vcc_lo
	v_cndmask_b32_e64 v5, v5, 0, vcc_lo
	ds_bpermute_b32 v35, v34, v8
	v_and_b32_e32 v36, 1, v6
	v_add_nc_u32_e32 v3, v5, v3
	v_cmp_eq_u32_e32 vcc_lo, 1, v36
	ds_bpermute_b32 v5, v34, v3
	s_waitcnt lgkmcnt(1)
	v_and_b32_e32 v35, 1, v35
	v_cndmask_b32_e64 v35, v35, 1, vcc_lo
	v_cmp_eq_u16_sdwa vcc_lo, v6, v16 src0_sel:BYTE_0 src1_sel:DWORD
	v_and_b32_e32 v36, 0xffff, v35
	s_waitcnt lgkmcnt(0)
	v_cndmask_b32_e32 v5, 0, v5, vcc_lo
	v_cmp_gt_u32_e32 vcc_lo, v37, v4
	v_cndmask_b32_e64 v5, v5, 0, vcc_lo
	v_cndmask_b32_e32 v8, v36, v8, vcc_lo
	v_cndmask_b32_e32 v6, v35, v6, vcc_lo
	v_add_nc_u32_e32 v3, v5, v3
	ds_bpermute_b32 v5, v38, v8
	v_and_b32_e32 v35, 1, v6
	v_cmp_eq_u16_sdwa vcc_lo, v6, v16 src0_sel:BYTE_0 src1_sel:DWORD
	ds_bpermute_b32 v8, v38, v3
	s_waitcnt lgkmcnt(1)
	v_and_b32_e32 v5, 1, v5
	s_waitcnt lgkmcnt(0)
	v_cndmask_b32_e32 v8, 0, v8, vcc_lo
	v_cmp_eq_u32_e32 vcc_lo, 1, v35
	v_cndmask_b32_e64 v5, v5, 1, vcc_lo
	v_cmp_gt_u32_e32 vcc_lo, v39, v4
	v_cndmask_b32_e32 v4, v5, v6, vcc_lo
	v_cndmask_b32_e64 v5, v8, 0, vcc_lo
	v_add_nc_u32_e32 v3, v5, v3
	s_branch .LBB208_55
.LBB208_52:                             ;   in Loop: Header=BB208_55 Depth=1
	s_or_b32 exec_lo, exec_lo, s13
	v_and_b32_e32 v6, 0xff, v6
.LBB208_53:                             ;   in Loop: Header=BB208_55 Depth=1
	s_or_b32 exec_lo, exec_lo, s3
	ds_bpermute_b32 v3, v17, v6
	v_cmp_eq_u16_sdwa s3, v7, v28 src0_sel:BYTE_0 src1_sel:DWORD
	v_and_b32_e32 v4, 1, v6
	v_subrev_nc_u32_e32 v15, 32, v15
	v_and_or_b32 v8, s3, v29, 0x80000000
	v_cmp_eq_u32_e32 vcc_lo, 1, v4
	v_cmp_gt_u64_e64 s3, s[4:5], v[5:6]
	v_ffbl_b32_e32 v4, v8
	ds_bpermute_b32 v8, v17, v5
	s_waitcnt lgkmcnt(1)
	v_and_b32_e32 v3, 1, v3
	v_cndmask_b32_e64 v3, v3, 1, vcc_lo
	v_cmp_lt_u32_e32 vcc_lo, v20, v4
	v_and_b32_e32 v40, 0xffff, v3
	v_cndmask_b32_e32 v3, v6, v3, vcc_lo
	v_cndmask_b32_e32 v40, v6, v40, vcc_lo
	s_and_b32 vcc_lo, vcc_lo, s3
	v_cmp_eq_u16_sdwa s3, v3, v16 src0_sel:BYTE_0 src1_sel:DWORD
	s_waitcnt lgkmcnt(0)
	v_cndmask_b32_e32 v6, 0, v8, vcc_lo
	v_and_b32_e32 v8, 1, v3
	ds_bpermute_b32 v41, v30, v40
	v_add_nc_u32_e32 v5, v6, v5
	v_cmp_eq_u32_e32 vcc_lo, 1, v8
	ds_bpermute_b32 v6, v30, v5
	s_waitcnt lgkmcnt(1)
	v_and_b32_e32 v41, 1, v41
	v_cndmask_b32_e64 v8, v41, 1, vcc_lo
	v_cmp_gt_u32_e32 vcc_lo, v31, v4
	v_and_b32_e32 v41, 0xffff, v8
	v_cndmask_b32_e32 v8, v8, v3, vcc_lo
	s_waitcnt lgkmcnt(0)
	v_cndmask_b32_e64 v3, 0, v6, s3
	v_cndmask_b32_e32 v40, v41, v40, vcc_lo
	v_and_b32_e32 v41, 1, v8
	v_cndmask_b32_e64 v3, v3, 0, vcc_lo
	v_cmp_eq_u16_sdwa s3, v8, v16 src0_sel:BYTE_0 src1_sel:DWORD
	ds_bpermute_b32 v6, v32, v40
	v_cmp_eq_u32_e32 vcc_lo, 1, v41
	v_add_nc_u32_e32 v3, v3, v5
	ds_bpermute_b32 v5, v32, v3
	s_waitcnt lgkmcnt(1)
	v_and_b32_e32 v6, 1, v6
	v_cndmask_b32_e64 v6, v6, 1, vcc_lo
	v_cmp_gt_u32_e32 vcc_lo, v33, v4
	s_waitcnt lgkmcnt(0)
	v_cndmask_b32_e64 v5, 0, v5, s3
	s_mov_b32 s3, 0
	v_and_b32_e32 v41, 0xffff, v6
	v_cndmask_b32_e32 v6, v6, v8, vcc_lo
	v_cndmask_b32_e64 v5, v5, 0, vcc_lo
	v_cndmask_b32_e32 v8, v41, v40, vcc_lo
	v_and_b32_e32 v41, 1, v6
	v_add_nc_u32_e32 v3, v5, v3
	ds_bpermute_b32 v40, v34, v8
	v_cmp_eq_u32_e32 vcc_lo, 1, v41
	ds_bpermute_b32 v5, v34, v3
	s_waitcnt lgkmcnt(1)
	v_and_b32_e32 v40, 1, v40
	v_cndmask_b32_e64 v40, v40, 1, vcc_lo
	v_cmp_eq_u16_sdwa vcc_lo, v6, v16 src0_sel:BYTE_0 src1_sel:DWORD
	v_and_b32_e32 v41, 0xffff, v40
	s_waitcnt lgkmcnt(0)
	v_cndmask_b32_e32 v5, 0, v5, vcc_lo
	v_cmp_gt_u32_e32 vcc_lo, v37, v4
	v_cndmask_b32_e64 v5, v5, 0, vcc_lo
	v_cndmask_b32_e32 v8, v41, v8, vcc_lo
	v_cndmask_b32_e32 v6, v40, v6, vcc_lo
	v_add_nc_u32_e32 v3, v5, v3
	ds_bpermute_b32 v5, v38, v8
	v_and_b32_e32 v40, 1, v6
	ds_bpermute_b32 v8, v38, v3
	v_cmp_eq_u32_e32 vcc_lo, 1, v40
	s_waitcnt lgkmcnt(1)
	v_cndmask_b32_e64 v5, v5, 1, vcc_lo
	v_cmp_eq_u16_sdwa vcc_lo, v6, v16 src0_sel:BYTE_0 src1_sel:DWORD
	s_waitcnt lgkmcnt(0)
	v_cndmask_b32_e32 v8, 0, v8, vcc_lo
	v_cmp_gt_u32_e32 vcc_lo, v39, v4
	v_cndmask_b32_e32 v4, v5, v6, vcc_lo
	v_cndmask_b32_e64 v5, v8, 0, vcc_lo
	v_cmp_eq_u16_sdwa vcc_lo, v35, v16 src0_sel:BYTE_0 src1_sel:DWORD
	v_and_b32_e32 v4, 1, v4
	v_add_nc_u32_e32 v3, v5, v3
	v_and_b32_e32 v5, 1, v35
	v_cndmask_b32_e32 v3, 0, v3, vcc_lo
	v_cmp_eq_u32_e32 vcc_lo, 1, v5
	v_add_nc_u32_e32 v3, v3, v36
	v_cndmask_b32_e64 v4, v4, 1, vcc_lo
.LBB208_54:                             ;   in Loop: Header=BB208_55 Depth=1
	s_and_b32 vcc_lo, exec_lo, s3
	s_cbranch_vccnz .LBB208_60
.LBB208_55:                             ; =>This Loop Header: Depth=1
                                        ;     Child Loop BB208_58 Depth 2
	v_cmp_ne_u16_sdwa s3, v7, v28 src0_sel:BYTE_0 src1_sel:DWORD
	v_mov_b32_e32 v35, v4
	v_mov_b32_e32 v36, v3
                                        ; implicit-def: $vgpr4
                                        ; implicit-def: $vgpr3
                                        ; implicit-def: $vgpr7
	s_cmp_lg_u32 s3, exec_lo
	s_mov_b32 s3, -1
	s_cbranch_scc1 .LBB208_54
; %bb.56:                               ;   in Loop: Header=BB208_55 Depth=1
	v_lshlrev_b64 v[3:4], 4, v[15:16]
	v_add_co_u32 v3, vcc_lo, s24, v3
	v_add_co_ci_u32_e64 v4, null, s25, v4, vcc_lo
	;;#ASMSTART
	global_load_dwordx4 v[5:8], v[3:4] off glc dlc	
s_waitcnt vmcnt(0)
	;;#ASMEND
	v_and_b32_e32 v6, 0xff, v6
	v_cmp_eq_u16_sdwa s13, v7, v16 src0_sel:BYTE_0 src1_sel:DWORD
	s_and_saveexec_b32 s3, s13
	s_cbranch_execz .LBB208_53
; %bb.57:                               ;   in Loop: Header=BB208_55 Depth=1
	s_mov_b32 s13, 0
.LBB208_58:                             ;   Parent Loop BB208_55 Depth=1
                                        ; =>  This Inner Loop Header: Depth=2
	;;#ASMSTART
	global_load_dwordx4 v[5:8], v[3:4] off glc dlc	
s_waitcnt vmcnt(0)
	;;#ASMEND
	v_cmp_ne_u16_sdwa s16, v7, v16 src0_sel:BYTE_0 src1_sel:DWORD
	s_or_b32 s13, s16, s13
	s_andn2_b32 exec_lo, exec_lo, s13
	s_cbranch_execnz .LBB208_58
	s_branch .LBB208_52
.LBB208_59:
                                        ; implicit-def: $vgpr7
                                        ; implicit-def: $vgpr5
                                        ; implicit-def: $vgpr6
	s_cbranch_execnz .LBB208_65
	s_branch .LBB208_82
.LBB208_60:
	s_and_saveexec_b32 s3, s2
	s_cbranch_execz .LBB208_62
; %bb.61:
	v_mov_b32_e32 v4, 0
	v_and_b32_e32 v3, 1, v2
	s_mov_b32 s5, 0
	s_add_i32 s4, s6, 32
	v_and_b32_e32 v5, 1, v35
	v_cmp_eq_u32_sdwa vcc_lo, v2, v4 src0_sel:BYTE_0 src1_sel:DWORD
	s_lshl_b64 s[4:5], s[4:5], 4
	s_add_u32 s4, s24, s4
	s_addc_u32 s5, s25, s5
	v_cndmask_b32_e32 v2, 0, v36, vcc_lo
	v_cmp_eq_u32_e32 vcc_lo, 1, v3
	v_mov_b32_e32 v3, 2
	v_add_nc_u32_e32 v1, v2, v1
	v_cndmask_b32_e64 v2, v5, 1, vcc_lo
	v_mov_b32_e32 v6, s5
	v_mov_b32_e32 v5, s4
	;;#ASMSTART
	global_store_dwordx4 v[5:6], v[1:4] off	
s_waitcnt vmcnt(0)
	;;#ASMEND
.LBB208_62:
	s_or_b32 exec_lo, exec_lo, s3
	v_cmp_eq_u32_e32 vcc_lo, 0, v0
	s_and_b32 exec_lo, exec_lo, vcc_lo
	s_cbranch_execz .LBB208_64
; %bb.63:
	v_mov_b32_e32 v1, 0
	ds_write_b32 v1, v36 offset:56
	ds_write_b8 v1, v35 offset:60
.LBB208_64:
	s_or_b32 exec_lo, exec_lo, s12
	s_waitcnt lgkmcnt(0)
	v_cndmask_b32_e64 v2, v27, v25, s2
	v_and_b32_e32 v4, 1, v10
	v_mov_b32_e32 v1, 0
	v_cndmask_b32_e64 v5, v26, v24, s2
	s_mov_b32 s2, 0
	v_and_b32_e32 v2, 1, v2
	v_cmp_eq_u32_e32 vcc_lo, 1, v4
	s_mov_b32 s3, 1
	s_barrier
	buffer_gl0_inv
	v_cndmask_b32_e64 v2, v2, 1, vcc_lo
	v_cmp_gt_u64_e32 vcc_lo, s[2:3], v[9:10]
	ds_read_b32 v3, v1 offset:56
	v_cndmask_b32_e32 v4, 0, v5, vcc_lo
	v_cmp_eq_u32_e32 vcc_lo, 0, v0
	v_cndmask_b32_e32 v2, v2, v10, vcc_lo
	v_cndmask_b32_e64 v4, v4, 0, vcc_lo
	v_cmp_eq_u16_sdwa vcc_lo, v2, v1 src0_sel:BYTE_0 src1_sel:DWORD
	s_waitcnt lgkmcnt(0)
	v_cndmask_b32_e32 v1, 0, v3, vcc_lo
	v_add3_u32 v7, v4, v9, v1
	v_cndmask_b32_e64 v1, 0, v7, s0
	v_add_nc_u32_e32 v5, v1, v11
	v_cndmask_b32_e64 v1, 0, v5, s1
	v_add_nc_u32_e32 v6, v1, v13
	s_branch .LBB208_82
.LBB208_65:
	s_cmp_lg_u64 s[28:29], 0
	v_cmp_eq_u32_e32 vcc_lo, 0, v0
	s_cselect_b32 s1, -1, 0
	s_cmp_lg_u64 s[18:19], 0
	v_cmp_ne_u32_e64 s0, 0, v0
	s_cselect_b32 s2, -1, 0
	s_mov_b32 s4, 0
	s_and_b32 s1, s1, s2
	s_and_b32 s1, vcc_lo, s1
	s_and_saveexec_b32 s2, s1
	s_cbranch_execz .LBB208_67
; %bb.66:
	v_mov_b32_e32 v1, 0
	s_mov_b32 s5, 1
	s_clause 0x1
	global_load_dword v2, v1, s[18:19]
	global_load_ubyte v3, v1, s[18:19] offset:4
	v_cmp_gt_u64_e64 s1, s[4:5], v[9:10]
	s_waitcnt vmcnt(1)
	v_cndmask_b32_e64 v4, 0, v2, s1
	v_and_b32_e32 v2, 1, v10
	s_waitcnt vmcnt(0)
	v_and_b32_e32 v3, 1, v3
	v_add_nc_u32_e32 v9, v4, v9
	v_cmp_eq_u64_e64 s1, 0, v[1:2]
	v_cndmask_b32_e64 v10, 1, v3, s1
.LBB208_67:
	s_or_b32 exec_lo, exec_lo, s2
	v_and_b32_e32 v2, 0xff, v23
	v_mov_b32_e32 v1, 0
	s_mov_b32 s5, 1
	v_and_b32_e32 v7, 15, v20
	v_cmp_eq_u64_e64 s1, 0, v[1:2]
	v_cmp_eq_u32_e64 s3, 0, v7
	v_cndmask_b32_e64 v2, 1, v10, s1
	v_cmp_gt_u64_e64 s1, s[4:5], v[11:12]
	v_and_b32_e32 v3, 0xff, v2
	v_and_b32_e32 v6, 1, v2
	v_cndmask_b32_e64 v5, 0, v9, s1
	v_mov_b32_dpp v4, v3 row_shr:1 row_mask:0xf bank_mask:0xf
	v_cmp_eq_u32_e64 s2, 1, v6
	v_add_nc_u32_e32 v5, v5, v11
	v_and_b32_e32 v4, 1, v4
	v_cndmask_b32_e64 v4, v4, 1, s2
	v_cmp_gt_u64_e64 s2, s[4:5], v[13:14]
	v_cmp_eq_u16_e64 s4, 0, v3
	v_cndmask_b32_e64 v8, v4, v3, s3
	v_cndmask_b32_e64 v2, v4, v2, s3
	;; [unrolled: 1-line block ×3, first 2 shown]
	v_mov_b32_dpp v4, v8 row_shr:2 row_mask:0xf bank_mask:0xf
	v_and_b32_e32 v14, 1, v2
	v_add_nc_u32_e32 v6, v6, v13
	v_and_b32_e32 v4, 1, v4
	v_mov_b32_dpp v12, v6 row_shr:1 row_mask:0xf bank_mask:0xf
	v_cndmask_b32_e64 v3, 0, v12, s4
	v_cmp_eq_u32_e64 s4, 1, v14
	v_cndmask_b32_e64 v3, v3, 0, s3
	v_cndmask_b32_e64 v4, v4, 1, s4
	v_cmp_lt_u32_e64 s4, 1, v7
	v_cmp_eq_u16_sdwa s3, v2, v1 src0_sel:BYTE_0 src1_sel:DWORD
	v_add_nc_u32_e32 v3, v3, v6
	v_cndmask_b32_e64 v12, v2, v4, s4
	v_cndmask_b32_e64 v4, v8, v4, s4
	s_and_b32 s3, s4, s3
	v_mov_b32_dpp v2, v3 row_shr:2 row_mask:0xf bank_mask:0xf
	v_and_b32_e32 v14, 1, v12
	v_mov_b32_dpp v8, v4 row_shr:4 row_mask:0xf bank_mask:0xf
	v_cmp_eq_u16_sdwa s4, v12, v1 src0_sel:BYTE_0 src1_sel:DWORD
	v_cndmask_b32_e64 v2, 0, v2, s3
	v_cmp_eq_u32_e64 s3, 1, v14
	v_and_b32_e32 v8, 1, v8
	v_add_nc_u32_e32 v2, v2, v3
	v_cndmask_b32_e64 v8, v8, 1, s3
	v_cmp_lt_u32_e64 s3, 3, v7
	v_cndmask_b32_e64 v3, v12, v8, s3
	v_cndmask_b32_e64 v4, v4, v8, s3
	v_mov_b32_dpp v8, v2 row_shr:4 row_mask:0xf bank_mask:0xf
	s_and_b32 s3, s3, s4
	v_and_b32_e32 v14, 1, v3
	v_mov_b32_dpp v12, v4 row_shr:8 row_mask:0xf bank_mask:0xf
	v_cndmask_b32_e64 v8, 0, v8, s3
	v_cmp_eq_u16_sdwa s4, v3, v1 src0_sel:BYTE_0 src1_sel:DWORD
	v_cmp_eq_u32_e64 s3, 1, v14
	v_and_b32_e32 v12, 1, v12
	v_add_nc_u32_e32 v2, v8, v2
	v_cndmask_b32_e64 v8, v12, 1, s3
	v_cmp_lt_u32_e64 s3, 7, v7
	v_mov_b32_dpp v7, v2 row_shr:8 row_mask:0xf bank_mask:0xf
	v_bfe_i32 v12, v20, 4, 1
	s_and_b32 s4, s3, s4
	v_cndmask_b32_e64 v4, v4, v8, s3
	v_cndmask_b32_e64 v7, 0, v7, s4
	;; [unrolled: 1-line block ×3, first 2 shown]
	s_mov_b32 s4, exec_lo
	v_add_nc_u32_e32 v2, v7, v2
	ds_swizzle_b32 v7, v4 offset:swizzle(BROADCAST,32,15)
	v_and_b32_e32 v14, 1, v3
	v_cmp_eq_u16_sdwa s3, v3, v1 src0_sel:BYTE_0 src1_sel:DWORD
	v_and_b32_e32 v3, 16, v20
	ds_swizzle_b32 v8, v2 offset:swizzle(BROADCAST,32,15)
	s_waitcnt lgkmcnt(1)
	v_and_b32_e32 v7, 1, v7
	s_waitcnt lgkmcnt(0)
	v_cndmask_b32_e64 v1, 0, v8, s3
	v_cmp_eq_u32_e64 s3, 1, v14
	v_and_b32_e32 v1, v12, v1
	v_cndmask_b32_e64 v7, v7, 1, s3
	v_cmp_eq_u32_e64 s3, 0, v3
	v_add_nc_u32_e32 v3, v1, v2
	v_cndmask_b32_e64 v4, v7, v4, s3
	v_cmpx_eq_u32_e64 v0, v22
	s_cbranch_execz .LBB208_69
; %bb.68:
	v_lshlrev_b32_e32 v1, 3, v21
	ds_write_b32 v1, v3
	ds_write_b8 v1, v4 offset:4
.LBB208_69:
	s_or_b32 exec_lo, exec_lo, s4
	s_mov_b32 s4, exec_lo
	s_waitcnt lgkmcnt(0)
	s_barrier
	buffer_gl0_inv
	v_cmpx_gt_u32_e32 8, v0
	s_cbranch_execz .LBB208_75
; %bb.70:
	ds_read_b64 v[1:2], v19
	v_and_b32_e32 v7, 7, v20
	s_mov_b32 s5, exec_lo
	s_waitcnt lgkmcnt(0)
	v_and_b32_e32 v8, 0xffffff00, v2
	v_mov_b32_dpp v14, v1 row_shr:1 row_mask:0xf bank_mask:0xf
	v_mov_b32_dpp v15, v2 row_shr:1 row_mask:0xf bank_mask:0xf
	v_mov_b32_e32 v12, v2
	v_cmpx_ne_u32_e32 0, v7
	s_cbranch_execz .LBB208_72
; %bb.71:
	v_mov_b32_e32 v12, 0
	v_and_b32_e32 v16, 1, v2
	v_and_b32_e32 v15, 1, v15
	v_cmp_eq_u16_sdwa s3, v2, v12 src0_sel:BYTE_0 src1_sel:DWORD
	v_cndmask_b32_e64 v2, 0, v14, s3
	v_cmp_eq_u32_e64 s3, 1, v16
	v_add_nc_u32_e32 v1, v2, v1
	v_cndmask_b32_e64 v14, v15, 1, s3
	v_or_b32_sdwa v12, v8, v14 dst_sel:DWORD dst_unused:UNUSED_PAD src0_sel:DWORD src1_sel:WORD_0
	v_mov_b32_e32 v2, v14
.LBB208_72:
	s_or_b32 exec_lo, exec_lo, s5
	v_mov_b32_dpp v14, v1 row_shr:2 row_mask:0xf bank_mask:0xf
	v_mov_b32_dpp v15, v12 row_shr:2 row_mask:0xf bank_mask:0xf
	s_mov_b32 s5, exec_lo
	v_cmpx_lt_u32_e32 1, v7
	s_cbranch_execz .LBB208_74
; %bb.73:
	v_mov_b32_e32 v12, 0
	v_and_b32_e32 v16, 1, v2
	v_and_b32_e32 v15, 1, v15
	v_cmp_eq_u16_sdwa s3, v2, v12 src0_sel:BYTE_0 src1_sel:DWORD
	v_cndmask_b32_e64 v2, 0, v14, s3
	v_cmp_eq_u32_e64 s3, 1, v16
	v_add_nc_u32_e32 v1, v2, v1
	v_cndmask_b32_e64 v14, v15, 1, s3
	v_or_b32_sdwa v12, v8, v14 dst_sel:DWORD dst_unused:UNUSED_PAD src0_sel:DWORD src1_sel:WORD_0
	v_mov_b32_e32 v2, v14
.LBB208_74:
	s_or_b32 exec_lo, exec_lo, s5
	v_mov_b32_dpp v8, v12 row_shr:4 row_mask:0xf bank_mask:0xf
	v_and_b32_e32 v14, 1, v2
	v_mov_b32_e32 v12, 0
	v_and_b32_e32 v8, 1, v8
	v_cmp_eq_u32_e64 s3, 1, v14
	v_cmp_eq_u16_sdwa s5, v2, v12 src0_sel:BYTE_0 src1_sel:DWORD
	v_cndmask_b32_e64 v8, v8, 1, s3
	v_cmp_lt_u32_e64 s3, 3, v7
	v_mov_b32_dpp v7, v1 row_shr:4 row_mask:0xf bank_mask:0xf
	v_cndmask_b32_e64 v2, v2, v8, s3
	s_and_b32 s3, s3, s5
	v_cndmask_b32_e64 v7, 0, v7, s3
	v_add_nc_u32_e32 v1, v7, v1
	ds_write_b32 v19, v1
	ds_write_b8 v19, v2 offset:4
.LBB208_75:
	s_or_b32 exec_lo, exec_lo, s4
	v_mov_b32_e32 v1, 0
	s_mov_b32 s4, exec_lo
	s_waitcnt lgkmcnt(0)
	s_barrier
	buffer_gl0_inv
	v_cmpx_lt_u32_e32 31, v0
	s_cbranch_execz .LBB208_77
; %bb.76:
	v_lshl_add_u32 v1, v21, 3, -8
	v_cmp_eq_u32_e64 s3, 0, v4
	ds_read_b32 v1, v1
	s_waitcnt lgkmcnt(0)
	v_cndmask_b32_e64 v2, 0, v1, s3
	v_add_nc_u32_e32 v3, v2, v3
.LBB208_77:
	s_or_b32 exec_lo, exec_lo, s4
	v_add_nc_u32_e32 v2, -1, v20
	s_mov_b32 s4, 0
	v_cmp_gt_i32_e64 s3, 0, v2
	v_cndmask_b32_e64 v2, v2, v20, s3
	v_lshlrev_b32_e32 v2, 2, v2
	ds_bpermute_b32 v2, v2, v3
	s_and_saveexec_b32 s3, s0
	s_cbranch_execz .LBB208_79
; %bb.78:
	v_cmp_eq_u32_e64 s0, 0, v20
	s_mov_b32 s5, 1
	;;#ASMSTART
	;;#ASMEND
	s_waitcnt lgkmcnt(0)
	v_cndmask_b32_e64 v1, v2, v1, s0
	v_cmp_gt_u64_e64 s0, s[4:5], v[9:10]
	v_cndmask_b32_e64 v1, 0, v1, s0
	v_add_nc_u32_e32 v9, v1, v9
	v_cndmask_b32_e64 v1, 0, v9, s1
	v_add_nc_u32_e32 v5, v1, v11
	;; [unrolled: 2-line block ×3, first 2 shown]
.LBB208_79:
	s_or_b32 exec_lo, exec_lo, s3
	s_and_saveexec_b32 s0, vcc_lo
	s_cbranch_execz .LBB208_81
; %bb.80:
	v_mov_b32_e32 v4, 0
	s_add_u32 s2, s24, 0x200
	s_addc_u32 s3, s25, 0
	v_mov_b32_e32 v3, 2
	v_mov_b32_e32 v8, s3
	ds_read_b32 v1, v4 offset:56
	s_waitcnt lgkmcnt(1)
	ds_read_u8 v2, v4 offset:60
	v_mov_b32_e32 v7, s2
	s_waitcnt lgkmcnt(0)
	;;#ASMSTART
	global_store_dwordx4 v[7:8], v[1:4] off	
s_waitcnt vmcnt(0)
	;;#ASMEND
.LBB208_81:
	s_or_b32 exec_lo, exec_lo, s0
	v_mov_b32_e32 v7, v9
.LBB208_82:
	s_add_u32 s0, s14, s10
	v_mov_b32_e32 v3, 0
	s_addc_u32 s1, s15, s11
	s_add_u32 s0, s0, s8
	s_addc_u32 s1, s1, s9
	s_and_b32 vcc_lo, exec_lo, s7
	s_cbranch_vccz .LBB208_94
; %bb.83:
	v_mul_u32_u24_e32 v1, 3, v0
	v_mov_b32_e32 v4, 0
	s_waitcnt lgkmcnt(0)
	v_mov_b32_e32 v2, 0
	s_add_i32 s20, s20, s26
	s_mov_b32 s2, exec_lo
	v_cmpx_gt_u32_e64 s20, v1
	s_cbranch_execz .LBB208_89
; %bb.84:
	v_add_nc_u32_e32 v3, 1, v1
	v_mov_b32_e32 v2, 0
	v_mov_b32_e32 v4, 0
	s_mov_b32 s3, exec_lo
	v_cmpx_gt_u32_e64 s20, v3
	s_cbranch_execz .LBB208_88
; %bb.85:
	v_add_nc_u32_e32 v2, 2, v1
	v_cmp_gt_u32_e32 vcc_lo, s20, v2
	v_mov_b32_e32 v2, 0
	s_and_saveexec_b32 s4, vcc_lo
; %bb.86:
	v_mov_b32_e32 v2, v6
; %bb.87:
	s_or_b32 exec_lo, exec_lo, s4
	v_mov_b32_e32 v4, v5
.LBB208_88:
	s_or_b32 exec_lo, exec_lo, s3
	v_mov_b32_e32 v3, v7
.LBB208_89:
	s_or_b32 exec_lo, exec_lo, s2
	v_lshlrev_b32_e32 v8, 2, v1
	s_barrier
	buffer_gl0_inv
	v_sub_nc_u32_e32 v1, v8, v19
	ds_write2_b32 v8, v3, v4 offset1:1
	ds_write_b32 v8, v2 offset:8
	s_waitcnt lgkmcnt(0)
	s_barrier
	buffer_gl0_inv
	ds_read2st64_b32 v[1:2], v1 offset0:4 offset1:8
	v_add_co_u32 v3, s2, s0, v18
	v_add_co_ci_u32_e64 v4, null, s1, 0, s2
	s_mov_b32 s2, exec_lo
	v_cmpx_gt_u32_e64 s20, v0
	s_cbranch_execz .LBB208_91
; %bb.90:
	v_sub_nc_u32_e32 v9, 0, v19
	v_add_nc_u32_e32 v8, v8, v9
	ds_read_b32 v8, v8
	s_waitcnt lgkmcnt(0)
	flat_store_dword v[3:4], v8
.LBB208_91:
	s_or_b32 exec_lo, exec_lo, s2
	v_or_b32_e32 v8, 0x100, v0
	s_mov_b32 s2, exec_lo
	v_cmpx_gt_u32_e64 s20, v8
	s_cbranch_execz .LBB208_93
; %bb.92:
	s_waitcnt lgkmcnt(0)
	flat_store_dword v[3:4], v1 offset:1024
.LBB208_93:
	s_or_b32 exec_lo, exec_lo, s2
	s_waitcnt lgkmcnt(0)
	v_or_b32_e32 v1, 0x200, v0
	v_cmp_gt_u32_e64 s2, s20, v1
	s_branch .LBB208_96
.LBB208_94:
	s_mov_b32 s2, 0
                                        ; implicit-def: $vgpr2
	s_cbranch_execz .LBB208_96
; %bb.95:
	v_mul_u32_u24_e32 v1, 12, v0
	s_waitcnt lgkmcnt(0)
	s_waitcnt_vscnt null, 0x0
	s_barrier
	buffer_gl0_inv
	s_or_b32 s2, s2, exec_lo
	v_sub_nc_u32_e32 v2, v1, v19
	ds_write2_b32 v1, v7, v5 offset1:1
	ds_write_b32 v1, v6 offset:8
	s_waitcnt lgkmcnt(0)
	s_barrier
	buffer_gl0_inv
	ds_read2st64_b32 v[3:4], v2 offset1:4
	ds_read_b32 v2, v2 offset:2048
	v_add_co_u32 v5, s3, s0, v18
	v_add_co_ci_u32_e64 v6, null, s1, 0, s3
	s_waitcnt lgkmcnt(1)
	flat_store_dword v[5:6], v3
	flat_store_dword v[5:6], v4 offset:1024
.LBB208_96:
	s_and_saveexec_b32 s3, s2
	s_cbranch_execnz .LBB208_98
; %bb.97:
	s_endpgm
.LBB208_98:
	v_lshlrev_b32_e32 v0, 2, v0
	v_add_co_u32 v0, s0, s0, v0
	v_add_co_ci_u32_e64 v1, null, s1, 0, s0
	v_add_co_u32 v0, vcc_lo, 0x800, v0
	v_add_co_ci_u32_e64 v1, null, 0, v1, vcc_lo
	s_waitcnt lgkmcnt(0)
	flat_store_dword v[0:1], v2
	s_endpgm
.LBB208_99:
	v_add_co_u32 v2, s0, s3, v9
	v_add_co_ci_u32_e64 v3, null, s21, 0, s0
	v_mov_b32_e32 v11, v1
	v_mov_b32_e32 v12, v1
	flat_load_dword v10, v[2:3]
	s_waitcnt vmcnt(0) lgkmcnt(0)
	v_mov_b32_e32 v1, v10
	v_mov_b32_e32 v2, v11
	;; [unrolled: 1-line block ×3, first 2 shown]
	s_or_b32 exec_lo, exec_lo, s16
	s_and_saveexec_b32 s0, s1
	s_cbranch_execz .LBB208_15
.LBB208_100:
	v_add_co_u32 v10, s1, s3, v9
	v_add_co_ci_u32_e64 v11, null, s21, 0, s1
	flat_load_dword v2, v[10:11] offset:1024
	s_or_b32 exec_lo, exec_lo, s0
	s_and_saveexec_b32 s0, s2
	s_cbranch_execnz .LBB208_16
	s_branch .LBB208_17
.LBB208_101:
                                        ; implicit-def: $sgpr16_sgpr17
	s_branch .LBB208_10
.LBB208_102:
                                        ; implicit-def: $sgpr0_sgpr1
	s_branch .LBB208_26
	.section	.rodata,"a",@progbits
	.p2align	6, 0x0
	.amdhsa_kernel _ZN7rocprim17ROCPRIM_400000_NS6detail17trampoline_kernelINS0_14default_configENS1_27scan_by_key_config_selectorIiiEEZZNS1_16scan_by_key_implILNS1_25lookback_scan_determinismE0ELb0ES3_N6thrust23THRUST_200600_302600_NS6detail15normal_iteratorINS9_10device_ptrIiEEEESE_SE_iNS9_4plusIvEENS9_8equal_toIiEEiEE10hipError_tPvRmT2_T3_T4_T5_mT6_T7_P12ihipStream_tbENKUlT_T0_E_clISt17integral_constantIbLb0EESZ_EEDaSU_SV_EUlSU_E_NS1_11comp_targetILNS1_3genE8ELNS1_11target_archE1030ELNS1_3gpuE2ELNS1_3repE0EEENS1_30default_config_static_selectorELNS0_4arch9wavefront6targetE0EEEvT1_
		.amdhsa_group_segment_fixed_size 5120
		.amdhsa_private_segment_fixed_size 0
		.amdhsa_kernarg_size 112
		.amdhsa_user_sgpr_count 6
		.amdhsa_user_sgpr_private_segment_buffer 1
		.amdhsa_user_sgpr_dispatch_ptr 0
		.amdhsa_user_sgpr_queue_ptr 0
		.amdhsa_user_sgpr_kernarg_segment_ptr 1
		.amdhsa_user_sgpr_dispatch_id 0
		.amdhsa_user_sgpr_flat_scratch_init 0
		.amdhsa_user_sgpr_private_segment_size 0
		.amdhsa_wavefront_size32 1
		.amdhsa_uses_dynamic_stack 0
		.amdhsa_system_sgpr_private_segment_wavefront_offset 0
		.amdhsa_system_sgpr_workgroup_id_x 1
		.amdhsa_system_sgpr_workgroup_id_y 0
		.amdhsa_system_sgpr_workgroup_id_z 0
		.amdhsa_system_sgpr_workgroup_info 0
		.amdhsa_system_vgpr_workitem_id 0
		.amdhsa_next_free_vgpr 42
		.amdhsa_next_free_sgpr 31
		.amdhsa_reserve_vcc 1
		.amdhsa_reserve_flat_scratch 1
		.amdhsa_float_round_mode_32 0
		.amdhsa_float_round_mode_16_64 0
		.amdhsa_float_denorm_mode_32 3
		.amdhsa_float_denorm_mode_16_64 3
		.amdhsa_dx10_clamp 1
		.amdhsa_ieee_mode 1
		.amdhsa_fp16_overflow 0
		.amdhsa_workgroup_processor_mode 1
		.amdhsa_memory_ordered 1
		.amdhsa_forward_progress 1
		.amdhsa_shared_vgpr_count 0
		.amdhsa_exception_fp_ieee_invalid_op 0
		.amdhsa_exception_fp_denorm_src 0
		.amdhsa_exception_fp_ieee_div_zero 0
		.amdhsa_exception_fp_ieee_overflow 0
		.amdhsa_exception_fp_ieee_underflow 0
		.amdhsa_exception_fp_ieee_inexact 0
		.amdhsa_exception_int_div_zero 0
	.end_amdhsa_kernel
	.section	.text._ZN7rocprim17ROCPRIM_400000_NS6detail17trampoline_kernelINS0_14default_configENS1_27scan_by_key_config_selectorIiiEEZZNS1_16scan_by_key_implILNS1_25lookback_scan_determinismE0ELb0ES3_N6thrust23THRUST_200600_302600_NS6detail15normal_iteratorINS9_10device_ptrIiEEEESE_SE_iNS9_4plusIvEENS9_8equal_toIiEEiEE10hipError_tPvRmT2_T3_T4_T5_mT6_T7_P12ihipStream_tbENKUlT_T0_E_clISt17integral_constantIbLb0EESZ_EEDaSU_SV_EUlSU_E_NS1_11comp_targetILNS1_3genE8ELNS1_11target_archE1030ELNS1_3gpuE2ELNS1_3repE0EEENS1_30default_config_static_selectorELNS0_4arch9wavefront6targetE0EEEvT1_,"axG",@progbits,_ZN7rocprim17ROCPRIM_400000_NS6detail17trampoline_kernelINS0_14default_configENS1_27scan_by_key_config_selectorIiiEEZZNS1_16scan_by_key_implILNS1_25lookback_scan_determinismE0ELb0ES3_N6thrust23THRUST_200600_302600_NS6detail15normal_iteratorINS9_10device_ptrIiEEEESE_SE_iNS9_4plusIvEENS9_8equal_toIiEEiEE10hipError_tPvRmT2_T3_T4_T5_mT6_T7_P12ihipStream_tbENKUlT_T0_E_clISt17integral_constantIbLb0EESZ_EEDaSU_SV_EUlSU_E_NS1_11comp_targetILNS1_3genE8ELNS1_11target_archE1030ELNS1_3gpuE2ELNS1_3repE0EEENS1_30default_config_static_selectorELNS0_4arch9wavefront6targetE0EEEvT1_,comdat
.Lfunc_end208:
	.size	_ZN7rocprim17ROCPRIM_400000_NS6detail17trampoline_kernelINS0_14default_configENS1_27scan_by_key_config_selectorIiiEEZZNS1_16scan_by_key_implILNS1_25lookback_scan_determinismE0ELb0ES3_N6thrust23THRUST_200600_302600_NS6detail15normal_iteratorINS9_10device_ptrIiEEEESE_SE_iNS9_4plusIvEENS9_8equal_toIiEEiEE10hipError_tPvRmT2_T3_T4_T5_mT6_T7_P12ihipStream_tbENKUlT_T0_E_clISt17integral_constantIbLb0EESZ_EEDaSU_SV_EUlSU_E_NS1_11comp_targetILNS1_3genE8ELNS1_11target_archE1030ELNS1_3gpuE2ELNS1_3repE0EEENS1_30default_config_static_selectorELNS0_4arch9wavefront6targetE0EEEvT1_, .Lfunc_end208-_ZN7rocprim17ROCPRIM_400000_NS6detail17trampoline_kernelINS0_14default_configENS1_27scan_by_key_config_selectorIiiEEZZNS1_16scan_by_key_implILNS1_25lookback_scan_determinismE0ELb0ES3_N6thrust23THRUST_200600_302600_NS6detail15normal_iteratorINS9_10device_ptrIiEEEESE_SE_iNS9_4plusIvEENS9_8equal_toIiEEiEE10hipError_tPvRmT2_T3_T4_T5_mT6_T7_P12ihipStream_tbENKUlT_T0_E_clISt17integral_constantIbLb0EESZ_EEDaSU_SV_EUlSU_E_NS1_11comp_targetILNS1_3genE8ELNS1_11target_archE1030ELNS1_3gpuE2ELNS1_3repE0EEENS1_30default_config_static_selectorELNS0_4arch9wavefront6targetE0EEEvT1_
                                        ; -- End function
	.set _ZN7rocprim17ROCPRIM_400000_NS6detail17trampoline_kernelINS0_14default_configENS1_27scan_by_key_config_selectorIiiEEZZNS1_16scan_by_key_implILNS1_25lookback_scan_determinismE0ELb0ES3_N6thrust23THRUST_200600_302600_NS6detail15normal_iteratorINS9_10device_ptrIiEEEESE_SE_iNS9_4plusIvEENS9_8equal_toIiEEiEE10hipError_tPvRmT2_T3_T4_T5_mT6_T7_P12ihipStream_tbENKUlT_T0_E_clISt17integral_constantIbLb0EESZ_EEDaSU_SV_EUlSU_E_NS1_11comp_targetILNS1_3genE8ELNS1_11target_archE1030ELNS1_3gpuE2ELNS1_3repE0EEENS1_30default_config_static_selectorELNS0_4arch9wavefront6targetE0EEEvT1_.num_vgpr, 42
	.set _ZN7rocprim17ROCPRIM_400000_NS6detail17trampoline_kernelINS0_14default_configENS1_27scan_by_key_config_selectorIiiEEZZNS1_16scan_by_key_implILNS1_25lookback_scan_determinismE0ELb0ES3_N6thrust23THRUST_200600_302600_NS6detail15normal_iteratorINS9_10device_ptrIiEEEESE_SE_iNS9_4plusIvEENS9_8equal_toIiEEiEE10hipError_tPvRmT2_T3_T4_T5_mT6_T7_P12ihipStream_tbENKUlT_T0_E_clISt17integral_constantIbLb0EESZ_EEDaSU_SV_EUlSU_E_NS1_11comp_targetILNS1_3genE8ELNS1_11target_archE1030ELNS1_3gpuE2ELNS1_3repE0EEENS1_30default_config_static_selectorELNS0_4arch9wavefront6targetE0EEEvT1_.num_agpr, 0
	.set _ZN7rocprim17ROCPRIM_400000_NS6detail17trampoline_kernelINS0_14default_configENS1_27scan_by_key_config_selectorIiiEEZZNS1_16scan_by_key_implILNS1_25lookback_scan_determinismE0ELb0ES3_N6thrust23THRUST_200600_302600_NS6detail15normal_iteratorINS9_10device_ptrIiEEEESE_SE_iNS9_4plusIvEENS9_8equal_toIiEEiEE10hipError_tPvRmT2_T3_T4_T5_mT6_T7_P12ihipStream_tbENKUlT_T0_E_clISt17integral_constantIbLb0EESZ_EEDaSU_SV_EUlSU_E_NS1_11comp_targetILNS1_3genE8ELNS1_11target_archE1030ELNS1_3gpuE2ELNS1_3repE0EEENS1_30default_config_static_selectorELNS0_4arch9wavefront6targetE0EEEvT1_.numbered_sgpr, 31
	.set _ZN7rocprim17ROCPRIM_400000_NS6detail17trampoline_kernelINS0_14default_configENS1_27scan_by_key_config_selectorIiiEEZZNS1_16scan_by_key_implILNS1_25lookback_scan_determinismE0ELb0ES3_N6thrust23THRUST_200600_302600_NS6detail15normal_iteratorINS9_10device_ptrIiEEEESE_SE_iNS9_4plusIvEENS9_8equal_toIiEEiEE10hipError_tPvRmT2_T3_T4_T5_mT6_T7_P12ihipStream_tbENKUlT_T0_E_clISt17integral_constantIbLb0EESZ_EEDaSU_SV_EUlSU_E_NS1_11comp_targetILNS1_3genE8ELNS1_11target_archE1030ELNS1_3gpuE2ELNS1_3repE0EEENS1_30default_config_static_selectorELNS0_4arch9wavefront6targetE0EEEvT1_.num_named_barrier, 0
	.set _ZN7rocprim17ROCPRIM_400000_NS6detail17trampoline_kernelINS0_14default_configENS1_27scan_by_key_config_selectorIiiEEZZNS1_16scan_by_key_implILNS1_25lookback_scan_determinismE0ELb0ES3_N6thrust23THRUST_200600_302600_NS6detail15normal_iteratorINS9_10device_ptrIiEEEESE_SE_iNS9_4plusIvEENS9_8equal_toIiEEiEE10hipError_tPvRmT2_T3_T4_T5_mT6_T7_P12ihipStream_tbENKUlT_T0_E_clISt17integral_constantIbLb0EESZ_EEDaSU_SV_EUlSU_E_NS1_11comp_targetILNS1_3genE8ELNS1_11target_archE1030ELNS1_3gpuE2ELNS1_3repE0EEENS1_30default_config_static_selectorELNS0_4arch9wavefront6targetE0EEEvT1_.private_seg_size, 0
	.set _ZN7rocprim17ROCPRIM_400000_NS6detail17trampoline_kernelINS0_14default_configENS1_27scan_by_key_config_selectorIiiEEZZNS1_16scan_by_key_implILNS1_25lookback_scan_determinismE0ELb0ES3_N6thrust23THRUST_200600_302600_NS6detail15normal_iteratorINS9_10device_ptrIiEEEESE_SE_iNS9_4plusIvEENS9_8equal_toIiEEiEE10hipError_tPvRmT2_T3_T4_T5_mT6_T7_P12ihipStream_tbENKUlT_T0_E_clISt17integral_constantIbLb0EESZ_EEDaSU_SV_EUlSU_E_NS1_11comp_targetILNS1_3genE8ELNS1_11target_archE1030ELNS1_3gpuE2ELNS1_3repE0EEENS1_30default_config_static_selectorELNS0_4arch9wavefront6targetE0EEEvT1_.uses_vcc, 1
	.set _ZN7rocprim17ROCPRIM_400000_NS6detail17trampoline_kernelINS0_14default_configENS1_27scan_by_key_config_selectorIiiEEZZNS1_16scan_by_key_implILNS1_25lookback_scan_determinismE0ELb0ES3_N6thrust23THRUST_200600_302600_NS6detail15normal_iteratorINS9_10device_ptrIiEEEESE_SE_iNS9_4plusIvEENS9_8equal_toIiEEiEE10hipError_tPvRmT2_T3_T4_T5_mT6_T7_P12ihipStream_tbENKUlT_T0_E_clISt17integral_constantIbLb0EESZ_EEDaSU_SV_EUlSU_E_NS1_11comp_targetILNS1_3genE8ELNS1_11target_archE1030ELNS1_3gpuE2ELNS1_3repE0EEENS1_30default_config_static_selectorELNS0_4arch9wavefront6targetE0EEEvT1_.uses_flat_scratch, 1
	.set _ZN7rocprim17ROCPRIM_400000_NS6detail17trampoline_kernelINS0_14default_configENS1_27scan_by_key_config_selectorIiiEEZZNS1_16scan_by_key_implILNS1_25lookback_scan_determinismE0ELb0ES3_N6thrust23THRUST_200600_302600_NS6detail15normal_iteratorINS9_10device_ptrIiEEEESE_SE_iNS9_4plusIvEENS9_8equal_toIiEEiEE10hipError_tPvRmT2_T3_T4_T5_mT6_T7_P12ihipStream_tbENKUlT_T0_E_clISt17integral_constantIbLb0EESZ_EEDaSU_SV_EUlSU_E_NS1_11comp_targetILNS1_3genE8ELNS1_11target_archE1030ELNS1_3gpuE2ELNS1_3repE0EEENS1_30default_config_static_selectorELNS0_4arch9wavefront6targetE0EEEvT1_.has_dyn_sized_stack, 0
	.set _ZN7rocprim17ROCPRIM_400000_NS6detail17trampoline_kernelINS0_14default_configENS1_27scan_by_key_config_selectorIiiEEZZNS1_16scan_by_key_implILNS1_25lookback_scan_determinismE0ELb0ES3_N6thrust23THRUST_200600_302600_NS6detail15normal_iteratorINS9_10device_ptrIiEEEESE_SE_iNS9_4plusIvEENS9_8equal_toIiEEiEE10hipError_tPvRmT2_T3_T4_T5_mT6_T7_P12ihipStream_tbENKUlT_T0_E_clISt17integral_constantIbLb0EESZ_EEDaSU_SV_EUlSU_E_NS1_11comp_targetILNS1_3genE8ELNS1_11target_archE1030ELNS1_3gpuE2ELNS1_3repE0EEENS1_30default_config_static_selectorELNS0_4arch9wavefront6targetE0EEEvT1_.has_recursion, 0
	.set _ZN7rocprim17ROCPRIM_400000_NS6detail17trampoline_kernelINS0_14default_configENS1_27scan_by_key_config_selectorIiiEEZZNS1_16scan_by_key_implILNS1_25lookback_scan_determinismE0ELb0ES3_N6thrust23THRUST_200600_302600_NS6detail15normal_iteratorINS9_10device_ptrIiEEEESE_SE_iNS9_4plusIvEENS9_8equal_toIiEEiEE10hipError_tPvRmT2_T3_T4_T5_mT6_T7_P12ihipStream_tbENKUlT_T0_E_clISt17integral_constantIbLb0EESZ_EEDaSU_SV_EUlSU_E_NS1_11comp_targetILNS1_3genE8ELNS1_11target_archE1030ELNS1_3gpuE2ELNS1_3repE0EEENS1_30default_config_static_selectorELNS0_4arch9wavefront6targetE0EEEvT1_.has_indirect_call, 0
	.section	.AMDGPU.csdata,"",@progbits
; Kernel info:
; codeLenInByte = 6228
; TotalNumSgprs: 33
; NumVgprs: 42
; ScratchSize: 0
; MemoryBound: 0
; FloatMode: 240
; IeeeMode: 1
; LDSByteSize: 5120 bytes/workgroup (compile time only)
; SGPRBlocks: 0
; VGPRBlocks: 5
; NumSGPRsForWavesPerEU: 33
; NumVGPRsForWavesPerEU: 42
; Occupancy: 16
; WaveLimiterHint : 1
; COMPUTE_PGM_RSRC2:SCRATCH_EN: 0
; COMPUTE_PGM_RSRC2:USER_SGPR: 6
; COMPUTE_PGM_RSRC2:TRAP_HANDLER: 0
; COMPUTE_PGM_RSRC2:TGID_X_EN: 1
; COMPUTE_PGM_RSRC2:TGID_Y_EN: 0
; COMPUTE_PGM_RSRC2:TGID_Z_EN: 0
; COMPUTE_PGM_RSRC2:TIDIG_COMP_CNT: 0
	.section	.text._ZN7rocprim17ROCPRIM_400000_NS6detail17trampoline_kernelINS0_14default_configENS1_27scan_by_key_config_selectorIiiEEZZNS1_16scan_by_key_implILNS1_25lookback_scan_determinismE0ELb0ES3_N6thrust23THRUST_200600_302600_NS6detail15normal_iteratorINS9_10device_ptrIiEEEESE_SE_iNS9_4plusIvEENS9_8equal_toIiEEiEE10hipError_tPvRmT2_T3_T4_T5_mT6_T7_P12ihipStream_tbENKUlT_T0_E_clISt17integral_constantIbLb1EESZ_EEDaSU_SV_EUlSU_E_NS1_11comp_targetILNS1_3genE0ELNS1_11target_archE4294967295ELNS1_3gpuE0ELNS1_3repE0EEENS1_30default_config_static_selectorELNS0_4arch9wavefront6targetE0EEEvT1_,"axG",@progbits,_ZN7rocprim17ROCPRIM_400000_NS6detail17trampoline_kernelINS0_14default_configENS1_27scan_by_key_config_selectorIiiEEZZNS1_16scan_by_key_implILNS1_25lookback_scan_determinismE0ELb0ES3_N6thrust23THRUST_200600_302600_NS6detail15normal_iteratorINS9_10device_ptrIiEEEESE_SE_iNS9_4plusIvEENS9_8equal_toIiEEiEE10hipError_tPvRmT2_T3_T4_T5_mT6_T7_P12ihipStream_tbENKUlT_T0_E_clISt17integral_constantIbLb1EESZ_EEDaSU_SV_EUlSU_E_NS1_11comp_targetILNS1_3genE0ELNS1_11target_archE4294967295ELNS1_3gpuE0ELNS1_3repE0EEENS1_30default_config_static_selectorELNS0_4arch9wavefront6targetE0EEEvT1_,comdat
	.protected	_ZN7rocprim17ROCPRIM_400000_NS6detail17trampoline_kernelINS0_14default_configENS1_27scan_by_key_config_selectorIiiEEZZNS1_16scan_by_key_implILNS1_25lookback_scan_determinismE0ELb0ES3_N6thrust23THRUST_200600_302600_NS6detail15normal_iteratorINS9_10device_ptrIiEEEESE_SE_iNS9_4plusIvEENS9_8equal_toIiEEiEE10hipError_tPvRmT2_T3_T4_T5_mT6_T7_P12ihipStream_tbENKUlT_T0_E_clISt17integral_constantIbLb1EESZ_EEDaSU_SV_EUlSU_E_NS1_11comp_targetILNS1_3genE0ELNS1_11target_archE4294967295ELNS1_3gpuE0ELNS1_3repE0EEENS1_30default_config_static_selectorELNS0_4arch9wavefront6targetE0EEEvT1_ ; -- Begin function _ZN7rocprim17ROCPRIM_400000_NS6detail17trampoline_kernelINS0_14default_configENS1_27scan_by_key_config_selectorIiiEEZZNS1_16scan_by_key_implILNS1_25lookback_scan_determinismE0ELb0ES3_N6thrust23THRUST_200600_302600_NS6detail15normal_iteratorINS9_10device_ptrIiEEEESE_SE_iNS9_4plusIvEENS9_8equal_toIiEEiEE10hipError_tPvRmT2_T3_T4_T5_mT6_T7_P12ihipStream_tbENKUlT_T0_E_clISt17integral_constantIbLb1EESZ_EEDaSU_SV_EUlSU_E_NS1_11comp_targetILNS1_3genE0ELNS1_11target_archE4294967295ELNS1_3gpuE0ELNS1_3repE0EEENS1_30default_config_static_selectorELNS0_4arch9wavefront6targetE0EEEvT1_
	.globl	_ZN7rocprim17ROCPRIM_400000_NS6detail17trampoline_kernelINS0_14default_configENS1_27scan_by_key_config_selectorIiiEEZZNS1_16scan_by_key_implILNS1_25lookback_scan_determinismE0ELb0ES3_N6thrust23THRUST_200600_302600_NS6detail15normal_iteratorINS9_10device_ptrIiEEEESE_SE_iNS9_4plusIvEENS9_8equal_toIiEEiEE10hipError_tPvRmT2_T3_T4_T5_mT6_T7_P12ihipStream_tbENKUlT_T0_E_clISt17integral_constantIbLb1EESZ_EEDaSU_SV_EUlSU_E_NS1_11comp_targetILNS1_3genE0ELNS1_11target_archE4294967295ELNS1_3gpuE0ELNS1_3repE0EEENS1_30default_config_static_selectorELNS0_4arch9wavefront6targetE0EEEvT1_
	.p2align	8
	.type	_ZN7rocprim17ROCPRIM_400000_NS6detail17trampoline_kernelINS0_14default_configENS1_27scan_by_key_config_selectorIiiEEZZNS1_16scan_by_key_implILNS1_25lookback_scan_determinismE0ELb0ES3_N6thrust23THRUST_200600_302600_NS6detail15normal_iteratorINS9_10device_ptrIiEEEESE_SE_iNS9_4plusIvEENS9_8equal_toIiEEiEE10hipError_tPvRmT2_T3_T4_T5_mT6_T7_P12ihipStream_tbENKUlT_T0_E_clISt17integral_constantIbLb1EESZ_EEDaSU_SV_EUlSU_E_NS1_11comp_targetILNS1_3genE0ELNS1_11target_archE4294967295ELNS1_3gpuE0ELNS1_3repE0EEENS1_30default_config_static_selectorELNS0_4arch9wavefront6targetE0EEEvT1_,@function
_ZN7rocprim17ROCPRIM_400000_NS6detail17trampoline_kernelINS0_14default_configENS1_27scan_by_key_config_selectorIiiEEZZNS1_16scan_by_key_implILNS1_25lookback_scan_determinismE0ELb0ES3_N6thrust23THRUST_200600_302600_NS6detail15normal_iteratorINS9_10device_ptrIiEEEESE_SE_iNS9_4plusIvEENS9_8equal_toIiEEiEE10hipError_tPvRmT2_T3_T4_T5_mT6_T7_P12ihipStream_tbENKUlT_T0_E_clISt17integral_constantIbLb1EESZ_EEDaSU_SV_EUlSU_E_NS1_11comp_targetILNS1_3genE0ELNS1_11target_archE4294967295ELNS1_3gpuE0ELNS1_3repE0EEENS1_30default_config_static_selectorELNS0_4arch9wavefront6targetE0EEEvT1_: ; @_ZN7rocprim17ROCPRIM_400000_NS6detail17trampoline_kernelINS0_14default_configENS1_27scan_by_key_config_selectorIiiEEZZNS1_16scan_by_key_implILNS1_25lookback_scan_determinismE0ELb0ES3_N6thrust23THRUST_200600_302600_NS6detail15normal_iteratorINS9_10device_ptrIiEEEESE_SE_iNS9_4plusIvEENS9_8equal_toIiEEiEE10hipError_tPvRmT2_T3_T4_T5_mT6_T7_P12ihipStream_tbENKUlT_T0_E_clISt17integral_constantIbLb1EESZ_EEDaSU_SV_EUlSU_E_NS1_11comp_targetILNS1_3genE0ELNS1_11target_archE4294967295ELNS1_3gpuE0ELNS1_3repE0EEENS1_30default_config_static_selectorELNS0_4arch9wavefront6targetE0EEEvT1_
; %bb.0:
	.section	.rodata,"a",@progbits
	.p2align	6, 0x0
	.amdhsa_kernel _ZN7rocprim17ROCPRIM_400000_NS6detail17trampoline_kernelINS0_14default_configENS1_27scan_by_key_config_selectorIiiEEZZNS1_16scan_by_key_implILNS1_25lookback_scan_determinismE0ELb0ES3_N6thrust23THRUST_200600_302600_NS6detail15normal_iteratorINS9_10device_ptrIiEEEESE_SE_iNS9_4plusIvEENS9_8equal_toIiEEiEE10hipError_tPvRmT2_T3_T4_T5_mT6_T7_P12ihipStream_tbENKUlT_T0_E_clISt17integral_constantIbLb1EESZ_EEDaSU_SV_EUlSU_E_NS1_11comp_targetILNS1_3genE0ELNS1_11target_archE4294967295ELNS1_3gpuE0ELNS1_3repE0EEENS1_30default_config_static_selectorELNS0_4arch9wavefront6targetE0EEEvT1_
		.amdhsa_group_segment_fixed_size 0
		.amdhsa_private_segment_fixed_size 0
		.amdhsa_kernarg_size 112
		.amdhsa_user_sgpr_count 6
		.amdhsa_user_sgpr_private_segment_buffer 1
		.amdhsa_user_sgpr_dispatch_ptr 0
		.amdhsa_user_sgpr_queue_ptr 0
		.amdhsa_user_sgpr_kernarg_segment_ptr 1
		.amdhsa_user_sgpr_dispatch_id 0
		.amdhsa_user_sgpr_flat_scratch_init 0
		.amdhsa_user_sgpr_private_segment_size 0
		.amdhsa_wavefront_size32 1
		.amdhsa_uses_dynamic_stack 0
		.amdhsa_system_sgpr_private_segment_wavefront_offset 0
		.amdhsa_system_sgpr_workgroup_id_x 1
		.amdhsa_system_sgpr_workgroup_id_y 0
		.amdhsa_system_sgpr_workgroup_id_z 0
		.amdhsa_system_sgpr_workgroup_info 0
		.amdhsa_system_vgpr_workitem_id 0
		.amdhsa_next_free_vgpr 1
		.amdhsa_next_free_sgpr 1
		.amdhsa_reserve_vcc 0
		.amdhsa_reserve_flat_scratch 0
		.amdhsa_float_round_mode_32 0
		.amdhsa_float_round_mode_16_64 0
		.amdhsa_float_denorm_mode_32 3
		.amdhsa_float_denorm_mode_16_64 3
		.amdhsa_dx10_clamp 1
		.amdhsa_ieee_mode 1
		.amdhsa_fp16_overflow 0
		.amdhsa_workgroup_processor_mode 1
		.amdhsa_memory_ordered 1
		.amdhsa_forward_progress 1
		.amdhsa_shared_vgpr_count 0
		.amdhsa_exception_fp_ieee_invalid_op 0
		.amdhsa_exception_fp_denorm_src 0
		.amdhsa_exception_fp_ieee_div_zero 0
		.amdhsa_exception_fp_ieee_overflow 0
		.amdhsa_exception_fp_ieee_underflow 0
		.amdhsa_exception_fp_ieee_inexact 0
		.amdhsa_exception_int_div_zero 0
	.end_amdhsa_kernel
	.section	.text._ZN7rocprim17ROCPRIM_400000_NS6detail17trampoline_kernelINS0_14default_configENS1_27scan_by_key_config_selectorIiiEEZZNS1_16scan_by_key_implILNS1_25lookback_scan_determinismE0ELb0ES3_N6thrust23THRUST_200600_302600_NS6detail15normal_iteratorINS9_10device_ptrIiEEEESE_SE_iNS9_4plusIvEENS9_8equal_toIiEEiEE10hipError_tPvRmT2_T3_T4_T5_mT6_T7_P12ihipStream_tbENKUlT_T0_E_clISt17integral_constantIbLb1EESZ_EEDaSU_SV_EUlSU_E_NS1_11comp_targetILNS1_3genE0ELNS1_11target_archE4294967295ELNS1_3gpuE0ELNS1_3repE0EEENS1_30default_config_static_selectorELNS0_4arch9wavefront6targetE0EEEvT1_,"axG",@progbits,_ZN7rocprim17ROCPRIM_400000_NS6detail17trampoline_kernelINS0_14default_configENS1_27scan_by_key_config_selectorIiiEEZZNS1_16scan_by_key_implILNS1_25lookback_scan_determinismE0ELb0ES3_N6thrust23THRUST_200600_302600_NS6detail15normal_iteratorINS9_10device_ptrIiEEEESE_SE_iNS9_4plusIvEENS9_8equal_toIiEEiEE10hipError_tPvRmT2_T3_T4_T5_mT6_T7_P12ihipStream_tbENKUlT_T0_E_clISt17integral_constantIbLb1EESZ_EEDaSU_SV_EUlSU_E_NS1_11comp_targetILNS1_3genE0ELNS1_11target_archE4294967295ELNS1_3gpuE0ELNS1_3repE0EEENS1_30default_config_static_selectorELNS0_4arch9wavefront6targetE0EEEvT1_,comdat
.Lfunc_end209:
	.size	_ZN7rocprim17ROCPRIM_400000_NS6detail17trampoline_kernelINS0_14default_configENS1_27scan_by_key_config_selectorIiiEEZZNS1_16scan_by_key_implILNS1_25lookback_scan_determinismE0ELb0ES3_N6thrust23THRUST_200600_302600_NS6detail15normal_iteratorINS9_10device_ptrIiEEEESE_SE_iNS9_4plusIvEENS9_8equal_toIiEEiEE10hipError_tPvRmT2_T3_T4_T5_mT6_T7_P12ihipStream_tbENKUlT_T0_E_clISt17integral_constantIbLb1EESZ_EEDaSU_SV_EUlSU_E_NS1_11comp_targetILNS1_3genE0ELNS1_11target_archE4294967295ELNS1_3gpuE0ELNS1_3repE0EEENS1_30default_config_static_selectorELNS0_4arch9wavefront6targetE0EEEvT1_, .Lfunc_end209-_ZN7rocprim17ROCPRIM_400000_NS6detail17trampoline_kernelINS0_14default_configENS1_27scan_by_key_config_selectorIiiEEZZNS1_16scan_by_key_implILNS1_25lookback_scan_determinismE0ELb0ES3_N6thrust23THRUST_200600_302600_NS6detail15normal_iteratorINS9_10device_ptrIiEEEESE_SE_iNS9_4plusIvEENS9_8equal_toIiEEiEE10hipError_tPvRmT2_T3_T4_T5_mT6_T7_P12ihipStream_tbENKUlT_T0_E_clISt17integral_constantIbLb1EESZ_EEDaSU_SV_EUlSU_E_NS1_11comp_targetILNS1_3genE0ELNS1_11target_archE4294967295ELNS1_3gpuE0ELNS1_3repE0EEENS1_30default_config_static_selectorELNS0_4arch9wavefront6targetE0EEEvT1_
                                        ; -- End function
	.set _ZN7rocprim17ROCPRIM_400000_NS6detail17trampoline_kernelINS0_14default_configENS1_27scan_by_key_config_selectorIiiEEZZNS1_16scan_by_key_implILNS1_25lookback_scan_determinismE0ELb0ES3_N6thrust23THRUST_200600_302600_NS6detail15normal_iteratorINS9_10device_ptrIiEEEESE_SE_iNS9_4plusIvEENS9_8equal_toIiEEiEE10hipError_tPvRmT2_T3_T4_T5_mT6_T7_P12ihipStream_tbENKUlT_T0_E_clISt17integral_constantIbLb1EESZ_EEDaSU_SV_EUlSU_E_NS1_11comp_targetILNS1_3genE0ELNS1_11target_archE4294967295ELNS1_3gpuE0ELNS1_3repE0EEENS1_30default_config_static_selectorELNS0_4arch9wavefront6targetE0EEEvT1_.num_vgpr, 0
	.set _ZN7rocprim17ROCPRIM_400000_NS6detail17trampoline_kernelINS0_14default_configENS1_27scan_by_key_config_selectorIiiEEZZNS1_16scan_by_key_implILNS1_25lookback_scan_determinismE0ELb0ES3_N6thrust23THRUST_200600_302600_NS6detail15normal_iteratorINS9_10device_ptrIiEEEESE_SE_iNS9_4plusIvEENS9_8equal_toIiEEiEE10hipError_tPvRmT2_T3_T4_T5_mT6_T7_P12ihipStream_tbENKUlT_T0_E_clISt17integral_constantIbLb1EESZ_EEDaSU_SV_EUlSU_E_NS1_11comp_targetILNS1_3genE0ELNS1_11target_archE4294967295ELNS1_3gpuE0ELNS1_3repE0EEENS1_30default_config_static_selectorELNS0_4arch9wavefront6targetE0EEEvT1_.num_agpr, 0
	.set _ZN7rocprim17ROCPRIM_400000_NS6detail17trampoline_kernelINS0_14default_configENS1_27scan_by_key_config_selectorIiiEEZZNS1_16scan_by_key_implILNS1_25lookback_scan_determinismE0ELb0ES3_N6thrust23THRUST_200600_302600_NS6detail15normal_iteratorINS9_10device_ptrIiEEEESE_SE_iNS9_4plusIvEENS9_8equal_toIiEEiEE10hipError_tPvRmT2_T3_T4_T5_mT6_T7_P12ihipStream_tbENKUlT_T0_E_clISt17integral_constantIbLb1EESZ_EEDaSU_SV_EUlSU_E_NS1_11comp_targetILNS1_3genE0ELNS1_11target_archE4294967295ELNS1_3gpuE0ELNS1_3repE0EEENS1_30default_config_static_selectorELNS0_4arch9wavefront6targetE0EEEvT1_.numbered_sgpr, 0
	.set _ZN7rocprim17ROCPRIM_400000_NS6detail17trampoline_kernelINS0_14default_configENS1_27scan_by_key_config_selectorIiiEEZZNS1_16scan_by_key_implILNS1_25lookback_scan_determinismE0ELb0ES3_N6thrust23THRUST_200600_302600_NS6detail15normal_iteratorINS9_10device_ptrIiEEEESE_SE_iNS9_4plusIvEENS9_8equal_toIiEEiEE10hipError_tPvRmT2_T3_T4_T5_mT6_T7_P12ihipStream_tbENKUlT_T0_E_clISt17integral_constantIbLb1EESZ_EEDaSU_SV_EUlSU_E_NS1_11comp_targetILNS1_3genE0ELNS1_11target_archE4294967295ELNS1_3gpuE0ELNS1_3repE0EEENS1_30default_config_static_selectorELNS0_4arch9wavefront6targetE0EEEvT1_.num_named_barrier, 0
	.set _ZN7rocprim17ROCPRIM_400000_NS6detail17trampoline_kernelINS0_14default_configENS1_27scan_by_key_config_selectorIiiEEZZNS1_16scan_by_key_implILNS1_25lookback_scan_determinismE0ELb0ES3_N6thrust23THRUST_200600_302600_NS6detail15normal_iteratorINS9_10device_ptrIiEEEESE_SE_iNS9_4plusIvEENS9_8equal_toIiEEiEE10hipError_tPvRmT2_T3_T4_T5_mT6_T7_P12ihipStream_tbENKUlT_T0_E_clISt17integral_constantIbLb1EESZ_EEDaSU_SV_EUlSU_E_NS1_11comp_targetILNS1_3genE0ELNS1_11target_archE4294967295ELNS1_3gpuE0ELNS1_3repE0EEENS1_30default_config_static_selectorELNS0_4arch9wavefront6targetE0EEEvT1_.private_seg_size, 0
	.set _ZN7rocprim17ROCPRIM_400000_NS6detail17trampoline_kernelINS0_14default_configENS1_27scan_by_key_config_selectorIiiEEZZNS1_16scan_by_key_implILNS1_25lookback_scan_determinismE0ELb0ES3_N6thrust23THRUST_200600_302600_NS6detail15normal_iteratorINS9_10device_ptrIiEEEESE_SE_iNS9_4plusIvEENS9_8equal_toIiEEiEE10hipError_tPvRmT2_T3_T4_T5_mT6_T7_P12ihipStream_tbENKUlT_T0_E_clISt17integral_constantIbLb1EESZ_EEDaSU_SV_EUlSU_E_NS1_11comp_targetILNS1_3genE0ELNS1_11target_archE4294967295ELNS1_3gpuE0ELNS1_3repE0EEENS1_30default_config_static_selectorELNS0_4arch9wavefront6targetE0EEEvT1_.uses_vcc, 0
	.set _ZN7rocprim17ROCPRIM_400000_NS6detail17trampoline_kernelINS0_14default_configENS1_27scan_by_key_config_selectorIiiEEZZNS1_16scan_by_key_implILNS1_25lookback_scan_determinismE0ELb0ES3_N6thrust23THRUST_200600_302600_NS6detail15normal_iteratorINS9_10device_ptrIiEEEESE_SE_iNS9_4plusIvEENS9_8equal_toIiEEiEE10hipError_tPvRmT2_T3_T4_T5_mT6_T7_P12ihipStream_tbENKUlT_T0_E_clISt17integral_constantIbLb1EESZ_EEDaSU_SV_EUlSU_E_NS1_11comp_targetILNS1_3genE0ELNS1_11target_archE4294967295ELNS1_3gpuE0ELNS1_3repE0EEENS1_30default_config_static_selectorELNS0_4arch9wavefront6targetE0EEEvT1_.uses_flat_scratch, 0
	.set _ZN7rocprim17ROCPRIM_400000_NS6detail17trampoline_kernelINS0_14default_configENS1_27scan_by_key_config_selectorIiiEEZZNS1_16scan_by_key_implILNS1_25lookback_scan_determinismE0ELb0ES3_N6thrust23THRUST_200600_302600_NS6detail15normal_iteratorINS9_10device_ptrIiEEEESE_SE_iNS9_4plusIvEENS9_8equal_toIiEEiEE10hipError_tPvRmT2_T3_T4_T5_mT6_T7_P12ihipStream_tbENKUlT_T0_E_clISt17integral_constantIbLb1EESZ_EEDaSU_SV_EUlSU_E_NS1_11comp_targetILNS1_3genE0ELNS1_11target_archE4294967295ELNS1_3gpuE0ELNS1_3repE0EEENS1_30default_config_static_selectorELNS0_4arch9wavefront6targetE0EEEvT1_.has_dyn_sized_stack, 0
	.set _ZN7rocprim17ROCPRIM_400000_NS6detail17trampoline_kernelINS0_14default_configENS1_27scan_by_key_config_selectorIiiEEZZNS1_16scan_by_key_implILNS1_25lookback_scan_determinismE0ELb0ES3_N6thrust23THRUST_200600_302600_NS6detail15normal_iteratorINS9_10device_ptrIiEEEESE_SE_iNS9_4plusIvEENS9_8equal_toIiEEiEE10hipError_tPvRmT2_T3_T4_T5_mT6_T7_P12ihipStream_tbENKUlT_T0_E_clISt17integral_constantIbLb1EESZ_EEDaSU_SV_EUlSU_E_NS1_11comp_targetILNS1_3genE0ELNS1_11target_archE4294967295ELNS1_3gpuE0ELNS1_3repE0EEENS1_30default_config_static_selectorELNS0_4arch9wavefront6targetE0EEEvT1_.has_recursion, 0
	.set _ZN7rocprim17ROCPRIM_400000_NS6detail17trampoline_kernelINS0_14default_configENS1_27scan_by_key_config_selectorIiiEEZZNS1_16scan_by_key_implILNS1_25lookback_scan_determinismE0ELb0ES3_N6thrust23THRUST_200600_302600_NS6detail15normal_iteratorINS9_10device_ptrIiEEEESE_SE_iNS9_4plusIvEENS9_8equal_toIiEEiEE10hipError_tPvRmT2_T3_T4_T5_mT6_T7_P12ihipStream_tbENKUlT_T0_E_clISt17integral_constantIbLb1EESZ_EEDaSU_SV_EUlSU_E_NS1_11comp_targetILNS1_3genE0ELNS1_11target_archE4294967295ELNS1_3gpuE0ELNS1_3repE0EEENS1_30default_config_static_selectorELNS0_4arch9wavefront6targetE0EEEvT1_.has_indirect_call, 0
	.section	.AMDGPU.csdata,"",@progbits
; Kernel info:
; codeLenInByte = 0
; TotalNumSgprs: 0
; NumVgprs: 0
; ScratchSize: 0
; MemoryBound: 0
; FloatMode: 240
; IeeeMode: 1
; LDSByteSize: 0 bytes/workgroup (compile time only)
; SGPRBlocks: 0
; VGPRBlocks: 0
; NumSGPRsForWavesPerEU: 1
; NumVGPRsForWavesPerEU: 1
; Occupancy: 16
; WaveLimiterHint : 0
; COMPUTE_PGM_RSRC2:SCRATCH_EN: 0
; COMPUTE_PGM_RSRC2:USER_SGPR: 6
; COMPUTE_PGM_RSRC2:TRAP_HANDLER: 0
; COMPUTE_PGM_RSRC2:TGID_X_EN: 1
; COMPUTE_PGM_RSRC2:TGID_Y_EN: 0
; COMPUTE_PGM_RSRC2:TGID_Z_EN: 0
; COMPUTE_PGM_RSRC2:TIDIG_COMP_CNT: 0
	.section	.text._ZN7rocprim17ROCPRIM_400000_NS6detail17trampoline_kernelINS0_14default_configENS1_27scan_by_key_config_selectorIiiEEZZNS1_16scan_by_key_implILNS1_25lookback_scan_determinismE0ELb0ES3_N6thrust23THRUST_200600_302600_NS6detail15normal_iteratorINS9_10device_ptrIiEEEESE_SE_iNS9_4plusIvEENS9_8equal_toIiEEiEE10hipError_tPvRmT2_T3_T4_T5_mT6_T7_P12ihipStream_tbENKUlT_T0_E_clISt17integral_constantIbLb1EESZ_EEDaSU_SV_EUlSU_E_NS1_11comp_targetILNS1_3genE10ELNS1_11target_archE1201ELNS1_3gpuE5ELNS1_3repE0EEENS1_30default_config_static_selectorELNS0_4arch9wavefront6targetE0EEEvT1_,"axG",@progbits,_ZN7rocprim17ROCPRIM_400000_NS6detail17trampoline_kernelINS0_14default_configENS1_27scan_by_key_config_selectorIiiEEZZNS1_16scan_by_key_implILNS1_25lookback_scan_determinismE0ELb0ES3_N6thrust23THRUST_200600_302600_NS6detail15normal_iteratorINS9_10device_ptrIiEEEESE_SE_iNS9_4plusIvEENS9_8equal_toIiEEiEE10hipError_tPvRmT2_T3_T4_T5_mT6_T7_P12ihipStream_tbENKUlT_T0_E_clISt17integral_constantIbLb1EESZ_EEDaSU_SV_EUlSU_E_NS1_11comp_targetILNS1_3genE10ELNS1_11target_archE1201ELNS1_3gpuE5ELNS1_3repE0EEENS1_30default_config_static_selectorELNS0_4arch9wavefront6targetE0EEEvT1_,comdat
	.protected	_ZN7rocprim17ROCPRIM_400000_NS6detail17trampoline_kernelINS0_14default_configENS1_27scan_by_key_config_selectorIiiEEZZNS1_16scan_by_key_implILNS1_25lookback_scan_determinismE0ELb0ES3_N6thrust23THRUST_200600_302600_NS6detail15normal_iteratorINS9_10device_ptrIiEEEESE_SE_iNS9_4plusIvEENS9_8equal_toIiEEiEE10hipError_tPvRmT2_T3_T4_T5_mT6_T7_P12ihipStream_tbENKUlT_T0_E_clISt17integral_constantIbLb1EESZ_EEDaSU_SV_EUlSU_E_NS1_11comp_targetILNS1_3genE10ELNS1_11target_archE1201ELNS1_3gpuE5ELNS1_3repE0EEENS1_30default_config_static_selectorELNS0_4arch9wavefront6targetE0EEEvT1_ ; -- Begin function _ZN7rocprim17ROCPRIM_400000_NS6detail17trampoline_kernelINS0_14default_configENS1_27scan_by_key_config_selectorIiiEEZZNS1_16scan_by_key_implILNS1_25lookback_scan_determinismE0ELb0ES3_N6thrust23THRUST_200600_302600_NS6detail15normal_iteratorINS9_10device_ptrIiEEEESE_SE_iNS9_4plusIvEENS9_8equal_toIiEEiEE10hipError_tPvRmT2_T3_T4_T5_mT6_T7_P12ihipStream_tbENKUlT_T0_E_clISt17integral_constantIbLb1EESZ_EEDaSU_SV_EUlSU_E_NS1_11comp_targetILNS1_3genE10ELNS1_11target_archE1201ELNS1_3gpuE5ELNS1_3repE0EEENS1_30default_config_static_selectorELNS0_4arch9wavefront6targetE0EEEvT1_
	.globl	_ZN7rocprim17ROCPRIM_400000_NS6detail17trampoline_kernelINS0_14default_configENS1_27scan_by_key_config_selectorIiiEEZZNS1_16scan_by_key_implILNS1_25lookback_scan_determinismE0ELb0ES3_N6thrust23THRUST_200600_302600_NS6detail15normal_iteratorINS9_10device_ptrIiEEEESE_SE_iNS9_4plusIvEENS9_8equal_toIiEEiEE10hipError_tPvRmT2_T3_T4_T5_mT6_T7_P12ihipStream_tbENKUlT_T0_E_clISt17integral_constantIbLb1EESZ_EEDaSU_SV_EUlSU_E_NS1_11comp_targetILNS1_3genE10ELNS1_11target_archE1201ELNS1_3gpuE5ELNS1_3repE0EEENS1_30default_config_static_selectorELNS0_4arch9wavefront6targetE0EEEvT1_
	.p2align	8
	.type	_ZN7rocprim17ROCPRIM_400000_NS6detail17trampoline_kernelINS0_14default_configENS1_27scan_by_key_config_selectorIiiEEZZNS1_16scan_by_key_implILNS1_25lookback_scan_determinismE0ELb0ES3_N6thrust23THRUST_200600_302600_NS6detail15normal_iteratorINS9_10device_ptrIiEEEESE_SE_iNS9_4plusIvEENS9_8equal_toIiEEiEE10hipError_tPvRmT2_T3_T4_T5_mT6_T7_P12ihipStream_tbENKUlT_T0_E_clISt17integral_constantIbLb1EESZ_EEDaSU_SV_EUlSU_E_NS1_11comp_targetILNS1_3genE10ELNS1_11target_archE1201ELNS1_3gpuE5ELNS1_3repE0EEENS1_30default_config_static_selectorELNS0_4arch9wavefront6targetE0EEEvT1_,@function
_ZN7rocprim17ROCPRIM_400000_NS6detail17trampoline_kernelINS0_14default_configENS1_27scan_by_key_config_selectorIiiEEZZNS1_16scan_by_key_implILNS1_25lookback_scan_determinismE0ELb0ES3_N6thrust23THRUST_200600_302600_NS6detail15normal_iteratorINS9_10device_ptrIiEEEESE_SE_iNS9_4plusIvEENS9_8equal_toIiEEiEE10hipError_tPvRmT2_T3_T4_T5_mT6_T7_P12ihipStream_tbENKUlT_T0_E_clISt17integral_constantIbLb1EESZ_EEDaSU_SV_EUlSU_E_NS1_11comp_targetILNS1_3genE10ELNS1_11target_archE1201ELNS1_3gpuE5ELNS1_3repE0EEENS1_30default_config_static_selectorELNS0_4arch9wavefront6targetE0EEEvT1_: ; @_ZN7rocprim17ROCPRIM_400000_NS6detail17trampoline_kernelINS0_14default_configENS1_27scan_by_key_config_selectorIiiEEZZNS1_16scan_by_key_implILNS1_25lookback_scan_determinismE0ELb0ES3_N6thrust23THRUST_200600_302600_NS6detail15normal_iteratorINS9_10device_ptrIiEEEESE_SE_iNS9_4plusIvEENS9_8equal_toIiEEiEE10hipError_tPvRmT2_T3_T4_T5_mT6_T7_P12ihipStream_tbENKUlT_T0_E_clISt17integral_constantIbLb1EESZ_EEDaSU_SV_EUlSU_E_NS1_11comp_targetILNS1_3genE10ELNS1_11target_archE1201ELNS1_3gpuE5ELNS1_3repE0EEENS1_30default_config_static_selectorELNS0_4arch9wavefront6targetE0EEEvT1_
; %bb.0:
	.section	.rodata,"a",@progbits
	.p2align	6, 0x0
	.amdhsa_kernel _ZN7rocprim17ROCPRIM_400000_NS6detail17trampoline_kernelINS0_14default_configENS1_27scan_by_key_config_selectorIiiEEZZNS1_16scan_by_key_implILNS1_25lookback_scan_determinismE0ELb0ES3_N6thrust23THRUST_200600_302600_NS6detail15normal_iteratorINS9_10device_ptrIiEEEESE_SE_iNS9_4plusIvEENS9_8equal_toIiEEiEE10hipError_tPvRmT2_T3_T4_T5_mT6_T7_P12ihipStream_tbENKUlT_T0_E_clISt17integral_constantIbLb1EESZ_EEDaSU_SV_EUlSU_E_NS1_11comp_targetILNS1_3genE10ELNS1_11target_archE1201ELNS1_3gpuE5ELNS1_3repE0EEENS1_30default_config_static_selectorELNS0_4arch9wavefront6targetE0EEEvT1_
		.amdhsa_group_segment_fixed_size 0
		.amdhsa_private_segment_fixed_size 0
		.amdhsa_kernarg_size 112
		.amdhsa_user_sgpr_count 6
		.amdhsa_user_sgpr_private_segment_buffer 1
		.amdhsa_user_sgpr_dispatch_ptr 0
		.amdhsa_user_sgpr_queue_ptr 0
		.amdhsa_user_sgpr_kernarg_segment_ptr 1
		.amdhsa_user_sgpr_dispatch_id 0
		.amdhsa_user_sgpr_flat_scratch_init 0
		.amdhsa_user_sgpr_private_segment_size 0
		.amdhsa_wavefront_size32 1
		.amdhsa_uses_dynamic_stack 0
		.amdhsa_system_sgpr_private_segment_wavefront_offset 0
		.amdhsa_system_sgpr_workgroup_id_x 1
		.amdhsa_system_sgpr_workgroup_id_y 0
		.amdhsa_system_sgpr_workgroup_id_z 0
		.amdhsa_system_sgpr_workgroup_info 0
		.amdhsa_system_vgpr_workitem_id 0
		.amdhsa_next_free_vgpr 1
		.amdhsa_next_free_sgpr 1
		.amdhsa_reserve_vcc 0
		.amdhsa_reserve_flat_scratch 0
		.amdhsa_float_round_mode_32 0
		.amdhsa_float_round_mode_16_64 0
		.amdhsa_float_denorm_mode_32 3
		.amdhsa_float_denorm_mode_16_64 3
		.amdhsa_dx10_clamp 1
		.amdhsa_ieee_mode 1
		.amdhsa_fp16_overflow 0
		.amdhsa_workgroup_processor_mode 1
		.amdhsa_memory_ordered 1
		.amdhsa_forward_progress 1
		.amdhsa_shared_vgpr_count 0
		.amdhsa_exception_fp_ieee_invalid_op 0
		.amdhsa_exception_fp_denorm_src 0
		.amdhsa_exception_fp_ieee_div_zero 0
		.amdhsa_exception_fp_ieee_overflow 0
		.amdhsa_exception_fp_ieee_underflow 0
		.amdhsa_exception_fp_ieee_inexact 0
		.amdhsa_exception_int_div_zero 0
	.end_amdhsa_kernel
	.section	.text._ZN7rocprim17ROCPRIM_400000_NS6detail17trampoline_kernelINS0_14default_configENS1_27scan_by_key_config_selectorIiiEEZZNS1_16scan_by_key_implILNS1_25lookback_scan_determinismE0ELb0ES3_N6thrust23THRUST_200600_302600_NS6detail15normal_iteratorINS9_10device_ptrIiEEEESE_SE_iNS9_4plusIvEENS9_8equal_toIiEEiEE10hipError_tPvRmT2_T3_T4_T5_mT6_T7_P12ihipStream_tbENKUlT_T0_E_clISt17integral_constantIbLb1EESZ_EEDaSU_SV_EUlSU_E_NS1_11comp_targetILNS1_3genE10ELNS1_11target_archE1201ELNS1_3gpuE5ELNS1_3repE0EEENS1_30default_config_static_selectorELNS0_4arch9wavefront6targetE0EEEvT1_,"axG",@progbits,_ZN7rocprim17ROCPRIM_400000_NS6detail17trampoline_kernelINS0_14default_configENS1_27scan_by_key_config_selectorIiiEEZZNS1_16scan_by_key_implILNS1_25lookback_scan_determinismE0ELb0ES3_N6thrust23THRUST_200600_302600_NS6detail15normal_iteratorINS9_10device_ptrIiEEEESE_SE_iNS9_4plusIvEENS9_8equal_toIiEEiEE10hipError_tPvRmT2_T3_T4_T5_mT6_T7_P12ihipStream_tbENKUlT_T0_E_clISt17integral_constantIbLb1EESZ_EEDaSU_SV_EUlSU_E_NS1_11comp_targetILNS1_3genE10ELNS1_11target_archE1201ELNS1_3gpuE5ELNS1_3repE0EEENS1_30default_config_static_selectorELNS0_4arch9wavefront6targetE0EEEvT1_,comdat
.Lfunc_end210:
	.size	_ZN7rocprim17ROCPRIM_400000_NS6detail17trampoline_kernelINS0_14default_configENS1_27scan_by_key_config_selectorIiiEEZZNS1_16scan_by_key_implILNS1_25lookback_scan_determinismE0ELb0ES3_N6thrust23THRUST_200600_302600_NS6detail15normal_iteratorINS9_10device_ptrIiEEEESE_SE_iNS9_4plusIvEENS9_8equal_toIiEEiEE10hipError_tPvRmT2_T3_T4_T5_mT6_T7_P12ihipStream_tbENKUlT_T0_E_clISt17integral_constantIbLb1EESZ_EEDaSU_SV_EUlSU_E_NS1_11comp_targetILNS1_3genE10ELNS1_11target_archE1201ELNS1_3gpuE5ELNS1_3repE0EEENS1_30default_config_static_selectorELNS0_4arch9wavefront6targetE0EEEvT1_, .Lfunc_end210-_ZN7rocprim17ROCPRIM_400000_NS6detail17trampoline_kernelINS0_14default_configENS1_27scan_by_key_config_selectorIiiEEZZNS1_16scan_by_key_implILNS1_25lookback_scan_determinismE0ELb0ES3_N6thrust23THRUST_200600_302600_NS6detail15normal_iteratorINS9_10device_ptrIiEEEESE_SE_iNS9_4plusIvEENS9_8equal_toIiEEiEE10hipError_tPvRmT2_T3_T4_T5_mT6_T7_P12ihipStream_tbENKUlT_T0_E_clISt17integral_constantIbLb1EESZ_EEDaSU_SV_EUlSU_E_NS1_11comp_targetILNS1_3genE10ELNS1_11target_archE1201ELNS1_3gpuE5ELNS1_3repE0EEENS1_30default_config_static_selectorELNS0_4arch9wavefront6targetE0EEEvT1_
                                        ; -- End function
	.set _ZN7rocprim17ROCPRIM_400000_NS6detail17trampoline_kernelINS0_14default_configENS1_27scan_by_key_config_selectorIiiEEZZNS1_16scan_by_key_implILNS1_25lookback_scan_determinismE0ELb0ES3_N6thrust23THRUST_200600_302600_NS6detail15normal_iteratorINS9_10device_ptrIiEEEESE_SE_iNS9_4plusIvEENS9_8equal_toIiEEiEE10hipError_tPvRmT2_T3_T4_T5_mT6_T7_P12ihipStream_tbENKUlT_T0_E_clISt17integral_constantIbLb1EESZ_EEDaSU_SV_EUlSU_E_NS1_11comp_targetILNS1_3genE10ELNS1_11target_archE1201ELNS1_3gpuE5ELNS1_3repE0EEENS1_30default_config_static_selectorELNS0_4arch9wavefront6targetE0EEEvT1_.num_vgpr, 0
	.set _ZN7rocprim17ROCPRIM_400000_NS6detail17trampoline_kernelINS0_14default_configENS1_27scan_by_key_config_selectorIiiEEZZNS1_16scan_by_key_implILNS1_25lookback_scan_determinismE0ELb0ES3_N6thrust23THRUST_200600_302600_NS6detail15normal_iteratorINS9_10device_ptrIiEEEESE_SE_iNS9_4plusIvEENS9_8equal_toIiEEiEE10hipError_tPvRmT2_T3_T4_T5_mT6_T7_P12ihipStream_tbENKUlT_T0_E_clISt17integral_constantIbLb1EESZ_EEDaSU_SV_EUlSU_E_NS1_11comp_targetILNS1_3genE10ELNS1_11target_archE1201ELNS1_3gpuE5ELNS1_3repE0EEENS1_30default_config_static_selectorELNS0_4arch9wavefront6targetE0EEEvT1_.num_agpr, 0
	.set _ZN7rocprim17ROCPRIM_400000_NS6detail17trampoline_kernelINS0_14default_configENS1_27scan_by_key_config_selectorIiiEEZZNS1_16scan_by_key_implILNS1_25lookback_scan_determinismE0ELb0ES3_N6thrust23THRUST_200600_302600_NS6detail15normal_iteratorINS9_10device_ptrIiEEEESE_SE_iNS9_4plusIvEENS9_8equal_toIiEEiEE10hipError_tPvRmT2_T3_T4_T5_mT6_T7_P12ihipStream_tbENKUlT_T0_E_clISt17integral_constantIbLb1EESZ_EEDaSU_SV_EUlSU_E_NS1_11comp_targetILNS1_3genE10ELNS1_11target_archE1201ELNS1_3gpuE5ELNS1_3repE0EEENS1_30default_config_static_selectorELNS0_4arch9wavefront6targetE0EEEvT1_.numbered_sgpr, 0
	.set _ZN7rocprim17ROCPRIM_400000_NS6detail17trampoline_kernelINS0_14default_configENS1_27scan_by_key_config_selectorIiiEEZZNS1_16scan_by_key_implILNS1_25lookback_scan_determinismE0ELb0ES3_N6thrust23THRUST_200600_302600_NS6detail15normal_iteratorINS9_10device_ptrIiEEEESE_SE_iNS9_4plusIvEENS9_8equal_toIiEEiEE10hipError_tPvRmT2_T3_T4_T5_mT6_T7_P12ihipStream_tbENKUlT_T0_E_clISt17integral_constantIbLb1EESZ_EEDaSU_SV_EUlSU_E_NS1_11comp_targetILNS1_3genE10ELNS1_11target_archE1201ELNS1_3gpuE5ELNS1_3repE0EEENS1_30default_config_static_selectorELNS0_4arch9wavefront6targetE0EEEvT1_.num_named_barrier, 0
	.set _ZN7rocprim17ROCPRIM_400000_NS6detail17trampoline_kernelINS0_14default_configENS1_27scan_by_key_config_selectorIiiEEZZNS1_16scan_by_key_implILNS1_25lookback_scan_determinismE0ELb0ES3_N6thrust23THRUST_200600_302600_NS6detail15normal_iteratorINS9_10device_ptrIiEEEESE_SE_iNS9_4plusIvEENS9_8equal_toIiEEiEE10hipError_tPvRmT2_T3_T4_T5_mT6_T7_P12ihipStream_tbENKUlT_T0_E_clISt17integral_constantIbLb1EESZ_EEDaSU_SV_EUlSU_E_NS1_11comp_targetILNS1_3genE10ELNS1_11target_archE1201ELNS1_3gpuE5ELNS1_3repE0EEENS1_30default_config_static_selectorELNS0_4arch9wavefront6targetE0EEEvT1_.private_seg_size, 0
	.set _ZN7rocprim17ROCPRIM_400000_NS6detail17trampoline_kernelINS0_14default_configENS1_27scan_by_key_config_selectorIiiEEZZNS1_16scan_by_key_implILNS1_25lookback_scan_determinismE0ELb0ES3_N6thrust23THRUST_200600_302600_NS6detail15normal_iteratorINS9_10device_ptrIiEEEESE_SE_iNS9_4plusIvEENS9_8equal_toIiEEiEE10hipError_tPvRmT2_T3_T4_T5_mT6_T7_P12ihipStream_tbENKUlT_T0_E_clISt17integral_constantIbLb1EESZ_EEDaSU_SV_EUlSU_E_NS1_11comp_targetILNS1_3genE10ELNS1_11target_archE1201ELNS1_3gpuE5ELNS1_3repE0EEENS1_30default_config_static_selectorELNS0_4arch9wavefront6targetE0EEEvT1_.uses_vcc, 0
	.set _ZN7rocprim17ROCPRIM_400000_NS6detail17trampoline_kernelINS0_14default_configENS1_27scan_by_key_config_selectorIiiEEZZNS1_16scan_by_key_implILNS1_25lookback_scan_determinismE0ELb0ES3_N6thrust23THRUST_200600_302600_NS6detail15normal_iteratorINS9_10device_ptrIiEEEESE_SE_iNS9_4plusIvEENS9_8equal_toIiEEiEE10hipError_tPvRmT2_T3_T4_T5_mT6_T7_P12ihipStream_tbENKUlT_T0_E_clISt17integral_constantIbLb1EESZ_EEDaSU_SV_EUlSU_E_NS1_11comp_targetILNS1_3genE10ELNS1_11target_archE1201ELNS1_3gpuE5ELNS1_3repE0EEENS1_30default_config_static_selectorELNS0_4arch9wavefront6targetE0EEEvT1_.uses_flat_scratch, 0
	.set _ZN7rocprim17ROCPRIM_400000_NS6detail17trampoline_kernelINS0_14default_configENS1_27scan_by_key_config_selectorIiiEEZZNS1_16scan_by_key_implILNS1_25lookback_scan_determinismE0ELb0ES3_N6thrust23THRUST_200600_302600_NS6detail15normal_iteratorINS9_10device_ptrIiEEEESE_SE_iNS9_4plusIvEENS9_8equal_toIiEEiEE10hipError_tPvRmT2_T3_T4_T5_mT6_T7_P12ihipStream_tbENKUlT_T0_E_clISt17integral_constantIbLb1EESZ_EEDaSU_SV_EUlSU_E_NS1_11comp_targetILNS1_3genE10ELNS1_11target_archE1201ELNS1_3gpuE5ELNS1_3repE0EEENS1_30default_config_static_selectorELNS0_4arch9wavefront6targetE0EEEvT1_.has_dyn_sized_stack, 0
	.set _ZN7rocprim17ROCPRIM_400000_NS6detail17trampoline_kernelINS0_14default_configENS1_27scan_by_key_config_selectorIiiEEZZNS1_16scan_by_key_implILNS1_25lookback_scan_determinismE0ELb0ES3_N6thrust23THRUST_200600_302600_NS6detail15normal_iteratorINS9_10device_ptrIiEEEESE_SE_iNS9_4plusIvEENS9_8equal_toIiEEiEE10hipError_tPvRmT2_T3_T4_T5_mT6_T7_P12ihipStream_tbENKUlT_T0_E_clISt17integral_constantIbLb1EESZ_EEDaSU_SV_EUlSU_E_NS1_11comp_targetILNS1_3genE10ELNS1_11target_archE1201ELNS1_3gpuE5ELNS1_3repE0EEENS1_30default_config_static_selectorELNS0_4arch9wavefront6targetE0EEEvT1_.has_recursion, 0
	.set _ZN7rocprim17ROCPRIM_400000_NS6detail17trampoline_kernelINS0_14default_configENS1_27scan_by_key_config_selectorIiiEEZZNS1_16scan_by_key_implILNS1_25lookback_scan_determinismE0ELb0ES3_N6thrust23THRUST_200600_302600_NS6detail15normal_iteratorINS9_10device_ptrIiEEEESE_SE_iNS9_4plusIvEENS9_8equal_toIiEEiEE10hipError_tPvRmT2_T3_T4_T5_mT6_T7_P12ihipStream_tbENKUlT_T0_E_clISt17integral_constantIbLb1EESZ_EEDaSU_SV_EUlSU_E_NS1_11comp_targetILNS1_3genE10ELNS1_11target_archE1201ELNS1_3gpuE5ELNS1_3repE0EEENS1_30default_config_static_selectorELNS0_4arch9wavefront6targetE0EEEvT1_.has_indirect_call, 0
	.section	.AMDGPU.csdata,"",@progbits
; Kernel info:
; codeLenInByte = 0
; TotalNumSgprs: 0
; NumVgprs: 0
; ScratchSize: 0
; MemoryBound: 0
; FloatMode: 240
; IeeeMode: 1
; LDSByteSize: 0 bytes/workgroup (compile time only)
; SGPRBlocks: 0
; VGPRBlocks: 0
; NumSGPRsForWavesPerEU: 1
; NumVGPRsForWavesPerEU: 1
; Occupancy: 16
; WaveLimiterHint : 0
; COMPUTE_PGM_RSRC2:SCRATCH_EN: 0
; COMPUTE_PGM_RSRC2:USER_SGPR: 6
; COMPUTE_PGM_RSRC2:TRAP_HANDLER: 0
; COMPUTE_PGM_RSRC2:TGID_X_EN: 1
; COMPUTE_PGM_RSRC2:TGID_Y_EN: 0
; COMPUTE_PGM_RSRC2:TGID_Z_EN: 0
; COMPUTE_PGM_RSRC2:TIDIG_COMP_CNT: 0
	.section	.text._ZN7rocprim17ROCPRIM_400000_NS6detail17trampoline_kernelINS0_14default_configENS1_27scan_by_key_config_selectorIiiEEZZNS1_16scan_by_key_implILNS1_25lookback_scan_determinismE0ELb0ES3_N6thrust23THRUST_200600_302600_NS6detail15normal_iteratorINS9_10device_ptrIiEEEESE_SE_iNS9_4plusIvEENS9_8equal_toIiEEiEE10hipError_tPvRmT2_T3_T4_T5_mT6_T7_P12ihipStream_tbENKUlT_T0_E_clISt17integral_constantIbLb1EESZ_EEDaSU_SV_EUlSU_E_NS1_11comp_targetILNS1_3genE5ELNS1_11target_archE942ELNS1_3gpuE9ELNS1_3repE0EEENS1_30default_config_static_selectorELNS0_4arch9wavefront6targetE0EEEvT1_,"axG",@progbits,_ZN7rocprim17ROCPRIM_400000_NS6detail17trampoline_kernelINS0_14default_configENS1_27scan_by_key_config_selectorIiiEEZZNS1_16scan_by_key_implILNS1_25lookback_scan_determinismE0ELb0ES3_N6thrust23THRUST_200600_302600_NS6detail15normal_iteratorINS9_10device_ptrIiEEEESE_SE_iNS9_4plusIvEENS9_8equal_toIiEEiEE10hipError_tPvRmT2_T3_T4_T5_mT6_T7_P12ihipStream_tbENKUlT_T0_E_clISt17integral_constantIbLb1EESZ_EEDaSU_SV_EUlSU_E_NS1_11comp_targetILNS1_3genE5ELNS1_11target_archE942ELNS1_3gpuE9ELNS1_3repE0EEENS1_30default_config_static_selectorELNS0_4arch9wavefront6targetE0EEEvT1_,comdat
	.protected	_ZN7rocprim17ROCPRIM_400000_NS6detail17trampoline_kernelINS0_14default_configENS1_27scan_by_key_config_selectorIiiEEZZNS1_16scan_by_key_implILNS1_25lookback_scan_determinismE0ELb0ES3_N6thrust23THRUST_200600_302600_NS6detail15normal_iteratorINS9_10device_ptrIiEEEESE_SE_iNS9_4plusIvEENS9_8equal_toIiEEiEE10hipError_tPvRmT2_T3_T4_T5_mT6_T7_P12ihipStream_tbENKUlT_T0_E_clISt17integral_constantIbLb1EESZ_EEDaSU_SV_EUlSU_E_NS1_11comp_targetILNS1_3genE5ELNS1_11target_archE942ELNS1_3gpuE9ELNS1_3repE0EEENS1_30default_config_static_selectorELNS0_4arch9wavefront6targetE0EEEvT1_ ; -- Begin function _ZN7rocprim17ROCPRIM_400000_NS6detail17trampoline_kernelINS0_14default_configENS1_27scan_by_key_config_selectorIiiEEZZNS1_16scan_by_key_implILNS1_25lookback_scan_determinismE0ELb0ES3_N6thrust23THRUST_200600_302600_NS6detail15normal_iteratorINS9_10device_ptrIiEEEESE_SE_iNS9_4plusIvEENS9_8equal_toIiEEiEE10hipError_tPvRmT2_T3_T4_T5_mT6_T7_P12ihipStream_tbENKUlT_T0_E_clISt17integral_constantIbLb1EESZ_EEDaSU_SV_EUlSU_E_NS1_11comp_targetILNS1_3genE5ELNS1_11target_archE942ELNS1_3gpuE9ELNS1_3repE0EEENS1_30default_config_static_selectorELNS0_4arch9wavefront6targetE0EEEvT1_
	.globl	_ZN7rocprim17ROCPRIM_400000_NS6detail17trampoline_kernelINS0_14default_configENS1_27scan_by_key_config_selectorIiiEEZZNS1_16scan_by_key_implILNS1_25lookback_scan_determinismE0ELb0ES3_N6thrust23THRUST_200600_302600_NS6detail15normal_iteratorINS9_10device_ptrIiEEEESE_SE_iNS9_4plusIvEENS9_8equal_toIiEEiEE10hipError_tPvRmT2_T3_T4_T5_mT6_T7_P12ihipStream_tbENKUlT_T0_E_clISt17integral_constantIbLb1EESZ_EEDaSU_SV_EUlSU_E_NS1_11comp_targetILNS1_3genE5ELNS1_11target_archE942ELNS1_3gpuE9ELNS1_3repE0EEENS1_30default_config_static_selectorELNS0_4arch9wavefront6targetE0EEEvT1_
	.p2align	8
	.type	_ZN7rocprim17ROCPRIM_400000_NS6detail17trampoline_kernelINS0_14default_configENS1_27scan_by_key_config_selectorIiiEEZZNS1_16scan_by_key_implILNS1_25lookback_scan_determinismE0ELb0ES3_N6thrust23THRUST_200600_302600_NS6detail15normal_iteratorINS9_10device_ptrIiEEEESE_SE_iNS9_4plusIvEENS9_8equal_toIiEEiEE10hipError_tPvRmT2_T3_T4_T5_mT6_T7_P12ihipStream_tbENKUlT_T0_E_clISt17integral_constantIbLb1EESZ_EEDaSU_SV_EUlSU_E_NS1_11comp_targetILNS1_3genE5ELNS1_11target_archE942ELNS1_3gpuE9ELNS1_3repE0EEENS1_30default_config_static_selectorELNS0_4arch9wavefront6targetE0EEEvT1_,@function
_ZN7rocprim17ROCPRIM_400000_NS6detail17trampoline_kernelINS0_14default_configENS1_27scan_by_key_config_selectorIiiEEZZNS1_16scan_by_key_implILNS1_25lookback_scan_determinismE0ELb0ES3_N6thrust23THRUST_200600_302600_NS6detail15normal_iteratorINS9_10device_ptrIiEEEESE_SE_iNS9_4plusIvEENS9_8equal_toIiEEiEE10hipError_tPvRmT2_T3_T4_T5_mT6_T7_P12ihipStream_tbENKUlT_T0_E_clISt17integral_constantIbLb1EESZ_EEDaSU_SV_EUlSU_E_NS1_11comp_targetILNS1_3genE5ELNS1_11target_archE942ELNS1_3gpuE9ELNS1_3repE0EEENS1_30default_config_static_selectorELNS0_4arch9wavefront6targetE0EEEvT1_: ; @_ZN7rocprim17ROCPRIM_400000_NS6detail17trampoline_kernelINS0_14default_configENS1_27scan_by_key_config_selectorIiiEEZZNS1_16scan_by_key_implILNS1_25lookback_scan_determinismE0ELb0ES3_N6thrust23THRUST_200600_302600_NS6detail15normal_iteratorINS9_10device_ptrIiEEEESE_SE_iNS9_4plusIvEENS9_8equal_toIiEEiEE10hipError_tPvRmT2_T3_T4_T5_mT6_T7_P12ihipStream_tbENKUlT_T0_E_clISt17integral_constantIbLb1EESZ_EEDaSU_SV_EUlSU_E_NS1_11comp_targetILNS1_3genE5ELNS1_11target_archE942ELNS1_3gpuE9ELNS1_3repE0EEENS1_30default_config_static_selectorELNS0_4arch9wavefront6targetE0EEEvT1_
; %bb.0:
	.section	.rodata,"a",@progbits
	.p2align	6, 0x0
	.amdhsa_kernel _ZN7rocprim17ROCPRIM_400000_NS6detail17trampoline_kernelINS0_14default_configENS1_27scan_by_key_config_selectorIiiEEZZNS1_16scan_by_key_implILNS1_25lookback_scan_determinismE0ELb0ES3_N6thrust23THRUST_200600_302600_NS6detail15normal_iteratorINS9_10device_ptrIiEEEESE_SE_iNS9_4plusIvEENS9_8equal_toIiEEiEE10hipError_tPvRmT2_T3_T4_T5_mT6_T7_P12ihipStream_tbENKUlT_T0_E_clISt17integral_constantIbLb1EESZ_EEDaSU_SV_EUlSU_E_NS1_11comp_targetILNS1_3genE5ELNS1_11target_archE942ELNS1_3gpuE9ELNS1_3repE0EEENS1_30default_config_static_selectorELNS0_4arch9wavefront6targetE0EEEvT1_
		.amdhsa_group_segment_fixed_size 0
		.amdhsa_private_segment_fixed_size 0
		.amdhsa_kernarg_size 112
		.amdhsa_user_sgpr_count 6
		.amdhsa_user_sgpr_private_segment_buffer 1
		.amdhsa_user_sgpr_dispatch_ptr 0
		.amdhsa_user_sgpr_queue_ptr 0
		.amdhsa_user_sgpr_kernarg_segment_ptr 1
		.amdhsa_user_sgpr_dispatch_id 0
		.amdhsa_user_sgpr_flat_scratch_init 0
		.amdhsa_user_sgpr_private_segment_size 0
		.amdhsa_wavefront_size32 1
		.amdhsa_uses_dynamic_stack 0
		.amdhsa_system_sgpr_private_segment_wavefront_offset 0
		.amdhsa_system_sgpr_workgroup_id_x 1
		.amdhsa_system_sgpr_workgroup_id_y 0
		.amdhsa_system_sgpr_workgroup_id_z 0
		.amdhsa_system_sgpr_workgroup_info 0
		.amdhsa_system_vgpr_workitem_id 0
		.amdhsa_next_free_vgpr 1
		.amdhsa_next_free_sgpr 1
		.amdhsa_reserve_vcc 0
		.amdhsa_reserve_flat_scratch 0
		.amdhsa_float_round_mode_32 0
		.amdhsa_float_round_mode_16_64 0
		.amdhsa_float_denorm_mode_32 3
		.amdhsa_float_denorm_mode_16_64 3
		.amdhsa_dx10_clamp 1
		.amdhsa_ieee_mode 1
		.amdhsa_fp16_overflow 0
		.amdhsa_workgroup_processor_mode 1
		.amdhsa_memory_ordered 1
		.amdhsa_forward_progress 1
		.amdhsa_shared_vgpr_count 0
		.amdhsa_exception_fp_ieee_invalid_op 0
		.amdhsa_exception_fp_denorm_src 0
		.amdhsa_exception_fp_ieee_div_zero 0
		.amdhsa_exception_fp_ieee_overflow 0
		.amdhsa_exception_fp_ieee_underflow 0
		.amdhsa_exception_fp_ieee_inexact 0
		.amdhsa_exception_int_div_zero 0
	.end_amdhsa_kernel
	.section	.text._ZN7rocprim17ROCPRIM_400000_NS6detail17trampoline_kernelINS0_14default_configENS1_27scan_by_key_config_selectorIiiEEZZNS1_16scan_by_key_implILNS1_25lookback_scan_determinismE0ELb0ES3_N6thrust23THRUST_200600_302600_NS6detail15normal_iteratorINS9_10device_ptrIiEEEESE_SE_iNS9_4plusIvEENS9_8equal_toIiEEiEE10hipError_tPvRmT2_T3_T4_T5_mT6_T7_P12ihipStream_tbENKUlT_T0_E_clISt17integral_constantIbLb1EESZ_EEDaSU_SV_EUlSU_E_NS1_11comp_targetILNS1_3genE5ELNS1_11target_archE942ELNS1_3gpuE9ELNS1_3repE0EEENS1_30default_config_static_selectorELNS0_4arch9wavefront6targetE0EEEvT1_,"axG",@progbits,_ZN7rocprim17ROCPRIM_400000_NS6detail17trampoline_kernelINS0_14default_configENS1_27scan_by_key_config_selectorIiiEEZZNS1_16scan_by_key_implILNS1_25lookback_scan_determinismE0ELb0ES3_N6thrust23THRUST_200600_302600_NS6detail15normal_iteratorINS9_10device_ptrIiEEEESE_SE_iNS9_4plusIvEENS9_8equal_toIiEEiEE10hipError_tPvRmT2_T3_T4_T5_mT6_T7_P12ihipStream_tbENKUlT_T0_E_clISt17integral_constantIbLb1EESZ_EEDaSU_SV_EUlSU_E_NS1_11comp_targetILNS1_3genE5ELNS1_11target_archE942ELNS1_3gpuE9ELNS1_3repE0EEENS1_30default_config_static_selectorELNS0_4arch9wavefront6targetE0EEEvT1_,comdat
.Lfunc_end211:
	.size	_ZN7rocprim17ROCPRIM_400000_NS6detail17trampoline_kernelINS0_14default_configENS1_27scan_by_key_config_selectorIiiEEZZNS1_16scan_by_key_implILNS1_25lookback_scan_determinismE0ELb0ES3_N6thrust23THRUST_200600_302600_NS6detail15normal_iteratorINS9_10device_ptrIiEEEESE_SE_iNS9_4plusIvEENS9_8equal_toIiEEiEE10hipError_tPvRmT2_T3_T4_T5_mT6_T7_P12ihipStream_tbENKUlT_T0_E_clISt17integral_constantIbLb1EESZ_EEDaSU_SV_EUlSU_E_NS1_11comp_targetILNS1_3genE5ELNS1_11target_archE942ELNS1_3gpuE9ELNS1_3repE0EEENS1_30default_config_static_selectorELNS0_4arch9wavefront6targetE0EEEvT1_, .Lfunc_end211-_ZN7rocprim17ROCPRIM_400000_NS6detail17trampoline_kernelINS0_14default_configENS1_27scan_by_key_config_selectorIiiEEZZNS1_16scan_by_key_implILNS1_25lookback_scan_determinismE0ELb0ES3_N6thrust23THRUST_200600_302600_NS6detail15normal_iteratorINS9_10device_ptrIiEEEESE_SE_iNS9_4plusIvEENS9_8equal_toIiEEiEE10hipError_tPvRmT2_T3_T4_T5_mT6_T7_P12ihipStream_tbENKUlT_T0_E_clISt17integral_constantIbLb1EESZ_EEDaSU_SV_EUlSU_E_NS1_11comp_targetILNS1_3genE5ELNS1_11target_archE942ELNS1_3gpuE9ELNS1_3repE0EEENS1_30default_config_static_selectorELNS0_4arch9wavefront6targetE0EEEvT1_
                                        ; -- End function
	.set _ZN7rocprim17ROCPRIM_400000_NS6detail17trampoline_kernelINS0_14default_configENS1_27scan_by_key_config_selectorIiiEEZZNS1_16scan_by_key_implILNS1_25lookback_scan_determinismE0ELb0ES3_N6thrust23THRUST_200600_302600_NS6detail15normal_iteratorINS9_10device_ptrIiEEEESE_SE_iNS9_4plusIvEENS9_8equal_toIiEEiEE10hipError_tPvRmT2_T3_T4_T5_mT6_T7_P12ihipStream_tbENKUlT_T0_E_clISt17integral_constantIbLb1EESZ_EEDaSU_SV_EUlSU_E_NS1_11comp_targetILNS1_3genE5ELNS1_11target_archE942ELNS1_3gpuE9ELNS1_3repE0EEENS1_30default_config_static_selectorELNS0_4arch9wavefront6targetE0EEEvT1_.num_vgpr, 0
	.set _ZN7rocprim17ROCPRIM_400000_NS6detail17trampoline_kernelINS0_14default_configENS1_27scan_by_key_config_selectorIiiEEZZNS1_16scan_by_key_implILNS1_25lookback_scan_determinismE0ELb0ES3_N6thrust23THRUST_200600_302600_NS6detail15normal_iteratorINS9_10device_ptrIiEEEESE_SE_iNS9_4plusIvEENS9_8equal_toIiEEiEE10hipError_tPvRmT2_T3_T4_T5_mT6_T7_P12ihipStream_tbENKUlT_T0_E_clISt17integral_constantIbLb1EESZ_EEDaSU_SV_EUlSU_E_NS1_11comp_targetILNS1_3genE5ELNS1_11target_archE942ELNS1_3gpuE9ELNS1_3repE0EEENS1_30default_config_static_selectorELNS0_4arch9wavefront6targetE0EEEvT1_.num_agpr, 0
	.set _ZN7rocprim17ROCPRIM_400000_NS6detail17trampoline_kernelINS0_14default_configENS1_27scan_by_key_config_selectorIiiEEZZNS1_16scan_by_key_implILNS1_25lookback_scan_determinismE0ELb0ES3_N6thrust23THRUST_200600_302600_NS6detail15normal_iteratorINS9_10device_ptrIiEEEESE_SE_iNS9_4plusIvEENS9_8equal_toIiEEiEE10hipError_tPvRmT2_T3_T4_T5_mT6_T7_P12ihipStream_tbENKUlT_T0_E_clISt17integral_constantIbLb1EESZ_EEDaSU_SV_EUlSU_E_NS1_11comp_targetILNS1_3genE5ELNS1_11target_archE942ELNS1_3gpuE9ELNS1_3repE0EEENS1_30default_config_static_selectorELNS0_4arch9wavefront6targetE0EEEvT1_.numbered_sgpr, 0
	.set _ZN7rocprim17ROCPRIM_400000_NS6detail17trampoline_kernelINS0_14default_configENS1_27scan_by_key_config_selectorIiiEEZZNS1_16scan_by_key_implILNS1_25lookback_scan_determinismE0ELb0ES3_N6thrust23THRUST_200600_302600_NS6detail15normal_iteratorINS9_10device_ptrIiEEEESE_SE_iNS9_4plusIvEENS9_8equal_toIiEEiEE10hipError_tPvRmT2_T3_T4_T5_mT6_T7_P12ihipStream_tbENKUlT_T0_E_clISt17integral_constantIbLb1EESZ_EEDaSU_SV_EUlSU_E_NS1_11comp_targetILNS1_3genE5ELNS1_11target_archE942ELNS1_3gpuE9ELNS1_3repE0EEENS1_30default_config_static_selectorELNS0_4arch9wavefront6targetE0EEEvT1_.num_named_barrier, 0
	.set _ZN7rocprim17ROCPRIM_400000_NS6detail17trampoline_kernelINS0_14default_configENS1_27scan_by_key_config_selectorIiiEEZZNS1_16scan_by_key_implILNS1_25lookback_scan_determinismE0ELb0ES3_N6thrust23THRUST_200600_302600_NS6detail15normal_iteratorINS9_10device_ptrIiEEEESE_SE_iNS9_4plusIvEENS9_8equal_toIiEEiEE10hipError_tPvRmT2_T3_T4_T5_mT6_T7_P12ihipStream_tbENKUlT_T0_E_clISt17integral_constantIbLb1EESZ_EEDaSU_SV_EUlSU_E_NS1_11comp_targetILNS1_3genE5ELNS1_11target_archE942ELNS1_3gpuE9ELNS1_3repE0EEENS1_30default_config_static_selectorELNS0_4arch9wavefront6targetE0EEEvT1_.private_seg_size, 0
	.set _ZN7rocprim17ROCPRIM_400000_NS6detail17trampoline_kernelINS0_14default_configENS1_27scan_by_key_config_selectorIiiEEZZNS1_16scan_by_key_implILNS1_25lookback_scan_determinismE0ELb0ES3_N6thrust23THRUST_200600_302600_NS6detail15normal_iteratorINS9_10device_ptrIiEEEESE_SE_iNS9_4plusIvEENS9_8equal_toIiEEiEE10hipError_tPvRmT2_T3_T4_T5_mT6_T7_P12ihipStream_tbENKUlT_T0_E_clISt17integral_constantIbLb1EESZ_EEDaSU_SV_EUlSU_E_NS1_11comp_targetILNS1_3genE5ELNS1_11target_archE942ELNS1_3gpuE9ELNS1_3repE0EEENS1_30default_config_static_selectorELNS0_4arch9wavefront6targetE0EEEvT1_.uses_vcc, 0
	.set _ZN7rocprim17ROCPRIM_400000_NS6detail17trampoline_kernelINS0_14default_configENS1_27scan_by_key_config_selectorIiiEEZZNS1_16scan_by_key_implILNS1_25lookback_scan_determinismE0ELb0ES3_N6thrust23THRUST_200600_302600_NS6detail15normal_iteratorINS9_10device_ptrIiEEEESE_SE_iNS9_4plusIvEENS9_8equal_toIiEEiEE10hipError_tPvRmT2_T3_T4_T5_mT6_T7_P12ihipStream_tbENKUlT_T0_E_clISt17integral_constantIbLb1EESZ_EEDaSU_SV_EUlSU_E_NS1_11comp_targetILNS1_3genE5ELNS1_11target_archE942ELNS1_3gpuE9ELNS1_3repE0EEENS1_30default_config_static_selectorELNS0_4arch9wavefront6targetE0EEEvT1_.uses_flat_scratch, 0
	.set _ZN7rocprim17ROCPRIM_400000_NS6detail17trampoline_kernelINS0_14default_configENS1_27scan_by_key_config_selectorIiiEEZZNS1_16scan_by_key_implILNS1_25lookback_scan_determinismE0ELb0ES3_N6thrust23THRUST_200600_302600_NS6detail15normal_iteratorINS9_10device_ptrIiEEEESE_SE_iNS9_4plusIvEENS9_8equal_toIiEEiEE10hipError_tPvRmT2_T3_T4_T5_mT6_T7_P12ihipStream_tbENKUlT_T0_E_clISt17integral_constantIbLb1EESZ_EEDaSU_SV_EUlSU_E_NS1_11comp_targetILNS1_3genE5ELNS1_11target_archE942ELNS1_3gpuE9ELNS1_3repE0EEENS1_30default_config_static_selectorELNS0_4arch9wavefront6targetE0EEEvT1_.has_dyn_sized_stack, 0
	.set _ZN7rocprim17ROCPRIM_400000_NS6detail17trampoline_kernelINS0_14default_configENS1_27scan_by_key_config_selectorIiiEEZZNS1_16scan_by_key_implILNS1_25lookback_scan_determinismE0ELb0ES3_N6thrust23THRUST_200600_302600_NS6detail15normal_iteratorINS9_10device_ptrIiEEEESE_SE_iNS9_4plusIvEENS9_8equal_toIiEEiEE10hipError_tPvRmT2_T3_T4_T5_mT6_T7_P12ihipStream_tbENKUlT_T0_E_clISt17integral_constantIbLb1EESZ_EEDaSU_SV_EUlSU_E_NS1_11comp_targetILNS1_3genE5ELNS1_11target_archE942ELNS1_3gpuE9ELNS1_3repE0EEENS1_30default_config_static_selectorELNS0_4arch9wavefront6targetE0EEEvT1_.has_recursion, 0
	.set _ZN7rocprim17ROCPRIM_400000_NS6detail17trampoline_kernelINS0_14default_configENS1_27scan_by_key_config_selectorIiiEEZZNS1_16scan_by_key_implILNS1_25lookback_scan_determinismE0ELb0ES3_N6thrust23THRUST_200600_302600_NS6detail15normal_iteratorINS9_10device_ptrIiEEEESE_SE_iNS9_4plusIvEENS9_8equal_toIiEEiEE10hipError_tPvRmT2_T3_T4_T5_mT6_T7_P12ihipStream_tbENKUlT_T0_E_clISt17integral_constantIbLb1EESZ_EEDaSU_SV_EUlSU_E_NS1_11comp_targetILNS1_3genE5ELNS1_11target_archE942ELNS1_3gpuE9ELNS1_3repE0EEENS1_30default_config_static_selectorELNS0_4arch9wavefront6targetE0EEEvT1_.has_indirect_call, 0
	.section	.AMDGPU.csdata,"",@progbits
; Kernel info:
; codeLenInByte = 0
; TotalNumSgprs: 0
; NumVgprs: 0
; ScratchSize: 0
; MemoryBound: 0
; FloatMode: 240
; IeeeMode: 1
; LDSByteSize: 0 bytes/workgroup (compile time only)
; SGPRBlocks: 0
; VGPRBlocks: 0
; NumSGPRsForWavesPerEU: 1
; NumVGPRsForWavesPerEU: 1
; Occupancy: 16
; WaveLimiterHint : 0
; COMPUTE_PGM_RSRC2:SCRATCH_EN: 0
; COMPUTE_PGM_RSRC2:USER_SGPR: 6
; COMPUTE_PGM_RSRC2:TRAP_HANDLER: 0
; COMPUTE_PGM_RSRC2:TGID_X_EN: 1
; COMPUTE_PGM_RSRC2:TGID_Y_EN: 0
; COMPUTE_PGM_RSRC2:TGID_Z_EN: 0
; COMPUTE_PGM_RSRC2:TIDIG_COMP_CNT: 0
	.section	.text._ZN7rocprim17ROCPRIM_400000_NS6detail17trampoline_kernelINS0_14default_configENS1_27scan_by_key_config_selectorIiiEEZZNS1_16scan_by_key_implILNS1_25lookback_scan_determinismE0ELb0ES3_N6thrust23THRUST_200600_302600_NS6detail15normal_iteratorINS9_10device_ptrIiEEEESE_SE_iNS9_4plusIvEENS9_8equal_toIiEEiEE10hipError_tPvRmT2_T3_T4_T5_mT6_T7_P12ihipStream_tbENKUlT_T0_E_clISt17integral_constantIbLb1EESZ_EEDaSU_SV_EUlSU_E_NS1_11comp_targetILNS1_3genE4ELNS1_11target_archE910ELNS1_3gpuE8ELNS1_3repE0EEENS1_30default_config_static_selectorELNS0_4arch9wavefront6targetE0EEEvT1_,"axG",@progbits,_ZN7rocprim17ROCPRIM_400000_NS6detail17trampoline_kernelINS0_14default_configENS1_27scan_by_key_config_selectorIiiEEZZNS1_16scan_by_key_implILNS1_25lookback_scan_determinismE0ELb0ES3_N6thrust23THRUST_200600_302600_NS6detail15normal_iteratorINS9_10device_ptrIiEEEESE_SE_iNS9_4plusIvEENS9_8equal_toIiEEiEE10hipError_tPvRmT2_T3_T4_T5_mT6_T7_P12ihipStream_tbENKUlT_T0_E_clISt17integral_constantIbLb1EESZ_EEDaSU_SV_EUlSU_E_NS1_11comp_targetILNS1_3genE4ELNS1_11target_archE910ELNS1_3gpuE8ELNS1_3repE0EEENS1_30default_config_static_selectorELNS0_4arch9wavefront6targetE0EEEvT1_,comdat
	.protected	_ZN7rocprim17ROCPRIM_400000_NS6detail17trampoline_kernelINS0_14default_configENS1_27scan_by_key_config_selectorIiiEEZZNS1_16scan_by_key_implILNS1_25lookback_scan_determinismE0ELb0ES3_N6thrust23THRUST_200600_302600_NS6detail15normal_iteratorINS9_10device_ptrIiEEEESE_SE_iNS9_4plusIvEENS9_8equal_toIiEEiEE10hipError_tPvRmT2_T3_T4_T5_mT6_T7_P12ihipStream_tbENKUlT_T0_E_clISt17integral_constantIbLb1EESZ_EEDaSU_SV_EUlSU_E_NS1_11comp_targetILNS1_3genE4ELNS1_11target_archE910ELNS1_3gpuE8ELNS1_3repE0EEENS1_30default_config_static_selectorELNS0_4arch9wavefront6targetE0EEEvT1_ ; -- Begin function _ZN7rocprim17ROCPRIM_400000_NS6detail17trampoline_kernelINS0_14default_configENS1_27scan_by_key_config_selectorIiiEEZZNS1_16scan_by_key_implILNS1_25lookback_scan_determinismE0ELb0ES3_N6thrust23THRUST_200600_302600_NS6detail15normal_iteratorINS9_10device_ptrIiEEEESE_SE_iNS9_4plusIvEENS9_8equal_toIiEEiEE10hipError_tPvRmT2_T3_T4_T5_mT6_T7_P12ihipStream_tbENKUlT_T0_E_clISt17integral_constantIbLb1EESZ_EEDaSU_SV_EUlSU_E_NS1_11comp_targetILNS1_3genE4ELNS1_11target_archE910ELNS1_3gpuE8ELNS1_3repE0EEENS1_30default_config_static_selectorELNS0_4arch9wavefront6targetE0EEEvT1_
	.globl	_ZN7rocprim17ROCPRIM_400000_NS6detail17trampoline_kernelINS0_14default_configENS1_27scan_by_key_config_selectorIiiEEZZNS1_16scan_by_key_implILNS1_25lookback_scan_determinismE0ELb0ES3_N6thrust23THRUST_200600_302600_NS6detail15normal_iteratorINS9_10device_ptrIiEEEESE_SE_iNS9_4plusIvEENS9_8equal_toIiEEiEE10hipError_tPvRmT2_T3_T4_T5_mT6_T7_P12ihipStream_tbENKUlT_T0_E_clISt17integral_constantIbLb1EESZ_EEDaSU_SV_EUlSU_E_NS1_11comp_targetILNS1_3genE4ELNS1_11target_archE910ELNS1_3gpuE8ELNS1_3repE0EEENS1_30default_config_static_selectorELNS0_4arch9wavefront6targetE0EEEvT1_
	.p2align	8
	.type	_ZN7rocprim17ROCPRIM_400000_NS6detail17trampoline_kernelINS0_14default_configENS1_27scan_by_key_config_selectorIiiEEZZNS1_16scan_by_key_implILNS1_25lookback_scan_determinismE0ELb0ES3_N6thrust23THRUST_200600_302600_NS6detail15normal_iteratorINS9_10device_ptrIiEEEESE_SE_iNS9_4plusIvEENS9_8equal_toIiEEiEE10hipError_tPvRmT2_T3_T4_T5_mT6_T7_P12ihipStream_tbENKUlT_T0_E_clISt17integral_constantIbLb1EESZ_EEDaSU_SV_EUlSU_E_NS1_11comp_targetILNS1_3genE4ELNS1_11target_archE910ELNS1_3gpuE8ELNS1_3repE0EEENS1_30default_config_static_selectorELNS0_4arch9wavefront6targetE0EEEvT1_,@function
_ZN7rocprim17ROCPRIM_400000_NS6detail17trampoline_kernelINS0_14default_configENS1_27scan_by_key_config_selectorIiiEEZZNS1_16scan_by_key_implILNS1_25lookback_scan_determinismE0ELb0ES3_N6thrust23THRUST_200600_302600_NS6detail15normal_iteratorINS9_10device_ptrIiEEEESE_SE_iNS9_4plusIvEENS9_8equal_toIiEEiEE10hipError_tPvRmT2_T3_T4_T5_mT6_T7_P12ihipStream_tbENKUlT_T0_E_clISt17integral_constantIbLb1EESZ_EEDaSU_SV_EUlSU_E_NS1_11comp_targetILNS1_3genE4ELNS1_11target_archE910ELNS1_3gpuE8ELNS1_3repE0EEENS1_30default_config_static_selectorELNS0_4arch9wavefront6targetE0EEEvT1_: ; @_ZN7rocprim17ROCPRIM_400000_NS6detail17trampoline_kernelINS0_14default_configENS1_27scan_by_key_config_selectorIiiEEZZNS1_16scan_by_key_implILNS1_25lookback_scan_determinismE0ELb0ES3_N6thrust23THRUST_200600_302600_NS6detail15normal_iteratorINS9_10device_ptrIiEEEESE_SE_iNS9_4plusIvEENS9_8equal_toIiEEiEE10hipError_tPvRmT2_T3_T4_T5_mT6_T7_P12ihipStream_tbENKUlT_T0_E_clISt17integral_constantIbLb1EESZ_EEDaSU_SV_EUlSU_E_NS1_11comp_targetILNS1_3genE4ELNS1_11target_archE910ELNS1_3gpuE8ELNS1_3repE0EEENS1_30default_config_static_selectorELNS0_4arch9wavefront6targetE0EEEvT1_
; %bb.0:
	.section	.rodata,"a",@progbits
	.p2align	6, 0x0
	.amdhsa_kernel _ZN7rocprim17ROCPRIM_400000_NS6detail17trampoline_kernelINS0_14default_configENS1_27scan_by_key_config_selectorIiiEEZZNS1_16scan_by_key_implILNS1_25lookback_scan_determinismE0ELb0ES3_N6thrust23THRUST_200600_302600_NS6detail15normal_iteratorINS9_10device_ptrIiEEEESE_SE_iNS9_4plusIvEENS9_8equal_toIiEEiEE10hipError_tPvRmT2_T3_T4_T5_mT6_T7_P12ihipStream_tbENKUlT_T0_E_clISt17integral_constantIbLb1EESZ_EEDaSU_SV_EUlSU_E_NS1_11comp_targetILNS1_3genE4ELNS1_11target_archE910ELNS1_3gpuE8ELNS1_3repE0EEENS1_30default_config_static_selectorELNS0_4arch9wavefront6targetE0EEEvT1_
		.amdhsa_group_segment_fixed_size 0
		.amdhsa_private_segment_fixed_size 0
		.amdhsa_kernarg_size 112
		.amdhsa_user_sgpr_count 6
		.amdhsa_user_sgpr_private_segment_buffer 1
		.amdhsa_user_sgpr_dispatch_ptr 0
		.amdhsa_user_sgpr_queue_ptr 0
		.amdhsa_user_sgpr_kernarg_segment_ptr 1
		.amdhsa_user_sgpr_dispatch_id 0
		.amdhsa_user_sgpr_flat_scratch_init 0
		.amdhsa_user_sgpr_private_segment_size 0
		.amdhsa_wavefront_size32 1
		.amdhsa_uses_dynamic_stack 0
		.amdhsa_system_sgpr_private_segment_wavefront_offset 0
		.amdhsa_system_sgpr_workgroup_id_x 1
		.amdhsa_system_sgpr_workgroup_id_y 0
		.amdhsa_system_sgpr_workgroup_id_z 0
		.amdhsa_system_sgpr_workgroup_info 0
		.amdhsa_system_vgpr_workitem_id 0
		.amdhsa_next_free_vgpr 1
		.amdhsa_next_free_sgpr 1
		.amdhsa_reserve_vcc 0
		.amdhsa_reserve_flat_scratch 0
		.amdhsa_float_round_mode_32 0
		.amdhsa_float_round_mode_16_64 0
		.amdhsa_float_denorm_mode_32 3
		.amdhsa_float_denorm_mode_16_64 3
		.amdhsa_dx10_clamp 1
		.amdhsa_ieee_mode 1
		.amdhsa_fp16_overflow 0
		.amdhsa_workgroup_processor_mode 1
		.amdhsa_memory_ordered 1
		.amdhsa_forward_progress 1
		.amdhsa_shared_vgpr_count 0
		.amdhsa_exception_fp_ieee_invalid_op 0
		.amdhsa_exception_fp_denorm_src 0
		.amdhsa_exception_fp_ieee_div_zero 0
		.amdhsa_exception_fp_ieee_overflow 0
		.amdhsa_exception_fp_ieee_underflow 0
		.amdhsa_exception_fp_ieee_inexact 0
		.amdhsa_exception_int_div_zero 0
	.end_amdhsa_kernel
	.section	.text._ZN7rocprim17ROCPRIM_400000_NS6detail17trampoline_kernelINS0_14default_configENS1_27scan_by_key_config_selectorIiiEEZZNS1_16scan_by_key_implILNS1_25lookback_scan_determinismE0ELb0ES3_N6thrust23THRUST_200600_302600_NS6detail15normal_iteratorINS9_10device_ptrIiEEEESE_SE_iNS9_4plusIvEENS9_8equal_toIiEEiEE10hipError_tPvRmT2_T3_T4_T5_mT6_T7_P12ihipStream_tbENKUlT_T0_E_clISt17integral_constantIbLb1EESZ_EEDaSU_SV_EUlSU_E_NS1_11comp_targetILNS1_3genE4ELNS1_11target_archE910ELNS1_3gpuE8ELNS1_3repE0EEENS1_30default_config_static_selectorELNS0_4arch9wavefront6targetE0EEEvT1_,"axG",@progbits,_ZN7rocprim17ROCPRIM_400000_NS6detail17trampoline_kernelINS0_14default_configENS1_27scan_by_key_config_selectorIiiEEZZNS1_16scan_by_key_implILNS1_25lookback_scan_determinismE0ELb0ES3_N6thrust23THRUST_200600_302600_NS6detail15normal_iteratorINS9_10device_ptrIiEEEESE_SE_iNS9_4plusIvEENS9_8equal_toIiEEiEE10hipError_tPvRmT2_T3_T4_T5_mT6_T7_P12ihipStream_tbENKUlT_T0_E_clISt17integral_constantIbLb1EESZ_EEDaSU_SV_EUlSU_E_NS1_11comp_targetILNS1_3genE4ELNS1_11target_archE910ELNS1_3gpuE8ELNS1_3repE0EEENS1_30default_config_static_selectorELNS0_4arch9wavefront6targetE0EEEvT1_,comdat
.Lfunc_end212:
	.size	_ZN7rocprim17ROCPRIM_400000_NS6detail17trampoline_kernelINS0_14default_configENS1_27scan_by_key_config_selectorIiiEEZZNS1_16scan_by_key_implILNS1_25lookback_scan_determinismE0ELb0ES3_N6thrust23THRUST_200600_302600_NS6detail15normal_iteratorINS9_10device_ptrIiEEEESE_SE_iNS9_4plusIvEENS9_8equal_toIiEEiEE10hipError_tPvRmT2_T3_T4_T5_mT6_T7_P12ihipStream_tbENKUlT_T0_E_clISt17integral_constantIbLb1EESZ_EEDaSU_SV_EUlSU_E_NS1_11comp_targetILNS1_3genE4ELNS1_11target_archE910ELNS1_3gpuE8ELNS1_3repE0EEENS1_30default_config_static_selectorELNS0_4arch9wavefront6targetE0EEEvT1_, .Lfunc_end212-_ZN7rocprim17ROCPRIM_400000_NS6detail17trampoline_kernelINS0_14default_configENS1_27scan_by_key_config_selectorIiiEEZZNS1_16scan_by_key_implILNS1_25lookback_scan_determinismE0ELb0ES3_N6thrust23THRUST_200600_302600_NS6detail15normal_iteratorINS9_10device_ptrIiEEEESE_SE_iNS9_4plusIvEENS9_8equal_toIiEEiEE10hipError_tPvRmT2_T3_T4_T5_mT6_T7_P12ihipStream_tbENKUlT_T0_E_clISt17integral_constantIbLb1EESZ_EEDaSU_SV_EUlSU_E_NS1_11comp_targetILNS1_3genE4ELNS1_11target_archE910ELNS1_3gpuE8ELNS1_3repE0EEENS1_30default_config_static_selectorELNS0_4arch9wavefront6targetE0EEEvT1_
                                        ; -- End function
	.set _ZN7rocprim17ROCPRIM_400000_NS6detail17trampoline_kernelINS0_14default_configENS1_27scan_by_key_config_selectorIiiEEZZNS1_16scan_by_key_implILNS1_25lookback_scan_determinismE0ELb0ES3_N6thrust23THRUST_200600_302600_NS6detail15normal_iteratorINS9_10device_ptrIiEEEESE_SE_iNS9_4plusIvEENS9_8equal_toIiEEiEE10hipError_tPvRmT2_T3_T4_T5_mT6_T7_P12ihipStream_tbENKUlT_T0_E_clISt17integral_constantIbLb1EESZ_EEDaSU_SV_EUlSU_E_NS1_11comp_targetILNS1_3genE4ELNS1_11target_archE910ELNS1_3gpuE8ELNS1_3repE0EEENS1_30default_config_static_selectorELNS0_4arch9wavefront6targetE0EEEvT1_.num_vgpr, 0
	.set _ZN7rocprim17ROCPRIM_400000_NS6detail17trampoline_kernelINS0_14default_configENS1_27scan_by_key_config_selectorIiiEEZZNS1_16scan_by_key_implILNS1_25lookback_scan_determinismE0ELb0ES3_N6thrust23THRUST_200600_302600_NS6detail15normal_iteratorINS9_10device_ptrIiEEEESE_SE_iNS9_4plusIvEENS9_8equal_toIiEEiEE10hipError_tPvRmT2_T3_T4_T5_mT6_T7_P12ihipStream_tbENKUlT_T0_E_clISt17integral_constantIbLb1EESZ_EEDaSU_SV_EUlSU_E_NS1_11comp_targetILNS1_3genE4ELNS1_11target_archE910ELNS1_3gpuE8ELNS1_3repE0EEENS1_30default_config_static_selectorELNS0_4arch9wavefront6targetE0EEEvT1_.num_agpr, 0
	.set _ZN7rocprim17ROCPRIM_400000_NS6detail17trampoline_kernelINS0_14default_configENS1_27scan_by_key_config_selectorIiiEEZZNS1_16scan_by_key_implILNS1_25lookback_scan_determinismE0ELb0ES3_N6thrust23THRUST_200600_302600_NS6detail15normal_iteratorINS9_10device_ptrIiEEEESE_SE_iNS9_4plusIvEENS9_8equal_toIiEEiEE10hipError_tPvRmT2_T3_T4_T5_mT6_T7_P12ihipStream_tbENKUlT_T0_E_clISt17integral_constantIbLb1EESZ_EEDaSU_SV_EUlSU_E_NS1_11comp_targetILNS1_3genE4ELNS1_11target_archE910ELNS1_3gpuE8ELNS1_3repE0EEENS1_30default_config_static_selectorELNS0_4arch9wavefront6targetE0EEEvT1_.numbered_sgpr, 0
	.set _ZN7rocprim17ROCPRIM_400000_NS6detail17trampoline_kernelINS0_14default_configENS1_27scan_by_key_config_selectorIiiEEZZNS1_16scan_by_key_implILNS1_25lookback_scan_determinismE0ELb0ES3_N6thrust23THRUST_200600_302600_NS6detail15normal_iteratorINS9_10device_ptrIiEEEESE_SE_iNS9_4plusIvEENS9_8equal_toIiEEiEE10hipError_tPvRmT2_T3_T4_T5_mT6_T7_P12ihipStream_tbENKUlT_T0_E_clISt17integral_constantIbLb1EESZ_EEDaSU_SV_EUlSU_E_NS1_11comp_targetILNS1_3genE4ELNS1_11target_archE910ELNS1_3gpuE8ELNS1_3repE0EEENS1_30default_config_static_selectorELNS0_4arch9wavefront6targetE0EEEvT1_.num_named_barrier, 0
	.set _ZN7rocprim17ROCPRIM_400000_NS6detail17trampoline_kernelINS0_14default_configENS1_27scan_by_key_config_selectorIiiEEZZNS1_16scan_by_key_implILNS1_25lookback_scan_determinismE0ELb0ES3_N6thrust23THRUST_200600_302600_NS6detail15normal_iteratorINS9_10device_ptrIiEEEESE_SE_iNS9_4plusIvEENS9_8equal_toIiEEiEE10hipError_tPvRmT2_T3_T4_T5_mT6_T7_P12ihipStream_tbENKUlT_T0_E_clISt17integral_constantIbLb1EESZ_EEDaSU_SV_EUlSU_E_NS1_11comp_targetILNS1_3genE4ELNS1_11target_archE910ELNS1_3gpuE8ELNS1_3repE0EEENS1_30default_config_static_selectorELNS0_4arch9wavefront6targetE0EEEvT1_.private_seg_size, 0
	.set _ZN7rocprim17ROCPRIM_400000_NS6detail17trampoline_kernelINS0_14default_configENS1_27scan_by_key_config_selectorIiiEEZZNS1_16scan_by_key_implILNS1_25lookback_scan_determinismE0ELb0ES3_N6thrust23THRUST_200600_302600_NS6detail15normal_iteratorINS9_10device_ptrIiEEEESE_SE_iNS9_4plusIvEENS9_8equal_toIiEEiEE10hipError_tPvRmT2_T3_T4_T5_mT6_T7_P12ihipStream_tbENKUlT_T0_E_clISt17integral_constantIbLb1EESZ_EEDaSU_SV_EUlSU_E_NS1_11comp_targetILNS1_3genE4ELNS1_11target_archE910ELNS1_3gpuE8ELNS1_3repE0EEENS1_30default_config_static_selectorELNS0_4arch9wavefront6targetE0EEEvT1_.uses_vcc, 0
	.set _ZN7rocprim17ROCPRIM_400000_NS6detail17trampoline_kernelINS0_14default_configENS1_27scan_by_key_config_selectorIiiEEZZNS1_16scan_by_key_implILNS1_25lookback_scan_determinismE0ELb0ES3_N6thrust23THRUST_200600_302600_NS6detail15normal_iteratorINS9_10device_ptrIiEEEESE_SE_iNS9_4plusIvEENS9_8equal_toIiEEiEE10hipError_tPvRmT2_T3_T4_T5_mT6_T7_P12ihipStream_tbENKUlT_T0_E_clISt17integral_constantIbLb1EESZ_EEDaSU_SV_EUlSU_E_NS1_11comp_targetILNS1_3genE4ELNS1_11target_archE910ELNS1_3gpuE8ELNS1_3repE0EEENS1_30default_config_static_selectorELNS0_4arch9wavefront6targetE0EEEvT1_.uses_flat_scratch, 0
	.set _ZN7rocprim17ROCPRIM_400000_NS6detail17trampoline_kernelINS0_14default_configENS1_27scan_by_key_config_selectorIiiEEZZNS1_16scan_by_key_implILNS1_25lookback_scan_determinismE0ELb0ES3_N6thrust23THRUST_200600_302600_NS6detail15normal_iteratorINS9_10device_ptrIiEEEESE_SE_iNS9_4plusIvEENS9_8equal_toIiEEiEE10hipError_tPvRmT2_T3_T4_T5_mT6_T7_P12ihipStream_tbENKUlT_T0_E_clISt17integral_constantIbLb1EESZ_EEDaSU_SV_EUlSU_E_NS1_11comp_targetILNS1_3genE4ELNS1_11target_archE910ELNS1_3gpuE8ELNS1_3repE0EEENS1_30default_config_static_selectorELNS0_4arch9wavefront6targetE0EEEvT1_.has_dyn_sized_stack, 0
	.set _ZN7rocprim17ROCPRIM_400000_NS6detail17trampoline_kernelINS0_14default_configENS1_27scan_by_key_config_selectorIiiEEZZNS1_16scan_by_key_implILNS1_25lookback_scan_determinismE0ELb0ES3_N6thrust23THRUST_200600_302600_NS6detail15normal_iteratorINS9_10device_ptrIiEEEESE_SE_iNS9_4plusIvEENS9_8equal_toIiEEiEE10hipError_tPvRmT2_T3_T4_T5_mT6_T7_P12ihipStream_tbENKUlT_T0_E_clISt17integral_constantIbLb1EESZ_EEDaSU_SV_EUlSU_E_NS1_11comp_targetILNS1_3genE4ELNS1_11target_archE910ELNS1_3gpuE8ELNS1_3repE0EEENS1_30default_config_static_selectorELNS0_4arch9wavefront6targetE0EEEvT1_.has_recursion, 0
	.set _ZN7rocprim17ROCPRIM_400000_NS6detail17trampoline_kernelINS0_14default_configENS1_27scan_by_key_config_selectorIiiEEZZNS1_16scan_by_key_implILNS1_25lookback_scan_determinismE0ELb0ES3_N6thrust23THRUST_200600_302600_NS6detail15normal_iteratorINS9_10device_ptrIiEEEESE_SE_iNS9_4plusIvEENS9_8equal_toIiEEiEE10hipError_tPvRmT2_T3_T4_T5_mT6_T7_P12ihipStream_tbENKUlT_T0_E_clISt17integral_constantIbLb1EESZ_EEDaSU_SV_EUlSU_E_NS1_11comp_targetILNS1_3genE4ELNS1_11target_archE910ELNS1_3gpuE8ELNS1_3repE0EEENS1_30default_config_static_selectorELNS0_4arch9wavefront6targetE0EEEvT1_.has_indirect_call, 0
	.section	.AMDGPU.csdata,"",@progbits
; Kernel info:
; codeLenInByte = 0
; TotalNumSgprs: 0
; NumVgprs: 0
; ScratchSize: 0
; MemoryBound: 0
; FloatMode: 240
; IeeeMode: 1
; LDSByteSize: 0 bytes/workgroup (compile time only)
; SGPRBlocks: 0
; VGPRBlocks: 0
; NumSGPRsForWavesPerEU: 1
; NumVGPRsForWavesPerEU: 1
; Occupancy: 16
; WaveLimiterHint : 0
; COMPUTE_PGM_RSRC2:SCRATCH_EN: 0
; COMPUTE_PGM_RSRC2:USER_SGPR: 6
; COMPUTE_PGM_RSRC2:TRAP_HANDLER: 0
; COMPUTE_PGM_RSRC2:TGID_X_EN: 1
; COMPUTE_PGM_RSRC2:TGID_Y_EN: 0
; COMPUTE_PGM_RSRC2:TGID_Z_EN: 0
; COMPUTE_PGM_RSRC2:TIDIG_COMP_CNT: 0
	.section	.text._ZN7rocprim17ROCPRIM_400000_NS6detail17trampoline_kernelINS0_14default_configENS1_27scan_by_key_config_selectorIiiEEZZNS1_16scan_by_key_implILNS1_25lookback_scan_determinismE0ELb0ES3_N6thrust23THRUST_200600_302600_NS6detail15normal_iteratorINS9_10device_ptrIiEEEESE_SE_iNS9_4plusIvEENS9_8equal_toIiEEiEE10hipError_tPvRmT2_T3_T4_T5_mT6_T7_P12ihipStream_tbENKUlT_T0_E_clISt17integral_constantIbLb1EESZ_EEDaSU_SV_EUlSU_E_NS1_11comp_targetILNS1_3genE3ELNS1_11target_archE908ELNS1_3gpuE7ELNS1_3repE0EEENS1_30default_config_static_selectorELNS0_4arch9wavefront6targetE0EEEvT1_,"axG",@progbits,_ZN7rocprim17ROCPRIM_400000_NS6detail17trampoline_kernelINS0_14default_configENS1_27scan_by_key_config_selectorIiiEEZZNS1_16scan_by_key_implILNS1_25lookback_scan_determinismE0ELb0ES3_N6thrust23THRUST_200600_302600_NS6detail15normal_iteratorINS9_10device_ptrIiEEEESE_SE_iNS9_4plusIvEENS9_8equal_toIiEEiEE10hipError_tPvRmT2_T3_T4_T5_mT6_T7_P12ihipStream_tbENKUlT_T0_E_clISt17integral_constantIbLb1EESZ_EEDaSU_SV_EUlSU_E_NS1_11comp_targetILNS1_3genE3ELNS1_11target_archE908ELNS1_3gpuE7ELNS1_3repE0EEENS1_30default_config_static_selectorELNS0_4arch9wavefront6targetE0EEEvT1_,comdat
	.protected	_ZN7rocprim17ROCPRIM_400000_NS6detail17trampoline_kernelINS0_14default_configENS1_27scan_by_key_config_selectorIiiEEZZNS1_16scan_by_key_implILNS1_25lookback_scan_determinismE0ELb0ES3_N6thrust23THRUST_200600_302600_NS6detail15normal_iteratorINS9_10device_ptrIiEEEESE_SE_iNS9_4plusIvEENS9_8equal_toIiEEiEE10hipError_tPvRmT2_T3_T4_T5_mT6_T7_P12ihipStream_tbENKUlT_T0_E_clISt17integral_constantIbLb1EESZ_EEDaSU_SV_EUlSU_E_NS1_11comp_targetILNS1_3genE3ELNS1_11target_archE908ELNS1_3gpuE7ELNS1_3repE0EEENS1_30default_config_static_selectorELNS0_4arch9wavefront6targetE0EEEvT1_ ; -- Begin function _ZN7rocprim17ROCPRIM_400000_NS6detail17trampoline_kernelINS0_14default_configENS1_27scan_by_key_config_selectorIiiEEZZNS1_16scan_by_key_implILNS1_25lookback_scan_determinismE0ELb0ES3_N6thrust23THRUST_200600_302600_NS6detail15normal_iteratorINS9_10device_ptrIiEEEESE_SE_iNS9_4plusIvEENS9_8equal_toIiEEiEE10hipError_tPvRmT2_T3_T4_T5_mT6_T7_P12ihipStream_tbENKUlT_T0_E_clISt17integral_constantIbLb1EESZ_EEDaSU_SV_EUlSU_E_NS1_11comp_targetILNS1_3genE3ELNS1_11target_archE908ELNS1_3gpuE7ELNS1_3repE0EEENS1_30default_config_static_selectorELNS0_4arch9wavefront6targetE0EEEvT1_
	.globl	_ZN7rocprim17ROCPRIM_400000_NS6detail17trampoline_kernelINS0_14default_configENS1_27scan_by_key_config_selectorIiiEEZZNS1_16scan_by_key_implILNS1_25lookback_scan_determinismE0ELb0ES3_N6thrust23THRUST_200600_302600_NS6detail15normal_iteratorINS9_10device_ptrIiEEEESE_SE_iNS9_4plusIvEENS9_8equal_toIiEEiEE10hipError_tPvRmT2_T3_T4_T5_mT6_T7_P12ihipStream_tbENKUlT_T0_E_clISt17integral_constantIbLb1EESZ_EEDaSU_SV_EUlSU_E_NS1_11comp_targetILNS1_3genE3ELNS1_11target_archE908ELNS1_3gpuE7ELNS1_3repE0EEENS1_30default_config_static_selectorELNS0_4arch9wavefront6targetE0EEEvT1_
	.p2align	8
	.type	_ZN7rocprim17ROCPRIM_400000_NS6detail17trampoline_kernelINS0_14default_configENS1_27scan_by_key_config_selectorIiiEEZZNS1_16scan_by_key_implILNS1_25lookback_scan_determinismE0ELb0ES3_N6thrust23THRUST_200600_302600_NS6detail15normal_iteratorINS9_10device_ptrIiEEEESE_SE_iNS9_4plusIvEENS9_8equal_toIiEEiEE10hipError_tPvRmT2_T3_T4_T5_mT6_T7_P12ihipStream_tbENKUlT_T0_E_clISt17integral_constantIbLb1EESZ_EEDaSU_SV_EUlSU_E_NS1_11comp_targetILNS1_3genE3ELNS1_11target_archE908ELNS1_3gpuE7ELNS1_3repE0EEENS1_30default_config_static_selectorELNS0_4arch9wavefront6targetE0EEEvT1_,@function
_ZN7rocprim17ROCPRIM_400000_NS6detail17trampoline_kernelINS0_14default_configENS1_27scan_by_key_config_selectorIiiEEZZNS1_16scan_by_key_implILNS1_25lookback_scan_determinismE0ELb0ES3_N6thrust23THRUST_200600_302600_NS6detail15normal_iteratorINS9_10device_ptrIiEEEESE_SE_iNS9_4plusIvEENS9_8equal_toIiEEiEE10hipError_tPvRmT2_T3_T4_T5_mT6_T7_P12ihipStream_tbENKUlT_T0_E_clISt17integral_constantIbLb1EESZ_EEDaSU_SV_EUlSU_E_NS1_11comp_targetILNS1_3genE3ELNS1_11target_archE908ELNS1_3gpuE7ELNS1_3repE0EEENS1_30default_config_static_selectorELNS0_4arch9wavefront6targetE0EEEvT1_: ; @_ZN7rocprim17ROCPRIM_400000_NS6detail17trampoline_kernelINS0_14default_configENS1_27scan_by_key_config_selectorIiiEEZZNS1_16scan_by_key_implILNS1_25lookback_scan_determinismE0ELb0ES3_N6thrust23THRUST_200600_302600_NS6detail15normal_iteratorINS9_10device_ptrIiEEEESE_SE_iNS9_4plusIvEENS9_8equal_toIiEEiEE10hipError_tPvRmT2_T3_T4_T5_mT6_T7_P12ihipStream_tbENKUlT_T0_E_clISt17integral_constantIbLb1EESZ_EEDaSU_SV_EUlSU_E_NS1_11comp_targetILNS1_3genE3ELNS1_11target_archE908ELNS1_3gpuE7ELNS1_3repE0EEENS1_30default_config_static_selectorELNS0_4arch9wavefront6targetE0EEEvT1_
; %bb.0:
	.section	.rodata,"a",@progbits
	.p2align	6, 0x0
	.amdhsa_kernel _ZN7rocprim17ROCPRIM_400000_NS6detail17trampoline_kernelINS0_14default_configENS1_27scan_by_key_config_selectorIiiEEZZNS1_16scan_by_key_implILNS1_25lookback_scan_determinismE0ELb0ES3_N6thrust23THRUST_200600_302600_NS6detail15normal_iteratorINS9_10device_ptrIiEEEESE_SE_iNS9_4plusIvEENS9_8equal_toIiEEiEE10hipError_tPvRmT2_T3_T4_T5_mT6_T7_P12ihipStream_tbENKUlT_T0_E_clISt17integral_constantIbLb1EESZ_EEDaSU_SV_EUlSU_E_NS1_11comp_targetILNS1_3genE3ELNS1_11target_archE908ELNS1_3gpuE7ELNS1_3repE0EEENS1_30default_config_static_selectorELNS0_4arch9wavefront6targetE0EEEvT1_
		.amdhsa_group_segment_fixed_size 0
		.amdhsa_private_segment_fixed_size 0
		.amdhsa_kernarg_size 112
		.amdhsa_user_sgpr_count 6
		.amdhsa_user_sgpr_private_segment_buffer 1
		.amdhsa_user_sgpr_dispatch_ptr 0
		.amdhsa_user_sgpr_queue_ptr 0
		.amdhsa_user_sgpr_kernarg_segment_ptr 1
		.amdhsa_user_sgpr_dispatch_id 0
		.amdhsa_user_sgpr_flat_scratch_init 0
		.amdhsa_user_sgpr_private_segment_size 0
		.amdhsa_wavefront_size32 1
		.amdhsa_uses_dynamic_stack 0
		.amdhsa_system_sgpr_private_segment_wavefront_offset 0
		.amdhsa_system_sgpr_workgroup_id_x 1
		.amdhsa_system_sgpr_workgroup_id_y 0
		.amdhsa_system_sgpr_workgroup_id_z 0
		.amdhsa_system_sgpr_workgroup_info 0
		.amdhsa_system_vgpr_workitem_id 0
		.amdhsa_next_free_vgpr 1
		.amdhsa_next_free_sgpr 1
		.amdhsa_reserve_vcc 0
		.amdhsa_reserve_flat_scratch 0
		.amdhsa_float_round_mode_32 0
		.amdhsa_float_round_mode_16_64 0
		.amdhsa_float_denorm_mode_32 3
		.amdhsa_float_denorm_mode_16_64 3
		.amdhsa_dx10_clamp 1
		.amdhsa_ieee_mode 1
		.amdhsa_fp16_overflow 0
		.amdhsa_workgroup_processor_mode 1
		.amdhsa_memory_ordered 1
		.amdhsa_forward_progress 1
		.amdhsa_shared_vgpr_count 0
		.amdhsa_exception_fp_ieee_invalid_op 0
		.amdhsa_exception_fp_denorm_src 0
		.amdhsa_exception_fp_ieee_div_zero 0
		.amdhsa_exception_fp_ieee_overflow 0
		.amdhsa_exception_fp_ieee_underflow 0
		.amdhsa_exception_fp_ieee_inexact 0
		.amdhsa_exception_int_div_zero 0
	.end_amdhsa_kernel
	.section	.text._ZN7rocprim17ROCPRIM_400000_NS6detail17trampoline_kernelINS0_14default_configENS1_27scan_by_key_config_selectorIiiEEZZNS1_16scan_by_key_implILNS1_25lookback_scan_determinismE0ELb0ES3_N6thrust23THRUST_200600_302600_NS6detail15normal_iteratorINS9_10device_ptrIiEEEESE_SE_iNS9_4plusIvEENS9_8equal_toIiEEiEE10hipError_tPvRmT2_T3_T4_T5_mT6_T7_P12ihipStream_tbENKUlT_T0_E_clISt17integral_constantIbLb1EESZ_EEDaSU_SV_EUlSU_E_NS1_11comp_targetILNS1_3genE3ELNS1_11target_archE908ELNS1_3gpuE7ELNS1_3repE0EEENS1_30default_config_static_selectorELNS0_4arch9wavefront6targetE0EEEvT1_,"axG",@progbits,_ZN7rocprim17ROCPRIM_400000_NS6detail17trampoline_kernelINS0_14default_configENS1_27scan_by_key_config_selectorIiiEEZZNS1_16scan_by_key_implILNS1_25lookback_scan_determinismE0ELb0ES3_N6thrust23THRUST_200600_302600_NS6detail15normal_iteratorINS9_10device_ptrIiEEEESE_SE_iNS9_4plusIvEENS9_8equal_toIiEEiEE10hipError_tPvRmT2_T3_T4_T5_mT6_T7_P12ihipStream_tbENKUlT_T0_E_clISt17integral_constantIbLb1EESZ_EEDaSU_SV_EUlSU_E_NS1_11comp_targetILNS1_3genE3ELNS1_11target_archE908ELNS1_3gpuE7ELNS1_3repE0EEENS1_30default_config_static_selectorELNS0_4arch9wavefront6targetE0EEEvT1_,comdat
.Lfunc_end213:
	.size	_ZN7rocprim17ROCPRIM_400000_NS6detail17trampoline_kernelINS0_14default_configENS1_27scan_by_key_config_selectorIiiEEZZNS1_16scan_by_key_implILNS1_25lookback_scan_determinismE0ELb0ES3_N6thrust23THRUST_200600_302600_NS6detail15normal_iteratorINS9_10device_ptrIiEEEESE_SE_iNS9_4plusIvEENS9_8equal_toIiEEiEE10hipError_tPvRmT2_T3_T4_T5_mT6_T7_P12ihipStream_tbENKUlT_T0_E_clISt17integral_constantIbLb1EESZ_EEDaSU_SV_EUlSU_E_NS1_11comp_targetILNS1_3genE3ELNS1_11target_archE908ELNS1_3gpuE7ELNS1_3repE0EEENS1_30default_config_static_selectorELNS0_4arch9wavefront6targetE0EEEvT1_, .Lfunc_end213-_ZN7rocprim17ROCPRIM_400000_NS6detail17trampoline_kernelINS0_14default_configENS1_27scan_by_key_config_selectorIiiEEZZNS1_16scan_by_key_implILNS1_25lookback_scan_determinismE0ELb0ES3_N6thrust23THRUST_200600_302600_NS6detail15normal_iteratorINS9_10device_ptrIiEEEESE_SE_iNS9_4plusIvEENS9_8equal_toIiEEiEE10hipError_tPvRmT2_T3_T4_T5_mT6_T7_P12ihipStream_tbENKUlT_T0_E_clISt17integral_constantIbLb1EESZ_EEDaSU_SV_EUlSU_E_NS1_11comp_targetILNS1_3genE3ELNS1_11target_archE908ELNS1_3gpuE7ELNS1_3repE0EEENS1_30default_config_static_selectorELNS0_4arch9wavefront6targetE0EEEvT1_
                                        ; -- End function
	.set _ZN7rocprim17ROCPRIM_400000_NS6detail17trampoline_kernelINS0_14default_configENS1_27scan_by_key_config_selectorIiiEEZZNS1_16scan_by_key_implILNS1_25lookback_scan_determinismE0ELb0ES3_N6thrust23THRUST_200600_302600_NS6detail15normal_iteratorINS9_10device_ptrIiEEEESE_SE_iNS9_4plusIvEENS9_8equal_toIiEEiEE10hipError_tPvRmT2_T3_T4_T5_mT6_T7_P12ihipStream_tbENKUlT_T0_E_clISt17integral_constantIbLb1EESZ_EEDaSU_SV_EUlSU_E_NS1_11comp_targetILNS1_3genE3ELNS1_11target_archE908ELNS1_3gpuE7ELNS1_3repE0EEENS1_30default_config_static_selectorELNS0_4arch9wavefront6targetE0EEEvT1_.num_vgpr, 0
	.set _ZN7rocprim17ROCPRIM_400000_NS6detail17trampoline_kernelINS0_14default_configENS1_27scan_by_key_config_selectorIiiEEZZNS1_16scan_by_key_implILNS1_25lookback_scan_determinismE0ELb0ES3_N6thrust23THRUST_200600_302600_NS6detail15normal_iteratorINS9_10device_ptrIiEEEESE_SE_iNS9_4plusIvEENS9_8equal_toIiEEiEE10hipError_tPvRmT2_T3_T4_T5_mT6_T7_P12ihipStream_tbENKUlT_T0_E_clISt17integral_constantIbLb1EESZ_EEDaSU_SV_EUlSU_E_NS1_11comp_targetILNS1_3genE3ELNS1_11target_archE908ELNS1_3gpuE7ELNS1_3repE0EEENS1_30default_config_static_selectorELNS0_4arch9wavefront6targetE0EEEvT1_.num_agpr, 0
	.set _ZN7rocprim17ROCPRIM_400000_NS6detail17trampoline_kernelINS0_14default_configENS1_27scan_by_key_config_selectorIiiEEZZNS1_16scan_by_key_implILNS1_25lookback_scan_determinismE0ELb0ES3_N6thrust23THRUST_200600_302600_NS6detail15normal_iteratorINS9_10device_ptrIiEEEESE_SE_iNS9_4plusIvEENS9_8equal_toIiEEiEE10hipError_tPvRmT2_T3_T4_T5_mT6_T7_P12ihipStream_tbENKUlT_T0_E_clISt17integral_constantIbLb1EESZ_EEDaSU_SV_EUlSU_E_NS1_11comp_targetILNS1_3genE3ELNS1_11target_archE908ELNS1_3gpuE7ELNS1_3repE0EEENS1_30default_config_static_selectorELNS0_4arch9wavefront6targetE0EEEvT1_.numbered_sgpr, 0
	.set _ZN7rocprim17ROCPRIM_400000_NS6detail17trampoline_kernelINS0_14default_configENS1_27scan_by_key_config_selectorIiiEEZZNS1_16scan_by_key_implILNS1_25lookback_scan_determinismE0ELb0ES3_N6thrust23THRUST_200600_302600_NS6detail15normal_iteratorINS9_10device_ptrIiEEEESE_SE_iNS9_4plusIvEENS9_8equal_toIiEEiEE10hipError_tPvRmT2_T3_T4_T5_mT6_T7_P12ihipStream_tbENKUlT_T0_E_clISt17integral_constantIbLb1EESZ_EEDaSU_SV_EUlSU_E_NS1_11comp_targetILNS1_3genE3ELNS1_11target_archE908ELNS1_3gpuE7ELNS1_3repE0EEENS1_30default_config_static_selectorELNS0_4arch9wavefront6targetE0EEEvT1_.num_named_barrier, 0
	.set _ZN7rocprim17ROCPRIM_400000_NS6detail17trampoline_kernelINS0_14default_configENS1_27scan_by_key_config_selectorIiiEEZZNS1_16scan_by_key_implILNS1_25lookback_scan_determinismE0ELb0ES3_N6thrust23THRUST_200600_302600_NS6detail15normal_iteratorINS9_10device_ptrIiEEEESE_SE_iNS9_4plusIvEENS9_8equal_toIiEEiEE10hipError_tPvRmT2_T3_T4_T5_mT6_T7_P12ihipStream_tbENKUlT_T0_E_clISt17integral_constantIbLb1EESZ_EEDaSU_SV_EUlSU_E_NS1_11comp_targetILNS1_3genE3ELNS1_11target_archE908ELNS1_3gpuE7ELNS1_3repE0EEENS1_30default_config_static_selectorELNS0_4arch9wavefront6targetE0EEEvT1_.private_seg_size, 0
	.set _ZN7rocprim17ROCPRIM_400000_NS6detail17trampoline_kernelINS0_14default_configENS1_27scan_by_key_config_selectorIiiEEZZNS1_16scan_by_key_implILNS1_25lookback_scan_determinismE0ELb0ES3_N6thrust23THRUST_200600_302600_NS6detail15normal_iteratorINS9_10device_ptrIiEEEESE_SE_iNS9_4plusIvEENS9_8equal_toIiEEiEE10hipError_tPvRmT2_T3_T4_T5_mT6_T7_P12ihipStream_tbENKUlT_T0_E_clISt17integral_constantIbLb1EESZ_EEDaSU_SV_EUlSU_E_NS1_11comp_targetILNS1_3genE3ELNS1_11target_archE908ELNS1_3gpuE7ELNS1_3repE0EEENS1_30default_config_static_selectorELNS0_4arch9wavefront6targetE0EEEvT1_.uses_vcc, 0
	.set _ZN7rocprim17ROCPRIM_400000_NS6detail17trampoline_kernelINS0_14default_configENS1_27scan_by_key_config_selectorIiiEEZZNS1_16scan_by_key_implILNS1_25lookback_scan_determinismE0ELb0ES3_N6thrust23THRUST_200600_302600_NS6detail15normal_iteratorINS9_10device_ptrIiEEEESE_SE_iNS9_4plusIvEENS9_8equal_toIiEEiEE10hipError_tPvRmT2_T3_T4_T5_mT6_T7_P12ihipStream_tbENKUlT_T0_E_clISt17integral_constantIbLb1EESZ_EEDaSU_SV_EUlSU_E_NS1_11comp_targetILNS1_3genE3ELNS1_11target_archE908ELNS1_3gpuE7ELNS1_3repE0EEENS1_30default_config_static_selectorELNS0_4arch9wavefront6targetE0EEEvT1_.uses_flat_scratch, 0
	.set _ZN7rocprim17ROCPRIM_400000_NS6detail17trampoline_kernelINS0_14default_configENS1_27scan_by_key_config_selectorIiiEEZZNS1_16scan_by_key_implILNS1_25lookback_scan_determinismE0ELb0ES3_N6thrust23THRUST_200600_302600_NS6detail15normal_iteratorINS9_10device_ptrIiEEEESE_SE_iNS9_4plusIvEENS9_8equal_toIiEEiEE10hipError_tPvRmT2_T3_T4_T5_mT6_T7_P12ihipStream_tbENKUlT_T0_E_clISt17integral_constantIbLb1EESZ_EEDaSU_SV_EUlSU_E_NS1_11comp_targetILNS1_3genE3ELNS1_11target_archE908ELNS1_3gpuE7ELNS1_3repE0EEENS1_30default_config_static_selectorELNS0_4arch9wavefront6targetE0EEEvT1_.has_dyn_sized_stack, 0
	.set _ZN7rocprim17ROCPRIM_400000_NS6detail17trampoline_kernelINS0_14default_configENS1_27scan_by_key_config_selectorIiiEEZZNS1_16scan_by_key_implILNS1_25lookback_scan_determinismE0ELb0ES3_N6thrust23THRUST_200600_302600_NS6detail15normal_iteratorINS9_10device_ptrIiEEEESE_SE_iNS9_4plusIvEENS9_8equal_toIiEEiEE10hipError_tPvRmT2_T3_T4_T5_mT6_T7_P12ihipStream_tbENKUlT_T0_E_clISt17integral_constantIbLb1EESZ_EEDaSU_SV_EUlSU_E_NS1_11comp_targetILNS1_3genE3ELNS1_11target_archE908ELNS1_3gpuE7ELNS1_3repE0EEENS1_30default_config_static_selectorELNS0_4arch9wavefront6targetE0EEEvT1_.has_recursion, 0
	.set _ZN7rocprim17ROCPRIM_400000_NS6detail17trampoline_kernelINS0_14default_configENS1_27scan_by_key_config_selectorIiiEEZZNS1_16scan_by_key_implILNS1_25lookback_scan_determinismE0ELb0ES3_N6thrust23THRUST_200600_302600_NS6detail15normal_iteratorINS9_10device_ptrIiEEEESE_SE_iNS9_4plusIvEENS9_8equal_toIiEEiEE10hipError_tPvRmT2_T3_T4_T5_mT6_T7_P12ihipStream_tbENKUlT_T0_E_clISt17integral_constantIbLb1EESZ_EEDaSU_SV_EUlSU_E_NS1_11comp_targetILNS1_3genE3ELNS1_11target_archE908ELNS1_3gpuE7ELNS1_3repE0EEENS1_30default_config_static_selectorELNS0_4arch9wavefront6targetE0EEEvT1_.has_indirect_call, 0
	.section	.AMDGPU.csdata,"",@progbits
; Kernel info:
; codeLenInByte = 0
; TotalNumSgprs: 0
; NumVgprs: 0
; ScratchSize: 0
; MemoryBound: 0
; FloatMode: 240
; IeeeMode: 1
; LDSByteSize: 0 bytes/workgroup (compile time only)
; SGPRBlocks: 0
; VGPRBlocks: 0
; NumSGPRsForWavesPerEU: 1
; NumVGPRsForWavesPerEU: 1
; Occupancy: 16
; WaveLimiterHint : 0
; COMPUTE_PGM_RSRC2:SCRATCH_EN: 0
; COMPUTE_PGM_RSRC2:USER_SGPR: 6
; COMPUTE_PGM_RSRC2:TRAP_HANDLER: 0
; COMPUTE_PGM_RSRC2:TGID_X_EN: 1
; COMPUTE_PGM_RSRC2:TGID_Y_EN: 0
; COMPUTE_PGM_RSRC2:TGID_Z_EN: 0
; COMPUTE_PGM_RSRC2:TIDIG_COMP_CNT: 0
	.section	.text._ZN7rocprim17ROCPRIM_400000_NS6detail17trampoline_kernelINS0_14default_configENS1_27scan_by_key_config_selectorIiiEEZZNS1_16scan_by_key_implILNS1_25lookback_scan_determinismE0ELb0ES3_N6thrust23THRUST_200600_302600_NS6detail15normal_iteratorINS9_10device_ptrIiEEEESE_SE_iNS9_4plusIvEENS9_8equal_toIiEEiEE10hipError_tPvRmT2_T3_T4_T5_mT6_T7_P12ihipStream_tbENKUlT_T0_E_clISt17integral_constantIbLb1EESZ_EEDaSU_SV_EUlSU_E_NS1_11comp_targetILNS1_3genE2ELNS1_11target_archE906ELNS1_3gpuE6ELNS1_3repE0EEENS1_30default_config_static_selectorELNS0_4arch9wavefront6targetE0EEEvT1_,"axG",@progbits,_ZN7rocprim17ROCPRIM_400000_NS6detail17trampoline_kernelINS0_14default_configENS1_27scan_by_key_config_selectorIiiEEZZNS1_16scan_by_key_implILNS1_25lookback_scan_determinismE0ELb0ES3_N6thrust23THRUST_200600_302600_NS6detail15normal_iteratorINS9_10device_ptrIiEEEESE_SE_iNS9_4plusIvEENS9_8equal_toIiEEiEE10hipError_tPvRmT2_T3_T4_T5_mT6_T7_P12ihipStream_tbENKUlT_T0_E_clISt17integral_constantIbLb1EESZ_EEDaSU_SV_EUlSU_E_NS1_11comp_targetILNS1_3genE2ELNS1_11target_archE906ELNS1_3gpuE6ELNS1_3repE0EEENS1_30default_config_static_selectorELNS0_4arch9wavefront6targetE0EEEvT1_,comdat
	.protected	_ZN7rocprim17ROCPRIM_400000_NS6detail17trampoline_kernelINS0_14default_configENS1_27scan_by_key_config_selectorIiiEEZZNS1_16scan_by_key_implILNS1_25lookback_scan_determinismE0ELb0ES3_N6thrust23THRUST_200600_302600_NS6detail15normal_iteratorINS9_10device_ptrIiEEEESE_SE_iNS9_4plusIvEENS9_8equal_toIiEEiEE10hipError_tPvRmT2_T3_T4_T5_mT6_T7_P12ihipStream_tbENKUlT_T0_E_clISt17integral_constantIbLb1EESZ_EEDaSU_SV_EUlSU_E_NS1_11comp_targetILNS1_3genE2ELNS1_11target_archE906ELNS1_3gpuE6ELNS1_3repE0EEENS1_30default_config_static_selectorELNS0_4arch9wavefront6targetE0EEEvT1_ ; -- Begin function _ZN7rocprim17ROCPRIM_400000_NS6detail17trampoline_kernelINS0_14default_configENS1_27scan_by_key_config_selectorIiiEEZZNS1_16scan_by_key_implILNS1_25lookback_scan_determinismE0ELb0ES3_N6thrust23THRUST_200600_302600_NS6detail15normal_iteratorINS9_10device_ptrIiEEEESE_SE_iNS9_4plusIvEENS9_8equal_toIiEEiEE10hipError_tPvRmT2_T3_T4_T5_mT6_T7_P12ihipStream_tbENKUlT_T0_E_clISt17integral_constantIbLb1EESZ_EEDaSU_SV_EUlSU_E_NS1_11comp_targetILNS1_3genE2ELNS1_11target_archE906ELNS1_3gpuE6ELNS1_3repE0EEENS1_30default_config_static_selectorELNS0_4arch9wavefront6targetE0EEEvT1_
	.globl	_ZN7rocprim17ROCPRIM_400000_NS6detail17trampoline_kernelINS0_14default_configENS1_27scan_by_key_config_selectorIiiEEZZNS1_16scan_by_key_implILNS1_25lookback_scan_determinismE0ELb0ES3_N6thrust23THRUST_200600_302600_NS6detail15normal_iteratorINS9_10device_ptrIiEEEESE_SE_iNS9_4plusIvEENS9_8equal_toIiEEiEE10hipError_tPvRmT2_T3_T4_T5_mT6_T7_P12ihipStream_tbENKUlT_T0_E_clISt17integral_constantIbLb1EESZ_EEDaSU_SV_EUlSU_E_NS1_11comp_targetILNS1_3genE2ELNS1_11target_archE906ELNS1_3gpuE6ELNS1_3repE0EEENS1_30default_config_static_selectorELNS0_4arch9wavefront6targetE0EEEvT1_
	.p2align	8
	.type	_ZN7rocprim17ROCPRIM_400000_NS6detail17trampoline_kernelINS0_14default_configENS1_27scan_by_key_config_selectorIiiEEZZNS1_16scan_by_key_implILNS1_25lookback_scan_determinismE0ELb0ES3_N6thrust23THRUST_200600_302600_NS6detail15normal_iteratorINS9_10device_ptrIiEEEESE_SE_iNS9_4plusIvEENS9_8equal_toIiEEiEE10hipError_tPvRmT2_T3_T4_T5_mT6_T7_P12ihipStream_tbENKUlT_T0_E_clISt17integral_constantIbLb1EESZ_EEDaSU_SV_EUlSU_E_NS1_11comp_targetILNS1_3genE2ELNS1_11target_archE906ELNS1_3gpuE6ELNS1_3repE0EEENS1_30default_config_static_selectorELNS0_4arch9wavefront6targetE0EEEvT1_,@function
_ZN7rocprim17ROCPRIM_400000_NS6detail17trampoline_kernelINS0_14default_configENS1_27scan_by_key_config_selectorIiiEEZZNS1_16scan_by_key_implILNS1_25lookback_scan_determinismE0ELb0ES3_N6thrust23THRUST_200600_302600_NS6detail15normal_iteratorINS9_10device_ptrIiEEEESE_SE_iNS9_4plusIvEENS9_8equal_toIiEEiEE10hipError_tPvRmT2_T3_T4_T5_mT6_T7_P12ihipStream_tbENKUlT_T0_E_clISt17integral_constantIbLb1EESZ_EEDaSU_SV_EUlSU_E_NS1_11comp_targetILNS1_3genE2ELNS1_11target_archE906ELNS1_3gpuE6ELNS1_3repE0EEENS1_30default_config_static_selectorELNS0_4arch9wavefront6targetE0EEEvT1_: ; @_ZN7rocprim17ROCPRIM_400000_NS6detail17trampoline_kernelINS0_14default_configENS1_27scan_by_key_config_selectorIiiEEZZNS1_16scan_by_key_implILNS1_25lookback_scan_determinismE0ELb0ES3_N6thrust23THRUST_200600_302600_NS6detail15normal_iteratorINS9_10device_ptrIiEEEESE_SE_iNS9_4plusIvEENS9_8equal_toIiEEiEE10hipError_tPvRmT2_T3_T4_T5_mT6_T7_P12ihipStream_tbENKUlT_T0_E_clISt17integral_constantIbLb1EESZ_EEDaSU_SV_EUlSU_E_NS1_11comp_targetILNS1_3genE2ELNS1_11target_archE906ELNS1_3gpuE6ELNS1_3repE0EEENS1_30default_config_static_selectorELNS0_4arch9wavefront6targetE0EEEvT1_
; %bb.0:
	.section	.rodata,"a",@progbits
	.p2align	6, 0x0
	.amdhsa_kernel _ZN7rocprim17ROCPRIM_400000_NS6detail17trampoline_kernelINS0_14default_configENS1_27scan_by_key_config_selectorIiiEEZZNS1_16scan_by_key_implILNS1_25lookback_scan_determinismE0ELb0ES3_N6thrust23THRUST_200600_302600_NS6detail15normal_iteratorINS9_10device_ptrIiEEEESE_SE_iNS9_4plusIvEENS9_8equal_toIiEEiEE10hipError_tPvRmT2_T3_T4_T5_mT6_T7_P12ihipStream_tbENKUlT_T0_E_clISt17integral_constantIbLb1EESZ_EEDaSU_SV_EUlSU_E_NS1_11comp_targetILNS1_3genE2ELNS1_11target_archE906ELNS1_3gpuE6ELNS1_3repE0EEENS1_30default_config_static_selectorELNS0_4arch9wavefront6targetE0EEEvT1_
		.amdhsa_group_segment_fixed_size 0
		.amdhsa_private_segment_fixed_size 0
		.amdhsa_kernarg_size 112
		.amdhsa_user_sgpr_count 6
		.amdhsa_user_sgpr_private_segment_buffer 1
		.amdhsa_user_sgpr_dispatch_ptr 0
		.amdhsa_user_sgpr_queue_ptr 0
		.amdhsa_user_sgpr_kernarg_segment_ptr 1
		.amdhsa_user_sgpr_dispatch_id 0
		.amdhsa_user_sgpr_flat_scratch_init 0
		.amdhsa_user_sgpr_private_segment_size 0
		.amdhsa_wavefront_size32 1
		.amdhsa_uses_dynamic_stack 0
		.amdhsa_system_sgpr_private_segment_wavefront_offset 0
		.amdhsa_system_sgpr_workgroup_id_x 1
		.amdhsa_system_sgpr_workgroup_id_y 0
		.amdhsa_system_sgpr_workgroup_id_z 0
		.amdhsa_system_sgpr_workgroup_info 0
		.amdhsa_system_vgpr_workitem_id 0
		.amdhsa_next_free_vgpr 1
		.amdhsa_next_free_sgpr 1
		.amdhsa_reserve_vcc 0
		.amdhsa_reserve_flat_scratch 0
		.amdhsa_float_round_mode_32 0
		.amdhsa_float_round_mode_16_64 0
		.amdhsa_float_denorm_mode_32 3
		.amdhsa_float_denorm_mode_16_64 3
		.amdhsa_dx10_clamp 1
		.amdhsa_ieee_mode 1
		.amdhsa_fp16_overflow 0
		.amdhsa_workgroup_processor_mode 1
		.amdhsa_memory_ordered 1
		.amdhsa_forward_progress 1
		.amdhsa_shared_vgpr_count 0
		.amdhsa_exception_fp_ieee_invalid_op 0
		.amdhsa_exception_fp_denorm_src 0
		.amdhsa_exception_fp_ieee_div_zero 0
		.amdhsa_exception_fp_ieee_overflow 0
		.amdhsa_exception_fp_ieee_underflow 0
		.amdhsa_exception_fp_ieee_inexact 0
		.amdhsa_exception_int_div_zero 0
	.end_amdhsa_kernel
	.section	.text._ZN7rocprim17ROCPRIM_400000_NS6detail17trampoline_kernelINS0_14default_configENS1_27scan_by_key_config_selectorIiiEEZZNS1_16scan_by_key_implILNS1_25lookback_scan_determinismE0ELb0ES3_N6thrust23THRUST_200600_302600_NS6detail15normal_iteratorINS9_10device_ptrIiEEEESE_SE_iNS9_4plusIvEENS9_8equal_toIiEEiEE10hipError_tPvRmT2_T3_T4_T5_mT6_T7_P12ihipStream_tbENKUlT_T0_E_clISt17integral_constantIbLb1EESZ_EEDaSU_SV_EUlSU_E_NS1_11comp_targetILNS1_3genE2ELNS1_11target_archE906ELNS1_3gpuE6ELNS1_3repE0EEENS1_30default_config_static_selectorELNS0_4arch9wavefront6targetE0EEEvT1_,"axG",@progbits,_ZN7rocprim17ROCPRIM_400000_NS6detail17trampoline_kernelINS0_14default_configENS1_27scan_by_key_config_selectorIiiEEZZNS1_16scan_by_key_implILNS1_25lookback_scan_determinismE0ELb0ES3_N6thrust23THRUST_200600_302600_NS6detail15normal_iteratorINS9_10device_ptrIiEEEESE_SE_iNS9_4plusIvEENS9_8equal_toIiEEiEE10hipError_tPvRmT2_T3_T4_T5_mT6_T7_P12ihipStream_tbENKUlT_T0_E_clISt17integral_constantIbLb1EESZ_EEDaSU_SV_EUlSU_E_NS1_11comp_targetILNS1_3genE2ELNS1_11target_archE906ELNS1_3gpuE6ELNS1_3repE0EEENS1_30default_config_static_selectorELNS0_4arch9wavefront6targetE0EEEvT1_,comdat
.Lfunc_end214:
	.size	_ZN7rocprim17ROCPRIM_400000_NS6detail17trampoline_kernelINS0_14default_configENS1_27scan_by_key_config_selectorIiiEEZZNS1_16scan_by_key_implILNS1_25lookback_scan_determinismE0ELb0ES3_N6thrust23THRUST_200600_302600_NS6detail15normal_iteratorINS9_10device_ptrIiEEEESE_SE_iNS9_4plusIvEENS9_8equal_toIiEEiEE10hipError_tPvRmT2_T3_T4_T5_mT6_T7_P12ihipStream_tbENKUlT_T0_E_clISt17integral_constantIbLb1EESZ_EEDaSU_SV_EUlSU_E_NS1_11comp_targetILNS1_3genE2ELNS1_11target_archE906ELNS1_3gpuE6ELNS1_3repE0EEENS1_30default_config_static_selectorELNS0_4arch9wavefront6targetE0EEEvT1_, .Lfunc_end214-_ZN7rocprim17ROCPRIM_400000_NS6detail17trampoline_kernelINS0_14default_configENS1_27scan_by_key_config_selectorIiiEEZZNS1_16scan_by_key_implILNS1_25lookback_scan_determinismE0ELb0ES3_N6thrust23THRUST_200600_302600_NS6detail15normal_iteratorINS9_10device_ptrIiEEEESE_SE_iNS9_4plusIvEENS9_8equal_toIiEEiEE10hipError_tPvRmT2_T3_T4_T5_mT6_T7_P12ihipStream_tbENKUlT_T0_E_clISt17integral_constantIbLb1EESZ_EEDaSU_SV_EUlSU_E_NS1_11comp_targetILNS1_3genE2ELNS1_11target_archE906ELNS1_3gpuE6ELNS1_3repE0EEENS1_30default_config_static_selectorELNS0_4arch9wavefront6targetE0EEEvT1_
                                        ; -- End function
	.set _ZN7rocprim17ROCPRIM_400000_NS6detail17trampoline_kernelINS0_14default_configENS1_27scan_by_key_config_selectorIiiEEZZNS1_16scan_by_key_implILNS1_25lookback_scan_determinismE0ELb0ES3_N6thrust23THRUST_200600_302600_NS6detail15normal_iteratorINS9_10device_ptrIiEEEESE_SE_iNS9_4plusIvEENS9_8equal_toIiEEiEE10hipError_tPvRmT2_T3_T4_T5_mT6_T7_P12ihipStream_tbENKUlT_T0_E_clISt17integral_constantIbLb1EESZ_EEDaSU_SV_EUlSU_E_NS1_11comp_targetILNS1_3genE2ELNS1_11target_archE906ELNS1_3gpuE6ELNS1_3repE0EEENS1_30default_config_static_selectorELNS0_4arch9wavefront6targetE0EEEvT1_.num_vgpr, 0
	.set _ZN7rocprim17ROCPRIM_400000_NS6detail17trampoline_kernelINS0_14default_configENS1_27scan_by_key_config_selectorIiiEEZZNS1_16scan_by_key_implILNS1_25lookback_scan_determinismE0ELb0ES3_N6thrust23THRUST_200600_302600_NS6detail15normal_iteratorINS9_10device_ptrIiEEEESE_SE_iNS9_4plusIvEENS9_8equal_toIiEEiEE10hipError_tPvRmT2_T3_T4_T5_mT6_T7_P12ihipStream_tbENKUlT_T0_E_clISt17integral_constantIbLb1EESZ_EEDaSU_SV_EUlSU_E_NS1_11comp_targetILNS1_3genE2ELNS1_11target_archE906ELNS1_3gpuE6ELNS1_3repE0EEENS1_30default_config_static_selectorELNS0_4arch9wavefront6targetE0EEEvT1_.num_agpr, 0
	.set _ZN7rocprim17ROCPRIM_400000_NS6detail17trampoline_kernelINS0_14default_configENS1_27scan_by_key_config_selectorIiiEEZZNS1_16scan_by_key_implILNS1_25lookback_scan_determinismE0ELb0ES3_N6thrust23THRUST_200600_302600_NS6detail15normal_iteratorINS9_10device_ptrIiEEEESE_SE_iNS9_4plusIvEENS9_8equal_toIiEEiEE10hipError_tPvRmT2_T3_T4_T5_mT6_T7_P12ihipStream_tbENKUlT_T0_E_clISt17integral_constantIbLb1EESZ_EEDaSU_SV_EUlSU_E_NS1_11comp_targetILNS1_3genE2ELNS1_11target_archE906ELNS1_3gpuE6ELNS1_3repE0EEENS1_30default_config_static_selectorELNS0_4arch9wavefront6targetE0EEEvT1_.numbered_sgpr, 0
	.set _ZN7rocprim17ROCPRIM_400000_NS6detail17trampoline_kernelINS0_14default_configENS1_27scan_by_key_config_selectorIiiEEZZNS1_16scan_by_key_implILNS1_25lookback_scan_determinismE0ELb0ES3_N6thrust23THRUST_200600_302600_NS6detail15normal_iteratorINS9_10device_ptrIiEEEESE_SE_iNS9_4plusIvEENS9_8equal_toIiEEiEE10hipError_tPvRmT2_T3_T4_T5_mT6_T7_P12ihipStream_tbENKUlT_T0_E_clISt17integral_constantIbLb1EESZ_EEDaSU_SV_EUlSU_E_NS1_11comp_targetILNS1_3genE2ELNS1_11target_archE906ELNS1_3gpuE6ELNS1_3repE0EEENS1_30default_config_static_selectorELNS0_4arch9wavefront6targetE0EEEvT1_.num_named_barrier, 0
	.set _ZN7rocprim17ROCPRIM_400000_NS6detail17trampoline_kernelINS0_14default_configENS1_27scan_by_key_config_selectorIiiEEZZNS1_16scan_by_key_implILNS1_25lookback_scan_determinismE0ELb0ES3_N6thrust23THRUST_200600_302600_NS6detail15normal_iteratorINS9_10device_ptrIiEEEESE_SE_iNS9_4plusIvEENS9_8equal_toIiEEiEE10hipError_tPvRmT2_T3_T4_T5_mT6_T7_P12ihipStream_tbENKUlT_T0_E_clISt17integral_constantIbLb1EESZ_EEDaSU_SV_EUlSU_E_NS1_11comp_targetILNS1_3genE2ELNS1_11target_archE906ELNS1_3gpuE6ELNS1_3repE0EEENS1_30default_config_static_selectorELNS0_4arch9wavefront6targetE0EEEvT1_.private_seg_size, 0
	.set _ZN7rocprim17ROCPRIM_400000_NS6detail17trampoline_kernelINS0_14default_configENS1_27scan_by_key_config_selectorIiiEEZZNS1_16scan_by_key_implILNS1_25lookback_scan_determinismE0ELb0ES3_N6thrust23THRUST_200600_302600_NS6detail15normal_iteratorINS9_10device_ptrIiEEEESE_SE_iNS9_4plusIvEENS9_8equal_toIiEEiEE10hipError_tPvRmT2_T3_T4_T5_mT6_T7_P12ihipStream_tbENKUlT_T0_E_clISt17integral_constantIbLb1EESZ_EEDaSU_SV_EUlSU_E_NS1_11comp_targetILNS1_3genE2ELNS1_11target_archE906ELNS1_3gpuE6ELNS1_3repE0EEENS1_30default_config_static_selectorELNS0_4arch9wavefront6targetE0EEEvT1_.uses_vcc, 0
	.set _ZN7rocprim17ROCPRIM_400000_NS6detail17trampoline_kernelINS0_14default_configENS1_27scan_by_key_config_selectorIiiEEZZNS1_16scan_by_key_implILNS1_25lookback_scan_determinismE0ELb0ES3_N6thrust23THRUST_200600_302600_NS6detail15normal_iteratorINS9_10device_ptrIiEEEESE_SE_iNS9_4plusIvEENS9_8equal_toIiEEiEE10hipError_tPvRmT2_T3_T4_T5_mT6_T7_P12ihipStream_tbENKUlT_T0_E_clISt17integral_constantIbLb1EESZ_EEDaSU_SV_EUlSU_E_NS1_11comp_targetILNS1_3genE2ELNS1_11target_archE906ELNS1_3gpuE6ELNS1_3repE0EEENS1_30default_config_static_selectorELNS0_4arch9wavefront6targetE0EEEvT1_.uses_flat_scratch, 0
	.set _ZN7rocprim17ROCPRIM_400000_NS6detail17trampoline_kernelINS0_14default_configENS1_27scan_by_key_config_selectorIiiEEZZNS1_16scan_by_key_implILNS1_25lookback_scan_determinismE0ELb0ES3_N6thrust23THRUST_200600_302600_NS6detail15normal_iteratorINS9_10device_ptrIiEEEESE_SE_iNS9_4plusIvEENS9_8equal_toIiEEiEE10hipError_tPvRmT2_T3_T4_T5_mT6_T7_P12ihipStream_tbENKUlT_T0_E_clISt17integral_constantIbLb1EESZ_EEDaSU_SV_EUlSU_E_NS1_11comp_targetILNS1_3genE2ELNS1_11target_archE906ELNS1_3gpuE6ELNS1_3repE0EEENS1_30default_config_static_selectorELNS0_4arch9wavefront6targetE0EEEvT1_.has_dyn_sized_stack, 0
	.set _ZN7rocprim17ROCPRIM_400000_NS6detail17trampoline_kernelINS0_14default_configENS1_27scan_by_key_config_selectorIiiEEZZNS1_16scan_by_key_implILNS1_25lookback_scan_determinismE0ELb0ES3_N6thrust23THRUST_200600_302600_NS6detail15normal_iteratorINS9_10device_ptrIiEEEESE_SE_iNS9_4plusIvEENS9_8equal_toIiEEiEE10hipError_tPvRmT2_T3_T4_T5_mT6_T7_P12ihipStream_tbENKUlT_T0_E_clISt17integral_constantIbLb1EESZ_EEDaSU_SV_EUlSU_E_NS1_11comp_targetILNS1_3genE2ELNS1_11target_archE906ELNS1_3gpuE6ELNS1_3repE0EEENS1_30default_config_static_selectorELNS0_4arch9wavefront6targetE0EEEvT1_.has_recursion, 0
	.set _ZN7rocprim17ROCPRIM_400000_NS6detail17trampoline_kernelINS0_14default_configENS1_27scan_by_key_config_selectorIiiEEZZNS1_16scan_by_key_implILNS1_25lookback_scan_determinismE0ELb0ES3_N6thrust23THRUST_200600_302600_NS6detail15normal_iteratorINS9_10device_ptrIiEEEESE_SE_iNS9_4plusIvEENS9_8equal_toIiEEiEE10hipError_tPvRmT2_T3_T4_T5_mT6_T7_P12ihipStream_tbENKUlT_T0_E_clISt17integral_constantIbLb1EESZ_EEDaSU_SV_EUlSU_E_NS1_11comp_targetILNS1_3genE2ELNS1_11target_archE906ELNS1_3gpuE6ELNS1_3repE0EEENS1_30default_config_static_selectorELNS0_4arch9wavefront6targetE0EEEvT1_.has_indirect_call, 0
	.section	.AMDGPU.csdata,"",@progbits
; Kernel info:
; codeLenInByte = 0
; TotalNumSgprs: 0
; NumVgprs: 0
; ScratchSize: 0
; MemoryBound: 0
; FloatMode: 240
; IeeeMode: 1
; LDSByteSize: 0 bytes/workgroup (compile time only)
; SGPRBlocks: 0
; VGPRBlocks: 0
; NumSGPRsForWavesPerEU: 1
; NumVGPRsForWavesPerEU: 1
; Occupancy: 16
; WaveLimiterHint : 0
; COMPUTE_PGM_RSRC2:SCRATCH_EN: 0
; COMPUTE_PGM_RSRC2:USER_SGPR: 6
; COMPUTE_PGM_RSRC2:TRAP_HANDLER: 0
; COMPUTE_PGM_RSRC2:TGID_X_EN: 1
; COMPUTE_PGM_RSRC2:TGID_Y_EN: 0
; COMPUTE_PGM_RSRC2:TGID_Z_EN: 0
; COMPUTE_PGM_RSRC2:TIDIG_COMP_CNT: 0
	.section	.text._ZN7rocprim17ROCPRIM_400000_NS6detail17trampoline_kernelINS0_14default_configENS1_27scan_by_key_config_selectorIiiEEZZNS1_16scan_by_key_implILNS1_25lookback_scan_determinismE0ELb0ES3_N6thrust23THRUST_200600_302600_NS6detail15normal_iteratorINS9_10device_ptrIiEEEESE_SE_iNS9_4plusIvEENS9_8equal_toIiEEiEE10hipError_tPvRmT2_T3_T4_T5_mT6_T7_P12ihipStream_tbENKUlT_T0_E_clISt17integral_constantIbLb1EESZ_EEDaSU_SV_EUlSU_E_NS1_11comp_targetILNS1_3genE10ELNS1_11target_archE1200ELNS1_3gpuE4ELNS1_3repE0EEENS1_30default_config_static_selectorELNS0_4arch9wavefront6targetE0EEEvT1_,"axG",@progbits,_ZN7rocprim17ROCPRIM_400000_NS6detail17trampoline_kernelINS0_14default_configENS1_27scan_by_key_config_selectorIiiEEZZNS1_16scan_by_key_implILNS1_25lookback_scan_determinismE0ELb0ES3_N6thrust23THRUST_200600_302600_NS6detail15normal_iteratorINS9_10device_ptrIiEEEESE_SE_iNS9_4plusIvEENS9_8equal_toIiEEiEE10hipError_tPvRmT2_T3_T4_T5_mT6_T7_P12ihipStream_tbENKUlT_T0_E_clISt17integral_constantIbLb1EESZ_EEDaSU_SV_EUlSU_E_NS1_11comp_targetILNS1_3genE10ELNS1_11target_archE1200ELNS1_3gpuE4ELNS1_3repE0EEENS1_30default_config_static_selectorELNS0_4arch9wavefront6targetE0EEEvT1_,comdat
	.protected	_ZN7rocprim17ROCPRIM_400000_NS6detail17trampoline_kernelINS0_14default_configENS1_27scan_by_key_config_selectorIiiEEZZNS1_16scan_by_key_implILNS1_25lookback_scan_determinismE0ELb0ES3_N6thrust23THRUST_200600_302600_NS6detail15normal_iteratorINS9_10device_ptrIiEEEESE_SE_iNS9_4plusIvEENS9_8equal_toIiEEiEE10hipError_tPvRmT2_T3_T4_T5_mT6_T7_P12ihipStream_tbENKUlT_T0_E_clISt17integral_constantIbLb1EESZ_EEDaSU_SV_EUlSU_E_NS1_11comp_targetILNS1_3genE10ELNS1_11target_archE1200ELNS1_3gpuE4ELNS1_3repE0EEENS1_30default_config_static_selectorELNS0_4arch9wavefront6targetE0EEEvT1_ ; -- Begin function _ZN7rocprim17ROCPRIM_400000_NS6detail17trampoline_kernelINS0_14default_configENS1_27scan_by_key_config_selectorIiiEEZZNS1_16scan_by_key_implILNS1_25lookback_scan_determinismE0ELb0ES3_N6thrust23THRUST_200600_302600_NS6detail15normal_iteratorINS9_10device_ptrIiEEEESE_SE_iNS9_4plusIvEENS9_8equal_toIiEEiEE10hipError_tPvRmT2_T3_T4_T5_mT6_T7_P12ihipStream_tbENKUlT_T0_E_clISt17integral_constantIbLb1EESZ_EEDaSU_SV_EUlSU_E_NS1_11comp_targetILNS1_3genE10ELNS1_11target_archE1200ELNS1_3gpuE4ELNS1_3repE0EEENS1_30default_config_static_selectorELNS0_4arch9wavefront6targetE0EEEvT1_
	.globl	_ZN7rocprim17ROCPRIM_400000_NS6detail17trampoline_kernelINS0_14default_configENS1_27scan_by_key_config_selectorIiiEEZZNS1_16scan_by_key_implILNS1_25lookback_scan_determinismE0ELb0ES3_N6thrust23THRUST_200600_302600_NS6detail15normal_iteratorINS9_10device_ptrIiEEEESE_SE_iNS9_4plusIvEENS9_8equal_toIiEEiEE10hipError_tPvRmT2_T3_T4_T5_mT6_T7_P12ihipStream_tbENKUlT_T0_E_clISt17integral_constantIbLb1EESZ_EEDaSU_SV_EUlSU_E_NS1_11comp_targetILNS1_3genE10ELNS1_11target_archE1200ELNS1_3gpuE4ELNS1_3repE0EEENS1_30default_config_static_selectorELNS0_4arch9wavefront6targetE0EEEvT1_
	.p2align	8
	.type	_ZN7rocprim17ROCPRIM_400000_NS6detail17trampoline_kernelINS0_14default_configENS1_27scan_by_key_config_selectorIiiEEZZNS1_16scan_by_key_implILNS1_25lookback_scan_determinismE0ELb0ES3_N6thrust23THRUST_200600_302600_NS6detail15normal_iteratorINS9_10device_ptrIiEEEESE_SE_iNS9_4plusIvEENS9_8equal_toIiEEiEE10hipError_tPvRmT2_T3_T4_T5_mT6_T7_P12ihipStream_tbENKUlT_T0_E_clISt17integral_constantIbLb1EESZ_EEDaSU_SV_EUlSU_E_NS1_11comp_targetILNS1_3genE10ELNS1_11target_archE1200ELNS1_3gpuE4ELNS1_3repE0EEENS1_30default_config_static_selectorELNS0_4arch9wavefront6targetE0EEEvT1_,@function
_ZN7rocprim17ROCPRIM_400000_NS6detail17trampoline_kernelINS0_14default_configENS1_27scan_by_key_config_selectorIiiEEZZNS1_16scan_by_key_implILNS1_25lookback_scan_determinismE0ELb0ES3_N6thrust23THRUST_200600_302600_NS6detail15normal_iteratorINS9_10device_ptrIiEEEESE_SE_iNS9_4plusIvEENS9_8equal_toIiEEiEE10hipError_tPvRmT2_T3_T4_T5_mT6_T7_P12ihipStream_tbENKUlT_T0_E_clISt17integral_constantIbLb1EESZ_EEDaSU_SV_EUlSU_E_NS1_11comp_targetILNS1_3genE10ELNS1_11target_archE1200ELNS1_3gpuE4ELNS1_3repE0EEENS1_30default_config_static_selectorELNS0_4arch9wavefront6targetE0EEEvT1_: ; @_ZN7rocprim17ROCPRIM_400000_NS6detail17trampoline_kernelINS0_14default_configENS1_27scan_by_key_config_selectorIiiEEZZNS1_16scan_by_key_implILNS1_25lookback_scan_determinismE0ELb0ES3_N6thrust23THRUST_200600_302600_NS6detail15normal_iteratorINS9_10device_ptrIiEEEESE_SE_iNS9_4plusIvEENS9_8equal_toIiEEiEE10hipError_tPvRmT2_T3_T4_T5_mT6_T7_P12ihipStream_tbENKUlT_T0_E_clISt17integral_constantIbLb1EESZ_EEDaSU_SV_EUlSU_E_NS1_11comp_targetILNS1_3genE10ELNS1_11target_archE1200ELNS1_3gpuE4ELNS1_3repE0EEENS1_30default_config_static_selectorELNS0_4arch9wavefront6targetE0EEEvT1_
; %bb.0:
	.section	.rodata,"a",@progbits
	.p2align	6, 0x0
	.amdhsa_kernel _ZN7rocprim17ROCPRIM_400000_NS6detail17trampoline_kernelINS0_14default_configENS1_27scan_by_key_config_selectorIiiEEZZNS1_16scan_by_key_implILNS1_25lookback_scan_determinismE0ELb0ES3_N6thrust23THRUST_200600_302600_NS6detail15normal_iteratorINS9_10device_ptrIiEEEESE_SE_iNS9_4plusIvEENS9_8equal_toIiEEiEE10hipError_tPvRmT2_T3_T4_T5_mT6_T7_P12ihipStream_tbENKUlT_T0_E_clISt17integral_constantIbLb1EESZ_EEDaSU_SV_EUlSU_E_NS1_11comp_targetILNS1_3genE10ELNS1_11target_archE1200ELNS1_3gpuE4ELNS1_3repE0EEENS1_30default_config_static_selectorELNS0_4arch9wavefront6targetE0EEEvT1_
		.amdhsa_group_segment_fixed_size 0
		.amdhsa_private_segment_fixed_size 0
		.amdhsa_kernarg_size 112
		.amdhsa_user_sgpr_count 6
		.amdhsa_user_sgpr_private_segment_buffer 1
		.amdhsa_user_sgpr_dispatch_ptr 0
		.amdhsa_user_sgpr_queue_ptr 0
		.amdhsa_user_sgpr_kernarg_segment_ptr 1
		.amdhsa_user_sgpr_dispatch_id 0
		.amdhsa_user_sgpr_flat_scratch_init 0
		.amdhsa_user_sgpr_private_segment_size 0
		.amdhsa_wavefront_size32 1
		.amdhsa_uses_dynamic_stack 0
		.amdhsa_system_sgpr_private_segment_wavefront_offset 0
		.amdhsa_system_sgpr_workgroup_id_x 1
		.amdhsa_system_sgpr_workgroup_id_y 0
		.amdhsa_system_sgpr_workgroup_id_z 0
		.amdhsa_system_sgpr_workgroup_info 0
		.amdhsa_system_vgpr_workitem_id 0
		.amdhsa_next_free_vgpr 1
		.amdhsa_next_free_sgpr 1
		.amdhsa_reserve_vcc 0
		.amdhsa_reserve_flat_scratch 0
		.amdhsa_float_round_mode_32 0
		.amdhsa_float_round_mode_16_64 0
		.amdhsa_float_denorm_mode_32 3
		.amdhsa_float_denorm_mode_16_64 3
		.amdhsa_dx10_clamp 1
		.amdhsa_ieee_mode 1
		.amdhsa_fp16_overflow 0
		.amdhsa_workgroup_processor_mode 1
		.amdhsa_memory_ordered 1
		.amdhsa_forward_progress 1
		.amdhsa_shared_vgpr_count 0
		.amdhsa_exception_fp_ieee_invalid_op 0
		.amdhsa_exception_fp_denorm_src 0
		.amdhsa_exception_fp_ieee_div_zero 0
		.amdhsa_exception_fp_ieee_overflow 0
		.amdhsa_exception_fp_ieee_underflow 0
		.amdhsa_exception_fp_ieee_inexact 0
		.amdhsa_exception_int_div_zero 0
	.end_amdhsa_kernel
	.section	.text._ZN7rocprim17ROCPRIM_400000_NS6detail17trampoline_kernelINS0_14default_configENS1_27scan_by_key_config_selectorIiiEEZZNS1_16scan_by_key_implILNS1_25lookback_scan_determinismE0ELb0ES3_N6thrust23THRUST_200600_302600_NS6detail15normal_iteratorINS9_10device_ptrIiEEEESE_SE_iNS9_4plusIvEENS9_8equal_toIiEEiEE10hipError_tPvRmT2_T3_T4_T5_mT6_T7_P12ihipStream_tbENKUlT_T0_E_clISt17integral_constantIbLb1EESZ_EEDaSU_SV_EUlSU_E_NS1_11comp_targetILNS1_3genE10ELNS1_11target_archE1200ELNS1_3gpuE4ELNS1_3repE0EEENS1_30default_config_static_selectorELNS0_4arch9wavefront6targetE0EEEvT1_,"axG",@progbits,_ZN7rocprim17ROCPRIM_400000_NS6detail17trampoline_kernelINS0_14default_configENS1_27scan_by_key_config_selectorIiiEEZZNS1_16scan_by_key_implILNS1_25lookback_scan_determinismE0ELb0ES3_N6thrust23THRUST_200600_302600_NS6detail15normal_iteratorINS9_10device_ptrIiEEEESE_SE_iNS9_4plusIvEENS9_8equal_toIiEEiEE10hipError_tPvRmT2_T3_T4_T5_mT6_T7_P12ihipStream_tbENKUlT_T0_E_clISt17integral_constantIbLb1EESZ_EEDaSU_SV_EUlSU_E_NS1_11comp_targetILNS1_3genE10ELNS1_11target_archE1200ELNS1_3gpuE4ELNS1_3repE0EEENS1_30default_config_static_selectorELNS0_4arch9wavefront6targetE0EEEvT1_,comdat
.Lfunc_end215:
	.size	_ZN7rocprim17ROCPRIM_400000_NS6detail17trampoline_kernelINS0_14default_configENS1_27scan_by_key_config_selectorIiiEEZZNS1_16scan_by_key_implILNS1_25lookback_scan_determinismE0ELb0ES3_N6thrust23THRUST_200600_302600_NS6detail15normal_iteratorINS9_10device_ptrIiEEEESE_SE_iNS9_4plusIvEENS9_8equal_toIiEEiEE10hipError_tPvRmT2_T3_T4_T5_mT6_T7_P12ihipStream_tbENKUlT_T0_E_clISt17integral_constantIbLb1EESZ_EEDaSU_SV_EUlSU_E_NS1_11comp_targetILNS1_3genE10ELNS1_11target_archE1200ELNS1_3gpuE4ELNS1_3repE0EEENS1_30default_config_static_selectorELNS0_4arch9wavefront6targetE0EEEvT1_, .Lfunc_end215-_ZN7rocprim17ROCPRIM_400000_NS6detail17trampoline_kernelINS0_14default_configENS1_27scan_by_key_config_selectorIiiEEZZNS1_16scan_by_key_implILNS1_25lookback_scan_determinismE0ELb0ES3_N6thrust23THRUST_200600_302600_NS6detail15normal_iteratorINS9_10device_ptrIiEEEESE_SE_iNS9_4plusIvEENS9_8equal_toIiEEiEE10hipError_tPvRmT2_T3_T4_T5_mT6_T7_P12ihipStream_tbENKUlT_T0_E_clISt17integral_constantIbLb1EESZ_EEDaSU_SV_EUlSU_E_NS1_11comp_targetILNS1_3genE10ELNS1_11target_archE1200ELNS1_3gpuE4ELNS1_3repE0EEENS1_30default_config_static_selectorELNS0_4arch9wavefront6targetE0EEEvT1_
                                        ; -- End function
	.set _ZN7rocprim17ROCPRIM_400000_NS6detail17trampoline_kernelINS0_14default_configENS1_27scan_by_key_config_selectorIiiEEZZNS1_16scan_by_key_implILNS1_25lookback_scan_determinismE0ELb0ES3_N6thrust23THRUST_200600_302600_NS6detail15normal_iteratorINS9_10device_ptrIiEEEESE_SE_iNS9_4plusIvEENS9_8equal_toIiEEiEE10hipError_tPvRmT2_T3_T4_T5_mT6_T7_P12ihipStream_tbENKUlT_T0_E_clISt17integral_constantIbLb1EESZ_EEDaSU_SV_EUlSU_E_NS1_11comp_targetILNS1_3genE10ELNS1_11target_archE1200ELNS1_3gpuE4ELNS1_3repE0EEENS1_30default_config_static_selectorELNS0_4arch9wavefront6targetE0EEEvT1_.num_vgpr, 0
	.set _ZN7rocprim17ROCPRIM_400000_NS6detail17trampoline_kernelINS0_14default_configENS1_27scan_by_key_config_selectorIiiEEZZNS1_16scan_by_key_implILNS1_25lookback_scan_determinismE0ELb0ES3_N6thrust23THRUST_200600_302600_NS6detail15normal_iteratorINS9_10device_ptrIiEEEESE_SE_iNS9_4plusIvEENS9_8equal_toIiEEiEE10hipError_tPvRmT2_T3_T4_T5_mT6_T7_P12ihipStream_tbENKUlT_T0_E_clISt17integral_constantIbLb1EESZ_EEDaSU_SV_EUlSU_E_NS1_11comp_targetILNS1_3genE10ELNS1_11target_archE1200ELNS1_3gpuE4ELNS1_3repE0EEENS1_30default_config_static_selectorELNS0_4arch9wavefront6targetE0EEEvT1_.num_agpr, 0
	.set _ZN7rocprim17ROCPRIM_400000_NS6detail17trampoline_kernelINS0_14default_configENS1_27scan_by_key_config_selectorIiiEEZZNS1_16scan_by_key_implILNS1_25lookback_scan_determinismE0ELb0ES3_N6thrust23THRUST_200600_302600_NS6detail15normal_iteratorINS9_10device_ptrIiEEEESE_SE_iNS9_4plusIvEENS9_8equal_toIiEEiEE10hipError_tPvRmT2_T3_T4_T5_mT6_T7_P12ihipStream_tbENKUlT_T0_E_clISt17integral_constantIbLb1EESZ_EEDaSU_SV_EUlSU_E_NS1_11comp_targetILNS1_3genE10ELNS1_11target_archE1200ELNS1_3gpuE4ELNS1_3repE0EEENS1_30default_config_static_selectorELNS0_4arch9wavefront6targetE0EEEvT1_.numbered_sgpr, 0
	.set _ZN7rocprim17ROCPRIM_400000_NS6detail17trampoline_kernelINS0_14default_configENS1_27scan_by_key_config_selectorIiiEEZZNS1_16scan_by_key_implILNS1_25lookback_scan_determinismE0ELb0ES3_N6thrust23THRUST_200600_302600_NS6detail15normal_iteratorINS9_10device_ptrIiEEEESE_SE_iNS9_4plusIvEENS9_8equal_toIiEEiEE10hipError_tPvRmT2_T3_T4_T5_mT6_T7_P12ihipStream_tbENKUlT_T0_E_clISt17integral_constantIbLb1EESZ_EEDaSU_SV_EUlSU_E_NS1_11comp_targetILNS1_3genE10ELNS1_11target_archE1200ELNS1_3gpuE4ELNS1_3repE0EEENS1_30default_config_static_selectorELNS0_4arch9wavefront6targetE0EEEvT1_.num_named_barrier, 0
	.set _ZN7rocprim17ROCPRIM_400000_NS6detail17trampoline_kernelINS0_14default_configENS1_27scan_by_key_config_selectorIiiEEZZNS1_16scan_by_key_implILNS1_25lookback_scan_determinismE0ELb0ES3_N6thrust23THRUST_200600_302600_NS6detail15normal_iteratorINS9_10device_ptrIiEEEESE_SE_iNS9_4plusIvEENS9_8equal_toIiEEiEE10hipError_tPvRmT2_T3_T4_T5_mT6_T7_P12ihipStream_tbENKUlT_T0_E_clISt17integral_constantIbLb1EESZ_EEDaSU_SV_EUlSU_E_NS1_11comp_targetILNS1_3genE10ELNS1_11target_archE1200ELNS1_3gpuE4ELNS1_3repE0EEENS1_30default_config_static_selectorELNS0_4arch9wavefront6targetE0EEEvT1_.private_seg_size, 0
	.set _ZN7rocprim17ROCPRIM_400000_NS6detail17trampoline_kernelINS0_14default_configENS1_27scan_by_key_config_selectorIiiEEZZNS1_16scan_by_key_implILNS1_25lookback_scan_determinismE0ELb0ES3_N6thrust23THRUST_200600_302600_NS6detail15normal_iteratorINS9_10device_ptrIiEEEESE_SE_iNS9_4plusIvEENS9_8equal_toIiEEiEE10hipError_tPvRmT2_T3_T4_T5_mT6_T7_P12ihipStream_tbENKUlT_T0_E_clISt17integral_constantIbLb1EESZ_EEDaSU_SV_EUlSU_E_NS1_11comp_targetILNS1_3genE10ELNS1_11target_archE1200ELNS1_3gpuE4ELNS1_3repE0EEENS1_30default_config_static_selectorELNS0_4arch9wavefront6targetE0EEEvT1_.uses_vcc, 0
	.set _ZN7rocprim17ROCPRIM_400000_NS6detail17trampoline_kernelINS0_14default_configENS1_27scan_by_key_config_selectorIiiEEZZNS1_16scan_by_key_implILNS1_25lookback_scan_determinismE0ELb0ES3_N6thrust23THRUST_200600_302600_NS6detail15normal_iteratorINS9_10device_ptrIiEEEESE_SE_iNS9_4plusIvEENS9_8equal_toIiEEiEE10hipError_tPvRmT2_T3_T4_T5_mT6_T7_P12ihipStream_tbENKUlT_T0_E_clISt17integral_constantIbLb1EESZ_EEDaSU_SV_EUlSU_E_NS1_11comp_targetILNS1_3genE10ELNS1_11target_archE1200ELNS1_3gpuE4ELNS1_3repE0EEENS1_30default_config_static_selectorELNS0_4arch9wavefront6targetE0EEEvT1_.uses_flat_scratch, 0
	.set _ZN7rocprim17ROCPRIM_400000_NS6detail17trampoline_kernelINS0_14default_configENS1_27scan_by_key_config_selectorIiiEEZZNS1_16scan_by_key_implILNS1_25lookback_scan_determinismE0ELb0ES3_N6thrust23THRUST_200600_302600_NS6detail15normal_iteratorINS9_10device_ptrIiEEEESE_SE_iNS9_4plusIvEENS9_8equal_toIiEEiEE10hipError_tPvRmT2_T3_T4_T5_mT6_T7_P12ihipStream_tbENKUlT_T0_E_clISt17integral_constantIbLb1EESZ_EEDaSU_SV_EUlSU_E_NS1_11comp_targetILNS1_3genE10ELNS1_11target_archE1200ELNS1_3gpuE4ELNS1_3repE0EEENS1_30default_config_static_selectorELNS0_4arch9wavefront6targetE0EEEvT1_.has_dyn_sized_stack, 0
	.set _ZN7rocprim17ROCPRIM_400000_NS6detail17trampoline_kernelINS0_14default_configENS1_27scan_by_key_config_selectorIiiEEZZNS1_16scan_by_key_implILNS1_25lookback_scan_determinismE0ELb0ES3_N6thrust23THRUST_200600_302600_NS6detail15normal_iteratorINS9_10device_ptrIiEEEESE_SE_iNS9_4plusIvEENS9_8equal_toIiEEiEE10hipError_tPvRmT2_T3_T4_T5_mT6_T7_P12ihipStream_tbENKUlT_T0_E_clISt17integral_constantIbLb1EESZ_EEDaSU_SV_EUlSU_E_NS1_11comp_targetILNS1_3genE10ELNS1_11target_archE1200ELNS1_3gpuE4ELNS1_3repE0EEENS1_30default_config_static_selectorELNS0_4arch9wavefront6targetE0EEEvT1_.has_recursion, 0
	.set _ZN7rocprim17ROCPRIM_400000_NS6detail17trampoline_kernelINS0_14default_configENS1_27scan_by_key_config_selectorIiiEEZZNS1_16scan_by_key_implILNS1_25lookback_scan_determinismE0ELb0ES3_N6thrust23THRUST_200600_302600_NS6detail15normal_iteratorINS9_10device_ptrIiEEEESE_SE_iNS9_4plusIvEENS9_8equal_toIiEEiEE10hipError_tPvRmT2_T3_T4_T5_mT6_T7_P12ihipStream_tbENKUlT_T0_E_clISt17integral_constantIbLb1EESZ_EEDaSU_SV_EUlSU_E_NS1_11comp_targetILNS1_3genE10ELNS1_11target_archE1200ELNS1_3gpuE4ELNS1_3repE0EEENS1_30default_config_static_selectorELNS0_4arch9wavefront6targetE0EEEvT1_.has_indirect_call, 0
	.section	.AMDGPU.csdata,"",@progbits
; Kernel info:
; codeLenInByte = 0
; TotalNumSgprs: 0
; NumVgprs: 0
; ScratchSize: 0
; MemoryBound: 0
; FloatMode: 240
; IeeeMode: 1
; LDSByteSize: 0 bytes/workgroup (compile time only)
; SGPRBlocks: 0
; VGPRBlocks: 0
; NumSGPRsForWavesPerEU: 1
; NumVGPRsForWavesPerEU: 1
; Occupancy: 16
; WaveLimiterHint : 0
; COMPUTE_PGM_RSRC2:SCRATCH_EN: 0
; COMPUTE_PGM_RSRC2:USER_SGPR: 6
; COMPUTE_PGM_RSRC2:TRAP_HANDLER: 0
; COMPUTE_PGM_RSRC2:TGID_X_EN: 1
; COMPUTE_PGM_RSRC2:TGID_Y_EN: 0
; COMPUTE_PGM_RSRC2:TGID_Z_EN: 0
; COMPUTE_PGM_RSRC2:TIDIG_COMP_CNT: 0
	.section	.text._ZN7rocprim17ROCPRIM_400000_NS6detail17trampoline_kernelINS0_14default_configENS1_27scan_by_key_config_selectorIiiEEZZNS1_16scan_by_key_implILNS1_25lookback_scan_determinismE0ELb0ES3_N6thrust23THRUST_200600_302600_NS6detail15normal_iteratorINS9_10device_ptrIiEEEESE_SE_iNS9_4plusIvEENS9_8equal_toIiEEiEE10hipError_tPvRmT2_T3_T4_T5_mT6_T7_P12ihipStream_tbENKUlT_T0_E_clISt17integral_constantIbLb1EESZ_EEDaSU_SV_EUlSU_E_NS1_11comp_targetILNS1_3genE9ELNS1_11target_archE1100ELNS1_3gpuE3ELNS1_3repE0EEENS1_30default_config_static_selectorELNS0_4arch9wavefront6targetE0EEEvT1_,"axG",@progbits,_ZN7rocprim17ROCPRIM_400000_NS6detail17trampoline_kernelINS0_14default_configENS1_27scan_by_key_config_selectorIiiEEZZNS1_16scan_by_key_implILNS1_25lookback_scan_determinismE0ELb0ES3_N6thrust23THRUST_200600_302600_NS6detail15normal_iteratorINS9_10device_ptrIiEEEESE_SE_iNS9_4plusIvEENS9_8equal_toIiEEiEE10hipError_tPvRmT2_T3_T4_T5_mT6_T7_P12ihipStream_tbENKUlT_T0_E_clISt17integral_constantIbLb1EESZ_EEDaSU_SV_EUlSU_E_NS1_11comp_targetILNS1_3genE9ELNS1_11target_archE1100ELNS1_3gpuE3ELNS1_3repE0EEENS1_30default_config_static_selectorELNS0_4arch9wavefront6targetE0EEEvT1_,comdat
	.protected	_ZN7rocprim17ROCPRIM_400000_NS6detail17trampoline_kernelINS0_14default_configENS1_27scan_by_key_config_selectorIiiEEZZNS1_16scan_by_key_implILNS1_25lookback_scan_determinismE0ELb0ES3_N6thrust23THRUST_200600_302600_NS6detail15normal_iteratorINS9_10device_ptrIiEEEESE_SE_iNS9_4plusIvEENS9_8equal_toIiEEiEE10hipError_tPvRmT2_T3_T4_T5_mT6_T7_P12ihipStream_tbENKUlT_T0_E_clISt17integral_constantIbLb1EESZ_EEDaSU_SV_EUlSU_E_NS1_11comp_targetILNS1_3genE9ELNS1_11target_archE1100ELNS1_3gpuE3ELNS1_3repE0EEENS1_30default_config_static_selectorELNS0_4arch9wavefront6targetE0EEEvT1_ ; -- Begin function _ZN7rocprim17ROCPRIM_400000_NS6detail17trampoline_kernelINS0_14default_configENS1_27scan_by_key_config_selectorIiiEEZZNS1_16scan_by_key_implILNS1_25lookback_scan_determinismE0ELb0ES3_N6thrust23THRUST_200600_302600_NS6detail15normal_iteratorINS9_10device_ptrIiEEEESE_SE_iNS9_4plusIvEENS9_8equal_toIiEEiEE10hipError_tPvRmT2_T3_T4_T5_mT6_T7_P12ihipStream_tbENKUlT_T0_E_clISt17integral_constantIbLb1EESZ_EEDaSU_SV_EUlSU_E_NS1_11comp_targetILNS1_3genE9ELNS1_11target_archE1100ELNS1_3gpuE3ELNS1_3repE0EEENS1_30default_config_static_selectorELNS0_4arch9wavefront6targetE0EEEvT1_
	.globl	_ZN7rocprim17ROCPRIM_400000_NS6detail17trampoline_kernelINS0_14default_configENS1_27scan_by_key_config_selectorIiiEEZZNS1_16scan_by_key_implILNS1_25lookback_scan_determinismE0ELb0ES3_N6thrust23THRUST_200600_302600_NS6detail15normal_iteratorINS9_10device_ptrIiEEEESE_SE_iNS9_4plusIvEENS9_8equal_toIiEEiEE10hipError_tPvRmT2_T3_T4_T5_mT6_T7_P12ihipStream_tbENKUlT_T0_E_clISt17integral_constantIbLb1EESZ_EEDaSU_SV_EUlSU_E_NS1_11comp_targetILNS1_3genE9ELNS1_11target_archE1100ELNS1_3gpuE3ELNS1_3repE0EEENS1_30default_config_static_selectorELNS0_4arch9wavefront6targetE0EEEvT1_
	.p2align	8
	.type	_ZN7rocprim17ROCPRIM_400000_NS6detail17trampoline_kernelINS0_14default_configENS1_27scan_by_key_config_selectorIiiEEZZNS1_16scan_by_key_implILNS1_25lookback_scan_determinismE0ELb0ES3_N6thrust23THRUST_200600_302600_NS6detail15normal_iteratorINS9_10device_ptrIiEEEESE_SE_iNS9_4plusIvEENS9_8equal_toIiEEiEE10hipError_tPvRmT2_T3_T4_T5_mT6_T7_P12ihipStream_tbENKUlT_T0_E_clISt17integral_constantIbLb1EESZ_EEDaSU_SV_EUlSU_E_NS1_11comp_targetILNS1_3genE9ELNS1_11target_archE1100ELNS1_3gpuE3ELNS1_3repE0EEENS1_30default_config_static_selectorELNS0_4arch9wavefront6targetE0EEEvT1_,@function
_ZN7rocprim17ROCPRIM_400000_NS6detail17trampoline_kernelINS0_14default_configENS1_27scan_by_key_config_selectorIiiEEZZNS1_16scan_by_key_implILNS1_25lookback_scan_determinismE0ELb0ES3_N6thrust23THRUST_200600_302600_NS6detail15normal_iteratorINS9_10device_ptrIiEEEESE_SE_iNS9_4plusIvEENS9_8equal_toIiEEiEE10hipError_tPvRmT2_T3_T4_T5_mT6_T7_P12ihipStream_tbENKUlT_T0_E_clISt17integral_constantIbLb1EESZ_EEDaSU_SV_EUlSU_E_NS1_11comp_targetILNS1_3genE9ELNS1_11target_archE1100ELNS1_3gpuE3ELNS1_3repE0EEENS1_30default_config_static_selectorELNS0_4arch9wavefront6targetE0EEEvT1_: ; @_ZN7rocprim17ROCPRIM_400000_NS6detail17trampoline_kernelINS0_14default_configENS1_27scan_by_key_config_selectorIiiEEZZNS1_16scan_by_key_implILNS1_25lookback_scan_determinismE0ELb0ES3_N6thrust23THRUST_200600_302600_NS6detail15normal_iteratorINS9_10device_ptrIiEEEESE_SE_iNS9_4plusIvEENS9_8equal_toIiEEiEE10hipError_tPvRmT2_T3_T4_T5_mT6_T7_P12ihipStream_tbENKUlT_T0_E_clISt17integral_constantIbLb1EESZ_EEDaSU_SV_EUlSU_E_NS1_11comp_targetILNS1_3genE9ELNS1_11target_archE1100ELNS1_3gpuE3ELNS1_3repE0EEENS1_30default_config_static_selectorELNS0_4arch9wavefront6targetE0EEEvT1_
; %bb.0:
	.section	.rodata,"a",@progbits
	.p2align	6, 0x0
	.amdhsa_kernel _ZN7rocprim17ROCPRIM_400000_NS6detail17trampoline_kernelINS0_14default_configENS1_27scan_by_key_config_selectorIiiEEZZNS1_16scan_by_key_implILNS1_25lookback_scan_determinismE0ELb0ES3_N6thrust23THRUST_200600_302600_NS6detail15normal_iteratorINS9_10device_ptrIiEEEESE_SE_iNS9_4plusIvEENS9_8equal_toIiEEiEE10hipError_tPvRmT2_T3_T4_T5_mT6_T7_P12ihipStream_tbENKUlT_T0_E_clISt17integral_constantIbLb1EESZ_EEDaSU_SV_EUlSU_E_NS1_11comp_targetILNS1_3genE9ELNS1_11target_archE1100ELNS1_3gpuE3ELNS1_3repE0EEENS1_30default_config_static_selectorELNS0_4arch9wavefront6targetE0EEEvT1_
		.amdhsa_group_segment_fixed_size 0
		.amdhsa_private_segment_fixed_size 0
		.amdhsa_kernarg_size 112
		.amdhsa_user_sgpr_count 6
		.amdhsa_user_sgpr_private_segment_buffer 1
		.amdhsa_user_sgpr_dispatch_ptr 0
		.amdhsa_user_sgpr_queue_ptr 0
		.amdhsa_user_sgpr_kernarg_segment_ptr 1
		.amdhsa_user_sgpr_dispatch_id 0
		.amdhsa_user_sgpr_flat_scratch_init 0
		.amdhsa_user_sgpr_private_segment_size 0
		.amdhsa_wavefront_size32 1
		.amdhsa_uses_dynamic_stack 0
		.amdhsa_system_sgpr_private_segment_wavefront_offset 0
		.amdhsa_system_sgpr_workgroup_id_x 1
		.amdhsa_system_sgpr_workgroup_id_y 0
		.amdhsa_system_sgpr_workgroup_id_z 0
		.amdhsa_system_sgpr_workgroup_info 0
		.amdhsa_system_vgpr_workitem_id 0
		.amdhsa_next_free_vgpr 1
		.amdhsa_next_free_sgpr 1
		.amdhsa_reserve_vcc 0
		.amdhsa_reserve_flat_scratch 0
		.amdhsa_float_round_mode_32 0
		.amdhsa_float_round_mode_16_64 0
		.amdhsa_float_denorm_mode_32 3
		.amdhsa_float_denorm_mode_16_64 3
		.amdhsa_dx10_clamp 1
		.amdhsa_ieee_mode 1
		.amdhsa_fp16_overflow 0
		.amdhsa_workgroup_processor_mode 1
		.amdhsa_memory_ordered 1
		.amdhsa_forward_progress 1
		.amdhsa_shared_vgpr_count 0
		.amdhsa_exception_fp_ieee_invalid_op 0
		.amdhsa_exception_fp_denorm_src 0
		.amdhsa_exception_fp_ieee_div_zero 0
		.amdhsa_exception_fp_ieee_overflow 0
		.amdhsa_exception_fp_ieee_underflow 0
		.amdhsa_exception_fp_ieee_inexact 0
		.amdhsa_exception_int_div_zero 0
	.end_amdhsa_kernel
	.section	.text._ZN7rocprim17ROCPRIM_400000_NS6detail17trampoline_kernelINS0_14default_configENS1_27scan_by_key_config_selectorIiiEEZZNS1_16scan_by_key_implILNS1_25lookback_scan_determinismE0ELb0ES3_N6thrust23THRUST_200600_302600_NS6detail15normal_iteratorINS9_10device_ptrIiEEEESE_SE_iNS9_4plusIvEENS9_8equal_toIiEEiEE10hipError_tPvRmT2_T3_T4_T5_mT6_T7_P12ihipStream_tbENKUlT_T0_E_clISt17integral_constantIbLb1EESZ_EEDaSU_SV_EUlSU_E_NS1_11comp_targetILNS1_3genE9ELNS1_11target_archE1100ELNS1_3gpuE3ELNS1_3repE0EEENS1_30default_config_static_selectorELNS0_4arch9wavefront6targetE0EEEvT1_,"axG",@progbits,_ZN7rocprim17ROCPRIM_400000_NS6detail17trampoline_kernelINS0_14default_configENS1_27scan_by_key_config_selectorIiiEEZZNS1_16scan_by_key_implILNS1_25lookback_scan_determinismE0ELb0ES3_N6thrust23THRUST_200600_302600_NS6detail15normal_iteratorINS9_10device_ptrIiEEEESE_SE_iNS9_4plusIvEENS9_8equal_toIiEEiEE10hipError_tPvRmT2_T3_T4_T5_mT6_T7_P12ihipStream_tbENKUlT_T0_E_clISt17integral_constantIbLb1EESZ_EEDaSU_SV_EUlSU_E_NS1_11comp_targetILNS1_3genE9ELNS1_11target_archE1100ELNS1_3gpuE3ELNS1_3repE0EEENS1_30default_config_static_selectorELNS0_4arch9wavefront6targetE0EEEvT1_,comdat
.Lfunc_end216:
	.size	_ZN7rocprim17ROCPRIM_400000_NS6detail17trampoline_kernelINS0_14default_configENS1_27scan_by_key_config_selectorIiiEEZZNS1_16scan_by_key_implILNS1_25lookback_scan_determinismE0ELb0ES3_N6thrust23THRUST_200600_302600_NS6detail15normal_iteratorINS9_10device_ptrIiEEEESE_SE_iNS9_4plusIvEENS9_8equal_toIiEEiEE10hipError_tPvRmT2_T3_T4_T5_mT6_T7_P12ihipStream_tbENKUlT_T0_E_clISt17integral_constantIbLb1EESZ_EEDaSU_SV_EUlSU_E_NS1_11comp_targetILNS1_3genE9ELNS1_11target_archE1100ELNS1_3gpuE3ELNS1_3repE0EEENS1_30default_config_static_selectorELNS0_4arch9wavefront6targetE0EEEvT1_, .Lfunc_end216-_ZN7rocprim17ROCPRIM_400000_NS6detail17trampoline_kernelINS0_14default_configENS1_27scan_by_key_config_selectorIiiEEZZNS1_16scan_by_key_implILNS1_25lookback_scan_determinismE0ELb0ES3_N6thrust23THRUST_200600_302600_NS6detail15normal_iteratorINS9_10device_ptrIiEEEESE_SE_iNS9_4plusIvEENS9_8equal_toIiEEiEE10hipError_tPvRmT2_T3_T4_T5_mT6_T7_P12ihipStream_tbENKUlT_T0_E_clISt17integral_constantIbLb1EESZ_EEDaSU_SV_EUlSU_E_NS1_11comp_targetILNS1_3genE9ELNS1_11target_archE1100ELNS1_3gpuE3ELNS1_3repE0EEENS1_30default_config_static_selectorELNS0_4arch9wavefront6targetE0EEEvT1_
                                        ; -- End function
	.set _ZN7rocprim17ROCPRIM_400000_NS6detail17trampoline_kernelINS0_14default_configENS1_27scan_by_key_config_selectorIiiEEZZNS1_16scan_by_key_implILNS1_25lookback_scan_determinismE0ELb0ES3_N6thrust23THRUST_200600_302600_NS6detail15normal_iteratorINS9_10device_ptrIiEEEESE_SE_iNS9_4plusIvEENS9_8equal_toIiEEiEE10hipError_tPvRmT2_T3_T4_T5_mT6_T7_P12ihipStream_tbENKUlT_T0_E_clISt17integral_constantIbLb1EESZ_EEDaSU_SV_EUlSU_E_NS1_11comp_targetILNS1_3genE9ELNS1_11target_archE1100ELNS1_3gpuE3ELNS1_3repE0EEENS1_30default_config_static_selectorELNS0_4arch9wavefront6targetE0EEEvT1_.num_vgpr, 0
	.set _ZN7rocprim17ROCPRIM_400000_NS6detail17trampoline_kernelINS0_14default_configENS1_27scan_by_key_config_selectorIiiEEZZNS1_16scan_by_key_implILNS1_25lookback_scan_determinismE0ELb0ES3_N6thrust23THRUST_200600_302600_NS6detail15normal_iteratorINS9_10device_ptrIiEEEESE_SE_iNS9_4plusIvEENS9_8equal_toIiEEiEE10hipError_tPvRmT2_T3_T4_T5_mT6_T7_P12ihipStream_tbENKUlT_T0_E_clISt17integral_constantIbLb1EESZ_EEDaSU_SV_EUlSU_E_NS1_11comp_targetILNS1_3genE9ELNS1_11target_archE1100ELNS1_3gpuE3ELNS1_3repE0EEENS1_30default_config_static_selectorELNS0_4arch9wavefront6targetE0EEEvT1_.num_agpr, 0
	.set _ZN7rocprim17ROCPRIM_400000_NS6detail17trampoline_kernelINS0_14default_configENS1_27scan_by_key_config_selectorIiiEEZZNS1_16scan_by_key_implILNS1_25lookback_scan_determinismE0ELb0ES3_N6thrust23THRUST_200600_302600_NS6detail15normal_iteratorINS9_10device_ptrIiEEEESE_SE_iNS9_4plusIvEENS9_8equal_toIiEEiEE10hipError_tPvRmT2_T3_T4_T5_mT6_T7_P12ihipStream_tbENKUlT_T0_E_clISt17integral_constantIbLb1EESZ_EEDaSU_SV_EUlSU_E_NS1_11comp_targetILNS1_3genE9ELNS1_11target_archE1100ELNS1_3gpuE3ELNS1_3repE0EEENS1_30default_config_static_selectorELNS0_4arch9wavefront6targetE0EEEvT1_.numbered_sgpr, 0
	.set _ZN7rocprim17ROCPRIM_400000_NS6detail17trampoline_kernelINS0_14default_configENS1_27scan_by_key_config_selectorIiiEEZZNS1_16scan_by_key_implILNS1_25lookback_scan_determinismE0ELb0ES3_N6thrust23THRUST_200600_302600_NS6detail15normal_iteratorINS9_10device_ptrIiEEEESE_SE_iNS9_4plusIvEENS9_8equal_toIiEEiEE10hipError_tPvRmT2_T3_T4_T5_mT6_T7_P12ihipStream_tbENKUlT_T0_E_clISt17integral_constantIbLb1EESZ_EEDaSU_SV_EUlSU_E_NS1_11comp_targetILNS1_3genE9ELNS1_11target_archE1100ELNS1_3gpuE3ELNS1_3repE0EEENS1_30default_config_static_selectorELNS0_4arch9wavefront6targetE0EEEvT1_.num_named_barrier, 0
	.set _ZN7rocprim17ROCPRIM_400000_NS6detail17trampoline_kernelINS0_14default_configENS1_27scan_by_key_config_selectorIiiEEZZNS1_16scan_by_key_implILNS1_25lookback_scan_determinismE0ELb0ES3_N6thrust23THRUST_200600_302600_NS6detail15normal_iteratorINS9_10device_ptrIiEEEESE_SE_iNS9_4plusIvEENS9_8equal_toIiEEiEE10hipError_tPvRmT2_T3_T4_T5_mT6_T7_P12ihipStream_tbENKUlT_T0_E_clISt17integral_constantIbLb1EESZ_EEDaSU_SV_EUlSU_E_NS1_11comp_targetILNS1_3genE9ELNS1_11target_archE1100ELNS1_3gpuE3ELNS1_3repE0EEENS1_30default_config_static_selectorELNS0_4arch9wavefront6targetE0EEEvT1_.private_seg_size, 0
	.set _ZN7rocprim17ROCPRIM_400000_NS6detail17trampoline_kernelINS0_14default_configENS1_27scan_by_key_config_selectorIiiEEZZNS1_16scan_by_key_implILNS1_25lookback_scan_determinismE0ELb0ES3_N6thrust23THRUST_200600_302600_NS6detail15normal_iteratorINS9_10device_ptrIiEEEESE_SE_iNS9_4plusIvEENS9_8equal_toIiEEiEE10hipError_tPvRmT2_T3_T4_T5_mT6_T7_P12ihipStream_tbENKUlT_T0_E_clISt17integral_constantIbLb1EESZ_EEDaSU_SV_EUlSU_E_NS1_11comp_targetILNS1_3genE9ELNS1_11target_archE1100ELNS1_3gpuE3ELNS1_3repE0EEENS1_30default_config_static_selectorELNS0_4arch9wavefront6targetE0EEEvT1_.uses_vcc, 0
	.set _ZN7rocprim17ROCPRIM_400000_NS6detail17trampoline_kernelINS0_14default_configENS1_27scan_by_key_config_selectorIiiEEZZNS1_16scan_by_key_implILNS1_25lookback_scan_determinismE0ELb0ES3_N6thrust23THRUST_200600_302600_NS6detail15normal_iteratorINS9_10device_ptrIiEEEESE_SE_iNS9_4plusIvEENS9_8equal_toIiEEiEE10hipError_tPvRmT2_T3_T4_T5_mT6_T7_P12ihipStream_tbENKUlT_T0_E_clISt17integral_constantIbLb1EESZ_EEDaSU_SV_EUlSU_E_NS1_11comp_targetILNS1_3genE9ELNS1_11target_archE1100ELNS1_3gpuE3ELNS1_3repE0EEENS1_30default_config_static_selectorELNS0_4arch9wavefront6targetE0EEEvT1_.uses_flat_scratch, 0
	.set _ZN7rocprim17ROCPRIM_400000_NS6detail17trampoline_kernelINS0_14default_configENS1_27scan_by_key_config_selectorIiiEEZZNS1_16scan_by_key_implILNS1_25lookback_scan_determinismE0ELb0ES3_N6thrust23THRUST_200600_302600_NS6detail15normal_iteratorINS9_10device_ptrIiEEEESE_SE_iNS9_4plusIvEENS9_8equal_toIiEEiEE10hipError_tPvRmT2_T3_T4_T5_mT6_T7_P12ihipStream_tbENKUlT_T0_E_clISt17integral_constantIbLb1EESZ_EEDaSU_SV_EUlSU_E_NS1_11comp_targetILNS1_3genE9ELNS1_11target_archE1100ELNS1_3gpuE3ELNS1_3repE0EEENS1_30default_config_static_selectorELNS0_4arch9wavefront6targetE0EEEvT1_.has_dyn_sized_stack, 0
	.set _ZN7rocprim17ROCPRIM_400000_NS6detail17trampoline_kernelINS0_14default_configENS1_27scan_by_key_config_selectorIiiEEZZNS1_16scan_by_key_implILNS1_25lookback_scan_determinismE0ELb0ES3_N6thrust23THRUST_200600_302600_NS6detail15normal_iteratorINS9_10device_ptrIiEEEESE_SE_iNS9_4plusIvEENS9_8equal_toIiEEiEE10hipError_tPvRmT2_T3_T4_T5_mT6_T7_P12ihipStream_tbENKUlT_T0_E_clISt17integral_constantIbLb1EESZ_EEDaSU_SV_EUlSU_E_NS1_11comp_targetILNS1_3genE9ELNS1_11target_archE1100ELNS1_3gpuE3ELNS1_3repE0EEENS1_30default_config_static_selectorELNS0_4arch9wavefront6targetE0EEEvT1_.has_recursion, 0
	.set _ZN7rocprim17ROCPRIM_400000_NS6detail17trampoline_kernelINS0_14default_configENS1_27scan_by_key_config_selectorIiiEEZZNS1_16scan_by_key_implILNS1_25lookback_scan_determinismE0ELb0ES3_N6thrust23THRUST_200600_302600_NS6detail15normal_iteratorINS9_10device_ptrIiEEEESE_SE_iNS9_4plusIvEENS9_8equal_toIiEEiEE10hipError_tPvRmT2_T3_T4_T5_mT6_T7_P12ihipStream_tbENKUlT_T0_E_clISt17integral_constantIbLb1EESZ_EEDaSU_SV_EUlSU_E_NS1_11comp_targetILNS1_3genE9ELNS1_11target_archE1100ELNS1_3gpuE3ELNS1_3repE0EEENS1_30default_config_static_selectorELNS0_4arch9wavefront6targetE0EEEvT1_.has_indirect_call, 0
	.section	.AMDGPU.csdata,"",@progbits
; Kernel info:
; codeLenInByte = 0
; TotalNumSgprs: 0
; NumVgprs: 0
; ScratchSize: 0
; MemoryBound: 0
; FloatMode: 240
; IeeeMode: 1
; LDSByteSize: 0 bytes/workgroup (compile time only)
; SGPRBlocks: 0
; VGPRBlocks: 0
; NumSGPRsForWavesPerEU: 1
; NumVGPRsForWavesPerEU: 1
; Occupancy: 16
; WaveLimiterHint : 0
; COMPUTE_PGM_RSRC2:SCRATCH_EN: 0
; COMPUTE_PGM_RSRC2:USER_SGPR: 6
; COMPUTE_PGM_RSRC2:TRAP_HANDLER: 0
; COMPUTE_PGM_RSRC2:TGID_X_EN: 1
; COMPUTE_PGM_RSRC2:TGID_Y_EN: 0
; COMPUTE_PGM_RSRC2:TGID_Z_EN: 0
; COMPUTE_PGM_RSRC2:TIDIG_COMP_CNT: 0
	.section	.text._ZN7rocprim17ROCPRIM_400000_NS6detail17trampoline_kernelINS0_14default_configENS1_27scan_by_key_config_selectorIiiEEZZNS1_16scan_by_key_implILNS1_25lookback_scan_determinismE0ELb0ES3_N6thrust23THRUST_200600_302600_NS6detail15normal_iteratorINS9_10device_ptrIiEEEESE_SE_iNS9_4plusIvEENS9_8equal_toIiEEiEE10hipError_tPvRmT2_T3_T4_T5_mT6_T7_P12ihipStream_tbENKUlT_T0_E_clISt17integral_constantIbLb1EESZ_EEDaSU_SV_EUlSU_E_NS1_11comp_targetILNS1_3genE8ELNS1_11target_archE1030ELNS1_3gpuE2ELNS1_3repE0EEENS1_30default_config_static_selectorELNS0_4arch9wavefront6targetE0EEEvT1_,"axG",@progbits,_ZN7rocprim17ROCPRIM_400000_NS6detail17trampoline_kernelINS0_14default_configENS1_27scan_by_key_config_selectorIiiEEZZNS1_16scan_by_key_implILNS1_25lookback_scan_determinismE0ELb0ES3_N6thrust23THRUST_200600_302600_NS6detail15normal_iteratorINS9_10device_ptrIiEEEESE_SE_iNS9_4plusIvEENS9_8equal_toIiEEiEE10hipError_tPvRmT2_T3_T4_T5_mT6_T7_P12ihipStream_tbENKUlT_T0_E_clISt17integral_constantIbLb1EESZ_EEDaSU_SV_EUlSU_E_NS1_11comp_targetILNS1_3genE8ELNS1_11target_archE1030ELNS1_3gpuE2ELNS1_3repE0EEENS1_30default_config_static_selectorELNS0_4arch9wavefront6targetE0EEEvT1_,comdat
	.protected	_ZN7rocprim17ROCPRIM_400000_NS6detail17trampoline_kernelINS0_14default_configENS1_27scan_by_key_config_selectorIiiEEZZNS1_16scan_by_key_implILNS1_25lookback_scan_determinismE0ELb0ES3_N6thrust23THRUST_200600_302600_NS6detail15normal_iteratorINS9_10device_ptrIiEEEESE_SE_iNS9_4plusIvEENS9_8equal_toIiEEiEE10hipError_tPvRmT2_T3_T4_T5_mT6_T7_P12ihipStream_tbENKUlT_T0_E_clISt17integral_constantIbLb1EESZ_EEDaSU_SV_EUlSU_E_NS1_11comp_targetILNS1_3genE8ELNS1_11target_archE1030ELNS1_3gpuE2ELNS1_3repE0EEENS1_30default_config_static_selectorELNS0_4arch9wavefront6targetE0EEEvT1_ ; -- Begin function _ZN7rocprim17ROCPRIM_400000_NS6detail17trampoline_kernelINS0_14default_configENS1_27scan_by_key_config_selectorIiiEEZZNS1_16scan_by_key_implILNS1_25lookback_scan_determinismE0ELb0ES3_N6thrust23THRUST_200600_302600_NS6detail15normal_iteratorINS9_10device_ptrIiEEEESE_SE_iNS9_4plusIvEENS9_8equal_toIiEEiEE10hipError_tPvRmT2_T3_T4_T5_mT6_T7_P12ihipStream_tbENKUlT_T0_E_clISt17integral_constantIbLb1EESZ_EEDaSU_SV_EUlSU_E_NS1_11comp_targetILNS1_3genE8ELNS1_11target_archE1030ELNS1_3gpuE2ELNS1_3repE0EEENS1_30default_config_static_selectorELNS0_4arch9wavefront6targetE0EEEvT1_
	.globl	_ZN7rocprim17ROCPRIM_400000_NS6detail17trampoline_kernelINS0_14default_configENS1_27scan_by_key_config_selectorIiiEEZZNS1_16scan_by_key_implILNS1_25lookback_scan_determinismE0ELb0ES3_N6thrust23THRUST_200600_302600_NS6detail15normal_iteratorINS9_10device_ptrIiEEEESE_SE_iNS9_4plusIvEENS9_8equal_toIiEEiEE10hipError_tPvRmT2_T3_T4_T5_mT6_T7_P12ihipStream_tbENKUlT_T0_E_clISt17integral_constantIbLb1EESZ_EEDaSU_SV_EUlSU_E_NS1_11comp_targetILNS1_3genE8ELNS1_11target_archE1030ELNS1_3gpuE2ELNS1_3repE0EEENS1_30default_config_static_selectorELNS0_4arch9wavefront6targetE0EEEvT1_
	.p2align	8
	.type	_ZN7rocprim17ROCPRIM_400000_NS6detail17trampoline_kernelINS0_14default_configENS1_27scan_by_key_config_selectorIiiEEZZNS1_16scan_by_key_implILNS1_25lookback_scan_determinismE0ELb0ES3_N6thrust23THRUST_200600_302600_NS6detail15normal_iteratorINS9_10device_ptrIiEEEESE_SE_iNS9_4plusIvEENS9_8equal_toIiEEiEE10hipError_tPvRmT2_T3_T4_T5_mT6_T7_P12ihipStream_tbENKUlT_T0_E_clISt17integral_constantIbLb1EESZ_EEDaSU_SV_EUlSU_E_NS1_11comp_targetILNS1_3genE8ELNS1_11target_archE1030ELNS1_3gpuE2ELNS1_3repE0EEENS1_30default_config_static_selectorELNS0_4arch9wavefront6targetE0EEEvT1_,@function
_ZN7rocprim17ROCPRIM_400000_NS6detail17trampoline_kernelINS0_14default_configENS1_27scan_by_key_config_selectorIiiEEZZNS1_16scan_by_key_implILNS1_25lookback_scan_determinismE0ELb0ES3_N6thrust23THRUST_200600_302600_NS6detail15normal_iteratorINS9_10device_ptrIiEEEESE_SE_iNS9_4plusIvEENS9_8equal_toIiEEiEE10hipError_tPvRmT2_T3_T4_T5_mT6_T7_P12ihipStream_tbENKUlT_T0_E_clISt17integral_constantIbLb1EESZ_EEDaSU_SV_EUlSU_E_NS1_11comp_targetILNS1_3genE8ELNS1_11target_archE1030ELNS1_3gpuE2ELNS1_3repE0EEENS1_30default_config_static_selectorELNS0_4arch9wavefront6targetE0EEEvT1_: ; @_ZN7rocprim17ROCPRIM_400000_NS6detail17trampoline_kernelINS0_14default_configENS1_27scan_by_key_config_selectorIiiEEZZNS1_16scan_by_key_implILNS1_25lookback_scan_determinismE0ELb0ES3_N6thrust23THRUST_200600_302600_NS6detail15normal_iteratorINS9_10device_ptrIiEEEESE_SE_iNS9_4plusIvEENS9_8equal_toIiEEiEE10hipError_tPvRmT2_T3_T4_T5_mT6_T7_P12ihipStream_tbENKUlT_T0_E_clISt17integral_constantIbLb1EESZ_EEDaSU_SV_EUlSU_E_NS1_11comp_targetILNS1_3genE8ELNS1_11target_archE1030ELNS1_3gpuE2ELNS1_3repE0EEENS1_30default_config_static_selectorELNS0_4arch9wavefront6targetE0EEEvT1_
; %bb.0:
	s_endpgm
	.section	.rodata,"a",@progbits
	.p2align	6, 0x0
	.amdhsa_kernel _ZN7rocprim17ROCPRIM_400000_NS6detail17trampoline_kernelINS0_14default_configENS1_27scan_by_key_config_selectorIiiEEZZNS1_16scan_by_key_implILNS1_25lookback_scan_determinismE0ELb0ES3_N6thrust23THRUST_200600_302600_NS6detail15normal_iteratorINS9_10device_ptrIiEEEESE_SE_iNS9_4plusIvEENS9_8equal_toIiEEiEE10hipError_tPvRmT2_T3_T4_T5_mT6_T7_P12ihipStream_tbENKUlT_T0_E_clISt17integral_constantIbLb1EESZ_EEDaSU_SV_EUlSU_E_NS1_11comp_targetILNS1_3genE8ELNS1_11target_archE1030ELNS1_3gpuE2ELNS1_3repE0EEENS1_30default_config_static_selectorELNS0_4arch9wavefront6targetE0EEEvT1_
		.amdhsa_group_segment_fixed_size 0
		.amdhsa_private_segment_fixed_size 0
		.amdhsa_kernarg_size 112
		.amdhsa_user_sgpr_count 6
		.amdhsa_user_sgpr_private_segment_buffer 1
		.amdhsa_user_sgpr_dispatch_ptr 0
		.amdhsa_user_sgpr_queue_ptr 0
		.amdhsa_user_sgpr_kernarg_segment_ptr 1
		.amdhsa_user_sgpr_dispatch_id 0
		.amdhsa_user_sgpr_flat_scratch_init 0
		.amdhsa_user_sgpr_private_segment_size 0
		.amdhsa_wavefront_size32 1
		.amdhsa_uses_dynamic_stack 0
		.amdhsa_system_sgpr_private_segment_wavefront_offset 0
		.amdhsa_system_sgpr_workgroup_id_x 1
		.amdhsa_system_sgpr_workgroup_id_y 0
		.amdhsa_system_sgpr_workgroup_id_z 0
		.amdhsa_system_sgpr_workgroup_info 0
		.amdhsa_system_vgpr_workitem_id 0
		.amdhsa_next_free_vgpr 1
		.amdhsa_next_free_sgpr 1
		.amdhsa_reserve_vcc 0
		.amdhsa_reserve_flat_scratch 0
		.amdhsa_float_round_mode_32 0
		.amdhsa_float_round_mode_16_64 0
		.amdhsa_float_denorm_mode_32 3
		.amdhsa_float_denorm_mode_16_64 3
		.amdhsa_dx10_clamp 1
		.amdhsa_ieee_mode 1
		.amdhsa_fp16_overflow 0
		.amdhsa_workgroup_processor_mode 1
		.amdhsa_memory_ordered 1
		.amdhsa_forward_progress 1
		.amdhsa_shared_vgpr_count 0
		.amdhsa_exception_fp_ieee_invalid_op 0
		.amdhsa_exception_fp_denorm_src 0
		.amdhsa_exception_fp_ieee_div_zero 0
		.amdhsa_exception_fp_ieee_overflow 0
		.amdhsa_exception_fp_ieee_underflow 0
		.amdhsa_exception_fp_ieee_inexact 0
		.amdhsa_exception_int_div_zero 0
	.end_amdhsa_kernel
	.section	.text._ZN7rocprim17ROCPRIM_400000_NS6detail17trampoline_kernelINS0_14default_configENS1_27scan_by_key_config_selectorIiiEEZZNS1_16scan_by_key_implILNS1_25lookback_scan_determinismE0ELb0ES3_N6thrust23THRUST_200600_302600_NS6detail15normal_iteratorINS9_10device_ptrIiEEEESE_SE_iNS9_4plusIvEENS9_8equal_toIiEEiEE10hipError_tPvRmT2_T3_T4_T5_mT6_T7_P12ihipStream_tbENKUlT_T0_E_clISt17integral_constantIbLb1EESZ_EEDaSU_SV_EUlSU_E_NS1_11comp_targetILNS1_3genE8ELNS1_11target_archE1030ELNS1_3gpuE2ELNS1_3repE0EEENS1_30default_config_static_selectorELNS0_4arch9wavefront6targetE0EEEvT1_,"axG",@progbits,_ZN7rocprim17ROCPRIM_400000_NS6detail17trampoline_kernelINS0_14default_configENS1_27scan_by_key_config_selectorIiiEEZZNS1_16scan_by_key_implILNS1_25lookback_scan_determinismE0ELb0ES3_N6thrust23THRUST_200600_302600_NS6detail15normal_iteratorINS9_10device_ptrIiEEEESE_SE_iNS9_4plusIvEENS9_8equal_toIiEEiEE10hipError_tPvRmT2_T3_T4_T5_mT6_T7_P12ihipStream_tbENKUlT_T0_E_clISt17integral_constantIbLb1EESZ_EEDaSU_SV_EUlSU_E_NS1_11comp_targetILNS1_3genE8ELNS1_11target_archE1030ELNS1_3gpuE2ELNS1_3repE0EEENS1_30default_config_static_selectorELNS0_4arch9wavefront6targetE0EEEvT1_,comdat
.Lfunc_end217:
	.size	_ZN7rocprim17ROCPRIM_400000_NS6detail17trampoline_kernelINS0_14default_configENS1_27scan_by_key_config_selectorIiiEEZZNS1_16scan_by_key_implILNS1_25lookback_scan_determinismE0ELb0ES3_N6thrust23THRUST_200600_302600_NS6detail15normal_iteratorINS9_10device_ptrIiEEEESE_SE_iNS9_4plusIvEENS9_8equal_toIiEEiEE10hipError_tPvRmT2_T3_T4_T5_mT6_T7_P12ihipStream_tbENKUlT_T0_E_clISt17integral_constantIbLb1EESZ_EEDaSU_SV_EUlSU_E_NS1_11comp_targetILNS1_3genE8ELNS1_11target_archE1030ELNS1_3gpuE2ELNS1_3repE0EEENS1_30default_config_static_selectorELNS0_4arch9wavefront6targetE0EEEvT1_, .Lfunc_end217-_ZN7rocprim17ROCPRIM_400000_NS6detail17trampoline_kernelINS0_14default_configENS1_27scan_by_key_config_selectorIiiEEZZNS1_16scan_by_key_implILNS1_25lookback_scan_determinismE0ELb0ES3_N6thrust23THRUST_200600_302600_NS6detail15normal_iteratorINS9_10device_ptrIiEEEESE_SE_iNS9_4plusIvEENS9_8equal_toIiEEiEE10hipError_tPvRmT2_T3_T4_T5_mT6_T7_P12ihipStream_tbENKUlT_T0_E_clISt17integral_constantIbLb1EESZ_EEDaSU_SV_EUlSU_E_NS1_11comp_targetILNS1_3genE8ELNS1_11target_archE1030ELNS1_3gpuE2ELNS1_3repE0EEENS1_30default_config_static_selectorELNS0_4arch9wavefront6targetE0EEEvT1_
                                        ; -- End function
	.set _ZN7rocprim17ROCPRIM_400000_NS6detail17trampoline_kernelINS0_14default_configENS1_27scan_by_key_config_selectorIiiEEZZNS1_16scan_by_key_implILNS1_25lookback_scan_determinismE0ELb0ES3_N6thrust23THRUST_200600_302600_NS6detail15normal_iteratorINS9_10device_ptrIiEEEESE_SE_iNS9_4plusIvEENS9_8equal_toIiEEiEE10hipError_tPvRmT2_T3_T4_T5_mT6_T7_P12ihipStream_tbENKUlT_T0_E_clISt17integral_constantIbLb1EESZ_EEDaSU_SV_EUlSU_E_NS1_11comp_targetILNS1_3genE8ELNS1_11target_archE1030ELNS1_3gpuE2ELNS1_3repE0EEENS1_30default_config_static_selectorELNS0_4arch9wavefront6targetE0EEEvT1_.num_vgpr, 0
	.set _ZN7rocprim17ROCPRIM_400000_NS6detail17trampoline_kernelINS0_14default_configENS1_27scan_by_key_config_selectorIiiEEZZNS1_16scan_by_key_implILNS1_25lookback_scan_determinismE0ELb0ES3_N6thrust23THRUST_200600_302600_NS6detail15normal_iteratorINS9_10device_ptrIiEEEESE_SE_iNS9_4plusIvEENS9_8equal_toIiEEiEE10hipError_tPvRmT2_T3_T4_T5_mT6_T7_P12ihipStream_tbENKUlT_T0_E_clISt17integral_constantIbLb1EESZ_EEDaSU_SV_EUlSU_E_NS1_11comp_targetILNS1_3genE8ELNS1_11target_archE1030ELNS1_3gpuE2ELNS1_3repE0EEENS1_30default_config_static_selectorELNS0_4arch9wavefront6targetE0EEEvT1_.num_agpr, 0
	.set _ZN7rocprim17ROCPRIM_400000_NS6detail17trampoline_kernelINS0_14default_configENS1_27scan_by_key_config_selectorIiiEEZZNS1_16scan_by_key_implILNS1_25lookback_scan_determinismE0ELb0ES3_N6thrust23THRUST_200600_302600_NS6detail15normal_iteratorINS9_10device_ptrIiEEEESE_SE_iNS9_4plusIvEENS9_8equal_toIiEEiEE10hipError_tPvRmT2_T3_T4_T5_mT6_T7_P12ihipStream_tbENKUlT_T0_E_clISt17integral_constantIbLb1EESZ_EEDaSU_SV_EUlSU_E_NS1_11comp_targetILNS1_3genE8ELNS1_11target_archE1030ELNS1_3gpuE2ELNS1_3repE0EEENS1_30default_config_static_selectorELNS0_4arch9wavefront6targetE0EEEvT1_.numbered_sgpr, 0
	.set _ZN7rocprim17ROCPRIM_400000_NS6detail17trampoline_kernelINS0_14default_configENS1_27scan_by_key_config_selectorIiiEEZZNS1_16scan_by_key_implILNS1_25lookback_scan_determinismE0ELb0ES3_N6thrust23THRUST_200600_302600_NS6detail15normal_iteratorINS9_10device_ptrIiEEEESE_SE_iNS9_4plusIvEENS9_8equal_toIiEEiEE10hipError_tPvRmT2_T3_T4_T5_mT6_T7_P12ihipStream_tbENKUlT_T0_E_clISt17integral_constantIbLb1EESZ_EEDaSU_SV_EUlSU_E_NS1_11comp_targetILNS1_3genE8ELNS1_11target_archE1030ELNS1_3gpuE2ELNS1_3repE0EEENS1_30default_config_static_selectorELNS0_4arch9wavefront6targetE0EEEvT1_.num_named_barrier, 0
	.set _ZN7rocprim17ROCPRIM_400000_NS6detail17trampoline_kernelINS0_14default_configENS1_27scan_by_key_config_selectorIiiEEZZNS1_16scan_by_key_implILNS1_25lookback_scan_determinismE0ELb0ES3_N6thrust23THRUST_200600_302600_NS6detail15normal_iteratorINS9_10device_ptrIiEEEESE_SE_iNS9_4plusIvEENS9_8equal_toIiEEiEE10hipError_tPvRmT2_T3_T4_T5_mT6_T7_P12ihipStream_tbENKUlT_T0_E_clISt17integral_constantIbLb1EESZ_EEDaSU_SV_EUlSU_E_NS1_11comp_targetILNS1_3genE8ELNS1_11target_archE1030ELNS1_3gpuE2ELNS1_3repE0EEENS1_30default_config_static_selectorELNS0_4arch9wavefront6targetE0EEEvT1_.private_seg_size, 0
	.set _ZN7rocprim17ROCPRIM_400000_NS6detail17trampoline_kernelINS0_14default_configENS1_27scan_by_key_config_selectorIiiEEZZNS1_16scan_by_key_implILNS1_25lookback_scan_determinismE0ELb0ES3_N6thrust23THRUST_200600_302600_NS6detail15normal_iteratorINS9_10device_ptrIiEEEESE_SE_iNS9_4plusIvEENS9_8equal_toIiEEiEE10hipError_tPvRmT2_T3_T4_T5_mT6_T7_P12ihipStream_tbENKUlT_T0_E_clISt17integral_constantIbLb1EESZ_EEDaSU_SV_EUlSU_E_NS1_11comp_targetILNS1_3genE8ELNS1_11target_archE1030ELNS1_3gpuE2ELNS1_3repE0EEENS1_30default_config_static_selectorELNS0_4arch9wavefront6targetE0EEEvT1_.uses_vcc, 0
	.set _ZN7rocprim17ROCPRIM_400000_NS6detail17trampoline_kernelINS0_14default_configENS1_27scan_by_key_config_selectorIiiEEZZNS1_16scan_by_key_implILNS1_25lookback_scan_determinismE0ELb0ES3_N6thrust23THRUST_200600_302600_NS6detail15normal_iteratorINS9_10device_ptrIiEEEESE_SE_iNS9_4plusIvEENS9_8equal_toIiEEiEE10hipError_tPvRmT2_T3_T4_T5_mT6_T7_P12ihipStream_tbENKUlT_T0_E_clISt17integral_constantIbLb1EESZ_EEDaSU_SV_EUlSU_E_NS1_11comp_targetILNS1_3genE8ELNS1_11target_archE1030ELNS1_3gpuE2ELNS1_3repE0EEENS1_30default_config_static_selectorELNS0_4arch9wavefront6targetE0EEEvT1_.uses_flat_scratch, 0
	.set _ZN7rocprim17ROCPRIM_400000_NS6detail17trampoline_kernelINS0_14default_configENS1_27scan_by_key_config_selectorIiiEEZZNS1_16scan_by_key_implILNS1_25lookback_scan_determinismE0ELb0ES3_N6thrust23THRUST_200600_302600_NS6detail15normal_iteratorINS9_10device_ptrIiEEEESE_SE_iNS9_4plusIvEENS9_8equal_toIiEEiEE10hipError_tPvRmT2_T3_T4_T5_mT6_T7_P12ihipStream_tbENKUlT_T0_E_clISt17integral_constantIbLb1EESZ_EEDaSU_SV_EUlSU_E_NS1_11comp_targetILNS1_3genE8ELNS1_11target_archE1030ELNS1_3gpuE2ELNS1_3repE0EEENS1_30default_config_static_selectorELNS0_4arch9wavefront6targetE0EEEvT1_.has_dyn_sized_stack, 0
	.set _ZN7rocprim17ROCPRIM_400000_NS6detail17trampoline_kernelINS0_14default_configENS1_27scan_by_key_config_selectorIiiEEZZNS1_16scan_by_key_implILNS1_25lookback_scan_determinismE0ELb0ES3_N6thrust23THRUST_200600_302600_NS6detail15normal_iteratorINS9_10device_ptrIiEEEESE_SE_iNS9_4plusIvEENS9_8equal_toIiEEiEE10hipError_tPvRmT2_T3_T4_T5_mT6_T7_P12ihipStream_tbENKUlT_T0_E_clISt17integral_constantIbLb1EESZ_EEDaSU_SV_EUlSU_E_NS1_11comp_targetILNS1_3genE8ELNS1_11target_archE1030ELNS1_3gpuE2ELNS1_3repE0EEENS1_30default_config_static_selectorELNS0_4arch9wavefront6targetE0EEEvT1_.has_recursion, 0
	.set _ZN7rocprim17ROCPRIM_400000_NS6detail17trampoline_kernelINS0_14default_configENS1_27scan_by_key_config_selectorIiiEEZZNS1_16scan_by_key_implILNS1_25lookback_scan_determinismE0ELb0ES3_N6thrust23THRUST_200600_302600_NS6detail15normal_iteratorINS9_10device_ptrIiEEEESE_SE_iNS9_4plusIvEENS9_8equal_toIiEEiEE10hipError_tPvRmT2_T3_T4_T5_mT6_T7_P12ihipStream_tbENKUlT_T0_E_clISt17integral_constantIbLb1EESZ_EEDaSU_SV_EUlSU_E_NS1_11comp_targetILNS1_3genE8ELNS1_11target_archE1030ELNS1_3gpuE2ELNS1_3repE0EEENS1_30default_config_static_selectorELNS0_4arch9wavefront6targetE0EEEvT1_.has_indirect_call, 0
	.section	.AMDGPU.csdata,"",@progbits
; Kernel info:
; codeLenInByte = 4
; TotalNumSgprs: 0
; NumVgprs: 0
; ScratchSize: 0
; MemoryBound: 0
; FloatMode: 240
; IeeeMode: 1
; LDSByteSize: 0 bytes/workgroup (compile time only)
; SGPRBlocks: 0
; VGPRBlocks: 0
; NumSGPRsForWavesPerEU: 1
; NumVGPRsForWavesPerEU: 1
; Occupancy: 16
; WaveLimiterHint : 0
; COMPUTE_PGM_RSRC2:SCRATCH_EN: 0
; COMPUTE_PGM_RSRC2:USER_SGPR: 6
; COMPUTE_PGM_RSRC2:TRAP_HANDLER: 0
; COMPUTE_PGM_RSRC2:TGID_X_EN: 1
; COMPUTE_PGM_RSRC2:TGID_Y_EN: 0
; COMPUTE_PGM_RSRC2:TGID_Z_EN: 0
; COMPUTE_PGM_RSRC2:TIDIG_COMP_CNT: 0
	.section	.text._ZN7rocprim17ROCPRIM_400000_NS6detail17trampoline_kernelINS0_14default_configENS1_27scan_by_key_config_selectorIiiEEZZNS1_16scan_by_key_implILNS1_25lookback_scan_determinismE0ELb0ES3_N6thrust23THRUST_200600_302600_NS6detail15normal_iteratorINS9_10device_ptrIiEEEESE_SE_iNS9_4plusIvEENS9_8equal_toIiEEiEE10hipError_tPvRmT2_T3_T4_T5_mT6_T7_P12ihipStream_tbENKUlT_T0_E_clISt17integral_constantIbLb1EESY_IbLb0EEEEDaSU_SV_EUlSU_E_NS1_11comp_targetILNS1_3genE0ELNS1_11target_archE4294967295ELNS1_3gpuE0ELNS1_3repE0EEENS1_30default_config_static_selectorELNS0_4arch9wavefront6targetE0EEEvT1_,"axG",@progbits,_ZN7rocprim17ROCPRIM_400000_NS6detail17trampoline_kernelINS0_14default_configENS1_27scan_by_key_config_selectorIiiEEZZNS1_16scan_by_key_implILNS1_25lookback_scan_determinismE0ELb0ES3_N6thrust23THRUST_200600_302600_NS6detail15normal_iteratorINS9_10device_ptrIiEEEESE_SE_iNS9_4plusIvEENS9_8equal_toIiEEiEE10hipError_tPvRmT2_T3_T4_T5_mT6_T7_P12ihipStream_tbENKUlT_T0_E_clISt17integral_constantIbLb1EESY_IbLb0EEEEDaSU_SV_EUlSU_E_NS1_11comp_targetILNS1_3genE0ELNS1_11target_archE4294967295ELNS1_3gpuE0ELNS1_3repE0EEENS1_30default_config_static_selectorELNS0_4arch9wavefront6targetE0EEEvT1_,comdat
	.protected	_ZN7rocprim17ROCPRIM_400000_NS6detail17trampoline_kernelINS0_14default_configENS1_27scan_by_key_config_selectorIiiEEZZNS1_16scan_by_key_implILNS1_25lookback_scan_determinismE0ELb0ES3_N6thrust23THRUST_200600_302600_NS6detail15normal_iteratorINS9_10device_ptrIiEEEESE_SE_iNS9_4plusIvEENS9_8equal_toIiEEiEE10hipError_tPvRmT2_T3_T4_T5_mT6_T7_P12ihipStream_tbENKUlT_T0_E_clISt17integral_constantIbLb1EESY_IbLb0EEEEDaSU_SV_EUlSU_E_NS1_11comp_targetILNS1_3genE0ELNS1_11target_archE4294967295ELNS1_3gpuE0ELNS1_3repE0EEENS1_30default_config_static_selectorELNS0_4arch9wavefront6targetE0EEEvT1_ ; -- Begin function _ZN7rocprim17ROCPRIM_400000_NS6detail17trampoline_kernelINS0_14default_configENS1_27scan_by_key_config_selectorIiiEEZZNS1_16scan_by_key_implILNS1_25lookback_scan_determinismE0ELb0ES3_N6thrust23THRUST_200600_302600_NS6detail15normal_iteratorINS9_10device_ptrIiEEEESE_SE_iNS9_4plusIvEENS9_8equal_toIiEEiEE10hipError_tPvRmT2_T3_T4_T5_mT6_T7_P12ihipStream_tbENKUlT_T0_E_clISt17integral_constantIbLb1EESY_IbLb0EEEEDaSU_SV_EUlSU_E_NS1_11comp_targetILNS1_3genE0ELNS1_11target_archE4294967295ELNS1_3gpuE0ELNS1_3repE0EEENS1_30default_config_static_selectorELNS0_4arch9wavefront6targetE0EEEvT1_
	.globl	_ZN7rocprim17ROCPRIM_400000_NS6detail17trampoline_kernelINS0_14default_configENS1_27scan_by_key_config_selectorIiiEEZZNS1_16scan_by_key_implILNS1_25lookback_scan_determinismE0ELb0ES3_N6thrust23THRUST_200600_302600_NS6detail15normal_iteratorINS9_10device_ptrIiEEEESE_SE_iNS9_4plusIvEENS9_8equal_toIiEEiEE10hipError_tPvRmT2_T3_T4_T5_mT6_T7_P12ihipStream_tbENKUlT_T0_E_clISt17integral_constantIbLb1EESY_IbLb0EEEEDaSU_SV_EUlSU_E_NS1_11comp_targetILNS1_3genE0ELNS1_11target_archE4294967295ELNS1_3gpuE0ELNS1_3repE0EEENS1_30default_config_static_selectorELNS0_4arch9wavefront6targetE0EEEvT1_
	.p2align	8
	.type	_ZN7rocprim17ROCPRIM_400000_NS6detail17trampoline_kernelINS0_14default_configENS1_27scan_by_key_config_selectorIiiEEZZNS1_16scan_by_key_implILNS1_25lookback_scan_determinismE0ELb0ES3_N6thrust23THRUST_200600_302600_NS6detail15normal_iteratorINS9_10device_ptrIiEEEESE_SE_iNS9_4plusIvEENS9_8equal_toIiEEiEE10hipError_tPvRmT2_T3_T4_T5_mT6_T7_P12ihipStream_tbENKUlT_T0_E_clISt17integral_constantIbLb1EESY_IbLb0EEEEDaSU_SV_EUlSU_E_NS1_11comp_targetILNS1_3genE0ELNS1_11target_archE4294967295ELNS1_3gpuE0ELNS1_3repE0EEENS1_30default_config_static_selectorELNS0_4arch9wavefront6targetE0EEEvT1_,@function
_ZN7rocprim17ROCPRIM_400000_NS6detail17trampoline_kernelINS0_14default_configENS1_27scan_by_key_config_selectorIiiEEZZNS1_16scan_by_key_implILNS1_25lookback_scan_determinismE0ELb0ES3_N6thrust23THRUST_200600_302600_NS6detail15normal_iteratorINS9_10device_ptrIiEEEESE_SE_iNS9_4plusIvEENS9_8equal_toIiEEiEE10hipError_tPvRmT2_T3_T4_T5_mT6_T7_P12ihipStream_tbENKUlT_T0_E_clISt17integral_constantIbLb1EESY_IbLb0EEEEDaSU_SV_EUlSU_E_NS1_11comp_targetILNS1_3genE0ELNS1_11target_archE4294967295ELNS1_3gpuE0ELNS1_3repE0EEENS1_30default_config_static_selectorELNS0_4arch9wavefront6targetE0EEEvT1_: ; @_ZN7rocprim17ROCPRIM_400000_NS6detail17trampoline_kernelINS0_14default_configENS1_27scan_by_key_config_selectorIiiEEZZNS1_16scan_by_key_implILNS1_25lookback_scan_determinismE0ELb0ES3_N6thrust23THRUST_200600_302600_NS6detail15normal_iteratorINS9_10device_ptrIiEEEESE_SE_iNS9_4plusIvEENS9_8equal_toIiEEiEE10hipError_tPvRmT2_T3_T4_T5_mT6_T7_P12ihipStream_tbENKUlT_T0_E_clISt17integral_constantIbLb1EESY_IbLb0EEEEDaSU_SV_EUlSU_E_NS1_11comp_targetILNS1_3genE0ELNS1_11target_archE4294967295ELNS1_3gpuE0ELNS1_3repE0EEENS1_30default_config_static_selectorELNS0_4arch9wavefront6targetE0EEEvT1_
; %bb.0:
	.section	.rodata,"a",@progbits
	.p2align	6, 0x0
	.amdhsa_kernel _ZN7rocprim17ROCPRIM_400000_NS6detail17trampoline_kernelINS0_14default_configENS1_27scan_by_key_config_selectorIiiEEZZNS1_16scan_by_key_implILNS1_25lookback_scan_determinismE0ELb0ES3_N6thrust23THRUST_200600_302600_NS6detail15normal_iteratorINS9_10device_ptrIiEEEESE_SE_iNS9_4plusIvEENS9_8equal_toIiEEiEE10hipError_tPvRmT2_T3_T4_T5_mT6_T7_P12ihipStream_tbENKUlT_T0_E_clISt17integral_constantIbLb1EESY_IbLb0EEEEDaSU_SV_EUlSU_E_NS1_11comp_targetILNS1_3genE0ELNS1_11target_archE4294967295ELNS1_3gpuE0ELNS1_3repE0EEENS1_30default_config_static_selectorELNS0_4arch9wavefront6targetE0EEEvT1_
		.amdhsa_group_segment_fixed_size 0
		.amdhsa_private_segment_fixed_size 0
		.amdhsa_kernarg_size 112
		.amdhsa_user_sgpr_count 6
		.amdhsa_user_sgpr_private_segment_buffer 1
		.amdhsa_user_sgpr_dispatch_ptr 0
		.amdhsa_user_sgpr_queue_ptr 0
		.amdhsa_user_sgpr_kernarg_segment_ptr 1
		.amdhsa_user_sgpr_dispatch_id 0
		.amdhsa_user_sgpr_flat_scratch_init 0
		.amdhsa_user_sgpr_private_segment_size 0
		.amdhsa_wavefront_size32 1
		.amdhsa_uses_dynamic_stack 0
		.amdhsa_system_sgpr_private_segment_wavefront_offset 0
		.amdhsa_system_sgpr_workgroup_id_x 1
		.amdhsa_system_sgpr_workgroup_id_y 0
		.amdhsa_system_sgpr_workgroup_id_z 0
		.amdhsa_system_sgpr_workgroup_info 0
		.amdhsa_system_vgpr_workitem_id 0
		.amdhsa_next_free_vgpr 1
		.amdhsa_next_free_sgpr 1
		.amdhsa_reserve_vcc 0
		.amdhsa_reserve_flat_scratch 0
		.amdhsa_float_round_mode_32 0
		.amdhsa_float_round_mode_16_64 0
		.amdhsa_float_denorm_mode_32 3
		.amdhsa_float_denorm_mode_16_64 3
		.amdhsa_dx10_clamp 1
		.amdhsa_ieee_mode 1
		.amdhsa_fp16_overflow 0
		.amdhsa_workgroup_processor_mode 1
		.amdhsa_memory_ordered 1
		.amdhsa_forward_progress 1
		.amdhsa_shared_vgpr_count 0
		.amdhsa_exception_fp_ieee_invalid_op 0
		.amdhsa_exception_fp_denorm_src 0
		.amdhsa_exception_fp_ieee_div_zero 0
		.amdhsa_exception_fp_ieee_overflow 0
		.amdhsa_exception_fp_ieee_underflow 0
		.amdhsa_exception_fp_ieee_inexact 0
		.amdhsa_exception_int_div_zero 0
	.end_amdhsa_kernel
	.section	.text._ZN7rocprim17ROCPRIM_400000_NS6detail17trampoline_kernelINS0_14default_configENS1_27scan_by_key_config_selectorIiiEEZZNS1_16scan_by_key_implILNS1_25lookback_scan_determinismE0ELb0ES3_N6thrust23THRUST_200600_302600_NS6detail15normal_iteratorINS9_10device_ptrIiEEEESE_SE_iNS9_4plusIvEENS9_8equal_toIiEEiEE10hipError_tPvRmT2_T3_T4_T5_mT6_T7_P12ihipStream_tbENKUlT_T0_E_clISt17integral_constantIbLb1EESY_IbLb0EEEEDaSU_SV_EUlSU_E_NS1_11comp_targetILNS1_3genE0ELNS1_11target_archE4294967295ELNS1_3gpuE0ELNS1_3repE0EEENS1_30default_config_static_selectorELNS0_4arch9wavefront6targetE0EEEvT1_,"axG",@progbits,_ZN7rocprim17ROCPRIM_400000_NS6detail17trampoline_kernelINS0_14default_configENS1_27scan_by_key_config_selectorIiiEEZZNS1_16scan_by_key_implILNS1_25lookback_scan_determinismE0ELb0ES3_N6thrust23THRUST_200600_302600_NS6detail15normal_iteratorINS9_10device_ptrIiEEEESE_SE_iNS9_4plusIvEENS9_8equal_toIiEEiEE10hipError_tPvRmT2_T3_T4_T5_mT6_T7_P12ihipStream_tbENKUlT_T0_E_clISt17integral_constantIbLb1EESY_IbLb0EEEEDaSU_SV_EUlSU_E_NS1_11comp_targetILNS1_3genE0ELNS1_11target_archE4294967295ELNS1_3gpuE0ELNS1_3repE0EEENS1_30default_config_static_selectorELNS0_4arch9wavefront6targetE0EEEvT1_,comdat
.Lfunc_end218:
	.size	_ZN7rocprim17ROCPRIM_400000_NS6detail17trampoline_kernelINS0_14default_configENS1_27scan_by_key_config_selectorIiiEEZZNS1_16scan_by_key_implILNS1_25lookback_scan_determinismE0ELb0ES3_N6thrust23THRUST_200600_302600_NS6detail15normal_iteratorINS9_10device_ptrIiEEEESE_SE_iNS9_4plusIvEENS9_8equal_toIiEEiEE10hipError_tPvRmT2_T3_T4_T5_mT6_T7_P12ihipStream_tbENKUlT_T0_E_clISt17integral_constantIbLb1EESY_IbLb0EEEEDaSU_SV_EUlSU_E_NS1_11comp_targetILNS1_3genE0ELNS1_11target_archE4294967295ELNS1_3gpuE0ELNS1_3repE0EEENS1_30default_config_static_selectorELNS0_4arch9wavefront6targetE0EEEvT1_, .Lfunc_end218-_ZN7rocprim17ROCPRIM_400000_NS6detail17trampoline_kernelINS0_14default_configENS1_27scan_by_key_config_selectorIiiEEZZNS1_16scan_by_key_implILNS1_25lookback_scan_determinismE0ELb0ES3_N6thrust23THRUST_200600_302600_NS6detail15normal_iteratorINS9_10device_ptrIiEEEESE_SE_iNS9_4plusIvEENS9_8equal_toIiEEiEE10hipError_tPvRmT2_T3_T4_T5_mT6_T7_P12ihipStream_tbENKUlT_T0_E_clISt17integral_constantIbLb1EESY_IbLb0EEEEDaSU_SV_EUlSU_E_NS1_11comp_targetILNS1_3genE0ELNS1_11target_archE4294967295ELNS1_3gpuE0ELNS1_3repE0EEENS1_30default_config_static_selectorELNS0_4arch9wavefront6targetE0EEEvT1_
                                        ; -- End function
	.set _ZN7rocprim17ROCPRIM_400000_NS6detail17trampoline_kernelINS0_14default_configENS1_27scan_by_key_config_selectorIiiEEZZNS1_16scan_by_key_implILNS1_25lookback_scan_determinismE0ELb0ES3_N6thrust23THRUST_200600_302600_NS6detail15normal_iteratorINS9_10device_ptrIiEEEESE_SE_iNS9_4plusIvEENS9_8equal_toIiEEiEE10hipError_tPvRmT2_T3_T4_T5_mT6_T7_P12ihipStream_tbENKUlT_T0_E_clISt17integral_constantIbLb1EESY_IbLb0EEEEDaSU_SV_EUlSU_E_NS1_11comp_targetILNS1_3genE0ELNS1_11target_archE4294967295ELNS1_3gpuE0ELNS1_3repE0EEENS1_30default_config_static_selectorELNS0_4arch9wavefront6targetE0EEEvT1_.num_vgpr, 0
	.set _ZN7rocprim17ROCPRIM_400000_NS6detail17trampoline_kernelINS0_14default_configENS1_27scan_by_key_config_selectorIiiEEZZNS1_16scan_by_key_implILNS1_25lookback_scan_determinismE0ELb0ES3_N6thrust23THRUST_200600_302600_NS6detail15normal_iteratorINS9_10device_ptrIiEEEESE_SE_iNS9_4plusIvEENS9_8equal_toIiEEiEE10hipError_tPvRmT2_T3_T4_T5_mT6_T7_P12ihipStream_tbENKUlT_T0_E_clISt17integral_constantIbLb1EESY_IbLb0EEEEDaSU_SV_EUlSU_E_NS1_11comp_targetILNS1_3genE0ELNS1_11target_archE4294967295ELNS1_3gpuE0ELNS1_3repE0EEENS1_30default_config_static_selectorELNS0_4arch9wavefront6targetE0EEEvT1_.num_agpr, 0
	.set _ZN7rocprim17ROCPRIM_400000_NS6detail17trampoline_kernelINS0_14default_configENS1_27scan_by_key_config_selectorIiiEEZZNS1_16scan_by_key_implILNS1_25lookback_scan_determinismE0ELb0ES3_N6thrust23THRUST_200600_302600_NS6detail15normal_iteratorINS9_10device_ptrIiEEEESE_SE_iNS9_4plusIvEENS9_8equal_toIiEEiEE10hipError_tPvRmT2_T3_T4_T5_mT6_T7_P12ihipStream_tbENKUlT_T0_E_clISt17integral_constantIbLb1EESY_IbLb0EEEEDaSU_SV_EUlSU_E_NS1_11comp_targetILNS1_3genE0ELNS1_11target_archE4294967295ELNS1_3gpuE0ELNS1_3repE0EEENS1_30default_config_static_selectorELNS0_4arch9wavefront6targetE0EEEvT1_.numbered_sgpr, 0
	.set _ZN7rocprim17ROCPRIM_400000_NS6detail17trampoline_kernelINS0_14default_configENS1_27scan_by_key_config_selectorIiiEEZZNS1_16scan_by_key_implILNS1_25lookback_scan_determinismE0ELb0ES3_N6thrust23THRUST_200600_302600_NS6detail15normal_iteratorINS9_10device_ptrIiEEEESE_SE_iNS9_4plusIvEENS9_8equal_toIiEEiEE10hipError_tPvRmT2_T3_T4_T5_mT6_T7_P12ihipStream_tbENKUlT_T0_E_clISt17integral_constantIbLb1EESY_IbLb0EEEEDaSU_SV_EUlSU_E_NS1_11comp_targetILNS1_3genE0ELNS1_11target_archE4294967295ELNS1_3gpuE0ELNS1_3repE0EEENS1_30default_config_static_selectorELNS0_4arch9wavefront6targetE0EEEvT1_.num_named_barrier, 0
	.set _ZN7rocprim17ROCPRIM_400000_NS6detail17trampoline_kernelINS0_14default_configENS1_27scan_by_key_config_selectorIiiEEZZNS1_16scan_by_key_implILNS1_25lookback_scan_determinismE0ELb0ES3_N6thrust23THRUST_200600_302600_NS6detail15normal_iteratorINS9_10device_ptrIiEEEESE_SE_iNS9_4plusIvEENS9_8equal_toIiEEiEE10hipError_tPvRmT2_T3_T4_T5_mT6_T7_P12ihipStream_tbENKUlT_T0_E_clISt17integral_constantIbLb1EESY_IbLb0EEEEDaSU_SV_EUlSU_E_NS1_11comp_targetILNS1_3genE0ELNS1_11target_archE4294967295ELNS1_3gpuE0ELNS1_3repE0EEENS1_30default_config_static_selectorELNS0_4arch9wavefront6targetE0EEEvT1_.private_seg_size, 0
	.set _ZN7rocprim17ROCPRIM_400000_NS6detail17trampoline_kernelINS0_14default_configENS1_27scan_by_key_config_selectorIiiEEZZNS1_16scan_by_key_implILNS1_25lookback_scan_determinismE0ELb0ES3_N6thrust23THRUST_200600_302600_NS6detail15normal_iteratorINS9_10device_ptrIiEEEESE_SE_iNS9_4plusIvEENS9_8equal_toIiEEiEE10hipError_tPvRmT2_T3_T4_T5_mT6_T7_P12ihipStream_tbENKUlT_T0_E_clISt17integral_constantIbLb1EESY_IbLb0EEEEDaSU_SV_EUlSU_E_NS1_11comp_targetILNS1_3genE0ELNS1_11target_archE4294967295ELNS1_3gpuE0ELNS1_3repE0EEENS1_30default_config_static_selectorELNS0_4arch9wavefront6targetE0EEEvT1_.uses_vcc, 0
	.set _ZN7rocprim17ROCPRIM_400000_NS6detail17trampoline_kernelINS0_14default_configENS1_27scan_by_key_config_selectorIiiEEZZNS1_16scan_by_key_implILNS1_25lookback_scan_determinismE0ELb0ES3_N6thrust23THRUST_200600_302600_NS6detail15normal_iteratorINS9_10device_ptrIiEEEESE_SE_iNS9_4plusIvEENS9_8equal_toIiEEiEE10hipError_tPvRmT2_T3_T4_T5_mT6_T7_P12ihipStream_tbENKUlT_T0_E_clISt17integral_constantIbLb1EESY_IbLb0EEEEDaSU_SV_EUlSU_E_NS1_11comp_targetILNS1_3genE0ELNS1_11target_archE4294967295ELNS1_3gpuE0ELNS1_3repE0EEENS1_30default_config_static_selectorELNS0_4arch9wavefront6targetE0EEEvT1_.uses_flat_scratch, 0
	.set _ZN7rocprim17ROCPRIM_400000_NS6detail17trampoline_kernelINS0_14default_configENS1_27scan_by_key_config_selectorIiiEEZZNS1_16scan_by_key_implILNS1_25lookback_scan_determinismE0ELb0ES3_N6thrust23THRUST_200600_302600_NS6detail15normal_iteratorINS9_10device_ptrIiEEEESE_SE_iNS9_4plusIvEENS9_8equal_toIiEEiEE10hipError_tPvRmT2_T3_T4_T5_mT6_T7_P12ihipStream_tbENKUlT_T0_E_clISt17integral_constantIbLb1EESY_IbLb0EEEEDaSU_SV_EUlSU_E_NS1_11comp_targetILNS1_3genE0ELNS1_11target_archE4294967295ELNS1_3gpuE0ELNS1_3repE0EEENS1_30default_config_static_selectorELNS0_4arch9wavefront6targetE0EEEvT1_.has_dyn_sized_stack, 0
	.set _ZN7rocprim17ROCPRIM_400000_NS6detail17trampoline_kernelINS0_14default_configENS1_27scan_by_key_config_selectorIiiEEZZNS1_16scan_by_key_implILNS1_25lookback_scan_determinismE0ELb0ES3_N6thrust23THRUST_200600_302600_NS6detail15normal_iteratorINS9_10device_ptrIiEEEESE_SE_iNS9_4plusIvEENS9_8equal_toIiEEiEE10hipError_tPvRmT2_T3_T4_T5_mT6_T7_P12ihipStream_tbENKUlT_T0_E_clISt17integral_constantIbLb1EESY_IbLb0EEEEDaSU_SV_EUlSU_E_NS1_11comp_targetILNS1_3genE0ELNS1_11target_archE4294967295ELNS1_3gpuE0ELNS1_3repE0EEENS1_30default_config_static_selectorELNS0_4arch9wavefront6targetE0EEEvT1_.has_recursion, 0
	.set _ZN7rocprim17ROCPRIM_400000_NS6detail17trampoline_kernelINS0_14default_configENS1_27scan_by_key_config_selectorIiiEEZZNS1_16scan_by_key_implILNS1_25lookback_scan_determinismE0ELb0ES3_N6thrust23THRUST_200600_302600_NS6detail15normal_iteratorINS9_10device_ptrIiEEEESE_SE_iNS9_4plusIvEENS9_8equal_toIiEEiEE10hipError_tPvRmT2_T3_T4_T5_mT6_T7_P12ihipStream_tbENKUlT_T0_E_clISt17integral_constantIbLb1EESY_IbLb0EEEEDaSU_SV_EUlSU_E_NS1_11comp_targetILNS1_3genE0ELNS1_11target_archE4294967295ELNS1_3gpuE0ELNS1_3repE0EEENS1_30default_config_static_selectorELNS0_4arch9wavefront6targetE0EEEvT1_.has_indirect_call, 0
	.section	.AMDGPU.csdata,"",@progbits
; Kernel info:
; codeLenInByte = 0
; TotalNumSgprs: 0
; NumVgprs: 0
; ScratchSize: 0
; MemoryBound: 0
; FloatMode: 240
; IeeeMode: 1
; LDSByteSize: 0 bytes/workgroup (compile time only)
; SGPRBlocks: 0
; VGPRBlocks: 0
; NumSGPRsForWavesPerEU: 1
; NumVGPRsForWavesPerEU: 1
; Occupancy: 16
; WaveLimiterHint : 0
; COMPUTE_PGM_RSRC2:SCRATCH_EN: 0
; COMPUTE_PGM_RSRC2:USER_SGPR: 6
; COMPUTE_PGM_RSRC2:TRAP_HANDLER: 0
; COMPUTE_PGM_RSRC2:TGID_X_EN: 1
; COMPUTE_PGM_RSRC2:TGID_Y_EN: 0
; COMPUTE_PGM_RSRC2:TGID_Z_EN: 0
; COMPUTE_PGM_RSRC2:TIDIG_COMP_CNT: 0
	.section	.text._ZN7rocprim17ROCPRIM_400000_NS6detail17trampoline_kernelINS0_14default_configENS1_27scan_by_key_config_selectorIiiEEZZNS1_16scan_by_key_implILNS1_25lookback_scan_determinismE0ELb0ES3_N6thrust23THRUST_200600_302600_NS6detail15normal_iteratorINS9_10device_ptrIiEEEESE_SE_iNS9_4plusIvEENS9_8equal_toIiEEiEE10hipError_tPvRmT2_T3_T4_T5_mT6_T7_P12ihipStream_tbENKUlT_T0_E_clISt17integral_constantIbLb1EESY_IbLb0EEEEDaSU_SV_EUlSU_E_NS1_11comp_targetILNS1_3genE10ELNS1_11target_archE1201ELNS1_3gpuE5ELNS1_3repE0EEENS1_30default_config_static_selectorELNS0_4arch9wavefront6targetE0EEEvT1_,"axG",@progbits,_ZN7rocprim17ROCPRIM_400000_NS6detail17trampoline_kernelINS0_14default_configENS1_27scan_by_key_config_selectorIiiEEZZNS1_16scan_by_key_implILNS1_25lookback_scan_determinismE0ELb0ES3_N6thrust23THRUST_200600_302600_NS6detail15normal_iteratorINS9_10device_ptrIiEEEESE_SE_iNS9_4plusIvEENS9_8equal_toIiEEiEE10hipError_tPvRmT2_T3_T4_T5_mT6_T7_P12ihipStream_tbENKUlT_T0_E_clISt17integral_constantIbLb1EESY_IbLb0EEEEDaSU_SV_EUlSU_E_NS1_11comp_targetILNS1_3genE10ELNS1_11target_archE1201ELNS1_3gpuE5ELNS1_3repE0EEENS1_30default_config_static_selectorELNS0_4arch9wavefront6targetE0EEEvT1_,comdat
	.protected	_ZN7rocprim17ROCPRIM_400000_NS6detail17trampoline_kernelINS0_14default_configENS1_27scan_by_key_config_selectorIiiEEZZNS1_16scan_by_key_implILNS1_25lookback_scan_determinismE0ELb0ES3_N6thrust23THRUST_200600_302600_NS6detail15normal_iteratorINS9_10device_ptrIiEEEESE_SE_iNS9_4plusIvEENS9_8equal_toIiEEiEE10hipError_tPvRmT2_T3_T4_T5_mT6_T7_P12ihipStream_tbENKUlT_T0_E_clISt17integral_constantIbLb1EESY_IbLb0EEEEDaSU_SV_EUlSU_E_NS1_11comp_targetILNS1_3genE10ELNS1_11target_archE1201ELNS1_3gpuE5ELNS1_3repE0EEENS1_30default_config_static_selectorELNS0_4arch9wavefront6targetE0EEEvT1_ ; -- Begin function _ZN7rocprim17ROCPRIM_400000_NS6detail17trampoline_kernelINS0_14default_configENS1_27scan_by_key_config_selectorIiiEEZZNS1_16scan_by_key_implILNS1_25lookback_scan_determinismE0ELb0ES3_N6thrust23THRUST_200600_302600_NS6detail15normal_iteratorINS9_10device_ptrIiEEEESE_SE_iNS9_4plusIvEENS9_8equal_toIiEEiEE10hipError_tPvRmT2_T3_T4_T5_mT6_T7_P12ihipStream_tbENKUlT_T0_E_clISt17integral_constantIbLb1EESY_IbLb0EEEEDaSU_SV_EUlSU_E_NS1_11comp_targetILNS1_3genE10ELNS1_11target_archE1201ELNS1_3gpuE5ELNS1_3repE0EEENS1_30default_config_static_selectorELNS0_4arch9wavefront6targetE0EEEvT1_
	.globl	_ZN7rocprim17ROCPRIM_400000_NS6detail17trampoline_kernelINS0_14default_configENS1_27scan_by_key_config_selectorIiiEEZZNS1_16scan_by_key_implILNS1_25lookback_scan_determinismE0ELb0ES3_N6thrust23THRUST_200600_302600_NS6detail15normal_iteratorINS9_10device_ptrIiEEEESE_SE_iNS9_4plusIvEENS9_8equal_toIiEEiEE10hipError_tPvRmT2_T3_T4_T5_mT6_T7_P12ihipStream_tbENKUlT_T0_E_clISt17integral_constantIbLb1EESY_IbLb0EEEEDaSU_SV_EUlSU_E_NS1_11comp_targetILNS1_3genE10ELNS1_11target_archE1201ELNS1_3gpuE5ELNS1_3repE0EEENS1_30default_config_static_selectorELNS0_4arch9wavefront6targetE0EEEvT1_
	.p2align	8
	.type	_ZN7rocprim17ROCPRIM_400000_NS6detail17trampoline_kernelINS0_14default_configENS1_27scan_by_key_config_selectorIiiEEZZNS1_16scan_by_key_implILNS1_25lookback_scan_determinismE0ELb0ES3_N6thrust23THRUST_200600_302600_NS6detail15normal_iteratorINS9_10device_ptrIiEEEESE_SE_iNS9_4plusIvEENS9_8equal_toIiEEiEE10hipError_tPvRmT2_T3_T4_T5_mT6_T7_P12ihipStream_tbENKUlT_T0_E_clISt17integral_constantIbLb1EESY_IbLb0EEEEDaSU_SV_EUlSU_E_NS1_11comp_targetILNS1_3genE10ELNS1_11target_archE1201ELNS1_3gpuE5ELNS1_3repE0EEENS1_30default_config_static_selectorELNS0_4arch9wavefront6targetE0EEEvT1_,@function
_ZN7rocprim17ROCPRIM_400000_NS6detail17trampoline_kernelINS0_14default_configENS1_27scan_by_key_config_selectorIiiEEZZNS1_16scan_by_key_implILNS1_25lookback_scan_determinismE0ELb0ES3_N6thrust23THRUST_200600_302600_NS6detail15normal_iteratorINS9_10device_ptrIiEEEESE_SE_iNS9_4plusIvEENS9_8equal_toIiEEiEE10hipError_tPvRmT2_T3_T4_T5_mT6_T7_P12ihipStream_tbENKUlT_T0_E_clISt17integral_constantIbLb1EESY_IbLb0EEEEDaSU_SV_EUlSU_E_NS1_11comp_targetILNS1_3genE10ELNS1_11target_archE1201ELNS1_3gpuE5ELNS1_3repE0EEENS1_30default_config_static_selectorELNS0_4arch9wavefront6targetE0EEEvT1_: ; @_ZN7rocprim17ROCPRIM_400000_NS6detail17trampoline_kernelINS0_14default_configENS1_27scan_by_key_config_selectorIiiEEZZNS1_16scan_by_key_implILNS1_25lookback_scan_determinismE0ELb0ES3_N6thrust23THRUST_200600_302600_NS6detail15normal_iteratorINS9_10device_ptrIiEEEESE_SE_iNS9_4plusIvEENS9_8equal_toIiEEiEE10hipError_tPvRmT2_T3_T4_T5_mT6_T7_P12ihipStream_tbENKUlT_T0_E_clISt17integral_constantIbLb1EESY_IbLb0EEEEDaSU_SV_EUlSU_E_NS1_11comp_targetILNS1_3genE10ELNS1_11target_archE1201ELNS1_3gpuE5ELNS1_3repE0EEENS1_30default_config_static_selectorELNS0_4arch9wavefront6targetE0EEEvT1_
; %bb.0:
	.section	.rodata,"a",@progbits
	.p2align	6, 0x0
	.amdhsa_kernel _ZN7rocprim17ROCPRIM_400000_NS6detail17trampoline_kernelINS0_14default_configENS1_27scan_by_key_config_selectorIiiEEZZNS1_16scan_by_key_implILNS1_25lookback_scan_determinismE0ELb0ES3_N6thrust23THRUST_200600_302600_NS6detail15normal_iteratorINS9_10device_ptrIiEEEESE_SE_iNS9_4plusIvEENS9_8equal_toIiEEiEE10hipError_tPvRmT2_T3_T4_T5_mT6_T7_P12ihipStream_tbENKUlT_T0_E_clISt17integral_constantIbLb1EESY_IbLb0EEEEDaSU_SV_EUlSU_E_NS1_11comp_targetILNS1_3genE10ELNS1_11target_archE1201ELNS1_3gpuE5ELNS1_3repE0EEENS1_30default_config_static_selectorELNS0_4arch9wavefront6targetE0EEEvT1_
		.amdhsa_group_segment_fixed_size 0
		.amdhsa_private_segment_fixed_size 0
		.amdhsa_kernarg_size 112
		.amdhsa_user_sgpr_count 6
		.amdhsa_user_sgpr_private_segment_buffer 1
		.amdhsa_user_sgpr_dispatch_ptr 0
		.amdhsa_user_sgpr_queue_ptr 0
		.amdhsa_user_sgpr_kernarg_segment_ptr 1
		.amdhsa_user_sgpr_dispatch_id 0
		.amdhsa_user_sgpr_flat_scratch_init 0
		.amdhsa_user_sgpr_private_segment_size 0
		.amdhsa_wavefront_size32 1
		.amdhsa_uses_dynamic_stack 0
		.amdhsa_system_sgpr_private_segment_wavefront_offset 0
		.amdhsa_system_sgpr_workgroup_id_x 1
		.amdhsa_system_sgpr_workgroup_id_y 0
		.amdhsa_system_sgpr_workgroup_id_z 0
		.amdhsa_system_sgpr_workgroup_info 0
		.amdhsa_system_vgpr_workitem_id 0
		.amdhsa_next_free_vgpr 1
		.amdhsa_next_free_sgpr 1
		.amdhsa_reserve_vcc 0
		.amdhsa_reserve_flat_scratch 0
		.amdhsa_float_round_mode_32 0
		.amdhsa_float_round_mode_16_64 0
		.amdhsa_float_denorm_mode_32 3
		.amdhsa_float_denorm_mode_16_64 3
		.amdhsa_dx10_clamp 1
		.amdhsa_ieee_mode 1
		.amdhsa_fp16_overflow 0
		.amdhsa_workgroup_processor_mode 1
		.amdhsa_memory_ordered 1
		.amdhsa_forward_progress 1
		.amdhsa_shared_vgpr_count 0
		.amdhsa_exception_fp_ieee_invalid_op 0
		.amdhsa_exception_fp_denorm_src 0
		.amdhsa_exception_fp_ieee_div_zero 0
		.amdhsa_exception_fp_ieee_overflow 0
		.amdhsa_exception_fp_ieee_underflow 0
		.amdhsa_exception_fp_ieee_inexact 0
		.amdhsa_exception_int_div_zero 0
	.end_amdhsa_kernel
	.section	.text._ZN7rocprim17ROCPRIM_400000_NS6detail17trampoline_kernelINS0_14default_configENS1_27scan_by_key_config_selectorIiiEEZZNS1_16scan_by_key_implILNS1_25lookback_scan_determinismE0ELb0ES3_N6thrust23THRUST_200600_302600_NS6detail15normal_iteratorINS9_10device_ptrIiEEEESE_SE_iNS9_4plusIvEENS9_8equal_toIiEEiEE10hipError_tPvRmT2_T3_T4_T5_mT6_T7_P12ihipStream_tbENKUlT_T0_E_clISt17integral_constantIbLb1EESY_IbLb0EEEEDaSU_SV_EUlSU_E_NS1_11comp_targetILNS1_3genE10ELNS1_11target_archE1201ELNS1_3gpuE5ELNS1_3repE0EEENS1_30default_config_static_selectorELNS0_4arch9wavefront6targetE0EEEvT1_,"axG",@progbits,_ZN7rocprim17ROCPRIM_400000_NS6detail17trampoline_kernelINS0_14default_configENS1_27scan_by_key_config_selectorIiiEEZZNS1_16scan_by_key_implILNS1_25lookback_scan_determinismE0ELb0ES3_N6thrust23THRUST_200600_302600_NS6detail15normal_iteratorINS9_10device_ptrIiEEEESE_SE_iNS9_4plusIvEENS9_8equal_toIiEEiEE10hipError_tPvRmT2_T3_T4_T5_mT6_T7_P12ihipStream_tbENKUlT_T0_E_clISt17integral_constantIbLb1EESY_IbLb0EEEEDaSU_SV_EUlSU_E_NS1_11comp_targetILNS1_3genE10ELNS1_11target_archE1201ELNS1_3gpuE5ELNS1_3repE0EEENS1_30default_config_static_selectorELNS0_4arch9wavefront6targetE0EEEvT1_,comdat
.Lfunc_end219:
	.size	_ZN7rocprim17ROCPRIM_400000_NS6detail17trampoline_kernelINS0_14default_configENS1_27scan_by_key_config_selectorIiiEEZZNS1_16scan_by_key_implILNS1_25lookback_scan_determinismE0ELb0ES3_N6thrust23THRUST_200600_302600_NS6detail15normal_iteratorINS9_10device_ptrIiEEEESE_SE_iNS9_4plusIvEENS9_8equal_toIiEEiEE10hipError_tPvRmT2_T3_T4_T5_mT6_T7_P12ihipStream_tbENKUlT_T0_E_clISt17integral_constantIbLb1EESY_IbLb0EEEEDaSU_SV_EUlSU_E_NS1_11comp_targetILNS1_3genE10ELNS1_11target_archE1201ELNS1_3gpuE5ELNS1_3repE0EEENS1_30default_config_static_selectorELNS0_4arch9wavefront6targetE0EEEvT1_, .Lfunc_end219-_ZN7rocprim17ROCPRIM_400000_NS6detail17trampoline_kernelINS0_14default_configENS1_27scan_by_key_config_selectorIiiEEZZNS1_16scan_by_key_implILNS1_25lookback_scan_determinismE0ELb0ES3_N6thrust23THRUST_200600_302600_NS6detail15normal_iteratorINS9_10device_ptrIiEEEESE_SE_iNS9_4plusIvEENS9_8equal_toIiEEiEE10hipError_tPvRmT2_T3_T4_T5_mT6_T7_P12ihipStream_tbENKUlT_T0_E_clISt17integral_constantIbLb1EESY_IbLb0EEEEDaSU_SV_EUlSU_E_NS1_11comp_targetILNS1_3genE10ELNS1_11target_archE1201ELNS1_3gpuE5ELNS1_3repE0EEENS1_30default_config_static_selectorELNS0_4arch9wavefront6targetE0EEEvT1_
                                        ; -- End function
	.set _ZN7rocprim17ROCPRIM_400000_NS6detail17trampoline_kernelINS0_14default_configENS1_27scan_by_key_config_selectorIiiEEZZNS1_16scan_by_key_implILNS1_25lookback_scan_determinismE0ELb0ES3_N6thrust23THRUST_200600_302600_NS6detail15normal_iteratorINS9_10device_ptrIiEEEESE_SE_iNS9_4plusIvEENS9_8equal_toIiEEiEE10hipError_tPvRmT2_T3_T4_T5_mT6_T7_P12ihipStream_tbENKUlT_T0_E_clISt17integral_constantIbLb1EESY_IbLb0EEEEDaSU_SV_EUlSU_E_NS1_11comp_targetILNS1_3genE10ELNS1_11target_archE1201ELNS1_3gpuE5ELNS1_3repE0EEENS1_30default_config_static_selectorELNS0_4arch9wavefront6targetE0EEEvT1_.num_vgpr, 0
	.set _ZN7rocprim17ROCPRIM_400000_NS6detail17trampoline_kernelINS0_14default_configENS1_27scan_by_key_config_selectorIiiEEZZNS1_16scan_by_key_implILNS1_25lookback_scan_determinismE0ELb0ES3_N6thrust23THRUST_200600_302600_NS6detail15normal_iteratorINS9_10device_ptrIiEEEESE_SE_iNS9_4plusIvEENS9_8equal_toIiEEiEE10hipError_tPvRmT2_T3_T4_T5_mT6_T7_P12ihipStream_tbENKUlT_T0_E_clISt17integral_constantIbLb1EESY_IbLb0EEEEDaSU_SV_EUlSU_E_NS1_11comp_targetILNS1_3genE10ELNS1_11target_archE1201ELNS1_3gpuE5ELNS1_3repE0EEENS1_30default_config_static_selectorELNS0_4arch9wavefront6targetE0EEEvT1_.num_agpr, 0
	.set _ZN7rocprim17ROCPRIM_400000_NS6detail17trampoline_kernelINS0_14default_configENS1_27scan_by_key_config_selectorIiiEEZZNS1_16scan_by_key_implILNS1_25lookback_scan_determinismE0ELb0ES3_N6thrust23THRUST_200600_302600_NS6detail15normal_iteratorINS9_10device_ptrIiEEEESE_SE_iNS9_4plusIvEENS9_8equal_toIiEEiEE10hipError_tPvRmT2_T3_T4_T5_mT6_T7_P12ihipStream_tbENKUlT_T0_E_clISt17integral_constantIbLb1EESY_IbLb0EEEEDaSU_SV_EUlSU_E_NS1_11comp_targetILNS1_3genE10ELNS1_11target_archE1201ELNS1_3gpuE5ELNS1_3repE0EEENS1_30default_config_static_selectorELNS0_4arch9wavefront6targetE0EEEvT1_.numbered_sgpr, 0
	.set _ZN7rocprim17ROCPRIM_400000_NS6detail17trampoline_kernelINS0_14default_configENS1_27scan_by_key_config_selectorIiiEEZZNS1_16scan_by_key_implILNS1_25lookback_scan_determinismE0ELb0ES3_N6thrust23THRUST_200600_302600_NS6detail15normal_iteratorINS9_10device_ptrIiEEEESE_SE_iNS9_4plusIvEENS9_8equal_toIiEEiEE10hipError_tPvRmT2_T3_T4_T5_mT6_T7_P12ihipStream_tbENKUlT_T0_E_clISt17integral_constantIbLb1EESY_IbLb0EEEEDaSU_SV_EUlSU_E_NS1_11comp_targetILNS1_3genE10ELNS1_11target_archE1201ELNS1_3gpuE5ELNS1_3repE0EEENS1_30default_config_static_selectorELNS0_4arch9wavefront6targetE0EEEvT1_.num_named_barrier, 0
	.set _ZN7rocprim17ROCPRIM_400000_NS6detail17trampoline_kernelINS0_14default_configENS1_27scan_by_key_config_selectorIiiEEZZNS1_16scan_by_key_implILNS1_25lookback_scan_determinismE0ELb0ES3_N6thrust23THRUST_200600_302600_NS6detail15normal_iteratorINS9_10device_ptrIiEEEESE_SE_iNS9_4plusIvEENS9_8equal_toIiEEiEE10hipError_tPvRmT2_T3_T4_T5_mT6_T7_P12ihipStream_tbENKUlT_T0_E_clISt17integral_constantIbLb1EESY_IbLb0EEEEDaSU_SV_EUlSU_E_NS1_11comp_targetILNS1_3genE10ELNS1_11target_archE1201ELNS1_3gpuE5ELNS1_3repE0EEENS1_30default_config_static_selectorELNS0_4arch9wavefront6targetE0EEEvT1_.private_seg_size, 0
	.set _ZN7rocprim17ROCPRIM_400000_NS6detail17trampoline_kernelINS0_14default_configENS1_27scan_by_key_config_selectorIiiEEZZNS1_16scan_by_key_implILNS1_25lookback_scan_determinismE0ELb0ES3_N6thrust23THRUST_200600_302600_NS6detail15normal_iteratorINS9_10device_ptrIiEEEESE_SE_iNS9_4plusIvEENS9_8equal_toIiEEiEE10hipError_tPvRmT2_T3_T4_T5_mT6_T7_P12ihipStream_tbENKUlT_T0_E_clISt17integral_constantIbLb1EESY_IbLb0EEEEDaSU_SV_EUlSU_E_NS1_11comp_targetILNS1_3genE10ELNS1_11target_archE1201ELNS1_3gpuE5ELNS1_3repE0EEENS1_30default_config_static_selectorELNS0_4arch9wavefront6targetE0EEEvT1_.uses_vcc, 0
	.set _ZN7rocprim17ROCPRIM_400000_NS6detail17trampoline_kernelINS0_14default_configENS1_27scan_by_key_config_selectorIiiEEZZNS1_16scan_by_key_implILNS1_25lookback_scan_determinismE0ELb0ES3_N6thrust23THRUST_200600_302600_NS6detail15normal_iteratorINS9_10device_ptrIiEEEESE_SE_iNS9_4plusIvEENS9_8equal_toIiEEiEE10hipError_tPvRmT2_T3_T4_T5_mT6_T7_P12ihipStream_tbENKUlT_T0_E_clISt17integral_constantIbLb1EESY_IbLb0EEEEDaSU_SV_EUlSU_E_NS1_11comp_targetILNS1_3genE10ELNS1_11target_archE1201ELNS1_3gpuE5ELNS1_3repE0EEENS1_30default_config_static_selectorELNS0_4arch9wavefront6targetE0EEEvT1_.uses_flat_scratch, 0
	.set _ZN7rocprim17ROCPRIM_400000_NS6detail17trampoline_kernelINS0_14default_configENS1_27scan_by_key_config_selectorIiiEEZZNS1_16scan_by_key_implILNS1_25lookback_scan_determinismE0ELb0ES3_N6thrust23THRUST_200600_302600_NS6detail15normal_iteratorINS9_10device_ptrIiEEEESE_SE_iNS9_4plusIvEENS9_8equal_toIiEEiEE10hipError_tPvRmT2_T3_T4_T5_mT6_T7_P12ihipStream_tbENKUlT_T0_E_clISt17integral_constantIbLb1EESY_IbLb0EEEEDaSU_SV_EUlSU_E_NS1_11comp_targetILNS1_3genE10ELNS1_11target_archE1201ELNS1_3gpuE5ELNS1_3repE0EEENS1_30default_config_static_selectorELNS0_4arch9wavefront6targetE0EEEvT1_.has_dyn_sized_stack, 0
	.set _ZN7rocprim17ROCPRIM_400000_NS6detail17trampoline_kernelINS0_14default_configENS1_27scan_by_key_config_selectorIiiEEZZNS1_16scan_by_key_implILNS1_25lookback_scan_determinismE0ELb0ES3_N6thrust23THRUST_200600_302600_NS6detail15normal_iteratorINS9_10device_ptrIiEEEESE_SE_iNS9_4plusIvEENS9_8equal_toIiEEiEE10hipError_tPvRmT2_T3_T4_T5_mT6_T7_P12ihipStream_tbENKUlT_T0_E_clISt17integral_constantIbLb1EESY_IbLb0EEEEDaSU_SV_EUlSU_E_NS1_11comp_targetILNS1_3genE10ELNS1_11target_archE1201ELNS1_3gpuE5ELNS1_3repE0EEENS1_30default_config_static_selectorELNS0_4arch9wavefront6targetE0EEEvT1_.has_recursion, 0
	.set _ZN7rocprim17ROCPRIM_400000_NS6detail17trampoline_kernelINS0_14default_configENS1_27scan_by_key_config_selectorIiiEEZZNS1_16scan_by_key_implILNS1_25lookback_scan_determinismE0ELb0ES3_N6thrust23THRUST_200600_302600_NS6detail15normal_iteratorINS9_10device_ptrIiEEEESE_SE_iNS9_4plusIvEENS9_8equal_toIiEEiEE10hipError_tPvRmT2_T3_T4_T5_mT6_T7_P12ihipStream_tbENKUlT_T0_E_clISt17integral_constantIbLb1EESY_IbLb0EEEEDaSU_SV_EUlSU_E_NS1_11comp_targetILNS1_3genE10ELNS1_11target_archE1201ELNS1_3gpuE5ELNS1_3repE0EEENS1_30default_config_static_selectorELNS0_4arch9wavefront6targetE0EEEvT1_.has_indirect_call, 0
	.section	.AMDGPU.csdata,"",@progbits
; Kernel info:
; codeLenInByte = 0
; TotalNumSgprs: 0
; NumVgprs: 0
; ScratchSize: 0
; MemoryBound: 0
; FloatMode: 240
; IeeeMode: 1
; LDSByteSize: 0 bytes/workgroup (compile time only)
; SGPRBlocks: 0
; VGPRBlocks: 0
; NumSGPRsForWavesPerEU: 1
; NumVGPRsForWavesPerEU: 1
; Occupancy: 16
; WaveLimiterHint : 0
; COMPUTE_PGM_RSRC2:SCRATCH_EN: 0
; COMPUTE_PGM_RSRC2:USER_SGPR: 6
; COMPUTE_PGM_RSRC2:TRAP_HANDLER: 0
; COMPUTE_PGM_RSRC2:TGID_X_EN: 1
; COMPUTE_PGM_RSRC2:TGID_Y_EN: 0
; COMPUTE_PGM_RSRC2:TGID_Z_EN: 0
; COMPUTE_PGM_RSRC2:TIDIG_COMP_CNT: 0
	.section	.text._ZN7rocprim17ROCPRIM_400000_NS6detail17trampoline_kernelINS0_14default_configENS1_27scan_by_key_config_selectorIiiEEZZNS1_16scan_by_key_implILNS1_25lookback_scan_determinismE0ELb0ES3_N6thrust23THRUST_200600_302600_NS6detail15normal_iteratorINS9_10device_ptrIiEEEESE_SE_iNS9_4plusIvEENS9_8equal_toIiEEiEE10hipError_tPvRmT2_T3_T4_T5_mT6_T7_P12ihipStream_tbENKUlT_T0_E_clISt17integral_constantIbLb1EESY_IbLb0EEEEDaSU_SV_EUlSU_E_NS1_11comp_targetILNS1_3genE5ELNS1_11target_archE942ELNS1_3gpuE9ELNS1_3repE0EEENS1_30default_config_static_selectorELNS0_4arch9wavefront6targetE0EEEvT1_,"axG",@progbits,_ZN7rocprim17ROCPRIM_400000_NS6detail17trampoline_kernelINS0_14default_configENS1_27scan_by_key_config_selectorIiiEEZZNS1_16scan_by_key_implILNS1_25lookback_scan_determinismE0ELb0ES3_N6thrust23THRUST_200600_302600_NS6detail15normal_iteratorINS9_10device_ptrIiEEEESE_SE_iNS9_4plusIvEENS9_8equal_toIiEEiEE10hipError_tPvRmT2_T3_T4_T5_mT6_T7_P12ihipStream_tbENKUlT_T0_E_clISt17integral_constantIbLb1EESY_IbLb0EEEEDaSU_SV_EUlSU_E_NS1_11comp_targetILNS1_3genE5ELNS1_11target_archE942ELNS1_3gpuE9ELNS1_3repE0EEENS1_30default_config_static_selectorELNS0_4arch9wavefront6targetE0EEEvT1_,comdat
	.protected	_ZN7rocprim17ROCPRIM_400000_NS6detail17trampoline_kernelINS0_14default_configENS1_27scan_by_key_config_selectorIiiEEZZNS1_16scan_by_key_implILNS1_25lookback_scan_determinismE0ELb0ES3_N6thrust23THRUST_200600_302600_NS6detail15normal_iteratorINS9_10device_ptrIiEEEESE_SE_iNS9_4plusIvEENS9_8equal_toIiEEiEE10hipError_tPvRmT2_T3_T4_T5_mT6_T7_P12ihipStream_tbENKUlT_T0_E_clISt17integral_constantIbLb1EESY_IbLb0EEEEDaSU_SV_EUlSU_E_NS1_11comp_targetILNS1_3genE5ELNS1_11target_archE942ELNS1_3gpuE9ELNS1_3repE0EEENS1_30default_config_static_selectorELNS0_4arch9wavefront6targetE0EEEvT1_ ; -- Begin function _ZN7rocprim17ROCPRIM_400000_NS6detail17trampoline_kernelINS0_14default_configENS1_27scan_by_key_config_selectorIiiEEZZNS1_16scan_by_key_implILNS1_25lookback_scan_determinismE0ELb0ES3_N6thrust23THRUST_200600_302600_NS6detail15normal_iteratorINS9_10device_ptrIiEEEESE_SE_iNS9_4plusIvEENS9_8equal_toIiEEiEE10hipError_tPvRmT2_T3_T4_T5_mT6_T7_P12ihipStream_tbENKUlT_T0_E_clISt17integral_constantIbLb1EESY_IbLb0EEEEDaSU_SV_EUlSU_E_NS1_11comp_targetILNS1_3genE5ELNS1_11target_archE942ELNS1_3gpuE9ELNS1_3repE0EEENS1_30default_config_static_selectorELNS0_4arch9wavefront6targetE0EEEvT1_
	.globl	_ZN7rocprim17ROCPRIM_400000_NS6detail17trampoline_kernelINS0_14default_configENS1_27scan_by_key_config_selectorIiiEEZZNS1_16scan_by_key_implILNS1_25lookback_scan_determinismE0ELb0ES3_N6thrust23THRUST_200600_302600_NS6detail15normal_iteratorINS9_10device_ptrIiEEEESE_SE_iNS9_4plusIvEENS9_8equal_toIiEEiEE10hipError_tPvRmT2_T3_T4_T5_mT6_T7_P12ihipStream_tbENKUlT_T0_E_clISt17integral_constantIbLb1EESY_IbLb0EEEEDaSU_SV_EUlSU_E_NS1_11comp_targetILNS1_3genE5ELNS1_11target_archE942ELNS1_3gpuE9ELNS1_3repE0EEENS1_30default_config_static_selectorELNS0_4arch9wavefront6targetE0EEEvT1_
	.p2align	8
	.type	_ZN7rocprim17ROCPRIM_400000_NS6detail17trampoline_kernelINS0_14default_configENS1_27scan_by_key_config_selectorIiiEEZZNS1_16scan_by_key_implILNS1_25lookback_scan_determinismE0ELb0ES3_N6thrust23THRUST_200600_302600_NS6detail15normal_iteratorINS9_10device_ptrIiEEEESE_SE_iNS9_4plusIvEENS9_8equal_toIiEEiEE10hipError_tPvRmT2_T3_T4_T5_mT6_T7_P12ihipStream_tbENKUlT_T0_E_clISt17integral_constantIbLb1EESY_IbLb0EEEEDaSU_SV_EUlSU_E_NS1_11comp_targetILNS1_3genE5ELNS1_11target_archE942ELNS1_3gpuE9ELNS1_3repE0EEENS1_30default_config_static_selectorELNS0_4arch9wavefront6targetE0EEEvT1_,@function
_ZN7rocprim17ROCPRIM_400000_NS6detail17trampoline_kernelINS0_14default_configENS1_27scan_by_key_config_selectorIiiEEZZNS1_16scan_by_key_implILNS1_25lookback_scan_determinismE0ELb0ES3_N6thrust23THRUST_200600_302600_NS6detail15normal_iteratorINS9_10device_ptrIiEEEESE_SE_iNS9_4plusIvEENS9_8equal_toIiEEiEE10hipError_tPvRmT2_T3_T4_T5_mT6_T7_P12ihipStream_tbENKUlT_T0_E_clISt17integral_constantIbLb1EESY_IbLb0EEEEDaSU_SV_EUlSU_E_NS1_11comp_targetILNS1_3genE5ELNS1_11target_archE942ELNS1_3gpuE9ELNS1_3repE0EEENS1_30default_config_static_selectorELNS0_4arch9wavefront6targetE0EEEvT1_: ; @_ZN7rocprim17ROCPRIM_400000_NS6detail17trampoline_kernelINS0_14default_configENS1_27scan_by_key_config_selectorIiiEEZZNS1_16scan_by_key_implILNS1_25lookback_scan_determinismE0ELb0ES3_N6thrust23THRUST_200600_302600_NS6detail15normal_iteratorINS9_10device_ptrIiEEEESE_SE_iNS9_4plusIvEENS9_8equal_toIiEEiEE10hipError_tPvRmT2_T3_T4_T5_mT6_T7_P12ihipStream_tbENKUlT_T0_E_clISt17integral_constantIbLb1EESY_IbLb0EEEEDaSU_SV_EUlSU_E_NS1_11comp_targetILNS1_3genE5ELNS1_11target_archE942ELNS1_3gpuE9ELNS1_3repE0EEENS1_30default_config_static_selectorELNS0_4arch9wavefront6targetE0EEEvT1_
; %bb.0:
	.section	.rodata,"a",@progbits
	.p2align	6, 0x0
	.amdhsa_kernel _ZN7rocprim17ROCPRIM_400000_NS6detail17trampoline_kernelINS0_14default_configENS1_27scan_by_key_config_selectorIiiEEZZNS1_16scan_by_key_implILNS1_25lookback_scan_determinismE0ELb0ES3_N6thrust23THRUST_200600_302600_NS6detail15normal_iteratorINS9_10device_ptrIiEEEESE_SE_iNS9_4plusIvEENS9_8equal_toIiEEiEE10hipError_tPvRmT2_T3_T4_T5_mT6_T7_P12ihipStream_tbENKUlT_T0_E_clISt17integral_constantIbLb1EESY_IbLb0EEEEDaSU_SV_EUlSU_E_NS1_11comp_targetILNS1_3genE5ELNS1_11target_archE942ELNS1_3gpuE9ELNS1_3repE0EEENS1_30default_config_static_selectorELNS0_4arch9wavefront6targetE0EEEvT1_
		.amdhsa_group_segment_fixed_size 0
		.amdhsa_private_segment_fixed_size 0
		.amdhsa_kernarg_size 112
		.amdhsa_user_sgpr_count 6
		.amdhsa_user_sgpr_private_segment_buffer 1
		.amdhsa_user_sgpr_dispatch_ptr 0
		.amdhsa_user_sgpr_queue_ptr 0
		.amdhsa_user_sgpr_kernarg_segment_ptr 1
		.amdhsa_user_sgpr_dispatch_id 0
		.amdhsa_user_sgpr_flat_scratch_init 0
		.amdhsa_user_sgpr_private_segment_size 0
		.amdhsa_wavefront_size32 1
		.amdhsa_uses_dynamic_stack 0
		.amdhsa_system_sgpr_private_segment_wavefront_offset 0
		.amdhsa_system_sgpr_workgroup_id_x 1
		.amdhsa_system_sgpr_workgroup_id_y 0
		.amdhsa_system_sgpr_workgroup_id_z 0
		.amdhsa_system_sgpr_workgroup_info 0
		.amdhsa_system_vgpr_workitem_id 0
		.amdhsa_next_free_vgpr 1
		.amdhsa_next_free_sgpr 1
		.amdhsa_reserve_vcc 0
		.amdhsa_reserve_flat_scratch 0
		.amdhsa_float_round_mode_32 0
		.amdhsa_float_round_mode_16_64 0
		.amdhsa_float_denorm_mode_32 3
		.amdhsa_float_denorm_mode_16_64 3
		.amdhsa_dx10_clamp 1
		.amdhsa_ieee_mode 1
		.amdhsa_fp16_overflow 0
		.amdhsa_workgroup_processor_mode 1
		.amdhsa_memory_ordered 1
		.amdhsa_forward_progress 1
		.amdhsa_shared_vgpr_count 0
		.amdhsa_exception_fp_ieee_invalid_op 0
		.amdhsa_exception_fp_denorm_src 0
		.amdhsa_exception_fp_ieee_div_zero 0
		.amdhsa_exception_fp_ieee_overflow 0
		.amdhsa_exception_fp_ieee_underflow 0
		.amdhsa_exception_fp_ieee_inexact 0
		.amdhsa_exception_int_div_zero 0
	.end_amdhsa_kernel
	.section	.text._ZN7rocprim17ROCPRIM_400000_NS6detail17trampoline_kernelINS0_14default_configENS1_27scan_by_key_config_selectorIiiEEZZNS1_16scan_by_key_implILNS1_25lookback_scan_determinismE0ELb0ES3_N6thrust23THRUST_200600_302600_NS6detail15normal_iteratorINS9_10device_ptrIiEEEESE_SE_iNS9_4plusIvEENS9_8equal_toIiEEiEE10hipError_tPvRmT2_T3_T4_T5_mT6_T7_P12ihipStream_tbENKUlT_T0_E_clISt17integral_constantIbLb1EESY_IbLb0EEEEDaSU_SV_EUlSU_E_NS1_11comp_targetILNS1_3genE5ELNS1_11target_archE942ELNS1_3gpuE9ELNS1_3repE0EEENS1_30default_config_static_selectorELNS0_4arch9wavefront6targetE0EEEvT1_,"axG",@progbits,_ZN7rocprim17ROCPRIM_400000_NS6detail17trampoline_kernelINS0_14default_configENS1_27scan_by_key_config_selectorIiiEEZZNS1_16scan_by_key_implILNS1_25lookback_scan_determinismE0ELb0ES3_N6thrust23THRUST_200600_302600_NS6detail15normal_iteratorINS9_10device_ptrIiEEEESE_SE_iNS9_4plusIvEENS9_8equal_toIiEEiEE10hipError_tPvRmT2_T3_T4_T5_mT6_T7_P12ihipStream_tbENKUlT_T0_E_clISt17integral_constantIbLb1EESY_IbLb0EEEEDaSU_SV_EUlSU_E_NS1_11comp_targetILNS1_3genE5ELNS1_11target_archE942ELNS1_3gpuE9ELNS1_3repE0EEENS1_30default_config_static_selectorELNS0_4arch9wavefront6targetE0EEEvT1_,comdat
.Lfunc_end220:
	.size	_ZN7rocprim17ROCPRIM_400000_NS6detail17trampoline_kernelINS0_14default_configENS1_27scan_by_key_config_selectorIiiEEZZNS1_16scan_by_key_implILNS1_25lookback_scan_determinismE0ELb0ES3_N6thrust23THRUST_200600_302600_NS6detail15normal_iteratorINS9_10device_ptrIiEEEESE_SE_iNS9_4plusIvEENS9_8equal_toIiEEiEE10hipError_tPvRmT2_T3_T4_T5_mT6_T7_P12ihipStream_tbENKUlT_T0_E_clISt17integral_constantIbLb1EESY_IbLb0EEEEDaSU_SV_EUlSU_E_NS1_11comp_targetILNS1_3genE5ELNS1_11target_archE942ELNS1_3gpuE9ELNS1_3repE0EEENS1_30default_config_static_selectorELNS0_4arch9wavefront6targetE0EEEvT1_, .Lfunc_end220-_ZN7rocprim17ROCPRIM_400000_NS6detail17trampoline_kernelINS0_14default_configENS1_27scan_by_key_config_selectorIiiEEZZNS1_16scan_by_key_implILNS1_25lookback_scan_determinismE0ELb0ES3_N6thrust23THRUST_200600_302600_NS6detail15normal_iteratorINS9_10device_ptrIiEEEESE_SE_iNS9_4plusIvEENS9_8equal_toIiEEiEE10hipError_tPvRmT2_T3_T4_T5_mT6_T7_P12ihipStream_tbENKUlT_T0_E_clISt17integral_constantIbLb1EESY_IbLb0EEEEDaSU_SV_EUlSU_E_NS1_11comp_targetILNS1_3genE5ELNS1_11target_archE942ELNS1_3gpuE9ELNS1_3repE0EEENS1_30default_config_static_selectorELNS0_4arch9wavefront6targetE0EEEvT1_
                                        ; -- End function
	.set _ZN7rocprim17ROCPRIM_400000_NS6detail17trampoline_kernelINS0_14default_configENS1_27scan_by_key_config_selectorIiiEEZZNS1_16scan_by_key_implILNS1_25lookback_scan_determinismE0ELb0ES3_N6thrust23THRUST_200600_302600_NS6detail15normal_iteratorINS9_10device_ptrIiEEEESE_SE_iNS9_4plusIvEENS9_8equal_toIiEEiEE10hipError_tPvRmT2_T3_T4_T5_mT6_T7_P12ihipStream_tbENKUlT_T0_E_clISt17integral_constantIbLb1EESY_IbLb0EEEEDaSU_SV_EUlSU_E_NS1_11comp_targetILNS1_3genE5ELNS1_11target_archE942ELNS1_3gpuE9ELNS1_3repE0EEENS1_30default_config_static_selectorELNS0_4arch9wavefront6targetE0EEEvT1_.num_vgpr, 0
	.set _ZN7rocprim17ROCPRIM_400000_NS6detail17trampoline_kernelINS0_14default_configENS1_27scan_by_key_config_selectorIiiEEZZNS1_16scan_by_key_implILNS1_25lookback_scan_determinismE0ELb0ES3_N6thrust23THRUST_200600_302600_NS6detail15normal_iteratorINS9_10device_ptrIiEEEESE_SE_iNS9_4plusIvEENS9_8equal_toIiEEiEE10hipError_tPvRmT2_T3_T4_T5_mT6_T7_P12ihipStream_tbENKUlT_T0_E_clISt17integral_constantIbLb1EESY_IbLb0EEEEDaSU_SV_EUlSU_E_NS1_11comp_targetILNS1_3genE5ELNS1_11target_archE942ELNS1_3gpuE9ELNS1_3repE0EEENS1_30default_config_static_selectorELNS0_4arch9wavefront6targetE0EEEvT1_.num_agpr, 0
	.set _ZN7rocprim17ROCPRIM_400000_NS6detail17trampoline_kernelINS0_14default_configENS1_27scan_by_key_config_selectorIiiEEZZNS1_16scan_by_key_implILNS1_25lookback_scan_determinismE0ELb0ES3_N6thrust23THRUST_200600_302600_NS6detail15normal_iteratorINS9_10device_ptrIiEEEESE_SE_iNS9_4plusIvEENS9_8equal_toIiEEiEE10hipError_tPvRmT2_T3_T4_T5_mT6_T7_P12ihipStream_tbENKUlT_T0_E_clISt17integral_constantIbLb1EESY_IbLb0EEEEDaSU_SV_EUlSU_E_NS1_11comp_targetILNS1_3genE5ELNS1_11target_archE942ELNS1_3gpuE9ELNS1_3repE0EEENS1_30default_config_static_selectorELNS0_4arch9wavefront6targetE0EEEvT1_.numbered_sgpr, 0
	.set _ZN7rocprim17ROCPRIM_400000_NS6detail17trampoline_kernelINS0_14default_configENS1_27scan_by_key_config_selectorIiiEEZZNS1_16scan_by_key_implILNS1_25lookback_scan_determinismE0ELb0ES3_N6thrust23THRUST_200600_302600_NS6detail15normal_iteratorINS9_10device_ptrIiEEEESE_SE_iNS9_4plusIvEENS9_8equal_toIiEEiEE10hipError_tPvRmT2_T3_T4_T5_mT6_T7_P12ihipStream_tbENKUlT_T0_E_clISt17integral_constantIbLb1EESY_IbLb0EEEEDaSU_SV_EUlSU_E_NS1_11comp_targetILNS1_3genE5ELNS1_11target_archE942ELNS1_3gpuE9ELNS1_3repE0EEENS1_30default_config_static_selectorELNS0_4arch9wavefront6targetE0EEEvT1_.num_named_barrier, 0
	.set _ZN7rocprim17ROCPRIM_400000_NS6detail17trampoline_kernelINS0_14default_configENS1_27scan_by_key_config_selectorIiiEEZZNS1_16scan_by_key_implILNS1_25lookback_scan_determinismE0ELb0ES3_N6thrust23THRUST_200600_302600_NS6detail15normal_iteratorINS9_10device_ptrIiEEEESE_SE_iNS9_4plusIvEENS9_8equal_toIiEEiEE10hipError_tPvRmT2_T3_T4_T5_mT6_T7_P12ihipStream_tbENKUlT_T0_E_clISt17integral_constantIbLb1EESY_IbLb0EEEEDaSU_SV_EUlSU_E_NS1_11comp_targetILNS1_3genE5ELNS1_11target_archE942ELNS1_3gpuE9ELNS1_3repE0EEENS1_30default_config_static_selectorELNS0_4arch9wavefront6targetE0EEEvT1_.private_seg_size, 0
	.set _ZN7rocprim17ROCPRIM_400000_NS6detail17trampoline_kernelINS0_14default_configENS1_27scan_by_key_config_selectorIiiEEZZNS1_16scan_by_key_implILNS1_25lookback_scan_determinismE0ELb0ES3_N6thrust23THRUST_200600_302600_NS6detail15normal_iteratorINS9_10device_ptrIiEEEESE_SE_iNS9_4plusIvEENS9_8equal_toIiEEiEE10hipError_tPvRmT2_T3_T4_T5_mT6_T7_P12ihipStream_tbENKUlT_T0_E_clISt17integral_constantIbLb1EESY_IbLb0EEEEDaSU_SV_EUlSU_E_NS1_11comp_targetILNS1_3genE5ELNS1_11target_archE942ELNS1_3gpuE9ELNS1_3repE0EEENS1_30default_config_static_selectorELNS0_4arch9wavefront6targetE0EEEvT1_.uses_vcc, 0
	.set _ZN7rocprim17ROCPRIM_400000_NS6detail17trampoline_kernelINS0_14default_configENS1_27scan_by_key_config_selectorIiiEEZZNS1_16scan_by_key_implILNS1_25lookback_scan_determinismE0ELb0ES3_N6thrust23THRUST_200600_302600_NS6detail15normal_iteratorINS9_10device_ptrIiEEEESE_SE_iNS9_4plusIvEENS9_8equal_toIiEEiEE10hipError_tPvRmT2_T3_T4_T5_mT6_T7_P12ihipStream_tbENKUlT_T0_E_clISt17integral_constantIbLb1EESY_IbLb0EEEEDaSU_SV_EUlSU_E_NS1_11comp_targetILNS1_3genE5ELNS1_11target_archE942ELNS1_3gpuE9ELNS1_3repE0EEENS1_30default_config_static_selectorELNS0_4arch9wavefront6targetE0EEEvT1_.uses_flat_scratch, 0
	.set _ZN7rocprim17ROCPRIM_400000_NS6detail17trampoline_kernelINS0_14default_configENS1_27scan_by_key_config_selectorIiiEEZZNS1_16scan_by_key_implILNS1_25lookback_scan_determinismE0ELb0ES3_N6thrust23THRUST_200600_302600_NS6detail15normal_iteratorINS9_10device_ptrIiEEEESE_SE_iNS9_4plusIvEENS9_8equal_toIiEEiEE10hipError_tPvRmT2_T3_T4_T5_mT6_T7_P12ihipStream_tbENKUlT_T0_E_clISt17integral_constantIbLb1EESY_IbLb0EEEEDaSU_SV_EUlSU_E_NS1_11comp_targetILNS1_3genE5ELNS1_11target_archE942ELNS1_3gpuE9ELNS1_3repE0EEENS1_30default_config_static_selectorELNS0_4arch9wavefront6targetE0EEEvT1_.has_dyn_sized_stack, 0
	.set _ZN7rocprim17ROCPRIM_400000_NS6detail17trampoline_kernelINS0_14default_configENS1_27scan_by_key_config_selectorIiiEEZZNS1_16scan_by_key_implILNS1_25lookback_scan_determinismE0ELb0ES3_N6thrust23THRUST_200600_302600_NS6detail15normal_iteratorINS9_10device_ptrIiEEEESE_SE_iNS9_4plusIvEENS9_8equal_toIiEEiEE10hipError_tPvRmT2_T3_T4_T5_mT6_T7_P12ihipStream_tbENKUlT_T0_E_clISt17integral_constantIbLb1EESY_IbLb0EEEEDaSU_SV_EUlSU_E_NS1_11comp_targetILNS1_3genE5ELNS1_11target_archE942ELNS1_3gpuE9ELNS1_3repE0EEENS1_30default_config_static_selectorELNS0_4arch9wavefront6targetE0EEEvT1_.has_recursion, 0
	.set _ZN7rocprim17ROCPRIM_400000_NS6detail17trampoline_kernelINS0_14default_configENS1_27scan_by_key_config_selectorIiiEEZZNS1_16scan_by_key_implILNS1_25lookback_scan_determinismE0ELb0ES3_N6thrust23THRUST_200600_302600_NS6detail15normal_iteratorINS9_10device_ptrIiEEEESE_SE_iNS9_4plusIvEENS9_8equal_toIiEEiEE10hipError_tPvRmT2_T3_T4_T5_mT6_T7_P12ihipStream_tbENKUlT_T0_E_clISt17integral_constantIbLb1EESY_IbLb0EEEEDaSU_SV_EUlSU_E_NS1_11comp_targetILNS1_3genE5ELNS1_11target_archE942ELNS1_3gpuE9ELNS1_3repE0EEENS1_30default_config_static_selectorELNS0_4arch9wavefront6targetE0EEEvT1_.has_indirect_call, 0
	.section	.AMDGPU.csdata,"",@progbits
; Kernel info:
; codeLenInByte = 0
; TotalNumSgprs: 0
; NumVgprs: 0
; ScratchSize: 0
; MemoryBound: 0
; FloatMode: 240
; IeeeMode: 1
; LDSByteSize: 0 bytes/workgroup (compile time only)
; SGPRBlocks: 0
; VGPRBlocks: 0
; NumSGPRsForWavesPerEU: 1
; NumVGPRsForWavesPerEU: 1
; Occupancy: 16
; WaveLimiterHint : 0
; COMPUTE_PGM_RSRC2:SCRATCH_EN: 0
; COMPUTE_PGM_RSRC2:USER_SGPR: 6
; COMPUTE_PGM_RSRC2:TRAP_HANDLER: 0
; COMPUTE_PGM_RSRC2:TGID_X_EN: 1
; COMPUTE_PGM_RSRC2:TGID_Y_EN: 0
; COMPUTE_PGM_RSRC2:TGID_Z_EN: 0
; COMPUTE_PGM_RSRC2:TIDIG_COMP_CNT: 0
	.section	.text._ZN7rocprim17ROCPRIM_400000_NS6detail17trampoline_kernelINS0_14default_configENS1_27scan_by_key_config_selectorIiiEEZZNS1_16scan_by_key_implILNS1_25lookback_scan_determinismE0ELb0ES3_N6thrust23THRUST_200600_302600_NS6detail15normal_iteratorINS9_10device_ptrIiEEEESE_SE_iNS9_4plusIvEENS9_8equal_toIiEEiEE10hipError_tPvRmT2_T3_T4_T5_mT6_T7_P12ihipStream_tbENKUlT_T0_E_clISt17integral_constantIbLb1EESY_IbLb0EEEEDaSU_SV_EUlSU_E_NS1_11comp_targetILNS1_3genE4ELNS1_11target_archE910ELNS1_3gpuE8ELNS1_3repE0EEENS1_30default_config_static_selectorELNS0_4arch9wavefront6targetE0EEEvT1_,"axG",@progbits,_ZN7rocprim17ROCPRIM_400000_NS6detail17trampoline_kernelINS0_14default_configENS1_27scan_by_key_config_selectorIiiEEZZNS1_16scan_by_key_implILNS1_25lookback_scan_determinismE0ELb0ES3_N6thrust23THRUST_200600_302600_NS6detail15normal_iteratorINS9_10device_ptrIiEEEESE_SE_iNS9_4plusIvEENS9_8equal_toIiEEiEE10hipError_tPvRmT2_T3_T4_T5_mT6_T7_P12ihipStream_tbENKUlT_T0_E_clISt17integral_constantIbLb1EESY_IbLb0EEEEDaSU_SV_EUlSU_E_NS1_11comp_targetILNS1_3genE4ELNS1_11target_archE910ELNS1_3gpuE8ELNS1_3repE0EEENS1_30default_config_static_selectorELNS0_4arch9wavefront6targetE0EEEvT1_,comdat
	.protected	_ZN7rocprim17ROCPRIM_400000_NS6detail17trampoline_kernelINS0_14default_configENS1_27scan_by_key_config_selectorIiiEEZZNS1_16scan_by_key_implILNS1_25lookback_scan_determinismE0ELb0ES3_N6thrust23THRUST_200600_302600_NS6detail15normal_iteratorINS9_10device_ptrIiEEEESE_SE_iNS9_4plusIvEENS9_8equal_toIiEEiEE10hipError_tPvRmT2_T3_T4_T5_mT6_T7_P12ihipStream_tbENKUlT_T0_E_clISt17integral_constantIbLb1EESY_IbLb0EEEEDaSU_SV_EUlSU_E_NS1_11comp_targetILNS1_3genE4ELNS1_11target_archE910ELNS1_3gpuE8ELNS1_3repE0EEENS1_30default_config_static_selectorELNS0_4arch9wavefront6targetE0EEEvT1_ ; -- Begin function _ZN7rocprim17ROCPRIM_400000_NS6detail17trampoline_kernelINS0_14default_configENS1_27scan_by_key_config_selectorIiiEEZZNS1_16scan_by_key_implILNS1_25lookback_scan_determinismE0ELb0ES3_N6thrust23THRUST_200600_302600_NS6detail15normal_iteratorINS9_10device_ptrIiEEEESE_SE_iNS9_4plusIvEENS9_8equal_toIiEEiEE10hipError_tPvRmT2_T3_T4_T5_mT6_T7_P12ihipStream_tbENKUlT_T0_E_clISt17integral_constantIbLb1EESY_IbLb0EEEEDaSU_SV_EUlSU_E_NS1_11comp_targetILNS1_3genE4ELNS1_11target_archE910ELNS1_3gpuE8ELNS1_3repE0EEENS1_30default_config_static_selectorELNS0_4arch9wavefront6targetE0EEEvT1_
	.globl	_ZN7rocprim17ROCPRIM_400000_NS6detail17trampoline_kernelINS0_14default_configENS1_27scan_by_key_config_selectorIiiEEZZNS1_16scan_by_key_implILNS1_25lookback_scan_determinismE0ELb0ES3_N6thrust23THRUST_200600_302600_NS6detail15normal_iteratorINS9_10device_ptrIiEEEESE_SE_iNS9_4plusIvEENS9_8equal_toIiEEiEE10hipError_tPvRmT2_T3_T4_T5_mT6_T7_P12ihipStream_tbENKUlT_T0_E_clISt17integral_constantIbLb1EESY_IbLb0EEEEDaSU_SV_EUlSU_E_NS1_11comp_targetILNS1_3genE4ELNS1_11target_archE910ELNS1_3gpuE8ELNS1_3repE0EEENS1_30default_config_static_selectorELNS0_4arch9wavefront6targetE0EEEvT1_
	.p2align	8
	.type	_ZN7rocprim17ROCPRIM_400000_NS6detail17trampoline_kernelINS0_14default_configENS1_27scan_by_key_config_selectorIiiEEZZNS1_16scan_by_key_implILNS1_25lookback_scan_determinismE0ELb0ES3_N6thrust23THRUST_200600_302600_NS6detail15normal_iteratorINS9_10device_ptrIiEEEESE_SE_iNS9_4plusIvEENS9_8equal_toIiEEiEE10hipError_tPvRmT2_T3_T4_T5_mT6_T7_P12ihipStream_tbENKUlT_T0_E_clISt17integral_constantIbLb1EESY_IbLb0EEEEDaSU_SV_EUlSU_E_NS1_11comp_targetILNS1_3genE4ELNS1_11target_archE910ELNS1_3gpuE8ELNS1_3repE0EEENS1_30default_config_static_selectorELNS0_4arch9wavefront6targetE0EEEvT1_,@function
_ZN7rocprim17ROCPRIM_400000_NS6detail17trampoline_kernelINS0_14default_configENS1_27scan_by_key_config_selectorIiiEEZZNS1_16scan_by_key_implILNS1_25lookback_scan_determinismE0ELb0ES3_N6thrust23THRUST_200600_302600_NS6detail15normal_iteratorINS9_10device_ptrIiEEEESE_SE_iNS9_4plusIvEENS9_8equal_toIiEEiEE10hipError_tPvRmT2_T3_T4_T5_mT6_T7_P12ihipStream_tbENKUlT_T0_E_clISt17integral_constantIbLb1EESY_IbLb0EEEEDaSU_SV_EUlSU_E_NS1_11comp_targetILNS1_3genE4ELNS1_11target_archE910ELNS1_3gpuE8ELNS1_3repE0EEENS1_30default_config_static_selectorELNS0_4arch9wavefront6targetE0EEEvT1_: ; @_ZN7rocprim17ROCPRIM_400000_NS6detail17trampoline_kernelINS0_14default_configENS1_27scan_by_key_config_selectorIiiEEZZNS1_16scan_by_key_implILNS1_25lookback_scan_determinismE0ELb0ES3_N6thrust23THRUST_200600_302600_NS6detail15normal_iteratorINS9_10device_ptrIiEEEESE_SE_iNS9_4plusIvEENS9_8equal_toIiEEiEE10hipError_tPvRmT2_T3_T4_T5_mT6_T7_P12ihipStream_tbENKUlT_T0_E_clISt17integral_constantIbLb1EESY_IbLb0EEEEDaSU_SV_EUlSU_E_NS1_11comp_targetILNS1_3genE4ELNS1_11target_archE910ELNS1_3gpuE8ELNS1_3repE0EEENS1_30default_config_static_selectorELNS0_4arch9wavefront6targetE0EEEvT1_
; %bb.0:
	.section	.rodata,"a",@progbits
	.p2align	6, 0x0
	.amdhsa_kernel _ZN7rocprim17ROCPRIM_400000_NS6detail17trampoline_kernelINS0_14default_configENS1_27scan_by_key_config_selectorIiiEEZZNS1_16scan_by_key_implILNS1_25lookback_scan_determinismE0ELb0ES3_N6thrust23THRUST_200600_302600_NS6detail15normal_iteratorINS9_10device_ptrIiEEEESE_SE_iNS9_4plusIvEENS9_8equal_toIiEEiEE10hipError_tPvRmT2_T3_T4_T5_mT6_T7_P12ihipStream_tbENKUlT_T0_E_clISt17integral_constantIbLb1EESY_IbLb0EEEEDaSU_SV_EUlSU_E_NS1_11comp_targetILNS1_3genE4ELNS1_11target_archE910ELNS1_3gpuE8ELNS1_3repE0EEENS1_30default_config_static_selectorELNS0_4arch9wavefront6targetE0EEEvT1_
		.amdhsa_group_segment_fixed_size 0
		.amdhsa_private_segment_fixed_size 0
		.amdhsa_kernarg_size 112
		.amdhsa_user_sgpr_count 6
		.amdhsa_user_sgpr_private_segment_buffer 1
		.amdhsa_user_sgpr_dispatch_ptr 0
		.amdhsa_user_sgpr_queue_ptr 0
		.amdhsa_user_sgpr_kernarg_segment_ptr 1
		.amdhsa_user_sgpr_dispatch_id 0
		.amdhsa_user_sgpr_flat_scratch_init 0
		.amdhsa_user_sgpr_private_segment_size 0
		.amdhsa_wavefront_size32 1
		.amdhsa_uses_dynamic_stack 0
		.amdhsa_system_sgpr_private_segment_wavefront_offset 0
		.amdhsa_system_sgpr_workgroup_id_x 1
		.amdhsa_system_sgpr_workgroup_id_y 0
		.amdhsa_system_sgpr_workgroup_id_z 0
		.amdhsa_system_sgpr_workgroup_info 0
		.amdhsa_system_vgpr_workitem_id 0
		.amdhsa_next_free_vgpr 1
		.amdhsa_next_free_sgpr 1
		.amdhsa_reserve_vcc 0
		.amdhsa_reserve_flat_scratch 0
		.amdhsa_float_round_mode_32 0
		.amdhsa_float_round_mode_16_64 0
		.amdhsa_float_denorm_mode_32 3
		.amdhsa_float_denorm_mode_16_64 3
		.amdhsa_dx10_clamp 1
		.amdhsa_ieee_mode 1
		.amdhsa_fp16_overflow 0
		.amdhsa_workgroup_processor_mode 1
		.amdhsa_memory_ordered 1
		.amdhsa_forward_progress 1
		.amdhsa_shared_vgpr_count 0
		.amdhsa_exception_fp_ieee_invalid_op 0
		.amdhsa_exception_fp_denorm_src 0
		.amdhsa_exception_fp_ieee_div_zero 0
		.amdhsa_exception_fp_ieee_overflow 0
		.amdhsa_exception_fp_ieee_underflow 0
		.amdhsa_exception_fp_ieee_inexact 0
		.amdhsa_exception_int_div_zero 0
	.end_amdhsa_kernel
	.section	.text._ZN7rocprim17ROCPRIM_400000_NS6detail17trampoline_kernelINS0_14default_configENS1_27scan_by_key_config_selectorIiiEEZZNS1_16scan_by_key_implILNS1_25lookback_scan_determinismE0ELb0ES3_N6thrust23THRUST_200600_302600_NS6detail15normal_iteratorINS9_10device_ptrIiEEEESE_SE_iNS9_4plusIvEENS9_8equal_toIiEEiEE10hipError_tPvRmT2_T3_T4_T5_mT6_T7_P12ihipStream_tbENKUlT_T0_E_clISt17integral_constantIbLb1EESY_IbLb0EEEEDaSU_SV_EUlSU_E_NS1_11comp_targetILNS1_3genE4ELNS1_11target_archE910ELNS1_3gpuE8ELNS1_3repE0EEENS1_30default_config_static_selectorELNS0_4arch9wavefront6targetE0EEEvT1_,"axG",@progbits,_ZN7rocprim17ROCPRIM_400000_NS6detail17trampoline_kernelINS0_14default_configENS1_27scan_by_key_config_selectorIiiEEZZNS1_16scan_by_key_implILNS1_25lookback_scan_determinismE0ELb0ES3_N6thrust23THRUST_200600_302600_NS6detail15normal_iteratorINS9_10device_ptrIiEEEESE_SE_iNS9_4plusIvEENS9_8equal_toIiEEiEE10hipError_tPvRmT2_T3_T4_T5_mT6_T7_P12ihipStream_tbENKUlT_T0_E_clISt17integral_constantIbLb1EESY_IbLb0EEEEDaSU_SV_EUlSU_E_NS1_11comp_targetILNS1_3genE4ELNS1_11target_archE910ELNS1_3gpuE8ELNS1_3repE0EEENS1_30default_config_static_selectorELNS0_4arch9wavefront6targetE0EEEvT1_,comdat
.Lfunc_end221:
	.size	_ZN7rocprim17ROCPRIM_400000_NS6detail17trampoline_kernelINS0_14default_configENS1_27scan_by_key_config_selectorIiiEEZZNS1_16scan_by_key_implILNS1_25lookback_scan_determinismE0ELb0ES3_N6thrust23THRUST_200600_302600_NS6detail15normal_iteratorINS9_10device_ptrIiEEEESE_SE_iNS9_4plusIvEENS9_8equal_toIiEEiEE10hipError_tPvRmT2_T3_T4_T5_mT6_T7_P12ihipStream_tbENKUlT_T0_E_clISt17integral_constantIbLb1EESY_IbLb0EEEEDaSU_SV_EUlSU_E_NS1_11comp_targetILNS1_3genE4ELNS1_11target_archE910ELNS1_3gpuE8ELNS1_3repE0EEENS1_30default_config_static_selectorELNS0_4arch9wavefront6targetE0EEEvT1_, .Lfunc_end221-_ZN7rocprim17ROCPRIM_400000_NS6detail17trampoline_kernelINS0_14default_configENS1_27scan_by_key_config_selectorIiiEEZZNS1_16scan_by_key_implILNS1_25lookback_scan_determinismE0ELb0ES3_N6thrust23THRUST_200600_302600_NS6detail15normal_iteratorINS9_10device_ptrIiEEEESE_SE_iNS9_4plusIvEENS9_8equal_toIiEEiEE10hipError_tPvRmT2_T3_T4_T5_mT6_T7_P12ihipStream_tbENKUlT_T0_E_clISt17integral_constantIbLb1EESY_IbLb0EEEEDaSU_SV_EUlSU_E_NS1_11comp_targetILNS1_3genE4ELNS1_11target_archE910ELNS1_3gpuE8ELNS1_3repE0EEENS1_30default_config_static_selectorELNS0_4arch9wavefront6targetE0EEEvT1_
                                        ; -- End function
	.set _ZN7rocprim17ROCPRIM_400000_NS6detail17trampoline_kernelINS0_14default_configENS1_27scan_by_key_config_selectorIiiEEZZNS1_16scan_by_key_implILNS1_25lookback_scan_determinismE0ELb0ES3_N6thrust23THRUST_200600_302600_NS6detail15normal_iteratorINS9_10device_ptrIiEEEESE_SE_iNS9_4plusIvEENS9_8equal_toIiEEiEE10hipError_tPvRmT2_T3_T4_T5_mT6_T7_P12ihipStream_tbENKUlT_T0_E_clISt17integral_constantIbLb1EESY_IbLb0EEEEDaSU_SV_EUlSU_E_NS1_11comp_targetILNS1_3genE4ELNS1_11target_archE910ELNS1_3gpuE8ELNS1_3repE0EEENS1_30default_config_static_selectorELNS0_4arch9wavefront6targetE0EEEvT1_.num_vgpr, 0
	.set _ZN7rocprim17ROCPRIM_400000_NS6detail17trampoline_kernelINS0_14default_configENS1_27scan_by_key_config_selectorIiiEEZZNS1_16scan_by_key_implILNS1_25lookback_scan_determinismE0ELb0ES3_N6thrust23THRUST_200600_302600_NS6detail15normal_iteratorINS9_10device_ptrIiEEEESE_SE_iNS9_4plusIvEENS9_8equal_toIiEEiEE10hipError_tPvRmT2_T3_T4_T5_mT6_T7_P12ihipStream_tbENKUlT_T0_E_clISt17integral_constantIbLb1EESY_IbLb0EEEEDaSU_SV_EUlSU_E_NS1_11comp_targetILNS1_3genE4ELNS1_11target_archE910ELNS1_3gpuE8ELNS1_3repE0EEENS1_30default_config_static_selectorELNS0_4arch9wavefront6targetE0EEEvT1_.num_agpr, 0
	.set _ZN7rocprim17ROCPRIM_400000_NS6detail17trampoline_kernelINS0_14default_configENS1_27scan_by_key_config_selectorIiiEEZZNS1_16scan_by_key_implILNS1_25lookback_scan_determinismE0ELb0ES3_N6thrust23THRUST_200600_302600_NS6detail15normal_iteratorINS9_10device_ptrIiEEEESE_SE_iNS9_4plusIvEENS9_8equal_toIiEEiEE10hipError_tPvRmT2_T3_T4_T5_mT6_T7_P12ihipStream_tbENKUlT_T0_E_clISt17integral_constantIbLb1EESY_IbLb0EEEEDaSU_SV_EUlSU_E_NS1_11comp_targetILNS1_3genE4ELNS1_11target_archE910ELNS1_3gpuE8ELNS1_3repE0EEENS1_30default_config_static_selectorELNS0_4arch9wavefront6targetE0EEEvT1_.numbered_sgpr, 0
	.set _ZN7rocprim17ROCPRIM_400000_NS6detail17trampoline_kernelINS0_14default_configENS1_27scan_by_key_config_selectorIiiEEZZNS1_16scan_by_key_implILNS1_25lookback_scan_determinismE0ELb0ES3_N6thrust23THRUST_200600_302600_NS6detail15normal_iteratorINS9_10device_ptrIiEEEESE_SE_iNS9_4plusIvEENS9_8equal_toIiEEiEE10hipError_tPvRmT2_T3_T4_T5_mT6_T7_P12ihipStream_tbENKUlT_T0_E_clISt17integral_constantIbLb1EESY_IbLb0EEEEDaSU_SV_EUlSU_E_NS1_11comp_targetILNS1_3genE4ELNS1_11target_archE910ELNS1_3gpuE8ELNS1_3repE0EEENS1_30default_config_static_selectorELNS0_4arch9wavefront6targetE0EEEvT1_.num_named_barrier, 0
	.set _ZN7rocprim17ROCPRIM_400000_NS6detail17trampoline_kernelINS0_14default_configENS1_27scan_by_key_config_selectorIiiEEZZNS1_16scan_by_key_implILNS1_25lookback_scan_determinismE0ELb0ES3_N6thrust23THRUST_200600_302600_NS6detail15normal_iteratorINS9_10device_ptrIiEEEESE_SE_iNS9_4plusIvEENS9_8equal_toIiEEiEE10hipError_tPvRmT2_T3_T4_T5_mT6_T7_P12ihipStream_tbENKUlT_T0_E_clISt17integral_constantIbLb1EESY_IbLb0EEEEDaSU_SV_EUlSU_E_NS1_11comp_targetILNS1_3genE4ELNS1_11target_archE910ELNS1_3gpuE8ELNS1_3repE0EEENS1_30default_config_static_selectorELNS0_4arch9wavefront6targetE0EEEvT1_.private_seg_size, 0
	.set _ZN7rocprim17ROCPRIM_400000_NS6detail17trampoline_kernelINS0_14default_configENS1_27scan_by_key_config_selectorIiiEEZZNS1_16scan_by_key_implILNS1_25lookback_scan_determinismE0ELb0ES3_N6thrust23THRUST_200600_302600_NS6detail15normal_iteratorINS9_10device_ptrIiEEEESE_SE_iNS9_4plusIvEENS9_8equal_toIiEEiEE10hipError_tPvRmT2_T3_T4_T5_mT6_T7_P12ihipStream_tbENKUlT_T0_E_clISt17integral_constantIbLb1EESY_IbLb0EEEEDaSU_SV_EUlSU_E_NS1_11comp_targetILNS1_3genE4ELNS1_11target_archE910ELNS1_3gpuE8ELNS1_3repE0EEENS1_30default_config_static_selectorELNS0_4arch9wavefront6targetE0EEEvT1_.uses_vcc, 0
	.set _ZN7rocprim17ROCPRIM_400000_NS6detail17trampoline_kernelINS0_14default_configENS1_27scan_by_key_config_selectorIiiEEZZNS1_16scan_by_key_implILNS1_25lookback_scan_determinismE0ELb0ES3_N6thrust23THRUST_200600_302600_NS6detail15normal_iteratorINS9_10device_ptrIiEEEESE_SE_iNS9_4plusIvEENS9_8equal_toIiEEiEE10hipError_tPvRmT2_T3_T4_T5_mT6_T7_P12ihipStream_tbENKUlT_T0_E_clISt17integral_constantIbLb1EESY_IbLb0EEEEDaSU_SV_EUlSU_E_NS1_11comp_targetILNS1_3genE4ELNS1_11target_archE910ELNS1_3gpuE8ELNS1_3repE0EEENS1_30default_config_static_selectorELNS0_4arch9wavefront6targetE0EEEvT1_.uses_flat_scratch, 0
	.set _ZN7rocprim17ROCPRIM_400000_NS6detail17trampoline_kernelINS0_14default_configENS1_27scan_by_key_config_selectorIiiEEZZNS1_16scan_by_key_implILNS1_25lookback_scan_determinismE0ELb0ES3_N6thrust23THRUST_200600_302600_NS6detail15normal_iteratorINS9_10device_ptrIiEEEESE_SE_iNS9_4plusIvEENS9_8equal_toIiEEiEE10hipError_tPvRmT2_T3_T4_T5_mT6_T7_P12ihipStream_tbENKUlT_T0_E_clISt17integral_constantIbLb1EESY_IbLb0EEEEDaSU_SV_EUlSU_E_NS1_11comp_targetILNS1_3genE4ELNS1_11target_archE910ELNS1_3gpuE8ELNS1_3repE0EEENS1_30default_config_static_selectorELNS0_4arch9wavefront6targetE0EEEvT1_.has_dyn_sized_stack, 0
	.set _ZN7rocprim17ROCPRIM_400000_NS6detail17trampoline_kernelINS0_14default_configENS1_27scan_by_key_config_selectorIiiEEZZNS1_16scan_by_key_implILNS1_25lookback_scan_determinismE0ELb0ES3_N6thrust23THRUST_200600_302600_NS6detail15normal_iteratorINS9_10device_ptrIiEEEESE_SE_iNS9_4plusIvEENS9_8equal_toIiEEiEE10hipError_tPvRmT2_T3_T4_T5_mT6_T7_P12ihipStream_tbENKUlT_T0_E_clISt17integral_constantIbLb1EESY_IbLb0EEEEDaSU_SV_EUlSU_E_NS1_11comp_targetILNS1_3genE4ELNS1_11target_archE910ELNS1_3gpuE8ELNS1_3repE0EEENS1_30default_config_static_selectorELNS0_4arch9wavefront6targetE0EEEvT1_.has_recursion, 0
	.set _ZN7rocprim17ROCPRIM_400000_NS6detail17trampoline_kernelINS0_14default_configENS1_27scan_by_key_config_selectorIiiEEZZNS1_16scan_by_key_implILNS1_25lookback_scan_determinismE0ELb0ES3_N6thrust23THRUST_200600_302600_NS6detail15normal_iteratorINS9_10device_ptrIiEEEESE_SE_iNS9_4plusIvEENS9_8equal_toIiEEiEE10hipError_tPvRmT2_T3_T4_T5_mT6_T7_P12ihipStream_tbENKUlT_T0_E_clISt17integral_constantIbLb1EESY_IbLb0EEEEDaSU_SV_EUlSU_E_NS1_11comp_targetILNS1_3genE4ELNS1_11target_archE910ELNS1_3gpuE8ELNS1_3repE0EEENS1_30default_config_static_selectorELNS0_4arch9wavefront6targetE0EEEvT1_.has_indirect_call, 0
	.section	.AMDGPU.csdata,"",@progbits
; Kernel info:
; codeLenInByte = 0
; TotalNumSgprs: 0
; NumVgprs: 0
; ScratchSize: 0
; MemoryBound: 0
; FloatMode: 240
; IeeeMode: 1
; LDSByteSize: 0 bytes/workgroup (compile time only)
; SGPRBlocks: 0
; VGPRBlocks: 0
; NumSGPRsForWavesPerEU: 1
; NumVGPRsForWavesPerEU: 1
; Occupancy: 16
; WaveLimiterHint : 0
; COMPUTE_PGM_RSRC2:SCRATCH_EN: 0
; COMPUTE_PGM_RSRC2:USER_SGPR: 6
; COMPUTE_PGM_RSRC2:TRAP_HANDLER: 0
; COMPUTE_PGM_RSRC2:TGID_X_EN: 1
; COMPUTE_PGM_RSRC2:TGID_Y_EN: 0
; COMPUTE_PGM_RSRC2:TGID_Z_EN: 0
; COMPUTE_PGM_RSRC2:TIDIG_COMP_CNT: 0
	.section	.text._ZN7rocprim17ROCPRIM_400000_NS6detail17trampoline_kernelINS0_14default_configENS1_27scan_by_key_config_selectorIiiEEZZNS1_16scan_by_key_implILNS1_25lookback_scan_determinismE0ELb0ES3_N6thrust23THRUST_200600_302600_NS6detail15normal_iteratorINS9_10device_ptrIiEEEESE_SE_iNS9_4plusIvEENS9_8equal_toIiEEiEE10hipError_tPvRmT2_T3_T4_T5_mT6_T7_P12ihipStream_tbENKUlT_T0_E_clISt17integral_constantIbLb1EESY_IbLb0EEEEDaSU_SV_EUlSU_E_NS1_11comp_targetILNS1_3genE3ELNS1_11target_archE908ELNS1_3gpuE7ELNS1_3repE0EEENS1_30default_config_static_selectorELNS0_4arch9wavefront6targetE0EEEvT1_,"axG",@progbits,_ZN7rocprim17ROCPRIM_400000_NS6detail17trampoline_kernelINS0_14default_configENS1_27scan_by_key_config_selectorIiiEEZZNS1_16scan_by_key_implILNS1_25lookback_scan_determinismE0ELb0ES3_N6thrust23THRUST_200600_302600_NS6detail15normal_iteratorINS9_10device_ptrIiEEEESE_SE_iNS9_4plusIvEENS9_8equal_toIiEEiEE10hipError_tPvRmT2_T3_T4_T5_mT6_T7_P12ihipStream_tbENKUlT_T0_E_clISt17integral_constantIbLb1EESY_IbLb0EEEEDaSU_SV_EUlSU_E_NS1_11comp_targetILNS1_3genE3ELNS1_11target_archE908ELNS1_3gpuE7ELNS1_3repE0EEENS1_30default_config_static_selectorELNS0_4arch9wavefront6targetE0EEEvT1_,comdat
	.protected	_ZN7rocprim17ROCPRIM_400000_NS6detail17trampoline_kernelINS0_14default_configENS1_27scan_by_key_config_selectorIiiEEZZNS1_16scan_by_key_implILNS1_25lookback_scan_determinismE0ELb0ES3_N6thrust23THRUST_200600_302600_NS6detail15normal_iteratorINS9_10device_ptrIiEEEESE_SE_iNS9_4plusIvEENS9_8equal_toIiEEiEE10hipError_tPvRmT2_T3_T4_T5_mT6_T7_P12ihipStream_tbENKUlT_T0_E_clISt17integral_constantIbLb1EESY_IbLb0EEEEDaSU_SV_EUlSU_E_NS1_11comp_targetILNS1_3genE3ELNS1_11target_archE908ELNS1_3gpuE7ELNS1_3repE0EEENS1_30default_config_static_selectorELNS0_4arch9wavefront6targetE0EEEvT1_ ; -- Begin function _ZN7rocprim17ROCPRIM_400000_NS6detail17trampoline_kernelINS0_14default_configENS1_27scan_by_key_config_selectorIiiEEZZNS1_16scan_by_key_implILNS1_25lookback_scan_determinismE0ELb0ES3_N6thrust23THRUST_200600_302600_NS6detail15normal_iteratorINS9_10device_ptrIiEEEESE_SE_iNS9_4plusIvEENS9_8equal_toIiEEiEE10hipError_tPvRmT2_T3_T4_T5_mT6_T7_P12ihipStream_tbENKUlT_T0_E_clISt17integral_constantIbLb1EESY_IbLb0EEEEDaSU_SV_EUlSU_E_NS1_11comp_targetILNS1_3genE3ELNS1_11target_archE908ELNS1_3gpuE7ELNS1_3repE0EEENS1_30default_config_static_selectorELNS0_4arch9wavefront6targetE0EEEvT1_
	.globl	_ZN7rocprim17ROCPRIM_400000_NS6detail17trampoline_kernelINS0_14default_configENS1_27scan_by_key_config_selectorIiiEEZZNS1_16scan_by_key_implILNS1_25lookback_scan_determinismE0ELb0ES3_N6thrust23THRUST_200600_302600_NS6detail15normal_iteratorINS9_10device_ptrIiEEEESE_SE_iNS9_4plusIvEENS9_8equal_toIiEEiEE10hipError_tPvRmT2_T3_T4_T5_mT6_T7_P12ihipStream_tbENKUlT_T0_E_clISt17integral_constantIbLb1EESY_IbLb0EEEEDaSU_SV_EUlSU_E_NS1_11comp_targetILNS1_3genE3ELNS1_11target_archE908ELNS1_3gpuE7ELNS1_3repE0EEENS1_30default_config_static_selectorELNS0_4arch9wavefront6targetE0EEEvT1_
	.p2align	8
	.type	_ZN7rocprim17ROCPRIM_400000_NS6detail17trampoline_kernelINS0_14default_configENS1_27scan_by_key_config_selectorIiiEEZZNS1_16scan_by_key_implILNS1_25lookback_scan_determinismE0ELb0ES3_N6thrust23THRUST_200600_302600_NS6detail15normal_iteratorINS9_10device_ptrIiEEEESE_SE_iNS9_4plusIvEENS9_8equal_toIiEEiEE10hipError_tPvRmT2_T3_T4_T5_mT6_T7_P12ihipStream_tbENKUlT_T0_E_clISt17integral_constantIbLb1EESY_IbLb0EEEEDaSU_SV_EUlSU_E_NS1_11comp_targetILNS1_3genE3ELNS1_11target_archE908ELNS1_3gpuE7ELNS1_3repE0EEENS1_30default_config_static_selectorELNS0_4arch9wavefront6targetE0EEEvT1_,@function
_ZN7rocprim17ROCPRIM_400000_NS6detail17trampoline_kernelINS0_14default_configENS1_27scan_by_key_config_selectorIiiEEZZNS1_16scan_by_key_implILNS1_25lookback_scan_determinismE0ELb0ES3_N6thrust23THRUST_200600_302600_NS6detail15normal_iteratorINS9_10device_ptrIiEEEESE_SE_iNS9_4plusIvEENS9_8equal_toIiEEiEE10hipError_tPvRmT2_T3_T4_T5_mT6_T7_P12ihipStream_tbENKUlT_T0_E_clISt17integral_constantIbLb1EESY_IbLb0EEEEDaSU_SV_EUlSU_E_NS1_11comp_targetILNS1_3genE3ELNS1_11target_archE908ELNS1_3gpuE7ELNS1_3repE0EEENS1_30default_config_static_selectorELNS0_4arch9wavefront6targetE0EEEvT1_: ; @_ZN7rocprim17ROCPRIM_400000_NS6detail17trampoline_kernelINS0_14default_configENS1_27scan_by_key_config_selectorIiiEEZZNS1_16scan_by_key_implILNS1_25lookback_scan_determinismE0ELb0ES3_N6thrust23THRUST_200600_302600_NS6detail15normal_iteratorINS9_10device_ptrIiEEEESE_SE_iNS9_4plusIvEENS9_8equal_toIiEEiEE10hipError_tPvRmT2_T3_T4_T5_mT6_T7_P12ihipStream_tbENKUlT_T0_E_clISt17integral_constantIbLb1EESY_IbLb0EEEEDaSU_SV_EUlSU_E_NS1_11comp_targetILNS1_3genE3ELNS1_11target_archE908ELNS1_3gpuE7ELNS1_3repE0EEENS1_30default_config_static_selectorELNS0_4arch9wavefront6targetE0EEEvT1_
; %bb.0:
	.section	.rodata,"a",@progbits
	.p2align	6, 0x0
	.amdhsa_kernel _ZN7rocprim17ROCPRIM_400000_NS6detail17trampoline_kernelINS0_14default_configENS1_27scan_by_key_config_selectorIiiEEZZNS1_16scan_by_key_implILNS1_25lookback_scan_determinismE0ELb0ES3_N6thrust23THRUST_200600_302600_NS6detail15normal_iteratorINS9_10device_ptrIiEEEESE_SE_iNS9_4plusIvEENS9_8equal_toIiEEiEE10hipError_tPvRmT2_T3_T4_T5_mT6_T7_P12ihipStream_tbENKUlT_T0_E_clISt17integral_constantIbLb1EESY_IbLb0EEEEDaSU_SV_EUlSU_E_NS1_11comp_targetILNS1_3genE3ELNS1_11target_archE908ELNS1_3gpuE7ELNS1_3repE0EEENS1_30default_config_static_selectorELNS0_4arch9wavefront6targetE0EEEvT1_
		.amdhsa_group_segment_fixed_size 0
		.amdhsa_private_segment_fixed_size 0
		.amdhsa_kernarg_size 112
		.amdhsa_user_sgpr_count 6
		.amdhsa_user_sgpr_private_segment_buffer 1
		.amdhsa_user_sgpr_dispatch_ptr 0
		.amdhsa_user_sgpr_queue_ptr 0
		.amdhsa_user_sgpr_kernarg_segment_ptr 1
		.amdhsa_user_sgpr_dispatch_id 0
		.amdhsa_user_sgpr_flat_scratch_init 0
		.amdhsa_user_sgpr_private_segment_size 0
		.amdhsa_wavefront_size32 1
		.amdhsa_uses_dynamic_stack 0
		.amdhsa_system_sgpr_private_segment_wavefront_offset 0
		.amdhsa_system_sgpr_workgroup_id_x 1
		.amdhsa_system_sgpr_workgroup_id_y 0
		.amdhsa_system_sgpr_workgroup_id_z 0
		.amdhsa_system_sgpr_workgroup_info 0
		.amdhsa_system_vgpr_workitem_id 0
		.amdhsa_next_free_vgpr 1
		.amdhsa_next_free_sgpr 1
		.amdhsa_reserve_vcc 0
		.amdhsa_reserve_flat_scratch 0
		.amdhsa_float_round_mode_32 0
		.amdhsa_float_round_mode_16_64 0
		.amdhsa_float_denorm_mode_32 3
		.amdhsa_float_denorm_mode_16_64 3
		.amdhsa_dx10_clamp 1
		.amdhsa_ieee_mode 1
		.amdhsa_fp16_overflow 0
		.amdhsa_workgroup_processor_mode 1
		.amdhsa_memory_ordered 1
		.amdhsa_forward_progress 1
		.amdhsa_shared_vgpr_count 0
		.amdhsa_exception_fp_ieee_invalid_op 0
		.amdhsa_exception_fp_denorm_src 0
		.amdhsa_exception_fp_ieee_div_zero 0
		.amdhsa_exception_fp_ieee_overflow 0
		.amdhsa_exception_fp_ieee_underflow 0
		.amdhsa_exception_fp_ieee_inexact 0
		.amdhsa_exception_int_div_zero 0
	.end_amdhsa_kernel
	.section	.text._ZN7rocprim17ROCPRIM_400000_NS6detail17trampoline_kernelINS0_14default_configENS1_27scan_by_key_config_selectorIiiEEZZNS1_16scan_by_key_implILNS1_25lookback_scan_determinismE0ELb0ES3_N6thrust23THRUST_200600_302600_NS6detail15normal_iteratorINS9_10device_ptrIiEEEESE_SE_iNS9_4plusIvEENS9_8equal_toIiEEiEE10hipError_tPvRmT2_T3_T4_T5_mT6_T7_P12ihipStream_tbENKUlT_T0_E_clISt17integral_constantIbLb1EESY_IbLb0EEEEDaSU_SV_EUlSU_E_NS1_11comp_targetILNS1_3genE3ELNS1_11target_archE908ELNS1_3gpuE7ELNS1_3repE0EEENS1_30default_config_static_selectorELNS0_4arch9wavefront6targetE0EEEvT1_,"axG",@progbits,_ZN7rocprim17ROCPRIM_400000_NS6detail17trampoline_kernelINS0_14default_configENS1_27scan_by_key_config_selectorIiiEEZZNS1_16scan_by_key_implILNS1_25lookback_scan_determinismE0ELb0ES3_N6thrust23THRUST_200600_302600_NS6detail15normal_iteratorINS9_10device_ptrIiEEEESE_SE_iNS9_4plusIvEENS9_8equal_toIiEEiEE10hipError_tPvRmT2_T3_T4_T5_mT6_T7_P12ihipStream_tbENKUlT_T0_E_clISt17integral_constantIbLb1EESY_IbLb0EEEEDaSU_SV_EUlSU_E_NS1_11comp_targetILNS1_3genE3ELNS1_11target_archE908ELNS1_3gpuE7ELNS1_3repE0EEENS1_30default_config_static_selectorELNS0_4arch9wavefront6targetE0EEEvT1_,comdat
.Lfunc_end222:
	.size	_ZN7rocprim17ROCPRIM_400000_NS6detail17trampoline_kernelINS0_14default_configENS1_27scan_by_key_config_selectorIiiEEZZNS1_16scan_by_key_implILNS1_25lookback_scan_determinismE0ELb0ES3_N6thrust23THRUST_200600_302600_NS6detail15normal_iteratorINS9_10device_ptrIiEEEESE_SE_iNS9_4plusIvEENS9_8equal_toIiEEiEE10hipError_tPvRmT2_T3_T4_T5_mT6_T7_P12ihipStream_tbENKUlT_T0_E_clISt17integral_constantIbLb1EESY_IbLb0EEEEDaSU_SV_EUlSU_E_NS1_11comp_targetILNS1_3genE3ELNS1_11target_archE908ELNS1_3gpuE7ELNS1_3repE0EEENS1_30default_config_static_selectorELNS0_4arch9wavefront6targetE0EEEvT1_, .Lfunc_end222-_ZN7rocprim17ROCPRIM_400000_NS6detail17trampoline_kernelINS0_14default_configENS1_27scan_by_key_config_selectorIiiEEZZNS1_16scan_by_key_implILNS1_25lookback_scan_determinismE0ELb0ES3_N6thrust23THRUST_200600_302600_NS6detail15normal_iteratorINS9_10device_ptrIiEEEESE_SE_iNS9_4plusIvEENS9_8equal_toIiEEiEE10hipError_tPvRmT2_T3_T4_T5_mT6_T7_P12ihipStream_tbENKUlT_T0_E_clISt17integral_constantIbLb1EESY_IbLb0EEEEDaSU_SV_EUlSU_E_NS1_11comp_targetILNS1_3genE3ELNS1_11target_archE908ELNS1_3gpuE7ELNS1_3repE0EEENS1_30default_config_static_selectorELNS0_4arch9wavefront6targetE0EEEvT1_
                                        ; -- End function
	.set _ZN7rocprim17ROCPRIM_400000_NS6detail17trampoline_kernelINS0_14default_configENS1_27scan_by_key_config_selectorIiiEEZZNS1_16scan_by_key_implILNS1_25lookback_scan_determinismE0ELb0ES3_N6thrust23THRUST_200600_302600_NS6detail15normal_iteratorINS9_10device_ptrIiEEEESE_SE_iNS9_4plusIvEENS9_8equal_toIiEEiEE10hipError_tPvRmT2_T3_T4_T5_mT6_T7_P12ihipStream_tbENKUlT_T0_E_clISt17integral_constantIbLb1EESY_IbLb0EEEEDaSU_SV_EUlSU_E_NS1_11comp_targetILNS1_3genE3ELNS1_11target_archE908ELNS1_3gpuE7ELNS1_3repE0EEENS1_30default_config_static_selectorELNS0_4arch9wavefront6targetE0EEEvT1_.num_vgpr, 0
	.set _ZN7rocprim17ROCPRIM_400000_NS6detail17trampoline_kernelINS0_14default_configENS1_27scan_by_key_config_selectorIiiEEZZNS1_16scan_by_key_implILNS1_25lookback_scan_determinismE0ELb0ES3_N6thrust23THRUST_200600_302600_NS6detail15normal_iteratorINS9_10device_ptrIiEEEESE_SE_iNS9_4plusIvEENS9_8equal_toIiEEiEE10hipError_tPvRmT2_T3_T4_T5_mT6_T7_P12ihipStream_tbENKUlT_T0_E_clISt17integral_constantIbLb1EESY_IbLb0EEEEDaSU_SV_EUlSU_E_NS1_11comp_targetILNS1_3genE3ELNS1_11target_archE908ELNS1_3gpuE7ELNS1_3repE0EEENS1_30default_config_static_selectorELNS0_4arch9wavefront6targetE0EEEvT1_.num_agpr, 0
	.set _ZN7rocprim17ROCPRIM_400000_NS6detail17trampoline_kernelINS0_14default_configENS1_27scan_by_key_config_selectorIiiEEZZNS1_16scan_by_key_implILNS1_25lookback_scan_determinismE0ELb0ES3_N6thrust23THRUST_200600_302600_NS6detail15normal_iteratorINS9_10device_ptrIiEEEESE_SE_iNS9_4plusIvEENS9_8equal_toIiEEiEE10hipError_tPvRmT2_T3_T4_T5_mT6_T7_P12ihipStream_tbENKUlT_T0_E_clISt17integral_constantIbLb1EESY_IbLb0EEEEDaSU_SV_EUlSU_E_NS1_11comp_targetILNS1_3genE3ELNS1_11target_archE908ELNS1_3gpuE7ELNS1_3repE0EEENS1_30default_config_static_selectorELNS0_4arch9wavefront6targetE0EEEvT1_.numbered_sgpr, 0
	.set _ZN7rocprim17ROCPRIM_400000_NS6detail17trampoline_kernelINS0_14default_configENS1_27scan_by_key_config_selectorIiiEEZZNS1_16scan_by_key_implILNS1_25lookback_scan_determinismE0ELb0ES3_N6thrust23THRUST_200600_302600_NS6detail15normal_iteratorINS9_10device_ptrIiEEEESE_SE_iNS9_4plusIvEENS9_8equal_toIiEEiEE10hipError_tPvRmT2_T3_T4_T5_mT6_T7_P12ihipStream_tbENKUlT_T0_E_clISt17integral_constantIbLb1EESY_IbLb0EEEEDaSU_SV_EUlSU_E_NS1_11comp_targetILNS1_3genE3ELNS1_11target_archE908ELNS1_3gpuE7ELNS1_3repE0EEENS1_30default_config_static_selectorELNS0_4arch9wavefront6targetE0EEEvT1_.num_named_barrier, 0
	.set _ZN7rocprim17ROCPRIM_400000_NS6detail17trampoline_kernelINS0_14default_configENS1_27scan_by_key_config_selectorIiiEEZZNS1_16scan_by_key_implILNS1_25lookback_scan_determinismE0ELb0ES3_N6thrust23THRUST_200600_302600_NS6detail15normal_iteratorINS9_10device_ptrIiEEEESE_SE_iNS9_4plusIvEENS9_8equal_toIiEEiEE10hipError_tPvRmT2_T3_T4_T5_mT6_T7_P12ihipStream_tbENKUlT_T0_E_clISt17integral_constantIbLb1EESY_IbLb0EEEEDaSU_SV_EUlSU_E_NS1_11comp_targetILNS1_3genE3ELNS1_11target_archE908ELNS1_3gpuE7ELNS1_3repE0EEENS1_30default_config_static_selectorELNS0_4arch9wavefront6targetE0EEEvT1_.private_seg_size, 0
	.set _ZN7rocprim17ROCPRIM_400000_NS6detail17trampoline_kernelINS0_14default_configENS1_27scan_by_key_config_selectorIiiEEZZNS1_16scan_by_key_implILNS1_25lookback_scan_determinismE0ELb0ES3_N6thrust23THRUST_200600_302600_NS6detail15normal_iteratorINS9_10device_ptrIiEEEESE_SE_iNS9_4plusIvEENS9_8equal_toIiEEiEE10hipError_tPvRmT2_T3_T4_T5_mT6_T7_P12ihipStream_tbENKUlT_T0_E_clISt17integral_constantIbLb1EESY_IbLb0EEEEDaSU_SV_EUlSU_E_NS1_11comp_targetILNS1_3genE3ELNS1_11target_archE908ELNS1_3gpuE7ELNS1_3repE0EEENS1_30default_config_static_selectorELNS0_4arch9wavefront6targetE0EEEvT1_.uses_vcc, 0
	.set _ZN7rocprim17ROCPRIM_400000_NS6detail17trampoline_kernelINS0_14default_configENS1_27scan_by_key_config_selectorIiiEEZZNS1_16scan_by_key_implILNS1_25lookback_scan_determinismE0ELb0ES3_N6thrust23THRUST_200600_302600_NS6detail15normal_iteratorINS9_10device_ptrIiEEEESE_SE_iNS9_4plusIvEENS9_8equal_toIiEEiEE10hipError_tPvRmT2_T3_T4_T5_mT6_T7_P12ihipStream_tbENKUlT_T0_E_clISt17integral_constantIbLb1EESY_IbLb0EEEEDaSU_SV_EUlSU_E_NS1_11comp_targetILNS1_3genE3ELNS1_11target_archE908ELNS1_3gpuE7ELNS1_3repE0EEENS1_30default_config_static_selectorELNS0_4arch9wavefront6targetE0EEEvT1_.uses_flat_scratch, 0
	.set _ZN7rocprim17ROCPRIM_400000_NS6detail17trampoline_kernelINS0_14default_configENS1_27scan_by_key_config_selectorIiiEEZZNS1_16scan_by_key_implILNS1_25lookback_scan_determinismE0ELb0ES3_N6thrust23THRUST_200600_302600_NS6detail15normal_iteratorINS9_10device_ptrIiEEEESE_SE_iNS9_4plusIvEENS9_8equal_toIiEEiEE10hipError_tPvRmT2_T3_T4_T5_mT6_T7_P12ihipStream_tbENKUlT_T0_E_clISt17integral_constantIbLb1EESY_IbLb0EEEEDaSU_SV_EUlSU_E_NS1_11comp_targetILNS1_3genE3ELNS1_11target_archE908ELNS1_3gpuE7ELNS1_3repE0EEENS1_30default_config_static_selectorELNS0_4arch9wavefront6targetE0EEEvT1_.has_dyn_sized_stack, 0
	.set _ZN7rocprim17ROCPRIM_400000_NS6detail17trampoline_kernelINS0_14default_configENS1_27scan_by_key_config_selectorIiiEEZZNS1_16scan_by_key_implILNS1_25lookback_scan_determinismE0ELb0ES3_N6thrust23THRUST_200600_302600_NS6detail15normal_iteratorINS9_10device_ptrIiEEEESE_SE_iNS9_4plusIvEENS9_8equal_toIiEEiEE10hipError_tPvRmT2_T3_T4_T5_mT6_T7_P12ihipStream_tbENKUlT_T0_E_clISt17integral_constantIbLb1EESY_IbLb0EEEEDaSU_SV_EUlSU_E_NS1_11comp_targetILNS1_3genE3ELNS1_11target_archE908ELNS1_3gpuE7ELNS1_3repE0EEENS1_30default_config_static_selectorELNS0_4arch9wavefront6targetE0EEEvT1_.has_recursion, 0
	.set _ZN7rocprim17ROCPRIM_400000_NS6detail17trampoline_kernelINS0_14default_configENS1_27scan_by_key_config_selectorIiiEEZZNS1_16scan_by_key_implILNS1_25lookback_scan_determinismE0ELb0ES3_N6thrust23THRUST_200600_302600_NS6detail15normal_iteratorINS9_10device_ptrIiEEEESE_SE_iNS9_4plusIvEENS9_8equal_toIiEEiEE10hipError_tPvRmT2_T3_T4_T5_mT6_T7_P12ihipStream_tbENKUlT_T0_E_clISt17integral_constantIbLb1EESY_IbLb0EEEEDaSU_SV_EUlSU_E_NS1_11comp_targetILNS1_3genE3ELNS1_11target_archE908ELNS1_3gpuE7ELNS1_3repE0EEENS1_30default_config_static_selectorELNS0_4arch9wavefront6targetE0EEEvT1_.has_indirect_call, 0
	.section	.AMDGPU.csdata,"",@progbits
; Kernel info:
; codeLenInByte = 0
; TotalNumSgprs: 0
; NumVgprs: 0
; ScratchSize: 0
; MemoryBound: 0
; FloatMode: 240
; IeeeMode: 1
; LDSByteSize: 0 bytes/workgroup (compile time only)
; SGPRBlocks: 0
; VGPRBlocks: 0
; NumSGPRsForWavesPerEU: 1
; NumVGPRsForWavesPerEU: 1
; Occupancy: 16
; WaveLimiterHint : 0
; COMPUTE_PGM_RSRC2:SCRATCH_EN: 0
; COMPUTE_PGM_RSRC2:USER_SGPR: 6
; COMPUTE_PGM_RSRC2:TRAP_HANDLER: 0
; COMPUTE_PGM_RSRC2:TGID_X_EN: 1
; COMPUTE_PGM_RSRC2:TGID_Y_EN: 0
; COMPUTE_PGM_RSRC2:TGID_Z_EN: 0
; COMPUTE_PGM_RSRC2:TIDIG_COMP_CNT: 0
	.section	.text._ZN7rocprim17ROCPRIM_400000_NS6detail17trampoline_kernelINS0_14default_configENS1_27scan_by_key_config_selectorIiiEEZZNS1_16scan_by_key_implILNS1_25lookback_scan_determinismE0ELb0ES3_N6thrust23THRUST_200600_302600_NS6detail15normal_iteratorINS9_10device_ptrIiEEEESE_SE_iNS9_4plusIvEENS9_8equal_toIiEEiEE10hipError_tPvRmT2_T3_T4_T5_mT6_T7_P12ihipStream_tbENKUlT_T0_E_clISt17integral_constantIbLb1EESY_IbLb0EEEEDaSU_SV_EUlSU_E_NS1_11comp_targetILNS1_3genE2ELNS1_11target_archE906ELNS1_3gpuE6ELNS1_3repE0EEENS1_30default_config_static_selectorELNS0_4arch9wavefront6targetE0EEEvT1_,"axG",@progbits,_ZN7rocprim17ROCPRIM_400000_NS6detail17trampoline_kernelINS0_14default_configENS1_27scan_by_key_config_selectorIiiEEZZNS1_16scan_by_key_implILNS1_25lookback_scan_determinismE0ELb0ES3_N6thrust23THRUST_200600_302600_NS6detail15normal_iteratorINS9_10device_ptrIiEEEESE_SE_iNS9_4plusIvEENS9_8equal_toIiEEiEE10hipError_tPvRmT2_T3_T4_T5_mT6_T7_P12ihipStream_tbENKUlT_T0_E_clISt17integral_constantIbLb1EESY_IbLb0EEEEDaSU_SV_EUlSU_E_NS1_11comp_targetILNS1_3genE2ELNS1_11target_archE906ELNS1_3gpuE6ELNS1_3repE0EEENS1_30default_config_static_selectorELNS0_4arch9wavefront6targetE0EEEvT1_,comdat
	.protected	_ZN7rocprim17ROCPRIM_400000_NS6detail17trampoline_kernelINS0_14default_configENS1_27scan_by_key_config_selectorIiiEEZZNS1_16scan_by_key_implILNS1_25lookback_scan_determinismE0ELb0ES3_N6thrust23THRUST_200600_302600_NS6detail15normal_iteratorINS9_10device_ptrIiEEEESE_SE_iNS9_4plusIvEENS9_8equal_toIiEEiEE10hipError_tPvRmT2_T3_T4_T5_mT6_T7_P12ihipStream_tbENKUlT_T0_E_clISt17integral_constantIbLb1EESY_IbLb0EEEEDaSU_SV_EUlSU_E_NS1_11comp_targetILNS1_3genE2ELNS1_11target_archE906ELNS1_3gpuE6ELNS1_3repE0EEENS1_30default_config_static_selectorELNS0_4arch9wavefront6targetE0EEEvT1_ ; -- Begin function _ZN7rocprim17ROCPRIM_400000_NS6detail17trampoline_kernelINS0_14default_configENS1_27scan_by_key_config_selectorIiiEEZZNS1_16scan_by_key_implILNS1_25lookback_scan_determinismE0ELb0ES3_N6thrust23THRUST_200600_302600_NS6detail15normal_iteratorINS9_10device_ptrIiEEEESE_SE_iNS9_4plusIvEENS9_8equal_toIiEEiEE10hipError_tPvRmT2_T3_T4_T5_mT6_T7_P12ihipStream_tbENKUlT_T0_E_clISt17integral_constantIbLb1EESY_IbLb0EEEEDaSU_SV_EUlSU_E_NS1_11comp_targetILNS1_3genE2ELNS1_11target_archE906ELNS1_3gpuE6ELNS1_3repE0EEENS1_30default_config_static_selectorELNS0_4arch9wavefront6targetE0EEEvT1_
	.globl	_ZN7rocprim17ROCPRIM_400000_NS6detail17trampoline_kernelINS0_14default_configENS1_27scan_by_key_config_selectorIiiEEZZNS1_16scan_by_key_implILNS1_25lookback_scan_determinismE0ELb0ES3_N6thrust23THRUST_200600_302600_NS6detail15normal_iteratorINS9_10device_ptrIiEEEESE_SE_iNS9_4plusIvEENS9_8equal_toIiEEiEE10hipError_tPvRmT2_T3_T4_T5_mT6_T7_P12ihipStream_tbENKUlT_T0_E_clISt17integral_constantIbLb1EESY_IbLb0EEEEDaSU_SV_EUlSU_E_NS1_11comp_targetILNS1_3genE2ELNS1_11target_archE906ELNS1_3gpuE6ELNS1_3repE0EEENS1_30default_config_static_selectorELNS0_4arch9wavefront6targetE0EEEvT1_
	.p2align	8
	.type	_ZN7rocprim17ROCPRIM_400000_NS6detail17trampoline_kernelINS0_14default_configENS1_27scan_by_key_config_selectorIiiEEZZNS1_16scan_by_key_implILNS1_25lookback_scan_determinismE0ELb0ES3_N6thrust23THRUST_200600_302600_NS6detail15normal_iteratorINS9_10device_ptrIiEEEESE_SE_iNS9_4plusIvEENS9_8equal_toIiEEiEE10hipError_tPvRmT2_T3_T4_T5_mT6_T7_P12ihipStream_tbENKUlT_T0_E_clISt17integral_constantIbLb1EESY_IbLb0EEEEDaSU_SV_EUlSU_E_NS1_11comp_targetILNS1_3genE2ELNS1_11target_archE906ELNS1_3gpuE6ELNS1_3repE0EEENS1_30default_config_static_selectorELNS0_4arch9wavefront6targetE0EEEvT1_,@function
_ZN7rocprim17ROCPRIM_400000_NS6detail17trampoline_kernelINS0_14default_configENS1_27scan_by_key_config_selectorIiiEEZZNS1_16scan_by_key_implILNS1_25lookback_scan_determinismE0ELb0ES3_N6thrust23THRUST_200600_302600_NS6detail15normal_iteratorINS9_10device_ptrIiEEEESE_SE_iNS9_4plusIvEENS9_8equal_toIiEEiEE10hipError_tPvRmT2_T3_T4_T5_mT6_T7_P12ihipStream_tbENKUlT_T0_E_clISt17integral_constantIbLb1EESY_IbLb0EEEEDaSU_SV_EUlSU_E_NS1_11comp_targetILNS1_3genE2ELNS1_11target_archE906ELNS1_3gpuE6ELNS1_3repE0EEENS1_30default_config_static_selectorELNS0_4arch9wavefront6targetE0EEEvT1_: ; @_ZN7rocprim17ROCPRIM_400000_NS6detail17trampoline_kernelINS0_14default_configENS1_27scan_by_key_config_selectorIiiEEZZNS1_16scan_by_key_implILNS1_25lookback_scan_determinismE0ELb0ES3_N6thrust23THRUST_200600_302600_NS6detail15normal_iteratorINS9_10device_ptrIiEEEESE_SE_iNS9_4plusIvEENS9_8equal_toIiEEiEE10hipError_tPvRmT2_T3_T4_T5_mT6_T7_P12ihipStream_tbENKUlT_T0_E_clISt17integral_constantIbLb1EESY_IbLb0EEEEDaSU_SV_EUlSU_E_NS1_11comp_targetILNS1_3genE2ELNS1_11target_archE906ELNS1_3gpuE6ELNS1_3repE0EEENS1_30default_config_static_selectorELNS0_4arch9wavefront6targetE0EEEvT1_
; %bb.0:
	.section	.rodata,"a",@progbits
	.p2align	6, 0x0
	.amdhsa_kernel _ZN7rocprim17ROCPRIM_400000_NS6detail17trampoline_kernelINS0_14default_configENS1_27scan_by_key_config_selectorIiiEEZZNS1_16scan_by_key_implILNS1_25lookback_scan_determinismE0ELb0ES3_N6thrust23THRUST_200600_302600_NS6detail15normal_iteratorINS9_10device_ptrIiEEEESE_SE_iNS9_4plusIvEENS9_8equal_toIiEEiEE10hipError_tPvRmT2_T3_T4_T5_mT6_T7_P12ihipStream_tbENKUlT_T0_E_clISt17integral_constantIbLb1EESY_IbLb0EEEEDaSU_SV_EUlSU_E_NS1_11comp_targetILNS1_3genE2ELNS1_11target_archE906ELNS1_3gpuE6ELNS1_3repE0EEENS1_30default_config_static_selectorELNS0_4arch9wavefront6targetE0EEEvT1_
		.amdhsa_group_segment_fixed_size 0
		.amdhsa_private_segment_fixed_size 0
		.amdhsa_kernarg_size 112
		.amdhsa_user_sgpr_count 6
		.amdhsa_user_sgpr_private_segment_buffer 1
		.amdhsa_user_sgpr_dispatch_ptr 0
		.amdhsa_user_sgpr_queue_ptr 0
		.amdhsa_user_sgpr_kernarg_segment_ptr 1
		.amdhsa_user_sgpr_dispatch_id 0
		.amdhsa_user_sgpr_flat_scratch_init 0
		.amdhsa_user_sgpr_private_segment_size 0
		.amdhsa_wavefront_size32 1
		.amdhsa_uses_dynamic_stack 0
		.amdhsa_system_sgpr_private_segment_wavefront_offset 0
		.amdhsa_system_sgpr_workgroup_id_x 1
		.amdhsa_system_sgpr_workgroup_id_y 0
		.amdhsa_system_sgpr_workgroup_id_z 0
		.amdhsa_system_sgpr_workgroup_info 0
		.amdhsa_system_vgpr_workitem_id 0
		.amdhsa_next_free_vgpr 1
		.amdhsa_next_free_sgpr 1
		.amdhsa_reserve_vcc 0
		.amdhsa_reserve_flat_scratch 0
		.amdhsa_float_round_mode_32 0
		.amdhsa_float_round_mode_16_64 0
		.amdhsa_float_denorm_mode_32 3
		.amdhsa_float_denorm_mode_16_64 3
		.amdhsa_dx10_clamp 1
		.amdhsa_ieee_mode 1
		.amdhsa_fp16_overflow 0
		.amdhsa_workgroup_processor_mode 1
		.amdhsa_memory_ordered 1
		.amdhsa_forward_progress 1
		.amdhsa_shared_vgpr_count 0
		.amdhsa_exception_fp_ieee_invalid_op 0
		.amdhsa_exception_fp_denorm_src 0
		.amdhsa_exception_fp_ieee_div_zero 0
		.amdhsa_exception_fp_ieee_overflow 0
		.amdhsa_exception_fp_ieee_underflow 0
		.amdhsa_exception_fp_ieee_inexact 0
		.amdhsa_exception_int_div_zero 0
	.end_amdhsa_kernel
	.section	.text._ZN7rocprim17ROCPRIM_400000_NS6detail17trampoline_kernelINS0_14default_configENS1_27scan_by_key_config_selectorIiiEEZZNS1_16scan_by_key_implILNS1_25lookback_scan_determinismE0ELb0ES3_N6thrust23THRUST_200600_302600_NS6detail15normal_iteratorINS9_10device_ptrIiEEEESE_SE_iNS9_4plusIvEENS9_8equal_toIiEEiEE10hipError_tPvRmT2_T3_T4_T5_mT6_T7_P12ihipStream_tbENKUlT_T0_E_clISt17integral_constantIbLb1EESY_IbLb0EEEEDaSU_SV_EUlSU_E_NS1_11comp_targetILNS1_3genE2ELNS1_11target_archE906ELNS1_3gpuE6ELNS1_3repE0EEENS1_30default_config_static_selectorELNS0_4arch9wavefront6targetE0EEEvT1_,"axG",@progbits,_ZN7rocprim17ROCPRIM_400000_NS6detail17trampoline_kernelINS0_14default_configENS1_27scan_by_key_config_selectorIiiEEZZNS1_16scan_by_key_implILNS1_25lookback_scan_determinismE0ELb0ES3_N6thrust23THRUST_200600_302600_NS6detail15normal_iteratorINS9_10device_ptrIiEEEESE_SE_iNS9_4plusIvEENS9_8equal_toIiEEiEE10hipError_tPvRmT2_T3_T4_T5_mT6_T7_P12ihipStream_tbENKUlT_T0_E_clISt17integral_constantIbLb1EESY_IbLb0EEEEDaSU_SV_EUlSU_E_NS1_11comp_targetILNS1_3genE2ELNS1_11target_archE906ELNS1_3gpuE6ELNS1_3repE0EEENS1_30default_config_static_selectorELNS0_4arch9wavefront6targetE0EEEvT1_,comdat
.Lfunc_end223:
	.size	_ZN7rocprim17ROCPRIM_400000_NS6detail17trampoline_kernelINS0_14default_configENS1_27scan_by_key_config_selectorIiiEEZZNS1_16scan_by_key_implILNS1_25lookback_scan_determinismE0ELb0ES3_N6thrust23THRUST_200600_302600_NS6detail15normal_iteratorINS9_10device_ptrIiEEEESE_SE_iNS9_4plusIvEENS9_8equal_toIiEEiEE10hipError_tPvRmT2_T3_T4_T5_mT6_T7_P12ihipStream_tbENKUlT_T0_E_clISt17integral_constantIbLb1EESY_IbLb0EEEEDaSU_SV_EUlSU_E_NS1_11comp_targetILNS1_3genE2ELNS1_11target_archE906ELNS1_3gpuE6ELNS1_3repE0EEENS1_30default_config_static_selectorELNS0_4arch9wavefront6targetE0EEEvT1_, .Lfunc_end223-_ZN7rocprim17ROCPRIM_400000_NS6detail17trampoline_kernelINS0_14default_configENS1_27scan_by_key_config_selectorIiiEEZZNS1_16scan_by_key_implILNS1_25lookback_scan_determinismE0ELb0ES3_N6thrust23THRUST_200600_302600_NS6detail15normal_iteratorINS9_10device_ptrIiEEEESE_SE_iNS9_4plusIvEENS9_8equal_toIiEEiEE10hipError_tPvRmT2_T3_T4_T5_mT6_T7_P12ihipStream_tbENKUlT_T0_E_clISt17integral_constantIbLb1EESY_IbLb0EEEEDaSU_SV_EUlSU_E_NS1_11comp_targetILNS1_3genE2ELNS1_11target_archE906ELNS1_3gpuE6ELNS1_3repE0EEENS1_30default_config_static_selectorELNS0_4arch9wavefront6targetE0EEEvT1_
                                        ; -- End function
	.set _ZN7rocprim17ROCPRIM_400000_NS6detail17trampoline_kernelINS0_14default_configENS1_27scan_by_key_config_selectorIiiEEZZNS1_16scan_by_key_implILNS1_25lookback_scan_determinismE0ELb0ES3_N6thrust23THRUST_200600_302600_NS6detail15normal_iteratorINS9_10device_ptrIiEEEESE_SE_iNS9_4plusIvEENS9_8equal_toIiEEiEE10hipError_tPvRmT2_T3_T4_T5_mT6_T7_P12ihipStream_tbENKUlT_T0_E_clISt17integral_constantIbLb1EESY_IbLb0EEEEDaSU_SV_EUlSU_E_NS1_11comp_targetILNS1_3genE2ELNS1_11target_archE906ELNS1_3gpuE6ELNS1_3repE0EEENS1_30default_config_static_selectorELNS0_4arch9wavefront6targetE0EEEvT1_.num_vgpr, 0
	.set _ZN7rocprim17ROCPRIM_400000_NS6detail17trampoline_kernelINS0_14default_configENS1_27scan_by_key_config_selectorIiiEEZZNS1_16scan_by_key_implILNS1_25lookback_scan_determinismE0ELb0ES3_N6thrust23THRUST_200600_302600_NS6detail15normal_iteratorINS9_10device_ptrIiEEEESE_SE_iNS9_4plusIvEENS9_8equal_toIiEEiEE10hipError_tPvRmT2_T3_T4_T5_mT6_T7_P12ihipStream_tbENKUlT_T0_E_clISt17integral_constantIbLb1EESY_IbLb0EEEEDaSU_SV_EUlSU_E_NS1_11comp_targetILNS1_3genE2ELNS1_11target_archE906ELNS1_3gpuE6ELNS1_3repE0EEENS1_30default_config_static_selectorELNS0_4arch9wavefront6targetE0EEEvT1_.num_agpr, 0
	.set _ZN7rocprim17ROCPRIM_400000_NS6detail17trampoline_kernelINS0_14default_configENS1_27scan_by_key_config_selectorIiiEEZZNS1_16scan_by_key_implILNS1_25lookback_scan_determinismE0ELb0ES3_N6thrust23THRUST_200600_302600_NS6detail15normal_iteratorINS9_10device_ptrIiEEEESE_SE_iNS9_4plusIvEENS9_8equal_toIiEEiEE10hipError_tPvRmT2_T3_T4_T5_mT6_T7_P12ihipStream_tbENKUlT_T0_E_clISt17integral_constantIbLb1EESY_IbLb0EEEEDaSU_SV_EUlSU_E_NS1_11comp_targetILNS1_3genE2ELNS1_11target_archE906ELNS1_3gpuE6ELNS1_3repE0EEENS1_30default_config_static_selectorELNS0_4arch9wavefront6targetE0EEEvT1_.numbered_sgpr, 0
	.set _ZN7rocprim17ROCPRIM_400000_NS6detail17trampoline_kernelINS0_14default_configENS1_27scan_by_key_config_selectorIiiEEZZNS1_16scan_by_key_implILNS1_25lookback_scan_determinismE0ELb0ES3_N6thrust23THRUST_200600_302600_NS6detail15normal_iteratorINS9_10device_ptrIiEEEESE_SE_iNS9_4plusIvEENS9_8equal_toIiEEiEE10hipError_tPvRmT2_T3_T4_T5_mT6_T7_P12ihipStream_tbENKUlT_T0_E_clISt17integral_constantIbLb1EESY_IbLb0EEEEDaSU_SV_EUlSU_E_NS1_11comp_targetILNS1_3genE2ELNS1_11target_archE906ELNS1_3gpuE6ELNS1_3repE0EEENS1_30default_config_static_selectorELNS0_4arch9wavefront6targetE0EEEvT1_.num_named_barrier, 0
	.set _ZN7rocprim17ROCPRIM_400000_NS6detail17trampoline_kernelINS0_14default_configENS1_27scan_by_key_config_selectorIiiEEZZNS1_16scan_by_key_implILNS1_25lookback_scan_determinismE0ELb0ES3_N6thrust23THRUST_200600_302600_NS6detail15normal_iteratorINS9_10device_ptrIiEEEESE_SE_iNS9_4plusIvEENS9_8equal_toIiEEiEE10hipError_tPvRmT2_T3_T4_T5_mT6_T7_P12ihipStream_tbENKUlT_T0_E_clISt17integral_constantIbLb1EESY_IbLb0EEEEDaSU_SV_EUlSU_E_NS1_11comp_targetILNS1_3genE2ELNS1_11target_archE906ELNS1_3gpuE6ELNS1_3repE0EEENS1_30default_config_static_selectorELNS0_4arch9wavefront6targetE0EEEvT1_.private_seg_size, 0
	.set _ZN7rocprim17ROCPRIM_400000_NS6detail17trampoline_kernelINS0_14default_configENS1_27scan_by_key_config_selectorIiiEEZZNS1_16scan_by_key_implILNS1_25lookback_scan_determinismE0ELb0ES3_N6thrust23THRUST_200600_302600_NS6detail15normal_iteratorINS9_10device_ptrIiEEEESE_SE_iNS9_4plusIvEENS9_8equal_toIiEEiEE10hipError_tPvRmT2_T3_T4_T5_mT6_T7_P12ihipStream_tbENKUlT_T0_E_clISt17integral_constantIbLb1EESY_IbLb0EEEEDaSU_SV_EUlSU_E_NS1_11comp_targetILNS1_3genE2ELNS1_11target_archE906ELNS1_3gpuE6ELNS1_3repE0EEENS1_30default_config_static_selectorELNS0_4arch9wavefront6targetE0EEEvT1_.uses_vcc, 0
	.set _ZN7rocprim17ROCPRIM_400000_NS6detail17trampoline_kernelINS0_14default_configENS1_27scan_by_key_config_selectorIiiEEZZNS1_16scan_by_key_implILNS1_25lookback_scan_determinismE0ELb0ES3_N6thrust23THRUST_200600_302600_NS6detail15normal_iteratorINS9_10device_ptrIiEEEESE_SE_iNS9_4plusIvEENS9_8equal_toIiEEiEE10hipError_tPvRmT2_T3_T4_T5_mT6_T7_P12ihipStream_tbENKUlT_T0_E_clISt17integral_constantIbLb1EESY_IbLb0EEEEDaSU_SV_EUlSU_E_NS1_11comp_targetILNS1_3genE2ELNS1_11target_archE906ELNS1_3gpuE6ELNS1_3repE0EEENS1_30default_config_static_selectorELNS0_4arch9wavefront6targetE0EEEvT1_.uses_flat_scratch, 0
	.set _ZN7rocprim17ROCPRIM_400000_NS6detail17trampoline_kernelINS0_14default_configENS1_27scan_by_key_config_selectorIiiEEZZNS1_16scan_by_key_implILNS1_25lookback_scan_determinismE0ELb0ES3_N6thrust23THRUST_200600_302600_NS6detail15normal_iteratorINS9_10device_ptrIiEEEESE_SE_iNS9_4plusIvEENS9_8equal_toIiEEiEE10hipError_tPvRmT2_T3_T4_T5_mT6_T7_P12ihipStream_tbENKUlT_T0_E_clISt17integral_constantIbLb1EESY_IbLb0EEEEDaSU_SV_EUlSU_E_NS1_11comp_targetILNS1_3genE2ELNS1_11target_archE906ELNS1_3gpuE6ELNS1_3repE0EEENS1_30default_config_static_selectorELNS0_4arch9wavefront6targetE0EEEvT1_.has_dyn_sized_stack, 0
	.set _ZN7rocprim17ROCPRIM_400000_NS6detail17trampoline_kernelINS0_14default_configENS1_27scan_by_key_config_selectorIiiEEZZNS1_16scan_by_key_implILNS1_25lookback_scan_determinismE0ELb0ES3_N6thrust23THRUST_200600_302600_NS6detail15normal_iteratorINS9_10device_ptrIiEEEESE_SE_iNS9_4plusIvEENS9_8equal_toIiEEiEE10hipError_tPvRmT2_T3_T4_T5_mT6_T7_P12ihipStream_tbENKUlT_T0_E_clISt17integral_constantIbLb1EESY_IbLb0EEEEDaSU_SV_EUlSU_E_NS1_11comp_targetILNS1_3genE2ELNS1_11target_archE906ELNS1_3gpuE6ELNS1_3repE0EEENS1_30default_config_static_selectorELNS0_4arch9wavefront6targetE0EEEvT1_.has_recursion, 0
	.set _ZN7rocprim17ROCPRIM_400000_NS6detail17trampoline_kernelINS0_14default_configENS1_27scan_by_key_config_selectorIiiEEZZNS1_16scan_by_key_implILNS1_25lookback_scan_determinismE0ELb0ES3_N6thrust23THRUST_200600_302600_NS6detail15normal_iteratorINS9_10device_ptrIiEEEESE_SE_iNS9_4plusIvEENS9_8equal_toIiEEiEE10hipError_tPvRmT2_T3_T4_T5_mT6_T7_P12ihipStream_tbENKUlT_T0_E_clISt17integral_constantIbLb1EESY_IbLb0EEEEDaSU_SV_EUlSU_E_NS1_11comp_targetILNS1_3genE2ELNS1_11target_archE906ELNS1_3gpuE6ELNS1_3repE0EEENS1_30default_config_static_selectorELNS0_4arch9wavefront6targetE0EEEvT1_.has_indirect_call, 0
	.section	.AMDGPU.csdata,"",@progbits
; Kernel info:
; codeLenInByte = 0
; TotalNumSgprs: 0
; NumVgprs: 0
; ScratchSize: 0
; MemoryBound: 0
; FloatMode: 240
; IeeeMode: 1
; LDSByteSize: 0 bytes/workgroup (compile time only)
; SGPRBlocks: 0
; VGPRBlocks: 0
; NumSGPRsForWavesPerEU: 1
; NumVGPRsForWavesPerEU: 1
; Occupancy: 16
; WaveLimiterHint : 0
; COMPUTE_PGM_RSRC2:SCRATCH_EN: 0
; COMPUTE_PGM_RSRC2:USER_SGPR: 6
; COMPUTE_PGM_RSRC2:TRAP_HANDLER: 0
; COMPUTE_PGM_RSRC2:TGID_X_EN: 1
; COMPUTE_PGM_RSRC2:TGID_Y_EN: 0
; COMPUTE_PGM_RSRC2:TGID_Z_EN: 0
; COMPUTE_PGM_RSRC2:TIDIG_COMP_CNT: 0
	.section	.text._ZN7rocprim17ROCPRIM_400000_NS6detail17trampoline_kernelINS0_14default_configENS1_27scan_by_key_config_selectorIiiEEZZNS1_16scan_by_key_implILNS1_25lookback_scan_determinismE0ELb0ES3_N6thrust23THRUST_200600_302600_NS6detail15normal_iteratorINS9_10device_ptrIiEEEESE_SE_iNS9_4plusIvEENS9_8equal_toIiEEiEE10hipError_tPvRmT2_T3_T4_T5_mT6_T7_P12ihipStream_tbENKUlT_T0_E_clISt17integral_constantIbLb1EESY_IbLb0EEEEDaSU_SV_EUlSU_E_NS1_11comp_targetILNS1_3genE10ELNS1_11target_archE1200ELNS1_3gpuE4ELNS1_3repE0EEENS1_30default_config_static_selectorELNS0_4arch9wavefront6targetE0EEEvT1_,"axG",@progbits,_ZN7rocprim17ROCPRIM_400000_NS6detail17trampoline_kernelINS0_14default_configENS1_27scan_by_key_config_selectorIiiEEZZNS1_16scan_by_key_implILNS1_25lookback_scan_determinismE0ELb0ES3_N6thrust23THRUST_200600_302600_NS6detail15normal_iteratorINS9_10device_ptrIiEEEESE_SE_iNS9_4plusIvEENS9_8equal_toIiEEiEE10hipError_tPvRmT2_T3_T4_T5_mT6_T7_P12ihipStream_tbENKUlT_T0_E_clISt17integral_constantIbLb1EESY_IbLb0EEEEDaSU_SV_EUlSU_E_NS1_11comp_targetILNS1_3genE10ELNS1_11target_archE1200ELNS1_3gpuE4ELNS1_3repE0EEENS1_30default_config_static_selectorELNS0_4arch9wavefront6targetE0EEEvT1_,comdat
	.protected	_ZN7rocprim17ROCPRIM_400000_NS6detail17trampoline_kernelINS0_14default_configENS1_27scan_by_key_config_selectorIiiEEZZNS1_16scan_by_key_implILNS1_25lookback_scan_determinismE0ELb0ES3_N6thrust23THRUST_200600_302600_NS6detail15normal_iteratorINS9_10device_ptrIiEEEESE_SE_iNS9_4plusIvEENS9_8equal_toIiEEiEE10hipError_tPvRmT2_T3_T4_T5_mT6_T7_P12ihipStream_tbENKUlT_T0_E_clISt17integral_constantIbLb1EESY_IbLb0EEEEDaSU_SV_EUlSU_E_NS1_11comp_targetILNS1_3genE10ELNS1_11target_archE1200ELNS1_3gpuE4ELNS1_3repE0EEENS1_30default_config_static_selectorELNS0_4arch9wavefront6targetE0EEEvT1_ ; -- Begin function _ZN7rocprim17ROCPRIM_400000_NS6detail17trampoline_kernelINS0_14default_configENS1_27scan_by_key_config_selectorIiiEEZZNS1_16scan_by_key_implILNS1_25lookback_scan_determinismE0ELb0ES3_N6thrust23THRUST_200600_302600_NS6detail15normal_iteratorINS9_10device_ptrIiEEEESE_SE_iNS9_4plusIvEENS9_8equal_toIiEEiEE10hipError_tPvRmT2_T3_T4_T5_mT6_T7_P12ihipStream_tbENKUlT_T0_E_clISt17integral_constantIbLb1EESY_IbLb0EEEEDaSU_SV_EUlSU_E_NS1_11comp_targetILNS1_3genE10ELNS1_11target_archE1200ELNS1_3gpuE4ELNS1_3repE0EEENS1_30default_config_static_selectorELNS0_4arch9wavefront6targetE0EEEvT1_
	.globl	_ZN7rocprim17ROCPRIM_400000_NS6detail17trampoline_kernelINS0_14default_configENS1_27scan_by_key_config_selectorIiiEEZZNS1_16scan_by_key_implILNS1_25lookback_scan_determinismE0ELb0ES3_N6thrust23THRUST_200600_302600_NS6detail15normal_iteratorINS9_10device_ptrIiEEEESE_SE_iNS9_4plusIvEENS9_8equal_toIiEEiEE10hipError_tPvRmT2_T3_T4_T5_mT6_T7_P12ihipStream_tbENKUlT_T0_E_clISt17integral_constantIbLb1EESY_IbLb0EEEEDaSU_SV_EUlSU_E_NS1_11comp_targetILNS1_3genE10ELNS1_11target_archE1200ELNS1_3gpuE4ELNS1_3repE0EEENS1_30default_config_static_selectorELNS0_4arch9wavefront6targetE0EEEvT1_
	.p2align	8
	.type	_ZN7rocprim17ROCPRIM_400000_NS6detail17trampoline_kernelINS0_14default_configENS1_27scan_by_key_config_selectorIiiEEZZNS1_16scan_by_key_implILNS1_25lookback_scan_determinismE0ELb0ES3_N6thrust23THRUST_200600_302600_NS6detail15normal_iteratorINS9_10device_ptrIiEEEESE_SE_iNS9_4plusIvEENS9_8equal_toIiEEiEE10hipError_tPvRmT2_T3_T4_T5_mT6_T7_P12ihipStream_tbENKUlT_T0_E_clISt17integral_constantIbLb1EESY_IbLb0EEEEDaSU_SV_EUlSU_E_NS1_11comp_targetILNS1_3genE10ELNS1_11target_archE1200ELNS1_3gpuE4ELNS1_3repE0EEENS1_30default_config_static_selectorELNS0_4arch9wavefront6targetE0EEEvT1_,@function
_ZN7rocprim17ROCPRIM_400000_NS6detail17trampoline_kernelINS0_14default_configENS1_27scan_by_key_config_selectorIiiEEZZNS1_16scan_by_key_implILNS1_25lookback_scan_determinismE0ELb0ES3_N6thrust23THRUST_200600_302600_NS6detail15normal_iteratorINS9_10device_ptrIiEEEESE_SE_iNS9_4plusIvEENS9_8equal_toIiEEiEE10hipError_tPvRmT2_T3_T4_T5_mT6_T7_P12ihipStream_tbENKUlT_T0_E_clISt17integral_constantIbLb1EESY_IbLb0EEEEDaSU_SV_EUlSU_E_NS1_11comp_targetILNS1_3genE10ELNS1_11target_archE1200ELNS1_3gpuE4ELNS1_3repE0EEENS1_30default_config_static_selectorELNS0_4arch9wavefront6targetE0EEEvT1_: ; @_ZN7rocprim17ROCPRIM_400000_NS6detail17trampoline_kernelINS0_14default_configENS1_27scan_by_key_config_selectorIiiEEZZNS1_16scan_by_key_implILNS1_25lookback_scan_determinismE0ELb0ES3_N6thrust23THRUST_200600_302600_NS6detail15normal_iteratorINS9_10device_ptrIiEEEESE_SE_iNS9_4plusIvEENS9_8equal_toIiEEiEE10hipError_tPvRmT2_T3_T4_T5_mT6_T7_P12ihipStream_tbENKUlT_T0_E_clISt17integral_constantIbLb1EESY_IbLb0EEEEDaSU_SV_EUlSU_E_NS1_11comp_targetILNS1_3genE10ELNS1_11target_archE1200ELNS1_3gpuE4ELNS1_3repE0EEENS1_30default_config_static_selectorELNS0_4arch9wavefront6targetE0EEEvT1_
; %bb.0:
	.section	.rodata,"a",@progbits
	.p2align	6, 0x0
	.amdhsa_kernel _ZN7rocprim17ROCPRIM_400000_NS6detail17trampoline_kernelINS0_14default_configENS1_27scan_by_key_config_selectorIiiEEZZNS1_16scan_by_key_implILNS1_25lookback_scan_determinismE0ELb0ES3_N6thrust23THRUST_200600_302600_NS6detail15normal_iteratorINS9_10device_ptrIiEEEESE_SE_iNS9_4plusIvEENS9_8equal_toIiEEiEE10hipError_tPvRmT2_T3_T4_T5_mT6_T7_P12ihipStream_tbENKUlT_T0_E_clISt17integral_constantIbLb1EESY_IbLb0EEEEDaSU_SV_EUlSU_E_NS1_11comp_targetILNS1_3genE10ELNS1_11target_archE1200ELNS1_3gpuE4ELNS1_3repE0EEENS1_30default_config_static_selectorELNS0_4arch9wavefront6targetE0EEEvT1_
		.amdhsa_group_segment_fixed_size 0
		.amdhsa_private_segment_fixed_size 0
		.amdhsa_kernarg_size 112
		.amdhsa_user_sgpr_count 6
		.amdhsa_user_sgpr_private_segment_buffer 1
		.amdhsa_user_sgpr_dispatch_ptr 0
		.amdhsa_user_sgpr_queue_ptr 0
		.amdhsa_user_sgpr_kernarg_segment_ptr 1
		.amdhsa_user_sgpr_dispatch_id 0
		.amdhsa_user_sgpr_flat_scratch_init 0
		.amdhsa_user_sgpr_private_segment_size 0
		.amdhsa_wavefront_size32 1
		.amdhsa_uses_dynamic_stack 0
		.amdhsa_system_sgpr_private_segment_wavefront_offset 0
		.amdhsa_system_sgpr_workgroup_id_x 1
		.amdhsa_system_sgpr_workgroup_id_y 0
		.amdhsa_system_sgpr_workgroup_id_z 0
		.amdhsa_system_sgpr_workgroup_info 0
		.amdhsa_system_vgpr_workitem_id 0
		.amdhsa_next_free_vgpr 1
		.amdhsa_next_free_sgpr 1
		.amdhsa_reserve_vcc 0
		.amdhsa_reserve_flat_scratch 0
		.amdhsa_float_round_mode_32 0
		.amdhsa_float_round_mode_16_64 0
		.amdhsa_float_denorm_mode_32 3
		.amdhsa_float_denorm_mode_16_64 3
		.amdhsa_dx10_clamp 1
		.amdhsa_ieee_mode 1
		.amdhsa_fp16_overflow 0
		.amdhsa_workgroup_processor_mode 1
		.amdhsa_memory_ordered 1
		.amdhsa_forward_progress 1
		.amdhsa_shared_vgpr_count 0
		.amdhsa_exception_fp_ieee_invalid_op 0
		.amdhsa_exception_fp_denorm_src 0
		.amdhsa_exception_fp_ieee_div_zero 0
		.amdhsa_exception_fp_ieee_overflow 0
		.amdhsa_exception_fp_ieee_underflow 0
		.amdhsa_exception_fp_ieee_inexact 0
		.amdhsa_exception_int_div_zero 0
	.end_amdhsa_kernel
	.section	.text._ZN7rocprim17ROCPRIM_400000_NS6detail17trampoline_kernelINS0_14default_configENS1_27scan_by_key_config_selectorIiiEEZZNS1_16scan_by_key_implILNS1_25lookback_scan_determinismE0ELb0ES3_N6thrust23THRUST_200600_302600_NS6detail15normal_iteratorINS9_10device_ptrIiEEEESE_SE_iNS9_4plusIvEENS9_8equal_toIiEEiEE10hipError_tPvRmT2_T3_T4_T5_mT6_T7_P12ihipStream_tbENKUlT_T0_E_clISt17integral_constantIbLb1EESY_IbLb0EEEEDaSU_SV_EUlSU_E_NS1_11comp_targetILNS1_3genE10ELNS1_11target_archE1200ELNS1_3gpuE4ELNS1_3repE0EEENS1_30default_config_static_selectorELNS0_4arch9wavefront6targetE0EEEvT1_,"axG",@progbits,_ZN7rocprim17ROCPRIM_400000_NS6detail17trampoline_kernelINS0_14default_configENS1_27scan_by_key_config_selectorIiiEEZZNS1_16scan_by_key_implILNS1_25lookback_scan_determinismE0ELb0ES3_N6thrust23THRUST_200600_302600_NS6detail15normal_iteratorINS9_10device_ptrIiEEEESE_SE_iNS9_4plusIvEENS9_8equal_toIiEEiEE10hipError_tPvRmT2_T3_T4_T5_mT6_T7_P12ihipStream_tbENKUlT_T0_E_clISt17integral_constantIbLb1EESY_IbLb0EEEEDaSU_SV_EUlSU_E_NS1_11comp_targetILNS1_3genE10ELNS1_11target_archE1200ELNS1_3gpuE4ELNS1_3repE0EEENS1_30default_config_static_selectorELNS0_4arch9wavefront6targetE0EEEvT1_,comdat
.Lfunc_end224:
	.size	_ZN7rocprim17ROCPRIM_400000_NS6detail17trampoline_kernelINS0_14default_configENS1_27scan_by_key_config_selectorIiiEEZZNS1_16scan_by_key_implILNS1_25lookback_scan_determinismE0ELb0ES3_N6thrust23THRUST_200600_302600_NS6detail15normal_iteratorINS9_10device_ptrIiEEEESE_SE_iNS9_4plusIvEENS9_8equal_toIiEEiEE10hipError_tPvRmT2_T3_T4_T5_mT6_T7_P12ihipStream_tbENKUlT_T0_E_clISt17integral_constantIbLb1EESY_IbLb0EEEEDaSU_SV_EUlSU_E_NS1_11comp_targetILNS1_3genE10ELNS1_11target_archE1200ELNS1_3gpuE4ELNS1_3repE0EEENS1_30default_config_static_selectorELNS0_4arch9wavefront6targetE0EEEvT1_, .Lfunc_end224-_ZN7rocprim17ROCPRIM_400000_NS6detail17trampoline_kernelINS0_14default_configENS1_27scan_by_key_config_selectorIiiEEZZNS1_16scan_by_key_implILNS1_25lookback_scan_determinismE0ELb0ES3_N6thrust23THRUST_200600_302600_NS6detail15normal_iteratorINS9_10device_ptrIiEEEESE_SE_iNS9_4plusIvEENS9_8equal_toIiEEiEE10hipError_tPvRmT2_T3_T4_T5_mT6_T7_P12ihipStream_tbENKUlT_T0_E_clISt17integral_constantIbLb1EESY_IbLb0EEEEDaSU_SV_EUlSU_E_NS1_11comp_targetILNS1_3genE10ELNS1_11target_archE1200ELNS1_3gpuE4ELNS1_3repE0EEENS1_30default_config_static_selectorELNS0_4arch9wavefront6targetE0EEEvT1_
                                        ; -- End function
	.set _ZN7rocprim17ROCPRIM_400000_NS6detail17trampoline_kernelINS0_14default_configENS1_27scan_by_key_config_selectorIiiEEZZNS1_16scan_by_key_implILNS1_25lookback_scan_determinismE0ELb0ES3_N6thrust23THRUST_200600_302600_NS6detail15normal_iteratorINS9_10device_ptrIiEEEESE_SE_iNS9_4plusIvEENS9_8equal_toIiEEiEE10hipError_tPvRmT2_T3_T4_T5_mT6_T7_P12ihipStream_tbENKUlT_T0_E_clISt17integral_constantIbLb1EESY_IbLb0EEEEDaSU_SV_EUlSU_E_NS1_11comp_targetILNS1_3genE10ELNS1_11target_archE1200ELNS1_3gpuE4ELNS1_3repE0EEENS1_30default_config_static_selectorELNS0_4arch9wavefront6targetE0EEEvT1_.num_vgpr, 0
	.set _ZN7rocprim17ROCPRIM_400000_NS6detail17trampoline_kernelINS0_14default_configENS1_27scan_by_key_config_selectorIiiEEZZNS1_16scan_by_key_implILNS1_25lookback_scan_determinismE0ELb0ES3_N6thrust23THRUST_200600_302600_NS6detail15normal_iteratorINS9_10device_ptrIiEEEESE_SE_iNS9_4plusIvEENS9_8equal_toIiEEiEE10hipError_tPvRmT2_T3_T4_T5_mT6_T7_P12ihipStream_tbENKUlT_T0_E_clISt17integral_constantIbLb1EESY_IbLb0EEEEDaSU_SV_EUlSU_E_NS1_11comp_targetILNS1_3genE10ELNS1_11target_archE1200ELNS1_3gpuE4ELNS1_3repE0EEENS1_30default_config_static_selectorELNS0_4arch9wavefront6targetE0EEEvT1_.num_agpr, 0
	.set _ZN7rocprim17ROCPRIM_400000_NS6detail17trampoline_kernelINS0_14default_configENS1_27scan_by_key_config_selectorIiiEEZZNS1_16scan_by_key_implILNS1_25lookback_scan_determinismE0ELb0ES3_N6thrust23THRUST_200600_302600_NS6detail15normal_iteratorINS9_10device_ptrIiEEEESE_SE_iNS9_4plusIvEENS9_8equal_toIiEEiEE10hipError_tPvRmT2_T3_T4_T5_mT6_T7_P12ihipStream_tbENKUlT_T0_E_clISt17integral_constantIbLb1EESY_IbLb0EEEEDaSU_SV_EUlSU_E_NS1_11comp_targetILNS1_3genE10ELNS1_11target_archE1200ELNS1_3gpuE4ELNS1_3repE0EEENS1_30default_config_static_selectorELNS0_4arch9wavefront6targetE0EEEvT1_.numbered_sgpr, 0
	.set _ZN7rocprim17ROCPRIM_400000_NS6detail17trampoline_kernelINS0_14default_configENS1_27scan_by_key_config_selectorIiiEEZZNS1_16scan_by_key_implILNS1_25lookback_scan_determinismE0ELb0ES3_N6thrust23THRUST_200600_302600_NS6detail15normal_iteratorINS9_10device_ptrIiEEEESE_SE_iNS9_4plusIvEENS9_8equal_toIiEEiEE10hipError_tPvRmT2_T3_T4_T5_mT6_T7_P12ihipStream_tbENKUlT_T0_E_clISt17integral_constantIbLb1EESY_IbLb0EEEEDaSU_SV_EUlSU_E_NS1_11comp_targetILNS1_3genE10ELNS1_11target_archE1200ELNS1_3gpuE4ELNS1_3repE0EEENS1_30default_config_static_selectorELNS0_4arch9wavefront6targetE0EEEvT1_.num_named_barrier, 0
	.set _ZN7rocprim17ROCPRIM_400000_NS6detail17trampoline_kernelINS0_14default_configENS1_27scan_by_key_config_selectorIiiEEZZNS1_16scan_by_key_implILNS1_25lookback_scan_determinismE0ELb0ES3_N6thrust23THRUST_200600_302600_NS6detail15normal_iteratorINS9_10device_ptrIiEEEESE_SE_iNS9_4plusIvEENS9_8equal_toIiEEiEE10hipError_tPvRmT2_T3_T4_T5_mT6_T7_P12ihipStream_tbENKUlT_T0_E_clISt17integral_constantIbLb1EESY_IbLb0EEEEDaSU_SV_EUlSU_E_NS1_11comp_targetILNS1_3genE10ELNS1_11target_archE1200ELNS1_3gpuE4ELNS1_3repE0EEENS1_30default_config_static_selectorELNS0_4arch9wavefront6targetE0EEEvT1_.private_seg_size, 0
	.set _ZN7rocprim17ROCPRIM_400000_NS6detail17trampoline_kernelINS0_14default_configENS1_27scan_by_key_config_selectorIiiEEZZNS1_16scan_by_key_implILNS1_25lookback_scan_determinismE0ELb0ES3_N6thrust23THRUST_200600_302600_NS6detail15normal_iteratorINS9_10device_ptrIiEEEESE_SE_iNS9_4plusIvEENS9_8equal_toIiEEiEE10hipError_tPvRmT2_T3_T4_T5_mT6_T7_P12ihipStream_tbENKUlT_T0_E_clISt17integral_constantIbLb1EESY_IbLb0EEEEDaSU_SV_EUlSU_E_NS1_11comp_targetILNS1_3genE10ELNS1_11target_archE1200ELNS1_3gpuE4ELNS1_3repE0EEENS1_30default_config_static_selectorELNS0_4arch9wavefront6targetE0EEEvT1_.uses_vcc, 0
	.set _ZN7rocprim17ROCPRIM_400000_NS6detail17trampoline_kernelINS0_14default_configENS1_27scan_by_key_config_selectorIiiEEZZNS1_16scan_by_key_implILNS1_25lookback_scan_determinismE0ELb0ES3_N6thrust23THRUST_200600_302600_NS6detail15normal_iteratorINS9_10device_ptrIiEEEESE_SE_iNS9_4plusIvEENS9_8equal_toIiEEiEE10hipError_tPvRmT2_T3_T4_T5_mT6_T7_P12ihipStream_tbENKUlT_T0_E_clISt17integral_constantIbLb1EESY_IbLb0EEEEDaSU_SV_EUlSU_E_NS1_11comp_targetILNS1_3genE10ELNS1_11target_archE1200ELNS1_3gpuE4ELNS1_3repE0EEENS1_30default_config_static_selectorELNS0_4arch9wavefront6targetE0EEEvT1_.uses_flat_scratch, 0
	.set _ZN7rocprim17ROCPRIM_400000_NS6detail17trampoline_kernelINS0_14default_configENS1_27scan_by_key_config_selectorIiiEEZZNS1_16scan_by_key_implILNS1_25lookback_scan_determinismE0ELb0ES3_N6thrust23THRUST_200600_302600_NS6detail15normal_iteratorINS9_10device_ptrIiEEEESE_SE_iNS9_4plusIvEENS9_8equal_toIiEEiEE10hipError_tPvRmT2_T3_T4_T5_mT6_T7_P12ihipStream_tbENKUlT_T0_E_clISt17integral_constantIbLb1EESY_IbLb0EEEEDaSU_SV_EUlSU_E_NS1_11comp_targetILNS1_3genE10ELNS1_11target_archE1200ELNS1_3gpuE4ELNS1_3repE0EEENS1_30default_config_static_selectorELNS0_4arch9wavefront6targetE0EEEvT1_.has_dyn_sized_stack, 0
	.set _ZN7rocprim17ROCPRIM_400000_NS6detail17trampoline_kernelINS0_14default_configENS1_27scan_by_key_config_selectorIiiEEZZNS1_16scan_by_key_implILNS1_25lookback_scan_determinismE0ELb0ES3_N6thrust23THRUST_200600_302600_NS6detail15normal_iteratorINS9_10device_ptrIiEEEESE_SE_iNS9_4plusIvEENS9_8equal_toIiEEiEE10hipError_tPvRmT2_T3_T4_T5_mT6_T7_P12ihipStream_tbENKUlT_T0_E_clISt17integral_constantIbLb1EESY_IbLb0EEEEDaSU_SV_EUlSU_E_NS1_11comp_targetILNS1_3genE10ELNS1_11target_archE1200ELNS1_3gpuE4ELNS1_3repE0EEENS1_30default_config_static_selectorELNS0_4arch9wavefront6targetE0EEEvT1_.has_recursion, 0
	.set _ZN7rocprim17ROCPRIM_400000_NS6detail17trampoline_kernelINS0_14default_configENS1_27scan_by_key_config_selectorIiiEEZZNS1_16scan_by_key_implILNS1_25lookback_scan_determinismE0ELb0ES3_N6thrust23THRUST_200600_302600_NS6detail15normal_iteratorINS9_10device_ptrIiEEEESE_SE_iNS9_4plusIvEENS9_8equal_toIiEEiEE10hipError_tPvRmT2_T3_T4_T5_mT6_T7_P12ihipStream_tbENKUlT_T0_E_clISt17integral_constantIbLb1EESY_IbLb0EEEEDaSU_SV_EUlSU_E_NS1_11comp_targetILNS1_3genE10ELNS1_11target_archE1200ELNS1_3gpuE4ELNS1_3repE0EEENS1_30default_config_static_selectorELNS0_4arch9wavefront6targetE0EEEvT1_.has_indirect_call, 0
	.section	.AMDGPU.csdata,"",@progbits
; Kernel info:
; codeLenInByte = 0
; TotalNumSgprs: 0
; NumVgprs: 0
; ScratchSize: 0
; MemoryBound: 0
; FloatMode: 240
; IeeeMode: 1
; LDSByteSize: 0 bytes/workgroup (compile time only)
; SGPRBlocks: 0
; VGPRBlocks: 0
; NumSGPRsForWavesPerEU: 1
; NumVGPRsForWavesPerEU: 1
; Occupancy: 16
; WaveLimiterHint : 0
; COMPUTE_PGM_RSRC2:SCRATCH_EN: 0
; COMPUTE_PGM_RSRC2:USER_SGPR: 6
; COMPUTE_PGM_RSRC2:TRAP_HANDLER: 0
; COMPUTE_PGM_RSRC2:TGID_X_EN: 1
; COMPUTE_PGM_RSRC2:TGID_Y_EN: 0
; COMPUTE_PGM_RSRC2:TGID_Z_EN: 0
; COMPUTE_PGM_RSRC2:TIDIG_COMP_CNT: 0
	.section	.text._ZN7rocprim17ROCPRIM_400000_NS6detail17trampoline_kernelINS0_14default_configENS1_27scan_by_key_config_selectorIiiEEZZNS1_16scan_by_key_implILNS1_25lookback_scan_determinismE0ELb0ES3_N6thrust23THRUST_200600_302600_NS6detail15normal_iteratorINS9_10device_ptrIiEEEESE_SE_iNS9_4plusIvEENS9_8equal_toIiEEiEE10hipError_tPvRmT2_T3_T4_T5_mT6_T7_P12ihipStream_tbENKUlT_T0_E_clISt17integral_constantIbLb1EESY_IbLb0EEEEDaSU_SV_EUlSU_E_NS1_11comp_targetILNS1_3genE9ELNS1_11target_archE1100ELNS1_3gpuE3ELNS1_3repE0EEENS1_30default_config_static_selectorELNS0_4arch9wavefront6targetE0EEEvT1_,"axG",@progbits,_ZN7rocprim17ROCPRIM_400000_NS6detail17trampoline_kernelINS0_14default_configENS1_27scan_by_key_config_selectorIiiEEZZNS1_16scan_by_key_implILNS1_25lookback_scan_determinismE0ELb0ES3_N6thrust23THRUST_200600_302600_NS6detail15normal_iteratorINS9_10device_ptrIiEEEESE_SE_iNS9_4plusIvEENS9_8equal_toIiEEiEE10hipError_tPvRmT2_T3_T4_T5_mT6_T7_P12ihipStream_tbENKUlT_T0_E_clISt17integral_constantIbLb1EESY_IbLb0EEEEDaSU_SV_EUlSU_E_NS1_11comp_targetILNS1_3genE9ELNS1_11target_archE1100ELNS1_3gpuE3ELNS1_3repE0EEENS1_30default_config_static_selectorELNS0_4arch9wavefront6targetE0EEEvT1_,comdat
	.protected	_ZN7rocprim17ROCPRIM_400000_NS6detail17trampoline_kernelINS0_14default_configENS1_27scan_by_key_config_selectorIiiEEZZNS1_16scan_by_key_implILNS1_25lookback_scan_determinismE0ELb0ES3_N6thrust23THRUST_200600_302600_NS6detail15normal_iteratorINS9_10device_ptrIiEEEESE_SE_iNS9_4plusIvEENS9_8equal_toIiEEiEE10hipError_tPvRmT2_T3_T4_T5_mT6_T7_P12ihipStream_tbENKUlT_T0_E_clISt17integral_constantIbLb1EESY_IbLb0EEEEDaSU_SV_EUlSU_E_NS1_11comp_targetILNS1_3genE9ELNS1_11target_archE1100ELNS1_3gpuE3ELNS1_3repE0EEENS1_30default_config_static_selectorELNS0_4arch9wavefront6targetE0EEEvT1_ ; -- Begin function _ZN7rocprim17ROCPRIM_400000_NS6detail17trampoline_kernelINS0_14default_configENS1_27scan_by_key_config_selectorIiiEEZZNS1_16scan_by_key_implILNS1_25lookback_scan_determinismE0ELb0ES3_N6thrust23THRUST_200600_302600_NS6detail15normal_iteratorINS9_10device_ptrIiEEEESE_SE_iNS9_4plusIvEENS9_8equal_toIiEEiEE10hipError_tPvRmT2_T3_T4_T5_mT6_T7_P12ihipStream_tbENKUlT_T0_E_clISt17integral_constantIbLb1EESY_IbLb0EEEEDaSU_SV_EUlSU_E_NS1_11comp_targetILNS1_3genE9ELNS1_11target_archE1100ELNS1_3gpuE3ELNS1_3repE0EEENS1_30default_config_static_selectorELNS0_4arch9wavefront6targetE0EEEvT1_
	.globl	_ZN7rocprim17ROCPRIM_400000_NS6detail17trampoline_kernelINS0_14default_configENS1_27scan_by_key_config_selectorIiiEEZZNS1_16scan_by_key_implILNS1_25lookback_scan_determinismE0ELb0ES3_N6thrust23THRUST_200600_302600_NS6detail15normal_iteratorINS9_10device_ptrIiEEEESE_SE_iNS9_4plusIvEENS9_8equal_toIiEEiEE10hipError_tPvRmT2_T3_T4_T5_mT6_T7_P12ihipStream_tbENKUlT_T0_E_clISt17integral_constantIbLb1EESY_IbLb0EEEEDaSU_SV_EUlSU_E_NS1_11comp_targetILNS1_3genE9ELNS1_11target_archE1100ELNS1_3gpuE3ELNS1_3repE0EEENS1_30default_config_static_selectorELNS0_4arch9wavefront6targetE0EEEvT1_
	.p2align	8
	.type	_ZN7rocprim17ROCPRIM_400000_NS6detail17trampoline_kernelINS0_14default_configENS1_27scan_by_key_config_selectorIiiEEZZNS1_16scan_by_key_implILNS1_25lookback_scan_determinismE0ELb0ES3_N6thrust23THRUST_200600_302600_NS6detail15normal_iteratorINS9_10device_ptrIiEEEESE_SE_iNS9_4plusIvEENS9_8equal_toIiEEiEE10hipError_tPvRmT2_T3_T4_T5_mT6_T7_P12ihipStream_tbENKUlT_T0_E_clISt17integral_constantIbLb1EESY_IbLb0EEEEDaSU_SV_EUlSU_E_NS1_11comp_targetILNS1_3genE9ELNS1_11target_archE1100ELNS1_3gpuE3ELNS1_3repE0EEENS1_30default_config_static_selectorELNS0_4arch9wavefront6targetE0EEEvT1_,@function
_ZN7rocprim17ROCPRIM_400000_NS6detail17trampoline_kernelINS0_14default_configENS1_27scan_by_key_config_selectorIiiEEZZNS1_16scan_by_key_implILNS1_25lookback_scan_determinismE0ELb0ES3_N6thrust23THRUST_200600_302600_NS6detail15normal_iteratorINS9_10device_ptrIiEEEESE_SE_iNS9_4plusIvEENS9_8equal_toIiEEiEE10hipError_tPvRmT2_T3_T4_T5_mT6_T7_P12ihipStream_tbENKUlT_T0_E_clISt17integral_constantIbLb1EESY_IbLb0EEEEDaSU_SV_EUlSU_E_NS1_11comp_targetILNS1_3genE9ELNS1_11target_archE1100ELNS1_3gpuE3ELNS1_3repE0EEENS1_30default_config_static_selectorELNS0_4arch9wavefront6targetE0EEEvT1_: ; @_ZN7rocprim17ROCPRIM_400000_NS6detail17trampoline_kernelINS0_14default_configENS1_27scan_by_key_config_selectorIiiEEZZNS1_16scan_by_key_implILNS1_25lookback_scan_determinismE0ELb0ES3_N6thrust23THRUST_200600_302600_NS6detail15normal_iteratorINS9_10device_ptrIiEEEESE_SE_iNS9_4plusIvEENS9_8equal_toIiEEiEE10hipError_tPvRmT2_T3_T4_T5_mT6_T7_P12ihipStream_tbENKUlT_T0_E_clISt17integral_constantIbLb1EESY_IbLb0EEEEDaSU_SV_EUlSU_E_NS1_11comp_targetILNS1_3genE9ELNS1_11target_archE1100ELNS1_3gpuE3ELNS1_3repE0EEENS1_30default_config_static_selectorELNS0_4arch9wavefront6targetE0EEEvT1_
; %bb.0:
	.section	.rodata,"a",@progbits
	.p2align	6, 0x0
	.amdhsa_kernel _ZN7rocprim17ROCPRIM_400000_NS6detail17trampoline_kernelINS0_14default_configENS1_27scan_by_key_config_selectorIiiEEZZNS1_16scan_by_key_implILNS1_25lookback_scan_determinismE0ELb0ES3_N6thrust23THRUST_200600_302600_NS6detail15normal_iteratorINS9_10device_ptrIiEEEESE_SE_iNS9_4plusIvEENS9_8equal_toIiEEiEE10hipError_tPvRmT2_T3_T4_T5_mT6_T7_P12ihipStream_tbENKUlT_T0_E_clISt17integral_constantIbLb1EESY_IbLb0EEEEDaSU_SV_EUlSU_E_NS1_11comp_targetILNS1_3genE9ELNS1_11target_archE1100ELNS1_3gpuE3ELNS1_3repE0EEENS1_30default_config_static_selectorELNS0_4arch9wavefront6targetE0EEEvT1_
		.amdhsa_group_segment_fixed_size 0
		.amdhsa_private_segment_fixed_size 0
		.amdhsa_kernarg_size 112
		.amdhsa_user_sgpr_count 6
		.amdhsa_user_sgpr_private_segment_buffer 1
		.amdhsa_user_sgpr_dispatch_ptr 0
		.amdhsa_user_sgpr_queue_ptr 0
		.amdhsa_user_sgpr_kernarg_segment_ptr 1
		.amdhsa_user_sgpr_dispatch_id 0
		.amdhsa_user_sgpr_flat_scratch_init 0
		.amdhsa_user_sgpr_private_segment_size 0
		.amdhsa_wavefront_size32 1
		.amdhsa_uses_dynamic_stack 0
		.amdhsa_system_sgpr_private_segment_wavefront_offset 0
		.amdhsa_system_sgpr_workgroup_id_x 1
		.amdhsa_system_sgpr_workgroup_id_y 0
		.amdhsa_system_sgpr_workgroup_id_z 0
		.amdhsa_system_sgpr_workgroup_info 0
		.amdhsa_system_vgpr_workitem_id 0
		.amdhsa_next_free_vgpr 1
		.amdhsa_next_free_sgpr 1
		.amdhsa_reserve_vcc 0
		.amdhsa_reserve_flat_scratch 0
		.amdhsa_float_round_mode_32 0
		.amdhsa_float_round_mode_16_64 0
		.amdhsa_float_denorm_mode_32 3
		.amdhsa_float_denorm_mode_16_64 3
		.amdhsa_dx10_clamp 1
		.amdhsa_ieee_mode 1
		.amdhsa_fp16_overflow 0
		.amdhsa_workgroup_processor_mode 1
		.amdhsa_memory_ordered 1
		.amdhsa_forward_progress 1
		.amdhsa_shared_vgpr_count 0
		.amdhsa_exception_fp_ieee_invalid_op 0
		.amdhsa_exception_fp_denorm_src 0
		.amdhsa_exception_fp_ieee_div_zero 0
		.amdhsa_exception_fp_ieee_overflow 0
		.amdhsa_exception_fp_ieee_underflow 0
		.amdhsa_exception_fp_ieee_inexact 0
		.amdhsa_exception_int_div_zero 0
	.end_amdhsa_kernel
	.section	.text._ZN7rocprim17ROCPRIM_400000_NS6detail17trampoline_kernelINS0_14default_configENS1_27scan_by_key_config_selectorIiiEEZZNS1_16scan_by_key_implILNS1_25lookback_scan_determinismE0ELb0ES3_N6thrust23THRUST_200600_302600_NS6detail15normal_iteratorINS9_10device_ptrIiEEEESE_SE_iNS9_4plusIvEENS9_8equal_toIiEEiEE10hipError_tPvRmT2_T3_T4_T5_mT6_T7_P12ihipStream_tbENKUlT_T0_E_clISt17integral_constantIbLb1EESY_IbLb0EEEEDaSU_SV_EUlSU_E_NS1_11comp_targetILNS1_3genE9ELNS1_11target_archE1100ELNS1_3gpuE3ELNS1_3repE0EEENS1_30default_config_static_selectorELNS0_4arch9wavefront6targetE0EEEvT1_,"axG",@progbits,_ZN7rocprim17ROCPRIM_400000_NS6detail17trampoline_kernelINS0_14default_configENS1_27scan_by_key_config_selectorIiiEEZZNS1_16scan_by_key_implILNS1_25lookback_scan_determinismE0ELb0ES3_N6thrust23THRUST_200600_302600_NS6detail15normal_iteratorINS9_10device_ptrIiEEEESE_SE_iNS9_4plusIvEENS9_8equal_toIiEEiEE10hipError_tPvRmT2_T3_T4_T5_mT6_T7_P12ihipStream_tbENKUlT_T0_E_clISt17integral_constantIbLb1EESY_IbLb0EEEEDaSU_SV_EUlSU_E_NS1_11comp_targetILNS1_3genE9ELNS1_11target_archE1100ELNS1_3gpuE3ELNS1_3repE0EEENS1_30default_config_static_selectorELNS0_4arch9wavefront6targetE0EEEvT1_,comdat
.Lfunc_end225:
	.size	_ZN7rocprim17ROCPRIM_400000_NS6detail17trampoline_kernelINS0_14default_configENS1_27scan_by_key_config_selectorIiiEEZZNS1_16scan_by_key_implILNS1_25lookback_scan_determinismE0ELb0ES3_N6thrust23THRUST_200600_302600_NS6detail15normal_iteratorINS9_10device_ptrIiEEEESE_SE_iNS9_4plusIvEENS9_8equal_toIiEEiEE10hipError_tPvRmT2_T3_T4_T5_mT6_T7_P12ihipStream_tbENKUlT_T0_E_clISt17integral_constantIbLb1EESY_IbLb0EEEEDaSU_SV_EUlSU_E_NS1_11comp_targetILNS1_3genE9ELNS1_11target_archE1100ELNS1_3gpuE3ELNS1_3repE0EEENS1_30default_config_static_selectorELNS0_4arch9wavefront6targetE0EEEvT1_, .Lfunc_end225-_ZN7rocprim17ROCPRIM_400000_NS6detail17trampoline_kernelINS0_14default_configENS1_27scan_by_key_config_selectorIiiEEZZNS1_16scan_by_key_implILNS1_25lookback_scan_determinismE0ELb0ES3_N6thrust23THRUST_200600_302600_NS6detail15normal_iteratorINS9_10device_ptrIiEEEESE_SE_iNS9_4plusIvEENS9_8equal_toIiEEiEE10hipError_tPvRmT2_T3_T4_T5_mT6_T7_P12ihipStream_tbENKUlT_T0_E_clISt17integral_constantIbLb1EESY_IbLb0EEEEDaSU_SV_EUlSU_E_NS1_11comp_targetILNS1_3genE9ELNS1_11target_archE1100ELNS1_3gpuE3ELNS1_3repE0EEENS1_30default_config_static_selectorELNS0_4arch9wavefront6targetE0EEEvT1_
                                        ; -- End function
	.set _ZN7rocprim17ROCPRIM_400000_NS6detail17trampoline_kernelINS0_14default_configENS1_27scan_by_key_config_selectorIiiEEZZNS1_16scan_by_key_implILNS1_25lookback_scan_determinismE0ELb0ES3_N6thrust23THRUST_200600_302600_NS6detail15normal_iteratorINS9_10device_ptrIiEEEESE_SE_iNS9_4plusIvEENS9_8equal_toIiEEiEE10hipError_tPvRmT2_T3_T4_T5_mT6_T7_P12ihipStream_tbENKUlT_T0_E_clISt17integral_constantIbLb1EESY_IbLb0EEEEDaSU_SV_EUlSU_E_NS1_11comp_targetILNS1_3genE9ELNS1_11target_archE1100ELNS1_3gpuE3ELNS1_3repE0EEENS1_30default_config_static_selectorELNS0_4arch9wavefront6targetE0EEEvT1_.num_vgpr, 0
	.set _ZN7rocprim17ROCPRIM_400000_NS6detail17trampoline_kernelINS0_14default_configENS1_27scan_by_key_config_selectorIiiEEZZNS1_16scan_by_key_implILNS1_25lookback_scan_determinismE0ELb0ES3_N6thrust23THRUST_200600_302600_NS6detail15normal_iteratorINS9_10device_ptrIiEEEESE_SE_iNS9_4plusIvEENS9_8equal_toIiEEiEE10hipError_tPvRmT2_T3_T4_T5_mT6_T7_P12ihipStream_tbENKUlT_T0_E_clISt17integral_constantIbLb1EESY_IbLb0EEEEDaSU_SV_EUlSU_E_NS1_11comp_targetILNS1_3genE9ELNS1_11target_archE1100ELNS1_3gpuE3ELNS1_3repE0EEENS1_30default_config_static_selectorELNS0_4arch9wavefront6targetE0EEEvT1_.num_agpr, 0
	.set _ZN7rocprim17ROCPRIM_400000_NS6detail17trampoline_kernelINS0_14default_configENS1_27scan_by_key_config_selectorIiiEEZZNS1_16scan_by_key_implILNS1_25lookback_scan_determinismE0ELb0ES3_N6thrust23THRUST_200600_302600_NS6detail15normal_iteratorINS9_10device_ptrIiEEEESE_SE_iNS9_4plusIvEENS9_8equal_toIiEEiEE10hipError_tPvRmT2_T3_T4_T5_mT6_T7_P12ihipStream_tbENKUlT_T0_E_clISt17integral_constantIbLb1EESY_IbLb0EEEEDaSU_SV_EUlSU_E_NS1_11comp_targetILNS1_3genE9ELNS1_11target_archE1100ELNS1_3gpuE3ELNS1_3repE0EEENS1_30default_config_static_selectorELNS0_4arch9wavefront6targetE0EEEvT1_.numbered_sgpr, 0
	.set _ZN7rocprim17ROCPRIM_400000_NS6detail17trampoline_kernelINS0_14default_configENS1_27scan_by_key_config_selectorIiiEEZZNS1_16scan_by_key_implILNS1_25lookback_scan_determinismE0ELb0ES3_N6thrust23THRUST_200600_302600_NS6detail15normal_iteratorINS9_10device_ptrIiEEEESE_SE_iNS9_4plusIvEENS9_8equal_toIiEEiEE10hipError_tPvRmT2_T3_T4_T5_mT6_T7_P12ihipStream_tbENKUlT_T0_E_clISt17integral_constantIbLb1EESY_IbLb0EEEEDaSU_SV_EUlSU_E_NS1_11comp_targetILNS1_3genE9ELNS1_11target_archE1100ELNS1_3gpuE3ELNS1_3repE0EEENS1_30default_config_static_selectorELNS0_4arch9wavefront6targetE0EEEvT1_.num_named_barrier, 0
	.set _ZN7rocprim17ROCPRIM_400000_NS6detail17trampoline_kernelINS0_14default_configENS1_27scan_by_key_config_selectorIiiEEZZNS1_16scan_by_key_implILNS1_25lookback_scan_determinismE0ELb0ES3_N6thrust23THRUST_200600_302600_NS6detail15normal_iteratorINS9_10device_ptrIiEEEESE_SE_iNS9_4plusIvEENS9_8equal_toIiEEiEE10hipError_tPvRmT2_T3_T4_T5_mT6_T7_P12ihipStream_tbENKUlT_T0_E_clISt17integral_constantIbLb1EESY_IbLb0EEEEDaSU_SV_EUlSU_E_NS1_11comp_targetILNS1_3genE9ELNS1_11target_archE1100ELNS1_3gpuE3ELNS1_3repE0EEENS1_30default_config_static_selectorELNS0_4arch9wavefront6targetE0EEEvT1_.private_seg_size, 0
	.set _ZN7rocprim17ROCPRIM_400000_NS6detail17trampoline_kernelINS0_14default_configENS1_27scan_by_key_config_selectorIiiEEZZNS1_16scan_by_key_implILNS1_25lookback_scan_determinismE0ELb0ES3_N6thrust23THRUST_200600_302600_NS6detail15normal_iteratorINS9_10device_ptrIiEEEESE_SE_iNS9_4plusIvEENS9_8equal_toIiEEiEE10hipError_tPvRmT2_T3_T4_T5_mT6_T7_P12ihipStream_tbENKUlT_T0_E_clISt17integral_constantIbLb1EESY_IbLb0EEEEDaSU_SV_EUlSU_E_NS1_11comp_targetILNS1_3genE9ELNS1_11target_archE1100ELNS1_3gpuE3ELNS1_3repE0EEENS1_30default_config_static_selectorELNS0_4arch9wavefront6targetE0EEEvT1_.uses_vcc, 0
	.set _ZN7rocprim17ROCPRIM_400000_NS6detail17trampoline_kernelINS0_14default_configENS1_27scan_by_key_config_selectorIiiEEZZNS1_16scan_by_key_implILNS1_25lookback_scan_determinismE0ELb0ES3_N6thrust23THRUST_200600_302600_NS6detail15normal_iteratorINS9_10device_ptrIiEEEESE_SE_iNS9_4plusIvEENS9_8equal_toIiEEiEE10hipError_tPvRmT2_T3_T4_T5_mT6_T7_P12ihipStream_tbENKUlT_T0_E_clISt17integral_constantIbLb1EESY_IbLb0EEEEDaSU_SV_EUlSU_E_NS1_11comp_targetILNS1_3genE9ELNS1_11target_archE1100ELNS1_3gpuE3ELNS1_3repE0EEENS1_30default_config_static_selectorELNS0_4arch9wavefront6targetE0EEEvT1_.uses_flat_scratch, 0
	.set _ZN7rocprim17ROCPRIM_400000_NS6detail17trampoline_kernelINS0_14default_configENS1_27scan_by_key_config_selectorIiiEEZZNS1_16scan_by_key_implILNS1_25lookback_scan_determinismE0ELb0ES3_N6thrust23THRUST_200600_302600_NS6detail15normal_iteratorINS9_10device_ptrIiEEEESE_SE_iNS9_4plusIvEENS9_8equal_toIiEEiEE10hipError_tPvRmT2_T3_T4_T5_mT6_T7_P12ihipStream_tbENKUlT_T0_E_clISt17integral_constantIbLb1EESY_IbLb0EEEEDaSU_SV_EUlSU_E_NS1_11comp_targetILNS1_3genE9ELNS1_11target_archE1100ELNS1_3gpuE3ELNS1_3repE0EEENS1_30default_config_static_selectorELNS0_4arch9wavefront6targetE0EEEvT1_.has_dyn_sized_stack, 0
	.set _ZN7rocprim17ROCPRIM_400000_NS6detail17trampoline_kernelINS0_14default_configENS1_27scan_by_key_config_selectorIiiEEZZNS1_16scan_by_key_implILNS1_25lookback_scan_determinismE0ELb0ES3_N6thrust23THRUST_200600_302600_NS6detail15normal_iteratorINS9_10device_ptrIiEEEESE_SE_iNS9_4plusIvEENS9_8equal_toIiEEiEE10hipError_tPvRmT2_T3_T4_T5_mT6_T7_P12ihipStream_tbENKUlT_T0_E_clISt17integral_constantIbLb1EESY_IbLb0EEEEDaSU_SV_EUlSU_E_NS1_11comp_targetILNS1_3genE9ELNS1_11target_archE1100ELNS1_3gpuE3ELNS1_3repE0EEENS1_30default_config_static_selectorELNS0_4arch9wavefront6targetE0EEEvT1_.has_recursion, 0
	.set _ZN7rocprim17ROCPRIM_400000_NS6detail17trampoline_kernelINS0_14default_configENS1_27scan_by_key_config_selectorIiiEEZZNS1_16scan_by_key_implILNS1_25lookback_scan_determinismE0ELb0ES3_N6thrust23THRUST_200600_302600_NS6detail15normal_iteratorINS9_10device_ptrIiEEEESE_SE_iNS9_4plusIvEENS9_8equal_toIiEEiEE10hipError_tPvRmT2_T3_T4_T5_mT6_T7_P12ihipStream_tbENKUlT_T0_E_clISt17integral_constantIbLb1EESY_IbLb0EEEEDaSU_SV_EUlSU_E_NS1_11comp_targetILNS1_3genE9ELNS1_11target_archE1100ELNS1_3gpuE3ELNS1_3repE0EEENS1_30default_config_static_selectorELNS0_4arch9wavefront6targetE0EEEvT1_.has_indirect_call, 0
	.section	.AMDGPU.csdata,"",@progbits
; Kernel info:
; codeLenInByte = 0
; TotalNumSgprs: 0
; NumVgprs: 0
; ScratchSize: 0
; MemoryBound: 0
; FloatMode: 240
; IeeeMode: 1
; LDSByteSize: 0 bytes/workgroup (compile time only)
; SGPRBlocks: 0
; VGPRBlocks: 0
; NumSGPRsForWavesPerEU: 1
; NumVGPRsForWavesPerEU: 1
; Occupancy: 16
; WaveLimiterHint : 0
; COMPUTE_PGM_RSRC2:SCRATCH_EN: 0
; COMPUTE_PGM_RSRC2:USER_SGPR: 6
; COMPUTE_PGM_RSRC2:TRAP_HANDLER: 0
; COMPUTE_PGM_RSRC2:TGID_X_EN: 1
; COMPUTE_PGM_RSRC2:TGID_Y_EN: 0
; COMPUTE_PGM_RSRC2:TGID_Z_EN: 0
; COMPUTE_PGM_RSRC2:TIDIG_COMP_CNT: 0
	.section	.text._ZN7rocprim17ROCPRIM_400000_NS6detail17trampoline_kernelINS0_14default_configENS1_27scan_by_key_config_selectorIiiEEZZNS1_16scan_by_key_implILNS1_25lookback_scan_determinismE0ELb0ES3_N6thrust23THRUST_200600_302600_NS6detail15normal_iteratorINS9_10device_ptrIiEEEESE_SE_iNS9_4plusIvEENS9_8equal_toIiEEiEE10hipError_tPvRmT2_T3_T4_T5_mT6_T7_P12ihipStream_tbENKUlT_T0_E_clISt17integral_constantIbLb1EESY_IbLb0EEEEDaSU_SV_EUlSU_E_NS1_11comp_targetILNS1_3genE8ELNS1_11target_archE1030ELNS1_3gpuE2ELNS1_3repE0EEENS1_30default_config_static_selectorELNS0_4arch9wavefront6targetE0EEEvT1_,"axG",@progbits,_ZN7rocprim17ROCPRIM_400000_NS6detail17trampoline_kernelINS0_14default_configENS1_27scan_by_key_config_selectorIiiEEZZNS1_16scan_by_key_implILNS1_25lookback_scan_determinismE0ELb0ES3_N6thrust23THRUST_200600_302600_NS6detail15normal_iteratorINS9_10device_ptrIiEEEESE_SE_iNS9_4plusIvEENS9_8equal_toIiEEiEE10hipError_tPvRmT2_T3_T4_T5_mT6_T7_P12ihipStream_tbENKUlT_T0_E_clISt17integral_constantIbLb1EESY_IbLb0EEEEDaSU_SV_EUlSU_E_NS1_11comp_targetILNS1_3genE8ELNS1_11target_archE1030ELNS1_3gpuE2ELNS1_3repE0EEENS1_30default_config_static_selectorELNS0_4arch9wavefront6targetE0EEEvT1_,comdat
	.protected	_ZN7rocprim17ROCPRIM_400000_NS6detail17trampoline_kernelINS0_14default_configENS1_27scan_by_key_config_selectorIiiEEZZNS1_16scan_by_key_implILNS1_25lookback_scan_determinismE0ELb0ES3_N6thrust23THRUST_200600_302600_NS6detail15normal_iteratorINS9_10device_ptrIiEEEESE_SE_iNS9_4plusIvEENS9_8equal_toIiEEiEE10hipError_tPvRmT2_T3_T4_T5_mT6_T7_P12ihipStream_tbENKUlT_T0_E_clISt17integral_constantIbLb1EESY_IbLb0EEEEDaSU_SV_EUlSU_E_NS1_11comp_targetILNS1_3genE8ELNS1_11target_archE1030ELNS1_3gpuE2ELNS1_3repE0EEENS1_30default_config_static_selectorELNS0_4arch9wavefront6targetE0EEEvT1_ ; -- Begin function _ZN7rocprim17ROCPRIM_400000_NS6detail17trampoline_kernelINS0_14default_configENS1_27scan_by_key_config_selectorIiiEEZZNS1_16scan_by_key_implILNS1_25lookback_scan_determinismE0ELb0ES3_N6thrust23THRUST_200600_302600_NS6detail15normal_iteratorINS9_10device_ptrIiEEEESE_SE_iNS9_4plusIvEENS9_8equal_toIiEEiEE10hipError_tPvRmT2_T3_T4_T5_mT6_T7_P12ihipStream_tbENKUlT_T0_E_clISt17integral_constantIbLb1EESY_IbLb0EEEEDaSU_SV_EUlSU_E_NS1_11comp_targetILNS1_3genE8ELNS1_11target_archE1030ELNS1_3gpuE2ELNS1_3repE0EEENS1_30default_config_static_selectorELNS0_4arch9wavefront6targetE0EEEvT1_
	.globl	_ZN7rocprim17ROCPRIM_400000_NS6detail17trampoline_kernelINS0_14default_configENS1_27scan_by_key_config_selectorIiiEEZZNS1_16scan_by_key_implILNS1_25lookback_scan_determinismE0ELb0ES3_N6thrust23THRUST_200600_302600_NS6detail15normal_iteratorINS9_10device_ptrIiEEEESE_SE_iNS9_4plusIvEENS9_8equal_toIiEEiEE10hipError_tPvRmT2_T3_T4_T5_mT6_T7_P12ihipStream_tbENKUlT_T0_E_clISt17integral_constantIbLb1EESY_IbLb0EEEEDaSU_SV_EUlSU_E_NS1_11comp_targetILNS1_3genE8ELNS1_11target_archE1030ELNS1_3gpuE2ELNS1_3repE0EEENS1_30default_config_static_selectorELNS0_4arch9wavefront6targetE0EEEvT1_
	.p2align	8
	.type	_ZN7rocprim17ROCPRIM_400000_NS6detail17trampoline_kernelINS0_14default_configENS1_27scan_by_key_config_selectorIiiEEZZNS1_16scan_by_key_implILNS1_25lookback_scan_determinismE0ELb0ES3_N6thrust23THRUST_200600_302600_NS6detail15normal_iteratorINS9_10device_ptrIiEEEESE_SE_iNS9_4plusIvEENS9_8equal_toIiEEiEE10hipError_tPvRmT2_T3_T4_T5_mT6_T7_P12ihipStream_tbENKUlT_T0_E_clISt17integral_constantIbLb1EESY_IbLb0EEEEDaSU_SV_EUlSU_E_NS1_11comp_targetILNS1_3genE8ELNS1_11target_archE1030ELNS1_3gpuE2ELNS1_3repE0EEENS1_30default_config_static_selectorELNS0_4arch9wavefront6targetE0EEEvT1_,@function
_ZN7rocprim17ROCPRIM_400000_NS6detail17trampoline_kernelINS0_14default_configENS1_27scan_by_key_config_selectorIiiEEZZNS1_16scan_by_key_implILNS1_25lookback_scan_determinismE0ELb0ES3_N6thrust23THRUST_200600_302600_NS6detail15normal_iteratorINS9_10device_ptrIiEEEESE_SE_iNS9_4plusIvEENS9_8equal_toIiEEiEE10hipError_tPvRmT2_T3_T4_T5_mT6_T7_P12ihipStream_tbENKUlT_T0_E_clISt17integral_constantIbLb1EESY_IbLb0EEEEDaSU_SV_EUlSU_E_NS1_11comp_targetILNS1_3genE8ELNS1_11target_archE1030ELNS1_3gpuE2ELNS1_3repE0EEENS1_30default_config_static_selectorELNS0_4arch9wavefront6targetE0EEEvT1_: ; @_ZN7rocprim17ROCPRIM_400000_NS6detail17trampoline_kernelINS0_14default_configENS1_27scan_by_key_config_selectorIiiEEZZNS1_16scan_by_key_implILNS1_25lookback_scan_determinismE0ELb0ES3_N6thrust23THRUST_200600_302600_NS6detail15normal_iteratorINS9_10device_ptrIiEEEESE_SE_iNS9_4plusIvEENS9_8equal_toIiEEiEE10hipError_tPvRmT2_T3_T4_T5_mT6_T7_P12ihipStream_tbENKUlT_T0_E_clISt17integral_constantIbLb1EESY_IbLb0EEEEDaSU_SV_EUlSU_E_NS1_11comp_targetILNS1_3genE8ELNS1_11target_archE1030ELNS1_3gpuE2ELNS1_3repE0EEENS1_30default_config_static_selectorELNS0_4arch9wavefront6targetE0EEEvT1_
; %bb.0:
	s_endpgm
	.section	.rodata,"a",@progbits
	.p2align	6, 0x0
	.amdhsa_kernel _ZN7rocprim17ROCPRIM_400000_NS6detail17trampoline_kernelINS0_14default_configENS1_27scan_by_key_config_selectorIiiEEZZNS1_16scan_by_key_implILNS1_25lookback_scan_determinismE0ELb0ES3_N6thrust23THRUST_200600_302600_NS6detail15normal_iteratorINS9_10device_ptrIiEEEESE_SE_iNS9_4plusIvEENS9_8equal_toIiEEiEE10hipError_tPvRmT2_T3_T4_T5_mT6_T7_P12ihipStream_tbENKUlT_T0_E_clISt17integral_constantIbLb1EESY_IbLb0EEEEDaSU_SV_EUlSU_E_NS1_11comp_targetILNS1_3genE8ELNS1_11target_archE1030ELNS1_3gpuE2ELNS1_3repE0EEENS1_30default_config_static_selectorELNS0_4arch9wavefront6targetE0EEEvT1_
		.amdhsa_group_segment_fixed_size 0
		.amdhsa_private_segment_fixed_size 0
		.amdhsa_kernarg_size 112
		.amdhsa_user_sgpr_count 6
		.amdhsa_user_sgpr_private_segment_buffer 1
		.amdhsa_user_sgpr_dispatch_ptr 0
		.amdhsa_user_sgpr_queue_ptr 0
		.amdhsa_user_sgpr_kernarg_segment_ptr 1
		.amdhsa_user_sgpr_dispatch_id 0
		.amdhsa_user_sgpr_flat_scratch_init 0
		.amdhsa_user_sgpr_private_segment_size 0
		.amdhsa_wavefront_size32 1
		.amdhsa_uses_dynamic_stack 0
		.amdhsa_system_sgpr_private_segment_wavefront_offset 0
		.amdhsa_system_sgpr_workgroup_id_x 1
		.amdhsa_system_sgpr_workgroup_id_y 0
		.amdhsa_system_sgpr_workgroup_id_z 0
		.amdhsa_system_sgpr_workgroup_info 0
		.amdhsa_system_vgpr_workitem_id 0
		.amdhsa_next_free_vgpr 1
		.amdhsa_next_free_sgpr 1
		.amdhsa_reserve_vcc 0
		.amdhsa_reserve_flat_scratch 0
		.amdhsa_float_round_mode_32 0
		.amdhsa_float_round_mode_16_64 0
		.amdhsa_float_denorm_mode_32 3
		.amdhsa_float_denorm_mode_16_64 3
		.amdhsa_dx10_clamp 1
		.amdhsa_ieee_mode 1
		.amdhsa_fp16_overflow 0
		.amdhsa_workgroup_processor_mode 1
		.amdhsa_memory_ordered 1
		.amdhsa_forward_progress 1
		.amdhsa_shared_vgpr_count 0
		.amdhsa_exception_fp_ieee_invalid_op 0
		.amdhsa_exception_fp_denorm_src 0
		.amdhsa_exception_fp_ieee_div_zero 0
		.amdhsa_exception_fp_ieee_overflow 0
		.amdhsa_exception_fp_ieee_underflow 0
		.amdhsa_exception_fp_ieee_inexact 0
		.amdhsa_exception_int_div_zero 0
	.end_amdhsa_kernel
	.section	.text._ZN7rocprim17ROCPRIM_400000_NS6detail17trampoline_kernelINS0_14default_configENS1_27scan_by_key_config_selectorIiiEEZZNS1_16scan_by_key_implILNS1_25lookback_scan_determinismE0ELb0ES3_N6thrust23THRUST_200600_302600_NS6detail15normal_iteratorINS9_10device_ptrIiEEEESE_SE_iNS9_4plusIvEENS9_8equal_toIiEEiEE10hipError_tPvRmT2_T3_T4_T5_mT6_T7_P12ihipStream_tbENKUlT_T0_E_clISt17integral_constantIbLb1EESY_IbLb0EEEEDaSU_SV_EUlSU_E_NS1_11comp_targetILNS1_3genE8ELNS1_11target_archE1030ELNS1_3gpuE2ELNS1_3repE0EEENS1_30default_config_static_selectorELNS0_4arch9wavefront6targetE0EEEvT1_,"axG",@progbits,_ZN7rocprim17ROCPRIM_400000_NS6detail17trampoline_kernelINS0_14default_configENS1_27scan_by_key_config_selectorIiiEEZZNS1_16scan_by_key_implILNS1_25lookback_scan_determinismE0ELb0ES3_N6thrust23THRUST_200600_302600_NS6detail15normal_iteratorINS9_10device_ptrIiEEEESE_SE_iNS9_4plusIvEENS9_8equal_toIiEEiEE10hipError_tPvRmT2_T3_T4_T5_mT6_T7_P12ihipStream_tbENKUlT_T0_E_clISt17integral_constantIbLb1EESY_IbLb0EEEEDaSU_SV_EUlSU_E_NS1_11comp_targetILNS1_3genE8ELNS1_11target_archE1030ELNS1_3gpuE2ELNS1_3repE0EEENS1_30default_config_static_selectorELNS0_4arch9wavefront6targetE0EEEvT1_,comdat
.Lfunc_end226:
	.size	_ZN7rocprim17ROCPRIM_400000_NS6detail17trampoline_kernelINS0_14default_configENS1_27scan_by_key_config_selectorIiiEEZZNS1_16scan_by_key_implILNS1_25lookback_scan_determinismE0ELb0ES3_N6thrust23THRUST_200600_302600_NS6detail15normal_iteratorINS9_10device_ptrIiEEEESE_SE_iNS9_4plusIvEENS9_8equal_toIiEEiEE10hipError_tPvRmT2_T3_T4_T5_mT6_T7_P12ihipStream_tbENKUlT_T0_E_clISt17integral_constantIbLb1EESY_IbLb0EEEEDaSU_SV_EUlSU_E_NS1_11comp_targetILNS1_3genE8ELNS1_11target_archE1030ELNS1_3gpuE2ELNS1_3repE0EEENS1_30default_config_static_selectorELNS0_4arch9wavefront6targetE0EEEvT1_, .Lfunc_end226-_ZN7rocprim17ROCPRIM_400000_NS6detail17trampoline_kernelINS0_14default_configENS1_27scan_by_key_config_selectorIiiEEZZNS1_16scan_by_key_implILNS1_25lookback_scan_determinismE0ELb0ES3_N6thrust23THRUST_200600_302600_NS6detail15normal_iteratorINS9_10device_ptrIiEEEESE_SE_iNS9_4plusIvEENS9_8equal_toIiEEiEE10hipError_tPvRmT2_T3_T4_T5_mT6_T7_P12ihipStream_tbENKUlT_T0_E_clISt17integral_constantIbLb1EESY_IbLb0EEEEDaSU_SV_EUlSU_E_NS1_11comp_targetILNS1_3genE8ELNS1_11target_archE1030ELNS1_3gpuE2ELNS1_3repE0EEENS1_30default_config_static_selectorELNS0_4arch9wavefront6targetE0EEEvT1_
                                        ; -- End function
	.set _ZN7rocprim17ROCPRIM_400000_NS6detail17trampoline_kernelINS0_14default_configENS1_27scan_by_key_config_selectorIiiEEZZNS1_16scan_by_key_implILNS1_25lookback_scan_determinismE0ELb0ES3_N6thrust23THRUST_200600_302600_NS6detail15normal_iteratorINS9_10device_ptrIiEEEESE_SE_iNS9_4plusIvEENS9_8equal_toIiEEiEE10hipError_tPvRmT2_T3_T4_T5_mT6_T7_P12ihipStream_tbENKUlT_T0_E_clISt17integral_constantIbLb1EESY_IbLb0EEEEDaSU_SV_EUlSU_E_NS1_11comp_targetILNS1_3genE8ELNS1_11target_archE1030ELNS1_3gpuE2ELNS1_3repE0EEENS1_30default_config_static_selectorELNS0_4arch9wavefront6targetE0EEEvT1_.num_vgpr, 0
	.set _ZN7rocprim17ROCPRIM_400000_NS6detail17trampoline_kernelINS0_14default_configENS1_27scan_by_key_config_selectorIiiEEZZNS1_16scan_by_key_implILNS1_25lookback_scan_determinismE0ELb0ES3_N6thrust23THRUST_200600_302600_NS6detail15normal_iteratorINS9_10device_ptrIiEEEESE_SE_iNS9_4plusIvEENS9_8equal_toIiEEiEE10hipError_tPvRmT2_T3_T4_T5_mT6_T7_P12ihipStream_tbENKUlT_T0_E_clISt17integral_constantIbLb1EESY_IbLb0EEEEDaSU_SV_EUlSU_E_NS1_11comp_targetILNS1_3genE8ELNS1_11target_archE1030ELNS1_3gpuE2ELNS1_3repE0EEENS1_30default_config_static_selectorELNS0_4arch9wavefront6targetE0EEEvT1_.num_agpr, 0
	.set _ZN7rocprim17ROCPRIM_400000_NS6detail17trampoline_kernelINS0_14default_configENS1_27scan_by_key_config_selectorIiiEEZZNS1_16scan_by_key_implILNS1_25lookback_scan_determinismE0ELb0ES3_N6thrust23THRUST_200600_302600_NS6detail15normal_iteratorINS9_10device_ptrIiEEEESE_SE_iNS9_4plusIvEENS9_8equal_toIiEEiEE10hipError_tPvRmT2_T3_T4_T5_mT6_T7_P12ihipStream_tbENKUlT_T0_E_clISt17integral_constantIbLb1EESY_IbLb0EEEEDaSU_SV_EUlSU_E_NS1_11comp_targetILNS1_3genE8ELNS1_11target_archE1030ELNS1_3gpuE2ELNS1_3repE0EEENS1_30default_config_static_selectorELNS0_4arch9wavefront6targetE0EEEvT1_.numbered_sgpr, 0
	.set _ZN7rocprim17ROCPRIM_400000_NS6detail17trampoline_kernelINS0_14default_configENS1_27scan_by_key_config_selectorIiiEEZZNS1_16scan_by_key_implILNS1_25lookback_scan_determinismE0ELb0ES3_N6thrust23THRUST_200600_302600_NS6detail15normal_iteratorINS9_10device_ptrIiEEEESE_SE_iNS9_4plusIvEENS9_8equal_toIiEEiEE10hipError_tPvRmT2_T3_T4_T5_mT6_T7_P12ihipStream_tbENKUlT_T0_E_clISt17integral_constantIbLb1EESY_IbLb0EEEEDaSU_SV_EUlSU_E_NS1_11comp_targetILNS1_3genE8ELNS1_11target_archE1030ELNS1_3gpuE2ELNS1_3repE0EEENS1_30default_config_static_selectorELNS0_4arch9wavefront6targetE0EEEvT1_.num_named_barrier, 0
	.set _ZN7rocprim17ROCPRIM_400000_NS6detail17trampoline_kernelINS0_14default_configENS1_27scan_by_key_config_selectorIiiEEZZNS1_16scan_by_key_implILNS1_25lookback_scan_determinismE0ELb0ES3_N6thrust23THRUST_200600_302600_NS6detail15normal_iteratorINS9_10device_ptrIiEEEESE_SE_iNS9_4plusIvEENS9_8equal_toIiEEiEE10hipError_tPvRmT2_T3_T4_T5_mT6_T7_P12ihipStream_tbENKUlT_T0_E_clISt17integral_constantIbLb1EESY_IbLb0EEEEDaSU_SV_EUlSU_E_NS1_11comp_targetILNS1_3genE8ELNS1_11target_archE1030ELNS1_3gpuE2ELNS1_3repE0EEENS1_30default_config_static_selectorELNS0_4arch9wavefront6targetE0EEEvT1_.private_seg_size, 0
	.set _ZN7rocprim17ROCPRIM_400000_NS6detail17trampoline_kernelINS0_14default_configENS1_27scan_by_key_config_selectorIiiEEZZNS1_16scan_by_key_implILNS1_25lookback_scan_determinismE0ELb0ES3_N6thrust23THRUST_200600_302600_NS6detail15normal_iteratorINS9_10device_ptrIiEEEESE_SE_iNS9_4plusIvEENS9_8equal_toIiEEiEE10hipError_tPvRmT2_T3_T4_T5_mT6_T7_P12ihipStream_tbENKUlT_T0_E_clISt17integral_constantIbLb1EESY_IbLb0EEEEDaSU_SV_EUlSU_E_NS1_11comp_targetILNS1_3genE8ELNS1_11target_archE1030ELNS1_3gpuE2ELNS1_3repE0EEENS1_30default_config_static_selectorELNS0_4arch9wavefront6targetE0EEEvT1_.uses_vcc, 0
	.set _ZN7rocprim17ROCPRIM_400000_NS6detail17trampoline_kernelINS0_14default_configENS1_27scan_by_key_config_selectorIiiEEZZNS1_16scan_by_key_implILNS1_25lookback_scan_determinismE0ELb0ES3_N6thrust23THRUST_200600_302600_NS6detail15normal_iteratorINS9_10device_ptrIiEEEESE_SE_iNS9_4plusIvEENS9_8equal_toIiEEiEE10hipError_tPvRmT2_T3_T4_T5_mT6_T7_P12ihipStream_tbENKUlT_T0_E_clISt17integral_constantIbLb1EESY_IbLb0EEEEDaSU_SV_EUlSU_E_NS1_11comp_targetILNS1_3genE8ELNS1_11target_archE1030ELNS1_3gpuE2ELNS1_3repE0EEENS1_30default_config_static_selectorELNS0_4arch9wavefront6targetE0EEEvT1_.uses_flat_scratch, 0
	.set _ZN7rocprim17ROCPRIM_400000_NS6detail17trampoline_kernelINS0_14default_configENS1_27scan_by_key_config_selectorIiiEEZZNS1_16scan_by_key_implILNS1_25lookback_scan_determinismE0ELb0ES3_N6thrust23THRUST_200600_302600_NS6detail15normal_iteratorINS9_10device_ptrIiEEEESE_SE_iNS9_4plusIvEENS9_8equal_toIiEEiEE10hipError_tPvRmT2_T3_T4_T5_mT6_T7_P12ihipStream_tbENKUlT_T0_E_clISt17integral_constantIbLb1EESY_IbLb0EEEEDaSU_SV_EUlSU_E_NS1_11comp_targetILNS1_3genE8ELNS1_11target_archE1030ELNS1_3gpuE2ELNS1_3repE0EEENS1_30default_config_static_selectorELNS0_4arch9wavefront6targetE0EEEvT1_.has_dyn_sized_stack, 0
	.set _ZN7rocprim17ROCPRIM_400000_NS6detail17trampoline_kernelINS0_14default_configENS1_27scan_by_key_config_selectorIiiEEZZNS1_16scan_by_key_implILNS1_25lookback_scan_determinismE0ELb0ES3_N6thrust23THRUST_200600_302600_NS6detail15normal_iteratorINS9_10device_ptrIiEEEESE_SE_iNS9_4plusIvEENS9_8equal_toIiEEiEE10hipError_tPvRmT2_T3_T4_T5_mT6_T7_P12ihipStream_tbENKUlT_T0_E_clISt17integral_constantIbLb1EESY_IbLb0EEEEDaSU_SV_EUlSU_E_NS1_11comp_targetILNS1_3genE8ELNS1_11target_archE1030ELNS1_3gpuE2ELNS1_3repE0EEENS1_30default_config_static_selectorELNS0_4arch9wavefront6targetE0EEEvT1_.has_recursion, 0
	.set _ZN7rocprim17ROCPRIM_400000_NS6detail17trampoline_kernelINS0_14default_configENS1_27scan_by_key_config_selectorIiiEEZZNS1_16scan_by_key_implILNS1_25lookback_scan_determinismE0ELb0ES3_N6thrust23THRUST_200600_302600_NS6detail15normal_iteratorINS9_10device_ptrIiEEEESE_SE_iNS9_4plusIvEENS9_8equal_toIiEEiEE10hipError_tPvRmT2_T3_T4_T5_mT6_T7_P12ihipStream_tbENKUlT_T0_E_clISt17integral_constantIbLb1EESY_IbLb0EEEEDaSU_SV_EUlSU_E_NS1_11comp_targetILNS1_3genE8ELNS1_11target_archE1030ELNS1_3gpuE2ELNS1_3repE0EEENS1_30default_config_static_selectorELNS0_4arch9wavefront6targetE0EEEvT1_.has_indirect_call, 0
	.section	.AMDGPU.csdata,"",@progbits
; Kernel info:
; codeLenInByte = 4
; TotalNumSgprs: 0
; NumVgprs: 0
; ScratchSize: 0
; MemoryBound: 0
; FloatMode: 240
; IeeeMode: 1
; LDSByteSize: 0 bytes/workgroup (compile time only)
; SGPRBlocks: 0
; VGPRBlocks: 0
; NumSGPRsForWavesPerEU: 1
; NumVGPRsForWavesPerEU: 1
; Occupancy: 16
; WaveLimiterHint : 0
; COMPUTE_PGM_RSRC2:SCRATCH_EN: 0
; COMPUTE_PGM_RSRC2:USER_SGPR: 6
; COMPUTE_PGM_RSRC2:TRAP_HANDLER: 0
; COMPUTE_PGM_RSRC2:TGID_X_EN: 1
; COMPUTE_PGM_RSRC2:TGID_Y_EN: 0
; COMPUTE_PGM_RSRC2:TGID_Z_EN: 0
; COMPUTE_PGM_RSRC2:TIDIG_COMP_CNT: 0
	.section	.text._ZN7rocprim17ROCPRIM_400000_NS6detail17trampoline_kernelINS0_14default_configENS1_27scan_by_key_config_selectorIiiEEZZNS1_16scan_by_key_implILNS1_25lookback_scan_determinismE0ELb0ES3_N6thrust23THRUST_200600_302600_NS6detail15normal_iteratorINS9_10device_ptrIiEEEESE_SE_iNS9_4plusIvEENS9_8equal_toIiEEiEE10hipError_tPvRmT2_T3_T4_T5_mT6_T7_P12ihipStream_tbENKUlT_T0_E_clISt17integral_constantIbLb0EESY_IbLb1EEEEDaSU_SV_EUlSU_E_NS1_11comp_targetILNS1_3genE0ELNS1_11target_archE4294967295ELNS1_3gpuE0ELNS1_3repE0EEENS1_30default_config_static_selectorELNS0_4arch9wavefront6targetE0EEEvT1_,"axG",@progbits,_ZN7rocprim17ROCPRIM_400000_NS6detail17trampoline_kernelINS0_14default_configENS1_27scan_by_key_config_selectorIiiEEZZNS1_16scan_by_key_implILNS1_25lookback_scan_determinismE0ELb0ES3_N6thrust23THRUST_200600_302600_NS6detail15normal_iteratorINS9_10device_ptrIiEEEESE_SE_iNS9_4plusIvEENS9_8equal_toIiEEiEE10hipError_tPvRmT2_T3_T4_T5_mT6_T7_P12ihipStream_tbENKUlT_T0_E_clISt17integral_constantIbLb0EESY_IbLb1EEEEDaSU_SV_EUlSU_E_NS1_11comp_targetILNS1_3genE0ELNS1_11target_archE4294967295ELNS1_3gpuE0ELNS1_3repE0EEENS1_30default_config_static_selectorELNS0_4arch9wavefront6targetE0EEEvT1_,comdat
	.protected	_ZN7rocprim17ROCPRIM_400000_NS6detail17trampoline_kernelINS0_14default_configENS1_27scan_by_key_config_selectorIiiEEZZNS1_16scan_by_key_implILNS1_25lookback_scan_determinismE0ELb0ES3_N6thrust23THRUST_200600_302600_NS6detail15normal_iteratorINS9_10device_ptrIiEEEESE_SE_iNS9_4plusIvEENS9_8equal_toIiEEiEE10hipError_tPvRmT2_T3_T4_T5_mT6_T7_P12ihipStream_tbENKUlT_T0_E_clISt17integral_constantIbLb0EESY_IbLb1EEEEDaSU_SV_EUlSU_E_NS1_11comp_targetILNS1_3genE0ELNS1_11target_archE4294967295ELNS1_3gpuE0ELNS1_3repE0EEENS1_30default_config_static_selectorELNS0_4arch9wavefront6targetE0EEEvT1_ ; -- Begin function _ZN7rocprim17ROCPRIM_400000_NS6detail17trampoline_kernelINS0_14default_configENS1_27scan_by_key_config_selectorIiiEEZZNS1_16scan_by_key_implILNS1_25lookback_scan_determinismE0ELb0ES3_N6thrust23THRUST_200600_302600_NS6detail15normal_iteratorINS9_10device_ptrIiEEEESE_SE_iNS9_4plusIvEENS9_8equal_toIiEEiEE10hipError_tPvRmT2_T3_T4_T5_mT6_T7_P12ihipStream_tbENKUlT_T0_E_clISt17integral_constantIbLb0EESY_IbLb1EEEEDaSU_SV_EUlSU_E_NS1_11comp_targetILNS1_3genE0ELNS1_11target_archE4294967295ELNS1_3gpuE0ELNS1_3repE0EEENS1_30default_config_static_selectorELNS0_4arch9wavefront6targetE0EEEvT1_
	.globl	_ZN7rocprim17ROCPRIM_400000_NS6detail17trampoline_kernelINS0_14default_configENS1_27scan_by_key_config_selectorIiiEEZZNS1_16scan_by_key_implILNS1_25lookback_scan_determinismE0ELb0ES3_N6thrust23THRUST_200600_302600_NS6detail15normal_iteratorINS9_10device_ptrIiEEEESE_SE_iNS9_4plusIvEENS9_8equal_toIiEEiEE10hipError_tPvRmT2_T3_T4_T5_mT6_T7_P12ihipStream_tbENKUlT_T0_E_clISt17integral_constantIbLb0EESY_IbLb1EEEEDaSU_SV_EUlSU_E_NS1_11comp_targetILNS1_3genE0ELNS1_11target_archE4294967295ELNS1_3gpuE0ELNS1_3repE0EEENS1_30default_config_static_selectorELNS0_4arch9wavefront6targetE0EEEvT1_
	.p2align	8
	.type	_ZN7rocprim17ROCPRIM_400000_NS6detail17trampoline_kernelINS0_14default_configENS1_27scan_by_key_config_selectorIiiEEZZNS1_16scan_by_key_implILNS1_25lookback_scan_determinismE0ELb0ES3_N6thrust23THRUST_200600_302600_NS6detail15normal_iteratorINS9_10device_ptrIiEEEESE_SE_iNS9_4plusIvEENS9_8equal_toIiEEiEE10hipError_tPvRmT2_T3_T4_T5_mT6_T7_P12ihipStream_tbENKUlT_T0_E_clISt17integral_constantIbLb0EESY_IbLb1EEEEDaSU_SV_EUlSU_E_NS1_11comp_targetILNS1_3genE0ELNS1_11target_archE4294967295ELNS1_3gpuE0ELNS1_3repE0EEENS1_30default_config_static_selectorELNS0_4arch9wavefront6targetE0EEEvT1_,@function
_ZN7rocprim17ROCPRIM_400000_NS6detail17trampoline_kernelINS0_14default_configENS1_27scan_by_key_config_selectorIiiEEZZNS1_16scan_by_key_implILNS1_25lookback_scan_determinismE0ELb0ES3_N6thrust23THRUST_200600_302600_NS6detail15normal_iteratorINS9_10device_ptrIiEEEESE_SE_iNS9_4plusIvEENS9_8equal_toIiEEiEE10hipError_tPvRmT2_T3_T4_T5_mT6_T7_P12ihipStream_tbENKUlT_T0_E_clISt17integral_constantIbLb0EESY_IbLb1EEEEDaSU_SV_EUlSU_E_NS1_11comp_targetILNS1_3genE0ELNS1_11target_archE4294967295ELNS1_3gpuE0ELNS1_3repE0EEENS1_30default_config_static_selectorELNS0_4arch9wavefront6targetE0EEEvT1_: ; @_ZN7rocprim17ROCPRIM_400000_NS6detail17trampoline_kernelINS0_14default_configENS1_27scan_by_key_config_selectorIiiEEZZNS1_16scan_by_key_implILNS1_25lookback_scan_determinismE0ELb0ES3_N6thrust23THRUST_200600_302600_NS6detail15normal_iteratorINS9_10device_ptrIiEEEESE_SE_iNS9_4plusIvEENS9_8equal_toIiEEiEE10hipError_tPvRmT2_T3_T4_T5_mT6_T7_P12ihipStream_tbENKUlT_T0_E_clISt17integral_constantIbLb0EESY_IbLb1EEEEDaSU_SV_EUlSU_E_NS1_11comp_targetILNS1_3genE0ELNS1_11target_archE4294967295ELNS1_3gpuE0ELNS1_3repE0EEENS1_30default_config_static_selectorELNS0_4arch9wavefront6targetE0EEEvT1_
; %bb.0:
	.section	.rodata,"a",@progbits
	.p2align	6, 0x0
	.amdhsa_kernel _ZN7rocprim17ROCPRIM_400000_NS6detail17trampoline_kernelINS0_14default_configENS1_27scan_by_key_config_selectorIiiEEZZNS1_16scan_by_key_implILNS1_25lookback_scan_determinismE0ELb0ES3_N6thrust23THRUST_200600_302600_NS6detail15normal_iteratorINS9_10device_ptrIiEEEESE_SE_iNS9_4plusIvEENS9_8equal_toIiEEiEE10hipError_tPvRmT2_T3_T4_T5_mT6_T7_P12ihipStream_tbENKUlT_T0_E_clISt17integral_constantIbLb0EESY_IbLb1EEEEDaSU_SV_EUlSU_E_NS1_11comp_targetILNS1_3genE0ELNS1_11target_archE4294967295ELNS1_3gpuE0ELNS1_3repE0EEENS1_30default_config_static_selectorELNS0_4arch9wavefront6targetE0EEEvT1_
		.amdhsa_group_segment_fixed_size 0
		.amdhsa_private_segment_fixed_size 0
		.amdhsa_kernarg_size 112
		.amdhsa_user_sgpr_count 6
		.amdhsa_user_sgpr_private_segment_buffer 1
		.amdhsa_user_sgpr_dispatch_ptr 0
		.amdhsa_user_sgpr_queue_ptr 0
		.amdhsa_user_sgpr_kernarg_segment_ptr 1
		.amdhsa_user_sgpr_dispatch_id 0
		.amdhsa_user_sgpr_flat_scratch_init 0
		.amdhsa_user_sgpr_private_segment_size 0
		.amdhsa_wavefront_size32 1
		.amdhsa_uses_dynamic_stack 0
		.amdhsa_system_sgpr_private_segment_wavefront_offset 0
		.amdhsa_system_sgpr_workgroup_id_x 1
		.amdhsa_system_sgpr_workgroup_id_y 0
		.amdhsa_system_sgpr_workgroup_id_z 0
		.amdhsa_system_sgpr_workgroup_info 0
		.amdhsa_system_vgpr_workitem_id 0
		.amdhsa_next_free_vgpr 1
		.amdhsa_next_free_sgpr 1
		.amdhsa_reserve_vcc 0
		.amdhsa_reserve_flat_scratch 0
		.amdhsa_float_round_mode_32 0
		.amdhsa_float_round_mode_16_64 0
		.amdhsa_float_denorm_mode_32 3
		.amdhsa_float_denorm_mode_16_64 3
		.amdhsa_dx10_clamp 1
		.amdhsa_ieee_mode 1
		.amdhsa_fp16_overflow 0
		.amdhsa_workgroup_processor_mode 1
		.amdhsa_memory_ordered 1
		.amdhsa_forward_progress 1
		.amdhsa_shared_vgpr_count 0
		.amdhsa_exception_fp_ieee_invalid_op 0
		.amdhsa_exception_fp_denorm_src 0
		.amdhsa_exception_fp_ieee_div_zero 0
		.amdhsa_exception_fp_ieee_overflow 0
		.amdhsa_exception_fp_ieee_underflow 0
		.amdhsa_exception_fp_ieee_inexact 0
		.amdhsa_exception_int_div_zero 0
	.end_amdhsa_kernel
	.section	.text._ZN7rocprim17ROCPRIM_400000_NS6detail17trampoline_kernelINS0_14default_configENS1_27scan_by_key_config_selectorIiiEEZZNS1_16scan_by_key_implILNS1_25lookback_scan_determinismE0ELb0ES3_N6thrust23THRUST_200600_302600_NS6detail15normal_iteratorINS9_10device_ptrIiEEEESE_SE_iNS9_4plusIvEENS9_8equal_toIiEEiEE10hipError_tPvRmT2_T3_T4_T5_mT6_T7_P12ihipStream_tbENKUlT_T0_E_clISt17integral_constantIbLb0EESY_IbLb1EEEEDaSU_SV_EUlSU_E_NS1_11comp_targetILNS1_3genE0ELNS1_11target_archE4294967295ELNS1_3gpuE0ELNS1_3repE0EEENS1_30default_config_static_selectorELNS0_4arch9wavefront6targetE0EEEvT1_,"axG",@progbits,_ZN7rocprim17ROCPRIM_400000_NS6detail17trampoline_kernelINS0_14default_configENS1_27scan_by_key_config_selectorIiiEEZZNS1_16scan_by_key_implILNS1_25lookback_scan_determinismE0ELb0ES3_N6thrust23THRUST_200600_302600_NS6detail15normal_iteratorINS9_10device_ptrIiEEEESE_SE_iNS9_4plusIvEENS9_8equal_toIiEEiEE10hipError_tPvRmT2_T3_T4_T5_mT6_T7_P12ihipStream_tbENKUlT_T0_E_clISt17integral_constantIbLb0EESY_IbLb1EEEEDaSU_SV_EUlSU_E_NS1_11comp_targetILNS1_3genE0ELNS1_11target_archE4294967295ELNS1_3gpuE0ELNS1_3repE0EEENS1_30default_config_static_selectorELNS0_4arch9wavefront6targetE0EEEvT1_,comdat
.Lfunc_end227:
	.size	_ZN7rocprim17ROCPRIM_400000_NS6detail17trampoline_kernelINS0_14default_configENS1_27scan_by_key_config_selectorIiiEEZZNS1_16scan_by_key_implILNS1_25lookback_scan_determinismE0ELb0ES3_N6thrust23THRUST_200600_302600_NS6detail15normal_iteratorINS9_10device_ptrIiEEEESE_SE_iNS9_4plusIvEENS9_8equal_toIiEEiEE10hipError_tPvRmT2_T3_T4_T5_mT6_T7_P12ihipStream_tbENKUlT_T0_E_clISt17integral_constantIbLb0EESY_IbLb1EEEEDaSU_SV_EUlSU_E_NS1_11comp_targetILNS1_3genE0ELNS1_11target_archE4294967295ELNS1_3gpuE0ELNS1_3repE0EEENS1_30default_config_static_selectorELNS0_4arch9wavefront6targetE0EEEvT1_, .Lfunc_end227-_ZN7rocprim17ROCPRIM_400000_NS6detail17trampoline_kernelINS0_14default_configENS1_27scan_by_key_config_selectorIiiEEZZNS1_16scan_by_key_implILNS1_25lookback_scan_determinismE0ELb0ES3_N6thrust23THRUST_200600_302600_NS6detail15normal_iteratorINS9_10device_ptrIiEEEESE_SE_iNS9_4plusIvEENS9_8equal_toIiEEiEE10hipError_tPvRmT2_T3_T4_T5_mT6_T7_P12ihipStream_tbENKUlT_T0_E_clISt17integral_constantIbLb0EESY_IbLb1EEEEDaSU_SV_EUlSU_E_NS1_11comp_targetILNS1_3genE0ELNS1_11target_archE4294967295ELNS1_3gpuE0ELNS1_3repE0EEENS1_30default_config_static_selectorELNS0_4arch9wavefront6targetE0EEEvT1_
                                        ; -- End function
	.set _ZN7rocprim17ROCPRIM_400000_NS6detail17trampoline_kernelINS0_14default_configENS1_27scan_by_key_config_selectorIiiEEZZNS1_16scan_by_key_implILNS1_25lookback_scan_determinismE0ELb0ES3_N6thrust23THRUST_200600_302600_NS6detail15normal_iteratorINS9_10device_ptrIiEEEESE_SE_iNS9_4plusIvEENS9_8equal_toIiEEiEE10hipError_tPvRmT2_T3_T4_T5_mT6_T7_P12ihipStream_tbENKUlT_T0_E_clISt17integral_constantIbLb0EESY_IbLb1EEEEDaSU_SV_EUlSU_E_NS1_11comp_targetILNS1_3genE0ELNS1_11target_archE4294967295ELNS1_3gpuE0ELNS1_3repE0EEENS1_30default_config_static_selectorELNS0_4arch9wavefront6targetE0EEEvT1_.num_vgpr, 0
	.set _ZN7rocprim17ROCPRIM_400000_NS6detail17trampoline_kernelINS0_14default_configENS1_27scan_by_key_config_selectorIiiEEZZNS1_16scan_by_key_implILNS1_25lookback_scan_determinismE0ELb0ES3_N6thrust23THRUST_200600_302600_NS6detail15normal_iteratorINS9_10device_ptrIiEEEESE_SE_iNS9_4plusIvEENS9_8equal_toIiEEiEE10hipError_tPvRmT2_T3_T4_T5_mT6_T7_P12ihipStream_tbENKUlT_T0_E_clISt17integral_constantIbLb0EESY_IbLb1EEEEDaSU_SV_EUlSU_E_NS1_11comp_targetILNS1_3genE0ELNS1_11target_archE4294967295ELNS1_3gpuE0ELNS1_3repE0EEENS1_30default_config_static_selectorELNS0_4arch9wavefront6targetE0EEEvT1_.num_agpr, 0
	.set _ZN7rocprim17ROCPRIM_400000_NS6detail17trampoline_kernelINS0_14default_configENS1_27scan_by_key_config_selectorIiiEEZZNS1_16scan_by_key_implILNS1_25lookback_scan_determinismE0ELb0ES3_N6thrust23THRUST_200600_302600_NS6detail15normal_iteratorINS9_10device_ptrIiEEEESE_SE_iNS9_4plusIvEENS9_8equal_toIiEEiEE10hipError_tPvRmT2_T3_T4_T5_mT6_T7_P12ihipStream_tbENKUlT_T0_E_clISt17integral_constantIbLb0EESY_IbLb1EEEEDaSU_SV_EUlSU_E_NS1_11comp_targetILNS1_3genE0ELNS1_11target_archE4294967295ELNS1_3gpuE0ELNS1_3repE0EEENS1_30default_config_static_selectorELNS0_4arch9wavefront6targetE0EEEvT1_.numbered_sgpr, 0
	.set _ZN7rocprim17ROCPRIM_400000_NS6detail17trampoline_kernelINS0_14default_configENS1_27scan_by_key_config_selectorIiiEEZZNS1_16scan_by_key_implILNS1_25lookback_scan_determinismE0ELb0ES3_N6thrust23THRUST_200600_302600_NS6detail15normal_iteratorINS9_10device_ptrIiEEEESE_SE_iNS9_4plusIvEENS9_8equal_toIiEEiEE10hipError_tPvRmT2_T3_T4_T5_mT6_T7_P12ihipStream_tbENKUlT_T0_E_clISt17integral_constantIbLb0EESY_IbLb1EEEEDaSU_SV_EUlSU_E_NS1_11comp_targetILNS1_3genE0ELNS1_11target_archE4294967295ELNS1_3gpuE0ELNS1_3repE0EEENS1_30default_config_static_selectorELNS0_4arch9wavefront6targetE0EEEvT1_.num_named_barrier, 0
	.set _ZN7rocprim17ROCPRIM_400000_NS6detail17trampoline_kernelINS0_14default_configENS1_27scan_by_key_config_selectorIiiEEZZNS1_16scan_by_key_implILNS1_25lookback_scan_determinismE0ELb0ES3_N6thrust23THRUST_200600_302600_NS6detail15normal_iteratorINS9_10device_ptrIiEEEESE_SE_iNS9_4plusIvEENS9_8equal_toIiEEiEE10hipError_tPvRmT2_T3_T4_T5_mT6_T7_P12ihipStream_tbENKUlT_T0_E_clISt17integral_constantIbLb0EESY_IbLb1EEEEDaSU_SV_EUlSU_E_NS1_11comp_targetILNS1_3genE0ELNS1_11target_archE4294967295ELNS1_3gpuE0ELNS1_3repE0EEENS1_30default_config_static_selectorELNS0_4arch9wavefront6targetE0EEEvT1_.private_seg_size, 0
	.set _ZN7rocprim17ROCPRIM_400000_NS6detail17trampoline_kernelINS0_14default_configENS1_27scan_by_key_config_selectorIiiEEZZNS1_16scan_by_key_implILNS1_25lookback_scan_determinismE0ELb0ES3_N6thrust23THRUST_200600_302600_NS6detail15normal_iteratorINS9_10device_ptrIiEEEESE_SE_iNS9_4plusIvEENS9_8equal_toIiEEiEE10hipError_tPvRmT2_T3_T4_T5_mT6_T7_P12ihipStream_tbENKUlT_T0_E_clISt17integral_constantIbLb0EESY_IbLb1EEEEDaSU_SV_EUlSU_E_NS1_11comp_targetILNS1_3genE0ELNS1_11target_archE4294967295ELNS1_3gpuE0ELNS1_3repE0EEENS1_30default_config_static_selectorELNS0_4arch9wavefront6targetE0EEEvT1_.uses_vcc, 0
	.set _ZN7rocprim17ROCPRIM_400000_NS6detail17trampoline_kernelINS0_14default_configENS1_27scan_by_key_config_selectorIiiEEZZNS1_16scan_by_key_implILNS1_25lookback_scan_determinismE0ELb0ES3_N6thrust23THRUST_200600_302600_NS6detail15normal_iteratorINS9_10device_ptrIiEEEESE_SE_iNS9_4plusIvEENS9_8equal_toIiEEiEE10hipError_tPvRmT2_T3_T4_T5_mT6_T7_P12ihipStream_tbENKUlT_T0_E_clISt17integral_constantIbLb0EESY_IbLb1EEEEDaSU_SV_EUlSU_E_NS1_11comp_targetILNS1_3genE0ELNS1_11target_archE4294967295ELNS1_3gpuE0ELNS1_3repE0EEENS1_30default_config_static_selectorELNS0_4arch9wavefront6targetE0EEEvT1_.uses_flat_scratch, 0
	.set _ZN7rocprim17ROCPRIM_400000_NS6detail17trampoline_kernelINS0_14default_configENS1_27scan_by_key_config_selectorIiiEEZZNS1_16scan_by_key_implILNS1_25lookback_scan_determinismE0ELb0ES3_N6thrust23THRUST_200600_302600_NS6detail15normal_iteratorINS9_10device_ptrIiEEEESE_SE_iNS9_4plusIvEENS9_8equal_toIiEEiEE10hipError_tPvRmT2_T3_T4_T5_mT6_T7_P12ihipStream_tbENKUlT_T0_E_clISt17integral_constantIbLb0EESY_IbLb1EEEEDaSU_SV_EUlSU_E_NS1_11comp_targetILNS1_3genE0ELNS1_11target_archE4294967295ELNS1_3gpuE0ELNS1_3repE0EEENS1_30default_config_static_selectorELNS0_4arch9wavefront6targetE0EEEvT1_.has_dyn_sized_stack, 0
	.set _ZN7rocprim17ROCPRIM_400000_NS6detail17trampoline_kernelINS0_14default_configENS1_27scan_by_key_config_selectorIiiEEZZNS1_16scan_by_key_implILNS1_25lookback_scan_determinismE0ELb0ES3_N6thrust23THRUST_200600_302600_NS6detail15normal_iteratorINS9_10device_ptrIiEEEESE_SE_iNS9_4plusIvEENS9_8equal_toIiEEiEE10hipError_tPvRmT2_T3_T4_T5_mT6_T7_P12ihipStream_tbENKUlT_T0_E_clISt17integral_constantIbLb0EESY_IbLb1EEEEDaSU_SV_EUlSU_E_NS1_11comp_targetILNS1_3genE0ELNS1_11target_archE4294967295ELNS1_3gpuE0ELNS1_3repE0EEENS1_30default_config_static_selectorELNS0_4arch9wavefront6targetE0EEEvT1_.has_recursion, 0
	.set _ZN7rocprim17ROCPRIM_400000_NS6detail17trampoline_kernelINS0_14default_configENS1_27scan_by_key_config_selectorIiiEEZZNS1_16scan_by_key_implILNS1_25lookback_scan_determinismE0ELb0ES3_N6thrust23THRUST_200600_302600_NS6detail15normal_iteratorINS9_10device_ptrIiEEEESE_SE_iNS9_4plusIvEENS9_8equal_toIiEEiEE10hipError_tPvRmT2_T3_T4_T5_mT6_T7_P12ihipStream_tbENKUlT_T0_E_clISt17integral_constantIbLb0EESY_IbLb1EEEEDaSU_SV_EUlSU_E_NS1_11comp_targetILNS1_3genE0ELNS1_11target_archE4294967295ELNS1_3gpuE0ELNS1_3repE0EEENS1_30default_config_static_selectorELNS0_4arch9wavefront6targetE0EEEvT1_.has_indirect_call, 0
	.section	.AMDGPU.csdata,"",@progbits
; Kernel info:
; codeLenInByte = 0
; TotalNumSgprs: 0
; NumVgprs: 0
; ScratchSize: 0
; MemoryBound: 0
; FloatMode: 240
; IeeeMode: 1
; LDSByteSize: 0 bytes/workgroup (compile time only)
; SGPRBlocks: 0
; VGPRBlocks: 0
; NumSGPRsForWavesPerEU: 1
; NumVGPRsForWavesPerEU: 1
; Occupancy: 16
; WaveLimiterHint : 0
; COMPUTE_PGM_RSRC2:SCRATCH_EN: 0
; COMPUTE_PGM_RSRC2:USER_SGPR: 6
; COMPUTE_PGM_RSRC2:TRAP_HANDLER: 0
; COMPUTE_PGM_RSRC2:TGID_X_EN: 1
; COMPUTE_PGM_RSRC2:TGID_Y_EN: 0
; COMPUTE_PGM_RSRC2:TGID_Z_EN: 0
; COMPUTE_PGM_RSRC2:TIDIG_COMP_CNT: 0
	.section	.text._ZN7rocprim17ROCPRIM_400000_NS6detail17trampoline_kernelINS0_14default_configENS1_27scan_by_key_config_selectorIiiEEZZNS1_16scan_by_key_implILNS1_25lookback_scan_determinismE0ELb0ES3_N6thrust23THRUST_200600_302600_NS6detail15normal_iteratorINS9_10device_ptrIiEEEESE_SE_iNS9_4plusIvEENS9_8equal_toIiEEiEE10hipError_tPvRmT2_T3_T4_T5_mT6_T7_P12ihipStream_tbENKUlT_T0_E_clISt17integral_constantIbLb0EESY_IbLb1EEEEDaSU_SV_EUlSU_E_NS1_11comp_targetILNS1_3genE10ELNS1_11target_archE1201ELNS1_3gpuE5ELNS1_3repE0EEENS1_30default_config_static_selectorELNS0_4arch9wavefront6targetE0EEEvT1_,"axG",@progbits,_ZN7rocprim17ROCPRIM_400000_NS6detail17trampoline_kernelINS0_14default_configENS1_27scan_by_key_config_selectorIiiEEZZNS1_16scan_by_key_implILNS1_25lookback_scan_determinismE0ELb0ES3_N6thrust23THRUST_200600_302600_NS6detail15normal_iteratorINS9_10device_ptrIiEEEESE_SE_iNS9_4plusIvEENS9_8equal_toIiEEiEE10hipError_tPvRmT2_T3_T4_T5_mT6_T7_P12ihipStream_tbENKUlT_T0_E_clISt17integral_constantIbLb0EESY_IbLb1EEEEDaSU_SV_EUlSU_E_NS1_11comp_targetILNS1_3genE10ELNS1_11target_archE1201ELNS1_3gpuE5ELNS1_3repE0EEENS1_30default_config_static_selectorELNS0_4arch9wavefront6targetE0EEEvT1_,comdat
	.protected	_ZN7rocprim17ROCPRIM_400000_NS6detail17trampoline_kernelINS0_14default_configENS1_27scan_by_key_config_selectorIiiEEZZNS1_16scan_by_key_implILNS1_25lookback_scan_determinismE0ELb0ES3_N6thrust23THRUST_200600_302600_NS6detail15normal_iteratorINS9_10device_ptrIiEEEESE_SE_iNS9_4plusIvEENS9_8equal_toIiEEiEE10hipError_tPvRmT2_T3_T4_T5_mT6_T7_P12ihipStream_tbENKUlT_T0_E_clISt17integral_constantIbLb0EESY_IbLb1EEEEDaSU_SV_EUlSU_E_NS1_11comp_targetILNS1_3genE10ELNS1_11target_archE1201ELNS1_3gpuE5ELNS1_3repE0EEENS1_30default_config_static_selectorELNS0_4arch9wavefront6targetE0EEEvT1_ ; -- Begin function _ZN7rocprim17ROCPRIM_400000_NS6detail17trampoline_kernelINS0_14default_configENS1_27scan_by_key_config_selectorIiiEEZZNS1_16scan_by_key_implILNS1_25lookback_scan_determinismE0ELb0ES3_N6thrust23THRUST_200600_302600_NS6detail15normal_iteratorINS9_10device_ptrIiEEEESE_SE_iNS9_4plusIvEENS9_8equal_toIiEEiEE10hipError_tPvRmT2_T3_T4_T5_mT6_T7_P12ihipStream_tbENKUlT_T0_E_clISt17integral_constantIbLb0EESY_IbLb1EEEEDaSU_SV_EUlSU_E_NS1_11comp_targetILNS1_3genE10ELNS1_11target_archE1201ELNS1_3gpuE5ELNS1_3repE0EEENS1_30default_config_static_selectorELNS0_4arch9wavefront6targetE0EEEvT1_
	.globl	_ZN7rocprim17ROCPRIM_400000_NS6detail17trampoline_kernelINS0_14default_configENS1_27scan_by_key_config_selectorIiiEEZZNS1_16scan_by_key_implILNS1_25lookback_scan_determinismE0ELb0ES3_N6thrust23THRUST_200600_302600_NS6detail15normal_iteratorINS9_10device_ptrIiEEEESE_SE_iNS9_4plusIvEENS9_8equal_toIiEEiEE10hipError_tPvRmT2_T3_T4_T5_mT6_T7_P12ihipStream_tbENKUlT_T0_E_clISt17integral_constantIbLb0EESY_IbLb1EEEEDaSU_SV_EUlSU_E_NS1_11comp_targetILNS1_3genE10ELNS1_11target_archE1201ELNS1_3gpuE5ELNS1_3repE0EEENS1_30default_config_static_selectorELNS0_4arch9wavefront6targetE0EEEvT1_
	.p2align	8
	.type	_ZN7rocprim17ROCPRIM_400000_NS6detail17trampoline_kernelINS0_14default_configENS1_27scan_by_key_config_selectorIiiEEZZNS1_16scan_by_key_implILNS1_25lookback_scan_determinismE0ELb0ES3_N6thrust23THRUST_200600_302600_NS6detail15normal_iteratorINS9_10device_ptrIiEEEESE_SE_iNS9_4plusIvEENS9_8equal_toIiEEiEE10hipError_tPvRmT2_T3_T4_T5_mT6_T7_P12ihipStream_tbENKUlT_T0_E_clISt17integral_constantIbLb0EESY_IbLb1EEEEDaSU_SV_EUlSU_E_NS1_11comp_targetILNS1_3genE10ELNS1_11target_archE1201ELNS1_3gpuE5ELNS1_3repE0EEENS1_30default_config_static_selectorELNS0_4arch9wavefront6targetE0EEEvT1_,@function
_ZN7rocprim17ROCPRIM_400000_NS6detail17trampoline_kernelINS0_14default_configENS1_27scan_by_key_config_selectorIiiEEZZNS1_16scan_by_key_implILNS1_25lookback_scan_determinismE0ELb0ES3_N6thrust23THRUST_200600_302600_NS6detail15normal_iteratorINS9_10device_ptrIiEEEESE_SE_iNS9_4plusIvEENS9_8equal_toIiEEiEE10hipError_tPvRmT2_T3_T4_T5_mT6_T7_P12ihipStream_tbENKUlT_T0_E_clISt17integral_constantIbLb0EESY_IbLb1EEEEDaSU_SV_EUlSU_E_NS1_11comp_targetILNS1_3genE10ELNS1_11target_archE1201ELNS1_3gpuE5ELNS1_3repE0EEENS1_30default_config_static_selectorELNS0_4arch9wavefront6targetE0EEEvT1_: ; @_ZN7rocprim17ROCPRIM_400000_NS6detail17trampoline_kernelINS0_14default_configENS1_27scan_by_key_config_selectorIiiEEZZNS1_16scan_by_key_implILNS1_25lookback_scan_determinismE0ELb0ES3_N6thrust23THRUST_200600_302600_NS6detail15normal_iteratorINS9_10device_ptrIiEEEESE_SE_iNS9_4plusIvEENS9_8equal_toIiEEiEE10hipError_tPvRmT2_T3_T4_T5_mT6_T7_P12ihipStream_tbENKUlT_T0_E_clISt17integral_constantIbLb0EESY_IbLb1EEEEDaSU_SV_EUlSU_E_NS1_11comp_targetILNS1_3genE10ELNS1_11target_archE1201ELNS1_3gpuE5ELNS1_3repE0EEENS1_30default_config_static_selectorELNS0_4arch9wavefront6targetE0EEEvT1_
; %bb.0:
	.section	.rodata,"a",@progbits
	.p2align	6, 0x0
	.amdhsa_kernel _ZN7rocprim17ROCPRIM_400000_NS6detail17trampoline_kernelINS0_14default_configENS1_27scan_by_key_config_selectorIiiEEZZNS1_16scan_by_key_implILNS1_25lookback_scan_determinismE0ELb0ES3_N6thrust23THRUST_200600_302600_NS6detail15normal_iteratorINS9_10device_ptrIiEEEESE_SE_iNS9_4plusIvEENS9_8equal_toIiEEiEE10hipError_tPvRmT2_T3_T4_T5_mT6_T7_P12ihipStream_tbENKUlT_T0_E_clISt17integral_constantIbLb0EESY_IbLb1EEEEDaSU_SV_EUlSU_E_NS1_11comp_targetILNS1_3genE10ELNS1_11target_archE1201ELNS1_3gpuE5ELNS1_3repE0EEENS1_30default_config_static_selectorELNS0_4arch9wavefront6targetE0EEEvT1_
		.amdhsa_group_segment_fixed_size 0
		.amdhsa_private_segment_fixed_size 0
		.amdhsa_kernarg_size 112
		.amdhsa_user_sgpr_count 6
		.amdhsa_user_sgpr_private_segment_buffer 1
		.amdhsa_user_sgpr_dispatch_ptr 0
		.amdhsa_user_sgpr_queue_ptr 0
		.amdhsa_user_sgpr_kernarg_segment_ptr 1
		.amdhsa_user_sgpr_dispatch_id 0
		.amdhsa_user_sgpr_flat_scratch_init 0
		.amdhsa_user_sgpr_private_segment_size 0
		.amdhsa_wavefront_size32 1
		.amdhsa_uses_dynamic_stack 0
		.amdhsa_system_sgpr_private_segment_wavefront_offset 0
		.amdhsa_system_sgpr_workgroup_id_x 1
		.amdhsa_system_sgpr_workgroup_id_y 0
		.amdhsa_system_sgpr_workgroup_id_z 0
		.amdhsa_system_sgpr_workgroup_info 0
		.amdhsa_system_vgpr_workitem_id 0
		.amdhsa_next_free_vgpr 1
		.amdhsa_next_free_sgpr 1
		.amdhsa_reserve_vcc 0
		.amdhsa_reserve_flat_scratch 0
		.amdhsa_float_round_mode_32 0
		.amdhsa_float_round_mode_16_64 0
		.amdhsa_float_denorm_mode_32 3
		.amdhsa_float_denorm_mode_16_64 3
		.amdhsa_dx10_clamp 1
		.amdhsa_ieee_mode 1
		.amdhsa_fp16_overflow 0
		.amdhsa_workgroup_processor_mode 1
		.amdhsa_memory_ordered 1
		.amdhsa_forward_progress 1
		.amdhsa_shared_vgpr_count 0
		.amdhsa_exception_fp_ieee_invalid_op 0
		.amdhsa_exception_fp_denorm_src 0
		.amdhsa_exception_fp_ieee_div_zero 0
		.amdhsa_exception_fp_ieee_overflow 0
		.amdhsa_exception_fp_ieee_underflow 0
		.amdhsa_exception_fp_ieee_inexact 0
		.amdhsa_exception_int_div_zero 0
	.end_amdhsa_kernel
	.section	.text._ZN7rocprim17ROCPRIM_400000_NS6detail17trampoline_kernelINS0_14default_configENS1_27scan_by_key_config_selectorIiiEEZZNS1_16scan_by_key_implILNS1_25lookback_scan_determinismE0ELb0ES3_N6thrust23THRUST_200600_302600_NS6detail15normal_iteratorINS9_10device_ptrIiEEEESE_SE_iNS9_4plusIvEENS9_8equal_toIiEEiEE10hipError_tPvRmT2_T3_T4_T5_mT6_T7_P12ihipStream_tbENKUlT_T0_E_clISt17integral_constantIbLb0EESY_IbLb1EEEEDaSU_SV_EUlSU_E_NS1_11comp_targetILNS1_3genE10ELNS1_11target_archE1201ELNS1_3gpuE5ELNS1_3repE0EEENS1_30default_config_static_selectorELNS0_4arch9wavefront6targetE0EEEvT1_,"axG",@progbits,_ZN7rocprim17ROCPRIM_400000_NS6detail17trampoline_kernelINS0_14default_configENS1_27scan_by_key_config_selectorIiiEEZZNS1_16scan_by_key_implILNS1_25lookback_scan_determinismE0ELb0ES3_N6thrust23THRUST_200600_302600_NS6detail15normal_iteratorINS9_10device_ptrIiEEEESE_SE_iNS9_4plusIvEENS9_8equal_toIiEEiEE10hipError_tPvRmT2_T3_T4_T5_mT6_T7_P12ihipStream_tbENKUlT_T0_E_clISt17integral_constantIbLb0EESY_IbLb1EEEEDaSU_SV_EUlSU_E_NS1_11comp_targetILNS1_3genE10ELNS1_11target_archE1201ELNS1_3gpuE5ELNS1_3repE0EEENS1_30default_config_static_selectorELNS0_4arch9wavefront6targetE0EEEvT1_,comdat
.Lfunc_end228:
	.size	_ZN7rocprim17ROCPRIM_400000_NS6detail17trampoline_kernelINS0_14default_configENS1_27scan_by_key_config_selectorIiiEEZZNS1_16scan_by_key_implILNS1_25lookback_scan_determinismE0ELb0ES3_N6thrust23THRUST_200600_302600_NS6detail15normal_iteratorINS9_10device_ptrIiEEEESE_SE_iNS9_4plusIvEENS9_8equal_toIiEEiEE10hipError_tPvRmT2_T3_T4_T5_mT6_T7_P12ihipStream_tbENKUlT_T0_E_clISt17integral_constantIbLb0EESY_IbLb1EEEEDaSU_SV_EUlSU_E_NS1_11comp_targetILNS1_3genE10ELNS1_11target_archE1201ELNS1_3gpuE5ELNS1_3repE0EEENS1_30default_config_static_selectorELNS0_4arch9wavefront6targetE0EEEvT1_, .Lfunc_end228-_ZN7rocprim17ROCPRIM_400000_NS6detail17trampoline_kernelINS0_14default_configENS1_27scan_by_key_config_selectorIiiEEZZNS1_16scan_by_key_implILNS1_25lookback_scan_determinismE0ELb0ES3_N6thrust23THRUST_200600_302600_NS6detail15normal_iteratorINS9_10device_ptrIiEEEESE_SE_iNS9_4plusIvEENS9_8equal_toIiEEiEE10hipError_tPvRmT2_T3_T4_T5_mT6_T7_P12ihipStream_tbENKUlT_T0_E_clISt17integral_constantIbLb0EESY_IbLb1EEEEDaSU_SV_EUlSU_E_NS1_11comp_targetILNS1_3genE10ELNS1_11target_archE1201ELNS1_3gpuE5ELNS1_3repE0EEENS1_30default_config_static_selectorELNS0_4arch9wavefront6targetE0EEEvT1_
                                        ; -- End function
	.set _ZN7rocprim17ROCPRIM_400000_NS6detail17trampoline_kernelINS0_14default_configENS1_27scan_by_key_config_selectorIiiEEZZNS1_16scan_by_key_implILNS1_25lookback_scan_determinismE0ELb0ES3_N6thrust23THRUST_200600_302600_NS6detail15normal_iteratorINS9_10device_ptrIiEEEESE_SE_iNS9_4plusIvEENS9_8equal_toIiEEiEE10hipError_tPvRmT2_T3_T4_T5_mT6_T7_P12ihipStream_tbENKUlT_T0_E_clISt17integral_constantIbLb0EESY_IbLb1EEEEDaSU_SV_EUlSU_E_NS1_11comp_targetILNS1_3genE10ELNS1_11target_archE1201ELNS1_3gpuE5ELNS1_3repE0EEENS1_30default_config_static_selectorELNS0_4arch9wavefront6targetE0EEEvT1_.num_vgpr, 0
	.set _ZN7rocprim17ROCPRIM_400000_NS6detail17trampoline_kernelINS0_14default_configENS1_27scan_by_key_config_selectorIiiEEZZNS1_16scan_by_key_implILNS1_25lookback_scan_determinismE0ELb0ES3_N6thrust23THRUST_200600_302600_NS6detail15normal_iteratorINS9_10device_ptrIiEEEESE_SE_iNS9_4plusIvEENS9_8equal_toIiEEiEE10hipError_tPvRmT2_T3_T4_T5_mT6_T7_P12ihipStream_tbENKUlT_T0_E_clISt17integral_constantIbLb0EESY_IbLb1EEEEDaSU_SV_EUlSU_E_NS1_11comp_targetILNS1_3genE10ELNS1_11target_archE1201ELNS1_3gpuE5ELNS1_3repE0EEENS1_30default_config_static_selectorELNS0_4arch9wavefront6targetE0EEEvT1_.num_agpr, 0
	.set _ZN7rocprim17ROCPRIM_400000_NS6detail17trampoline_kernelINS0_14default_configENS1_27scan_by_key_config_selectorIiiEEZZNS1_16scan_by_key_implILNS1_25lookback_scan_determinismE0ELb0ES3_N6thrust23THRUST_200600_302600_NS6detail15normal_iteratorINS9_10device_ptrIiEEEESE_SE_iNS9_4plusIvEENS9_8equal_toIiEEiEE10hipError_tPvRmT2_T3_T4_T5_mT6_T7_P12ihipStream_tbENKUlT_T0_E_clISt17integral_constantIbLb0EESY_IbLb1EEEEDaSU_SV_EUlSU_E_NS1_11comp_targetILNS1_3genE10ELNS1_11target_archE1201ELNS1_3gpuE5ELNS1_3repE0EEENS1_30default_config_static_selectorELNS0_4arch9wavefront6targetE0EEEvT1_.numbered_sgpr, 0
	.set _ZN7rocprim17ROCPRIM_400000_NS6detail17trampoline_kernelINS0_14default_configENS1_27scan_by_key_config_selectorIiiEEZZNS1_16scan_by_key_implILNS1_25lookback_scan_determinismE0ELb0ES3_N6thrust23THRUST_200600_302600_NS6detail15normal_iteratorINS9_10device_ptrIiEEEESE_SE_iNS9_4plusIvEENS9_8equal_toIiEEiEE10hipError_tPvRmT2_T3_T4_T5_mT6_T7_P12ihipStream_tbENKUlT_T0_E_clISt17integral_constantIbLb0EESY_IbLb1EEEEDaSU_SV_EUlSU_E_NS1_11comp_targetILNS1_3genE10ELNS1_11target_archE1201ELNS1_3gpuE5ELNS1_3repE0EEENS1_30default_config_static_selectorELNS0_4arch9wavefront6targetE0EEEvT1_.num_named_barrier, 0
	.set _ZN7rocprim17ROCPRIM_400000_NS6detail17trampoline_kernelINS0_14default_configENS1_27scan_by_key_config_selectorIiiEEZZNS1_16scan_by_key_implILNS1_25lookback_scan_determinismE0ELb0ES3_N6thrust23THRUST_200600_302600_NS6detail15normal_iteratorINS9_10device_ptrIiEEEESE_SE_iNS9_4plusIvEENS9_8equal_toIiEEiEE10hipError_tPvRmT2_T3_T4_T5_mT6_T7_P12ihipStream_tbENKUlT_T0_E_clISt17integral_constantIbLb0EESY_IbLb1EEEEDaSU_SV_EUlSU_E_NS1_11comp_targetILNS1_3genE10ELNS1_11target_archE1201ELNS1_3gpuE5ELNS1_3repE0EEENS1_30default_config_static_selectorELNS0_4arch9wavefront6targetE0EEEvT1_.private_seg_size, 0
	.set _ZN7rocprim17ROCPRIM_400000_NS6detail17trampoline_kernelINS0_14default_configENS1_27scan_by_key_config_selectorIiiEEZZNS1_16scan_by_key_implILNS1_25lookback_scan_determinismE0ELb0ES3_N6thrust23THRUST_200600_302600_NS6detail15normal_iteratorINS9_10device_ptrIiEEEESE_SE_iNS9_4plusIvEENS9_8equal_toIiEEiEE10hipError_tPvRmT2_T3_T4_T5_mT6_T7_P12ihipStream_tbENKUlT_T0_E_clISt17integral_constantIbLb0EESY_IbLb1EEEEDaSU_SV_EUlSU_E_NS1_11comp_targetILNS1_3genE10ELNS1_11target_archE1201ELNS1_3gpuE5ELNS1_3repE0EEENS1_30default_config_static_selectorELNS0_4arch9wavefront6targetE0EEEvT1_.uses_vcc, 0
	.set _ZN7rocprim17ROCPRIM_400000_NS6detail17trampoline_kernelINS0_14default_configENS1_27scan_by_key_config_selectorIiiEEZZNS1_16scan_by_key_implILNS1_25lookback_scan_determinismE0ELb0ES3_N6thrust23THRUST_200600_302600_NS6detail15normal_iteratorINS9_10device_ptrIiEEEESE_SE_iNS9_4plusIvEENS9_8equal_toIiEEiEE10hipError_tPvRmT2_T3_T4_T5_mT6_T7_P12ihipStream_tbENKUlT_T0_E_clISt17integral_constantIbLb0EESY_IbLb1EEEEDaSU_SV_EUlSU_E_NS1_11comp_targetILNS1_3genE10ELNS1_11target_archE1201ELNS1_3gpuE5ELNS1_3repE0EEENS1_30default_config_static_selectorELNS0_4arch9wavefront6targetE0EEEvT1_.uses_flat_scratch, 0
	.set _ZN7rocprim17ROCPRIM_400000_NS6detail17trampoline_kernelINS0_14default_configENS1_27scan_by_key_config_selectorIiiEEZZNS1_16scan_by_key_implILNS1_25lookback_scan_determinismE0ELb0ES3_N6thrust23THRUST_200600_302600_NS6detail15normal_iteratorINS9_10device_ptrIiEEEESE_SE_iNS9_4plusIvEENS9_8equal_toIiEEiEE10hipError_tPvRmT2_T3_T4_T5_mT6_T7_P12ihipStream_tbENKUlT_T0_E_clISt17integral_constantIbLb0EESY_IbLb1EEEEDaSU_SV_EUlSU_E_NS1_11comp_targetILNS1_3genE10ELNS1_11target_archE1201ELNS1_3gpuE5ELNS1_3repE0EEENS1_30default_config_static_selectorELNS0_4arch9wavefront6targetE0EEEvT1_.has_dyn_sized_stack, 0
	.set _ZN7rocprim17ROCPRIM_400000_NS6detail17trampoline_kernelINS0_14default_configENS1_27scan_by_key_config_selectorIiiEEZZNS1_16scan_by_key_implILNS1_25lookback_scan_determinismE0ELb0ES3_N6thrust23THRUST_200600_302600_NS6detail15normal_iteratorINS9_10device_ptrIiEEEESE_SE_iNS9_4plusIvEENS9_8equal_toIiEEiEE10hipError_tPvRmT2_T3_T4_T5_mT6_T7_P12ihipStream_tbENKUlT_T0_E_clISt17integral_constantIbLb0EESY_IbLb1EEEEDaSU_SV_EUlSU_E_NS1_11comp_targetILNS1_3genE10ELNS1_11target_archE1201ELNS1_3gpuE5ELNS1_3repE0EEENS1_30default_config_static_selectorELNS0_4arch9wavefront6targetE0EEEvT1_.has_recursion, 0
	.set _ZN7rocprim17ROCPRIM_400000_NS6detail17trampoline_kernelINS0_14default_configENS1_27scan_by_key_config_selectorIiiEEZZNS1_16scan_by_key_implILNS1_25lookback_scan_determinismE0ELb0ES3_N6thrust23THRUST_200600_302600_NS6detail15normal_iteratorINS9_10device_ptrIiEEEESE_SE_iNS9_4plusIvEENS9_8equal_toIiEEiEE10hipError_tPvRmT2_T3_T4_T5_mT6_T7_P12ihipStream_tbENKUlT_T0_E_clISt17integral_constantIbLb0EESY_IbLb1EEEEDaSU_SV_EUlSU_E_NS1_11comp_targetILNS1_3genE10ELNS1_11target_archE1201ELNS1_3gpuE5ELNS1_3repE0EEENS1_30default_config_static_selectorELNS0_4arch9wavefront6targetE0EEEvT1_.has_indirect_call, 0
	.section	.AMDGPU.csdata,"",@progbits
; Kernel info:
; codeLenInByte = 0
; TotalNumSgprs: 0
; NumVgprs: 0
; ScratchSize: 0
; MemoryBound: 0
; FloatMode: 240
; IeeeMode: 1
; LDSByteSize: 0 bytes/workgroup (compile time only)
; SGPRBlocks: 0
; VGPRBlocks: 0
; NumSGPRsForWavesPerEU: 1
; NumVGPRsForWavesPerEU: 1
; Occupancy: 16
; WaveLimiterHint : 0
; COMPUTE_PGM_RSRC2:SCRATCH_EN: 0
; COMPUTE_PGM_RSRC2:USER_SGPR: 6
; COMPUTE_PGM_RSRC2:TRAP_HANDLER: 0
; COMPUTE_PGM_RSRC2:TGID_X_EN: 1
; COMPUTE_PGM_RSRC2:TGID_Y_EN: 0
; COMPUTE_PGM_RSRC2:TGID_Z_EN: 0
; COMPUTE_PGM_RSRC2:TIDIG_COMP_CNT: 0
	.section	.text._ZN7rocprim17ROCPRIM_400000_NS6detail17trampoline_kernelINS0_14default_configENS1_27scan_by_key_config_selectorIiiEEZZNS1_16scan_by_key_implILNS1_25lookback_scan_determinismE0ELb0ES3_N6thrust23THRUST_200600_302600_NS6detail15normal_iteratorINS9_10device_ptrIiEEEESE_SE_iNS9_4plusIvEENS9_8equal_toIiEEiEE10hipError_tPvRmT2_T3_T4_T5_mT6_T7_P12ihipStream_tbENKUlT_T0_E_clISt17integral_constantIbLb0EESY_IbLb1EEEEDaSU_SV_EUlSU_E_NS1_11comp_targetILNS1_3genE5ELNS1_11target_archE942ELNS1_3gpuE9ELNS1_3repE0EEENS1_30default_config_static_selectorELNS0_4arch9wavefront6targetE0EEEvT1_,"axG",@progbits,_ZN7rocprim17ROCPRIM_400000_NS6detail17trampoline_kernelINS0_14default_configENS1_27scan_by_key_config_selectorIiiEEZZNS1_16scan_by_key_implILNS1_25lookback_scan_determinismE0ELb0ES3_N6thrust23THRUST_200600_302600_NS6detail15normal_iteratorINS9_10device_ptrIiEEEESE_SE_iNS9_4plusIvEENS9_8equal_toIiEEiEE10hipError_tPvRmT2_T3_T4_T5_mT6_T7_P12ihipStream_tbENKUlT_T0_E_clISt17integral_constantIbLb0EESY_IbLb1EEEEDaSU_SV_EUlSU_E_NS1_11comp_targetILNS1_3genE5ELNS1_11target_archE942ELNS1_3gpuE9ELNS1_3repE0EEENS1_30default_config_static_selectorELNS0_4arch9wavefront6targetE0EEEvT1_,comdat
	.protected	_ZN7rocprim17ROCPRIM_400000_NS6detail17trampoline_kernelINS0_14default_configENS1_27scan_by_key_config_selectorIiiEEZZNS1_16scan_by_key_implILNS1_25lookback_scan_determinismE0ELb0ES3_N6thrust23THRUST_200600_302600_NS6detail15normal_iteratorINS9_10device_ptrIiEEEESE_SE_iNS9_4plusIvEENS9_8equal_toIiEEiEE10hipError_tPvRmT2_T3_T4_T5_mT6_T7_P12ihipStream_tbENKUlT_T0_E_clISt17integral_constantIbLb0EESY_IbLb1EEEEDaSU_SV_EUlSU_E_NS1_11comp_targetILNS1_3genE5ELNS1_11target_archE942ELNS1_3gpuE9ELNS1_3repE0EEENS1_30default_config_static_selectorELNS0_4arch9wavefront6targetE0EEEvT1_ ; -- Begin function _ZN7rocprim17ROCPRIM_400000_NS6detail17trampoline_kernelINS0_14default_configENS1_27scan_by_key_config_selectorIiiEEZZNS1_16scan_by_key_implILNS1_25lookback_scan_determinismE0ELb0ES3_N6thrust23THRUST_200600_302600_NS6detail15normal_iteratorINS9_10device_ptrIiEEEESE_SE_iNS9_4plusIvEENS9_8equal_toIiEEiEE10hipError_tPvRmT2_T3_T4_T5_mT6_T7_P12ihipStream_tbENKUlT_T0_E_clISt17integral_constantIbLb0EESY_IbLb1EEEEDaSU_SV_EUlSU_E_NS1_11comp_targetILNS1_3genE5ELNS1_11target_archE942ELNS1_3gpuE9ELNS1_3repE0EEENS1_30default_config_static_selectorELNS0_4arch9wavefront6targetE0EEEvT1_
	.globl	_ZN7rocprim17ROCPRIM_400000_NS6detail17trampoline_kernelINS0_14default_configENS1_27scan_by_key_config_selectorIiiEEZZNS1_16scan_by_key_implILNS1_25lookback_scan_determinismE0ELb0ES3_N6thrust23THRUST_200600_302600_NS6detail15normal_iteratorINS9_10device_ptrIiEEEESE_SE_iNS9_4plusIvEENS9_8equal_toIiEEiEE10hipError_tPvRmT2_T3_T4_T5_mT6_T7_P12ihipStream_tbENKUlT_T0_E_clISt17integral_constantIbLb0EESY_IbLb1EEEEDaSU_SV_EUlSU_E_NS1_11comp_targetILNS1_3genE5ELNS1_11target_archE942ELNS1_3gpuE9ELNS1_3repE0EEENS1_30default_config_static_selectorELNS0_4arch9wavefront6targetE0EEEvT1_
	.p2align	8
	.type	_ZN7rocprim17ROCPRIM_400000_NS6detail17trampoline_kernelINS0_14default_configENS1_27scan_by_key_config_selectorIiiEEZZNS1_16scan_by_key_implILNS1_25lookback_scan_determinismE0ELb0ES3_N6thrust23THRUST_200600_302600_NS6detail15normal_iteratorINS9_10device_ptrIiEEEESE_SE_iNS9_4plusIvEENS9_8equal_toIiEEiEE10hipError_tPvRmT2_T3_T4_T5_mT6_T7_P12ihipStream_tbENKUlT_T0_E_clISt17integral_constantIbLb0EESY_IbLb1EEEEDaSU_SV_EUlSU_E_NS1_11comp_targetILNS1_3genE5ELNS1_11target_archE942ELNS1_3gpuE9ELNS1_3repE0EEENS1_30default_config_static_selectorELNS0_4arch9wavefront6targetE0EEEvT1_,@function
_ZN7rocprim17ROCPRIM_400000_NS6detail17trampoline_kernelINS0_14default_configENS1_27scan_by_key_config_selectorIiiEEZZNS1_16scan_by_key_implILNS1_25lookback_scan_determinismE0ELb0ES3_N6thrust23THRUST_200600_302600_NS6detail15normal_iteratorINS9_10device_ptrIiEEEESE_SE_iNS9_4plusIvEENS9_8equal_toIiEEiEE10hipError_tPvRmT2_T3_T4_T5_mT6_T7_P12ihipStream_tbENKUlT_T0_E_clISt17integral_constantIbLb0EESY_IbLb1EEEEDaSU_SV_EUlSU_E_NS1_11comp_targetILNS1_3genE5ELNS1_11target_archE942ELNS1_3gpuE9ELNS1_3repE0EEENS1_30default_config_static_selectorELNS0_4arch9wavefront6targetE0EEEvT1_: ; @_ZN7rocprim17ROCPRIM_400000_NS6detail17trampoline_kernelINS0_14default_configENS1_27scan_by_key_config_selectorIiiEEZZNS1_16scan_by_key_implILNS1_25lookback_scan_determinismE0ELb0ES3_N6thrust23THRUST_200600_302600_NS6detail15normal_iteratorINS9_10device_ptrIiEEEESE_SE_iNS9_4plusIvEENS9_8equal_toIiEEiEE10hipError_tPvRmT2_T3_T4_T5_mT6_T7_P12ihipStream_tbENKUlT_T0_E_clISt17integral_constantIbLb0EESY_IbLb1EEEEDaSU_SV_EUlSU_E_NS1_11comp_targetILNS1_3genE5ELNS1_11target_archE942ELNS1_3gpuE9ELNS1_3repE0EEENS1_30default_config_static_selectorELNS0_4arch9wavefront6targetE0EEEvT1_
; %bb.0:
	.section	.rodata,"a",@progbits
	.p2align	6, 0x0
	.amdhsa_kernel _ZN7rocprim17ROCPRIM_400000_NS6detail17trampoline_kernelINS0_14default_configENS1_27scan_by_key_config_selectorIiiEEZZNS1_16scan_by_key_implILNS1_25lookback_scan_determinismE0ELb0ES3_N6thrust23THRUST_200600_302600_NS6detail15normal_iteratorINS9_10device_ptrIiEEEESE_SE_iNS9_4plusIvEENS9_8equal_toIiEEiEE10hipError_tPvRmT2_T3_T4_T5_mT6_T7_P12ihipStream_tbENKUlT_T0_E_clISt17integral_constantIbLb0EESY_IbLb1EEEEDaSU_SV_EUlSU_E_NS1_11comp_targetILNS1_3genE5ELNS1_11target_archE942ELNS1_3gpuE9ELNS1_3repE0EEENS1_30default_config_static_selectorELNS0_4arch9wavefront6targetE0EEEvT1_
		.amdhsa_group_segment_fixed_size 0
		.amdhsa_private_segment_fixed_size 0
		.amdhsa_kernarg_size 112
		.amdhsa_user_sgpr_count 6
		.amdhsa_user_sgpr_private_segment_buffer 1
		.amdhsa_user_sgpr_dispatch_ptr 0
		.amdhsa_user_sgpr_queue_ptr 0
		.amdhsa_user_sgpr_kernarg_segment_ptr 1
		.amdhsa_user_sgpr_dispatch_id 0
		.amdhsa_user_sgpr_flat_scratch_init 0
		.amdhsa_user_sgpr_private_segment_size 0
		.amdhsa_wavefront_size32 1
		.amdhsa_uses_dynamic_stack 0
		.amdhsa_system_sgpr_private_segment_wavefront_offset 0
		.amdhsa_system_sgpr_workgroup_id_x 1
		.amdhsa_system_sgpr_workgroup_id_y 0
		.amdhsa_system_sgpr_workgroup_id_z 0
		.amdhsa_system_sgpr_workgroup_info 0
		.amdhsa_system_vgpr_workitem_id 0
		.amdhsa_next_free_vgpr 1
		.amdhsa_next_free_sgpr 1
		.amdhsa_reserve_vcc 0
		.amdhsa_reserve_flat_scratch 0
		.amdhsa_float_round_mode_32 0
		.amdhsa_float_round_mode_16_64 0
		.amdhsa_float_denorm_mode_32 3
		.amdhsa_float_denorm_mode_16_64 3
		.amdhsa_dx10_clamp 1
		.amdhsa_ieee_mode 1
		.amdhsa_fp16_overflow 0
		.amdhsa_workgroup_processor_mode 1
		.amdhsa_memory_ordered 1
		.amdhsa_forward_progress 1
		.amdhsa_shared_vgpr_count 0
		.amdhsa_exception_fp_ieee_invalid_op 0
		.amdhsa_exception_fp_denorm_src 0
		.amdhsa_exception_fp_ieee_div_zero 0
		.amdhsa_exception_fp_ieee_overflow 0
		.amdhsa_exception_fp_ieee_underflow 0
		.amdhsa_exception_fp_ieee_inexact 0
		.amdhsa_exception_int_div_zero 0
	.end_amdhsa_kernel
	.section	.text._ZN7rocprim17ROCPRIM_400000_NS6detail17trampoline_kernelINS0_14default_configENS1_27scan_by_key_config_selectorIiiEEZZNS1_16scan_by_key_implILNS1_25lookback_scan_determinismE0ELb0ES3_N6thrust23THRUST_200600_302600_NS6detail15normal_iteratorINS9_10device_ptrIiEEEESE_SE_iNS9_4plusIvEENS9_8equal_toIiEEiEE10hipError_tPvRmT2_T3_T4_T5_mT6_T7_P12ihipStream_tbENKUlT_T0_E_clISt17integral_constantIbLb0EESY_IbLb1EEEEDaSU_SV_EUlSU_E_NS1_11comp_targetILNS1_3genE5ELNS1_11target_archE942ELNS1_3gpuE9ELNS1_3repE0EEENS1_30default_config_static_selectorELNS0_4arch9wavefront6targetE0EEEvT1_,"axG",@progbits,_ZN7rocprim17ROCPRIM_400000_NS6detail17trampoline_kernelINS0_14default_configENS1_27scan_by_key_config_selectorIiiEEZZNS1_16scan_by_key_implILNS1_25lookback_scan_determinismE0ELb0ES3_N6thrust23THRUST_200600_302600_NS6detail15normal_iteratorINS9_10device_ptrIiEEEESE_SE_iNS9_4plusIvEENS9_8equal_toIiEEiEE10hipError_tPvRmT2_T3_T4_T5_mT6_T7_P12ihipStream_tbENKUlT_T0_E_clISt17integral_constantIbLb0EESY_IbLb1EEEEDaSU_SV_EUlSU_E_NS1_11comp_targetILNS1_3genE5ELNS1_11target_archE942ELNS1_3gpuE9ELNS1_3repE0EEENS1_30default_config_static_selectorELNS0_4arch9wavefront6targetE0EEEvT1_,comdat
.Lfunc_end229:
	.size	_ZN7rocprim17ROCPRIM_400000_NS6detail17trampoline_kernelINS0_14default_configENS1_27scan_by_key_config_selectorIiiEEZZNS1_16scan_by_key_implILNS1_25lookback_scan_determinismE0ELb0ES3_N6thrust23THRUST_200600_302600_NS6detail15normal_iteratorINS9_10device_ptrIiEEEESE_SE_iNS9_4plusIvEENS9_8equal_toIiEEiEE10hipError_tPvRmT2_T3_T4_T5_mT6_T7_P12ihipStream_tbENKUlT_T0_E_clISt17integral_constantIbLb0EESY_IbLb1EEEEDaSU_SV_EUlSU_E_NS1_11comp_targetILNS1_3genE5ELNS1_11target_archE942ELNS1_3gpuE9ELNS1_3repE0EEENS1_30default_config_static_selectorELNS0_4arch9wavefront6targetE0EEEvT1_, .Lfunc_end229-_ZN7rocprim17ROCPRIM_400000_NS6detail17trampoline_kernelINS0_14default_configENS1_27scan_by_key_config_selectorIiiEEZZNS1_16scan_by_key_implILNS1_25lookback_scan_determinismE0ELb0ES3_N6thrust23THRUST_200600_302600_NS6detail15normal_iteratorINS9_10device_ptrIiEEEESE_SE_iNS9_4plusIvEENS9_8equal_toIiEEiEE10hipError_tPvRmT2_T3_T4_T5_mT6_T7_P12ihipStream_tbENKUlT_T0_E_clISt17integral_constantIbLb0EESY_IbLb1EEEEDaSU_SV_EUlSU_E_NS1_11comp_targetILNS1_3genE5ELNS1_11target_archE942ELNS1_3gpuE9ELNS1_3repE0EEENS1_30default_config_static_selectorELNS0_4arch9wavefront6targetE0EEEvT1_
                                        ; -- End function
	.set _ZN7rocprim17ROCPRIM_400000_NS6detail17trampoline_kernelINS0_14default_configENS1_27scan_by_key_config_selectorIiiEEZZNS1_16scan_by_key_implILNS1_25lookback_scan_determinismE0ELb0ES3_N6thrust23THRUST_200600_302600_NS6detail15normal_iteratorINS9_10device_ptrIiEEEESE_SE_iNS9_4plusIvEENS9_8equal_toIiEEiEE10hipError_tPvRmT2_T3_T4_T5_mT6_T7_P12ihipStream_tbENKUlT_T0_E_clISt17integral_constantIbLb0EESY_IbLb1EEEEDaSU_SV_EUlSU_E_NS1_11comp_targetILNS1_3genE5ELNS1_11target_archE942ELNS1_3gpuE9ELNS1_3repE0EEENS1_30default_config_static_selectorELNS0_4arch9wavefront6targetE0EEEvT1_.num_vgpr, 0
	.set _ZN7rocprim17ROCPRIM_400000_NS6detail17trampoline_kernelINS0_14default_configENS1_27scan_by_key_config_selectorIiiEEZZNS1_16scan_by_key_implILNS1_25lookback_scan_determinismE0ELb0ES3_N6thrust23THRUST_200600_302600_NS6detail15normal_iteratorINS9_10device_ptrIiEEEESE_SE_iNS9_4plusIvEENS9_8equal_toIiEEiEE10hipError_tPvRmT2_T3_T4_T5_mT6_T7_P12ihipStream_tbENKUlT_T0_E_clISt17integral_constantIbLb0EESY_IbLb1EEEEDaSU_SV_EUlSU_E_NS1_11comp_targetILNS1_3genE5ELNS1_11target_archE942ELNS1_3gpuE9ELNS1_3repE0EEENS1_30default_config_static_selectorELNS0_4arch9wavefront6targetE0EEEvT1_.num_agpr, 0
	.set _ZN7rocprim17ROCPRIM_400000_NS6detail17trampoline_kernelINS0_14default_configENS1_27scan_by_key_config_selectorIiiEEZZNS1_16scan_by_key_implILNS1_25lookback_scan_determinismE0ELb0ES3_N6thrust23THRUST_200600_302600_NS6detail15normal_iteratorINS9_10device_ptrIiEEEESE_SE_iNS9_4plusIvEENS9_8equal_toIiEEiEE10hipError_tPvRmT2_T3_T4_T5_mT6_T7_P12ihipStream_tbENKUlT_T0_E_clISt17integral_constantIbLb0EESY_IbLb1EEEEDaSU_SV_EUlSU_E_NS1_11comp_targetILNS1_3genE5ELNS1_11target_archE942ELNS1_3gpuE9ELNS1_3repE0EEENS1_30default_config_static_selectorELNS0_4arch9wavefront6targetE0EEEvT1_.numbered_sgpr, 0
	.set _ZN7rocprim17ROCPRIM_400000_NS6detail17trampoline_kernelINS0_14default_configENS1_27scan_by_key_config_selectorIiiEEZZNS1_16scan_by_key_implILNS1_25lookback_scan_determinismE0ELb0ES3_N6thrust23THRUST_200600_302600_NS6detail15normal_iteratorINS9_10device_ptrIiEEEESE_SE_iNS9_4plusIvEENS9_8equal_toIiEEiEE10hipError_tPvRmT2_T3_T4_T5_mT6_T7_P12ihipStream_tbENKUlT_T0_E_clISt17integral_constantIbLb0EESY_IbLb1EEEEDaSU_SV_EUlSU_E_NS1_11comp_targetILNS1_3genE5ELNS1_11target_archE942ELNS1_3gpuE9ELNS1_3repE0EEENS1_30default_config_static_selectorELNS0_4arch9wavefront6targetE0EEEvT1_.num_named_barrier, 0
	.set _ZN7rocprim17ROCPRIM_400000_NS6detail17trampoline_kernelINS0_14default_configENS1_27scan_by_key_config_selectorIiiEEZZNS1_16scan_by_key_implILNS1_25lookback_scan_determinismE0ELb0ES3_N6thrust23THRUST_200600_302600_NS6detail15normal_iteratorINS9_10device_ptrIiEEEESE_SE_iNS9_4plusIvEENS9_8equal_toIiEEiEE10hipError_tPvRmT2_T3_T4_T5_mT6_T7_P12ihipStream_tbENKUlT_T0_E_clISt17integral_constantIbLb0EESY_IbLb1EEEEDaSU_SV_EUlSU_E_NS1_11comp_targetILNS1_3genE5ELNS1_11target_archE942ELNS1_3gpuE9ELNS1_3repE0EEENS1_30default_config_static_selectorELNS0_4arch9wavefront6targetE0EEEvT1_.private_seg_size, 0
	.set _ZN7rocprim17ROCPRIM_400000_NS6detail17trampoline_kernelINS0_14default_configENS1_27scan_by_key_config_selectorIiiEEZZNS1_16scan_by_key_implILNS1_25lookback_scan_determinismE0ELb0ES3_N6thrust23THRUST_200600_302600_NS6detail15normal_iteratorINS9_10device_ptrIiEEEESE_SE_iNS9_4plusIvEENS9_8equal_toIiEEiEE10hipError_tPvRmT2_T3_T4_T5_mT6_T7_P12ihipStream_tbENKUlT_T0_E_clISt17integral_constantIbLb0EESY_IbLb1EEEEDaSU_SV_EUlSU_E_NS1_11comp_targetILNS1_3genE5ELNS1_11target_archE942ELNS1_3gpuE9ELNS1_3repE0EEENS1_30default_config_static_selectorELNS0_4arch9wavefront6targetE0EEEvT1_.uses_vcc, 0
	.set _ZN7rocprim17ROCPRIM_400000_NS6detail17trampoline_kernelINS0_14default_configENS1_27scan_by_key_config_selectorIiiEEZZNS1_16scan_by_key_implILNS1_25lookback_scan_determinismE0ELb0ES3_N6thrust23THRUST_200600_302600_NS6detail15normal_iteratorINS9_10device_ptrIiEEEESE_SE_iNS9_4plusIvEENS9_8equal_toIiEEiEE10hipError_tPvRmT2_T3_T4_T5_mT6_T7_P12ihipStream_tbENKUlT_T0_E_clISt17integral_constantIbLb0EESY_IbLb1EEEEDaSU_SV_EUlSU_E_NS1_11comp_targetILNS1_3genE5ELNS1_11target_archE942ELNS1_3gpuE9ELNS1_3repE0EEENS1_30default_config_static_selectorELNS0_4arch9wavefront6targetE0EEEvT1_.uses_flat_scratch, 0
	.set _ZN7rocprim17ROCPRIM_400000_NS6detail17trampoline_kernelINS0_14default_configENS1_27scan_by_key_config_selectorIiiEEZZNS1_16scan_by_key_implILNS1_25lookback_scan_determinismE0ELb0ES3_N6thrust23THRUST_200600_302600_NS6detail15normal_iteratorINS9_10device_ptrIiEEEESE_SE_iNS9_4plusIvEENS9_8equal_toIiEEiEE10hipError_tPvRmT2_T3_T4_T5_mT6_T7_P12ihipStream_tbENKUlT_T0_E_clISt17integral_constantIbLb0EESY_IbLb1EEEEDaSU_SV_EUlSU_E_NS1_11comp_targetILNS1_3genE5ELNS1_11target_archE942ELNS1_3gpuE9ELNS1_3repE0EEENS1_30default_config_static_selectorELNS0_4arch9wavefront6targetE0EEEvT1_.has_dyn_sized_stack, 0
	.set _ZN7rocprim17ROCPRIM_400000_NS6detail17trampoline_kernelINS0_14default_configENS1_27scan_by_key_config_selectorIiiEEZZNS1_16scan_by_key_implILNS1_25lookback_scan_determinismE0ELb0ES3_N6thrust23THRUST_200600_302600_NS6detail15normal_iteratorINS9_10device_ptrIiEEEESE_SE_iNS9_4plusIvEENS9_8equal_toIiEEiEE10hipError_tPvRmT2_T3_T4_T5_mT6_T7_P12ihipStream_tbENKUlT_T0_E_clISt17integral_constantIbLb0EESY_IbLb1EEEEDaSU_SV_EUlSU_E_NS1_11comp_targetILNS1_3genE5ELNS1_11target_archE942ELNS1_3gpuE9ELNS1_3repE0EEENS1_30default_config_static_selectorELNS0_4arch9wavefront6targetE0EEEvT1_.has_recursion, 0
	.set _ZN7rocprim17ROCPRIM_400000_NS6detail17trampoline_kernelINS0_14default_configENS1_27scan_by_key_config_selectorIiiEEZZNS1_16scan_by_key_implILNS1_25lookback_scan_determinismE0ELb0ES3_N6thrust23THRUST_200600_302600_NS6detail15normal_iteratorINS9_10device_ptrIiEEEESE_SE_iNS9_4plusIvEENS9_8equal_toIiEEiEE10hipError_tPvRmT2_T3_T4_T5_mT6_T7_P12ihipStream_tbENKUlT_T0_E_clISt17integral_constantIbLb0EESY_IbLb1EEEEDaSU_SV_EUlSU_E_NS1_11comp_targetILNS1_3genE5ELNS1_11target_archE942ELNS1_3gpuE9ELNS1_3repE0EEENS1_30default_config_static_selectorELNS0_4arch9wavefront6targetE0EEEvT1_.has_indirect_call, 0
	.section	.AMDGPU.csdata,"",@progbits
; Kernel info:
; codeLenInByte = 0
; TotalNumSgprs: 0
; NumVgprs: 0
; ScratchSize: 0
; MemoryBound: 0
; FloatMode: 240
; IeeeMode: 1
; LDSByteSize: 0 bytes/workgroup (compile time only)
; SGPRBlocks: 0
; VGPRBlocks: 0
; NumSGPRsForWavesPerEU: 1
; NumVGPRsForWavesPerEU: 1
; Occupancy: 16
; WaveLimiterHint : 0
; COMPUTE_PGM_RSRC2:SCRATCH_EN: 0
; COMPUTE_PGM_RSRC2:USER_SGPR: 6
; COMPUTE_PGM_RSRC2:TRAP_HANDLER: 0
; COMPUTE_PGM_RSRC2:TGID_X_EN: 1
; COMPUTE_PGM_RSRC2:TGID_Y_EN: 0
; COMPUTE_PGM_RSRC2:TGID_Z_EN: 0
; COMPUTE_PGM_RSRC2:TIDIG_COMP_CNT: 0
	.section	.text._ZN7rocprim17ROCPRIM_400000_NS6detail17trampoline_kernelINS0_14default_configENS1_27scan_by_key_config_selectorIiiEEZZNS1_16scan_by_key_implILNS1_25lookback_scan_determinismE0ELb0ES3_N6thrust23THRUST_200600_302600_NS6detail15normal_iteratorINS9_10device_ptrIiEEEESE_SE_iNS9_4plusIvEENS9_8equal_toIiEEiEE10hipError_tPvRmT2_T3_T4_T5_mT6_T7_P12ihipStream_tbENKUlT_T0_E_clISt17integral_constantIbLb0EESY_IbLb1EEEEDaSU_SV_EUlSU_E_NS1_11comp_targetILNS1_3genE4ELNS1_11target_archE910ELNS1_3gpuE8ELNS1_3repE0EEENS1_30default_config_static_selectorELNS0_4arch9wavefront6targetE0EEEvT1_,"axG",@progbits,_ZN7rocprim17ROCPRIM_400000_NS6detail17trampoline_kernelINS0_14default_configENS1_27scan_by_key_config_selectorIiiEEZZNS1_16scan_by_key_implILNS1_25lookback_scan_determinismE0ELb0ES3_N6thrust23THRUST_200600_302600_NS6detail15normal_iteratorINS9_10device_ptrIiEEEESE_SE_iNS9_4plusIvEENS9_8equal_toIiEEiEE10hipError_tPvRmT2_T3_T4_T5_mT6_T7_P12ihipStream_tbENKUlT_T0_E_clISt17integral_constantIbLb0EESY_IbLb1EEEEDaSU_SV_EUlSU_E_NS1_11comp_targetILNS1_3genE4ELNS1_11target_archE910ELNS1_3gpuE8ELNS1_3repE0EEENS1_30default_config_static_selectorELNS0_4arch9wavefront6targetE0EEEvT1_,comdat
	.protected	_ZN7rocprim17ROCPRIM_400000_NS6detail17trampoline_kernelINS0_14default_configENS1_27scan_by_key_config_selectorIiiEEZZNS1_16scan_by_key_implILNS1_25lookback_scan_determinismE0ELb0ES3_N6thrust23THRUST_200600_302600_NS6detail15normal_iteratorINS9_10device_ptrIiEEEESE_SE_iNS9_4plusIvEENS9_8equal_toIiEEiEE10hipError_tPvRmT2_T3_T4_T5_mT6_T7_P12ihipStream_tbENKUlT_T0_E_clISt17integral_constantIbLb0EESY_IbLb1EEEEDaSU_SV_EUlSU_E_NS1_11comp_targetILNS1_3genE4ELNS1_11target_archE910ELNS1_3gpuE8ELNS1_3repE0EEENS1_30default_config_static_selectorELNS0_4arch9wavefront6targetE0EEEvT1_ ; -- Begin function _ZN7rocprim17ROCPRIM_400000_NS6detail17trampoline_kernelINS0_14default_configENS1_27scan_by_key_config_selectorIiiEEZZNS1_16scan_by_key_implILNS1_25lookback_scan_determinismE0ELb0ES3_N6thrust23THRUST_200600_302600_NS6detail15normal_iteratorINS9_10device_ptrIiEEEESE_SE_iNS9_4plusIvEENS9_8equal_toIiEEiEE10hipError_tPvRmT2_T3_T4_T5_mT6_T7_P12ihipStream_tbENKUlT_T0_E_clISt17integral_constantIbLb0EESY_IbLb1EEEEDaSU_SV_EUlSU_E_NS1_11comp_targetILNS1_3genE4ELNS1_11target_archE910ELNS1_3gpuE8ELNS1_3repE0EEENS1_30default_config_static_selectorELNS0_4arch9wavefront6targetE0EEEvT1_
	.globl	_ZN7rocprim17ROCPRIM_400000_NS6detail17trampoline_kernelINS0_14default_configENS1_27scan_by_key_config_selectorIiiEEZZNS1_16scan_by_key_implILNS1_25lookback_scan_determinismE0ELb0ES3_N6thrust23THRUST_200600_302600_NS6detail15normal_iteratorINS9_10device_ptrIiEEEESE_SE_iNS9_4plusIvEENS9_8equal_toIiEEiEE10hipError_tPvRmT2_T3_T4_T5_mT6_T7_P12ihipStream_tbENKUlT_T0_E_clISt17integral_constantIbLb0EESY_IbLb1EEEEDaSU_SV_EUlSU_E_NS1_11comp_targetILNS1_3genE4ELNS1_11target_archE910ELNS1_3gpuE8ELNS1_3repE0EEENS1_30default_config_static_selectorELNS0_4arch9wavefront6targetE0EEEvT1_
	.p2align	8
	.type	_ZN7rocprim17ROCPRIM_400000_NS6detail17trampoline_kernelINS0_14default_configENS1_27scan_by_key_config_selectorIiiEEZZNS1_16scan_by_key_implILNS1_25lookback_scan_determinismE0ELb0ES3_N6thrust23THRUST_200600_302600_NS6detail15normal_iteratorINS9_10device_ptrIiEEEESE_SE_iNS9_4plusIvEENS9_8equal_toIiEEiEE10hipError_tPvRmT2_T3_T4_T5_mT6_T7_P12ihipStream_tbENKUlT_T0_E_clISt17integral_constantIbLb0EESY_IbLb1EEEEDaSU_SV_EUlSU_E_NS1_11comp_targetILNS1_3genE4ELNS1_11target_archE910ELNS1_3gpuE8ELNS1_3repE0EEENS1_30default_config_static_selectorELNS0_4arch9wavefront6targetE0EEEvT1_,@function
_ZN7rocprim17ROCPRIM_400000_NS6detail17trampoline_kernelINS0_14default_configENS1_27scan_by_key_config_selectorIiiEEZZNS1_16scan_by_key_implILNS1_25lookback_scan_determinismE0ELb0ES3_N6thrust23THRUST_200600_302600_NS6detail15normal_iteratorINS9_10device_ptrIiEEEESE_SE_iNS9_4plusIvEENS9_8equal_toIiEEiEE10hipError_tPvRmT2_T3_T4_T5_mT6_T7_P12ihipStream_tbENKUlT_T0_E_clISt17integral_constantIbLb0EESY_IbLb1EEEEDaSU_SV_EUlSU_E_NS1_11comp_targetILNS1_3genE4ELNS1_11target_archE910ELNS1_3gpuE8ELNS1_3repE0EEENS1_30default_config_static_selectorELNS0_4arch9wavefront6targetE0EEEvT1_: ; @_ZN7rocprim17ROCPRIM_400000_NS6detail17trampoline_kernelINS0_14default_configENS1_27scan_by_key_config_selectorIiiEEZZNS1_16scan_by_key_implILNS1_25lookback_scan_determinismE0ELb0ES3_N6thrust23THRUST_200600_302600_NS6detail15normal_iteratorINS9_10device_ptrIiEEEESE_SE_iNS9_4plusIvEENS9_8equal_toIiEEiEE10hipError_tPvRmT2_T3_T4_T5_mT6_T7_P12ihipStream_tbENKUlT_T0_E_clISt17integral_constantIbLb0EESY_IbLb1EEEEDaSU_SV_EUlSU_E_NS1_11comp_targetILNS1_3genE4ELNS1_11target_archE910ELNS1_3gpuE8ELNS1_3repE0EEENS1_30default_config_static_selectorELNS0_4arch9wavefront6targetE0EEEvT1_
; %bb.0:
	.section	.rodata,"a",@progbits
	.p2align	6, 0x0
	.amdhsa_kernel _ZN7rocprim17ROCPRIM_400000_NS6detail17trampoline_kernelINS0_14default_configENS1_27scan_by_key_config_selectorIiiEEZZNS1_16scan_by_key_implILNS1_25lookback_scan_determinismE0ELb0ES3_N6thrust23THRUST_200600_302600_NS6detail15normal_iteratorINS9_10device_ptrIiEEEESE_SE_iNS9_4plusIvEENS9_8equal_toIiEEiEE10hipError_tPvRmT2_T3_T4_T5_mT6_T7_P12ihipStream_tbENKUlT_T0_E_clISt17integral_constantIbLb0EESY_IbLb1EEEEDaSU_SV_EUlSU_E_NS1_11comp_targetILNS1_3genE4ELNS1_11target_archE910ELNS1_3gpuE8ELNS1_3repE0EEENS1_30default_config_static_selectorELNS0_4arch9wavefront6targetE0EEEvT1_
		.amdhsa_group_segment_fixed_size 0
		.amdhsa_private_segment_fixed_size 0
		.amdhsa_kernarg_size 112
		.amdhsa_user_sgpr_count 6
		.amdhsa_user_sgpr_private_segment_buffer 1
		.amdhsa_user_sgpr_dispatch_ptr 0
		.amdhsa_user_sgpr_queue_ptr 0
		.amdhsa_user_sgpr_kernarg_segment_ptr 1
		.amdhsa_user_sgpr_dispatch_id 0
		.amdhsa_user_sgpr_flat_scratch_init 0
		.amdhsa_user_sgpr_private_segment_size 0
		.amdhsa_wavefront_size32 1
		.amdhsa_uses_dynamic_stack 0
		.amdhsa_system_sgpr_private_segment_wavefront_offset 0
		.amdhsa_system_sgpr_workgroup_id_x 1
		.amdhsa_system_sgpr_workgroup_id_y 0
		.amdhsa_system_sgpr_workgroup_id_z 0
		.amdhsa_system_sgpr_workgroup_info 0
		.amdhsa_system_vgpr_workitem_id 0
		.amdhsa_next_free_vgpr 1
		.amdhsa_next_free_sgpr 1
		.amdhsa_reserve_vcc 0
		.amdhsa_reserve_flat_scratch 0
		.amdhsa_float_round_mode_32 0
		.amdhsa_float_round_mode_16_64 0
		.amdhsa_float_denorm_mode_32 3
		.amdhsa_float_denorm_mode_16_64 3
		.amdhsa_dx10_clamp 1
		.amdhsa_ieee_mode 1
		.amdhsa_fp16_overflow 0
		.amdhsa_workgroup_processor_mode 1
		.amdhsa_memory_ordered 1
		.amdhsa_forward_progress 1
		.amdhsa_shared_vgpr_count 0
		.amdhsa_exception_fp_ieee_invalid_op 0
		.amdhsa_exception_fp_denorm_src 0
		.amdhsa_exception_fp_ieee_div_zero 0
		.amdhsa_exception_fp_ieee_overflow 0
		.amdhsa_exception_fp_ieee_underflow 0
		.amdhsa_exception_fp_ieee_inexact 0
		.amdhsa_exception_int_div_zero 0
	.end_amdhsa_kernel
	.section	.text._ZN7rocprim17ROCPRIM_400000_NS6detail17trampoline_kernelINS0_14default_configENS1_27scan_by_key_config_selectorIiiEEZZNS1_16scan_by_key_implILNS1_25lookback_scan_determinismE0ELb0ES3_N6thrust23THRUST_200600_302600_NS6detail15normal_iteratorINS9_10device_ptrIiEEEESE_SE_iNS9_4plusIvEENS9_8equal_toIiEEiEE10hipError_tPvRmT2_T3_T4_T5_mT6_T7_P12ihipStream_tbENKUlT_T0_E_clISt17integral_constantIbLb0EESY_IbLb1EEEEDaSU_SV_EUlSU_E_NS1_11comp_targetILNS1_3genE4ELNS1_11target_archE910ELNS1_3gpuE8ELNS1_3repE0EEENS1_30default_config_static_selectorELNS0_4arch9wavefront6targetE0EEEvT1_,"axG",@progbits,_ZN7rocprim17ROCPRIM_400000_NS6detail17trampoline_kernelINS0_14default_configENS1_27scan_by_key_config_selectorIiiEEZZNS1_16scan_by_key_implILNS1_25lookback_scan_determinismE0ELb0ES3_N6thrust23THRUST_200600_302600_NS6detail15normal_iteratorINS9_10device_ptrIiEEEESE_SE_iNS9_4plusIvEENS9_8equal_toIiEEiEE10hipError_tPvRmT2_T3_T4_T5_mT6_T7_P12ihipStream_tbENKUlT_T0_E_clISt17integral_constantIbLb0EESY_IbLb1EEEEDaSU_SV_EUlSU_E_NS1_11comp_targetILNS1_3genE4ELNS1_11target_archE910ELNS1_3gpuE8ELNS1_3repE0EEENS1_30default_config_static_selectorELNS0_4arch9wavefront6targetE0EEEvT1_,comdat
.Lfunc_end230:
	.size	_ZN7rocprim17ROCPRIM_400000_NS6detail17trampoline_kernelINS0_14default_configENS1_27scan_by_key_config_selectorIiiEEZZNS1_16scan_by_key_implILNS1_25lookback_scan_determinismE0ELb0ES3_N6thrust23THRUST_200600_302600_NS6detail15normal_iteratorINS9_10device_ptrIiEEEESE_SE_iNS9_4plusIvEENS9_8equal_toIiEEiEE10hipError_tPvRmT2_T3_T4_T5_mT6_T7_P12ihipStream_tbENKUlT_T0_E_clISt17integral_constantIbLb0EESY_IbLb1EEEEDaSU_SV_EUlSU_E_NS1_11comp_targetILNS1_3genE4ELNS1_11target_archE910ELNS1_3gpuE8ELNS1_3repE0EEENS1_30default_config_static_selectorELNS0_4arch9wavefront6targetE0EEEvT1_, .Lfunc_end230-_ZN7rocprim17ROCPRIM_400000_NS6detail17trampoline_kernelINS0_14default_configENS1_27scan_by_key_config_selectorIiiEEZZNS1_16scan_by_key_implILNS1_25lookback_scan_determinismE0ELb0ES3_N6thrust23THRUST_200600_302600_NS6detail15normal_iteratorINS9_10device_ptrIiEEEESE_SE_iNS9_4plusIvEENS9_8equal_toIiEEiEE10hipError_tPvRmT2_T3_T4_T5_mT6_T7_P12ihipStream_tbENKUlT_T0_E_clISt17integral_constantIbLb0EESY_IbLb1EEEEDaSU_SV_EUlSU_E_NS1_11comp_targetILNS1_3genE4ELNS1_11target_archE910ELNS1_3gpuE8ELNS1_3repE0EEENS1_30default_config_static_selectorELNS0_4arch9wavefront6targetE0EEEvT1_
                                        ; -- End function
	.set _ZN7rocprim17ROCPRIM_400000_NS6detail17trampoline_kernelINS0_14default_configENS1_27scan_by_key_config_selectorIiiEEZZNS1_16scan_by_key_implILNS1_25lookback_scan_determinismE0ELb0ES3_N6thrust23THRUST_200600_302600_NS6detail15normal_iteratorINS9_10device_ptrIiEEEESE_SE_iNS9_4plusIvEENS9_8equal_toIiEEiEE10hipError_tPvRmT2_T3_T4_T5_mT6_T7_P12ihipStream_tbENKUlT_T0_E_clISt17integral_constantIbLb0EESY_IbLb1EEEEDaSU_SV_EUlSU_E_NS1_11comp_targetILNS1_3genE4ELNS1_11target_archE910ELNS1_3gpuE8ELNS1_3repE0EEENS1_30default_config_static_selectorELNS0_4arch9wavefront6targetE0EEEvT1_.num_vgpr, 0
	.set _ZN7rocprim17ROCPRIM_400000_NS6detail17trampoline_kernelINS0_14default_configENS1_27scan_by_key_config_selectorIiiEEZZNS1_16scan_by_key_implILNS1_25lookback_scan_determinismE0ELb0ES3_N6thrust23THRUST_200600_302600_NS6detail15normal_iteratorINS9_10device_ptrIiEEEESE_SE_iNS9_4plusIvEENS9_8equal_toIiEEiEE10hipError_tPvRmT2_T3_T4_T5_mT6_T7_P12ihipStream_tbENKUlT_T0_E_clISt17integral_constantIbLb0EESY_IbLb1EEEEDaSU_SV_EUlSU_E_NS1_11comp_targetILNS1_3genE4ELNS1_11target_archE910ELNS1_3gpuE8ELNS1_3repE0EEENS1_30default_config_static_selectorELNS0_4arch9wavefront6targetE0EEEvT1_.num_agpr, 0
	.set _ZN7rocprim17ROCPRIM_400000_NS6detail17trampoline_kernelINS0_14default_configENS1_27scan_by_key_config_selectorIiiEEZZNS1_16scan_by_key_implILNS1_25lookback_scan_determinismE0ELb0ES3_N6thrust23THRUST_200600_302600_NS6detail15normal_iteratorINS9_10device_ptrIiEEEESE_SE_iNS9_4plusIvEENS9_8equal_toIiEEiEE10hipError_tPvRmT2_T3_T4_T5_mT6_T7_P12ihipStream_tbENKUlT_T0_E_clISt17integral_constantIbLb0EESY_IbLb1EEEEDaSU_SV_EUlSU_E_NS1_11comp_targetILNS1_3genE4ELNS1_11target_archE910ELNS1_3gpuE8ELNS1_3repE0EEENS1_30default_config_static_selectorELNS0_4arch9wavefront6targetE0EEEvT1_.numbered_sgpr, 0
	.set _ZN7rocprim17ROCPRIM_400000_NS6detail17trampoline_kernelINS0_14default_configENS1_27scan_by_key_config_selectorIiiEEZZNS1_16scan_by_key_implILNS1_25lookback_scan_determinismE0ELb0ES3_N6thrust23THRUST_200600_302600_NS6detail15normal_iteratorINS9_10device_ptrIiEEEESE_SE_iNS9_4plusIvEENS9_8equal_toIiEEiEE10hipError_tPvRmT2_T3_T4_T5_mT6_T7_P12ihipStream_tbENKUlT_T0_E_clISt17integral_constantIbLb0EESY_IbLb1EEEEDaSU_SV_EUlSU_E_NS1_11comp_targetILNS1_3genE4ELNS1_11target_archE910ELNS1_3gpuE8ELNS1_3repE0EEENS1_30default_config_static_selectorELNS0_4arch9wavefront6targetE0EEEvT1_.num_named_barrier, 0
	.set _ZN7rocprim17ROCPRIM_400000_NS6detail17trampoline_kernelINS0_14default_configENS1_27scan_by_key_config_selectorIiiEEZZNS1_16scan_by_key_implILNS1_25lookback_scan_determinismE0ELb0ES3_N6thrust23THRUST_200600_302600_NS6detail15normal_iteratorINS9_10device_ptrIiEEEESE_SE_iNS9_4plusIvEENS9_8equal_toIiEEiEE10hipError_tPvRmT2_T3_T4_T5_mT6_T7_P12ihipStream_tbENKUlT_T0_E_clISt17integral_constantIbLb0EESY_IbLb1EEEEDaSU_SV_EUlSU_E_NS1_11comp_targetILNS1_3genE4ELNS1_11target_archE910ELNS1_3gpuE8ELNS1_3repE0EEENS1_30default_config_static_selectorELNS0_4arch9wavefront6targetE0EEEvT1_.private_seg_size, 0
	.set _ZN7rocprim17ROCPRIM_400000_NS6detail17trampoline_kernelINS0_14default_configENS1_27scan_by_key_config_selectorIiiEEZZNS1_16scan_by_key_implILNS1_25lookback_scan_determinismE0ELb0ES3_N6thrust23THRUST_200600_302600_NS6detail15normal_iteratorINS9_10device_ptrIiEEEESE_SE_iNS9_4plusIvEENS9_8equal_toIiEEiEE10hipError_tPvRmT2_T3_T4_T5_mT6_T7_P12ihipStream_tbENKUlT_T0_E_clISt17integral_constantIbLb0EESY_IbLb1EEEEDaSU_SV_EUlSU_E_NS1_11comp_targetILNS1_3genE4ELNS1_11target_archE910ELNS1_3gpuE8ELNS1_3repE0EEENS1_30default_config_static_selectorELNS0_4arch9wavefront6targetE0EEEvT1_.uses_vcc, 0
	.set _ZN7rocprim17ROCPRIM_400000_NS6detail17trampoline_kernelINS0_14default_configENS1_27scan_by_key_config_selectorIiiEEZZNS1_16scan_by_key_implILNS1_25lookback_scan_determinismE0ELb0ES3_N6thrust23THRUST_200600_302600_NS6detail15normal_iteratorINS9_10device_ptrIiEEEESE_SE_iNS9_4plusIvEENS9_8equal_toIiEEiEE10hipError_tPvRmT2_T3_T4_T5_mT6_T7_P12ihipStream_tbENKUlT_T0_E_clISt17integral_constantIbLb0EESY_IbLb1EEEEDaSU_SV_EUlSU_E_NS1_11comp_targetILNS1_3genE4ELNS1_11target_archE910ELNS1_3gpuE8ELNS1_3repE0EEENS1_30default_config_static_selectorELNS0_4arch9wavefront6targetE0EEEvT1_.uses_flat_scratch, 0
	.set _ZN7rocprim17ROCPRIM_400000_NS6detail17trampoline_kernelINS0_14default_configENS1_27scan_by_key_config_selectorIiiEEZZNS1_16scan_by_key_implILNS1_25lookback_scan_determinismE0ELb0ES3_N6thrust23THRUST_200600_302600_NS6detail15normal_iteratorINS9_10device_ptrIiEEEESE_SE_iNS9_4plusIvEENS9_8equal_toIiEEiEE10hipError_tPvRmT2_T3_T4_T5_mT6_T7_P12ihipStream_tbENKUlT_T0_E_clISt17integral_constantIbLb0EESY_IbLb1EEEEDaSU_SV_EUlSU_E_NS1_11comp_targetILNS1_3genE4ELNS1_11target_archE910ELNS1_3gpuE8ELNS1_3repE0EEENS1_30default_config_static_selectorELNS0_4arch9wavefront6targetE0EEEvT1_.has_dyn_sized_stack, 0
	.set _ZN7rocprim17ROCPRIM_400000_NS6detail17trampoline_kernelINS0_14default_configENS1_27scan_by_key_config_selectorIiiEEZZNS1_16scan_by_key_implILNS1_25lookback_scan_determinismE0ELb0ES3_N6thrust23THRUST_200600_302600_NS6detail15normal_iteratorINS9_10device_ptrIiEEEESE_SE_iNS9_4plusIvEENS9_8equal_toIiEEiEE10hipError_tPvRmT2_T3_T4_T5_mT6_T7_P12ihipStream_tbENKUlT_T0_E_clISt17integral_constantIbLb0EESY_IbLb1EEEEDaSU_SV_EUlSU_E_NS1_11comp_targetILNS1_3genE4ELNS1_11target_archE910ELNS1_3gpuE8ELNS1_3repE0EEENS1_30default_config_static_selectorELNS0_4arch9wavefront6targetE0EEEvT1_.has_recursion, 0
	.set _ZN7rocprim17ROCPRIM_400000_NS6detail17trampoline_kernelINS0_14default_configENS1_27scan_by_key_config_selectorIiiEEZZNS1_16scan_by_key_implILNS1_25lookback_scan_determinismE0ELb0ES3_N6thrust23THRUST_200600_302600_NS6detail15normal_iteratorINS9_10device_ptrIiEEEESE_SE_iNS9_4plusIvEENS9_8equal_toIiEEiEE10hipError_tPvRmT2_T3_T4_T5_mT6_T7_P12ihipStream_tbENKUlT_T0_E_clISt17integral_constantIbLb0EESY_IbLb1EEEEDaSU_SV_EUlSU_E_NS1_11comp_targetILNS1_3genE4ELNS1_11target_archE910ELNS1_3gpuE8ELNS1_3repE0EEENS1_30default_config_static_selectorELNS0_4arch9wavefront6targetE0EEEvT1_.has_indirect_call, 0
	.section	.AMDGPU.csdata,"",@progbits
; Kernel info:
; codeLenInByte = 0
; TotalNumSgprs: 0
; NumVgprs: 0
; ScratchSize: 0
; MemoryBound: 0
; FloatMode: 240
; IeeeMode: 1
; LDSByteSize: 0 bytes/workgroup (compile time only)
; SGPRBlocks: 0
; VGPRBlocks: 0
; NumSGPRsForWavesPerEU: 1
; NumVGPRsForWavesPerEU: 1
; Occupancy: 16
; WaveLimiterHint : 0
; COMPUTE_PGM_RSRC2:SCRATCH_EN: 0
; COMPUTE_PGM_RSRC2:USER_SGPR: 6
; COMPUTE_PGM_RSRC2:TRAP_HANDLER: 0
; COMPUTE_PGM_RSRC2:TGID_X_EN: 1
; COMPUTE_PGM_RSRC2:TGID_Y_EN: 0
; COMPUTE_PGM_RSRC2:TGID_Z_EN: 0
; COMPUTE_PGM_RSRC2:TIDIG_COMP_CNT: 0
	.section	.text._ZN7rocprim17ROCPRIM_400000_NS6detail17trampoline_kernelINS0_14default_configENS1_27scan_by_key_config_selectorIiiEEZZNS1_16scan_by_key_implILNS1_25lookback_scan_determinismE0ELb0ES3_N6thrust23THRUST_200600_302600_NS6detail15normal_iteratorINS9_10device_ptrIiEEEESE_SE_iNS9_4plusIvEENS9_8equal_toIiEEiEE10hipError_tPvRmT2_T3_T4_T5_mT6_T7_P12ihipStream_tbENKUlT_T0_E_clISt17integral_constantIbLb0EESY_IbLb1EEEEDaSU_SV_EUlSU_E_NS1_11comp_targetILNS1_3genE3ELNS1_11target_archE908ELNS1_3gpuE7ELNS1_3repE0EEENS1_30default_config_static_selectorELNS0_4arch9wavefront6targetE0EEEvT1_,"axG",@progbits,_ZN7rocprim17ROCPRIM_400000_NS6detail17trampoline_kernelINS0_14default_configENS1_27scan_by_key_config_selectorIiiEEZZNS1_16scan_by_key_implILNS1_25lookback_scan_determinismE0ELb0ES3_N6thrust23THRUST_200600_302600_NS6detail15normal_iteratorINS9_10device_ptrIiEEEESE_SE_iNS9_4plusIvEENS9_8equal_toIiEEiEE10hipError_tPvRmT2_T3_T4_T5_mT6_T7_P12ihipStream_tbENKUlT_T0_E_clISt17integral_constantIbLb0EESY_IbLb1EEEEDaSU_SV_EUlSU_E_NS1_11comp_targetILNS1_3genE3ELNS1_11target_archE908ELNS1_3gpuE7ELNS1_3repE0EEENS1_30default_config_static_selectorELNS0_4arch9wavefront6targetE0EEEvT1_,comdat
	.protected	_ZN7rocprim17ROCPRIM_400000_NS6detail17trampoline_kernelINS0_14default_configENS1_27scan_by_key_config_selectorIiiEEZZNS1_16scan_by_key_implILNS1_25lookback_scan_determinismE0ELb0ES3_N6thrust23THRUST_200600_302600_NS6detail15normal_iteratorINS9_10device_ptrIiEEEESE_SE_iNS9_4plusIvEENS9_8equal_toIiEEiEE10hipError_tPvRmT2_T3_T4_T5_mT6_T7_P12ihipStream_tbENKUlT_T0_E_clISt17integral_constantIbLb0EESY_IbLb1EEEEDaSU_SV_EUlSU_E_NS1_11comp_targetILNS1_3genE3ELNS1_11target_archE908ELNS1_3gpuE7ELNS1_3repE0EEENS1_30default_config_static_selectorELNS0_4arch9wavefront6targetE0EEEvT1_ ; -- Begin function _ZN7rocprim17ROCPRIM_400000_NS6detail17trampoline_kernelINS0_14default_configENS1_27scan_by_key_config_selectorIiiEEZZNS1_16scan_by_key_implILNS1_25lookback_scan_determinismE0ELb0ES3_N6thrust23THRUST_200600_302600_NS6detail15normal_iteratorINS9_10device_ptrIiEEEESE_SE_iNS9_4plusIvEENS9_8equal_toIiEEiEE10hipError_tPvRmT2_T3_T4_T5_mT6_T7_P12ihipStream_tbENKUlT_T0_E_clISt17integral_constantIbLb0EESY_IbLb1EEEEDaSU_SV_EUlSU_E_NS1_11comp_targetILNS1_3genE3ELNS1_11target_archE908ELNS1_3gpuE7ELNS1_3repE0EEENS1_30default_config_static_selectorELNS0_4arch9wavefront6targetE0EEEvT1_
	.globl	_ZN7rocprim17ROCPRIM_400000_NS6detail17trampoline_kernelINS0_14default_configENS1_27scan_by_key_config_selectorIiiEEZZNS1_16scan_by_key_implILNS1_25lookback_scan_determinismE0ELb0ES3_N6thrust23THRUST_200600_302600_NS6detail15normal_iteratorINS9_10device_ptrIiEEEESE_SE_iNS9_4plusIvEENS9_8equal_toIiEEiEE10hipError_tPvRmT2_T3_T4_T5_mT6_T7_P12ihipStream_tbENKUlT_T0_E_clISt17integral_constantIbLb0EESY_IbLb1EEEEDaSU_SV_EUlSU_E_NS1_11comp_targetILNS1_3genE3ELNS1_11target_archE908ELNS1_3gpuE7ELNS1_3repE0EEENS1_30default_config_static_selectorELNS0_4arch9wavefront6targetE0EEEvT1_
	.p2align	8
	.type	_ZN7rocprim17ROCPRIM_400000_NS6detail17trampoline_kernelINS0_14default_configENS1_27scan_by_key_config_selectorIiiEEZZNS1_16scan_by_key_implILNS1_25lookback_scan_determinismE0ELb0ES3_N6thrust23THRUST_200600_302600_NS6detail15normal_iteratorINS9_10device_ptrIiEEEESE_SE_iNS9_4plusIvEENS9_8equal_toIiEEiEE10hipError_tPvRmT2_T3_T4_T5_mT6_T7_P12ihipStream_tbENKUlT_T0_E_clISt17integral_constantIbLb0EESY_IbLb1EEEEDaSU_SV_EUlSU_E_NS1_11comp_targetILNS1_3genE3ELNS1_11target_archE908ELNS1_3gpuE7ELNS1_3repE0EEENS1_30default_config_static_selectorELNS0_4arch9wavefront6targetE0EEEvT1_,@function
_ZN7rocprim17ROCPRIM_400000_NS6detail17trampoline_kernelINS0_14default_configENS1_27scan_by_key_config_selectorIiiEEZZNS1_16scan_by_key_implILNS1_25lookback_scan_determinismE0ELb0ES3_N6thrust23THRUST_200600_302600_NS6detail15normal_iteratorINS9_10device_ptrIiEEEESE_SE_iNS9_4plusIvEENS9_8equal_toIiEEiEE10hipError_tPvRmT2_T3_T4_T5_mT6_T7_P12ihipStream_tbENKUlT_T0_E_clISt17integral_constantIbLb0EESY_IbLb1EEEEDaSU_SV_EUlSU_E_NS1_11comp_targetILNS1_3genE3ELNS1_11target_archE908ELNS1_3gpuE7ELNS1_3repE0EEENS1_30default_config_static_selectorELNS0_4arch9wavefront6targetE0EEEvT1_: ; @_ZN7rocprim17ROCPRIM_400000_NS6detail17trampoline_kernelINS0_14default_configENS1_27scan_by_key_config_selectorIiiEEZZNS1_16scan_by_key_implILNS1_25lookback_scan_determinismE0ELb0ES3_N6thrust23THRUST_200600_302600_NS6detail15normal_iteratorINS9_10device_ptrIiEEEESE_SE_iNS9_4plusIvEENS9_8equal_toIiEEiEE10hipError_tPvRmT2_T3_T4_T5_mT6_T7_P12ihipStream_tbENKUlT_T0_E_clISt17integral_constantIbLb0EESY_IbLb1EEEEDaSU_SV_EUlSU_E_NS1_11comp_targetILNS1_3genE3ELNS1_11target_archE908ELNS1_3gpuE7ELNS1_3repE0EEENS1_30default_config_static_selectorELNS0_4arch9wavefront6targetE0EEEvT1_
; %bb.0:
	.section	.rodata,"a",@progbits
	.p2align	6, 0x0
	.amdhsa_kernel _ZN7rocprim17ROCPRIM_400000_NS6detail17trampoline_kernelINS0_14default_configENS1_27scan_by_key_config_selectorIiiEEZZNS1_16scan_by_key_implILNS1_25lookback_scan_determinismE0ELb0ES3_N6thrust23THRUST_200600_302600_NS6detail15normal_iteratorINS9_10device_ptrIiEEEESE_SE_iNS9_4plusIvEENS9_8equal_toIiEEiEE10hipError_tPvRmT2_T3_T4_T5_mT6_T7_P12ihipStream_tbENKUlT_T0_E_clISt17integral_constantIbLb0EESY_IbLb1EEEEDaSU_SV_EUlSU_E_NS1_11comp_targetILNS1_3genE3ELNS1_11target_archE908ELNS1_3gpuE7ELNS1_3repE0EEENS1_30default_config_static_selectorELNS0_4arch9wavefront6targetE0EEEvT1_
		.amdhsa_group_segment_fixed_size 0
		.amdhsa_private_segment_fixed_size 0
		.amdhsa_kernarg_size 112
		.amdhsa_user_sgpr_count 6
		.amdhsa_user_sgpr_private_segment_buffer 1
		.amdhsa_user_sgpr_dispatch_ptr 0
		.amdhsa_user_sgpr_queue_ptr 0
		.amdhsa_user_sgpr_kernarg_segment_ptr 1
		.amdhsa_user_sgpr_dispatch_id 0
		.amdhsa_user_sgpr_flat_scratch_init 0
		.amdhsa_user_sgpr_private_segment_size 0
		.amdhsa_wavefront_size32 1
		.amdhsa_uses_dynamic_stack 0
		.amdhsa_system_sgpr_private_segment_wavefront_offset 0
		.amdhsa_system_sgpr_workgroup_id_x 1
		.amdhsa_system_sgpr_workgroup_id_y 0
		.amdhsa_system_sgpr_workgroup_id_z 0
		.amdhsa_system_sgpr_workgroup_info 0
		.amdhsa_system_vgpr_workitem_id 0
		.amdhsa_next_free_vgpr 1
		.amdhsa_next_free_sgpr 1
		.amdhsa_reserve_vcc 0
		.amdhsa_reserve_flat_scratch 0
		.amdhsa_float_round_mode_32 0
		.amdhsa_float_round_mode_16_64 0
		.amdhsa_float_denorm_mode_32 3
		.amdhsa_float_denorm_mode_16_64 3
		.amdhsa_dx10_clamp 1
		.amdhsa_ieee_mode 1
		.amdhsa_fp16_overflow 0
		.amdhsa_workgroup_processor_mode 1
		.amdhsa_memory_ordered 1
		.amdhsa_forward_progress 1
		.amdhsa_shared_vgpr_count 0
		.amdhsa_exception_fp_ieee_invalid_op 0
		.amdhsa_exception_fp_denorm_src 0
		.amdhsa_exception_fp_ieee_div_zero 0
		.amdhsa_exception_fp_ieee_overflow 0
		.amdhsa_exception_fp_ieee_underflow 0
		.amdhsa_exception_fp_ieee_inexact 0
		.amdhsa_exception_int_div_zero 0
	.end_amdhsa_kernel
	.section	.text._ZN7rocprim17ROCPRIM_400000_NS6detail17trampoline_kernelINS0_14default_configENS1_27scan_by_key_config_selectorIiiEEZZNS1_16scan_by_key_implILNS1_25lookback_scan_determinismE0ELb0ES3_N6thrust23THRUST_200600_302600_NS6detail15normal_iteratorINS9_10device_ptrIiEEEESE_SE_iNS9_4plusIvEENS9_8equal_toIiEEiEE10hipError_tPvRmT2_T3_T4_T5_mT6_T7_P12ihipStream_tbENKUlT_T0_E_clISt17integral_constantIbLb0EESY_IbLb1EEEEDaSU_SV_EUlSU_E_NS1_11comp_targetILNS1_3genE3ELNS1_11target_archE908ELNS1_3gpuE7ELNS1_3repE0EEENS1_30default_config_static_selectorELNS0_4arch9wavefront6targetE0EEEvT1_,"axG",@progbits,_ZN7rocprim17ROCPRIM_400000_NS6detail17trampoline_kernelINS0_14default_configENS1_27scan_by_key_config_selectorIiiEEZZNS1_16scan_by_key_implILNS1_25lookback_scan_determinismE0ELb0ES3_N6thrust23THRUST_200600_302600_NS6detail15normal_iteratorINS9_10device_ptrIiEEEESE_SE_iNS9_4plusIvEENS9_8equal_toIiEEiEE10hipError_tPvRmT2_T3_T4_T5_mT6_T7_P12ihipStream_tbENKUlT_T0_E_clISt17integral_constantIbLb0EESY_IbLb1EEEEDaSU_SV_EUlSU_E_NS1_11comp_targetILNS1_3genE3ELNS1_11target_archE908ELNS1_3gpuE7ELNS1_3repE0EEENS1_30default_config_static_selectorELNS0_4arch9wavefront6targetE0EEEvT1_,comdat
.Lfunc_end231:
	.size	_ZN7rocprim17ROCPRIM_400000_NS6detail17trampoline_kernelINS0_14default_configENS1_27scan_by_key_config_selectorIiiEEZZNS1_16scan_by_key_implILNS1_25lookback_scan_determinismE0ELb0ES3_N6thrust23THRUST_200600_302600_NS6detail15normal_iteratorINS9_10device_ptrIiEEEESE_SE_iNS9_4plusIvEENS9_8equal_toIiEEiEE10hipError_tPvRmT2_T3_T4_T5_mT6_T7_P12ihipStream_tbENKUlT_T0_E_clISt17integral_constantIbLb0EESY_IbLb1EEEEDaSU_SV_EUlSU_E_NS1_11comp_targetILNS1_3genE3ELNS1_11target_archE908ELNS1_3gpuE7ELNS1_3repE0EEENS1_30default_config_static_selectorELNS0_4arch9wavefront6targetE0EEEvT1_, .Lfunc_end231-_ZN7rocprim17ROCPRIM_400000_NS6detail17trampoline_kernelINS0_14default_configENS1_27scan_by_key_config_selectorIiiEEZZNS1_16scan_by_key_implILNS1_25lookback_scan_determinismE0ELb0ES3_N6thrust23THRUST_200600_302600_NS6detail15normal_iteratorINS9_10device_ptrIiEEEESE_SE_iNS9_4plusIvEENS9_8equal_toIiEEiEE10hipError_tPvRmT2_T3_T4_T5_mT6_T7_P12ihipStream_tbENKUlT_T0_E_clISt17integral_constantIbLb0EESY_IbLb1EEEEDaSU_SV_EUlSU_E_NS1_11comp_targetILNS1_3genE3ELNS1_11target_archE908ELNS1_3gpuE7ELNS1_3repE0EEENS1_30default_config_static_selectorELNS0_4arch9wavefront6targetE0EEEvT1_
                                        ; -- End function
	.set _ZN7rocprim17ROCPRIM_400000_NS6detail17trampoline_kernelINS0_14default_configENS1_27scan_by_key_config_selectorIiiEEZZNS1_16scan_by_key_implILNS1_25lookback_scan_determinismE0ELb0ES3_N6thrust23THRUST_200600_302600_NS6detail15normal_iteratorINS9_10device_ptrIiEEEESE_SE_iNS9_4plusIvEENS9_8equal_toIiEEiEE10hipError_tPvRmT2_T3_T4_T5_mT6_T7_P12ihipStream_tbENKUlT_T0_E_clISt17integral_constantIbLb0EESY_IbLb1EEEEDaSU_SV_EUlSU_E_NS1_11comp_targetILNS1_3genE3ELNS1_11target_archE908ELNS1_3gpuE7ELNS1_3repE0EEENS1_30default_config_static_selectorELNS0_4arch9wavefront6targetE0EEEvT1_.num_vgpr, 0
	.set _ZN7rocprim17ROCPRIM_400000_NS6detail17trampoline_kernelINS0_14default_configENS1_27scan_by_key_config_selectorIiiEEZZNS1_16scan_by_key_implILNS1_25lookback_scan_determinismE0ELb0ES3_N6thrust23THRUST_200600_302600_NS6detail15normal_iteratorINS9_10device_ptrIiEEEESE_SE_iNS9_4plusIvEENS9_8equal_toIiEEiEE10hipError_tPvRmT2_T3_T4_T5_mT6_T7_P12ihipStream_tbENKUlT_T0_E_clISt17integral_constantIbLb0EESY_IbLb1EEEEDaSU_SV_EUlSU_E_NS1_11comp_targetILNS1_3genE3ELNS1_11target_archE908ELNS1_3gpuE7ELNS1_3repE0EEENS1_30default_config_static_selectorELNS0_4arch9wavefront6targetE0EEEvT1_.num_agpr, 0
	.set _ZN7rocprim17ROCPRIM_400000_NS6detail17trampoline_kernelINS0_14default_configENS1_27scan_by_key_config_selectorIiiEEZZNS1_16scan_by_key_implILNS1_25lookback_scan_determinismE0ELb0ES3_N6thrust23THRUST_200600_302600_NS6detail15normal_iteratorINS9_10device_ptrIiEEEESE_SE_iNS9_4plusIvEENS9_8equal_toIiEEiEE10hipError_tPvRmT2_T3_T4_T5_mT6_T7_P12ihipStream_tbENKUlT_T0_E_clISt17integral_constantIbLb0EESY_IbLb1EEEEDaSU_SV_EUlSU_E_NS1_11comp_targetILNS1_3genE3ELNS1_11target_archE908ELNS1_3gpuE7ELNS1_3repE0EEENS1_30default_config_static_selectorELNS0_4arch9wavefront6targetE0EEEvT1_.numbered_sgpr, 0
	.set _ZN7rocprim17ROCPRIM_400000_NS6detail17trampoline_kernelINS0_14default_configENS1_27scan_by_key_config_selectorIiiEEZZNS1_16scan_by_key_implILNS1_25lookback_scan_determinismE0ELb0ES3_N6thrust23THRUST_200600_302600_NS6detail15normal_iteratorINS9_10device_ptrIiEEEESE_SE_iNS9_4plusIvEENS9_8equal_toIiEEiEE10hipError_tPvRmT2_T3_T4_T5_mT6_T7_P12ihipStream_tbENKUlT_T0_E_clISt17integral_constantIbLb0EESY_IbLb1EEEEDaSU_SV_EUlSU_E_NS1_11comp_targetILNS1_3genE3ELNS1_11target_archE908ELNS1_3gpuE7ELNS1_3repE0EEENS1_30default_config_static_selectorELNS0_4arch9wavefront6targetE0EEEvT1_.num_named_barrier, 0
	.set _ZN7rocprim17ROCPRIM_400000_NS6detail17trampoline_kernelINS0_14default_configENS1_27scan_by_key_config_selectorIiiEEZZNS1_16scan_by_key_implILNS1_25lookback_scan_determinismE0ELb0ES3_N6thrust23THRUST_200600_302600_NS6detail15normal_iteratorINS9_10device_ptrIiEEEESE_SE_iNS9_4plusIvEENS9_8equal_toIiEEiEE10hipError_tPvRmT2_T3_T4_T5_mT6_T7_P12ihipStream_tbENKUlT_T0_E_clISt17integral_constantIbLb0EESY_IbLb1EEEEDaSU_SV_EUlSU_E_NS1_11comp_targetILNS1_3genE3ELNS1_11target_archE908ELNS1_3gpuE7ELNS1_3repE0EEENS1_30default_config_static_selectorELNS0_4arch9wavefront6targetE0EEEvT1_.private_seg_size, 0
	.set _ZN7rocprim17ROCPRIM_400000_NS6detail17trampoline_kernelINS0_14default_configENS1_27scan_by_key_config_selectorIiiEEZZNS1_16scan_by_key_implILNS1_25lookback_scan_determinismE0ELb0ES3_N6thrust23THRUST_200600_302600_NS6detail15normal_iteratorINS9_10device_ptrIiEEEESE_SE_iNS9_4plusIvEENS9_8equal_toIiEEiEE10hipError_tPvRmT2_T3_T4_T5_mT6_T7_P12ihipStream_tbENKUlT_T0_E_clISt17integral_constantIbLb0EESY_IbLb1EEEEDaSU_SV_EUlSU_E_NS1_11comp_targetILNS1_3genE3ELNS1_11target_archE908ELNS1_3gpuE7ELNS1_3repE0EEENS1_30default_config_static_selectorELNS0_4arch9wavefront6targetE0EEEvT1_.uses_vcc, 0
	.set _ZN7rocprim17ROCPRIM_400000_NS6detail17trampoline_kernelINS0_14default_configENS1_27scan_by_key_config_selectorIiiEEZZNS1_16scan_by_key_implILNS1_25lookback_scan_determinismE0ELb0ES3_N6thrust23THRUST_200600_302600_NS6detail15normal_iteratorINS9_10device_ptrIiEEEESE_SE_iNS9_4plusIvEENS9_8equal_toIiEEiEE10hipError_tPvRmT2_T3_T4_T5_mT6_T7_P12ihipStream_tbENKUlT_T0_E_clISt17integral_constantIbLb0EESY_IbLb1EEEEDaSU_SV_EUlSU_E_NS1_11comp_targetILNS1_3genE3ELNS1_11target_archE908ELNS1_3gpuE7ELNS1_3repE0EEENS1_30default_config_static_selectorELNS0_4arch9wavefront6targetE0EEEvT1_.uses_flat_scratch, 0
	.set _ZN7rocprim17ROCPRIM_400000_NS6detail17trampoline_kernelINS0_14default_configENS1_27scan_by_key_config_selectorIiiEEZZNS1_16scan_by_key_implILNS1_25lookback_scan_determinismE0ELb0ES3_N6thrust23THRUST_200600_302600_NS6detail15normal_iteratorINS9_10device_ptrIiEEEESE_SE_iNS9_4plusIvEENS9_8equal_toIiEEiEE10hipError_tPvRmT2_T3_T4_T5_mT6_T7_P12ihipStream_tbENKUlT_T0_E_clISt17integral_constantIbLb0EESY_IbLb1EEEEDaSU_SV_EUlSU_E_NS1_11comp_targetILNS1_3genE3ELNS1_11target_archE908ELNS1_3gpuE7ELNS1_3repE0EEENS1_30default_config_static_selectorELNS0_4arch9wavefront6targetE0EEEvT1_.has_dyn_sized_stack, 0
	.set _ZN7rocprim17ROCPRIM_400000_NS6detail17trampoline_kernelINS0_14default_configENS1_27scan_by_key_config_selectorIiiEEZZNS1_16scan_by_key_implILNS1_25lookback_scan_determinismE0ELb0ES3_N6thrust23THRUST_200600_302600_NS6detail15normal_iteratorINS9_10device_ptrIiEEEESE_SE_iNS9_4plusIvEENS9_8equal_toIiEEiEE10hipError_tPvRmT2_T3_T4_T5_mT6_T7_P12ihipStream_tbENKUlT_T0_E_clISt17integral_constantIbLb0EESY_IbLb1EEEEDaSU_SV_EUlSU_E_NS1_11comp_targetILNS1_3genE3ELNS1_11target_archE908ELNS1_3gpuE7ELNS1_3repE0EEENS1_30default_config_static_selectorELNS0_4arch9wavefront6targetE0EEEvT1_.has_recursion, 0
	.set _ZN7rocprim17ROCPRIM_400000_NS6detail17trampoline_kernelINS0_14default_configENS1_27scan_by_key_config_selectorIiiEEZZNS1_16scan_by_key_implILNS1_25lookback_scan_determinismE0ELb0ES3_N6thrust23THRUST_200600_302600_NS6detail15normal_iteratorINS9_10device_ptrIiEEEESE_SE_iNS9_4plusIvEENS9_8equal_toIiEEiEE10hipError_tPvRmT2_T3_T4_T5_mT6_T7_P12ihipStream_tbENKUlT_T0_E_clISt17integral_constantIbLb0EESY_IbLb1EEEEDaSU_SV_EUlSU_E_NS1_11comp_targetILNS1_3genE3ELNS1_11target_archE908ELNS1_3gpuE7ELNS1_3repE0EEENS1_30default_config_static_selectorELNS0_4arch9wavefront6targetE0EEEvT1_.has_indirect_call, 0
	.section	.AMDGPU.csdata,"",@progbits
; Kernel info:
; codeLenInByte = 0
; TotalNumSgprs: 0
; NumVgprs: 0
; ScratchSize: 0
; MemoryBound: 0
; FloatMode: 240
; IeeeMode: 1
; LDSByteSize: 0 bytes/workgroup (compile time only)
; SGPRBlocks: 0
; VGPRBlocks: 0
; NumSGPRsForWavesPerEU: 1
; NumVGPRsForWavesPerEU: 1
; Occupancy: 16
; WaveLimiterHint : 0
; COMPUTE_PGM_RSRC2:SCRATCH_EN: 0
; COMPUTE_PGM_RSRC2:USER_SGPR: 6
; COMPUTE_PGM_RSRC2:TRAP_HANDLER: 0
; COMPUTE_PGM_RSRC2:TGID_X_EN: 1
; COMPUTE_PGM_RSRC2:TGID_Y_EN: 0
; COMPUTE_PGM_RSRC2:TGID_Z_EN: 0
; COMPUTE_PGM_RSRC2:TIDIG_COMP_CNT: 0
	.section	.text._ZN7rocprim17ROCPRIM_400000_NS6detail17trampoline_kernelINS0_14default_configENS1_27scan_by_key_config_selectorIiiEEZZNS1_16scan_by_key_implILNS1_25lookback_scan_determinismE0ELb0ES3_N6thrust23THRUST_200600_302600_NS6detail15normal_iteratorINS9_10device_ptrIiEEEESE_SE_iNS9_4plusIvEENS9_8equal_toIiEEiEE10hipError_tPvRmT2_T3_T4_T5_mT6_T7_P12ihipStream_tbENKUlT_T0_E_clISt17integral_constantIbLb0EESY_IbLb1EEEEDaSU_SV_EUlSU_E_NS1_11comp_targetILNS1_3genE2ELNS1_11target_archE906ELNS1_3gpuE6ELNS1_3repE0EEENS1_30default_config_static_selectorELNS0_4arch9wavefront6targetE0EEEvT1_,"axG",@progbits,_ZN7rocprim17ROCPRIM_400000_NS6detail17trampoline_kernelINS0_14default_configENS1_27scan_by_key_config_selectorIiiEEZZNS1_16scan_by_key_implILNS1_25lookback_scan_determinismE0ELb0ES3_N6thrust23THRUST_200600_302600_NS6detail15normal_iteratorINS9_10device_ptrIiEEEESE_SE_iNS9_4plusIvEENS9_8equal_toIiEEiEE10hipError_tPvRmT2_T3_T4_T5_mT6_T7_P12ihipStream_tbENKUlT_T0_E_clISt17integral_constantIbLb0EESY_IbLb1EEEEDaSU_SV_EUlSU_E_NS1_11comp_targetILNS1_3genE2ELNS1_11target_archE906ELNS1_3gpuE6ELNS1_3repE0EEENS1_30default_config_static_selectorELNS0_4arch9wavefront6targetE0EEEvT1_,comdat
	.protected	_ZN7rocprim17ROCPRIM_400000_NS6detail17trampoline_kernelINS0_14default_configENS1_27scan_by_key_config_selectorIiiEEZZNS1_16scan_by_key_implILNS1_25lookback_scan_determinismE0ELb0ES3_N6thrust23THRUST_200600_302600_NS6detail15normal_iteratorINS9_10device_ptrIiEEEESE_SE_iNS9_4plusIvEENS9_8equal_toIiEEiEE10hipError_tPvRmT2_T3_T4_T5_mT6_T7_P12ihipStream_tbENKUlT_T0_E_clISt17integral_constantIbLb0EESY_IbLb1EEEEDaSU_SV_EUlSU_E_NS1_11comp_targetILNS1_3genE2ELNS1_11target_archE906ELNS1_3gpuE6ELNS1_3repE0EEENS1_30default_config_static_selectorELNS0_4arch9wavefront6targetE0EEEvT1_ ; -- Begin function _ZN7rocprim17ROCPRIM_400000_NS6detail17trampoline_kernelINS0_14default_configENS1_27scan_by_key_config_selectorIiiEEZZNS1_16scan_by_key_implILNS1_25lookback_scan_determinismE0ELb0ES3_N6thrust23THRUST_200600_302600_NS6detail15normal_iteratorINS9_10device_ptrIiEEEESE_SE_iNS9_4plusIvEENS9_8equal_toIiEEiEE10hipError_tPvRmT2_T3_T4_T5_mT6_T7_P12ihipStream_tbENKUlT_T0_E_clISt17integral_constantIbLb0EESY_IbLb1EEEEDaSU_SV_EUlSU_E_NS1_11comp_targetILNS1_3genE2ELNS1_11target_archE906ELNS1_3gpuE6ELNS1_3repE0EEENS1_30default_config_static_selectorELNS0_4arch9wavefront6targetE0EEEvT1_
	.globl	_ZN7rocprim17ROCPRIM_400000_NS6detail17trampoline_kernelINS0_14default_configENS1_27scan_by_key_config_selectorIiiEEZZNS1_16scan_by_key_implILNS1_25lookback_scan_determinismE0ELb0ES3_N6thrust23THRUST_200600_302600_NS6detail15normal_iteratorINS9_10device_ptrIiEEEESE_SE_iNS9_4plusIvEENS9_8equal_toIiEEiEE10hipError_tPvRmT2_T3_T4_T5_mT6_T7_P12ihipStream_tbENKUlT_T0_E_clISt17integral_constantIbLb0EESY_IbLb1EEEEDaSU_SV_EUlSU_E_NS1_11comp_targetILNS1_3genE2ELNS1_11target_archE906ELNS1_3gpuE6ELNS1_3repE0EEENS1_30default_config_static_selectorELNS0_4arch9wavefront6targetE0EEEvT1_
	.p2align	8
	.type	_ZN7rocprim17ROCPRIM_400000_NS6detail17trampoline_kernelINS0_14default_configENS1_27scan_by_key_config_selectorIiiEEZZNS1_16scan_by_key_implILNS1_25lookback_scan_determinismE0ELb0ES3_N6thrust23THRUST_200600_302600_NS6detail15normal_iteratorINS9_10device_ptrIiEEEESE_SE_iNS9_4plusIvEENS9_8equal_toIiEEiEE10hipError_tPvRmT2_T3_T4_T5_mT6_T7_P12ihipStream_tbENKUlT_T0_E_clISt17integral_constantIbLb0EESY_IbLb1EEEEDaSU_SV_EUlSU_E_NS1_11comp_targetILNS1_3genE2ELNS1_11target_archE906ELNS1_3gpuE6ELNS1_3repE0EEENS1_30default_config_static_selectorELNS0_4arch9wavefront6targetE0EEEvT1_,@function
_ZN7rocprim17ROCPRIM_400000_NS6detail17trampoline_kernelINS0_14default_configENS1_27scan_by_key_config_selectorIiiEEZZNS1_16scan_by_key_implILNS1_25lookback_scan_determinismE0ELb0ES3_N6thrust23THRUST_200600_302600_NS6detail15normal_iteratorINS9_10device_ptrIiEEEESE_SE_iNS9_4plusIvEENS9_8equal_toIiEEiEE10hipError_tPvRmT2_T3_T4_T5_mT6_T7_P12ihipStream_tbENKUlT_T0_E_clISt17integral_constantIbLb0EESY_IbLb1EEEEDaSU_SV_EUlSU_E_NS1_11comp_targetILNS1_3genE2ELNS1_11target_archE906ELNS1_3gpuE6ELNS1_3repE0EEENS1_30default_config_static_selectorELNS0_4arch9wavefront6targetE0EEEvT1_: ; @_ZN7rocprim17ROCPRIM_400000_NS6detail17trampoline_kernelINS0_14default_configENS1_27scan_by_key_config_selectorIiiEEZZNS1_16scan_by_key_implILNS1_25lookback_scan_determinismE0ELb0ES3_N6thrust23THRUST_200600_302600_NS6detail15normal_iteratorINS9_10device_ptrIiEEEESE_SE_iNS9_4plusIvEENS9_8equal_toIiEEiEE10hipError_tPvRmT2_T3_T4_T5_mT6_T7_P12ihipStream_tbENKUlT_T0_E_clISt17integral_constantIbLb0EESY_IbLb1EEEEDaSU_SV_EUlSU_E_NS1_11comp_targetILNS1_3genE2ELNS1_11target_archE906ELNS1_3gpuE6ELNS1_3repE0EEENS1_30default_config_static_selectorELNS0_4arch9wavefront6targetE0EEEvT1_
; %bb.0:
	.section	.rodata,"a",@progbits
	.p2align	6, 0x0
	.amdhsa_kernel _ZN7rocprim17ROCPRIM_400000_NS6detail17trampoline_kernelINS0_14default_configENS1_27scan_by_key_config_selectorIiiEEZZNS1_16scan_by_key_implILNS1_25lookback_scan_determinismE0ELb0ES3_N6thrust23THRUST_200600_302600_NS6detail15normal_iteratorINS9_10device_ptrIiEEEESE_SE_iNS9_4plusIvEENS9_8equal_toIiEEiEE10hipError_tPvRmT2_T3_T4_T5_mT6_T7_P12ihipStream_tbENKUlT_T0_E_clISt17integral_constantIbLb0EESY_IbLb1EEEEDaSU_SV_EUlSU_E_NS1_11comp_targetILNS1_3genE2ELNS1_11target_archE906ELNS1_3gpuE6ELNS1_3repE0EEENS1_30default_config_static_selectorELNS0_4arch9wavefront6targetE0EEEvT1_
		.amdhsa_group_segment_fixed_size 0
		.amdhsa_private_segment_fixed_size 0
		.amdhsa_kernarg_size 112
		.amdhsa_user_sgpr_count 6
		.amdhsa_user_sgpr_private_segment_buffer 1
		.amdhsa_user_sgpr_dispatch_ptr 0
		.amdhsa_user_sgpr_queue_ptr 0
		.amdhsa_user_sgpr_kernarg_segment_ptr 1
		.amdhsa_user_sgpr_dispatch_id 0
		.amdhsa_user_sgpr_flat_scratch_init 0
		.amdhsa_user_sgpr_private_segment_size 0
		.amdhsa_wavefront_size32 1
		.amdhsa_uses_dynamic_stack 0
		.amdhsa_system_sgpr_private_segment_wavefront_offset 0
		.amdhsa_system_sgpr_workgroup_id_x 1
		.amdhsa_system_sgpr_workgroup_id_y 0
		.amdhsa_system_sgpr_workgroup_id_z 0
		.amdhsa_system_sgpr_workgroup_info 0
		.amdhsa_system_vgpr_workitem_id 0
		.amdhsa_next_free_vgpr 1
		.amdhsa_next_free_sgpr 1
		.amdhsa_reserve_vcc 0
		.amdhsa_reserve_flat_scratch 0
		.amdhsa_float_round_mode_32 0
		.amdhsa_float_round_mode_16_64 0
		.amdhsa_float_denorm_mode_32 3
		.amdhsa_float_denorm_mode_16_64 3
		.amdhsa_dx10_clamp 1
		.amdhsa_ieee_mode 1
		.amdhsa_fp16_overflow 0
		.amdhsa_workgroup_processor_mode 1
		.amdhsa_memory_ordered 1
		.amdhsa_forward_progress 1
		.amdhsa_shared_vgpr_count 0
		.amdhsa_exception_fp_ieee_invalid_op 0
		.amdhsa_exception_fp_denorm_src 0
		.amdhsa_exception_fp_ieee_div_zero 0
		.amdhsa_exception_fp_ieee_overflow 0
		.amdhsa_exception_fp_ieee_underflow 0
		.amdhsa_exception_fp_ieee_inexact 0
		.amdhsa_exception_int_div_zero 0
	.end_amdhsa_kernel
	.section	.text._ZN7rocprim17ROCPRIM_400000_NS6detail17trampoline_kernelINS0_14default_configENS1_27scan_by_key_config_selectorIiiEEZZNS1_16scan_by_key_implILNS1_25lookback_scan_determinismE0ELb0ES3_N6thrust23THRUST_200600_302600_NS6detail15normal_iteratorINS9_10device_ptrIiEEEESE_SE_iNS9_4plusIvEENS9_8equal_toIiEEiEE10hipError_tPvRmT2_T3_T4_T5_mT6_T7_P12ihipStream_tbENKUlT_T0_E_clISt17integral_constantIbLb0EESY_IbLb1EEEEDaSU_SV_EUlSU_E_NS1_11comp_targetILNS1_3genE2ELNS1_11target_archE906ELNS1_3gpuE6ELNS1_3repE0EEENS1_30default_config_static_selectorELNS0_4arch9wavefront6targetE0EEEvT1_,"axG",@progbits,_ZN7rocprim17ROCPRIM_400000_NS6detail17trampoline_kernelINS0_14default_configENS1_27scan_by_key_config_selectorIiiEEZZNS1_16scan_by_key_implILNS1_25lookback_scan_determinismE0ELb0ES3_N6thrust23THRUST_200600_302600_NS6detail15normal_iteratorINS9_10device_ptrIiEEEESE_SE_iNS9_4plusIvEENS9_8equal_toIiEEiEE10hipError_tPvRmT2_T3_T4_T5_mT6_T7_P12ihipStream_tbENKUlT_T0_E_clISt17integral_constantIbLb0EESY_IbLb1EEEEDaSU_SV_EUlSU_E_NS1_11comp_targetILNS1_3genE2ELNS1_11target_archE906ELNS1_3gpuE6ELNS1_3repE0EEENS1_30default_config_static_selectorELNS0_4arch9wavefront6targetE0EEEvT1_,comdat
.Lfunc_end232:
	.size	_ZN7rocprim17ROCPRIM_400000_NS6detail17trampoline_kernelINS0_14default_configENS1_27scan_by_key_config_selectorIiiEEZZNS1_16scan_by_key_implILNS1_25lookback_scan_determinismE0ELb0ES3_N6thrust23THRUST_200600_302600_NS6detail15normal_iteratorINS9_10device_ptrIiEEEESE_SE_iNS9_4plusIvEENS9_8equal_toIiEEiEE10hipError_tPvRmT2_T3_T4_T5_mT6_T7_P12ihipStream_tbENKUlT_T0_E_clISt17integral_constantIbLb0EESY_IbLb1EEEEDaSU_SV_EUlSU_E_NS1_11comp_targetILNS1_3genE2ELNS1_11target_archE906ELNS1_3gpuE6ELNS1_3repE0EEENS1_30default_config_static_selectorELNS0_4arch9wavefront6targetE0EEEvT1_, .Lfunc_end232-_ZN7rocprim17ROCPRIM_400000_NS6detail17trampoline_kernelINS0_14default_configENS1_27scan_by_key_config_selectorIiiEEZZNS1_16scan_by_key_implILNS1_25lookback_scan_determinismE0ELb0ES3_N6thrust23THRUST_200600_302600_NS6detail15normal_iteratorINS9_10device_ptrIiEEEESE_SE_iNS9_4plusIvEENS9_8equal_toIiEEiEE10hipError_tPvRmT2_T3_T4_T5_mT6_T7_P12ihipStream_tbENKUlT_T0_E_clISt17integral_constantIbLb0EESY_IbLb1EEEEDaSU_SV_EUlSU_E_NS1_11comp_targetILNS1_3genE2ELNS1_11target_archE906ELNS1_3gpuE6ELNS1_3repE0EEENS1_30default_config_static_selectorELNS0_4arch9wavefront6targetE0EEEvT1_
                                        ; -- End function
	.set _ZN7rocprim17ROCPRIM_400000_NS6detail17trampoline_kernelINS0_14default_configENS1_27scan_by_key_config_selectorIiiEEZZNS1_16scan_by_key_implILNS1_25lookback_scan_determinismE0ELb0ES3_N6thrust23THRUST_200600_302600_NS6detail15normal_iteratorINS9_10device_ptrIiEEEESE_SE_iNS9_4plusIvEENS9_8equal_toIiEEiEE10hipError_tPvRmT2_T3_T4_T5_mT6_T7_P12ihipStream_tbENKUlT_T0_E_clISt17integral_constantIbLb0EESY_IbLb1EEEEDaSU_SV_EUlSU_E_NS1_11comp_targetILNS1_3genE2ELNS1_11target_archE906ELNS1_3gpuE6ELNS1_3repE0EEENS1_30default_config_static_selectorELNS0_4arch9wavefront6targetE0EEEvT1_.num_vgpr, 0
	.set _ZN7rocprim17ROCPRIM_400000_NS6detail17trampoline_kernelINS0_14default_configENS1_27scan_by_key_config_selectorIiiEEZZNS1_16scan_by_key_implILNS1_25lookback_scan_determinismE0ELb0ES3_N6thrust23THRUST_200600_302600_NS6detail15normal_iteratorINS9_10device_ptrIiEEEESE_SE_iNS9_4plusIvEENS9_8equal_toIiEEiEE10hipError_tPvRmT2_T3_T4_T5_mT6_T7_P12ihipStream_tbENKUlT_T0_E_clISt17integral_constantIbLb0EESY_IbLb1EEEEDaSU_SV_EUlSU_E_NS1_11comp_targetILNS1_3genE2ELNS1_11target_archE906ELNS1_3gpuE6ELNS1_3repE0EEENS1_30default_config_static_selectorELNS0_4arch9wavefront6targetE0EEEvT1_.num_agpr, 0
	.set _ZN7rocprim17ROCPRIM_400000_NS6detail17trampoline_kernelINS0_14default_configENS1_27scan_by_key_config_selectorIiiEEZZNS1_16scan_by_key_implILNS1_25lookback_scan_determinismE0ELb0ES3_N6thrust23THRUST_200600_302600_NS6detail15normal_iteratorINS9_10device_ptrIiEEEESE_SE_iNS9_4plusIvEENS9_8equal_toIiEEiEE10hipError_tPvRmT2_T3_T4_T5_mT6_T7_P12ihipStream_tbENKUlT_T0_E_clISt17integral_constantIbLb0EESY_IbLb1EEEEDaSU_SV_EUlSU_E_NS1_11comp_targetILNS1_3genE2ELNS1_11target_archE906ELNS1_3gpuE6ELNS1_3repE0EEENS1_30default_config_static_selectorELNS0_4arch9wavefront6targetE0EEEvT1_.numbered_sgpr, 0
	.set _ZN7rocprim17ROCPRIM_400000_NS6detail17trampoline_kernelINS0_14default_configENS1_27scan_by_key_config_selectorIiiEEZZNS1_16scan_by_key_implILNS1_25lookback_scan_determinismE0ELb0ES3_N6thrust23THRUST_200600_302600_NS6detail15normal_iteratorINS9_10device_ptrIiEEEESE_SE_iNS9_4plusIvEENS9_8equal_toIiEEiEE10hipError_tPvRmT2_T3_T4_T5_mT6_T7_P12ihipStream_tbENKUlT_T0_E_clISt17integral_constantIbLb0EESY_IbLb1EEEEDaSU_SV_EUlSU_E_NS1_11comp_targetILNS1_3genE2ELNS1_11target_archE906ELNS1_3gpuE6ELNS1_3repE0EEENS1_30default_config_static_selectorELNS0_4arch9wavefront6targetE0EEEvT1_.num_named_barrier, 0
	.set _ZN7rocprim17ROCPRIM_400000_NS6detail17trampoline_kernelINS0_14default_configENS1_27scan_by_key_config_selectorIiiEEZZNS1_16scan_by_key_implILNS1_25lookback_scan_determinismE0ELb0ES3_N6thrust23THRUST_200600_302600_NS6detail15normal_iteratorINS9_10device_ptrIiEEEESE_SE_iNS9_4plusIvEENS9_8equal_toIiEEiEE10hipError_tPvRmT2_T3_T4_T5_mT6_T7_P12ihipStream_tbENKUlT_T0_E_clISt17integral_constantIbLb0EESY_IbLb1EEEEDaSU_SV_EUlSU_E_NS1_11comp_targetILNS1_3genE2ELNS1_11target_archE906ELNS1_3gpuE6ELNS1_3repE0EEENS1_30default_config_static_selectorELNS0_4arch9wavefront6targetE0EEEvT1_.private_seg_size, 0
	.set _ZN7rocprim17ROCPRIM_400000_NS6detail17trampoline_kernelINS0_14default_configENS1_27scan_by_key_config_selectorIiiEEZZNS1_16scan_by_key_implILNS1_25lookback_scan_determinismE0ELb0ES3_N6thrust23THRUST_200600_302600_NS6detail15normal_iteratorINS9_10device_ptrIiEEEESE_SE_iNS9_4plusIvEENS9_8equal_toIiEEiEE10hipError_tPvRmT2_T3_T4_T5_mT6_T7_P12ihipStream_tbENKUlT_T0_E_clISt17integral_constantIbLb0EESY_IbLb1EEEEDaSU_SV_EUlSU_E_NS1_11comp_targetILNS1_3genE2ELNS1_11target_archE906ELNS1_3gpuE6ELNS1_3repE0EEENS1_30default_config_static_selectorELNS0_4arch9wavefront6targetE0EEEvT1_.uses_vcc, 0
	.set _ZN7rocprim17ROCPRIM_400000_NS6detail17trampoline_kernelINS0_14default_configENS1_27scan_by_key_config_selectorIiiEEZZNS1_16scan_by_key_implILNS1_25lookback_scan_determinismE0ELb0ES3_N6thrust23THRUST_200600_302600_NS6detail15normal_iteratorINS9_10device_ptrIiEEEESE_SE_iNS9_4plusIvEENS9_8equal_toIiEEiEE10hipError_tPvRmT2_T3_T4_T5_mT6_T7_P12ihipStream_tbENKUlT_T0_E_clISt17integral_constantIbLb0EESY_IbLb1EEEEDaSU_SV_EUlSU_E_NS1_11comp_targetILNS1_3genE2ELNS1_11target_archE906ELNS1_3gpuE6ELNS1_3repE0EEENS1_30default_config_static_selectorELNS0_4arch9wavefront6targetE0EEEvT1_.uses_flat_scratch, 0
	.set _ZN7rocprim17ROCPRIM_400000_NS6detail17trampoline_kernelINS0_14default_configENS1_27scan_by_key_config_selectorIiiEEZZNS1_16scan_by_key_implILNS1_25lookback_scan_determinismE0ELb0ES3_N6thrust23THRUST_200600_302600_NS6detail15normal_iteratorINS9_10device_ptrIiEEEESE_SE_iNS9_4plusIvEENS9_8equal_toIiEEiEE10hipError_tPvRmT2_T3_T4_T5_mT6_T7_P12ihipStream_tbENKUlT_T0_E_clISt17integral_constantIbLb0EESY_IbLb1EEEEDaSU_SV_EUlSU_E_NS1_11comp_targetILNS1_3genE2ELNS1_11target_archE906ELNS1_3gpuE6ELNS1_3repE0EEENS1_30default_config_static_selectorELNS0_4arch9wavefront6targetE0EEEvT1_.has_dyn_sized_stack, 0
	.set _ZN7rocprim17ROCPRIM_400000_NS6detail17trampoline_kernelINS0_14default_configENS1_27scan_by_key_config_selectorIiiEEZZNS1_16scan_by_key_implILNS1_25lookback_scan_determinismE0ELb0ES3_N6thrust23THRUST_200600_302600_NS6detail15normal_iteratorINS9_10device_ptrIiEEEESE_SE_iNS9_4plusIvEENS9_8equal_toIiEEiEE10hipError_tPvRmT2_T3_T4_T5_mT6_T7_P12ihipStream_tbENKUlT_T0_E_clISt17integral_constantIbLb0EESY_IbLb1EEEEDaSU_SV_EUlSU_E_NS1_11comp_targetILNS1_3genE2ELNS1_11target_archE906ELNS1_3gpuE6ELNS1_3repE0EEENS1_30default_config_static_selectorELNS0_4arch9wavefront6targetE0EEEvT1_.has_recursion, 0
	.set _ZN7rocprim17ROCPRIM_400000_NS6detail17trampoline_kernelINS0_14default_configENS1_27scan_by_key_config_selectorIiiEEZZNS1_16scan_by_key_implILNS1_25lookback_scan_determinismE0ELb0ES3_N6thrust23THRUST_200600_302600_NS6detail15normal_iteratorINS9_10device_ptrIiEEEESE_SE_iNS9_4plusIvEENS9_8equal_toIiEEiEE10hipError_tPvRmT2_T3_T4_T5_mT6_T7_P12ihipStream_tbENKUlT_T0_E_clISt17integral_constantIbLb0EESY_IbLb1EEEEDaSU_SV_EUlSU_E_NS1_11comp_targetILNS1_3genE2ELNS1_11target_archE906ELNS1_3gpuE6ELNS1_3repE0EEENS1_30default_config_static_selectorELNS0_4arch9wavefront6targetE0EEEvT1_.has_indirect_call, 0
	.section	.AMDGPU.csdata,"",@progbits
; Kernel info:
; codeLenInByte = 0
; TotalNumSgprs: 0
; NumVgprs: 0
; ScratchSize: 0
; MemoryBound: 0
; FloatMode: 240
; IeeeMode: 1
; LDSByteSize: 0 bytes/workgroup (compile time only)
; SGPRBlocks: 0
; VGPRBlocks: 0
; NumSGPRsForWavesPerEU: 1
; NumVGPRsForWavesPerEU: 1
; Occupancy: 16
; WaveLimiterHint : 0
; COMPUTE_PGM_RSRC2:SCRATCH_EN: 0
; COMPUTE_PGM_RSRC2:USER_SGPR: 6
; COMPUTE_PGM_RSRC2:TRAP_HANDLER: 0
; COMPUTE_PGM_RSRC2:TGID_X_EN: 1
; COMPUTE_PGM_RSRC2:TGID_Y_EN: 0
; COMPUTE_PGM_RSRC2:TGID_Z_EN: 0
; COMPUTE_PGM_RSRC2:TIDIG_COMP_CNT: 0
	.section	.text._ZN7rocprim17ROCPRIM_400000_NS6detail17trampoline_kernelINS0_14default_configENS1_27scan_by_key_config_selectorIiiEEZZNS1_16scan_by_key_implILNS1_25lookback_scan_determinismE0ELb0ES3_N6thrust23THRUST_200600_302600_NS6detail15normal_iteratorINS9_10device_ptrIiEEEESE_SE_iNS9_4plusIvEENS9_8equal_toIiEEiEE10hipError_tPvRmT2_T3_T4_T5_mT6_T7_P12ihipStream_tbENKUlT_T0_E_clISt17integral_constantIbLb0EESY_IbLb1EEEEDaSU_SV_EUlSU_E_NS1_11comp_targetILNS1_3genE10ELNS1_11target_archE1200ELNS1_3gpuE4ELNS1_3repE0EEENS1_30default_config_static_selectorELNS0_4arch9wavefront6targetE0EEEvT1_,"axG",@progbits,_ZN7rocprim17ROCPRIM_400000_NS6detail17trampoline_kernelINS0_14default_configENS1_27scan_by_key_config_selectorIiiEEZZNS1_16scan_by_key_implILNS1_25lookback_scan_determinismE0ELb0ES3_N6thrust23THRUST_200600_302600_NS6detail15normal_iteratorINS9_10device_ptrIiEEEESE_SE_iNS9_4plusIvEENS9_8equal_toIiEEiEE10hipError_tPvRmT2_T3_T4_T5_mT6_T7_P12ihipStream_tbENKUlT_T0_E_clISt17integral_constantIbLb0EESY_IbLb1EEEEDaSU_SV_EUlSU_E_NS1_11comp_targetILNS1_3genE10ELNS1_11target_archE1200ELNS1_3gpuE4ELNS1_3repE0EEENS1_30default_config_static_selectorELNS0_4arch9wavefront6targetE0EEEvT1_,comdat
	.protected	_ZN7rocprim17ROCPRIM_400000_NS6detail17trampoline_kernelINS0_14default_configENS1_27scan_by_key_config_selectorIiiEEZZNS1_16scan_by_key_implILNS1_25lookback_scan_determinismE0ELb0ES3_N6thrust23THRUST_200600_302600_NS6detail15normal_iteratorINS9_10device_ptrIiEEEESE_SE_iNS9_4plusIvEENS9_8equal_toIiEEiEE10hipError_tPvRmT2_T3_T4_T5_mT6_T7_P12ihipStream_tbENKUlT_T0_E_clISt17integral_constantIbLb0EESY_IbLb1EEEEDaSU_SV_EUlSU_E_NS1_11comp_targetILNS1_3genE10ELNS1_11target_archE1200ELNS1_3gpuE4ELNS1_3repE0EEENS1_30default_config_static_selectorELNS0_4arch9wavefront6targetE0EEEvT1_ ; -- Begin function _ZN7rocprim17ROCPRIM_400000_NS6detail17trampoline_kernelINS0_14default_configENS1_27scan_by_key_config_selectorIiiEEZZNS1_16scan_by_key_implILNS1_25lookback_scan_determinismE0ELb0ES3_N6thrust23THRUST_200600_302600_NS6detail15normal_iteratorINS9_10device_ptrIiEEEESE_SE_iNS9_4plusIvEENS9_8equal_toIiEEiEE10hipError_tPvRmT2_T3_T4_T5_mT6_T7_P12ihipStream_tbENKUlT_T0_E_clISt17integral_constantIbLb0EESY_IbLb1EEEEDaSU_SV_EUlSU_E_NS1_11comp_targetILNS1_3genE10ELNS1_11target_archE1200ELNS1_3gpuE4ELNS1_3repE0EEENS1_30default_config_static_selectorELNS0_4arch9wavefront6targetE0EEEvT1_
	.globl	_ZN7rocprim17ROCPRIM_400000_NS6detail17trampoline_kernelINS0_14default_configENS1_27scan_by_key_config_selectorIiiEEZZNS1_16scan_by_key_implILNS1_25lookback_scan_determinismE0ELb0ES3_N6thrust23THRUST_200600_302600_NS6detail15normal_iteratorINS9_10device_ptrIiEEEESE_SE_iNS9_4plusIvEENS9_8equal_toIiEEiEE10hipError_tPvRmT2_T3_T4_T5_mT6_T7_P12ihipStream_tbENKUlT_T0_E_clISt17integral_constantIbLb0EESY_IbLb1EEEEDaSU_SV_EUlSU_E_NS1_11comp_targetILNS1_3genE10ELNS1_11target_archE1200ELNS1_3gpuE4ELNS1_3repE0EEENS1_30default_config_static_selectorELNS0_4arch9wavefront6targetE0EEEvT1_
	.p2align	8
	.type	_ZN7rocprim17ROCPRIM_400000_NS6detail17trampoline_kernelINS0_14default_configENS1_27scan_by_key_config_selectorIiiEEZZNS1_16scan_by_key_implILNS1_25lookback_scan_determinismE0ELb0ES3_N6thrust23THRUST_200600_302600_NS6detail15normal_iteratorINS9_10device_ptrIiEEEESE_SE_iNS9_4plusIvEENS9_8equal_toIiEEiEE10hipError_tPvRmT2_T3_T4_T5_mT6_T7_P12ihipStream_tbENKUlT_T0_E_clISt17integral_constantIbLb0EESY_IbLb1EEEEDaSU_SV_EUlSU_E_NS1_11comp_targetILNS1_3genE10ELNS1_11target_archE1200ELNS1_3gpuE4ELNS1_3repE0EEENS1_30default_config_static_selectorELNS0_4arch9wavefront6targetE0EEEvT1_,@function
_ZN7rocprim17ROCPRIM_400000_NS6detail17trampoline_kernelINS0_14default_configENS1_27scan_by_key_config_selectorIiiEEZZNS1_16scan_by_key_implILNS1_25lookback_scan_determinismE0ELb0ES3_N6thrust23THRUST_200600_302600_NS6detail15normal_iteratorINS9_10device_ptrIiEEEESE_SE_iNS9_4plusIvEENS9_8equal_toIiEEiEE10hipError_tPvRmT2_T3_T4_T5_mT6_T7_P12ihipStream_tbENKUlT_T0_E_clISt17integral_constantIbLb0EESY_IbLb1EEEEDaSU_SV_EUlSU_E_NS1_11comp_targetILNS1_3genE10ELNS1_11target_archE1200ELNS1_3gpuE4ELNS1_3repE0EEENS1_30default_config_static_selectorELNS0_4arch9wavefront6targetE0EEEvT1_: ; @_ZN7rocprim17ROCPRIM_400000_NS6detail17trampoline_kernelINS0_14default_configENS1_27scan_by_key_config_selectorIiiEEZZNS1_16scan_by_key_implILNS1_25lookback_scan_determinismE0ELb0ES3_N6thrust23THRUST_200600_302600_NS6detail15normal_iteratorINS9_10device_ptrIiEEEESE_SE_iNS9_4plusIvEENS9_8equal_toIiEEiEE10hipError_tPvRmT2_T3_T4_T5_mT6_T7_P12ihipStream_tbENKUlT_T0_E_clISt17integral_constantIbLb0EESY_IbLb1EEEEDaSU_SV_EUlSU_E_NS1_11comp_targetILNS1_3genE10ELNS1_11target_archE1200ELNS1_3gpuE4ELNS1_3repE0EEENS1_30default_config_static_selectorELNS0_4arch9wavefront6targetE0EEEvT1_
; %bb.0:
	.section	.rodata,"a",@progbits
	.p2align	6, 0x0
	.amdhsa_kernel _ZN7rocprim17ROCPRIM_400000_NS6detail17trampoline_kernelINS0_14default_configENS1_27scan_by_key_config_selectorIiiEEZZNS1_16scan_by_key_implILNS1_25lookback_scan_determinismE0ELb0ES3_N6thrust23THRUST_200600_302600_NS6detail15normal_iteratorINS9_10device_ptrIiEEEESE_SE_iNS9_4plusIvEENS9_8equal_toIiEEiEE10hipError_tPvRmT2_T3_T4_T5_mT6_T7_P12ihipStream_tbENKUlT_T0_E_clISt17integral_constantIbLb0EESY_IbLb1EEEEDaSU_SV_EUlSU_E_NS1_11comp_targetILNS1_3genE10ELNS1_11target_archE1200ELNS1_3gpuE4ELNS1_3repE0EEENS1_30default_config_static_selectorELNS0_4arch9wavefront6targetE0EEEvT1_
		.amdhsa_group_segment_fixed_size 0
		.amdhsa_private_segment_fixed_size 0
		.amdhsa_kernarg_size 112
		.amdhsa_user_sgpr_count 6
		.amdhsa_user_sgpr_private_segment_buffer 1
		.amdhsa_user_sgpr_dispatch_ptr 0
		.amdhsa_user_sgpr_queue_ptr 0
		.amdhsa_user_sgpr_kernarg_segment_ptr 1
		.amdhsa_user_sgpr_dispatch_id 0
		.amdhsa_user_sgpr_flat_scratch_init 0
		.amdhsa_user_sgpr_private_segment_size 0
		.amdhsa_wavefront_size32 1
		.amdhsa_uses_dynamic_stack 0
		.amdhsa_system_sgpr_private_segment_wavefront_offset 0
		.amdhsa_system_sgpr_workgroup_id_x 1
		.amdhsa_system_sgpr_workgroup_id_y 0
		.amdhsa_system_sgpr_workgroup_id_z 0
		.amdhsa_system_sgpr_workgroup_info 0
		.amdhsa_system_vgpr_workitem_id 0
		.amdhsa_next_free_vgpr 1
		.amdhsa_next_free_sgpr 1
		.amdhsa_reserve_vcc 0
		.amdhsa_reserve_flat_scratch 0
		.amdhsa_float_round_mode_32 0
		.amdhsa_float_round_mode_16_64 0
		.amdhsa_float_denorm_mode_32 3
		.amdhsa_float_denorm_mode_16_64 3
		.amdhsa_dx10_clamp 1
		.amdhsa_ieee_mode 1
		.amdhsa_fp16_overflow 0
		.amdhsa_workgroup_processor_mode 1
		.amdhsa_memory_ordered 1
		.amdhsa_forward_progress 1
		.amdhsa_shared_vgpr_count 0
		.amdhsa_exception_fp_ieee_invalid_op 0
		.amdhsa_exception_fp_denorm_src 0
		.amdhsa_exception_fp_ieee_div_zero 0
		.amdhsa_exception_fp_ieee_overflow 0
		.amdhsa_exception_fp_ieee_underflow 0
		.amdhsa_exception_fp_ieee_inexact 0
		.amdhsa_exception_int_div_zero 0
	.end_amdhsa_kernel
	.section	.text._ZN7rocprim17ROCPRIM_400000_NS6detail17trampoline_kernelINS0_14default_configENS1_27scan_by_key_config_selectorIiiEEZZNS1_16scan_by_key_implILNS1_25lookback_scan_determinismE0ELb0ES3_N6thrust23THRUST_200600_302600_NS6detail15normal_iteratorINS9_10device_ptrIiEEEESE_SE_iNS9_4plusIvEENS9_8equal_toIiEEiEE10hipError_tPvRmT2_T3_T4_T5_mT6_T7_P12ihipStream_tbENKUlT_T0_E_clISt17integral_constantIbLb0EESY_IbLb1EEEEDaSU_SV_EUlSU_E_NS1_11comp_targetILNS1_3genE10ELNS1_11target_archE1200ELNS1_3gpuE4ELNS1_3repE0EEENS1_30default_config_static_selectorELNS0_4arch9wavefront6targetE0EEEvT1_,"axG",@progbits,_ZN7rocprim17ROCPRIM_400000_NS6detail17trampoline_kernelINS0_14default_configENS1_27scan_by_key_config_selectorIiiEEZZNS1_16scan_by_key_implILNS1_25lookback_scan_determinismE0ELb0ES3_N6thrust23THRUST_200600_302600_NS6detail15normal_iteratorINS9_10device_ptrIiEEEESE_SE_iNS9_4plusIvEENS9_8equal_toIiEEiEE10hipError_tPvRmT2_T3_T4_T5_mT6_T7_P12ihipStream_tbENKUlT_T0_E_clISt17integral_constantIbLb0EESY_IbLb1EEEEDaSU_SV_EUlSU_E_NS1_11comp_targetILNS1_3genE10ELNS1_11target_archE1200ELNS1_3gpuE4ELNS1_3repE0EEENS1_30default_config_static_selectorELNS0_4arch9wavefront6targetE0EEEvT1_,comdat
.Lfunc_end233:
	.size	_ZN7rocprim17ROCPRIM_400000_NS6detail17trampoline_kernelINS0_14default_configENS1_27scan_by_key_config_selectorIiiEEZZNS1_16scan_by_key_implILNS1_25lookback_scan_determinismE0ELb0ES3_N6thrust23THRUST_200600_302600_NS6detail15normal_iteratorINS9_10device_ptrIiEEEESE_SE_iNS9_4plusIvEENS9_8equal_toIiEEiEE10hipError_tPvRmT2_T3_T4_T5_mT6_T7_P12ihipStream_tbENKUlT_T0_E_clISt17integral_constantIbLb0EESY_IbLb1EEEEDaSU_SV_EUlSU_E_NS1_11comp_targetILNS1_3genE10ELNS1_11target_archE1200ELNS1_3gpuE4ELNS1_3repE0EEENS1_30default_config_static_selectorELNS0_4arch9wavefront6targetE0EEEvT1_, .Lfunc_end233-_ZN7rocprim17ROCPRIM_400000_NS6detail17trampoline_kernelINS0_14default_configENS1_27scan_by_key_config_selectorIiiEEZZNS1_16scan_by_key_implILNS1_25lookback_scan_determinismE0ELb0ES3_N6thrust23THRUST_200600_302600_NS6detail15normal_iteratorINS9_10device_ptrIiEEEESE_SE_iNS9_4plusIvEENS9_8equal_toIiEEiEE10hipError_tPvRmT2_T3_T4_T5_mT6_T7_P12ihipStream_tbENKUlT_T0_E_clISt17integral_constantIbLb0EESY_IbLb1EEEEDaSU_SV_EUlSU_E_NS1_11comp_targetILNS1_3genE10ELNS1_11target_archE1200ELNS1_3gpuE4ELNS1_3repE0EEENS1_30default_config_static_selectorELNS0_4arch9wavefront6targetE0EEEvT1_
                                        ; -- End function
	.set _ZN7rocprim17ROCPRIM_400000_NS6detail17trampoline_kernelINS0_14default_configENS1_27scan_by_key_config_selectorIiiEEZZNS1_16scan_by_key_implILNS1_25lookback_scan_determinismE0ELb0ES3_N6thrust23THRUST_200600_302600_NS6detail15normal_iteratorINS9_10device_ptrIiEEEESE_SE_iNS9_4plusIvEENS9_8equal_toIiEEiEE10hipError_tPvRmT2_T3_T4_T5_mT6_T7_P12ihipStream_tbENKUlT_T0_E_clISt17integral_constantIbLb0EESY_IbLb1EEEEDaSU_SV_EUlSU_E_NS1_11comp_targetILNS1_3genE10ELNS1_11target_archE1200ELNS1_3gpuE4ELNS1_3repE0EEENS1_30default_config_static_selectorELNS0_4arch9wavefront6targetE0EEEvT1_.num_vgpr, 0
	.set _ZN7rocprim17ROCPRIM_400000_NS6detail17trampoline_kernelINS0_14default_configENS1_27scan_by_key_config_selectorIiiEEZZNS1_16scan_by_key_implILNS1_25lookback_scan_determinismE0ELb0ES3_N6thrust23THRUST_200600_302600_NS6detail15normal_iteratorINS9_10device_ptrIiEEEESE_SE_iNS9_4plusIvEENS9_8equal_toIiEEiEE10hipError_tPvRmT2_T3_T4_T5_mT6_T7_P12ihipStream_tbENKUlT_T0_E_clISt17integral_constantIbLb0EESY_IbLb1EEEEDaSU_SV_EUlSU_E_NS1_11comp_targetILNS1_3genE10ELNS1_11target_archE1200ELNS1_3gpuE4ELNS1_3repE0EEENS1_30default_config_static_selectorELNS0_4arch9wavefront6targetE0EEEvT1_.num_agpr, 0
	.set _ZN7rocprim17ROCPRIM_400000_NS6detail17trampoline_kernelINS0_14default_configENS1_27scan_by_key_config_selectorIiiEEZZNS1_16scan_by_key_implILNS1_25lookback_scan_determinismE0ELb0ES3_N6thrust23THRUST_200600_302600_NS6detail15normal_iteratorINS9_10device_ptrIiEEEESE_SE_iNS9_4plusIvEENS9_8equal_toIiEEiEE10hipError_tPvRmT2_T3_T4_T5_mT6_T7_P12ihipStream_tbENKUlT_T0_E_clISt17integral_constantIbLb0EESY_IbLb1EEEEDaSU_SV_EUlSU_E_NS1_11comp_targetILNS1_3genE10ELNS1_11target_archE1200ELNS1_3gpuE4ELNS1_3repE0EEENS1_30default_config_static_selectorELNS0_4arch9wavefront6targetE0EEEvT1_.numbered_sgpr, 0
	.set _ZN7rocprim17ROCPRIM_400000_NS6detail17trampoline_kernelINS0_14default_configENS1_27scan_by_key_config_selectorIiiEEZZNS1_16scan_by_key_implILNS1_25lookback_scan_determinismE0ELb0ES3_N6thrust23THRUST_200600_302600_NS6detail15normal_iteratorINS9_10device_ptrIiEEEESE_SE_iNS9_4plusIvEENS9_8equal_toIiEEiEE10hipError_tPvRmT2_T3_T4_T5_mT6_T7_P12ihipStream_tbENKUlT_T0_E_clISt17integral_constantIbLb0EESY_IbLb1EEEEDaSU_SV_EUlSU_E_NS1_11comp_targetILNS1_3genE10ELNS1_11target_archE1200ELNS1_3gpuE4ELNS1_3repE0EEENS1_30default_config_static_selectorELNS0_4arch9wavefront6targetE0EEEvT1_.num_named_barrier, 0
	.set _ZN7rocprim17ROCPRIM_400000_NS6detail17trampoline_kernelINS0_14default_configENS1_27scan_by_key_config_selectorIiiEEZZNS1_16scan_by_key_implILNS1_25lookback_scan_determinismE0ELb0ES3_N6thrust23THRUST_200600_302600_NS6detail15normal_iteratorINS9_10device_ptrIiEEEESE_SE_iNS9_4plusIvEENS9_8equal_toIiEEiEE10hipError_tPvRmT2_T3_T4_T5_mT6_T7_P12ihipStream_tbENKUlT_T0_E_clISt17integral_constantIbLb0EESY_IbLb1EEEEDaSU_SV_EUlSU_E_NS1_11comp_targetILNS1_3genE10ELNS1_11target_archE1200ELNS1_3gpuE4ELNS1_3repE0EEENS1_30default_config_static_selectorELNS0_4arch9wavefront6targetE0EEEvT1_.private_seg_size, 0
	.set _ZN7rocprim17ROCPRIM_400000_NS6detail17trampoline_kernelINS0_14default_configENS1_27scan_by_key_config_selectorIiiEEZZNS1_16scan_by_key_implILNS1_25lookback_scan_determinismE0ELb0ES3_N6thrust23THRUST_200600_302600_NS6detail15normal_iteratorINS9_10device_ptrIiEEEESE_SE_iNS9_4plusIvEENS9_8equal_toIiEEiEE10hipError_tPvRmT2_T3_T4_T5_mT6_T7_P12ihipStream_tbENKUlT_T0_E_clISt17integral_constantIbLb0EESY_IbLb1EEEEDaSU_SV_EUlSU_E_NS1_11comp_targetILNS1_3genE10ELNS1_11target_archE1200ELNS1_3gpuE4ELNS1_3repE0EEENS1_30default_config_static_selectorELNS0_4arch9wavefront6targetE0EEEvT1_.uses_vcc, 0
	.set _ZN7rocprim17ROCPRIM_400000_NS6detail17trampoline_kernelINS0_14default_configENS1_27scan_by_key_config_selectorIiiEEZZNS1_16scan_by_key_implILNS1_25lookback_scan_determinismE0ELb0ES3_N6thrust23THRUST_200600_302600_NS6detail15normal_iteratorINS9_10device_ptrIiEEEESE_SE_iNS9_4plusIvEENS9_8equal_toIiEEiEE10hipError_tPvRmT2_T3_T4_T5_mT6_T7_P12ihipStream_tbENKUlT_T0_E_clISt17integral_constantIbLb0EESY_IbLb1EEEEDaSU_SV_EUlSU_E_NS1_11comp_targetILNS1_3genE10ELNS1_11target_archE1200ELNS1_3gpuE4ELNS1_3repE0EEENS1_30default_config_static_selectorELNS0_4arch9wavefront6targetE0EEEvT1_.uses_flat_scratch, 0
	.set _ZN7rocprim17ROCPRIM_400000_NS6detail17trampoline_kernelINS0_14default_configENS1_27scan_by_key_config_selectorIiiEEZZNS1_16scan_by_key_implILNS1_25lookback_scan_determinismE0ELb0ES3_N6thrust23THRUST_200600_302600_NS6detail15normal_iteratorINS9_10device_ptrIiEEEESE_SE_iNS9_4plusIvEENS9_8equal_toIiEEiEE10hipError_tPvRmT2_T3_T4_T5_mT6_T7_P12ihipStream_tbENKUlT_T0_E_clISt17integral_constantIbLb0EESY_IbLb1EEEEDaSU_SV_EUlSU_E_NS1_11comp_targetILNS1_3genE10ELNS1_11target_archE1200ELNS1_3gpuE4ELNS1_3repE0EEENS1_30default_config_static_selectorELNS0_4arch9wavefront6targetE0EEEvT1_.has_dyn_sized_stack, 0
	.set _ZN7rocprim17ROCPRIM_400000_NS6detail17trampoline_kernelINS0_14default_configENS1_27scan_by_key_config_selectorIiiEEZZNS1_16scan_by_key_implILNS1_25lookback_scan_determinismE0ELb0ES3_N6thrust23THRUST_200600_302600_NS6detail15normal_iteratorINS9_10device_ptrIiEEEESE_SE_iNS9_4plusIvEENS9_8equal_toIiEEiEE10hipError_tPvRmT2_T3_T4_T5_mT6_T7_P12ihipStream_tbENKUlT_T0_E_clISt17integral_constantIbLb0EESY_IbLb1EEEEDaSU_SV_EUlSU_E_NS1_11comp_targetILNS1_3genE10ELNS1_11target_archE1200ELNS1_3gpuE4ELNS1_3repE0EEENS1_30default_config_static_selectorELNS0_4arch9wavefront6targetE0EEEvT1_.has_recursion, 0
	.set _ZN7rocprim17ROCPRIM_400000_NS6detail17trampoline_kernelINS0_14default_configENS1_27scan_by_key_config_selectorIiiEEZZNS1_16scan_by_key_implILNS1_25lookback_scan_determinismE0ELb0ES3_N6thrust23THRUST_200600_302600_NS6detail15normal_iteratorINS9_10device_ptrIiEEEESE_SE_iNS9_4plusIvEENS9_8equal_toIiEEiEE10hipError_tPvRmT2_T3_T4_T5_mT6_T7_P12ihipStream_tbENKUlT_T0_E_clISt17integral_constantIbLb0EESY_IbLb1EEEEDaSU_SV_EUlSU_E_NS1_11comp_targetILNS1_3genE10ELNS1_11target_archE1200ELNS1_3gpuE4ELNS1_3repE0EEENS1_30default_config_static_selectorELNS0_4arch9wavefront6targetE0EEEvT1_.has_indirect_call, 0
	.section	.AMDGPU.csdata,"",@progbits
; Kernel info:
; codeLenInByte = 0
; TotalNumSgprs: 0
; NumVgprs: 0
; ScratchSize: 0
; MemoryBound: 0
; FloatMode: 240
; IeeeMode: 1
; LDSByteSize: 0 bytes/workgroup (compile time only)
; SGPRBlocks: 0
; VGPRBlocks: 0
; NumSGPRsForWavesPerEU: 1
; NumVGPRsForWavesPerEU: 1
; Occupancy: 16
; WaveLimiterHint : 0
; COMPUTE_PGM_RSRC2:SCRATCH_EN: 0
; COMPUTE_PGM_RSRC2:USER_SGPR: 6
; COMPUTE_PGM_RSRC2:TRAP_HANDLER: 0
; COMPUTE_PGM_RSRC2:TGID_X_EN: 1
; COMPUTE_PGM_RSRC2:TGID_Y_EN: 0
; COMPUTE_PGM_RSRC2:TGID_Z_EN: 0
; COMPUTE_PGM_RSRC2:TIDIG_COMP_CNT: 0
	.section	.text._ZN7rocprim17ROCPRIM_400000_NS6detail17trampoline_kernelINS0_14default_configENS1_27scan_by_key_config_selectorIiiEEZZNS1_16scan_by_key_implILNS1_25lookback_scan_determinismE0ELb0ES3_N6thrust23THRUST_200600_302600_NS6detail15normal_iteratorINS9_10device_ptrIiEEEESE_SE_iNS9_4plusIvEENS9_8equal_toIiEEiEE10hipError_tPvRmT2_T3_T4_T5_mT6_T7_P12ihipStream_tbENKUlT_T0_E_clISt17integral_constantIbLb0EESY_IbLb1EEEEDaSU_SV_EUlSU_E_NS1_11comp_targetILNS1_3genE9ELNS1_11target_archE1100ELNS1_3gpuE3ELNS1_3repE0EEENS1_30default_config_static_selectorELNS0_4arch9wavefront6targetE0EEEvT1_,"axG",@progbits,_ZN7rocprim17ROCPRIM_400000_NS6detail17trampoline_kernelINS0_14default_configENS1_27scan_by_key_config_selectorIiiEEZZNS1_16scan_by_key_implILNS1_25lookback_scan_determinismE0ELb0ES3_N6thrust23THRUST_200600_302600_NS6detail15normal_iteratorINS9_10device_ptrIiEEEESE_SE_iNS9_4plusIvEENS9_8equal_toIiEEiEE10hipError_tPvRmT2_T3_T4_T5_mT6_T7_P12ihipStream_tbENKUlT_T0_E_clISt17integral_constantIbLb0EESY_IbLb1EEEEDaSU_SV_EUlSU_E_NS1_11comp_targetILNS1_3genE9ELNS1_11target_archE1100ELNS1_3gpuE3ELNS1_3repE0EEENS1_30default_config_static_selectorELNS0_4arch9wavefront6targetE0EEEvT1_,comdat
	.protected	_ZN7rocprim17ROCPRIM_400000_NS6detail17trampoline_kernelINS0_14default_configENS1_27scan_by_key_config_selectorIiiEEZZNS1_16scan_by_key_implILNS1_25lookback_scan_determinismE0ELb0ES3_N6thrust23THRUST_200600_302600_NS6detail15normal_iteratorINS9_10device_ptrIiEEEESE_SE_iNS9_4plusIvEENS9_8equal_toIiEEiEE10hipError_tPvRmT2_T3_T4_T5_mT6_T7_P12ihipStream_tbENKUlT_T0_E_clISt17integral_constantIbLb0EESY_IbLb1EEEEDaSU_SV_EUlSU_E_NS1_11comp_targetILNS1_3genE9ELNS1_11target_archE1100ELNS1_3gpuE3ELNS1_3repE0EEENS1_30default_config_static_selectorELNS0_4arch9wavefront6targetE0EEEvT1_ ; -- Begin function _ZN7rocprim17ROCPRIM_400000_NS6detail17trampoline_kernelINS0_14default_configENS1_27scan_by_key_config_selectorIiiEEZZNS1_16scan_by_key_implILNS1_25lookback_scan_determinismE0ELb0ES3_N6thrust23THRUST_200600_302600_NS6detail15normal_iteratorINS9_10device_ptrIiEEEESE_SE_iNS9_4plusIvEENS9_8equal_toIiEEiEE10hipError_tPvRmT2_T3_T4_T5_mT6_T7_P12ihipStream_tbENKUlT_T0_E_clISt17integral_constantIbLb0EESY_IbLb1EEEEDaSU_SV_EUlSU_E_NS1_11comp_targetILNS1_3genE9ELNS1_11target_archE1100ELNS1_3gpuE3ELNS1_3repE0EEENS1_30default_config_static_selectorELNS0_4arch9wavefront6targetE0EEEvT1_
	.globl	_ZN7rocprim17ROCPRIM_400000_NS6detail17trampoline_kernelINS0_14default_configENS1_27scan_by_key_config_selectorIiiEEZZNS1_16scan_by_key_implILNS1_25lookback_scan_determinismE0ELb0ES3_N6thrust23THRUST_200600_302600_NS6detail15normal_iteratorINS9_10device_ptrIiEEEESE_SE_iNS9_4plusIvEENS9_8equal_toIiEEiEE10hipError_tPvRmT2_T3_T4_T5_mT6_T7_P12ihipStream_tbENKUlT_T0_E_clISt17integral_constantIbLb0EESY_IbLb1EEEEDaSU_SV_EUlSU_E_NS1_11comp_targetILNS1_3genE9ELNS1_11target_archE1100ELNS1_3gpuE3ELNS1_3repE0EEENS1_30default_config_static_selectorELNS0_4arch9wavefront6targetE0EEEvT1_
	.p2align	8
	.type	_ZN7rocprim17ROCPRIM_400000_NS6detail17trampoline_kernelINS0_14default_configENS1_27scan_by_key_config_selectorIiiEEZZNS1_16scan_by_key_implILNS1_25lookback_scan_determinismE0ELb0ES3_N6thrust23THRUST_200600_302600_NS6detail15normal_iteratorINS9_10device_ptrIiEEEESE_SE_iNS9_4plusIvEENS9_8equal_toIiEEiEE10hipError_tPvRmT2_T3_T4_T5_mT6_T7_P12ihipStream_tbENKUlT_T0_E_clISt17integral_constantIbLb0EESY_IbLb1EEEEDaSU_SV_EUlSU_E_NS1_11comp_targetILNS1_3genE9ELNS1_11target_archE1100ELNS1_3gpuE3ELNS1_3repE0EEENS1_30default_config_static_selectorELNS0_4arch9wavefront6targetE0EEEvT1_,@function
_ZN7rocprim17ROCPRIM_400000_NS6detail17trampoline_kernelINS0_14default_configENS1_27scan_by_key_config_selectorIiiEEZZNS1_16scan_by_key_implILNS1_25lookback_scan_determinismE0ELb0ES3_N6thrust23THRUST_200600_302600_NS6detail15normal_iteratorINS9_10device_ptrIiEEEESE_SE_iNS9_4plusIvEENS9_8equal_toIiEEiEE10hipError_tPvRmT2_T3_T4_T5_mT6_T7_P12ihipStream_tbENKUlT_T0_E_clISt17integral_constantIbLb0EESY_IbLb1EEEEDaSU_SV_EUlSU_E_NS1_11comp_targetILNS1_3genE9ELNS1_11target_archE1100ELNS1_3gpuE3ELNS1_3repE0EEENS1_30default_config_static_selectorELNS0_4arch9wavefront6targetE0EEEvT1_: ; @_ZN7rocprim17ROCPRIM_400000_NS6detail17trampoline_kernelINS0_14default_configENS1_27scan_by_key_config_selectorIiiEEZZNS1_16scan_by_key_implILNS1_25lookback_scan_determinismE0ELb0ES3_N6thrust23THRUST_200600_302600_NS6detail15normal_iteratorINS9_10device_ptrIiEEEESE_SE_iNS9_4plusIvEENS9_8equal_toIiEEiEE10hipError_tPvRmT2_T3_T4_T5_mT6_T7_P12ihipStream_tbENKUlT_T0_E_clISt17integral_constantIbLb0EESY_IbLb1EEEEDaSU_SV_EUlSU_E_NS1_11comp_targetILNS1_3genE9ELNS1_11target_archE1100ELNS1_3gpuE3ELNS1_3repE0EEENS1_30default_config_static_selectorELNS0_4arch9wavefront6targetE0EEEvT1_
; %bb.0:
	.section	.rodata,"a",@progbits
	.p2align	6, 0x0
	.amdhsa_kernel _ZN7rocprim17ROCPRIM_400000_NS6detail17trampoline_kernelINS0_14default_configENS1_27scan_by_key_config_selectorIiiEEZZNS1_16scan_by_key_implILNS1_25lookback_scan_determinismE0ELb0ES3_N6thrust23THRUST_200600_302600_NS6detail15normal_iteratorINS9_10device_ptrIiEEEESE_SE_iNS9_4plusIvEENS9_8equal_toIiEEiEE10hipError_tPvRmT2_T3_T4_T5_mT6_T7_P12ihipStream_tbENKUlT_T0_E_clISt17integral_constantIbLb0EESY_IbLb1EEEEDaSU_SV_EUlSU_E_NS1_11comp_targetILNS1_3genE9ELNS1_11target_archE1100ELNS1_3gpuE3ELNS1_3repE0EEENS1_30default_config_static_selectorELNS0_4arch9wavefront6targetE0EEEvT1_
		.amdhsa_group_segment_fixed_size 0
		.amdhsa_private_segment_fixed_size 0
		.amdhsa_kernarg_size 112
		.amdhsa_user_sgpr_count 6
		.amdhsa_user_sgpr_private_segment_buffer 1
		.amdhsa_user_sgpr_dispatch_ptr 0
		.amdhsa_user_sgpr_queue_ptr 0
		.amdhsa_user_sgpr_kernarg_segment_ptr 1
		.amdhsa_user_sgpr_dispatch_id 0
		.amdhsa_user_sgpr_flat_scratch_init 0
		.amdhsa_user_sgpr_private_segment_size 0
		.amdhsa_wavefront_size32 1
		.amdhsa_uses_dynamic_stack 0
		.amdhsa_system_sgpr_private_segment_wavefront_offset 0
		.amdhsa_system_sgpr_workgroup_id_x 1
		.amdhsa_system_sgpr_workgroup_id_y 0
		.amdhsa_system_sgpr_workgroup_id_z 0
		.amdhsa_system_sgpr_workgroup_info 0
		.amdhsa_system_vgpr_workitem_id 0
		.amdhsa_next_free_vgpr 1
		.amdhsa_next_free_sgpr 1
		.amdhsa_reserve_vcc 0
		.amdhsa_reserve_flat_scratch 0
		.amdhsa_float_round_mode_32 0
		.amdhsa_float_round_mode_16_64 0
		.amdhsa_float_denorm_mode_32 3
		.amdhsa_float_denorm_mode_16_64 3
		.amdhsa_dx10_clamp 1
		.amdhsa_ieee_mode 1
		.amdhsa_fp16_overflow 0
		.amdhsa_workgroup_processor_mode 1
		.amdhsa_memory_ordered 1
		.amdhsa_forward_progress 1
		.amdhsa_shared_vgpr_count 0
		.amdhsa_exception_fp_ieee_invalid_op 0
		.amdhsa_exception_fp_denorm_src 0
		.amdhsa_exception_fp_ieee_div_zero 0
		.amdhsa_exception_fp_ieee_overflow 0
		.amdhsa_exception_fp_ieee_underflow 0
		.amdhsa_exception_fp_ieee_inexact 0
		.amdhsa_exception_int_div_zero 0
	.end_amdhsa_kernel
	.section	.text._ZN7rocprim17ROCPRIM_400000_NS6detail17trampoline_kernelINS0_14default_configENS1_27scan_by_key_config_selectorIiiEEZZNS1_16scan_by_key_implILNS1_25lookback_scan_determinismE0ELb0ES3_N6thrust23THRUST_200600_302600_NS6detail15normal_iteratorINS9_10device_ptrIiEEEESE_SE_iNS9_4plusIvEENS9_8equal_toIiEEiEE10hipError_tPvRmT2_T3_T4_T5_mT6_T7_P12ihipStream_tbENKUlT_T0_E_clISt17integral_constantIbLb0EESY_IbLb1EEEEDaSU_SV_EUlSU_E_NS1_11comp_targetILNS1_3genE9ELNS1_11target_archE1100ELNS1_3gpuE3ELNS1_3repE0EEENS1_30default_config_static_selectorELNS0_4arch9wavefront6targetE0EEEvT1_,"axG",@progbits,_ZN7rocprim17ROCPRIM_400000_NS6detail17trampoline_kernelINS0_14default_configENS1_27scan_by_key_config_selectorIiiEEZZNS1_16scan_by_key_implILNS1_25lookback_scan_determinismE0ELb0ES3_N6thrust23THRUST_200600_302600_NS6detail15normal_iteratorINS9_10device_ptrIiEEEESE_SE_iNS9_4plusIvEENS9_8equal_toIiEEiEE10hipError_tPvRmT2_T3_T4_T5_mT6_T7_P12ihipStream_tbENKUlT_T0_E_clISt17integral_constantIbLb0EESY_IbLb1EEEEDaSU_SV_EUlSU_E_NS1_11comp_targetILNS1_3genE9ELNS1_11target_archE1100ELNS1_3gpuE3ELNS1_3repE0EEENS1_30default_config_static_selectorELNS0_4arch9wavefront6targetE0EEEvT1_,comdat
.Lfunc_end234:
	.size	_ZN7rocprim17ROCPRIM_400000_NS6detail17trampoline_kernelINS0_14default_configENS1_27scan_by_key_config_selectorIiiEEZZNS1_16scan_by_key_implILNS1_25lookback_scan_determinismE0ELb0ES3_N6thrust23THRUST_200600_302600_NS6detail15normal_iteratorINS9_10device_ptrIiEEEESE_SE_iNS9_4plusIvEENS9_8equal_toIiEEiEE10hipError_tPvRmT2_T3_T4_T5_mT6_T7_P12ihipStream_tbENKUlT_T0_E_clISt17integral_constantIbLb0EESY_IbLb1EEEEDaSU_SV_EUlSU_E_NS1_11comp_targetILNS1_3genE9ELNS1_11target_archE1100ELNS1_3gpuE3ELNS1_3repE0EEENS1_30default_config_static_selectorELNS0_4arch9wavefront6targetE0EEEvT1_, .Lfunc_end234-_ZN7rocprim17ROCPRIM_400000_NS6detail17trampoline_kernelINS0_14default_configENS1_27scan_by_key_config_selectorIiiEEZZNS1_16scan_by_key_implILNS1_25lookback_scan_determinismE0ELb0ES3_N6thrust23THRUST_200600_302600_NS6detail15normal_iteratorINS9_10device_ptrIiEEEESE_SE_iNS9_4plusIvEENS9_8equal_toIiEEiEE10hipError_tPvRmT2_T3_T4_T5_mT6_T7_P12ihipStream_tbENKUlT_T0_E_clISt17integral_constantIbLb0EESY_IbLb1EEEEDaSU_SV_EUlSU_E_NS1_11comp_targetILNS1_3genE9ELNS1_11target_archE1100ELNS1_3gpuE3ELNS1_3repE0EEENS1_30default_config_static_selectorELNS0_4arch9wavefront6targetE0EEEvT1_
                                        ; -- End function
	.set _ZN7rocprim17ROCPRIM_400000_NS6detail17trampoline_kernelINS0_14default_configENS1_27scan_by_key_config_selectorIiiEEZZNS1_16scan_by_key_implILNS1_25lookback_scan_determinismE0ELb0ES3_N6thrust23THRUST_200600_302600_NS6detail15normal_iteratorINS9_10device_ptrIiEEEESE_SE_iNS9_4plusIvEENS9_8equal_toIiEEiEE10hipError_tPvRmT2_T3_T4_T5_mT6_T7_P12ihipStream_tbENKUlT_T0_E_clISt17integral_constantIbLb0EESY_IbLb1EEEEDaSU_SV_EUlSU_E_NS1_11comp_targetILNS1_3genE9ELNS1_11target_archE1100ELNS1_3gpuE3ELNS1_3repE0EEENS1_30default_config_static_selectorELNS0_4arch9wavefront6targetE0EEEvT1_.num_vgpr, 0
	.set _ZN7rocprim17ROCPRIM_400000_NS6detail17trampoline_kernelINS0_14default_configENS1_27scan_by_key_config_selectorIiiEEZZNS1_16scan_by_key_implILNS1_25lookback_scan_determinismE0ELb0ES3_N6thrust23THRUST_200600_302600_NS6detail15normal_iteratorINS9_10device_ptrIiEEEESE_SE_iNS9_4plusIvEENS9_8equal_toIiEEiEE10hipError_tPvRmT2_T3_T4_T5_mT6_T7_P12ihipStream_tbENKUlT_T0_E_clISt17integral_constantIbLb0EESY_IbLb1EEEEDaSU_SV_EUlSU_E_NS1_11comp_targetILNS1_3genE9ELNS1_11target_archE1100ELNS1_3gpuE3ELNS1_3repE0EEENS1_30default_config_static_selectorELNS0_4arch9wavefront6targetE0EEEvT1_.num_agpr, 0
	.set _ZN7rocprim17ROCPRIM_400000_NS6detail17trampoline_kernelINS0_14default_configENS1_27scan_by_key_config_selectorIiiEEZZNS1_16scan_by_key_implILNS1_25lookback_scan_determinismE0ELb0ES3_N6thrust23THRUST_200600_302600_NS6detail15normal_iteratorINS9_10device_ptrIiEEEESE_SE_iNS9_4plusIvEENS9_8equal_toIiEEiEE10hipError_tPvRmT2_T3_T4_T5_mT6_T7_P12ihipStream_tbENKUlT_T0_E_clISt17integral_constantIbLb0EESY_IbLb1EEEEDaSU_SV_EUlSU_E_NS1_11comp_targetILNS1_3genE9ELNS1_11target_archE1100ELNS1_3gpuE3ELNS1_3repE0EEENS1_30default_config_static_selectorELNS0_4arch9wavefront6targetE0EEEvT1_.numbered_sgpr, 0
	.set _ZN7rocprim17ROCPRIM_400000_NS6detail17trampoline_kernelINS0_14default_configENS1_27scan_by_key_config_selectorIiiEEZZNS1_16scan_by_key_implILNS1_25lookback_scan_determinismE0ELb0ES3_N6thrust23THRUST_200600_302600_NS6detail15normal_iteratorINS9_10device_ptrIiEEEESE_SE_iNS9_4plusIvEENS9_8equal_toIiEEiEE10hipError_tPvRmT2_T3_T4_T5_mT6_T7_P12ihipStream_tbENKUlT_T0_E_clISt17integral_constantIbLb0EESY_IbLb1EEEEDaSU_SV_EUlSU_E_NS1_11comp_targetILNS1_3genE9ELNS1_11target_archE1100ELNS1_3gpuE3ELNS1_3repE0EEENS1_30default_config_static_selectorELNS0_4arch9wavefront6targetE0EEEvT1_.num_named_barrier, 0
	.set _ZN7rocprim17ROCPRIM_400000_NS6detail17trampoline_kernelINS0_14default_configENS1_27scan_by_key_config_selectorIiiEEZZNS1_16scan_by_key_implILNS1_25lookback_scan_determinismE0ELb0ES3_N6thrust23THRUST_200600_302600_NS6detail15normal_iteratorINS9_10device_ptrIiEEEESE_SE_iNS9_4plusIvEENS9_8equal_toIiEEiEE10hipError_tPvRmT2_T3_T4_T5_mT6_T7_P12ihipStream_tbENKUlT_T0_E_clISt17integral_constantIbLb0EESY_IbLb1EEEEDaSU_SV_EUlSU_E_NS1_11comp_targetILNS1_3genE9ELNS1_11target_archE1100ELNS1_3gpuE3ELNS1_3repE0EEENS1_30default_config_static_selectorELNS0_4arch9wavefront6targetE0EEEvT1_.private_seg_size, 0
	.set _ZN7rocprim17ROCPRIM_400000_NS6detail17trampoline_kernelINS0_14default_configENS1_27scan_by_key_config_selectorIiiEEZZNS1_16scan_by_key_implILNS1_25lookback_scan_determinismE0ELb0ES3_N6thrust23THRUST_200600_302600_NS6detail15normal_iteratorINS9_10device_ptrIiEEEESE_SE_iNS9_4plusIvEENS9_8equal_toIiEEiEE10hipError_tPvRmT2_T3_T4_T5_mT6_T7_P12ihipStream_tbENKUlT_T0_E_clISt17integral_constantIbLb0EESY_IbLb1EEEEDaSU_SV_EUlSU_E_NS1_11comp_targetILNS1_3genE9ELNS1_11target_archE1100ELNS1_3gpuE3ELNS1_3repE0EEENS1_30default_config_static_selectorELNS0_4arch9wavefront6targetE0EEEvT1_.uses_vcc, 0
	.set _ZN7rocprim17ROCPRIM_400000_NS6detail17trampoline_kernelINS0_14default_configENS1_27scan_by_key_config_selectorIiiEEZZNS1_16scan_by_key_implILNS1_25lookback_scan_determinismE0ELb0ES3_N6thrust23THRUST_200600_302600_NS6detail15normal_iteratorINS9_10device_ptrIiEEEESE_SE_iNS9_4plusIvEENS9_8equal_toIiEEiEE10hipError_tPvRmT2_T3_T4_T5_mT6_T7_P12ihipStream_tbENKUlT_T0_E_clISt17integral_constantIbLb0EESY_IbLb1EEEEDaSU_SV_EUlSU_E_NS1_11comp_targetILNS1_3genE9ELNS1_11target_archE1100ELNS1_3gpuE3ELNS1_3repE0EEENS1_30default_config_static_selectorELNS0_4arch9wavefront6targetE0EEEvT1_.uses_flat_scratch, 0
	.set _ZN7rocprim17ROCPRIM_400000_NS6detail17trampoline_kernelINS0_14default_configENS1_27scan_by_key_config_selectorIiiEEZZNS1_16scan_by_key_implILNS1_25lookback_scan_determinismE0ELb0ES3_N6thrust23THRUST_200600_302600_NS6detail15normal_iteratorINS9_10device_ptrIiEEEESE_SE_iNS9_4plusIvEENS9_8equal_toIiEEiEE10hipError_tPvRmT2_T3_T4_T5_mT6_T7_P12ihipStream_tbENKUlT_T0_E_clISt17integral_constantIbLb0EESY_IbLb1EEEEDaSU_SV_EUlSU_E_NS1_11comp_targetILNS1_3genE9ELNS1_11target_archE1100ELNS1_3gpuE3ELNS1_3repE0EEENS1_30default_config_static_selectorELNS0_4arch9wavefront6targetE0EEEvT1_.has_dyn_sized_stack, 0
	.set _ZN7rocprim17ROCPRIM_400000_NS6detail17trampoline_kernelINS0_14default_configENS1_27scan_by_key_config_selectorIiiEEZZNS1_16scan_by_key_implILNS1_25lookback_scan_determinismE0ELb0ES3_N6thrust23THRUST_200600_302600_NS6detail15normal_iteratorINS9_10device_ptrIiEEEESE_SE_iNS9_4plusIvEENS9_8equal_toIiEEiEE10hipError_tPvRmT2_T3_T4_T5_mT6_T7_P12ihipStream_tbENKUlT_T0_E_clISt17integral_constantIbLb0EESY_IbLb1EEEEDaSU_SV_EUlSU_E_NS1_11comp_targetILNS1_3genE9ELNS1_11target_archE1100ELNS1_3gpuE3ELNS1_3repE0EEENS1_30default_config_static_selectorELNS0_4arch9wavefront6targetE0EEEvT1_.has_recursion, 0
	.set _ZN7rocprim17ROCPRIM_400000_NS6detail17trampoline_kernelINS0_14default_configENS1_27scan_by_key_config_selectorIiiEEZZNS1_16scan_by_key_implILNS1_25lookback_scan_determinismE0ELb0ES3_N6thrust23THRUST_200600_302600_NS6detail15normal_iteratorINS9_10device_ptrIiEEEESE_SE_iNS9_4plusIvEENS9_8equal_toIiEEiEE10hipError_tPvRmT2_T3_T4_T5_mT6_T7_P12ihipStream_tbENKUlT_T0_E_clISt17integral_constantIbLb0EESY_IbLb1EEEEDaSU_SV_EUlSU_E_NS1_11comp_targetILNS1_3genE9ELNS1_11target_archE1100ELNS1_3gpuE3ELNS1_3repE0EEENS1_30default_config_static_selectorELNS0_4arch9wavefront6targetE0EEEvT1_.has_indirect_call, 0
	.section	.AMDGPU.csdata,"",@progbits
; Kernel info:
; codeLenInByte = 0
; TotalNumSgprs: 0
; NumVgprs: 0
; ScratchSize: 0
; MemoryBound: 0
; FloatMode: 240
; IeeeMode: 1
; LDSByteSize: 0 bytes/workgroup (compile time only)
; SGPRBlocks: 0
; VGPRBlocks: 0
; NumSGPRsForWavesPerEU: 1
; NumVGPRsForWavesPerEU: 1
; Occupancy: 16
; WaveLimiterHint : 0
; COMPUTE_PGM_RSRC2:SCRATCH_EN: 0
; COMPUTE_PGM_RSRC2:USER_SGPR: 6
; COMPUTE_PGM_RSRC2:TRAP_HANDLER: 0
; COMPUTE_PGM_RSRC2:TGID_X_EN: 1
; COMPUTE_PGM_RSRC2:TGID_Y_EN: 0
; COMPUTE_PGM_RSRC2:TGID_Z_EN: 0
; COMPUTE_PGM_RSRC2:TIDIG_COMP_CNT: 0
	.section	.text._ZN7rocprim17ROCPRIM_400000_NS6detail17trampoline_kernelINS0_14default_configENS1_27scan_by_key_config_selectorIiiEEZZNS1_16scan_by_key_implILNS1_25lookback_scan_determinismE0ELb0ES3_N6thrust23THRUST_200600_302600_NS6detail15normal_iteratorINS9_10device_ptrIiEEEESE_SE_iNS9_4plusIvEENS9_8equal_toIiEEiEE10hipError_tPvRmT2_T3_T4_T5_mT6_T7_P12ihipStream_tbENKUlT_T0_E_clISt17integral_constantIbLb0EESY_IbLb1EEEEDaSU_SV_EUlSU_E_NS1_11comp_targetILNS1_3genE8ELNS1_11target_archE1030ELNS1_3gpuE2ELNS1_3repE0EEENS1_30default_config_static_selectorELNS0_4arch9wavefront6targetE0EEEvT1_,"axG",@progbits,_ZN7rocprim17ROCPRIM_400000_NS6detail17trampoline_kernelINS0_14default_configENS1_27scan_by_key_config_selectorIiiEEZZNS1_16scan_by_key_implILNS1_25lookback_scan_determinismE0ELb0ES3_N6thrust23THRUST_200600_302600_NS6detail15normal_iteratorINS9_10device_ptrIiEEEESE_SE_iNS9_4plusIvEENS9_8equal_toIiEEiEE10hipError_tPvRmT2_T3_T4_T5_mT6_T7_P12ihipStream_tbENKUlT_T0_E_clISt17integral_constantIbLb0EESY_IbLb1EEEEDaSU_SV_EUlSU_E_NS1_11comp_targetILNS1_3genE8ELNS1_11target_archE1030ELNS1_3gpuE2ELNS1_3repE0EEENS1_30default_config_static_selectorELNS0_4arch9wavefront6targetE0EEEvT1_,comdat
	.protected	_ZN7rocprim17ROCPRIM_400000_NS6detail17trampoline_kernelINS0_14default_configENS1_27scan_by_key_config_selectorIiiEEZZNS1_16scan_by_key_implILNS1_25lookback_scan_determinismE0ELb0ES3_N6thrust23THRUST_200600_302600_NS6detail15normal_iteratorINS9_10device_ptrIiEEEESE_SE_iNS9_4plusIvEENS9_8equal_toIiEEiEE10hipError_tPvRmT2_T3_T4_T5_mT6_T7_P12ihipStream_tbENKUlT_T0_E_clISt17integral_constantIbLb0EESY_IbLb1EEEEDaSU_SV_EUlSU_E_NS1_11comp_targetILNS1_3genE8ELNS1_11target_archE1030ELNS1_3gpuE2ELNS1_3repE0EEENS1_30default_config_static_selectorELNS0_4arch9wavefront6targetE0EEEvT1_ ; -- Begin function _ZN7rocprim17ROCPRIM_400000_NS6detail17trampoline_kernelINS0_14default_configENS1_27scan_by_key_config_selectorIiiEEZZNS1_16scan_by_key_implILNS1_25lookback_scan_determinismE0ELb0ES3_N6thrust23THRUST_200600_302600_NS6detail15normal_iteratorINS9_10device_ptrIiEEEESE_SE_iNS9_4plusIvEENS9_8equal_toIiEEiEE10hipError_tPvRmT2_T3_T4_T5_mT6_T7_P12ihipStream_tbENKUlT_T0_E_clISt17integral_constantIbLb0EESY_IbLb1EEEEDaSU_SV_EUlSU_E_NS1_11comp_targetILNS1_3genE8ELNS1_11target_archE1030ELNS1_3gpuE2ELNS1_3repE0EEENS1_30default_config_static_selectorELNS0_4arch9wavefront6targetE0EEEvT1_
	.globl	_ZN7rocprim17ROCPRIM_400000_NS6detail17trampoline_kernelINS0_14default_configENS1_27scan_by_key_config_selectorIiiEEZZNS1_16scan_by_key_implILNS1_25lookback_scan_determinismE0ELb0ES3_N6thrust23THRUST_200600_302600_NS6detail15normal_iteratorINS9_10device_ptrIiEEEESE_SE_iNS9_4plusIvEENS9_8equal_toIiEEiEE10hipError_tPvRmT2_T3_T4_T5_mT6_T7_P12ihipStream_tbENKUlT_T0_E_clISt17integral_constantIbLb0EESY_IbLb1EEEEDaSU_SV_EUlSU_E_NS1_11comp_targetILNS1_3genE8ELNS1_11target_archE1030ELNS1_3gpuE2ELNS1_3repE0EEENS1_30default_config_static_selectorELNS0_4arch9wavefront6targetE0EEEvT1_
	.p2align	8
	.type	_ZN7rocprim17ROCPRIM_400000_NS6detail17trampoline_kernelINS0_14default_configENS1_27scan_by_key_config_selectorIiiEEZZNS1_16scan_by_key_implILNS1_25lookback_scan_determinismE0ELb0ES3_N6thrust23THRUST_200600_302600_NS6detail15normal_iteratorINS9_10device_ptrIiEEEESE_SE_iNS9_4plusIvEENS9_8equal_toIiEEiEE10hipError_tPvRmT2_T3_T4_T5_mT6_T7_P12ihipStream_tbENKUlT_T0_E_clISt17integral_constantIbLb0EESY_IbLb1EEEEDaSU_SV_EUlSU_E_NS1_11comp_targetILNS1_3genE8ELNS1_11target_archE1030ELNS1_3gpuE2ELNS1_3repE0EEENS1_30default_config_static_selectorELNS0_4arch9wavefront6targetE0EEEvT1_,@function
_ZN7rocprim17ROCPRIM_400000_NS6detail17trampoline_kernelINS0_14default_configENS1_27scan_by_key_config_selectorIiiEEZZNS1_16scan_by_key_implILNS1_25lookback_scan_determinismE0ELb0ES3_N6thrust23THRUST_200600_302600_NS6detail15normal_iteratorINS9_10device_ptrIiEEEESE_SE_iNS9_4plusIvEENS9_8equal_toIiEEiEE10hipError_tPvRmT2_T3_T4_T5_mT6_T7_P12ihipStream_tbENKUlT_T0_E_clISt17integral_constantIbLb0EESY_IbLb1EEEEDaSU_SV_EUlSU_E_NS1_11comp_targetILNS1_3genE8ELNS1_11target_archE1030ELNS1_3gpuE2ELNS1_3repE0EEENS1_30default_config_static_selectorELNS0_4arch9wavefront6targetE0EEEvT1_: ; @_ZN7rocprim17ROCPRIM_400000_NS6detail17trampoline_kernelINS0_14default_configENS1_27scan_by_key_config_selectorIiiEEZZNS1_16scan_by_key_implILNS1_25lookback_scan_determinismE0ELb0ES3_N6thrust23THRUST_200600_302600_NS6detail15normal_iteratorINS9_10device_ptrIiEEEESE_SE_iNS9_4plusIvEENS9_8equal_toIiEEiEE10hipError_tPvRmT2_T3_T4_T5_mT6_T7_P12ihipStream_tbENKUlT_T0_E_clISt17integral_constantIbLb0EESY_IbLb1EEEEDaSU_SV_EUlSU_E_NS1_11comp_targetILNS1_3genE8ELNS1_11target_archE1030ELNS1_3gpuE2ELNS1_3repE0EEENS1_30default_config_static_selectorELNS0_4arch9wavefront6targetE0EEEvT1_
; %bb.0:
	s_clause 0x1
	s_load_dwordx4 s[24:27], s[4:5], 0x28
	s_load_dwordx2 s[28:29], s[4:5], 0x38
	v_cmp_ne_u32_e64 s1, 0, v0
	v_cmp_eq_u32_e64 s0, 0, v0
	s_and_saveexec_b32 s2, s0
	s_cbranch_execz .LBB235_4
; %bb.1:
	s_mov_b32 s6, exec_lo
	s_mov_b32 s3, exec_lo
	v_mbcnt_lo_u32_b32 v1, s6, 0
                                        ; implicit-def: $vgpr2
	v_cmpx_eq_u32_e32 0, v1
	s_cbranch_execz .LBB235_3
; %bb.2:
	s_load_dwordx2 s[8:9], s[4:5], 0x68
	s_bcnt1_i32_b32 s6, s6
	v_mov_b32_e32 v2, 0
	v_mov_b32_e32 v3, s6
	s_waitcnt lgkmcnt(0)
	global_atomic_add v2, v2, v3, s[8:9] glc
.LBB235_3:
	s_or_b32 exec_lo, exec_lo, s3
	s_waitcnt vmcnt(0)
	v_readfirstlane_b32 s3, v2
	v_mov_b32_e32 v2, 0
	v_add_nc_u32_e32 v1, s3, v1
	ds_write_b32 v2, v1
.LBB235_4:
	s_or_b32 exec_lo, exec_lo, s2
	v_mov_b32_e32 v1, 0
	s_clause 0x2
	s_load_dwordx8 s[8:15], s[4:5], 0x0
	s_load_dword s30, s[4:5], 0x40
	s_load_dwordx8 s[16:23], s[4:5], 0x48
	s_waitcnt lgkmcnt(0)
	s_barrier
	buffer_gl0_inv
	ds_read_b32 v1, v1
	s_waitcnt lgkmcnt(0)
	s_barrier
	buffer_gl0_inv
	s_barrier
	buffer_gl0_inv
	s_lshl_b64 s[6:7], s[10:11], 2
	s_mul_i32 s2, s29, s30
	s_add_u32 s4, s8, s6
	s_addc_u32 s5, s9, s7
	s_mul_hi_u32 s3, s28, s30
	s_add_u32 s12, s12, s6
	v_readfirstlane_b32 s27, v1
	s_addc_u32 s13, s13, s7
	s_add_i32 s33, s3, s2
	s_cmp_lg_u64 s[20:21], 0
	s_mov_b32 s3, 0
	s_mul_i32 s2, s27, 0x300
	s_cselect_b32 s31, -1, 0
	s_lshl_b64 s[8:9], s[2:3], 2
	s_mul_i32 s2, s28, s30
	s_add_u32 s10, s4, s8
	s_addc_u32 s11, s5, s9
	s_add_u32 s5, s12, s8
	s_addc_u32 s30, s13, s9
	;; [unrolled: 2-line block ×3, first 2 shown]
	s_add_u32 s16, s16, -1
	s_addc_u32 s17, s17, -1
	s_mul_i32 s21, s16, 0xfffffd00
	v_cmp_ge_u64_e64 s20, s[12:13], s[16:17]
	s_and_b32 vcc_lo, exec_lo, s20
	s_cbranch_vccz .LBB235_26
; %bb.5:
	v_mov_b32_e32 v1, s10
	v_mov_b32_e32 v2, s11
	s_add_i32 s33, s21, s26
	v_cmp_gt_u32_e64 s2, s33, v0
	flat_load_dword v2, v[1:2]
	s_waitcnt vmcnt(0) lgkmcnt(0)
	v_mov_b32_e32 v3, v2
	s_and_saveexec_b32 s3, s2
	s_cbranch_execz .LBB235_7
; %bb.6:
	v_lshlrev_b32_e32 v1, 2, v0
	v_add_co_u32 v3, s4, s10, v1
	v_add_co_ci_u32_e64 v4, null, s11, 0, s4
	flat_load_dword v3, v[3:4]
.LBB235_7:
	s_or_b32 exec_lo, exec_lo, s3
	v_or_b32_e32 v1, 0x100, v0
	v_mov_b32_e32 v4, v2
	v_cmp_gt_u32_e64 s3, s33, v1
	s_and_saveexec_b32 s4, s3
	s_cbranch_execz .LBB235_9
; %bb.8:
	v_lshlrev_b32_e32 v1, 2, v0
	v_add_co_u32 v4, s16, s10, v1
	v_add_co_ci_u32_e64 v5, null, s11, 0, s16
	flat_load_dword v4, v[4:5] offset:1024
.LBB235_9:
	s_or_b32 exec_lo, exec_lo, s4
	v_or_b32_e32 v1, 0x200, v0
	v_cmp_gt_u32_e64 s4, s33, v1
	v_lshlrev_b32_e32 v8, 2, v1
	s_and_saveexec_b32 s16, s4
	s_cbranch_execz .LBB235_11
; %bb.10:
	v_add_co_u32 v1, s17, s10, v8
	v_add_co_ci_u32_e64 v2, null, s11, 0, s17
	flat_load_dword v2, v[1:2]
.LBB235_11:
	s_or_b32 exec_lo, exec_lo, s16
	v_lshlrev_b32_e32 v9, 2, v0
	v_lshlrev_b32_e32 v1, 3, v0
	s_cmp_eq_u64 s[12:13], 0
	s_mov_b64 s[16:17], s[10:11]
	s_waitcnt vmcnt(0) lgkmcnt(0)
	ds_write2st64_b32 v9, v3, v4 offset1:4
	v_add_nc_u32_e32 v7, v9, v1
	ds_write_b32 v9, v2 offset:2048
	s_waitcnt lgkmcnt(0)
	s_barrier
	buffer_gl0_inv
	ds_read2_b32 v[4:5], v7 offset1:1
	ds_read_b32 v6, v7 offset:8
	s_cbranch_scc1 .LBB235_15
; %bb.12:
	s_andn2_b32 vcc_lo, exec_lo, s31
	s_cbranch_vccnz .LBB235_105
; %bb.13:
	s_lshl_b64 s[16:17], s[12:13], 2
	s_add_u32 s16, s22, s16
	s_addc_u32 s17, s23, s17
	s_add_u32 s16, s16, -4
	s_addc_u32 s17, s17, -1
	s_cbranch_execnz .LBB235_15
.LBB235_14:
	s_add_u32 s16, s10, -4
	s_addc_u32 s17, s11, -1
.LBB235_15:
	v_mov_b32_e32 v2, s16
	v_mov_b32_e32 v3, s17
	flat_load_dword v13, v[2:3]
	v_sub_nc_u32_e32 v2, v7, v1
	s_waitcnt lgkmcnt(1)
	ds_write_b32 v2, v6 offset:3072
	s_waitcnt vmcnt(0) lgkmcnt(0)
	s_barrier
	buffer_gl0_inv
	s_and_saveexec_b32 s16, s1
; %bb.16:
	v_sub_nc_u32_e32 v1, 0, v1
	v_add_nc_u32_e32 v1, v7, v1
	ds_read_b32 v13, v1 offset:3068
; %bb.17:
	s_or_b32 exec_lo, exec_lo, s16
	v_mov_b32_e32 v1, 0
	s_waitcnt lgkmcnt(0)
	s_barrier
	buffer_gl0_inv
	v_mov_b32_e32 v2, v1
	v_mov_b32_e32 v3, v1
	s_and_saveexec_b32 s16, s2
	s_cbranch_execnz .LBB235_103
; %bb.18:
	s_or_b32 exec_lo, exec_lo, s16
	s_and_saveexec_b32 s2, s3
	s_cbranch_execnz .LBB235_104
.LBB235_19:
	s_or_b32 exec_lo, exec_lo, s2
	s_and_saveexec_b32 s2, s4
	s_cbranch_execz .LBB235_21
.LBB235_20:
	v_add_co_u32 v10, s3, s5, v8
	v_add_co_ci_u32_e64 v11, null, s30, 0, s3
	flat_load_dword v3, v[10:11]
.LBB235_21:
	s_or_b32 exec_lo, exec_lo, s2
	s_waitcnt vmcnt(0) lgkmcnt(0)
	ds_write2st64_b32 v9, v1, v2 offset1:4
	ds_write_b32 v9, v3 offset:2048
	v_mov_b32_e32 v9, 0
	v_mov_b32_e32 v11, 0
	v_mul_u32_u24_e32 v8, 3, v0
	v_mov_b32_e32 v10, 0
	v_mov_b32_e32 v12, 0
	s_mov_b32 s16, 0
	s_mov_b32 s3, 0
	s_mov_b32 s17, exec_lo
	s_waitcnt lgkmcnt(0)
	s_barrier
	buffer_gl0_inv
                                        ; implicit-def: $sgpr4
                                        ; implicit-def: $vgpr2
	v_cmpx_gt_u32_e64 s33, v8
	s_cbranch_execz .LBB235_25
; %bb.22:
	ds_read_b32 v9, v7
	v_cmp_ne_u32_e32 vcc_lo, v13, v4
	v_mov_b32_e32 v11, 0
	v_add_nc_u32_e32 v1, 1, v8
	v_mov_b32_e32 v12, 0
	s_mov_b32 s2, 0
	v_cndmask_b32_e64 v10, 0, 1, vcc_lo
	s_mov_b32 s3, exec_lo
                                        ; implicit-def: $sgpr4
                                        ; implicit-def: $vgpr2
	v_cmpx_gt_u32_e64 s33, v1
	s_xor_b32 s3, exec_lo, s3
	s_cbranch_execz .LBB235_24
; %bb.23:
	ds_read2_b32 v[1:2], v7 offset0:1 offset1:2
	v_add_nc_u32_e32 v3, 2, v8
	v_cmp_ne_u32_e64 s2, v4, v5
	v_cmp_ne_u32_e64 s4, v5, v6
	v_cmp_gt_u32_e32 vcc_lo, s33, v3
	v_cndmask_b32_e64 v12, 0, 1, s2
	s_and_b32 s2, vcc_lo, exec_lo
	s_waitcnt lgkmcnt(0)
	v_mov_b32_e32 v11, v1
.LBB235_24:
	s_or_b32 exec_lo, exec_lo, s3
	s_and_b32 s3, s2, exec_lo
.LBB235_25:
	s_or_b32 exec_lo, exec_lo, s17
	v_lshlrev_b32_e32 v18, 2, v0
	v_lshlrev_b32_e32 v19, 3, v0
	s_and_b32 vcc_lo, exec_lo, s16
	s_cbranch_vccnz .LBB235_27
	s_branch .LBB235_35
.LBB235_26:
                                        ; implicit-def: $sgpr4
                                        ; implicit-def: $vgpr2
                                        ; implicit-def: $vgpr9_vgpr10
                                        ; implicit-def: $vgpr11_vgpr12
	v_lshlrev_b32_e32 v18, 2, v0
	v_lshlrev_b32_e32 v19, 3, v0
	s_cbranch_execz .LBB235_35
.LBB235_27:
	v_add_co_u32 v1, s2, s10, v18
	v_add_co_ci_u32_e64 v2, null, s11, 0, s2
	s_cmp_eq_u64 s[12:13], 0
	v_add_co_u32 v3, vcc_lo, 0x800, v1
	v_add_co_ci_u32_e64 v4, null, 0, v2, vcc_lo
	s_clause 0x2
	flat_load_dword v5, v[1:2]
	flat_load_dword v2, v[1:2] offset:1024
	flat_load_dword v3, v[3:4]
	v_add_nc_u32_e32 v1, v18, v19
	s_waitcnt vmcnt(1) lgkmcnt(1)
	ds_write2st64_b32 v18, v5, v2 offset1:4
	s_waitcnt vmcnt(0) lgkmcnt(1)
	ds_write_b32 v18, v3 offset:2048
	s_waitcnt lgkmcnt(0)
	s_barrier
	buffer_gl0_inv
	ds_read2_b32 v[3:4], v1 offset1:1
	ds_read_b32 v5, v1 offset:8
	s_cbranch_scc1 .LBB235_32
; %bb.28:
	s_andn2_b32 vcc_lo, exec_lo, s31
	s_cbranch_vccnz .LBB235_106
; %bb.29:
	s_lshl_b64 s[2:3], s[12:13], 2
	s_add_u32 s2, s22, s2
	s_addc_u32 s3, s23, s3
	s_add_u32 s2, s2, -4
	s_addc_u32 s3, s3, -1
	s_cbranch_execnz .LBB235_31
.LBB235_30:
	s_add_u32 s2, s10, -4
	s_addc_u32 s3, s11, -1
.LBB235_31:
	s_mov_b64 s[10:11], s[2:3]
.LBB235_32:
	v_mov_b32_e32 v6, s10
	v_mov_b32_e32 v7, s11
	v_sub_nc_u32_e32 v2, v1, v19
	flat_load_dword v6, v[6:7]
	s_waitcnt lgkmcnt(1)
	ds_write_b32 v2, v5 offset:3072
	s_waitcnt vmcnt(0) lgkmcnt(0)
	s_barrier
	buffer_gl0_inv
	s_and_saveexec_b32 s2, s1
; %bb.33:
	v_sub_nc_u32_e32 v2, 0, v19
	v_add_nc_u32_e32 v2, v1, v2
	ds_read_b32 v6, v2 offset:3068
; %bb.34:
	s_or_b32 exec_lo, exec_lo, s2
	v_add_co_u32 v7, s2, s5, v18
	v_add_co_ci_u32_e64 v8, null, s30, 0, s2
	s_waitcnt lgkmcnt(0)
	v_add_co_u32 v9, vcc_lo, 0x800, v7
	v_add_co_ci_u32_e64 v10, null, 0, v8, vcc_lo
	s_barrier
	buffer_gl0_inv
	s_clause 0x2
	flat_load_dword v2, v[7:8]
	flat_load_dword v7, v[7:8] offset:1024
	flat_load_dword v8, v[9:10]
	v_cmp_ne_u32_e32 vcc_lo, v6, v3
	v_cmp_ne_u32_e64 s4, v4, v5
	s_mov_b32 s3, -1
	s_waitcnt vmcnt(1) lgkmcnt(1)
	ds_write2st64_b32 v18, v2, v7 offset1:4
	s_waitcnt vmcnt(0) lgkmcnt(1)
	ds_write_b32 v18, v8 offset:2048
	s_waitcnt lgkmcnt(0)
	s_barrier
	buffer_gl0_inv
	ds_read2_b32 v[7:8], v1 offset1:1
	ds_read_b32 v2, v1 offset:8
	v_cndmask_b32_e64 v10, 0, 1, vcc_lo
	v_cmp_ne_u32_e32 vcc_lo, v3, v4
	v_cndmask_b32_e64 v12, 0, 1, vcc_lo
	s_waitcnt lgkmcnt(1)
	v_mov_b32_e32 v9, v7
	v_mov_b32_e32 v11, v8
.LBB235_35:
	v_mov_b32_e32 v13, 0
	v_mov_b32_e32 v14, 0
	s_and_saveexec_b32 s2, s3
	s_cbranch_execz .LBB235_37
; %bb.36:
	v_cndmask_b32_e64 v14, 0, 1, s4
	s_waitcnt lgkmcnt(0)
	v_mov_b32_e32 v13, v2
.LBB235_37:
	s_or_b32 exec_lo, exec_lo, s2
	v_or_b32_e32 v23, v12, v14
	v_mbcnt_lo_u32_b32 v20, -1, 0
	v_lshrrev_b32_e32 v21, 5, v0
	v_or_b32_e32 v22, 31, v0
	s_cmp_lg_u32 s27, 0
	s_mov_b32 s4, 0
	s_waitcnt lgkmcnt(0)
	s_barrier
	buffer_gl0_inv
	s_cbranch_scc0 .LBB235_63
; %bb.38:
	v_and_b32_e32 v2, 0xff, v23
	v_mov_b32_e32 v1, 0
	s_mov_b32 s5, 1
	v_and_b32_e32 v8, 15, v20
	v_cmp_gt_u64_e64 s2, s[4:5], v[11:12]
	v_cmp_gt_u64_e64 s3, s[4:5], v[13:14]
	v_cmp_eq_u64_e32 vcc_lo, 0, v[1:2]
	v_cndmask_b32_e64 v3, 0, v9, s2
	v_cndmask_b32_e32 v2, 1, v10, vcc_lo
	v_add_nc_u32_e32 v3, v3, v11
	v_and_b32_e32 v4, 0xff, v2
	v_and_b32_e32 v6, 1, v2
	v_cndmask_b32_e64 v3, 0, v3, s3
	v_mov_b32_dpp v5, v4 row_shr:1 row_mask:0xf bank_mask:0xf
	v_cmp_eq_u32_e32 vcc_lo, 1, v6
	v_add_nc_u32_e32 v3, v3, v13
	v_and_b32_e32 v5, 1, v5
	v_mov_b32_dpp v7, v3 row_shr:1 row_mask:0xf bank_mask:0xf
	v_cndmask_b32_e64 v5, v5, 1, vcc_lo
	v_cmp_eq_u16_e32 vcc_lo, 0, v4
	v_cndmask_b32_e32 v6, 0, v7, vcc_lo
	v_cmp_eq_u32_e32 vcc_lo, 0, v8
	v_cndmask_b32_e32 v4, v5, v4, vcc_lo
	v_cndmask_b32_e32 v2, v5, v2, vcc_lo
	v_cndmask_b32_e64 v6, v6, 0, vcc_lo
	v_mov_b32_dpp v5, v4 row_shr:2 row_mask:0xf bank_mask:0xf
	v_and_b32_e32 v7, 1, v2
	v_add_nc_u32_e32 v3, v6, v3
	v_cmp_eq_u16_sdwa s4, v2, v1 src0_sel:BYTE_0 src1_sel:DWORD
	v_and_b32_e32 v5, 1, v5
	v_cmp_eq_u32_e32 vcc_lo, 1, v7
	v_cndmask_b32_e64 v5, v5, 1, vcc_lo
	v_cmp_lt_u32_e32 vcc_lo, 1, v8
	v_cndmask_b32_e32 v7, v2, v5, vcc_lo
	v_cndmask_b32_e32 v4, v4, v5, vcc_lo
	v_mov_b32_dpp v2, v3 row_shr:2 row_mask:0xf bank_mask:0xf
	s_and_b32 vcc_lo, vcc_lo, s4
	v_and_b32_e32 v6, 1, v7
	v_mov_b32_dpp v5, v4 row_shr:4 row_mask:0xf bank_mask:0xf
	v_cndmask_b32_e32 v2, 0, v2, vcc_lo
	v_cmp_eq_u16_sdwa s4, v7, v1 src0_sel:BYTE_0 src1_sel:DWORD
	v_cmp_eq_u32_e32 vcc_lo, 1, v6
	v_and_b32_e32 v5, 1, v5
	v_add_nc_u32_e32 v2, v2, v3
	v_cndmask_b32_e64 v5, v5, 1, vcc_lo
	v_cmp_lt_u32_e32 vcc_lo, 3, v8
	v_cndmask_b32_e32 v3, v7, v5, vcc_lo
	v_cndmask_b32_e32 v4, v4, v5, vcc_lo
	v_mov_b32_dpp v5, v2 row_shr:4 row_mask:0xf bank_mask:0xf
	s_and_b32 vcc_lo, vcc_lo, s4
	v_and_b32_e32 v7, 1, v3
	v_mov_b32_dpp v6, v4 row_shr:8 row_mask:0xf bank_mask:0xf
	v_cndmask_b32_e32 v5, 0, v5, vcc_lo
	v_cmp_eq_u16_sdwa s4, v3, v1 src0_sel:BYTE_0 src1_sel:DWORD
	v_cmp_eq_u32_e32 vcc_lo, 1, v7
	v_and_b32_e32 v6, 1, v6
	v_add_nc_u32_e32 v2, v5, v2
	v_bfe_i32 v7, v20, 4, 1
	v_cndmask_b32_e64 v5, v6, 1, vcc_lo
	v_cmp_lt_u32_e32 vcc_lo, 7, v8
	v_mov_b32_dpp v6, v2 row_shr:8 row_mask:0xf bank_mask:0xf
	s_and_b32 s4, vcc_lo, s4
	v_cndmask_b32_e32 v4, v4, v5, vcc_lo
	v_cndmask_b32_e64 v6, 0, v6, s4
	v_cndmask_b32_e32 v3, v3, v5, vcc_lo
	ds_swizzle_b32 v5, v4 offset:swizzle(BROADCAST,32,15)
	v_add_nc_u32_e32 v2, v6, v2
	v_and_b32_e32 v8, 1, v3
	v_cmp_eq_u16_sdwa vcc_lo, v3, v1 src0_sel:BYTE_0 src1_sel:DWORD
	v_and_b32_e32 v3, 16, v20
	ds_swizzle_b32 v6, v2 offset:swizzle(BROADCAST,32,15)
	v_cmp_eq_u32_e64 s4, 0, v3
	s_waitcnt lgkmcnt(1)
	v_and_b32_e32 v5, 1, v5
	s_waitcnt lgkmcnt(0)
	v_cndmask_b32_e32 v1, 0, v6, vcc_lo
	v_cmp_eq_u32_e32 vcc_lo, 1, v8
	v_and_b32_e32 v1, v7, v1
	v_cndmask_b32_e64 v5, v5, 1, vcc_lo
	v_add_nc_u32_e32 v3, v1, v2
	v_cndmask_b32_e64 v4, v5, v4, s4
	v_lshlrev_b32_e32 v5, 3, v21
	s_mov_b32 s4, exec_lo
	v_cmpx_eq_u32_e64 v0, v22
	s_cbranch_execz .LBB235_40
; %bb.39:
	ds_write_b32 v5, v3
	ds_write_b8 v5, v4 offset:4
.LBB235_40:
	s_or_b32 exec_lo, exec_lo, s4
	s_mov_b32 s4, exec_lo
	s_waitcnt lgkmcnt(0)
	s_barrier
	buffer_gl0_inv
	v_cmpx_gt_u32_e32 8, v0
	s_cbranch_execz .LBB235_46
; %bb.41:
	ds_read_b64 v[1:2], v19
	v_and_b32_e32 v6, 7, v20
	s_mov_b32 s5, exec_lo
	s_waitcnt lgkmcnt(0)
	v_and_b32_e32 v7, 0xffffff00, v2
	v_mov_b32_dpp v15, v1 row_shr:1 row_mask:0xf bank_mask:0xf
	v_mov_b32_dpp v16, v2 row_shr:1 row_mask:0xf bank_mask:0xf
	v_mov_b32_e32 v8, v2
	v_cmpx_ne_u32_e32 0, v6
	s_cbranch_execz .LBB235_43
; %bb.42:
	v_mov_b32_e32 v8, 0
	v_and_b32_e32 v17, 1, v2
	v_and_b32_e32 v16, 1, v16
	v_cmp_eq_u16_sdwa vcc_lo, v2, v8 src0_sel:BYTE_0 src1_sel:DWORD
	v_cndmask_b32_e32 v2, 0, v15, vcc_lo
	v_cmp_eq_u32_e32 vcc_lo, 1, v17
	v_add_nc_u32_e32 v1, v2, v1
	v_cndmask_b32_e64 v15, v16, 1, vcc_lo
	v_or_b32_sdwa v8, v7, v15 dst_sel:DWORD dst_unused:UNUSED_PAD src0_sel:DWORD src1_sel:WORD_0
	v_mov_b32_e32 v2, v15
.LBB235_43:
	s_or_b32 exec_lo, exec_lo, s5
	v_mov_b32_dpp v15, v1 row_shr:2 row_mask:0xf bank_mask:0xf
	v_mov_b32_dpp v16, v8 row_shr:2 row_mask:0xf bank_mask:0xf
	s_mov_b32 s5, exec_lo
	v_cmpx_lt_u32_e32 1, v6
	s_cbranch_execz .LBB235_45
; %bb.44:
	v_mov_b32_e32 v8, 0
	v_and_b32_e32 v17, 1, v2
	v_and_b32_e32 v16, 1, v16
	v_cmp_eq_u16_sdwa vcc_lo, v2, v8 src0_sel:BYTE_0 src1_sel:DWORD
	v_cndmask_b32_e32 v2, 0, v15, vcc_lo
	v_cmp_eq_u32_e32 vcc_lo, 1, v17
	v_add_nc_u32_e32 v1, v2, v1
	v_cndmask_b32_e64 v15, v16, 1, vcc_lo
	v_or_b32_sdwa v8, v7, v15 dst_sel:DWORD dst_unused:UNUSED_PAD src0_sel:DWORD src1_sel:WORD_0
	v_mov_b32_e32 v2, v15
.LBB235_45:
	s_or_b32 exec_lo, exec_lo, s5
	v_mov_b32_dpp v7, v8 row_shr:4 row_mask:0xf bank_mask:0xf
	v_and_b32_e32 v15, 1, v2
	v_mov_b32_e32 v8, 0
	v_and_b32_e32 v7, 1, v7
	v_cmp_eq_u32_e32 vcc_lo, 1, v15
	v_cmp_eq_u16_sdwa s5, v2, v8 src0_sel:BYTE_0 src1_sel:DWORD
	v_cndmask_b32_e64 v7, v7, 1, vcc_lo
	v_cmp_lt_u32_e32 vcc_lo, 3, v6
	v_mov_b32_dpp v6, v1 row_shr:4 row_mask:0xf bank_mask:0xf
	v_cndmask_b32_e32 v2, v2, v7, vcc_lo
	s_and_b32 vcc_lo, vcc_lo, s5
	v_cndmask_b32_e32 v6, 0, v6, vcc_lo
	v_add_nc_u32_e32 v1, v6, v1
	ds_write_b32 v19, v1
	ds_write_b8 v19, v2 offset:4
.LBB235_46:
	s_or_b32 exec_lo, exec_lo, s4
	v_mov_b32_e32 v24, 0
	v_mov_b32_e32 v25, 0
	s_mov_b32 s5, exec_lo
	v_cmp_gt_u32_e32 vcc_lo, 32, v0
	s_waitcnt lgkmcnt(0)
	s_barrier
	buffer_gl0_inv
	v_cmpx_lt_u32_e32 31, v0
	s_cbranch_execz .LBB235_48
; %bb.47:
	v_add_nc_u32_e32 v1, -8, v5
	v_cmp_eq_u32_e64 s4, 0, v4
	v_and_b32_e32 v2, 1, v4
	ds_read_b32 v24, v1
	v_add_nc_u32_e32 v1, -4, v5
	ds_read_u8 v25, v1
	s_waitcnt lgkmcnt(1)
	v_cndmask_b32_e64 v1, 0, v24, s4
	v_cmp_eq_u32_e64 s4, 1, v2
	v_add_nc_u32_e32 v3, v1, v3
	s_waitcnt lgkmcnt(0)
	v_cndmask_b32_e64 v4, v25, 1, s4
.LBB235_48:
	s_or_b32 exec_lo, exec_lo, s5
	v_sub_co_u32 v1, s4, v20, 1
	v_cmp_gt_i32_e64 s5, 0, v1
	v_cndmask_b32_e64 v1, v1, v20, s5
	v_lshlrev_b32_e32 v1, 2, v1
	ds_bpermute_b32 v26, v1, v3
	ds_bpermute_b32 v27, v1, v4
	s_and_saveexec_b32 s12, vcc_lo
	s_cbranch_execz .LBB235_68
; %bb.49:
	v_mov_b32_e32 v4, 0
	ds_read_b64 v[1:2], v4 offset:56
	s_and_saveexec_b32 s5, s4
	s_cbranch_execz .LBB235_51
; %bb.50:
	s_add_i32 s10, s27, 32
	s_mov_b32 s11, 0
	v_mov_b32_e32 v3, 1
	s_lshl_b64 s[10:11], s[10:11], 4
	s_add_u32 s10, s24, s10
	s_addc_u32 s11, s25, s11
	v_mov_b32_e32 v5, s10
	v_mov_b32_e32 v6, s11
	s_waitcnt lgkmcnt(0)
	;;#ASMSTART
	global_store_dwordx4 v[5:6], v[1:4] off	
s_waitcnt vmcnt(0)
	;;#ASMEND
.LBB235_51:
	s_or_b32 exec_lo, exec_lo, s5
	v_xad_u32 v15, v20, -1, s27
	s_mov_b32 s10, 0
	v_add_nc_u32_e32 v3, 32, v15
	v_lshlrev_b64 v[5:6], 4, v[3:4]
	v_add_co_u32 v16, vcc_lo, s24, v5
	v_add_co_ci_u32_e64 v17, null, s25, v6, vcc_lo
	;;#ASMSTART
	global_load_dwordx4 v[5:8], v[16:17] off glc dlc	
s_waitcnt vmcnt(0)
	;;#ASMEND
	v_and_b32_e32 v6, 0xff, v6
	v_cmp_eq_u16_sdwa s11, v7, v4 src0_sel:BYTE_0 src1_sel:DWORD
	s_and_saveexec_b32 s5, s11
	s_cbranch_execz .LBB235_55
; %bb.52:
	v_mov_b32_e32 v3, 0
.LBB235_53:                             ; =>This Inner Loop Header: Depth=1
	;;#ASMSTART
	global_load_dwordx4 v[5:8], v[16:17] off glc dlc	
s_waitcnt vmcnt(0)
	;;#ASMEND
	v_cmp_ne_u16_sdwa s11, v7, v3 src0_sel:BYTE_0 src1_sel:DWORD
	s_or_b32 s10, s11, s10
	s_andn2_b32 exec_lo, exec_lo, s10
	s_cbranch_execnz .LBB235_53
; %bb.54:
	s_or_b32 exec_lo, exec_lo, s10
	v_and_b32_e32 v6, 0xff, v6
.LBB235_55:
	s_or_b32 exec_lo, exec_lo, s5
	v_cmp_ne_u32_e32 vcc_lo, 31, v20
	v_mov_b32_e32 v28, 2
	v_lshlrev_b32_e64 v29, v20, -1
	v_and_b32_e32 v8, 1, v6
	s_mov_b32 s10, 0
	v_add_co_ci_u32_e64 v3, null, 0, v20, vcc_lo
	v_cmp_eq_u16_sdwa s5, v7, v28 src0_sel:BYTE_0 src1_sel:DWORD
	v_cmp_eq_u32_e32 vcc_lo, 1, v8
	s_mov_b32 s11, 1
	v_lshlrev_b32_e32 v17, 2, v3
	v_add_nc_u32_e32 v37, 8, v20
	v_and_or_b32 v4, s5, v29, 0x80000000
	v_cmp_gt_u64_e64 s5, s[10:11], v[5:6]
	v_lshl_or_b32 v38, v20, 2, 64
	ds_bpermute_b32 v3, v17, v6
	ds_bpermute_b32 v16, v17, v5
	v_ffbl_b32_e32 v4, v4
	v_add_nc_u32_e32 v39, 16, v20
	s_waitcnt lgkmcnt(1)
	v_and_b32_e32 v3, 1, v3
	v_cndmask_b32_e64 v3, v3, 1, vcc_lo
	v_cmp_gt_u32_e32 vcc_lo, 30, v20
	v_and_b32_e32 v31, 0xffff, v3
	v_cndmask_b32_e64 v8, 0, 2, vcc_lo
	v_cmp_lt_u32_e32 vcc_lo, v20, v4
	v_add_lshl_u32 v30, v8, v20, 2
	v_cndmask_b32_e32 v8, v6, v31, vcc_lo
	v_cndmask_b32_e32 v3, v6, v3, vcc_lo
	s_and_b32 vcc_lo, vcc_lo, s5
	s_waitcnt lgkmcnt(0)
	v_cndmask_b32_e32 v6, 0, v16, vcc_lo
	ds_bpermute_b32 v31, v30, v8
	v_and_b32_e32 v16, 1, v3
	v_add_nc_u32_e32 v5, v6, v5
	v_cmp_eq_u32_e32 vcc_lo, 1, v16
	v_mov_b32_e32 v16, 0
	ds_bpermute_b32 v6, v30, v5
	v_cmp_eq_u16_sdwa s5, v3, v16 src0_sel:BYTE_0 src1_sel:DWORD
	s_waitcnt lgkmcnt(1)
	v_and_b32_e32 v32, 1, v31
	v_add_nc_u32_e32 v31, 2, v20
	v_cndmask_b32_e64 v33, v32, 1, vcc_lo
	v_cmp_gt_u32_e32 vcc_lo, 28, v20
	v_and_b32_e32 v34, 0xffff, v33
	v_cndmask_b32_e64 v32, 0, 4, vcc_lo
	v_cmp_gt_u32_e32 vcc_lo, v31, v4
	v_add_lshl_u32 v32, v32, v20, 2
	v_cndmask_b32_e32 v8, v34, v8, vcc_lo
	v_cndmask_b32_e32 v35, v33, v3, vcc_lo
	s_waitcnt lgkmcnt(0)
	v_cndmask_b32_e64 v3, 0, v6, s5
	v_add_nc_u32_e32 v33, 4, v20
	ds_bpermute_b32 v6, v32, v8
	v_and_b32_e32 v34, 1, v35
	v_cndmask_b32_e64 v3, v3, 0, vcc_lo
	v_cmp_eq_u16_sdwa s5, v35, v16 src0_sel:BYTE_0 src1_sel:DWORD
	v_cmp_eq_u32_e32 vcc_lo, 1, v34
	v_add_nc_u32_e32 v3, v3, v5
	ds_bpermute_b32 v5, v32, v3
	s_waitcnt lgkmcnt(1)
	v_and_b32_e32 v6, 1, v6
	v_cndmask_b32_e64 v6, v6, 1, vcc_lo
	v_cmp_gt_u32_e32 vcc_lo, 24, v20
	v_and_b32_e32 v36, 0xffff, v6
	v_cndmask_b32_e64 v34, 0, 8, vcc_lo
	v_cmp_gt_u32_e32 vcc_lo, v33, v4
	s_waitcnt lgkmcnt(0)
	v_cndmask_b32_e64 v5, 0, v5, s5
	v_add_lshl_u32 v34, v34, v20, 2
	v_cndmask_b32_e32 v8, v36, v8, vcc_lo
	v_cndmask_b32_e32 v6, v6, v35, vcc_lo
	v_cndmask_b32_e64 v5, v5, 0, vcc_lo
	ds_bpermute_b32 v35, v34, v8
	v_and_b32_e32 v36, 1, v6
	v_add_nc_u32_e32 v3, v5, v3
	v_cmp_eq_u32_e32 vcc_lo, 1, v36
	ds_bpermute_b32 v5, v34, v3
	s_waitcnt lgkmcnt(1)
	v_and_b32_e32 v35, 1, v35
	v_cndmask_b32_e64 v35, v35, 1, vcc_lo
	v_cmp_eq_u16_sdwa vcc_lo, v6, v16 src0_sel:BYTE_0 src1_sel:DWORD
	v_and_b32_e32 v36, 0xffff, v35
	s_waitcnt lgkmcnt(0)
	v_cndmask_b32_e32 v5, 0, v5, vcc_lo
	v_cmp_gt_u32_e32 vcc_lo, v37, v4
	v_cndmask_b32_e64 v5, v5, 0, vcc_lo
	v_cndmask_b32_e32 v8, v36, v8, vcc_lo
	v_cndmask_b32_e32 v6, v35, v6, vcc_lo
	v_add_nc_u32_e32 v3, v5, v3
	ds_bpermute_b32 v5, v38, v8
	v_and_b32_e32 v35, 1, v6
	v_cmp_eq_u16_sdwa vcc_lo, v6, v16 src0_sel:BYTE_0 src1_sel:DWORD
	ds_bpermute_b32 v8, v38, v3
	s_waitcnt lgkmcnt(1)
	v_and_b32_e32 v5, 1, v5
	s_waitcnt lgkmcnt(0)
	v_cndmask_b32_e32 v8, 0, v8, vcc_lo
	v_cmp_eq_u32_e32 vcc_lo, 1, v35
	v_cndmask_b32_e64 v5, v5, 1, vcc_lo
	v_cmp_gt_u32_e32 vcc_lo, v39, v4
	v_cndmask_b32_e32 v4, v5, v6, vcc_lo
	v_cndmask_b32_e64 v5, v8, 0, vcc_lo
	v_add_nc_u32_e32 v3, v5, v3
	s_branch .LBB235_59
.LBB235_56:                             ;   in Loop: Header=BB235_59 Depth=1
	s_or_b32 exec_lo, exec_lo, s13
	v_and_b32_e32 v6, 0xff, v6
.LBB235_57:                             ;   in Loop: Header=BB235_59 Depth=1
	s_or_b32 exec_lo, exec_lo, s5
	ds_bpermute_b32 v3, v17, v6
	v_cmp_eq_u16_sdwa s5, v7, v28 src0_sel:BYTE_0 src1_sel:DWORD
	v_and_b32_e32 v4, 1, v6
	v_subrev_nc_u32_e32 v15, 32, v15
	v_and_or_b32 v8, s5, v29, 0x80000000
	v_cmp_eq_u32_e32 vcc_lo, 1, v4
	v_cmp_gt_u64_e64 s5, s[10:11], v[5:6]
	v_ffbl_b32_e32 v4, v8
	ds_bpermute_b32 v8, v17, v5
	s_waitcnt lgkmcnt(1)
	v_and_b32_e32 v3, 1, v3
	v_cndmask_b32_e64 v3, v3, 1, vcc_lo
	v_cmp_lt_u32_e32 vcc_lo, v20, v4
	v_and_b32_e32 v40, 0xffff, v3
	v_cndmask_b32_e32 v3, v6, v3, vcc_lo
	v_cndmask_b32_e32 v40, v6, v40, vcc_lo
	s_and_b32 vcc_lo, vcc_lo, s5
	v_cmp_eq_u16_sdwa s5, v3, v16 src0_sel:BYTE_0 src1_sel:DWORD
	s_waitcnt lgkmcnt(0)
	v_cndmask_b32_e32 v6, 0, v8, vcc_lo
	v_and_b32_e32 v8, 1, v3
	ds_bpermute_b32 v41, v30, v40
	v_add_nc_u32_e32 v5, v6, v5
	v_cmp_eq_u32_e32 vcc_lo, 1, v8
	ds_bpermute_b32 v6, v30, v5
	s_waitcnt lgkmcnt(1)
	v_and_b32_e32 v41, 1, v41
	v_cndmask_b32_e64 v8, v41, 1, vcc_lo
	v_cmp_gt_u32_e32 vcc_lo, v31, v4
	v_and_b32_e32 v41, 0xffff, v8
	v_cndmask_b32_e32 v8, v8, v3, vcc_lo
	s_waitcnt lgkmcnt(0)
	v_cndmask_b32_e64 v3, 0, v6, s5
	v_cndmask_b32_e32 v40, v41, v40, vcc_lo
	v_and_b32_e32 v41, 1, v8
	v_cndmask_b32_e64 v3, v3, 0, vcc_lo
	v_cmp_eq_u16_sdwa s5, v8, v16 src0_sel:BYTE_0 src1_sel:DWORD
	ds_bpermute_b32 v6, v32, v40
	v_cmp_eq_u32_e32 vcc_lo, 1, v41
	v_add_nc_u32_e32 v3, v3, v5
	ds_bpermute_b32 v5, v32, v3
	s_waitcnt lgkmcnt(1)
	v_and_b32_e32 v6, 1, v6
	v_cndmask_b32_e64 v6, v6, 1, vcc_lo
	v_cmp_gt_u32_e32 vcc_lo, v33, v4
	s_waitcnt lgkmcnt(0)
	v_cndmask_b32_e64 v5, 0, v5, s5
	s_mov_b32 s5, 0
	v_and_b32_e32 v41, 0xffff, v6
	v_cndmask_b32_e32 v6, v6, v8, vcc_lo
	v_cndmask_b32_e64 v5, v5, 0, vcc_lo
	v_cndmask_b32_e32 v8, v41, v40, vcc_lo
	v_and_b32_e32 v41, 1, v6
	v_add_nc_u32_e32 v3, v5, v3
	ds_bpermute_b32 v40, v34, v8
	v_cmp_eq_u32_e32 vcc_lo, 1, v41
	ds_bpermute_b32 v5, v34, v3
	s_waitcnt lgkmcnt(1)
	v_and_b32_e32 v40, 1, v40
	v_cndmask_b32_e64 v40, v40, 1, vcc_lo
	v_cmp_eq_u16_sdwa vcc_lo, v6, v16 src0_sel:BYTE_0 src1_sel:DWORD
	v_and_b32_e32 v41, 0xffff, v40
	s_waitcnt lgkmcnt(0)
	v_cndmask_b32_e32 v5, 0, v5, vcc_lo
	v_cmp_gt_u32_e32 vcc_lo, v37, v4
	v_cndmask_b32_e64 v5, v5, 0, vcc_lo
	v_cndmask_b32_e32 v8, v41, v8, vcc_lo
	v_cndmask_b32_e32 v6, v40, v6, vcc_lo
	v_add_nc_u32_e32 v3, v5, v3
	ds_bpermute_b32 v5, v38, v8
	v_and_b32_e32 v40, 1, v6
	ds_bpermute_b32 v8, v38, v3
	v_cmp_eq_u32_e32 vcc_lo, 1, v40
	s_waitcnt lgkmcnt(1)
	v_cndmask_b32_e64 v5, v5, 1, vcc_lo
	v_cmp_eq_u16_sdwa vcc_lo, v6, v16 src0_sel:BYTE_0 src1_sel:DWORD
	s_waitcnt lgkmcnt(0)
	v_cndmask_b32_e32 v8, 0, v8, vcc_lo
	v_cmp_gt_u32_e32 vcc_lo, v39, v4
	v_cndmask_b32_e32 v4, v5, v6, vcc_lo
	v_cndmask_b32_e64 v5, v8, 0, vcc_lo
	v_cmp_eq_u16_sdwa vcc_lo, v35, v16 src0_sel:BYTE_0 src1_sel:DWORD
	v_and_b32_e32 v4, 1, v4
	v_add_nc_u32_e32 v3, v5, v3
	v_and_b32_e32 v5, 1, v35
	v_cndmask_b32_e32 v3, 0, v3, vcc_lo
	v_cmp_eq_u32_e32 vcc_lo, 1, v5
	v_add_nc_u32_e32 v3, v3, v36
	v_cndmask_b32_e64 v4, v4, 1, vcc_lo
.LBB235_58:                             ;   in Loop: Header=BB235_59 Depth=1
	s_and_b32 vcc_lo, exec_lo, s5
	s_cbranch_vccnz .LBB235_64
.LBB235_59:                             ; =>This Loop Header: Depth=1
                                        ;     Child Loop BB235_62 Depth 2
	v_cmp_ne_u16_sdwa s5, v7, v28 src0_sel:BYTE_0 src1_sel:DWORD
	v_mov_b32_e32 v35, v4
	v_mov_b32_e32 v36, v3
                                        ; implicit-def: $vgpr4
                                        ; implicit-def: $vgpr3
                                        ; implicit-def: $vgpr7
	s_cmp_lg_u32 s5, exec_lo
	s_mov_b32 s5, -1
	s_cbranch_scc1 .LBB235_58
; %bb.60:                               ;   in Loop: Header=BB235_59 Depth=1
	v_lshlrev_b64 v[3:4], 4, v[15:16]
	v_add_co_u32 v3, vcc_lo, s24, v3
	v_add_co_ci_u32_e64 v4, null, s25, v4, vcc_lo
	;;#ASMSTART
	global_load_dwordx4 v[5:8], v[3:4] off glc dlc	
s_waitcnt vmcnt(0)
	;;#ASMEND
	v_and_b32_e32 v6, 0xff, v6
	v_cmp_eq_u16_sdwa s13, v7, v16 src0_sel:BYTE_0 src1_sel:DWORD
	s_and_saveexec_b32 s5, s13
	s_cbranch_execz .LBB235_57
; %bb.61:                               ;   in Loop: Header=BB235_59 Depth=1
	s_mov_b32 s13, 0
.LBB235_62:                             ;   Parent Loop BB235_59 Depth=1
                                        ; =>  This Inner Loop Header: Depth=2
	;;#ASMSTART
	global_load_dwordx4 v[5:8], v[3:4] off glc dlc	
s_waitcnt vmcnt(0)
	;;#ASMEND
	v_cmp_ne_u16_sdwa s16, v7, v16 src0_sel:BYTE_0 src1_sel:DWORD
	s_or_b32 s13, s16, s13
	s_andn2_b32 exec_lo, exec_lo, s13
	s_cbranch_execnz .LBB235_62
	s_branch .LBB235_56
.LBB235_63:
                                        ; implicit-def: $vgpr7
                                        ; implicit-def: $vgpr5
                                        ; implicit-def: $vgpr6
	s_cbranch_execnz .LBB235_69
	s_branch .LBB235_86
.LBB235_64:
	s_and_saveexec_b32 s5, s4
	s_cbranch_execz .LBB235_66
; %bb.65:
	v_mov_b32_e32 v4, 0
	v_and_b32_e32 v3, 1, v2
	s_mov_b32 s11, 0
	s_add_i32 s10, s27, 32
	v_and_b32_e32 v5, 1, v35
	v_cmp_eq_u32_sdwa vcc_lo, v2, v4 src0_sel:BYTE_0 src1_sel:DWORD
	s_lshl_b64 s[10:11], s[10:11], 4
	s_add_u32 s10, s24, s10
	s_addc_u32 s11, s25, s11
	v_cndmask_b32_e32 v2, 0, v36, vcc_lo
	v_cmp_eq_u32_e32 vcc_lo, 1, v3
	v_mov_b32_e32 v3, 2
	v_add_nc_u32_e32 v1, v2, v1
	v_cndmask_b32_e64 v2, v5, 1, vcc_lo
	v_mov_b32_e32 v5, s10
	v_mov_b32_e32 v6, s11
	;;#ASMSTART
	global_store_dwordx4 v[5:6], v[1:4] off	
s_waitcnt vmcnt(0)
	;;#ASMEND
.LBB235_66:
	s_or_b32 exec_lo, exec_lo, s5
	s_and_b32 exec_lo, exec_lo, s0
	s_cbranch_execz .LBB235_68
; %bb.67:
	v_mov_b32_e32 v1, 0
	ds_write_b32 v1, v36 offset:56
	ds_write_b8 v1, v35 offset:60
.LBB235_68:
	s_or_b32 exec_lo, exec_lo, s12
	v_mov_b32_e32 v1, 0
	s_waitcnt lgkmcnt(0)
	v_cndmask_b32_e64 v2, v27, v25, s4
	v_and_b32_e32 v4, 1, v10
	s_barrier
	buffer_gl0_inv
	ds_read_b32 v3, v1 offset:56
	v_and_b32_e32 v2, 1, v2
	v_cmp_eq_u32_e32 vcc_lo, 1, v4
	v_cndmask_b32_e64 v5, v26, v24, s4
	s_mov_b32 s5, 1
	s_mov_b32 s4, 0
	v_cndmask_b32_e64 v2, v2, 1, vcc_lo
	v_cmp_gt_u64_e32 vcc_lo, s[4:5], v[9:10]
	v_cndmask_b32_e64 v2, v2, v10, s0
	v_cndmask_b32_e32 v4, 0, v5, vcc_lo
	v_cmp_eq_u16_sdwa vcc_lo, v2, v1 src0_sel:BYTE_0 src1_sel:DWORD
	v_cndmask_b32_e64 v4, v4, 0, s0
	s_waitcnt lgkmcnt(0)
	v_cndmask_b32_e32 v1, 0, v3, vcc_lo
	v_add3_u32 v7, v4, v9, v1
	v_cndmask_b32_e64 v1, 0, v7, s2
	v_add_nc_u32_e32 v5, v1, v11
	v_cndmask_b32_e64 v1, 0, v5, s3
	v_add_nc_u32_e32 v6, v1, v13
	s_branch .LBB235_86
.LBB235_69:
	s_cmp_lg_u64 s[28:29], 0
	s_cselect_b32 s2, -1, 0
	s_cmp_lg_u64 s[18:19], 0
	s_cselect_b32 s3, -1, 0
	s_and_b32 s2, s2, s3
	s_and_b32 s3, s0, s2
	s_and_saveexec_b32 s2, s3
	s_cbranch_execz .LBB235_71
; %bb.70:
	v_mov_b32_e32 v1, 0
	s_mov_b32 s4, 0
	s_mov_b32 s5, 1
	s_clause 0x1
	global_load_dword v2, v1, s[18:19]
	global_load_ubyte v3, v1, s[18:19] offset:4
	v_cmp_gt_u64_e32 vcc_lo, s[4:5], v[9:10]
	s_waitcnt vmcnt(1)
	v_cndmask_b32_e32 v4, 0, v2, vcc_lo
	v_and_b32_e32 v2, 1, v10
	s_waitcnt vmcnt(0)
	v_and_b32_e32 v3, 1, v3
	v_add_nc_u32_e32 v9, v4, v9
	v_cmp_eq_u64_e32 vcc_lo, 0, v[1:2]
	v_cndmask_b32_e32 v10, 1, v3, vcc_lo
.LBB235_71:
	s_or_b32 exec_lo, exec_lo, s2
	v_and_b32_e32 v2, 0xff, v23
	v_mov_b32_e32 v1, 0
	s_mov_b32 s4, 0
	s_mov_b32 s5, 1
	v_and_b32_e32 v7, 15, v20
	v_cmp_eq_u64_e32 vcc_lo, 0, v[1:2]
	v_cmp_eq_u32_e64 s3, 0, v7
	v_cndmask_b32_e32 v2, 1, v10, vcc_lo
	v_cmp_gt_u64_e32 vcc_lo, s[4:5], v[11:12]
	v_and_b32_e32 v3, 0xff, v2
	v_and_b32_e32 v6, 1, v2
	v_cndmask_b32_e32 v5, 0, v9, vcc_lo
	v_mov_b32_dpp v4, v3 row_shr:1 row_mask:0xf bank_mask:0xf
	v_cmp_eq_u32_e64 s2, 1, v6
	v_add_nc_u32_e32 v5, v5, v11
	v_and_b32_e32 v4, 1, v4
	v_cndmask_b32_e64 v4, v4, 1, s2
	v_cmp_gt_u64_e64 s2, s[4:5], v[13:14]
	v_cmp_eq_u16_e64 s4, 0, v3
	v_cndmask_b32_e64 v8, v4, v3, s3
	v_cndmask_b32_e64 v2, v4, v2, s3
	;; [unrolled: 1-line block ×3, first 2 shown]
	v_mov_b32_dpp v4, v8 row_shr:2 row_mask:0xf bank_mask:0xf
	v_and_b32_e32 v14, 1, v2
	v_add_nc_u32_e32 v6, v6, v13
	v_and_b32_e32 v4, 1, v4
	v_mov_b32_dpp v12, v6 row_shr:1 row_mask:0xf bank_mask:0xf
	v_cndmask_b32_e64 v3, 0, v12, s4
	v_cmp_eq_u32_e64 s4, 1, v14
	v_cndmask_b32_e64 v3, v3, 0, s3
	v_cndmask_b32_e64 v4, v4, 1, s4
	v_cmp_lt_u32_e64 s4, 1, v7
	v_cmp_eq_u16_sdwa s3, v2, v1 src0_sel:BYTE_0 src1_sel:DWORD
	v_add_nc_u32_e32 v3, v3, v6
	v_cndmask_b32_e64 v12, v2, v4, s4
	v_cndmask_b32_e64 v4, v8, v4, s4
	s_and_b32 s3, s4, s3
	v_mov_b32_dpp v2, v3 row_shr:2 row_mask:0xf bank_mask:0xf
	v_and_b32_e32 v14, 1, v12
	v_mov_b32_dpp v8, v4 row_shr:4 row_mask:0xf bank_mask:0xf
	v_cmp_eq_u16_sdwa s4, v12, v1 src0_sel:BYTE_0 src1_sel:DWORD
	v_cndmask_b32_e64 v2, 0, v2, s3
	v_cmp_eq_u32_e64 s3, 1, v14
	v_and_b32_e32 v8, 1, v8
	v_add_nc_u32_e32 v2, v2, v3
	v_cndmask_b32_e64 v8, v8, 1, s3
	v_cmp_lt_u32_e64 s3, 3, v7
	v_cndmask_b32_e64 v3, v12, v8, s3
	v_cndmask_b32_e64 v4, v4, v8, s3
	v_mov_b32_dpp v8, v2 row_shr:4 row_mask:0xf bank_mask:0xf
	s_and_b32 s3, s3, s4
	v_and_b32_e32 v14, 1, v3
	v_mov_b32_dpp v12, v4 row_shr:8 row_mask:0xf bank_mask:0xf
	v_cndmask_b32_e64 v8, 0, v8, s3
	v_cmp_eq_u16_sdwa s4, v3, v1 src0_sel:BYTE_0 src1_sel:DWORD
	v_cmp_eq_u32_e64 s3, 1, v14
	v_and_b32_e32 v12, 1, v12
	v_add_nc_u32_e32 v2, v8, v2
	v_cndmask_b32_e64 v8, v12, 1, s3
	v_cmp_lt_u32_e64 s3, 7, v7
	v_mov_b32_dpp v7, v2 row_shr:8 row_mask:0xf bank_mask:0xf
	v_bfe_i32 v12, v20, 4, 1
	s_and_b32 s4, s3, s4
	v_cndmask_b32_e64 v4, v4, v8, s3
	v_cndmask_b32_e64 v7, 0, v7, s4
	;; [unrolled: 1-line block ×3, first 2 shown]
	s_mov_b32 s4, exec_lo
	v_add_nc_u32_e32 v2, v7, v2
	ds_swizzle_b32 v7, v4 offset:swizzle(BROADCAST,32,15)
	v_and_b32_e32 v14, 1, v3
	v_cmp_eq_u16_sdwa s3, v3, v1 src0_sel:BYTE_0 src1_sel:DWORD
	v_and_b32_e32 v3, 16, v20
	ds_swizzle_b32 v8, v2 offset:swizzle(BROADCAST,32,15)
	s_waitcnt lgkmcnt(1)
	v_and_b32_e32 v7, 1, v7
	s_waitcnt lgkmcnt(0)
	v_cndmask_b32_e64 v1, 0, v8, s3
	v_cmp_eq_u32_e64 s3, 1, v14
	v_and_b32_e32 v1, v12, v1
	v_cndmask_b32_e64 v7, v7, 1, s3
	v_cmp_eq_u32_e64 s3, 0, v3
	v_add_nc_u32_e32 v3, v1, v2
	v_cndmask_b32_e64 v4, v7, v4, s3
	v_cmpx_eq_u32_e64 v0, v22
	s_cbranch_execz .LBB235_73
; %bb.72:
	v_lshlrev_b32_e32 v1, 3, v21
	ds_write_b32 v1, v3
	ds_write_b8 v1, v4 offset:4
.LBB235_73:
	s_or_b32 exec_lo, exec_lo, s4
	s_mov_b32 s4, exec_lo
	s_waitcnt lgkmcnt(0)
	s_barrier
	buffer_gl0_inv
	v_cmpx_gt_u32_e32 8, v0
	s_cbranch_execz .LBB235_79
; %bb.74:
	ds_read_b64 v[1:2], v19
	v_and_b32_e32 v7, 7, v20
	s_mov_b32 s5, exec_lo
	s_waitcnt lgkmcnt(0)
	v_and_b32_e32 v8, 0xffffff00, v2
	v_mov_b32_dpp v14, v1 row_shr:1 row_mask:0xf bank_mask:0xf
	v_mov_b32_dpp v15, v2 row_shr:1 row_mask:0xf bank_mask:0xf
	v_mov_b32_e32 v12, v2
	v_cmpx_ne_u32_e32 0, v7
	s_cbranch_execz .LBB235_76
; %bb.75:
	v_mov_b32_e32 v12, 0
	v_and_b32_e32 v16, 1, v2
	v_and_b32_e32 v15, 1, v15
	v_cmp_eq_u16_sdwa s3, v2, v12 src0_sel:BYTE_0 src1_sel:DWORD
	v_cndmask_b32_e64 v2, 0, v14, s3
	v_cmp_eq_u32_e64 s3, 1, v16
	v_add_nc_u32_e32 v1, v2, v1
	v_cndmask_b32_e64 v14, v15, 1, s3
	v_or_b32_sdwa v12, v8, v14 dst_sel:DWORD dst_unused:UNUSED_PAD src0_sel:DWORD src1_sel:WORD_0
	v_mov_b32_e32 v2, v14
.LBB235_76:
	s_or_b32 exec_lo, exec_lo, s5
	v_mov_b32_dpp v14, v1 row_shr:2 row_mask:0xf bank_mask:0xf
	v_mov_b32_dpp v15, v12 row_shr:2 row_mask:0xf bank_mask:0xf
	s_mov_b32 s5, exec_lo
	v_cmpx_lt_u32_e32 1, v7
	s_cbranch_execz .LBB235_78
; %bb.77:
	v_mov_b32_e32 v12, 0
	v_and_b32_e32 v16, 1, v2
	v_and_b32_e32 v15, 1, v15
	v_cmp_eq_u16_sdwa s3, v2, v12 src0_sel:BYTE_0 src1_sel:DWORD
	v_cndmask_b32_e64 v2, 0, v14, s3
	v_cmp_eq_u32_e64 s3, 1, v16
	v_add_nc_u32_e32 v1, v2, v1
	v_cndmask_b32_e64 v14, v15, 1, s3
	v_or_b32_sdwa v12, v8, v14 dst_sel:DWORD dst_unused:UNUSED_PAD src0_sel:DWORD src1_sel:WORD_0
	v_mov_b32_e32 v2, v14
.LBB235_78:
	s_or_b32 exec_lo, exec_lo, s5
	v_mov_b32_dpp v8, v12 row_shr:4 row_mask:0xf bank_mask:0xf
	v_and_b32_e32 v14, 1, v2
	v_mov_b32_e32 v12, 0
	v_and_b32_e32 v8, 1, v8
	v_cmp_eq_u32_e64 s3, 1, v14
	v_cmp_eq_u16_sdwa s5, v2, v12 src0_sel:BYTE_0 src1_sel:DWORD
	v_cndmask_b32_e64 v8, v8, 1, s3
	v_cmp_lt_u32_e64 s3, 3, v7
	v_mov_b32_dpp v7, v1 row_shr:4 row_mask:0xf bank_mask:0xf
	v_cndmask_b32_e64 v2, v2, v8, s3
	s_and_b32 s3, s3, s5
	v_cndmask_b32_e64 v7, 0, v7, s3
	v_add_nc_u32_e32 v1, v7, v1
	ds_write_b32 v19, v1
	ds_write_b8 v19, v2 offset:4
.LBB235_79:
	s_or_b32 exec_lo, exec_lo, s4
	v_mov_b32_e32 v1, 0
	s_mov_b32 s4, exec_lo
	s_waitcnt lgkmcnt(0)
	s_barrier
	buffer_gl0_inv
	v_cmpx_lt_u32_e32 31, v0
	s_cbranch_execz .LBB235_81
; %bb.80:
	v_lshl_add_u32 v1, v21, 3, -8
	v_cmp_eq_u32_e64 s3, 0, v4
	ds_read_b32 v1, v1
	s_waitcnt lgkmcnt(0)
	v_cndmask_b32_e64 v2, 0, v1, s3
	v_add_nc_u32_e32 v3, v2, v3
.LBB235_81:
	s_or_b32 exec_lo, exec_lo, s4
	v_add_nc_u32_e32 v2, -1, v20
	s_mov_b32 s4, 0
	v_cmp_gt_i32_e64 s3, 0, v2
	v_cndmask_b32_e64 v2, v2, v20, s3
	v_lshlrev_b32_e32 v2, 2, v2
	ds_bpermute_b32 v2, v2, v3
	s_and_saveexec_b32 s3, s1
	s_cbranch_execz .LBB235_83
; %bb.82:
	v_cmp_eq_u32_e64 s1, 0, v20
	s_mov_b32 s5, 1
	;;#ASMSTART
	;;#ASMEND
	s_waitcnt lgkmcnt(0)
	v_cndmask_b32_e64 v1, v2, v1, s1
	v_cmp_gt_u64_e64 s1, s[4:5], v[9:10]
	v_cndmask_b32_e64 v1, 0, v1, s1
	v_add_nc_u32_e32 v9, v1, v9
	v_cndmask_b32_e32 v1, 0, v9, vcc_lo
	v_add_nc_u32_e32 v5, v1, v11
	v_cndmask_b32_e64 v1, 0, v5, s2
	v_add_nc_u32_e32 v6, v1, v13
.LBB235_83:
	s_or_b32 exec_lo, exec_lo, s3
	s_and_saveexec_b32 s1, s0
	s_cbranch_execz .LBB235_85
; %bb.84:
	v_mov_b32_e32 v4, 0
	s_add_u32 s2, s24, 0x200
	s_addc_u32 s3, s25, 0
	v_mov_b32_e32 v3, 2
	v_mov_b32_e32 v8, s3
	ds_read_b32 v1, v4 offset:56
	s_waitcnt lgkmcnt(1)
	ds_read_u8 v2, v4 offset:60
	v_mov_b32_e32 v7, s2
	s_waitcnt lgkmcnt(0)
	;;#ASMSTART
	global_store_dwordx4 v[7:8], v[1:4] off	
s_waitcnt vmcnt(0)
	;;#ASMEND
.LBB235_85:
	s_or_b32 exec_lo, exec_lo, s1
	v_mov_b32_e32 v7, v9
.LBB235_86:
	s_add_u32 s0, s14, s6
	v_mov_b32_e32 v3, 0
	s_addc_u32 s1, s15, s7
	s_add_u32 s0, s0, s8
	s_addc_u32 s1, s1, s9
	s_and_b32 vcc_lo, exec_lo, s20
	s_cbranch_vccz .LBB235_98
; %bb.87:
	v_mul_u32_u24_e32 v1, 3, v0
	v_mov_b32_e32 v4, 0
	s_waitcnt lgkmcnt(0)
	v_mov_b32_e32 v2, 0
	s_add_i32 s21, s21, s26
	s_mov_b32 s2, exec_lo
	v_cmpx_gt_u32_e64 s21, v1
	s_cbranch_execz .LBB235_93
; %bb.88:
	v_add_nc_u32_e32 v3, 1, v1
	v_mov_b32_e32 v2, 0
	v_mov_b32_e32 v4, 0
	s_mov_b32 s3, exec_lo
	v_cmpx_gt_u32_e64 s21, v3
	s_cbranch_execz .LBB235_92
; %bb.89:
	v_add_nc_u32_e32 v2, 2, v1
	v_cmp_gt_u32_e32 vcc_lo, s21, v2
	v_mov_b32_e32 v2, 0
	s_and_saveexec_b32 s4, vcc_lo
; %bb.90:
	v_mov_b32_e32 v2, v6
; %bb.91:
	s_or_b32 exec_lo, exec_lo, s4
	v_mov_b32_e32 v4, v5
.LBB235_92:
	s_or_b32 exec_lo, exec_lo, s3
	v_mov_b32_e32 v3, v7
.LBB235_93:
	s_or_b32 exec_lo, exec_lo, s2
	v_lshlrev_b32_e32 v8, 2, v1
	s_barrier
	buffer_gl0_inv
	v_sub_nc_u32_e32 v1, v8, v19
	ds_write2_b32 v8, v3, v4 offset1:1
	ds_write_b32 v8, v2 offset:8
	s_waitcnt lgkmcnt(0)
	s_barrier
	buffer_gl0_inv
	ds_read2st64_b32 v[1:2], v1 offset0:4 offset1:8
	v_add_co_u32 v3, s2, s0, v18
	v_add_co_ci_u32_e64 v4, null, s1, 0, s2
	s_mov_b32 s2, exec_lo
	v_cmpx_gt_u32_e64 s21, v0
	s_cbranch_execz .LBB235_95
; %bb.94:
	v_sub_nc_u32_e32 v9, 0, v19
	v_add_nc_u32_e32 v8, v8, v9
	ds_read_b32 v8, v8
	s_waitcnt lgkmcnt(0)
	flat_store_dword v[3:4], v8
.LBB235_95:
	s_or_b32 exec_lo, exec_lo, s2
	v_or_b32_e32 v8, 0x100, v0
	s_mov_b32 s2, exec_lo
	v_cmpx_gt_u32_e64 s21, v8
	s_cbranch_execz .LBB235_97
; %bb.96:
	s_waitcnt lgkmcnt(0)
	flat_store_dword v[3:4], v1 offset:1024
.LBB235_97:
	s_or_b32 exec_lo, exec_lo, s2
	s_waitcnt lgkmcnt(0)
	v_or_b32_e32 v1, 0x200, v0
	v_cmp_gt_u32_e64 s2, s21, v1
	s_branch .LBB235_100
.LBB235_98:
	s_mov_b32 s2, 0
                                        ; implicit-def: $vgpr2
	s_cbranch_execz .LBB235_100
; %bb.99:
	v_mul_u32_u24_e32 v1, 12, v0
	s_waitcnt lgkmcnt(0)
	s_waitcnt_vscnt null, 0x0
	s_barrier
	buffer_gl0_inv
	s_or_b32 s2, s2, exec_lo
	v_sub_nc_u32_e32 v2, v1, v19
	ds_write2_b32 v1, v7, v5 offset1:1
	ds_write_b32 v1, v6 offset:8
	s_waitcnt lgkmcnt(0)
	s_barrier
	buffer_gl0_inv
	ds_read2st64_b32 v[3:4], v2 offset1:4
	ds_read_b32 v2, v2 offset:2048
	v_add_co_u32 v5, s3, s0, v18
	v_add_co_ci_u32_e64 v6, null, s1, 0, s3
	s_waitcnt lgkmcnt(1)
	flat_store_dword v[5:6], v3
	flat_store_dword v[5:6], v4 offset:1024
.LBB235_100:
	s_and_saveexec_b32 s3, s2
	s_cbranch_execnz .LBB235_102
; %bb.101:
	s_endpgm
.LBB235_102:
	v_lshlrev_b32_e32 v0, 2, v0
	v_add_co_u32 v0, s0, s0, v0
	v_add_co_ci_u32_e64 v1, null, s1, 0, s0
	v_add_co_u32 v0, vcc_lo, 0x800, v0
	v_add_co_ci_u32_e64 v1, null, 0, v1, vcc_lo
	s_waitcnt lgkmcnt(0)
	flat_store_dword v[0:1], v2
	s_endpgm
.LBB235_103:
	v_add_co_u32 v2, s2, s5, v9
	v_add_co_ci_u32_e64 v3, null, s30, 0, s2
	v_mov_b32_e32 v11, v1
	v_mov_b32_e32 v12, v1
	flat_load_dword v10, v[2:3]
	s_waitcnt vmcnt(0) lgkmcnt(0)
	v_mov_b32_e32 v1, v10
	v_mov_b32_e32 v2, v11
	;; [unrolled: 1-line block ×3, first 2 shown]
	s_or_b32 exec_lo, exec_lo, s16
	s_and_saveexec_b32 s2, s3
	s_cbranch_execz .LBB235_19
.LBB235_104:
	v_add_co_u32 v10, s3, s5, v9
	v_add_co_ci_u32_e64 v11, null, s30, 0, s3
	flat_load_dword v2, v[10:11] offset:1024
	s_or_b32 exec_lo, exec_lo, s2
	s_and_saveexec_b32 s2, s4
	s_cbranch_execnz .LBB235_20
	s_branch .LBB235_21
.LBB235_105:
                                        ; implicit-def: $sgpr16_sgpr17
	s_branch .LBB235_14
.LBB235_106:
                                        ; implicit-def: $sgpr2_sgpr3
	s_branch .LBB235_30
	.section	.rodata,"a",@progbits
	.p2align	6, 0x0
	.amdhsa_kernel _ZN7rocprim17ROCPRIM_400000_NS6detail17trampoline_kernelINS0_14default_configENS1_27scan_by_key_config_selectorIiiEEZZNS1_16scan_by_key_implILNS1_25lookback_scan_determinismE0ELb0ES3_N6thrust23THRUST_200600_302600_NS6detail15normal_iteratorINS9_10device_ptrIiEEEESE_SE_iNS9_4plusIvEENS9_8equal_toIiEEiEE10hipError_tPvRmT2_T3_T4_T5_mT6_T7_P12ihipStream_tbENKUlT_T0_E_clISt17integral_constantIbLb0EESY_IbLb1EEEEDaSU_SV_EUlSU_E_NS1_11comp_targetILNS1_3genE8ELNS1_11target_archE1030ELNS1_3gpuE2ELNS1_3repE0EEENS1_30default_config_static_selectorELNS0_4arch9wavefront6targetE0EEEvT1_
		.amdhsa_group_segment_fixed_size 5120
		.amdhsa_private_segment_fixed_size 0
		.amdhsa_kernarg_size 112
		.amdhsa_user_sgpr_count 6
		.amdhsa_user_sgpr_private_segment_buffer 1
		.amdhsa_user_sgpr_dispatch_ptr 0
		.amdhsa_user_sgpr_queue_ptr 0
		.amdhsa_user_sgpr_kernarg_segment_ptr 1
		.amdhsa_user_sgpr_dispatch_id 0
		.amdhsa_user_sgpr_flat_scratch_init 0
		.amdhsa_user_sgpr_private_segment_size 0
		.amdhsa_wavefront_size32 1
		.amdhsa_uses_dynamic_stack 0
		.amdhsa_system_sgpr_private_segment_wavefront_offset 0
		.amdhsa_system_sgpr_workgroup_id_x 1
		.amdhsa_system_sgpr_workgroup_id_y 0
		.amdhsa_system_sgpr_workgroup_id_z 0
		.amdhsa_system_sgpr_workgroup_info 0
		.amdhsa_system_vgpr_workitem_id 0
		.amdhsa_next_free_vgpr 42
		.amdhsa_next_free_sgpr 34
		.amdhsa_reserve_vcc 1
		.amdhsa_reserve_flat_scratch 1
		.amdhsa_float_round_mode_32 0
		.amdhsa_float_round_mode_16_64 0
		.amdhsa_float_denorm_mode_32 3
		.amdhsa_float_denorm_mode_16_64 3
		.amdhsa_dx10_clamp 1
		.amdhsa_ieee_mode 1
		.amdhsa_fp16_overflow 0
		.amdhsa_workgroup_processor_mode 1
		.amdhsa_memory_ordered 1
		.amdhsa_forward_progress 1
		.amdhsa_shared_vgpr_count 0
		.amdhsa_exception_fp_ieee_invalid_op 0
		.amdhsa_exception_fp_denorm_src 0
		.amdhsa_exception_fp_ieee_div_zero 0
		.amdhsa_exception_fp_ieee_overflow 0
		.amdhsa_exception_fp_ieee_underflow 0
		.amdhsa_exception_fp_ieee_inexact 0
		.amdhsa_exception_int_div_zero 0
	.end_amdhsa_kernel
	.section	.text._ZN7rocprim17ROCPRIM_400000_NS6detail17trampoline_kernelINS0_14default_configENS1_27scan_by_key_config_selectorIiiEEZZNS1_16scan_by_key_implILNS1_25lookback_scan_determinismE0ELb0ES3_N6thrust23THRUST_200600_302600_NS6detail15normal_iteratorINS9_10device_ptrIiEEEESE_SE_iNS9_4plusIvEENS9_8equal_toIiEEiEE10hipError_tPvRmT2_T3_T4_T5_mT6_T7_P12ihipStream_tbENKUlT_T0_E_clISt17integral_constantIbLb0EESY_IbLb1EEEEDaSU_SV_EUlSU_E_NS1_11comp_targetILNS1_3genE8ELNS1_11target_archE1030ELNS1_3gpuE2ELNS1_3repE0EEENS1_30default_config_static_selectorELNS0_4arch9wavefront6targetE0EEEvT1_,"axG",@progbits,_ZN7rocprim17ROCPRIM_400000_NS6detail17trampoline_kernelINS0_14default_configENS1_27scan_by_key_config_selectorIiiEEZZNS1_16scan_by_key_implILNS1_25lookback_scan_determinismE0ELb0ES3_N6thrust23THRUST_200600_302600_NS6detail15normal_iteratorINS9_10device_ptrIiEEEESE_SE_iNS9_4plusIvEENS9_8equal_toIiEEiEE10hipError_tPvRmT2_T3_T4_T5_mT6_T7_P12ihipStream_tbENKUlT_T0_E_clISt17integral_constantIbLb0EESY_IbLb1EEEEDaSU_SV_EUlSU_E_NS1_11comp_targetILNS1_3genE8ELNS1_11target_archE1030ELNS1_3gpuE2ELNS1_3repE0EEENS1_30default_config_static_selectorELNS0_4arch9wavefront6targetE0EEEvT1_,comdat
.Lfunc_end235:
	.size	_ZN7rocprim17ROCPRIM_400000_NS6detail17trampoline_kernelINS0_14default_configENS1_27scan_by_key_config_selectorIiiEEZZNS1_16scan_by_key_implILNS1_25lookback_scan_determinismE0ELb0ES3_N6thrust23THRUST_200600_302600_NS6detail15normal_iteratorINS9_10device_ptrIiEEEESE_SE_iNS9_4plusIvEENS9_8equal_toIiEEiEE10hipError_tPvRmT2_T3_T4_T5_mT6_T7_P12ihipStream_tbENKUlT_T0_E_clISt17integral_constantIbLb0EESY_IbLb1EEEEDaSU_SV_EUlSU_E_NS1_11comp_targetILNS1_3genE8ELNS1_11target_archE1030ELNS1_3gpuE2ELNS1_3repE0EEENS1_30default_config_static_selectorELNS0_4arch9wavefront6targetE0EEEvT1_, .Lfunc_end235-_ZN7rocprim17ROCPRIM_400000_NS6detail17trampoline_kernelINS0_14default_configENS1_27scan_by_key_config_selectorIiiEEZZNS1_16scan_by_key_implILNS1_25lookback_scan_determinismE0ELb0ES3_N6thrust23THRUST_200600_302600_NS6detail15normal_iteratorINS9_10device_ptrIiEEEESE_SE_iNS9_4plusIvEENS9_8equal_toIiEEiEE10hipError_tPvRmT2_T3_T4_T5_mT6_T7_P12ihipStream_tbENKUlT_T0_E_clISt17integral_constantIbLb0EESY_IbLb1EEEEDaSU_SV_EUlSU_E_NS1_11comp_targetILNS1_3genE8ELNS1_11target_archE1030ELNS1_3gpuE2ELNS1_3repE0EEENS1_30default_config_static_selectorELNS0_4arch9wavefront6targetE0EEEvT1_
                                        ; -- End function
	.set _ZN7rocprim17ROCPRIM_400000_NS6detail17trampoline_kernelINS0_14default_configENS1_27scan_by_key_config_selectorIiiEEZZNS1_16scan_by_key_implILNS1_25lookback_scan_determinismE0ELb0ES3_N6thrust23THRUST_200600_302600_NS6detail15normal_iteratorINS9_10device_ptrIiEEEESE_SE_iNS9_4plusIvEENS9_8equal_toIiEEiEE10hipError_tPvRmT2_T3_T4_T5_mT6_T7_P12ihipStream_tbENKUlT_T0_E_clISt17integral_constantIbLb0EESY_IbLb1EEEEDaSU_SV_EUlSU_E_NS1_11comp_targetILNS1_3genE8ELNS1_11target_archE1030ELNS1_3gpuE2ELNS1_3repE0EEENS1_30default_config_static_selectorELNS0_4arch9wavefront6targetE0EEEvT1_.num_vgpr, 42
	.set _ZN7rocprim17ROCPRIM_400000_NS6detail17trampoline_kernelINS0_14default_configENS1_27scan_by_key_config_selectorIiiEEZZNS1_16scan_by_key_implILNS1_25lookback_scan_determinismE0ELb0ES3_N6thrust23THRUST_200600_302600_NS6detail15normal_iteratorINS9_10device_ptrIiEEEESE_SE_iNS9_4plusIvEENS9_8equal_toIiEEiEE10hipError_tPvRmT2_T3_T4_T5_mT6_T7_P12ihipStream_tbENKUlT_T0_E_clISt17integral_constantIbLb0EESY_IbLb1EEEEDaSU_SV_EUlSU_E_NS1_11comp_targetILNS1_3genE8ELNS1_11target_archE1030ELNS1_3gpuE2ELNS1_3repE0EEENS1_30default_config_static_selectorELNS0_4arch9wavefront6targetE0EEEvT1_.num_agpr, 0
	.set _ZN7rocprim17ROCPRIM_400000_NS6detail17trampoline_kernelINS0_14default_configENS1_27scan_by_key_config_selectorIiiEEZZNS1_16scan_by_key_implILNS1_25lookback_scan_determinismE0ELb0ES3_N6thrust23THRUST_200600_302600_NS6detail15normal_iteratorINS9_10device_ptrIiEEEESE_SE_iNS9_4plusIvEENS9_8equal_toIiEEiEE10hipError_tPvRmT2_T3_T4_T5_mT6_T7_P12ihipStream_tbENKUlT_T0_E_clISt17integral_constantIbLb0EESY_IbLb1EEEEDaSU_SV_EUlSU_E_NS1_11comp_targetILNS1_3genE8ELNS1_11target_archE1030ELNS1_3gpuE2ELNS1_3repE0EEENS1_30default_config_static_selectorELNS0_4arch9wavefront6targetE0EEEvT1_.numbered_sgpr, 34
	.set _ZN7rocprim17ROCPRIM_400000_NS6detail17trampoline_kernelINS0_14default_configENS1_27scan_by_key_config_selectorIiiEEZZNS1_16scan_by_key_implILNS1_25lookback_scan_determinismE0ELb0ES3_N6thrust23THRUST_200600_302600_NS6detail15normal_iteratorINS9_10device_ptrIiEEEESE_SE_iNS9_4plusIvEENS9_8equal_toIiEEiEE10hipError_tPvRmT2_T3_T4_T5_mT6_T7_P12ihipStream_tbENKUlT_T0_E_clISt17integral_constantIbLb0EESY_IbLb1EEEEDaSU_SV_EUlSU_E_NS1_11comp_targetILNS1_3genE8ELNS1_11target_archE1030ELNS1_3gpuE2ELNS1_3repE0EEENS1_30default_config_static_selectorELNS0_4arch9wavefront6targetE0EEEvT1_.num_named_barrier, 0
	.set _ZN7rocprim17ROCPRIM_400000_NS6detail17trampoline_kernelINS0_14default_configENS1_27scan_by_key_config_selectorIiiEEZZNS1_16scan_by_key_implILNS1_25lookback_scan_determinismE0ELb0ES3_N6thrust23THRUST_200600_302600_NS6detail15normal_iteratorINS9_10device_ptrIiEEEESE_SE_iNS9_4plusIvEENS9_8equal_toIiEEiEE10hipError_tPvRmT2_T3_T4_T5_mT6_T7_P12ihipStream_tbENKUlT_T0_E_clISt17integral_constantIbLb0EESY_IbLb1EEEEDaSU_SV_EUlSU_E_NS1_11comp_targetILNS1_3genE8ELNS1_11target_archE1030ELNS1_3gpuE2ELNS1_3repE0EEENS1_30default_config_static_selectorELNS0_4arch9wavefront6targetE0EEEvT1_.private_seg_size, 0
	.set _ZN7rocprim17ROCPRIM_400000_NS6detail17trampoline_kernelINS0_14default_configENS1_27scan_by_key_config_selectorIiiEEZZNS1_16scan_by_key_implILNS1_25lookback_scan_determinismE0ELb0ES3_N6thrust23THRUST_200600_302600_NS6detail15normal_iteratorINS9_10device_ptrIiEEEESE_SE_iNS9_4plusIvEENS9_8equal_toIiEEiEE10hipError_tPvRmT2_T3_T4_T5_mT6_T7_P12ihipStream_tbENKUlT_T0_E_clISt17integral_constantIbLb0EESY_IbLb1EEEEDaSU_SV_EUlSU_E_NS1_11comp_targetILNS1_3genE8ELNS1_11target_archE1030ELNS1_3gpuE2ELNS1_3repE0EEENS1_30default_config_static_selectorELNS0_4arch9wavefront6targetE0EEEvT1_.uses_vcc, 1
	.set _ZN7rocprim17ROCPRIM_400000_NS6detail17trampoline_kernelINS0_14default_configENS1_27scan_by_key_config_selectorIiiEEZZNS1_16scan_by_key_implILNS1_25lookback_scan_determinismE0ELb0ES3_N6thrust23THRUST_200600_302600_NS6detail15normal_iteratorINS9_10device_ptrIiEEEESE_SE_iNS9_4plusIvEENS9_8equal_toIiEEiEE10hipError_tPvRmT2_T3_T4_T5_mT6_T7_P12ihipStream_tbENKUlT_T0_E_clISt17integral_constantIbLb0EESY_IbLb1EEEEDaSU_SV_EUlSU_E_NS1_11comp_targetILNS1_3genE8ELNS1_11target_archE1030ELNS1_3gpuE2ELNS1_3repE0EEENS1_30default_config_static_selectorELNS0_4arch9wavefront6targetE0EEEvT1_.uses_flat_scratch, 1
	.set _ZN7rocprim17ROCPRIM_400000_NS6detail17trampoline_kernelINS0_14default_configENS1_27scan_by_key_config_selectorIiiEEZZNS1_16scan_by_key_implILNS1_25lookback_scan_determinismE0ELb0ES3_N6thrust23THRUST_200600_302600_NS6detail15normal_iteratorINS9_10device_ptrIiEEEESE_SE_iNS9_4plusIvEENS9_8equal_toIiEEiEE10hipError_tPvRmT2_T3_T4_T5_mT6_T7_P12ihipStream_tbENKUlT_T0_E_clISt17integral_constantIbLb0EESY_IbLb1EEEEDaSU_SV_EUlSU_E_NS1_11comp_targetILNS1_3genE8ELNS1_11target_archE1030ELNS1_3gpuE2ELNS1_3repE0EEENS1_30default_config_static_selectorELNS0_4arch9wavefront6targetE0EEEvT1_.has_dyn_sized_stack, 0
	.set _ZN7rocprim17ROCPRIM_400000_NS6detail17trampoline_kernelINS0_14default_configENS1_27scan_by_key_config_selectorIiiEEZZNS1_16scan_by_key_implILNS1_25lookback_scan_determinismE0ELb0ES3_N6thrust23THRUST_200600_302600_NS6detail15normal_iteratorINS9_10device_ptrIiEEEESE_SE_iNS9_4plusIvEENS9_8equal_toIiEEiEE10hipError_tPvRmT2_T3_T4_T5_mT6_T7_P12ihipStream_tbENKUlT_T0_E_clISt17integral_constantIbLb0EESY_IbLb1EEEEDaSU_SV_EUlSU_E_NS1_11comp_targetILNS1_3genE8ELNS1_11target_archE1030ELNS1_3gpuE2ELNS1_3repE0EEENS1_30default_config_static_selectorELNS0_4arch9wavefront6targetE0EEEvT1_.has_recursion, 0
	.set _ZN7rocprim17ROCPRIM_400000_NS6detail17trampoline_kernelINS0_14default_configENS1_27scan_by_key_config_selectorIiiEEZZNS1_16scan_by_key_implILNS1_25lookback_scan_determinismE0ELb0ES3_N6thrust23THRUST_200600_302600_NS6detail15normal_iteratorINS9_10device_ptrIiEEEESE_SE_iNS9_4plusIvEENS9_8equal_toIiEEiEE10hipError_tPvRmT2_T3_T4_T5_mT6_T7_P12ihipStream_tbENKUlT_T0_E_clISt17integral_constantIbLb0EESY_IbLb1EEEEDaSU_SV_EUlSU_E_NS1_11comp_targetILNS1_3genE8ELNS1_11target_archE1030ELNS1_3gpuE2ELNS1_3repE0EEENS1_30default_config_static_selectorELNS0_4arch9wavefront6targetE0EEEvT1_.has_indirect_call, 0
	.section	.AMDGPU.csdata,"",@progbits
; Kernel info:
; codeLenInByte = 6332
; TotalNumSgprs: 36
; NumVgprs: 42
; ScratchSize: 0
; MemoryBound: 0
; FloatMode: 240
; IeeeMode: 1
; LDSByteSize: 5120 bytes/workgroup (compile time only)
; SGPRBlocks: 0
; VGPRBlocks: 5
; NumSGPRsForWavesPerEU: 36
; NumVGPRsForWavesPerEU: 42
; Occupancy: 16
; WaveLimiterHint : 1
; COMPUTE_PGM_RSRC2:SCRATCH_EN: 0
; COMPUTE_PGM_RSRC2:USER_SGPR: 6
; COMPUTE_PGM_RSRC2:TRAP_HANDLER: 0
; COMPUTE_PGM_RSRC2:TGID_X_EN: 1
; COMPUTE_PGM_RSRC2:TGID_Y_EN: 0
; COMPUTE_PGM_RSRC2:TGID_Z_EN: 0
; COMPUTE_PGM_RSRC2:TIDIG_COMP_CNT: 0
	.section	.text._ZN6thrust23THRUST_200600_302600_NS11hip_rocprim14__parallel_for6kernelILj256ENS1_20__uninitialized_fill7functorINS0_10device_ptrIsEEsEEmLj1EEEvT0_T1_SA_,"axG",@progbits,_ZN6thrust23THRUST_200600_302600_NS11hip_rocprim14__parallel_for6kernelILj256ENS1_20__uninitialized_fill7functorINS0_10device_ptrIsEEsEEmLj1EEEvT0_T1_SA_,comdat
	.protected	_ZN6thrust23THRUST_200600_302600_NS11hip_rocprim14__parallel_for6kernelILj256ENS1_20__uninitialized_fill7functorINS0_10device_ptrIsEEsEEmLj1EEEvT0_T1_SA_ ; -- Begin function _ZN6thrust23THRUST_200600_302600_NS11hip_rocprim14__parallel_for6kernelILj256ENS1_20__uninitialized_fill7functorINS0_10device_ptrIsEEsEEmLj1EEEvT0_T1_SA_
	.globl	_ZN6thrust23THRUST_200600_302600_NS11hip_rocprim14__parallel_for6kernelILj256ENS1_20__uninitialized_fill7functorINS0_10device_ptrIsEEsEEmLj1EEEvT0_T1_SA_
	.p2align	8
	.type	_ZN6thrust23THRUST_200600_302600_NS11hip_rocprim14__parallel_for6kernelILj256ENS1_20__uninitialized_fill7functorINS0_10device_ptrIsEEsEEmLj1EEEvT0_T1_SA_,@function
_ZN6thrust23THRUST_200600_302600_NS11hip_rocprim14__parallel_for6kernelILj256ENS1_20__uninitialized_fill7functorINS0_10device_ptrIsEEsEEmLj1EEEvT0_T1_SA_: ; @_ZN6thrust23THRUST_200600_302600_NS11hip_rocprim14__parallel_for6kernelILj256ENS1_20__uninitialized_fill7functorINS0_10device_ptrIsEEsEEmLj1EEEvT0_T1_SA_
; %bb.0:
	s_clause 0x2
	s_load_dwordx4 s[8:11], s[4:5], 0x10
	s_load_dwordx2 s[0:1], s[4:5], 0x0
	s_load_dword s7, s[4:5], 0x8
	s_lshl_b32 s2, s6, 8
	s_waitcnt lgkmcnt(0)
	s_add_u32 s2, s10, s2
	s_addc_u32 s3, s11, 0
	s_sub_u32 s4, s8, s2
	s_subb_u32 s5, s9, s3
	v_cmp_lt_u64_e64 s5, 0xff, s[4:5]
	s_and_b32 vcc_lo, exec_lo, s5
	s_mov_b32 s5, -1
	s_cbranch_vccz .LBB236_3
; %bb.1:
	s_andn2_b32 vcc_lo, exec_lo, s5
	s_cbranch_vccz .LBB236_6
.LBB236_2:
	s_endpgm
.LBB236_3:
	v_cmp_gt_u32_e32 vcc_lo, s4, v0
	s_and_saveexec_b32 s4, vcc_lo
	s_cbranch_execz .LBB236_5
; %bb.4:
	v_lshlrev_b32_e32 v1, 1, v0
	s_lshl_b64 s[8:9], s[2:3], 1
	v_mov_b32_e32 v3, s7
	s_add_u32 s5, s0, s8
	s_addc_u32 s6, s1, s9
	v_add_co_u32 v1, s5, s5, v1
	v_add_co_ci_u32_e64 v2, null, s6, 0, s5
	flat_store_short v[1:2], v3
.LBB236_5:
	s_or_b32 exec_lo, exec_lo, s4
	s_cbranch_execnz .LBB236_2
.LBB236_6:
	v_lshlrev_b32_e32 v0, 1, v0
	s_lshl_b64 s[2:3], s[2:3], 1
	v_mov_b32_e32 v2, s7
	s_add_u32 s0, s0, s2
	s_addc_u32 s1, s1, s3
	v_add_co_u32 v0, s0, s0, v0
	v_add_co_ci_u32_e64 v1, null, s1, 0, s0
	flat_store_short v[0:1], v2
	s_endpgm
	.section	.rodata,"a",@progbits
	.p2align	6, 0x0
	.amdhsa_kernel _ZN6thrust23THRUST_200600_302600_NS11hip_rocprim14__parallel_for6kernelILj256ENS1_20__uninitialized_fill7functorINS0_10device_ptrIsEEsEEmLj1EEEvT0_T1_SA_
		.amdhsa_group_segment_fixed_size 0
		.amdhsa_private_segment_fixed_size 0
		.amdhsa_kernarg_size 32
		.amdhsa_user_sgpr_count 6
		.amdhsa_user_sgpr_private_segment_buffer 1
		.amdhsa_user_sgpr_dispatch_ptr 0
		.amdhsa_user_sgpr_queue_ptr 0
		.amdhsa_user_sgpr_kernarg_segment_ptr 1
		.amdhsa_user_sgpr_dispatch_id 0
		.amdhsa_user_sgpr_flat_scratch_init 0
		.amdhsa_user_sgpr_private_segment_size 0
		.amdhsa_wavefront_size32 1
		.amdhsa_uses_dynamic_stack 0
		.amdhsa_system_sgpr_private_segment_wavefront_offset 0
		.amdhsa_system_sgpr_workgroup_id_x 1
		.amdhsa_system_sgpr_workgroup_id_y 0
		.amdhsa_system_sgpr_workgroup_id_z 0
		.amdhsa_system_sgpr_workgroup_info 0
		.amdhsa_system_vgpr_workitem_id 0
		.amdhsa_next_free_vgpr 4
		.amdhsa_next_free_sgpr 12
		.amdhsa_reserve_vcc 1
		.amdhsa_reserve_flat_scratch 0
		.amdhsa_float_round_mode_32 0
		.amdhsa_float_round_mode_16_64 0
		.amdhsa_float_denorm_mode_32 3
		.amdhsa_float_denorm_mode_16_64 3
		.amdhsa_dx10_clamp 1
		.amdhsa_ieee_mode 1
		.amdhsa_fp16_overflow 0
		.amdhsa_workgroup_processor_mode 1
		.amdhsa_memory_ordered 1
		.amdhsa_forward_progress 1
		.amdhsa_shared_vgpr_count 0
		.amdhsa_exception_fp_ieee_invalid_op 0
		.amdhsa_exception_fp_denorm_src 0
		.amdhsa_exception_fp_ieee_div_zero 0
		.amdhsa_exception_fp_ieee_overflow 0
		.amdhsa_exception_fp_ieee_underflow 0
		.amdhsa_exception_fp_ieee_inexact 0
		.amdhsa_exception_int_div_zero 0
	.end_amdhsa_kernel
	.section	.text._ZN6thrust23THRUST_200600_302600_NS11hip_rocprim14__parallel_for6kernelILj256ENS1_20__uninitialized_fill7functorINS0_10device_ptrIsEEsEEmLj1EEEvT0_T1_SA_,"axG",@progbits,_ZN6thrust23THRUST_200600_302600_NS11hip_rocprim14__parallel_for6kernelILj256ENS1_20__uninitialized_fill7functorINS0_10device_ptrIsEEsEEmLj1EEEvT0_T1_SA_,comdat
.Lfunc_end236:
	.size	_ZN6thrust23THRUST_200600_302600_NS11hip_rocprim14__parallel_for6kernelILj256ENS1_20__uninitialized_fill7functorINS0_10device_ptrIsEEsEEmLj1EEEvT0_T1_SA_, .Lfunc_end236-_ZN6thrust23THRUST_200600_302600_NS11hip_rocprim14__parallel_for6kernelILj256ENS1_20__uninitialized_fill7functorINS0_10device_ptrIsEEsEEmLj1EEEvT0_T1_SA_
                                        ; -- End function
	.set _ZN6thrust23THRUST_200600_302600_NS11hip_rocprim14__parallel_for6kernelILj256ENS1_20__uninitialized_fill7functorINS0_10device_ptrIsEEsEEmLj1EEEvT0_T1_SA_.num_vgpr, 4
	.set _ZN6thrust23THRUST_200600_302600_NS11hip_rocprim14__parallel_for6kernelILj256ENS1_20__uninitialized_fill7functorINS0_10device_ptrIsEEsEEmLj1EEEvT0_T1_SA_.num_agpr, 0
	.set _ZN6thrust23THRUST_200600_302600_NS11hip_rocprim14__parallel_for6kernelILj256ENS1_20__uninitialized_fill7functorINS0_10device_ptrIsEEsEEmLj1EEEvT0_T1_SA_.numbered_sgpr, 12
	.set _ZN6thrust23THRUST_200600_302600_NS11hip_rocprim14__parallel_for6kernelILj256ENS1_20__uninitialized_fill7functorINS0_10device_ptrIsEEsEEmLj1EEEvT0_T1_SA_.num_named_barrier, 0
	.set _ZN6thrust23THRUST_200600_302600_NS11hip_rocprim14__parallel_for6kernelILj256ENS1_20__uninitialized_fill7functorINS0_10device_ptrIsEEsEEmLj1EEEvT0_T1_SA_.private_seg_size, 0
	.set _ZN6thrust23THRUST_200600_302600_NS11hip_rocprim14__parallel_for6kernelILj256ENS1_20__uninitialized_fill7functorINS0_10device_ptrIsEEsEEmLj1EEEvT0_T1_SA_.uses_vcc, 1
	.set _ZN6thrust23THRUST_200600_302600_NS11hip_rocprim14__parallel_for6kernelILj256ENS1_20__uninitialized_fill7functorINS0_10device_ptrIsEEsEEmLj1EEEvT0_T1_SA_.uses_flat_scratch, 0
	.set _ZN6thrust23THRUST_200600_302600_NS11hip_rocprim14__parallel_for6kernelILj256ENS1_20__uninitialized_fill7functorINS0_10device_ptrIsEEsEEmLj1EEEvT0_T1_SA_.has_dyn_sized_stack, 0
	.set _ZN6thrust23THRUST_200600_302600_NS11hip_rocprim14__parallel_for6kernelILj256ENS1_20__uninitialized_fill7functorINS0_10device_ptrIsEEsEEmLj1EEEvT0_T1_SA_.has_recursion, 0
	.set _ZN6thrust23THRUST_200600_302600_NS11hip_rocprim14__parallel_for6kernelILj256ENS1_20__uninitialized_fill7functorINS0_10device_ptrIsEEsEEmLj1EEEvT0_T1_SA_.has_indirect_call, 0
	.section	.AMDGPU.csdata,"",@progbits
; Kernel info:
; codeLenInByte = 200
; TotalNumSgprs: 14
; NumVgprs: 4
; ScratchSize: 0
; MemoryBound: 0
; FloatMode: 240
; IeeeMode: 1
; LDSByteSize: 0 bytes/workgroup (compile time only)
; SGPRBlocks: 0
; VGPRBlocks: 0
; NumSGPRsForWavesPerEU: 14
; NumVGPRsForWavesPerEU: 4
; Occupancy: 16
; WaveLimiterHint : 0
; COMPUTE_PGM_RSRC2:SCRATCH_EN: 0
; COMPUTE_PGM_RSRC2:USER_SGPR: 6
; COMPUTE_PGM_RSRC2:TRAP_HANDLER: 0
; COMPUTE_PGM_RSRC2:TGID_X_EN: 1
; COMPUTE_PGM_RSRC2:TGID_Y_EN: 0
; COMPUTE_PGM_RSRC2:TGID_Z_EN: 0
; COMPUTE_PGM_RSRC2:TIDIG_COMP_CNT: 0
	.section	.text._ZN7rocprim17ROCPRIM_400000_NS6detail30init_device_scan_by_key_kernelINS1_19lookback_scan_stateINS0_5tupleIJsbEEELb0ELb1EEEN6thrust23THRUST_200600_302600_NS6detail15normal_iteratorINS8_10device_ptrIsEEEEjNS1_16block_id_wrapperIjLb0EEEEEvT_jjPNSG_10value_typeET0_PNSt15iterator_traitsISJ_E10value_typeEmT1_T2_,"axG",@progbits,_ZN7rocprim17ROCPRIM_400000_NS6detail30init_device_scan_by_key_kernelINS1_19lookback_scan_stateINS0_5tupleIJsbEEELb0ELb1EEEN6thrust23THRUST_200600_302600_NS6detail15normal_iteratorINS8_10device_ptrIsEEEEjNS1_16block_id_wrapperIjLb0EEEEEvT_jjPNSG_10value_typeET0_PNSt15iterator_traitsISJ_E10value_typeEmT1_T2_,comdat
	.protected	_ZN7rocprim17ROCPRIM_400000_NS6detail30init_device_scan_by_key_kernelINS1_19lookback_scan_stateINS0_5tupleIJsbEEELb0ELb1EEEN6thrust23THRUST_200600_302600_NS6detail15normal_iteratorINS8_10device_ptrIsEEEEjNS1_16block_id_wrapperIjLb0EEEEEvT_jjPNSG_10value_typeET0_PNSt15iterator_traitsISJ_E10value_typeEmT1_T2_ ; -- Begin function _ZN7rocprim17ROCPRIM_400000_NS6detail30init_device_scan_by_key_kernelINS1_19lookback_scan_stateINS0_5tupleIJsbEEELb0ELb1EEEN6thrust23THRUST_200600_302600_NS6detail15normal_iteratorINS8_10device_ptrIsEEEEjNS1_16block_id_wrapperIjLb0EEEEEvT_jjPNSG_10value_typeET0_PNSt15iterator_traitsISJ_E10value_typeEmT1_T2_
	.globl	_ZN7rocprim17ROCPRIM_400000_NS6detail30init_device_scan_by_key_kernelINS1_19lookback_scan_stateINS0_5tupleIJsbEEELb0ELb1EEEN6thrust23THRUST_200600_302600_NS6detail15normal_iteratorINS8_10device_ptrIsEEEEjNS1_16block_id_wrapperIjLb0EEEEEvT_jjPNSG_10value_typeET0_PNSt15iterator_traitsISJ_E10value_typeEmT1_T2_
	.p2align	8
	.type	_ZN7rocprim17ROCPRIM_400000_NS6detail30init_device_scan_by_key_kernelINS1_19lookback_scan_stateINS0_5tupleIJsbEEELb0ELb1EEEN6thrust23THRUST_200600_302600_NS6detail15normal_iteratorINS8_10device_ptrIsEEEEjNS1_16block_id_wrapperIjLb0EEEEEvT_jjPNSG_10value_typeET0_PNSt15iterator_traitsISJ_E10value_typeEmT1_T2_,@function
_ZN7rocprim17ROCPRIM_400000_NS6detail30init_device_scan_by_key_kernelINS1_19lookback_scan_stateINS0_5tupleIJsbEEELb0ELb1EEEN6thrust23THRUST_200600_302600_NS6detail15normal_iteratorINS8_10device_ptrIsEEEEjNS1_16block_id_wrapperIjLb0EEEEEvT_jjPNSG_10value_typeET0_PNSt15iterator_traitsISJ_E10value_typeEmT1_T2_: ; @_ZN7rocprim17ROCPRIM_400000_NS6detail30init_device_scan_by_key_kernelINS1_19lookback_scan_stateINS0_5tupleIJsbEEELb0ELb1EEEN6thrust23THRUST_200600_302600_NS6detail15normal_iteratorINS8_10device_ptrIsEEEEjNS1_16block_id_wrapperIjLb0EEEEEvT_jjPNSG_10value_typeET0_PNSt15iterator_traitsISJ_E10value_typeEmT1_T2_
; %bb.0:
	s_clause 0x2
	s_load_dword s0, s[4:5], 0x44
	s_load_dwordx8 s[8:15], s[4:5], 0x0
	s_load_dword s7, s[4:5], 0x38
	s_waitcnt lgkmcnt(0)
	s_and_b32 s16, s0, 0xffff
	s_cmp_eq_u64 s[12:13], 0
	v_mad_u64_u32 v[0:1], null, s6, s16, v[0:1]
	s_cbranch_scc1 .LBB237_6
; %bb.1:
	s_cmp_lt_u32 s11, s10
	s_mov_b32 s1, 0
	s_cselect_b32 s0, s11, 0
	s_mov_b32 s2, exec_lo
	v_cmpx_eq_u32_e64 s0, v0
	s_cbranch_execz .LBB237_5
; %bb.2:
	s_add_i32 s0, s11, 32
	v_mov_b32_e32 v3, 0
	s_lshl_b64 s[0:1], s[0:1], 3
	s_add_u32 s0, s8, s0
	s_addc_u32 s1, s9, s1
	global_load_dwordx2 v[1:2], v3, s[0:1] glc dlc
	s_waitcnt vmcnt(0)
	v_and_b32_e32 v4, 0xff, v2
	v_cmp_ne_u64_e32 vcc_lo, 0, v[3:4]
	s_cbranch_vccnz .LBB237_4
.LBB237_3:                              ; =>This Inner Loop Header: Depth=1
	global_load_dwordx2 v[1:2], v3, s[0:1] glc dlc
	s_waitcnt vmcnt(0)
	v_and_b32_e32 v4, 0xff, v2
	v_cmp_eq_u64_e32 vcc_lo, 0, v[3:4]
	s_cbranch_vccnz .LBB237_3
.LBB237_4:
	v_mov_b32_e32 v2, 0
	global_store_short v2, v1, s[12:13]
	global_store_byte_d16_hi v2, v1, s[12:13] offset:2
.LBB237_5:
	s_or_b32 exec_lo, exec_lo, s2
.LBB237_6:
	s_mov_b32 s0, exec_lo
	v_cmpx_gt_u32_e64 s10, v0
	s_cbranch_execz .LBB237_8
; %bb.7:
	v_add_nc_u32_e32 v1, 32, v0
	v_mov_b32_e32 v2, 0
	v_lshlrev_b64 v[3:4], 3, v[1:2]
	v_mov_b32_e32 v1, v2
	v_add_co_u32 v3, vcc_lo, s8, v3
	v_add_co_ci_u32_e64 v4, null, s9, v4, vcc_lo
	global_store_dwordx2 v[3:4], v[1:2], off
.LBB237_8:
	s_or_b32 exec_lo, exec_lo, s0
	v_mov_b32_e32 v1, 0
	s_mov_b32 s0, exec_lo
	v_cmpx_gt_u32_e32 32, v0
	s_cbranch_execz .LBB237_10
; %bb.9:
	v_lshlrev_b64 v[2:3], 3, v[0:1]
	v_mov_b32_e32 v4, 0xff
	v_add_co_u32 v5, vcc_lo, s8, v2
	v_add_co_ci_u32_e64 v6, null, s9, v3, vcc_lo
	v_mov_b32_e32 v3, v1
	global_store_dwordx2 v[5:6], v[3:4], off
.LBB237_10:
	s_or_b32 exec_lo, exec_lo, s0
	s_load_dwordx2 s[2:3], s[4:5], 0x28
	s_mov_b32 s0, exec_lo
	s_waitcnt lgkmcnt(0)
	v_cmpx_gt_u64_e64 s[2:3], v[0:1]
	s_cbranch_execz .LBB237_13
; %bb.11:
	s_clause 0x1
	s_load_dword s6, s[4:5], 0x30
	s_load_dwordx2 s[8:9], s[4:5], 0x20
	s_mov_b32 s1, 0
	v_lshlrev_b64 v[4:5], 1, v[0:1]
	s_mul_i32 s4, s7, s16
	s_waitcnt lgkmcnt(0)
	v_mad_u64_u32 v[2:3], null, s6, v0, 0
	s_add_i32 s0, s6, -1
	s_mul_hi_u32 s7, s6, s4
	s_lshl_b64 s[10:11], s[0:1], 1
	s_mul_i32 s6, s6, s4
	s_add_u32 s0, s14, s10
	s_addc_u32 s5, s15, s11
	v_lshlrev_b64 v[2:3], 1, v[2:3]
	s_lshl_b64 s[6:7], s[6:7], 1
	v_add_co_u32 v2, vcc_lo, s0, v2
	v_add_co_ci_u32_e64 v3, null, s5, v3, vcc_lo
	v_add_co_u32 v4, vcc_lo, s8, v4
	v_add_co_ci_u32_e64 v5, null, s9, v5, vcc_lo
	s_mov_b32 s5, s1
	s_lshl_b64 s[8:9], s[4:5], 1
	.p2align	6
.LBB237_12:                             ; =>This Inner Loop Header: Depth=1
	global_load_ushort v6, v[2:3], off
	v_add_co_u32 v0, vcc_lo, v0, s4
	v_add_co_ci_u32_e64 v1, null, 0, v1, vcc_lo
	v_add_co_u32 v2, vcc_lo, v2, s6
	v_add_co_ci_u32_e64 v3, null, s7, v3, vcc_lo
	v_cmp_le_u64_e32 vcc_lo, s[2:3], v[0:1]
	s_or_b32 s1, vcc_lo, s1
	s_waitcnt vmcnt(0)
	global_store_short v[4:5], v6, off
	v_add_co_u32 v4, s0, v4, s8
	v_add_co_ci_u32_e64 v5, null, s9, v5, s0
	s_andn2_b32 exec_lo, exec_lo, s1
	s_cbranch_execnz .LBB237_12
.LBB237_13:
	s_endpgm
	.section	.rodata,"a",@progbits
	.p2align	6, 0x0
	.amdhsa_kernel _ZN7rocprim17ROCPRIM_400000_NS6detail30init_device_scan_by_key_kernelINS1_19lookback_scan_stateINS0_5tupleIJsbEEELb0ELb1EEEN6thrust23THRUST_200600_302600_NS6detail15normal_iteratorINS8_10device_ptrIsEEEEjNS1_16block_id_wrapperIjLb0EEEEEvT_jjPNSG_10value_typeET0_PNSt15iterator_traitsISJ_E10value_typeEmT1_T2_
		.amdhsa_group_segment_fixed_size 0
		.amdhsa_private_segment_fixed_size 0
		.amdhsa_kernarg_size 312
		.amdhsa_user_sgpr_count 6
		.amdhsa_user_sgpr_private_segment_buffer 1
		.amdhsa_user_sgpr_dispatch_ptr 0
		.amdhsa_user_sgpr_queue_ptr 0
		.amdhsa_user_sgpr_kernarg_segment_ptr 1
		.amdhsa_user_sgpr_dispatch_id 0
		.amdhsa_user_sgpr_flat_scratch_init 0
		.amdhsa_user_sgpr_private_segment_size 0
		.amdhsa_wavefront_size32 1
		.amdhsa_uses_dynamic_stack 0
		.amdhsa_system_sgpr_private_segment_wavefront_offset 0
		.amdhsa_system_sgpr_workgroup_id_x 1
		.amdhsa_system_sgpr_workgroup_id_y 0
		.amdhsa_system_sgpr_workgroup_id_z 0
		.amdhsa_system_sgpr_workgroup_info 0
		.amdhsa_system_vgpr_workitem_id 0
		.amdhsa_next_free_vgpr 7
		.amdhsa_next_free_sgpr 17
		.amdhsa_reserve_vcc 1
		.amdhsa_reserve_flat_scratch 0
		.amdhsa_float_round_mode_32 0
		.amdhsa_float_round_mode_16_64 0
		.amdhsa_float_denorm_mode_32 3
		.amdhsa_float_denorm_mode_16_64 3
		.amdhsa_dx10_clamp 1
		.amdhsa_ieee_mode 1
		.amdhsa_fp16_overflow 0
		.amdhsa_workgroup_processor_mode 1
		.amdhsa_memory_ordered 1
		.amdhsa_forward_progress 1
		.amdhsa_shared_vgpr_count 0
		.amdhsa_exception_fp_ieee_invalid_op 0
		.amdhsa_exception_fp_denorm_src 0
		.amdhsa_exception_fp_ieee_div_zero 0
		.amdhsa_exception_fp_ieee_overflow 0
		.amdhsa_exception_fp_ieee_underflow 0
		.amdhsa_exception_fp_ieee_inexact 0
		.amdhsa_exception_int_div_zero 0
	.end_amdhsa_kernel
	.section	.text._ZN7rocprim17ROCPRIM_400000_NS6detail30init_device_scan_by_key_kernelINS1_19lookback_scan_stateINS0_5tupleIJsbEEELb0ELb1EEEN6thrust23THRUST_200600_302600_NS6detail15normal_iteratorINS8_10device_ptrIsEEEEjNS1_16block_id_wrapperIjLb0EEEEEvT_jjPNSG_10value_typeET0_PNSt15iterator_traitsISJ_E10value_typeEmT1_T2_,"axG",@progbits,_ZN7rocprim17ROCPRIM_400000_NS6detail30init_device_scan_by_key_kernelINS1_19lookback_scan_stateINS0_5tupleIJsbEEELb0ELb1EEEN6thrust23THRUST_200600_302600_NS6detail15normal_iteratorINS8_10device_ptrIsEEEEjNS1_16block_id_wrapperIjLb0EEEEEvT_jjPNSG_10value_typeET0_PNSt15iterator_traitsISJ_E10value_typeEmT1_T2_,comdat
.Lfunc_end237:
	.size	_ZN7rocprim17ROCPRIM_400000_NS6detail30init_device_scan_by_key_kernelINS1_19lookback_scan_stateINS0_5tupleIJsbEEELb0ELb1EEEN6thrust23THRUST_200600_302600_NS6detail15normal_iteratorINS8_10device_ptrIsEEEEjNS1_16block_id_wrapperIjLb0EEEEEvT_jjPNSG_10value_typeET0_PNSt15iterator_traitsISJ_E10value_typeEmT1_T2_, .Lfunc_end237-_ZN7rocprim17ROCPRIM_400000_NS6detail30init_device_scan_by_key_kernelINS1_19lookback_scan_stateINS0_5tupleIJsbEEELb0ELb1EEEN6thrust23THRUST_200600_302600_NS6detail15normal_iteratorINS8_10device_ptrIsEEEEjNS1_16block_id_wrapperIjLb0EEEEEvT_jjPNSG_10value_typeET0_PNSt15iterator_traitsISJ_E10value_typeEmT1_T2_
                                        ; -- End function
	.set _ZN7rocprim17ROCPRIM_400000_NS6detail30init_device_scan_by_key_kernelINS1_19lookback_scan_stateINS0_5tupleIJsbEEELb0ELb1EEEN6thrust23THRUST_200600_302600_NS6detail15normal_iteratorINS8_10device_ptrIsEEEEjNS1_16block_id_wrapperIjLb0EEEEEvT_jjPNSG_10value_typeET0_PNSt15iterator_traitsISJ_E10value_typeEmT1_T2_.num_vgpr, 7
	.set _ZN7rocprim17ROCPRIM_400000_NS6detail30init_device_scan_by_key_kernelINS1_19lookback_scan_stateINS0_5tupleIJsbEEELb0ELb1EEEN6thrust23THRUST_200600_302600_NS6detail15normal_iteratorINS8_10device_ptrIsEEEEjNS1_16block_id_wrapperIjLb0EEEEEvT_jjPNSG_10value_typeET0_PNSt15iterator_traitsISJ_E10value_typeEmT1_T2_.num_agpr, 0
	.set _ZN7rocprim17ROCPRIM_400000_NS6detail30init_device_scan_by_key_kernelINS1_19lookback_scan_stateINS0_5tupleIJsbEEELb0ELb1EEEN6thrust23THRUST_200600_302600_NS6detail15normal_iteratorINS8_10device_ptrIsEEEEjNS1_16block_id_wrapperIjLb0EEEEEvT_jjPNSG_10value_typeET0_PNSt15iterator_traitsISJ_E10value_typeEmT1_T2_.numbered_sgpr, 17
	.set _ZN7rocprim17ROCPRIM_400000_NS6detail30init_device_scan_by_key_kernelINS1_19lookback_scan_stateINS0_5tupleIJsbEEELb0ELb1EEEN6thrust23THRUST_200600_302600_NS6detail15normal_iteratorINS8_10device_ptrIsEEEEjNS1_16block_id_wrapperIjLb0EEEEEvT_jjPNSG_10value_typeET0_PNSt15iterator_traitsISJ_E10value_typeEmT1_T2_.num_named_barrier, 0
	.set _ZN7rocprim17ROCPRIM_400000_NS6detail30init_device_scan_by_key_kernelINS1_19lookback_scan_stateINS0_5tupleIJsbEEELb0ELb1EEEN6thrust23THRUST_200600_302600_NS6detail15normal_iteratorINS8_10device_ptrIsEEEEjNS1_16block_id_wrapperIjLb0EEEEEvT_jjPNSG_10value_typeET0_PNSt15iterator_traitsISJ_E10value_typeEmT1_T2_.private_seg_size, 0
	.set _ZN7rocprim17ROCPRIM_400000_NS6detail30init_device_scan_by_key_kernelINS1_19lookback_scan_stateINS0_5tupleIJsbEEELb0ELb1EEEN6thrust23THRUST_200600_302600_NS6detail15normal_iteratorINS8_10device_ptrIsEEEEjNS1_16block_id_wrapperIjLb0EEEEEvT_jjPNSG_10value_typeET0_PNSt15iterator_traitsISJ_E10value_typeEmT1_T2_.uses_vcc, 1
	.set _ZN7rocprim17ROCPRIM_400000_NS6detail30init_device_scan_by_key_kernelINS1_19lookback_scan_stateINS0_5tupleIJsbEEELb0ELb1EEEN6thrust23THRUST_200600_302600_NS6detail15normal_iteratorINS8_10device_ptrIsEEEEjNS1_16block_id_wrapperIjLb0EEEEEvT_jjPNSG_10value_typeET0_PNSt15iterator_traitsISJ_E10value_typeEmT1_T2_.uses_flat_scratch, 0
	.set _ZN7rocprim17ROCPRIM_400000_NS6detail30init_device_scan_by_key_kernelINS1_19lookback_scan_stateINS0_5tupleIJsbEEELb0ELb1EEEN6thrust23THRUST_200600_302600_NS6detail15normal_iteratorINS8_10device_ptrIsEEEEjNS1_16block_id_wrapperIjLb0EEEEEvT_jjPNSG_10value_typeET0_PNSt15iterator_traitsISJ_E10value_typeEmT1_T2_.has_dyn_sized_stack, 0
	.set _ZN7rocprim17ROCPRIM_400000_NS6detail30init_device_scan_by_key_kernelINS1_19lookback_scan_stateINS0_5tupleIJsbEEELb0ELb1EEEN6thrust23THRUST_200600_302600_NS6detail15normal_iteratorINS8_10device_ptrIsEEEEjNS1_16block_id_wrapperIjLb0EEEEEvT_jjPNSG_10value_typeET0_PNSt15iterator_traitsISJ_E10value_typeEmT1_T2_.has_recursion, 0
	.set _ZN7rocprim17ROCPRIM_400000_NS6detail30init_device_scan_by_key_kernelINS1_19lookback_scan_stateINS0_5tupleIJsbEEELb0ELb1EEEN6thrust23THRUST_200600_302600_NS6detail15normal_iteratorINS8_10device_ptrIsEEEEjNS1_16block_id_wrapperIjLb0EEEEEvT_jjPNSG_10value_typeET0_PNSt15iterator_traitsISJ_E10value_typeEmT1_T2_.has_indirect_call, 0
	.section	.AMDGPU.csdata,"",@progbits
; Kernel info:
; codeLenInByte = 600
; TotalNumSgprs: 19
; NumVgprs: 7
; ScratchSize: 0
; MemoryBound: 0
; FloatMode: 240
; IeeeMode: 1
; LDSByteSize: 0 bytes/workgroup (compile time only)
; SGPRBlocks: 0
; VGPRBlocks: 0
; NumSGPRsForWavesPerEU: 19
; NumVGPRsForWavesPerEU: 7
; Occupancy: 16
; WaveLimiterHint : 0
; COMPUTE_PGM_RSRC2:SCRATCH_EN: 0
; COMPUTE_PGM_RSRC2:USER_SGPR: 6
; COMPUTE_PGM_RSRC2:TRAP_HANDLER: 0
; COMPUTE_PGM_RSRC2:TGID_X_EN: 1
; COMPUTE_PGM_RSRC2:TGID_Y_EN: 0
; COMPUTE_PGM_RSRC2:TGID_Z_EN: 0
; COMPUTE_PGM_RSRC2:TIDIG_COMP_CNT: 0
	.section	.text._ZN7rocprim17ROCPRIM_400000_NS6detail30init_device_scan_by_key_kernelINS1_19lookback_scan_stateINS0_5tupleIJsbEEELb0ELb1EEENS1_16block_id_wrapperIjLb0EEEEEvT_jjPNS9_10value_typeET0_,"axG",@progbits,_ZN7rocprim17ROCPRIM_400000_NS6detail30init_device_scan_by_key_kernelINS1_19lookback_scan_stateINS0_5tupleIJsbEEELb0ELb1EEENS1_16block_id_wrapperIjLb0EEEEEvT_jjPNS9_10value_typeET0_,comdat
	.protected	_ZN7rocprim17ROCPRIM_400000_NS6detail30init_device_scan_by_key_kernelINS1_19lookback_scan_stateINS0_5tupleIJsbEEELb0ELb1EEENS1_16block_id_wrapperIjLb0EEEEEvT_jjPNS9_10value_typeET0_ ; -- Begin function _ZN7rocprim17ROCPRIM_400000_NS6detail30init_device_scan_by_key_kernelINS1_19lookback_scan_stateINS0_5tupleIJsbEEELb0ELb1EEENS1_16block_id_wrapperIjLb0EEEEEvT_jjPNS9_10value_typeET0_
	.globl	_ZN7rocprim17ROCPRIM_400000_NS6detail30init_device_scan_by_key_kernelINS1_19lookback_scan_stateINS0_5tupleIJsbEEELb0ELb1EEENS1_16block_id_wrapperIjLb0EEEEEvT_jjPNS9_10value_typeET0_
	.p2align	8
	.type	_ZN7rocprim17ROCPRIM_400000_NS6detail30init_device_scan_by_key_kernelINS1_19lookback_scan_stateINS0_5tupleIJsbEEELb0ELb1EEENS1_16block_id_wrapperIjLb0EEEEEvT_jjPNS9_10value_typeET0_,@function
_ZN7rocprim17ROCPRIM_400000_NS6detail30init_device_scan_by_key_kernelINS1_19lookback_scan_stateINS0_5tupleIJsbEEELb0ELb1EEENS1_16block_id_wrapperIjLb0EEEEEvT_jjPNS9_10value_typeET0_: ; @_ZN7rocprim17ROCPRIM_400000_NS6detail30init_device_scan_by_key_kernelINS1_19lookback_scan_stateINS0_5tupleIJsbEEELb0ELb1EEENS1_16block_id_wrapperIjLb0EEEEEvT_jjPNS9_10value_typeET0_
; %bb.0:
	s_clause 0x2
	s_load_dword s7, s[4:5], 0x2c
	s_load_dwordx2 s[8:9], s[4:5], 0x10
	s_load_dwordx4 s[0:3], s[4:5], 0x0
	s_waitcnt lgkmcnt(0)
	s_and_b32 s4, s7, 0xffff
	s_cmp_eq_u64 s[8:9], 0
	v_mad_u64_u32 v[0:1], null, s6, s4, v[0:1]
	s_cbranch_scc1 .LBB238_6
; %bb.1:
	s_cmp_lt_u32 s3, s2
	s_mov_b32 s5, 0
	s_cselect_b32 s4, s3, 0
	s_mov_b32 s6, exec_lo
	v_cmpx_eq_u32_e64 s4, v0
	s_cbranch_execz .LBB238_5
; %bb.2:
	s_add_i32 s4, s3, 32
	v_mov_b32_e32 v3, 0
	s_lshl_b64 s[4:5], s[4:5], 3
	s_add_u32 s4, s0, s4
	s_addc_u32 s5, s1, s5
	global_load_dwordx2 v[1:2], v3, s[4:5] glc dlc
	s_waitcnt vmcnt(0)
	v_and_b32_e32 v4, 0xff, v2
	v_cmp_ne_u64_e32 vcc_lo, 0, v[3:4]
	s_cbranch_vccnz .LBB238_4
.LBB238_3:                              ; =>This Inner Loop Header: Depth=1
	global_load_dwordx2 v[1:2], v3, s[4:5] glc dlc
	s_waitcnt vmcnt(0)
	v_and_b32_e32 v4, 0xff, v2
	v_cmp_eq_u64_e32 vcc_lo, 0, v[3:4]
	s_cbranch_vccnz .LBB238_3
.LBB238_4:
	v_mov_b32_e32 v2, 0
	global_store_short v2, v1, s[8:9]
	global_store_byte_d16_hi v2, v1, s[8:9] offset:2
.LBB238_5:
	s_or_b32 exec_lo, exec_lo, s6
.LBB238_6:
	v_cmp_gt_u32_e32 vcc_lo, s2, v0
	s_and_saveexec_b32 s2, vcc_lo
	s_cbranch_execz .LBB238_8
; %bb.7:
	v_add_nc_u32_e32 v1, 32, v0
	v_mov_b32_e32 v2, 0
	v_lshlrev_b64 v[3:4], 3, v[1:2]
	v_mov_b32_e32 v1, v2
	v_add_co_u32 v3, vcc_lo, s0, v3
	v_add_co_ci_u32_e64 v4, null, s1, v4, vcc_lo
	global_store_dwordx2 v[3:4], v[1:2], off
.LBB238_8:
	s_or_b32 exec_lo, exec_lo, s2
	s_mov_b32 s2, exec_lo
	v_cmpx_gt_u32_e32 32, v0
	s_cbranch_execz .LBB238_10
; %bb.9:
	v_mov_b32_e32 v1, 0
	v_mov_b32_e32 v4, 0xff
	v_lshlrev_b64 v[2:3], 3, v[0:1]
	v_add_co_u32 v5, vcc_lo, s0, v2
	v_add_co_ci_u32_e64 v6, null, s1, v3, vcc_lo
	v_mov_b32_e32 v3, v1
	global_store_dwordx2 v[5:6], v[3:4], off
.LBB238_10:
	s_endpgm
	.section	.rodata,"a",@progbits
	.p2align	6, 0x0
	.amdhsa_kernel _ZN7rocprim17ROCPRIM_400000_NS6detail30init_device_scan_by_key_kernelINS1_19lookback_scan_stateINS0_5tupleIJsbEEELb0ELb1EEENS1_16block_id_wrapperIjLb0EEEEEvT_jjPNS9_10value_typeET0_
		.amdhsa_group_segment_fixed_size 0
		.amdhsa_private_segment_fixed_size 0
		.amdhsa_kernarg_size 288
		.amdhsa_user_sgpr_count 6
		.amdhsa_user_sgpr_private_segment_buffer 1
		.amdhsa_user_sgpr_dispatch_ptr 0
		.amdhsa_user_sgpr_queue_ptr 0
		.amdhsa_user_sgpr_kernarg_segment_ptr 1
		.amdhsa_user_sgpr_dispatch_id 0
		.amdhsa_user_sgpr_flat_scratch_init 0
		.amdhsa_user_sgpr_private_segment_size 0
		.amdhsa_wavefront_size32 1
		.amdhsa_uses_dynamic_stack 0
		.amdhsa_system_sgpr_private_segment_wavefront_offset 0
		.amdhsa_system_sgpr_workgroup_id_x 1
		.amdhsa_system_sgpr_workgroup_id_y 0
		.amdhsa_system_sgpr_workgroup_id_z 0
		.amdhsa_system_sgpr_workgroup_info 0
		.amdhsa_system_vgpr_workitem_id 0
		.amdhsa_next_free_vgpr 7
		.amdhsa_next_free_sgpr 10
		.amdhsa_reserve_vcc 1
		.amdhsa_reserve_flat_scratch 0
		.amdhsa_float_round_mode_32 0
		.amdhsa_float_round_mode_16_64 0
		.amdhsa_float_denorm_mode_32 3
		.amdhsa_float_denorm_mode_16_64 3
		.amdhsa_dx10_clamp 1
		.amdhsa_ieee_mode 1
		.amdhsa_fp16_overflow 0
		.amdhsa_workgroup_processor_mode 1
		.amdhsa_memory_ordered 1
		.amdhsa_forward_progress 1
		.amdhsa_shared_vgpr_count 0
		.amdhsa_exception_fp_ieee_invalid_op 0
		.amdhsa_exception_fp_denorm_src 0
		.amdhsa_exception_fp_ieee_div_zero 0
		.amdhsa_exception_fp_ieee_overflow 0
		.amdhsa_exception_fp_ieee_underflow 0
		.amdhsa_exception_fp_ieee_inexact 0
		.amdhsa_exception_int_div_zero 0
	.end_amdhsa_kernel
	.section	.text._ZN7rocprim17ROCPRIM_400000_NS6detail30init_device_scan_by_key_kernelINS1_19lookback_scan_stateINS0_5tupleIJsbEEELb0ELb1EEENS1_16block_id_wrapperIjLb0EEEEEvT_jjPNS9_10value_typeET0_,"axG",@progbits,_ZN7rocprim17ROCPRIM_400000_NS6detail30init_device_scan_by_key_kernelINS1_19lookback_scan_stateINS0_5tupleIJsbEEELb0ELb1EEENS1_16block_id_wrapperIjLb0EEEEEvT_jjPNS9_10value_typeET0_,comdat
.Lfunc_end238:
	.size	_ZN7rocprim17ROCPRIM_400000_NS6detail30init_device_scan_by_key_kernelINS1_19lookback_scan_stateINS0_5tupleIJsbEEELb0ELb1EEENS1_16block_id_wrapperIjLb0EEEEEvT_jjPNS9_10value_typeET0_, .Lfunc_end238-_ZN7rocprim17ROCPRIM_400000_NS6detail30init_device_scan_by_key_kernelINS1_19lookback_scan_stateINS0_5tupleIJsbEEELb0ELb1EEENS1_16block_id_wrapperIjLb0EEEEEvT_jjPNS9_10value_typeET0_
                                        ; -- End function
	.set _ZN7rocprim17ROCPRIM_400000_NS6detail30init_device_scan_by_key_kernelINS1_19lookback_scan_stateINS0_5tupleIJsbEEELb0ELb1EEENS1_16block_id_wrapperIjLb0EEEEEvT_jjPNS9_10value_typeET0_.num_vgpr, 7
	.set _ZN7rocprim17ROCPRIM_400000_NS6detail30init_device_scan_by_key_kernelINS1_19lookback_scan_stateINS0_5tupleIJsbEEELb0ELb1EEENS1_16block_id_wrapperIjLb0EEEEEvT_jjPNS9_10value_typeET0_.num_agpr, 0
	.set _ZN7rocprim17ROCPRIM_400000_NS6detail30init_device_scan_by_key_kernelINS1_19lookback_scan_stateINS0_5tupleIJsbEEELb0ELb1EEENS1_16block_id_wrapperIjLb0EEEEEvT_jjPNS9_10value_typeET0_.numbered_sgpr, 10
	.set _ZN7rocprim17ROCPRIM_400000_NS6detail30init_device_scan_by_key_kernelINS1_19lookback_scan_stateINS0_5tupleIJsbEEELb0ELb1EEENS1_16block_id_wrapperIjLb0EEEEEvT_jjPNS9_10value_typeET0_.num_named_barrier, 0
	.set _ZN7rocprim17ROCPRIM_400000_NS6detail30init_device_scan_by_key_kernelINS1_19lookback_scan_stateINS0_5tupleIJsbEEELb0ELb1EEENS1_16block_id_wrapperIjLb0EEEEEvT_jjPNS9_10value_typeET0_.private_seg_size, 0
	.set _ZN7rocprim17ROCPRIM_400000_NS6detail30init_device_scan_by_key_kernelINS1_19lookback_scan_stateINS0_5tupleIJsbEEELb0ELb1EEENS1_16block_id_wrapperIjLb0EEEEEvT_jjPNS9_10value_typeET0_.uses_vcc, 1
	.set _ZN7rocprim17ROCPRIM_400000_NS6detail30init_device_scan_by_key_kernelINS1_19lookback_scan_stateINS0_5tupleIJsbEEELb0ELb1EEENS1_16block_id_wrapperIjLb0EEEEEvT_jjPNS9_10value_typeET0_.uses_flat_scratch, 0
	.set _ZN7rocprim17ROCPRIM_400000_NS6detail30init_device_scan_by_key_kernelINS1_19lookback_scan_stateINS0_5tupleIJsbEEELb0ELb1EEENS1_16block_id_wrapperIjLb0EEEEEvT_jjPNS9_10value_typeET0_.has_dyn_sized_stack, 0
	.set _ZN7rocprim17ROCPRIM_400000_NS6detail30init_device_scan_by_key_kernelINS1_19lookback_scan_stateINS0_5tupleIJsbEEELb0ELb1EEENS1_16block_id_wrapperIjLb0EEEEEvT_jjPNS9_10value_typeET0_.has_recursion, 0
	.set _ZN7rocprim17ROCPRIM_400000_NS6detail30init_device_scan_by_key_kernelINS1_19lookback_scan_stateINS0_5tupleIJsbEEELb0ELb1EEENS1_16block_id_wrapperIjLb0EEEEEvT_jjPNS9_10value_typeET0_.has_indirect_call, 0
	.section	.AMDGPU.csdata,"",@progbits
; Kernel info:
; codeLenInByte = 308
; TotalNumSgprs: 12
; NumVgprs: 7
; ScratchSize: 0
; MemoryBound: 0
; FloatMode: 240
; IeeeMode: 1
; LDSByteSize: 0 bytes/workgroup (compile time only)
; SGPRBlocks: 0
; VGPRBlocks: 0
; NumSGPRsForWavesPerEU: 12
; NumVGPRsForWavesPerEU: 7
; Occupancy: 16
; WaveLimiterHint : 0
; COMPUTE_PGM_RSRC2:SCRATCH_EN: 0
; COMPUTE_PGM_RSRC2:USER_SGPR: 6
; COMPUTE_PGM_RSRC2:TRAP_HANDLER: 0
; COMPUTE_PGM_RSRC2:TGID_X_EN: 1
; COMPUTE_PGM_RSRC2:TGID_Y_EN: 0
; COMPUTE_PGM_RSRC2:TGID_Z_EN: 0
; COMPUTE_PGM_RSRC2:TIDIG_COMP_CNT: 0
	.section	.text._ZN7rocprim17ROCPRIM_400000_NS6detail17trampoline_kernelINS0_14default_configENS1_27scan_by_key_config_selectorIssEEZZNS1_16scan_by_key_implILNS1_25lookback_scan_determinismE0ELb0ES3_N6thrust23THRUST_200600_302600_NS6detail15normal_iteratorINS9_10device_ptrIsEEEESE_SE_sNS9_4plusIvEENS9_8equal_toIvEEsEE10hipError_tPvRmT2_T3_T4_T5_mT6_T7_P12ihipStream_tbENKUlT_T0_E_clISt17integral_constantIbLb0EESZ_EEDaSU_SV_EUlSU_E_NS1_11comp_targetILNS1_3genE0ELNS1_11target_archE4294967295ELNS1_3gpuE0ELNS1_3repE0EEENS1_30default_config_static_selectorELNS0_4arch9wavefront6targetE0EEEvT1_,"axG",@progbits,_ZN7rocprim17ROCPRIM_400000_NS6detail17trampoline_kernelINS0_14default_configENS1_27scan_by_key_config_selectorIssEEZZNS1_16scan_by_key_implILNS1_25lookback_scan_determinismE0ELb0ES3_N6thrust23THRUST_200600_302600_NS6detail15normal_iteratorINS9_10device_ptrIsEEEESE_SE_sNS9_4plusIvEENS9_8equal_toIvEEsEE10hipError_tPvRmT2_T3_T4_T5_mT6_T7_P12ihipStream_tbENKUlT_T0_E_clISt17integral_constantIbLb0EESZ_EEDaSU_SV_EUlSU_E_NS1_11comp_targetILNS1_3genE0ELNS1_11target_archE4294967295ELNS1_3gpuE0ELNS1_3repE0EEENS1_30default_config_static_selectorELNS0_4arch9wavefront6targetE0EEEvT1_,comdat
	.protected	_ZN7rocprim17ROCPRIM_400000_NS6detail17trampoline_kernelINS0_14default_configENS1_27scan_by_key_config_selectorIssEEZZNS1_16scan_by_key_implILNS1_25lookback_scan_determinismE0ELb0ES3_N6thrust23THRUST_200600_302600_NS6detail15normal_iteratorINS9_10device_ptrIsEEEESE_SE_sNS9_4plusIvEENS9_8equal_toIvEEsEE10hipError_tPvRmT2_T3_T4_T5_mT6_T7_P12ihipStream_tbENKUlT_T0_E_clISt17integral_constantIbLb0EESZ_EEDaSU_SV_EUlSU_E_NS1_11comp_targetILNS1_3genE0ELNS1_11target_archE4294967295ELNS1_3gpuE0ELNS1_3repE0EEENS1_30default_config_static_selectorELNS0_4arch9wavefront6targetE0EEEvT1_ ; -- Begin function _ZN7rocprim17ROCPRIM_400000_NS6detail17trampoline_kernelINS0_14default_configENS1_27scan_by_key_config_selectorIssEEZZNS1_16scan_by_key_implILNS1_25lookback_scan_determinismE0ELb0ES3_N6thrust23THRUST_200600_302600_NS6detail15normal_iteratorINS9_10device_ptrIsEEEESE_SE_sNS9_4plusIvEENS9_8equal_toIvEEsEE10hipError_tPvRmT2_T3_T4_T5_mT6_T7_P12ihipStream_tbENKUlT_T0_E_clISt17integral_constantIbLb0EESZ_EEDaSU_SV_EUlSU_E_NS1_11comp_targetILNS1_3genE0ELNS1_11target_archE4294967295ELNS1_3gpuE0ELNS1_3repE0EEENS1_30default_config_static_selectorELNS0_4arch9wavefront6targetE0EEEvT1_
	.globl	_ZN7rocprim17ROCPRIM_400000_NS6detail17trampoline_kernelINS0_14default_configENS1_27scan_by_key_config_selectorIssEEZZNS1_16scan_by_key_implILNS1_25lookback_scan_determinismE0ELb0ES3_N6thrust23THRUST_200600_302600_NS6detail15normal_iteratorINS9_10device_ptrIsEEEESE_SE_sNS9_4plusIvEENS9_8equal_toIvEEsEE10hipError_tPvRmT2_T3_T4_T5_mT6_T7_P12ihipStream_tbENKUlT_T0_E_clISt17integral_constantIbLb0EESZ_EEDaSU_SV_EUlSU_E_NS1_11comp_targetILNS1_3genE0ELNS1_11target_archE4294967295ELNS1_3gpuE0ELNS1_3repE0EEENS1_30default_config_static_selectorELNS0_4arch9wavefront6targetE0EEEvT1_
	.p2align	8
	.type	_ZN7rocprim17ROCPRIM_400000_NS6detail17trampoline_kernelINS0_14default_configENS1_27scan_by_key_config_selectorIssEEZZNS1_16scan_by_key_implILNS1_25lookback_scan_determinismE0ELb0ES3_N6thrust23THRUST_200600_302600_NS6detail15normal_iteratorINS9_10device_ptrIsEEEESE_SE_sNS9_4plusIvEENS9_8equal_toIvEEsEE10hipError_tPvRmT2_T3_T4_T5_mT6_T7_P12ihipStream_tbENKUlT_T0_E_clISt17integral_constantIbLb0EESZ_EEDaSU_SV_EUlSU_E_NS1_11comp_targetILNS1_3genE0ELNS1_11target_archE4294967295ELNS1_3gpuE0ELNS1_3repE0EEENS1_30default_config_static_selectorELNS0_4arch9wavefront6targetE0EEEvT1_,@function
_ZN7rocprim17ROCPRIM_400000_NS6detail17trampoline_kernelINS0_14default_configENS1_27scan_by_key_config_selectorIssEEZZNS1_16scan_by_key_implILNS1_25lookback_scan_determinismE0ELb0ES3_N6thrust23THRUST_200600_302600_NS6detail15normal_iteratorINS9_10device_ptrIsEEEESE_SE_sNS9_4plusIvEENS9_8equal_toIvEEsEE10hipError_tPvRmT2_T3_T4_T5_mT6_T7_P12ihipStream_tbENKUlT_T0_E_clISt17integral_constantIbLb0EESZ_EEDaSU_SV_EUlSU_E_NS1_11comp_targetILNS1_3genE0ELNS1_11target_archE4294967295ELNS1_3gpuE0ELNS1_3repE0EEENS1_30default_config_static_selectorELNS0_4arch9wavefront6targetE0EEEvT1_: ; @_ZN7rocprim17ROCPRIM_400000_NS6detail17trampoline_kernelINS0_14default_configENS1_27scan_by_key_config_selectorIssEEZZNS1_16scan_by_key_implILNS1_25lookback_scan_determinismE0ELb0ES3_N6thrust23THRUST_200600_302600_NS6detail15normal_iteratorINS9_10device_ptrIsEEEESE_SE_sNS9_4plusIvEENS9_8equal_toIvEEsEE10hipError_tPvRmT2_T3_T4_T5_mT6_T7_P12ihipStream_tbENKUlT_T0_E_clISt17integral_constantIbLb0EESZ_EEDaSU_SV_EUlSU_E_NS1_11comp_targetILNS1_3genE0ELNS1_11target_archE4294967295ELNS1_3gpuE0ELNS1_3repE0EEENS1_30default_config_static_selectorELNS0_4arch9wavefront6targetE0EEEvT1_
; %bb.0:
	.section	.rodata,"a",@progbits
	.p2align	6, 0x0
	.amdhsa_kernel _ZN7rocprim17ROCPRIM_400000_NS6detail17trampoline_kernelINS0_14default_configENS1_27scan_by_key_config_selectorIssEEZZNS1_16scan_by_key_implILNS1_25lookback_scan_determinismE0ELb0ES3_N6thrust23THRUST_200600_302600_NS6detail15normal_iteratorINS9_10device_ptrIsEEEESE_SE_sNS9_4plusIvEENS9_8equal_toIvEEsEE10hipError_tPvRmT2_T3_T4_T5_mT6_T7_P12ihipStream_tbENKUlT_T0_E_clISt17integral_constantIbLb0EESZ_EEDaSU_SV_EUlSU_E_NS1_11comp_targetILNS1_3genE0ELNS1_11target_archE4294967295ELNS1_3gpuE0ELNS1_3repE0EEENS1_30default_config_static_selectorELNS0_4arch9wavefront6targetE0EEEvT1_
		.amdhsa_group_segment_fixed_size 0
		.amdhsa_private_segment_fixed_size 0
		.amdhsa_kernarg_size 112
		.amdhsa_user_sgpr_count 6
		.amdhsa_user_sgpr_private_segment_buffer 1
		.amdhsa_user_sgpr_dispatch_ptr 0
		.amdhsa_user_sgpr_queue_ptr 0
		.amdhsa_user_sgpr_kernarg_segment_ptr 1
		.amdhsa_user_sgpr_dispatch_id 0
		.amdhsa_user_sgpr_flat_scratch_init 0
		.amdhsa_user_sgpr_private_segment_size 0
		.amdhsa_wavefront_size32 1
		.amdhsa_uses_dynamic_stack 0
		.amdhsa_system_sgpr_private_segment_wavefront_offset 0
		.amdhsa_system_sgpr_workgroup_id_x 1
		.amdhsa_system_sgpr_workgroup_id_y 0
		.amdhsa_system_sgpr_workgroup_id_z 0
		.amdhsa_system_sgpr_workgroup_info 0
		.amdhsa_system_vgpr_workitem_id 0
		.amdhsa_next_free_vgpr 1
		.amdhsa_next_free_sgpr 1
		.amdhsa_reserve_vcc 0
		.amdhsa_reserve_flat_scratch 0
		.amdhsa_float_round_mode_32 0
		.amdhsa_float_round_mode_16_64 0
		.amdhsa_float_denorm_mode_32 3
		.amdhsa_float_denorm_mode_16_64 3
		.amdhsa_dx10_clamp 1
		.amdhsa_ieee_mode 1
		.amdhsa_fp16_overflow 0
		.amdhsa_workgroup_processor_mode 1
		.amdhsa_memory_ordered 1
		.amdhsa_forward_progress 1
		.amdhsa_shared_vgpr_count 0
		.amdhsa_exception_fp_ieee_invalid_op 0
		.amdhsa_exception_fp_denorm_src 0
		.amdhsa_exception_fp_ieee_div_zero 0
		.amdhsa_exception_fp_ieee_overflow 0
		.amdhsa_exception_fp_ieee_underflow 0
		.amdhsa_exception_fp_ieee_inexact 0
		.amdhsa_exception_int_div_zero 0
	.end_amdhsa_kernel
	.section	.text._ZN7rocprim17ROCPRIM_400000_NS6detail17trampoline_kernelINS0_14default_configENS1_27scan_by_key_config_selectorIssEEZZNS1_16scan_by_key_implILNS1_25lookback_scan_determinismE0ELb0ES3_N6thrust23THRUST_200600_302600_NS6detail15normal_iteratorINS9_10device_ptrIsEEEESE_SE_sNS9_4plusIvEENS9_8equal_toIvEEsEE10hipError_tPvRmT2_T3_T4_T5_mT6_T7_P12ihipStream_tbENKUlT_T0_E_clISt17integral_constantIbLb0EESZ_EEDaSU_SV_EUlSU_E_NS1_11comp_targetILNS1_3genE0ELNS1_11target_archE4294967295ELNS1_3gpuE0ELNS1_3repE0EEENS1_30default_config_static_selectorELNS0_4arch9wavefront6targetE0EEEvT1_,"axG",@progbits,_ZN7rocprim17ROCPRIM_400000_NS6detail17trampoline_kernelINS0_14default_configENS1_27scan_by_key_config_selectorIssEEZZNS1_16scan_by_key_implILNS1_25lookback_scan_determinismE0ELb0ES3_N6thrust23THRUST_200600_302600_NS6detail15normal_iteratorINS9_10device_ptrIsEEEESE_SE_sNS9_4plusIvEENS9_8equal_toIvEEsEE10hipError_tPvRmT2_T3_T4_T5_mT6_T7_P12ihipStream_tbENKUlT_T0_E_clISt17integral_constantIbLb0EESZ_EEDaSU_SV_EUlSU_E_NS1_11comp_targetILNS1_3genE0ELNS1_11target_archE4294967295ELNS1_3gpuE0ELNS1_3repE0EEENS1_30default_config_static_selectorELNS0_4arch9wavefront6targetE0EEEvT1_,comdat
.Lfunc_end239:
	.size	_ZN7rocprim17ROCPRIM_400000_NS6detail17trampoline_kernelINS0_14default_configENS1_27scan_by_key_config_selectorIssEEZZNS1_16scan_by_key_implILNS1_25lookback_scan_determinismE0ELb0ES3_N6thrust23THRUST_200600_302600_NS6detail15normal_iteratorINS9_10device_ptrIsEEEESE_SE_sNS9_4plusIvEENS9_8equal_toIvEEsEE10hipError_tPvRmT2_T3_T4_T5_mT6_T7_P12ihipStream_tbENKUlT_T0_E_clISt17integral_constantIbLb0EESZ_EEDaSU_SV_EUlSU_E_NS1_11comp_targetILNS1_3genE0ELNS1_11target_archE4294967295ELNS1_3gpuE0ELNS1_3repE0EEENS1_30default_config_static_selectorELNS0_4arch9wavefront6targetE0EEEvT1_, .Lfunc_end239-_ZN7rocprim17ROCPRIM_400000_NS6detail17trampoline_kernelINS0_14default_configENS1_27scan_by_key_config_selectorIssEEZZNS1_16scan_by_key_implILNS1_25lookback_scan_determinismE0ELb0ES3_N6thrust23THRUST_200600_302600_NS6detail15normal_iteratorINS9_10device_ptrIsEEEESE_SE_sNS9_4plusIvEENS9_8equal_toIvEEsEE10hipError_tPvRmT2_T3_T4_T5_mT6_T7_P12ihipStream_tbENKUlT_T0_E_clISt17integral_constantIbLb0EESZ_EEDaSU_SV_EUlSU_E_NS1_11comp_targetILNS1_3genE0ELNS1_11target_archE4294967295ELNS1_3gpuE0ELNS1_3repE0EEENS1_30default_config_static_selectorELNS0_4arch9wavefront6targetE0EEEvT1_
                                        ; -- End function
	.set _ZN7rocprim17ROCPRIM_400000_NS6detail17trampoline_kernelINS0_14default_configENS1_27scan_by_key_config_selectorIssEEZZNS1_16scan_by_key_implILNS1_25lookback_scan_determinismE0ELb0ES3_N6thrust23THRUST_200600_302600_NS6detail15normal_iteratorINS9_10device_ptrIsEEEESE_SE_sNS9_4plusIvEENS9_8equal_toIvEEsEE10hipError_tPvRmT2_T3_T4_T5_mT6_T7_P12ihipStream_tbENKUlT_T0_E_clISt17integral_constantIbLb0EESZ_EEDaSU_SV_EUlSU_E_NS1_11comp_targetILNS1_3genE0ELNS1_11target_archE4294967295ELNS1_3gpuE0ELNS1_3repE0EEENS1_30default_config_static_selectorELNS0_4arch9wavefront6targetE0EEEvT1_.num_vgpr, 0
	.set _ZN7rocprim17ROCPRIM_400000_NS6detail17trampoline_kernelINS0_14default_configENS1_27scan_by_key_config_selectorIssEEZZNS1_16scan_by_key_implILNS1_25lookback_scan_determinismE0ELb0ES3_N6thrust23THRUST_200600_302600_NS6detail15normal_iteratorINS9_10device_ptrIsEEEESE_SE_sNS9_4plusIvEENS9_8equal_toIvEEsEE10hipError_tPvRmT2_T3_T4_T5_mT6_T7_P12ihipStream_tbENKUlT_T0_E_clISt17integral_constantIbLb0EESZ_EEDaSU_SV_EUlSU_E_NS1_11comp_targetILNS1_3genE0ELNS1_11target_archE4294967295ELNS1_3gpuE0ELNS1_3repE0EEENS1_30default_config_static_selectorELNS0_4arch9wavefront6targetE0EEEvT1_.num_agpr, 0
	.set _ZN7rocprim17ROCPRIM_400000_NS6detail17trampoline_kernelINS0_14default_configENS1_27scan_by_key_config_selectorIssEEZZNS1_16scan_by_key_implILNS1_25lookback_scan_determinismE0ELb0ES3_N6thrust23THRUST_200600_302600_NS6detail15normal_iteratorINS9_10device_ptrIsEEEESE_SE_sNS9_4plusIvEENS9_8equal_toIvEEsEE10hipError_tPvRmT2_T3_T4_T5_mT6_T7_P12ihipStream_tbENKUlT_T0_E_clISt17integral_constantIbLb0EESZ_EEDaSU_SV_EUlSU_E_NS1_11comp_targetILNS1_3genE0ELNS1_11target_archE4294967295ELNS1_3gpuE0ELNS1_3repE0EEENS1_30default_config_static_selectorELNS0_4arch9wavefront6targetE0EEEvT1_.numbered_sgpr, 0
	.set _ZN7rocprim17ROCPRIM_400000_NS6detail17trampoline_kernelINS0_14default_configENS1_27scan_by_key_config_selectorIssEEZZNS1_16scan_by_key_implILNS1_25lookback_scan_determinismE0ELb0ES3_N6thrust23THRUST_200600_302600_NS6detail15normal_iteratorINS9_10device_ptrIsEEEESE_SE_sNS9_4plusIvEENS9_8equal_toIvEEsEE10hipError_tPvRmT2_T3_T4_T5_mT6_T7_P12ihipStream_tbENKUlT_T0_E_clISt17integral_constantIbLb0EESZ_EEDaSU_SV_EUlSU_E_NS1_11comp_targetILNS1_3genE0ELNS1_11target_archE4294967295ELNS1_3gpuE0ELNS1_3repE0EEENS1_30default_config_static_selectorELNS0_4arch9wavefront6targetE0EEEvT1_.num_named_barrier, 0
	.set _ZN7rocprim17ROCPRIM_400000_NS6detail17trampoline_kernelINS0_14default_configENS1_27scan_by_key_config_selectorIssEEZZNS1_16scan_by_key_implILNS1_25lookback_scan_determinismE0ELb0ES3_N6thrust23THRUST_200600_302600_NS6detail15normal_iteratorINS9_10device_ptrIsEEEESE_SE_sNS9_4plusIvEENS9_8equal_toIvEEsEE10hipError_tPvRmT2_T3_T4_T5_mT6_T7_P12ihipStream_tbENKUlT_T0_E_clISt17integral_constantIbLb0EESZ_EEDaSU_SV_EUlSU_E_NS1_11comp_targetILNS1_3genE0ELNS1_11target_archE4294967295ELNS1_3gpuE0ELNS1_3repE0EEENS1_30default_config_static_selectorELNS0_4arch9wavefront6targetE0EEEvT1_.private_seg_size, 0
	.set _ZN7rocprim17ROCPRIM_400000_NS6detail17trampoline_kernelINS0_14default_configENS1_27scan_by_key_config_selectorIssEEZZNS1_16scan_by_key_implILNS1_25lookback_scan_determinismE0ELb0ES3_N6thrust23THRUST_200600_302600_NS6detail15normal_iteratorINS9_10device_ptrIsEEEESE_SE_sNS9_4plusIvEENS9_8equal_toIvEEsEE10hipError_tPvRmT2_T3_T4_T5_mT6_T7_P12ihipStream_tbENKUlT_T0_E_clISt17integral_constantIbLb0EESZ_EEDaSU_SV_EUlSU_E_NS1_11comp_targetILNS1_3genE0ELNS1_11target_archE4294967295ELNS1_3gpuE0ELNS1_3repE0EEENS1_30default_config_static_selectorELNS0_4arch9wavefront6targetE0EEEvT1_.uses_vcc, 0
	.set _ZN7rocprim17ROCPRIM_400000_NS6detail17trampoline_kernelINS0_14default_configENS1_27scan_by_key_config_selectorIssEEZZNS1_16scan_by_key_implILNS1_25lookback_scan_determinismE0ELb0ES3_N6thrust23THRUST_200600_302600_NS6detail15normal_iteratorINS9_10device_ptrIsEEEESE_SE_sNS9_4plusIvEENS9_8equal_toIvEEsEE10hipError_tPvRmT2_T3_T4_T5_mT6_T7_P12ihipStream_tbENKUlT_T0_E_clISt17integral_constantIbLb0EESZ_EEDaSU_SV_EUlSU_E_NS1_11comp_targetILNS1_3genE0ELNS1_11target_archE4294967295ELNS1_3gpuE0ELNS1_3repE0EEENS1_30default_config_static_selectorELNS0_4arch9wavefront6targetE0EEEvT1_.uses_flat_scratch, 0
	.set _ZN7rocprim17ROCPRIM_400000_NS6detail17trampoline_kernelINS0_14default_configENS1_27scan_by_key_config_selectorIssEEZZNS1_16scan_by_key_implILNS1_25lookback_scan_determinismE0ELb0ES3_N6thrust23THRUST_200600_302600_NS6detail15normal_iteratorINS9_10device_ptrIsEEEESE_SE_sNS9_4plusIvEENS9_8equal_toIvEEsEE10hipError_tPvRmT2_T3_T4_T5_mT6_T7_P12ihipStream_tbENKUlT_T0_E_clISt17integral_constantIbLb0EESZ_EEDaSU_SV_EUlSU_E_NS1_11comp_targetILNS1_3genE0ELNS1_11target_archE4294967295ELNS1_3gpuE0ELNS1_3repE0EEENS1_30default_config_static_selectorELNS0_4arch9wavefront6targetE0EEEvT1_.has_dyn_sized_stack, 0
	.set _ZN7rocprim17ROCPRIM_400000_NS6detail17trampoline_kernelINS0_14default_configENS1_27scan_by_key_config_selectorIssEEZZNS1_16scan_by_key_implILNS1_25lookback_scan_determinismE0ELb0ES3_N6thrust23THRUST_200600_302600_NS6detail15normal_iteratorINS9_10device_ptrIsEEEESE_SE_sNS9_4plusIvEENS9_8equal_toIvEEsEE10hipError_tPvRmT2_T3_T4_T5_mT6_T7_P12ihipStream_tbENKUlT_T0_E_clISt17integral_constantIbLb0EESZ_EEDaSU_SV_EUlSU_E_NS1_11comp_targetILNS1_3genE0ELNS1_11target_archE4294967295ELNS1_3gpuE0ELNS1_3repE0EEENS1_30default_config_static_selectorELNS0_4arch9wavefront6targetE0EEEvT1_.has_recursion, 0
	.set _ZN7rocprim17ROCPRIM_400000_NS6detail17trampoline_kernelINS0_14default_configENS1_27scan_by_key_config_selectorIssEEZZNS1_16scan_by_key_implILNS1_25lookback_scan_determinismE0ELb0ES3_N6thrust23THRUST_200600_302600_NS6detail15normal_iteratorINS9_10device_ptrIsEEEESE_SE_sNS9_4plusIvEENS9_8equal_toIvEEsEE10hipError_tPvRmT2_T3_T4_T5_mT6_T7_P12ihipStream_tbENKUlT_T0_E_clISt17integral_constantIbLb0EESZ_EEDaSU_SV_EUlSU_E_NS1_11comp_targetILNS1_3genE0ELNS1_11target_archE4294967295ELNS1_3gpuE0ELNS1_3repE0EEENS1_30default_config_static_selectorELNS0_4arch9wavefront6targetE0EEEvT1_.has_indirect_call, 0
	.section	.AMDGPU.csdata,"",@progbits
; Kernel info:
; codeLenInByte = 0
; TotalNumSgprs: 0
; NumVgprs: 0
; ScratchSize: 0
; MemoryBound: 0
; FloatMode: 240
; IeeeMode: 1
; LDSByteSize: 0 bytes/workgroup (compile time only)
; SGPRBlocks: 0
; VGPRBlocks: 0
; NumSGPRsForWavesPerEU: 1
; NumVGPRsForWavesPerEU: 1
; Occupancy: 16
; WaveLimiterHint : 0
; COMPUTE_PGM_RSRC2:SCRATCH_EN: 0
; COMPUTE_PGM_RSRC2:USER_SGPR: 6
; COMPUTE_PGM_RSRC2:TRAP_HANDLER: 0
; COMPUTE_PGM_RSRC2:TGID_X_EN: 1
; COMPUTE_PGM_RSRC2:TGID_Y_EN: 0
; COMPUTE_PGM_RSRC2:TGID_Z_EN: 0
; COMPUTE_PGM_RSRC2:TIDIG_COMP_CNT: 0
	.section	.text._ZN7rocprim17ROCPRIM_400000_NS6detail17trampoline_kernelINS0_14default_configENS1_27scan_by_key_config_selectorIssEEZZNS1_16scan_by_key_implILNS1_25lookback_scan_determinismE0ELb0ES3_N6thrust23THRUST_200600_302600_NS6detail15normal_iteratorINS9_10device_ptrIsEEEESE_SE_sNS9_4plusIvEENS9_8equal_toIvEEsEE10hipError_tPvRmT2_T3_T4_T5_mT6_T7_P12ihipStream_tbENKUlT_T0_E_clISt17integral_constantIbLb0EESZ_EEDaSU_SV_EUlSU_E_NS1_11comp_targetILNS1_3genE10ELNS1_11target_archE1201ELNS1_3gpuE5ELNS1_3repE0EEENS1_30default_config_static_selectorELNS0_4arch9wavefront6targetE0EEEvT1_,"axG",@progbits,_ZN7rocprim17ROCPRIM_400000_NS6detail17trampoline_kernelINS0_14default_configENS1_27scan_by_key_config_selectorIssEEZZNS1_16scan_by_key_implILNS1_25lookback_scan_determinismE0ELb0ES3_N6thrust23THRUST_200600_302600_NS6detail15normal_iteratorINS9_10device_ptrIsEEEESE_SE_sNS9_4plusIvEENS9_8equal_toIvEEsEE10hipError_tPvRmT2_T3_T4_T5_mT6_T7_P12ihipStream_tbENKUlT_T0_E_clISt17integral_constantIbLb0EESZ_EEDaSU_SV_EUlSU_E_NS1_11comp_targetILNS1_3genE10ELNS1_11target_archE1201ELNS1_3gpuE5ELNS1_3repE0EEENS1_30default_config_static_selectorELNS0_4arch9wavefront6targetE0EEEvT1_,comdat
	.protected	_ZN7rocprim17ROCPRIM_400000_NS6detail17trampoline_kernelINS0_14default_configENS1_27scan_by_key_config_selectorIssEEZZNS1_16scan_by_key_implILNS1_25lookback_scan_determinismE0ELb0ES3_N6thrust23THRUST_200600_302600_NS6detail15normal_iteratorINS9_10device_ptrIsEEEESE_SE_sNS9_4plusIvEENS9_8equal_toIvEEsEE10hipError_tPvRmT2_T3_T4_T5_mT6_T7_P12ihipStream_tbENKUlT_T0_E_clISt17integral_constantIbLb0EESZ_EEDaSU_SV_EUlSU_E_NS1_11comp_targetILNS1_3genE10ELNS1_11target_archE1201ELNS1_3gpuE5ELNS1_3repE0EEENS1_30default_config_static_selectorELNS0_4arch9wavefront6targetE0EEEvT1_ ; -- Begin function _ZN7rocprim17ROCPRIM_400000_NS6detail17trampoline_kernelINS0_14default_configENS1_27scan_by_key_config_selectorIssEEZZNS1_16scan_by_key_implILNS1_25lookback_scan_determinismE0ELb0ES3_N6thrust23THRUST_200600_302600_NS6detail15normal_iteratorINS9_10device_ptrIsEEEESE_SE_sNS9_4plusIvEENS9_8equal_toIvEEsEE10hipError_tPvRmT2_T3_T4_T5_mT6_T7_P12ihipStream_tbENKUlT_T0_E_clISt17integral_constantIbLb0EESZ_EEDaSU_SV_EUlSU_E_NS1_11comp_targetILNS1_3genE10ELNS1_11target_archE1201ELNS1_3gpuE5ELNS1_3repE0EEENS1_30default_config_static_selectorELNS0_4arch9wavefront6targetE0EEEvT1_
	.globl	_ZN7rocprim17ROCPRIM_400000_NS6detail17trampoline_kernelINS0_14default_configENS1_27scan_by_key_config_selectorIssEEZZNS1_16scan_by_key_implILNS1_25lookback_scan_determinismE0ELb0ES3_N6thrust23THRUST_200600_302600_NS6detail15normal_iteratorINS9_10device_ptrIsEEEESE_SE_sNS9_4plusIvEENS9_8equal_toIvEEsEE10hipError_tPvRmT2_T3_T4_T5_mT6_T7_P12ihipStream_tbENKUlT_T0_E_clISt17integral_constantIbLb0EESZ_EEDaSU_SV_EUlSU_E_NS1_11comp_targetILNS1_3genE10ELNS1_11target_archE1201ELNS1_3gpuE5ELNS1_3repE0EEENS1_30default_config_static_selectorELNS0_4arch9wavefront6targetE0EEEvT1_
	.p2align	8
	.type	_ZN7rocprim17ROCPRIM_400000_NS6detail17trampoline_kernelINS0_14default_configENS1_27scan_by_key_config_selectorIssEEZZNS1_16scan_by_key_implILNS1_25lookback_scan_determinismE0ELb0ES3_N6thrust23THRUST_200600_302600_NS6detail15normal_iteratorINS9_10device_ptrIsEEEESE_SE_sNS9_4plusIvEENS9_8equal_toIvEEsEE10hipError_tPvRmT2_T3_T4_T5_mT6_T7_P12ihipStream_tbENKUlT_T0_E_clISt17integral_constantIbLb0EESZ_EEDaSU_SV_EUlSU_E_NS1_11comp_targetILNS1_3genE10ELNS1_11target_archE1201ELNS1_3gpuE5ELNS1_3repE0EEENS1_30default_config_static_selectorELNS0_4arch9wavefront6targetE0EEEvT1_,@function
_ZN7rocprim17ROCPRIM_400000_NS6detail17trampoline_kernelINS0_14default_configENS1_27scan_by_key_config_selectorIssEEZZNS1_16scan_by_key_implILNS1_25lookback_scan_determinismE0ELb0ES3_N6thrust23THRUST_200600_302600_NS6detail15normal_iteratorINS9_10device_ptrIsEEEESE_SE_sNS9_4plusIvEENS9_8equal_toIvEEsEE10hipError_tPvRmT2_T3_T4_T5_mT6_T7_P12ihipStream_tbENKUlT_T0_E_clISt17integral_constantIbLb0EESZ_EEDaSU_SV_EUlSU_E_NS1_11comp_targetILNS1_3genE10ELNS1_11target_archE1201ELNS1_3gpuE5ELNS1_3repE0EEENS1_30default_config_static_selectorELNS0_4arch9wavefront6targetE0EEEvT1_: ; @_ZN7rocprim17ROCPRIM_400000_NS6detail17trampoline_kernelINS0_14default_configENS1_27scan_by_key_config_selectorIssEEZZNS1_16scan_by_key_implILNS1_25lookback_scan_determinismE0ELb0ES3_N6thrust23THRUST_200600_302600_NS6detail15normal_iteratorINS9_10device_ptrIsEEEESE_SE_sNS9_4plusIvEENS9_8equal_toIvEEsEE10hipError_tPvRmT2_T3_T4_T5_mT6_T7_P12ihipStream_tbENKUlT_T0_E_clISt17integral_constantIbLb0EESZ_EEDaSU_SV_EUlSU_E_NS1_11comp_targetILNS1_3genE10ELNS1_11target_archE1201ELNS1_3gpuE5ELNS1_3repE0EEENS1_30default_config_static_selectorELNS0_4arch9wavefront6targetE0EEEvT1_
; %bb.0:
	.section	.rodata,"a",@progbits
	.p2align	6, 0x0
	.amdhsa_kernel _ZN7rocprim17ROCPRIM_400000_NS6detail17trampoline_kernelINS0_14default_configENS1_27scan_by_key_config_selectorIssEEZZNS1_16scan_by_key_implILNS1_25lookback_scan_determinismE0ELb0ES3_N6thrust23THRUST_200600_302600_NS6detail15normal_iteratorINS9_10device_ptrIsEEEESE_SE_sNS9_4plusIvEENS9_8equal_toIvEEsEE10hipError_tPvRmT2_T3_T4_T5_mT6_T7_P12ihipStream_tbENKUlT_T0_E_clISt17integral_constantIbLb0EESZ_EEDaSU_SV_EUlSU_E_NS1_11comp_targetILNS1_3genE10ELNS1_11target_archE1201ELNS1_3gpuE5ELNS1_3repE0EEENS1_30default_config_static_selectorELNS0_4arch9wavefront6targetE0EEEvT1_
		.amdhsa_group_segment_fixed_size 0
		.amdhsa_private_segment_fixed_size 0
		.amdhsa_kernarg_size 112
		.amdhsa_user_sgpr_count 6
		.amdhsa_user_sgpr_private_segment_buffer 1
		.amdhsa_user_sgpr_dispatch_ptr 0
		.amdhsa_user_sgpr_queue_ptr 0
		.amdhsa_user_sgpr_kernarg_segment_ptr 1
		.amdhsa_user_sgpr_dispatch_id 0
		.amdhsa_user_sgpr_flat_scratch_init 0
		.amdhsa_user_sgpr_private_segment_size 0
		.amdhsa_wavefront_size32 1
		.amdhsa_uses_dynamic_stack 0
		.amdhsa_system_sgpr_private_segment_wavefront_offset 0
		.amdhsa_system_sgpr_workgroup_id_x 1
		.amdhsa_system_sgpr_workgroup_id_y 0
		.amdhsa_system_sgpr_workgroup_id_z 0
		.amdhsa_system_sgpr_workgroup_info 0
		.amdhsa_system_vgpr_workitem_id 0
		.amdhsa_next_free_vgpr 1
		.amdhsa_next_free_sgpr 1
		.amdhsa_reserve_vcc 0
		.amdhsa_reserve_flat_scratch 0
		.amdhsa_float_round_mode_32 0
		.amdhsa_float_round_mode_16_64 0
		.amdhsa_float_denorm_mode_32 3
		.amdhsa_float_denorm_mode_16_64 3
		.amdhsa_dx10_clamp 1
		.amdhsa_ieee_mode 1
		.amdhsa_fp16_overflow 0
		.amdhsa_workgroup_processor_mode 1
		.amdhsa_memory_ordered 1
		.amdhsa_forward_progress 1
		.amdhsa_shared_vgpr_count 0
		.amdhsa_exception_fp_ieee_invalid_op 0
		.amdhsa_exception_fp_denorm_src 0
		.amdhsa_exception_fp_ieee_div_zero 0
		.amdhsa_exception_fp_ieee_overflow 0
		.amdhsa_exception_fp_ieee_underflow 0
		.amdhsa_exception_fp_ieee_inexact 0
		.amdhsa_exception_int_div_zero 0
	.end_amdhsa_kernel
	.section	.text._ZN7rocprim17ROCPRIM_400000_NS6detail17trampoline_kernelINS0_14default_configENS1_27scan_by_key_config_selectorIssEEZZNS1_16scan_by_key_implILNS1_25lookback_scan_determinismE0ELb0ES3_N6thrust23THRUST_200600_302600_NS6detail15normal_iteratorINS9_10device_ptrIsEEEESE_SE_sNS9_4plusIvEENS9_8equal_toIvEEsEE10hipError_tPvRmT2_T3_T4_T5_mT6_T7_P12ihipStream_tbENKUlT_T0_E_clISt17integral_constantIbLb0EESZ_EEDaSU_SV_EUlSU_E_NS1_11comp_targetILNS1_3genE10ELNS1_11target_archE1201ELNS1_3gpuE5ELNS1_3repE0EEENS1_30default_config_static_selectorELNS0_4arch9wavefront6targetE0EEEvT1_,"axG",@progbits,_ZN7rocprim17ROCPRIM_400000_NS6detail17trampoline_kernelINS0_14default_configENS1_27scan_by_key_config_selectorIssEEZZNS1_16scan_by_key_implILNS1_25lookback_scan_determinismE0ELb0ES3_N6thrust23THRUST_200600_302600_NS6detail15normal_iteratorINS9_10device_ptrIsEEEESE_SE_sNS9_4plusIvEENS9_8equal_toIvEEsEE10hipError_tPvRmT2_T3_T4_T5_mT6_T7_P12ihipStream_tbENKUlT_T0_E_clISt17integral_constantIbLb0EESZ_EEDaSU_SV_EUlSU_E_NS1_11comp_targetILNS1_3genE10ELNS1_11target_archE1201ELNS1_3gpuE5ELNS1_3repE0EEENS1_30default_config_static_selectorELNS0_4arch9wavefront6targetE0EEEvT1_,comdat
.Lfunc_end240:
	.size	_ZN7rocprim17ROCPRIM_400000_NS6detail17trampoline_kernelINS0_14default_configENS1_27scan_by_key_config_selectorIssEEZZNS1_16scan_by_key_implILNS1_25lookback_scan_determinismE0ELb0ES3_N6thrust23THRUST_200600_302600_NS6detail15normal_iteratorINS9_10device_ptrIsEEEESE_SE_sNS9_4plusIvEENS9_8equal_toIvEEsEE10hipError_tPvRmT2_T3_T4_T5_mT6_T7_P12ihipStream_tbENKUlT_T0_E_clISt17integral_constantIbLb0EESZ_EEDaSU_SV_EUlSU_E_NS1_11comp_targetILNS1_3genE10ELNS1_11target_archE1201ELNS1_3gpuE5ELNS1_3repE0EEENS1_30default_config_static_selectorELNS0_4arch9wavefront6targetE0EEEvT1_, .Lfunc_end240-_ZN7rocprim17ROCPRIM_400000_NS6detail17trampoline_kernelINS0_14default_configENS1_27scan_by_key_config_selectorIssEEZZNS1_16scan_by_key_implILNS1_25lookback_scan_determinismE0ELb0ES3_N6thrust23THRUST_200600_302600_NS6detail15normal_iteratorINS9_10device_ptrIsEEEESE_SE_sNS9_4plusIvEENS9_8equal_toIvEEsEE10hipError_tPvRmT2_T3_T4_T5_mT6_T7_P12ihipStream_tbENKUlT_T0_E_clISt17integral_constantIbLb0EESZ_EEDaSU_SV_EUlSU_E_NS1_11comp_targetILNS1_3genE10ELNS1_11target_archE1201ELNS1_3gpuE5ELNS1_3repE0EEENS1_30default_config_static_selectorELNS0_4arch9wavefront6targetE0EEEvT1_
                                        ; -- End function
	.set _ZN7rocprim17ROCPRIM_400000_NS6detail17trampoline_kernelINS0_14default_configENS1_27scan_by_key_config_selectorIssEEZZNS1_16scan_by_key_implILNS1_25lookback_scan_determinismE0ELb0ES3_N6thrust23THRUST_200600_302600_NS6detail15normal_iteratorINS9_10device_ptrIsEEEESE_SE_sNS9_4plusIvEENS9_8equal_toIvEEsEE10hipError_tPvRmT2_T3_T4_T5_mT6_T7_P12ihipStream_tbENKUlT_T0_E_clISt17integral_constantIbLb0EESZ_EEDaSU_SV_EUlSU_E_NS1_11comp_targetILNS1_3genE10ELNS1_11target_archE1201ELNS1_3gpuE5ELNS1_3repE0EEENS1_30default_config_static_selectorELNS0_4arch9wavefront6targetE0EEEvT1_.num_vgpr, 0
	.set _ZN7rocprim17ROCPRIM_400000_NS6detail17trampoline_kernelINS0_14default_configENS1_27scan_by_key_config_selectorIssEEZZNS1_16scan_by_key_implILNS1_25lookback_scan_determinismE0ELb0ES3_N6thrust23THRUST_200600_302600_NS6detail15normal_iteratorINS9_10device_ptrIsEEEESE_SE_sNS9_4plusIvEENS9_8equal_toIvEEsEE10hipError_tPvRmT2_T3_T4_T5_mT6_T7_P12ihipStream_tbENKUlT_T0_E_clISt17integral_constantIbLb0EESZ_EEDaSU_SV_EUlSU_E_NS1_11comp_targetILNS1_3genE10ELNS1_11target_archE1201ELNS1_3gpuE5ELNS1_3repE0EEENS1_30default_config_static_selectorELNS0_4arch9wavefront6targetE0EEEvT1_.num_agpr, 0
	.set _ZN7rocprim17ROCPRIM_400000_NS6detail17trampoline_kernelINS0_14default_configENS1_27scan_by_key_config_selectorIssEEZZNS1_16scan_by_key_implILNS1_25lookback_scan_determinismE0ELb0ES3_N6thrust23THRUST_200600_302600_NS6detail15normal_iteratorINS9_10device_ptrIsEEEESE_SE_sNS9_4plusIvEENS9_8equal_toIvEEsEE10hipError_tPvRmT2_T3_T4_T5_mT6_T7_P12ihipStream_tbENKUlT_T0_E_clISt17integral_constantIbLb0EESZ_EEDaSU_SV_EUlSU_E_NS1_11comp_targetILNS1_3genE10ELNS1_11target_archE1201ELNS1_3gpuE5ELNS1_3repE0EEENS1_30default_config_static_selectorELNS0_4arch9wavefront6targetE0EEEvT1_.numbered_sgpr, 0
	.set _ZN7rocprim17ROCPRIM_400000_NS6detail17trampoline_kernelINS0_14default_configENS1_27scan_by_key_config_selectorIssEEZZNS1_16scan_by_key_implILNS1_25lookback_scan_determinismE0ELb0ES3_N6thrust23THRUST_200600_302600_NS6detail15normal_iteratorINS9_10device_ptrIsEEEESE_SE_sNS9_4plusIvEENS9_8equal_toIvEEsEE10hipError_tPvRmT2_T3_T4_T5_mT6_T7_P12ihipStream_tbENKUlT_T0_E_clISt17integral_constantIbLb0EESZ_EEDaSU_SV_EUlSU_E_NS1_11comp_targetILNS1_3genE10ELNS1_11target_archE1201ELNS1_3gpuE5ELNS1_3repE0EEENS1_30default_config_static_selectorELNS0_4arch9wavefront6targetE0EEEvT1_.num_named_barrier, 0
	.set _ZN7rocprim17ROCPRIM_400000_NS6detail17trampoline_kernelINS0_14default_configENS1_27scan_by_key_config_selectorIssEEZZNS1_16scan_by_key_implILNS1_25lookback_scan_determinismE0ELb0ES3_N6thrust23THRUST_200600_302600_NS6detail15normal_iteratorINS9_10device_ptrIsEEEESE_SE_sNS9_4plusIvEENS9_8equal_toIvEEsEE10hipError_tPvRmT2_T3_T4_T5_mT6_T7_P12ihipStream_tbENKUlT_T0_E_clISt17integral_constantIbLb0EESZ_EEDaSU_SV_EUlSU_E_NS1_11comp_targetILNS1_3genE10ELNS1_11target_archE1201ELNS1_3gpuE5ELNS1_3repE0EEENS1_30default_config_static_selectorELNS0_4arch9wavefront6targetE0EEEvT1_.private_seg_size, 0
	.set _ZN7rocprim17ROCPRIM_400000_NS6detail17trampoline_kernelINS0_14default_configENS1_27scan_by_key_config_selectorIssEEZZNS1_16scan_by_key_implILNS1_25lookback_scan_determinismE0ELb0ES3_N6thrust23THRUST_200600_302600_NS6detail15normal_iteratorINS9_10device_ptrIsEEEESE_SE_sNS9_4plusIvEENS9_8equal_toIvEEsEE10hipError_tPvRmT2_T3_T4_T5_mT6_T7_P12ihipStream_tbENKUlT_T0_E_clISt17integral_constantIbLb0EESZ_EEDaSU_SV_EUlSU_E_NS1_11comp_targetILNS1_3genE10ELNS1_11target_archE1201ELNS1_3gpuE5ELNS1_3repE0EEENS1_30default_config_static_selectorELNS0_4arch9wavefront6targetE0EEEvT1_.uses_vcc, 0
	.set _ZN7rocprim17ROCPRIM_400000_NS6detail17trampoline_kernelINS0_14default_configENS1_27scan_by_key_config_selectorIssEEZZNS1_16scan_by_key_implILNS1_25lookback_scan_determinismE0ELb0ES3_N6thrust23THRUST_200600_302600_NS6detail15normal_iteratorINS9_10device_ptrIsEEEESE_SE_sNS9_4plusIvEENS9_8equal_toIvEEsEE10hipError_tPvRmT2_T3_T4_T5_mT6_T7_P12ihipStream_tbENKUlT_T0_E_clISt17integral_constantIbLb0EESZ_EEDaSU_SV_EUlSU_E_NS1_11comp_targetILNS1_3genE10ELNS1_11target_archE1201ELNS1_3gpuE5ELNS1_3repE0EEENS1_30default_config_static_selectorELNS0_4arch9wavefront6targetE0EEEvT1_.uses_flat_scratch, 0
	.set _ZN7rocprim17ROCPRIM_400000_NS6detail17trampoline_kernelINS0_14default_configENS1_27scan_by_key_config_selectorIssEEZZNS1_16scan_by_key_implILNS1_25lookback_scan_determinismE0ELb0ES3_N6thrust23THRUST_200600_302600_NS6detail15normal_iteratorINS9_10device_ptrIsEEEESE_SE_sNS9_4plusIvEENS9_8equal_toIvEEsEE10hipError_tPvRmT2_T3_T4_T5_mT6_T7_P12ihipStream_tbENKUlT_T0_E_clISt17integral_constantIbLb0EESZ_EEDaSU_SV_EUlSU_E_NS1_11comp_targetILNS1_3genE10ELNS1_11target_archE1201ELNS1_3gpuE5ELNS1_3repE0EEENS1_30default_config_static_selectorELNS0_4arch9wavefront6targetE0EEEvT1_.has_dyn_sized_stack, 0
	.set _ZN7rocprim17ROCPRIM_400000_NS6detail17trampoline_kernelINS0_14default_configENS1_27scan_by_key_config_selectorIssEEZZNS1_16scan_by_key_implILNS1_25lookback_scan_determinismE0ELb0ES3_N6thrust23THRUST_200600_302600_NS6detail15normal_iteratorINS9_10device_ptrIsEEEESE_SE_sNS9_4plusIvEENS9_8equal_toIvEEsEE10hipError_tPvRmT2_T3_T4_T5_mT6_T7_P12ihipStream_tbENKUlT_T0_E_clISt17integral_constantIbLb0EESZ_EEDaSU_SV_EUlSU_E_NS1_11comp_targetILNS1_3genE10ELNS1_11target_archE1201ELNS1_3gpuE5ELNS1_3repE0EEENS1_30default_config_static_selectorELNS0_4arch9wavefront6targetE0EEEvT1_.has_recursion, 0
	.set _ZN7rocprim17ROCPRIM_400000_NS6detail17trampoline_kernelINS0_14default_configENS1_27scan_by_key_config_selectorIssEEZZNS1_16scan_by_key_implILNS1_25lookback_scan_determinismE0ELb0ES3_N6thrust23THRUST_200600_302600_NS6detail15normal_iteratorINS9_10device_ptrIsEEEESE_SE_sNS9_4plusIvEENS9_8equal_toIvEEsEE10hipError_tPvRmT2_T3_T4_T5_mT6_T7_P12ihipStream_tbENKUlT_T0_E_clISt17integral_constantIbLb0EESZ_EEDaSU_SV_EUlSU_E_NS1_11comp_targetILNS1_3genE10ELNS1_11target_archE1201ELNS1_3gpuE5ELNS1_3repE0EEENS1_30default_config_static_selectorELNS0_4arch9wavefront6targetE0EEEvT1_.has_indirect_call, 0
	.section	.AMDGPU.csdata,"",@progbits
; Kernel info:
; codeLenInByte = 0
; TotalNumSgprs: 0
; NumVgprs: 0
; ScratchSize: 0
; MemoryBound: 0
; FloatMode: 240
; IeeeMode: 1
; LDSByteSize: 0 bytes/workgroup (compile time only)
; SGPRBlocks: 0
; VGPRBlocks: 0
; NumSGPRsForWavesPerEU: 1
; NumVGPRsForWavesPerEU: 1
; Occupancy: 16
; WaveLimiterHint : 0
; COMPUTE_PGM_RSRC2:SCRATCH_EN: 0
; COMPUTE_PGM_RSRC2:USER_SGPR: 6
; COMPUTE_PGM_RSRC2:TRAP_HANDLER: 0
; COMPUTE_PGM_RSRC2:TGID_X_EN: 1
; COMPUTE_PGM_RSRC2:TGID_Y_EN: 0
; COMPUTE_PGM_RSRC2:TGID_Z_EN: 0
; COMPUTE_PGM_RSRC2:TIDIG_COMP_CNT: 0
	.section	.text._ZN7rocprim17ROCPRIM_400000_NS6detail17trampoline_kernelINS0_14default_configENS1_27scan_by_key_config_selectorIssEEZZNS1_16scan_by_key_implILNS1_25lookback_scan_determinismE0ELb0ES3_N6thrust23THRUST_200600_302600_NS6detail15normal_iteratorINS9_10device_ptrIsEEEESE_SE_sNS9_4plusIvEENS9_8equal_toIvEEsEE10hipError_tPvRmT2_T3_T4_T5_mT6_T7_P12ihipStream_tbENKUlT_T0_E_clISt17integral_constantIbLb0EESZ_EEDaSU_SV_EUlSU_E_NS1_11comp_targetILNS1_3genE5ELNS1_11target_archE942ELNS1_3gpuE9ELNS1_3repE0EEENS1_30default_config_static_selectorELNS0_4arch9wavefront6targetE0EEEvT1_,"axG",@progbits,_ZN7rocprim17ROCPRIM_400000_NS6detail17trampoline_kernelINS0_14default_configENS1_27scan_by_key_config_selectorIssEEZZNS1_16scan_by_key_implILNS1_25lookback_scan_determinismE0ELb0ES3_N6thrust23THRUST_200600_302600_NS6detail15normal_iteratorINS9_10device_ptrIsEEEESE_SE_sNS9_4plusIvEENS9_8equal_toIvEEsEE10hipError_tPvRmT2_T3_T4_T5_mT6_T7_P12ihipStream_tbENKUlT_T0_E_clISt17integral_constantIbLb0EESZ_EEDaSU_SV_EUlSU_E_NS1_11comp_targetILNS1_3genE5ELNS1_11target_archE942ELNS1_3gpuE9ELNS1_3repE0EEENS1_30default_config_static_selectorELNS0_4arch9wavefront6targetE0EEEvT1_,comdat
	.protected	_ZN7rocprim17ROCPRIM_400000_NS6detail17trampoline_kernelINS0_14default_configENS1_27scan_by_key_config_selectorIssEEZZNS1_16scan_by_key_implILNS1_25lookback_scan_determinismE0ELb0ES3_N6thrust23THRUST_200600_302600_NS6detail15normal_iteratorINS9_10device_ptrIsEEEESE_SE_sNS9_4plusIvEENS9_8equal_toIvEEsEE10hipError_tPvRmT2_T3_T4_T5_mT6_T7_P12ihipStream_tbENKUlT_T0_E_clISt17integral_constantIbLb0EESZ_EEDaSU_SV_EUlSU_E_NS1_11comp_targetILNS1_3genE5ELNS1_11target_archE942ELNS1_3gpuE9ELNS1_3repE0EEENS1_30default_config_static_selectorELNS0_4arch9wavefront6targetE0EEEvT1_ ; -- Begin function _ZN7rocprim17ROCPRIM_400000_NS6detail17trampoline_kernelINS0_14default_configENS1_27scan_by_key_config_selectorIssEEZZNS1_16scan_by_key_implILNS1_25lookback_scan_determinismE0ELb0ES3_N6thrust23THRUST_200600_302600_NS6detail15normal_iteratorINS9_10device_ptrIsEEEESE_SE_sNS9_4plusIvEENS9_8equal_toIvEEsEE10hipError_tPvRmT2_T3_T4_T5_mT6_T7_P12ihipStream_tbENKUlT_T0_E_clISt17integral_constantIbLb0EESZ_EEDaSU_SV_EUlSU_E_NS1_11comp_targetILNS1_3genE5ELNS1_11target_archE942ELNS1_3gpuE9ELNS1_3repE0EEENS1_30default_config_static_selectorELNS0_4arch9wavefront6targetE0EEEvT1_
	.globl	_ZN7rocprim17ROCPRIM_400000_NS6detail17trampoline_kernelINS0_14default_configENS1_27scan_by_key_config_selectorIssEEZZNS1_16scan_by_key_implILNS1_25lookback_scan_determinismE0ELb0ES3_N6thrust23THRUST_200600_302600_NS6detail15normal_iteratorINS9_10device_ptrIsEEEESE_SE_sNS9_4plusIvEENS9_8equal_toIvEEsEE10hipError_tPvRmT2_T3_T4_T5_mT6_T7_P12ihipStream_tbENKUlT_T0_E_clISt17integral_constantIbLb0EESZ_EEDaSU_SV_EUlSU_E_NS1_11comp_targetILNS1_3genE5ELNS1_11target_archE942ELNS1_3gpuE9ELNS1_3repE0EEENS1_30default_config_static_selectorELNS0_4arch9wavefront6targetE0EEEvT1_
	.p2align	8
	.type	_ZN7rocprim17ROCPRIM_400000_NS6detail17trampoline_kernelINS0_14default_configENS1_27scan_by_key_config_selectorIssEEZZNS1_16scan_by_key_implILNS1_25lookback_scan_determinismE0ELb0ES3_N6thrust23THRUST_200600_302600_NS6detail15normal_iteratorINS9_10device_ptrIsEEEESE_SE_sNS9_4plusIvEENS9_8equal_toIvEEsEE10hipError_tPvRmT2_T3_T4_T5_mT6_T7_P12ihipStream_tbENKUlT_T0_E_clISt17integral_constantIbLb0EESZ_EEDaSU_SV_EUlSU_E_NS1_11comp_targetILNS1_3genE5ELNS1_11target_archE942ELNS1_3gpuE9ELNS1_3repE0EEENS1_30default_config_static_selectorELNS0_4arch9wavefront6targetE0EEEvT1_,@function
_ZN7rocprim17ROCPRIM_400000_NS6detail17trampoline_kernelINS0_14default_configENS1_27scan_by_key_config_selectorIssEEZZNS1_16scan_by_key_implILNS1_25lookback_scan_determinismE0ELb0ES3_N6thrust23THRUST_200600_302600_NS6detail15normal_iteratorINS9_10device_ptrIsEEEESE_SE_sNS9_4plusIvEENS9_8equal_toIvEEsEE10hipError_tPvRmT2_T3_T4_T5_mT6_T7_P12ihipStream_tbENKUlT_T0_E_clISt17integral_constantIbLb0EESZ_EEDaSU_SV_EUlSU_E_NS1_11comp_targetILNS1_3genE5ELNS1_11target_archE942ELNS1_3gpuE9ELNS1_3repE0EEENS1_30default_config_static_selectorELNS0_4arch9wavefront6targetE0EEEvT1_: ; @_ZN7rocprim17ROCPRIM_400000_NS6detail17trampoline_kernelINS0_14default_configENS1_27scan_by_key_config_selectorIssEEZZNS1_16scan_by_key_implILNS1_25lookback_scan_determinismE0ELb0ES3_N6thrust23THRUST_200600_302600_NS6detail15normal_iteratorINS9_10device_ptrIsEEEESE_SE_sNS9_4plusIvEENS9_8equal_toIvEEsEE10hipError_tPvRmT2_T3_T4_T5_mT6_T7_P12ihipStream_tbENKUlT_T0_E_clISt17integral_constantIbLb0EESZ_EEDaSU_SV_EUlSU_E_NS1_11comp_targetILNS1_3genE5ELNS1_11target_archE942ELNS1_3gpuE9ELNS1_3repE0EEENS1_30default_config_static_selectorELNS0_4arch9wavefront6targetE0EEEvT1_
; %bb.0:
	.section	.rodata,"a",@progbits
	.p2align	6, 0x0
	.amdhsa_kernel _ZN7rocprim17ROCPRIM_400000_NS6detail17trampoline_kernelINS0_14default_configENS1_27scan_by_key_config_selectorIssEEZZNS1_16scan_by_key_implILNS1_25lookback_scan_determinismE0ELb0ES3_N6thrust23THRUST_200600_302600_NS6detail15normal_iteratorINS9_10device_ptrIsEEEESE_SE_sNS9_4plusIvEENS9_8equal_toIvEEsEE10hipError_tPvRmT2_T3_T4_T5_mT6_T7_P12ihipStream_tbENKUlT_T0_E_clISt17integral_constantIbLb0EESZ_EEDaSU_SV_EUlSU_E_NS1_11comp_targetILNS1_3genE5ELNS1_11target_archE942ELNS1_3gpuE9ELNS1_3repE0EEENS1_30default_config_static_selectorELNS0_4arch9wavefront6targetE0EEEvT1_
		.amdhsa_group_segment_fixed_size 0
		.amdhsa_private_segment_fixed_size 0
		.amdhsa_kernarg_size 112
		.amdhsa_user_sgpr_count 6
		.amdhsa_user_sgpr_private_segment_buffer 1
		.amdhsa_user_sgpr_dispatch_ptr 0
		.amdhsa_user_sgpr_queue_ptr 0
		.amdhsa_user_sgpr_kernarg_segment_ptr 1
		.amdhsa_user_sgpr_dispatch_id 0
		.amdhsa_user_sgpr_flat_scratch_init 0
		.amdhsa_user_sgpr_private_segment_size 0
		.amdhsa_wavefront_size32 1
		.amdhsa_uses_dynamic_stack 0
		.amdhsa_system_sgpr_private_segment_wavefront_offset 0
		.amdhsa_system_sgpr_workgroup_id_x 1
		.amdhsa_system_sgpr_workgroup_id_y 0
		.amdhsa_system_sgpr_workgroup_id_z 0
		.amdhsa_system_sgpr_workgroup_info 0
		.amdhsa_system_vgpr_workitem_id 0
		.amdhsa_next_free_vgpr 1
		.amdhsa_next_free_sgpr 1
		.amdhsa_reserve_vcc 0
		.amdhsa_reserve_flat_scratch 0
		.amdhsa_float_round_mode_32 0
		.amdhsa_float_round_mode_16_64 0
		.amdhsa_float_denorm_mode_32 3
		.amdhsa_float_denorm_mode_16_64 3
		.amdhsa_dx10_clamp 1
		.amdhsa_ieee_mode 1
		.amdhsa_fp16_overflow 0
		.amdhsa_workgroup_processor_mode 1
		.amdhsa_memory_ordered 1
		.amdhsa_forward_progress 1
		.amdhsa_shared_vgpr_count 0
		.amdhsa_exception_fp_ieee_invalid_op 0
		.amdhsa_exception_fp_denorm_src 0
		.amdhsa_exception_fp_ieee_div_zero 0
		.amdhsa_exception_fp_ieee_overflow 0
		.amdhsa_exception_fp_ieee_underflow 0
		.amdhsa_exception_fp_ieee_inexact 0
		.amdhsa_exception_int_div_zero 0
	.end_amdhsa_kernel
	.section	.text._ZN7rocprim17ROCPRIM_400000_NS6detail17trampoline_kernelINS0_14default_configENS1_27scan_by_key_config_selectorIssEEZZNS1_16scan_by_key_implILNS1_25lookback_scan_determinismE0ELb0ES3_N6thrust23THRUST_200600_302600_NS6detail15normal_iteratorINS9_10device_ptrIsEEEESE_SE_sNS9_4plusIvEENS9_8equal_toIvEEsEE10hipError_tPvRmT2_T3_T4_T5_mT6_T7_P12ihipStream_tbENKUlT_T0_E_clISt17integral_constantIbLb0EESZ_EEDaSU_SV_EUlSU_E_NS1_11comp_targetILNS1_3genE5ELNS1_11target_archE942ELNS1_3gpuE9ELNS1_3repE0EEENS1_30default_config_static_selectorELNS0_4arch9wavefront6targetE0EEEvT1_,"axG",@progbits,_ZN7rocprim17ROCPRIM_400000_NS6detail17trampoline_kernelINS0_14default_configENS1_27scan_by_key_config_selectorIssEEZZNS1_16scan_by_key_implILNS1_25lookback_scan_determinismE0ELb0ES3_N6thrust23THRUST_200600_302600_NS6detail15normal_iteratorINS9_10device_ptrIsEEEESE_SE_sNS9_4plusIvEENS9_8equal_toIvEEsEE10hipError_tPvRmT2_T3_T4_T5_mT6_T7_P12ihipStream_tbENKUlT_T0_E_clISt17integral_constantIbLb0EESZ_EEDaSU_SV_EUlSU_E_NS1_11comp_targetILNS1_3genE5ELNS1_11target_archE942ELNS1_3gpuE9ELNS1_3repE0EEENS1_30default_config_static_selectorELNS0_4arch9wavefront6targetE0EEEvT1_,comdat
.Lfunc_end241:
	.size	_ZN7rocprim17ROCPRIM_400000_NS6detail17trampoline_kernelINS0_14default_configENS1_27scan_by_key_config_selectorIssEEZZNS1_16scan_by_key_implILNS1_25lookback_scan_determinismE0ELb0ES3_N6thrust23THRUST_200600_302600_NS6detail15normal_iteratorINS9_10device_ptrIsEEEESE_SE_sNS9_4plusIvEENS9_8equal_toIvEEsEE10hipError_tPvRmT2_T3_T4_T5_mT6_T7_P12ihipStream_tbENKUlT_T0_E_clISt17integral_constantIbLb0EESZ_EEDaSU_SV_EUlSU_E_NS1_11comp_targetILNS1_3genE5ELNS1_11target_archE942ELNS1_3gpuE9ELNS1_3repE0EEENS1_30default_config_static_selectorELNS0_4arch9wavefront6targetE0EEEvT1_, .Lfunc_end241-_ZN7rocprim17ROCPRIM_400000_NS6detail17trampoline_kernelINS0_14default_configENS1_27scan_by_key_config_selectorIssEEZZNS1_16scan_by_key_implILNS1_25lookback_scan_determinismE0ELb0ES3_N6thrust23THRUST_200600_302600_NS6detail15normal_iteratorINS9_10device_ptrIsEEEESE_SE_sNS9_4plusIvEENS9_8equal_toIvEEsEE10hipError_tPvRmT2_T3_T4_T5_mT6_T7_P12ihipStream_tbENKUlT_T0_E_clISt17integral_constantIbLb0EESZ_EEDaSU_SV_EUlSU_E_NS1_11comp_targetILNS1_3genE5ELNS1_11target_archE942ELNS1_3gpuE9ELNS1_3repE0EEENS1_30default_config_static_selectorELNS0_4arch9wavefront6targetE0EEEvT1_
                                        ; -- End function
	.set _ZN7rocprim17ROCPRIM_400000_NS6detail17trampoline_kernelINS0_14default_configENS1_27scan_by_key_config_selectorIssEEZZNS1_16scan_by_key_implILNS1_25lookback_scan_determinismE0ELb0ES3_N6thrust23THRUST_200600_302600_NS6detail15normal_iteratorINS9_10device_ptrIsEEEESE_SE_sNS9_4plusIvEENS9_8equal_toIvEEsEE10hipError_tPvRmT2_T3_T4_T5_mT6_T7_P12ihipStream_tbENKUlT_T0_E_clISt17integral_constantIbLb0EESZ_EEDaSU_SV_EUlSU_E_NS1_11comp_targetILNS1_3genE5ELNS1_11target_archE942ELNS1_3gpuE9ELNS1_3repE0EEENS1_30default_config_static_selectorELNS0_4arch9wavefront6targetE0EEEvT1_.num_vgpr, 0
	.set _ZN7rocprim17ROCPRIM_400000_NS6detail17trampoline_kernelINS0_14default_configENS1_27scan_by_key_config_selectorIssEEZZNS1_16scan_by_key_implILNS1_25lookback_scan_determinismE0ELb0ES3_N6thrust23THRUST_200600_302600_NS6detail15normal_iteratorINS9_10device_ptrIsEEEESE_SE_sNS9_4plusIvEENS9_8equal_toIvEEsEE10hipError_tPvRmT2_T3_T4_T5_mT6_T7_P12ihipStream_tbENKUlT_T0_E_clISt17integral_constantIbLb0EESZ_EEDaSU_SV_EUlSU_E_NS1_11comp_targetILNS1_3genE5ELNS1_11target_archE942ELNS1_3gpuE9ELNS1_3repE0EEENS1_30default_config_static_selectorELNS0_4arch9wavefront6targetE0EEEvT1_.num_agpr, 0
	.set _ZN7rocprim17ROCPRIM_400000_NS6detail17trampoline_kernelINS0_14default_configENS1_27scan_by_key_config_selectorIssEEZZNS1_16scan_by_key_implILNS1_25lookback_scan_determinismE0ELb0ES3_N6thrust23THRUST_200600_302600_NS6detail15normal_iteratorINS9_10device_ptrIsEEEESE_SE_sNS9_4plusIvEENS9_8equal_toIvEEsEE10hipError_tPvRmT2_T3_T4_T5_mT6_T7_P12ihipStream_tbENKUlT_T0_E_clISt17integral_constantIbLb0EESZ_EEDaSU_SV_EUlSU_E_NS1_11comp_targetILNS1_3genE5ELNS1_11target_archE942ELNS1_3gpuE9ELNS1_3repE0EEENS1_30default_config_static_selectorELNS0_4arch9wavefront6targetE0EEEvT1_.numbered_sgpr, 0
	.set _ZN7rocprim17ROCPRIM_400000_NS6detail17trampoline_kernelINS0_14default_configENS1_27scan_by_key_config_selectorIssEEZZNS1_16scan_by_key_implILNS1_25lookback_scan_determinismE0ELb0ES3_N6thrust23THRUST_200600_302600_NS6detail15normal_iteratorINS9_10device_ptrIsEEEESE_SE_sNS9_4plusIvEENS9_8equal_toIvEEsEE10hipError_tPvRmT2_T3_T4_T5_mT6_T7_P12ihipStream_tbENKUlT_T0_E_clISt17integral_constantIbLb0EESZ_EEDaSU_SV_EUlSU_E_NS1_11comp_targetILNS1_3genE5ELNS1_11target_archE942ELNS1_3gpuE9ELNS1_3repE0EEENS1_30default_config_static_selectorELNS0_4arch9wavefront6targetE0EEEvT1_.num_named_barrier, 0
	.set _ZN7rocprim17ROCPRIM_400000_NS6detail17trampoline_kernelINS0_14default_configENS1_27scan_by_key_config_selectorIssEEZZNS1_16scan_by_key_implILNS1_25lookback_scan_determinismE0ELb0ES3_N6thrust23THRUST_200600_302600_NS6detail15normal_iteratorINS9_10device_ptrIsEEEESE_SE_sNS9_4plusIvEENS9_8equal_toIvEEsEE10hipError_tPvRmT2_T3_T4_T5_mT6_T7_P12ihipStream_tbENKUlT_T0_E_clISt17integral_constantIbLb0EESZ_EEDaSU_SV_EUlSU_E_NS1_11comp_targetILNS1_3genE5ELNS1_11target_archE942ELNS1_3gpuE9ELNS1_3repE0EEENS1_30default_config_static_selectorELNS0_4arch9wavefront6targetE0EEEvT1_.private_seg_size, 0
	.set _ZN7rocprim17ROCPRIM_400000_NS6detail17trampoline_kernelINS0_14default_configENS1_27scan_by_key_config_selectorIssEEZZNS1_16scan_by_key_implILNS1_25lookback_scan_determinismE0ELb0ES3_N6thrust23THRUST_200600_302600_NS6detail15normal_iteratorINS9_10device_ptrIsEEEESE_SE_sNS9_4plusIvEENS9_8equal_toIvEEsEE10hipError_tPvRmT2_T3_T4_T5_mT6_T7_P12ihipStream_tbENKUlT_T0_E_clISt17integral_constantIbLb0EESZ_EEDaSU_SV_EUlSU_E_NS1_11comp_targetILNS1_3genE5ELNS1_11target_archE942ELNS1_3gpuE9ELNS1_3repE0EEENS1_30default_config_static_selectorELNS0_4arch9wavefront6targetE0EEEvT1_.uses_vcc, 0
	.set _ZN7rocprim17ROCPRIM_400000_NS6detail17trampoline_kernelINS0_14default_configENS1_27scan_by_key_config_selectorIssEEZZNS1_16scan_by_key_implILNS1_25lookback_scan_determinismE0ELb0ES3_N6thrust23THRUST_200600_302600_NS6detail15normal_iteratorINS9_10device_ptrIsEEEESE_SE_sNS9_4plusIvEENS9_8equal_toIvEEsEE10hipError_tPvRmT2_T3_T4_T5_mT6_T7_P12ihipStream_tbENKUlT_T0_E_clISt17integral_constantIbLb0EESZ_EEDaSU_SV_EUlSU_E_NS1_11comp_targetILNS1_3genE5ELNS1_11target_archE942ELNS1_3gpuE9ELNS1_3repE0EEENS1_30default_config_static_selectorELNS0_4arch9wavefront6targetE0EEEvT1_.uses_flat_scratch, 0
	.set _ZN7rocprim17ROCPRIM_400000_NS6detail17trampoline_kernelINS0_14default_configENS1_27scan_by_key_config_selectorIssEEZZNS1_16scan_by_key_implILNS1_25lookback_scan_determinismE0ELb0ES3_N6thrust23THRUST_200600_302600_NS6detail15normal_iteratorINS9_10device_ptrIsEEEESE_SE_sNS9_4plusIvEENS9_8equal_toIvEEsEE10hipError_tPvRmT2_T3_T4_T5_mT6_T7_P12ihipStream_tbENKUlT_T0_E_clISt17integral_constantIbLb0EESZ_EEDaSU_SV_EUlSU_E_NS1_11comp_targetILNS1_3genE5ELNS1_11target_archE942ELNS1_3gpuE9ELNS1_3repE0EEENS1_30default_config_static_selectorELNS0_4arch9wavefront6targetE0EEEvT1_.has_dyn_sized_stack, 0
	.set _ZN7rocprim17ROCPRIM_400000_NS6detail17trampoline_kernelINS0_14default_configENS1_27scan_by_key_config_selectorIssEEZZNS1_16scan_by_key_implILNS1_25lookback_scan_determinismE0ELb0ES3_N6thrust23THRUST_200600_302600_NS6detail15normal_iteratorINS9_10device_ptrIsEEEESE_SE_sNS9_4plusIvEENS9_8equal_toIvEEsEE10hipError_tPvRmT2_T3_T4_T5_mT6_T7_P12ihipStream_tbENKUlT_T0_E_clISt17integral_constantIbLb0EESZ_EEDaSU_SV_EUlSU_E_NS1_11comp_targetILNS1_3genE5ELNS1_11target_archE942ELNS1_3gpuE9ELNS1_3repE0EEENS1_30default_config_static_selectorELNS0_4arch9wavefront6targetE0EEEvT1_.has_recursion, 0
	.set _ZN7rocprim17ROCPRIM_400000_NS6detail17trampoline_kernelINS0_14default_configENS1_27scan_by_key_config_selectorIssEEZZNS1_16scan_by_key_implILNS1_25lookback_scan_determinismE0ELb0ES3_N6thrust23THRUST_200600_302600_NS6detail15normal_iteratorINS9_10device_ptrIsEEEESE_SE_sNS9_4plusIvEENS9_8equal_toIvEEsEE10hipError_tPvRmT2_T3_T4_T5_mT6_T7_P12ihipStream_tbENKUlT_T0_E_clISt17integral_constantIbLb0EESZ_EEDaSU_SV_EUlSU_E_NS1_11comp_targetILNS1_3genE5ELNS1_11target_archE942ELNS1_3gpuE9ELNS1_3repE0EEENS1_30default_config_static_selectorELNS0_4arch9wavefront6targetE0EEEvT1_.has_indirect_call, 0
	.section	.AMDGPU.csdata,"",@progbits
; Kernel info:
; codeLenInByte = 0
; TotalNumSgprs: 0
; NumVgprs: 0
; ScratchSize: 0
; MemoryBound: 0
; FloatMode: 240
; IeeeMode: 1
; LDSByteSize: 0 bytes/workgroup (compile time only)
; SGPRBlocks: 0
; VGPRBlocks: 0
; NumSGPRsForWavesPerEU: 1
; NumVGPRsForWavesPerEU: 1
; Occupancy: 16
; WaveLimiterHint : 0
; COMPUTE_PGM_RSRC2:SCRATCH_EN: 0
; COMPUTE_PGM_RSRC2:USER_SGPR: 6
; COMPUTE_PGM_RSRC2:TRAP_HANDLER: 0
; COMPUTE_PGM_RSRC2:TGID_X_EN: 1
; COMPUTE_PGM_RSRC2:TGID_Y_EN: 0
; COMPUTE_PGM_RSRC2:TGID_Z_EN: 0
; COMPUTE_PGM_RSRC2:TIDIG_COMP_CNT: 0
	.section	.text._ZN7rocprim17ROCPRIM_400000_NS6detail17trampoline_kernelINS0_14default_configENS1_27scan_by_key_config_selectorIssEEZZNS1_16scan_by_key_implILNS1_25lookback_scan_determinismE0ELb0ES3_N6thrust23THRUST_200600_302600_NS6detail15normal_iteratorINS9_10device_ptrIsEEEESE_SE_sNS9_4plusIvEENS9_8equal_toIvEEsEE10hipError_tPvRmT2_T3_T4_T5_mT6_T7_P12ihipStream_tbENKUlT_T0_E_clISt17integral_constantIbLb0EESZ_EEDaSU_SV_EUlSU_E_NS1_11comp_targetILNS1_3genE4ELNS1_11target_archE910ELNS1_3gpuE8ELNS1_3repE0EEENS1_30default_config_static_selectorELNS0_4arch9wavefront6targetE0EEEvT1_,"axG",@progbits,_ZN7rocprim17ROCPRIM_400000_NS6detail17trampoline_kernelINS0_14default_configENS1_27scan_by_key_config_selectorIssEEZZNS1_16scan_by_key_implILNS1_25lookback_scan_determinismE0ELb0ES3_N6thrust23THRUST_200600_302600_NS6detail15normal_iteratorINS9_10device_ptrIsEEEESE_SE_sNS9_4plusIvEENS9_8equal_toIvEEsEE10hipError_tPvRmT2_T3_T4_T5_mT6_T7_P12ihipStream_tbENKUlT_T0_E_clISt17integral_constantIbLb0EESZ_EEDaSU_SV_EUlSU_E_NS1_11comp_targetILNS1_3genE4ELNS1_11target_archE910ELNS1_3gpuE8ELNS1_3repE0EEENS1_30default_config_static_selectorELNS0_4arch9wavefront6targetE0EEEvT1_,comdat
	.protected	_ZN7rocprim17ROCPRIM_400000_NS6detail17trampoline_kernelINS0_14default_configENS1_27scan_by_key_config_selectorIssEEZZNS1_16scan_by_key_implILNS1_25lookback_scan_determinismE0ELb0ES3_N6thrust23THRUST_200600_302600_NS6detail15normal_iteratorINS9_10device_ptrIsEEEESE_SE_sNS9_4plusIvEENS9_8equal_toIvEEsEE10hipError_tPvRmT2_T3_T4_T5_mT6_T7_P12ihipStream_tbENKUlT_T0_E_clISt17integral_constantIbLb0EESZ_EEDaSU_SV_EUlSU_E_NS1_11comp_targetILNS1_3genE4ELNS1_11target_archE910ELNS1_3gpuE8ELNS1_3repE0EEENS1_30default_config_static_selectorELNS0_4arch9wavefront6targetE0EEEvT1_ ; -- Begin function _ZN7rocprim17ROCPRIM_400000_NS6detail17trampoline_kernelINS0_14default_configENS1_27scan_by_key_config_selectorIssEEZZNS1_16scan_by_key_implILNS1_25lookback_scan_determinismE0ELb0ES3_N6thrust23THRUST_200600_302600_NS6detail15normal_iteratorINS9_10device_ptrIsEEEESE_SE_sNS9_4plusIvEENS9_8equal_toIvEEsEE10hipError_tPvRmT2_T3_T4_T5_mT6_T7_P12ihipStream_tbENKUlT_T0_E_clISt17integral_constantIbLb0EESZ_EEDaSU_SV_EUlSU_E_NS1_11comp_targetILNS1_3genE4ELNS1_11target_archE910ELNS1_3gpuE8ELNS1_3repE0EEENS1_30default_config_static_selectorELNS0_4arch9wavefront6targetE0EEEvT1_
	.globl	_ZN7rocprim17ROCPRIM_400000_NS6detail17trampoline_kernelINS0_14default_configENS1_27scan_by_key_config_selectorIssEEZZNS1_16scan_by_key_implILNS1_25lookback_scan_determinismE0ELb0ES3_N6thrust23THRUST_200600_302600_NS6detail15normal_iteratorINS9_10device_ptrIsEEEESE_SE_sNS9_4plusIvEENS9_8equal_toIvEEsEE10hipError_tPvRmT2_T3_T4_T5_mT6_T7_P12ihipStream_tbENKUlT_T0_E_clISt17integral_constantIbLb0EESZ_EEDaSU_SV_EUlSU_E_NS1_11comp_targetILNS1_3genE4ELNS1_11target_archE910ELNS1_3gpuE8ELNS1_3repE0EEENS1_30default_config_static_selectorELNS0_4arch9wavefront6targetE0EEEvT1_
	.p2align	8
	.type	_ZN7rocprim17ROCPRIM_400000_NS6detail17trampoline_kernelINS0_14default_configENS1_27scan_by_key_config_selectorIssEEZZNS1_16scan_by_key_implILNS1_25lookback_scan_determinismE0ELb0ES3_N6thrust23THRUST_200600_302600_NS6detail15normal_iteratorINS9_10device_ptrIsEEEESE_SE_sNS9_4plusIvEENS9_8equal_toIvEEsEE10hipError_tPvRmT2_T3_T4_T5_mT6_T7_P12ihipStream_tbENKUlT_T0_E_clISt17integral_constantIbLb0EESZ_EEDaSU_SV_EUlSU_E_NS1_11comp_targetILNS1_3genE4ELNS1_11target_archE910ELNS1_3gpuE8ELNS1_3repE0EEENS1_30default_config_static_selectorELNS0_4arch9wavefront6targetE0EEEvT1_,@function
_ZN7rocprim17ROCPRIM_400000_NS6detail17trampoline_kernelINS0_14default_configENS1_27scan_by_key_config_selectorIssEEZZNS1_16scan_by_key_implILNS1_25lookback_scan_determinismE0ELb0ES3_N6thrust23THRUST_200600_302600_NS6detail15normal_iteratorINS9_10device_ptrIsEEEESE_SE_sNS9_4plusIvEENS9_8equal_toIvEEsEE10hipError_tPvRmT2_T3_T4_T5_mT6_T7_P12ihipStream_tbENKUlT_T0_E_clISt17integral_constantIbLb0EESZ_EEDaSU_SV_EUlSU_E_NS1_11comp_targetILNS1_3genE4ELNS1_11target_archE910ELNS1_3gpuE8ELNS1_3repE0EEENS1_30default_config_static_selectorELNS0_4arch9wavefront6targetE0EEEvT1_: ; @_ZN7rocprim17ROCPRIM_400000_NS6detail17trampoline_kernelINS0_14default_configENS1_27scan_by_key_config_selectorIssEEZZNS1_16scan_by_key_implILNS1_25lookback_scan_determinismE0ELb0ES3_N6thrust23THRUST_200600_302600_NS6detail15normal_iteratorINS9_10device_ptrIsEEEESE_SE_sNS9_4plusIvEENS9_8equal_toIvEEsEE10hipError_tPvRmT2_T3_T4_T5_mT6_T7_P12ihipStream_tbENKUlT_T0_E_clISt17integral_constantIbLb0EESZ_EEDaSU_SV_EUlSU_E_NS1_11comp_targetILNS1_3genE4ELNS1_11target_archE910ELNS1_3gpuE8ELNS1_3repE0EEENS1_30default_config_static_selectorELNS0_4arch9wavefront6targetE0EEEvT1_
; %bb.0:
	.section	.rodata,"a",@progbits
	.p2align	6, 0x0
	.amdhsa_kernel _ZN7rocprim17ROCPRIM_400000_NS6detail17trampoline_kernelINS0_14default_configENS1_27scan_by_key_config_selectorIssEEZZNS1_16scan_by_key_implILNS1_25lookback_scan_determinismE0ELb0ES3_N6thrust23THRUST_200600_302600_NS6detail15normal_iteratorINS9_10device_ptrIsEEEESE_SE_sNS9_4plusIvEENS9_8equal_toIvEEsEE10hipError_tPvRmT2_T3_T4_T5_mT6_T7_P12ihipStream_tbENKUlT_T0_E_clISt17integral_constantIbLb0EESZ_EEDaSU_SV_EUlSU_E_NS1_11comp_targetILNS1_3genE4ELNS1_11target_archE910ELNS1_3gpuE8ELNS1_3repE0EEENS1_30default_config_static_selectorELNS0_4arch9wavefront6targetE0EEEvT1_
		.amdhsa_group_segment_fixed_size 0
		.amdhsa_private_segment_fixed_size 0
		.amdhsa_kernarg_size 112
		.amdhsa_user_sgpr_count 6
		.amdhsa_user_sgpr_private_segment_buffer 1
		.amdhsa_user_sgpr_dispatch_ptr 0
		.amdhsa_user_sgpr_queue_ptr 0
		.amdhsa_user_sgpr_kernarg_segment_ptr 1
		.amdhsa_user_sgpr_dispatch_id 0
		.amdhsa_user_sgpr_flat_scratch_init 0
		.amdhsa_user_sgpr_private_segment_size 0
		.amdhsa_wavefront_size32 1
		.amdhsa_uses_dynamic_stack 0
		.amdhsa_system_sgpr_private_segment_wavefront_offset 0
		.amdhsa_system_sgpr_workgroup_id_x 1
		.amdhsa_system_sgpr_workgroup_id_y 0
		.amdhsa_system_sgpr_workgroup_id_z 0
		.amdhsa_system_sgpr_workgroup_info 0
		.amdhsa_system_vgpr_workitem_id 0
		.amdhsa_next_free_vgpr 1
		.amdhsa_next_free_sgpr 1
		.amdhsa_reserve_vcc 0
		.amdhsa_reserve_flat_scratch 0
		.amdhsa_float_round_mode_32 0
		.amdhsa_float_round_mode_16_64 0
		.amdhsa_float_denorm_mode_32 3
		.amdhsa_float_denorm_mode_16_64 3
		.amdhsa_dx10_clamp 1
		.amdhsa_ieee_mode 1
		.amdhsa_fp16_overflow 0
		.amdhsa_workgroup_processor_mode 1
		.amdhsa_memory_ordered 1
		.amdhsa_forward_progress 1
		.amdhsa_shared_vgpr_count 0
		.amdhsa_exception_fp_ieee_invalid_op 0
		.amdhsa_exception_fp_denorm_src 0
		.amdhsa_exception_fp_ieee_div_zero 0
		.amdhsa_exception_fp_ieee_overflow 0
		.amdhsa_exception_fp_ieee_underflow 0
		.amdhsa_exception_fp_ieee_inexact 0
		.amdhsa_exception_int_div_zero 0
	.end_amdhsa_kernel
	.section	.text._ZN7rocprim17ROCPRIM_400000_NS6detail17trampoline_kernelINS0_14default_configENS1_27scan_by_key_config_selectorIssEEZZNS1_16scan_by_key_implILNS1_25lookback_scan_determinismE0ELb0ES3_N6thrust23THRUST_200600_302600_NS6detail15normal_iteratorINS9_10device_ptrIsEEEESE_SE_sNS9_4plusIvEENS9_8equal_toIvEEsEE10hipError_tPvRmT2_T3_T4_T5_mT6_T7_P12ihipStream_tbENKUlT_T0_E_clISt17integral_constantIbLb0EESZ_EEDaSU_SV_EUlSU_E_NS1_11comp_targetILNS1_3genE4ELNS1_11target_archE910ELNS1_3gpuE8ELNS1_3repE0EEENS1_30default_config_static_selectorELNS0_4arch9wavefront6targetE0EEEvT1_,"axG",@progbits,_ZN7rocprim17ROCPRIM_400000_NS6detail17trampoline_kernelINS0_14default_configENS1_27scan_by_key_config_selectorIssEEZZNS1_16scan_by_key_implILNS1_25lookback_scan_determinismE0ELb0ES3_N6thrust23THRUST_200600_302600_NS6detail15normal_iteratorINS9_10device_ptrIsEEEESE_SE_sNS9_4plusIvEENS9_8equal_toIvEEsEE10hipError_tPvRmT2_T3_T4_T5_mT6_T7_P12ihipStream_tbENKUlT_T0_E_clISt17integral_constantIbLb0EESZ_EEDaSU_SV_EUlSU_E_NS1_11comp_targetILNS1_3genE4ELNS1_11target_archE910ELNS1_3gpuE8ELNS1_3repE0EEENS1_30default_config_static_selectorELNS0_4arch9wavefront6targetE0EEEvT1_,comdat
.Lfunc_end242:
	.size	_ZN7rocprim17ROCPRIM_400000_NS6detail17trampoline_kernelINS0_14default_configENS1_27scan_by_key_config_selectorIssEEZZNS1_16scan_by_key_implILNS1_25lookback_scan_determinismE0ELb0ES3_N6thrust23THRUST_200600_302600_NS6detail15normal_iteratorINS9_10device_ptrIsEEEESE_SE_sNS9_4plusIvEENS9_8equal_toIvEEsEE10hipError_tPvRmT2_T3_T4_T5_mT6_T7_P12ihipStream_tbENKUlT_T0_E_clISt17integral_constantIbLb0EESZ_EEDaSU_SV_EUlSU_E_NS1_11comp_targetILNS1_3genE4ELNS1_11target_archE910ELNS1_3gpuE8ELNS1_3repE0EEENS1_30default_config_static_selectorELNS0_4arch9wavefront6targetE0EEEvT1_, .Lfunc_end242-_ZN7rocprim17ROCPRIM_400000_NS6detail17trampoline_kernelINS0_14default_configENS1_27scan_by_key_config_selectorIssEEZZNS1_16scan_by_key_implILNS1_25lookback_scan_determinismE0ELb0ES3_N6thrust23THRUST_200600_302600_NS6detail15normal_iteratorINS9_10device_ptrIsEEEESE_SE_sNS9_4plusIvEENS9_8equal_toIvEEsEE10hipError_tPvRmT2_T3_T4_T5_mT6_T7_P12ihipStream_tbENKUlT_T0_E_clISt17integral_constantIbLb0EESZ_EEDaSU_SV_EUlSU_E_NS1_11comp_targetILNS1_3genE4ELNS1_11target_archE910ELNS1_3gpuE8ELNS1_3repE0EEENS1_30default_config_static_selectorELNS0_4arch9wavefront6targetE0EEEvT1_
                                        ; -- End function
	.set _ZN7rocprim17ROCPRIM_400000_NS6detail17trampoline_kernelINS0_14default_configENS1_27scan_by_key_config_selectorIssEEZZNS1_16scan_by_key_implILNS1_25lookback_scan_determinismE0ELb0ES3_N6thrust23THRUST_200600_302600_NS6detail15normal_iteratorINS9_10device_ptrIsEEEESE_SE_sNS9_4plusIvEENS9_8equal_toIvEEsEE10hipError_tPvRmT2_T3_T4_T5_mT6_T7_P12ihipStream_tbENKUlT_T0_E_clISt17integral_constantIbLb0EESZ_EEDaSU_SV_EUlSU_E_NS1_11comp_targetILNS1_3genE4ELNS1_11target_archE910ELNS1_3gpuE8ELNS1_3repE0EEENS1_30default_config_static_selectorELNS0_4arch9wavefront6targetE0EEEvT1_.num_vgpr, 0
	.set _ZN7rocprim17ROCPRIM_400000_NS6detail17trampoline_kernelINS0_14default_configENS1_27scan_by_key_config_selectorIssEEZZNS1_16scan_by_key_implILNS1_25lookback_scan_determinismE0ELb0ES3_N6thrust23THRUST_200600_302600_NS6detail15normal_iteratorINS9_10device_ptrIsEEEESE_SE_sNS9_4plusIvEENS9_8equal_toIvEEsEE10hipError_tPvRmT2_T3_T4_T5_mT6_T7_P12ihipStream_tbENKUlT_T0_E_clISt17integral_constantIbLb0EESZ_EEDaSU_SV_EUlSU_E_NS1_11comp_targetILNS1_3genE4ELNS1_11target_archE910ELNS1_3gpuE8ELNS1_3repE0EEENS1_30default_config_static_selectorELNS0_4arch9wavefront6targetE0EEEvT1_.num_agpr, 0
	.set _ZN7rocprim17ROCPRIM_400000_NS6detail17trampoline_kernelINS0_14default_configENS1_27scan_by_key_config_selectorIssEEZZNS1_16scan_by_key_implILNS1_25lookback_scan_determinismE0ELb0ES3_N6thrust23THRUST_200600_302600_NS6detail15normal_iteratorINS9_10device_ptrIsEEEESE_SE_sNS9_4plusIvEENS9_8equal_toIvEEsEE10hipError_tPvRmT2_T3_T4_T5_mT6_T7_P12ihipStream_tbENKUlT_T0_E_clISt17integral_constantIbLb0EESZ_EEDaSU_SV_EUlSU_E_NS1_11comp_targetILNS1_3genE4ELNS1_11target_archE910ELNS1_3gpuE8ELNS1_3repE0EEENS1_30default_config_static_selectorELNS0_4arch9wavefront6targetE0EEEvT1_.numbered_sgpr, 0
	.set _ZN7rocprim17ROCPRIM_400000_NS6detail17trampoline_kernelINS0_14default_configENS1_27scan_by_key_config_selectorIssEEZZNS1_16scan_by_key_implILNS1_25lookback_scan_determinismE0ELb0ES3_N6thrust23THRUST_200600_302600_NS6detail15normal_iteratorINS9_10device_ptrIsEEEESE_SE_sNS9_4plusIvEENS9_8equal_toIvEEsEE10hipError_tPvRmT2_T3_T4_T5_mT6_T7_P12ihipStream_tbENKUlT_T0_E_clISt17integral_constantIbLb0EESZ_EEDaSU_SV_EUlSU_E_NS1_11comp_targetILNS1_3genE4ELNS1_11target_archE910ELNS1_3gpuE8ELNS1_3repE0EEENS1_30default_config_static_selectorELNS0_4arch9wavefront6targetE0EEEvT1_.num_named_barrier, 0
	.set _ZN7rocprim17ROCPRIM_400000_NS6detail17trampoline_kernelINS0_14default_configENS1_27scan_by_key_config_selectorIssEEZZNS1_16scan_by_key_implILNS1_25lookback_scan_determinismE0ELb0ES3_N6thrust23THRUST_200600_302600_NS6detail15normal_iteratorINS9_10device_ptrIsEEEESE_SE_sNS9_4plusIvEENS9_8equal_toIvEEsEE10hipError_tPvRmT2_T3_T4_T5_mT6_T7_P12ihipStream_tbENKUlT_T0_E_clISt17integral_constantIbLb0EESZ_EEDaSU_SV_EUlSU_E_NS1_11comp_targetILNS1_3genE4ELNS1_11target_archE910ELNS1_3gpuE8ELNS1_3repE0EEENS1_30default_config_static_selectorELNS0_4arch9wavefront6targetE0EEEvT1_.private_seg_size, 0
	.set _ZN7rocprim17ROCPRIM_400000_NS6detail17trampoline_kernelINS0_14default_configENS1_27scan_by_key_config_selectorIssEEZZNS1_16scan_by_key_implILNS1_25lookback_scan_determinismE0ELb0ES3_N6thrust23THRUST_200600_302600_NS6detail15normal_iteratorINS9_10device_ptrIsEEEESE_SE_sNS9_4plusIvEENS9_8equal_toIvEEsEE10hipError_tPvRmT2_T3_T4_T5_mT6_T7_P12ihipStream_tbENKUlT_T0_E_clISt17integral_constantIbLb0EESZ_EEDaSU_SV_EUlSU_E_NS1_11comp_targetILNS1_3genE4ELNS1_11target_archE910ELNS1_3gpuE8ELNS1_3repE0EEENS1_30default_config_static_selectorELNS0_4arch9wavefront6targetE0EEEvT1_.uses_vcc, 0
	.set _ZN7rocprim17ROCPRIM_400000_NS6detail17trampoline_kernelINS0_14default_configENS1_27scan_by_key_config_selectorIssEEZZNS1_16scan_by_key_implILNS1_25lookback_scan_determinismE0ELb0ES3_N6thrust23THRUST_200600_302600_NS6detail15normal_iteratorINS9_10device_ptrIsEEEESE_SE_sNS9_4plusIvEENS9_8equal_toIvEEsEE10hipError_tPvRmT2_T3_T4_T5_mT6_T7_P12ihipStream_tbENKUlT_T0_E_clISt17integral_constantIbLb0EESZ_EEDaSU_SV_EUlSU_E_NS1_11comp_targetILNS1_3genE4ELNS1_11target_archE910ELNS1_3gpuE8ELNS1_3repE0EEENS1_30default_config_static_selectorELNS0_4arch9wavefront6targetE0EEEvT1_.uses_flat_scratch, 0
	.set _ZN7rocprim17ROCPRIM_400000_NS6detail17trampoline_kernelINS0_14default_configENS1_27scan_by_key_config_selectorIssEEZZNS1_16scan_by_key_implILNS1_25lookback_scan_determinismE0ELb0ES3_N6thrust23THRUST_200600_302600_NS6detail15normal_iteratorINS9_10device_ptrIsEEEESE_SE_sNS9_4plusIvEENS9_8equal_toIvEEsEE10hipError_tPvRmT2_T3_T4_T5_mT6_T7_P12ihipStream_tbENKUlT_T0_E_clISt17integral_constantIbLb0EESZ_EEDaSU_SV_EUlSU_E_NS1_11comp_targetILNS1_3genE4ELNS1_11target_archE910ELNS1_3gpuE8ELNS1_3repE0EEENS1_30default_config_static_selectorELNS0_4arch9wavefront6targetE0EEEvT1_.has_dyn_sized_stack, 0
	.set _ZN7rocprim17ROCPRIM_400000_NS6detail17trampoline_kernelINS0_14default_configENS1_27scan_by_key_config_selectorIssEEZZNS1_16scan_by_key_implILNS1_25lookback_scan_determinismE0ELb0ES3_N6thrust23THRUST_200600_302600_NS6detail15normal_iteratorINS9_10device_ptrIsEEEESE_SE_sNS9_4plusIvEENS9_8equal_toIvEEsEE10hipError_tPvRmT2_T3_T4_T5_mT6_T7_P12ihipStream_tbENKUlT_T0_E_clISt17integral_constantIbLb0EESZ_EEDaSU_SV_EUlSU_E_NS1_11comp_targetILNS1_3genE4ELNS1_11target_archE910ELNS1_3gpuE8ELNS1_3repE0EEENS1_30default_config_static_selectorELNS0_4arch9wavefront6targetE0EEEvT1_.has_recursion, 0
	.set _ZN7rocprim17ROCPRIM_400000_NS6detail17trampoline_kernelINS0_14default_configENS1_27scan_by_key_config_selectorIssEEZZNS1_16scan_by_key_implILNS1_25lookback_scan_determinismE0ELb0ES3_N6thrust23THRUST_200600_302600_NS6detail15normal_iteratorINS9_10device_ptrIsEEEESE_SE_sNS9_4plusIvEENS9_8equal_toIvEEsEE10hipError_tPvRmT2_T3_T4_T5_mT6_T7_P12ihipStream_tbENKUlT_T0_E_clISt17integral_constantIbLb0EESZ_EEDaSU_SV_EUlSU_E_NS1_11comp_targetILNS1_3genE4ELNS1_11target_archE910ELNS1_3gpuE8ELNS1_3repE0EEENS1_30default_config_static_selectorELNS0_4arch9wavefront6targetE0EEEvT1_.has_indirect_call, 0
	.section	.AMDGPU.csdata,"",@progbits
; Kernel info:
; codeLenInByte = 0
; TotalNumSgprs: 0
; NumVgprs: 0
; ScratchSize: 0
; MemoryBound: 0
; FloatMode: 240
; IeeeMode: 1
; LDSByteSize: 0 bytes/workgroup (compile time only)
; SGPRBlocks: 0
; VGPRBlocks: 0
; NumSGPRsForWavesPerEU: 1
; NumVGPRsForWavesPerEU: 1
; Occupancy: 16
; WaveLimiterHint : 0
; COMPUTE_PGM_RSRC2:SCRATCH_EN: 0
; COMPUTE_PGM_RSRC2:USER_SGPR: 6
; COMPUTE_PGM_RSRC2:TRAP_HANDLER: 0
; COMPUTE_PGM_RSRC2:TGID_X_EN: 1
; COMPUTE_PGM_RSRC2:TGID_Y_EN: 0
; COMPUTE_PGM_RSRC2:TGID_Z_EN: 0
; COMPUTE_PGM_RSRC2:TIDIG_COMP_CNT: 0
	.section	.text._ZN7rocprim17ROCPRIM_400000_NS6detail17trampoline_kernelINS0_14default_configENS1_27scan_by_key_config_selectorIssEEZZNS1_16scan_by_key_implILNS1_25lookback_scan_determinismE0ELb0ES3_N6thrust23THRUST_200600_302600_NS6detail15normal_iteratorINS9_10device_ptrIsEEEESE_SE_sNS9_4plusIvEENS9_8equal_toIvEEsEE10hipError_tPvRmT2_T3_T4_T5_mT6_T7_P12ihipStream_tbENKUlT_T0_E_clISt17integral_constantIbLb0EESZ_EEDaSU_SV_EUlSU_E_NS1_11comp_targetILNS1_3genE3ELNS1_11target_archE908ELNS1_3gpuE7ELNS1_3repE0EEENS1_30default_config_static_selectorELNS0_4arch9wavefront6targetE0EEEvT1_,"axG",@progbits,_ZN7rocprim17ROCPRIM_400000_NS6detail17trampoline_kernelINS0_14default_configENS1_27scan_by_key_config_selectorIssEEZZNS1_16scan_by_key_implILNS1_25lookback_scan_determinismE0ELb0ES3_N6thrust23THRUST_200600_302600_NS6detail15normal_iteratorINS9_10device_ptrIsEEEESE_SE_sNS9_4plusIvEENS9_8equal_toIvEEsEE10hipError_tPvRmT2_T3_T4_T5_mT6_T7_P12ihipStream_tbENKUlT_T0_E_clISt17integral_constantIbLb0EESZ_EEDaSU_SV_EUlSU_E_NS1_11comp_targetILNS1_3genE3ELNS1_11target_archE908ELNS1_3gpuE7ELNS1_3repE0EEENS1_30default_config_static_selectorELNS0_4arch9wavefront6targetE0EEEvT1_,comdat
	.protected	_ZN7rocprim17ROCPRIM_400000_NS6detail17trampoline_kernelINS0_14default_configENS1_27scan_by_key_config_selectorIssEEZZNS1_16scan_by_key_implILNS1_25lookback_scan_determinismE0ELb0ES3_N6thrust23THRUST_200600_302600_NS6detail15normal_iteratorINS9_10device_ptrIsEEEESE_SE_sNS9_4plusIvEENS9_8equal_toIvEEsEE10hipError_tPvRmT2_T3_T4_T5_mT6_T7_P12ihipStream_tbENKUlT_T0_E_clISt17integral_constantIbLb0EESZ_EEDaSU_SV_EUlSU_E_NS1_11comp_targetILNS1_3genE3ELNS1_11target_archE908ELNS1_3gpuE7ELNS1_3repE0EEENS1_30default_config_static_selectorELNS0_4arch9wavefront6targetE0EEEvT1_ ; -- Begin function _ZN7rocprim17ROCPRIM_400000_NS6detail17trampoline_kernelINS0_14default_configENS1_27scan_by_key_config_selectorIssEEZZNS1_16scan_by_key_implILNS1_25lookback_scan_determinismE0ELb0ES3_N6thrust23THRUST_200600_302600_NS6detail15normal_iteratorINS9_10device_ptrIsEEEESE_SE_sNS9_4plusIvEENS9_8equal_toIvEEsEE10hipError_tPvRmT2_T3_T4_T5_mT6_T7_P12ihipStream_tbENKUlT_T0_E_clISt17integral_constantIbLb0EESZ_EEDaSU_SV_EUlSU_E_NS1_11comp_targetILNS1_3genE3ELNS1_11target_archE908ELNS1_3gpuE7ELNS1_3repE0EEENS1_30default_config_static_selectorELNS0_4arch9wavefront6targetE0EEEvT1_
	.globl	_ZN7rocprim17ROCPRIM_400000_NS6detail17trampoline_kernelINS0_14default_configENS1_27scan_by_key_config_selectorIssEEZZNS1_16scan_by_key_implILNS1_25lookback_scan_determinismE0ELb0ES3_N6thrust23THRUST_200600_302600_NS6detail15normal_iteratorINS9_10device_ptrIsEEEESE_SE_sNS9_4plusIvEENS9_8equal_toIvEEsEE10hipError_tPvRmT2_T3_T4_T5_mT6_T7_P12ihipStream_tbENKUlT_T0_E_clISt17integral_constantIbLb0EESZ_EEDaSU_SV_EUlSU_E_NS1_11comp_targetILNS1_3genE3ELNS1_11target_archE908ELNS1_3gpuE7ELNS1_3repE0EEENS1_30default_config_static_selectorELNS0_4arch9wavefront6targetE0EEEvT1_
	.p2align	8
	.type	_ZN7rocprim17ROCPRIM_400000_NS6detail17trampoline_kernelINS0_14default_configENS1_27scan_by_key_config_selectorIssEEZZNS1_16scan_by_key_implILNS1_25lookback_scan_determinismE0ELb0ES3_N6thrust23THRUST_200600_302600_NS6detail15normal_iteratorINS9_10device_ptrIsEEEESE_SE_sNS9_4plusIvEENS9_8equal_toIvEEsEE10hipError_tPvRmT2_T3_T4_T5_mT6_T7_P12ihipStream_tbENKUlT_T0_E_clISt17integral_constantIbLb0EESZ_EEDaSU_SV_EUlSU_E_NS1_11comp_targetILNS1_3genE3ELNS1_11target_archE908ELNS1_3gpuE7ELNS1_3repE0EEENS1_30default_config_static_selectorELNS0_4arch9wavefront6targetE0EEEvT1_,@function
_ZN7rocprim17ROCPRIM_400000_NS6detail17trampoline_kernelINS0_14default_configENS1_27scan_by_key_config_selectorIssEEZZNS1_16scan_by_key_implILNS1_25lookback_scan_determinismE0ELb0ES3_N6thrust23THRUST_200600_302600_NS6detail15normal_iteratorINS9_10device_ptrIsEEEESE_SE_sNS9_4plusIvEENS9_8equal_toIvEEsEE10hipError_tPvRmT2_T3_T4_T5_mT6_T7_P12ihipStream_tbENKUlT_T0_E_clISt17integral_constantIbLb0EESZ_EEDaSU_SV_EUlSU_E_NS1_11comp_targetILNS1_3genE3ELNS1_11target_archE908ELNS1_3gpuE7ELNS1_3repE0EEENS1_30default_config_static_selectorELNS0_4arch9wavefront6targetE0EEEvT1_: ; @_ZN7rocprim17ROCPRIM_400000_NS6detail17trampoline_kernelINS0_14default_configENS1_27scan_by_key_config_selectorIssEEZZNS1_16scan_by_key_implILNS1_25lookback_scan_determinismE0ELb0ES3_N6thrust23THRUST_200600_302600_NS6detail15normal_iteratorINS9_10device_ptrIsEEEESE_SE_sNS9_4plusIvEENS9_8equal_toIvEEsEE10hipError_tPvRmT2_T3_T4_T5_mT6_T7_P12ihipStream_tbENKUlT_T0_E_clISt17integral_constantIbLb0EESZ_EEDaSU_SV_EUlSU_E_NS1_11comp_targetILNS1_3genE3ELNS1_11target_archE908ELNS1_3gpuE7ELNS1_3repE0EEENS1_30default_config_static_selectorELNS0_4arch9wavefront6targetE0EEEvT1_
; %bb.0:
	.section	.rodata,"a",@progbits
	.p2align	6, 0x0
	.amdhsa_kernel _ZN7rocprim17ROCPRIM_400000_NS6detail17trampoline_kernelINS0_14default_configENS1_27scan_by_key_config_selectorIssEEZZNS1_16scan_by_key_implILNS1_25lookback_scan_determinismE0ELb0ES3_N6thrust23THRUST_200600_302600_NS6detail15normal_iteratorINS9_10device_ptrIsEEEESE_SE_sNS9_4plusIvEENS9_8equal_toIvEEsEE10hipError_tPvRmT2_T3_T4_T5_mT6_T7_P12ihipStream_tbENKUlT_T0_E_clISt17integral_constantIbLb0EESZ_EEDaSU_SV_EUlSU_E_NS1_11comp_targetILNS1_3genE3ELNS1_11target_archE908ELNS1_3gpuE7ELNS1_3repE0EEENS1_30default_config_static_selectorELNS0_4arch9wavefront6targetE0EEEvT1_
		.amdhsa_group_segment_fixed_size 0
		.amdhsa_private_segment_fixed_size 0
		.amdhsa_kernarg_size 112
		.amdhsa_user_sgpr_count 6
		.amdhsa_user_sgpr_private_segment_buffer 1
		.amdhsa_user_sgpr_dispatch_ptr 0
		.amdhsa_user_sgpr_queue_ptr 0
		.amdhsa_user_sgpr_kernarg_segment_ptr 1
		.amdhsa_user_sgpr_dispatch_id 0
		.amdhsa_user_sgpr_flat_scratch_init 0
		.amdhsa_user_sgpr_private_segment_size 0
		.amdhsa_wavefront_size32 1
		.amdhsa_uses_dynamic_stack 0
		.amdhsa_system_sgpr_private_segment_wavefront_offset 0
		.amdhsa_system_sgpr_workgroup_id_x 1
		.amdhsa_system_sgpr_workgroup_id_y 0
		.amdhsa_system_sgpr_workgroup_id_z 0
		.amdhsa_system_sgpr_workgroup_info 0
		.amdhsa_system_vgpr_workitem_id 0
		.amdhsa_next_free_vgpr 1
		.amdhsa_next_free_sgpr 1
		.amdhsa_reserve_vcc 0
		.amdhsa_reserve_flat_scratch 0
		.amdhsa_float_round_mode_32 0
		.amdhsa_float_round_mode_16_64 0
		.amdhsa_float_denorm_mode_32 3
		.amdhsa_float_denorm_mode_16_64 3
		.amdhsa_dx10_clamp 1
		.amdhsa_ieee_mode 1
		.amdhsa_fp16_overflow 0
		.amdhsa_workgroup_processor_mode 1
		.amdhsa_memory_ordered 1
		.amdhsa_forward_progress 1
		.amdhsa_shared_vgpr_count 0
		.amdhsa_exception_fp_ieee_invalid_op 0
		.amdhsa_exception_fp_denorm_src 0
		.amdhsa_exception_fp_ieee_div_zero 0
		.amdhsa_exception_fp_ieee_overflow 0
		.amdhsa_exception_fp_ieee_underflow 0
		.amdhsa_exception_fp_ieee_inexact 0
		.amdhsa_exception_int_div_zero 0
	.end_amdhsa_kernel
	.section	.text._ZN7rocprim17ROCPRIM_400000_NS6detail17trampoline_kernelINS0_14default_configENS1_27scan_by_key_config_selectorIssEEZZNS1_16scan_by_key_implILNS1_25lookback_scan_determinismE0ELb0ES3_N6thrust23THRUST_200600_302600_NS6detail15normal_iteratorINS9_10device_ptrIsEEEESE_SE_sNS9_4plusIvEENS9_8equal_toIvEEsEE10hipError_tPvRmT2_T3_T4_T5_mT6_T7_P12ihipStream_tbENKUlT_T0_E_clISt17integral_constantIbLb0EESZ_EEDaSU_SV_EUlSU_E_NS1_11comp_targetILNS1_3genE3ELNS1_11target_archE908ELNS1_3gpuE7ELNS1_3repE0EEENS1_30default_config_static_selectorELNS0_4arch9wavefront6targetE0EEEvT1_,"axG",@progbits,_ZN7rocprim17ROCPRIM_400000_NS6detail17trampoline_kernelINS0_14default_configENS1_27scan_by_key_config_selectorIssEEZZNS1_16scan_by_key_implILNS1_25lookback_scan_determinismE0ELb0ES3_N6thrust23THRUST_200600_302600_NS6detail15normal_iteratorINS9_10device_ptrIsEEEESE_SE_sNS9_4plusIvEENS9_8equal_toIvEEsEE10hipError_tPvRmT2_T3_T4_T5_mT6_T7_P12ihipStream_tbENKUlT_T0_E_clISt17integral_constantIbLb0EESZ_EEDaSU_SV_EUlSU_E_NS1_11comp_targetILNS1_3genE3ELNS1_11target_archE908ELNS1_3gpuE7ELNS1_3repE0EEENS1_30default_config_static_selectorELNS0_4arch9wavefront6targetE0EEEvT1_,comdat
.Lfunc_end243:
	.size	_ZN7rocprim17ROCPRIM_400000_NS6detail17trampoline_kernelINS0_14default_configENS1_27scan_by_key_config_selectorIssEEZZNS1_16scan_by_key_implILNS1_25lookback_scan_determinismE0ELb0ES3_N6thrust23THRUST_200600_302600_NS6detail15normal_iteratorINS9_10device_ptrIsEEEESE_SE_sNS9_4plusIvEENS9_8equal_toIvEEsEE10hipError_tPvRmT2_T3_T4_T5_mT6_T7_P12ihipStream_tbENKUlT_T0_E_clISt17integral_constantIbLb0EESZ_EEDaSU_SV_EUlSU_E_NS1_11comp_targetILNS1_3genE3ELNS1_11target_archE908ELNS1_3gpuE7ELNS1_3repE0EEENS1_30default_config_static_selectorELNS0_4arch9wavefront6targetE0EEEvT1_, .Lfunc_end243-_ZN7rocprim17ROCPRIM_400000_NS6detail17trampoline_kernelINS0_14default_configENS1_27scan_by_key_config_selectorIssEEZZNS1_16scan_by_key_implILNS1_25lookback_scan_determinismE0ELb0ES3_N6thrust23THRUST_200600_302600_NS6detail15normal_iteratorINS9_10device_ptrIsEEEESE_SE_sNS9_4plusIvEENS9_8equal_toIvEEsEE10hipError_tPvRmT2_T3_T4_T5_mT6_T7_P12ihipStream_tbENKUlT_T0_E_clISt17integral_constantIbLb0EESZ_EEDaSU_SV_EUlSU_E_NS1_11comp_targetILNS1_3genE3ELNS1_11target_archE908ELNS1_3gpuE7ELNS1_3repE0EEENS1_30default_config_static_selectorELNS0_4arch9wavefront6targetE0EEEvT1_
                                        ; -- End function
	.set _ZN7rocprim17ROCPRIM_400000_NS6detail17trampoline_kernelINS0_14default_configENS1_27scan_by_key_config_selectorIssEEZZNS1_16scan_by_key_implILNS1_25lookback_scan_determinismE0ELb0ES3_N6thrust23THRUST_200600_302600_NS6detail15normal_iteratorINS9_10device_ptrIsEEEESE_SE_sNS9_4plusIvEENS9_8equal_toIvEEsEE10hipError_tPvRmT2_T3_T4_T5_mT6_T7_P12ihipStream_tbENKUlT_T0_E_clISt17integral_constantIbLb0EESZ_EEDaSU_SV_EUlSU_E_NS1_11comp_targetILNS1_3genE3ELNS1_11target_archE908ELNS1_3gpuE7ELNS1_3repE0EEENS1_30default_config_static_selectorELNS0_4arch9wavefront6targetE0EEEvT1_.num_vgpr, 0
	.set _ZN7rocprim17ROCPRIM_400000_NS6detail17trampoline_kernelINS0_14default_configENS1_27scan_by_key_config_selectorIssEEZZNS1_16scan_by_key_implILNS1_25lookback_scan_determinismE0ELb0ES3_N6thrust23THRUST_200600_302600_NS6detail15normal_iteratorINS9_10device_ptrIsEEEESE_SE_sNS9_4plusIvEENS9_8equal_toIvEEsEE10hipError_tPvRmT2_T3_T4_T5_mT6_T7_P12ihipStream_tbENKUlT_T0_E_clISt17integral_constantIbLb0EESZ_EEDaSU_SV_EUlSU_E_NS1_11comp_targetILNS1_3genE3ELNS1_11target_archE908ELNS1_3gpuE7ELNS1_3repE0EEENS1_30default_config_static_selectorELNS0_4arch9wavefront6targetE0EEEvT1_.num_agpr, 0
	.set _ZN7rocprim17ROCPRIM_400000_NS6detail17trampoline_kernelINS0_14default_configENS1_27scan_by_key_config_selectorIssEEZZNS1_16scan_by_key_implILNS1_25lookback_scan_determinismE0ELb0ES3_N6thrust23THRUST_200600_302600_NS6detail15normal_iteratorINS9_10device_ptrIsEEEESE_SE_sNS9_4plusIvEENS9_8equal_toIvEEsEE10hipError_tPvRmT2_T3_T4_T5_mT6_T7_P12ihipStream_tbENKUlT_T0_E_clISt17integral_constantIbLb0EESZ_EEDaSU_SV_EUlSU_E_NS1_11comp_targetILNS1_3genE3ELNS1_11target_archE908ELNS1_3gpuE7ELNS1_3repE0EEENS1_30default_config_static_selectorELNS0_4arch9wavefront6targetE0EEEvT1_.numbered_sgpr, 0
	.set _ZN7rocprim17ROCPRIM_400000_NS6detail17trampoline_kernelINS0_14default_configENS1_27scan_by_key_config_selectorIssEEZZNS1_16scan_by_key_implILNS1_25lookback_scan_determinismE0ELb0ES3_N6thrust23THRUST_200600_302600_NS6detail15normal_iteratorINS9_10device_ptrIsEEEESE_SE_sNS9_4plusIvEENS9_8equal_toIvEEsEE10hipError_tPvRmT2_T3_T4_T5_mT6_T7_P12ihipStream_tbENKUlT_T0_E_clISt17integral_constantIbLb0EESZ_EEDaSU_SV_EUlSU_E_NS1_11comp_targetILNS1_3genE3ELNS1_11target_archE908ELNS1_3gpuE7ELNS1_3repE0EEENS1_30default_config_static_selectorELNS0_4arch9wavefront6targetE0EEEvT1_.num_named_barrier, 0
	.set _ZN7rocprim17ROCPRIM_400000_NS6detail17trampoline_kernelINS0_14default_configENS1_27scan_by_key_config_selectorIssEEZZNS1_16scan_by_key_implILNS1_25lookback_scan_determinismE0ELb0ES3_N6thrust23THRUST_200600_302600_NS6detail15normal_iteratorINS9_10device_ptrIsEEEESE_SE_sNS9_4plusIvEENS9_8equal_toIvEEsEE10hipError_tPvRmT2_T3_T4_T5_mT6_T7_P12ihipStream_tbENKUlT_T0_E_clISt17integral_constantIbLb0EESZ_EEDaSU_SV_EUlSU_E_NS1_11comp_targetILNS1_3genE3ELNS1_11target_archE908ELNS1_3gpuE7ELNS1_3repE0EEENS1_30default_config_static_selectorELNS0_4arch9wavefront6targetE0EEEvT1_.private_seg_size, 0
	.set _ZN7rocprim17ROCPRIM_400000_NS6detail17trampoline_kernelINS0_14default_configENS1_27scan_by_key_config_selectorIssEEZZNS1_16scan_by_key_implILNS1_25lookback_scan_determinismE0ELb0ES3_N6thrust23THRUST_200600_302600_NS6detail15normal_iteratorINS9_10device_ptrIsEEEESE_SE_sNS9_4plusIvEENS9_8equal_toIvEEsEE10hipError_tPvRmT2_T3_T4_T5_mT6_T7_P12ihipStream_tbENKUlT_T0_E_clISt17integral_constantIbLb0EESZ_EEDaSU_SV_EUlSU_E_NS1_11comp_targetILNS1_3genE3ELNS1_11target_archE908ELNS1_3gpuE7ELNS1_3repE0EEENS1_30default_config_static_selectorELNS0_4arch9wavefront6targetE0EEEvT1_.uses_vcc, 0
	.set _ZN7rocprim17ROCPRIM_400000_NS6detail17trampoline_kernelINS0_14default_configENS1_27scan_by_key_config_selectorIssEEZZNS1_16scan_by_key_implILNS1_25lookback_scan_determinismE0ELb0ES3_N6thrust23THRUST_200600_302600_NS6detail15normal_iteratorINS9_10device_ptrIsEEEESE_SE_sNS9_4plusIvEENS9_8equal_toIvEEsEE10hipError_tPvRmT2_T3_T4_T5_mT6_T7_P12ihipStream_tbENKUlT_T0_E_clISt17integral_constantIbLb0EESZ_EEDaSU_SV_EUlSU_E_NS1_11comp_targetILNS1_3genE3ELNS1_11target_archE908ELNS1_3gpuE7ELNS1_3repE0EEENS1_30default_config_static_selectorELNS0_4arch9wavefront6targetE0EEEvT1_.uses_flat_scratch, 0
	.set _ZN7rocprim17ROCPRIM_400000_NS6detail17trampoline_kernelINS0_14default_configENS1_27scan_by_key_config_selectorIssEEZZNS1_16scan_by_key_implILNS1_25lookback_scan_determinismE0ELb0ES3_N6thrust23THRUST_200600_302600_NS6detail15normal_iteratorINS9_10device_ptrIsEEEESE_SE_sNS9_4plusIvEENS9_8equal_toIvEEsEE10hipError_tPvRmT2_T3_T4_T5_mT6_T7_P12ihipStream_tbENKUlT_T0_E_clISt17integral_constantIbLb0EESZ_EEDaSU_SV_EUlSU_E_NS1_11comp_targetILNS1_3genE3ELNS1_11target_archE908ELNS1_3gpuE7ELNS1_3repE0EEENS1_30default_config_static_selectorELNS0_4arch9wavefront6targetE0EEEvT1_.has_dyn_sized_stack, 0
	.set _ZN7rocprim17ROCPRIM_400000_NS6detail17trampoline_kernelINS0_14default_configENS1_27scan_by_key_config_selectorIssEEZZNS1_16scan_by_key_implILNS1_25lookback_scan_determinismE0ELb0ES3_N6thrust23THRUST_200600_302600_NS6detail15normal_iteratorINS9_10device_ptrIsEEEESE_SE_sNS9_4plusIvEENS9_8equal_toIvEEsEE10hipError_tPvRmT2_T3_T4_T5_mT6_T7_P12ihipStream_tbENKUlT_T0_E_clISt17integral_constantIbLb0EESZ_EEDaSU_SV_EUlSU_E_NS1_11comp_targetILNS1_3genE3ELNS1_11target_archE908ELNS1_3gpuE7ELNS1_3repE0EEENS1_30default_config_static_selectorELNS0_4arch9wavefront6targetE0EEEvT1_.has_recursion, 0
	.set _ZN7rocprim17ROCPRIM_400000_NS6detail17trampoline_kernelINS0_14default_configENS1_27scan_by_key_config_selectorIssEEZZNS1_16scan_by_key_implILNS1_25lookback_scan_determinismE0ELb0ES3_N6thrust23THRUST_200600_302600_NS6detail15normal_iteratorINS9_10device_ptrIsEEEESE_SE_sNS9_4plusIvEENS9_8equal_toIvEEsEE10hipError_tPvRmT2_T3_T4_T5_mT6_T7_P12ihipStream_tbENKUlT_T0_E_clISt17integral_constantIbLb0EESZ_EEDaSU_SV_EUlSU_E_NS1_11comp_targetILNS1_3genE3ELNS1_11target_archE908ELNS1_3gpuE7ELNS1_3repE0EEENS1_30default_config_static_selectorELNS0_4arch9wavefront6targetE0EEEvT1_.has_indirect_call, 0
	.section	.AMDGPU.csdata,"",@progbits
; Kernel info:
; codeLenInByte = 0
; TotalNumSgprs: 0
; NumVgprs: 0
; ScratchSize: 0
; MemoryBound: 0
; FloatMode: 240
; IeeeMode: 1
; LDSByteSize: 0 bytes/workgroup (compile time only)
; SGPRBlocks: 0
; VGPRBlocks: 0
; NumSGPRsForWavesPerEU: 1
; NumVGPRsForWavesPerEU: 1
; Occupancy: 16
; WaveLimiterHint : 0
; COMPUTE_PGM_RSRC2:SCRATCH_EN: 0
; COMPUTE_PGM_RSRC2:USER_SGPR: 6
; COMPUTE_PGM_RSRC2:TRAP_HANDLER: 0
; COMPUTE_PGM_RSRC2:TGID_X_EN: 1
; COMPUTE_PGM_RSRC2:TGID_Y_EN: 0
; COMPUTE_PGM_RSRC2:TGID_Z_EN: 0
; COMPUTE_PGM_RSRC2:TIDIG_COMP_CNT: 0
	.section	.text._ZN7rocprim17ROCPRIM_400000_NS6detail17trampoline_kernelINS0_14default_configENS1_27scan_by_key_config_selectorIssEEZZNS1_16scan_by_key_implILNS1_25lookback_scan_determinismE0ELb0ES3_N6thrust23THRUST_200600_302600_NS6detail15normal_iteratorINS9_10device_ptrIsEEEESE_SE_sNS9_4plusIvEENS9_8equal_toIvEEsEE10hipError_tPvRmT2_T3_T4_T5_mT6_T7_P12ihipStream_tbENKUlT_T0_E_clISt17integral_constantIbLb0EESZ_EEDaSU_SV_EUlSU_E_NS1_11comp_targetILNS1_3genE2ELNS1_11target_archE906ELNS1_3gpuE6ELNS1_3repE0EEENS1_30default_config_static_selectorELNS0_4arch9wavefront6targetE0EEEvT1_,"axG",@progbits,_ZN7rocprim17ROCPRIM_400000_NS6detail17trampoline_kernelINS0_14default_configENS1_27scan_by_key_config_selectorIssEEZZNS1_16scan_by_key_implILNS1_25lookback_scan_determinismE0ELb0ES3_N6thrust23THRUST_200600_302600_NS6detail15normal_iteratorINS9_10device_ptrIsEEEESE_SE_sNS9_4plusIvEENS9_8equal_toIvEEsEE10hipError_tPvRmT2_T3_T4_T5_mT6_T7_P12ihipStream_tbENKUlT_T0_E_clISt17integral_constantIbLb0EESZ_EEDaSU_SV_EUlSU_E_NS1_11comp_targetILNS1_3genE2ELNS1_11target_archE906ELNS1_3gpuE6ELNS1_3repE0EEENS1_30default_config_static_selectorELNS0_4arch9wavefront6targetE0EEEvT1_,comdat
	.protected	_ZN7rocprim17ROCPRIM_400000_NS6detail17trampoline_kernelINS0_14default_configENS1_27scan_by_key_config_selectorIssEEZZNS1_16scan_by_key_implILNS1_25lookback_scan_determinismE0ELb0ES3_N6thrust23THRUST_200600_302600_NS6detail15normal_iteratorINS9_10device_ptrIsEEEESE_SE_sNS9_4plusIvEENS9_8equal_toIvEEsEE10hipError_tPvRmT2_T3_T4_T5_mT6_T7_P12ihipStream_tbENKUlT_T0_E_clISt17integral_constantIbLb0EESZ_EEDaSU_SV_EUlSU_E_NS1_11comp_targetILNS1_3genE2ELNS1_11target_archE906ELNS1_3gpuE6ELNS1_3repE0EEENS1_30default_config_static_selectorELNS0_4arch9wavefront6targetE0EEEvT1_ ; -- Begin function _ZN7rocprim17ROCPRIM_400000_NS6detail17trampoline_kernelINS0_14default_configENS1_27scan_by_key_config_selectorIssEEZZNS1_16scan_by_key_implILNS1_25lookback_scan_determinismE0ELb0ES3_N6thrust23THRUST_200600_302600_NS6detail15normal_iteratorINS9_10device_ptrIsEEEESE_SE_sNS9_4plusIvEENS9_8equal_toIvEEsEE10hipError_tPvRmT2_T3_T4_T5_mT6_T7_P12ihipStream_tbENKUlT_T0_E_clISt17integral_constantIbLb0EESZ_EEDaSU_SV_EUlSU_E_NS1_11comp_targetILNS1_3genE2ELNS1_11target_archE906ELNS1_3gpuE6ELNS1_3repE0EEENS1_30default_config_static_selectorELNS0_4arch9wavefront6targetE0EEEvT1_
	.globl	_ZN7rocprim17ROCPRIM_400000_NS6detail17trampoline_kernelINS0_14default_configENS1_27scan_by_key_config_selectorIssEEZZNS1_16scan_by_key_implILNS1_25lookback_scan_determinismE0ELb0ES3_N6thrust23THRUST_200600_302600_NS6detail15normal_iteratorINS9_10device_ptrIsEEEESE_SE_sNS9_4plusIvEENS9_8equal_toIvEEsEE10hipError_tPvRmT2_T3_T4_T5_mT6_T7_P12ihipStream_tbENKUlT_T0_E_clISt17integral_constantIbLb0EESZ_EEDaSU_SV_EUlSU_E_NS1_11comp_targetILNS1_3genE2ELNS1_11target_archE906ELNS1_3gpuE6ELNS1_3repE0EEENS1_30default_config_static_selectorELNS0_4arch9wavefront6targetE0EEEvT1_
	.p2align	8
	.type	_ZN7rocprim17ROCPRIM_400000_NS6detail17trampoline_kernelINS0_14default_configENS1_27scan_by_key_config_selectorIssEEZZNS1_16scan_by_key_implILNS1_25lookback_scan_determinismE0ELb0ES3_N6thrust23THRUST_200600_302600_NS6detail15normal_iteratorINS9_10device_ptrIsEEEESE_SE_sNS9_4plusIvEENS9_8equal_toIvEEsEE10hipError_tPvRmT2_T3_T4_T5_mT6_T7_P12ihipStream_tbENKUlT_T0_E_clISt17integral_constantIbLb0EESZ_EEDaSU_SV_EUlSU_E_NS1_11comp_targetILNS1_3genE2ELNS1_11target_archE906ELNS1_3gpuE6ELNS1_3repE0EEENS1_30default_config_static_selectorELNS0_4arch9wavefront6targetE0EEEvT1_,@function
_ZN7rocprim17ROCPRIM_400000_NS6detail17trampoline_kernelINS0_14default_configENS1_27scan_by_key_config_selectorIssEEZZNS1_16scan_by_key_implILNS1_25lookback_scan_determinismE0ELb0ES3_N6thrust23THRUST_200600_302600_NS6detail15normal_iteratorINS9_10device_ptrIsEEEESE_SE_sNS9_4plusIvEENS9_8equal_toIvEEsEE10hipError_tPvRmT2_T3_T4_T5_mT6_T7_P12ihipStream_tbENKUlT_T0_E_clISt17integral_constantIbLb0EESZ_EEDaSU_SV_EUlSU_E_NS1_11comp_targetILNS1_3genE2ELNS1_11target_archE906ELNS1_3gpuE6ELNS1_3repE0EEENS1_30default_config_static_selectorELNS0_4arch9wavefront6targetE0EEEvT1_: ; @_ZN7rocprim17ROCPRIM_400000_NS6detail17trampoline_kernelINS0_14default_configENS1_27scan_by_key_config_selectorIssEEZZNS1_16scan_by_key_implILNS1_25lookback_scan_determinismE0ELb0ES3_N6thrust23THRUST_200600_302600_NS6detail15normal_iteratorINS9_10device_ptrIsEEEESE_SE_sNS9_4plusIvEENS9_8equal_toIvEEsEE10hipError_tPvRmT2_T3_T4_T5_mT6_T7_P12ihipStream_tbENKUlT_T0_E_clISt17integral_constantIbLb0EESZ_EEDaSU_SV_EUlSU_E_NS1_11comp_targetILNS1_3genE2ELNS1_11target_archE906ELNS1_3gpuE6ELNS1_3repE0EEENS1_30default_config_static_selectorELNS0_4arch9wavefront6targetE0EEEvT1_
; %bb.0:
	.section	.rodata,"a",@progbits
	.p2align	6, 0x0
	.amdhsa_kernel _ZN7rocprim17ROCPRIM_400000_NS6detail17trampoline_kernelINS0_14default_configENS1_27scan_by_key_config_selectorIssEEZZNS1_16scan_by_key_implILNS1_25lookback_scan_determinismE0ELb0ES3_N6thrust23THRUST_200600_302600_NS6detail15normal_iteratorINS9_10device_ptrIsEEEESE_SE_sNS9_4plusIvEENS9_8equal_toIvEEsEE10hipError_tPvRmT2_T3_T4_T5_mT6_T7_P12ihipStream_tbENKUlT_T0_E_clISt17integral_constantIbLb0EESZ_EEDaSU_SV_EUlSU_E_NS1_11comp_targetILNS1_3genE2ELNS1_11target_archE906ELNS1_3gpuE6ELNS1_3repE0EEENS1_30default_config_static_selectorELNS0_4arch9wavefront6targetE0EEEvT1_
		.amdhsa_group_segment_fixed_size 0
		.amdhsa_private_segment_fixed_size 0
		.amdhsa_kernarg_size 112
		.amdhsa_user_sgpr_count 6
		.amdhsa_user_sgpr_private_segment_buffer 1
		.amdhsa_user_sgpr_dispatch_ptr 0
		.amdhsa_user_sgpr_queue_ptr 0
		.amdhsa_user_sgpr_kernarg_segment_ptr 1
		.amdhsa_user_sgpr_dispatch_id 0
		.amdhsa_user_sgpr_flat_scratch_init 0
		.amdhsa_user_sgpr_private_segment_size 0
		.amdhsa_wavefront_size32 1
		.amdhsa_uses_dynamic_stack 0
		.amdhsa_system_sgpr_private_segment_wavefront_offset 0
		.amdhsa_system_sgpr_workgroup_id_x 1
		.amdhsa_system_sgpr_workgroup_id_y 0
		.amdhsa_system_sgpr_workgroup_id_z 0
		.amdhsa_system_sgpr_workgroup_info 0
		.amdhsa_system_vgpr_workitem_id 0
		.amdhsa_next_free_vgpr 1
		.amdhsa_next_free_sgpr 1
		.amdhsa_reserve_vcc 0
		.amdhsa_reserve_flat_scratch 0
		.amdhsa_float_round_mode_32 0
		.amdhsa_float_round_mode_16_64 0
		.amdhsa_float_denorm_mode_32 3
		.amdhsa_float_denorm_mode_16_64 3
		.amdhsa_dx10_clamp 1
		.amdhsa_ieee_mode 1
		.amdhsa_fp16_overflow 0
		.amdhsa_workgroup_processor_mode 1
		.amdhsa_memory_ordered 1
		.amdhsa_forward_progress 1
		.amdhsa_shared_vgpr_count 0
		.amdhsa_exception_fp_ieee_invalid_op 0
		.amdhsa_exception_fp_denorm_src 0
		.amdhsa_exception_fp_ieee_div_zero 0
		.amdhsa_exception_fp_ieee_overflow 0
		.amdhsa_exception_fp_ieee_underflow 0
		.amdhsa_exception_fp_ieee_inexact 0
		.amdhsa_exception_int_div_zero 0
	.end_amdhsa_kernel
	.section	.text._ZN7rocprim17ROCPRIM_400000_NS6detail17trampoline_kernelINS0_14default_configENS1_27scan_by_key_config_selectorIssEEZZNS1_16scan_by_key_implILNS1_25lookback_scan_determinismE0ELb0ES3_N6thrust23THRUST_200600_302600_NS6detail15normal_iteratorINS9_10device_ptrIsEEEESE_SE_sNS9_4plusIvEENS9_8equal_toIvEEsEE10hipError_tPvRmT2_T3_T4_T5_mT6_T7_P12ihipStream_tbENKUlT_T0_E_clISt17integral_constantIbLb0EESZ_EEDaSU_SV_EUlSU_E_NS1_11comp_targetILNS1_3genE2ELNS1_11target_archE906ELNS1_3gpuE6ELNS1_3repE0EEENS1_30default_config_static_selectorELNS0_4arch9wavefront6targetE0EEEvT1_,"axG",@progbits,_ZN7rocprim17ROCPRIM_400000_NS6detail17trampoline_kernelINS0_14default_configENS1_27scan_by_key_config_selectorIssEEZZNS1_16scan_by_key_implILNS1_25lookback_scan_determinismE0ELb0ES3_N6thrust23THRUST_200600_302600_NS6detail15normal_iteratorINS9_10device_ptrIsEEEESE_SE_sNS9_4plusIvEENS9_8equal_toIvEEsEE10hipError_tPvRmT2_T3_T4_T5_mT6_T7_P12ihipStream_tbENKUlT_T0_E_clISt17integral_constantIbLb0EESZ_EEDaSU_SV_EUlSU_E_NS1_11comp_targetILNS1_3genE2ELNS1_11target_archE906ELNS1_3gpuE6ELNS1_3repE0EEENS1_30default_config_static_selectorELNS0_4arch9wavefront6targetE0EEEvT1_,comdat
.Lfunc_end244:
	.size	_ZN7rocprim17ROCPRIM_400000_NS6detail17trampoline_kernelINS0_14default_configENS1_27scan_by_key_config_selectorIssEEZZNS1_16scan_by_key_implILNS1_25lookback_scan_determinismE0ELb0ES3_N6thrust23THRUST_200600_302600_NS6detail15normal_iteratorINS9_10device_ptrIsEEEESE_SE_sNS9_4plusIvEENS9_8equal_toIvEEsEE10hipError_tPvRmT2_T3_T4_T5_mT6_T7_P12ihipStream_tbENKUlT_T0_E_clISt17integral_constantIbLb0EESZ_EEDaSU_SV_EUlSU_E_NS1_11comp_targetILNS1_3genE2ELNS1_11target_archE906ELNS1_3gpuE6ELNS1_3repE0EEENS1_30default_config_static_selectorELNS0_4arch9wavefront6targetE0EEEvT1_, .Lfunc_end244-_ZN7rocprim17ROCPRIM_400000_NS6detail17trampoline_kernelINS0_14default_configENS1_27scan_by_key_config_selectorIssEEZZNS1_16scan_by_key_implILNS1_25lookback_scan_determinismE0ELb0ES3_N6thrust23THRUST_200600_302600_NS6detail15normal_iteratorINS9_10device_ptrIsEEEESE_SE_sNS9_4plusIvEENS9_8equal_toIvEEsEE10hipError_tPvRmT2_T3_T4_T5_mT6_T7_P12ihipStream_tbENKUlT_T0_E_clISt17integral_constantIbLb0EESZ_EEDaSU_SV_EUlSU_E_NS1_11comp_targetILNS1_3genE2ELNS1_11target_archE906ELNS1_3gpuE6ELNS1_3repE0EEENS1_30default_config_static_selectorELNS0_4arch9wavefront6targetE0EEEvT1_
                                        ; -- End function
	.set _ZN7rocprim17ROCPRIM_400000_NS6detail17trampoline_kernelINS0_14default_configENS1_27scan_by_key_config_selectorIssEEZZNS1_16scan_by_key_implILNS1_25lookback_scan_determinismE0ELb0ES3_N6thrust23THRUST_200600_302600_NS6detail15normal_iteratorINS9_10device_ptrIsEEEESE_SE_sNS9_4plusIvEENS9_8equal_toIvEEsEE10hipError_tPvRmT2_T3_T4_T5_mT6_T7_P12ihipStream_tbENKUlT_T0_E_clISt17integral_constantIbLb0EESZ_EEDaSU_SV_EUlSU_E_NS1_11comp_targetILNS1_3genE2ELNS1_11target_archE906ELNS1_3gpuE6ELNS1_3repE0EEENS1_30default_config_static_selectorELNS0_4arch9wavefront6targetE0EEEvT1_.num_vgpr, 0
	.set _ZN7rocprim17ROCPRIM_400000_NS6detail17trampoline_kernelINS0_14default_configENS1_27scan_by_key_config_selectorIssEEZZNS1_16scan_by_key_implILNS1_25lookback_scan_determinismE0ELb0ES3_N6thrust23THRUST_200600_302600_NS6detail15normal_iteratorINS9_10device_ptrIsEEEESE_SE_sNS9_4plusIvEENS9_8equal_toIvEEsEE10hipError_tPvRmT2_T3_T4_T5_mT6_T7_P12ihipStream_tbENKUlT_T0_E_clISt17integral_constantIbLb0EESZ_EEDaSU_SV_EUlSU_E_NS1_11comp_targetILNS1_3genE2ELNS1_11target_archE906ELNS1_3gpuE6ELNS1_3repE0EEENS1_30default_config_static_selectorELNS0_4arch9wavefront6targetE0EEEvT1_.num_agpr, 0
	.set _ZN7rocprim17ROCPRIM_400000_NS6detail17trampoline_kernelINS0_14default_configENS1_27scan_by_key_config_selectorIssEEZZNS1_16scan_by_key_implILNS1_25lookback_scan_determinismE0ELb0ES3_N6thrust23THRUST_200600_302600_NS6detail15normal_iteratorINS9_10device_ptrIsEEEESE_SE_sNS9_4plusIvEENS9_8equal_toIvEEsEE10hipError_tPvRmT2_T3_T4_T5_mT6_T7_P12ihipStream_tbENKUlT_T0_E_clISt17integral_constantIbLb0EESZ_EEDaSU_SV_EUlSU_E_NS1_11comp_targetILNS1_3genE2ELNS1_11target_archE906ELNS1_3gpuE6ELNS1_3repE0EEENS1_30default_config_static_selectorELNS0_4arch9wavefront6targetE0EEEvT1_.numbered_sgpr, 0
	.set _ZN7rocprim17ROCPRIM_400000_NS6detail17trampoline_kernelINS0_14default_configENS1_27scan_by_key_config_selectorIssEEZZNS1_16scan_by_key_implILNS1_25lookback_scan_determinismE0ELb0ES3_N6thrust23THRUST_200600_302600_NS6detail15normal_iteratorINS9_10device_ptrIsEEEESE_SE_sNS9_4plusIvEENS9_8equal_toIvEEsEE10hipError_tPvRmT2_T3_T4_T5_mT6_T7_P12ihipStream_tbENKUlT_T0_E_clISt17integral_constantIbLb0EESZ_EEDaSU_SV_EUlSU_E_NS1_11comp_targetILNS1_3genE2ELNS1_11target_archE906ELNS1_3gpuE6ELNS1_3repE0EEENS1_30default_config_static_selectorELNS0_4arch9wavefront6targetE0EEEvT1_.num_named_barrier, 0
	.set _ZN7rocprim17ROCPRIM_400000_NS6detail17trampoline_kernelINS0_14default_configENS1_27scan_by_key_config_selectorIssEEZZNS1_16scan_by_key_implILNS1_25lookback_scan_determinismE0ELb0ES3_N6thrust23THRUST_200600_302600_NS6detail15normal_iteratorINS9_10device_ptrIsEEEESE_SE_sNS9_4plusIvEENS9_8equal_toIvEEsEE10hipError_tPvRmT2_T3_T4_T5_mT6_T7_P12ihipStream_tbENKUlT_T0_E_clISt17integral_constantIbLb0EESZ_EEDaSU_SV_EUlSU_E_NS1_11comp_targetILNS1_3genE2ELNS1_11target_archE906ELNS1_3gpuE6ELNS1_3repE0EEENS1_30default_config_static_selectorELNS0_4arch9wavefront6targetE0EEEvT1_.private_seg_size, 0
	.set _ZN7rocprim17ROCPRIM_400000_NS6detail17trampoline_kernelINS0_14default_configENS1_27scan_by_key_config_selectorIssEEZZNS1_16scan_by_key_implILNS1_25lookback_scan_determinismE0ELb0ES3_N6thrust23THRUST_200600_302600_NS6detail15normal_iteratorINS9_10device_ptrIsEEEESE_SE_sNS9_4plusIvEENS9_8equal_toIvEEsEE10hipError_tPvRmT2_T3_T4_T5_mT6_T7_P12ihipStream_tbENKUlT_T0_E_clISt17integral_constantIbLb0EESZ_EEDaSU_SV_EUlSU_E_NS1_11comp_targetILNS1_3genE2ELNS1_11target_archE906ELNS1_3gpuE6ELNS1_3repE0EEENS1_30default_config_static_selectorELNS0_4arch9wavefront6targetE0EEEvT1_.uses_vcc, 0
	.set _ZN7rocprim17ROCPRIM_400000_NS6detail17trampoline_kernelINS0_14default_configENS1_27scan_by_key_config_selectorIssEEZZNS1_16scan_by_key_implILNS1_25lookback_scan_determinismE0ELb0ES3_N6thrust23THRUST_200600_302600_NS6detail15normal_iteratorINS9_10device_ptrIsEEEESE_SE_sNS9_4plusIvEENS9_8equal_toIvEEsEE10hipError_tPvRmT2_T3_T4_T5_mT6_T7_P12ihipStream_tbENKUlT_T0_E_clISt17integral_constantIbLb0EESZ_EEDaSU_SV_EUlSU_E_NS1_11comp_targetILNS1_3genE2ELNS1_11target_archE906ELNS1_3gpuE6ELNS1_3repE0EEENS1_30default_config_static_selectorELNS0_4arch9wavefront6targetE0EEEvT1_.uses_flat_scratch, 0
	.set _ZN7rocprim17ROCPRIM_400000_NS6detail17trampoline_kernelINS0_14default_configENS1_27scan_by_key_config_selectorIssEEZZNS1_16scan_by_key_implILNS1_25lookback_scan_determinismE0ELb0ES3_N6thrust23THRUST_200600_302600_NS6detail15normal_iteratorINS9_10device_ptrIsEEEESE_SE_sNS9_4plusIvEENS9_8equal_toIvEEsEE10hipError_tPvRmT2_T3_T4_T5_mT6_T7_P12ihipStream_tbENKUlT_T0_E_clISt17integral_constantIbLb0EESZ_EEDaSU_SV_EUlSU_E_NS1_11comp_targetILNS1_3genE2ELNS1_11target_archE906ELNS1_3gpuE6ELNS1_3repE0EEENS1_30default_config_static_selectorELNS0_4arch9wavefront6targetE0EEEvT1_.has_dyn_sized_stack, 0
	.set _ZN7rocprim17ROCPRIM_400000_NS6detail17trampoline_kernelINS0_14default_configENS1_27scan_by_key_config_selectorIssEEZZNS1_16scan_by_key_implILNS1_25lookback_scan_determinismE0ELb0ES3_N6thrust23THRUST_200600_302600_NS6detail15normal_iteratorINS9_10device_ptrIsEEEESE_SE_sNS9_4plusIvEENS9_8equal_toIvEEsEE10hipError_tPvRmT2_T3_T4_T5_mT6_T7_P12ihipStream_tbENKUlT_T0_E_clISt17integral_constantIbLb0EESZ_EEDaSU_SV_EUlSU_E_NS1_11comp_targetILNS1_3genE2ELNS1_11target_archE906ELNS1_3gpuE6ELNS1_3repE0EEENS1_30default_config_static_selectorELNS0_4arch9wavefront6targetE0EEEvT1_.has_recursion, 0
	.set _ZN7rocprim17ROCPRIM_400000_NS6detail17trampoline_kernelINS0_14default_configENS1_27scan_by_key_config_selectorIssEEZZNS1_16scan_by_key_implILNS1_25lookback_scan_determinismE0ELb0ES3_N6thrust23THRUST_200600_302600_NS6detail15normal_iteratorINS9_10device_ptrIsEEEESE_SE_sNS9_4plusIvEENS9_8equal_toIvEEsEE10hipError_tPvRmT2_T3_T4_T5_mT6_T7_P12ihipStream_tbENKUlT_T0_E_clISt17integral_constantIbLb0EESZ_EEDaSU_SV_EUlSU_E_NS1_11comp_targetILNS1_3genE2ELNS1_11target_archE906ELNS1_3gpuE6ELNS1_3repE0EEENS1_30default_config_static_selectorELNS0_4arch9wavefront6targetE0EEEvT1_.has_indirect_call, 0
	.section	.AMDGPU.csdata,"",@progbits
; Kernel info:
; codeLenInByte = 0
; TotalNumSgprs: 0
; NumVgprs: 0
; ScratchSize: 0
; MemoryBound: 0
; FloatMode: 240
; IeeeMode: 1
; LDSByteSize: 0 bytes/workgroup (compile time only)
; SGPRBlocks: 0
; VGPRBlocks: 0
; NumSGPRsForWavesPerEU: 1
; NumVGPRsForWavesPerEU: 1
; Occupancy: 16
; WaveLimiterHint : 0
; COMPUTE_PGM_RSRC2:SCRATCH_EN: 0
; COMPUTE_PGM_RSRC2:USER_SGPR: 6
; COMPUTE_PGM_RSRC2:TRAP_HANDLER: 0
; COMPUTE_PGM_RSRC2:TGID_X_EN: 1
; COMPUTE_PGM_RSRC2:TGID_Y_EN: 0
; COMPUTE_PGM_RSRC2:TGID_Z_EN: 0
; COMPUTE_PGM_RSRC2:TIDIG_COMP_CNT: 0
	.section	.text._ZN7rocprim17ROCPRIM_400000_NS6detail17trampoline_kernelINS0_14default_configENS1_27scan_by_key_config_selectorIssEEZZNS1_16scan_by_key_implILNS1_25lookback_scan_determinismE0ELb0ES3_N6thrust23THRUST_200600_302600_NS6detail15normal_iteratorINS9_10device_ptrIsEEEESE_SE_sNS9_4plusIvEENS9_8equal_toIvEEsEE10hipError_tPvRmT2_T3_T4_T5_mT6_T7_P12ihipStream_tbENKUlT_T0_E_clISt17integral_constantIbLb0EESZ_EEDaSU_SV_EUlSU_E_NS1_11comp_targetILNS1_3genE10ELNS1_11target_archE1200ELNS1_3gpuE4ELNS1_3repE0EEENS1_30default_config_static_selectorELNS0_4arch9wavefront6targetE0EEEvT1_,"axG",@progbits,_ZN7rocprim17ROCPRIM_400000_NS6detail17trampoline_kernelINS0_14default_configENS1_27scan_by_key_config_selectorIssEEZZNS1_16scan_by_key_implILNS1_25lookback_scan_determinismE0ELb0ES3_N6thrust23THRUST_200600_302600_NS6detail15normal_iteratorINS9_10device_ptrIsEEEESE_SE_sNS9_4plusIvEENS9_8equal_toIvEEsEE10hipError_tPvRmT2_T3_T4_T5_mT6_T7_P12ihipStream_tbENKUlT_T0_E_clISt17integral_constantIbLb0EESZ_EEDaSU_SV_EUlSU_E_NS1_11comp_targetILNS1_3genE10ELNS1_11target_archE1200ELNS1_3gpuE4ELNS1_3repE0EEENS1_30default_config_static_selectorELNS0_4arch9wavefront6targetE0EEEvT1_,comdat
	.protected	_ZN7rocprim17ROCPRIM_400000_NS6detail17trampoline_kernelINS0_14default_configENS1_27scan_by_key_config_selectorIssEEZZNS1_16scan_by_key_implILNS1_25lookback_scan_determinismE0ELb0ES3_N6thrust23THRUST_200600_302600_NS6detail15normal_iteratorINS9_10device_ptrIsEEEESE_SE_sNS9_4plusIvEENS9_8equal_toIvEEsEE10hipError_tPvRmT2_T3_T4_T5_mT6_T7_P12ihipStream_tbENKUlT_T0_E_clISt17integral_constantIbLb0EESZ_EEDaSU_SV_EUlSU_E_NS1_11comp_targetILNS1_3genE10ELNS1_11target_archE1200ELNS1_3gpuE4ELNS1_3repE0EEENS1_30default_config_static_selectorELNS0_4arch9wavefront6targetE0EEEvT1_ ; -- Begin function _ZN7rocprim17ROCPRIM_400000_NS6detail17trampoline_kernelINS0_14default_configENS1_27scan_by_key_config_selectorIssEEZZNS1_16scan_by_key_implILNS1_25lookback_scan_determinismE0ELb0ES3_N6thrust23THRUST_200600_302600_NS6detail15normal_iteratorINS9_10device_ptrIsEEEESE_SE_sNS9_4plusIvEENS9_8equal_toIvEEsEE10hipError_tPvRmT2_T3_T4_T5_mT6_T7_P12ihipStream_tbENKUlT_T0_E_clISt17integral_constantIbLb0EESZ_EEDaSU_SV_EUlSU_E_NS1_11comp_targetILNS1_3genE10ELNS1_11target_archE1200ELNS1_3gpuE4ELNS1_3repE0EEENS1_30default_config_static_selectorELNS0_4arch9wavefront6targetE0EEEvT1_
	.globl	_ZN7rocprim17ROCPRIM_400000_NS6detail17trampoline_kernelINS0_14default_configENS1_27scan_by_key_config_selectorIssEEZZNS1_16scan_by_key_implILNS1_25lookback_scan_determinismE0ELb0ES3_N6thrust23THRUST_200600_302600_NS6detail15normal_iteratorINS9_10device_ptrIsEEEESE_SE_sNS9_4plusIvEENS9_8equal_toIvEEsEE10hipError_tPvRmT2_T3_T4_T5_mT6_T7_P12ihipStream_tbENKUlT_T0_E_clISt17integral_constantIbLb0EESZ_EEDaSU_SV_EUlSU_E_NS1_11comp_targetILNS1_3genE10ELNS1_11target_archE1200ELNS1_3gpuE4ELNS1_3repE0EEENS1_30default_config_static_selectorELNS0_4arch9wavefront6targetE0EEEvT1_
	.p2align	8
	.type	_ZN7rocprim17ROCPRIM_400000_NS6detail17trampoline_kernelINS0_14default_configENS1_27scan_by_key_config_selectorIssEEZZNS1_16scan_by_key_implILNS1_25lookback_scan_determinismE0ELb0ES3_N6thrust23THRUST_200600_302600_NS6detail15normal_iteratorINS9_10device_ptrIsEEEESE_SE_sNS9_4plusIvEENS9_8equal_toIvEEsEE10hipError_tPvRmT2_T3_T4_T5_mT6_T7_P12ihipStream_tbENKUlT_T0_E_clISt17integral_constantIbLb0EESZ_EEDaSU_SV_EUlSU_E_NS1_11comp_targetILNS1_3genE10ELNS1_11target_archE1200ELNS1_3gpuE4ELNS1_3repE0EEENS1_30default_config_static_selectorELNS0_4arch9wavefront6targetE0EEEvT1_,@function
_ZN7rocprim17ROCPRIM_400000_NS6detail17trampoline_kernelINS0_14default_configENS1_27scan_by_key_config_selectorIssEEZZNS1_16scan_by_key_implILNS1_25lookback_scan_determinismE0ELb0ES3_N6thrust23THRUST_200600_302600_NS6detail15normal_iteratorINS9_10device_ptrIsEEEESE_SE_sNS9_4plusIvEENS9_8equal_toIvEEsEE10hipError_tPvRmT2_T3_T4_T5_mT6_T7_P12ihipStream_tbENKUlT_T0_E_clISt17integral_constantIbLb0EESZ_EEDaSU_SV_EUlSU_E_NS1_11comp_targetILNS1_3genE10ELNS1_11target_archE1200ELNS1_3gpuE4ELNS1_3repE0EEENS1_30default_config_static_selectorELNS0_4arch9wavefront6targetE0EEEvT1_: ; @_ZN7rocprim17ROCPRIM_400000_NS6detail17trampoline_kernelINS0_14default_configENS1_27scan_by_key_config_selectorIssEEZZNS1_16scan_by_key_implILNS1_25lookback_scan_determinismE0ELb0ES3_N6thrust23THRUST_200600_302600_NS6detail15normal_iteratorINS9_10device_ptrIsEEEESE_SE_sNS9_4plusIvEENS9_8equal_toIvEEsEE10hipError_tPvRmT2_T3_T4_T5_mT6_T7_P12ihipStream_tbENKUlT_T0_E_clISt17integral_constantIbLb0EESZ_EEDaSU_SV_EUlSU_E_NS1_11comp_targetILNS1_3genE10ELNS1_11target_archE1200ELNS1_3gpuE4ELNS1_3repE0EEENS1_30default_config_static_selectorELNS0_4arch9wavefront6targetE0EEEvT1_
; %bb.0:
	.section	.rodata,"a",@progbits
	.p2align	6, 0x0
	.amdhsa_kernel _ZN7rocprim17ROCPRIM_400000_NS6detail17trampoline_kernelINS0_14default_configENS1_27scan_by_key_config_selectorIssEEZZNS1_16scan_by_key_implILNS1_25lookback_scan_determinismE0ELb0ES3_N6thrust23THRUST_200600_302600_NS6detail15normal_iteratorINS9_10device_ptrIsEEEESE_SE_sNS9_4plusIvEENS9_8equal_toIvEEsEE10hipError_tPvRmT2_T3_T4_T5_mT6_T7_P12ihipStream_tbENKUlT_T0_E_clISt17integral_constantIbLb0EESZ_EEDaSU_SV_EUlSU_E_NS1_11comp_targetILNS1_3genE10ELNS1_11target_archE1200ELNS1_3gpuE4ELNS1_3repE0EEENS1_30default_config_static_selectorELNS0_4arch9wavefront6targetE0EEEvT1_
		.amdhsa_group_segment_fixed_size 0
		.amdhsa_private_segment_fixed_size 0
		.amdhsa_kernarg_size 112
		.amdhsa_user_sgpr_count 6
		.amdhsa_user_sgpr_private_segment_buffer 1
		.amdhsa_user_sgpr_dispatch_ptr 0
		.amdhsa_user_sgpr_queue_ptr 0
		.amdhsa_user_sgpr_kernarg_segment_ptr 1
		.amdhsa_user_sgpr_dispatch_id 0
		.amdhsa_user_sgpr_flat_scratch_init 0
		.amdhsa_user_sgpr_private_segment_size 0
		.amdhsa_wavefront_size32 1
		.amdhsa_uses_dynamic_stack 0
		.amdhsa_system_sgpr_private_segment_wavefront_offset 0
		.amdhsa_system_sgpr_workgroup_id_x 1
		.amdhsa_system_sgpr_workgroup_id_y 0
		.amdhsa_system_sgpr_workgroup_id_z 0
		.amdhsa_system_sgpr_workgroup_info 0
		.amdhsa_system_vgpr_workitem_id 0
		.amdhsa_next_free_vgpr 1
		.amdhsa_next_free_sgpr 1
		.amdhsa_reserve_vcc 0
		.amdhsa_reserve_flat_scratch 0
		.amdhsa_float_round_mode_32 0
		.amdhsa_float_round_mode_16_64 0
		.amdhsa_float_denorm_mode_32 3
		.amdhsa_float_denorm_mode_16_64 3
		.amdhsa_dx10_clamp 1
		.amdhsa_ieee_mode 1
		.amdhsa_fp16_overflow 0
		.amdhsa_workgroup_processor_mode 1
		.amdhsa_memory_ordered 1
		.amdhsa_forward_progress 1
		.amdhsa_shared_vgpr_count 0
		.amdhsa_exception_fp_ieee_invalid_op 0
		.amdhsa_exception_fp_denorm_src 0
		.amdhsa_exception_fp_ieee_div_zero 0
		.amdhsa_exception_fp_ieee_overflow 0
		.amdhsa_exception_fp_ieee_underflow 0
		.amdhsa_exception_fp_ieee_inexact 0
		.amdhsa_exception_int_div_zero 0
	.end_amdhsa_kernel
	.section	.text._ZN7rocprim17ROCPRIM_400000_NS6detail17trampoline_kernelINS0_14default_configENS1_27scan_by_key_config_selectorIssEEZZNS1_16scan_by_key_implILNS1_25lookback_scan_determinismE0ELb0ES3_N6thrust23THRUST_200600_302600_NS6detail15normal_iteratorINS9_10device_ptrIsEEEESE_SE_sNS9_4plusIvEENS9_8equal_toIvEEsEE10hipError_tPvRmT2_T3_T4_T5_mT6_T7_P12ihipStream_tbENKUlT_T0_E_clISt17integral_constantIbLb0EESZ_EEDaSU_SV_EUlSU_E_NS1_11comp_targetILNS1_3genE10ELNS1_11target_archE1200ELNS1_3gpuE4ELNS1_3repE0EEENS1_30default_config_static_selectorELNS0_4arch9wavefront6targetE0EEEvT1_,"axG",@progbits,_ZN7rocprim17ROCPRIM_400000_NS6detail17trampoline_kernelINS0_14default_configENS1_27scan_by_key_config_selectorIssEEZZNS1_16scan_by_key_implILNS1_25lookback_scan_determinismE0ELb0ES3_N6thrust23THRUST_200600_302600_NS6detail15normal_iteratorINS9_10device_ptrIsEEEESE_SE_sNS9_4plusIvEENS9_8equal_toIvEEsEE10hipError_tPvRmT2_T3_T4_T5_mT6_T7_P12ihipStream_tbENKUlT_T0_E_clISt17integral_constantIbLb0EESZ_EEDaSU_SV_EUlSU_E_NS1_11comp_targetILNS1_3genE10ELNS1_11target_archE1200ELNS1_3gpuE4ELNS1_3repE0EEENS1_30default_config_static_selectorELNS0_4arch9wavefront6targetE0EEEvT1_,comdat
.Lfunc_end245:
	.size	_ZN7rocprim17ROCPRIM_400000_NS6detail17trampoline_kernelINS0_14default_configENS1_27scan_by_key_config_selectorIssEEZZNS1_16scan_by_key_implILNS1_25lookback_scan_determinismE0ELb0ES3_N6thrust23THRUST_200600_302600_NS6detail15normal_iteratorINS9_10device_ptrIsEEEESE_SE_sNS9_4plusIvEENS9_8equal_toIvEEsEE10hipError_tPvRmT2_T3_T4_T5_mT6_T7_P12ihipStream_tbENKUlT_T0_E_clISt17integral_constantIbLb0EESZ_EEDaSU_SV_EUlSU_E_NS1_11comp_targetILNS1_3genE10ELNS1_11target_archE1200ELNS1_3gpuE4ELNS1_3repE0EEENS1_30default_config_static_selectorELNS0_4arch9wavefront6targetE0EEEvT1_, .Lfunc_end245-_ZN7rocprim17ROCPRIM_400000_NS6detail17trampoline_kernelINS0_14default_configENS1_27scan_by_key_config_selectorIssEEZZNS1_16scan_by_key_implILNS1_25lookback_scan_determinismE0ELb0ES3_N6thrust23THRUST_200600_302600_NS6detail15normal_iteratorINS9_10device_ptrIsEEEESE_SE_sNS9_4plusIvEENS9_8equal_toIvEEsEE10hipError_tPvRmT2_T3_T4_T5_mT6_T7_P12ihipStream_tbENKUlT_T0_E_clISt17integral_constantIbLb0EESZ_EEDaSU_SV_EUlSU_E_NS1_11comp_targetILNS1_3genE10ELNS1_11target_archE1200ELNS1_3gpuE4ELNS1_3repE0EEENS1_30default_config_static_selectorELNS0_4arch9wavefront6targetE0EEEvT1_
                                        ; -- End function
	.set _ZN7rocprim17ROCPRIM_400000_NS6detail17trampoline_kernelINS0_14default_configENS1_27scan_by_key_config_selectorIssEEZZNS1_16scan_by_key_implILNS1_25lookback_scan_determinismE0ELb0ES3_N6thrust23THRUST_200600_302600_NS6detail15normal_iteratorINS9_10device_ptrIsEEEESE_SE_sNS9_4plusIvEENS9_8equal_toIvEEsEE10hipError_tPvRmT2_T3_T4_T5_mT6_T7_P12ihipStream_tbENKUlT_T0_E_clISt17integral_constantIbLb0EESZ_EEDaSU_SV_EUlSU_E_NS1_11comp_targetILNS1_3genE10ELNS1_11target_archE1200ELNS1_3gpuE4ELNS1_3repE0EEENS1_30default_config_static_selectorELNS0_4arch9wavefront6targetE0EEEvT1_.num_vgpr, 0
	.set _ZN7rocprim17ROCPRIM_400000_NS6detail17trampoline_kernelINS0_14default_configENS1_27scan_by_key_config_selectorIssEEZZNS1_16scan_by_key_implILNS1_25lookback_scan_determinismE0ELb0ES3_N6thrust23THRUST_200600_302600_NS6detail15normal_iteratorINS9_10device_ptrIsEEEESE_SE_sNS9_4plusIvEENS9_8equal_toIvEEsEE10hipError_tPvRmT2_T3_T4_T5_mT6_T7_P12ihipStream_tbENKUlT_T0_E_clISt17integral_constantIbLb0EESZ_EEDaSU_SV_EUlSU_E_NS1_11comp_targetILNS1_3genE10ELNS1_11target_archE1200ELNS1_3gpuE4ELNS1_3repE0EEENS1_30default_config_static_selectorELNS0_4arch9wavefront6targetE0EEEvT1_.num_agpr, 0
	.set _ZN7rocprim17ROCPRIM_400000_NS6detail17trampoline_kernelINS0_14default_configENS1_27scan_by_key_config_selectorIssEEZZNS1_16scan_by_key_implILNS1_25lookback_scan_determinismE0ELb0ES3_N6thrust23THRUST_200600_302600_NS6detail15normal_iteratorINS9_10device_ptrIsEEEESE_SE_sNS9_4plusIvEENS9_8equal_toIvEEsEE10hipError_tPvRmT2_T3_T4_T5_mT6_T7_P12ihipStream_tbENKUlT_T0_E_clISt17integral_constantIbLb0EESZ_EEDaSU_SV_EUlSU_E_NS1_11comp_targetILNS1_3genE10ELNS1_11target_archE1200ELNS1_3gpuE4ELNS1_3repE0EEENS1_30default_config_static_selectorELNS0_4arch9wavefront6targetE0EEEvT1_.numbered_sgpr, 0
	.set _ZN7rocprim17ROCPRIM_400000_NS6detail17trampoline_kernelINS0_14default_configENS1_27scan_by_key_config_selectorIssEEZZNS1_16scan_by_key_implILNS1_25lookback_scan_determinismE0ELb0ES3_N6thrust23THRUST_200600_302600_NS6detail15normal_iteratorINS9_10device_ptrIsEEEESE_SE_sNS9_4plusIvEENS9_8equal_toIvEEsEE10hipError_tPvRmT2_T3_T4_T5_mT6_T7_P12ihipStream_tbENKUlT_T0_E_clISt17integral_constantIbLb0EESZ_EEDaSU_SV_EUlSU_E_NS1_11comp_targetILNS1_3genE10ELNS1_11target_archE1200ELNS1_3gpuE4ELNS1_3repE0EEENS1_30default_config_static_selectorELNS0_4arch9wavefront6targetE0EEEvT1_.num_named_barrier, 0
	.set _ZN7rocprim17ROCPRIM_400000_NS6detail17trampoline_kernelINS0_14default_configENS1_27scan_by_key_config_selectorIssEEZZNS1_16scan_by_key_implILNS1_25lookback_scan_determinismE0ELb0ES3_N6thrust23THRUST_200600_302600_NS6detail15normal_iteratorINS9_10device_ptrIsEEEESE_SE_sNS9_4plusIvEENS9_8equal_toIvEEsEE10hipError_tPvRmT2_T3_T4_T5_mT6_T7_P12ihipStream_tbENKUlT_T0_E_clISt17integral_constantIbLb0EESZ_EEDaSU_SV_EUlSU_E_NS1_11comp_targetILNS1_3genE10ELNS1_11target_archE1200ELNS1_3gpuE4ELNS1_3repE0EEENS1_30default_config_static_selectorELNS0_4arch9wavefront6targetE0EEEvT1_.private_seg_size, 0
	.set _ZN7rocprim17ROCPRIM_400000_NS6detail17trampoline_kernelINS0_14default_configENS1_27scan_by_key_config_selectorIssEEZZNS1_16scan_by_key_implILNS1_25lookback_scan_determinismE0ELb0ES3_N6thrust23THRUST_200600_302600_NS6detail15normal_iteratorINS9_10device_ptrIsEEEESE_SE_sNS9_4plusIvEENS9_8equal_toIvEEsEE10hipError_tPvRmT2_T3_T4_T5_mT6_T7_P12ihipStream_tbENKUlT_T0_E_clISt17integral_constantIbLb0EESZ_EEDaSU_SV_EUlSU_E_NS1_11comp_targetILNS1_3genE10ELNS1_11target_archE1200ELNS1_3gpuE4ELNS1_3repE0EEENS1_30default_config_static_selectorELNS0_4arch9wavefront6targetE0EEEvT1_.uses_vcc, 0
	.set _ZN7rocprim17ROCPRIM_400000_NS6detail17trampoline_kernelINS0_14default_configENS1_27scan_by_key_config_selectorIssEEZZNS1_16scan_by_key_implILNS1_25lookback_scan_determinismE0ELb0ES3_N6thrust23THRUST_200600_302600_NS6detail15normal_iteratorINS9_10device_ptrIsEEEESE_SE_sNS9_4plusIvEENS9_8equal_toIvEEsEE10hipError_tPvRmT2_T3_T4_T5_mT6_T7_P12ihipStream_tbENKUlT_T0_E_clISt17integral_constantIbLb0EESZ_EEDaSU_SV_EUlSU_E_NS1_11comp_targetILNS1_3genE10ELNS1_11target_archE1200ELNS1_3gpuE4ELNS1_3repE0EEENS1_30default_config_static_selectorELNS0_4arch9wavefront6targetE0EEEvT1_.uses_flat_scratch, 0
	.set _ZN7rocprim17ROCPRIM_400000_NS6detail17trampoline_kernelINS0_14default_configENS1_27scan_by_key_config_selectorIssEEZZNS1_16scan_by_key_implILNS1_25lookback_scan_determinismE0ELb0ES3_N6thrust23THRUST_200600_302600_NS6detail15normal_iteratorINS9_10device_ptrIsEEEESE_SE_sNS9_4plusIvEENS9_8equal_toIvEEsEE10hipError_tPvRmT2_T3_T4_T5_mT6_T7_P12ihipStream_tbENKUlT_T0_E_clISt17integral_constantIbLb0EESZ_EEDaSU_SV_EUlSU_E_NS1_11comp_targetILNS1_3genE10ELNS1_11target_archE1200ELNS1_3gpuE4ELNS1_3repE0EEENS1_30default_config_static_selectorELNS0_4arch9wavefront6targetE0EEEvT1_.has_dyn_sized_stack, 0
	.set _ZN7rocprim17ROCPRIM_400000_NS6detail17trampoline_kernelINS0_14default_configENS1_27scan_by_key_config_selectorIssEEZZNS1_16scan_by_key_implILNS1_25lookback_scan_determinismE0ELb0ES3_N6thrust23THRUST_200600_302600_NS6detail15normal_iteratorINS9_10device_ptrIsEEEESE_SE_sNS9_4plusIvEENS9_8equal_toIvEEsEE10hipError_tPvRmT2_T3_T4_T5_mT6_T7_P12ihipStream_tbENKUlT_T0_E_clISt17integral_constantIbLb0EESZ_EEDaSU_SV_EUlSU_E_NS1_11comp_targetILNS1_3genE10ELNS1_11target_archE1200ELNS1_3gpuE4ELNS1_3repE0EEENS1_30default_config_static_selectorELNS0_4arch9wavefront6targetE0EEEvT1_.has_recursion, 0
	.set _ZN7rocprim17ROCPRIM_400000_NS6detail17trampoline_kernelINS0_14default_configENS1_27scan_by_key_config_selectorIssEEZZNS1_16scan_by_key_implILNS1_25lookback_scan_determinismE0ELb0ES3_N6thrust23THRUST_200600_302600_NS6detail15normal_iteratorINS9_10device_ptrIsEEEESE_SE_sNS9_4plusIvEENS9_8equal_toIvEEsEE10hipError_tPvRmT2_T3_T4_T5_mT6_T7_P12ihipStream_tbENKUlT_T0_E_clISt17integral_constantIbLb0EESZ_EEDaSU_SV_EUlSU_E_NS1_11comp_targetILNS1_3genE10ELNS1_11target_archE1200ELNS1_3gpuE4ELNS1_3repE0EEENS1_30default_config_static_selectorELNS0_4arch9wavefront6targetE0EEEvT1_.has_indirect_call, 0
	.section	.AMDGPU.csdata,"",@progbits
; Kernel info:
; codeLenInByte = 0
; TotalNumSgprs: 0
; NumVgprs: 0
; ScratchSize: 0
; MemoryBound: 0
; FloatMode: 240
; IeeeMode: 1
; LDSByteSize: 0 bytes/workgroup (compile time only)
; SGPRBlocks: 0
; VGPRBlocks: 0
; NumSGPRsForWavesPerEU: 1
; NumVGPRsForWavesPerEU: 1
; Occupancy: 16
; WaveLimiterHint : 0
; COMPUTE_PGM_RSRC2:SCRATCH_EN: 0
; COMPUTE_PGM_RSRC2:USER_SGPR: 6
; COMPUTE_PGM_RSRC2:TRAP_HANDLER: 0
; COMPUTE_PGM_RSRC2:TGID_X_EN: 1
; COMPUTE_PGM_RSRC2:TGID_Y_EN: 0
; COMPUTE_PGM_RSRC2:TGID_Z_EN: 0
; COMPUTE_PGM_RSRC2:TIDIG_COMP_CNT: 0
	.section	.text._ZN7rocprim17ROCPRIM_400000_NS6detail17trampoline_kernelINS0_14default_configENS1_27scan_by_key_config_selectorIssEEZZNS1_16scan_by_key_implILNS1_25lookback_scan_determinismE0ELb0ES3_N6thrust23THRUST_200600_302600_NS6detail15normal_iteratorINS9_10device_ptrIsEEEESE_SE_sNS9_4plusIvEENS9_8equal_toIvEEsEE10hipError_tPvRmT2_T3_T4_T5_mT6_T7_P12ihipStream_tbENKUlT_T0_E_clISt17integral_constantIbLb0EESZ_EEDaSU_SV_EUlSU_E_NS1_11comp_targetILNS1_3genE9ELNS1_11target_archE1100ELNS1_3gpuE3ELNS1_3repE0EEENS1_30default_config_static_selectorELNS0_4arch9wavefront6targetE0EEEvT1_,"axG",@progbits,_ZN7rocprim17ROCPRIM_400000_NS6detail17trampoline_kernelINS0_14default_configENS1_27scan_by_key_config_selectorIssEEZZNS1_16scan_by_key_implILNS1_25lookback_scan_determinismE0ELb0ES3_N6thrust23THRUST_200600_302600_NS6detail15normal_iteratorINS9_10device_ptrIsEEEESE_SE_sNS9_4plusIvEENS9_8equal_toIvEEsEE10hipError_tPvRmT2_T3_T4_T5_mT6_T7_P12ihipStream_tbENKUlT_T0_E_clISt17integral_constantIbLb0EESZ_EEDaSU_SV_EUlSU_E_NS1_11comp_targetILNS1_3genE9ELNS1_11target_archE1100ELNS1_3gpuE3ELNS1_3repE0EEENS1_30default_config_static_selectorELNS0_4arch9wavefront6targetE0EEEvT1_,comdat
	.protected	_ZN7rocprim17ROCPRIM_400000_NS6detail17trampoline_kernelINS0_14default_configENS1_27scan_by_key_config_selectorIssEEZZNS1_16scan_by_key_implILNS1_25lookback_scan_determinismE0ELb0ES3_N6thrust23THRUST_200600_302600_NS6detail15normal_iteratorINS9_10device_ptrIsEEEESE_SE_sNS9_4plusIvEENS9_8equal_toIvEEsEE10hipError_tPvRmT2_T3_T4_T5_mT6_T7_P12ihipStream_tbENKUlT_T0_E_clISt17integral_constantIbLb0EESZ_EEDaSU_SV_EUlSU_E_NS1_11comp_targetILNS1_3genE9ELNS1_11target_archE1100ELNS1_3gpuE3ELNS1_3repE0EEENS1_30default_config_static_selectorELNS0_4arch9wavefront6targetE0EEEvT1_ ; -- Begin function _ZN7rocprim17ROCPRIM_400000_NS6detail17trampoline_kernelINS0_14default_configENS1_27scan_by_key_config_selectorIssEEZZNS1_16scan_by_key_implILNS1_25lookback_scan_determinismE0ELb0ES3_N6thrust23THRUST_200600_302600_NS6detail15normal_iteratorINS9_10device_ptrIsEEEESE_SE_sNS9_4plusIvEENS9_8equal_toIvEEsEE10hipError_tPvRmT2_T3_T4_T5_mT6_T7_P12ihipStream_tbENKUlT_T0_E_clISt17integral_constantIbLb0EESZ_EEDaSU_SV_EUlSU_E_NS1_11comp_targetILNS1_3genE9ELNS1_11target_archE1100ELNS1_3gpuE3ELNS1_3repE0EEENS1_30default_config_static_selectorELNS0_4arch9wavefront6targetE0EEEvT1_
	.globl	_ZN7rocprim17ROCPRIM_400000_NS6detail17trampoline_kernelINS0_14default_configENS1_27scan_by_key_config_selectorIssEEZZNS1_16scan_by_key_implILNS1_25lookback_scan_determinismE0ELb0ES3_N6thrust23THRUST_200600_302600_NS6detail15normal_iteratorINS9_10device_ptrIsEEEESE_SE_sNS9_4plusIvEENS9_8equal_toIvEEsEE10hipError_tPvRmT2_T3_T4_T5_mT6_T7_P12ihipStream_tbENKUlT_T0_E_clISt17integral_constantIbLb0EESZ_EEDaSU_SV_EUlSU_E_NS1_11comp_targetILNS1_3genE9ELNS1_11target_archE1100ELNS1_3gpuE3ELNS1_3repE0EEENS1_30default_config_static_selectorELNS0_4arch9wavefront6targetE0EEEvT1_
	.p2align	8
	.type	_ZN7rocprim17ROCPRIM_400000_NS6detail17trampoline_kernelINS0_14default_configENS1_27scan_by_key_config_selectorIssEEZZNS1_16scan_by_key_implILNS1_25lookback_scan_determinismE0ELb0ES3_N6thrust23THRUST_200600_302600_NS6detail15normal_iteratorINS9_10device_ptrIsEEEESE_SE_sNS9_4plusIvEENS9_8equal_toIvEEsEE10hipError_tPvRmT2_T3_T4_T5_mT6_T7_P12ihipStream_tbENKUlT_T0_E_clISt17integral_constantIbLb0EESZ_EEDaSU_SV_EUlSU_E_NS1_11comp_targetILNS1_3genE9ELNS1_11target_archE1100ELNS1_3gpuE3ELNS1_3repE0EEENS1_30default_config_static_selectorELNS0_4arch9wavefront6targetE0EEEvT1_,@function
_ZN7rocprim17ROCPRIM_400000_NS6detail17trampoline_kernelINS0_14default_configENS1_27scan_by_key_config_selectorIssEEZZNS1_16scan_by_key_implILNS1_25lookback_scan_determinismE0ELb0ES3_N6thrust23THRUST_200600_302600_NS6detail15normal_iteratorINS9_10device_ptrIsEEEESE_SE_sNS9_4plusIvEENS9_8equal_toIvEEsEE10hipError_tPvRmT2_T3_T4_T5_mT6_T7_P12ihipStream_tbENKUlT_T0_E_clISt17integral_constantIbLb0EESZ_EEDaSU_SV_EUlSU_E_NS1_11comp_targetILNS1_3genE9ELNS1_11target_archE1100ELNS1_3gpuE3ELNS1_3repE0EEENS1_30default_config_static_selectorELNS0_4arch9wavefront6targetE0EEEvT1_: ; @_ZN7rocprim17ROCPRIM_400000_NS6detail17trampoline_kernelINS0_14default_configENS1_27scan_by_key_config_selectorIssEEZZNS1_16scan_by_key_implILNS1_25lookback_scan_determinismE0ELb0ES3_N6thrust23THRUST_200600_302600_NS6detail15normal_iteratorINS9_10device_ptrIsEEEESE_SE_sNS9_4plusIvEENS9_8equal_toIvEEsEE10hipError_tPvRmT2_T3_T4_T5_mT6_T7_P12ihipStream_tbENKUlT_T0_E_clISt17integral_constantIbLb0EESZ_EEDaSU_SV_EUlSU_E_NS1_11comp_targetILNS1_3genE9ELNS1_11target_archE1100ELNS1_3gpuE3ELNS1_3repE0EEENS1_30default_config_static_selectorELNS0_4arch9wavefront6targetE0EEEvT1_
; %bb.0:
	.section	.rodata,"a",@progbits
	.p2align	6, 0x0
	.amdhsa_kernel _ZN7rocprim17ROCPRIM_400000_NS6detail17trampoline_kernelINS0_14default_configENS1_27scan_by_key_config_selectorIssEEZZNS1_16scan_by_key_implILNS1_25lookback_scan_determinismE0ELb0ES3_N6thrust23THRUST_200600_302600_NS6detail15normal_iteratorINS9_10device_ptrIsEEEESE_SE_sNS9_4plusIvEENS9_8equal_toIvEEsEE10hipError_tPvRmT2_T3_T4_T5_mT6_T7_P12ihipStream_tbENKUlT_T0_E_clISt17integral_constantIbLb0EESZ_EEDaSU_SV_EUlSU_E_NS1_11comp_targetILNS1_3genE9ELNS1_11target_archE1100ELNS1_3gpuE3ELNS1_3repE0EEENS1_30default_config_static_selectorELNS0_4arch9wavefront6targetE0EEEvT1_
		.amdhsa_group_segment_fixed_size 0
		.amdhsa_private_segment_fixed_size 0
		.amdhsa_kernarg_size 112
		.amdhsa_user_sgpr_count 6
		.amdhsa_user_sgpr_private_segment_buffer 1
		.amdhsa_user_sgpr_dispatch_ptr 0
		.amdhsa_user_sgpr_queue_ptr 0
		.amdhsa_user_sgpr_kernarg_segment_ptr 1
		.amdhsa_user_sgpr_dispatch_id 0
		.amdhsa_user_sgpr_flat_scratch_init 0
		.amdhsa_user_sgpr_private_segment_size 0
		.amdhsa_wavefront_size32 1
		.amdhsa_uses_dynamic_stack 0
		.amdhsa_system_sgpr_private_segment_wavefront_offset 0
		.amdhsa_system_sgpr_workgroup_id_x 1
		.amdhsa_system_sgpr_workgroup_id_y 0
		.amdhsa_system_sgpr_workgroup_id_z 0
		.amdhsa_system_sgpr_workgroup_info 0
		.amdhsa_system_vgpr_workitem_id 0
		.amdhsa_next_free_vgpr 1
		.amdhsa_next_free_sgpr 1
		.amdhsa_reserve_vcc 0
		.amdhsa_reserve_flat_scratch 0
		.amdhsa_float_round_mode_32 0
		.amdhsa_float_round_mode_16_64 0
		.amdhsa_float_denorm_mode_32 3
		.amdhsa_float_denorm_mode_16_64 3
		.amdhsa_dx10_clamp 1
		.amdhsa_ieee_mode 1
		.amdhsa_fp16_overflow 0
		.amdhsa_workgroup_processor_mode 1
		.amdhsa_memory_ordered 1
		.amdhsa_forward_progress 1
		.amdhsa_shared_vgpr_count 0
		.amdhsa_exception_fp_ieee_invalid_op 0
		.amdhsa_exception_fp_denorm_src 0
		.amdhsa_exception_fp_ieee_div_zero 0
		.amdhsa_exception_fp_ieee_overflow 0
		.amdhsa_exception_fp_ieee_underflow 0
		.amdhsa_exception_fp_ieee_inexact 0
		.amdhsa_exception_int_div_zero 0
	.end_amdhsa_kernel
	.section	.text._ZN7rocprim17ROCPRIM_400000_NS6detail17trampoline_kernelINS0_14default_configENS1_27scan_by_key_config_selectorIssEEZZNS1_16scan_by_key_implILNS1_25lookback_scan_determinismE0ELb0ES3_N6thrust23THRUST_200600_302600_NS6detail15normal_iteratorINS9_10device_ptrIsEEEESE_SE_sNS9_4plusIvEENS9_8equal_toIvEEsEE10hipError_tPvRmT2_T3_T4_T5_mT6_T7_P12ihipStream_tbENKUlT_T0_E_clISt17integral_constantIbLb0EESZ_EEDaSU_SV_EUlSU_E_NS1_11comp_targetILNS1_3genE9ELNS1_11target_archE1100ELNS1_3gpuE3ELNS1_3repE0EEENS1_30default_config_static_selectorELNS0_4arch9wavefront6targetE0EEEvT1_,"axG",@progbits,_ZN7rocprim17ROCPRIM_400000_NS6detail17trampoline_kernelINS0_14default_configENS1_27scan_by_key_config_selectorIssEEZZNS1_16scan_by_key_implILNS1_25lookback_scan_determinismE0ELb0ES3_N6thrust23THRUST_200600_302600_NS6detail15normal_iteratorINS9_10device_ptrIsEEEESE_SE_sNS9_4plusIvEENS9_8equal_toIvEEsEE10hipError_tPvRmT2_T3_T4_T5_mT6_T7_P12ihipStream_tbENKUlT_T0_E_clISt17integral_constantIbLb0EESZ_EEDaSU_SV_EUlSU_E_NS1_11comp_targetILNS1_3genE9ELNS1_11target_archE1100ELNS1_3gpuE3ELNS1_3repE0EEENS1_30default_config_static_selectorELNS0_4arch9wavefront6targetE0EEEvT1_,comdat
.Lfunc_end246:
	.size	_ZN7rocprim17ROCPRIM_400000_NS6detail17trampoline_kernelINS0_14default_configENS1_27scan_by_key_config_selectorIssEEZZNS1_16scan_by_key_implILNS1_25lookback_scan_determinismE0ELb0ES3_N6thrust23THRUST_200600_302600_NS6detail15normal_iteratorINS9_10device_ptrIsEEEESE_SE_sNS9_4plusIvEENS9_8equal_toIvEEsEE10hipError_tPvRmT2_T3_T4_T5_mT6_T7_P12ihipStream_tbENKUlT_T0_E_clISt17integral_constantIbLb0EESZ_EEDaSU_SV_EUlSU_E_NS1_11comp_targetILNS1_3genE9ELNS1_11target_archE1100ELNS1_3gpuE3ELNS1_3repE0EEENS1_30default_config_static_selectorELNS0_4arch9wavefront6targetE0EEEvT1_, .Lfunc_end246-_ZN7rocprim17ROCPRIM_400000_NS6detail17trampoline_kernelINS0_14default_configENS1_27scan_by_key_config_selectorIssEEZZNS1_16scan_by_key_implILNS1_25lookback_scan_determinismE0ELb0ES3_N6thrust23THRUST_200600_302600_NS6detail15normal_iteratorINS9_10device_ptrIsEEEESE_SE_sNS9_4plusIvEENS9_8equal_toIvEEsEE10hipError_tPvRmT2_T3_T4_T5_mT6_T7_P12ihipStream_tbENKUlT_T0_E_clISt17integral_constantIbLb0EESZ_EEDaSU_SV_EUlSU_E_NS1_11comp_targetILNS1_3genE9ELNS1_11target_archE1100ELNS1_3gpuE3ELNS1_3repE0EEENS1_30default_config_static_selectorELNS0_4arch9wavefront6targetE0EEEvT1_
                                        ; -- End function
	.set _ZN7rocprim17ROCPRIM_400000_NS6detail17trampoline_kernelINS0_14default_configENS1_27scan_by_key_config_selectorIssEEZZNS1_16scan_by_key_implILNS1_25lookback_scan_determinismE0ELb0ES3_N6thrust23THRUST_200600_302600_NS6detail15normal_iteratorINS9_10device_ptrIsEEEESE_SE_sNS9_4plusIvEENS9_8equal_toIvEEsEE10hipError_tPvRmT2_T3_T4_T5_mT6_T7_P12ihipStream_tbENKUlT_T0_E_clISt17integral_constantIbLb0EESZ_EEDaSU_SV_EUlSU_E_NS1_11comp_targetILNS1_3genE9ELNS1_11target_archE1100ELNS1_3gpuE3ELNS1_3repE0EEENS1_30default_config_static_selectorELNS0_4arch9wavefront6targetE0EEEvT1_.num_vgpr, 0
	.set _ZN7rocprim17ROCPRIM_400000_NS6detail17trampoline_kernelINS0_14default_configENS1_27scan_by_key_config_selectorIssEEZZNS1_16scan_by_key_implILNS1_25lookback_scan_determinismE0ELb0ES3_N6thrust23THRUST_200600_302600_NS6detail15normal_iteratorINS9_10device_ptrIsEEEESE_SE_sNS9_4plusIvEENS9_8equal_toIvEEsEE10hipError_tPvRmT2_T3_T4_T5_mT6_T7_P12ihipStream_tbENKUlT_T0_E_clISt17integral_constantIbLb0EESZ_EEDaSU_SV_EUlSU_E_NS1_11comp_targetILNS1_3genE9ELNS1_11target_archE1100ELNS1_3gpuE3ELNS1_3repE0EEENS1_30default_config_static_selectorELNS0_4arch9wavefront6targetE0EEEvT1_.num_agpr, 0
	.set _ZN7rocprim17ROCPRIM_400000_NS6detail17trampoline_kernelINS0_14default_configENS1_27scan_by_key_config_selectorIssEEZZNS1_16scan_by_key_implILNS1_25lookback_scan_determinismE0ELb0ES3_N6thrust23THRUST_200600_302600_NS6detail15normal_iteratorINS9_10device_ptrIsEEEESE_SE_sNS9_4plusIvEENS9_8equal_toIvEEsEE10hipError_tPvRmT2_T3_T4_T5_mT6_T7_P12ihipStream_tbENKUlT_T0_E_clISt17integral_constantIbLb0EESZ_EEDaSU_SV_EUlSU_E_NS1_11comp_targetILNS1_3genE9ELNS1_11target_archE1100ELNS1_3gpuE3ELNS1_3repE0EEENS1_30default_config_static_selectorELNS0_4arch9wavefront6targetE0EEEvT1_.numbered_sgpr, 0
	.set _ZN7rocprim17ROCPRIM_400000_NS6detail17trampoline_kernelINS0_14default_configENS1_27scan_by_key_config_selectorIssEEZZNS1_16scan_by_key_implILNS1_25lookback_scan_determinismE0ELb0ES3_N6thrust23THRUST_200600_302600_NS6detail15normal_iteratorINS9_10device_ptrIsEEEESE_SE_sNS9_4plusIvEENS9_8equal_toIvEEsEE10hipError_tPvRmT2_T3_T4_T5_mT6_T7_P12ihipStream_tbENKUlT_T0_E_clISt17integral_constantIbLb0EESZ_EEDaSU_SV_EUlSU_E_NS1_11comp_targetILNS1_3genE9ELNS1_11target_archE1100ELNS1_3gpuE3ELNS1_3repE0EEENS1_30default_config_static_selectorELNS0_4arch9wavefront6targetE0EEEvT1_.num_named_barrier, 0
	.set _ZN7rocprim17ROCPRIM_400000_NS6detail17trampoline_kernelINS0_14default_configENS1_27scan_by_key_config_selectorIssEEZZNS1_16scan_by_key_implILNS1_25lookback_scan_determinismE0ELb0ES3_N6thrust23THRUST_200600_302600_NS6detail15normal_iteratorINS9_10device_ptrIsEEEESE_SE_sNS9_4plusIvEENS9_8equal_toIvEEsEE10hipError_tPvRmT2_T3_T4_T5_mT6_T7_P12ihipStream_tbENKUlT_T0_E_clISt17integral_constantIbLb0EESZ_EEDaSU_SV_EUlSU_E_NS1_11comp_targetILNS1_3genE9ELNS1_11target_archE1100ELNS1_3gpuE3ELNS1_3repE0EEENS1_30default_config_static_selectorELNS0_4arch9wavefront6targetE0EEEvT1_.private_seg_size, 0
	.set _ZN7rocprim17ROCPRIM_400000_NS6detail17trampoline_kernelINS0_14default_configENS1_27scan_by_key_config_selectorIssEEZZNS1_16scan_by_key_implILNS1_25lookback_scan_determinismE0ELb0ES3_N6thrust23THRUST_200600_302600_NS6detail15normal_iteratorINS9_10device_ptrIsEEEESE_SE_sNS9_4plusIvEENS9_8equal_toIvEEsEE10hipError_tPvRmT2_T3_T4_T5_mT6_T7_P12ihipStream_tbENKUlT_T0_E_clISt17integral_constantIbLb0EESZ_EEDaSU_SV_EUlSU_E_NS1_11comp_targetILNS1_3genE9ELNS1_11target_archE1100ELNS1_3gpuE3ELNS1_3repE0EEENS1_30default_config_static_selectorELNS0_4arch9wavefront6targetE0EEEvT1_.uses_vcc, 0
	.set _ZN7rocprim17ROCPRIM_400000_NS6detail17trampoline_kernelINS0_14default_configENS1_27scan_by_key_config_selectorIssEEZZNS1_16scan_by_key_implILNS1_25lookback_scan_determinismE0ELb0ES3_N6thrust23THRUST_200600_302600_NS6detail15normal_iteratorINS9_10device_ptrIsEEEESE_SE_sNS9_4plusIvEENS9_8equal_toIvEEsEE10hipError_tPvRmT2_T3_T4_T5_mT6_T7_P12ihipStream_tbENKUlT_T0_E_clISt17integral_constantIbLb0EESZ_EEDaSU_SV_EUlSU_E_NS1_11comp_targetILNS1_3genE9ELNS1_11target_archE1100ELNS1_3gpuE3ELNS1_3repE0EEENS1_30default_config_static_selectorELNS0_4arch9wavefront6targetE0EEEvT1_.uses_flat_scratch, 0
	.set _ZN7rocprim17ROCPRIM_400000_NS6detail17trampoline_kernelINS0_14default_configENS1_27scan_by_key_config_selectorIssEEZZNS1_16scan_by_key_implILNS1_25lookback_scan_determinismE0ELb0ES3_N6thrust23THRUST_200600_302600_NS6detail15normal_iteratorINS9_10device_ptrIsEEEESE_SE_sNS9_4plusIvEENS9_8equal_toIvEEsEE10hipError_tPvRmT2_T3_T4_T5_mT6_T7_P12ihipStream_tbENKUlT_T0_E_clISt17integral_constantIbLb0EESZ_EEDaSU_SV_EUlSU_E_NS1_11comp_targetILNS1_3genE9ELNS1_11target_archE1100ELNS1_3gpuE3ELNS1_3repE0EEENS1_30default_config_static_selectorELNS0_4arch9wavefront6targetE0EEEvT1_.has_dyn_sized_stack, 0
	.set _ZN7rocprim17ROCPRIM_400000_NS6detail17trampoline_kernelINS0_14default_configENS1_27scan_by_key_config_selectorIssEEZZNS1_16scan_by_key_implILNS1_25lookback_scan_determinismE0ELb0ES3_N6thrust23THRUST_200600_302600_NS6detail15normal_iteratorINS9_10device_ptrIsEEEESE_SE_sNS9_4plusIvEENS9_8equal_toIvEEsEE10hipError_tPvRmT2_T3_T4_T5_mT6_T7_P12ihipStream_tbENKUlT_T0_E_clISt17integral_constantIbLb0EESZ_EEDaSU_SV_EUlSU_E_NS1_11comp_targetILNS1_3genE9ELNS1_11target_archE1100ELNS1_3gpuE3ELNS1_3repE0EEENS1_30default_config_static_selectorELNS0_4arch9wavefront6targetE0EEEvT1_.has_recursion, 0
	.set _ZN7rocprim17ROCPRIM_400000_NS6detail17trampoline_kernelINS0_14default_configENS1_27scan_by_key_config_selectorIssEEZZNS1_16scan_by_key_implILNS1_25lookback_scan_determinismE0ELb0ES3_N6thrust23THRUST_200600_302600_NS6detail15normal_iteratorINS9_10device_ptrIsEEEESE_SE_sNS9_4plusIvEENS9_8equal_toIvEEsEE10hipError_tPvRmT2_T3_T4_T5_mT6_T7_P12ihipStream_tbENKUlT_T0_E_clISt17integral_constantIbLb0EESZ_EEDaSU_SV_EUlSU_E_NS1_11comp_targetILNS1_3genE9ELNS1_11target_archE1100ELNS1_3gpuE3ELNS1_3repE0EEENS1_30default_config_static_selectorELNS0_4arch9wavefront6targetE0EEEvT1_.has_indirect_call, 0
	.section	.AMDGPU.csdata,"",@progbits
; Kernel info:
; codeLenInByte = 0
; TotalNumSgprs: 0
; NumVgprs: 0
; ScratchSize: 0
; MemoryBound: 0
; FloatMode: 240
; IeeeMode: 1
; LDSByteSize: 0 bytes/workgroup (compile time only)
; SGPRBlocks: 0
; VGPRBlocks: 0
; NumSGPRsForWavesPerEU: 1
; NumVGPRsForWavesPerEU: 1
; Occupancy: 16
; WaveLimiterHint : 0
; COMPUTE_PGM_RSRC2:SCRATCH_EN: 0
; COMPUTE_PGM_RSRC2:USER_SGPR: 6
; COMPUTE_PGM_RSRC2:TRAP_HANDLER: 0
; COMPUTE_PGM_RSRC2:TGID_X_EN: 1
; COMPUTE_PGM_RSRC2:TGID_Y_EN: 0
; COMPUTE_PGM_RSRC2:TGID_Z_EN: 0
; COMPUTE_PGM_RSRC2:TIDIG_COMP_CNT: 0
	.section	.text._ZN7rocprim17ROCPRIM_400000_NS6detail17trampoline_kernelINS0_14default_configENS1_27scan_by_key_config_selectorIssEEZZNS1_16scan_by_key_implILNS1_25lookback_scan_determinismE0ELb0ES3_N6thrust23THRUST_200600_302600_NS6detail15normal_iteratorINS9_10device_ptrIsEEEESE_SE_sNS9_4plusIvEENS9_8equal_toIvEEsEE10hipError_tPvRmT2_T3_T4_T5_mT6_T7_P12ihipStream_tbENKUlT_T0_E_clISt17integral_constantIbLb0EESZ_EEDaSU_SV_EUlSU_E_NS1_11comp_targetILNS1_3genE8ELNS1_11target_archE1030ELNS1_3gpuE2ELNS1_3repE0EEENS1_30default_config_static_selectorELNS0_4arch9wavefront6targetE0EEEvT1_,"axG",@progbits,_ZN7rocprim17ROCPRIM_400000_NS6detail17trampoline_kernelINS0_14default_configENS1_27scan_by_key_config_selectorIssEEZZNS1_16scan_by_key_implILNS1_25lookback_scan_determinismE0ELb0ES3_N6thrust23THRUST_200600_302600_NS6detail15normal_iteratorINS9_10device_ptrIsEEEESE_SE_sNS9_4plusIvEENS9_8equal_toIvEEsEE10hipError_tPvRmT2_T3_T4_T5_mT6_T7_P12ihipStream_tbENKUlT_T0_E_clISt17integral_constantIbLb0EESZ_EEDaSU_SV_EUlSU_E_NS1_11comp_targetILNS1_3genE8ELNS1_11target_archE1030ELNS1_3gpuE2ELNS1_3repE0EEENS1_30default_config_static_selectorELNS0_4arch9wavefront6targetE0EEEvT1_,comdat
	.protected	_ZN7rocprim17ROCPRIM_400000_NS6detail17trampoline_kernelINS0_14default_configENS1_27scan_by_key_config_selectorIssEEZZNS1_16scan_by_key_implILNS1_25lookback_scan_determinismE0ELb0ES3_N6thrust23THRUST_200600_302600_NS6detail15normal_iteratorINS9_10device_ptrIsEEEESE_SE_sNS9_4plusIvEENS9_8equal_toIvEEsEE10hipError_tPvRmT2_T3_T4_T5_mT6_T7_P12ihipStream_tbENKUlT_T0_E_clISt17integral_constantIbLb0EESZ_EEDaSU_SV_EUlSU_E_NS1_11comp_targetILNS1_3genE8ELNS1_11target_archE1030ELNS1_3gpuE2ELNS1_3repE0EEENS1_30default_config_static_selectorELNS0_4arch9wavefront6targetE0EEEvT1_ ; -- Begin function _ZN7rocprim17ROCPRIM_400000_NS6detail17trampoline_kernelINS0_14default_configENS1_27scan_by_key_config_selectorIssEEZZNS1_16scan_by_key_implILNS1_25lookback_scan_determinismE0ELb0ES3_N6thrust23THRUST_200600_302600_NS6detail15normal_iteratorINS9_10device_ptrIsEEEESE_SE_sNS9_4plusIvEENS9_8equal_toIvEEsEE10hipError_tPvRmT2_T3_T4_T5_mT6_T7_P12ihipStream_tbENKUlT_T0_E_clISt17integral_constantIbLb0EESZ_EEDaSU_SV_EUlSU_E_NS1_11comp_targetILNS1_3genE8ELNS1_11target_archE1030ELNS1_3gpuE2ELNS1_3repE0EEENS1_30default_config_static_selectorELNS0_4arch9wavefront6targetE0EEEvT1_
	.globl	_ZN7rocprim17ROCPRIM_400000_NS6detail17trampoline_kernelINS0_14default_configENS1_27scan_by_key_config_selectorIssEEZZNS1_16scan_by_key_implILNS1_25lookback_scan_determinismE0ELb0ES3_N6thrust23THRUST_200600_302600_NS6detail15normal_iteratorINS9_10device_ptrIsEEEESE_SE_sNS9_4plusIvEENS9_8equal_toIvEEsEE10hipError_tPvRmT2_T3_T4_T5_mT6_T7_P12ihipStream_tbENKUlT_T0_E_clISt17integral_constantIbLb0EESZ_EEDaSU_SV_EUlSU_E_NS1_11comp_targetILNS1_3genE8ELNS1_11target_archE1030ELNS1_3gpuE2ELNS1_3repE0EEENS1_30default_config_static_selectorELNS0_4arch9wavefront6targetE0EEEvT1_
	.p2align	8
	.type	_ZN7rocprim17ROCPRIM_400000_NS6detail17trampoline_kernelINS0_14default_configENS1_27scan_by_key_config_selectorIssEEZZNS1_16scan_by_key_implILNS1_25lookback_scan_determinismE0ELb0ES3_N6thrust23THRUST_200600_302600_NS6detail15normal_iteratorINS9_10device_ptrIsEEEESE_SE_sNS9_4plusIvEENS9_8equal_toIvEEsEE10hipError_tPvRmT2_T3_T4_T5_mT6_T7_P12ihipStream_tbENKUlT_T0_E_clISt17integral_constantIbLb0EESZ_EEDaSU_SV_EUlSU_E_NS1_11comp_targetILNS1_3genE8ELNS1_11target_archE1030ELNS1_3gpuE2ELNS1_3repE0EEENS1_30default_config_static_selectorELNS0_4arch9wavefront6targetE0EEEvT1_,@function
_ZN7rocprim17ROCPRIM_400000_NS6detail17trampoline_kernelINS0_14default_configENS1_27scan_by_key_config_selectorIssEEZZNS1_16scan_by_key_implILNS1_25lookback_scan_determinismE0ELb0ES3_N6thrust23THRUST_200600_302600_NS6detail15normal_iteratorINS9_10device_ptrIsEEEESE_SE_sNS9_4plusIvEENS9_8equal_toIvEEsEE10hipError_tPvRmT2_T3_T4_T5_mT6_T7_P12ihipStream_tbENKUlT_T0_E_clISt17integral_constantIbLb0EESZ_EEDaSU_SV_EUlSU_E_NS1_11comp_targetILNS1_3genE8ELNS1_11target_archE1030ELNS1_3gpuE2ELNS1_3repE0EEENS1_30default_config_static_selectorELNS0_4arch9wavefront6targetE0EEEvT1_: ; @_ZN7rocprim17ROCPRIM_400000_NS6detail17trampoline_kernelINS0_14default_configENS1_27scan_by_key_config_selectorIssEEZZNS1_16scan_by_key_implILNS1_25lookback_scan_determinismE0ELb0ES3_N6thrust23THRUST_200600_302600_NS6detail15normal_iteratorINS9_10device_ptrIsEEEESE_SE_sNS9_4plusIvEENS9_8equal_toIvEEsEE10hipError_tPvRmT2_T3_T4_T5_mT6_T7_P12ihipStream_tbENKUlT_T0_E_clISt17integral_constantIbLb0EESZ_EEDaSU_SV_EUlSU_E_NS1_11comp_targetILNS1_3genE8ELNS1_11target_archE1030ELNS1_3gpuE2ELNS1_3repE0EEENS1_30default_config_static_selectorELNS0_4arch9wavefront6targetE0EEEvT1_
; %bb.0:
	s_clause 0x4
	s_load_dwordx8 s[8:15], s[4:5], 0x0
	s_load_dwordx2 s[30:31], s[4:5], 0x38
	s_load_dword s2, s[4:5], 0x40
	s_load_dwordx8 s[16:23], s[4:5], 0x48
	s_load_dwordx4 s[24:27], s[4:5], 0x28
	s_mov_b32 s1, 0
	s_waitcnt lgkmcnt(0)
	s_barrier
	buffer_gl0_inv
	s_lshl_b64 s[28:29], s[10:11], 1
	s_add_u32 s4, s8, s28
	s_mul_i32 s0, s31, s2
	s_mul_hi_u32 s3, s30, s2
	s_addc_u32 s5, s9, s29
	s_add_u32 s7, s12, s28
	s_addc_u32 s8, s13, s29
	s_add_i32 s3, s3, s0
	s_cmp_lg_u64 s[20:21], 0
	s_mul_i32 s0, s6, 0x280
	s_cselect_b32 s37, -1, 0
	s_lshl_b64 s[12:13], s[0:1], 1
	s_mul_i32 s0, s30, s2
	s_add_u32 s20, s4, s12
	s_addc_u32 s21, s5, s13
	s_add_u32 s11, s7, s12
	s_addc_u32 s36, s8, s13
	;; [unrolled: 2-line block ×3, first 2 shown]
	s_add_u32 s2, s16, -1
	s_addc_u32 s3, s17, -1
	s_mul_i32 s33, s2, 0xfffffd80
	v_cmp_ge_u64_e64 s27, s[34:35], s[2:3]
	s_and_b32 vcc_lo, exec_lo, s27
	s_cbranch_vccz .LBB247_57
; %bb.1:
	v_mov_b32_e32 v1, s20
	v_mov_b32_e32 v2, s21
	s_add_i32 s38, s33, s26
	v_cmp_gt_u32_e64 s10, s38, v0
	flat_load_ushort v1, v[1:2]
	s_waitcnt vmcnt(0) lgkmcnt(0)
	v_mov_b32_e32 v2, v1
	s_and_saveexec_b32 s0, s10
	s_cbranch_execz .LBB247_3
; %bb.2:
	v_lshlrev_b32_e32 v2, 1, v0
	v_add_co_u32 v2, s1, s20, v2
	v_add_co_ci_u32_e64 v3, null, s21, 0, s1
	flat_load_ushort v2, v[2:3]
.LBB247_3:
	s_or_b32 exec_lo, exec_lo, s0
	v_or_b32_e32 v3, 64, v0
	v_cmp_gt_u32_e64 s9, s38, v3
	v_mov_b32_e32 v3, v1
	s_and_saveexec_b32 s0, s9
	s_cbranch_execz .LBB247_5
; %bb.4:
	v_lshlrev_b32_e32 v3, 1, v0
	v_add_co_u32 v3, s1, s20, v3
	v_add_co_ci_u32_e64 v4, null, s21, 0, s1
	flat_load_ushort v3, v[3:4] offset:128
.LBB247_5:
	s_or_b32 exec_lo, exec_lo, s0
	v_or_b32_e32 v4, 0x80, v0
	v_cmp_gt_u32_e64 s8, s38, v4
	v_mov_b32_e32 v4, v1
	s_and_saveexec_b32 s0, s8
	s_cbranch_execz .LBB247_7
; %bb.6:
	v_lshlrev_b32_e32 v4, 1, v0
	v_add_co_u32 v4, s1, s20, v4
	v_add_co_ci_u32_e64 v5, null, s21, 0, s1
	flat_load_ushort v4, v[4:5] offset:256
.LBB247_7:
	;; [unrolled: 12-line block ×8, first 2 shown]
	s_or_b32 exec_lo, exec_lo, s0
	v_or_b32_e32 v11, 0x240, v0
	s_mov_b32 s16, exec_lo
	v_cmp_gt_u32_e64 s0, s38, v11
	v_cmpx_le_u32_e64 s38, v11
	s_xor_b32 s16, exec_lo, s16
	s_andn2_saveexec_b32 s16, s16
	s_cbranch_execz .LBB247_21
; %bb.20:
	v_lshlrev_b32_e32 v1, 1, v0
	v_add_co_u32 v11, s17, s20, v1
	v_add_co_ci_u32_e64 v12, null, s21, 0, s17
	flat_load_ushort v1, v[11:12] offset:1152
.LBB247_21:
	s_or_b32 exec_lo, exec_lo, s16
	v_lshlrev_b32_e32 v13, 1, v0
	s_cmp_eq_u64 s[34:35], 0
	s_mov_b64 s[16:17], s[20:21]
	s_waitcnt vmcnt(0) lgkmcnt(0)
	ds_write_b16 v13, v2
	ds_write_b16 v13, v3 offset:128
	ds_write_b16 v13, v4 offset:256
	;; [unrolled: 1-line block ×8, first 2 shown]
	v_mad_u32_u24 v23, v0, 18, v13
	ds_write_b16 v13, v1 offset:1152
	s_waitcnt lgkmcnt(0)
	s_barrier
	buffer_gl0_inv
	ds_read2_b32 v[11:12], v23 offset1:1
	ds_read2_b32 v[9:10], v23 offset0:2 offset1:3
	ds_read_b32 v22, v23 offset:16
	s_cbranch_scc1 .LBB247_25
; %bb.22:
	s_andn2_b32 vcc_lo, exec_lo, s37
	s_cbranch_vccnz .LBB247_197
; %bb.23:
	s_lshl_b64 s[16:17], s[34:35], 1
	s_add_u32 s16, s22, s16
	s_addc_u32 s17, s23, s17
	s_add_u32 s16, s16, -2
	s_addc_u32 s17, s17, -1
	s_cbranch_execnz .LBB247_25
.LBB247_24:
	s_add_u32 s16, s20, -2
	s_addc_u32 s17, s21, -1
.LBB247_25:
	v_mov_b32_e32 v1, s16
	v_mov_b32_e32 v2, s17
	s_waitcnt lgkmcnt(0)
	v_lshrrev_b32_e32 v24, 16, v22
	s_mov_b32 s16, exec_lo
	flat_load_ushort v28, v[1:2]
	v_mad_i32_i24 v1, 0xffffffee, v0, v23
	ds_write_b16 v1, v24 offset:1280
	s_waitcnt vmcnt(0) lgkmcnt(0)
	s_barrier
	buffer_gl0_inv
	v_cmpx_ne_u32_e32 0, v0
; %bb.26:
	v_mul_i32_i24_e32 v1, 0xffffffee, v0
	v_add_nc_u32_e32 v1, v23, v1
	ds_read_u16 v28, v1 offset:1278
; %bb.27:
	s_or_b32 exec_lo, exec_lo, s16
	v_mov_b32_e32 v1, 0
	v_lshlrev_b32_e32 v14, 1, v0
	s_waitcnt lgkmcnt(0)
	s_barrier
	buffer_gl0_inv
	v_mov_b32_e32 v2, v1
	v_mov_b32_e32 v3, v1
	;; [unrolled: 1-line block ×4, first 2 shown]
	s_and_saveexec_b32 s16, s10
	s_cbranch_execnz .LBB247_188
; %bb.28:
	s_or_b32 exec_lo, exec_lo, s16
	s_and_saveexec_b32 s10, s9
	s_cbranch_execnz .LBB247_189
.LBB247_29:
	s_or_b32 exec_lo, exec_lo, s10
	s_and_saveexec_b32 s9, s8
	s_cbranch_execnz .LBB247_190
.LBB247_30:
	s_or_b32 exec_lo, exec_lo, s9
	s_and_saveexec_b32 s8, s7
	s_cbranch_execnz .LBB247_191
.LBB247_31:
	s_or_b32 exec_lo, exec_lo, s8
	s_and_saveexec_b32 s7, s5
	s_cbranch_execnz .LBB247_192
.LBB247_32:
	s_or_b32 exec_lo, exec_lo, s7
	s_and_saveexec_b32 s5, s4
	s_cbranch_execnz .LBB247_193
.LBB247_33:
	s_or_b32 exec_lo, exec_lo, s5
	s_and_saveexec_b32 s4, s3
	s_cbranch_execnz .LBB247_194
.LBB247_34:
	s_or_b32 exec_lo, exec_lo, s4
	s_and_saveexec_b32 s3, s2
	s_cbranch_execnz .LBB247_195
.LBB247_35:
	s_or_b32 exec_lo, exec_lo, s3
	s_and_saveexec_b32 s2, s1
	s_cbranch_execnz .LBB247_196
.LBB247_36:
	s_or_b32 exec_lo, exec_lo, s2
	s_and_saveexec_b32 s1, s0
	s_cbranch_execz .LBB247_38
.LBB247_37:
	v_add_co_u32 v6, s0, s11, v14
	v_add_co_ci_u32_e64 v7, null, s36, 0, s0
	s_waitcnt vmcnt(0) lgkmcnt(0)
	flat_load_short_d16_hi v5, v[6:7] offset:1152
.LBB247_38:
	s_or_b32 exec_lo, exec_lo, s1
	v_mul_u32_u24_e32 v29, 10, v0
	s_waitcnt vmcnt(0) lgkmcnt(0)
	ds_write_b16 v13, v1
	ds_write_b16_d16_hi v13, v1 offset:128
	ds_write_b16 v13, v2 offset:256
	ds_write_b16_d16_hi v13, v2 offset:384
	ds_write_b16 v13, v3 offset:512
	;; [unrolled: 2-line block ×4, first 2 shown]
	ds_write_b16_d16_hi v13, v5 offset:1152
	v_mov_b32_e32 v18, 0
	v_mov_b32_e32 v1, 0
	;; [unrolled: 1-line block ×3, first 2 shown]
	v_cmp_gt_u32_e32 vcc_lo, s38, v29
	v_mov_b32_e32 v26, 0
	v_mov_b32_e32 v25, 0
	;; [unrolled: 1-line block ×13, first 2 shown]
	s_mov_b32 s0, 0
	s_mov_b32 s1, 0
	s_waitcnt lgkmcnt(0)
	s_barrier
	buffer_gl0_inv
                                        ; implicit-def: $sgpr2
                                        ; implicit-def: $vgpr7
	s_and_saveexec_b32 s3, vcc_lo
	s_cbranch_execz .LBB247_56
; %bb.39:
	ds_read_u16 v18, v23
	v_cmp_eq_u16_e32 vcc_lo, v28, v11
	v_or_b32_e32 v2, 1, v29
	v_mov_b32_e32 v1, 0
	v_mov_b32_e32 v27, 0
	;; [unrolled: 1-line block ×3, first 2 shown]
	v_cndmask_b32_e64 v21, 0x10000, 0, vcc_lo
	v_mov_b32_e32 v25, 0
	v_mov_b32_e32 v8, 0
	;; [unrolled: 1-line block ×11, first 2 shown]
	s_mov_b32 s4, 0
	s_mov_b32 s1, exec_lo
                                        ; implicit-def: $sgpr2
                                        ; implicit-def: $vgpr7
	v_cmpx_gt_u32_e64 s38, v2
	s_cbranch_execz .LBB247_55
; %bb.40:
	ds_read_b128 v[1:4], v23 offset:2
	v_add_nc_u32_e32 v5, 2, v29
	v_cmp_eq_u16_sdwa s2, v11, v11 src0_sel:DWORD src1_sel:WORD_1
	v_mov_b32_e32 v27, 0
	v_mov_b32_e32 v26, 0
	;; [unrolled: 1-line block ×3, first 2 shown]
	v_cmp_gt_u32_e32 vcc_lo, s38, v5
	v_cndmask_b32_e64 v20, 0x10000, 0, s2
	v_mov_b32_e32 v8, 0
	v_mov_b32_e32 v6, 0
	;; [unrolled: 1-line block ×9, first 2 shown]
	s_mov_b32 s5, 0
                                        ; implicit-def: $sgpr2
                                        ; implicit-def: $vgpr7
	s_and_saveexec_b32 s4, vcc_lo
	s_cbranch_execz .LBB247_54
; %bb.41:
	v_add_nc_u32_e32 v5, 3, v29
	v_cmp_eq_u16_sdwa s2, v11, v12 src0_sel:WORD_1 src1_sel:DWORD
	v_mov_b32_e32 v26, 0
	v_mov_b32_e32 v25, 0
	;; [unrolled: 1-line block ×3, first 2 shown]
	v_cmp_gt_u32_e32 vcc_lo, s38, v5
	v_cndmask_b32_e64 v11, 0x10000, 0, s2
	v_mov_b32_e32 v6, 0
	v_mov_b32_e32 v5, 0
	;; [unrolled: 1-line block ×7, first 2 shown]
	s_mov_b32 s7, 0
                                        ; implicit-def: $sgpr2
                                        ; implicit-def: $vgpr7
	s_and_saveexec_b32 s5, vcc_lo
	s_cbranch_execz .LBB247_53
; %bb.42:
	v_add_nc_u32_e32 v5, 4, v29
	v_cmp_eq_u16_sdwa s2, v12, v12 src0_sel:DWORD src1_sel:WORD_1
	v_mov_b32_e32 v25, 0
	v_mov_b32_e32 v8, 0
	;; [unrolled: 1-line block ×3, first 2 shown]
	v_cmp_gt_u32_e32 vcc_lo, s38, v5
	v_cndmask_b32_e64 v17, 0x10000, 0, s2
	v_mov_b32_e32 v5, 0
	v_mov_b32_e32 v16, 0
	;; [unrolled: 1-line block ×5, first 2 shown]
	s_mov_b32 s8, 0
                                        ; implicit-def: $sgpr2
                                        ; implicit-def: $vgpr7
	s_and_saveexec_b32 s7, vcc_lo
	s_cbranch_execz .LBB247_52
; %bb.43:
	v_add_nc_u32_e32 v5, 5, v29
	v_cmp_eq_u16_sdwa s2, v12, v9 src0_sel:WORD_1 src1_sel:DWORD
	v_mov_b32_e32 v8, 0
	v_mov_b32_e32 v6, 0
	v_mov_b32_e32 v15, 0
	v_cmp_gt_u32_e32 vcc_lo, s38, v5
	v_cndmask_b32_e64 v12, 0x10000, 0, s2
	v_mov_b32_e32 v5, 0
	v_mov_b32_e32 v14, 0
	;; [unrolled: 1-line block ×3, first 2 shown]
	s_mov_b32 s9, 0
                                        ; implicit-def: $sgpr2
                                        ; implicit-def: $vgpr7
	s_and_saveexec_b32 s8, vcc_lo
	s_cbranch_execz .LBB247_51
; %bb.44:
	v_add_nc_u32_e32 v7, 6, v29
	v_cmp_eq_u16_sdwa s2, v9, v9 src0_sel:DWORD src1_sel:WORD_1
	v_mov_b32_e32 v6, 0
	v_mov_b32_e32 v5, 0
	;; [unrolled: 1-line block ×3, first 2 shown]
	v_cmp_gt_u32_e32 vcc_lo, s38, v7
	v_cndmask_b32_e64 v8, 0x10000, 0, s2
	v_mov_b32_e32 v13, 0
	s_mov_b32 s10, 0
                                        ; implicit-def: $sgpr2
                                        ; implicit-def: $vgpr7
	s_and_saveexec_b32 s9, vcc_lo
	s_cbranch_execz .LBB247_50
; %bb.45:
	v_add_nc_u32_e32 v7, 7, v29
	v_cmp_eq_u16_sdwa s2, v9, v10 src0_sel:WORD_1 src1_sel:DWORD
	v_mov_b32_e32 v5, 0
	v_mov_b32_e32 v13, 0
	s_mov_b32 s16, 0
	v_cmp_gt_u32_e32 vcc_lo, s38, v7
	v_cndmask_b32_e64 v6, 0x10000, 0, s2
                                        ; implicit-def: $sgpr2
                                        ; implicit-def: $vgpr7
	s_and_saveexec_b32 s10, vcc_lo
	s_cbranch_execz .LBB247_49
; %bb.46:
	v_add_nc_u32_e32 v7, 8, v29
	v_cmp_eq_u16_sdwa s2, v10, v10 src0_sel:DWORD src1_sel:WORD_1
	v_mov_b32_e32 v13, 0
	v_cmp_gt_u32_e32 vcc_lo, s38, v7
	v_cndmask_b32_e64 v5, 0x10000, 0, s2
                                        ; implicit-def: $sgpr2
                                        ; implicit-def: $vgpr7
	s_and_saveexec_b32 s17, vcc_lo
	s_xor_b32 s17, exec_lo, s17
	s_cbranch_execz .LBB247_48
; %bb.47:
	ds_read_u16 v7, v23 offset:18
	v_cmp_eq_u16_sdwa s2, v10, v22 src0_sel:WORD_1 src1_sel:DWORD
	v_add_nc_u32_e32 v9, 9, v29
	v_cndmask_b32_e64 v10, 0x10000, 0, s2
	v_cmp_gt_u32_e32 vcc_lo, s38, v9
	v_cmp_ne_u16_e64 s2, v22, v24
	s_waitcnt lgkmcnt(1)
	v_or_b32_sdwa v13, v10, v4 dst_sel:DWORD dst_unused:UNUSED_PAD src0_sel:DWORD src1_sel:WORD_1
	s_and_b32 s16, vcc_lo, exec_lo
.LBB247_48:
	s_or_b32 exec_lo, exec_lo, s17
	s_waitcnt lgkmcnt(0)
	v_and_or_b32 v5, 0xffff, v4, v5
	s_and_b32 s16, s16, exec_lo
.LBB247_49:
	s_or_b32 exec_lo, exec_lo, s10
	s_waitcnt lgkmcnt(0)
	v_or_b32_sdwa v6, v6, v3 dst_sel:DWORD dst_unused:UNUSED_PAD src0_sel:DWORD src1_sel:WORD_1
	v_mov_b32_e32 v14, v5
	s_and_b32 s10, s16, exec_lo
.LBB247_50:
	s_or_b32 exec_lo, exec_lo, s9
	s_waitcnt lgkmcnt(0)
	v_and_or_b32 v8, 0xffff, v3, v8
	v_mov_b32_e32 v15, v6
	s_and_b32 s9, s10, exec_lo
.LBB247_51:
	s_or_b32 exec_lo, exec_lo, s8
	s_waitcnt lgkmcnt(0)
	v_or_b32_sdwa v25, v12, v2 dst_sel:DWORD dst_unused:UNUSED_PAD src0_sel:DWORD src1_sel:WORD_1
	v_mov_b32_e32 v16, v8
	s_and_b32 s8, s9, exec_lo
.LBB247_52:
	s_or_b32 exec_lo, exec_lo, s7
	s_waitcnt lgkmcnt(0)
	v_and_or_b32 v26, 0xffff, v2, v17
	v_mov_b32_e32 v17, v25
	s_and_b32 s7, s8, exec_lo
.LBB247_53:
	s_or_b32 exec_lo, exec_lo, s5
	s_waitcnt lgkmcnt(0)
	v_or_b32_sdwa v27, v11, v1 dst_sel:DWORD dst_unused:UNUSED_PAD src0_sel:DWORD src1_sel:WORD_1
	v_mov_b32_e32 v19, v26
	s_and_b32 s5, s7, exec_lo
.LBB247_54:
	s_or_b32 exec_lo, exec_lo, s4
	s_waitcnt lgkmcnt(0)
	v_and_or_b32 v1, 0xffff, v1, v20
	v_mov_b32_e32 v20, v27
	s_and_b32 s4, s5, exec_lo
.LBB247_55:
	s_or_b32 exec_lo, exec_lo, s1
	s_waitcnt lgkmcnt(0)
	v_or_b32_e32 v18, v21, v18
	v_mov_b32_e32 v21, v1
	s_and_b32 s1, s4, exec_lo
.LBB247_56:
	s_or_b32 exec_lo, exec_lo, s3
	v_lshlrev_b32_e32 v9, 1, v0
	s_and_b32 vcc_lo, exec_lo, s0
	s_cbranch_vccnz .LBB247_58
	s_branch .LBB247_66
.LBB247_57:
                                        ; implicit-def: $sgpr2
                                        ; implicit-def: $vgpr7
                                        ; implicit-def: $vgpr18
                                        ; implicit-def: $vgpr1
                                        ; implicit-def: $vgpr27
                                        ; implicit-def: $vgpr26
                                        ; implicit-def: $vgpr25
                                        ; implicit-def: $vgpr8
                                        ; implicit-def: $vgpr6
                                        ; implicit-def: $vgpr5
                                        ; implicit-def: $vgpr21
                                        ; implicit-def: $vgpr20
                                        ; implicit-def: $vgpr19
                                        ; implicit-def: $vgpr17
                                        ; implicit-def: $vgpr16
                                        ; implicit-def: $vgpr15
                                        ; implicit-def: $vgpr14
                                        ; implicit-def: $vgpr13
	v_lshlrev_b32_e32 v9, 1, v0
	s_cbranch_execz .LBB247_66
.LBB247_58:
	v_add_co_u32 v1, s0, s20, v9
	v_add_co_ci_u32_e64 v2, null, s21, 0, s0
	v_mad_u32_u24 v6, v0, 18, v9
	s_cmp_eq_u64 s[34:35], 0
	s_clause 0x9
	flat_load_ushort v3, v[1:2]
	flat_load_ushort v4, v[1:2] offset:128
	flat_load_ushort v5, v[1:2] offset:256
	;; [unrolled: 1-line block ×9, first 2 shown]
	s_waitcnt vmcnt(9) lgkmcnt(9)
	ds_write_b16 v9, v3
	s_waitcnt vmcnt(8) lgkmcnt(9)
	ds_write_b16 v9, v4 offset:128
	s_waitcnt vmcnt(7) lgkmcnt(9)
	ds_write_b16 v9, v5 offset:256
	;; [unrolled: 2-line block ×9, first 2 shown]
	s_waitcnt lgkmcnt(0)
	s_barrier
	buffer_gl0_inv
	ds_read2_b32 v[3:4], v6 offset1:1
	ds_read2_b32 v[1:2], v6 offset0:2 offset1:3
	ds_read_b32 v5, v6 offset:16
	s_cbranch_scc1 .LBB247_63
; %bb.59:
	s_andn2_b32 vcc_lo, exec_lo, s37
	s_cbranch_vccnz .LBB247_198
; %bb.60:
	s_lshl_b64 s[0:1], s[34:35], 1
	s_add_u32 s0, s22, s0
	s_addc_u32 s1, s23, s1
	s_add_u32 s0, s0, -2
	s_addc_u32 s1, s1, -1
	s_cbranch_execnz .LBB247_62
.LBB247_61:
	s_add_u32 s0, s20, -2
	s_addc_u32 s1, s21, -1
.LBB247_62:
	s_mov_b64 s[20:21], s[0:1]
.LBB247_63:
	v_mov_b32_e32 v7, s20
	v_mov_b32_e32 v8, s21
	v_mad_i32_i24 v10, 0xffffffee, v0, v6
	s_mov_b32 s0, exec_lo
	flat_load_ushort v8, v[7:8]
	s_waitcnt lgkmcnt(1)
	v_lshrrev_b32_e32 v7, 16, v5
	ds_write_b16 v10, v7 offset:1280
	s_waitcnt vmcnt(0) lgkmcnt(0)
	s_barrier
	buffer_gl0_inv
	v_cmpx_ne_u32_e32 0, v0
; %bb.64:
	v_mul_i32_i24_e32 v8, 0xffffffee, v0
	v_add_nc_u32_e32 v8, v6, v8
	ds_read_u16 v8, v8 offset:1278
; %bb.65:
	s_or_b32 exec_lo, exec_lo, s0
	v_add_co_u32 v10, s0, s11, v9
	v_add_co_ci_u32_e64 v11, null, s36, 0, s0
	s_waitcnt lgkmcnt(0)
	s_barrier
	buffer_gl0_inv
	s_clause 0x9
	flat_load_ushort v12, v[10:11]
	flat_load_ushort v13, v[10:11] offset:128
	flat_load_ushort v14, v[10:11] offset:256
	;; [unrolled: 1-line block ×9, first 2 shown]
	v_cmp_eq_u16_sdwa s0, v3, v3 src0_sel:DWORD src1_sel:WORD_1
	v_cmp_eq_u16_e32 vcc_lo, v8, v3
	v_cmp_ne_u16_e64 s2, v5, v7
	s_mov_b32 s1, -1
	s_waitcnt vmcnt(9) lgkmcnt(9)
	ds_write_b16 v9, v12
	s_waitcnt vmcnt(8) lgkmcnt(9)
	ds_write_b16 v9, v13 offset:128
	s_waitcnt vmcnt(7) lgkmcnt(9)
	ds_write_b16 v9, v14 offset:256
	;; [unrolled: 2-line block ×9, first 2 shown]
	v_cndmask_b32_e64 v8, 0x10000, 0, s0
	v_cmp_eq_u16_sdwa s0, v3, v4 src0_sel:WORD_1 src1_sel:DWORD
	s_waitcnt lgkmcnt(0)
	s_barrier
	buffer_gl0_inv
	ds_read2_b32 v[10:11], v6 offset1:1
	ds_read2_b32 v[12:13], v6 offset0:2 offset1:3
	ds_read_b32 v14, v6 offset:16
	v_cndmask_b32_e64 v3, 0x10000, 0, s0
	v_cmp_eq_u16_sdwa s0, v4, v4 src0_sel:DWORD src1_sel:WORD_1
	v_cndmask_b32_e64 v6, 0x10000, 0, vcc_lo
	v_cndmask_b32_e64 v15, 0x10000, 0, s0
	v_cmp_eq_u16_sdwa s0, v4, v1 src0_sel:WORD_1 src1_sel:DWORD
	v_cndmask_b32_e64 v4, 0x10000, 0, s0
	v_cmp_eq_u16_sdwa s0, v1, v1 src0_sel:DWORD src1_sel:WORD_1
	s_waitcnt lgkmcnt(2)
	v_and_or_b32 v18, 0xffff, v10, v6
	v_cndmask_b32_e64 v16, 0x10000, 0, s0
	v_cmp_eq_u16_sdwa s0, v1, v2 src0_sel:WORD_1 src1_sel:DWORD
	v_or_b32_sdwa v1, v8, v10 dst_sel:DWORD dst_unused:UNUSED_PAD src0_sel:DWORD src1_sel:WORD_1
	v_and_or_b32 v27, 0xffff, v11, v3
	v_or_b32_sdwa v26, v15, v11 dst_sel:DWORD dst_unused:UNUSED_PAD src0_sel:DWORD src1_sel:WORD_1
	s_waitcnt lgkmcnt(1)
	v_and_or_b32 v25, 0xffff, v12, v4
	v_cndmask_b32_e64 v17, 0x10000, 0, s0
	v_cmp_eq_u16_sdwa s0, v2, v2 src0_sel:DWORD src1_sel:WORD_1
	v_or_b32_sdwa v8, v16, v12 dst_sel:DWORD dst_unused:UNUSED_PAD src0_sel:DWORD src1_sel:WORD_1
	s_waitcnt lgkmcnt(0)
	v_lshrrev_b32_e32 v7, 16, v14
	v_mov_b32_e32 v21, v1
	v_and_or_b32 v6, 0xffff, v13, v17
	v_cndmask_b32_e64 v19, 0x10000, 0, s0
	v_cmp_eq_u16_sdwa s0, v2, v5 src0_sel:WORD_1 src1_sel:DWORD
	v_mov_b32_e32 v20, v27
	v_mov_b32_e32 v17, v25
	;; [unrolled: 1-line block ×3, first 2 shown]
	v_or_b32_sdwa v5, v19, v13 dst_sel:DWORD dst_unused:UNUSED_PAD src0_sel:DWORD src1_sel:WORD_1
	v_cndmask_b32_e64 v2, 0x10000, 0, s0
	v_mov_b32_e32 v19, v26
	v_mov_b32_e32 v15, v6
	v_and_or_b32 v13, 0xffff, v14, v2
	v_mov_b32_e32 v14, v5
.LBB247_66:
	v_mov_b32_e32 v10, 0
	s_and_saveexec_b32 s0, s1
	s_cbranch_execz .LBB247_68
; %bb.67:
	v_cndmask_b32_e64 v2, 0, 0x10000, s2
	v_mov_b32_e32 v14, v5
	v_mov_b32_e32 v15, v6
	;; [unrolled: 1-line block ×4, first 2 shown]
	v_or_b32_sdwa v10, v2, v7 dst_sel:DWORD dst_unused:UNUSED_PAD src0_sel:DWORD src1_sel:WORD_0
	v_mov_b32_e32 v19, v26
	v_mov_b32_e32 v20, v27
	v_mov_b32_e32 v21, v1
.LBB247_68:
	s_or_b32 exec_lo, exec_lo, s0
	v_or3_b32 v1, v14, v13, v15
	v_cmp_gt_u32_e64 s9, 0x10000, v21
	v_cmp_gt_u32_e64 s8, 0x10000, v20
	;; [unrolled: 1-line block ×8, first 2 shown]
	v_or3_b32 v12, v1, v16, v17
	v_cmp_gt_u32_e64 s1, 0x10000, v10
	v_lshrrev_b32_e32 v11, 3, v0
	s_cmp_lg_u32 s6, 0
	v_cmp_gt_u32_e32 vcc_lo, 32, v0
	s_barrier
	buffer_gl0_inv
	s_cbranch_scc0 .LBB247_118
; %bb.69:
	v_cndmask_b32_e64 v1, 0, v18, s9
	v_or3_b32 v2, v12, v19, v20
	v_and_b32_e32 v3, 4, v11
	v_lshrrev_b32_e32 v22, 16, v18
	v_add_nc_u16 v1, v1, v21
	v_or3_b32 v2, v2, v21, v10
	v_lshl_add_u32 v3, v0, 2, v3
	v_cndmask_b32_e64 v1, 0, v1, s8
	v_and_b32_e32 v2, 0xff0000, v2
	v_add_nc_u16 v1, v1, v20
	v_cmp_eq_u32_e64 s10, 0, v2
	v_cndmask_b32_e64 v1, 0, v1, s7
	v_cndmask_b32_e64 v23, 1, v22, s10
	v_add_nc_u16 v1, v1, v19
	v_cndmask_b32_e64 v1, 0, v1, s5
	v_add_nc_u16 v1, v1, v17
	v_cndmask_b32_e64 v1, 0, v1, s4
	v_add_nc_u16 v1, v1, v16
	v_cndmask_b32_e64 v1, 0, v1, s3
	v_add_nc_u16 v1, v1, v15
	v_cndmask_b32_e64 v1, 0, v1, s2
	v_add_nc_u16 v1, v1, v14
	v_cndmask_b32_e64 v1, 0, v1, s0
	v_add_nc_u16 v1, v1, v13
	v_cndmask_b32_e64 v1, 0, v1, s1
	v_add_nc_u16 v24, v1, v10
	ds_write_b8 v3, v23 offset:2
	ds_write_b16 v3, v24
	s_waitcnt lgkmcnt(0)
	s_barrier
	buffer_gl0_inv
	s_and_saveexec_b32 s11, vcc_lo
	s_cbranch_execz .LBB247_81
; %bb.70:
	v_lshrrev_b32_e32 v1, 2, v0
	v_lshlrev_b32_e32 v2, 3, v0
	s_mov_b32 s16, exec_lo
	v_and_b32_e32 v1, 12, v1
	v_add_nc_u32_e32 v1, v1, v2
	ds_read_u8 v3, v1 offset:6
	ds_read_b32 v2, v1
	ds_read_u16 v4, v1 offset:4
	s_waitcnt lgkmcnt(2)
	v_cmp_eq_u16_e64 s10, 0, v3
	v_and_b32_e32 v6, 1, v3
	s_waitcnt lgkmcnt(1)
	v_and_b32_e32 v3, 0x10000, v2
	v_cndmask_b32_e64 v5, 0, v2, s10
	v_cmp_eq_u32_e64 s10, 1, v6
	v_mbcnt_lo_u32_b32 v6, -1, 0
	s_waitcnt lgkmcnt(0)
	v_add_nc_u16 v5, v5, v4
	v_and_b32_e32 v4, 0xff000000, v2
	v_cndmask_b32_e64 v7, v3, 0x10000, s10
	v_and_b32_e32 v8, 0xffff, v5
	v_or_b32_e32 v25, v7, v4
	v_or3_b32 v26, v4, v8, v7
	v_and_b32_e32 v7, 15, v6
	v_lshrrev_b32_e32 v8, 16, v25
	v_mov_b32_dpp v27, v26 row_shr:1 row_mask:0xf bank_mask:0xf
	v_cmpx_ne_u32_e32 0, v7
	s_cbranch_execz .LBB247_72
; %bb.71:
	v_mov_b32_e32 v8, 0xff
	v_mov_b32_e32 v26, 1
	v_and_b32_sdwa v8, v25, v8 dst_sel:DWORD dst_unused:UNUSED_PAD src0_sel:WORD_1 src1_sel:DWORD
	v_and_b32_e32 v25, 0x10000, v25
	v_and_b32_sdwa v26, v27, v26 dst_sel:DWORD dst_unused:UNUSED_PAD src0_sel:WORD_1 src1_sel:DWORD
	v_cmp_eq_u16_e64 s10, 0, v8
	v_cndmask_b32_e64 v27, 0, v27, s10
	v_cmp_ne_u32_e64 s10, 0, v25
	v_add_nc_u16 v5, v27, v5
	v_cndmask_b32_e64 v8, v26, 1, s10
	v_and_b32_e32 v26, 0xffff, v5
	v_lshlrev_b32_e32 v25, 16, v8
	v_or3_b32 v26, v25, v26, v4
.LBB247_72:
	s_or_b32 exec_lo, exec_lo, s16
	v_lshrrev_b32_e32 v25, 16, v26
	v_mov_b32_dpp v27, v26 row_shr:2 row_mask:0xf bank_mask:0xf
	s_mov_b32 s16, exec_lo
	v_cmpx_lt_u32_e32 1, v7
	s_cbranch_execz .LBB247_74
; %bb.73:
	v_mov_b32_e32 v28, 0
	v_mov_b32_e32 v8, 1
	v_and_b32_e32 v26, 0x10000, v26
	v_cmp_eq_u16_sdwa s10, v25, v28 src0_sel:BYTE_0 src1_sel:DWORD
	v_and_b32_sdwa v8, v27, v8 dst_sel:DWORD dst_unused:UNUSED_PAD src0_sel:WORD_1 src1_sel:DWORD
	v_cndmask_b32_e64 v25, 0, v27, s10
	v_cmp_ne_u32_e64 s10, 0, v26
	v_add_nc_u16 v5, v25, v5
	v_cndmask_b32_e64 v8, v8, 1, s10
	v_and_b32_e32 v26, 0xffff, v5
	v_lshlrev_b32_e32 v25, 16, v8
	v_or3_b32 v26, v25, v26, v4
	v_mov_b32_e32 v25, v8
.LBB247_74:
	s_or_b32 exec_lo, exec_lo, s16
	v_mov_b32_dpp v27, v26 row_shr:4 row_mask:0xf bank_mask:0xf
	s_mov_b32 s16, exec_lo
	v_cmpx_lt_u32_e32 3, v7
	s_cbranch_execz .LBB247_76
; %bb.75:
	v_mov_b32_e32 v26, 0
	v_mov_b32_e32 v8, 1
	v_and_b32_e32 v28, 1, v25
	v_cmp_eq_u16_sdwa s10, v25, v26 src0_sel:BYTE_0 src1_sel:DWORD
	v_and_b32_sdwa v8, v27, v8 dst_sel:DWORD dst_unused:UNUSED_PAD src0_sel:WORD_1 src1_sel:DWORD
	v_cndmask_b32_e64 v25, 0, v27, s10
	v_cmp_eq_u32_e64 s10, 1, v28
	v_add_nc_u16 v5, v25, v5
	v_cndmask_b32_e64 v8, v8, 1, s10
	v_and_b32_e32 v26, 0xffff, v5
	v_lshlrev_b32_e32 v25, 16, v8
	v_or3_b32 v26, v25, v26, v4
	v_mov_b32_e32 v25, v8
.LBB247_76:
	s_or_b32 exec_lo, exec_lo, s16
	v_mov_b32_dpp v27, v26 row_shr:8 row_mask:0xf bank_mask:0xf
	s_mov_b32 s16, exec_lo
	v_cmpx_lt_u32_e32 7, v7
	s_cbranch_execz .LBB247_78
; %bb.77:
	v_mov_b32_e32 v8, 0
	v_mov_b32_e32 v7, 1
	v_and_b32_e32 v26, 1, v25
	v_cmp_eq_u16_sdwa s10, v25, v8 src0_sel:BYTE_0 src1_sel:DWORD
	v_and_b32_sdwa v7, v27, v7 dst_sel:DWORD dst_unused:UNUSED_PAD src0_sel:WORD_1 src1_sel:DWORD
	v_cndmask_b32_e64 v25, 0, v27, s10
	v_cmp_eq_u32_e64 s10, 1, v26
	v_add_nc_u16 v5, v25, v5
	v_cndmask_b32_e64 v8, v7, 1, s10
	v_and_b32_e32 v25, 0xffff, v5
	v_lshlrev_b32_e32 v7, 16, v8
	v_or3_b32 v26, v7, v25, v4
	v_mov_b32_e32 v25, v8
.LBB247_78:
	s_or_b32 exec_lo, exec_lo, s16
	ds_swizzle_b32 v7, v26 offset:swizzle(BROADCAST,32,15)
	v_and_b32_e32 v26, 16, v6
	s_mov_b32 s16, exec_lo
	v_cmpx_ne_u32_e32 0, v26
	s_cbranch_execz .LBB247_80
; %bb.79:
	v_mov_b32_e32 v8, 0
	v_mov_b32_e32 v26, 1
	v_cmp_eq_u16_sdwa s10, v25, v8 src0_sel:BYTE_0 src1_sel:DWORD
	v_and_b32_e32 v25, 1, v25
	s_waitcnt lgkmcnt(0)
	v_cndmask_b32_e64 v8, 0, v7, s10
	v_and_b32_sdwa v7, v7, v26 dst_sel:DWORD dst_unused:UNUSED_PAD src0_sel:WORD_1 src1_sel:DWORD
	v_cmp_eq_u32_e64 s10, 1, v25
	v_add_nc_u16 v5, v8, v5
	v_cndmask_b32_e64 v8, v7, 1, s10
.LBB247_80:
	s_or_b32 exec_lo, exec_lo, s16
	s_waitcnt lgkmcnt(0)
	v_and_b32_e32 v7, 0xff, v8
	v_add_nc_u32_e32 v8, -1, v6
	v_and_b32_e32 v5, 0xffff, v5
	; wave barrier
	v_lshlrev_b32_e32 v7, 16, v7
	v_cmp_gt_i32_e64 s10, 0, v8
	v_or3_b32 v4, v7, v5, v4
	v_cndmask_b32_e64 v6, v8, v6, s10
	v_lshlrev_b32_e32 v5, 2, v6
	v_mov_b32_e32 v6, 1
	ds_bpermute_b32 v4, v5, v4
	v_and_b32_e32 v5, 0xff0000, v2
	v_cmp_eq_u32_e64 s10, 0, v5
	s_waitcnt lgkmcnt(0)
	v_cndmask_b32_e64 v5, 0, v4, s10
	v_and_b32_sdwa v4, v4, v6 dst_sel:DWORD dst_unused:UNUSED_PAD src0_sel:WORD_1 src1_sel:DWORD
	v_cmp_eq_u32_e64 s10, 0, v3
	v_add_nc_u16 v2, v5, v2
	v_cndmask_b32_e64 v3, 1, v4, s10
	v_cmp_eq_u32_e64 s10, 0, v0
	v_cndmask_b32_e64 v2, v2, v24, s10
	v_cndmask_b32_e64 v3, v3, v23, s10
	ds_write_b16 v1, v2
	ds_write_b8 v1, v3 offset:2
	; wave barrier
	ds_read_u8 v4, v1 offset:6
	ds_read_u16 v5, v1 offset:4
	s_waitcnt lgkmcnt(1)
	v_cmp_eq_u16_e64 s10, 0, v4
	v_and_b32_e32 v4, 1, v4
	v_cndmask_b32_e64 v2, 0, v2, s10
	v_cmp_eq_u32_e64 s10, 1, v4
	s_waitcnt lgkmcnt(0)
	v_add_nc_u16 v2, v2, v5
	v_cndmask_b32_e64 v3, v3, 1, s10
	ds_write_b16 v1, v2 offset:4
	ds_write_b8 v1, v3 offset:6
.LBB247_81:
	s_or_b32 exec_lo, exec_lo, s11
	v_cmp_eq_u32_e64 s10, 0, v0
	s_mov_b32 s16, exec_lo
	s_waitcnt lgkmcnt(0)
	s_barrier
	buffer_gl0_inv
	v_cmpx_ne_u32_e32 0, v0
	s_cbranch_execz .LBB247_83
; %bb.82:
	v_add_nc_u32_e32 v1, -1, v0
	v_lshrrev_b32_e32 v2, 3, v1
	v_and_b32_e32 v2, 0x1ffffffc, v2
	v_lshl_add_u32 v1, v1, 2, v2
	ds_read_u16 v24, v1
	ds_read_u8 v23, v1 offset:2
.LBB247_83:
	s_or_b32 exec_lo, exec_lo, s16
	s_and_saveexec_b32 s20, vcc_lo
	s_cbranch_execz .LBB247_123
; %bb.84:
	v_mov_b32_e32 v6, 0
	v_mbcnt_lo_u32_b32 v25, -1, 0
	s_mov_b32 s17, 0
	ds_read_b32 v1, v6 offset:256
	v_cmp_eq_u32_e64 s11, 0, v25
	s_and_saveexec_b32 s21, s11
	s_cbranch_execz .LBB247_86
; %bb.85:
	s_add_i32 s16, s6, 32
	v_mov_b32_e32 v2, 1
	s_lshl_b64 s[16:17], s[16:17], 3
	s_add_u32 s16, s24, s16
	s_addc_u32 s17, s25, s17
	s_waitcnt lgkmcnt(0)
	global_store_dwordx2 v6, v[1:2], s[16:17]
.LBB247_86:
	s_or_b32 exec_lo, exec_lo, s21
	v_xad_u32 v2, v25, -1, s6
	v_add_nc_u32_e32 v5, 32, v2
	v_lshlrev_b64 v[3:4], 3, v[5:6]
	v_add_co_u32 v7, vcc_lo, s24, v3
	v_add_co_ci_u32_e64 v8, null, s25, v4, vcc_lo
	global_load_dwordx2 v[4:5], v[7:8], off glc dlc
	s_waitcnt vmcnt(0)
	v_cmp_eq_u16_sdwa s17, v5, v6 src0_sel:BYTE_0 src1_sel:DWORD
	s_and_saveexec_b32 s16, s17
	s_cbranch_execz .LBB247_90
; %bb.87:
	v_mov_b32_e32 v3, 0
	s_mov_b32 s17, 0
.LBB247_88:                             ; =>This Inner Loop Header: Depth=1
	global_load_dwordx2 v[4:5], v[7:8], off glc dlc
	s_waitcnt vmcnt(0)
	v_cmp_ne_u16_sdwa s21, v5, v3 src0_sel:BYTE_0 src1_sel:DWORD
	s_or_b32 s17, s21, s17
	s_andn2_b32 exec_lo, exec_lo, s17
	s_cbranch_execnz .LBB247_88
; %bb.89:
	s_or_b32 exec_lo, exec_lo, s17
.LBB247_90:
	s_or_b32 exec_lo, exec_lo, s16
	v_cmp_ne_u32_e32 vcc_lo, 31, v25
	v_and_b32_e32 v33, 0xffffff, v4
	v_mov_b32_e32 v6, 2
	v_lshlrev_b32_e64 v26, v25, -1
	v_bfe_u32 v7, v4, 16, 8
	v_add_co_ci_u32_e64 v3, null, 0, v25, vcc_lo
	v_cmp_eq_u16_sdwa s16, v5, v6 src0_sel:BYTE_0 src1_sel:DWORD
	v_lshrrev_b32_e32 v6, 16, v4
	v_lshlrev_b32_e32 v8, 2, v3
	v_and_or_b32 v3, s16, v26, 0x80000000
	s_mov_b32 s16, exec_lo
	ds_bpermute_b32 v27, v8, v33
	v_ffbl_b32_e32 v3, v3
	v_cmpx_lt_u32_e64 v25, v3
	s_cbranch_execz .LBB247_92
; %bb.91:
	v_and_b32_e32 v6, 0xff0000, v4
	v_mov_b32_e32 v7, 1
	v_and_b32_e32 v28, 0x10000, v6
	v_cmp_eq_u32_e32 vcc_lo, 0, v6
	s_waitcnt lgkmcnt(0)
	v_and_b32_sdwa v7, v27, v7 dst_sel:DWORD dst_unused:UNUSED_PAD src0_sel:WORD_1 src1_sel:DWORD
	v_cndmask_b32_e32 v27, 0, v27, vcc_lo
	v_cmp_ne_u32_e32 vcc_lo, 0, v28
	v_add_nc_u16 v4, v27, v4
	v_cndmask_b32_e64 v6, v7, 1, vcc_lo
	v_lshlrev_b32_e32 v7, 16, v6
	v_or_b32_sdwa v33, v7, v4 dst_sel:DWORD dst_unused:UNUSED_PAD src0_sel:DWORD src1_sel:WORD_0
	v_mov_b32_e32 v7, v6
.LBB247_92:
	s_or_b32 exec_lo, exec_lo, s16
	v_cmp_gt_u32_e32 vcc_lo, 30, v25
	v_add_nc_u32_e32 v28, 2, v25
	s_mov_b32 s16, exec_lo
	s_waitcnt lgkmcnt(0)
	v_cndmask_b32_e64 v27, 0, 2, vcc_lo
	v_add_lshl_u32 v27, v27, v25, 2
	ds_bpermute_b32 v29, v27, v33
	v_cmpx_le_u32_e64 v28, v3
	s_cbranch_execz .LBB247_94
; %bb.93:
	v_mov_b32_e32 v6, 1
	v_and_b32_e32 v30, 1, v7
	v_cmp_eq_u16_e32 vcc_lo, 0, v7
	s_waitcnt lgkmcnt(0)
	v_and_b32_sdwa v6, v29, v6 dst_sel:DWORD dst_unused:UNUSED_PAD src0_sel:WORD_1 src1_sel:DWORD
	v_cndmask_b32_e32 v7, 0, v29, vcc_lo
	v_cmp_eq_u32_e32 vcc_lo, 1, v30
	v_add_nc_u16 v4, v7, v4
	v_cndmask_b32_e64 v6, v6, 1, vcc_lo
	v_lshlrev_b32_e32 v7, 16, v6
	v_or_b32_sdwa v33, v7, v4 dst_sel:DWORD dst_unused:UNUSED_PAD src0_sel:DWORD src1_sel:WORD_0
	v_mov_b32_e32 v7, v6
.LBB247_94:
	s_or_b32 exec_lo, exec_lo, s16
	v_cmp_gt_u32_e32 vcc_lo, 28, v25
	v_add_nc_u32_e32 v30, 4, v25
	s_mov_b32 s16, exec_lo
	s_waitcnt lgkmcnt(0)
	v_cndmask_b32_e64 v29, 0, 4, vcc_lo
	v_add_lshl_u32 v29, v29, v25, 2
	ds_bpermute_b32 v31, v29, v33
	v_cmpx_le_u32_e64 v30, v3
	s_cbranch_execz .LBB247_96
; %bb.95:
	v_mov_b32_e32 v6, 1
	v_and_b32_e32 v32, 1, v7
	v_cmp_eq_u16_e32 vcc_lo, 0, v7
	s_waitcnt lgkmcnt(0)
	v_and_b32_sdwa v6, v31, v6 dst_sel:DWORD dst_unused:UNUSED_PAD src0_sel:WORD_1 src1_sel:DWORD
	v_cndmask_b32_e32 v7, 0, v31, vcc_lo
	v_cmp_eq_u32_e32 vcc_lo, 1, v32
	v_add_nc_u16 v4, v7, v4
	v_cndmask_b32_e64 v6, v6, 1, vcc_lo
	v_lshlrev_b32_e32 v7, 16, v6
	v_or_b32_sdwa v33, v7, v4 dst_sel:DWORD dst_unused:UNUSED_PAD src0_sel:DWORD src1_sel:WORD_0
	v_mov_b32_e32 v7, v6
.LBB247_96:
	;; [unrolled: 24-line block ×3, first 2 shown]
	s_or_b32 exec_lo, exec_lo, s16
	v_lshl_or_b32 v35, v25, 2, 64
	v_add_nc_u32_e32 v36, 16, v25
	s_mov_b32 s16, exec_lo
	ds_bpermute_b32 v33, v35, v33
	v_cmpx_le_u32_e64 v36, v3
	s_cbranch_execz .LBB247_100
; %bb.99:
	v_mov_b32_e32 v3, 1
	v_cmp_eq_u16_e32 vcc_lo, 0, v7
	v_and_b32_e32 v7, 1, v7
	s_waitcnt lgkmcnt(0)
	v_and_b32_sdwa v3, v33, v3 dst_sel:DWORD dst_unused:UNUSED_PAD src0_sel:WORD_1 src1_sel:DWORD
	v_cndmask_b32_e32 v6, 0, v33, vcc_lo
	v_cmp_eq_u32_e32 vcc_lo, 1, v7
	v_add_nc_u16 v4, v6, v4
	v_cndmask_b32_e64 v6, v3, 1, vcc_lo
.LBB247_100:
	s_or_b32 exec_lo, exec_lo, s16
	v_mov_b32_e32 v3, 0
	v_mov_b32_e32 v37, 2
	;; [unrolled: 1-line block ×3, first 2 shown]
	s_branch .LBB247_103
.LBB247_101:                            ;   in Loop: Header=BB247_103 Depth=1
	s_or_b32 exec_lo, exec_lo, s16
	v_cmp_eq_u16_sdwa vcc_lo, v33, v3 src0_sel:BYTE_0 src1_sel:DWORD
	v_and_b32_e32 v6, 1, v33
	v_and_b32_e32 v7, 1, v7
	v_subrev_nc_u32_e32 v2, 32, v2
	s_mov_b32 s16, 0
	v_cndmask_b32_e32 v4, 0, v4, vcc_lo
	v_cmp_eq_u32_e32 vcc_lo, 1, v6
	v_add_nc_u16 v4, v4, v34
	v_cndmask_b32_e64 v6, v7, 1, vcc_lo
.LBB247_102:                            ;   in Loop: Header=BB247_103 Depth=1
	s_and_b32 vcc_lo, exec_lo, s16
	s_cbranch_vccnz .LBB247_119
.LBB247_103:                            ; =>This Loop Header: Depth=1
                                        ;     Child Loop BB247_106 Depth 2
	v_cmp_ne_u16_sdwa s16, v5, v37 src0_sel:BYTE_0 src1_sel:DWORD
	s_waitcnt lgkmcnt(0)
	v_mov_b32_e32 v33, v6
	v_mov_b32_e32 v34, v4
                                        ; implicit-def: $vgpr6
                                        ; implicit-def: $vgpr4
	s_cmp_lg_u32 s16, exec_lo
	s_mov_b32 s16, -1
	s_cbranch_scc1 .LBB247_102
; %bb.104:                              ;   in Loop: Header=BB247_103 Depth=1
	v_lshlrev_b64 v[4:5], 3, v[2:3]
	v_add_co_u32 v6, vcc_lo, s24, v4
	v_add_co_ci_u32_e64 v7, null, s25, v5, vcc_lo
	global_load_dwordx2 v[4:5], v[6:7], off glc dlc
	s_waitcnt vmcnt(0)
	v_cmp_eq_u16_sdwa s17, v5, v3 src0_sel:BYTE_0 src1_sel:DWORD
	s_and_saveexec_b32 s16, s17
	s_cbranch_execz .LBB247_108
; %bb.105:                              ;   in Loop: Header=BB247_103 Depth=1
	s_mov_b32 s17, 0
.LBB247_106:                            ;   Parent Loop BB247_103 Depth=1
                                        ; =>  This Inner Loop Header: Depth=2
	global_load_dwordx2 v[4:5], v[6:7], off glc dlc
	s_waitcnt vmcnt(0)
	v_cmp_ne_u16_sdwa s21, v5, v3 src0_sel:BYTE_0 src1_sel:DWORD
	s_or_b32 s17, s21, s17
	s_andn2_b32 exec_lo, exec_lo, s17
	s_cbranch_execnz .LBB247_106
; %bb.107:                              ;   in Loop: Header=BB247_103 Depth=1
	s_or_b32 exec_lo, exec_lo, s17
.LBB247_108:                            ;   in Loop: Header=BB247_103 Depth=1
	s_or_b32 exec_lo, exec_lo, s16
	v_and_b32_e32 v40, 0xffffff, v4
	v_cmp_eq_u16_sdwa s16, v5, v37 src0_sel:BYTE_0 src1_sel:DWORD
	v_lshrrev_b32_e32 v7, 16, v4
	v_bfe_u32 v39, v4, 16, 8
	ds_bpermute_b32 v41, v8, v40
	v_and_or_b32 v6, s16, v26, 0x80000000
	s_mov_b32 s16, exec_lo
	v_ffbl_b32_e32 v6, v6
	v_cmpx_lt_u32_e64 v25, v6
	s_cbranch_execz .LBB247_110
; %bb.109:                              ;   in Loop: Header=BB247_103 Depth=1
	v_and_b32_e32 v7, 0xff0000, v4
	s_waitcnt lgkmcnt(0)
	v_and_b32_sdwa v40, v41, v38 dst_sel:DWORD dst_unused:UNUSED_PAD src0_sel:WORD_1 src1_sel:DWORD
	v_and_b32_e32 v39, 0x10000, v7
	v_cmp_eq_u32_e32 vcc_lo, 0, v7
	v_cndmask_b32_e32 v41, 0, v41, vcc_lo
	v_cmp_ne_u32_e32 vcc_lo, 0, v39
	v_add_nc_u16 v4, v41, v4
	v_cndmask_b32_e64 v7, v40, 1, vcc_lo
	v_lshlrev_b32_e32 v39, 16, v7
	v_or_b32_sdwa v40, v39, v4 dst_sel:DWORD dst_unused:UNUSED_PAD src0_sel:DWORD src1_sel:WORD_0
	v_mov_b32_e32 v39, v7
.LBB247_110:                            ;   in Loop: Header=BB247_103 Depth=1
	s_or_b32 exec_lo, exec_lo, s16
	s_waitcnt lgkmcnt(0)
	ds_bpermute_b32 v41, v27, v40
	s_mov_b32 s16, exec_lo
	v_cmpx_le_u32_e64 v28, v6
	s_cbranch_execz .LBB247_112
; %bb.111:                              ;   in Loop: Header=BB247_103 Depth=1
	v_and_b32_e32 v7, 1, v39
	v_cmp_eq_u16_e32 vcc_lo, 0, v39
	s_waitcnt lgkmcnt(0)
	v_and_b32_sdwa v40, v41, v38 dst_sel:DWORD dst_unused:UNUSED_PAD src0_sel:WORD_1 src1_sel:DWORD
	v_cndmask_b32_e32 v39, 0, v41, vcc_lo
	v_cmp_eq_u32_e32 vcc_lo, 1, v7
	v_add_nc_u16 v4, v39, v4
	v_cndmask_b32_e64 v7, v40, 1, vcc_lo
	v_lshlrev_b32_e32 v39, 16, v7
	v_or_b32_sdwa v40, v39, v4 dst_sel:DWORD dst_unused:UNUSED_PAD src0_sel:DWORD src1_sel:WORD_0
	v_mov_b32_e32 v39, v7
.LBB247_112:                            ;   in Loop: Header=BB247_103 Depth=1
	s_or_b32 exec_lo, exec_lo, s16
	s_waitcnt lgkmcnt(0)
	ds_bpermute_b32 v41, v29, v40
	s_mov_b32 s16, exec_lo
	v_cmpx_le_u32_e64 v30, v6
	s_cbranch_execz .LBB247_114
; %bb.113:                              ;   in Loop: Header=BB247_103 Depth=1
	v_and_b32_e32 v7, 1, v39
	v_cmp_eq_u16_e32 vcc_lo, 0, v39
	s_waitcnt lgkmcnt(0)
	v_and_b32_sdwa v40, v41, v38 dst_sel:DWORD dst_unused:UNUSED_PAD src0_sel:WORD_1 src1_sel:DWORD
	v_cndmask_b32_e32 v39, 0, v41, vcc_lo
	v_cmp_eq_u32_e32 vcc_lo, 1, v7
	v_add_nc_u16 v4, v39, v4
	v_cndmask_b32_e64 v7, v40, 1, vcc_lo
	v_lshlrev_b32_e32 v39, 16, v7
	v_or_b32_sdwa v40, v39, v4 dst_sel:DWORD dst_unused:UNUSED_PAD src0_sel:DWORD src1_sel:WORD_0
	v_mov_b32_e32 v39, v7
.LBB247_114:                            ;   in Loop: Header=BB247_103 Depth=1
	;; [unrolled: 19-line block ×3, first 2 shown]
	s_or_b32 exec_lo, exec_lo, s16
	ds_bpermute_b32 v40, v35, v40
	s_mov_b32 s16, exec_lo
	v_cmpx_le_u32_e64 v36, v6
	s_cbranch_execz .LBB247_101
; %bb.117:                              ;   in Loop: Header=BB247_103 Depth=1
	v_cmp_eq_u16_e32 vcc_lo, 0, v39
	v_and_b32_e32 v7, 1, v39
	s_waitcnt lgkmcnt(0)
	v_lshrrev_b32_e32 v39, 16, v40
	v_cndmask_b32_e32 v6, 0, v40, vcc_lo
	v_cmp_eq_u32_e32 vcc_lo, 1, v7
	v_add_nc_u16 v4, v6, v4
	v_cndmask_b32_e64 v7, v39, 1, vcc_lo
	s_branch .LBB247_101
.LBB247_118:
                                        ; implicit-def: $vgpr25
                                        ; implicit-def: $vgpr3
                                        ; implicit-def: $vgpr4
                                        ; implicit-def: $vgpr5
                                        ; implicit-def: $vgpr6
                                        ; implicit-def: $vgpr7
                                        ; implicit-def: $vgpr8
                                        ; implicit-def: $vgpr22
                                        ; implicit-def: $vgpr23
                                        ; implicit-def: $vgpr24
	s_cbranch_execnz .LBB247_124
	s_branch .LBB247_143
.LBB247_119:
	s_and_saveexec_b32 s16, s11
	s_cbranch_execz .LBB247_121
; %bb.120:
	v_and_b32_e32 v2, 0xff0000, v1
	v_mov_b32_e32 v3, 1
	v_and_b32_e32 v4, 0x10000, v1
	s_mov_b32 s23, 0
	s_add_i32 s22, s6, 32
	v_cmp_eq_u32_e32 vcc_lo, 0, v2
	v_and_b32_sdwa v3, v33, v3 dst_sel:WORD_1 dst_unused:UNUSED_PAD src0_sel:DWORD src1_sel:DWORD
	s_lshl_b64 s[22:23], s[22:23], 3
	s_add_u32 s22, s24, s22
	v_cndmask_b32_e32 v2, 0, v34, vcc_lo
	v_cmp_eq_u32_e32 vcc_lo, 0, v4
	s_addc_u32 s23, s25, s23
	v_add_nc_u16 v1, v2, v1
	v_cndmask_b32_e32 v2, 0x10000, v3, vcc_lo
	v_mov_b32_e32 v3, 0
	v_or_b32_sdwa v1, v2, v1 dst_sel:DWORD dst_unused:UNUSED_PAD src0_sel:DWORD src1_sel:WORD_0
	v_mov_b32_e32 v2, 2
	global_store_dwordx2 v3, v[1:2], s[22:23]
.LBB247_121:
	s_or_b32 exec_lo, exec_lo, s16
	s_and_b32 exec_lo, exec_lo, s10
	s_cbranch_execz .LBB247_123
; %bb.122:
	v_mov_b32_e32 v1, 0
	ds_write_b16 v1, v34
	ds_write_b8 v1, v33 offset:2
.LBB247_123:
	s_or_b32 exec_lo, exec_lo, s20
	v_mov_b32_e32 v1, 0
	v_and_b32_e32 v3, 0x10000, v18
	v_cmp_gt_u32_e32 vcc_lo, 0x10000, v18
	s_waitcnt lgkmcnt(0)
	s_waitcnt_vscnt null, 0x0
	s_barrier
	buffer_gl0_inv
	ds_read_b32 v2, v1
	v_cndmask_b32_e32 v4, 0, v24, vcc_lo
	v_cmp_ne_u32_e32 vcc_lo, 0, v3
	v_cndmask_b32_e64 v4, v4, 0, s10
	v_cndmask_b32_e64 v3, v23, 1, vcc_lo
	v_add_nc_u16 v4, v4, v18
	v_cndmask_b32_e64 v3, v3, v22, s10
	v_cmp_eq_u16_sdwa vcc_lo, v3, v1 src0_sel:BYTE_0 src1_sel:DWORD
	s_waitcnt lgkmcnt(0)
	v_cndmask_b32_e32 v1, 0, v2, vcc_lo
	v_add_nc_u16 v1, v4, v1
	v_cndmask_b32_e64 v2, 0, v1, s9
	v_and_b32_e32 v25, 0xffff, v1
	v_add_nc_u16 v3, v2, v21
	v_cndmask_b32_e64 v2, 0, v3, s8
	v_add_nc_u16 v4, v2, v20
	v_cndmask_b32_e64 v2, 0, v4, s7
	v_add_nc_u16 v5, v2, v19
	v_cndmask_b32_e64 v2, 0, v5, s5
	v_add_nc_u16 v6, v2, v17
	v_cndmask_b32_e64 v2, 0, v6, s4
	v_add_nc_u16 v7, v2, v16
	v_cndmask_b32_e64 v2, 0, v7, s3
	v_add_nc_u16 v8, v2, v15
	v_cndmask_b32_e64 v2, 0, v8, s2
	v_add_nc_u16 v22, v2, v14
	v_cndmask_b32_e64 v2, 0, v22, s0
	v_add_nc_u16 v23, v2, v13
	v_cndmask_b32_e64 v2, 0, v23, s1
	v_add_nc_u16 v24, v2, v10
	s_branch .LBB247_143
.LBB247_124:
	s_cmp_lg_u64 s[30:31], 0
	v_cmp_eq_u32_e32 vcc_lo, 0, v0
	s_cselect_b32 s1, -1, 0
	s_cmp_lg_u64 s[18:19], 0
	v_cmp_ne_u32_e64 s0, 0, v0
	s_cselect_b32 s2, -1, 0
	s_and_b32 s1, s1, s2
	s_and_b32 s1, vcc_lo, s1
	s_and_saveexec_b32 s2, s1
	s_cbranch_execz .LBB247_126
; %bb.125:
	v_mov_b32_e32 v1, 0
	v_mov_b32_e32 v3, 1
	v_cmp_gt_u32_e64 s1, 0x10000, v18
	v_and_b32_e32 v4, 0x10000, v18
	s_clause 0x1
	global_load_ushort v2, v1, s[18:19]
	global_load_ubyte v1, v1, s[18:19] offset:2
	s_waitcnt vmcnt(1)
	v_cndmask_b32_e64 v2, 0, v2, s1
	s_waitcnt vmcnt(0)
	v_and_b32_sdwa v1, v1, v3 dst_sel:WORD_1 dst_unused:UNUSED_PAD src0_sel:DWORD src1_sel:DWORD
	v_cmp_eq_u32_e64 s1, 0, v4
	v_add_nc_u16 v2, v2, v18
	v_cndmask_b32_e64 v1, 0x10000, v1, s1
	v_or_b32_sdwa v18, v1, v2 dst_sel:DWORD dst_unused:UNUSED_PAD src0_sel:DWORD src1_sel:WORD_0
.LBB247_126:
	s_or_b32 exec_lo, exec_lo, s2
	v_cmp_gt_u32_e64 s1, 0x10000, v21
	v_cmp_gt_u32_e64 s2, 0x10000, v20
	;; [unrolled: 1-line block ×5, first 2 shown]
	v_cndmask_b32_e64 v1, 0, v18, s1
	v_cmp_gt_u32_e64 s6, 0x10000, v15
	v_cmp_gt_u32_e64 s7, 0x10000, v14
	;; [unrolled: 1-line block ×4, first 2 shown]
	v_add_nc_u16 v3, v1, v21
	v_and_b32_e32 v11, 4, v11
	s_mov_b32 s11, exec_lo
	v_cndmask_b32_e64 v1, 0, v3, s2
	v_lshl_add_u32 v11, v0, 2, v11
	v_add_nc_u16 v4, v1, v20
	v_cndmask_b32_e64 v1, 0, v4, s3
	v_add_nc_u16 v5, v1, v19
	v_cndmask_b32_e64 v1, 0, v5, s4
	;; [unrolled: 2-line block ×5, first 2 shown]
	v_add_nc_u16 v22, v1, v14
	v_or3_b32 v1, v12, v19, v20
	v_cndmask_b32_e64 v2, 0, v22, s8
	v_or3_b32 v1, v1, v21, v10
	v_add_nc_u16 v23, v2, v13
	v_and_b32_e32 v1, 0xff0000, v1
	v_lshrrev_b32_e32 v2, 16, v18
	v_cndmask_b32_e64 v12, 0, v23, s9
	v_cmp_eq_u32_e64 s10, 0, v1
	v_add_nc_u16 v24, v12, v10
	v_cndmask_b32_e64 v1, 1, v2, s10
	ds_write_b8 v11, v1 offset:2
	ds_write_b16 v11, v24
	s_waitcnt lgkmcnt(0)
	s_barrier
	buffer_gl0_inv
	v_cmpx_gt_u32_e32 32, v0
	s_cbranch_execz .LBB247_138
; %bb.127:
	v_lshrrev_b32_e32 v2, 2, v0
	v_lshlrev_b32_e32 v11, 3, v0
	s_mov_b32 s16, exec_lo
	v_and_b32_e32 v2, 12, v2
	v_add_nc_u32_e32 v2, v2, v11
	ds_read_u8 v12, v2 offset:6
	ds_read_b32 v11, v2
	ds_read_u16 v25, v2 offset:4
	s_waitcnt lgkmcnt(2)
	v_cmp_eq_u16_e64 s10, 0, v12
	v_and_b32_e32 v27, 1, v12
	s_waitcnt lgkmcnt(1)
	v_and_b32_e32 v12, 0x10000, v11
	v_cndmask_b32_e64 v26, 0, v11, s10
	v_cmp_eq_u32_e64 s10, 1, v27
	v_mbcnt_lo_u32_b32 v27, -1, 0
	s_waitcnt lgkmcnt(0)
	v_add_nc_u16 v26, v26, v25
	v_and_b32_e32 v25, 0xff000000, v11
	v_cndmask_b32_e64 v28, v12, 0x10000, s10
	v_and_b32_e32 v29, 0xffff, v26
	v_or_b32_e32 v30, v28, v25
	v_or3_b32 v31, v25, v29, v28
	v_and_b32_e32 v28, 15, v27
	v_lshrrev_b32_e32 v29, 16, v30
	v_mov_b32_dpp v32, v31 row_shr:1 row_mask:0xf bank_mask:0xf
	v_cmpx_ne_u32_e32 0, v28
	s_cbranch_execz .LBB247_129
; %bb.128:
	v_mov_b32_e32 v29, 0xff
	v_mov_b32_e32 v31, 1
	v_and_b32_sdwa v29, v30, v29 dst_sel:DWORD dst_unused:UNUSED_PAD src0_sel:WORD_1 src1_sel:DWORD
	v_and_b32_e32 v30, 0x10000, v30
	v_and_b32_sdwa v31, v32, v31 dst_sel:DWORD dst_unused:UNUSED_PAD src0_sel:WORD_1 src1_sel:DWORD
	v_cmp_eq_u16_e64 s10, 0, v29
	v_cndmask_b32_e64 v32, 0, v32, s10
	v_cmp_ne_u32_e64 s10, 0, v30
	v_add_nc_u16 v26, v32, v26
	v_cndmask_b32_e64 v29, v31, 1, s10
	v_and_b32_e32 v31, 0xffff, v26
	v_lshlrev_b32_e32 v30, 16, v29
	v_or3_b32 v31, v30, v31, v25
.LBB247_129:
	s_or_b32 exec_lo, exec_lo, s16
	v_lshrrev_b32_e32 v30, 16, v31
	v_mov_b32_dpp v32, v31 row_shr:2 row_mask:0xf bank_mask:0xf
	s_mov_b32 s16, exec_lo
	v_cmpx_lt_u32_e32 1, v28
	s_cbranch_execz .LBB247_131
; %bb.130:
	v_mov_b32_e32 v33, 0
	v_mov_b32_e32 v29, 1
	v_and_b32_e32 v31, 0x10000, v31
	v_cmp_eq_u16_sdwa s10, v30, v33 src0_sel:BYTE_0 src1_sel:DWORD
	v_and_b32_sdwa v29, v32, v29 dst_sel:DWORD dst_unused:UNUSED_PAD src0_sel:WORD_1 src1_sel:DWORD
	v_cndmask_b32_e64 v30, 0, v32, s10
	v_cmp_ne_u32_e64 s10, 0, v31
	v_add_nc_u16 v26, v30, v26
	v_cndmask_b32_e64 v29, v29, 1, s10
	v_and_b32_e32 v31, 0xffff, v26
	v_lshlrev_b32_e32 v30, 16, v29
	v_or3_b32 v31, v30, v31, v25
	v_mov_b32_e32 v30, v29
.LBB247_131:
	s_or_b32 exec_lo, exec_lo, s16
	v_mov_b32_dpp v32, v31 row_shr:4 row_mask:0xf bank_mask:0xf
	s_mov_b32 s16, exec_lo
	v_cmpx_lt_u32_e32 3, v28
	s_cbranch_execz .LBB247_133
; %bb.132:
	v_mov_b32_e32 v31, 0
	v_mov_b32_e32 v29, 1
	v_and_b32_e32 v33, 1, v30
	v_cmp_eq_u16_sdwa s10, v30, v31 src0_sel:BYTE_0 src1_sel:DWORD
	v_and_b32_sdwa v29, v32, v29 dst_sel:DWORD dst_unused:UNUSED_PAD src0_sel:WORD_1 src1_sel:DWORD
	v_cndmask_b32_e64 v30, 0, v32, s10
	v_cmp_eq_u32_e64 s10, 1, v33
	v_add_nc_u16 v26, v30, v26
	v_cndmask_b32_e64 v29, v29, 1, s10
	v_and_b32_e32 v31, 0xffff, v26
	v_lshlrev_b32_e32 v30, 16, v29
	v_or3_b32 v31, v30, v31, v25
	v_mov_b32_e32 v30, v29
.LBB247_133:
	s_or_b32 exec_lo, exec_lo, s16
	v_mov_b32_dpp v32, v31 row_shr:8 row_mask:0xf bank_mask:0xf
	s_mov_b32 s16, exec_lo
	v_cmpx_lt_u32_e32 7, v28
	s_cbranch_execz .LBB247_135
; %bb.134:
	v_mov_b32_e32 v29, 0
	v_mov_b32_e32 v28, 1
	v_and_b32_e32 v31, 1, v30
	v_cmp_eq_u16_sdwa s10, v30, v29 src0_sel:BYTE_0 src1_sel:DWORD
	v_and_b32_sdwa v28, v32, v28 dst_sel:DWORD dst_unused:UNUSED_PAD src0_sel:WORD_1 src1_sel:DWORD
	v_cndmask_b32_e64 v30, 0, v32, s10
	v_cmp_eq_u32_e64 s10, 1, v31
	v_add_nc_u16 v26, v30, v26
	v_cndmask_b32_e64 v29, v28, 1, s10
	v_and_b32_e32 v30, 0xffff, v26
	v_lshlrev_b32_e32 v28, 16, v29
	v_or3_b32 v31, v28, v30, v25
	v_mov_b32_e32 v30, v29
.LBB247_135:
	s_or_b32 exec_lo, exec_lo, s16
	ds_swizzle_b32 v28, v31 offset:swizzle(BROADCAST,32,15)
	v_and_b32_e32 v31, 16, v27
	s_mov_b32 s16, exec_lo
	v_cmpx_ne_u32_e32 0, v31
	s_cbranch_execz .LBB247_137
; %bb.136:
	v_mov_b32_e32 v29, 0
	v_mov_b32_e32 v31, 1
	v_cmp_eq_u16_sdwa s10, v30, v29 src0_sel:BYTE_0 src1_sel:DWORD
	v_and_b32_e32 v30, 1, v30
	s_waitcnt lgkmcnt(0)
	v_cndmask_b32_e64 v29, 0, v28, s10
	v_and_b32_sdwa v28, v28, v31 dst_sel:DWORD dst_unused:UNUSED_PAD src0_sel:WORD_1 src1_sel:DWORD
	v_cmp_eq_u32_e64 s10, 1, v30
	v_add_nc_u16 v26, v29, v26
	v_cndmask_b32_e64 v29, v28, 1, s10
.LBB247_137:
	s_or_b32 exec_lo, exec_lo, s16
	s_waitcnt lgkmcnt(0)
	v_and_b32_e32 v28, 0xff, v29
	v_add_nc_u32_e32 v29, -1, v27
	v_and_b32_e32 v26, 0xffff, v26
	; wave barrier
	v_lshlrev_b32_e32 v28, 16, v28
	v_cmp_gt_i32_e64 s10, 0, v29
	v_or3_b32 v25, v28, v26, v25
	v_cndmask_b32_e64 v27, v29, v27, s10
	v_lshlrev_b32_e32 v26, 2, v27
	v_mov_b32_e32 v27, 1
	ds_bpermute_b32 v25, v26, v25
	v_and_b32_e32 v26, 0xff0000, v11
	v_cmp_eq_u32_e64 s10, 0, v26
	s_waitcnt lgkmcnt(0)
	v_cndmask_b32_e64 v26, 0, v25, s10
	v_and_b32_sdwa v25, v25, v27 dst_sel:DWORD dst_unused:UNUSED_PAD src0_sel:WORD_1 src1_sel:DWORD
	v_cmp_eq_u32_e64 s10, 0, v12
	v_add_nc_u16 v11, v26, v11
	v_cndmask_b32_e64 v12, 1, v25, s10
	v_cndmask_b32_e32 v11, v11, v24, vcc_lo
	v_cndmask_b32_e32 v1, v12, v1, vcc_lo
	ds_write_b16 v2, v11
	ds_write_b8 v2, v1 offset:2
	; wave barrier
	ds_read_u8 v12, v2 offset:6
	ds_read_u16 v25, v2 offset:4
	s_waitcnt lgkmcnt(1)
	v_cmp_eq_u16_e64 s10, 0, v12
	v_and_b32_e32 v12, 1, v12
	v_cndmask_b32_e64 v11, 0, v11, s10
	v_cmp_eq_u32_e64 s10, 1, v12
	s_waitcnt lgkmcnt(0)
	v_add_nc_u16 v11, v11, v25
	v_cndmask_b32_e64 v1, v1, 1, s10
	ds_write_b16 v2, v11 offset:4
	ds_write_b8 v2, v1 offset:6
.LBB247_138:
	s_or_b32 exec_lo, exec_lo, s11
	s_waitcnt lgkmcnt(0)
	s_barrier
	buffer_gl0_inv
	s_and_saveexec_b32 s10, s0
	s_cbranch_execz .LBB247_140
; %bb.139:
	v_add_nc_u32_e32 v1, -1, v0
	v_cmp_gt_u32_e64 s0, 0x10000, v18
	v_lshrrev_b32_e32 v2, 3, v1
	v_and_b32_e32 v2, 0x1ffffffc, v2
	v_lshl_add_u32 v1, v1, 2, v2
	ds_read_u16 v1, v1
	;;#ASMSTART
	;;#ASMEND
	s_waitcnt lgkmcnt(0)
	v_cndmask_b32_e64 v1, 0, v1, s0
	v_add_nc_u32_e32 v18, v1, v18
	v_cndmask_b32_e64 v1, 0, v18, s1
	v_add_nc_u16 v3, v1, v21
	v_cndmask_b32_e64 v1, 0, v3, s2
	v_add_nc_u16 v4, v1, v20
	;; [unrolled: 2-line block ×9, first 2 shown]
.LBB247_140:
	s_or_b32 exec_lo, exec_lo, s10
	s_and_saveexec_b32 s0, vcc_lo
	s_cbranch_execz .LBB247_142
; %bb.141:
	v_mov_b32_e32 v10, 0
	ds_read_u8 v1, v10 offset:258
	ds_read_u16 v2, v10 offset:256
	s_waitcnt lgkmcnt(1)
	v_lshlrev_b32_e32 v1, 16, v1
	s_waitcnt lgkmcnt(0)
	v_or_b32_e32 v1, v1, v2
	v_mov_b32_e32 v2, 2
	global_store_dwordx2 v10, v[1:2], s[24:25] offset:256
.LBB247_142:
	s_or_b32 exec_lo, exec_lo, s0
	v_mov_b32_e32 v25, v18
.LBB247_143:
	s_add_u32 s0, s14, s28
	v_mov_b32_e32 v1, 0
	s_addc_u32 s1, s15, s29
	s_add_u32 s0, s0, s12
	s_addc_u32 s1, s1, s13
	s_and_b32 vcc_lo, exec_lo, s27
	s_cbranch_vccz .LBB247_183
; %bb.144:
	v_mul_u32_u24_e32 v2, 10, v0
	v_mov_b32_e32 v10, 0
	v_mov_b32_e32 v11, 0
	;; [unrolled: 1-line block ×4, first 2 shown]
	s_add_i32 s33, s33, s26
	s_mov_b32 s2, exec_lo
	v_cmpx_gt_u32_e64 s33, v2
	s_cbranch_execz .LBB247_164
; %bb.145:
	v_or_b32_e32 v13, 1, v2
	v_and_b32_e32 v1, 0xffff, v25
	v_mov_b32_e32 v10, 0
	v_mov_b32_e32 v11, 0
	;; [unrolled: 1-line block ×3, first 2 shown]
	v_cmp_gt_u32_e32 vcc_lo, s33, v13
	v_mov_b32_e32 v13, 0
	s_and_saveexec_b32 s3, vcc_lo
	s_cbranch_execz .LBB247_163
; %bb.146:
	v_perm_b32 v1, v3, v1, 0x5040100
	v_add_nc_u32_e32 v14, 2, v2
	v_mov_b32_e32 v13, 0
	v_mov_b32_e32 v12, 0
	;; [unrolled: 1-line block ×4, first 2 shown]
	s_mov_b32 s4, exec_lo
	v_cmpx_gt_u32_e64 s33, v14
	s_cbranch_execz .LBB247_162
; %bb.147:
	v_add_nc_u32_e32 v14, 3, v2
	v_bfi_b32 v10, 0xffff, v4, 0
	v_mov_b32_e32 v13, 0
	v_mov_b32_e32 v12, 0
	;; [unrolled: 1-line block ×3, first 2 shown]
	s_mov_b32 s5, exec_lo
	v_cmpx_gt_u32_e64 s33, v14
	s_cbranch_execz .LBB247_161
; %bb.148:
	v_add_nc_u32_e32 v14, 4, v2
	v_perm_b32 v10, v5, v10, 0x5040100
	v_mov_b32_e32 v13, 0
	v_mov_b32_e32 v12, 0
	v_mov_b32_e32 v11, 0
	s_mov_b32 s6, exec_lo
	v_cmpx_gt_u32_e64 s33, v14
	s_cbranch_execz .LBB247_160
; %bb.149:
	v_add_nc_u32_e32 v14, 5, v2
	v_bfi_b32 v11, 0xffff, v6, 0
	v_mov_b32_e32 v13, 0
	v_mov_b32_e32 v12, 0
	s_mov_b32 s7, exec_lo
	v_cmpx_gt_u32_e64 s33, v14
	s_cbranch_execz .LBB247_159
; %bb.150:
	v_add_nc_u32_e32 v14, 6, v2
	v_perm_b32 v11, v7, v11, 0x5040100
	v_mov_b32_e32 v13, 0
	v_mov_b32_e32 v12, 0
	s_mov_b32 s8, exec_lo
	v_cmpx_gt_u32_e64 s33, v14
	s_cbranch_execz .LBB247_158
; %bb.151:
	v_add_nc_u32_e32 v14, 7, v2
	v_bfi_b32 v12, 0xffff, v8, 0
	v_mov_b32_e32 v13, 0
	s_mov_b32 s9, exec_lo
	v_cmpx_gt_u32_e64 s33, v14
	s_cbranch_execz .LBB247_157
; %bb.152:
	v_add_nc_u32_e32 v14, 8, v2
	v_perm_b32 v12, v22, v12, 0x5040100
	v_mov_b32_e32 v13, 0
	s_mov_b32 s10, exec_lo
	v_cmpx_gt_u32_e64 s33, v14
	s_cbranch_execz .LBB247_156
; %bb.153:
	v_add_nc_u32_e32 v14, 9, v2
	v_bfi_b32 v13, 0xffff, v23, 0
	s_mov_b32 s11, exec_lo
	v_cmpx_gt_u32_e64 s33, v14
; %bb.154:
	v_perm_b32 v13, v24, v13, 0x5040100
; %bb.155:
	s_or_b32 exec_lo, exec_lo, s11
.LBB247_156:
	s_or_b32 exec_lo, exec_lo, s10
.LBB247_157:
	s_or_b32 exec_lo, exec_lo, s9
.LBB247_158:
	s_or_b32 exec_lo, exec_lo, s8
.LBB247_159:
	s_or_b32 exec_lo, exec_lo, s7
.LBB247_160:
	s_or_b32 exec_lo, exec_lo, s6
.LBB247_161:
	s_or_b32 exec_lo, exec_lo, s5
.LBB247_162:
	s_or_b32 exec_lo, exec_lo, s4
.LBB247_163:
	s_or_b32 exec_lo, exec_lo, s3
.LBB247_164:
	s_or_b32 exec_lo, exec_lo, s2
	v_lshlrev_b32_e32 v18, 1, v2
	s_waitcnt_vscnt null, 0x0
	s_barrier
	buffer_gl0_inv
	ds_write2_b32 v18, v1, v10 offset1:1
	ds_write2_b32 v18, v11, v12 offset0:2 offset1:3
	v_mad_i32_i24 v1, 0xffffffee, v0, v18
	ds_write_b32 v18, v13 offset:16
	s_waitcnt lgkmcnt(0)
	s_barrier
	buffer_gl0_inv
	ds_read_u16 v19, v1 offset:128
	ds_read_u16 v17, v1 offset:256
	;; [unrolled: 1-line block ×9, first 2 shown]
	v_add_co_u32 v1, s2, s0, v9
	v_add_co_ci_u32_e64 v2, null, s1, 0, s2
	s_mov_b32 s2, exec_lo
	v_cmpx_gt_u32_e64 s33, v0
	s_cbranch_execz .LBB247_166
; %bb.165:
	v_mul_i32_i24_e32 v20, 0xffffffee, v0
	v_add_nc_u32_e32 v18, v18, v20
	ds_read_u16 v18, v18
	s_waitcnt lgkmcnt(0)
	flat_store_short v[1:2], v18
.LBB247_166:
	s_or_b32 exec_lo, exec_lo, s2
	v_or_b32_e32 v18, 64, v0
	s_mov_b32 s2, exec_lo
	v_cmpx_gt_u32_e64 s33, v18
	s_cbranch_execz .LBB247_168
; %bb.167:
	s_waitcnt lgkmcnt(8)
	flat_store_short v[1:2], v19 offset:128
.LBB247_168:
	s_or_b32 exec_lo, exec_lo, s2
	v_or_b32_e32 v18, 0x80, v0
	s_mov_b32 s2, exec_lo
	v_cmpx_gt_u32_e64 s33, v18
	s_cbranch_execz .LBB247_170
; %bb.169:
	s_waitcnt lgkmcnt(7)
	flat_store_short v[1:2], v17 offset:256
.LBB247_170:
	s_or_b32 exec_lo, exec_lo, s2
	s_waitcnt lgkmcnt(7)
	v_or_b32_e32 v17, 0xc0, v0
	s_mov_b32 s2, exec_lo
	v_cmpx_gt_u32_e64 s33, v17
	s_cbranch_execz .LBB247_172
; %bb.171:
	s_waitcnt lgkmcnt(6)
	flat_store_short v[1:2], v16 offset:384
.LBB247_172:
	s_or_b32 exec_lo, exec_lo, s2
	s_waitcnt lgkmcnt(6)
	;; [unrolled: 10-line block ×6, first 2 shown]
	v_or_b32_e32 v12, 0x200, v0
	s_mov_b32 s2, exec_lo
	v_cmpx_gt_u32_e64 s33, v12
	s_cbranch_execz .LBB247_182
; %bb.181:
	s_waitcnt lgkmcnt(1)
	flat_store_short v[1:2], v11 offset:1024
.LBB247_182:
	s_or_b32 exec_lo, exec_lo, s2
	v_or_b32_e32 v1, 0x240, v0
	v_cmp_gt_u32_e64 s2, s33, v1
	s_branch .LBB247_185
.LBB247_183:
	s_mov_b32 s2, 0
                                        ; implicit-def: $vgpr10
	s_cbranch_execz .LBB247_185
; %bb.184:
	v_mul_u32_u24_e32 v1, 20, v0
	v_perm_b32 v2, v5, v4, 0x5040100
	v_perm_b32 v3, v3, v25, 0x5040100
	;; [unrolled: 1-line block ×3, first 2 shown]
	v_mul_i32_i24_e32 v6, 0xffffffee, v0
	v_perm_b32 v4, v22, v8, 0x5040100
	s_waitcnt lgkmcnt(0)
	s_waitcnt_vscnt null, 0x0
	s_barrier
	v_perm_b32 v7, v24, v23, 0x5040100
	buffer_gl0_inv
	ds_write2_b32 v1, v3, v2 offset1:1
	ds_write2_b32 v1, v5, v4 offset0:2 offset1:3
	v_mad_u32_u24 v2, v0, 20, v6
	s_or_b32 s2, s2, exec_lo
	ds_write_b32 v1, v7 offset:16
	s_waitcnt lgkmcnt(0)
	s_barrier
	buffer_gl0_inv
	ds_read_u16 v3, v2
	ds_read_u16 v4, v2 offset:128
	ds_read_u16 v5, v2 offset:256
	;; [unrolled: 1-line block ×9, first 2 shown]
	v_add_co_u32 v1, s3, s0, v9
	v_add_co_ci_u32_e64 v2, null, s1, 0, s3
	s_waitcnt lgkmcnt(9)
	flat_store_short v[1:2], v3
	s_waitcnt lgkmcnt(9)
	flat_store_short v[1:2], v4 offset:128
	s_waitcnt lgkmcnt(9)
	flat_store_short v[1:2], v5 offset:256
	;; [unrolled: 2-line block ×8, first 2 shown]
.LBB247_185:
	s_and_saveexec_b32 s3, s2
	s_cbranch_execnz .LBB247_187
; %bb.186:
	s_endpgm
.LBB247_187:
	v_lshlrev_b32_e32 v0, 1, v0
	v_add_co_u32 v0, s0, s0, v0
	v_add_co_ci_u32_e64 v1, null, s1, 0, s0
	s_waitcnt lgkmcnt(0)
	flat_store_short v[0:1], v10 offset:1152
	s_endpgm
.LBB247_188:
	v_add_co_u32 v3, s10, s11, v14
	v_add_co_ci_u32_e64 v4, null, s36, 0, s10
	v_mov_b32_e32 v2, v1
	v_mov_b32_e32 v5, v1
	;; [unrolled: 1-line block ×3, first 2 shown]
	flat_load_short_d16 v2, v[3:4]
	v_mov_b32_e32 v3, v1
	v_mov_b32_e32 v4, v1
	s_waitcnt vmcnt(0) lgkmcnt(0)
	v_mov_b32_e32 v1, v2
	v_mov_b32_e32 v2, v3
	;; [unrolled: 1-line block ×8, first 2 shown]
	s_or_b32 exec_lo, exec_lo, s16
	s_and_saveexec_b32 s10, s9
	s_cbranch_execz .LBB247_29
.LBB247_189:
	v_add_co_u32 v6, s9, s11, v14
	v_add_co_ci_u32_e64 v7, null, s36, 0, s9
	flat_load_short_d16_hi v1, v[6:7] offset:128
	s_or_b32 exec_lo, exec_lo, s10
	s_and_saveexec_b32 s9, s8
	s_cbranch_execz .LBB247_30
.LBB247_190:
	v_add_co_u32 v6, s8, s11, v14
	v_add_co_ci_u32_e64 v7, null, s36, 0, s8
	flat_load_short_d16 v2, v[6:7] offset:256
	s_or_b32 exec_lo, exec_lo, s9
	s_and_saveexec_b32 s8, s7
	s_cbranch_execz .LBB247_31
.LBB247_191:
	v_add_co_u32 v6, s7, s11, v14
	v_add_co_ci_u32_e64 v7, null, s36, 0, s7
	s_waitcnt vmcnt(0) lgkmcnt(0)
	flat_load_short_d16_hi v2, v[6:7] offset:384
	s_or_b32 exec_lo, exec_lo, s8
	s_and_saveexec_b32 s7, s5
	s_cbranch_execz .LBB247_32
.LBB247_192:
	v_add_co_u32 v6, s5, s11, v14
	v_add_co_ci_u32_e64 v7, null, s36, 0, s5
	flat_load_short_d16 v3, v[6:7] offset:512
	s_or_b32 exec_lo, exec_lo, s7
	s_and_saveexec_b32 s5, s4
	s_cbranch_execz .LBB247_33
.LBB247_193:
	v_add_co_u32 v6, s4, s11, v14
	v_add_co_ci_u32_e64 v7, null, s36, 0, s4
	s_waitcnt vmcnt(0) lgkmcnt(0)
	flat_load_short_d16_hi v3, v[6:7] offset:640
	s_or_b32 exec_lo, exec_lo, s5
	s_and_saveexec_b32 s4, s3
	s_cbranch_execz .LBB247_34
.LBB247_194:
	v_add_co_u32 v6, s3, s11, v14
	v_add_co_ci_u32_e64 v7, null, s36, 0, s3
	flat_load_short_d16 v4, v[6:7] offset:768
	s_or_b32 exec_lo, exec_lo, s4
	s_and_saveexec_b32 s3, s2
	s_cbranch_execz .LBB247_35
.LBB247_195:
	v_add_co_u32 v6, s2, s11, v14
	v_add_co_ci_u32_e64 v7, null, s36, 0, s2
	s_waitcnt vmcnt(0) lgkmcnt(0)
	flat_load_short_d16_hi v4, v[6:7] offset:896
	s_or_b32 exec_lo, exec_lo, s3
	s_and_saveexec_b32 s2, s1
	s_cbranch_execz .LBB247_36
.LBB247_196:
	v_add_co_u32 v6, s1, s11, v14
	v_add_co_ci_u32_e64 v7, null, s36, 0, s1
	flat_load_short_d16 v5, v[6:7] offset:1024
	s_or_b32 exec_lo, exec_lo, s2
	s_and_saveexec_b32 s1, s0
	s_cbranch_execnz .LBB247_37
	s_branch .LBB247_38
.LBB247_197:
                                        ; implicit-def: $sgpr16_sgpr17
	s_branch .LBB247_24
.LBB247_198:
                                        ; implicit-def: $sgpr0_sgpr1
	s_branch .LBB247_61
	.section	.rodata,"a",@progbits
	.p2align	6, 0x0
	.amdhsa_kernel _ZN7rocprim17ROCPRIM_400000_NS6detail17trampoline_kernelINS0_14default_configENS1_27scan_by_key_config_selectorIssEEZZNS1_16scan_by_key_implILNS1_25lookback_scan_determinismE0ELb0ES3_N6thrust23THRUST_200600_302600_NS6detail15normal_iteratorINS9_10device_ptrIsEEEESE_SE_sNS9_4plusIvEENS9_8equal_toIvEEsEE10hipError_tPvRmT2_T3_T4_T5_mT6_T7_P12ihipStream_tbENKUlT_T0_E_clISt17integral_constantIbLb0EESZ_EEDaSU_SV_EUlSU_E_NS1_11comp_targetILNS1_3genE8ELNS1_11target_archE1030ELNS1_3gpuE2ELNS1_3repE0EEENS1_30default_config_static_selectorELNS0_4arch9wavefront6targetE0EEEvT1_
		.amdhsa_group_segment_fixed_size 1536
		.amdhsa_private_segment_fixed_size 0
		.amdhsa_kernarg_size 112
		.amdhsa_user_sgpr_count 6
		.amdhsa_user_sgpr_private_segment_buffer 1
		.amdhsa_user_sgpr_dispatch_ptr 0
		.amdhsa_user_sgpr_queue_ptr 0
		.amdhsa_user_sgpr_kernarg_segment_ptr 1
		.amdhsa_user_sgpr_dispatch_id 0
		.amdhsa_user_sgpr_flat_scratch_init 0
		.amdhsa_user_sgpr_private_segment_size 0
		.amdhsa_wavefront_size32 1
		.amdhsa_uses_dynamic_stack 0
		.amdhsa_system_sgpr_private_segment_wavefront_offset 0
		.amdhsa_system_sgpr_workgroup_id_x 1
		.amdhsa_system_sgpr_workgroup_id_y 0
		.amdhsa_system_sgpr_workgroup_id_z 0
		.amdhsa_system_sgpr_workgroup_info 0
		.amdhsa_system_vgpr_workitem_id 0
		.amdhsa_next_free_vgpr 42
		.amdhsa_next_free_sgpr 39
		.amdhsa_reserve_vcc 1
		.amdhsa_reserve_flat_scratch 1
		.amdhsa_float_round_mode_32 0
		.amdhsa_float_round_mode_16_64 0
		.amdhsa_float_denorm_mode_32 3
		.amdhsa_float_denorm_mode_16_64 3
		.amdhsa_dx10_clamp 1
		.amdhsa_ieee_mode 1
		.amdhsa_fp16_overflow 0
		.amdhsa_workgroup_processor_mode 1
		.amdhsa_memory_ordered 1
		.amdhsa_forward_progress 1
		.amdhsa_shared_vgpr_count 0
		.amdhsa_exception_fp_ieee_invalid_op 0
		.amdhsa_exception_fp_denorm_src 0
		.amdhsa_exception_fp_ieee_div_zero 0
		.amdhsa_exception_fp_ieee_overflow 0
		.amdhsa_exception_fp_ieee_underflow 0
		.amdhsa_exception_fp_ieee_inexact 0
		.amdhsa_exception_int_div_zero 0
	.end_amdhsa_kernel
	.section	.text._ZN7rocprim17ROCPRIM_400000_NS6detail17trampoline_kernelINS0_14default_configENS1_27scan_by_key_config_selectorIssEEZZNS1_16scan_by_key_implILNS1_25lookback_scan_determinismE0ELb0ES3_N6thrust23THRUST_200600_302600_NS6detail15normal_iteratorINS9_10device_ptrIsEEEESE_SE_sNS9_4plusIvEENS9_8equal_toIvEEsEE10hipError_tPvRmT2_T3_T4_T5_mT6_T7_P12ihipStream_tbENKUlT_T0_E_clISt17integral_constantIbLb0EESZ_EEDaSU_SV_EUlSU_E_NS1_11comp_targetILNS1_3genE8ELNS1_11target_archE1030ELNS1_3gpuE2ELNS1_3repE0EEENS1_30default_config_static_selectorELNS0_4arch9wavefront6targetE0EEEvT1_,"axG",@progbits,_ZN7rocprim17ROCPRIM_400000_NS6detail17trampoline_kernelINS0_14default_configENS1_27scan_by_key_config_selectorIssEEZZNS1_16scan_by_key_implILNS1_25lookback_scan_determinismE0ELb0ES3_N6thrust23THRUST_200600_302600_NS6detail15normal_iteratorINS9_10device_ptrIsEEEESE_SE_sNS9_4plusIvEENS9_8equal_toIvEEsEE10hipError_tPvRmT2_T3_T4_T5_mT6_T7_P12ihipStream_tbENKUlT_T0_E_clISt17integral_constantIbLb0EESZ_EEDaSU_SV_EUlSU_E_NS1_11comp_targetILNS1_3genE8ELNS1_11target_archE1030ELNS1_3gpuE2ELNS1_3repE0EEENS1_30default_config_static_selectorELNS0_4arch9wavefront6targetE0EEEvT1_,comdat
.Lfunc_end247:
	.size	_ZN7rocprim17ROCPRIM_400000_NS6detail17trampoline_kernelINS0_14default_configENS1_27scan_by_key_config_selectorIssEEZZNS1_16scan_by_key_implILNS1_25lookback_scan_determinismE0ELb0ES3_N6thrust23THRUST_200600_302600_NS6detail15normal_iteratorINS9_10device_ptrIsEEEESE_SE_sNS9_4plusIvEENS9_8equal_toIvEEsEE10hipError_tPvRmT2_T3_T4_T5_mT6_T7_P12ihipStream_tbENKUlT_T0_E_clISt17integral_constantIbLb0EESZ_EEDaSU_SV_EUlSU_E_NS1_11comp_targetILNS1_3genE8ELNS1_11target_archE1030ELNS1_3gpuE2ELNS1_3repE0EEENS1_30default_config_static_selectorELNS0_4arch9wavefront6targetE0EEEvT1_, .Lfunc_end247-_ZN7rocprim17ROCPRIM_400000_NS6detail17trampoline_kernelINS0_14default_configENS1_27scan_by_key_config_selectorIssEEZZNS1_16scan_by_key_implILNS1_25lookback_scan_determinismE0ELb0ES3_N6thrust23THRUST_200600_302600_NS6detail15normal_iteratorINS9_10device_ptrIsEEEESE_SE_sNS9_4plusIvEENS9_8equal_toIvEEsEE10hipError_tPvRmT2_T3_T4_T5_mT6_T7_P12ihipStream_tbENKUlT_T0_E_clISt17integral_constantIbLb0EESZ_EEDaSU_SV_EUlSU_E_NS1_11comp_targetILNS1_3genE8ELNS1_11target_archE1030ELNS1_3gpuE2ELNS1_3repE0EEENS1_30default_config_static_selectorELNS0_4arch9wavefront6targetE0EEEvT1_
                                        ; -- End function
	.set _ZN7rocprim17ROCPRIM_400000_NS6detail17trampoline_kernelINS0_14default_configENS1_27scan_by_key_config_selectorIssEEZZNS1_16scan_by_key_implILNS1_25lookback_scan_determinismE0ELb0ES3_N6thrust23THRUST_200600_302600_NS6detail15normal_iteratorINS9_10device_ptrIsEEEESE_SE_sNS9_4plusIvEENS9_8equal_toIvEEsEE10hipError_tPvRmT2_T3_T4_T5_mT6_T7_P12ihipStream_tbENKUlT_T0_E_clISt17integral_constantIbLb0EESZ_EEDaSU_SV_EUlSU_E_NS1_11comp_targetILNS1_3genE8ELNS1_11target_archE1030ELNS1_3gpuE2ELNS1_3repE0EEENS1_30default_config_static_selectorELNS0_4arch9wavefront6targetE0EEEvT1_.num_vgpr, 42
	.set _ZN7rocprim17ROCPRIM_400000_NS6detail17trampoline_kernelINS0_14default_configENS1_27scan_by_key_config_selectorIssEEZZNS1_16scan_by_key_implILNS1_25lookback_scan_determinismE0ELb0ES3_N6thrust23THRUST_200600_302600_NS6detail15normal_iteratorINS9_10device_ptrIsEEEESE_SE_sNS9_4plusIvEENS9_8equal_toIvEEsEE10hipError_tPvRmT2_T3_T4_T5_mT6_T7_P12ihipStream_tbENKUlT_T0_E_clISt17integral_constantIbLb0EESZ_EEDaSU_SV_EUlSU_E_NS1_11comp_targetILNS1_3genE8ELNS1_11target_archE1030ELNS1_3gpuE2ELNS1_3repE0EEENS1_30default_config_static_selectorELNS0_4arch9wavefront6targetE0EEEvT1_.num_agpr, 0
	.set _ZN7rocprim17ROCPRIM_400000_NS6detail17trampoline_kernelINS0_14default_configENS1_27scan_by_key_config_selectorIssEEZZNS1_16scan_by_key_implILNS1_25lookback_scan_determinismE0ELb0ES3_N6thrust23THRUST_200600_302600_NS6detail15normal_iteratorINS9_10device_ptrIsEEEESE_SE_sNS9_4plusIvEENS9_8equal_toIvEEsEE10hipError_tPvRmT2_T3_T4_T5_mT6_T7_P12ihipStream_tbENKUlT_T0_E_clISt17integral_constantIbLb0EESZ_EEDaSU_SV_EUlSU_E_NS1_11comp_targetILNS1_3genE8ELNS1_11target_archE1030ELNS1_3gpuE2ELNS1_3repE0EEENS1_30default_config_static_selectorELNS0_4arch9wavefront6targetE0EEEvT1_.numbered_sgpr, 39
	.set _ZN7rocprim17ROCPRIM_400000_NS6detail17trampoline_kernelINS0_14default_configENS1_27scan_by_key_config_selectorIssEEZZNS1_16scan_by_key_implILNS1_25lookback_scan_determinismE0ELb0ES3_N6thrust23THRUST_200600_302600_NS6detail15normal_iteratorINS9_10device_ptrIsEEEESE_SE_sNS9_4plusIvEENS9_8equal_toIvEEsEE10hipError_tPvRmT2_T3_T4_T5_mT6_T7_P12ihipStream_tbENKUlT_T0_E_clISt17integral_constantIbLb0EESZ_EEDaSU_SV_EUlSU_E_NS1_11comp_targetILNS1_3genE8ELNS1_11target_archE1030ELNS1_3gpuE2ELNS1_3repE0EEENS1_30default_config_static_selectorELNS0_4arch9wavefront6targetE0EEEvT1_.num_named_barrier, 0
	.set _ZN7rocprim17ROCPRIM_400000_NS6detail17trampoline_kernelINS0_14default_configENS1_27scan_by_key_config_selectorIssEEZZNS1_16scan_by_key_implILNS1_25lookback_scan_determinismE0ELb0ES3_N6thrust23THRUST_200600_302600_NS6detail15normal_iteratorINS9_10device_ptrIsEEEESE_SE_sNS9_4plusIvEENS9_8equal_toIvEEsEE10hipError_tPvRmT2_T3_T4_T5_mT6_T7_P12ihipStream_tbENKUlT_T0_E_clISt17integral_constantIbLb0EESZ_EEDaSU_SV_EUlSU_E_NS1_11comp_targetILNS1_3genE8ELNS1_11target_archE1030ELNS1_3gpuE2ELNS1_3repE0EEENS1_30default_config_static_selectorELNS0_4arch9wavefront6targetE0EEEvT1_.private_seg_size, 0
	.set _ZN7rocprim17ROCPRIM_400000_NS6detail17trampoline_kernelINS0_14default_configENS1_27scan_by_key_config_selectorIssEEZZNS1_16scan_by_key_implILNS1_25lookback_scan_determinismE0ELb0ES3_N6thrust23THRUST_200600_302600_NS6detail15normal_iteratorINS9_10device_ptrIsEEEESE_SE_sNS9_4plusIvEENS9_8equal_toIvEEsEE10hipError_tPvRmT2_T3_T4_T5_mT6_T7_P12ihipStream_tbENKUlT_T0_E_clISt17integral_constantIbLb0EESZ_EEDaSU_SV_EUlSU_E_NS1_11comp_targetILNS1_3genE8ELNS1_11target_archE1030ELNS1_3gpuE2ELNS1_3repE0EEENS1_30default_config_static_selectorELNS0_4arch9wavefront6targetE0EEEvT1_.uses_vcc, 1
	.set _ZN7rocprim17ROCPRIM_400000_NS6detail17trampoline_kernelINS0_14default_configENS1_27scan_by_key_config_selectorIssEEZZNS1_16scan_by_key_implILNS1_25lookback_scan_determinismE0ELb0ES3_N6thrust23THRUST_200600_302600_NS6detail15normal_iteratorINS9_10device_ptrIsEEEESE_SE_sNS9_4plusIvEENS9_8equal_toIvEEsEE10hipError_tPvRmT2_T3_T4_T5_mT6_T7_P12ihipStream_tbENKUlT_T0_E_clISt17integral_constantIbLb0EESZ_EEDaSU_SV_EUlSU_E_NS1_11comp_targetILNS1_3genE8ELNS1_11target_archE1030ELNS1_3gpuE2ELNS1_3repE0EEENS1_30default_config_static_selectorELNS0_4arch9wavefront6targetE0EEEvT1_.uses_flat_scratch, 1
	.set _ZN7rocprim17ROCPRIM_400000_NS6detail17trampoline_kernelINS0_14default_configENS1_27scan_by_key_config_selectorIssEEZZNS1_16scan_by_key_implILNS1_25lookback_scan_determinismE0ELb0ES3_N6thrust23THRUST_200600_302600_NS6detail15normal_iteratorINS9_10device_ptrIsEEEESE_SE_sNS9_4plusIvEENS9_8equal_toIvEEsEE10hipError_tPvRmT2_T3_T4_T5_mT6_T7_P12ihipStream_tbENKUlT_T0_E_clISt17integral_constantIbLb0EESZ_EEDaSU_SV_EUlSU_E_NS1_11comp_targetILNS1_3genE8ELNS1_11target_archE1030ELNS1_3gpuE2ELNS1_3repE0EEENS1_30default_config_static_selectorELNS0_4arch9wavefront6targetE0EEEvT1_.has_dyn_sized_stack, 0
	.set _ZN7rocprim17ROCPRIM_400000_NS6detail17trampoline_kernelINS0_14default_configENS1_27scan_by_key_config_selectorIssEEZZNS1_16scan_by_key_implILNS1_25lookback_scan_determinismE0ELb0ES3_N6thrust23THRUST_200600_302600_NS6detail15normal_iteratorINS9_10device_ptrIsEEEESE_SE_sNS9_4plusIvEENS9_8equal_toIvEEsEE10hipError_tPvRmT2_T3_T4_T5_mT6_T7_P12ihipStream_tbENKUlT_T0_E_clISt17integral_constantIbLb0EESZ_EEDaSU_SV_EUlSU_E_NS1_11comp_targetILNS1_3genE8ELNS1_11target_archE1030ELNS1_3gpuE2ELNS1_3repE0EEENS1_30default_config_static_selectorELNS0_4arch9wavefront6targetE0EEEvT1_.has_recursion, 0
	.set _ZN7rocprim17ROCPRIM_400000_NS6detail17trampoline_kernelINS0_14default_configENS1_27scan_by_key_config_selectorIssEEZZNS1_16scan_by_key_implILNS1_25lookback_scan_determinismE0ELb0ES3_N6thrust23THRUST_200600_302600_NS6detail15normal_iteratorINS9_10device_ptrIsEEEESE_SE_sNS9_4plusIvEENS9_8equal_toIvEEsEE10hipError_tPvRmT2_T3_T4_T5_mT6_T7_P12ihipStream_tbENKUlT_T0_E_clISt17integral_constantIbLb0EESZ_EEDaSU_SV_EUlSU_E_NS1_11comp_targetILNS1_3genE8ELNS1_11target_archE1030ELNS1_3gpuE2ELNS1_3repE0EEENS1_30default_config_static_selectorELNS0_4arch9wavefront6targetE0EEEvT1_.has_indirect_call, 0
	.section	.AMDGPU.csdata,"",@progbits
; Kernel info:
; codeLenInByte = 10336
; TotalNumSgprs: 41
; NumVgprs: 42
; ScratchSize: 0
; MemoryBound: 0
; FloatMode: 240
; IeeeMode: 1
; LDSByteSize: 1536 bytes/workgroup (compile time only)
; SGPRBlocks: 0
; VGPRBlocks: 5
; NumSGPRsForWavesPerEU: 41
; NumVGPRsForWavesPerEU: 42
; Occupancy: 16
; WaveLimiterHint : 1
; COMPUTE_PGM_RSRC2:SCRATCH_EN: 0
; COMPUTE_PGM_RSRC2:USER_SGPR: 6
; COMPUTE_PGM_RSRC2:TRAP_HANDLER: 0
; COMPUTE_PGM_RSRC2:TGID_X_EN: 1
; COMPUTE_PGM_RSRC2:TGID_Y_EN: 0
; COMPUTE_PGM_RSRC2:TGID_Z_EN: 0
; COMPUTE_PGM_RSRC2:TIDIG_COMP_CNT: 0
	.section	.text._ZN7rocprim17ROCPRIM_400000_NS6detail30init_device_scan_by_key_kernelINS1_19lookback_scan_stateINS0_5tupleIJsbEEELb1ELb1EEEN6thrust23THRUST_200600_302600_NS6detail15normal_iteratorINS8_10device_ptrIsEEEEjNS1_16block_id_wrapperIjLb1EEEEEvT_jjPNSG_10value_typeET0_PNSt15iterator_traitsISJ_E10value_typeEmT1_T2_,"axG",@progbits,_ZN7rocprim17ROCPRIM_400000_NS6detail30init_device_scan_by_key_kernelINS1_19lookback_scan_stateINS0_5tupleIJsbEEELb1ELb1EEEN6thrust23THRUST_200600_302600_NS6detail15normal_iteratorINS8_10device_ptrIsEEEEjNS1_16block_id_wrapperIjLb1EEEEEvT_jjPNSG_10value_typeET0_PNSt15iterator_traitsISJ_E10value_typeEmT1_T2_,comdat
	.protected	_ZN7rocprim17ROCPRIM_400000_NS6detail30init_device_scan_by_key_kernelINS1_19lookback_scan_stateINS0_5tupleIJsbEEELb1ELb1EEEN6thrust23THRUST_200600_302600_NS6detail15normal_iteratorINS8_10device_ptrIsEEEEjNS1_16block_id_wrapperIjLb1EEEEEvT_jjPNSG_10value_typeET0_PNSt15iterator_traitsISJ_E10value_typeEmT1_T2_ ; -- Begin function _ZN7rocprim17ROCPRIM_400000_NS6detail30init_device_scan_by_key_kernelINS1_19lookback_scan_stateINS0_5tupleIJsbEEELb1ELb1EEEN6thrust23THRUST_200600_302600_NS6detail15normal_iteratorINS8_10device_ptrIsEEEEjNS1_16block_id_wrapperIjLb1EEEEEvT_jjPNSG_10value_typeET0_PNSt15iterator_traitsISJ_E10value_typeEmT1_T2_
	.globl	_ZN7rocprim17ROCPRIM_400000_NS6detail30init_device_scan_by_key_kernelINS1_19lookback_scan_stateINS0_5tupleIJsbEEELb1ELb1EEEN6thrust23THRUST_200600_302600_NS6detail15normal_iteratorINS8_10device_ptrIsEEEEjNS1_16block_id_wrapperIjLb1EEEEEvT_jjPNSG_10value_typeET0_PNSt15iterator_traitsISJ_E10value_typeEmT1_T2_
	.p2align	8
	.type	_ZN7rocprim17ROCPRIM_400000_NS6detail30init_device_scan_by_key_kernelINS1_19lookback_scan_stateINS0_5tupleIJsbEEELb1ELb1EEEN6thrust23THRUST_200600_302600_NS6detail15normal_iteratorINS8_10device_ptrIsEEEEjNS1_16block_id_wrapperIjLb1EEEEEvT_jjPNSG_10value_typeET0_PNSt15iterator_traitsISJ_E10value_typeEmT1_T2_,@function
_ZN7rocprim17ROCPRIM_400000_NS6detail30init_device_scan_by_key_kernelINS1_19lookback_scan_stateINS0_5tupleIJsbEEELb1ELb1EEEN6thrust23THRUST_200600_302600_NS6detail15normal_iteratorINS8_10device_ptrIsEEEEjNS1_16block_id_wrapperIjLb1EEEEEvT_jjPNSG_10value_typeET0_PNSt15iterator_traitsISJ_E10value_typeEmT1_T2_: ; @_ZN7rocprim17ROCPRIM_400000_NS6detail30init_device_scan_by_key_kernelINS1_19lookback_scan_stateINS0_5tupleIJsbEEELb1ELb1EEEN6thrust23THRUST_200600_302600_NS6detail15normal_iteratorINS8_10device_ptrIsEEEEjNS1_16block_id_wrapperIjLb1EEEEEvT_jjPNSG_10value_typeET0_PNSt15iterator_traitsISJ_E10value_typeEmT1_T2_
; %bb.0:
	s_clause 0x2
	s_load_dword s0, s[4:5], 0x4c
	s_load_dwordx8 s[8:15], s[4:5], 0x0
	s_load_dword s7, s[4:5], 0x40
	s_waitcnt lgkmcnt(0)
	s_and_b32 s16, s0, 0xffff
	s_cmp_eq_u64 s[12:13], 0
	v_mad_u64_u32 v[0:1], null, s6, s16, v[0:1]
	s_cbranch_scc1 .LBB248_9
; %bb.1:
	s_cmp_lt_u32 s11, s10
	s_mov_b32 s1, 0
	s_cselect_b32 s0, s11, 0
	s_mov_b32 s2, exec_lo
	v_cmpx_eq_u32_e64 s0, v0
	s_cbranch_execz .LBB248_8
; %bb.2:
	s_add_i32 s0, s11, 32
	v_mov_b32_e32 v1, 0
	s_lshl_b64 s[0:1], s[0:1], 3
	s_add_u32 s0, s8, s0
	s_addc_u32 s1, s9, s1
	global_load_dwordx2 v[3:4], v1, s[0:1] glc dlc
	s_waitcnt vmcnt(0)
	v_and_b32_e32 v2, 0xff, v4
	v_cmp_ne_u64_e32 vcc_lo, 0, v[1:2]
	s_cbranch_vccnz .LBB248_7
; %bb.3:
	s_mov_b32 s3, 1
.LBB248_4:                              ; =>This Loop Header: Depth=1
                                        ;     Child Loop BB248_5 Depth 2
	s_mov_b32 s6, s3
.LBB248_5:                              ;   Parent Loop BB248_4 Depth=1
                                        ; =>  This Inner Loop Header: Depth=2
	s_add_i32 s6, s6, -1
	s_sleep 1
	s_cmp_eq_u32 s6, 0
	s_cbranch_scc0 .LBB248_5
; %bb.6:                                ;   in Loop: Header=BB248_4 Depth=1
	global_load_dwordx2 v[3:4], v1, s[0:1] glc dlc
	s_cmp_lt_u32 s3, 32
	s_cselect_b32 s6, -1, 0
	s_cmp_lg_u32 s6, 0
	s_addc_u32 s3, s3, 0
	s_waitcnt vmcnt(0)
	v_and_b32_e32 v2, 0xff, v4
	v_cmp_ne_u64_e32 vcc_lo, 0, v[1:2]
	s_cbranch_vccz .LBB248_4
.LBB248_7:
	v_mov_b32_e32 v1, 0
	global_store_short v1, v3, s[12:13]
	global_store_byte_d16_hi v1, v3, s[12:13] offset:2
.LBB248_8:
	s_or_b32 exec_lo, exec_lo, s2
.LBB248_9:
	s_mov_b32 s0, exec_lo
	v_cmpx_eq_u32_e32 0, v0
	s_cbranch_execz .LBB248_11
; %bb.10:
	s_load_dwordx2 s[2:3], s[4:5], 0x38
	v_mov_b32_e32 v1, 0
	s_waitcnt lgkmcnt(0)
	global_store_dword v1, v1, s[2:3]
.LBB248_11:
	s_or_b32 exec_lo, exec_lo, s0
	s_mov_b32 s0, exec_lo
	v_cmpx_gt_u32_e64 s10, v0
	s_cbranch_execz .LBB248_13
; %bb.12:
	v_add_nc_u32_e32 v1, 32, v0
	v_mov_b32_e32 v2, 0
	v_lshlrev_b64 v[3:4], 3, v[1:2]
	v_mov_b32_e32 v1, v2
	v_add_co_u32 v3, vcc_lo, s8, v3
	v_add_co_ci_u32_e64 v4, null, s9, v4, vcc_lo
	global_store_dwordx2 v[3:4], v[1:2], off
.LBB248_13:
	s_or_b32 exec_lo, exec_lo, s0
	v_mov_b32_e32 v1, 0
	s_mov_b32 s0, exec_lo
	v_cmpx_gt_u32_e32 32, v0
	s_cbranch_execz .LBB248_15
; %bb.14:
	v_lshlrev_b64 v[2:3], 3, v[0:1]
	v_mov_b32_e32 v4, 0xff
	v_add_co_u32 v5, vcc_lo, s8, v2
	v_add_co_ci_u32_e64 v6, null, s9, v3, vcc_lo
	v_mov_b32_e32 v3, v1
	global_store_dwordx2 v[5:6], v[3:4], off
.LBB248_15:
	s_or_b32 exec_lo, exec_lo, s0
	s_load_dwordx2 s[2:3], s[4:5], 0x28
	s_mov_b32 s0, exec_lo
	s_waitcnt lgkmcnt(0)
	v_cmpx_gt_u64_e64 s[2:3], v[0:1]
	s_cbranch_execz .LBB248_18
; %bb.16:
	s_clause 0x1
	s_load_dword s6, s[4:5], 0x30
	s_load_dwordx2 s[8:9], s[4:5], 0x20
	s_mov_b32 s1, 0
	v_lshlrev_b64 v[4:5], 1, v[0:1]
	s_mul_i32 s4, s7, s16
	s_waitcnt lgkmcnt(0)
	v_mad_u64_u32 v[2:3], null, s6, v0, 0
	s_add_i32 s0, s6, -1
	s_mul_hi_u32 s7, s6, s4
	s_lshl_b64 s[10:11], s[0:1], 1
	s_mul_i32 s6, s6, s4
	s_add_u32 s0, s14, s10
	s_addc_u32 s5, s15, s11
	v_lshlrev_b64 v[2:3], 1, v[2:3]
	s_lshl_b64 s[6:7], s[6:7], 1
	v_add_co_u32 v2, vcc_lo, s0, v2
	v_add_co_ci_u32_e64 v3, null, s5, v3, vcc_lo
	v_add_co_u32 v4, vcc_lo, s8, v4
	v_add_co_ci_u32_e64 v5, null, s9, v5, vcc_lo
	s_mov_b32 s5, s1
	s_lshl_b64 s[8:9], s[4:5], 1
	.p2align	6
.LBB248_17:                             ; =>This Inner Loop Header: Depth=1
	global_load_ushort v6, v[2:3], off
	v_add_co_u32 v0, vcc_lo, v0, s4
	v_add_co_ci_u32_e64 v1, null, 0, v1, vcc_lo
	v_add_co_u32 v2, vcc_lo, v2, s6
	v_add_co_ci_u32_e64 v3, null, s7, v3, vcc_lo
	v_cmp_le_u64_e32 vcc_lo, s[2:3], v[0:1]
	s_or_b32 s1, vcc_lo, s1
	s_waitcnt vmcnt(0)
	global_store_short v[4:5], v6, off
	v_add_co_u32 v4, s0, v4, s8
	v_add_co_ci_u32_e64 v5, null, s9, v5, s0
	s_andn2_b32 exec_lo, exec_lo, s1
	s_cbranch_execnz .LBB248_17
.LBB248_18:
	s_endpgm
	.section	.rodata,"a",@progbits
	.p2align	6, 0x0
	.amdhsa_kernel _ZN7rocprim17ROCPRIM_400000_NS6detail30init_device_scan_by_key_kernelINS1_19lookback_scan_stateINS0_5tupleIJsbEEELb1ELb1EEEN6thrust23THRUST_200600_302600_NS6detail15normal_iteratorINS8_10device_ptrIsEEEEjNS1_16block_id_wrapperIjLb1EEEEEvT_jjPNSG_10value_typeET0_PNSt15iterator_traitsISJ_E10value_typeEmT1_T2_
		.amdhsa_group_segment_fixed_size 0
		.amdhsa_private_segment_fixed_size 0
		.amdhsa_kernarg_size 320
		.amdhsa_user_sgpr_count 6
		.amdhsa_user_sgpr_private_segment_buffer 1
		.amdhsa_user_sgpr_dispatch_ptr 0
		.amdhsa_user_sgpr_queue_ptr 0
		.amdhsa_user_sgpr_kernarg_segment_ptr 1
		.amdhsa_user_sgpr_dispatch_id 0
		.amdhsa_user_sgpr_flat_scratch_init 0
		.amdhsa_user_sgpr_private_segment_size 0
		.amdhsa_wavefront_size32 1
		.amdhsa_uses_dynamic_stack 0
		.amdhsa_system_sgpr_private_segment_wavefront_offset 0
		.amdhsa_system_sgpr_workgroup_id_x 1
		.amdhsa_system_sgpr_workgroup_id_y 0
		.amdhsa_system_sgpr_workgroup_id_z 0
		.amdhsa_system_sgpr_workgroup_info 0
		.amdhsa_system_vgpr_workitem_id 0
		.amdhsa_next_free_vgpr 7
		.amdhsa_next_free_sgpr 17
		.amdhsa_reserve_vcc 1
		.amdhsa_reserve_flat_scratch 0
		.amdhsa_float_round_mode_32 0
		.amdhsa_float_round_mode_16_64 0
		.amdhsa_float_denorm_mode_32 3
		.amdhsa_float_denorm_mode_16_64 3
		.amdhsa_dx10_clamp 1
		.amdhsa_ieee_mode 1
		.amdhsa_fp16_overflow 0
		.amdhsa_workgroup_processor_mode 1
		.amdhsa_memory_ordered 1
		.amdhsa_forward_progress 1
		.amdhsa_shared_vgpr_count 0
		.amdhsa_exception_fp_ieee_invalid_op 0
		.amdhsa_exception_fp_denorm_src 0
		.amdhsa_exception_fp_ieee_div_zero 0
		.amdhsa_exception_fp_ieee_overflow 0
		.amdhsa_exception_fp_ieee_underflow 0
		.amdhsa_exception_fp_ieee_inexact 0
		.amdhsa_exception_int_div_zero 0
	.end_amdhsa_kernel
	.section	.text._ZN7rocprim17ROCPRIM_400000_NS6detail30init_device_scan_by_key_kernelINS1_19lookback_scan_stateINS0_5tupleIJsbEEELb1ELb1EEEN6thrust23THRUST_200600_302600_NS6detail15normal_iteratorINS8_10device_ptrIsEEEEjNS1_16block_id_wrapperIjLb1EEEEEvT_jjPNSG_10value_typeET0_PNSt15iterator_traitsISJ_E10value_typeEmT1_T2_,"axG",@progbits,_ZN7rocprim17ROCPRIM_400000_NS6detail30init_device_scan_by_key_kernelINS1_19lookback_scan_stateINS0_5tupleIJsbEEELb1ELb1EEEN6thrust23THRUST_200600_302600_NS6detail15normal_iteratorINS8_10device_ptrIsEEEEjNS1_16block_id_wrapperIjLb1EEEEEvT_jjPNSG_10value_typeET0_PNSt15iterator_traitsISJ_E10value_typeEmT1_T2_,comdat
.Lfunc_end248:
	.size	_ZN7rocprim17ROCPRIM_400000_NS6detail30init_device_scan_by_key_kernelINS1_19lookback_scan_stateINS0_5tupleIJsbEEELb1ELb1EEEN6thrust23THRUST_200600_302600_NS6detail15normal_iteratorINS8_10device_ptrIsEEEEjNS1_16block_id_wrapperIjLb1EEEEEvT_jjPNSG_10value_typeET0_PNSt15iterator_traitsISJ_E10value_typeEmT1_T2_, .Lfunc_end248-_ZN7rocprim17ROCPRIM_400000_NS6detail30init_device_scan_by_key_kernelINS1_19lookback_scan_stateINS0_5tupleIJsbEEELb1ELb1EEEN6thrust23THRUST_200600_302600_NS6detail15normal_iteratorINS8_10device_ptrIsEEEEjNS1_16block_id_wrapperIjLb1EEEEEvT_jjPNSG_10value_typeET0_PNSt15iterator_traitsISJ_E10value_typeEmT1_T2_
                                        ; -- End function
	.set _ZN7rocprim17ROCPRIM_400000_NS6detail30init_device_scan_by_key_kernelINS1_19lookback_scan_stateINS0_5tupleIJsbEEELb1ELb1EEEN6thrust23THRUST_200600_302600_NS6detail15normal_iteratorINS8_10device_ptrIsEEEEjNS1_16block_id_wrapperIjLb1EEEEEvT_jjPNSG_10value_typeET0_PNSt15iterator_traitsISJ_E10value_typeEmT1_T2_.num_vgpr, 7
	.set _ZN7rocprim17ROCPRIM_400000_NS6detail30init_device_scan_by_key_kernelINS1_19lookback_scan_stateINS0_5tupleIJsbEEELb1ELb1EEEN6thrust23THRUST_200600_302600_NS6detail15normal_iteratorINS8_10device_ptrIsEEEEjNS1_16block_id_wrapperIjLb1EEEEEvT_jjPNSG_10value_typeET0_PNSt15iterator_traitsISJ_E10value_typeEmT1_T2_.num_agpr, 0
	.set _ZN7rocprim17ROCPRIM_400000_NS6detail30init_device_scan_by_key_kernelINS1_19lookback_scan_stateINS0_5tupleIJsbEEELb1ELb1EEEN6thrust23THRUST_200600_302600_NS6detail15normal_iteratorINS8_10device_ptrIsEEEEjNS1_16block_id_wrapperIjLb1EEEEEvT_jjPNSG_10value_typeET0_PNSt15iterator_traitsISJ_E10value_typeEmT1_T2_.numbered_sgpr, 17
	.set _ZN7rocprim17ROCPRIM_400000_NS6detail30init_device_scan_by_key_kernelINS1_19lookback_scan_stateINS0_5tupleIJsbEEELb1ELb1EEEN6thrust23THRUST_200600_302600_NS6detail15normal_iteratorINS8_10device_ptrIsEEEEjNS1_16block_id_wrapperIjLb1EEEEEvT_jjPNSG_10value_typeET0_PNSt15iterator_traitsISJ_E10value_typeEmT1_T2_.num_named_barrier, 0
	.set _ZN7rocprim17ROCPRIM_400000_NS6detail30init_device_scan_by_key_kernelINS1_19lookback_scan_stateINS0_5tupleIJsbEEELb1ELb1EEEN6thrust23THRUST_200600_302600_NS6detail15normal_iteratorINS8_10device_ptrIsEEEEjNS1_16block_id_wrapperIjLb1EEEEEvT_jjPNSG_10value_typeET0_PNSt15iterator_traitsISJ_E10value_typeEmT1_T2_.private_seg_size, 0
	.set _ZN7rocprim17ROCPRIM_400000_NS6detail30init_device_scan_by_key_kernelINS1_19lookback_scan_stateINS0_5tupleIJsbEEELb1ELb1EEEN6thrust23THRUST_200600_302600_NS6detail15normal_iteratorINS8_10device_ptrIsEEEEjNS1_16block_id_wrapperIjLb1EEEEEvT_jjPNSG_10value_typeET0_PNSt15iterator_traitsISJ_E10value_typeEmT1_T2_.uses_vcc, 1
	.set _ZN7rocprim17ROCPRIM_400000_NS6detail30init_device_scan_by_key_kernelINS1_19lookback_scan_stateINS0_5tupleIJsbEEELb1ELb1EEEN6thrust23THRUST_200600_302600_NS6detail15normal_iteratorINS8_10device_ptrIsEEEEjNS1_16block_id_wrapperIjLb1EEEEEvT_jjPNSG_10value_typeET0_PNSt15iterator_traitsISJ_E10value_typeEmT1_T2_.uses_flat_scratch, 0
	.set _ZN7rocprim17ROCPRIM_400000_NS6detail30init_device_scan_by_key_kernelINS1_19lookback_scan_stateINS0_5tupleIJsbEEELb1ELb1EEEN6thrust23THRUST_200600_302600_NS6detail15normal_iteratorINS8_10device_ptrIsEEEEjNS1_16block_id_wrapperIjLb1EEEEEvT_jjPNSG_10value_typeET0_PNSt15iterator_traitsISJ_E10value_typeEmT1_T2_.has_dyn_sized_stack, 0
	.set _ZN7rocprim17ROCPRIM_400000_NS6detail30init_device_scan_by_key_kernelINS1_19lookback_scan_stateINS0_5tupleIJsbEEELb1ELb1EEEN6thrust23THRUST_200600_302600_NS6detail15normal_iteratorINS8_10device_ptrIsEEEEjNS1_16block_id_wrapperIjLb1EEEEEvT_jjPNSG_10value_typeET0_PNSt15iterator_traitsISJ_E10value_typeEmT1_T2_.has_recursion, 0
	.set _ZN7rocprim17ROCPRIM_400000_NS6detail30init_device_scan_by_key_kernelINS1_19lookback_scan_stateINS0_5tupleIJsbEEELb1ELb1EEEN6thrust23THRUST_200600_302600_NS6detail15normal_iteratorINS8_10device_ptrIsEEEEjNS1_16block_id_wrapperIjLb1EEEEEvT_jjPNSG_10value_typeET0_PNSt15iterator_traitsISJ_E10value_typeEmT1_T2_.has_indirect_call, 0
	.section	.AMDGPU.csdata,"",@progbits
; Kernel info:
; codeLenInByte = 664
; TotalNumSgprs: 19
; NumVgprs: 7
; ScratchSize: 0
; MemoryBound: 0
; FloatMode: 240
; IeeeMode: 1
; LDSByteSize: 0 bytes/workgroup (compile time only)
; SGPRBlocks: 0
; VGPRBlocks: 0
; NumSGPRsForWavesPerEU: 19
; NumVGPRsForWavesPerEU: 7
; Occupancy: 16
; WaveLimiterHint : 0
; COMPUTE_PGM_RSRC2:SCRATCH_EN: 0
; COMPUTE_PGM_RSRC2:USER_SGPR: 6
; COMPUTE_PGM_RSRC2:TRAP_HANDLER: 0
; COMPUTE_PGM_RSRC2:TGID_X_EN: 1
; COMPUTE_PGM_RSRC2:TGID_Y_EN: 0
; COMPUTE_PGM_RSRC2:TGID_Z_EN: 0
; COMPUTE_PGM_RSRC2:TIDIG_COMP_CNT: 0
	.section	.text._ZN7rocprim17ROCPRIM_400000_NS6detail30init_device_scan_by_key_kernelINS1_19lookback_scan_stateINS0_5tupleIJsbEEELb1ELb1EEENS1_16block_id_wrapperIjLb1EEEEEvT_jjPNS9_10value_typeET0_,"axG",@progbits,_ZN7rocprim17ROCPRIM_400000_NS6detail30init_device_scan_by_key_kernelINS1_19lookback_scan_stateINS0_5tupleIJsbEEELb1ELb1EEENS1_16block_id_wrapperIjLb1EEEEEvT_jjPNS9_10value_typeET0_,comdat
	.protected	_ZN7rocprim17ROCPRIM_400000_NS6detail30init_device_scan_by_key_kernelINS1_19lookback_scan_stateINS0_5tupleIJsbEEELb1ELb1EEENS1_16block_id_wrapperIjLb1EEEEEvT_jjPNS9_10value_typeET0_ ; -- Begin function _ZN7rocprim17ROCPRIM_400000_NS6detail30init_device_scan_by_key_kernelINS1_19lookback_scan_stateINS0_5tupleIJsbEEELb1ELb1EEENS1_16block_id_wrapperIjLb1EEEEEvT_jjPNS9_10value_typeET0_
	.globl	_ZN7rocprim17ROCPRIM_400000_NS6detail30init_device_scan_by_key_kernelINS1_19lookback_scan_stateINS0_5tupleIJsbEEELb1ELb1EEENS1_16block_id_wrapperIjLb1EEEEEvT_jjPNS9_10value_typeET0_
	.p2align	8
	.type	_ZN7rocprim17ROCPRIM_400000_NS6detail30init_device_scan_by_key_kernelINS1_19lookback_scan_stateINS0_5tupleIJsbEEELb1ELb1EEENS1_16block_id_wrapperIjLb1EEEEEvT_jjPNS9_10value_typeET0_,@function
_ZN7rocprim17ROCPRIM_400000_NS6detail30init_device_scan_by_key_kernelINS1_19lookback_scan_stateINS0_5tupleIJsbEEELb1ELb1EEENS1_16block_id_wrapperIjLb1EEEEEvT_jjPNS9_10value_typeET0_: ; @_ZN7rocprim17ROCPRIM_400000_NS6detail30init_device_scan_by_key_kernelINS1_19lookback_scan_stateINS0_5tupleIJsbEEELb1ELb1EEENS1_16block_id_wrapperIjLb1EEEEEvT_jjPNS9_10value_typeET0_
; %bb.0:
	s_clause 0x1
	s_load_dword s0, s[4:5], 0x2c
	s_load_dwordx8 s[8:15], s[4:5], 0x0
	s_waitcnt lgkmcnt(0)
	s_and_b32 s0, s0, 0xffff
	s_cmp_eq_u64 s[12:13], 0
	v_mad_u64_u32 v[0:1], null, s6, s0, v[0:1]
	s_cbranch_scc1 .LBB249_9
; %bb.1:
	s_cmp_lt_u32 s11, s10
	s_mov_b32 s1, 0
	s_cselect_b32 s0, s11, 0
	s_mov_b32 s2, exec_lo
	v_cmpx_eq_u32_e64 s0, v0
	s_cbranch_execz .LBB249_8
; %bb.2:
	s_add_i32 s0, s11, 32
	v_mov_b32_e32 v1, 0
	s_lshl_b64 s[0:1], s[0:1], 3
	s_add_u32 s0, s8, s0
	s_addc_u32 s1, s9, s1
	global_load_dwordx2 v[3:4], v1, s[0:1] glc dlc
	s_waitcnt vmcnt(0)
	v_and_b32_e32 v2, 0xff, v4
	v_cmp_ne_u64_e32 vcc_lo, 0, v[1:2]
	s_cbranch_vccnz .LBB249_7
; %bb.3:
	s_mov_b32 s3, 1
.LBB249_4:                              ; =>This Loop Header: Depth=1
                                        ;     Child Loop BB249_5 Depth 2
	s_mov_b32 s4, s3
.LBB249_5:                              ;   Parent Loop BB249_4 Depth=1
                                        ; =>  This Inner Loop Header: Depth=2
	s_add_i32 s4, s4, -1
	s_sleep 1
	s_cmp_eq_u32 s4, 0
	s_cbranch_scc0 .LBB249_5
; %bb.6:                                ;   in Loop: Header=BB249_4 Depth=1
	global_load_dwordx2 v[3:4], v1, s[0:1] glc dlc
	s_cmp_lt_u32 s3, 32
	s_cselect_b32 s4, -1, 0
	s_cmp_lg_u32 s4, 0
	s_addc_u32 s3, s3, 0
	s_waitcnt vmcnt(0)
	v_and_b32_e32 v2, 0xff, v4
	v_cmp_ne_u64_e32 vcc_lo, 0, v[1:2]
	s_cbranch_vccz .LBB249_4
.LBB249_7:
	v_mov_b32_e32 v1, 0
	global_store_short v1, v3, s[12:13]
	global_store_byte_d16_hi v1, v3, s[12:13] offset:2
.LBB249_8:
	s_or_b32 exec_lo, exec_lo, s2
.LBB249_9:
	s_mov_b32 s0, exec_lo
	v_cmpx_eq_u32_e32 0, v0
	s_cbranch_execz .LBB249_11
; %bb.10:
	v_mov_b32_e32 v1, 0
	global_store_dword v1, v1, s[14:15]
.LBB249_11:
	s_or_b32 exec_lo, exec_lo, s0
	s_mov_b32 s0, exec_lo
	v_cmpx_gt_u32_e64 s10, v0
	s_cbranch_execz .LBB249_13
; %bb.12:
	v_add_nc_u32_e32 v1, 32, v0
	v_mov_b32_e32 v2, 0
	v_lshlrev_b64 v[3:4], 3, v[1:2]
	v_mov_b32_e32 v1, v2
	v_add_co_u32 v3, vcc_lo, s8, v3
	v_add_co_ci_u32_e64 v4, null, s9, v4, vcc_lo
	global_store_dwordx2 v[3:4], v[1:2], off
.LBB249_13:
	s_or_b32 exec_lo, exec_lo, s0
	s_mov_b32 s0, exec_lo
	v_cmpx_gt_u32_e32 32, v0
	s_cbranch_execz .LBB249_15
; %bb.14:
	v_mov_b32_e32 v1, 0
	v_mov_b32_e32 v4, 0xff
	v_lshlrev_b64 v[2:3], 3, v[0:1]
	v_add_co_u32 v5, vcc_lo, s8, v2
	v_add_co_ci_u32_e64 v6, null, s9, v3, vcc_lo
	v_mov_b32_e32 v3, v1
	global_store_dwordx2 v[5:6], v[3:4], off
.LBB249_15:
	s_endpgm
	.section	.rodata,"a",@progbits
	.p2align	6, 0x0
	.amdhsa_kernel _ZN7rocprim17ROCPRIM_400000_NS6detail30init_device_scan_by_key_kernelINS1_19lookback_scan_stateINS0_5tupleIJsbEEELb1ELb1EEENS1_16block_id_wrapperIjLb1EEEEEvT_jjPNS9_10value_typeET0_
		.amdhsa_group_segment_fixed_size 0
		.amdhsa_private_segment_fixed_size 0
		.amdhsa_kernarg_size 288
		.amdhsa_user_sgpr_count 6
		.amdhsa_user_sgpr_private_segment_buffer 1
		.amdhsa_user_sgpr_dispatch_ptr 0
		.amdhsa_user_sgpr_queue_ptr 0
		.amdhsa_user_sgpr_kernarg_segment_ptr 1
		.amdhsa_user_sgpr_dispatch_id 0
		.amdhsa_user_sgpr_flat_scratch_init 0
		.amdhsa_user_sgpr_private_segment_size 0
		.amdhsa_wavefront_size32 1
		.amdhsa_uses_dynamic_stack 0
		.amdhsa_system_sgpr_private_segment_wavefront_offset 0
		.amdhsa_system_sgpr_workgroup_id_x 1
		.amdhsa_system_sgpr_workgroup_id_y 0
		.amdhsa_system_sgpr_workgroup_id_z 0
		.amdhsa_system_sgpr_workgroup_info 0
		.amdhsa_system_vgpr_workitem_id 0
		.amdhsa_next_free_vgpr 7
		.amdhsa_next_free_sgpr 16
		.amdhsa_reserve_vcc 1
		.amdhsa_reserve_flat_scratch 0
		.amdhsa_float_round_mode_32 0
		.amdhsa_float_round_mode_16_64 0
		.amdhsa_float_denorm_mode_32 3
		.amdhsa_float_denorm_mode_16_64 3
		.amdhsa_dx10_clamp 1
		.amdhsa_ieee_mode 1
		.amdhsa_fp16_overflow 0
		.amdhsa_workgroup_processor_mode 1
		.amdhsa_memory_ordered 1
		.amdhsa_forward_progress 1
		.amdhsa_shared_vgpr_count 0
		.amdhsa_exception_fp_ieee_invalid_op 0
		.amdhsa_exception_fp_denorm_src 0
		.amdhsa_exception_fp_ieee_div_zero 0
		.amdhsa_exception_fp_ieee_overflow 0
		.amdhsa_exception_fp_ieee_underflow 0
		.amdhsa_exception_fp_ieee_inexact 0
		.amdhsa_exception_int_div_zero 0
	.end_amdhsa_kernel
	.section	.text._ZN7rocprim17ROCPRIM_400000_NS6detail30init_device_scan_by_key_kernelINS1_19lookback_scan_stateINS0_5tupleIJsbEEELb1ELb1EEENS1_16block_id_wrapperIjLb1EEEEEvT_jjPNS9_10value_typeET0_,"axG",@progbits,_ZN7rocprim17ROCPRIM_400000_NS6detail30init_device_scan_by_key_kernelINS1_19lookback_scan_stateINS0_5tupleIJsbEEELb1ELb1EEENS1_16block_id_wrapperIjLb1EEEEEvT_jjPNS9_10value_typeET0_,comdat
.Lfunc_end249:
	.size	_ZN7rocprim17ROCPRIM_400000_NS6detail30init_device_scan_by_key_kernelINS1_19lookback_scan_stateINS0_5tupleIJsbEEELb1ELb1EEENS1_16block_id_wrapperIjLb1EEEEEvT_jjPNS9_10value_typeET0_, .Lfunc_end249-_ZN7rocprim17ROCPRIM_400000_NS6detail30init_device_scan_by_key_kernelINS1_19lookback_scan_stateINS0_5tupleIJsbEEELb1ELb1EEENS1_16block_id_wrapperIjLb1EEEEEvT_jjPNS9_10value_typeET0_
                                        ; -- End function
	.set _ZN7rocprim17ROCPRIM_400000_NS6detail30init_device_scan_by_key_kernelINS1_19lookback_scan_stateINS0_5tupleIJsbEEELb1ELb1EEENS1_16block_id_wrapperIjLb1EEEEEvT_jjPNS9_10value_typeET0_.num_vgpr, 7
	.set _ZN7rocprim17ROCPRIM_400000_NS6detail30init_device_scan_by_key_kernelINS1_19lookback_scan_stateINS0_5tupleIJsbEEELb1ELb1EEENS1_16block_id_wrapperIjLb1EEEEEvT_jjPNS9_10value_typeET0_.num_agpr, 0
	.set _ZN7rocprim17ROCPRIM_400000_NS6detail30init_device_scan_by_key_kernelINS1_19lookback_scan_stateINS0_5tupleIJsbEEELb1ELb1EEENS1_16block_id_wrapperIjLb1EEEEEvT_jjPNS9_10value_typeET0_.numbered_sgpr, 16
	.set _ZN7rocprim17ROCPRIM_400000_NS6detail30init_device_scan_by_key_kernelINS1_19lookback_scan_stateINS0_5tupleIJsbEEELb1ELb1EEENS1_16block_id_wrapperIjLb1EEEEEvT_jjPNS9_10value_typeET0_.num_named_barrier, 0
	.set _ZN7rocprim17ROCPRIM_400000_NS6detail30init_device_scan_by_key_kernelINS1_19lookback_scan_stateINS0_5tupleIJsbEEELb1ELb1EEENS1_16block_id_wrapperIjLb1EEEEEvT_jjPNS9_10value_typeET0_.private_seg_size, 0
	.set _ZN7rocprim17ROCPRIM_400000_NS6detail30init_device_scan_by_key_kernelINS1_19lookback_scan_stateINS0_5tupleIJsbEEELb1ELb1EEENS1_16block_id_wrapperIjLb1EEEEEvT_jjPNS9_10value_typeET0_.uses_vcc, 1
	.set _ZN7rocprim17ROCPRIM_400000_NS6detail30init_device_scan_by_key_kernelINS1_19lookback_scan_stateINS0_5tupleIJsbEEELb1ELb1EEENS1_16block_id_wrapperIjLb1EEEEEvT_jjPNS9_10value_typeET0_.uses_flat_scratch, 0
	.set _ZN7rocprim17ROCPRIM_400000_NS6detail30init_device_scan_by_key_kernelINS1_19lookback_scan_stateINS0_5tupleIJsbEEELb1ELb1EEENS1_16block_id_wrapperIjLb1EEEEEvT_jjPNS9_10value_typeET0_.has_dyn_sized_stack, 0
	.set _ZN7rocprim17ROCPRIM_400000_NS6detail30init_device_scan_by_key_kernelINS1_19lookback_scan_stateINS0_5tupleIJsbEEELb1ELb1EEENS1_16block_id_wrapperIjLb1EEEEEvT_jjPNS9_10value_typeET0_.has_recursion, 0
	.set _ZN7rocprim17ROCPRIM_400000_NS6detail30init_device_scan_by_key_kernelINS1_19lookback_scan_stateINS0_5tupleIJsbEEELb1ELb1EEENS1_16block_id_wrapperIjLb1EEEEEvT_jjPNS9_10value_typeET0_.has_indirect_call, 0
	.section	.AMDGPU.csdata,"",@progbits
; Kernel info:
; codeLenInByte = 372
; TotalNumSgprs: 18
; NumVgprs: 7
; ScratchSize: 0
; MemoryBound: 0
; FloatMode: 240
; IeeeMode: 1
; LDSByteSize: 0 bytes/workgroup (compile time only)
; SGPRBlocks: 0
; VGPRBlocks: 0
; NumSGPRsForWavesPerEU: 18
; NumVGPRsForWavesPerEU: 7
; Occupancy: 16
; WaveLimiterHint : 0
; COMPUTE_PGM_RSRC2:SCRATCH_EN: 0
; COMPUTE_PGM_RSRC2:USER_SGPR: 6
; COMPUTE_PGM_RSRC2:TRAP_HANDLER: 0
; COMPUTE_PGM_RSRC2:TGID_X_EN: 1
; COMPUTE_PGM_RSRC2:TGID_Y_EN: 0
; COMPUTE_PGM_RSRC2:TGID_Z_EN: 0
; COMPUTE_PGM_RSRC2:TIDIG_COMP_CNT: 0
	.section	.text._ZN7rocprim17ROCPRIM_400000_NS6detail17trampoline_kernelINS0_14default_configENS1_27scan_by_key_config_selectorIssEEZZNS1_16scan_by_key_implILNS1_25lookback_scan_determinismE0ELb0ES3_N6thrust23THRUST_200600_302600_NS6detail15normal_iteratorINS9_10device_ptrIsEEEESE_SE_sNS9_4plusIvEENS9_8equal_toIvEEsEE10hipError_tPvRmT2_T3_T4_T5_mT6_T7_P12ihipStream_tbENKUlT_T0_E_clISt17integral_constantIbLb1EESZ_EEDaSU_SV_EUlSU_E_NS1_11comp_targetILNS1_3genE0ELNS1_11target_archE4294967295ELNS1_3gpuE0ELNS1_3repE0EEENS1_30default_config_static_selectorELNS0_4arch9wavefront6targetE0EEEvT1_,"axG",@progbits,_ZN7rocprim17ROCPRIM_400000_NS6detail17trampoline_kernelINS0_14default_configENS1_27scan_by_key_config_selectorIssEEZZNS1_16scan_by_key_implILNS1_25lookback_scan_determinismE0ELb0ES3_N6thrust23THRUST_200600_302600_NS6detail15normal_iteratorINS9_10device_ptrIsEEEESE_SE_sNS9_4plusIvEENS9_8equal_toIvEEsEE10hipError_tPvRmT2_T3_T4_T5_mT6_T7_P12ihipStream_tbENKUlT_T0_E_clISt17integral_constantIbLb1EESZ_EEDaSU_SV_EUlSU_E_NS1_11comp_targetILNS1_3genE0ELNS1_11target_archE4294967295ELNS1_3gpuE0ELNS1_3repE0EEENS1_30default_config_static_selectorELNS0_4arch9wavefront6targetE0EEEvT1_,comdat
	.protected	_ZN7rocprim17ROCPRIM_400000_NS6detail17trampoline_kernelINS0_14default_configENS1_27scan_by_key_config_selectorIssEEZZNS1_16scan_by_key_implILNS1_25lookback_scan_determinismE0ELb0ES3_N6thrust23THRUST_200600_302600_NS6detail15normal_iteratorINS9_10device_ptrIsEEEESE_SE_sNS9_4plusIvEENS9_8equal_toIvEEsEE10hipError_tPvRmT2_T3_T4_T5_mT6_T7_P12ihipStream_tbENKUlT_T0_E_clISt17integral_constantIbLb1EESZ_EEDaSU_SV_EUlSU_E_NS1_11comp_targetILNS1_3genE0ELNS1_11target_archE4294967295ELNS1_3gpuE0ELNS1_3repE0EEENS1_30default_config_static_selectorELNS0_4arch9wavefront6targetE0EEEvT1_ ; -- Begin function _ZN7rocprim17ROCPRIM_400000_NS6detail17trampoline_kernelINS0_14default_configENS1_27scan_by_key_config_selectorIssEEZZNS1_16scan_by_key_implILNS1_25lookback_scan_determinismE0ELb0ES3_N6thrust23THRUST_200600_302600_NS6detail15normal_iteratorINS9_10device_ptrIsEEEESE_SE_sNS9_4plusIvEENS9_8equal_toIvEEsEE10hipError_tPvRmT2_T3_T4_T5_mT6_T7_P12ihipStream_tbENKUlT_T0_E_clISt17integral_constantIbLb1EESZ_EEDaSU_SV_EUlSU_E_NS1_11comp_targetILNS1_3genE0ELNS1_11target_archE4294967295ELNS1_3gpuE0ELNS1_3repE0EEENS1_30default_config_static_selectorELNS0_4arch9wavefront6targetE0EEEvT1_
	.globl	_ZN7rocprim17ROCPRIM_400000_NS6detail17trampoline_kernelINS0_14default_configENS1_27scan_by_key_config_selectorIssEEZZNS1_16scan_by_key_implILNS1_25lookback_scan_determinismE0ELb0ES3_N6thrust23THRUST_200600_302600_NS6detail15normal_iteratorINS9_10device_ptrIsEEEESE_SE_sNS9_4plusIvEENS9_8equal_toIvEEsEE10hipError_tPvRmT2_T3_T4_T5_mT6_T7_P12ihipStream_tbENKUlT_T0_E_clISt17integral_constantIbLb1EESZ_EEDaSU_SV_EUlSU_E_NS1_11comp_targetILNS1_3genE0ELNS1_11target_archE4294967295ELNS1_3gpuE0ELNS1_3repE0EEENS1_30default_config_static_selectorELNS0_4arch9wavefront6targetE0EEEvT1_
	.p2align	8
	.type	_ZN7rocprim17ROCPRIM_400000_NS6detail17trampoline_kernelINS0_14default_configENS1_27scan_by_key_config_selectorIssEEZZNS1_16scan_by_key_implILNS1_25lookback_scan_determinismE0ELb0ES3_N6thrust23THRUST_200600_302600_NS6detail15normal_iteratorINS9_10device_ptrIsEEEESE_SE_sNS9_4plusIvEENS9_8equal_toIvEEsEE10hipError_tPvRmT2_T3_T4_T5_mT6_T7_P12ihipStream_tbENKUlT_T0_E_clISt17integral_constantIbLb1EESZ_EEDaSU_SV_EUlSU_E_NS1_11comp_targetILNS1_3genE0ELNS1_11target_archE4294967295ELNS1_3gpuE0ELNS1_3repE0EEENS1_30default_config_static_selectorELNS0_4arch9wavefront6targetE0EEEvT1_,@function
_ZN7rocprim17ROCPRIM_400000_NS6detail17trampoline_kernelINS0_14default_configENS1_27scan_by_key_config_selectorIssEEZZNS1_16scan_by_key_implILNS1_25lookback_scan_determinismE0ELb0ES3_N6thrust23THRUST_200600_302600_NS6detail15normal_iteratorINS9_10device_ptrIsEEEESE_SE_sNS9_4plusIvEENS9_8equal_toIvEEsEE10hipError_tPvRmT2_T3_T4_T5_mT6_T7_P12ihipStream_tbENKUlT_T0_E_clISt17integral_constantIbLb1EESZ_EEDaSU_SV_EUlSU_E_NS1_11comp_targetILNS1_3genE0ELNS1_11target_archE4294967295ELNS1_3gpuE0ELNS1_3repE0EEENS1_30default_config_static_selectorELNS0_4arch9wavefront6targetE0EEEvT1_: ; @_ZN7rocprim17ROCPRIM_400000_NS6detail17trampoline_kernelINS0_14default_configENS1_27scan_by_key_config_selectorIssEEZZNS1_16scan_by_key_implILNS1_25lookback_scan_determinismE0ELb0ES3_N6thrust23THRUST_200600_302600_NS6detail15normal_iteratorINS9_10device_ptrIsEEEESE_SE_sNS9_4plusIvEENS9_8equal_toIvEEsEE10hipError_tPvRmT2_T3_T4_T5_mT6_T7_P12ihipStream_tbENKUlT_T0_E_clISt17integral_constantIbLb1EESZ_EEDaSU_SV_EUlSU_E_NS1_11comp_targetILNS1_3genE0ELNS1_11target_archE4294967295ELNS1_3gpuE0ELNS1_3repE0EEENS1_30default_config_static_selectorELNS0_4arch9wavefront6targetE0EEEvT1_
; %bb.0:
	.section	.rodata,"a",@progbits
	.p2align	6, 0x0
	.amdhsa_kernel _ZN7rocprim17ROCPRIM_400000_NS6detail17trampoline_kernelINS0_14default_configENS1_27scan_by_key_config_selectorIssEEZZNS1_16scan_by_key_implILNS1_25lookback_scan_determinismE0ELb0ES3_N6thrust23THRUST_200600_302600_NS6detail15normal_iteratorINS9_10device_ptrIsEEEESE_SE_sNS9_4plusIvEENS9_8equal_toIvEEsEE10hipError_tPvRmT2_T3_T4_T5_mT6_T7_P12ihipStream_tbENKUlT_T0_E_clISt17integral_constantIbLb1EESZ_EEDaSU_SV_EUlSU_E_NS1_11comp_targetILNS1_3genE0ELNS1_11target_archE4294967295ELNS1_3gpuE0ELNS1_3repE0EEENS1_30default_config_static_selectorELNS0_4arch9wavefront6targetE0EEEvT1_
		.amdhsa_group_segment_fixed_size 0
		.amdhsa_private_segment_fixed_size 0
		.amdhsa_kernarg_size 112
		.amdhsa_user_sgpr_count 6
		.amdhsa_user_sgpr_private_segment_buffer 1
		.amdhsa_user_sgpr_dispatch_ptr 0
		.amdhsa_user_sgpr_queue_ptr 0
		.amdhsa_user_sgpr_kernarg_segment_ptr 1
		.amdhsa_user_sgpr_dispatch_id 0
		.amdhsa_user_sgpr_flat_scratch_init 0
		.amdhsa_user_sgpr_private_segment_size 0
		.amdhsa_wavefront_size32 1
		.amdhsa_uses_dynamic_stack 0
		.amdhsa_system_sgpr_private_segment_wavefront_offset 0
		.amdhsa_system_sgpr_workgroup_id_x 1
		.amdhsa_system_sgpr_workgroup_id_y 0
		.amdhsa_system_sgpr_workgroup_id_z 0
		.amdhsa_system_sgpr_workgroup_info 0
		.amdhsa_system_vgpr_workitem_id 0
		.amdhsa_next_free_vgpr 1
		.amdhsa_next_free_sgpr 1
		.amdhsa_reserve_vcc 0
		.amdhsa_reserve_flat_scratch 0
		.amdhsa_float_round_mode_32 0
		.amdhsa_float_round_mode_16_64 0
		.amdhsa_float_denorm_mode_32 3
		.amdhsa_float_denorm_mode_16_64 3
		.amdhsa_dx10_clamp 1
		.amdhsa_ieee_mode 1
		.amdhsa_fp16_overflow 0
		.amdhsa_workgroup_processor_mode 1
		.amdhsa_memory_ordered 1
		.amdhsa_forward_progress 1
		.amdhsa_shared_vgpr_count 0
		.amdhsa_exception_fp_ieee_invalid_op 0
		.amdhsa_exception_fp_denorm_src 0
		.amdhsa_exception_fp_ieee_div_zero 0
		.amdhsa_exception_fp_ieee_overflow 0
		.amdhsa_exception_fp_ieee_underflow 0
		.amdhsa_exception_fp_ieee_inexact 0
		.amdhsa_exception_int_div_zero 0
	.end_amdhsa_kernel
	.section	.text._ZN7rocprim17ROCPRIM_400000_NS6detail17trampoline_kernelINS0_14default_configENS1_27scan_by_key_config_selectorIssEEZZNS1_16scan_by_key_implILNS1_25lookback_scan_determinismE0ELb0ES3_N6thrust23THRUST_200600_302600_NS6detail15normal_iteratorINS9_10device_ptrIsEEEESE_SE_sNS9_4plusIvEENS9_8equal_toIvEEsEE10hipError_tPvRmT2_T3_T4_T5_mT6_T7_P12ihipStream_tbENKUlT_T0_E_clISt17integral_constantIbLb1EESZ_EEDaSU_SV_EUlSU_E_NS1_11comp_targetILNS1_3genE0ELNS1_11target_archE4294967295ELNS1_3gpuE0ELNS1_3repE0EEENS1_30default_config_static_selectorELNS0_4arch9wavefront6targetE0EEEvT1_,"axG",@progbits,_ZN7rocprim17ROCPRIM_400000_NS6detail17trampoline_kernelINS0_14default_configENS1_27scan_by_key_config_selectorIssEEZZNS1_16scan_by_key_implILNS1_25lookback_scan_determinismE0ELb0ES3_N6thrust23THRUST_200600_302600_NS6detail15normal_iteratorINS9_10device_ptrIsEEEESE_SE_sNS9_4plusIvEENS9_8equal_toIvEEsEE10hipError_tPvRmT2_T3_T4_T5_mT6_T7_P12ihipStream_tbENKUlT_T0_E_clISt17integral_constantIbLb1EESZ_EEDaSU_SV_EUlSU_E_NS1_11comp_targetILNS1_3genE0ELNS1_11target_archE4294967295ELNS1_3gpuE0ELNS1_3repE0EEENS1_30default_config_static_selectorELNS0_4arch9wavefront6targetE0EEEvT1_,comdat
.Lfunc_end250:
	.size	_ZN7rocprim17ROCPRIM_400000_NS6detail17trampoline_kernelINS0_14default_configENS1_27scan_by_key_config_selectorIssEEZZNS1_16scan_by_key_implILNS1_25lookback_scan_determinismE0ELb0ES3_N6thrust23THRUST_200600_302600_NS6detail15normal_iteratorINS9_10device_ptrIsEEEESE_SE_sNS9_4plusIvEENS9_8equal_toIvEEsEE10hipError_tPvRmT2_T3_T4_T5_mT6_T7_P12ihipStream_tbENKUlT_T0_E_clISt17integral_constantIbLb1EESZ_EEDaSU_SV_EUlSU_E_NS1_11comp_targetILNS1_3genE0ELNS1_11target_archE4294967295ELNS1_3gpuE0ELNS1_3repE0EEENS1_30default_config_static_selectorELNS0_4arch9wavefront6targetE0EEEvT1_, .Lfunc_end250-_ZN7rocprim17ROCPRIM_400000_NS6detail17trampoline_kernelINS0_14default_configENS1_27scan_by_key_config_selectorIssEEZZNS1_16scan_by_key_implILNS1_25lookback_scan_determinismE0ELb0ES3_N6thrust23THRUST_200600_302600_NS6detail15normal_iteratorINS9_10device_ptrIsEEEESE_SE_sNS9_4plusIvEENS9_8equal_toIvEEsEE10hipError_tPvRmT2_T3_T4_T5_mT6_T7_P12ihipStream_tbENKUlT_T0_E_clISt17integral_constantIbLb1EESZ_EEDaSU_SV_EUlSU_E_NS1_11comp_targetILNS1_3genE0ELNS1_11target_archE4294967295ELNS1_3gpuE0ELNS1_3repE0EEENS1_30default_config_static_selectorELNS0_4arch9wavefront6targetE0EEEvT1_
                                        ; -- End function
	.set _ZN7rocprim17ROCPRIM_400000_NS6detail17trampoline_kernelINS0_14default_configENS1_27scan_by_key_config_selectorIssEEZZNS1_16scan_by_key_implILNS1_25lookback_scan_determinismE0ELb0ES3_N6thrust23THRUST_200600_302600_NS6detail15normal_iteratorINS9_10device_ptrIsEEEESE_SE_sNS9_4plusIvEENS9_8equal_toIvEEsEE10hipError_tPvRmT2_T3_T4_T5_mT6_T7_P12ihipStream_tbENKUlT_T0_E_clISt17integral_constantIbLb1EESZ_EEDaSU_SV_EUlSU_E_NS1_11comp_targetILNS1_3genE0ELNS1_11target_archE4294967295ELNS1_3gpuE0ELNS1_3repE0EEENS1_30default_config_static_selectorELNS0_4arch9wavefront6targetE0EEEvT1_.num_vgpr, 0
	.set _ZN7rocprim17ROCPRIM_400000_NS6detail17trampoline_kernelINS0_14default_configENS1_27scan_by_key_config_selectorIssEEZZNS1_16scan_by_key_implILNS1_25lookback_scan_determinismE0ELb0ES3_N6thrust23THRUST_200600_302600_NS6detail15normal_iteratorINS9_10device_ptrIsEEEESE_SE_sNS9_4plusIvEENS9_8equal_toIvEEsEE10hipError_tPvRmT2_T3_T4_T5_mT6_T7_P12ihipStream_tbENKUlT_T0_E_clISt17integral_constantIbLb1EESZ_EEDaSU_SV_EUlSU_E_NS1_11comp_targetILNS1_3genE0ELNS1_11target_archE4294967295ELNS1_3gpuE0ELNS1_3repE0EEENS1_30default_config_static_selectorELNS0_4arch9wavefront6targetE0EEEvT1_.num_agpr, 0
	.set _ZN7rocprim17ROCPRIM_400000_NS6detail17trampoline_kernelINS0_14default_configENS1_27scan_by_key_config_selectorIssEEZZNS1_16scan_by_key_implILNS1_25lookback_scan_determinismE0ELb0ES3_N6thrust23THRUST_200600_302600_NS6detail15normal_iteratorINS9_10device_ptrIsEEEESE_SE_sNS9_4plusIvEENS9_8equal_toIvEEsEE10hipError_tPvRmT2_T3_T4_T5_mT6_T7_P12ihipStream_tbENKUlT_T0_E_clISt17integral_constantIbLb1EESZ_EEDaSU_SV_EUlSU_E_NS1_11comp_targetILNS1_3genE0ELNS1_11target_archE4294967295ELNS1_3gpuE0ELNS1_3repE0EEENS1_30default_config_static_selectorELNS0_4arch9wavefront6targetE0EEEvT1_.numbered_sgpr, 0
	.set _ZN7rocprim17ROCPRIM_400000_NS6detail17trampoline_kernelINS0_14default_configENS1_27scan_by_key_config_selectorIssEEZZNS1_16scan_by_key_implILNS1_25lookback_scan_determinismE0ELb0ES3_N6thrust23THRUST_200600_302600_NS6detail15normal_iteratorINS9_10device_ptrIsEEEESE_SE_sNS9_4plusIvEENS9_8equal_toIvEEsEE10hipError_tPvRmT2_T3_T4_T5_mT6_T7_P12ihipStream_tbENKUlT_T0_E_clISt17integral_constantIbLb1EESZ_EEDaSU_SV_EUlSU_E_NS1_11comp_targetILNS1_3genE0ELNS1_11target_archE4294967295ELNS1_3gpuE0ELNS1_3repE0EEENS1_30default_config_static_selectorELNS0_4arch9wavefront6targetE0EEEvT1_.num_named_barrier, 0
	.set _ZN7rocprim17ROCPRIM_400000_NS6detail17trampoline_kernelINS0_14default_configENS1_27scan_by_key_config_selectorIssEEZZNS1_16scan_by_key_implILNS1_25lookback_scan_determinismE0ELb0ES3_N6thrust23THRUST_200600_302600_NS6detail15normal_iteratorINS9_10device_ptrIsEEEESE_SE_sNS9_4plusIvEENS9_8equal_toIvEEsEE10hipError_tPvRmT2_T3_T4_T5_mT6_T7_P12ihipStream_tbENKUlT_T0_E_clISt17integral_constantIbLb1EESZ_EEDaSU_SV_EUlSU_E_NS1_11comp_targetILNS1_3genE0ELNS1_11target_archE4294967295ELNS1_3gpuE0ELNS1_3repE0EEENS1_30default_config_static_selectorELNS0_4arch9wavefront6targetE0EEEvT1_.private_seg_size, 0
	.set _ZN7rocprim17ROCPRIM_400000_NS6detail17trampoline_kernelINS0_14default_configENS1_27scan_by_key_config_selectorIssEEZZNS1_16scan_by_key_implILNS1_25lookback_scan_determinismE0ELb0ES3_N6thrust23THRUST_200600_302600_NS6detail15normal_iteratorINS9_10device_ptrIsEEEESE_SE_sNS9_4plusIvEENS9_8equal_toIvEEsEE10hipError_tPvRmT2_T3_T4_T5_mT6_T7_P12ihipStream_tbENKUlT_T0_E_clISt17integral_constantIbLb1EESZ_EEDaSU_SV_EUlSU_E_NS1_11comp_targetILNS1_3genE0ELNS1_11target_archE4294967295ELNS1_3gpuE0ELNS1_3repE0EEENS1_30default_config_static_selectorELNS0_4arch9wavefront6targetE0EEEvT1_.uses_vcc, 0
	.set _ZN7rocprim17ROCPRIM_400000_NS6detail17trampoline_kernelINS0_14default_configENS1_27scan_by_key_config_selectorIssEEZZNS1_16scan_by_key_implILNS1_25lookback_scan_determinismE0ELb0ES3_N6thrust23THRUST_200600_302600_NS6detail15normal_iteratorINS9_10device_ptrIsEEEESE_SE_sNS9_4plusIvEENS9_8equal_toIvEEsEE10hipError_tPvRmT2_T3_T4_T5_mT6_T7_P12ihipStream_tbENKUlT_T0_E_clISt17integral_constantIbLb1EESZ_EEDaSU_SV_EUlSU_E_NS1_11comp_targetILNS1_3genE0ELNS1_11target_archE4294967295ELNS1_3gpuE0ELNS1_3repE0EEENS1_30default_config_static_selectorELNS0_4arch9wavefront6targetE0EEEvT1_.uses_flat_scratch, 0
	.set _ZN7rocprim17ROCPRIM_400000_NS6detail17trampoline_kernelINS0_14default_configENS1_27scan_by_key_config_selectorIssEEZZNS1_16scan_by_key_implILNS1_25lookback_scan_determinismE0ELb0ES3_N6thrust23THRUST_200600_302600_NS6detail15normal_iteratorINS9_10device_ptrIsEEEESE_SE_sNS9_4plusIvEENS9_8equal_toIvEEsEE10hipError_tPvRmT2_T3_T4_T5_mT6_T7_P12ihipStream_tbENKUlT_T0_E_clISt17integral_constantIbLb1EESZ_EEDaSU_SV_EUlSU_E_NS1_11comp_targetILNS1_3genE0ELNS1_11target_archE4294967295ELNS1_3gpuE0ELNS1_3repE0EEENS1_30default_config_static_selectorELNS0_4arch9wavefront6targetE0EEEvT1_.has_dyn_sized_stack, 0
	.set _ZN7rocprim17ROCPRIM_400000_NS6detail17trampoline_kernelINS0_14default_configENS1_27scan_by_key_config_selectorIssEEZZNS1_16scan_by_key_implILNS1_25lookback_scan_determinismE0ELb0ES3_N6thrust23THRUST_200600_302600_NS6detail15normal_iteratorINS9_10device_ptrIsEEEESE_SE_sNS9_4plusIvEENS9_8equal_toIvEEsEE10hipError_tPvRmT2_T3_T4_T5_mT6_T7_P12ihipStream_tbENKUlT_T0_E_clISt17integral_constantIbLb1EESZ_EEDaSU_SV_EUlSU_E_NS1_11comp_targetILNS1_3genE0ELNS1_11target_archE4294967295ELNS1_3gpuE0ELNS1_3repE0EEENS1_30default_config_static_selectorELNS0_4arch9wavefront6targetE0EEEvT1_.has_recursion, 0
	.set _ZN7rocprim17ROCPRIM_400000_NS6detail17trampoline_kernelINS0_14default_configENS1_27scan_by_key_config_selectorIssEEZZNS1_16scan_by_key_implILNS1_25lookback_scan_determinismE0ELb0ES3_N6thrust23THRUST_200600_302600_NS6detail15normal_iteratorINS9_10device_ptrIsEEEESE_SE_sNS9_4plusIvEENS9_8equal_toIvEEsEE10hipError_tPvRmT2_T3_T4_T5_mT6_T7_P12ihipStream_tbENKUlT_T0_E_clISt17integral_constantIbLb1EESZ_EEDaSU_SV_EUlSU_E_NS1_11comp_targetILNS1_3genE0ELNS1_11target_archE4294967295ELNS1_3gpuE0ELNS1_3repE0EEENS1_30default_config_static_selectorELNS0_4arch9wavefront6targetE0EEEvT1_.has_indirect_call, 0
	.section	.AMDGPU.csdata,"",@progbits
; Kernel info:
; codeLenInByte = 0
; TotalNumSgprs: 0
; NumVgprs: 0
; ScratchSize: 0
; MemoryBound: 0
; FloatMode: 240
; IeeeMode: 1
; LDSByteSize: 0 bytes/workgroup (compile time only)
; SGPRBlocks: 0
; VGPRBlocks: 0
; NumSGPRsForWavesPerEU: 1
; NumVGPRsForWavesPerEU: 1
; Occupancy: 16
; WaveLimiterHint : 0
; COMPUTE_PGM_RSRC2:SCRATCH_EN: 0
; COMPUTE_PGM_RSRC2:USER_SGPR: 6
; COMPUTE_PGM_RSRC2:TRAP_HANDLER: 0
; COMPUTE_PGM_RSRC2:TGID_X_EN: 1
; COMPUTE_PGM_RSRC2:TGID_Y_EN: 0
; COMPUTE_PGM_RSRC2:TGID_Z_EN: 0
; COMPUTE_PGM_RSRC2:TIDIG_COMP_CNT: 0
	.section	.text._ZN7rocprim17ROCPRIM_400000_NS6detail17trampoline_kernelINS0_14default_configENS1_27scan_by_key_config_selectorIssEEZZNS1_16scan_by_key_implILNS1_25lookback_scan_determinismE0ELb0ES3_N6thrust23THRUST_200600_302600_NS6detail15normal_iteratorINS9_10device_ptrIsEEEESE_SE_sNS9_4plusIvEENS9_8equal_toIvEEsEE10hipError_tPvRmT2_T3_T4_T5_mT6_T7_P12ihipStream_tbENKUlT_T0_E_clISt17integral_constantIbLb1EESZ_EEDaSU_SV_EUlSU_E_NS1_11comp_targetILNS1_3genE10ELNS1_11target_archE1201ELNS1_3gpuE5ELNS1_3repE0EEENS1_30default_config_static_selectorELNS0_4arch9wavefront6targetE0EEEvT1_,"axG",@progbits,_ZN7rocprim17ROCPRIM_400000_NS6detail17trampoline_kernelINS0_14default_configENS1_27scan_by_key_config_selectorIssEEZZNS1_16scan_by_key_implILNS1_25lookback_scan_determinismE0ELb0ES3_N6thrust23THRUST_200600_302600_NS6detail15normal_iteratorINS9_10device_ptrIsEEEESE_SE_sNS9_4plusIvEENS9_8equal_toIvEEsEE10hipError_tPvRmT2_T3_T4_T5_mT6_T7_P12ihipStream_tbENKUlT_T0_E_clISt17integral_constantIbLb1EESZ_EEDaSU_SV_EUlSU_E_NS1_11comp_targetILNS1_3genE10ELNS1_11target_archE1201ELNS1_3gpuE5ELNS1_3repE0EEENS1_30default_config_static_selectorELNS0_4arch9wavefront6targetE0EEEvT1_,comdat
	.protected	_ZN7rocprim17ROCPRIM_400000_NS6detail17trampoline_kernelINS0_14default_configENS1_27scan_by_key_config_selectorIssEEZZNS1_16scan_by_key_implILNS1_25lookback_scan_determinismE0ELb0ES3_N6thrust23THRUST_200600_302600_NS6detail15normal_iteratorINS9_10device_ptrIsEEEESE_SE_sNS9_4plusIvEENS9_8equal_toIvEEsEE10hipError_tPvRmT2_T3_T4_T5_mT6_T7_P12ihipStream_tbENKUlT_T0_E_clISt17integral_constantIbLb1EESZ_EEDaSU_SV_EUlSU_E_NS1_11comp_targetILNS1_3genE10ELNS1_11target_archE1201ELNS1_3gpuE5ELNS1_3repE0EEENS1_30default_config_static_selectorELNS0_4arch9wavefront6targetE0EEEvT1_ ; -- Begin function _ZN7rocprim17ROCPRIM_400000_NS6detail17trampoline_kernelINS0_14default_configENS1_27scan_by_key_config_selectorIssEEZZNS1_16scan_by_key_implILNS1_25lookback_scan_determinismE0ELb0ES3_N6thrust23THRUST_200600_302600_NS6detail15normal_iteratorINS9_10device_ptrIsEEEESE_SE_sNS9_4plusIvEENS9_8equal_toIvEEsEE10hipError_tPvRmT2_T3_T4_T5_mT6_T7_P12ihipStream_tbENKUlT_T0_E_clISt17integral_constantIbLb1EESZ_EEDaSU_SV_EUlSU_E_NS1_11comp_targetILNS1_3genE10ELNS1_11target_archE1201ELNS1_3gpuE5ELNS1_3repE0EEENS1_30default_config_static_selectorELNS0_4arch9wavefront6targetE0EEEvT1_
	.globl	_ZN7rocprim17ROCPRIM_400000_NS6detail17trampoline_kernelINS0_14default_configENS1_27scan_by_key_config_selectorIssEEZZNS1_16scan_by_key_implILNS1_25lookback_scan_determinismE0ELb0ES3_N6thrust23THRUST_200600_302600_NS6detail15normal_iteratorINS9_10device_ptrIsEEEESE_SE_sNS9_4plusIvEENS9_8equal_toIvEEsEE10hipError_tPvRmT2_T3_T4_T5_mT6_T7_P12ihipStream_tbENKUlT_T0_E_clISt17integral_constantIbLb1EESZ_EEDaSU_SV_EUlSU_E_NS1_11comp_targetILNS1_3genE10ELNS1_11target_archE1201ELNS1_3gpuE5ELNS1_3repE0EEENS1_30default_config_static_selectorELNS0_4arch9wavefront6targetE0EEEvT1_
	.p2align	8
	.type	_ZN7rocprim17ROCPRIM_400000_NS6detail17trampoline_kernelINS0_14default_configENS1_27scan_by_key_config_selectorIssEEZZNS1_16scan_by_key_implILNS1_25lookback_scan_determinismE0ELb0ES3_N6thrust23THRUST_200600_302600_NS6detail15normal_iteratorINS9_10device_ptrIsEEEESE_SE_sNS9_4plusIvEENS9_8equal_toIvEEsEE10hipError_tPvRmT2_T3_T4_T5_mT6_T7_P12ihipStream_tbENKUlT_T0_E_clISt17integral_constantIbLb1EESZ_EEDaSU_SV_EUlSU_E_NS1_11comp_targetILNS1_3genE10ELNS1_11target_archE1201ELNS1_3gpuE5ELNS1_3repE0EEENS1_30default_config_static_selectorELNS0_4arch9wavefront6targetE0EEEvT1_,@function
_ZN7rocprim17ROCPRIM_400000_NS6detail17trampoline_kernelINS0_14default_configENS1_27scan_by_key_config_selectorIssEEZZNS1_16scan_by_key_implILNS1_25lookback_scan_determinismE0ELb0ES3_N6thrust23THRUST_200600_302600_NS6detail15normal_iteratorINS9_10device_ptrIsEEEESE_SE_sNS9_4plusIvEENS9_8equal_toIvEEsEE10hipError_tPvRmT2_T3_T4_T5_mT6_T7_P12ihipStream_tbENKUlT_T0_E_clISt17integral_constantIbLb1EESZ_EEDaSU_SV_EUlSU_E_NS1_11comp_targetILNS1_3genE10ELNS1_11target_archE1201ELNS1_3gpuE5ELNS1_3repE0EEENS1_30default_config_static_selectorELNS0_4arch9wavefront6targetE0EEEvT1_: ; @_ZN7rocprim17ROCPRIM_400000_NS6detail17trampoline_kernelINS0_14default_configENS1_27scan_by_key_config_selectorIssEEZZNS1_16scan_by_key_implILNS1_25lookback_scan_determinismE0ELb0ES3_N6thrust23THRUST_200600_302600_NS6detail15normal_iteratorINS9_10device_ptrIsEEEESE_SE_sNS9_4plusIvEENS9_8equal_toIvEEsEE10hipError_tPvRmT2_T3_T4_T5_mT6_T7_P12ihipStream_tbENKUlT_T0_E_clISt17integral_constantIbLb1EESZ_EEDaSU_SV_EUlSU_E_NS1_11comp_targetILNS1_3genE10ELNS1_11target_archE1201ELNS1_3gpuE5ELNS1_3repE0EEENS1_30default_config_static_selectorELNS0_4arch9wavefront6targetE0EEEvT1_
; %bb.0:
	.section	.rodata,"a",@progbits
	.p2align	6, 0x0
	.amdhsa_kernel _ZN7rocprim17ROCPRIM_400000_NS6detail17trampoline_kernelINS0_14default_configENS1_27scan_by_key_config_selectorIssEEZZNS1_16scan_by_key_implILNS1_25lookback_scan_determinismE0ELb0ES3_N6thrust23THRUST_200600_302600_NS6detail15normal_iteratorINS9_10device_ptrIsEEEESE_SE_sNS9_4plusIvEENS9_8equal_toIvEEsEE10hipError_tPvRmT2_T3_T4_T5_mT6_T7_P12ihipStream_tbENKUlT_T0_E_clISt17integral_constantIbLb1EESZ_EEDaSU_SV_EUlSU_E_NS1_11comp_targetILNS1_3genE10ELNS1_11target_archE1201ELNS1_3gpuE5ELNS1_3repE0EEENS1_30default_config_static_selectorELNS0_4arch9wavefront6targetE0EEEvT1_
		.amdhsa_group_segment_fixed_size 0
		.amdhsa_private_segment_fixed_size 0
		.amdhsa_kernarg_size 112
		.amdhsa_user_sgpr_count 6
		.amdhsa_user_sgpr_private_segment_buffer 1
		.amdhsa_user_sgpr_dispatch_ptr 0
		.amdhsa_user_sgpr_queue_ptr 0
		.amdhsa_user_sgpr_kernarg_segment_ptr 1
		.amdhsa_user_sgpr_dispatch_id 0
		.amdhsa_user_sgpr_flat_scratch_init 0
		.amdhsa_user_sgpr_private_segment_size 0
		.amdhsa_wavefront_size32 1
		.amdhsa_uses_dynamic_stack 0
		.amdhsa_system_sgpr_private_segment_wavefront_offset 0
		.amdhsa_system_sgpr_workgroup_id_x 1
		.amdhsa_system_sgpr_workgroup_id_y 0
		.amdhsa_system_sgpr_workgroup_id_z 0
		.amdhsa_system_sgpr_workgroup_info 0
		.amdhsa_system_vgpr_workitem_id 0
		.amdhsa_next_free_vgpr 1
		.amdhsa_next_free_sgpr 1
		.amdhsa_reserve_vcc 0
		.amdhsa_reserve_flat_scratch 0
		.amdhsa_float_round_mode_32 0
		.amdhsa_float_round_mode_16_64 0
		.amdhsa_float_denorm_mode_32 3
		.amdhsa_float_denorm_mode_16_64 3
		.amdhsa_dx10_clamp 1
		.amdhsa_ieee_mode 1
		.amdhsa_fp16_overflow 0
		.amdhsa_workgroup_processor_mode 1
		.amdhsa_memory_ordered 1
		.amdhsa_forward_progress 1
		.amdhsa_shared_vgpr_count 0
		.amdhsa_exception_fp_ieee_invalid_op 0
		.amdhsa_exception_fp_denorm_src 0
		.amdhsa_exception_fp_ieee_div_zero 0
		.amdhsa_exception_fp_ieee_overflow 0
		.amdhsa_exception_fp_ieee_underflow 0
		.amdhsa_exception_fp_ieee_inexact 0
		.amdhsa_exception_int_div_zero 0
	.end_amdhsa_kernel
	.section	.text._ZN7rocprim17ROCPRIM_400000_NS6detail17trampoline_kernelINS0_14default_configENS1_27scan_by_key_config_selectorIssEEZZNS1_16scan_by_key_implILNS1_25lookback_scan_determinismE0ELb0ES3_N6thrust23THRUST_200600_302600_NS6detail15normal_iteratorINS9_10device_ptrIsEEEESE_SE_sNS9_4plusIvEENS9_8equal_toIvEEsEE10hipError_tPvRmT2_T3_T4_T5_mT6_T7_P12ihipStream_tbENKUlT_T0_E_clISt17integral_constantIbLb1EESZ_EEDaSU_SV_EUlSU_E_NS1_11comp_targetILNS1_3genE10ELNS1_11target_archE1201ELNS1_3gpuE5ELNS1_3repE0EEENS1_30default_config_static_selectorELNS0_4arch9wavefront6targetE0EEEvT1_,"axG",@progbits,_ZN7rocprim17ROCPRIM_400000_NS6detail17trampoline_kernelINS0_14default_configENS1_27scan_by_key_config_selectorIssEEZZNS1_16scan_by_key_implILNS1_25lookback_scan_determinismE0ELb0ES3_N6thrust23THRUST_200600_302600_NS6detail15normal_iteratorINS9_10device_ptrIsEEEESE_SE_sNS9_4plusIvEENS9_8equal_toIvEEsEE10hipError_tPvRmT2_T3_T4_T5_mT6_T7_P12ihipStream_tbENKUlT_T0_E_clISt17integral_constantIbLb1EESZ_EEDaSU_SV_EUlSU_E_NS1_11comp_targetILNS1_3genE10ELNS1_11target_archE1201ELNS1_3gpuE5ELNS1_3repE0EEENS1_30default_config_static_selectorELNS0_4arch9wavefront6targetE0EEEvT1_,comdat
.Lfunc_end251:
	.size	_ZN7rocprim17ROCPRIM_400000_NS6detail17trampoline_kernelINS0_14default_configENS1_27scan_by_key_config_selectorIssEEZZNS1_16scan_by_key_implILNS1_25lookback_scan_determinismE0ELb0ES3_N6thrust23THRUST_200600_302600_NS6detail15normal_iteratorINS9_10device_ptrIsEEEESE_SE_sNS9_4plusIvEENS9_8equal_toIvEEsEE10hipError_tPvRmT2_T3_T4_T5_mT6_T7_P12ihipStream_tbENKUlT_T0_E_clISt17integral_constantIbLb1EESZ_EEDaSU_SV_EUlSU_E_NS1_11comp_targetILNS1_3genE10ELNS1_11target_archE1201ELNS1_3gpuE5ELNS1_3repE0EEENS1_30default_config_static_selectorELNS0_4arch9wavefront6targetE0EEEvT1_, .Lfunc_end251-_ZN7rocprim17ROCPRIM_400000_NS6detail17trampoline_kernelINS0_14default_configENS1_27scan_by_key_config_selectorIssEEZZNS1_16scan_by_key_implILNS1_25lookback_scan_determinismE0ELb0ES3_N6thrust23THRUST_200600_302600_NS6detail15normal_iteratorINS9_10device_ptrIsEEEESE_SE_sNS9_4plusIvEENS9_8equal_toIvEEsEE10hipError_tPvRmT2_T3_T4_T5_mT6_T7_P12ihipStream_tbENKUlT_T0_E_clISt17integral_constantIbLb1EESZ_EEDaSU_SV_EUlSU_E_NS1_11comp_targetILNS1_3genE10ELNS1_11target_archE1201ELNS1_3gpuE5ELNS1_3repE0EEENS1_30default_config_static_selectorELNS0_4arch9wavefront6targetE0EEEvT1_
                                        ; -- End function
	.set _ZN7rocprim17ROCPRIM_400000_NS6detail17trampoline_kernelINS0_14default_configENS1_27scan_by_key_config_selectorIssEEZZNS1_16scan_by_key_implILNS1_25lookback_scan_determinismE0ELb0ES3_N6thrust23THRUST_200600_302600_NS6detail15normal_iteratorINS9_10device_ptrIsEEEESE_SE_sNS9_4plusIvEENS9_8equal_toIvEEsEE10hipError_tPvRmT2_T3_T4_T5_mT6_T7_P12ihipStream_tbENKUlT_T0_E_clISt17integral_constantIbLb1EESZ_EEDaSU_SV_EUlSU_E_NS1_11comp_targetILNS1_3genE10ELNS1_11target_archE1201ELNS1_3gpuE5ELNS1_3repE0EEENS1_30default_config_static_selectorELNS0_4arch9wavefront6targetE0EEEvT1_.num_vgpr, 0
	.set _ZN7rocprim17ROCPRIM_400000_NS6detail17trampoline_kernelINS0_14default_configENS1_27scan_by_key_config_selectorIssEEZZNS1_16scan_by_key_implILNS1_25lookback_scan_determinismE0ELb0ES3_N6thrust23THRUST_200600_302600_NS6detail15normal_iteratorINS9_10device_ptrIsEEEESE_SE_sNS9_4plusIvEENS9_8equal_toIvEEsEE10hipError_tPvRmT2_T3_T4_T5_mT6_T7_P12ihipStream_tbENKUlT_T0_E_clISt17integral_constantIbLb1EESZ_EEDaSU_SV_EUlSU_E_NS1_11comp_targetILNS1_3genE10ELNS1_11target_archE1201ELNS1_3gpuE5ELNS1_3repE0EEENS1_30default_config_static_selectorELNS0_4arch9wavefront6targetE0EEEvT1_.num_agpr, 0
	.set _ZN7rocprim17ROCPRIM_400000_NS6detail17trampoline_kernelINS0_14default_configENS1_27scan_by_key_config_selectorIssEEZZNS1_16scan_by_key_implILNS1_25lookback_scan_determinismE0ELb0ES3_N6thrust23THRUST_200600_302600_NS6detail15normal_iteratorINS9_10device_ptrIsEEEESE_SE_sNS9_4plusIvEENS9_8equal_toIvEEsEE10hipError_tPvRmT2_T3_T4_T5_mT6_T7_P12ihipStream_tbENKUlT_T0_E_clISt17integral_constantIbLb1EESZ_EEDaSU_SV_EUlSU_E_NS1_11comp_targetILNS1_3genE10ELNS1_11target_archE1201ELNS1_3gpuE5ELNS1_3repE0EEENS1_30default_config_static_selectorELNS0_4arch9wavefront6targetE0EEEvT1_.numbered_sgpr, 0
	.set _ZN7rocprim17ROCPRIM_400000_NS6detail17trampoline_kernelINS0_14default_configENS1_27scan_by_key_config_selectorIssEEZZNS1_16scan_by_key_implILNS1_25lookback_scan_determinismE0ELb0ES3_N6thrust23THRUST_200600_302600_NS6detail15normal_iteratorINS9_10device_ptrIsEEEESE_SE_sNS9_4plusIvEENS9_8equal_toIvEEsEE10hipError_tPvRmT2_T3_T4_T5_mT6_T7_P12ihipStream_tbENKUlT_T0_E_clISt17integral_constantIbLb1EESZ_EEDaSU_SV_EUlSU_E_NS1_11comp_targetILNS1_3genE10ELNS1_11target_archE1201ELNS1_3gpuE5ELNS1_3repE0EEENS1_30default_config_static_selectorELNS0_4arch9wavefront6targetE0EEEvT1_.num_named_barrier, 0
	.set _ZN7rocprim17ROCPRIM_400000_NS6detail17trampoline_kernelINS0_14default_configENS1_27scan_by_key_config_selectorIssEEZZNS1_16scan_by_key_implILNS1_25lookback_scan_determinismE0ELb0ES3_N6thrust23THRUST_200600_302600_NS6detail15normal_iteratorINS9_10device_ptrIsEEEESE_SE_sNS9_4plusIvEENS9_8equal_toIvEEsEE10hipError_tPvRmT2_T3_T4_T5_mT6_T7_P12ihipStream_tbENKUlT_T0_E_clISt17integral_constantIbLb1EESZ_EEDaSU_SV_EUlSU_E_NS1_11comp_targetILNS1_3genE10ELNS1_11target_archE1201ELNS1_3gpuE5ELNS1_3repE0EEENS1_30default_config_static_selectorELNS0_4arch9wavefront6targetE0EEEvT1_.private_seg_size, 0
	.set _ZN7rocprim17ROCPRIM_400000_NS6detail17trampoline_kernelINS0_14default_configENS1_27scan_by_key_config_selectorIssEEZZNS1_16scan_by_key_implILNS1_25lookback_scan_determinismE0ELb0ES3_N6thrust23THRUST_200600_302600_NS6detail15normal_iteratorINS9_10device_ptrIsEEEESE_SE_sNS9_4plusIvEENS9_8equal_toIvEEsEE10hipError_tPvRmT2_T3_T4_T5_mT6_T7_P12ihipStream_tbENKUlT_T0_E_clISt17integral_constantIbLb1EESZ_EEDaSU_SV_EUlSU_E_NS1_11comp_targetILNS1_3genE10ELNS1_11target_archE1201ELNS1_3gpuE5ELNS1_3repE0EEENS1_30default_config_static_selectorELNS0_4arch9wavefront6targetE0EEEvT1_.uses_vcc, 0
	.set _ZN7rocprim17ROCPRIM_400000_NS6detail17trampoline_kernelINS0_14default_configENS1_27scan_by_key_config_selectorIssEEZZNS1_16scan_by_key_implILNS1_25lookback_scan_determinismE0ELb0ES3_N6thrust23THRUST_200600_302600_NS6detail15normal_iteratorINS9_10device_ptrIsEEEESE_SE_sNS9_4plusIvEENS9_8equal_toIvEEsEE10hipError_tPvRmT2_T3_T4_T5_mT6_T7_P12ihipStream_tbENKUlT_T0_E_clISt17integral_constantIbLb1EESZ_EEDaSU_SV_EUlSU_E_NS1_11comp_targetILNS1_3genE10ELNS1_11target_archE1201ELNS1_3gpuE5ELNS1_3repE0EEENS1_30default_config_static_selectorELNS0_4arch9wavefront6targetE0EEEvT1_.uses_flat_scratch, 0
	.set _ZN7rocprim17ROCPRIM_400000_NS6detail17trampoline_kernelINS0_14default_configENS1_27scan_by_key_config_selectorIssEEZZNS1_16scan_by_key_implILNS1_25lookback_scan_determinismE0ELb0ES3_N6thrust23THRUST_200600_302600_NS6detail15normal_iteratorINS9_10device_ptrIsEEEESE_SE_sNS9_4plusIvEENS9_8equal_toIvEEsEE10hipError_tPvRmT2_T3_T4_T5_mT6_T7_P12ihipStream_tbENKUlT_T0_E_clISt17integral_constantIbLb1EESZ_EEDaSU_SV_EUlSU_E_NS1_11comp_targetILNS1_3genE10ELNS1_11target_archE1201ELNS1_3gpuE5ELNS1_3repE0EEENS1_30default_config_static_selectorELNS0_4arch9wavefront6targetE0EEEvT1_.has_dyn_sized_stack, 0
	.set _ZN7rocprim17ROCPRIM_400000_NS6detail17trampoline_kernelINS0_14default_configENS1_27scan_by_key_config_selectorIssEEZZNS1_16scan_by_key_implILNS1_25lookback_scan_determinismE0ELb0ES3_N6thrust23THRUST_200600_302600_NS6detail15normal_iteratorINS9_10device_ptrIsEEEESE_SE_sNS9_4plusIvEENS9_8equal_toIvEEsEE10hipError_tPvRmT2_T3_T4_T5_mT6_T7_P12ihipStream_tbENKUlT_T0_E_clISt17integral_constantIbLb1EESZ_EEDaSU_SV_EUlSU_E_NS1_11comp_targetILNS1_3genE10ELNS1_11target_archE1201ELNS1_3gpuE5ELNS1_3repE0EEENS1_30default_config_static_selectorELNS0_4arch9wavefront6targetE0EEEvT1_.has_recursion, 0
	.set _ZN7rocprim17ROCPRIM_400000_NS6detail17trampoline_kernelINS0_14default_configENS1_27scan_by_key_config_selectorIssEEZZNS1_16scan_by_key_implILNS1_25lookback_scan_determinismE0ELb0ES3_N6thrust23THRUST_200600_302600_NS6detail15normal_iteratorINS9_10device_ptrIsEEEESE_SE_sNS9_4plusIvEENS9_8equal_toIvEEsEE10hipError_tPvRmT2_T3_T4_T5_mT6_T7_P12ihipStream_tbENKUlT_T0_E_clISt17integral_constantIbLb1EESZ_EEDaSU_SV_EUlSU_E_NS1_11comp_targetILNS1_3genE10ELNS1_11target_archE1201ELNS1_3gpuE5ELNS1_3repE0EEENS1_30default_config_static_selectorELNS0_4arch9wavefront6targetE0EEEvT1_.has_indirect_call, 0
	.section	.AMDGPU.csdata,"",@progbits
; Kernel info:
; codeLenInByte = 0
; TotalNumSgprs: 0
; NumVgprs: 0
; ScratchSize: 0
; MemoryBound: 0
; FloatMode: 240
; IeeeMode: 1
; LDSByteSize: 0 bytes/workgroup (compile time only)
; SGPRBlocks: 0
; VGPRBlocks: 0
; NumSGPRsForWavesPerEU: 1
; NumVGPRsForWavesPerEU: 1
; Occupancy: 16
; WaveLimiterHint : 0
; COMPUTE_PGM_RSRC2:SCRATCH_EN: 0
; COMPUTE_PGM_RSRC2:USER_SGPR: 6
; COMPUTE_PGM_RSRC2:TRAP_HANDLER: 0
; COMPUTE_PGM_RSRC2:TGID_X_EN: 1
; COMPUTE_PGM_RSRC2:TGID_Y_EN: 0
; COMPUTE_PGM_RSRC2:TGID_Z_EN: 0
; COMPUTE_PGM_RSRC2:TIDIG_COMP_CNT: 0
	.section	.text._ZN7rocprim17ROCPRIM_400000_NS6detail17trampoline_kernelINS0_14default_configENS1_27scan_by_key_config_selectorIssEEZZNS1_16scan_by_key_implILNS1_25lookback_scan_determinismE0ELb0ES3_N6thrust23THRUST_200600_302600_NS6detail15normal_iteratorINS9_10device_ptrIsEEEESE_SE_sNS9_4plusIvEENS9_8equal_toIvEEsEE10hipError_tPvRmT2_T3_T4_T5_mT6_T7_P12ihipStream_tbENKUlT_T0_E_clISt17integral_constantIbLb1EESZ_EEDaSU_SV_EUlSU_E_NS1_11comp_targetILNS1_3genE5ELNS1_11target_archE942ELNS1_3gpuE9ELNS1_3repE0EEENS1_30default_config_static_selectorELNS0_4arch9wavefront6targetE0EEEvT1_,"axG",@progbits,_ZN7rocprim17ROCPRIM_400000_NS6detail17trampoline_kernelINS0_14default_configENS1_27scan_by_key_config_selectorIssEEZZNS1_16scan_by_key_implILNS1_25lookback_scan_determinismE0ELb0ES3_N6thrust23THRUST_200600_302600_NS6detail15normal_iteratorINS9_10device_ptrIsEEEESE_SE_sNS9_4plusIvEENS9_8equal_toIvEEsEE10hipError_tPvRmT2_T3_T4_T5_mT6_T7_P12ihipStream_tbENKUlT_T0_E_clISt17integral_constantIbLb1EESZ_EEDaSU_SV_EUlSU_E_NS1_11comp_targetILNS1_3genE5ELNS1_11target_archE942ELNS1_3gpuE9ELNS1_3repE0EEENS1_30default_config_static_selectorELNS0_4arch9wavefront6targetE0EEEvT1_,comdat
	.protected	_ZN7rocprim17ROCPRIM_400000_NS6detail17trampoline_kernelINS0_14default_configENS1_27scan_by_key_config_selectorIssEEZZNS1_16scan_by_key_implILNS1_25lookback_scan_determinismE0ELb0ES3_N6thrust23THRUST_200600_302600_NS6detail15normal_iteratorINS9_10device_ptrIsEEEESE_SE_sNS9_4plusIvEENS9_8equal_toIvEEsEE10hipError_tPvRmT2_T3_T4_T5_mT6_T7_P12ihipStream_tbENKUlT_T0_E_clISt17integral_constantIbLb1EESZ_EEDaSU_SV_EUlSU_E_NS1_11comp_targetILNS1_3genE5ELNS1_11target_archE942ELNS1_3gpuE9ELNS1_3repE0EEENS1_30default_config_static_selectorELNS0_4arch9wavefront6targetE0EEEvT1_ ; -- Begin function _ZN7rocprim17ROCPRIM_400000_NS6detail17trampoline_kernelINS0_14default_configENS1_27scan_by_key_config_selectorIssEEZZNS1_16scan_by_key_implILNS1_25lookback_scan_determinismE0ELb0ES3_N6thrust23THRUST_200600_302600_NS6detail15normal_iteratorINS9_10device_ptrIsEEEESE_SE_sNS9_4plusIvEENS9_8equal_toIvEEsEE10hipError_tPvRmT2_T3_T4_T5_mT6_T7_P12ihipStream_tbENKUlT_T0_E_clISt17integral_constantIbLb1EESZ_EEDaSU_SV_EUlSU_E_NS1_11comp_targetILNS1_3genE5ELNS1_11target_archE942ELNS1_3gpuE9ELNS1_3repE0EEENS1_30default_config_static_selectorELNS0_4arch9wavefront6targetE0EEEvT1_
	.globl	_ZN7rocprim17ROCPRIM_400000_NS6detail17trampoline_kernelINS0_14default_configENS1_27scan_by_key_config_selectorIssEEZZNS1_16scan_by_key_implILNS1_25lookback_scan_determinismE0ELb0ES3_N6thrust23THRUST_200600_302600_NS6detail15normal_iteratorINS9_10device_ptrIsEEEESE_SE_sNS9_4plusIvEENS9_8equal_toIvEEsEE10hipError_tPvRmT2_T3_T4_T5_mT6_T7_P12ihipStream_tbENKUlT_T0_E_clISt17integral_constantIbLb1EESZ_EEDaSU_SV_EUlSU_E_NS1_11comp_targetILNS1_3genE5ELNS1_11target_archE942ELNS1_3gpuE9ELNS1_3repE0EEENS1_30default_config_static_selectorELNS0_4arch9wavefront6targetE0EEEvT1_
	.p2align	8
	.type	_ZN7rocprim17ROCPRIM_400000_NS6detail17trampoline_kernelINS0_14default_configENS1_27scan_by_key_config_selectorIssEEZZNS1_16scan_by_key_implILNS1_25lookback_scan_determinismE0ELb0ES3_N6thrust23THRUST_200600_302600_NS6detail15normal_iteratorINS9_10device_ptrIsEEEESE_SE_sNS9_4plusIvEENS9_8equal_toIvEEsEE10hipError_tPvRmT2_T3_T4_T5_mT6_T7_P12ihipStream_tbENKUlT_T0_E_clISt17integral_constantIbLb1EESZ_EEDaSU_SV_EUlSU_E_NS1_11comp_targetILNS1_3genE5ELNS1_11target_archE942ELNS1_3gpuE9ELNS1_3repE0EEENS1_30default_config_static_selectorELNS0_4arch9wavefront6targetE0EEEvT1_,@function
_ZN7rocprim17ROCPRIM_400000_NS6detail17trampoline_kernelINS0_14default_configENS1_27scan_by_key_config_selectorIssEEZZNS1_16scan_by_key_implILNS1_25lookback_scan_determinismE0ELb0ES3_N6thrust23THRUST_200600_302600_NS6detail15normal_iteratorINS9_10device_ptrIsEEEESE_SE_sNS9_4plusIvEENS9_8equal_toIvEEsEE10hipError_tPvRmT2_T3_T4_T5_mT6_T7_P12ihipStream_tbENKUlT_T0_E_clISt17integral_constantIbLb1EESZ_EEDaSU_SV_EUlSU_E_NS1_11comp_targetILNS1_3genE5ELNS1_11target_archE942ELNS1_3gpuE9ELNS1_3repE0EEENS1_30default_config_static_selectorELNS0_4arch9wavefront6targetE0EEEvT1_: ; @_ZN7rocprim17ROCPRIM_400000_NS6detail17trampoline_kernelINS0_14default_configENS1_27scan_by_key_config_selectorIssEEZZNS1_16scan_by_key_implILNS1_25lookback_scan_determinismE0ELb0ES3_N6thrust23THRUST_200600_302600_NS6detail15normal_iteratorINS9_10device_ptrIsEEEESE_SE_sNS9_4plusIvEENS9_8equal_toIvEEsEE10hipError_tPvRmT2_T3_T4_T5_mT6_T7_P12ihipStream_tbENKUlT_T0_E_clISt17integral_constantIbLb1EESZ_EEDaSU_SV_EUlSU_E_NS1_11comp_targetILNS1_3genE5ELNS1_11target_archE942ELNS1_3gpuE9ELNS1_3repE0EEENS1_30default_config_static_selectorELNS0_4arch9wavefront6targetE0EEEvT1_
; %bb.0:
	.section	.rodata,"a",@progbits
	.p2align	6, 0x0
	.amdhsa_kernel _ZN7rocprim17ROCPRIM_400000_NS6detail17trampoline_kernelINS0_14default_configENS1_27scan_by_key_config_selectorIssEEZZNS1_16scan_by_key_implILNS1_25lookback_scan_determinismE0ELb0ES3_N6thrust23THRUST_200600_302600_NS6detail15normal_iteratorINS9_10device_ptrIsEEEESE_SE_sNS9_4plusIvEENS9_8equal_toIvEEsEE10hipError_tPvRmT2_T3_T4_T5_mT6_T7_P12ihipStream_tbENKUlT_T0_E_clISt17integral_constantIbLb1EESZ_EEDaSU_SV_EUlSU_E_NS1_11comp_targetILNS1_3genE5ELNS1_11target_archE942ELNS1_3gpuE9ELNS1_3repE0EEENS1_30default_config_static_selectorELNS0_4arch9wavefront6targetE0EEEvT1_
		.amdhsa_group_segment_fixed_size 0
		.amdhsa_private_segment_fixed_size 0
		.amdhsa_kernarg_size 112
		.amdhsa_user_sgpr_count 6
		.amdhsa_user_sgpr_private_segment_buffer 1
		.amdhsa_user_sgpr_dispatch_ptr 0
		.amdhsa_user_sgpr_queue_ptr 0
		.amdhsa_user_sgpr_kernarg_segment_ptr 1
		.amdhsa_user_sgpr_dispatch_id 0
		.amdhsa_user_sgpr_flat_scratch_init 0
		.amdhsa_user_sgpr_private_segment_size 0
		.amdhsa_wavefront_size32 1
		.amdhsa_uses_dynamic_stack 0
		.amdhsa_system_sgpr_private_segment_wavefront_offset 0
		.amdhsa_system_sgpr_workgroup_id_x 1
		.amdhsa_system_sgpr_workgroup_id_y 0
		.amdhsa_system_sgpr_workgroup_id_z 0
		.amdhsa_system_sgpr_workgroup_info 0
		.amdhsa_system_vgpr_workitem_id 0
		.amdhsa_next_free_vgpr 1
		.amdhsa_next_free_sgpr 1
		.amdhsa_reserve_vcc 0
		.amdhsa_reserve_flat_scratch 0
		.amdhsa_float_round_mode_32 0
		.amdhsa_float_round_mode_16_64 0
		.amdhsa_float_denorm_mode_32 3
		.amdhsa_float_denorm_mode_16_64 3
		.amdhsa_dx10_clamp 1
		.amdhsa_ieee_mode 1
		.amdhsa_fp16_overflow 0
		.amdhsa_workgroup_processor_mode 1
		.amdhsa_memory_ordered 1
		.amdhsa_forward_progress 1
		.amdhsa_shared_vgpr_count 0
		.amdhsa_exception_fp_ieee_invalid_op 0
		.amdhsa_exception_fp_denorm_src 0
		.amdhsa_exception_fp_ieee_div_zero 0
		.amdhsa_exception_fp_ieee_overflow 0
		.amdhsa_exception_fp_ieee_underflow 0
		.amdhsa_exception_fp_ieee_inexact 0
		.amdhsa_exception_int_div_zero 0
	.end_amdhsa_kernel
	.section	.text._ZN7rocprim17ROCPRIM_400000_NS6detail17trampoline_kernelINS0_14default_configENS1_27scan_by_key_config_selectorIssEEZZNS1_16scan_by_key_implILNS1_25lookback_scan_determinismE0ELb0ES3_N6thrust23THRUST_200600_302600_NS6detail15normal_iteratorINS9_10device_ptrIsEEEESE_SE_sNS9_4plusIvEENS9_8equal_toIvEEsEE10hipError_tPvRmT2_T3_T4_T5_mT6_T7_P12ihipStream_tbENKUlT_T0_E_clISt17integral_constantIbLb1EESZ_EEDaSU_SV_EUlSU_E_NS1_11comp_targetILNS1_3genE5ELNS1_11target_archE942ELNS1_3gpuE9ELNS1_3repE0EEENS1_30default_config_static_selectorELNS0_4arch9wavefront6targetE0EEEvT1_,"axG",@progbits,_ZN7rocprim17ROCPRIM_400000_NS6detail17trampoline_kernelINS0_14default_configENS1_27scan_by_key_config_selectorIssEEZZNS1_16scan_by_key_implILNS1_25lookback_scan_determinismE0ELb0ES3_N6thrust23THRUST_200600_302600_NS6detail15normal_iteratorINS9_10device_ptrIsEEEESE_SE_sNS9_4plusIvEENS9_8equal_toIvEEsEE10hipError_tPvRmT2_T3_T4_T5_mT6_T7_P12ihipStream_tbENKUlT_T0_E_clISt17integral_constantIbLb1EESZ_EEDaSU_SV_EUlSU_E_NS1_11comp_targetILNS1_3genE5ELNS1_11target_archE942ELNS1_3gpuE9ELNS1_3repE0EEENS1_30default_config_static_selectorELNS0_4arch9wavefront6targetE0EEEvT1_,comdat
.Lfunc_end252:
	.size	_ZN7rocprim17ROCPRIM_400000_NS6detail17trampoline_kernelINS0_14default_configENS1_27scan_by_key_config_selectorIssEEZZNS1_16scan_by_key_implILNS1_25lookback_scan_determinismE0ELb0ES3_N6thrust23THRUST_200600_302600_NS6detail15normal_iteratorINS9_10device_ptrIsEEEESE_SE_sNS9_4plusIvEENS9_8equal_toIvEEsEE10hipError_tPvRmT2_T3_T4_T5_mT6_T7_P12ihipStream_tbENKUlT_T0_E_clISt17integral_constantIbLb1EESZ_EEDaSU_SV_EUlSU_E_NS1_11comp_targetILNS1_3genE5ELNS1_11target_archE942ELNS1_3gpuE9ELNS1_3repE0EEENS1_30default_config_static_selectorELNS0_4arch9wavefront6targetE0EEEvT1_, .Lfunc_end252-_ZN7rocprim17ROCPRIM_400000_NS6detail17trampoline_kernelINS0_14default_configENS1_27scan_by_key_config_selectorIssEEZZNS1_16scan_by_key_implILNS1_25lookback_scan_determinismE0ELb0ES3_N6thrust23THRUST_200600_302600_NS6detail15normal_iteratorINS9_10device_ptrIsEEEESE_SE_sNS9_4plusIvEENS9_8equal_toIvEEsEE10hipError_tPvRmT2_T3_T4_T5_mT6_T7_P12ihipStream_tbENKUlT_T0_E_clISt17integral_constantIbLb1EESZ_EEDaSU_SV_EUlSU_E_NS1_11comp_targetILNS1_3genE5ELNS1_11target_archE942ELNS1_3gpuE9ELNS1_3repE0EEENS1_30default_config_static_selectorELNS0_4arch9wavefront6targetE0EEEvT1_
                                        ; -- End function
	.set _ZN7rocprim17ROCPRIM_400000_NS6detail17trampoline_kernelINS0_14default_configENS1_27scan_by_key_config_selectorIssEEZZNS1_16scan_by_key_implILNS1_25lookback_scan_determinismE0ELb0ES3_N6thrust23THRUST_200600_302600_NS6detail15normal_iteratorINS9_10device_ptrIsEEEESE_SE_sNS9_4plusIvEENS9_8equal_toIvEEsEE10hipError_tPvRmT2_T3_T4_T5_mT6_T7_P12ihipStream_tbENKUlT_T0_E_clISt17integral_constantIbLb1EESZ_EEDaSU_SV_EUlSU_E_NS1_11comp_targetILNS1_3genE5ELNS1_11target_archE942ELNS1_3gpuE9ELNS1_3repE0EEENS1_30default_config_static_selectorELNS0_4arch9wavefront6targetE0EEEvT1_.num_vgpr, 0
	.set _ZN7rocprim17ROCPRIM_400000_NS6detail17trampoline_kernelINS0_14default_configENS1_27scan_by_key_config_selectorIssEEZZNS1_16scan_by_key_implILNS1_25lookback_scan_determinismE0ELb0ES3_N6thrust23THRUST_200600_302600_NS6detail15normal_iteratorINS9_10device_ptrIsEEEESE_SE_sNS9_4plusIvEENS9_8equal_toIvEEsEE10hipError_tPvRmT2_T3_T4_T5_mT6_T7_P12ihipStream_tbENKUlT_T0_E_clISt17integral_constantIbLb1EESZ_EEDaSU_SV_EUlSU_E_NS1_11comp_targetILNS1_3genE5ELNS1_11target_archE942ELNS1_3gpuE9ELNS1_3repE0EEENS1_30default_config_static_selectorELNS0_4arch9wavefront6targetE0EEEvT1_.num_agpr, 0
	.set _ZN7rocprim17ROCPRIM_400000_NS6detail17trampoline_kernelINS0_14default_configENS1_27scan_by_key_config_selectorIssEEZZNS1_16scan_by_key_implILNS1_25lookback_scan_determinismE0ELb0ES3_N6thrust23THRUST_200600_302600_NS6detail15normal_iteratorINS9_10device_ptrIsEEEESE_SE_sNS9_4plusIvEENS9_8equal_toIvEEsEE10hipError_tPvRmT2_T3_T4_T5_mT6_T7_P12ihipStream_tbENKUlT_T0_E_clISt17integral_constantIbLb1EESZ_EEDaSU_SV_EUlSU_E_NS1_11comp_targetILNS1_3genE5ELNS1_11target_archE942ELNS1_3gpuE9ELNS1_3repE0EEENS1_30default_config_static_selectorELNS0_4arch9wavefront6targetE0EEEvT1_.numbered_sgpr, 0
	.set _ZN7rocprim17ROCPRIM_400000_NS6detail17trampoline_kernelINS0_14default_configENS1_27scan_by_key_config_selectorIssEEZZNS1_16scan_by_key_implILNS1_25lookback_scan_determinismE0ELb0ES3_N6thrust23THRUST_200600_302600_NS6detail15normal_iteratorINS9_10device_ptrIsEEEESE_SE_sNS9_4plusIvEENS9_8equal_toIvEEsEE10hipError_tPvRmT2_T3_T4_T5_mT6_T7_P12ihipStream_tbENKUlT_T0_E_clISt17integral_constantIbLb1EESZ_EEDaSU_SV_EUlSU_E_NS1_11comp_targetILNS1_3genE5ELNS1_11target_archE942ELNS1_3gpuE9ELNS1_3repE0EEENS1_30default_config_static_selectorELNS0_4arch9wavefront6targetE0EEEvT1_.num_named_barrier, 0
	.set _ZN7rocprim17ROCPRIM_400000_NS6detail17trampoline_kernelINS0_14default_configENS1_27scan_by_key_config_selectorIssEEZZNS1_16scan_by_key_implILNS1_25lookback_scan_determinismE0ELb0ES3_N6thrust23THRUST_200600_302600_NS6detail15normal_iteratorINS9_10device_ptrIsEEEESE_SE_sNS9_4plusIvEENS9_8equal_toIvEEsEE10hipError_tPvRmT2_T3_T4_T5_mT6_T7_P12ihipStream_tbENKUlT_T0_E_clISt17integral_constantIbLb1EESZ_EEDaSU_SV_EUlSU_E_NS1_11comp_targetILNS1_3genE5ELNS1_11target_archE942ELNS1_3gpuE9ELNS1_3repE0EEENS1_30default_config_static_selectorELNS0_4arch9wavefront6targetE0EEEvT1_.private_seg_size, 0
	.set _ZN7rocprim17ROCPRIM_400000_NS6detail17trampoline_kernelINS0_14default_configENS1_27scan_by_key_config_selectorIssEEZZNS1_16scan_by_key_implILNS1_25lookback_scan_determinismE0ELb0ES3_N6thrust23THRUST_200600_302600_NS6detail15normal_iteratorINS9_10device_ptrIsEEEESE_SE_sNS9_4plusIvEENS9_8equal_toIvEEsEE10hipError_tPvRmT2_T3_T4_T5_mT6_T7_P12ihipStream_tbENKUlT_T0_E_clISt17integral_constantIbLb1EESZ_EEDaSU_SV_EUlSU_E_NS1_11comp_targetILNS1_3genE5ELNS1_11target_archE942ELNS1_3gpuE9ELNS1_3repE0EEENS1_30default_config_static_selectorELNS0_4arch9wavefront6targetE0EEEvT1_.uses_vcc, 0
	.set _ZN7rocprim17ROCPRIM_400000_NS6detail17trampoline_kernelINS0_14default_configENS1_27scan_by_key_config_selectorIssEEZZNS1_16scan_by_key_implILNS1_25lookback_scan_determinismE0ELb0ES3_N6thrust23THRUST_200600_302600_NS6detail15normal_iteratorINS9_10device_ptrIsEEEESE_SE_sNS9_4plusIvEENS9_8equal_toIvEEsEE10hipError_tPvRmT2_T3_T4_T5_mT6_T7_P12ihipStream_tbENKUlT_T0_E_clISt17integral_constantIbLb1EESZ_EEDaSU_SV_EUlSU_E_NS1_11comp_targetILNS1_3genE5ELNS1_11target_archE942ELNS1_3gpuE9ELNS1_3repE0EEENS1_30default_config_static_selectorELNS0_4arch9wavefront6targetE0EEEvT1_.uses_flat_scratch, 0
	.set _ZN7rocprim17ROCPRIM_400000_NS6detail17trampoline_kernelINS0_14default_configENS1_27scan_by_key_config_selectorIssEEZZNS1_16scan_by_key_implILNS1_25lookback_scan_determinismE0ELb0ES3_N6thrust23THRUST_200600_302600_NS6detail15normal_iteratorINS9_10device_ptrIsEEEESE_SE_sNS9_4plusIvEENS9_8equal_toIvEEsEE10hipError_tPvRmT2_T3_T4_T5_mT6_T7_P12ihipStream_tbENKUlT_T0_E_clISt17integral_constantIbLb1EESZ_EEDaSU_SV_EUlSU_E_NS1_11comp_targetILNS1_3genE5ELNS1_11target_archE942ELNS1_3gpuE9ELNS1_3repE0EEENS1_30default_config_static_selectorELNS0_4arch9wavefront6targetE0EEEvT1_.has_dyn_sized_stack, 0
	.set _ZN7rocprim17ROCPRIM_400000_NS6detail17trampoline_kernelINS0_14default_configENS1_27scan_by_key_config_selectorIssEEZZNS1_16scan_by_key_implILNS1_25lookback_scan_determinismE0ELb0ES3_N6thrust23THRUST_200600_302600_NS6detail15normal_iteratorINS9_10device_ptrIsEEEESE_SE_sNS9_4plusIvEENS9_8equal_toIvEEsEE10hipError_tPvRmT2_T3_T4_T5_mT6_T7_P12ihipStream_tbENKUlT_T0_E_clISt17integral_constantIbLb1EESZ_EEDaSU_SV_EUlSU_E_NS1_11comp_targetILNS1_3genE5ELNS1_11target_archE942ELNS1_3gpuE9ELNS1_3repE0EEENS1_30default_config_static_selectorELNS0_4arch9wavefront6targetE0EEEvT1_.has_recursion, 0
	.set _ZN7rocprim17ROCPRIM_400000_NS6detail17trampoline_kernelINS0_14default_configENS1_27scan_by_key_config_selectorIssEEZZNS1_16scan_by_key_implILNS1_25lookback_scan_determinismE0ELb0ES3_N6thrust23THRUST_200600_302600_NS6detail15normal_iteratorINS9_10device_ptrIsEEEESE_SE_sNS9_4plusIvEENS9_8equal_toIvEEsEE10hipError_tPvRmT2_T3_T4_T5_mT6_T7_P12ihipStream_tbENKUlT_T0_E_clISt17integral_constantIbLb1EESZ_EEDaSU_SV_EUlSU_E_NS1_11comp_targetILNS1_3genE5ELNS1_11target_archE942ELNS1_3gpuE9ELNS1_3repE0EEENS1_30default_config_static_selectorELNS0_4arch9wavefront6targetE0EEEvT1_.has_indirect_call, 0
	.section	.AMDGPU.csdata,"",@progbits
; Kernel info:
; codeLenInByte = 0
; TotalNumSgprs: 0
; NumVgprs: 0
; ScratchSize: 0
; MemoryBound: 0
; FloatMode: 240
; IeeeMode: 1
; LDSByteSize: 0 bytes/workgroup (compile time only)
; SGPRBlocks: 0
; VGPRBlocks: 0
; NumSGPRsForWavesPerEU: 1
; NumVGPRsForWavesPerEU: 1
; Occupancy: 16
; WaveLimiterHint : 0
; COMPUTE_PGM_RSRC2:SCRATCH_EN: 0
; COMPUTE_PGM_RSRC2:USER_SGPR: 6
; COMPUTE_PGM_RSRC2:TRAP_HANDLER: 0
; COMPUTE_PGM_RSRC2:TGID_X_EN: 1
; COMPUTE_PGM_RSRC2:TGID_Y_EN: 0
; COMPUTE_PGM_RSRC2:TGID_Z_EN: 0
; COMPUTE_PGM_RSRC2:TIDIG_COMP_CNT: 0
	.section	.text._ZN7rocprim17ROCPRIM_400000_NS6detail17trampoline_kernelINS0_14default_configENS1_27scan_by_key_config_selectorIssEEZZNS1_16scan_by_key_implILNS1_25lookback_scan_determinismE0ELb0ES3_N6thrust23THRUST_200600_302600_NS6detail15normal_iteratorINS9_10device_ptrIsEEEESE_SE_sNS9_4plusIvEENS9_8equal_toIvEEsEE10hipError_tPvRmT2_T3_T4_T5_mT6_T7_P12ihipStream_tbENKUlT_T0_E_clISt17integral_constantIbLb1EESZ_EEDaSU_SV_EUlSU_E_NS1_11comp_targetILNS1_3genE4ELNS1_11target_archE910ELNS1_3gpuE8ELNS1_3repE0EEENS1_30default_config_static_selectorELNS0_4arch9wavefront6targetE0EEEvT1_,"axG",@progbits,_ZN7rocprim17ROCPRIM_400000_NS6detail17trampoline_kernelINS0_14default_configENS1_27scan_by_key_config_selectorIssEEZZNS1_16scan_by_key_implILNS1_25lookback_scan_determinismE0ELb0ES3_N6thrust23THRUST_200600_302600_NS6detail15normal_iteratorINS9_10device_ptrIsEEEESE_SE_sNS9_4plusIvEENS9_8equal_toIvEEsEE10hipError_tPvRmT2_T3_T4_T5_mT6_T7_P12ihipStream_tbENKUlT_T0_E_clISt17integral_constantIbLb1EESZ_EEDaSU_SV_EUlSU_E_NS1_11comp_targetILNS1_3genE4ELNS1_11target_archE910ELNS1_3gpuE8ELNS1_3repE0EEENS1_30default_config_static_selectorELNS0_4arch9wavefront6targetE0EEEvT1_,comdat
	.protected	_ZN7rocprim17ROCPRIM_400000_NS6detail17trampoline_kernelINS0_14default_configENS1_27scan_by_key_config_selectorIssEEZZNS1_16scan_by_key_implILNS1_25lookback_scan_determinismE0ELb0ES3_N6thrust23THRUST_200600_302600_NS6detail15normal_iteratorINS9_10device_ptrIsEEEESE_SE_sNS9_4plusIvEENS9_8equal_toIvEEsEE10hipError_tPvRmT2_T3_T4_T5_mT6_T7_P12ihipStream_tbENKUlT_T0_E_clISt17integral_constantIbLb1EESZ_EEDaSU_SV_EUlSU_E_NS1_11comp_targetILNS1_3genE4ELNS1_11target_archE910ELNS1_3gpuE8ELNS1_3repE0EEENS1_30default_config_static_selectorELNS0_4arch9wavefront6targetE0EEEvT1_ ; -- Begin function _ZN7rocprim17ROCPRIM_400000_NS6detail17trampoline_kernelINS0_14default_configENS1_27scan_by_key_config_selectorIssEEZZNS1_16scan_by_key_implILNS1_25lookback_scan_determinismE0ELb0ES3_N6thrust23THRUST_200600_302600_NS6detail15normal_iteratorINS9_10device_ptrIsEEEESE_SE_sNS9_4plusIvEENS9_8equal_toIvEEsEE10hipError_tPvRmT2_T3_T4_T5_mT6_T7_P12ihipStream_tbENKUlT_T0_E_clISt17integral_constantIbLb1EESZ_EEDaSU_SV_EUlSU_E_NS1_11comp_targetILNS1_3genE4ELNS1_11target_archE910ELNS1_3gpuE8ELNS1_3repE0EEENS1_30default_config_static_selectorELNS0_4arch9wavefront6targetE0EEEvT1_
	.globl	_ZN7rocprim17ROCPRIM_400000_NS6detail17trampoline_kernelINS0_14default_configENS1_27scan_by_key_config_selectorIssEEZZNS1_16scan_by_key_implILNS1_25lookback_scan_determinismE0ELb0ES3_N6thrust23THRUST_200600_302600_NS6detail15normal_iteratorINS9_10device_ptrIsEEEESE_SE_sNS9_4plusIvEENS9_8equal_toIvEEsEE10hipError_tPvRmT2_T3_T4_T5_mT6_T7_P12ihipStream_tbENKUlT_T0_E_clISt17integral_constantIbLb1EESZ_EEDaSU_SV_EUlSU_E_NS1_11comp_targetILNS1_3genE4ELNS1_11target_archE910ELNS1_3gpuE8ELNS1_3repE0EEENS1_30default_config_static_selectorELNS0_4arch9wavefront6targetE0EEEvT1_
	.p2align	8
	.type	_ZN7rocprim17ROCPRIM_400000_NS6detail17trampoline_kernelINS0_14default_configENS1_27scan_by_key_config_selectorIssEEZZNS1_16scan_by_key_implILNS1_25lookback_scan_determinismE0ELb0ES3_N6thrust23THRUST_200600_302600_NS6detail15normal_iteratorINS9_10device_ptrIsEEEESE_SE_sNS9_4plusIvEENS9_8equal_toIvEEsEE10hipError_tPvRmT2_T3_T4_T5_mT6_T7_P12ihipStream_tbENKUlT_T0_E_clISt17integral_constantIbLb1EESZ_EEDaSU_SV_EUlSU_E_NS1_11comp_targetILNS1_3genE4ELNS1_11target_archE910ELNS1_3gpuE8ELNS1_3repE0EEENS1_30default_config_static_selectorELNS0_4arch9wavefront6targetE0EEEvT1_,@function
_ZN7rocprim17ROCPRIM_400000_NS6detail17trampoline_kernelINS0_14default_configENS1_27scan_by_key_config_selectorIssEEZZNS1_16scan_by_key_implILNS1_25lookback_scan_determinismE0ELb0ES3_N6thrust23THRUST_200600_302600_NS6detail15normal_iteratorINS9_10device_ptrIsEEEESE_SE_sNS9_4plusIvEENS9_8equal_toIvEEsEE10hipError_tPvRmT2_T3_T4_T5_mT6_T7_P12ihipStream_tbENKUlT_T0_E_clISt17integral_constantIbLb1EESZ_EEDaSU_SV_EUlSU_E_NS1_11comp_targetILNS1_3genE4ELNS1_11target_archE910ELNS1_3gpuE8ELNS1_3repE0EEENS1_30default_config_static_selectorELNS0_4arch9wavefront6targetE0EEEvT1_: ; @_ZN7rocprim17ROCPRIM_400000_NS6detail17trampoline_kernelINS0_14default_configENS1_27scan_by_key_config_selectorIssEEZZNS1_16scan_by_key_implILNS1_25lookback_scan_determinismE0ELb0ES3_N6thrust23THRUST_200600_302600_NS6detail15normal_iteratorINS9_10device_ptrIsEEEESE_SE_sNS9_4plusIvEENS9_8equal_toIvEEsEE10hipError_tPvRmT2_T3_T4_T5_mT6_T7_P12ihipStream_tbENKUlT_T0_E_clISt17integral_constantIbLb1EESZ_EEDaSU_SV_EUlSU_E_NS1_11comp_targetILNS1_3genE4ELNS1_11target_archE910ELNS1_3gpuE8ELNS1_3repE0EEENS1_30default_config_static_selectorELNS0_4arch9wavefront6targetE0EEEvT1_
; %bb.0:
	.section	.rodata,"a",@progbits
	.p2align	6, 0x0
	.amdhsa_kernel _ZN7rocprim17ROCPRIM_400000_NS6detail17trampoline_kernelINS0_14default_configENS1_27scan_by_key_config_selectorIssEEZZNS1_16scan_by_key_implILNS1_25lookback_scan_determinismE0ELb0ES3_N6thrust23THRUST_200600_302600_NS6detail15normal_iteratorINS9_10device_ptrIsEEEESE_SE_sNS9_4plusIvEENS9_8equal_toIvEEsEE10hipError_tPvRmT2_T3_T4_T5_mT6_T7_P12ihipStream_tbENKUlT_T0_E_clISt17integral_constantIbLb1EESZ_EEDaSU_SV_EUlSU_E_NS1_11comp_targetILNS1_3genE4ELNS1_11target_archE910ELNS1_3gpuE8ELNS1_3repE0EEENS1_30default_config_static_selectorELNS0_4arch9wavefront6targetE0EEEvT1_
		.amdhsa_group_segment_fixed_size 0
		.amdhsa_private_segment_fixed_size 0
		.amdhsa_kernarg_size 112
		.amdhsa_user_sgpr_count 6
		.amdhsa_user_sgpr_private_segment_buffer 1
		.amdhsa_user_sgpr_dispatch_ptr 0
		.amdhsa_user_sgpr_queue_ptr 0
		.amdhsa_user_sgpr_kernarg_segment_ptr 1
		.amdhsa_user_sgpr_dispatch_id 0
		.amdhsa_user_sgpr_flat_scratch_init 0
		.amdhsa_user_sgpr_private_segment_size 0
		.amdhsa_wavefront_size32 1
		.amdhsa_uses_dynamic_stack 0
		.amdhsa_system_sgpr_private_segment_wavefront_offset 0
		.amdhsa_system_sgpr_workgroup_id_x 1
		.amdhsa_system_sgpr_workgroup_id_y 0
		.amdhsa_system_sgpr_workgroup_id_z 0
		.amdhsa_system_sgpr_workgroup_info 0
		.amdhsa_system_vgpr_workitem_id 0
		.amdhsa_next_free_vgpr 1
		.amdhsa_next_free_sgpr 1
		.amdhsa_reserve_vcc 0
		.amdhsa_reserve_flat_scratch 0
		.amdhsa_float_round_mode_32 0
		.amdhsa_float_round_mode_16_64 0
		.amdhsa_float_denorm_mode_32 3
		.amdhsa_float_denorm_mode_16_64 3
		.amdhsa_dx10_clamp 1
		.amdhsa_ieee_mode 1
		.amdhsa_fp16_overflow 0
		.amdhsa_workgroup_processor_mode 1
		.amdhsa_memory_ordered 1
		.amdhsa_forward_progress 1
		.amdhsa_shared_vgpr_count 0
		.amdhsa_exception_fp_ieee_invalid_op 0
		.amdhsa_exception_fp_denorm_src 0
		.amdhsa_exception_fp_ieee_div_zero 0
		.amdhsa_exception_fp_ieee_overflow 0
		.amdhsa_exception_fp_ieee_underflow 0
		.amdhsa_exception_fp_ieee_inexact 0
		.amdhsa_exception_int_div_zero 0
	.end_amdhsa_kernel
	.section	.text._ZN7rocprim17ROCPRIM_400000_NS6detail17trampoline_kernelINS0_14default_configENS1_27scan_by_key_config_selectorIssEEZZNS1_16scan_by_key_implILNS1_25lookback_scan_determinismE0ELb0ES3_N6thrust23THRUST_200600_302600_NS6detail15normal_iteratorINS9_10device_ptrIsEEEESE_SE_sNS9_4plusIvEENS9_8equal_toIvEEsEE10hipError_tPvRmT2_T3_T4_T5_mT6_T7_P12ihipStream_tbENKUlT_T0_E_clISt17integral_constantIbLb1EESZ_EEDaSU_SV_EUlSU_E_NS1_11comp_targetILNS1_3genE4ELNS1_11target_archE910ELNS1_3gpuE8ELNS1_3repE0EEENS1_30default_config_static_selectorELNS0_4arch9wavefront6targetE0EEEvT1_,"axG",@progbits,_ZN7rocprim17ROCPRIM_400000_NS6detail17trampoline_kernelINS0_14default_configENS1_27scan_by_key_config_selectorIssEEZZNS1_16scan_by_key_implILNS1_25lookback_scan_determinismE0ELb0ES3_N6thrust23THRUST_200600_302600_NS6detail15normal_iteratorINS9_10device_ptrIsEEEESE_SE_sNS9_4plusIvEENS9_8equal_toIvEEsEE10hipError_tPvRmT2_T3_T4_T5_mT6_T7_P12ihipStream_tbENKUlT_T0_E_clISt17integral_constantIbLb1EESZ_EEDaSU_SV_EUlSU_E_NS1_11comp_targetILNS1_3genE4ELNS1_11target_archE910ELNS1_3gpuE8ELNS1_3repE0EEENS1_30default_config_static_selectorELNS0_4arch9wavefront6targetE0EEEvT1_,comdat
.Lfunc_end253:
	.size	_ZN7rocprim17ROCPRIM_400000_NS6detail17trampoline_kernelINS0_14default_configENS1_27scan_by_key_config_selectorIssEEZZNS1_16scan_by_key_implILNS1_25lookback_scan_determinismE0ELb0ES3_N6thrust23THRUST_200600_302600_NS6detail15normal_iteratorINS9_10device_ptrIsEEEESE_SE_sNS9_4plusIvEENS9_8equal_toIvEEsEE10hipError_tPvRmT2_T3_T4_T5_mT6_T7_P12ihipStream_tbENKUlT_T0_E_clISt17integral_constantIbLb1EESZ_EEDaSU_SV_EUlSU_E_NS1_11comp_targetILNS1_3genE4ELNS1_11target_archE910ELNS1_3gpuE8ELNS1_3repE0EEENS1_30default_config_static_selectorELNS0_4arch9wavefront6targetE0EEEvT1_, .Lfunc_end253-_ZN7rocprim17ROCPRIM_400000_NS6detail17trampoline_kernelINS0_14default_configENS1_27scan_by_key_config_selectorIssEEZZNS1_16scan_by_key_implILNS1_25lookback_scan_determinismE0ELb0ES3_N6thrust23THRUST_200600_302600_NS6detail15normal_iteratorINS9_10device_ptrIsEEEESE_SE_sNS9_4plusIvEENS9_8equal_toIvEEsEE10hipError_tPvRmT2_T3_T4_T5_mT6_T7_P12ihipStream_tbENKUlT_T0_E_clISt17integral_constantIbLb1EESZ_EEDaSU_SV_EUlSU_E_NS1_11comp_targetILNS1_3genE4ELNS1_11target_archE910ELNS1_3gpuE8ELNS1_3repE0EEENS1_30default_config_static_selectorELNS0_4arch9wavefront6targetE0EEEvT1_
                                        ; -- End function
	.set _ZN7rocprim17ROCPRIM_400000_NS6detail17trampoline_kernelINS0_14default_configENS1_27scan_by_key_config_selectorIssEEZZNS1_16scan_by_key_implILNS1_25lookback_scan_determinismE0ELb0ES3_N6thrust23THRUST_200600_302600_NS6detail15normal_iteratorINS9_10device_ptrIsEEEESE_SE_sNS9_4plusIvEENS9_8equal_toIvEEsEE10hipError_tPvRmT2_T3_T4_T5_mT6_T7_P12ihipStream_tbENKUlT_T0_E_clISt17integral_constantIbLb1EESZ_EEDaSU_SV_EUlSU_E_NS1_11comp_targetILNS1_3genE4ELNS1_11target_archE910ELNS1_3gpuE8ELNS1_3repE0EEENS1_30default_config_static_selectorELNS0_4arch9wavefront6targetE0EEEvT1_.num_vgpr, 0
	.set _ZN7rocprim17ROCPRIM_400000_NS6detail17trampoline_kernelINS0_14default_configENS1_27scan_by_key_config_selectorIssEEZZNS1_16scan_by_key_implILNS1_25lookback_scan_determinismE0ELb0ES3_N6thrust23THRUST_200600_302600_NS6detail15normal_iteratorINS9_10device_ptrIsEEEESE_SE_sNS9_4plusIvEENS9_8equal_toIvEEsEE10hipError_tPvRmT2_T3_T4_T5_mT6_T7_P12ihipStream_tbENKUlT_T0_E_clISt17integral_constantIbLb1EESZ_EEDaSU_SV_EUlSU_E_NS1_11comp_targetILNS1_3genE4ELNS1_11target_archE910ELNS1_3gpuE8ELNS1_3repE0EEENS1_30default_config_static_selectorELNS0_4arch9wavefront6targetE0EEEvT1_.num_agpr, 0
	.set _ZN7rocprim17ROCPRIM_400000_NS6detail17trampoline_kernelINS0_14default_configENS1_27scan_by_key_config_selectorIssEEZZNS1_16scan_by_key_implILNS1_25lookback_scan_determinismE0ELb0ES3_N6thrust23THRUST_200600_302600_NS6detail15normal_iteratorINS9_10device_ptrIsEEEESE_SE_sNS9_4plusIvEENS9_8equal_toIvEEsEE10hipError_tPvRmT2_T3_T4_T5_mT6_T7_P12ihipStream_tbENKUlT_T0_E_clISt17integral_constantIbLb1EESZ_EEDaSU_SV_EUlSU_E_NS1_11comp_targetILNS1_3genE4ELNS1_11target_archE910ELNS1_3gpuE8ELNS1_3repE0EEENS1_30default_config_static_selectorELNS0_4arch9wavefront6targetE0EEEvT1_.numbered_sgpr, 0
	.set _ZN7rocprim17ROCPRIM_400000_NS6detail17trampoline_kernelINS0_14default_configENS1_27scan_by_key_config_selectorIssEEZZNS1_16scan_by_key_implILNS1_25lookback_scan_determinismE0ELb0ES3_N6thrust23THRUST_200600_302600_NS6detail15normal_iteratorINS9_10device_ptrIsEEEESE_SE_sNS9_4plusIvEENS9_8equal_toIvEEsEE10hipError_tPvRmT2_T3_T4_T5_mT6_T7_P12ihipStream_tbENKUlT_T0_E_clISt17integral_constantIbLb1EESZ_EEDaSU_SV_EUlSU_E_NS1_11comp_targetILNS1_3genE4ELNS1_11target_archE910ELNS1_3gpuE8ELNS1_3repE0EEENS1_30default_config_static_selectorELNS0_4arch9wavefront6targetE0EEEvT1_.num_named_barrier, 0
	.set _ZN7rocprim17ROCPRIM_400000_NS6detail17trampoline_kernelINS0_14default_configENS1_27scan_by_key_config_selectorIssEEZZNS1_16scan_by_key_implILNS1_25lookback_scan_determinismE0ELb0ES3_N6thrust23THRUST_200600_302600_NS6detail15normal_iteratorINS9_10device_ptrIsEEEESE_SE_sNS9_4plusIvEENS9_8equal_toIvEEsEE10hipError_tPvRmT2_T3_T4_T5_mT6_T7_P12ihipStream_tbENKUlT_T0_E_clISt17integral_constantIbLb1EESZ_EEDaSU_SV_EUlSU_E_NS1_11comp_targetILNS1_3genE4ELNS1_11target_archE910ELNS1_3gpuE8ELNS1_3repE0EEENS1_30default_config_static_selectorELNS0_4arch9wavefront6targetE0EEEvT1_.private_seg_size, 0
	.set _ZN7rocprim17ROCPRIM_400000_NS6detail17trampoline_kernelINS0_14default_configENS1_27scan_by_key_config_selectorIssEEZZNS1_16scan_by_key_implILNS1_25lookback_scan_determinismE0ELb0ES3_N6thrust23THRUST_200600_302600_NS6detail15normal_iteratorINS9_10device_ptrIsEEEESE_SE_sNS9_4plusIvEENS9_8equal_toIvEEsEE10hipError_tPvRmT2_T3_T4_T5_mT6_T7_P12ihipStream_tbENKUlT_T0_E_clISt17integral_constantIbLb1EESZ_EEDaSU_SV_EUlSU_E_NS1_11comp_targetILNS1_3genE4ELNS1_11target_archE910ELNS1_3gpuE8ELNS1_3repE0EEENS1_30default_config_static_selectorELNS0_4arch9wavefront6targetE0EEEvT1_.uses_vcc, 0
	.set _ZN7rocprim17ROCPRIM_400000_NS6detail17trampoline_kernelINS0_14default_configENS1_27scan_by_key_config_selectorIssEEZZNS1_16scan_by_key_implILNS1_25lookback_scan_determinismE0ELb0ES3_N6thrust23THRUST_200600_302600_NS6detail15normal_iteratorINS9_10device_ptrIsEEEESE_SE_sNS9_4plusIvEENS9_8equal_toIvEEsEE10hipError_tPvRmT2_T3_T4_T5_mT6_T7_P12ihipStream_tbENKUlT_T0_E_clISt17integral_constantIbLb1EESZ_EEDaSU_SV_EUlSU_E_NS1_11comp_targetILNS1_3genE4ELNS1_11target_archE910ELNS1_3gpuE8ELNS1_3repE0EEENS1_30default_config_static_selectorELNS0_4arch9wavefront6targetE0EEEvT1_.uses_flat_scratch, 0
	.set _ZN7rocprim17ROCPRIM_400000_NS6detail17trampoline_kernelINS0_14default_configENS1_27scan_by_key_config_selectorIssEEZZNS1_16scan_by_key_implILNS1_25lookback_scan_determinismE0ELb0ES3_N6thrust23THRUST_200600_302600_NS6detail15normal_iteratorINS9_10device_ptrIsEEEESE_SE_sNS9_4plusIvEENS9_8equal_toIvEEsEE10hipError_tPvRmT2_T3_T4_T5_mT6_T7_P12ihipStream_tbENKUlT_T0_E_clISt17integral_constantIbLb1EESZ_EEDaSU_SV_EUlSU_E_NS1_11comp_targetILNS1_3genE4ELNS1_11target_archE910ELNS1_3gpuE8ELNS1_3repE0EEENS1_30default_config_static_selectorELNS0_4arch9wavefront6targetE0EEEvT1_.has_dyn_sized_stack, 0
	.set _ZN7rocprim17ROCPRIM_400000_NS6detail17trampoline_kernelINS0_14default_configENS1_27scan_by_key_config_selectorIssEEZZNS1_16scan_by_key_implILNS1_25lookback_scan_determinismE0ELb0ES3_N6thrust23THRUST_200600_302600_NS6detail15normal_iteratorINS9_10device_ptrIsEEEESE_SE_sNS9_4plusIvEENS9_8equal_toIvEEsEE10hipError_tPvRmT2_T3_T4_T5_mT6_T7_P12ihipStream_tbENKUlT_T0_E_clISt17integral_constantIbLb1EESZ_EEDaSU_SV_EUlSU_E_NS1_11comp_targetILNS1_3genE4ELNS1_11target_archE910ELNS1_3gpuE8ELNS1_3repE0EEENS1_30default_config_static_selectorELNS0_4arch9wavefront6targetE0EEEvT1_.has_recursion, 0
	.set _ZN7rocprim17ROCPRIM_400000_NS6detail17trampoline_kernelINS0_14default_configENS1_27scan_by_key_config_selectorIssEEZZNS1_16scan_by_key_implILNS1_25lookback_scan_determinismE0ELb0ES3_N6thrust23THRUST_200600_302600_NS6detail15normal_iteratorINS9_10device_ptrIsEEEESE_SE_sNS9_4plusIvEENS9_8equal_toIvEEsEE10hipError_tPvRmT2_T3_T4_T5_mT6_T7_P12ihipStream_tbENKUlT_T0_E_clISt17integral_constantIbLb1EESZ_EEDaSU_SV_EUlSU_E_NS1_11comp_targetILNS1_3genE4ELNS1_11target_archE910ELNS1_3gpuE8ELNS1_3repE0EEENS1_30default_config_static_selectorELNS0_4arch9wavefront6targetE0EEEvT1_.has_indirect_call, 0
	.section	.AMDGPU.csdata,"",@progbits
; Kernel info:
; codeLenInByte = 0
; TotalNumSgprs: 0
; NumVgprs: 0
; ScratchSize: 0
; MemoryBound: 0
; FloatMode: 240
; IeeeMode: 1
; LDSByteSize: 0 bytes/workgroup (compile time only)
; SGPRBlocks: 0
; VGPRBlocks: 0
; NumSGPRsForWavesPerEU: 1
; NumVGPRsForWavesPerEU: 1
; Occupancy: 16
; WaveLimiterHint : 0
; COMPUTE_PGM_RSRC2:SCRATCH_EN: 0
; COMPUTE_PGM_RSRC2:USER_SGPR: 6
; COMPUTE_PGM_RSRC2:TRAP_HANDLER: 0
; COMPUTE_PGM_RSRC2:TGID_X_EN: 1
; COMPUTE_PGM_RSRC2:TGID_Y_EN: 0
; COMPUTE_PGM_RSRC2:TGID_Z_EN: 0
; COMPUTE_PGM_RSRC2:TIDIG_COMP_CNT: 0
	.section	.text._ZN7rocprim17ROCPRIM_400000_NS6detail17trampoline_kernelINS0_14default_configENS1_27scan_by_key_config_selectorIssEEZZNS1_16scan_by_key_implILNS1_25lookback_scan_determinismE0ELb0ES3_N6thrust23THRUST_200600_302600_NS6detail15normal_iteratorINS9_10device_ptrIsEEEESE_SE_sNS9_4plusIvEENS9_8equal_toIvEEsEE10hipError_tPvRmT2_T3_T4_T5_mT6_T7_P12ihipStream_tbENKUlT_T0_E_clISt17integral_constantIbLb1EESZ_EEDaSU_SV_EUlSU_E_NS1_11comp_targetILNS1_3genE3ELNS1_11target_archE908ELNS1_3gpuE7ELNS1_3repE0EEENS1_30default_config_static_selectorELNS0_4arch9wavefront6targetE0EEEvT1_,"axG",@progbits,_ZN7rocprim17ROCPRIM_400000_NS6detail17trampoline_kernelINS0_14default_configENS1_27scan_by_key_config_selectorIssEEZZNS1_16scan_by_key_implILNS1_25lookback_scan_determinismE0ELb0ES3_N6thrust23THRUST_200600_302600_NS6detail15normal_iteratorINS9_10device_ptrIsEEEESE_SE_sNS9_4plusIvEENS9_8equal_toIvEEsEE10hipError_tPvRmT2_T3_T4_T5_mT6_T7_P12ihipStream_tbENKUlT_T0_E_clISt17integral_constantIbLb1EESZ_EEDaSU_SV_EUlSU_E_NS1_11comp_targetILNS1_3genE3ELNS1_11target_archE908ELNS1_3gpuE7ELNS1_3repE0EEENS1_30default_config_static_selectorELNS0_4arch9wavefront6targetE0EEEvT1_,comdat
	.protected	_ZN7rocprim17ROCPRIM_400000_NS6detail17trampoline_kernelINS0_14default_configENS1_27scan_by_key_config_selectorIssEEZZNS1_16scan_by_key_implILNS1_25lookback_scan_determinismE0ELb0ES3_N6thrust23THRUST_200600_302600_NS6detail15normal_iteratorINS9_10device_ptrIsEEEESE_SE_sNS9_4plusIvEENS9_8equal_toIvEEsEE10hipError_tPvRmT2_T3_T4_T5_mT6_T7_P12ihipStream_tbENKUlT_T0_E_clISt17integral_constantIbLb1EESZ_EEDaSU_SV_EUlSU_E_NS1_11comp_targetILNS1_3genE3ELNS1_11target_archE908ELNS1_3gpuE7ELNS1_3repE0EEENS1_30default_config_static_selectorELNS0_4arch9wavefront6targetE0EEEvT1_ ; -- Begin function _ZN7rocprim17ROCPRIM_400000_NS6detail17trampoline_kernelINS0_14default_configENS1_27scan_by_key_config_selectorIssEEZZNS1_16scan_by_key_implILNS1_25lookback_scan_determinismE0ELb0ES3_N6thrust23THRUST_200600_302600_NS6detail15normal_iteratorINS9_10device_ptrIsEEEESE_SE_sNS9_4plusIvEENS9_8equal_toIvEEsEE10hipError_tPvRmT2_T3_T4_T5_mT6_T7_P12ihipStream_tbENKUlT_T0_E_clISt17integral_constantIbLb1EESZ_EEDaSU_SV_EUlSU_E_NS1_11comp_targetILNS1_3genE3ELNS1_11target_archE908ELNS1_3gpuE7ELNS1_3repE0EEENS1_30default_config_static_selectorELNS0_4arch9wavefront6targetE0EEEvT1_
	.globl	_ZN7rocprim17ROCPRIM_400000_NS6detail17trampoline_kernelINS0_14default_configENS1_27scan_by_key_config_selectorIssEEZZNS1_16scan_by_key_implILNS1_25lookback_scan_determinismE0ELb0ES3_N6thrust23THRUST_200600_302600_NS6detail15normal_iteratorINS9_10device_ptrIsEEEESE_SE_sNS9_4plusIvEENS9_8equal_toIvEEsEE10hipError_tPvRmT2_T3_T4_T5_mT6_T7_P12ihipStream_tbENKUlT_T0_E_clISt17integral_constantIbLb1EESZ_EEDaSU_SV_EUlSU_E_NS1_11comp_targetILNS1_3genE3ELNS1_11target_archE908ELNS1_3gpuE7ELNS1_3repE0EEENS1_30default_config_static_selectorELNS0_4arch9wavefront6targetE0EEEvT1_
	.p2align	8
	.type	_ZN7rocprim17ROCPRIM_400000_NS6detail17trampoline_kernelINS0_14default_configENS1_27scan_by_key_config_selectorIssEEZZNS1_16scan_by_key_implILNS1_25lookback_scan_determinismE0ELb0ES3_N6thrust23THRUST_200600_302600_NS6detail15normal_iteratorINS9_10device_ptrIsEEEESE_SE_sNS9_4plusIvEENS9_8equal_toIvEEsEE10hipError_tPvRmT2_T3_T4_T5_mT6_T7_P12ihipStream_tbENKUlT_T0_E_clISt17integral_constantIbLb1EESZ_EEDaSU_SV_EUlSU_E_NS1_11comp_targetILNS1_3genE3ELNS1_11target_archE908ELNS1_3gpuE7ELNS1_3repE0EEENS1_30default_config_static_selectorELNS0_4arch9wavefront6targetE0EEEvT1_,@function
_ZN7rocprim17ROCPRIM_400000_NS6detail17trampoline_kernelINS0_14default_configENS1_27scan_by_key_config_selectorIssEEZZNS1_16scan_by_key_implILNS1_25lookback_scan_determinismE0ELb0ES3_N6thrust23THRUST_200600_302600_NS6detail15normal_iteratorINS9_10device_ptrIsEEEESE_SE_sNS9_4plusIvEENS9_8equal_toIvEEsEE10hipError_tPvRmT2_T3_T4_T5_mT6_T7_P12ihipStream_tbENKUlT_T0_E_clISt17integral_constantIbLb1EESZ_EEDaSU_SV_EUlSU_E_NS1_11comp_targetILNS1_3genE3ELNS1_11target_archE908ELNS1_3gpuE7ELNS1_3repE0EEENS1_30default_config_static_selectorELNS0_4arch9wavefront6targetE0EEEvT1_: ; @_ZN7rocprim17ROCPRIM_400000_NS6detail17trampoline_kernelINS0_14default_configENS1_27scan_by_key_config_selectorIssEEZZNS1_16scan_by_key_implILNS1_25lookback_scan_determinismE0ELb0ES3_N6thrust23THRUST_200600_302600_NS6detail15normal_iteratorINS9_10device_ptrIsEEEESE_SE_sNS9_4plusIvEENS9_8equal_toIvEEsEE10hipError_tPvRmT2_T3_T4_T5_mT6_T7_P12ihipStream_tbENKUlT_T0_E_clISt17integral_constantIbLb1EESZ_EEDaSU_SV_EUlSU_E_NS1_11comp_targetILNS1_3genE3ELNS1_11target_archE908ELNS1_3gpuE7ELNS1_3repE0EEENS1_30default_config_static_selectorELNS0_4arch9wavefront6targetE0EEEvT1_
; %bb.0:
	.section	.rodata,"a",@progbits
	.p2align	6, 0x0
	.amdhsa_kernel _ZN7rocprim17ROCPRIM_400000_NS6detail17trampoline_kernelINS0_14default_configENS1_27scan_by_key_config_selectorIssEEZZNS1_16scan_by_key_implILNS1_25lookback_scan_determinismE0ELb0ES3_N6thrust23THRUST_200600_302600_NS6detail15normal_iteratorINS9_10device_ptrIsEEEESE_SE_sNS9_4plusIvEENS9_8equal_toIvEEsEE10hipError_tPvRmT2_T3_T4_T5_mT6_T7_P12ihipStream_tbENKUlT_T0_E_clISt17integral_constantIbLb1EESZ_EEDaSU_SV_EUlSU_E_NS1_11comp_targetILNS1_3genE3ELNS1_11target_archE908ELNS1_3gpuE7ELNS1_3repE0EEENS1_30default_config_static_selectorELNS0_4arch9wavefront6targetE0EEEvT1_
		.amdhsa_group_segment_fixed_size 0
		.amdhsa_private_segment_fixed_size 0
		.amdhsa_kernarg_size 112
		.amdhsa_user_sgpr_count 6
		.amdhsa_user_sgpr_private_segment_buffer 1
		.amdhsa_user_sgpr_dispatch_ptr 0
		.amdhsa_user_sgpr_queue_ptr 0
		.amdhsa_user_sgpr_kernarg_segment_ptr 1
		.amdhsa_user_sgpr_dispatch_id 0
		.amdhsa_user_sgpr_flat_scratch_init 0
		.amdhsa_user_sgpr_private_segment_size 0
		.amdhsa_wavefront_size32 1
		.amdhsa_uses_dynamic_stack 0
		.amdhsa_system_sgpr_private_segment_wavefront_offset 0
		.amdhsa_system_sgpr_workgroup_id_x 1
		.amdhsa_system_sgpr_workgroup_id_y 0
		.amdhsa_system_sgpr_workgroup_id_z 0
		.amdhsa_system_sgpr_workgroup_info 0
		.amdhsa_system_vgpr_workitem_id 0
		.amdhsa_next_free_vgpr 1
		.amdhsa_next_free_sgpr 1
		.amdhsa_reserve_vcc 0
		.amdhsa_reserve_flat_scratch 0
		.amdhsa_float_round_mode_32 0
		.amdhsa_float_round_mode_16_64 0
		.amdhsa_float_denorm_mode_32 3
		.amdhsa_float_denorm_mode_16_64 3
		.amdhsa_dx10_clamp 1
		.amdhsa_ieee_mode 1
		.amdhsa_fp16_overflow 0
		.amdhsa_workgroup_processor_mode 1
		.amdhsa_memory_ordered 1
		.amdhsa_forward_progress 1
		.amdhsa_shared_vgpr_count 0
		.amdhsa_exception_fp_ieee_invalid_op 0
		.amdhsa_exception_fp_denorm_src 0
		.amdhsa_exception_fp_ieee_div_zero 0
		.amdhsa_exception_fp_ieee_overflow 0
		.amdhsa_exception_fp_ieee_underflow 0
		.amdhsa_exception_fp_ieee_inexact 0
		.amdhsa_exception_int_div_zero 0
	.end_amdhsa_kernel
	.section	.text._ZN7rocprim17ROCPRIM_400000_NS6detail17trampoline_kernelINS0_14default_configENS1_27scan_by_key_config_selectorIssEEZZNS1_16scan_by_key_implILNS1_25lookback_scan_determinismE0ELb0ES3_N6thrust23THRUST_200600_302600_NS6detail15normal_iteratorINS9_10device_ptrIsEEEESE_SE_sNS9_4plusIvEENS9_8equal_toIvEEsEE10hipError_tPvRmT2_T3_T4_T5_mT6_T7_P12ihipStream_tbENKUlT_T0_E_clISt17integral_constantIbLb1EESZ_EEDaSU_SV_EUlSU_E_NS1_11comp_targetILNS1_3genE3ELNS1_11target_archE908ELNS1_3gpuE7ELNS1_3repE0EEENS1_30default_config_static_selectorELNS0_4arch9wavefront6targetE0EEEvT1_,"axG",@progbits,_ZN7rocprim17ROCPRIM_400000_NS6detail17trampoline_kernelINS0_14default_configENS1_27scan_by_key_config_selectorIssEEZZNS1_16scan_by_key_implILNS1_25lookback_scan_determinismE0ELb0ES3_N6thrust23THRUST_200600_302600_NS6detail15normal_iteratorINS9_10device_ptrIsEEEESE_SE_sNS9_4plusIvEENS9_8equal_toIvEEsEE10hipError_tPvRmT2_T3_T4_T5_mT6_T7_P12ihipStream_tbENKUlT_T0_E_clISt17integral_constantIbLb1EESZ_EEDaSU_SV_EUlSU_E_NS1_11comp_targetILNS1_3genE3ELNS1_11target_archE908ELNS1_3gpuE7ELNS1_3repE0EEENS1_30default_config_static_selectorELNS0_4arch9wavefront6targetE0EEEvT1_,comdat
.Lfunc_end254:
	.size	_ZN7rocprim17ROCPRIM_400000_NS6detail17trampoline_kernelINS0_14default_configENS1_27scan_by_key_config_selectorIssEEZZNS1_16scan_by_key_implILNS1_25lookback_scan_determinismE0ELb0ES3_N6thrust23THRUST_200600_302600_NS6detail15normal_iteratorINS9_10device_ptrIsEEEESE_SE_sNS9_4plusIvEENS9_8equal_toIvEEsEE10hipError_tPvRmT2_T3_T4_T5_mT6_T7_P12ihipStream_tbENKUlT_T0_E_clISt17integral_constantIbLb1EESZ_EEDaSU_SV_EUlSU_E_NS1_11comp_targetILNS1_3genE3ELNS1_11target_archE908ELNS1_3gpuE7ELNS1_3repE0EEENS1_30default_config_static_selectorELNS0_4arch9wavefront6targetE0EEEvT1_, .Lfunc_end254-_ZN7rocprim17ROCPRIM_400000_NS6detail17trampoline_kernelINS0_14default_configENS1_27scan_by_key_config_selectorIssEEZZNS1_16scan_by_key_implILNS1_25lookback_scan_determinismE0ELb0ES3_N6thrust23THRUST_200600_302600_NS6detail15normal_iteratorINS9_10device_ptrIsEEEESE_SE_sNS9_4plusIvEENS9_8equal_toIvEEsEE10hipError_tPvRmT2_T3_T4_T5_mT6_T7_P12ihipStream_tbENKUlT_T0_E_clISt17integral_constantIbLb1EESZ_EEDaSU_SV_EUlSU_E_NS1_11comp_targetILNS1_3genE3ELNS1_11target_archE908ELNS1_3gpuE7ELNS1_3repE0EEENS1_30default_config_static_selectorELNS0_4arch9wavefront6targetE0EEEvT1_
                                        ; -- End function
	.set _ZN7rocprim17ROCPRIM_400000_NS6detail17trampoline_kernelINS0_14default_configENS1_27scan_by_key_config_selectorIssEEZZNS1_16scan_by_key_implILNS1_25lookback_scan_determinismE0ELb0ES3_N6thrust23THRUST_200600_302600_NS6detail15normal_iteratorINS9_10device_ptrIsEEEESE_SE_sNS9_4plusIvEENS9_8equal_toIvEEsEE10hipError_tPvRmT2_T3_T4_T5_mT6_T7_P12ihipStream_tbENKUlT_T0_E_clISt17integral_constantIbLb1EESZ_EEDaSU_SV_EUlSU_E_NS1_11comp_targetILNS1_3genE3ELNS1_11target_archE908ELNS1_3gpuE7ELNS1_3repE0EEENS1_30default_config_static_selectorELNS0_4arch9wavefront6targetE0EEEvT1_.num_vgpr, 0
	.set _ZN7rocprim17ROCPRIM_400000_NS6detail17trampoline_kernelINS0_14default_configENS1_27scan_by_key_config_selectorIssEEZZNS1_16scan_by_key_implILNS1_25lookback_scan_determinismE0ELb0ES3_N6thrust23THRUST_200600_302600_NS6detail15normal_iteratorINS9_10device_ptrIsEEEESE_SE_sNS9_4plusIvEENS9_8equal_toIvEEsEE10hipError_tPvRmT2_T3_T4_T5_mT6_T7_P12ihipStream_tbENKUlT_T0_E_clISt17integral_constantIbLb1EESZ_EEDaSU_SV_EUlSU_E_NS1_11comp_targetILNS1_3genE3ELNS1_11target_archE908ELNS1_3gpuE7ELNS1_3repE0EEENS1_30default_config_static_selectorELNS0_4arch9wavefront6targetE0EEEvT1_.num_agpr, 0
	.set _ZN7rocprim17ROCPRIM_400000_NS6detail17trampoline_kernelINS0_14default_configENS1_27scan_by_key_config_selectorIssEEZZNS1_16scan_by_key_implILNS1_25lookback_scan_determinismE0ELb0ES3_N6thrust23THRUST_200600_302600_NS6detail15normal_iteratorINS9_10device_ptrIsEEEESE_SE_sNS9_4plusIvEENS9_8equal_toIvEEsEE10hipError_tPvRmT2_T3_T4_T5_mT6_T7_P12ihipStream_tbENKUlT_T0_E_clISt17integral_constantIbLb1EESZ_EEDaSU_SV_EUlSU_E_NS1_11comp_targetILNS1_3genE3ELNS1_11target_archE908ELNS1_3gpuE7ELNS1_3repE0EEENS1_30default_config_static_selectorELNS0_4arch9wavefront6targetE0EEEvT1_.numbered_sgpr, 0
	.set _ZN7rocprim17ROCPRIM_400000_NS6detail17trampoline_kernelINS0_14default_configENS1_27scan_by_key_config_selectorIssEEZZNS1_16scan_by_key_implILNS1_25lookback_scan_determinismE0ELb0ES3_N6thrust23THRUST_200600_302600_NS6detail15normal_iteratorINS9_10device_ptrIsEEEESE_SE_sNS9_4plusIvEENS9_8equal_toIvEEsEE10hipError_tPvRmT2_T3_T4_T5_mT6_T7_P12ihipStream_tbENKUlT_T0_E_clISt17integral_constantIbLb1EESZ_EEDaSU_SV_EUlSU_E_NS1_11comp_targetILNS1_3genE3ELNS1_11target_archE908ELNS1_3gpuE7ELNS1_3repE0EEENS1_30default_config_static_selectorELNS0_4arch9wavefront6targetE0EEEvT1_.num_named_barrier, 0
	.set _ZN7rocprim17ROCPRIM_400000_NS6detail17trampoline_kernelINS0_14default_configENS1_27scan_by_key_config_selectorIssEEZZNS1_16scan_by_key_implILNS1_25lookback_scan_determinismE0ELb0ES3_N6thrust23THRUST_200600_302600_NS6detail15normal_iteratorINS9_10device_ptrIsEEEESE_SE_sNS9_4plusIvEENS9_8equal_toIvEEsEE10hipError_tPvRmT2_T3_T4_T5_mT6_T7_P12ihipStream_tbENKUlT_T0_E_clISt17integral_constantIbLb1EESZ_EEDaSU_SV_EUlSU_E_NS1_11comp_targetILNS1_3genE3ELNS1_11target_archE908ELNS1_3gpuE7ELNS1_3repE0EEENS1_30default_config_static_selectorELNS0_4arch9wavefront6targetE0EEEvT1_.private_seg_size, 0
	.set _ZN7rocprim17ROCPRIM_400000_NS6detail17trampoline_kernelINS0_14default_configENS1_27scan_by_key_config_selectorIssEEZZNS1_16scan_by_key_implILNS1_25lookback_scan_determinismE0ELb0ES3_N6thrust23THRUST_200600_302600_NS6detail15normal_iteratorINS9_10device_ptrIsEEEESE_SE_sNS9_4plusIvEENS9_8equal_toIvEEsEE10hipError_tPvRmT2_T3_T4_T5_mT6_T7_P12ihipStream_tbENKUlT_T0_E_clISt17integral_constantIbLb1EESZ_EEDaSU_SV_EUlSU_E_NS1_11comp_targetILNS1_3genE3ELNS1_11target_archE908ELNS1_3gpuE7ELNS1_3repE0EEENS1_30default_config_static_selectorELNS0_4arch9wavefront6targetE0EEEvT1_.uses_vcc, 0
	.set _ZN7rocprim17ROCPRIM_400000_NS6detail17trampoline_kernelINS0_14default_configENS1_27scan_by_key_config_selectorIssEEZZNS1_16scan_by_key_implILNS1_25lookback_scan_determinismE0ELb0ES3_N6thrust23THRUST_200600_302600_NS6detail15normal_iteratorINS9_10device_ptrIsEEEESE_SE_sNS9_4plusIvEENS9_8equal_toIvEEsEE10hipError_tPvRmT2_T3_T4_T5_mT6_T7_P12ihipStream_tbENKUlT_T0_E_clISt17integral_constantIbLb1EESZ_EEDaSU_SV_EUlSU_E_NS1_11comp_targetILNS1_3genE3ELNS1_11target_archE908ELNS1_3gpuE7ELNS1_3repE0EEENS1_30default_config_static_selectorELNS0_4arch9wavefront6targetE0EEEvT1_.uses_flat_scratch, 0
	.set _ZN7rocprim17ROCPRIM_400000_NS6detail17trampoline_kernelINS0_14default_configENS1_27scan_by_key_config_selectorIssEEZZNS1_16scan_by_key_implILNS1_25lookback_scan_determinismE0ELb0ES3_N6thrust23THRUST_200600_302600_NS6detail15normal_iteratorINS9_10device_ptrIsEEEESE_SE_sNS9_4plusIvEENS9_8equal_toIvEEsEE10hipError_tPvRmT2_T3_T4_T5_mT6_T7_P12ihipStream_tbENKUlT_T0_E_clISt17integral_constantIbLb1EESZ_EEDaSU_SV_EUlSU_E_NS1_11comp_targetILNS1_3genE3ELNS1_11target_archE908ELNS1_3gpuE7ELNS1_3repE0EEENS1_30default_config_static_selectorELNS0_4arch9wavefront6targetE0EEEvT1_.has_dyn_sized_stack, 0
	.set _ZN7rocprim17ROCPRIM_400000_NS6detail17trampoline_kernelINS0_14default_configENS1_27scan_by_key_config_selectorIssEEZZNS1_16scan_by_key_implILNS1_25lookback_scan_determinismE0ELb0ES3_N6thrust23THRUST_200600_302600_NS6detail15normal_iteratorINS9_10device_ptrIsEEEESE_SE_sNS9_4plusIvEENS9_8equal_toIvEEsEE10hipError_tPvRmT2_T3_T4_T5_mT6_T7_P12ihipStream_tbENKUlT_T0_E_clISt17integral_constantIbLb1EESZ_EEDaSU_SV_EUlSU_E_NS1_11comp_targetILNS1_3genE3ELNS1_11target_archE908ELNS1_3gpuE7ELNS1_3repE0EEENS1_30default_config_static_selectorELNS0_4arch9wavefront6targetE0EEEvT1_.has_recursion, 0
	.set _ZN7rocprim17ROCPRIM_400000_NS6detail17trampoline_kernelINS0_14default_configENS1_27scan_by_key_config_selectorIssEEZZNS1_16scan_by_key_implILNS1_25lookback_scan_determinismE0ELb0ES3_N6thrust23THRUST_200600_302600_NS6detail15normal_iteratorINS9_10device_ptrIsEEEESE_SE_sNS9_4plusIvEENS9_8equal_toIvEEsEE10hipError_tPvRmT2_T3_T4_T5_mT6_T7_P12ihipStream_tbENKUlT_T0_E_clISt17integral_constantIbLb1EESZ_EEDaSU_SV_EUlSU_E_NS1_11comp_targetILNS1_3genE3ELNS1_11target_archE908ELNS1_3gpuE7ELNS1_3repE0EEENS1_30default_config_static_selectorELNS0_4arch9wavefront6targetE0EEEvT1_.has_indirect_call, 0
	.section	.AMDGPU.csdata,"",@progbits
; Kernel info:
; codeLenInByte = 0
; TotalNumSgprs: 0
; NumVgprs: 0
; ScratchSize: 0
; MemoryBound: 0
; FloatMode: 240
; IeeeMode: 1
; LDSByteSize: 0 bytes/workgroup (compile time only)
; SGPRBlocks: 0
; VGPRBlocks: 0
; NumSGPRsForWavesPerEU: 1
; NumVGPRsForWavesPerEU: 1
; Occupancy: 16
; WaveLimiterHint : 0
; COMPUTE_PGM_RSRC2:SCRATCH_EN: 0
; COMPUTE_PGM_RSRC2:USER_SGPR: 6
; COMPUTE_PGM_RSRC2:TRAP_HANDLER: 0
; COMPUTE_PGM_RSRC2:TGID_X_EN: 1
; COMPUTE_PGM_RSRC2:TGID_Y_EN: 0
; COMPUTE_PGM_RSRC2:TGID_Z_EN: 0
; COMPUTE_PGM_RSRC2:TIDIG_COMP_CNT: 0
	.section	.text._ZN7rocprim17ROCPRIM_400000_NS6detail17trampoline_kernelINS0_14default_configENS1_27scan_by_key_config_selectorIssEEZZNS1_16scan_by_key_implILNS1_25lookback_scan_determinismE0ELb0ES3_N6thrust23THRUST_200600_302600_NS6detail15normal_iteratorINS9_10device_ptrIsEEEESE_SE_sNS9_4plusIvEENS9_8equal_toIvEEsEE10hipError_tPvRmT2_T3_T4_T5_mT6_T7_P12ihipStream_tbENKUlT_T0_E_clISt17integral_constantIbLb1EESZ_EEDaSU_SV_EUlSU_E_NS1_11comp_targetILNS1_3genE2ELNS1_11target_archE906ELNS1_3gpuE6ELNS1_3repE0EEENS1_30default_config_static_selectorELNS0_4arch9wavefront6targetE0EEEvT1_,"axG",@progbits,_ZN7rocprim17ROCPRIM_400000_NS6detail17trampoline_kernelINS0_14default_configENS1_27scan_by_key_config_selectorIssEEZZNS1_16scan_by_key_implILNS1_25lookback_scan_determinismE0ELb0ES3_N6thrust23THRUST_200600_302600_NS6detail15normal_iteratorINS9_10device_ptrIsEEEESE_SE_sNS9_4plusIvEENS9_8equal_toIvEEsEE10hipError_tPvRmT2_T3_T4_T5_mT6_T7_P12ihipStream_tbENKUlT_T0_E_clISt17integral_constantIbLb1EESZ_EEDaSU_SV_EUlSU_E_NS1_11comp_targetILNS1_3genE2ELNS1_11target_archE906ELNS1_3gpuE6ELNS1_3repE0EEENS1_30default_config_static_selectorELNS0_4arch9wavefront6targetE0EEEvT1_,comdat
	.protected	_ZN7rocprim17ROCPRIM_400000_NS6detail17trampoline_kernelINS0_14default_configENS1_27scan_by_key_config_selectorIssEEZZNS1_16scan_by_key_implILNS1_25lookback_scan_determinismE0ELb0ES3_N6thrust23THRUST_200600_302600_NS6detail15normal_iteratorINS9_10device_ptrIsEEEESE_SE_sNS9_4plusIvEENS9_8equal_toIvEEsEE10hipError_tPvRmT2_T3_T4_T5_mT6_T7_P12ihipStream_tbENKUlT_T0_E_clISt17integral_constantIbLb1EESZ_EEDaSU_SV_EUlSU_E_NS1_11comp_targetILNS1_3genE2ELNS1_11target_archE906ELNS1_3gpuE6ELNS1_3repE0EEENS1_30default_config_static_selectorELNS0_4arch9wavefront6targetE0EEEvT1_ ; -- Begin function _ZN7rocprim17ROCPRIM_400000_NS6detail17trampoline_kernelINS0_14default_configENS1_27scan_by_key_config_selectorIssEEZZNS1_16scan_by_key_implILNS1_25lookback_scan_determinismE0ELb0ES3_N6thrust23THRUST_200600_302600_NS6detail15normal_iteratorINS9_10device_ptrIsEEEESE_SE_sNS9_4plusIvEENS9_8equal_toIvEEsEE10hipError_tPvRmT2_T3_T4_T5_mT6_T7_P12ihipStream_tbENKUlT_T0_E_clISt17integral_constantIbLb1EESZ_EEDaSU_SV_EUlSU_E_NS1_11comp_targetILNS1_3genE2ELNS1_11target_archE906ELNS1_3gpuE6ELNS1_3repE0EEENS1_30default_config_static_selectorELNS0_4arch9wavefront6targetE0EEEvT1_
	.globl	_ZN7rocprim17ROCPRIM_400000_NS6detail17trampoline_kernelINS0_14default_configENS1_27scan_by_key_config_selectorIssEEZZNS1_16scan_by_key_implILNS1_25lookback_scan_determinismE0ELb0ES3_N6thrust23THRUST_200600_302600_NS6detail15normal_iteratorINS9_10device_ptrIsEEEESE_SE_sNS9_4plusIvEENS9_8equal_toIvEEsEE10hipError_tPvRmT2_T3_T4_T5_mT6_T7_P12ihipStream_tbENKUlT_T0_E_clISt17integral_constantIbLb1EESZ_EEDaSU_SV_EUlSU_E_NS1_11comp_targetILNS1_3genE2ELNS1_11target_archE906ELNS1_3gpuE6ELNS1_3repE0EEENS1_30default_config_static_selectorELNS0_4arch9wavefront6targetE0EEEvT1_
	.p2align	8
	.type	_ZN7rocprim17ROCPRIM_400000_NS6detail17trampoline_kernelINS0_14default_configENS1_27scan_by_key_config_selectorIssEEZZNS1_16scan_by_key_implILNS1_25lookback_scan_determinismE0ELb0ES3_N6thrust23THRUST_200600_302600_NS6detail15normal_iteratorINS9_10device_ptrIsEEEESE_SE_sNS9_4plusIvEENS9_8equal_toIvEEsEE10hipError_tPvRmT2_T3_T4_T5_mT6_T7_P12ihipStream_tbENKUlT_T0_E_clISt17integral_constantIbLb1EESZ_EEDaSU_SV_EUlSU_E_NS1_11comp_targetILNS1_3genE2ELNS1_11target_archE906ELNS1_3gpuE6ELNS1_3repE0EEENS1_30default_config_static_selectorELNS0_4arch9wavefront6targetE0EEEvT1_,@function
_ZN7rocprim17ROCPRIM_400000_NS6detail17trampoline_kernelINS0_14default_configENS1_27scan_by_key_config_selectorIssEEZZNS1_16scan_by_key_implILNS1_25lookback_scan_determinismE0ELb0ES3_N6thrust23THRUST_200600_302600_NS6detail15normal_iteratorINS9_10device_ptrIsEEEESE_SE_sNS9_4plusIvEENS9_8equal_toIvEEsEE10hipError_tPvRmT2_T3_T4_T5_mT6_T7_P12ihipStream_tbENKUlT_T0_E_clISt17integral_constantIbLb1EESZ_EEDaSU_SV_EUlSU_E_NS1_11comp_targetILNS1_3genE2ELNS1_11target_archE906ELNS1_3gpuE6ELNS1_3repE0EEENS1_30default_config_static_selectorELNS0_4arch9wavefront6targetE0EEEvT1_: ; @_ZN7rocprim17ROCPRIM_400000_NS6detail17trampoline_kernelINS0_14default_configENS1_27scan_by_key_config_selectorIssEEZZNS1_16scan_by_key_implILNS1_25lookback_scan_determinismE0ELb0ES3_N6thrust23THRUST_200600_302600_NS6detail15normal_iteratorINS9_10device_ptrIsEEEESE_SE_sNS9_4plusIvEENS9_8equal_toIvEEsEE10hipError_tPvRmT2_T3_T4_T5_mT6_T7_P12ihipStream_tbENKUlT_T0_E_clISt17integral_constantIbLb1EESZ_EEDaSU_SV_EUlSU_E_NS1_11comp_targetILNS1_3genE2ELNS1_11target_archE906ELNS1_3gpuE6ELNS1_3repE0EEENS1_30default_config_static_selectorELNS0_4arch9wavefront6targetE0EEEvT1_
; %bb.0:
	.section	.rodata,"a",@progbits
	.p2align	6, 0x0
	.amdhsa_kernel _ZN7rocprim17ROCPRIM_400000_NS6detail17trampoline_kernelINS0_14default_configENS1_27scan_by_key_config_selectorIssEEZZNS1_16scan_by_key_implILNS1_25lookback_scan_determinismE0ELb0ES3_N6thrust23THRUST_200600_302600_NS6detail15normal_iteratorINS9_10device_ptrIsEEEESE_SE_sNS9_4plusIvEENS9_8equal_toIvEEsEE10hipError_tPvRmT2_T3_T4_T5_mT6_T7_P12ihipStream_tbENKUlT_T0_E_clISt17integral_constantIbLb1EESZ_EEDaSU_SV_EUlSU_E_NS1_11comp_targetILNS1_3genE2ELNS1_11target_archE906ELNS1_3gpuE6ELNS1_3repE0EEENS1_30default_config_static_selectorELNS0_4arch9wavefront6targetE0EEEvT1_
		.amdhsa_group_segment_fixed_size 0
		.amdhsa_private_segment_fixed_size 0
		.amdhsa_kernarg_size 112
		.amdhsa_user_sgpr_count 6
		.amdhsa_user_sgpr_private_segment_buffer 1
		.amdhsa_user_sgpr_dispatch_ptr 0
		.amdhsa_user_sgpr_queue_ptr 0
		.amdhsa_user_sgpr_kernarg_segment_ptr 1
		.amdhsa_user_sgpr_dispatch_id 0
		.amdhsa_user_sgpr_flat_scratch_init 0
		.amdhsa_user_sgpr_private_segment_size 0
		.amdhsa_wavefront_size32 1
		.amdhsa_uses_dynamic_stack 0
		.amdhsa_system_sgpr_private_segment_wavefront_offset 0
		.amdhsa_system_sgpr_workgroup_id_x 1
		.amdhsa_system_sgpr_workgroup_id_y 0
		.amdhsa_system_sgpr_workgroup_id_z 0
		.amdhsa_system_sgpr_workgroup_info 0
		.amdhsa_system_vgpr_workitem_id 0
		.amdhsa_next_free_vgpr 1
		.amdhsa_next_free_sgpr 1
		.amdhsa_reserve_vcc 0
		.amdhsa_reserve_flat_scratch 0
		.amdhsa_float_round_mode_32 0
		.amdhsa_float_round_mode_16_64 0
		.amdhsa_float_denorm_mode_32 3
		.amdhsa_float_denorm_mode_16_64 3
		.amdhsa_dx10_clamp 1
		.amdhsa_ieee_mode 1
		.amdhsa_fp16_overflow 0
		.amdhsa_workgroup_processor_mode 1
		.amdhsa_memory_ordered 1
		.amdhsa_forward_progress 1
		.amdhsa_shared_vgpr_count 0
		.amdhsa_exception_fp_ieee_invalid_op 0
		.amdhsa_exception_fp_denorm_src 0
		.amdhsa_exception_fp_ieee_div_zero 0
		.amdhsa_exception_fp_ieee_overflow 0
		.amdhsa_exception_fp_ieee_underflow 0
		.amdhsa_exception_fp_ieee_inexact 0
		.amdhsa_exception_int_div_zero 0
	.end_amdhsa_kernel
	.section	.text._ZN7rocprim17ROCPRIM_400000_NS6detail17trampoline_kernelINS0_14default_configENS1_27scan_by_key_config_selectorIssEEZZNS1_16scan_by_key_implILNS1_25lookback_scan_determinismE0ELb0ES3_N6thrust23THRUST_200600_302600_NS6detail15normal_iteratorINS9_10device_ptrIsEEEESE_SE_sNS9_4plusIvEENS9_8equal_toIvEEsEE10hipError_tPvRmT2_T3_T4_T5_mT6_T7_P12ihipStream_tbENKUlT_T0_E_clISt17integral_constantIbLb1EESZ_EEDaSU_SV_EUlSU_E_NS1_11comp_targetILNS1_3genE2ELNS1_11target_archE906ELNS1_3gpuE6ELNS1_3repE0EEENS1_30default_config_static_selectorELNS0_4arch9wavefront6targetE0EEEvT1_,"axG",@progbits,_ZN7rocprim17ROCPRIM_400000_NS6detail17trampoline_kernelINS0_14default_configENS1_27scan_by_key_config_selectorIssEEZZNS1_16scan_by_key_implILNS1_25lookback_scan_determinismE0ELb0ES3_N6thrust23THRUST_200600_302600_NS6detail15normal_iteratorINS9_10device_ptrIsEEEESE_SE_sNS9_4plusIvEENS9_8equal_toIvEEsEE10hipError_tPvRmT2_T3_T4_T5_mT6_T7_P12ihipStream_tbENKUlT_T0_E_clISt17integral_constantIbLb1EESZ_EEDaSU_SV_EUlSU_E_NS1_11comp_targetILNS1_3genE2ELNS1_11target_archE906ELNS1_3gpuE6ELNS1_3repE0EEENS1_30default_config_static_selectorELNS0_4arch9wavefront6targetE0EEEvT1_,comdat
.Lfunc_end255:
	.size	_ZN7rocprim17ROCPRIM_400000_NS6detail17trampoline_kernelINS0_14default_configENS1_27scan_by_key_config_selectorIssEEZZNS1_16scan_by_key_implILNS1_25lookback_scan_determinismE0ELb0ES3_N6thrust23THRUST_200600_302600_NS6detail15normal_iteratorINS9_10device_ptrIsEEEESE_SE_sNS9_4plusIvEENS9_8equal_toIvEEsEE10hipError_tPvRmT2_T3_T4_T5_mT6_T7_P12ihipStream_tbENKUlT_T0_E_clISt17integral_constantIbLb1EESZ_EEDaSU_SV_EUlSU_E_NS1_11comp_targetILNS1_3genE2ELNS1_11target_archE906ELNS1_3gpuE6ELNS1_3repE0EEENS1_30default_config_static_selectorELNS0_4arch9wavefront6targetE0EEEvT1_, .Lfunc_end255-_ZN7rocprim17ROCPRIM_400000_NS6detail17trampoline_kernelINS0_14default_configENS1_27scan_by_key_config_selectorIssEEZZNS1_16scan_by_key_implILNS1_25lookback_scan_determinismE0ELb0ES3_N6thrust23THRUST_200600_302600_NS6detail15normal_iteratorINS9_10device_ptrIsEEEESE_SE_sNS9_4plusIvEENS9_8equal_toIvEEsEE10hipError_tPvRmT2_T3_T4_T5_mT6_T7_P12ihipStream_tbENKUlT_T0_E_clISt17integral_constantIbLb1EESZ_EEDaSU_SV_EUlSU_E_NS1_11comp_targetILNS1_3genE2ELNS1_11target_archE906ELNS1_3gpuE6ELNS1_3repE0EEENS1_30default_config_static_selectorELNS0_4arch9wavefront6targetE0EEEvT1_
                                        ; -- End function
	.set _ZN7rocprim17ROCPRIM_400000_NS6detail17trampoline_kernelINS0_14default_configENS1_27scan_by_key_config_selectorIssEEZZNS1_16scan_by_key_implILNS1_25lookback_scan_determinismE0ELb0ES3_N6thrust23THRUST_200600_302600_NS6detail15normal_iteratorINS9_10device_ptrIsEEEESE_SE_sNS9_4plusIvEENS9_8equal_toIvEEsEE10hipError_tPvRmT2_T3_T4_T5_mT6_T7_P12ihipStream_tbENKUlT_T0_E_clISt17integral_constantIbLb1EESZ_EEDaSU_SV_EUlSU_E_NS1_11comp_targetILNS1_3genE2ELNS1_11target_archE906ELNS1_3gpuE6ELNS1_3repE0EEENS1_30default_config_static_selectorELNS0_4arch9wavefront6targetE0EEEvT1_.num_vgpr, 0
	.set _ZN7rocprim17ROCPRIM_400000_NS6detail17trampoline_kernelINS0_14default_configENS1_27scan_by_key_config_selectorIssEEZZNS1_16scan_by_key_implILNS1_25lookback_scan_determinismE0ELb0ES3_N6thrust23THRUST_200600_302600_NS6detail15normal_iteratorINS9_10device_ptrIsEEEESE_SE_sNS9_4plusIvEENS9_8equal_toIvEEsEE10hipError_tPvRmT2_T3_T4_T5_mT6_T7_P12ihipStream_tbENKUlT_T0_E_clISt17integral_constantIbLb1EESZ_EEDaSU_SV_EUlSU_E_NS1_11comp_targetILNS1_3genE2ELNS1_11target_archE906ELNS1_3gpuE6ELNS1_3repE0EEENS1_30default_config_static_selectorELNS0_4arch9wavefront6targetE0EEEvT1_.num_agpr, 0
	.set _ZN7rocprim17ROCPRIM_400000_NS6detail17trampoline_kernelINS0_14default_configENS1_27scan_by_key_config_selectorIssEEZZNS1_16scan_by_key_implILNS1_25lookback_scan_determinismE0ELb0ES3_N6thrust23THRUST_200600_302600_NS6detail15normal_iteratorINS9_10device_ptrIsEEEESE_SE_sNS9_4plusIvEENS9_8equal_toIvEEsEE10hipError_tPvRmT2_T3_T4_T5_mT6_T7_P12ihipStream_tbENKUlT_T0_E_clISt17integral_constantIbLb1EESZ_EEDaSU_SV_EUlSU_E_NS1_11comp_targetILNS1_3genE2ELNS1_11target_archE906ELNS1_3gpuE6ELNS1_3repE0EEENS1_30default_config_static_selectorELNS0_4arch9wavefront6targetE0EEEvT1_.numbered_sgpr, 0
	.set _ZN7rocprim17ROCPRIM_400000_NS6detail17trampoline_kernelINS0_14default_configENS1_27scan_by_key_config_selectorIssEEZZNS1_16scan_by_key_implILNS1_25lookback_scan_determinismE0ELb0ES3_N6thrust23THRUST_200600_302600_NS6detail15normal_iteratorINS9_10device_ptrIsEEEESE_SE_sNS9_4plusIvEENS9_8equal_toIvEEsEE10hipError_tPvRmT2_T3_T4_T5_mT6_T7_P12ihipStream_tbENKUlT_T0_E_clISt17integral_constantIbLb1EESZ_EEDaSU_SV_EUlSU_E_NS1_11comp_targetILNS1_3genE2ELNS1_11target_archE906ELNS1_3gpuE6ELNS1_3repE0EEENS1_30default_config_static_selectorELNS0_4arch9wavefront6targetE0EEEvT1_.num_named_barrier, 0
	.set _ZN7rocprim17ROCPRIM_400000_NS6detail17trampoline_kernelINS0_14default_configENS1_27scan_by_key_config_selectorIssEEZZNS1_16scan_by_key_implILNS1_25lookback_scan_determinismE0ELb0ES3_N6thrust23THRUST_200600_302600_NS6detail15normal_iteratorINS9_10device_ptrIsEEEESE_SE_sNS9_4plusIvEENS9_8equal_toIvEEsEE10hipError_tPvRmT2_T3_T4_T5_mT6_T7_P12ihipStream_tbENKUlT_T0_E_clISt17integral_constantIbLb1EESZ_EEDaSU_SV_EUlSU_E_NS1_11comp_targetILNS1_3genE2ELNS1_11target_archE906ELNS1_3gpuE6ELNS1_3repE0EEENS1_30default_config_static_selectorELNS0_4arch9wavefront6targetE0EEEvT1_.private_seg_size, 0
	.set _ZN7rocprim17ROCPRIM_400000_NS6detail17trampoline_kernelINS0_14default_configENS1_27scan_by_key_config_selectorIssEEZZNS1_16scan_by_key_implILNS1_25lookback_scan_determinismE0ELb0ES3_N6thrust23THRUST_200600_302600_NS6detail15normal_iteratorINS9_10device_ptrIsEEEESE_SE_sNS9_4plusIvEENS9_8equal_toIvEEsEE10hipError_tPvRmT2_T3_T4_T5_mT6_T7_P12ihipStream_tbENKUlT_T0_E_clISt17integral_constantIbLb1EESZ_EEDaSU_SV_EUlSU_E_NS1_11comp_targetILNS1_3genE2ELNS1_11target_archE906ELNS1_3gpuE6ELNS1_3repE0EEENS1_30default_config_static_selectorELNS0_4arch9wavefront6targetE0EEEvT1_.uses_vcc, 0
	.set _ZN7rocprim17ROCPRIM_400000_NS6detail17trampoline_kernelINS0_14default_configENS1_27scan_by_key_config_selectorIssEEZZNS1_16scan_by_key_implILNS1_25lookback_scan_determinismE0ELb0ES3_N6thrust23THRUST_200600_302600_NS6detail15normal_iteratorINS9_10device_ptrIsEEEESE_SE_sNS9_4plusIvEENS9_8equal_toIvEEsEE10hipError_tPvRmT2_T3_T4_T5_mT6_T7_P12ihipStream_tbENKUlT_T0_E_clISt17integral_constantIbLb1EESZ_EEDaSU_SV_EUlSU_E_NS1_11comp_targetILNS1_3genE2ELNS1_11target_archE906ELNS1_3gpuE6ELNS1_3repE0EEENS1_30default_config_static_selectorELNS0_4arch9wavefront6targetE0EEEvT1_.uses_flat_scratch, 0
	.set _ZN7rocprim17ROCPRIM_400000_NS6detail17trampoline_kernelINS0_14default_configENS1_27scan_by_key_config_selectorIssEEZZNS1_16scan_by_key_implILNS1_25lookback_scan_determinismE0ELb0ES3_N6thrust23THRUST_200600_302600_NS6detail15normal_iteratorINS9_10device_ptrIsEEEESE_SE_sNS9_4plusIvEENS9_8equal_toIvEEsEE10hipError_tPvRmT2_T3_T4_T5_mT6_T7_P12ihipStream_tbENKUlT_T0_E_clISt17integral_constantIbLb1EESZ_EEDaSU_SV_EUlSU_E_NS1_11comp_targetILNS1_3genE2ELNS1_11target_archE906ELNS1_3gpuE6ELNS1_3repE0EEENS1_30default_config_static_selectorELNS0_4arch9wavefront6targetE0EEEvT1_.has_dyn_sized_stack, 0
	.set _ZN7rocprim17ROCPRIM_400000_NS6detail17trampoline_kernelINS0_14default_configENS1_27scan_by_key_config_selectorIssEEZZNS1_16scan_by_key_implILNS1_25lookback_scan_determinismE0ELb0ES3_N6thrust23THRUST_200600_302600_NS6detail15normal_iteratorINS9_10device_ptrIsEEEESE_SE_sNS9_4plusIvEENS9_8equal_toIvEEsEE10hipError_tPvRmT2_T3_T4_T5_mT6_T7_P12ihipStream_tbENKUlT_T0_E_clISt17integral_constantIbLb1EESZ_EEDaSU_SV_EUlSU_E_NS1_11comp_targetILNS1_3genE2ELNS1_11target_archE906ELNS1_3gpuE6ELNS1_3repE0EEENS1_30default_config_static_selectorELNS0_4arch9wavefront6targetE0EEEvT1_.has_recursion, 0
	.set _ZN7rocprim17ROCPRIM_400000_NS6detail17trampoline_kernelINS0_14default_configENS1_27scan_by_key_config_selectorIssEEZZNS1_16scan_by_key_implILNS1_25lookback_scan_determinismE0ELb0ES3_N6thrust23THRUST_200600_302600_NS6detail15normal_iteratorINS9_10device_ptrIsEEEESE_SE_sNS9_4plusIvEENS9_8equal_toIvEEsEE10hipError_tPvRmT2_T3_T4_T5_mT6_T7_P12ihipStream_tbENKUlT_T0_E_clISt17integral_constantIbLb1EESZ_EEDaSU_SV_EUlSU_E_NS1_11comp_targetILNS1_3genE2ELNS1_11target_archE906ELNS1_3gpuE6ELNS1_3repE0EEENS1_30default_config_static_selectorELNS0_4arch9wavefront6targetE0EEEvT1_.has_indirect_call, 0
	.section	.AMDGPU.csdata,"",@progbits
; Kernel info:
; codeLenInByte = 0
; TotalNumSgprs: 0
; NumVgprs: 0
; ScratchSize: 0
; MemoryBound: 0
; FloatMode: 240
; IeeeMode: 1
; LDSByteSize: 0 bytes/workgroup (compile time only)
; SGPRBlocks: 0
; VGPRBlocks: 0
; NumSGPRsForWavesPerEU: 1
; NumVGPRsForWavesPerEU: 1
; Occupancy: 16
; WaveLimiterHint : 0
; COMPUTE_PGM_RSRC2:SCRATCH_EN: 0
; COMPUTE_PGM_RSRC2:USER_SGPR: 6
; COMPUTE_PGM_RSRC2:TRAP_HANDLER: 0
; COMPUTE_PGM_RSRC2:TGID_X_EN: 1
; COMPUTE_PGM_RSRC2:TGID_Y_EN: 0
; COMPUTE_PGM_RSRC2:TGID_Z_EN: 0
; COMPUTE_PGM_RSRC2:TIDIG_COMP_CNT: 0
	.section	.text._ZN7rocprim17ROCPRIM_400000_NS6detail17trampoline_kernelINS0_14default_configENS1_27scan_by_key_config_selectorIssEEZZNS1_16scan_by_key_implILNS1_25lookback_scan_determinismE0ELb0ES3_N6thrust23THRUST_200600_302600_NS6detail15normal_iteratorINS9_10device_ptrIsEEEESE_SE_sNS9_4plusIvEENS9_8equal_toIvEEsEE10hipError_tPvRmT2_T3_T4_T5_mT6_T7_P12ihipStream_tbENKUlT_T0_E_clISt17integral_constantIbLb1EESZ_EEDaSU_SV_EUlSU_E_NS1_11comp_targetILNS1_3genE10ELNS1_11target_archE1200ELNS1_3gpuE4ELNS1_3repE0EEENS1_30default_config_static_selectorELNS0_4arch9wavefront6targetE0EEEvT1_,"axG",@progbits,_ZN7rocprim17ROCPRIM_400000_NS6detail17trampoline_kernelINS0_14default_configENS1_27scan_by_key_config_selectorIssEEZZNS1_16scan_by_key_implILNS1_25lookback_scan_determinismE0ELb0ES3_N6thrust23THRUST_200600_302600_NS6detail15normal_iteratorINS9_10device_ptrIsEEEESE_SE_sNS9_4plusIvEENS9_8equal_toIvEEsEE10hipError_tPvRmT2_T3_T4_T5_mT6_T7_P12ihipStream_tbENKUlT_T0_E_clISt17integral_constantIbLb1EESZ_EEDaSU_SV_EUlSU_E_NS1_11comp_targetILNS1_3genE10ELNS1_11target_archE1200ELNS1_3gpuE4ELNS1_3repE0EEENS1_30default_config_static_selectorELNS0_4arch9wavefront6targetE0EEEvT1_,comdat
	.protected	_ZN7rocprim17ROCPRIM_400000_NS6detail17trampoline_kernelINS0_14default_configENS1_27scan_by_key_config_selectorIssEEZZNS1_16scan_by_key_implILNS1_25lookback_scan_determinismE0ELb0ES3_N6thrust23THRUST_200600_302600_NS6detail15normal_iteratorINS9_10device_ptrIsEEEESE_SE_sNS9_4plusIvEENS9_8equal_toIvEEsEE10hipError_tPvRmT2_T3_T4_T5_mT6_T7_P12ihipStream_tbENKUlT_T0_E_clISt17integral_constantIbLb1EESZ_EEDaSU_SV_EUlSU_E_NS1_11comp_targetILNS1_3genE10ELNS1_11target_archE1200ELNS1_3gpuE4ELNS1_3repE0EEENS1_30default_config_static_selectorELNS0_4arch9wavefront6targetE0EEEvT1_ ; -- Begin function _ZN7rocprim17ROCPRIM_400000_NS6detail17trampoline_kernelINS0_14default_configENS1_27scan_by_key_config_selectorIssEEZZNS1_16scan_by_key_implILNS1_25lookback_scan_determinismE0ELb0ES3_N6thrust23THRUST_200600_302600_NS6detail15normal_iteratorINS9_10device_ptrIsEEEESE_SE_sNS9_4plusIvEENS9_8equal_toIvEEsEE10hipError_tPvRmT2_T3_T4_T5_mT6_T7_P12ihipStream_tbENKUlT_T0_E_clISt17integral_constantIbLb1EESZ_EEDaSU_SV_EUlSU_E_NS1_11comp_targetILNS1_3genE10ELNS1_11target_archE1200ELNS1_3gpuE4ELNS1_3repE0EEENS1_30default_config_static_selectorELNS0_4arch9wavefront6targetE0EEEvT1_
	.globl	_ZN7rocprim17ROCPRIM_400000_NS6detail17trampoline_kernelINS0_14default_configENS1_27scan_by_key_config_selectorIssEEZZNS1_16scan_by_key_implILNS1_25lookback_scan_determinismE0ELb0ES3_N6thrust23THRUST_200600_302600_NS6detail15normal_iteratorINS9_10device_ptrIsEEEESE_SE_sNS9_4plusIvEENS9_8equal_toIvEEsEE10hipError_tPvRmT2_T3_T4_T5_mT6_T7_P12ihipStream_tbENKUlT_T0_E_clISt17integral_constantIbLb1EESZ_EEDaSU_SV_EUlSU_E_NS1_11comp_targetILNS1_3genE10ELNS1_11target_archE1200ELNS1_3gpuE4ELNS1_3repE0EEENS1_30default_config_static_selectorELNS0_4arch9wavefront6targetE0EEEvT1_
	.p2align	8
	.type	_ZN7rocprim17ROCPRIM_400000_NS6detail17trampoline_kernelINS0_14default_configENS1_27scan_by_key_config_selectorIssEEZZNS1_16scan_by_key_implILNS1_25lookback_scan_determinismE0ELb0ES3_N6thrust23THRUST_200600_302600_NS6detail15normal_iteratorINS9_10device_ptrIsEEEESE_SE_sNS9_4plusIvEENS9_8equal_toIvEEsEE10hipError_tPvRmT2_T3_T4_T5_mT6_T7_P12ihipStream_tbENKUlT_T0_E_clISt17integral_constantIbLb1EESZ_EEDaSU_SV_EUlSU_E_NS1_11comp_targetILNS1_3genE10ELNS1_11target_archE1200ELNS1_3gpuE4ELNS1_3repE0EEENS1_30default_config_static_selectorELNS0_4arch9wavefront6targetE0EEEvT1_,@function
_ZN7rocprim17ROCPRIM_400000_NS6detail17trampoline_kernelINS0_14default_configENS1_27scan_by_key_config_selectorIssEEZZNS1_16scan_by_key_implILNS1_25lookback_scan_determinismE0ELb0ES3_N6thrust23THRUST_200600_302600_NS6detail15normal_iteratorINS9_10device_ptrIsEEEESE_SE_sNS9_4plusIvEENS9_8equal_toIvEEsEE10hipError_tPvRmT2_T3_T4_T5_mT6_T7_P12ihipStream_tbENKUlT_T0_E_clISt17integral_constantIbLb1EESZ_EEDaSU_SV_EUlSU_E_NS1_11comp_targetILNS1_3genE10ELNS1_11target_archE1200ELNS1_3gpuE4ELNS1_3repE0EEENS1_30default_config_static_selectorELNS0_4arch9wavefront6targetE0EEEvT1_: ; @_ZN7rocprim17ROCPRIM_400000_NS6detail17trampoline_kernelINS0_14default_configENS1_27scan_by_key_config_selectorIssEEZZNS1_16scan_by_key_implILNS1_25lookback_scan_determinismE0ELb0ES3_N6thrust23THRUST_200600_302600_NS6detail15normal_iteratorINS9_10device_ptrIsEEEESE_SE_sNS9_4plusIvEENS9_8equal_toIvEEsEE10hipError_tPvRmT2_T3_T4_T5_mT6_T7_P12ihipStream_tbENKUlT_T0_E_clISt17integral_constantIbLb1EESZ_EEDaSU_SV_EUlSU_E_NS1_11comp_targetILNS1_3genE10ELNS1_11target_archE1200ELNS1_3gpuE4ELNS1_3repE0EEENS1_30default_config_static_selectorELNS0_4arch9wavefront6targetE0EEEvT1_
; %bb.0:
	.section	.rodata,"a",@progbits
	.p2align	6, 0x0
	.amdhsa_kernel _ZN7rocprim17ROCPRIM_400000_NS6detail17trampoline_kernelINS0_14default_configENS1_27scan_by_key_config_selectorIssEEZZNS1_16scan_by_key_implILNS1_25lookback_scan_determinismE0ELb0ES3_N6thrust23THRUST_200600_302600_NS6detail15normal_iteratorINS9_10device_ptrIsEEEESE_SE_sNS9_4plusIvEENS9_8equal_toIvEEsEE10hipError_tPvRmT2_T3_T4_T5_mT6_T7_P12ihipStream_tbENKUlT_T0_E_clISt17integral_constantIbLb1EESZ_EEDaSU_SV_EUlSU_E_NS1_11comp_targetILNS1_3genE10ELNS1_11target_archE1200ELNS1_3gpuE4ELNS1_3repE0EEENS1_30default_config_static_selectorELNS0_4arch9wavefront6targetE0EEEvT1_
		.amdhsa_group_segment_fixed_size 0
		.amdhsa_private_segment_fixed_size 0
		.amdhsa_kernarg_size 112
		.amdhsa_user_sgpr_count 6
		.amdhsa_user_sgpr_private_segment_buffer 1
		.amdhsa_user_sgpr_dispatch_ptr 0
		.amdhsa_user_sgpr_queue_ptr 0
		.amdhsa_user_sgpr_kernarg_segment_ptr 1
		.amdhsa_user_sgpr_dispatch_id 0
		.amdhsa_user_sgpr_flat_scratch_init 0
		.amdhsa_user_sgpr_private_segment_size 0
		.amdhsa_wavefront_size32 1
		.amdhsa_uses_dynamic_stack 0
		.amdhsa_system_sgpr_private_segment_wavefront_offset 0
		.amdhsa_system_sgpr_workgroup_id_x 1
		.amdhsa_system_sgpr_workgroup_id_y 0
		.amdhsa_system_sgpr_workgroup_id_z 0
		.amdhsa_system_sgpr_workgroup_info 0
		.amdhsa_system_vgpr_workitem_id 0
		.amdhsa_next_free_vgpr 1
		.amdhsa_next_free_sgpr 1
		.amdhsa_reserve_vcc 0
		.amdhsa_reserve_flat_scratch 0
		.amdhsa_float_round_mode_32 0
		.amdhsa_float_round_mode_16_64 0
		.amdhsa_float_denorm_mode_32 3
		.amdhsa_float_denorm_mode_16_64 3
		.amdhsa_dx10_clamp 1
		.amdhsa_ieee_mode 1
		.amdhsa_fp16_overflow 0
		.amdhsa_workgroup_processor_mode 1
		.amdhsa_memory_ordered 1
		.amdhsa_forward_progress 1
		.amdhsa_shared_vgpr_count 0
		.amdhsa_exception_fp_ieee_invalid_op 0
		.amdhsa_exception_fp_denorm_src 0
		.amdhsa_exception_fp_ieee_div_zero 0
		.amdhsa_exception_fp_ieee_overflow 0
		.amdhsa_exception_fp_ieee_underflow 0
		.amdhsa_exception_fp_ieee_inexact 0
		.amdhsa_exception_int_div_zero 0
	.end_amdhsa_kernel
	.section	.text._ZN7rocprim17ROCPRIM_400000_NS6detail17trampoline_kernelINS0_14default_configENS1_27scan_by_key_config_selectorIssEEZZNS1_16scan_by_key_implILNS1_25lookback_scan_determinismE0ELb0ES3_N6thrust23THRUST_200600_302600_NS6detail15normal_iteratorINS9_10device_ptrIsEEEESE_SE_sNS9_4plusIvEENS9_8equal_toIvEEsEE10hipError_tPvRmT2_T3_T4_T5_mT6_T7_P12ihipStream_tbENKUlT_T0_E_clISt17integral_constantIbLb1EESZ_EEDaSU_SV_EUlSU_E_NS1_11comp_targetILNS1_3genE10ELNS1_11target_archE1200ELNS1_3gpuE4ELNS1_3repE0EEENS1_30default_config_static_selectorELNS0_4arch9wavefront6targetE0EEEvT1_,"axG",@progbits,_ZN7rocprim17ROCPRIM_400000_NS6detail17trampoline_kernelINS0_14default_configENS1_27scan_by_key_config_selectorIssEEZZNS1_16scan_by_key_implILNS1_25lookback_scan_determinismE0ELb0ES3_N6thrust23THRUST_200600_302600_NS6detail15normal_iteratorINS9_10device_ptrIsEEEESE_SE_sNS9_4plusIvEENS9_8equal_toIvEEsEE10hipError_tPvRmT2_T3_T4_T5_mT6_T7_P12ihipStream_tbENKUlT_T0_E_clISt17integral_constantIbLb1EESZ_EEDaSU_SV_EUlSU_E_NS1_11comp_targetILNS1_3genE10ELNS1_11target_archE1200ELNS1_3gpuE4ELNS1_3repE0EEENS1_30default_config_static_selectorELNS0_4arch9wavefront6targetE0EEEvT1_,comdat
.Lfunc_end256:
	.size	_ZN7rocprim17ROCPRIM_400000_NS6detail17trampoline_kernelINS0_14default_configENS1_27scan_by_key_config_selectorIssEEZZNS1_16scan_by_key_implILNS1_25lookback_scan_determinismE0ELb0ES3_N6thrust23THRUST_200600_302600_NS6detail15normal_iteratorINS9_10device_ptrIsEEEESE_SE_sNS9_4plusIvEENS9_8equal_toIvEEsEE10hipError_tPvRmT2_T3_T4_T5_mT6_T7_P12ihipStream_tbENKUlT_T0_E_clISt17integral_constantIbLb1EESZ_EEDaSU_SV_EUlSU_E_NS1_11comp_targetILNS1_3genE10ELNS1_11target_archE1200ELNS1_3gpuE4ELNS1_3repE0EEENS1_30default_config_static_selectorELNS0_4arch9wavefront6targetE0EEEvT1_, .Lfunc_end256-_ZN7rocprim17ROCPRIM_400000_NS6detail17trampoline_kernelINS0_14default_configENS1_27scan_by_key_config_selectorIssEEZZNS1_16scan_by_key_implILNS1_25lookback_scan_determinismE0ELb0ES3_N6thrust23THRUST_200600_302600_NS6detail15normal_iteratorINS9_10device_ptrIsEEEESE_SE_sNS9_4plusIvEENS9_8equal_toIvEEsEE10hipError_tPvRmT2_T3_T4_T5_mT6_T7_P12ihipStream_tbENKUlT_T0_E_clISt17integral_constantIbLb1EESZ_EEDaSU_SV_EUlSU_E_NS1_11comp_targetILNS1_3genE10ELNS1_11target_archE1200ELNS1_3gpuE4ELNS1_3repE0EEENS1_30default_config_static_selectorELNS0_4arch9wavefront6targetE0EEEvT1_
                                        ; -- End function
	.set _ZN7rocprim17ROCPRIM_400000_NS6detail17trampoline_kernelINS0_14default_configENS1_27scan_by_key_config_selectorIssEEZZNS1_16scan_by_key_implILNS1_25lookback_scan_determinismE0ELb0ES3_N6thrust23THRUST_200600_302600_NS6detail15normal_iteratorINS9_10device_ptrIsEEEESE_SE_sNS9_4plusIvEENS9_8equal_toIvEEsEE10hipError_tPvRmT2_T3_T4_T5_mT6_T7_P12ihipStream_tbENKUlT_T0_E_clISt17integral_constantIbLb1EESZ_EEDaSU_SV_EUlSU_E_NS1_11comp_targetILNS1_3genE10ELNS1_11target_archE1200ELNS1_3gpuE4ELNS1_3repE0EEENS1_30default_config_static_selectorELNS0_4arch9wavefront6targetE0EEEvT1_.num_vgpr, 0
	.set _ZN7rocprim17ROCPRIM_400000_NS6detail17trampoline_kernelINS0_14default_configENS1_27scan_by_key_config_selectorIssEEZZNS1_16scan_by_key_implILNS1_25lookback_scan_determinismE0ELb0ES3_N6thrust23THRUST_200600_302600_NS6detail15normal_iteratorINS9_10device_ptrIsEEEESE_SE_sNS9_4plusIvEENS9_8equal_toIvEEsEE10hipError_tPvRmT2_T3_T4_T5_mT6_T7_P12ihipStream_tbENKUlT_T0_E_clISt17integral_constantIbLb1EESZ_EEDaSU_SV_EUlSU_E_NS1_11comp_targetILNS1_3genE10ELNS1_11target_archE1200ELNS1_3gpuE4ELNS1_3repE0EEENS1_30default_config_static_selectorELNS0_4arch9wavefront6targetE0EEEvT1_.num_agpr, 0
	.set _ZN7rocprim17ROCPRIM_400000_NS6detail17trampoline_kernelINS0_14default_configENS1_27scan_by_key_config_selectorIssEEZZNS1_16scan_by_key_implILNS1_25lookback_scan_determinismE0ELb0ES3_N6thrust23THRUST_200600_302600_NS6detail15normal_iteratorINS9_10device_ptrIsEEEESE_SE_sNS9_4plusIvEENS9_8equal_toIvEEsEE10hipError_tPvRmT2_T3_T4_T5_mT6_T7_P12ihipStream_tbENKUlT_T0_E_clISt17integral_constantIbLb1EESZ_EEDaSU_SV_EUlSU_E_NS1_11comp_targetILNS1_3genE10ELNS1_11target_archE1200ELNS1_3gpuE4ELNS1_3repE0EEENS1_30default_config_static_selectorELNS0_4arch9wavefront6targetE0EEEvT1_.numbered_sgpr, 0
	.set _ZN7rocprim17ROCPRIM_400000_NS6detail17trampoline_kernelINS0_14default_configENS1_27scan_by_key_config_selectorIssEEZZNS1_16scan_by_key_implILNS1_25lookback_scan_determinismE0ELb0ES3_N6thrust23THRUST_200600_302600_NS6detail15normal_iteratorINS9_10device_ptrIsEEEESE_SE_sNS9_4plusIvEENS9_8equal_toIvEEsEE10hipError_tPvRmT2_T3_T4_T5_mT6_T7_P12ihipStream_tbENKUlT_T0_E_clISt17integral_constantIbLb1EESZ_EEDaSU_SV_EUlSU_E_NS1_11comp_targetILNS1_3genE10ELNS1_11target_archE1200ELNS1_3gpuE4ELNS1_3repE0EEENS1_30default_config_static_selectorELNS0_4arch9wavefront6targetE0EEEvT1_.num_named_barrier, 0
	.set _ZN7rocprim17ROCPRIM_400000_NS6detail17trampoline_kernelINS0_14default_configENS1_27scan_by_key_config_selectorIssEEZZNS1_16scan_by_key_implILNS1_25lookback_scan_determinismE0ELb0ES3_N6thrust23THRUST_200600_302600_NS6detail15normal_iteratorINS9_10device_ptrIsEEEESE_SE_sNS9_4plusIvEENS9_8equal_toIvEEsEE10hipError_tPvRmT2_T3_T4_T5_mT6_T7_P12ihipStream_tbENKUlT_T0_E_clISt17integral_constantIbLb1EESZ_EEDaSU_SV_EUlSU_E_NS1_11comp_targetILNS1_3genE10ELNS1_11target_archE1200ELNS1_3gpuE4ELNS1_3repE0EEENS1_30default_config_static_selectorELNS0_4arch9wavefront6targetE0EEEvT1_.private_seg_size, 0
	.set _ZN7rocprim17ROCPRIM_400000_NS6detail17trampoline_kernelINS0_14default_configENS1_27scan_by_key_config_selectorIssEEZZNS1_16scan_by_key_implILNS1_25lookback_scan_determinismE0ELb0ES3_N6thrust23THRUST_200600_302600_NS6detail15normal_iteratorINS9_10device_ptrIsEEEESE_SE_sNS9_4plusIvEENS9_8equal_toIvEEsEE10hipError_tPvRmT2_T3_T4_T5_mT6_T7_P12ihipStream_tbENKUlT_T0_E_clISt17integral_constantIbLb1EESZ_EEDaSU_SV_EUlSU_E_NS1_11comp_targetILNS1_3genE10ELNS1_11target_archE1200ELNS1_3gpuE4ELNS1_3repE0EEENS1_30default_config_static_selectorELNS0_4arch9wavefront6targetE0EEEvT1_.uses_vcc, 0
	.set _ZN7rocprim17ROCPRIM_400000_NS6detail17trampoline_kernelINS0_14default_configENS1_27scan_by_key_config_selectorIssEEZZNS1_16scan_by_key_implILNS1_25lookback_scan_determinismE0ELb0ES3_N6thrust23THRUST_200600_302600_NS6detail15normal_iteratorINS9_10device_ptrIsEEEESE_SE_sNS9_4plusIvEENS9_8equal_toIvEEsEE10hipError_tPvRmT2_T3_T4_T5_mT6_T7_P12ihipStream_tbENKUlT_T0_E_clISt17integral_constantIbLb1EESZ_EEDaSU_SV_EUlSU_E_NS1_11comp_targetILNS1_3genE10ELNS1_11target_archE1200ELNS1_3gpuE4ELNS1_3repE0EEENS1_30default_config_static_selectorELNS0_4arch9wavefront6targetE0EEEvT1_.uses_flat_scratch, 0
	.set _ZN7rocprim17ROCPRIM_400000_NS6detail17trampoline_kernelINS0_14default_configENS1_27scan_by_key_config_selectorIssEEZZNS1_16scan_by_key_implILNS1_25lookback_scan_determinismE0ELb0ES3_N6thrust23THRUST_200600_302600_NS6detail15normal_iteratorINS9_10device_ptrIsEEEESE_SE_sNS9_4plusIvEENS9_8equal_toIvEEsEE10hipError_tPvRmT2_T3_T4_T5_mT6_T7_P12ihipStream_tbENKUlT_T0_E_clISt17integral_constantIbLb1EESZ_EEDaSU_SV_EUlSU_E_NS1_11comp_targetILNS1_3genE10ELNS1_11target_archE1200ELNS1_3gpuE4ELNS1_3repE0EEENS1_30default_config_static_selectorELNS0_4arch9wavefront6targetE0EEEvT1_.has_dyn_sized_stack, 0
	.set _ZN7rocprim17ROCPRIM_400000_NS6detail17trampoline_kernelINS0_14default_configENS1_27scan_by_key_config_selectorIssEEZZNS1_16scan_by_key_implILNS1_25lookback_scan_determinismE0ELb0ES3_N6thrust23THRUST_200600_302600_NS6detail15normal_iteratorINS9_10device_ptrIsEEEESE_SE_sNS9_4plusIvEENS9_8equal_toIvEEsEE10hipError_tPvRmT2_T3_T4_T5_mT6_T7_P12ihipStream_tbENKUlT_T0_E_clISt17integral_constantIbLb1EESZ_EEDaSU_SV_EUlSU_E_NS1_11comp_targetILNS1_3genE10ELNS1_11target_archE1200ELNS1_3gpuE4ELNS1_3repE0EEENS1_30default_config_static_selectorELNS0_4arch9wavefront6targetE0EEEvT1_.has_recursion, 0
	.set _ZN7rocprim17ROCPRIM_400000_NS6detail17trampoline_kernelINS0_14default_configENS1_27scan_by_key_config_selectorIssEEZZNS1_16scan_by_key_implILNS1_25lookback_scan_determinismE0ELb0ES3_N6thrust23THRUST_200600_302600_NS6detail15normal_iteratorINS9_10device_ptrIsEEEESE_SE_sNS9_4plusIvEENS9_8equal_toIvEEsEE10hipError_tPvRmT2_T3_T4_T5_mT6_T7_P12ihipStream_tbENKUlT_T0_E_clISt17integral_constantIbLb1EESZ_EEDaSU_SV_EUlSU_E_NS1_11comp_targetILNS1_3genE10ELNS1_11target_archE1200ELNS1_3gpuE4ELNS1_3repE0EEENS1_30default_config_static_selectorELNS0_4arch9wavefront6targetE0EEEvT1_.has_indirect_call, 0
	.section	.AMDGPU.csdata,"",@progbits
; Kernel info:
; codeLenInByte = 0
; TotalNumSgprs: 0
; NumVgprs: 0
; ScratchSize: 0
; MemoryBound: 0
; FloatMode: 240
; IeeeMode: 1
; LDSByteSize: 0 bytes/workgroup (compile time only)
; SGPRBlocks: 0
; VGPRBlocks: 0
; NumSGPRsForWavesPerEU: 1
; NumVGPRsForWavesPerEU: 1
; Occupancy: 16
; WaveLimiterHint : 0
; COMPUTE_PGM_RSRC2:SCRATCH_EN: 0
; COMPUTE_PGM_RSRC2:USER_SGPR: 6
; COMPUTE_PGM_RSRC2:TRAP_HANDLER: 0
; COMPUTE_PGM_RSRC2:TGID_X_EN: 1
; COMPUTE_PGM_RSRC2:TGID_Y_EN: 0
; COMPUTE_PGM_RSRC2:TGID_Z_EN: 0
; COMPUTE_PGM_RSRC2:TIDIG_COMP_CNT: 0
	.section	.text._ZN7rocprim17ROCPRIM_400000_NS6detail17trampoline_kernelINS0_14default_configENS1_27scan_by_key_config_selectorIssEEZZNS1_16scan_by_key_implILNS1_25lookback_scan_determinismE0ELb0ES3_N6thrust23THRUST_200600_302600_NS6detail15normal_iteratorINS9_10device_ptrIsEEEESE_SE_sNS9_4plusIvEENS9_8equal_toIvEEsEE10hipError_tPvRmT2_T3_T4_T5_mT6_T7_P12ihipStream_tbENKUlT_T0_E_clISt17integral_constantIbLb1EESZ_EEDaSU_SV_EUlSU_E_NS1_11comp_targetILNS1_3genE9ELNS1_11target_archE1100ELNS1_3gpuE3ELNS1_3repE0EEENS1_30default_config_static_selectorELNS0_4arch9wavefront6targetE0EEEvT1_,"axG",@progbits,_ZN7rocprim17ROCPRIM_400000_NS6detail17trampoline_kernelINS0_14default_configENS1_27scan_by_key_config_selectorIssEEZZNS1_16scan_by_key_implILNS1_25lookback_scan_determinismE0ELb0ES3_N6thrust23THRUST_200600_302600_NS6detail15normal_iteratorINS9_10device_ptrIsEEEESE_SE_sNS9_4plusIvEENS9_8equal_toIvEEsEE10hipError_tPvRmT2_T3_T4_T5_mT6_T7_P12ihipStream_tbENKUlT_T0_E_clISt17integral_constantIbLb1EESZ_EEDaSU_SV_EUlSU_E_NS1_11comp_targetILNS1_3genE9ELNS1_11target_archE1100ELNS1_3gpuE3ELNS1_3repE0EEENS1_30default_config_static_selectorELNS0_4arch9wavefront6targetE0EEEvT1_,comdat
	.protected	_ZN7rocprim17ROCPRIM_400000_NS6detail17trampoline_kernelINS0_14default_configENS1_27scan_by_key_config_selectorIssEEZZNS1_16scan_by_key_implILNS1_25lookback_scan_determinismE0ELb0ES3_N6thrust23THRUST_200600_302600_NS6detail15normal_iteratorINS9_10device_ptrIsEEEESE_SE_sNS9_4plusIvEENS9_8equal_toIvEEsEE10hipError_tPvRmT2_T3_T4_T5_mT6_T7_P12ihipStream_tbENKUlT_T0_E_clISt17integral_constantIbLb1EESZ_EEDaSU_SV_EUlSU_E_NS1_11comp_targetILNS1_3genE9ELNS1_11target_archE1100ELNS1_3gpuE3ELNS1_3repE0EEENS1_30default_config_static_selectorELNS0_4arch9wavefront6targetE0EEEvT1_ ; -- Begin function _ZN7rocprim17ROCPRIM_400000_NS6detail17trampoline_kernelINS0_14default_configENS1_27scan_by_key_config_selectorIssEEZZNS1_16scan_by_key_implILNS1_25lookback_scan_determinismE0ELb0ES3_N6thrust23THRUST_200600_302600_NS6detail15normal_iteratorINS9_10device_ptrIsEEEESE_SE_sNS9_4plusIvEENS9_8equal_toIvEEsEE10hipError_tPvRmT2_T3_T4_T5_mT6_T7_P12ihipStream_tbENKUlT_T0_E_clISt17integral_constantIbLb1EESZ_EEDaSU_SV_EUlSU_E_NS1_11comp_targetILNS1_3genE9ELNS1_11target_archE1100ELNS1_3gpuE3ELNS1_3repE0EEENS1_30default_config_static_selectorELNS0_4arch9wavefront6targetE0EEEvT1_
	.globl	_ZN7rocprim17ROCPRIM_400000_NS6detail17trampoline_kernelINS0_14default_configENS1_27scan_by_key_config_selectorIssEEZZNS1_16scan_by_key_implILNS1_25lookback_scan_determinismE0ELb0ES3_N6thrust23THRUST_200600_302600_NS6detail15normal_iteratorINS9_10device_ptrIsEEEESE_SE_sNS9_4plusIvEENS9_8equal_toIvEEsEE10hipError_tPvRmT2_T3_T4_T5_mT6_T7_P12ihipStream_tbENKUlT_T0_E_clISt17integral_constantIbLb1EESZ_EEDaSU_SV_EUlSU_E_NS1_11comp_targetILNS1_3genE9ELNS1_11target_archE1100ELNS1_3gpuE3ELNS1_3repE0EEENS1_30default_config_static_selectorELNS0_4arch9wavefront6targetE0EEEvT1_
	.p2align	8
	.type	_ZN7rocprim17ROCPRIM_400000_NS6detail17trampoline_kernelINS0_14default_configENS1_27scan_by_key_config_selectorIssEEZZNS1_16scan_by_key_implILNS1_25lookback_scan_determinismE0ELb0ES3_N6thrust23THRUST_200600_302600_NS6detail15normal_iteratorINS9_10device_ptrIsEEEESE_SE_sNS9_4plusIvEENS9_8equal_toIvEEsEE10hipError_tPvRmT2_T3_T4_T5_mT6_T7_P12ihipStream_tbENKUlT_T0_E_clISt17integral_constantIbLb1EESZ_EEDaSU_SV_EUlSU_E_NS1_11comp_targetILNS1_3genE9ELNS1_11target_archE1100ELNS1_3gpuE3ELNS1_3repE0EEENS1_30default_config_static_selectorELNS0_4arch9wavefront6targetE0EEEvT1_,@function
_ZN7rocprim17ROCPRIM_400000_NS6detail17trampoline_kernelINS0_14default_configENS1_27scan_by_key_config_selectorIssEEZZNS1_16scan_by_key_implILNS1_25lookback_scan_determinismE0ELb0ES3_N6thrust23THRUST_200600_302600_NS6detail15normal_iteratorINS9_10device_ptrIsEEEESE_SE_sNS9_4plusIvEENS9_8equal_toIvEEsEE10hipError_tPvRmT2_T3_T4_T5_mT6_T7_P12ihipStream_tbENKUlT_T0_E_clISt17integral_constantIbLb1EESZ_EEDaSU_SV_EUlSU_E_NS1_11comp_targetILNS1_3genE9ELNS1_11target_archE1100ELNS1_3gpuE3ELNS1_3repE0EEENS1_30default_config_static_selectorELNS0_4arch9wavefront6targetE0EEEvT1_: ; @_ZN7rocprim17ROCPRIM_400000_NS6detail17trampoline_kernelINS0_14default_configENS1_27scan_by_key_config_selectorIssEEZZNS1_16scan_by_key_implILNS1_25lookback_scan_determinismE0ELb0ES3_N6thrust23THRUST_200600_302600_NS6detail15normal_iteratorINS9_10device_ptrIsEEEESE_SE_sNS9_4plusIvEENS9_8equal_toIvEEsEE10hipError_tPvRmT2_T3_T4_T5_mT6_T7_P12ihipStream_tbENKUlT_T0_E_clISt17integral_constantIbLb1EESZ_EEDaSU_SV_EUlSU_E_NS1_11comp_targetILNS1_3genE9ELNS1_11target_archE1100ELNS1_3gpuE3ELNS1_3repE0EEENS1_30default_config_static_selectorELNS0_4arch9wavefront6targetE0EEEvT1_
; %bb.0:
	.section	.rodata,"a",@progbits
	.p2align	6, 0x0
	.amdhsa_kernel _ZN7rocprim17ROCPRIM_400000_NS6detail17trampoline_kernelINS0_14default_configENS1_27scan_by_key_config_selectorIssEEZZNS1_16scan_by_key_implILNS1_25lookback_scan_determinismE0ELb0ES3_N6thrust23THRUST_200600_302600_NS6detail15normal_iteratorINS9_10device_ptrIsEEEESE_SE_sNS9_4plusIvEENS9_8equal_toIvEEsEE10hipError_tPvRmT2_T3_T4_T5_mT6_T7_P12ihipStream_tbENKUlT_T0_E_clISt17integral_constantIbLb1EESZ_EEDaSU_SV_EUlSU_E_NS1_11comp_targetILNS1_3genE9ELNS1_11target_archE1100ELNS1_3gpuE3ELNS1_3repE0EEENS1_30default_config_static_selectorELNS0_4arch9wavefront6targetE0EEEvT1_
		.amdhsa_group_segment_fixed_size 0
		.amdhsa_private_segment_fixed_size 0
		.amdhsa_kernarg_size 112
		.amdhsa_user_sgpr_count 6
		.amdhsa_user_sgpr_private_segment_buffer 1
		.amdhsa_user_sgpr_dispatch_ptr 0
		.amdhsa_user_sgpr_queue_ptr 0
		.amdhsa_user_sgpr_kernarg_segment_ptr 1
		.amdhsa_user_sgpr_dispatch_id 0
		.amdhsa_user_sgpr_flat_scratch_init 0
		.amdhsa_user_sgpr_private_segment_size 0
		.amdhsa_wavefront_size32 1
		.amdhsa_uses_dynamic_stack 0
		.amdhsa_system_sgpr_private_segment_wavefront_offset 0
		.amdhsa_system_sgpr_workgroup_id_x 1
		.amdhsa_system_sgpr_workgroup_id_y 0
		.amdhsa_system_sgpr_workgroup_id_z 0
		.amdhsa_system_sgpr_workgroup_info 0
		.amdhsa_system_vgpr_workitem_id 0
		.amdhsa_next_free_vgpr 1
		.amdhsa_next_free_sgpr 1
		.amdhsa_reserve_vcc 0
		.amdhsa_reserve_flat_scratch 0
		.amdhsa_float_round_mode_32 0
		.amdhsa_float_round_mode_16_64 0
		.amdhsa_float_denorm_mode_32 3
		.amdhsa_float_denorm_mode_16_64 3
		.amdhsa_dx10_clamp 1
		.amdhsa_ieee_mode 1
		.amdhsa_fp16_overflow 0
		.amdhsa_workgroup_processor_mode 1
		.amdhsa_memory_ordered 1
		.amdhsa_forward_progress 1
		.amdhsa_shared_vgpr_count 0
		.amdhsa_exception_fp_ieee_invalid_op 0
		.amdhsa_exception_fp_denorm_src 0
		.amdhsa_exception_fp_ieee_div_zero 0
		.amdhsa_exception_fp_ieee_overflow 0
		.amdhsa_exception_fp_ieee_underflow 0
		.amdhsa_exception_fp_ieee_inexact 0
		.amdhsa_exception_int_div_zero 0
	.end_amdhsa_kernel
	.section	.text._ZN7rocprim17ROCPRIM_400000_NS6detail17trampoline_kernelINS0_14default_configENS1_27scan_by_key_config_selectorIssEEZZNS1_16scan_by_key_implILNS1_25lookback_scan_determinismE0ELb0ES3_N6thrust23THRUST_200600_302600_NS6detail15normal_iteratorINS9_10device_ptrIsEEEESE_SE_sNS9_4plusIvEENS9_8equal_toIvEEsEE10hipError_tPvRmT2_T3_T4_T5_mT6_T7_P12ihipStream_tbENKUlT_T0_E_clISt17integral_constantIbLb1EESZ_EEDaSU_SV_EUlSU_E_NS1_11comp_targetILNS1_3genE9ELNS1_11target_archE1100ELNS1_3gpuE3ELNS1_3repE0EEENS1_30default_config_static_selectorELNS0_4arch9wavefront6targetE0EEEvT1_,"axG",@progbits,_ZN7rocprim17ROCPRIM_400000_NS6detail17trampoline_kernelINS0_14default_configENS1_27scan_by_key_config_selectorIssEEZZNS1_16scan_by_key_implILNS1_25lookback_scan_determinismE0ELb0ES3_N6thrust23THRUST_200600_302600_NS6detail15normal_iteratorINS9_10device_ptrIsEEEESE_SE_sNS9_4plusIvEENS9_8equal_toIvEEsEE10hipError_tPvRmT2_T3_T4_T5_mT6_T7_P12ihipStream_tbENKUlT_T0_E_clISt17integral_constantIbLb1EESZ_EEDaSU_SV_EUlSU_E_NS1_11comp_targetILNS1_3genE9ELNS1_11target_archE1100ELNS1_3gpuE3ELNS1_3repE0EEENS1_30default_config_static_selectorELNS0_4arch9wavefront6targetE0EEEvT1_,comdat
.Lfunc_end257:
	.size	_ZN7rocprim17ROCPRIM_400000_NS6detail17trampoline_kernelINS0_14default_configENS1_27scan_by_key_config_selectorIssEEZZNS1_16scan_by_key_implILNS1_25lookback_scan_determinismE0ELb0ES3_N6thrust23THRUST_200600_302600_NS6detail15normal_iteratorINS9_10device_ptrIsEEEESE_SE_sNS9_4plusIvEENS9_8equal_toIvEEsEE10hipError_tPvRmT2_T3_T4_T5_mT6_T7_P12ihipStream_tbENKUlT_T0_E_clISt17integral_constantIbLb1EESZ_EEDaSU_SV_EUlSU_E_NS1_11comp_targetILNS1_3genE9ELNS1_11target_archE1100ELNS1_3gpuE3ELNS1_3repE0EEENS1_30default_config_static_selectorELNS0_4arch9wavefront6targetE0EEEvT1_, .Lfunc_end257-_ZN7rocprim17ROCPRIM_400000_NS6detail17trampoline_kernelINS0_14default_configENS1_27scan_by_key_config_selectorIssEEZZNS1_16scan_by_key_implILNS1_25lookback_scan_determinismE0ELb0ES3_N6thrust23THRUST_200600_302600_NS6detail15normal_iteratorINS9_10device_ptrIsEEEESE_SE_sNS9_4plusIvEENS9_8equal_toIvEEsEE10hipError_tPvRmT2_T3_T4_T5_mT6_T7_P12ihipStream_tbENKUlT_T0_E_clISt17integral_constantIbLb1EESZ_EEDaSU_SV_EUlSU_E_NS1_11comp_targetILNS1_3genE9ELNS1_11target_archE1100ELNS1_3gpuE3ELNS1_3repE0EEENS1_30default_config_static_selectorELNS0_4arch9wavefront6targetE0EEEvT1_
                                        ; -- End function
	.set _ZN7rocprim17ROCPRIM_400000_NS6detail17trampoline_kernelINS0_14default_configENS1_27scan_by_key_config_selectorIssEEZZNS1_16scan_by_key_implILNS1_25lookback_scan_determinismE0ELb0ES3_N6thrust23THRUST_200600_302600_NS6detail15normal_iteratorINS9_10device_ptrIsEEEESE_SE_sNS9_4plusIvEENS9_8equal_toIvEEsEE10hipError_tPvRmT2_T3_T4_T5_mT6_T7_P12ihipStream_tbENKUlT_T0_E_clISt17integral_constantIbLb1EESZ_EEDaSU_SV_EUlSU_E_NS1_11comp_targetILNS1_3genE9ELNS1_11target_archE1100ELNS1_3gpuE3ELNS1_3repE0EEENS1_30default_config_static_selectorELNS0_4arch9wavefront6targetE0EEEvT1_.num_vgpr, 0
	.set _ZN7rocprim17ROCPRIM_400000_NS6detail17trampoline_kernelINS0_14default_configENS1_27scan_by_key_config_selectorIssEEZZNS1_16scan_by_key_implILNS1_25lookback_scan_determinismE0ELb0ES3_N6thrust23THRUST_200600_302600_NS6detail15normal_iteratorINS9_10device_ptrIsEEEESE_SE_sNS9_4plusIvEENS9_8equal_toIvEEsEE10hipError_tPvRmT2_T3_T4_T5_mT6_T7_P12ihipStream_tbENKUlT_T0_E_clISt17integral_constantIbLb1EESZ_EEDaSU_SV_EUlSU_E_NS1_11comp_targetILNS1_3genE9ELNS1_11target_archE1100ELNS1_3gpuE3ELNS1_3repE0EEENS1_30default_config_static_selectorELNS0_4arch9wavefront6targetE0EEEvT1_.num_agpr, 0
	.set _ZN7rocprim17ROCPRIM_400000_NS6detail17trampoline_kernelINS0_14default_configENS1_27scan_by_key_config_selectorIssEEZZNS1_16scan_by_key_implILNS1_25lookback_scan_determinismE0ELb0ES3_N6thrust23THRUST_200600_302600_NS6detail15normal_iteratorINS9_10device_ptrIsEEEESE_SE_sNS9_4plusIvEENS9_8equal_toIvEEsEE10hipError_tPvRmT2_T3_T4_T5_mT6_T7_P12ihipStream_tbENKUlT_T0_E_clISt17integral_constantIbLb1EESZ_EEDaSU_SV_EUlSU_E_NS1_11comp_targetILNS1_3genE9ELNS1_11target_archE1100ELNS1_3gpuE3ELNS1_3repE0EEENS1_30default_config_static_selectorELNS0_4arch9wavefront6targetE0EEEvT1_.numbered_sgpr, 0
	.set _ZN7rocprim17ROCPRIM_400000_NS6detail17trampoline_kernelINS0_14default_configENS1_27scan_by_key_config_selectorIssEEZZNS1_16scan_by_key_implILNS1_25lookback_scan_determinismE0ELb0ES3_N6thrust23THRUST_200600_302600_NS6detail15normal_iteratorINS9_10device_ptrIsEEEESE_SE_sNS9_4plusIvEENS9_8equal_toIvEEsEE10hipError_tPvRmT2_T3_T4_T5_mT6_T7_P12ihipStream_tbENKUlT_T0_E_clISt17integral_constantIbLb1EESZ_EEDaSU_SV_EUlSU_E_NS1_11comp_targetILNS1_3genE9ELNS1_11target_archE1100ELNS1_3gpuE3ELNS1_3repE0EEENS1_30default_config_static_selectorELNS0_4arch9wavefront6targetE0EEEvT1_.num_named_barrier, 0
	.set _ZN7rocprim17ROCPRIM_400000_NS6detail17trampoline_kernelINS0_14default_configENS1_27scan_by_key_config_selectorIssEEZZNS1_16scan_by_key_implILNS1_25lookback_scan_determinismE0ELb0ES3_N6thrust23THRUST_200600_302600_NS6detail15normal_iteratorINS9_10device_ptrIsEEEESE_SE_sNS9_4plusIvEENS9_8equal_toIvEEsEE10hipError_tPvRmT2_T3_T4_T5_mT6_T7_P12ihipStream_tbENKUlT_T0_E_clISt17integral_constantIbLb1EESZ_EEDaSU_SV_EUlSU_E_NS1_11comp_targetILNS1_3genE9ELNS1_11target_archE1100ELNS1_3gpuE3ELNS1_3repE0EEENS1_30default_config_static_selectorELNS0_4arch9wavefront6targetE0EEEvT1_.private_seg_size, 0
	.set _ZN7rocprim17ROCPRIM_400000_NS6detail17trampoline_kernelINS0_14default_configENS1_27scan_by_key_config_selectorIssEEZZNS1_16scan_by_key_implILNS1_25lookback_scan_determinismE0ELb0ES3_N6thrust23THRUST_200600_302600_NS6detail15normal_iteratorINS9_10device_ptrIsEEEESE_SE_sNS9_4plusIvEENS9_8equal_toIvEEsEE10hipError_tPvRmT2_T3_T4_T5_mT6_T7_P12ihipStream_tbENKUlT_T0_E_clISt17integral_constantIbLb1EESZ_EEDaSU_SV_EUlSU_E_NS1_11comp_targetILNS1_3genE9ELNS1_11target_archE1100ELNS1_3gpuE3ELNS1_3repE0EEENS1_30default_config_static_selectorELNS0_4arch9wavefront6targetE0EEEvT1_.uses_vcc, 0
	.set _ZN7rocprim17ROCPRIM_400000_NS6detail17trampoline_kernelINS0_14default_configENS1_27scan_by_key_config_selectorIssEEZZNS1_16scan_by_key_implILNS1_25lookback_scan_determinismE0ELb0ES3_N6thrust23THRUST_200600_302600_NS6detail15normal_iteratorINS9_10device_ptrIsEEEESE_SE_sNS9_4plusIvEENS9_8equal_toIvEEsEE10hipError_tPvRmT2_T3_T4_T5_mT6_T7_P12ihipStream_tbENKUlT_T0_E_clISt17integral_constantIbLb1EESZ_EEDaSU_SV_EUlSU_E_NS1_11comp_targetILNS1_3genE9ELNS1_11target_archE1100ELNS1_3gpuE3ELNS1_3repE0EEENS1_30default_config_static_selectorELNS0_4arch9wavefront6targetE0EEEvT1_.uses_flat_scratch, 0
	.set _ZN7rocprim17ROCPRIM_400000_NS6detail17trampoline_kernelINS0_14default_configENS1_27scan_by_key_config_selectorIssEEZZNS1_16scan_by_key_implILNS1_25lookback_scan_determinismE0ELb0ES3_N6thrust23THRUST_200600_302600_NS6detail15normal_iteratorINS9_10device_ptrIsEEEESE_SE_sNS9_4plusIvEENS9_8equal_toIvEEsEE10hipError_tPvRmT2_T3_T4_T5_mT6_T7_P12ihipStream_tbENKUlT_T0_E_clISt17integral_constantIbLb1EESZ_EEDaSU_SV_EUlSU_E_NS1_11comp_targetILNS1_3genE9ELNS1_11target_archE1100ELNS1_3gpuE3ELNS1_3repE0EEENS1_30default_config_static_selectorELNS0_4arch9wavefront6targetE0EEEvT1_.has_dyn_sized_stack, 0
	.set _ZN7rocprim17ROCPRIM_400000_NS6detail17trampoline_kernelINS0_14default_configENS1_27scan_by_key_config_selectorIssEEZZNS1_16scan_by_key_implILNS1_25lookback_scan_determinismE0ELb0ES3_N6thrust23THRUST_200600_302600_NS6detail15normal_iteratorINS9_10device_ptrIsEEEESE_SE_sNS9_4plusIvEENS9_8equal_toIvEEsEE10hipError_tPvRmT2_T3_T4_T5_mT6_T7_P12ihipStream_tbENKUlT_T0_E_clISt17integral_constantIbLb1EESZ_EEDaSU_SV_EUlSU_E_NS1_11comp_targetILNS1_3genE9ELNS1_11target_archE1100ELNS1_3gpuE3ELNS1_3repE0EEENS1_30default_config_static_selectorELNS0_4arch9wavefront6targetE0EEEvT1_.has_recursion, 0
	.set _ZN7rocprim17ROCPRIM_400000_NS6detail17trampoline_kernelINS0_14default_configENS1_27scan_by_key_config_selectorIssEEZZNS1_16scan_by_key_implILNS1_25lookback_scan_determinismE0ELb0ES3_N6thrust23THRUST_200600_302600_NS6detail15normal_iteratorINS9_10device_ptrIsEEEESE_SE_sNS9_4plusIvEENS9_8equal_toIvEEsEE10hipError_tPvRmT2_T3_T4_T5_mT6_T7_P12ihipStream_tbENKUlT_T0_E_clISt17integral_constantIbLb1EESZ_EEDaSU_SV_EUlSU_E_NS1_11comp_targetILNS1_3genE9ELNS1_11target_archE1100ELNS1_3gpuE3ELNS1_3repE0EEENS1_30default_config_static_selectorELNS0_4arch9wavefront6targetE0EEEvT1_.has_indirect_call, 0
	.section	.AMDGPU.csdata,"",@progbits
; Kernel info:
; codeLenInByte = 0
; TotalNumSgprs: 0
; NumVgprs: 0
; ScratchSize: 0
; MemoryBound: 0
; FloatMode: 240
; IeeeMode: 1
; LDSByteSize: 0 bytes/workgroup (compile time only)
; SGPRBlocks: 0
; VGPRBlocks: 0
; NumSGPRsForWavesPerEU: 1
; NumVGPRsForWavesPerEU: 1
; Occupancy: 16
; WaveLimiterHint : 0
; COMPUTE_PGM_RSRC2:SCRATCH_EN: 0
; COMPUTE_PGM_RSRC2:USER_SGPR: 6
; COMPUTE_PGM_RSRC2:TRAP_HANDLER: 0
; COMPUTE_PGM_RSRC2:TGID_X_EN: 1
; COMPUTE_PGM_RSRC2:TGID_Y_EN: 0
; COMPUTE_PGM_RSRC2:TGID_Z_EN: 0
; COMPUTE_PGM_RSRC2:TIDIG_COMP_CNT: 0
	.section	.text._ZN7rocprim17ROCPRIM_400000_NS6detail17trampoline_kernelINS0_14default_configENS1_27scan_by_key_config_selectorIssEEZZNS1_16scan_by_key_implILNS1_25lookback_scan_determinismE0ELb0ES3_N6thrust23THRUST_200600_302600_NS6detail15normal_iteratorINS9_10device_ptrIsEEEESE_SE_sNS9_4plusIvEENS9_8equal_toIvEEsEE10hipError_tPvRmT2_T3_T4_T5_mT6_T7_P12ihipStream_tbENKUlT_T0_E_clISt17integral_constantIbLb1EESZ_EEDaSU_SV_EUlSU_E_NS1_11comp_targetILNS1_3genE8ELNS1_11target_archE1030ELNS1_3gpuE2ELNS1_3repE0EEENS1_30default_config_static_selectorELNS0_4arch9wavefront6targetE0EEEvT1_,"axG",@progbits,_ZN7rocprim17ROCPRIM_400000_NS6detail17trampoline_kernelINS0_14default_configENS1_27scan_by_key_config_selectorIssEEZZNS1_16scan_by_key_implILNS1_25lookback_scan_determinismE0ELb0ES3_N6thrust23THRUST_200600_302600_NS6detail15normal_iteratorINS9_10device_ptrIsEEEESE_SE_sNS9_4plusIvEENS9_8equal_toIvEEsEE10hipError_tPvRmT2_T3_T4_T5_mT6_T7_P12ihipStream_tbENKUlT_T0_E_clISt17integral_constantIbLb1EESZ_EEDaSU_SV_EUlSU_E_NS1_11comp_targetILNS1_3genE8ELNS1_11target_archE1030ELNS1_3gpuE2ELNS1_3repE0EEENS1_30default_config_static_selectorELNS0_4arch9wavefront6targetE0EEEvT1_,comdat
	.protected	_ZN7rocprim17ROCPRIM_400000_NS6detail17trampoline_kernelINS0_14default_configENS1_27scan_by_key_config_selectorIssEEZZNS1_16scan_by_key_implILNS1_25lookback_scan_determinismE0ELb0ES3_N6thrust23THRUST_200600_302600_NS6detail15normal_iteratorINS9_10device_ptrIsEEEESE_SE_sNS9_4plusIvEENS9_8equal_toIvEEsEE10hipError_tPvRmT2_T3_T4_T5_mT6_T7_P12ihipStream_tbENKUlT_T0_E_clISt17integral_constantIbLb1EESZ_EEDaSU_SV_EUlSU_E_NS1_11comp_targetILNS1_3genE8ELNS1_11target_archE1030ELNS1_3gpuE2ELNS1_3repE0EEENS1_30default_config_static_selectorELNS0_4arch9wavefront6targetE0EEEvT1_ ; -- Begin function _ZN7rocprim17ROCPRIM_400000_NS6detail17trampoline_kernelINS0_14default_configENS1_27scan_by_key_config_selectorIssEEZZNS1_16scan_by_key_implILNS1_25lookback_scan_determinismE0ELb0ES3_N6thrust23THRUST_200600_302600_NS6detail15normal_iteratorINS9_10device_ptrIsEEEESE_SE_sNS9_4plusIvEENS9_8equal_toIvEEsEE10hipError_tPvRmT2_T3_T4_T5_mT6_T7_P12ihipStream_tbENKUlT_T0_E_clISt17integral_constantIbLb1EESZ_EEDaSU_SV_EUlSU_E_NS1_11comp_targetILNS1_3genE8ELNS1_11target_archE1030ELNS1_3gpuE2ELNS1_3repE0EEENS1_30default_config_static_selectorELNS0_4arch9wavefront6targetE0EEEvT1_
	.globl	_ZN7rocprim17ROCPRIM_400000_NS6detail17trampoline_kernelINS0_14default_configENS1_27scan_by_key_config_selectorIssEEZZNS1_16scan_by_key_implILNS1_25lookback_scan_determinismE0ELb0ES3_N6thrust23THRUST_200600_302600_NS6detail15normal_iteratorINS9_10device_ptrIsEEEESE_SE_sNS9_4plusIvEENS9_8equal_toIvEEsEE10hipError_tPvRmT2_T3_T4_T5_mT6_T7_P12ihipStream_tbENKUlT_T0_E_clISt17integral_constantIbLb1EESZ_EEDaSU_SV_EUlSU_E_NS1_11comp_targetILNS1_3genE8ELNS1_11target_archE1030ELNS1_3gpuE2ELNS1_3repE0EEENS1_30default_config_static_selectorELNS0_4arch9wavefront6targetE0EEEvT1_
	.p2align	8
	.type	_ZN7rocprim17ROCPRIM_400000_NS6detail17trampoline_kernelINS0_14default_configENS1_27scan_by_key_config_selectorIssEEZZNS1_16scan_by_key_implILNS1_25lookback_scan_determinismE0ELb0ES3_N6thrust23THRUST_200600_302600_NS6detail15normal_iteratorINS9_10device_ptrIsEEEESE_SE_sNS9_4plusIvEENS9_8equal_toIvEEsEE10hipError_tPvRmT2_T3_T4_T5_mT6_T7_P12ihipStream_tbENKUlT_T0_E_clISt17integral_constantIbLb1EESZ_EEDaSU_SV_EUlSU_E_NS1_11comp_targetILNS1_3genE8ELNS1_11target_archE1030ELNS1_3gpuE2ELNS1_3repE0EEENS1_30default_config_static_selectorELNS0_4arch9wavefront6targetE0EEEvT1_,@function
_ZN7rocprim17ROCPRIM_400000_NS6detail17trampoline_kernelINS0_14default_configENS1_27scan_by_key_config_selectorIssEEZZNS1_16scan_by_key_implILNS1_25lookback_scan_determinismE0ELb0ES3_N6thrust23THRUST_200600_302600_NS6detail15normal_iteratorINS9_10device_ptrIsEEEESE_SE_sNS9_4plusIvEENS9_8equal_toIvEEsEE10hipError_tPvRmT2_T3_T4_T5_mT6_T7_P12ihipStream_tbENKUlT_T0_E_clISt17integral_constantIbLb1EESZ_EEDaSU_SV_EUlSU_E_NS1_11comp_targetILNS1_3genE8ELNS1_11target_archE1030ELNS1_3gpuE2ELNS1_3repE0EEENS1_30default_config_static_selectorELNS0_4arch9wavefront6targetE0EEEvT1_: ; @_ZN7rocprim17ROCPRIM_400000_NS6detail17trampoline_kernelINS0_14default_configENS1_27scan_by_key_config_selectorIssEEZZNS1_16scan_by_key_implILNS1_25lookback_scan_determinismE0ELb0ES3_N6thrust23THRUST_200600_302600_NS6detail15normal_iteratorINS9_10device_ptrIsEEEESE_SE_sNS9_4plusIvEENS9_8equal_toIvEEsEE10hipError_tPvRmT2_T3_T4_T5_mT6_T7_P12ihipStream_tbENKUlT_T0_E_clISt17integral_constantIbLb1EESZ_EEDaSU_SV_EUlSU_E_NS1_11comp_targetILNS1_3genE8ELNS1_11target_archE1030ELNS1_3gpuE2ELNS1_3repE0EEENS1_30default_config_static_selectorELNS0_4arch9wavefront6targetE0EEEvT1_
; %bb.0:
	s_endpgm
	.section	.rodata,"a",@progbits
	.p2align	6, 0x0
	.amdhsa_kernel _ZN7rocprim17ROCPRIM_400000_NS6detail17trampoline_kernelINS0_14default_configENS1_27scan_by_key_config_selectorIssEEZZNS1_16scan_by_key_implILNS1_25lookback_scan_determinismE0ELb0ES3_N6thrust23THRUST_200600_302600_NS6detail15normal_iteratorINS9_10device_ptrIsEEEESE_SE_sNS9_4plusIvEENS9_8equal_toIvEEsEE10hipError_tPvRmT2_T3_T4_T5_mT6_T7_P12ihipStream_tbENKUlT_T0_E_clISt17integral_constantIbLb1EESZ_EEDaSU_SV_EUlSU_E_NS1_11comp_targetILNS1_3genE8ELNS1_11target_archE1030ELNS1_3gpuE2ELNS1_3repE0EEENS1_30default_config_static_selectorELNS0_4arch9wavefront6targetE0EEEvT1_
		.amdhsa_group_segment_fixed_size 0
		.amdhsa_private_segment_fixed_size 0
		.amdhsa_kernarg_size 112
		.amdhsa_user_sgpr_count 6
		.amdhsa_user_sgpr_private_segment_buffer 1
		.amdhsa_user_sgpr_dispatch_ptr 0
		.amdhsa_user_sgpr_queue_ptr 0
		.amdhsa_user_sgpr_kernarg_segment_ptr 1
		.amdhsa_user_sgpr_dispatch_id 0
		.amdhsa_user_sgpr_flat_scratch_init 0
		.amdhsa_user_sgpr_private_segment_size 0
		.amdhsa_wavefront_size32 1
		.amdhsa_uses_dynamic_stack 0
		.amdhsa_system_sgpr_private_segment_wavefront_offset 0
		.amdhsa_system_sgpr_workgroup_id_x 1
		.amdhsa_system_sgpr_workgroup_id_y 0
		.amdhsa_system_sgpr_workgroup_id_z 0
		.amdhsa_system_sgpr_workgroup_info 0
		.amdhsa_system_vgpr_workitem_id 0
		.amdhsa_next_free_vgpr 1
		.amdhsa_next_free_sgpr 1
		.amdhsa_reserve_vcc 0
		.amdhsa_reserve_flat_scratch 0
		.amdhsa_float_round_mode_32 0
		.amdhsa_float_round_mode_16_64 0
		.amdhsa_float_denorm_mode_32 3
		.amdhsa_float_denorm_mode_16_64 3
		.amdhsa_dx10_clamp 1
		.amdhsa_ieee_mode 1
		.amdhsa_fp16_overflow 0
		.amdhsa_workgroup_processor_mode 1
		.amdhsa_memory_ordered 1
		.amdhsa_forward_progress 1
		.amdhsa_shared_vgpr_count 0
		.amdhsa_exception_fp_ieee_invalid_op 0
		.amdhsa_exception_fp_denorm_src 0
		.amdhsa_exception_fp_ieee_div_zero 0
		.amdhsa_exception_fp_ieee_overflow 0
		.amdhsa_exception_fp_ieee_underflow 0
		.amdhsa_exception_fp_ieee_inexact 0
		.amdhsa_exception_int_div_zero 0
	.end_amdhsa_kernel
	.section	.text._ZN7rocprim17ROCPRIM_400000_NS6detail17trampoline_kernelINS0_14default_configENS1_27scan_by_key_config_selectorIssEEZZNS1_16scan_by_key_implILNS1_25lookback_scan_determinismE0ELb0ES3_N6thrust23THRUST_200600_302600_NS6detail15normal_iteratorINS9_10device_ptrIsEEEESE_SE_sNS9_4plusIvEENS9_8equal_toIvEEsEE10hipError_tPvRmT2_T3_T4_T5_mT6_T7_P12ihipStream_tbENKUlT_T0_E_clISt17integral_constantIbLb1EESZ_EEDaSU_SV_EUlSU_E_NS1_11comp_targetILNS1_3genE8ELNS1_11target_archE1030ELNS1_3gpuE2ELNS1_3repE0EEENS1_30default_config_static_selectorELNS0_4arch9wavefront6targetE0EEEvT1_,"axG",@progbits,_ZN7rocprim17ROCPRIM_400000_NS6detail17trampoline_kernelINS0_14default_configENS1_27scan_by_key_config_selectorIssEEZZNS1_16scan_by_key_implILNS1_25lookback_scan_determinismE0ELb0ES3_N6thrust23THRUST_200600_302600_NS6detail15normal_iteratorINS9_10device_ptrIsEEEESE_SE_sNS9_4plusIvEENS9_8equal_toIvEEsEE10hipError_tPvRmT2_T3_T4_T5_mT6_T7_P12ihipStream_tbENKUlT_T0_E_clISt17integral_constantIbLb1EESZ_EEDaSU_SV_EUlSU_E_NS1_11comp_targetILNS1_3genE8ELNS1_11target_archE1030ELNS1_3gpuE2ELNS1_3repE0EEENS1_30default_config_static_selectorELNS0_4arch9wavefront6targetE0EEEvT1_,comdat
.Lfunc_end258:
	.size	_ZN7rocprim17ROCPRIM_400000_NS6detail17trampoline_kernelINS0_14default_configENS1_27scan_by_key_config_selectorIssEEZZNS1_16scan_by_key_implILNS1_25lookback_scan_determinismE0ELb0ES3_N6thrust23THRUST_200600_302600_NS6detail15normal_iteratorINS9_10device_ptrIsEEEESE_SE_sNS9_4plusIvEENS9_8equal_toIvEEsEE10hipError_tPvRmT2_T3_T4_T5_mT6_T7_P12ihipStream_tbENKUlT_T0_E_clISt17integral_constantIbLb1EESZ_EEDaSU_SV_EUlSU_E_NS1_11comp_targetILNS1_3genE8ELNS1_11target_archE1030ELNS1_3gpuE2ELNS1_3repE0EEENS1_30default_config_static_selectorELNS0_4arch9wavefront6targetE0EEEvT1_, .Lfunc_end258-_ZN7rocprim17ROCPRIM_400000_NS6detail17trampoline_kernelINS0_14default_configENS1_27scan_by_key_config_selectorIssEEZZNS1_16scan_by_key_implILNS1_25lookback_scan_determinismE0ELb0ES3_N6thrust23THRUST_200600_302600_NS6detail15normal_iteratorINS9_10device_ptrIsEEEESE_SE_sNS9_4plusIvEENS9_8equal_toIvEEsEE10hipError_tPvRmT2_T3_T4_T5_mT6_T7_P12ihipStream_tbENKUlT_T0_E_clISt17integral_constantIbLb1EESZ_EEDaSU_SV_EUlSU_E_NS1_11comp_targetILNS1_3genE8ELNS1_11target_archE1030ELNS1_3gpuE2ELNS1_3repE0EEENS1_30default_config_static_selectorELNS0_4arch9wavefront6targetE0EEEvT1_
                                        ; -- End function
	.set _ZN7rocprim17ROCPRIM_400000_NS6detail17trampoline_kernelINS0_14default_configENS1_27scan_by_key_config_selectorIssEEZZNS1_16scan_by_key_implILNS1_25lookback_scan_determinismE0ELb0ES3_N6thrust23THRUST_200600_302600_NS6detail15normal_iteratorINS9_10device_ptrIsEEEESE_SE_sNS9_4plusIvEENS9_8equal_toIvEEsEE10hipError_tPvRmT2_T3_T4_T5_mT6_T7_P12ihipStream_tbENKUlT_T0_E_clISt17integral_constantIbLb1EESZ_EEDaSU_SV_EUlSU_E_NS1_11comp_targetILNS1_3genE8ELNS1_11target_archE1030ELNS1_3gpuE2ELNS1_3repE0EEENS1_30default_config_static_selectorELNS0_4arch9wavefront6targetE0EEEvT1_.num_vgpr, 0
	.set _ZN7rocprim17ROCPRIM_400000_NS6detail17trampoline_kernelINS0_14default_configENS1_27scan_by_key_config_selectorIssEEZZNS1_16scan_by_key_implILNS1_25lookback_scan_determinismE0ELb0ES3_N6thrust23THRUST_200600_302600_NS6detail15normal_iteratorINS9_10device_ptrIsEEEESE_SE_sNS9_4plusIvEENS9_8equal_toIvEEsEE10hipError_tPvRmT2_T3_T4_T5_mT6_T7_P12ihipStream_tbENKUlT_T0_E_clISt17integral_constantIbLb1EESZ_EEDaSU_SV_EUlSU_E_NS1_11comp_targetILNS1_3genE8ELNS1_11target_archE1030ELNS1_3gpuE2ELNS1_3repE0EEENS1_30default_config_static_selectorELNS0_4arch9wavefront6targetE0EEEvT1_.num_agpr, 0
	.set _ZN7rocprim17ROCPRIM_400000_NS6detail17trampoline_kernelINS0_14default_configENS1_27scan_by_key_config_selectorIssEEZZNS1_16scan_by_key_implILNS1_25lookback_scan_determinismE0ELb0ES3_N6thrust23THRUST_200600_302600_NS6detail15normal_iteratorINS9_10device_ptrIsEEEESE_SE_sNS9_4plusIvEENS9_8equal_toIvEEsEE10hipError_tPvRmT2_T3_T4_T5_mT6_T7_P12ihipStream_tbENKUlT_T0_E_clISt17integral_constantIbLb1EESZ_EEDaSU_SV_EUlSU_E_NS1_11comp_targetILNS1_3genE8ELNS1_11target_archE1030ELNS1_3gpuE2ELNS1_3repE0EEENS1_30default_config_static_selectorELNS0_4arch9wavefront6targetE0EEEvT1_.numbered_sgpr, 0
	.set _ZN7rocprim17ROCPRIM_400000_NS6detail17trampoline_kernelINS0_14default_configENS1_27scan_by_key_config_selectorIssEEZZNS1_16scan_by_key_implILNS1_25lookback_scan_determinismE0ELb0ES3_N6thrust23THRUST_200600_302600_NS6detail15normal_iteratorINS9_10device_ptrIsEEEESE_SE_sNS9_4plusIvEENS9_8equal_toIvEEsEE10hipError_tPvRmT2_T3_T4_T5_mT6_T7_P12ihipStream_tbENKUlT_T0_E_clISt17integral_constantIbLb1EESZ_EEDaSU_SV_EUlSU_E_NS1_11comp_targetILNS1_3genE8ELNS1_11target_archE1030ELNS1_3gpuE2ELNS1_3repE0EEENS1_30default_config_static_selectorELNS0_4arch9wavefront6targetE0EEEvT1_.num_named_barrier, 0
	.set _ZN7rocprim17ROCPRIM_400000_NS6detail17trampoline_kernelINS0_14default_configENS1_27scan_by_key_config_selectorIssEEZZNS1_16scan_by_key_implILNS1_25lookback_scan_determinismE0ELb0ES3_N6thrust23THRUST_200600_302600_NS6detail15normal_iteratorINS9_10device_ptrIsEEEESE_SE_sNS9_4plusIvEENS9_8equal_toIvEEsEE10hipError_tPvRmT2_T3_T4_T5_mT6_T7_P12ihipStream_tbENKUlT_T0_E_clISt17integral_constantIbLb1EESZ_EEDaSU_SV_EUlSU_E_NS1_11comp_targetILNS1_3genE8ELNS1_11target_archE1030ELNS1_3gpuE2ELNS1_3repE0EEENS1_30default_config_static_selectorELNS0_4arch9wavefront6targetE0EEEvT1_.private_seg_size, 0
	.set _ZN7rocprim17ROCPRIM_400000_NS6detail17trampoline_kernelINS0_14default_configENS1_27scan_by_key_config_selectorIssEEZZNS1_16scan_by_key_implILNS1_25lookback_scan_determinismE0ELb0ES3_N6thrust23THRUST_200600_302600_NS6detail15normal_iteratorINS9_10device_ptrIsEEEESE_SE_sNS9_4plusIvEENS9_8equal_toIvEEsEE10hipError_tPvRmT2_T3_T4_T5_mT6_T7_P12ihipStream_tbENKUlT_T0_E_clISt17integral_constantIbLb1EESZ_EEDaSU_SV_EUlSU_E_NS1_11comp_targetILNS1_3genE8ELNS1_11target_archE1030ELNS1_3gpuE2ELNS1_3repE0EEENS1_30default_config_static_selectorELNS0_4arch9wavefront6targetE0EEEvT1_.uses_vcc, 0
	.set _ZN7rocprim17ROCPRIM_400000_NS6detail17trampoline_kernelINS0_14default_configENS1_27scan_by_key_config_selectorIssEEZZNS1_16scan_by_key_implILNS1_25lookback_scan_determinismE0ELb0ES3_N6thrust23THRUST_200600_302600_NS6detail15normal_iteratorINS9_10device_ptrIsEEEESE_SE_sNS9_4plusIvEENS9_8equal_toIvEEsEE10hipError_tPvRmT2_T3_T4_T5_mT6_T7_P12ihipStream_tbENKUlT_T0_E_clISt17integral_constantIbLb1EESZ_EEDaSU_SV_EUlSU_E_NS1_11comp_targetILNS1_3genE8ELNS1_11target_archE1030ELNS1_3gpuE2ELNS1_3repE0EEENS1_30default_config_static_selectorELNS0_4arch9wavefront6targetE0EEEvT1_.uses_flat_scratch, 0
	.set _ZN7rocprim17ROCPRIM_400000_NS6detail17trampoline_kernelINS0_14default_configENS1_27scan_by_key_config_selectorIssEEZZNS1_16scan_by_key_implILNS1_25lookback_scan_determinismE0ELb0ES3_N6thrust23THRUST_200600_302600_NS6detail15normal_iteratorINS9_10device_ptrIsEEEESE_SE_sNS9_4plusIvEENS9_8equal_toIvEEsEE10hipError_tPvRmT2_T3_T4_T5_mT6_T7_P12ihipStream_tbENKUlT_T0_E_clISt17integral_constantIbLb1EESZ_EEDaSU_SV_EUlSU_E_NS1_11comp_targetILNS1_3genE8ELNS1_11target_archE1030ELNS1_3gpuE2ELNS1_3repE0EEENS1_30default_config_static_selectorELNS0_4arch9wavefront6targetE0EEEvT1_.has_dyn_sized_stack, 0
	.set _ZN7rocprim17ROCPRIM_400000_NS6detail17trampoline_kernelINS0_14default_configENS1_27scan_by_key_config_selectorIssEEZZNS1_16scan_by_key_implILNS1_25lookback_scan_determinismE0ELb0ES3_N6thrust23THRUST_200600_302600_NS6detail15normal_iteratorINS9_10device_ptrIsEEEESE_SE_sNS9_4plusIvEENS9_8equal_toIvEEsEE10hipError_tPvRmT2_T3_T4_T5_mT6_T7_P12ihipStream_tbENKUlT_T0_E_clISt17integral_constantIbLb1EESZ_EEDaSU_SV_EUlSU_E_NS1_11comp_targetILNS1_3genE8ELNS1_11target_archE1030ELNS1_3gpuE2ELNS1_3repE0EEENS1_30default_config_static_selectorELNS0_4arch9wavefront6targetE0EEEvT1_.has_recursion, 0
	.set _ZN7rocprim17ROCPRIM_400000_NS6detail17trampoline_kernelINS0_14default_configENS1_27scan_by_key_config_selectorIssEEZZNS1_16scan_by_key_implILNS1_25lookback_scan_determinismE0ELb0ES3_N6thrust23THRUST_200600_302600_NS6detail15normal_iteratorINS9_10device_ptrIsEEEESE_SE_sNS9_4plusIvEENS9_8equal_toIvEEsEE10hipError_tPvRmT2_T3_T4_T5_mT6_T7_P12ihipStream_tbENKUlT_T0_E_clISt17integral_constantIbLb1EESZ_EEDaSU_SV_EUlSU_E_NS1_11comp_targetILNS1_3genE8ELNS1_11target_archE1030ELNS1_3gpuE2ELNS1_3repE0EEENS1_30default_config_static_selectorELNS0_4arch9wavefront6targetE0EEEvT1_.has_indirect_call, 0
	.section	.AMDGPU.csdata,"",@progbits
; Kernel info:
; codeLenInByte = 4
; TotalNumSgprs: 0
; NumVgprs: 0
; ScratchSize: 0
; MemoryBound: 0
; FloatMode: 240
; IeeeMode: 1
; LDSByteSize: 0 bytes/workgroup (compile time only)
; SGPRBlocks: 0
; VGPRBlocks: 0
; NumSGPRsForWavesPerEU: 1
; NumVGPRsForWavesPerEU: 1
; Occupancy: 16
; WaveLimiterHint : 0
; COMPUTE_PGM_RSRC2:SCRATCH_EN: 0
; COMPUTE_PGM_RSRC2:USER_SGPR: 6
; COMPUTE_PGM_RSRC2:TRAP_HANDLER: 0
; COMPUTE_PGM_RSRC2:TGID_X_EN: 1
; COMPUTE_PGM_RSRC2:TGID_Y_EN: 0
; COMPUTE_PGM_RSRC2:TGID_Z_EN: 0
; COMPUTE_PGM_RSRC2:TIDIG_COMP_CNT: 0
	.section	.text._ZN7rocprim17ROCPRIM_400000_NS6detail30init_device_scan_by_key_kernelINS1_19lookback_scan_stateINS0_5tupleIJsbEEELb1ELb1EEEN6thrust23THRUST_200600_302600_NS6detail15normal_iteratorINS8_10device_ptrIsEEEEjNS1_16block_id_wrapperIjLb0EEEEEvT_jjPNSG_10value_typeET0_PNSt15iterator_traitsISJ_E10value_typeEmT1_T2_,"axG",@progbits,_ZN7rocprim17ROCPRIM_400000_NS6detail30init_device_scan_by_key_kernelINS1_19lookback_scan_stateINS0_5tupleIJsbEEELb1ELb1EEEN6thrust23THRUST_200600_302600_NS6detail15normal_iteratorINS8_10device_ptrIsEEEEjNS1_16block_id_wrapperIjLb0EEEEEvT_jjPNSG_10value_typeET0_PNSt15iterator_traitsISJ_E10value_typeEmT1_T2_,comdat
	.protected	_ZN7rocprim17ROCPRIM_400000_NS6detail30init_device_scan_by_key_kernelINS1_19lookback_scan_stateINS0_5tupleIJsbEEELb1ELb1EEEN6thrust23THRUST_200600_302600_NS6detail15normal_iteratorINS8_10device_ptrIsEEEEjNS1_16block_id_wrapperIjLb0EEEEEvT_jjPNSG_10value_typeET0_PNSt15iterator_traitsISJ_E10value_typeEmT1_T2_ ; -- Begin function _ZN7rocprim17ROCPRIM_400000_NS6detail30init_device_scan_by_key_kernelINS1_19lookback_scan_stateINS0_5tupleIJsbEEELb1ELb1EEEN6thrust23THRUST_200600_302600_NS6detail15normal_iteratorINS8_10device_ptrIsEEEEjNS1_16block_id_wrapperIjLb0EEEEEvT_jjPNSG_10value_typeET0_PNSt15iterator_traitsISJ_E10value_typeEmT1_T2_
	.globl	_ZN7rocprim17ROCPRIM_400000_NS6detail30init_device_scan_by_key_kernelINS1_19lookback_scan_stateINS0_5tupleIJsbEEELb1ELb1EEEN6thrust23THRUST_200600_302600_NS6detail15normal_iteratorINS8_10device_ptrIsEEEEjNS1_16block_id_wrapperIjLb0EEEEEvT_jjPNSG_10value_typeET0_PNSt15iterator_traitsISJ_E10value_typeEmT1_T2_
	.p2align	8
	.type	_ZN7rocprim17ROCPRIM_400000_NS6detail30init_device_scan_by_key_kernelINS1_19lookback_scan_stateINS0_5tupleIJsbEEELb1ELb1EEEN6thrust23THRUST_200600_302600_NS6detail15normal_iteratorINS8_10device_ptrIsEEEEjNS1_16block_id_wrapperIjLb0EEEEEvT_jjPNSG_10value_typeET0_PNSt15iterator_traitsISJ_E10value_typeEmT1_T2_,@function
_ZN7rocprim17ROCPRIM_400000_NS6detail30init_device_scan_by_key_kernelINS1_19lookback_scan_stateINS0_5tupleIJsbEEELb1ELb1EEEN6thrust23THRUST_200600_302600_NS6detail15normal_iteratorINS8_10device_ptrIsEEEEjNS1_16block_id_wrapperIjLb0EEEEEvT_jjPNSG_10value_typeET0_PNSt15iterator_traitsISJ_E10value_typeEmT1_T2_: ; @_ZN7rocprim17ROCPRIM_400000_NS6detail30init_device_scan_by_key_kernelINS1_19lookback_scan_stateINS0_5tupleIJsbEEELb1ELb1EEEN6thrust23THRUST_200600_302600_NS6detail15normal_iteratorINS8_10device_ptrIsEEEEjNS1_16block_id_wrapperIjLb0EEEEEvT_jjPNSG_10value_typeET0_PNSt15iterator_traitsISJ_E10value_typeEmT1_T2_
; %bb.0:
	s_clause 0x2
	s_load_dword s0, s[4:5], 0x44
	s_load_dwordx8 s[8:15], s[4:5], 0x0
	s_load_dword s7, s[4:5], 0x38
	s_waitcnt lgkmcnt(0)
	s_and_b32 s16, s0, 0xffff
	s_cmp_eq_u64 s[12:13], 0
	v_mad_u64_u32 v[0:1], null, s6, s16, v[0:1]
	s_cbranch_scc1 .LBB259_9
; %bb.1:
	s_cmp_lt_u32 s11, s10
	s_mov_b32 s1, 0
	s_cselect_b32 s0, s11, 0
	s_mov_b32 s2, exec_lo
	v_cmpx_eq_u32_e64 s0, v0
	s_cbranch_execz .LBB259_8
; %bb.2:
	s_add_i32 s0, s11, 32
	v_mov_b32_e32 v1, 0
	s_lshl_b64 s[0:1], s[0:1], 3
	s_add_u32 s0, s8, s0
	s_addc_u32 s1, s9, s1
	global_load_dwordx2 v[3:4], v1, s[0:1] glc dlc
	s_waitcnt vmcnt(0)
	v_and_b32_e32 v2, 0xff, v4
	v_cmp_ne_u64_e32 vcc_lo, 0, v[1:2]
	s_cbranch_vccnz .LBB259_7
; %bb.3:
	s_mov_b32 s3, 1
.LBB259_4:                              ; =>This Loop Header: Depth=1
                                        ;     Child Loop BB259_5 Depth 2
	s_mov_b32 s6, s3
.LBB259_5:                              ;   Parent Loop BB259_4 Depth=1
                                        ; =>  This Inner Loop Header: Depth=2
	s_add_i32 s6, s6, -1
	s_sleep 1
	s_cmp_eq_u32 s6, 0
	s_cbranch_scc0 .LBB259_5
; %bb.6:                                ;   in Loop: Header=BB259_4 Depth=1
	global_load_dwordx2 v[3:4], v1, s[0:1] glc dlc
	s_cmp_lt_u32 s3, 32
	s_cselect_b32 s6, -1, 0
	s_cmp_lg_u32 s6, 0
	s_addc_u32 s3, s3, 0
	s_waitcnt vmcnt(0)
	v_and_b32_e32 v2, 0xff, v4
	v_cmp_ne_u64_e32 vcc_lo, 0, v[1:2]
	s_cbranch_vccz .LBB259_4
.LBB259_7:
	v_mov_b32_e32 v1, 0
	global_store_short v1, v3, s[12:13]
	global_store_byte_d16_hi v1, v3, s[12:13] offset:2
.LBB259_8:
	s_or_b32 exec_lo, exec_lo, s2
.LBB259_9:
	s_mov_b32 s0, exec_lo
	v_cmpx_gt_u32_e64 s10, v0
	s_cbranch_execz .LBB259_11
; %bb.10:
	v_add_nc_u32_e32 v1, 32, v0
	v_mov_b32_e32 v2, 0
	v_lshlrev_b64 v[3:4], 3, v[1:2]
	v_mov_b32_e32 v1, v2
	v_add_co_u32 v3, vcc_lo, s8, v3
	v_add_co_ci_u32_e64 v4, null, s9, v4, vcc_lo
	global_store_dwordx2 v[3:4], v[1:2], off
.LBB259_11:
	s_or_b32 exec_lo, exec_lo, s0
	v_mov_b32_e32 v1, 0
	s_mov_b32 s0, exec_lo
	v_cmpx_gt_u32_e32 32, v0
	s_cbranch_execz .LBB259_13
; %bb.12:
	v_lshlrev_b64 v[2:3], 3, v[0:1]
	v_mov_b32_e32 v4, 0xff
	v_add_co_u32 v5, vcc_lo, s8, v2
	v_add_co_ci_u32_e64 v6, null, s9, v3, vcc_lo
	v_mov_b32_e32 v3, v1
	global_store_dwordx2 v[5:6], v[3:4], off
.LBB259_13:
	s_or_b32 exec_lo, exec_lo, s0
	s_load_dwordx2 s[2:3], s[4:5], 0x28
	s_mov_b32 s0, exec_lo
	s_waitcnt lgkmcnt(0)
	v_cmpx_gt_u64_e64 s[2:3], v[0:1]
	s_cbranch_execz .LBB259_16
; %bb.14:
	s_clause 0x1
	s_load_dword s6, s[4:5], 0x30
	s_load_dwordx2 s[8:9], s[4:5], 0x20
	s_mov_b32 s1, 0
	v_lshlrev_b64 v[4:5], 1, v[0:1]
	s_mul_i32 s4, s7, s16
	s_waitcnt lgkmcnt(0)
	v_mad_u64_u32 v[2:3], null, s6, v0, 0
	s_add_i32 s0, s6, -1
	s_mul_hi_u32 s7, s6, s4
	s_lshl_b64 s[10:11], s[0:1], 1
	s_mul_i32 s6, s6, s4
	s_add_u32 s0, s14, s10
	s_addc_u32 s5, s15, s11
	v_lshlrev_b64 v[2:3], 1, v[2:3]
	s_lshl_b64 s[6:7], s[6:7], 1
	v_add_co_u32 v2, vcc_lo, s0, v2
	v_add_co_ci_u32_e64 v3, null, s5, v3, vcc_lo
	v_add_co_u32 v4, vcc_lo, s8, v4
	v_add_co_ci_u32_e64 v5, null, s9, v5, vcc_lo
	s_mov_b32 s5, s1
	s_lshl_b64 s[8:9], s[4:5], 1
	.p2align	6
.LBB259_15:                             ; =>This Inner Loop Header: Depth=1
	global_load_ushort v6, v[2:3], off
	v_add_co_u32 v0, vcc_lo, v0, s4
	v_add_co_ci_u32_e64 v1, null, 0, v1, vcc_lo
	v_add_co_u32 v2, vcc_lo, v2, s6
	v_add_co_ci_u32_e64 v3, null, s7, v3, vcc_lo
	v_cmp_le_u64_e32 vcc_lo, s[2:3], v[0:1]
	s_or_b32 s1, vcc_lo, s1
	s_waitcnt vmcnt(0)
	global_store_short v[4:5], v6, off
	v_add_co_u32 v4, s0, v4, s8
	v_add_co_ci_u32_e64 v5, null, s9, v5, s0
	s_andn2_b32 exec_lo, exec_lo, s1
	s_cbranch_execnz .LBB259_15
.LBB259_16:
	s_endpgm
	.section	.rodata,"a",@progbits
	.p2align	6, 0x0
	.amdhsa_kernel _ZN7rocprim17ROCPRIM_400000_NS6detail30init_device_scan_by_key_kernelINS1_19lookback_scan_stateINS0_5tupleIJsbEEELb1ELb1EEEN6thrust23THRUST_200600_302600_NS6detail15normal_iteratorINS8_10device_ptrIsEEEEjNS1_16block_id_wrapperIjLb0EEEEEvT_jjPNSG_10value_typeET0_PNSt15iterator_traitsISJ_E10value_typeEmT1_T2_
		.amdhsa_group_segment_fixed_size 0
		.amdhsa_private_segment_fixed_size 0
		.amdhsa_kernarg_size 312
		.amdhsa_user_sgpr_count 6
		.amdhsa_user_sgpr_private_segment_buffer 1
		.amdhsa_user_sgpr_dispatch_ptr 0
		.amdhsa_user_sgpr_queue_ptr 0
		.amdhsa_user_sgpr_kernarg_segment_ptr 1
		.amdhsa_user_sgpr_dispatch_id 0
		.amdhsa_user_sgpr_flat_scratch_init 0
		.amdhsa_user_sgpr_private_segment_size 0
		.amdhsa_wavefront_size32 1
		.amdhsa_uses_dynamic_stack 0
		.amdhsa_system_sgpr_private_segment_wavefront_offset 0
		.amdhsa_system_sgpr_workgroup_id_x 1
		.amdhsa_system_sgpr_workgroup_id_y 0
		.amdhsa_system_sgpr_workgroup_id_z 0
		.amdhsa_system_sgpr_workgroup_info 0
		.amdhsa_system_vgpr_workitem_id 0
		.amdhsa_next_free_vgpr 7
		.amdhsa_next_free_sgpr 17
		.amdhsa_reserve_vcc 1
		.amdhsa_reserve_flat_scratch 0
		.amdhsa_float_round_mode_32 0
		.amdhsa_float_round_mode_16_64 0
		.amdhsa_float_denorm_mode_32 3
		.amdhsa_float_denorm_mode_16_64 3
		.amdhsa_dx10_clamp 1
		.amdhsa_ieee_mode 1
		.amdhsa_fp16_overflow 0
		.amdhsa_workgroup_processor_mode 1
		.amdhsa_memory_ordered 1
		.amdhsa_forward_progress 1
		.amdhsa_shared_vgpr_count 0
		.amdhsa_exception_fp_ieee_invalid_op 0
		.amdhsa_exception_fp_denorm_src 0
		.amdhsa_exception_fp_ieee_div_zero 0
		.amdhsa_exception_fp_ieee_overflow 0
		.amdhsa_exception_fp_ieee_underflow 0
		.amdhsa_exception_fp_ieee_inexact 0
		.amdhsa_exception_int_div_zero 0
	.end_amdhsa_kernel
	.section	.text._ZN7rocprim17ROCPRIM_400000_NS6detail30init_device_scan_by_key_kernelINS1_19lookback_scan_stateINS0_5tupleIJsbEEELb1ELb1EEEN6thrust23THRUST_200600_302600_NS6detail15normal_iteratorINS8_10device_ptrIsEEEEjNS1_16block_id_wrapperIjLb0EEEEEvT_jjPNSG_10value_typeET0_PNSt15iterator_traitsISJ_E10value_typeEmT1_T2_,"axG",@progbits,_ZN7rocprim17ROCPRIM_400000_NS6detail30init_device_scan_by_key_kernelINS1_19lookback_scan_stateINS0_5tupleIJsbEEELb1ELb1EEEN6thrust23THRUST_200600_302600_NS6detail15normal_iteratorINS8_10device_ptrIsEEEEjNS1_16block_id_wrapperIjLb0EEEEEvT_jjPNSG_10value_typeET0_PNSt15iterator_traitsISJ_E10value_typeEmT1_T2_,comdat
.Lfunc_end259:
	.size	_ZN7rocprim17ROCPRIM_400000_NS6detail30init_device_scan_by_key_kernelINS1_19lookback_scan_stateINS0_5tupleIJsbEEELb1ELb1EEEN6thrust23THRUST_200600_302600_NS6detail15normal_iteratorINS8_10device_ptrIsEEEEjNS1_16block_id_wrapperIjLb0EEEEEvT_jjPNSG_10value_typeET0_PNSt15iterator_traitsISJ_E10value_typeEmT1_T2_, .Lfunc_end259-_ZN7rocprim17ROCPRIM_400000_NS6detail30init_device_scan_by_key_kernelINS1_19lookback_scan_stateINS0_5tupleIJsbEEELb1ELb1EEEN6thrust23THRUST_200600_302600_NS6detail15normal_iteratorINS8_10device_ptrIsEEEEjNS1_16block_id_wrapperIjLb0EEEEEvT_jjPNSG_10value_typeET0_PNSt15iterator_traitsISJ_E10value_typeEmT1_T2_
                                        ; -- End function
	.set _ZN7rocprim17ROCPRIM_400000_NS6detail30init_device_scan_by_key_kernelINS1_19lookback_scan_stateINS0_5tupleIJsbEEELb1ELb1EEEN6thrust23THRUST_200600_302600_NS6detail15normal_iteratorINS8_10device_ptrIsEEEEjNS1_16block_id_wrapperIjLb0EEEEEvT_jjPNSG_10value_typeET0_PNSt15iterator_traitsISJ_E10value_typeEmT1_T2_.num_vgpr, 7
	.set _ZN7rocprim17ROCPRIM_400000_NS6detail30init_device_scan_by_key_kernelINS1_19lookback_scan_stateINS0_5tupleIJsbEEELb1ELb1EEEN6thrust23THRUST_200600_302600_NS6detail15normal_iteratorINS8_10device_ptrIsEEEEjNS1_16block_id_wrapperIjLb0EEEEEvT_jjPNSG_10value_typeET0_PNSt15iterator_traitsISJ_E10value_typeEmT1_T2_.num_agpr, 0
	.set _ZN7rocprim17ROCPRIM_400000_NS6detail30init_device_scan_by_key_kernelINS1_19lookback_scan_stateINS0_5tupleIJsbEEELb1ELb1EEEN6thrust23THRUST_200600_302600_NS6detail15normal_iteratorINS8_10device_ptrIsEEEEjNS1_16block_id_wrapperIjLb0EEEEEvT_jjPNSG_10value_typeET0_PNSt15iterator_traitsISJ_E10value_typeEmT1_T2_.numbered_sgpr, 17
	.set _ZN7rocprim17ROCPRIM_400000_NS6detail30init_device_scan_by_key_kernelINS1_19lookback_scan_stateINS0_5tupleIJsbEEELb1ELb1EEEN6thrust23THRUST_200600_302600_NS6detail15normal_iteratorINS8_10device_ptrIsEEEEjNS1_16block_id_wrapperIjLb0EEEEEvT_jjPNSG_10value_typeET0_PNSt15iterator_traitsISJ_E10value_typeEmT1_T2_.num_named_barrier, 0
	.set _ZN7rocprim17ROCPRIM_400000_NS6detail30init_device_scan_by_key_kernelINS1_19lookback_scan_stateINS0_5tupleIJsbEEELb1ELb1EEEN6thrust23THRUST_200600_302600_NS6detail15normal_iteratorINS8_10device_ptrIsEEEEjNS1_16block_id_wrapperIjLb0EEEEEvT_jjPNSG_10value_typeET0_PNSt15iterator_traitsISJ_E10value_typeEmT1_T2_.private_seg_size, 0
	.set _ZN7rocprim17ROCPRIM_400000_NS6detail30init_device_scan_by_key_kernelINS1_19lookback_scan_stateINS0_5tupleIJsbEEELb1ELb1EEEN6thrust23THRUST_200600_302600_NS6detail15normal_iteratorINS8_10device_ptrIsEEEEjNS1_16block_id_wrapperIjLb0EEEEEvT_jjPNSG_10value_typeET0_PNSt15iterator_traitsISJ_E10value_typeEmT1_T2_.uses_vcc, 1
	.set _ZN7rocprim17ROCPRIM_400000_NS6detail30init_device_scan_by_key_kernelINS1_19lookback_scan_stateINS0_5tupleIJsbEEELb1ELb1EEEN6thrust23THRUST_200600_302600_NS6detail15normal_iteratorINS8_10device_ptrIsEEEEjNS1_16block_id_wrapperIjLb0EEEEEvT_jjPNSG_10value_typeET0_PNSt15iterator_traitsISJ_E10value_typeEmT1_T2_.uses_flat_scratch, 0
	.set _ZN7rocprim17ROCPRIM_400000_NS6detail30init_device_scan_by_key_kernelINS1_19lookback_scan_stateINS0_5tupleIJsbEEELb1ELb1EEEN6thrust23THRUST_200600_302600_NS6detail15normal_iteratorINS8_10device_ptrIsEEEEjNS1_16block_id_wrapperIjLb0EEEEEvT_jjPNSG_10value_typeET0_PNSt15iterator_traitsISJ_E10value_typeEmT1_T2_.has_dyn_sized_stack, 0
	.set _ZN7rocprim17ROCPRIM_400000_NS6detail30init_device_scan_by_key_kernelINS1_19lookback_scan_stateINS0_5tupleIJsbEEELb1ELb1EEEN6thrust23THRUST_200600_302600_NS6detail15normal_iteratorINS8_10device_ptrIsEEEEjNS1_16block_id_wrapperIjLb0EEEEEvT_jjPNSG_10value_typeET0_PNSt15iterator_traitsISJ_E10value_typeEmT1_T2_.has_recursion, 0
	.set _ZN7rocprim17ROCPRIM_400000_NS6detail30init_device_scan_by_key_kernelINS1_19lookback_scan_stateINS0_5tupleIJsbEEELb1ELb1EEEN6thrust23THRUST_200600_302600_NS6detail15normal_iteratorINS8_10device_ptrIsEEEEjNS1_16block_id_wrapperIjLb0EEEEEvT_jjPNSG_10value_typeET0_PNSt15iterator_traitsISJ_E10value_typeEmT1_T2_.has_indirect_call, 0
	.section	.AMDGPU.csdata,"",@progbits
; Kernel info:
; codeLenInByte = 600
; TotalNumSgprs: 19
; NumVgprs: 7
; ScratchSize: 0
; MemoryBound: 0
; FloatMode: 240
; IeeeMode: 1
; LDSByteSize: 0 bytes/workgroup (compile time only)
; SGPRBlocks: 0
; VGPRBlocks: 0
; NumSGPRsForWavesPerEU: 19
; NumVGPRsForWavesPerEU: 7
; Occupancy: 16
; WaveLimiterHint : 0
; COMPUTE_PGM_RSRC2:SCRATCH_EN: 0
; COMPUTE_PGM_RSRC2:USER_SGPR: 6
; COMPUTE_PGM_RSRC2:TRAP_HANDLER: 0
; COMPUTE_PGM_RSRC2:TGID_X_EN: 1
; COMPUTE_PGM_RSRC2:TGID_Y_EN: 0
; COMPUTE_PGM_RSRC2:TGID_Z_EN: 0
; COMPUTE_PGM_RSRC2:TIDIG_COMP_CNT: 0
	.section	.text._ZN7rocprim17ROCPRIM_400000_NS6detail30init_device_scan_by_key_kernelINS1_19lookback_scan_stateINS0_5tupleIJsbEEELb1ELb1EEENS1_16block_id_wrapperIjLb0EEEEEvT_jjPNS9_10value_typeET0_,"axG",@progbits,_ZN7rocprim17ROCPRIM_400000_NS6detail30init_device_scan_by_key_kernelINS1_19lookback_scan_stateINS0_5tupleIJsbEEELb1ELb1EEENS1_16block_id_wrapperIjLb0EEEEEvT_jjPNS9_10value_typeET0_,comdat
	.protected	_ZN7rocprim17ROCPRIM_400000_NS6detail30init_device_scan_by_key_kernelINS1_19lookback_scan_stateINS0_5tupleIJsbEEELb1ELb1EEENS1_16block_id_wrapperIjLb0EEEEEvT_jjPNS9_10value_typeET0_ ; -- Begin function _ZN7rocprim17ROCPRIM_400000_NS6detail30init_device_scan_by_key_kernelINS1_19lookback_scan_stateINS0_5tupleIJsbEEELb1ELb1EEENS1_16block_id_wrapperIjLb0EEEEEvT_jjPNS9_10value_typeET0_
	.globl	_ZN7rocprim17ROCPRIM_400000_NS6detail30init_device_scan_by_key_kernelINS1_19lookback_scan_stateINS0_5tupleIJsbEEELb1ELb1EEENS1_16block_id_wrapperIjLb0EEEEEvT_jjPNS9_10value_typeET0_
	.p2align	8
	.type	_ZN7rocprim17ROCPRIM_400000_NS6detail30init_device_scan_by_key_kernelINS1_19lookback_scan_stateINS0_5tupleIJsbEEELb1ELb1EEENS1_16block_id_wrapperIjLb0EEEEEvT_jjPNS9_10value_typeET0_,@function
_ZN7rocprim17ROCPRIM_400000_NS6detail30init_device_scan_by_key_kernelINS1_19lookback_scan_stateINS0_5tupleIJsbEEELb1ELb1EEENS1_16block_id_wrapperIjLb0EEEEEvT_jjPNS9_10value_typeET0_: ; @_ZN7rocprim17ROCPRIM_400000_NS6detail30init_device_scan_by_key_kernelINS1_19lookback_scan_stateINS0_5tupleIJsbEEELb1ELb1EEENS1_16block_id_wrapperIjLb0EEEEEvT_jjPNS9_10value_typeET0_
; %bb.0:
	s_clause 0x2
	s_load_dword s7, s[4:5], 0x2c
	s_load_dwordx2 s[8:9], s[4:5], 0x10
	s_load_dwordx4 s[0:3], s[4:5], 0x0
	s_waitcnt lgkmcnt(0)
	s_and_b32 s4, s7, 0xffff
	s_cmp_eq_u64 s[8:9], 0
	v_mad_u64_u32 v[0:1], null, s6, s4, v[0:1]
	s_cbranch_scc1 .LBB260_9
; %bb.1:
	s_cmp_lt_u32 s3, s2
	s_mov_b32 s5, 0
	s_cselect_b32 s4, s3, 0
	s_mov_b32 s6, exec_lo
	v_cmpx_eq_u32_e64 s4, v0
	s_cbranch_execz .LBB260_8
; %bb.2:
	s_add_i32 s4, s3, 32
	v_mov_b32_e32 v1, 0
	s_lshl_b64 s[4:5], s[4:5], 3
	s_add_u32 s4, s0, s4
	s_addc_u32 s5, s1, s5
	global_load_dwordx2 v[3:4], v1, s[4:5] glc dlc
	s_waitcnt vmcnt(0)
	v_and_b32_e32 v2, 0xff, v4
	v_cmp_ne_u64_e32 vcc_lo, 0, v[1:2]
	s_cbranch_vccnz .LBB260_7
; %bb.3:
	s_mov_b32 s3, 1
.LBB260_4:                              ; =>This Loop Header: Depth=1
                                        ;     Child Loop BB260_5 Depth 2
	s_mov_b32 s7, s3
.LBB260_5:                              ;   Parent Loop BB260_4 Depth=1
                                        ; =>  This Inner Loop Header: Depth=2
	s_add_i32 s7, s7, -1
	s_sleep 1
	s_cmp_eq_u32 s7, 0
	s_cbranch_scc0 .LBB260_5
; %bb.6:                                ;   in Loop: Header=BB260_4 Depth=1
	global_load_dwordx2 v[3:4], v1, s[4:5] glc dlc
	s_cmp_lt_u32 s3, 32
	s_cselect_b32 s7, -1, 0
	s_cmp_lg_u32 s7, 0
	s_addc_u32 s3, s3, 0
	s_waitcnt vmcnt(0)
	v_and_b32_e32 v2, 0xff, v4
	v_cmp_ne_u64_e32 vcc_lo, 0, v[1:2]
	s_cbranch_vccz .LBB260_4
.LBB260_7:
	v_mov_b32_e32 v1, 0
	global_store_short v1, v3, s[8:9]
	global_store_byte_d16_hi v1, v3, s[8:9] offset:2
.LBB260_8:
	s_or_b32 exec_lo, exec_lo, s6
.LBB260_9:
	v_cmp_gt_u32_e32 vcc_lo, s2, v0
	s_and_saveexec_b32 s2, vcc_lo
	s_cbranch_execz .LBB260_11
; %bb.10:
	v_add_nc_u32_e32 v1, 32, v0
	v_mov_b32_e32 v2, 0
	v_lshlrev_b64 v[3:4], 3, v[1:2]
	v_mov_b32_e32 v1, v2
	v_add_co_u32 v3, vcc_lo, s0, v3
	v_add_co_ci_u32_e64 v4, null, s1, v4, vcc_lo
	global_store_dwordx2 v[3:4], v[1:2], off
.LBB260_11:
	s_or_b32 exec_lo, exec_lo, s2
	s_mov_b32 s2, exec_lo
	v_cmpx_gt_u32_e32 32, v0
	s_cbranch_execz .LBB260_13
; %bb.12:
	v_mov_b32_e32 v1, 0
	v_mov_b32_e32 v4, 0xff
	v_lshlrev_b64 v[2:3], 3, v[0:1]
	v_add_co_u32 v5, vcc_lo, s0, v2
	v_add_co_ci_u32_e64 v6, null, s1, v3, vcc_lo
	v_mov_b32_e32 v3, v1
	global_store_dwordx2 v[5:6], v[3:4], off
.LBB260_13:
	s_endpgm
	.section	.rodata,"a",@progbits
	.p2align	6, 0x0
	.amdhsa_kernel _ZN7rocprim17ROCPRIM_400000_NS6detail30init_device_scan_by_key_kernelINS1_19lookback_scan_stateINS0_5tupleIJsbEEELb1ELb1EEENS1_16block_id_wrapperIjLb0EEEEEvT_jjPNS9_10value_typeET0_
		.amdhsa_group_segment_fixed_size 0
		.amdhsa_private_segment_fixed_size 0
		.amdhsa_kernarg_size 288
		.amdhsa_user_sgpr_count 6
		.amdhsa_user_sgpr_private_segment_buffer 1
		.amdhsa_user_sgpr_dispatch_ptr 0
		.amdhsa_user_sgpr_queue_ptr 0
		.amdhsa_user_sgpr_kernarg_segment_ptr 1
		.amdhsa_user_sgpr_dispatch_id 0
		.amdhsa_user_sgpr_flat_scratch_init 0
		.amdhsa_user_sgpr_private_segment_size 0
		.amdhsa_wavefront_size32 1
		.amdhsa_uses_dynamic_stack 0
		.amdhsa_system_sgpr_private_segment_wavefront_offset 0
		.amdhsa_system_sgpr_workgroup_id_x 1
		.amdhsa_system_sgpr_workgroup_id_y 0
		.amdhsa_system_sgpr_workgroup_id_z 0
		.amdhsa_system_sgpr_workgroup_info 0
		.amdhsa_system_vgpr_workitem_id 0
		.amdhsa_next_free_vgpr 7
		.amdhsa_next_free_sgpr 10
		.amdhsa_reserve_vcc 1
		.amdhsa_reserve_flat_scratch 0
		.amdhsa_float_round_mode_32 0
		.amdhsa_float_round_mode_16_64 0
		.amdhsa_float_denorm_mode_32 3
		.amdhsa_float_denorm_mode_16_64 3
		.amdhsa_dx10_clamp 1
		.amdhsa_ieee_mode 1
		.amdhsa_fp16_overflow 0
		.amdhsa_workgroup_processor_mode 1
		.amdhsa_memory_ordered 1
		.amdhsa_forward_progress 1
		.amdhsa_shared_vgpr_count 0
		.amdhsa_exception_fp_ieee_invalid_op 0
		.amdhsa_exception_fp_denorm_src 0
		.amdhsa_exception_fp_ieee_div_zero 0
		.amdhsa_exception_fp_ieee_overflow 0
		.amdhsa_exception_fp_ieee_underflow 0
		.amdhsa_exception_fp_ieee_inexact 0
		.amdhsa_exception_int_div_zero 0
	.end_amdhsa_kernel
	.section	.text._ZN7rocprim17ROCPRIM_400000_NS6detail30init_device_scan_by_key_kernelINS1_19lookback_scan_stateINS0_5tupleIJsbEEELb1ELb1EEENS1_16block_id_wrapperIjLb0EEEEEvT_jjPNS9_10value_typeET0_,"axG",@progbits,_ZN7rocprim17ROCPRIM_400000_NS6detail30init_device_scan_by_key_kernelINS1_19lookback_scan_stateINS0_5tupleIJsbEEELb1ELb1EEENS1_16block_id_wrapperIjLb0EEEEEvT_jjPNS9_10value_typeET0_,comdat
.Lfunc_end260:
	.size	_ZN7rocprim17ROCPRIM_400000_NS6detail30init_device_scan_by_key_kernelINS1_19lookback_scan_stateINS0_5tupleIJsbEEELb1ELb1EEENS1_16block_id_wrapperIjLb0EEEEEvT_jjPNS9_10value_typeET0_, .Lfunc_end260-_ZN7rocprim17ROCPRIM_400000_NS6detail30init_device_scan_by_key_kernelINS1_19lookback_scan_stateINS0_5tupleIJsbEEELb1ELb1EEENS1_16block_id_wrapperIjLb0EEEEEvT_jjPNS9_10value_typeET0_
                                        ; -- End function
	.set _ZN7rocprim17ROCPRIM_400000_NS6detail30init_device_scan_by_key_kernelINS1_19lookback_scan_stateINS0_5tupleIJsbEEELb1ELb1EEENS1_16block_id_wrapperIjLb0EEEEEvT_jjPNS9_10value_typeET0_.num_vgpr, 7
	.set _ZN7rocprim17ROCPRIM_400000_NS6detail30init_device_scan_by_key_kernelINS1_19lookback_scan_stateINS0_5tupleIJsbEEELb1ELb1EEENS1_16block_id_wrapperIjLb0EEEEEvT_jjPNS9_10value_typeET0_.num_agpr, 0
	.set _ZN7rocprim17ROCPRIM_400000_NS6detail30init_device_scan_by_key_kernelINS1_19lookback_scan_stateINS0_5tupleIJsbEEELb1ELb1EEENS1_16block_id_wrapperIjLb0EEEEEvT_jjPNS9_10value_typeET0_.numbered_sgpr, 10
	.set _ZN7rocprim17ROCPRIM_400000_NS6detail30init_device_scan_by_key_kernelINS1_19lookback_scan_stateINS0_5tupleIJsbEEELb1ELb1EEENS1_16block_id_wrapperIjLb0EEEEEvT_jjPNS9_10value_typeET0_.num_named_barrier, 0
	.set _ZN7rocprim17ROCPRIM_400000_NS6detail30init_device_scan_by_key_kernelINS1_19lookback_scan_stateINS0_5tupleIJsbEEELb1ELb1EEENS1_16block_id_wrapperIjLb0EEEEEvT_jjPNS9_10value_typeET0_.private_seg_size, 0
	.set _ZN7rocprim17ROCPRIM_400000_NS6detail30init_device_scan_by_key_kernelINS1_19lookback_scan_stateINS0_5tupleIJsbEEELb1ELb1EEENS1_16block_id_wrapperIjLb0EEEEEvT_jjPNS9_10value_typeET0_.uses_vcc, 1
	.set _ZN7rocprim17ROCPRIM_400000_NS6detail30init_device_scan_by_key_kernelINS1_19lookback_scan_stateINS0_5tupleIJsbEEELb1ELb1EEENS1_16block_id_wrapperIjLb0EEEEEvT_jjPNS9_10value_typeET0_.uses_flat_scratch, 0
	.set _ZN7rocprim17ROCPRIM_400000_NS6detail30init_device_scan_by_key_kernelINS1_19lookback_scan_stateINS0_5tupleIJsbEEELb1ELb1EEENS1_16block_id_wrapperIjLb0EEEEEvT_jjPNS9_10value_typeET0_.has_dyn_sized_stack, 0
	.set _ZN7rocprim17ROCPRIM_400000_NS6detail30init_device_scan_by_key_kernelINS1_19lookback_scan_stateINS0_5tupleIJsbEEELb1ELb1EEENS1_16block_id_wrapperIjLb0EEEEEvT_jjPNS9_10value_typeET0_.has_recursion, 0
	.set _ZN7rocprim17ROCPRIM_400000_NS6detail30init_device_scan_by_key_kernelINS1_19lookback_scan_stateINS0_5tupleIJsbEEELb1ELb1EEENS1_16block_id_wrapperIjLb0EEEEEvT_jjPNS9_10value_typeET0_.has_indirect_call, 0
	.section	.AMDGPU.csdata,"",@progbits
; Kernel info:
; codeLenInByte = 348
; TotalNumSgprs: 12
; NumVgprs: 7
; ScratchSize: 0
; MemoryBound: 0
; FloatMode: 240
; IeeeMode: 1
; LDSByteSize: 0 bytes/workgroup (compile time only)
; SGPRBlocks: 0
; VGPRBlocks: 0
; NumSGPRsForWavesPerEU: 12
; NumVGPRsForWavesPerEU: 7
; Occupancy: 16
; WaveLimiterHint : 0
; COMPUTE_PGM_RSRC2:SCRATCH_EN: 0
; COMPUTE_PGM_RSRC2:USER_SGPR: 6
; COMPUTE_PGM_RSRC2:TRAP_HANDLER: 0
; COMPUTE_PGM_RSRC2:TGID_X_EN: 1
; COMPUTE_PGM_RSRC2:TGID_Y_EN: 0
; COMPUTE_PGM_RSRC2:TGID_Z_EN: 0
; COMPUTE_PGM_RSRC2:TIDIG_COMP_CNT: 0
	.section	.text._ZN7rocprim17ROCPRIM_400000_NS6detail17trampoline_kernelINS0_14default_configENS1_27scan_by_key_config_selectorIssEEZZNS1_16scan_by_key_implILNS1_25lookback_scan_determinismE0ELb0ES3_N6thrust23THRUST_200600_302600_NS6detail15normal_iteratorINS9_10device_ptrIsEEEESE_SE_sNS9_4plusIvEENS9_8equal_toIvEEsEE10hipError_tPvRmT2_T3_T4_T5_mT6_T7_P12ihipStream_tbENKUlT_T0_E_clISt17integral_constantIbLb1EESY_IbLb0EEEEDaSU_SV_EUlSU_E_NS1_11comp_targetILNS1_3genE0ELNS1_11target_archE4294967295ELNS1_3gpuE0ELNS1_3repE0EEENS1_30default_config_static_selectorELNS0_4arch9wavefront6targetE0EEEvT1_,"axG",@progbits,_ZN7rocprim17ROCPRIM_400000_NS6detail17trampoline_kernelINS0_14default_configENS1_27scan_by_key_config_selectorIssEEZZNS1_16scan_by_key_implILNS1_25lookback_scan_determinismE0ELb0ES3_N6thrust23THRUST_200600_302600_NS6detail15normal_iteratorINS9_10device_ptrIsEEEESE_SE_sNS9_4plusIvEENS9_8equal_toIvEEsEE10hipError_tPvRmT2_T3_T4_T5_mT6_T7_P12ihipStream_tbENKUlT_T0_E_clISt17integral_constantIbLb1EESY_IbLb0EEEEDaSU_SV_EUlSU_E_NS1_11comp_targetILNS1_3genE0ELNS1_11target_archE4294967295ELNS1_3gpuE0ELNS1_3repE0EEENS1_30default_config_static_selectorELNS0_4arch9wavefront6targetE0EEEvT1_,comdat
	.protected	_ZN7rocprim17ROCPRIM_400000_NS6detail17trampoline_kernelINS0_14default_configENS1_27scan_by_key_config_selectorIssEEZZNS1_16scan_by_key_implILNS1_25lookback_scan_determinismE0ELb0ES3_N6thrust23THRUST_200600_302600_NS6detail15normal_iteratorINS9_10device_ptrIsEEEESE_SE_sNS9_4plusIvEENS9_8equal_toIvEEsEE10hipError_tPvRmT2_T3_T4_T5_mT6_T7_P12ihipStream_tbENKUlT_T0_E_clISt17integral_constantIbLb1EESY_IbLb0EEEEDaSU_SV_EUlSU_E_NS1_11comp_targetILNS1_3genE0ELNS1_11target_archE4294967295ELNS1_3gpuE0ELNS1_3repE0EEENS1_30default_config_static_selectorELNS0_4arch9wavefront6targetE0EEEvT1_ ; -- Begin function _ZN7rocprim17ROCPRIM_400000_NS6detail17trampoline_kernelINS0_14default_configENS1_27scan_by_key_config_selectorIssEEZZNS1_16scan_by_key_implILNS1_25lookback_scan_determinismE0ELb0ES3_N6thrust23THRUST_200600_302600_NS6detail15normal_iteratorINS9_10device_ptrIsEEEESE_SE_sNS9_4plusIvEENS9_8equal_toIvEEsEE10hipError_tPvRmT2_T3_T4_T5_mT6_T7_P12ihipStream_tbENKUlT_T0_E_clISt17integral_constantIbLb1EESY_IbLb0EEEEDaSU_SV_EUlSU_E_NS1_11comp_targetILNS1_3genE0ELNS1_11target_archE4294967295ELNS1_3gpuE0ELNS1_3repE0EEENS1_30default_config_static_selectorELNS0_4arch9wavefront6targetE0EEEvT1_
	.globl	_ZN7rocprim17ROCPRIM_400000_NS6detail17trampoline_kernelINS0_14default_configENS1_27scan_by_key_config_selectorIssEEZZNS1_16scan_by_key_implILNS1_25lookback_scan_determinismE0ELb0ES3_N6thrust23THRUST_200600_302600_NS6detail15normal_iteratorINS9_10device_ptrIsEEEESE_SE_sNS9_4plusIvEENS9_8equal_toIvEEsEE10hipError_tPvRmT2_T3_T4_T5_mT6_T7_P12ihipStream_tbENKUlT_T0_E_clISt17integral_constantIbLb1EESY_IbLb0EEEEDaSU_SV_EUlSU_E_NS1_11comp_targetILNS1_3genE0ELNS1_11target_archE4294967295ELNS1_3gpuE0ELNS1_3repE0EEENS1_30default_config_static_selectorELNS0_4arch9wavefront6targetE0EEEvT1_
	.p2align	8
	.type	_ZN7rocprim17ROCPRIM_400000_NS6detail17trampoline_kernelINS0_14default_configENS1_27scan_by_key_config_selectorIssEEZZNS1_16scan_by_key_implILNS1_25lookback_scan_determinismE0ELb0ES3_N6thrust23THRUST_200600_302600_NS6detail15normal_iteratorINS9_10device_ptrIsEEEESE_SE_sNS9_4plusIvEENS9_8equal_toIvEEsEE10hipError_tPvRmT2_T3_T4_T5_mT6_T7_P12ihipStream_tbENKUlT_T0_E_clISt17integral_constantIbLb1EESY_IbLb0EEEEDaSU_SV_EUlSU_E_NS1_11comp_targetILNS1_3genE0ELNS1_11target_archE4294967295ELNS1_3gpuE0ELNS1_3repE0EEENS1_30default_config_static_selectorELNS0_4arch9wavefront6targetE0EEEvT1_,@function
_ZN7rocprim17ROCPRIM_400000_NS6detail17trampoline_kernelINS0_14default_configENS1_27scan_by_key_config_selectorIssEEZZNS1_16scan_by_key_implILNS1_25lookback_scan_determinismE0ELb0ES3_N6thrust23THRUST_200600_302600_NS6detail15normal_iteratorINS9_10device_ptrIsEEEESE_SE_sNS9_4plusIvEENS9_8equal_toIvEEsEE10hipError_tPvRmT2_T3_T4_T5_mT6_T7_P12ihipStream_tbENKUlT_T0_E_clISt17integral_constantIbLb1EESY_IbLb0EEEEDaSU_SV_EUlSU_E_NS1_11comp_targetILNS1_3genE0ELNS1_11target_archE4294967295ELNS1_3gpuE0ELNS1_3repE0EEENS1_30default_config_static_selectorELNS0_4arch9wavefront6targetE0EEEvT1_: ; @_ZN7rocprim17ROCPRIM_400000_NS6detail17trampoline_kernelINS0_14default_configENS1_27scan_by_key_config_selectorIssEEZZNS1_16scan_by_key_implILNS1_25lookback_scan_determinismE0ELb0ES3_N6thrust23THRUST_200600_302600_NS6detail15normal_iteratorINS9_10device_ptrIsEEEESE_SE_sNS9_4plusIvEENS9_8equal_toIvEEsEE10hipError_tPvRmT2_T3_T4_T5_mT6_T7_P12ihipStream_tbENKUlT_T0_E_clISt17integral_constantIbLb1EESY_IbLb0EEEEDaSU_SV_EUlSU_E_NS1_11comp_targetILNS1_3genE0ELNS1_11target_archE4294967295ELNS1_3gpuE0ELNS1_3repE0EEENS1_30default_config_static_selectorELNS0_4arch9wavefront6targetE0EEEvT1_
; %bb.0:
	.section	.rodata,"a",@progbits
	.p2align	6, 0x0
	.amdhsa_kernel _ZN7rocprim17ROCPRIM_400000_NS6detail17trampoline_kernelINS0_14default_configENS1_27scan_by_key_config_selectorIssEEZZNS1_16scan_by_key_implILNS1_25lookback_scan_determinismE0ELb0ES3_N6thrust23THRUST_200600_302600_NS6detail15normal_iteratorINS9_10device_ptrIsEEEESE_SE_sNS9_4plusIvEENS9_8equal_toIvEEsEE10hipError_tPvRmT2_T3_T4_T5_mT6_T7_P12ihipStream_tbENKUlT_T0_E_clISt17integral_constantIbLb1EESY_IbLb0EEEEDaSU_SV_EUlSU_E_NS1_11comp_targetILNS1_3genE0ELNS1_11target_archE4294967295ELNS1_3gpuE0ELNS1_3repE0EEENS1_30default_config_static_selectorELNS0_4arch9wavefront6targetE0EEEvT1_
		.amdhsa_group_segment_fixed_size 0
		.amdhsa_private_segment_fixed_size 0
		.amdhsa_kernarg_size 112
		.amdhsa_user_sgpr_count 6
		.amdhsa_user_sgpr_private_segment_buffer 1
		.amdhsa_user_sgpr_dispatch_ptr 0
		.amdhsa_user_sgpr_queue_ptr 0
		.amdhsa_user_sgpr_kernarg_segment_ptr 1
		.amdhsa_user_sgpr_dispatch_id 0
		.amdhsa_user_sgpr_flat_scratch_init 0
		.amdhsa_user_sgpr_private_segment_size 0
		.amdhsa_wavefront_size32 1
		.amdhsa_uses_dynamic_stack 0
		.amdhsa_system_sgpr_private_segment_wavefront_offset 0
		.amdhsa_system_sgpr_workgroup_id_x 1
		.amdhsa_system_sgpr_workgroup_id_y 0
		.amdhsa_system_sgpr_workgroup_id_z 0
		.amdhsa_system_sgpr_workgroup_info 0
		.amdhsa_system_vgpr_workitem_id 0
		.amdhsa_next_free_vgpr 1
		.amdhsa_next_free_sgpr 1
		.amdhsa_reserve_vcc 0
		.amdhsa_reserve_flat_scratch 0
		.amdhsa_float_round_mode_32 0
		.amdhsa_float_round_mode_16_64 0
		.amdhsa_float_denorm_mode_32 3
		.amdhsa_float_denorm_mode_16_64 3
		.amdhsa_dx10_clamp 1
		.amdhsa_ieee_mode 1
		.amdhsa_fp16_overflow 0
		.amdhsa_workgroup_processor_mode 1
		.amdhsa_memory_ordered 1
		.amdhsa_forward_progress 1
		.amdhsa_shared_vgpr_count 0
		.amdhsa_exception_fp_ieee_invalid_op 0
		.amdhsa_exception_fp_denorm_src 0
		.amdhsa_exception_fp_ieee_div_zero 0
		.amdhsa_exception_fp_ieee_overflow 0
		.amdhsa_exception_fp_ieee_underflow 0
		.amdhsa_exception_fp_ieee_inexact 0
		.amdhsa_exception_int_div_zero 0
	.end_amdhsa_kernel
	.section	.text._ZN7rocprim17ROCPRIM_400000_NS6detail17trampoline_kernelINS0_14default_configENS1_27scan_by_key_config_selectorIssEEZZNS1_16scan_by_key_implILNS1_25lookback_scan_determinismE0ELb0ES3_N6thrust23THRUST_200600_302600_NS6detail15normal_iteratorINS9_10device_ptrIsEEEESE_SE_sNS9_4plusIvEENS9_8equal_toIvEEsEE10hipError_tPvRmT2_T3_T4_T5_mT6_T7_P12ihipStream_tbENKUlT_T0_E_clISt17integral_constantIbLb1EESY_IbLb0EEEEDaSU_SV_EUlSU_E_NS1_11comp_targetILNS1_3genE0ELNS1_11target_archE4294967295ELNS1_3gpuE0ELNS1_3repE0EEENS1_30default_config_static_selectorELNS0_4arch9wavefront6targetE0EEEvT1_,"axG",@progbits,_ZN7rocprim17ROCPRIM_400000_NS6detail17trampoline_kernelINS0_14default_configENS1_27scan_by_key_config_selectorIssEEZZNS1_16scan_by_key_implILNS1_25lookback_scan_determinismE0ELb0ES3_N6thrust23THRUST_200600_302600_NS6detail15normal_iteratorINS9_10device_ptrIsEEEESE_SE_sNS9_4plusIvEENS9_8equal_toIvEEsEE10hipError_tPvRmT2_T3_T4_T5_mT6_T7_P12ihipStream_tbENKUlT_T0_E_clISt17integral_constantIbLb1EESY_IbLb0EEEEDaSU_SV_EUlSU_E_NS1_11comp_targetILNS1_3genE0ELNS1_11target_archE4294967295ELNS1_3gpuE0ELNS1_3repE0EEENS1_30default_config_static_selectorELNS0_4arch9wavefront6targetE0EEEvT1_,comdat
.Lfunc_end261:
	.size	_ZN7rocprim17ROCPRIM_400000_NS6detail17trampoline_kernelINS0_14default_configENS1_27scan_by_key_config_selectorIssEEZZNS1_16scan_by_key_implILNS1_25lookback_scan_determinismE0ELb0ES3_N6thrust23THRUST_200600_302600_NS6detail15normal_iteratorINS9_10device_ptrIsEEEESE_SE_sNS9_4plusIvEENS9_8equal_toIvEEsEE10hipError_tPvRmT2_T3_T4_T5_mT6_T7_P12ihipStream_tbENKUlT_T0_E_clISt17integral_constantIbLb1EESY_IbLb0EEEEDaSU_SV_EUlSU_E_NS1_11comp_targetILNS1_3genE0ELNS1_11target_archE4294967295ELNS1_3gpuE0ELNS1_3repE0EEENS1_30default_config_static_selectorELNS0_4arch9wavefront6targetE0EEEvT1_, .Lfunc_end261-_ZN7rocprim17ROCPRIM_400000_NS6detail17trampoline_kernelINS0_14default_configENS1_27scan_by_key_config_selectorIssEEZZNS1_16scan_by_key_implILNS1_25lookback_scan_determinismE0ELb0ES3_N6thrust23THRUST_200600_302600_NS6detail15normal_iteratorINS9_10device_ptrIsEEEESE_SE_sNS9_4plusIvEENS9_8equal_toIvEEsEE10hipError_tPvRmT2_T3_T4_T5_mT6_T7_P12ihipStream_tbENKUlT_T0_E_clISt17integral_constantIbLb1EESY_IbLb0EEEEDaSU_SV_EUlSU_E_NS1_11comp_targetILNS1_3genE0ELNS1_11target_archE4294967295ELNS1_3gpuE0ELNS1_3repE0EEENS1_30default_config_static_selectorELNS0_4arch9wavefront6targetE0EEEvT1_
                                        ; -- End function
	.set _ZN7rocprim17ROCPRIM_400000_NS6detail17trampoline_kernelINS0_14default_configENS1_27scan_by_key_config_selectorIssEEZZNS1_16scan_by_key_implILNS1_25lookback_scan_determinismE0ELb0ES3_N6thrust23THRUST_200600_302600_NS6detail15normal_iteratorINS9_10device_ptrIsEEEESE_SE_sNS9_4plusIvEENS9_8equal_toIvEEsEE10hipError_tPvRmT2_T3_T4_T5_mT6_T7_P12ihipStream_tbENKUlT_T0_E_clISt17integral_constantIbLb1EESY_IbLb0EEEEDaSU_SV_EUlSU_E_NS1_11comp_targetILNS1_3genE0ELNS1_11target_archE4294967295ELNS1_3gpuE0ELNS1_3repE0EEENS1_30default_config_static_selectorELNS0_4arch9wavefront6targetE0EEEvT1_.num_vgpr, 0
	.set _ZN7rocprim17ROCPRIM_400000_NS6detail17trampoline_kernelINS0_14default_configENS1_27scan_by_key_config_selectorIssEEZZNS1_16scan_by_key_implILNS1_25lookback_scan_determinismE0ELb0ES3_N6thrust23THRUST_200600_302600_NS6detail15normal_iteratorINS9_10device_ptrIsEEEESE_SE_sNS9_4plusIvEENS9_8equal_toIvEEsEE10hipError_tPvRmT2_T3_T4_T5_mT6_T7_P12ihipStream_tbENKUlT_T0_E_clISt17integral_constantIbLb1EESY_IbLb0EEEEDaSU_SV_EUlSU_E_NS1_11comp_targetILNS1_3genE0ELNS1_11target_archE4294967295ELNS1_3gpuE0ELNS1_3repE0EEENS1_30default_config_static_selectorELNS0_4arch9wavefront6targetE0EEEvT1_.num_agpr, 0
	.set _ZN7rocprim17ROCPRIM_400000_NS6detail17trampoline_kernelINS0_14default_configENS1_27scan_by_key_config_selectorIssEEZZNS1_16scan_by_key_implILNS1_25lookback_scan_determinismE0ELb0ES3_N6thrust23THRUST_200600_302600_NS6detail15normal_iteratorINS9_10device_ptrIsEEEESE_SE_sNS9_4plusIvEENS9_8equal_toIvEEsEE10hipError_tPvRmT2_T3_T4_T5_mT6_T7_P12ihipStream_tbENKUlT_T0_E_clISt17integral_constantIbLb1EESY_IbLb0EEEEDaSU_SV_EUlSU_E_NS1_11comp_targetILNS1_3genE0ELNS1_11target_archE4294967295ELNS1_3gpuE0ELNS1_3repE0EEENS1_30default_config_static_selectorELNS0_4arch9wavefront6targetE0EEEvT1_.numbered_sgpr, 0
	.set _ZN7rocprim17ROCPRIM_400000_NS6detail17trampoline_kernelINS0_14default_configENS1_27scan_by_key_config_selectorIssEEZZNS1_16scan_by_key_implILNS1_25lookback_scan_determinismE0ELb0ES3_N6thrust23THRUST_200600_302600_NS6detail15normal_iteratorINS9_10device_ptrIsEEEESE_SE_sNS9_4plusIvEENS9_8equal_toIvEEsEE10hipError_tPvRmT2_T3_T4_T5_mT6_T7_P12ihipStream_tbENKUlT_T0_E_clISt17integral_constantIbLb1EESY_IbLb0EEEEDaSU_SV_EUlSU_E_NS1_11comp_targetILNS1_3genE0ELNS1_11target_archE4294967295ELNS1_3gpuE0ELNS1_3repE0EEENS1_30default_config_static_selectorELNS0_4arch9wavefront6targetE0EEEvT1_.num_named_barrier, 0
	.set _ZN7rocprim17ROCPRIM_400000_NS6detail17trampoline_kernelINS0_14default_configENS1_27scan_by_key_config_selectorIssEEZZNS1_16scan_by_key_implILNS1_25lookback_scan_determinismE0ELb0ES3_N6thrust23THRUST_200600_302600_NS6detail15normal_iteratorINS9_10device_ptrIsEEEESE_SE_sNS9_4plusIvEENS9_8equal_toIvEEsEE10hipError_tPvRmT2_T3_T4_T5_mT6_T7_P12ihipStream_tbENKUlT_T0_E_clISt17integral_constantIbLb1EESY_IbLb0EEEEDaSU_SV_EUlSU_E_NS1_11comp_targetILNS1_3genE0ELNS1_11target_archE4294967295ELNS1_3gpuE0ELNS1_3repE0EEENS1_30default_config_static_selectorELNS0_4arch9wavefront6targetE0EEEvT1_.private_seg_size, 0
	.set _ZN7rocprim17ROCPRIM_400000_NS6detail17trampoline_kernelINS0_14default_configENS1_27scan_by_key_config_selectorIssEEZZNS1_16scan_by_key_implILNS1_25lookback_scan_determinismE0ELb0ES3_N6thrust23THRUST_200600_302600_NS6detail15normal_iteratorINS9_10device_ptrIsEEEESE_SE_sNS9_4plusIvEENS9_8equal_toIvEEsEE10hipError_tPvRmT2_T3_T4_T5_mT6_T7_P12ihipStream_tbENKUlT_T0_E_clISt17integral_constantIbLb1EESY_IbLb0EEEEDaSU_SV_EUlSU_E_NS1_11comp_targetILNS1_3genE0ELNS1_11target_archE4294967295ELNS1_3gpuE0ELNS1_3repE0EEENS1_30default_config_static_selectorELNS0_4arch9wavefront6targetE0EEEvT1_.uses_vcc, 0
	.set _ZN7rocprim17ROCPRIM_400000_NS6detail17trampoline_kernelINS0_14default_configENS1_27scan_by_key_config_selectorIssEEZZNS1_16scan_by_key_implILNS1_25lookback_scan_determinismE0ELb0ES3_N6thrust23THRUST_200600_302600_NS6detail15normal_iteratorINS9_10device_ptrIsEEEESE_SE_sNS9_4plusIvEENS9_8equal_toIvEEsEE10hipError_tPvRmT2_T3_T4_T5_mT6_T7_P12ihipStream_tbENKUlT_T0_E_clISt17integral_constantIbLb1EESY_IbLb0EEEEDaSU_SV_EUlSU_E_NS1_11comp_targetILNS1_3genE0ELNS1_11target_archE4294967295ELNS1_3gpuE0ELNS1_3repE0EEENS1_30default_config_static_selectorELNS0_4arch9wavefront6targetE0EEEvT1_.uses_flat_scratch, 0
	.set _ZN7rocprim17ROCPRIM_400000_NS6detail17trampoline_kernelINS0_14default_configENS1_27scan_by_key_config_selectorIssEEZZNS1_16scan_by_key_implILNS1_25lookback_scan_determinismE0ELb0ES3_N6thrust23THRUST_200600_302600_NS6detail15normal_iteratorINS9_10device_ptrIsEEEESE_SE_sNS9_4plusIvEENS9_8equal_toIvEEsEE10hipError_tPvRmT2_T3_T4_T5_mT6_T7_P12ihipStream_tbENKUlT_T0_E_clISt17integral_constantIbLb1EESY_IbLb0EEEEDaSU_SV_EUlSU_E_NS1_11comp_targetILNS1_3genE0ELNS1_11target_archE4294967295ELNS1_3gpuE0ELNS1_3repE0EEENS1_30default_config_static_selectorELNS0_4arch9wavefront6targetE0EEEvT1_.has_dyn_sized_stack, 0
	.set _ZN7rocprim17ROCPRIM_400000_NS6detail17trampoline_kernelINS0_14default_configENS1_27scan_by_key_config_selectorIssEEZZNS1_16scan_by_key_implILNS1_25lookback_scan_determinismE0ELb0ES3_N6thrust23THRUST_200600_302600_NS6detail15normal_iteratorINS9_10device_ptrIsEEEESE_SE_sNS9_4plusIvEENS9_8equal_toIvEEsEE10hipError_tPvRmT2_T3_T4_T5_mT6_T7_P12ihipStream_tbENKUlT_T0_E_clISt17integral_constantIbLb1EESY_IbLb0EEEEDaSU_SV_EUlSU_E_NS1_11comp_targetILNS1_3genE0ELNS1_11target_archE4294967295ELNS1_3gpuE0ELNS1_3repE0EEENS1_30default_config_static_selectorELNS0_4arch9wavefront6targetE0EEEvT1_.has_recursion, 0
	.set _ZN7rocprim17ROCPRIM_400000_NS6detail17trampoline_kernelINS0_14default_configENS1_27scan_by_key_config_selectorIssEEZZNS1_16scan_by_key_implILNS1_25lookback_scan_determinismE0ELb0ES3_N6thrust23THRUST_200600_302600_NS6detail15normal_iteratorINS9_10device_ptrIsEEEESE_SE_sNS9_4plusIvEENS9_8equal_toIvEEsEE10hipError_tPvRmT2_T3_T4_T5_mT6_T7_P12ihipStream_tbENKUlT_T0_E_clISt17integral_constantIbLb1EESY_IbLb0EEEEDaSU_SV_EUlSU_E_NS1_11comp_targetILNS1_3genE0ELNS1_11target_archE4294967295ELNS1_3gpuE0ELNS1_3repE0EEENS1_30default_config_static_selectorELNS0_4arch9wavefront6targetE0EEEvT1_.has_indirect_call, 0
	.section	.AMDGPU.csdata,"",@progbits
; Kernel info:
; codeLenInByte = 0
; TotalNumSgprs: 0
; NumVgprs: 0
; ScratchSize: 0
; MemoryBound: 0
; FloatMode: 240
; IeeeMode: 1
; LDSByteSize: 0 bytes/workgroup (compile time only)
; SGPRBlocks: 0
; VGPRBlocks: 0
; NumSGPRsForWavesPerEU: 1
; NumVGPRsForWavesPerEU: 1
; Occupancy: 16
; WaveLimiterHint : 0
; COMPUTE_PGM_RSRC2:SCRATCH_EN: 0
; COMPUTE_PGM_RSRC2:USER_SGPR: 6
; COMPUTE_PGM_RSRC2:TRAP_HANDLER: 0
; COMPUTE_PGM_RSRC2:TGID_X_EN: 1
; COMPUTE_PGM_RSRC2:TGID_Y_EN: 0
; COMPUTE_PGM_RSRC2:TGID_Z_EN: 0
; COMPUTE_PGM_RSRC2:TIDIG_COMP_CNT: 0
	.section	.text._ZN7rocprim17ROCPRIM_400000_NS6detail17trampoline_kernelINS0_14default_configENS1_27scan_by_key_config_selectorIssEEZZNS1_16scan_by_key_implILNS1_25lookback_scan_determinismE0ELb0ES3_N6thrust23THRUST_200600_302600_NS6detail15normal_iteratorINS9_10device_ptrIsEEEESE_SE_sNS9_4plusIvEENS9_8equal_toIvEEsEE10hipError_tPvRmT2_T3_T4_T5_mT6_T7_P12ihipStream_tbENKUlT_T0_E_clISt17integral_constantIbLb1EESY_IbLb0EEEEDaSU_SV_EUlSU_E_NS1_11comp_targetILNS1_3genE10ELNS1_11target_archE1201ELNS1_3gpuE5ELNS1_3repE0EEENS1_30default_config_static_selectorELNS0_4arch9wavefront6targetE0EEEvT1_,"axG",@progbits,_ZN7rocprim17ROCPRIM_400000_NS6detail17trampoline_kernelINS0_14default_configENS1_27scan_by_key_config_selectorIssEEZZNS1_16scan_by_key_implILNS1_25lookback_scan_determinismE0ELb0ES3_N6thrust23THRUST_200600_302600_NS6detail15normal_iteratorINS9_10device_ptrIsEEEESE_SE_sNS9_4plusIvEENS9_8equal_toIvEEsEE10hipError_tPvRmT2_T3_T4_T5_mT6_T7_P12ihipStream_tbENKUlT_T0_E_clISt17integral_constantIbLb1EESY_IbLb0EEEEDaSU_SV_EUlSU_E_NS1_11comp_targetILNS1_3genE10ELNS1_11target_archE1201ELNS1_3gpuE5ELNS1_3repE0EEENS1_30default_config_static_selectorELNS0_4arch9wavefront6targetE0EEEvT1_,comdat
	.protected	_ZN7rocprim17ROCPRIM_400000_NS6detail17trampoline_kernelINS0_14default_configENS1_27scan_by_key_config_selectorIssEEZZNS1_16scan_by_key_implILNS1_25lookback_scan_determinismE0ELb0ES3_N6thrust23THRUST_200600_302600_NS6detail15normal_iteratorINS9_10device_ptrIsEEEESE_SE_sNS9_4plusIvEENS9_8equal_toIvEEsEE10hipError_tPvRmT2_T3_T4_T5_mT6_T7_P12ihipStream_tbENKUlT_T0_E_clISt17integral_constantIbLb1EESY_IbLb0EEEEDaSU_SV_EUlSU_E_NS1_11comp_targetILNS1_3genE10ELNS1_11target_archE1201ELNS1_3gpuE5ELNS1_3repE0EEENS1_30default_config_static_selectorELNS0_4arch9wavefront6targetE0EEEvT1_ ; -- Begin function _ZN7rocprim17ROCPRIM_400000_NS6detail17trampoline_kernelINS0_14default_configENS1_27scan_by_key_config_selectorIssEEZZNS1_16scan_by_key_implILNS1_25lookback_scan_determinismE0ELb0ES3_N6thrust23THRUST_200600_302600_NS6detail15normal_iteratorINS9_10device_ptrIsEEEESE_SE_sNS9_4plusIvEENS9_8equal_toIvEEsEE10hipError_tPvRmT2_T3_T4_T5_mT6_T7_P12ihipStream_tbENKUlT_T0_E_clISt17integral_constantIbLb1EESY_IbLb0EEEEDaSU_SV_EUlSU_E_NS1_11comp_targetILNS1_3genE10ELNS1_11target_archE1201ELNS1_3gpuE5ELNS1_3repE0EEENS1_30default_config_static_selectorELNS0_4arch9wavefront6targetE0EEEvT1_
	.globl	_ZN7rocprim17ROCPRIM_400000_NS6detail17trampoline_kernelINS0_14default_configENS1_27scan_by_key_config_selectorIssEEZZNS1_16scan_by_key_implILNS1_25lookback_scan_determinismE0ELb0ES3_N6thrust23THRUST_200600_302600_NS6detail15normal_iteratorINS9_10device_ptrIsEEEESE_SE_sNS9_4plusIvEENS9_8equal_toIvEEsEE10hipError_tPvRmT2_T3_T4_T5_mT6_T7_P12ihipStream_tbENKUlT_T0_E_clISt17integral_constantIbLb1EESY_IbLb0EEEEDaSU_SV_EUlSU_E_NS1_11comp_targetILNS1_3genE10ELNS1_11target_archE1201ELNS1_3gpuE5ELNS1_3repE0EEENS1_30default_config_static_selectorELNS0_4arch9wavefront6targetE0EEEvT1_
	.p2align	8
	.type	_ZN7rocprim17ROCPRIM_400000_NS6detail17trampoline_kernelINS0_14default_configENS1_27scan_by_key_config_selectorIssEEZZNS1_16scan_by_key_implILNS1_25lookback_scan_determinismE0ELb0ES3_N6thrust23THRUST_200600_302600_NS6detail15normal_iteratorINS9_10device_ptrIsEEEESE_SE_sNS9_4plusIvEENS9_8equal_toIvEEsEE10hipError_tPvRmT2_T3_T4_T5_mT6_T7_P12ihipStream_tbENKUlT_T0_E_clISt17integral_constantIbLb1EESY_IbLb0EEEEDaSU_SV_EUlSU_E_NS1_11comp_targetILNS1_3genE10ELNS1_11target_archE1201ELNS1_3gpuE5ELNS1_3repE0EEENS1_30default_config_static_selectorELNS0_4arch9wavefront6targetE0EEEvT1_,@function
_ZN7rocprim17ROCPRIM_400000_NS6detail17trampoline_kernelINS0_14default_configENS1_27scan_by_key_config_selectorIssEEZZNS1_16scan_by_key_implILNS1_25lookback_scan_determinismE0ELb0ES3_N6thrust23THRUST_200600_302600_NS6detail15normal_iteratorINS9_10device_ptrIsEEEESE_SE_sNS9_4plusIvEENS9_8equal_toIvEEsEE10hipError_tPvRmT2_T3_T4_T5_mT6_T7_P12ihipStream_tbENKUlT_T0_E_clISt17integral_constantIbLb1EESY_IbLb0EEEEDaSU_SV_EUlSU_E_NS1_11comp_targetILNS1_3genE10ELNS1_11target_archE1201ELNS1_3gpuE5ELNS1_3repE0EEENS1_30default_config_static_selectorELNS0_4arch9wavefront6targetE0EEEvT1_: ; @_ZN7rocprim17ROCPRIM_400000_NS6detail17trampoline_kernelINS0_14default_configENS1_27scan_by_key_config_selectorIssEEZZNS1_16scan_by_key_implILNS1_25lookback_scan_determinismE0ELb0ES3_N6thrust23THRUST_200600_302600_NS6detail15normal_iteratorINS9_10device_ptrIsEEEESE_SE_sNS9_4plusIvEENS9_8equal_toIvEEsEE10hipError_tPvRmT2_T3_T4_T5_mT6_T7_P12ihipStream_tbENKUlT_T0_E_clISt17integral_constantIbLb1EESY_IbLb0EEEEDaSU_SV_EUlSU_E_NS1_11comp_targetILNS1_3genE10ELNS1_11target_archE1201ELNS1_3gpuE5ELNS1_3repE0EEENS1_30default_config_static_selectorELNS0_4arch9wavefront6targetE0EEEvT1_
; %bb.0:
	.section	.rodata,"a",@progbits
	.p2align	6, 0x0
	.amdhsa_kernel _ZN7rocprim17ROCPRIM_400000_NS6detail17trampoline_kernelINS0_14default_configENS1_27scan_by_key_config_selectorIssEEZZNS1_16scan_by_key_implILNS1_25lookback_scan_determinismE0ELb0ES3_N6thrust23THRUST_200600_302600_NS6detail15normal_iteratorINS9_10device_ptrIsEEEESE_SE_sNS9_4plusIvEENS9_8equal_toIvEEsEE10hipError_tPvRmT2_T3_T4_T5_mT6_T7_P12ihipStream_tbENKUlT_T0_E_clISt17integral_constantIbLb1EESY_IbLb0EEEEDaSU_SV_EUlSU_E_NS1_11comp_targetILNS1_3genE10ELNS1_11target_archE1201ELNS1_3gpuE5ELNS1_3repE0EEENS1_30default_config_static_selectorELNS0_4arch9wavefront6targetE0EEEvT1_
		.amdhsa_group_segment_fixed_size 0
		.amdhsa_private_segment_fixed_size 0
		.amdhsa_kernarg_size 112
		.amdhsa_user_sgpr_count 6
		.amdhsa_user_sgpr_private_segment_buffer 1
		.amdhsa_user_sgpr_dispatch_ptr 0
		.amdhsa_user_sgpr_queue_ptr 0
		.amdhsa_user_sgpr_kernarg_segment_ptr 1
		.amdhsa_user_sgpr_dispatch_id 0
		.amdhsa_user_sgpr_flat_scratch_init 0
		.amdhsa_user_sgpr_private_segment_size 0
		.amdhsa_wavefront_size32 1
		.amdhsa_uses_dynamic_stack 0
		.amdhsa_system_sgpr_private_segment_wavefront_offset 0
		.amdhsa_system_sgpr_workgroup_id_x 1
		.amdhsa_system_sgpr_workgroup_id_y 0
		.amdhsa_system_sgpr_workgroup_id_z 0
		.amdhsa_system_sgpr_workgroup_info 0
		.amdhsa_system_vgpr_workitem_id 0
		.amdhsa_next_free_vgpr 1
		.amdhsa_next_free_sgpr 1
		.amdhsa_reserve_vcc 0
		.amdhsa_reserve_flat_scratch 0
		.amdhsa_float_round_mode_32 0
		.amdhsa_float_round_mode_16_64 0
		.amdhsa_float_denorm_mode_32 3
		.amdhsa_float_denorm_mode_16_64 3
		.amdhsa_dx10_clamp 1
		.amdhsa_ieee_mode 1
		.amdhsa_fp16_overflow 0
		.amdhsa_workgroup_processor_mode 1
		.amdhsa_memory_ordered 1
		.amdhsa_forward_progress 1
		.amdhsa_shared_vgpr_count 0
		.amdhsa_exception_fp_ieee_invalid_op 0
		.amdhsa_exception_fp_denorm_src 0
		.amdhsa_exception_fp_ieee_div_zero 0
		.amdhsa_exception_fp_ieee_overflow 0
		.amdhsa_exception_fp_ieee_underflow 0
		.amdhsa_exception_fp_ieee_inexact 0
		.amdhsa_exception_int_div_zero 0
	.end_amdhsa_kernel
	.section	.text._ZN7rocprim17ROCPRIM_400000_NS6detail17trampoline_kernelINS0_14default_configENS1_27scan_by_key_config_selectorIssEEZZNS1_16scan_by_key_implILNS1_25lookback_scan_determinismE0ELb0ES3_N6thrust23THRUST_200600_302600_NS6detail15normal_iteratorINS9_10device_ptrIsEEEESE_SE_sNS9_4plusIvEENS9_8equal_toIvEEsEE10hipError_tPvRmT2_T3_T4_T5_mT6_T7_P12ihipStream_tbENKUlT_T0_E_clISt17integral_constantIbLb1EESY_IbLb0EEEEDaSU_SV_EUlSU_E_NS1_11comp_targetILNS1_3genE10ELNS1_11target_archE1201ELNS1_3gpuE5ELNS1_3repE0EEENS1_30default_config_static_selectorELNS0_4arch9wavefront6targetE0EEEvT1_,"axG",@progbits,_ZN7rocprim17ROCPRIM_400000_NS6detail17trampoline_kernelINS0_14default_configENS1_27scan_by_key_config_selectorIssEEZZNS1_16scan_by_key_implILNS1_25lookback_scan_determinismE0ELb0ES3_N6thrust23THRUST_200600_302600_NS6detail15normal_iteratorINS9_10device_ptrIsEEEESE_SE_sNS9_4plusIvEENS9_8equal_toIvEEsEE10hipError_tPvRmT2_T3_T4_T5_mT6_T7_P12ihipStream_tbENKUlT_T0_E_clISt17integral_constantIbLb1EESY_IbLb0EEEEDaSU_SV_EUlSU_E_NS1_11comp_targetILNS1_3genE10ELNS1_11target_archE1201ELNS1_3gpuE5ELNS1_3repE0EEENS1_30default_config_static_selectorELNS0_4arch9wavefront6targetE0EEEvT1_,comdat
.Lfunc_end262:
	.size	_ZN7rocprim17ROCPRIM_400000_NS6detail17trampoline_kernelINS0_14default_configENS1_27scan_by_key_config_selectorIssEEZZNS1_16scan_by_key_implILNS1_25lookback_scan_determinismE0ELb0ES3_N6thrust23THRUST_200600_302600_NS6detail15normal_iteratorINS9_10device_ptrIsEEEESE_SE_sNS9_4plusIvEENS9_8equal_toIvEEsEE10hipError_tPvRmT2_T3_T4_T5_mT6_T7_P12ihipStream_tbENKUlT_T0_E_clISt17integral_constantIbLb1EESY_IbLb0EEEEDaSU_SV_EUlSU_E_NS1_11comp_targetILNS1_3genE10ELNS1_11target_archE1201ELNS1_3gpuE5ELNS1_3repE0EEENS1_30default_config_static_selectorELNS0_4arch9wavefront6targetE0EEEvT1_, .Lfunc_end262-_ZN7rocprim17ROCPRIM_400000_NS6detail17trampoline_kernelINS0_14default_configENS1_27scan_by_key_config_selectorIssEEZZNS1_16scan_by_key_implILNS1_25lookback_scan_determinismE0ELb0ES3_N6thrust23THRUST_200600_302600_NS6detail15normal_iteratorINS9_10device_ptrIsEEEESE_SE_sNS9_4plusIvEENS9_8equal_toIvEEsEE10hipError_tPvRmT2_T3_T4_T5_mT6_T7_P12ihipStream_tbENKUlT_T0_E_clISt17integral_constantIbLb1EESY_IbLb0EEEEDaSU_SV_EUlSU_E_NS1_11comp_targetILNS1_3genE10ELNS1_11target_archE1201ELNS1_3gpuE5ELNS1_3repE0EEENS1_30default_config_static_selectorELNS0_4arch9wavefront6targetE0EEEvT1_
                                        ; -- End function
	.set _ZN7rocprim17ROCPRIM_400000_NS6detail17trampoline_kernelINS0_14default_configENS1_27scan_by_key_config_selectorIssEEZZNS1_16scan_by_key_implILNS1_25lookback_scan_determinismE0ELb0ES3_N6thrust23THRUST_200600_302600_NS6detail15normal_iteratorINS9_10device_ptrIsEEEESE_SE_sNS9_4plusIvEENS9_8equal_toIvEEsEE10hipError_tPvRmT2_T3_T4_T5_mT6_T7_P12ihipStream_tbENKUlT_T0_E_clISt17integral_constantIbLb1EESY_IbLb0EEEEDaSU_SV_EUlSU_E_NS1_11comp_targetILNS1_3genE10ELNS1_11target_archE1201ELNS1_3gpuE5ELNS1_3repE0EEENS1_30default_config_static_selectorELNS0_4arch9wavefront6targetE0EEEvT1_.num_vgpr, 0
	.set _ZN7rocprim17ROCPRIM_400000_NS6detail17trampoline_kernelINS0_14default_configENS1_27scan_by_key_config_selectorIssEEZZNS1_16scan_by_key_implILNS1_25lookback_scan_determinismE0ELb0ES3_N6thrust23THRUST_200600_302600_NS6detail15normal_iteratorINS9_10device_ptrIsEEEESE_SE_sNS9_4plusIvEENS9_8equal_toIvEEsEE10hipError_tPvRmT2_T3_T4_T5_mT6_T7_P12ihipStream_tbENKUlT_T0_E_clISt17integral_constantIbLb1EESY_IbLb0EEEEDaSU_SV_EUlSU_E_NS1_11comp_targetILNS1_3genE10ELNS1_11target_archE1201ELNS1_3gpuE5ELNS1_3repE0EEENS1_30default_config_static_selectorELNS0_4arch9wavefront6targetE0EEEvT1_.num_agpr, 0
	.set _ZN7rocprim17ROCPRIM_400000_NS6detail17trampoline_kernelINS0_14default_configENS1_27scan_by_key_config_selectorIssEEZZNS1_16scan_by_key_implILNS1_25lookback_scan_determinismE0ELb0ES3_N6thrust23THRUST_200600_302600_NS6detail15normal_iteratorINS9_10device_ptrIsEEEESE_SE_sNS9_4plusIvEENS9_8equal_toIvEEsEE10hipError_tPvRmT2_T3_T4_T5_mT6_T7_P12ihipStream_tbENKUlT_T0_E_clISt17integral_constantIbLb1EESY_IbLb0EEEEDaSU_SV_EUlSU_E_NS1_11comp_targetILNS1_3genE10ELNS1_11target_archE1201ELNS1_3gpuE5ELNS1_3repE0EEENS1_30default_config_static_selectorELNS0_4arch9wavefront6targetE0EEEvT1_.numbered_sgpr, 0
	.set _ZN7rocprim17ROCPRIM_400000_NS6detail17trampoline_kernelINS0_14default_configENS1_27scan_by_key_config_selectorIssEEZZNS1_16scan_by_key_implILNS1_25lookback_scan_determinismE0ELb0ES3_N6thrust23THRUST_200600_302600_NS6detail15normal_iteratorINS9_10device_ptrIsEEEESE_SE_sNS9_4plusIvEENS9_8equal_toIvEEsEE10hipError_tPvRmT2_T3_T4_T5_mT6_T7_P12ihipStream_tbENKUlT_T0_E_clISt17integral_constantIbLb1EESY_IbLb0EEEEDaSU_SV_EUlSU_E_NS1_11comp_targetILNS1_3genE10ELNS1_11target_archE1201ELNS1_3gpuE5ELNS1_3repE0EEENS1_30default_config_static_selectorELNS0_4arch9wavefront6targetE0EEEvT1_.num_named_barrier, 0
	.set _ZN7rocprim17ROCPRIM_400000_NS6detail17trampoline_kernelINS0_14default_configENS1_27scan_by_key_config_selectorIssEEZZNS1_16scan_by_key_implILNS1_25lookback_scan_determinismE0ELb0ES3_N6thrust23THRUST_200600_302600_NS6detail15normal_iteratorINS9_10device_ptrIsEEEESE_SE_sNS9_4plusIvEENS9_8equal_toIvEEsEE10hipError_tPvRmT2_T3_T4_T5_mT6_T7_P12ihipStream_tbENKUlT_T0_E_clISt17integral_constantIbLb1EESY_IbLb0EEEEDaSU_SV_EUlSU_E_NS1_11comp_targetILNS1_3genE10ELNS1_11target_archE1201ELNS1_3gpuE5ELNS1_3repE0EEENS1_30default_config_static_selectorELNS0_4arch9wavefront6targetE0EEEvT1_.private_seg_size, 0
	.set _ZN7rocprim17ROCPRIM_400000_NS6detail17trampoline_kernelINS0_14default_configENS1_27scan_by_key_config_selectorIssEEZZNS1_16scan_by_key_implILNS1_25lookback_scan_determinismE0ELb0ES3_N6thrust23THRUST_200600_302600_NS6detail15normal_iteratorINS9_10device_ptrIsEEEESE_SE_sNS9_4plusIvEENS9_8equal_toIvEEsEE10hipError_tPvRmT2_T3_T4_T5_mT6_T7_P12ihipStream_tbENKUlT_T0_E_clISt17integral_constantIbLb1EESY_IbLb0EEEEDaSU_SV_EUlSU_E_NS1_11comp_targetILNS1_3genE10ELNS1_11target_archE1201ELNS1_3gpuE5ELNS1_3repE0EEENS1_30default_config_static_selectorELNS0_4arch9wavefront6targetE0EEEvT1_.uses_vcc, 0
	.set _ZN7rocprim17ROCPRIM_400000_NS6detail17trampoline_kernelINS0_14default_configENS1_27scan_by_key_config_selectorIssEEZZNS1_16scan_by_key_implILNS1_25lookback_scan_determinismE0ELb0ES3_N6thrust23THRUST_200600_302600_NS6detail15normal_iteratorINS9_10device_ptrIsEEEESE_SE_sNS9_4plusIvEENS9_8equal_toIvEEsEE10hipError_tPvRmT2_T3_T4_T5_mT6_T7_P12ihipStream_tbENKUlT_T0_E_clISt17integral_constantIbLb1EESY_IbLb0EEEEDaSU_SV_EUlSU_E_NS1_11comp_targetILNS1_3genE10ELNS1_11target_archE1201ELNS1_3gpuE5ELNS1_3repE0EEENS1_30default_config_static_selectorELNS0_4arch9wavefront6targetE0EEEvT1_.uses_flat_scratch, 0
	.set _ZN7rocprim17ROCPRIM_400000_NS6detail17trampoline_kernelINS0_14default_configENS1_27scan_by_key_config_selectorIssEEZZNS1_16scan_by_key_implILNS1_25lookback_scan_determinismE0ELb0ES3_N6thrust23THRUST_200600_302600_NS6detail15normal_iteratorINS9_10device_ptrIsEEEESE_SE_sNS9_4plusIvEENS9_8equal_toIvEEsEE10hipError_tPvRmT2_T3_T4_T5_mT6_T7_P12ihipStream_tbENKUlT_T0_E_clISt17integral_constantIbLb1EESY_IbLb0EEEEDaSU_SV_EUlSU_E_NS1_11comp_targetILNS1_3genE10ELNS1_11target_archE1201ELNS1_3gpuE5ELNS1_3repE0EEENS1_30default_config_static_selectorELNS0_4arch9wavefront6targetE0EEEvT1_.has_dyn_sized_stack, 0
	.set _ZN7rocprim17ROCPRIM_400000_NS6detail17trampoline_kernelINS0_14default_configENS1_27scan_by_key_config_selectorIssEEZZNS1_16scan_by_key_implILNS1_25lookback_scan_determinismE0ELb0ES3_N6thrust23THRUST_200600_302600_NS6detail15normal_iteratorINS9_10device_ptrIsEEEESE_SE_sNS9_4plusIvEENS9_8equal_toIvEEsEE10hipError_tPvRmT2_T3_T4_T5_mT6_T7_P12ihipStream_tbENKUlT_T0_E_clISt17integral_constantIbLb1EESY_IbLb0EEEEDaSU_SV_EUlSU_E_NS1_11comp_targetILNS1_3genE10ELNS1_11target_archE1201ELNS1_3gpuE5ELNS1_3repE0EEENS1_30default_config_static_selectorELNS0_4arch9wavefront6targetE0EEEvT1_.has_recursion, 0
	.set _ZN7rocprim17ROCPRIM_400000_NS6detail17trampoline_kernelINS0_14default_configENS1_27scan_by_key_config_selectorIssEEZZNS1_16scan_by_key_implILNS1_25lookback_scan_determinismE0ELb0ES3_N6thrust23THRUST_200600_302600_NS6detail15normal_iteratorINS9_10device_ptrIsEEEESE_SE_sNS9_4plusIvEENS9_8equal_toIvEEsEE10hipError_tPvRmT2_T3_T4_T5_mT6_T7_P12ihipStream_tbENKUlT_T0_E_clISt17integral_constantIbLb1EESY_IbLb0EEEEDaSU_SV_EUlSU_E_NS1_11comp_targetILNS1_3genE10ELNS1_11target_archE1201ELNS1_3gpuE5ELNS1_3repE0EEENS1_30default_config_static_selectorELNS0_4arch9wavefront6targetE0EEEvT1_.has_indirect_call, 0
	.section	.AMDGPU.csdata,"",@progbits
; Kernel info:
; codeLenInByte = 0
; TotalNumSgprs: 0
; NumVgprs: 0
; ScratchSize: 0
; MemoryBound: 0
; FloatMode: 240
; IeeeMode: 1
; LDSByteSize: 0 bytes/workgroup (compile time only)
; SGPRBlocks: 0
; VGPRBlocks: 0
; NumSGPRsForWavesPerEU: 1
; NumVGPRsForWavesPerEU: 1
; Occupancy: 16
; WaveLimiterHint : 0
; COMPUTE_PGM_RSRC2:SCRATCH_EN: 0
; COMPUTE_PGM_RSRC2:USER_SGPR: 6
; COMPUTE_PGM_RSRC2:TRAP_HANDLER: 0
; COMPUTE_PGM_RSRC2:TGID_X_EN: 1
; COMPUTE_PGM_RSRC2:TGID_Y_EN: 0
; COMPUTE_PGM_RSRC2:TGID_Z_EN: 0
; COMPUTE_PGM_RSRC2:TIDIG_COMP_CNT: 0
	.section	.text._ZN7rocprim17ROCPRIM_400000_NS6detail17trampoline_kernelINS0_14default_configENS1_27scan_by_key_config_selectorIssEEZZNS1_16scan_by_key_implILNS1_25lookback_scan_determinismE0ELb0ES3_N6thrust23THRUST_200600_302600_NS6detail15normal_iteratorINS9_10device_ptrIsEEEESE_SE_sNS9_4plusIvEENS9_8equal_toIvEEsEE10hipError_tPvRmT2_T3_T4_T5_mT6_T7_P12ihipStream_tbENKUlT_T0_E_clISt17integral_constantIbLb1EESY_IbLb0EEEEDaSU_SV_EUlSU_E_NS1_11comp_targetILNS1_3genE5ELNS1_11target_archE942ELNS1_3gpuE9ELNS1_3repE0EEENS1_30default_config_static_selectorELNS0_4arch9wavefront6targetE0EEEvT1_,"axG",@progbits,_ZN7rocprim17ROCPRIM_400000_NS6detail17trampoline_kernelINS0_14default_configENS1_27scan_by_key_config_selectorIssEEZZNS1_16scan_by_key_implILNS1_25lookback_scan_determinismE0ELb0ES3_N6thrust23THRUST_200600_302600_NS6detail15normal_iteratorINS9_10device_ptrIsEEEESE_SE_sNS9_4plusIvEENS9_8equal_toIvEEsEE10hipError_tPvRmT2_T3_T4_T5_mT6_T7_P12ihipStream_tbENKUlT_T0_E_clISt17integral_constantIbLb1EESY_IbLb0EEEEDaSU_SV_EUlSU_E_NS1_11comp_targetILNS1_3genE5ELNS1_11target_archE942ELNS1_3gpuE9ELNS1_3repE0EEENS1_30default_config_static_selectorELNS0_4arch9wavefront6targetE0EEEvT1_,comdat
	.protected	_ZN7rocprim17ROCPRIM_400000_NS6detail17trampoline_kernelINS0_14default_configENS1_27scan_by_key_config_selectorIssEEZZNS1_16scan_by_key_implILNS1_25lookback_scan_determinismE0ELb0ES3_N6thrust23THRUST_200600_302600_NS6detail15normal_iteratorINS9_10device_ptrIsEEEESE_SE_sNS9_4plusIvEENS9_8equal_toIvEEsEE10hipError_tPvRmT2_T3_T4_T5_mT6_T7_P12ihipStream_tbENKUlT_T0_E_clISt17integral_constantIbLb1EESY_IbLb0EEEEDaSU_SV_EUlSU_E_NS1_11comp_targetILNS1_3genE5ELNS1_11target_archE942ELNS1_3gpuE9ELNS1_3repE0EEENS1_30default_config_static_selectorELNS0_4arch9wavefront6targetE0EEEvT1_ ; -- Begin function _ZN7rocprim17ROCPRIM_400000_NS6detail17trampoline_kernelINS0_14default_configENS1_27scan_by_key_config_selectorIssEEZZNS1_16scan_by_key_implILNS1_25lookback_scan_determinismE0ELb0ES3_N6thrust23THRUST_200600_302600_NS6detail15normal_iteratorINS9_10device_ptrIsEEEESE_SE_sNS9_4plusIvEENS9_8equal_toIvEEsEE10hipError_tPvRmT2_T3_T4_T5_mT6_T7_P12ihipStream_tbENKUlT_T0_E_clISt17integral_constantIbLb1EESY_IbLb0EEEEDaSU_SV_EUlSU_E_NS1_11comp_targetILNS1_3genE5ELNS1_11target_archE942ELNS1_3gpuE9ELNS1_3repE0EEENS1_30default_config_static_selectorELNS0_4arch9wavefront6targetE0EEEvT1_
	.globl	_ZN7rocprim17ROCPRIM_400000_NS6detail17trampoline_kernelINS0_14default_configENS1_27scan_by_key_config_selectorIssEEZZNS1_16scan_by_key_implILNS1_25lookback_scan_determinismE0ELb0ES3_N6thrust23THRUST_200600_302600_NS6detail15normal_iteratorINS9_10device_ptrIsEEEESE_SE_sNS9_4plusIvEENS9_8equal_toIvEEsEE10hipError_tPvRmT2_T3_T4_T5_mT6_T7_P12ihipStream_tbENKUlT_T0_E_clISt17integral_constantIbLb1EESY_IbLb0EEEEDaSU_SV_EUlSU_E_NS1_11comp_targetILNS1_3genE5ELNS1_11target_archE942ELNS1_3gpuE9ELNS1_3repE0EEENS1_30default_config_static_selectorELNS0_4arch9wavefront6targetE0EEEvT1_
	.p2align	8
	.type	_ZN7rocprim17ROCPRIM_400000_NS6detail17trampoline_kernelINS0_14default_configENS1_27scan_by_key_config_selectorIssEEZZNS1_16scan_by_key_implILNS1_25lookback_scan_determinismE0ELb0ES3_N6thrust23THRUST_200600_302600_NS6detail15normal_iteratorINS9_10device_ptrIsEEEESE_SE_sNS9_4plusIvEENS9_8equal_toIvEEsEE10hipError_tPvRmT2_T3_T4_T5_mT6_T7_P12ihipStream_tbENKUlT_T0_E_clISt17integral_constantIbLb1EESY_IbLb0EEEEDaSU_SV_EUlSU_E_NS1_11comp_targetILNS1_3genE5ELNS1_11target_archE942ELNS1_3gpuE9ELNS1_3repE0EEENS1_30default_config_static_selectorELNS0_4arch9wavefront6targetE0EEEvT1_,@function
_ZN7rocprim17ROCPRIM_400000_NS6detail17trampoline_kernelINS0_14default_configENS1_27scan_by_key_config_selectorIssEEZZNS1_16scan_by_key_implILNS1_25lookback_scan_determinismE0ELb0ES3_N6thrust23THRUST_200600_302600_NS6detail15normal_iteratorINS9_10device_ptrIsEEEESE_SE_sNS9_4plusIvEENS9_8equal_toIvEEsEE10hipError_tPvRmT2_T3_T4_T5_mT6_T7_P12ihipStream_tbENKUlT_T0_E_clISt17integral_constantIbLb1EESY_IbLb0EEEEDaSU_SV_EUlSU_E_NS1_11comp_targetILNS1_3genE5ELNS1_11target_archE942ELNS1_3gpuE9ELNS1_3repE0EEENS1_30default_config_static_selectorELNS0_4arch9wavefront6targetE0EEEvT1_: ; @_ZN7rocprim17ROCPRIM_400000_NS6detail17trampoline_kernelINS0_14default_configENS1_27scan_by_key_config_selectorIssEEZZNS1_16scan_by_key_implILNS1_25lookback_scan_determinismE0ELb0ES3_N6thrust23THRUST_200600_302600_NS6detail15normal_iteratorINS9_10device_ptrIsEEEESE_SE_sNS9_4plusIvEENS9_8equal_toIvEEsEE10hipError_tPvRmT2_T3_T4_T5_mT6_T7_P12ihipStream_tbENKUlT_T0_E_clISt17integral_constantIbLb1EESY_IbLb0EEEEDaSU_SV_EUlSU_E_NS1_11comp_targetILNS1_3genE5ELNS1_11target_archE942ELNS1_3gpuE9ELNS1_3repE0EEENS1_30default_config_static_selectorELNS0_4arch9wavefront6targetE0EEEvT1_
; %bb.0:
	.section	.rodata,"a",@progbits
	.p2align	6, 0x0
	.amdhsa_kernel _ZN7rocprim17ROCPRIM_400000_NS6detail17trampoline_kernelINS0_14default_configENS1_27scan_by_key_config_selectorIssEEZZNS1_16scan_by_key_implILNS1_25lookback_scan_determinismE0ELb0ES3_N6thrust23THRUST_200600_302600_NS6detail15normal_iteratorINS9_10device_ptrIsEEEESE_SE_sNS9_4plusIvEENS9_8equal_toIvEEsEE10hipError_tPvRmT2_T3_T4_T5_mT6_T7_P12ihipStream_tbENKUlT_T0_E_clISt17integral_constantIbLb1EESY_IbLb0EEEEDaSU_SV_EUlSU_E_NS1_11comp_targetILNS1_3genE5ELNS1_11target_archE942ELNS1_3gpuE9ELNS1_3repE0EEENS1_30default_config_static_selectorELNS0_4arch9wavefront6targetE0EEEvT1_
		.amdhsa_group_segment_fixed_size 0
		.amdhsa_private_segment_fixed_size 0
		.amdhsa_kernarg_size 112
		.amdhsa_user_sgpr_count 6
		.amdhsa_user_sgpr_private_segment_buffer 1
		.amdhsa_user_sgpr_dispatch_ptr 0
		.amdhsa_user_sgpr_queue_ptr 0
		.amdhsa_user_sgpr_kernarg_segment_ptr 1
		.amdhsa_user_sgpr_dispatch_id 0
		.amdhsa_user_sgpr_flat_scratch_init 0
		.amdhsa_user_sgpr_private_segment_size 0
		.amdhsa_wavefront_size32 1
		.amdhsa_uses_dynamic_stack 0
		.amdhsa_system_sgpr_private_segment_wavefront_offset 0
		.amdhsa_system_sgpr_workgroup_id_x 1
		.amdhsa_system_sgpr_workgroup_id_y 0
		.amdhsa_system_sgpr_workgroup_id_z 0
		.amdhsa_system_sgpr_workgroup_info 0
		.amdhsa_system_vgpr_workitem_id 0
		.amdhsa_next_free_vgpr 1
		.amdhsa_next_free_sgpr 1
		.amdhsa_reserve_vcc 0
		.amdhsa_reserve_flat_scratch 0
		.amdhsa_float_round_mode_32 0
		.amdhsa_float_round_mode_16_64 0
		.amdhsa_float_denorm_mode_32 3
		.amdhsa_float_denorm_mode_16_64 3
		.amdhsa_dx10_clamp 1
		.amdhsa_ieee_mode 1
		.amdhsa_fp16_overflow 0
		.amdhsa_workgroup_processor_mode 1
		.amdhsa_memory_ordered 1
		.amdhsa_forward_progress 1
		.amdhsa_shared_vgpr_count 0
		.amdhsa_exception_fp_ieee_invalid_op 0
		.amdhsa_exception_fp_denorm_src 0
		.amdhsa_exception_fp_ieee_div_zero 0
		.amdhsa_exception_fp_ieee_overflow 0
		.amdhsa_exception_fp_ieee_underflow 0
		.amdhsa_exception_fp_ieee_inexact 0
		.amdhsa_exception_int_div_zero 0
	.end_amdhsa_kernel
	.section	.text._ZN7rocprim17ROCPRIM_400000_NS6detail17trampoline_kernelINS0_14default_configENS1_27scan_by_key_config_selectorIssEEZZNS1_16scan_by_key_implILNS1_25lookback_scan_determinismE0ELb0ES3_N6thrust23THRUST_200600_302600_NS6detail15normal_iteratorINS9_10device_ptrIsEEEESE_SE_sNS9_4plusIvEENS9_8equal_toIvEEsEE10hipError_tPvRmT2_T3_T4_T5_mT6_T7_P12ihipStream_tbENKUlT_T0_E_clISt17integral_constantIbLb1EESY_IbLb0EEEEDaSU_SV_EUlSU_E_NS1_11comp_targetILNS1_3genE5ELNS1_11target_archE942ELNS1_3gpuE9ELNS1_3repE0EEENS1_30default_config_static_selectorELNS0_4arch9wavefront6targetE0EEEvT1_,"axG",@progbits,_ZN7rocprim17ROCPRIM_400000_NS6detail17trampoline_kernelINS0_14default_configENS1_27scan_by_key_config_selectorIssEEZZNS1_16scan_by_key_implILNS1_25lookback_scan_determinismE0ELb0ES3_N6thrust23THRUST_200600_302600_NS6detail15normal_iteratorINS9_10device_ptrIsEEEESE_SE_sNS9_4plusIvEENS9_8equal_toIvEEsEE10hipError_tPvRmT2_T3_T4_T5_mT6_T7_P12ihipStream_tbENKUlT_T0_E_clISt17integral_constantIbLb1EESY_IbLb0EEEEDaSU_SV_EUlSU_E_NS1_11comp_targetILNS1_3genE5ELNS1_11target_archE942ELNS1_3gpuE9ELNS1_3repE0EEENS1_30default_config_static_selectorELNS0_4arch9wavefront6targetE0EEEvT1_,comdat
.Lfunc_end263:
	.size	_ZN7rocprim17ROCPRIM_400000_NS6detail17trampoline_kernelINS0_14default_configENS1_27scan_by_key_config_selectorIssEEZZNS1_16scan_by_key_implILNS1_25lookback_scan_determinismE0ELb0ES3_N6thrust23THRUST_200600_302600_NS6detail15normal_iteratorINS9_10device_ptrIsEEEESE_SE_sNS9_4plusIvEENS9_8equal_toIvEEsEE10hipError_tPvRmT2_T3_T4_T5_mT6_T7_P12ihipStream_tbENKUlT_T0_E_clISt17integral_constantIbLb1EESY_IbLb0EEEEDaSU_SV_EUlSU_E_NS1_11comp_targetILNS1_3genE5ELNS1_11target_archE942ELNS1_3gpuE9ELNS1_3repE0EEENS1_30default_config_static_selectorELNS0_4arch9wavefront6targetE0EEEvT1_, .Lfunc_end263-_ZN7rocprim17ROCPRIM_400000_NS6detail17trampoline_kernelINS0_14default_configENS1_27scan_by_key_config_selectorIssEEZZNS1_16scan_by_key_implILNS1_25lookback_scan_determinismE0ELb0ES3_N6thrust23THRUST_200600_302600_NS6detail15normal_iteratorINS9_10device_ptrIsEEEESE_SE_sNS9_4plusIvEENS9_8equal_toIvEEsEE10hipError_tPvRmT2_T3_T4_T5_mT6_T7_P12ihipStream_tbENKUlT_T0_E_clISt17integral_constantIbLb1EESY_IbLb0EEEEDaSU_SV_EUlSU_E_NS1_11comp_targetILNS1_3genE5ELNS1_11target_archE942ELNS1_3gpuE9ELNS1_3repE0EEENS1_30default_config_static_selectorELNS0_4arch9wavefront6targetE0EEEvT1_
                                        ; -- End function
	.set _ZN7rocprim17ROCPRIM_400000_NS6detail17trampoline_kernelINS0_14default_configENS1_27scan_by_key_config_selectorIssEEZZNS1_16scan_by_key_implILNS1_25lookback_scan_determinismE0ELb0ES3_N6thrust23THRUST_200600_302600_NS6detail15normal_iteratorINS9_10device_ptrIsEEEESE_SE_sNS9_4plusIvEENS9_8equal_toIvEEsEE10hipError_tPvRmT2_T3_T4_T5_mT6_T7_P12ihipStream_tbENKUlT_T0_E_clISt17integral_constantIbLb1EESY_IbLb0EEEEDaSU_SV_EUlSU_E_NS1_11comp_targetILNS1_3genE5ELNS1_11target_archE942ELNS1_3gpuE9ELNS1_3repE0EEENS1_30default_config_static_selectorELNS0_4arch9wavefront6targetE0EEEvT1_.num_vgpr, 0
	.set _ZN7rocprim17ROCPRIM_400000_NS6detail17trampoline_kernelINS0_14default_configENS1_27scan_by_key_config_selectorIssEEZZNS1_16scan_by_key_implILNS1_25lookback_scan_determinismE0ELb0ES3_N6thrust23THRUST_200600_302600_NS6detail15normal_iteratorINS9_10device_ptrIsEEEESE_SE_sNS9_4plusIvEENS9_8equal_toIvEEsEE10hipError_tPvRmT2_T3_T4_T5_mT6_T7_P12ihipStream_tbENKUlT_T0_E_clISt17integral_constantIbLb1EESY_IbLb0EEEEDaSU_SV_EUlSU_E_NS1_11comp_targetILNS1_3genE5ELNS1_11target_archE942ELNS1_3gpuE9ELNS1_3repE0EEENS1_30default_config_static_selectorELNS0_4arch9wavefront6targetE0EEEvT1_.num_agpr, 0
	.set _ZN7rocprim17ROCPRIM_400000_NS6detail17trampoline_kernelINS0_14default_configENS1_27scan_by_key_config_selectorIssEEZZNS1_16scan_by_key_implILNS1_25lookback_scan_determinismE0ELb0ES3_N6thrust23THRUST_200600_302600_NS6detail15normal_iteratorINS9_10device_ptrIsEEEESE_SE_sNS9_4plusIvEENS9_8equal_toIvEEsEE10hipError_tPvRmT2_T3_T4_T5_mT6_T7_P12ihipStream_tbENKUlT_T0_E_clISt17integral_constantIbLb1EESY_IbLb0EEEEDaSU_SV_EUlSU_E_NS1_11comp_targetILNS1_3genE5ELNS1_11target_archE942ELNS1_3gpuE9ELNS1_3repE0EEENS1_30default_config_static_selectorELNS0_4arch9wavefront6targetE0EEEvT1_.numbered_sgpr, 0
	.set _ZN7rocprim17ROCPRIM_400000_NS6detail17trampoline_kernelINS0_14default_configENS1_27scan_by_key_config_selectorIssEEZZNS1_16scan_by_key_implILNS1_25lookback_scan_determinismE0ELb0ES3_N6thrust23THRUST_200600_302600_NS6detail15normal_iteratorINS9_10device_ptrIsEEEESE_SE_sNS9_4plusIvEENS9_8equal_toIvEEsEE10hipError_tPvRmT2_T3_T4_T5_mT6_T7_P12ihipStream_tbENKUlT_T0_E_clISt17integral_constantIbLb1EESY_IbLb0EEEEDaSU_SV_EUlSU_E_NS1_11comp_targetILNS1_3genE5ELNS1_11target_archE942ELNS1_3gpuE9ELNS1_3repE0EEENS1_30default_config_static_selectorELNS0_4arch9wavefront6targetE0EEEvT1_.num_named_barrier, 0
	.set _ZN7rocprim17ROCPRIM_400000_NS6detail17trampoline_kernelINS0_14default_configENS1_27scan_by_key_config_selectorIssEEZZNS1_16scan_by_key_implILNS1_25lookback_scan_determinismE0ELb0ES3_N6thrust23THRUST_200600_302600_NS6detail15normal_iteratorINS9_10device_ptrIsEEEESE_SE_sNS9_4plusIvEENS9_8equal_toIvEEsEE10hipError_tPvRmT2_T3_T4_T5_mT6_T7_P12ihipStream_tbENKUlT_T0_E_clISt17integral_constantIbLb1EESY_IbLb0EEEEDaSU_SV_EUlSU_E_NS1_11comp_targetILNS1_3genE5ELNS1_11target_archE942ELNS1_3gpuE9ELNS1_3repE0EEENS1_30default_config_static_selectorELNS0_4arch9wavefront6targetE0EEEvT1_.private_seg_size, 0
	.set _ZN7rocprim17ROCPRIM_400000_NS6detail17trampoline_kernelINS0_14default_configENS1_27scan_by_key_config_selectorIssEEZZNS1_16scan_by_key_implILNS1_25lookback_scan_determinismE0ELb0ES3_N6thrust23THRUST_200600_302600_NS6detail15normal_iteratorINS9_10device_ptrIsEEEESE_SE_sNS9_4plusIvEENS9_8equal_toIvEEsEE10hipError_tPvRmT2_T3_T4_T5_mT6_T7_P12ihipStream_tbENKUlT_T0_E_clISt17integral_constantIbLb1EESY_IbLb0EEEEDaSU_SV_EUlSU_E_NS1_11comp_targetILNS1_3genE5ELNS1_11target_archE942ELNS1_3gpuE9ELNS1_3repE0EEENS1_30default_config_static_selectorELNS0_4arch9wavefront6targetE0EEEvT1_.uses_vcc, 0
	.set _ZN7rocprim17ROCPRIM_400000_NS6detail17trampoline_kernelINS0_14default_configENS1_27scan_by_key_config_selectorIssEEZZNS1_16scan_by_key_implILNS1_25lookback_scan_determinismE0ELb0ES3_N6thrust23THRUST_200600_302600_NS6detail15normal_iteratorINS9_10device_ptrIsEEEESE_SE_sNS9_4plusIvEENS9_8equal_toIvEEsEE10hipError_tPvRmT2_T3_T4_T5_mT6_T7_P12ihipStream_tbENKUlT_T0_E_clISt17integral_constantIbLb1EESY_IbLb0EEEEDaSU_SV_EUlSU_E_NS1_11comp_targetILNS1_3genE5ELNS1_11target_archE942ELNS1_3gpuE9ELNS1_3repE0EEENS1_30default_config_static_selectorELNS0_4arch9wavefront6targetE0EEEvT1_.uses_flat_scratch, 0
	.set _ZN7rocprim17ROCPRIM_400000_NS6detail17trampoline_kernelINS0_14default_configENS1_27scan_by_key_config_selectorIssEEZZNS1_16scan_by_key_implILNS1_25lookback_scan_determinismE0ELb0ES3_N6thrust23THRUST_200600_302600_NS6detail15normal_iteratorINS9_10device_ptrIsEEEESE_SE_sNS9_4plusIvEENS9_8equal_toIvEEsEE10hipError_tPvRmT2_T3_T4_T5_mT6_T7_P12ihipStream_tbENKUlT_T0_E_clISt17integral_constantIbLb1EESY_IbLb0EEEEDaSU_SV_EUlSU_E_NS1_11comp_targetILNS1_3genE5ELNS1_11target_archE942ELNS1_3gpuE9ELNS1_3repE0EEENS1_30default_config_static_selectorELNS0_4arch9wavefront6targetE0EEEvT1_.has_dyn_sized_stack, 0
	.set _ZN7rocprim17ROCPRIM_400000_NS6detail17trampoline_kernelINS0_14default_configENS1_27scan_by_key_config_selectorIssEEZZNS1_16scan_by_key_implILNS1_25lookback_scan_determinismE0ELb0ES3_N6thrust23THRUST_200600_302600_NS6detail15normal_iteratorINS9_10device_ptrIsEEEESE_SE_sNS9_4plusIvEENS9_8equal_toIvEEsEE10hipError_tPvRmT2_T3_T4_T5_mT6_T7_P12ihipStream_tbENKUlT_T0_E_clISt17integral_constantIbLb1EESY_IbLb0EEEEDaSU_SV_EUlSU_E_NS1_11comp_targetILNS1_3genE5ELNS1_11target_archE942ELNS1_3gpuE9ELNS1_3repE0EEENS1_30default_config_static_selectorELNS0_4arch9wavefront6targetE0EEEvT1_.has_recursion, 0
	.set _ZN7rocprim17ROCPRIM_400000_NS6detail17trampoline_kernelINS0_14default_configENS1_27scan_by_key_config_selectorIssEEZZNS1_16scan_by_key_implILNS1_25lookback_scan_determinismE0ELb0ES3_N6thrust23THRUST_200600_302600_NS6detail15normal_iteratorINS9_10device_ptrIsEEEESE_SE_sNS9_4plusIvEENS9_8equal_toIvEEsEE10hipError_tPvRmT2_T3_T4_T5_mT6_T7_P12ihipStream_tbENKUlT_T0_E_clISt17integral_constantIbLb1EESY_IbLb0EEEEDaSU_SV_EUlSU_E_NS1_11comp_targetILNS1_3genE5ELNS1_11target_archE942ELNS1_3gpuE9ELNS1_3repE0EEENS1_30default_config_static_selectorELNS0_4arch9wavefront6targetE0EEEvT1_.has_indirect_call, 0
	.section	.AMDGPU.csdata,"",@progbits
; Kernel info:
; codeLenInByte = 0
; TotalNumSgprs: 0
; NumVgprs: 0
; ScratchSize: 0
; MemoryBound: 0
; FloatMode: 240
; IeeeMode: 1
; LDSByteSize: 0 bytes/workgroup (compile time only)
; SGPRBlocks: 0
; VGPRBlocks: 0
; NumSGPRsForWavesPerEU: 1
; NumVGPRsForWavesPerEU: 1
; Occupancy: 16
; WaveLimiterHint : 0
; COMPUTE_PGM_RSRC2:SCRATCH_EN: 0
; COMPUTE_PGM_RSRC2:USER_SGPR: 6
; COMPUTE_PGM_RSRC2:TRAP_HANDLER: 0
; COMPUTE_PGM_RSRC2:TGID_X_EN: 1
; COMPUTE_PGM_RSRC2:TGID_Y_EN: 0
; COMPUTE_PGM_RSRC2:TGID_Z_EN: 0
; COMPUTE_PGM_RSRC2:TIDIG_COMP_CNT: 0
	.section	.text._ZN7rocprim17ROCPRIM_400000_NS6detail17trampoline_kernelINS0_14default_configENS1_27scan_by_key_config_selectorIssEEZZNS1_16scan_by_key_implILNS1_25lookback_scan_determinismE0ELb0ES3_N6thrust23THRUST_200600_302600_NS6detail15normal_iteratorINS9_10device_ptrIsEEEESE_SE_sNS9_4plusIvEENS9_8equal_toIvEEsEE10hipError_tPvRmT2_T3_T4_T5_mT6_T7_P12ihipStream_tbENKUlT_T0_E_clISt17integral_constantIbLb1EESY_IbLb0EEEEDaSU_SV_EUlSU_E_NS1_11comp_targetILNS1_3genE4ELNS1_11target_archE910ELNS1_3gpuE8ELNS1_3repE0EEENS1_30default_config_static_selectorELNS0_4arch9wavefront6targetE0EEEvT1_,"axG",@progbits,_ZN7rocprim17ROCPRIM_400000_NS6detail17trampoline_kernelINS0_14default_configENS1_27scan_by_key_config_selectorIssEEZZNS1_16scan_by_key_implILNS1_25lookback_scan_determinismE0ELb0ES3_N6thrust23THRUST_200600_302600_NS6detail15normal_iteratorINS9_10device_ptrIsEEEESE_SE_sNS9_4plusIvEENS9_8equal_toIvEEsEE10hipError_tPvRmT2_T3_T4_T5_mT6_T7_P12ihipStream_tbENKUlT_T0_E_clISt17integral_constantIbLb1EESY_IbLb0EEEEDaSU_SV_EUlSU_E_NS1_11comp_targetILNS1_3genE4ELNS1_11target_archE910ELNS1_3gpuE8ELNS1_3repE0EEENS1_30default_config_static_selectorELNS0_4arch9wavefront6targetE0EEEvT1_,comdat
	.protected	_ZN7rocprim17ROCPRIM_400000_NS6detail17trampoline_kernelINS0_14default_configENS1_27scan_by_key_config_selectorIssEEZZNS1_16scan_by_key_implILNS1_25lookback_scan_determinismE0ELb0ES3_N6thrust23THRUST_200600_302600_NS6detail15normal_iteratorINS9_10device_ptrIsEEEESE_SE_sNS9_4plusIvEENS9_8equal_toIvEEsEE10hipError_tPvRmT2_T3_T4_T5_mT6_T7_P12ihipStream_tbENKUlT_T0_E_clISt17integral_constantIbLb1EESY_IbLb0EEEEDaSU_SV_EUlSU_E_NS1_11comp_targetILNS1_3genE4ELNS1_11target_archE910ELNS1_3gpuE8ELNS1_3repE0EEENS1_30default_config_static_selectorELNS0_4arch9wavefront6targetE0EEEvT1_ ; -- Begin function _ZN7rocprim17ROCPRIM_400000_NS6detail17trampoline_kernelINS0_14default_configENS1_27scan_by_key_config_selectorIssEEZZNS1_16scan_by_key_implILNS1_25lookback_scan_determinismE0ELb0ES3_N6thrust23THRUST_200600_302600_NS6detail15normal_iteratorINS9_10device_ptrIsEEEESE_SE_sNS9_4plusIvEENS9_8equal_toIvEEsEE10hipError_tPvRmT2_T3_T4_T5_mT6_T7_P12ihipStream_tbENKUlT_T0_E_clISt17integral_constantIbLb1EESY_IbLb0EEEEDaSU_SV_EUlSU_E_NS1_11comp_targetILNS1_3genE4ELNS1_11target_archE910ELNS1_3gpuE8ELNS1_3repE0EEENS1_30default_config_static_selectorELNS0_4arch9wavefront6targetE0EEEvT1_
	.globl	_ZN7rocprim17ROCPRIM_400000_NS6detail17trampoline_kernelINS0_14default_configENS1_27scan_by_key_config_selectorIssEEZZNS1_16scan_by_key_implILNS1_25lookback_scan_determinismE0ELb0ES3_N6thrust23THRUST_200600_302600_NS6detail15normal_iteratorINS9_10device_ptrIsEEEESE_SE_sNS9_4plusIvEENS9_8equal_toIvEEsEE10hipError_tPvRmT2_T3_T4_T5_mT6_T7_P12ihipStream_tbENKUlT_T0_E_clISt17integral_constantIbLb1EESY_IbLb0EEEEDaSU_SV_EUlSU_E_NS1_11comp_targetILNS1_3genE4ELNS1_11target_archE910ELNS1_3gpuE8ELNS1_3repE0EEENS1_30default_config_static_selectorELNS0_4arch9wavefront6targetE0EEEvT1_
	.p2align	8
	.type	_ZN7rocprim17ROCPRIM_400000_NS6detail17trampoline_kernelINS0_14default_configENS1_27scan_by_key_config_selectorIssEEZZNS1_16scan_by_key_implILNS1_25lookback_scan_determinismE0ELb0ES3_N6thrust23THRUST_200600_302600_NS6detail15normal_iteratorINS9_10device_ptrIsEEEESE_SE_sNS9_4plusIvEENS9_8equal_toIvEEsEE10hipError_tPvRmT2_T3_T4_T5_mT6_T7_P12ihipStream_tbENKUlT_T0_E_clISt17integral_constantIbLb1EESY_IbLb0EEEEDaSU_SV_EUlSU_E_NS1_11comp_targetILNS1_3genE4ELNS1_11target_archE910ELNS1_3gpuE8ELNS1_3repE0EEENS1_30default_config_static_selectorELNS0_4arch9wavefront6targetE0EEEvT1_,@function
_ZN7rocprim17ROCPRIM_400000_NS6detail17trampoline_kernelINS0_14default_configENS1_27scan_by_key_config_selectorIssEEZZNS1_16scan_by_key_implILNS1_25lookback_scan_determinismE0ELb0ES3_N6thrust23THRUST_200600_302600_NS6detail15normal_iteratorINS9_10device_ptrIsEEEESE_SE_sNS9_4plusIvEENS9_8equal_toIvEEsEE10hipError_tPvRmT2_T3_T4_T5_mT6_T7_P12ihipStream_tbENKUlT_T0_E_clISt17integral_constantIbLb1EESY_IbLb0EEEEDaSU_SV_EUlSU_E_NS1_11comp_targetILNS1_3genE4ELNS1_11target_archE910ELNS1_3gpuE8ELNS1_3repE0EEENS1_30default_config_static_selectorELNS0_4arch9wavefront6targetE0EEEvT1_: ; @_ZN7rocprim17ROCPRIM_400000_NS6detail17trampoline_kernelINS0_14default_configENS1_27scan_by_key_config_selectorIssEEZZNS1_16scan_by_key_implILNS1_25lookback_scan_determinismE0ELb0ES3_N6thrust23THRUST_200600_302600_NS6detail15normal_iteratorINS9_10device_ptrIsEEEESE_SE_sNS9_4plusIvEENS9_8equal_toIvEEsEE10hipError_tPvRmT2_T3_T4_T5_mT6_T7_P12ihipStream_tbENKUlT_T0_E_clISt17integral_constantIbLb1EESY_IbLb0EEEEDaSU_SV_EUlSU_E_NS1_11comp_targetILNS1_3genE4ELNS1_11target_archE910ELNS1_3gpuE8ELNS1_3repE0EEENS1_30default_config_static_selectorELNS0_4arch9wavefront6targetE0EEEvT1_
; %bb.0:
	.section	.rodata,"a",@progbits
	.p2align	6, 0x0
	.amdhsa_kernel _ZN7rocprim17ROCPRIM_400000_NS6detail17trampoline_kernelINS0_14default_configENS1_27scan_by_key_config_selectorIssEEZZNS1_16scan_by_key_implILNS1_25lookback_scan_determinismE0ELb0ES3_N6thrust23THRUST_200600_302600_NS6detail15normal_iteratorINS9_10device_ptrIsEEEESE_SE_sNS9_4plusIvEENS9_8equal_toIvEEsEE10hipError_tPvRmT2_T3_T4_T5_mT6_T7_P12ihipStream_tbENKUlT_T0_E_clISt17integral_constantIbLb1EESY_IbLb0EEEEDaSU_SV_EUlSU_E_NS1_11comp_targetILNS1_3genE4ELNS1_11target_archE910ELNS1_3gpuE8ELNS1_3repE0EEENS1_30default_config_static_selectorELNS0_4arch9wavefront6targetE0EEEvT1_
		.amdhsa_group_segment_fixed_size 0
		.amdhsa_private_segment_fixed_size 0
		.amdhsa_kernarg_size 112
		.amdhsa_user_sgpr_count 6
		.amdhsa_user_sgpr_private_segment_buffer 1
		.amdhsa_user_sgpr_dispatch_ptr 0
		.amdhsa_user_sgpr_queue_ptr 0
		.amdhsa_user_sgpr_kernarg_segment_ptr 1
		.amdhsa_user_sgpr_dispatch_id 0
		.amdhsa_user_sgpr_flat_scratch_init 0
		.amdhsa_user_sgpr_private_segment_size 0
		.amdhsa_wavefront_size32 1
		.amdhsa_uses_dynamic_stack 0
		.amdhsa_system_sgpr_private_segment_wavefront_offset 0
		.amdhsa_system_sgpr_workgroup_id_x 1
		.amdhsa_system_sgpr_workgroup_id_y 0
		.amdhsa_system_sgpr_workgroup_id_z 0
		.amdhsa_system_sgpr_workgroup_info 0
		.amdhsa_system_vgpr_workitem_id 0
		.amdhsa_next_free_vgpr 1
		.amdhsa_next_free_sgpr 1
		.amdhsa_reserve_vcc 0
		.amdhsa_reserve_flat_scratch 0
		.amdhsa_float_round_mode_32 0
		.amdhsa_float_round_mode_16_64 0
		.amdhsa_float_denorm_mode_32 3
		.amdhsa_float_denorm_mode_16_64 3
		.amdhsa_dx10_clamp 1
		.amdhsa_ieee_mode 1
		.amdhsa_fp16_overflow 0
		.amdhsa_workgroup_processor_mode 1
		.amdhsa_memory_ordered 1
		.amdhsa_forward_progress 1
		.amdhsa_shared_vgpr_count 0
		.amdhsa_exception_fp_ieee_invalid_op 0
		.amdhsa_exception_fp_denorm_src 0
		.amdhsa_exception_fp_ieee_div_zero 0
		.amdhsa_exception_fp_ieee_overflow 0
		.amdhsa_exception_fp_ieee_underflow 0
		.amdhsa_exception_fp_ieee_inexact 0
		.amdhsa_exception_int_div_zero 0
	.end_amdhsa_kernel
	.section	.text._ZN7rocprim17ROCPRIM_400000_NS6detail17trampoline_kernelINS0_14default_configENS1_27scan_by_key_config_selectorIssEEZZNS1_16scan_by_key_implILNS1_25lookback_scan_determinismE0ELb0ES3_N6thrust23THRUST_200600_302600_NS6detail15normal_iteratorINS9_10device_ptrIsEEEESE_SE_sNS9_4plusIvEENS9_8equal_toIvEEsEE10hipError_tPvRmT2_T3_T4_T5_mT6_T7_P12ihipStream_tbENKUlT_T0_E_clISt17integral_constantIbLb1EESY_IbLb0EEEEDaSU_SV_EUlSU_E_NS1_11comp_targetILNS1_3genE4ELNS1_11target_archE910ELNS1_3gpuE8ELNS1_3repE0EEENS1_30default_config_static_selectorELNS0_4arch9wavefront6targetE0EEEvT1_,"axG",@progbits,_ZN7rocprim17ROCPRIM_400000_NS6detail17trampoline_kernelINS0_14default_configENS1_27scan_by_key_config_selectorIssEEZZNS1_16scan_by_key_implILNS1_25lookback_scan_determinismE0ELb0ES3_N6thrust23THRUST_200600_302600_NS6detail15normal_iteratorINS9_10device_ptrIsEEEESE_SE_sNS9_4plusIvEENS9_8equal_toIvEEsEE10hipError_tPvRmT2_T3_T4_T5_mT6_T7_P12ihipStream_tbENKUlT_T0_E_clISt17integral_constantIbLb1EESY_IbLb0EEEEDaSU_SV_EUlSU_E_NS1_11comp_targetILNS1_3genE4ELNS1_11target_archE910ELNS1_3gpuE8ELNS1_3repE0EEENS1_30default_config_static_selectorELNS0_4arch9wavefront6targetE0EEEvT1_,comdat
.Lfunc_end264:
	.size	_ZN7rocprim17ROCPRIM_400000_NS6detail17trampoline_kernelINS0_14default_configENS1_27scan_by_key_config_selectorIssEEZZNS1_16scan_by_key_implILNS1_25lookback_scan_determinismE0ELb0ES3_N6thrust23THRUST_200600_302600_NS6detail15normal_iteratorINS9_10device_ptrIsEEEESE_SE_sNS9_4plusIvEENS9_8equal_toIvEEsEE10hipError_tPvRmT2_T3_T4_T5_mT6_T7_P12ihipStream_tbENKUlT_T0_E_clISt17integral_constantIbLb1EESY_IbLb0EEEEDaSU_SV_EUlSU_E_NS1_11comp_targetILNS1_3genE4ELNS1_11target_archE910ELNS1_3gpuE8ELNS1_3repE0EEENS1_30default_config_static_selectorELNS0_4arch9wavefront6targetE0EEEvT1_, .Lfunc_end264-_ZN7rocprim17ROCPRIM_400000_NS6detail17trampoline_kernelINS0_14default_configENS1_27scan_by_key_config_selectorIssEEZZNS1_16scan_by_key_implILNS1_25lookback_scan_determinismE0ELb0ES3_N6thrust23THRUST_200600_302600_NS6detail15normal_iteratorINS9_10device_ptrIsEEEESE_SE_sNS9_4plusIvEENS9_8equal_toIvEEsEE10hipError_tPvRmT2_T3_T4_T5_mT6_T7_P12ihipStream_tbENKUlT_T0_E_clISt17integral_constantIbLb1EESY_IbLb0EEEEDaSU_SV_EUlSU_E_NS1_11comp_targetILNS1_3genE4ELNS1_11target_archE910ELNS1_3gpuE8ELNS1_3repE0EEENS1_30default_config_static_selectorELNS0_4arch9wavefront6targetE0EEEvT1_
                                        ; -- End function
	.set _ZN7rocprim17ROCPRIM_400000_NS6detail17trampoline_kernelINS0_14default_configENS1_27scan_by_key_config_selectorIssEEZZNS1_16scan_by_key_implILNS1_25lookback_scan_determinismE0ELb0ES3_N6thrust23THRUST_200600_302600_NS6detail15normal_iteratorINS9_10device_ptrIsEEEESE_SE_sNS9_4plusIvEENS9_8equal_toIvEEsEE10hipError_tPvRmT2_T3_T4_T5_mT6_T7_P12ihipStream_tbENKUlT_T0_E_clISt17integral_constantIbLb1EESY_IbLb0EEEEDaSU_SV_EUlSU_E_NS1_11comp_targetILNS1_3genE4ELNS1_11target_archE910ELNS1_3gpuE8ELNS1_3repE0EEENS1_30default_config_static_selectorELNS0_4arch9wavefront6targetE0EEEvT1_.num_vgpr, 0
	.set _ZN7rocprim17ROCPRIM_400000_NS6detail17trampoline_kernelINS0_14default_configENS1_27scan_by_key_config_selectorIssEEZZNS1_16scan_by_key_implILNS1_25lookback_scan_determinismE0ELb0ES3_N6thrust23THRUST_200600_302600_NS6detail15normal_iteratorINS9_10device_ptrIsEEEESE_SE_sNS9_4plusIvEENS9_8equal_toIvEEsEE10hipError_tPvRmT2_T3_T4_T5_mT6_T7_P12ihipStream_tbENKUlT_T0_E_clISt17integral_constantIbLb1EESY_IbLb0EEEEDaSU_SV_EUlSU_E_NS1_11comp_targetILNS1_3genE4ELNS1_11target_archE910ELNS1_3gpuE8ELNS1_3repE0EEENS1_30default_config_static_selectorELNS0_4arch9wavefront6targetE0EEEvT1_.num_agpr, 0
	.set _ZN7rocprim17ROCPRIM_400000_NS6detail17trampoline_kernelINS0_14default_configENS1_27scan_by_key_config_selectorIssEEZZNS1_16scan_by_key_implILNS1_25lookback_scan_determinismE0ELb0ES3_N6thrust23THRUST_200600_302600_NS6detail15normal_iteratorINS9_10device_ptrIsEEEESE_SE_sNS9_4plusIvEENS9_8equal_toIvEEsEE10hipError_tPvRmT2_T3_T4_T5_mT6_T7_P12ihipStream_tbENKUlT_T0_E_clISt17integral_constantIbLb1EESY_IbLb0EEEEDaSU_SV_EUlSU_E_NS1_11comp_targetILNS1_3genE4ELNS1_11target_archE910ELNS1_3gpuE8ELNS1_3repE0EEENS1_30default_config_static_selectorELNS0_4arch9wavefront6targetE0EEEvT1_.numbered_sgpr, 0
	.set _ZN7rocprim17ROCPRIM_400000_NS6detail17trampoline_kernelINS0_14default_configENS1_27scan_by_key_config_selectorIssEEZZNS1_16scan_by_key_implILNS1_25lookback_scan_determinismE0ELb0ES3_N6thrust23THRUST_200600_302600_NS6detail15normal_iteratorINS9_10device_ptrIsEEEESE_SE_sNS9_4plusIvEENS9_8equal_toIvEEsEE10hipError_tPvRmT2_T3_T4_T5_mT6_T7_P12ihipStream_tbENKUlT_T0_E_clISt17integral_constantIbLb1EESY_IbLb0EEEEDaSU_SV_EUlSU_E_NS1_11comp_targetILNS1_3genE4ELNS1_11target_archE910ELNS1_3gpuE8ELNS1_3repE0EEENS1_30default_config_static_selectorELNS0_4arch9wavefront6targetE0EEEvT1_.num_named_barrier, 0
	.set _ZN7rocprim17ROCPRIM_400000_NS6detail17trampoline_kernelINS0_14default_configENS1_27scan_by_key_config_selectorIssEEZZNS1_16scan_by_key_implILNS1_25lookback_scan_determinismE0ELb0ES3_N6thrust23THRUST_200600_302600_NS6detail15normal_iteratorINS9_10device_ptrIsEEEESE_SE_sNS9_4plusIvEENS9_8equal_toIvEEsEE10hipError_tPvRmT2_T3_T4_T5_mT6_T7_P12ihipStream_tbENKUlT_T0_E_clISt17integral_constantIbLb1EESY_IbLb0EEEEDaSU_SV_EUlSU_E_NS1_11comp_targetILNS1_3genE4ELNS1_11target_archE910ELNS1_3gpuE8ELNS1_3repE0EEENS1_30default_config_static_selectorELNS0_4arch9wavefront6targetE0EEEvT1_.private_seg_size, 0
	.set _ZN7rocprim17ROCPRIM_400000_NS6detail17trampoline_kernelINS0_14default_configENS1_27scan_by_key_config_selectorIssEEZZNS1_16scan_by_key_implILNS1_25lookback_scan_determinismE0ELb0ES3_N6thrust23THRUST_200600_302600_NS6detail15normal_iteratorINS9_10device_ptrIsEEEESE_SE_sNS9_4plusIvEENS9_8equal_toIvEEsEE10hipError_tPvRmT2_T3_T4_T5_mT6_T7_P12ihipStream_tbENKUlT_T0_E_clISt17integral_constantIbLb1EESY_IbLb0EEEEDaSU_SV_EUlSU_E_NS1_11comp_targetILNS1_3genE4ELNS1_11target_archE910ELNS1_3gpuE8ELNS1_3repE0EEENS1_30default_config_static_selectorELNS0_4arch9wavefront6targetE0EEEvT1_.uses_vcc, 0
	.set _ZN7rocprim17ROCPRIM_400000_NS6detail17trampoline_kernelINS0_14default_configENS1_27scan_by_key_config_selectorIssEEZZNS1_16scan_by_key_implILNS1_25lookback_scan_determinismE0ELb0ES3_N6thrust23THRUST_200600_302600_NS6detail15normal_iteratorINS9_10device_ptrIsEEEESE_SE_sNS9_4plusIvEENS9_8equal_toIvEEsEE10hipError_tPvRmT2_T3_T4_T5_mT6_T7_P12ihipStream_tbENKUlT_T0_E_clISt17integral_constantIbLb1EESY_IbLb0EEEEDaSU_SV_EUlSU_E_NS1_11comp_targetILNS1_3genE4ELNS1_11target_archE910ELNS1_3gpuE8ELNS1_3repE0EEENS1_30default_config_static_selectorELNS0_4arch9wavefront6targetE0EEEvT1_.uses_flat_scratch, 0
	.set _ZN7rocprim17ROCPRIM_400000_NS6detail17trampoline_kernelINS0_14default_configENS1_27scan_by_key_config_selectorIssEEZZNS1_16scan_by_key_implILNS1_25lookback_scan_determinismE0ELb0ES3_N6thrust23THRUST_200600_302600_NS6detail15normal_iteratorINS9_10device_ptrIsEEEESE_SE_sNS9_4plusIvEENS9_8equal_toIvEEsEE10hipError_tPvRmT2_T3_T4_T5_mT6_T7_P12ihipStream_tbENKUlT_T0_E_clISt17integral_constantIbLb1EESY_IbLb0EEEEDaSU_SV_EUlSU_E_NS1_11comp_targetILNS1_3genE4ELNS1_11target_archE910ELNS1_3gpuE8ELNS1_3repE0EEENS1_30default_config_static_selectorELNS0_4arch9wavefront6targetE0EEEvT1_.has_dyn_sized_stack, 0
	.set _ZN7rocprim17ROCPRIM_400000_NS6detail17trampoline_kernelINS0_14default_configENS1_27scan_by_key_config_selectorIssEEZZNS1_16scan_by_key_implILNS1_25lookback_scan_determinismE0ELb0ES3_N6thrust23THRUST_200600_302600_NS6detail15normal_iteratorINS9_10device_ptrIsEEEESE_SE_sNS9_4plusIvEENS9_8equal_toIvEEsEE10hipError_tPvRmT2_T3_T4_T5_mT6_T7_P12ihipStream_tbENKUlT_T0_E_clISt17integral_constantIbLb1EESY_IbLb0EEEEDaSU_SV_EUlSU_E_NS1_11comp_targetILNS1_3genE4ELNS1_11target_archE910ELNS1_3gpuE8ELNS1_3repE0EEENS1_30default_config_static_selectorELNS0_4arch9wavefront6targetE0EEEvT1_.has_recursion, 0
	.set _ZN7rocprim17ROCPRIM_400000_NS6detail17trampoline_kernelINS0_14default_configENS1_27scan_by_key_config_selectorIssEEZZNS1_16scan_by_key_implILNS1_25lookback_scan_determinismE0ELb0ES3_N6thrust23THRUST_200600_302600_NS6detail15normal_iteratorINS9_10device_ptrIsEEEESE_SE_sNS9_4plusIvEENS9_8equal_toIvEEsEE10hipError_tPvRmT2_T3_T4_T5_mT6_T7_P12ihipStream_tbENKUlT_T0_E_clISt17integral_constantIbLb1EESY_IbLb0EEEEDaSU_SV_EUlSU_E_NS1_11comp_targetILNS1_3genE4ELNS1_11target_archE910ELNS1_3gpuE8ELNS1_3repE0EEENS1_30default_config_static_selectorELNS0_4arch9wavefront6targetE0EEEvT1_.has_indirect_call, 0
	.section	.AMDGPU.csdata,"",@progbits
; Kernel info:
; codeLenInByte = 0
; TotalNumSgprs: 0
; NumVgprs: 0
; ScratchSize: 0
; MemoryBound: 0
; FloatMode: 240
; IeeeMode: 1
; LDSByteSize: 0 bytes/workgroup (compile time only)
; SGPRBlocks: 0
; VGPRBlocks: 0
; NumSGPRsForWavesPerEU: 1
; NumVGPRsForWavesPerEU: 1
; Occupancy: 16
; WaveLimiterHint : 0
; COMPUTE_PGM_RSRC2:SCRATCH_EN: 0
; COMPUTE_PGM_RSRC2:USER_SGPR: 6
; COMPUTE_PGM_RSRC2:TRAP_HANDLER: 0
; COMPUTE_PGM_RSRC2:TGID_X_EN: 1
; COMPUTE_PGM_RSRC2:TGID_Y_EN: 0
; COMPUTE_PGM_RSRC2:TGID_Z_EN: 0
; COMPUTE_PGM_RSRC2:TIDIG_COMP_CNT: 0
	.section	.text._ZN7rocprim17ROCPRIM_400000_NS6detail17trampoline_kernelINS0_14default_configENS1_27scan_by_key_config_selectorIssEEZZNS1_16scan_by_key_implILNS1_25lookback_scan_determinismE0ELb0ES3_N6thrust23THRUST_200600_302600_NS6detail15normal_iteratorINS9_10device_ptrIsEEEESE_SE_sNS9_4plusIvEENS9_8equal_toIvEEsEE10hipError_tPvRmT2_T3_T4_T5_mT6_T7_P12ihipStream_tbENKUlT_T0_E_clISt17integral_constantIbLb1EESY_IbLb0EEEEDaSU_SV_EUlSU_E_NS1_11comp_targetILNS1_3genE3ELNS1_11target_archE908ELNS1_3gpuE7ELNS1_3repE0EEENS1_30default_config_static_selectorELNS0_4arch9wavefront6targetE0EEEvT1_,"axG",@progbits,_ZN7rocprim17ROCPRIM_400000_NS6detail17trampoline_kernelINS0_14default_configENS1_27scan_by_key_config_selectorIssEEZZNS1_16scan_by_key_implILNS1_25lookback_scan_determinismE0ELb0ES3_N6thrust23THRUST_200600_302600_NS6detail15normal_iteratorINS9_10device_ptrIsEEEESE_SE_sNS9_4plusIvEENS9_8equal_toIvEEsEE10hipError_tPvRmT2_T3_T4_T5_mT6_T7_P12ihipStream_tbENKUlT_T0_E_clISt17integral_constantIbLb1EESY_IbLb0EEEEDaSU_SV_EUlSU_E_NS1_11comp_targetILNS1_3genE3ELNS1_11target_archE908ELNS1_3gpuE7ELNS1_3repE0EEENS1_30default_config_static_selectorELNS0_4arch9wavefront6targetE0EEEvT1_,comdat
	.protected	_ZN7rocprim17ROCPRIM_400000_NS6detail17trampoline_kernelINS0_14default_configENS1_27scan_by_key_config_selectorIssEEZZNS1_16scan_by_key_implILNS1_25lookback_scan_determinismE0ELb0ES3_N6thrust23THRUST_200600_302600_NS6detail15normal_iteratorINS9_10device_ptrIsEEEESE_SE_sNS9_4plusIvEENS9_8equal_toIvEEsEE10hipError_tPvRmT2_T3_T4_T5_mT6_T7_P12ihipStream_tbENKUlT_T0_E_clISt17integral_constantIbLb1EESY_IbLb0EEEEDaSU_SV_EUlSU_E_NS1_11comp_targetILNS1_3genE3ELNS1_11target_archE908ELNS1_3gpuE7ELNS1_3repE0EEENS1_30default_config_static_selectorELNS0_4arch9wavefront6targetE0EEEvT1_ ; -- Begin function _ZN7rocprim17ROCPRIM_400000_NS6detail17trampoline_kernelINS0_14default_configENS1_27scan_by_key_config_selectorIssEEZZNS1_16scan_by_key_implILNS1_25lookback_scan_determinismE0ELb0ES3_N6thrust23THRUST_200600_302600_NS6detail15normal_iteratorINS9_10device_ptrIsEEEESE_SE_sNS9_4plusIvEENS9_8equal_toIvEEsEE10hipError_tPvRmT2_T3_T4_T5_mT6_T7_P12ihipStream_tbENKUlT_T0_E_clISt17integral_constantIbLb1EESY_IbLb0EEEEDaSU_SV_EUlSU_E_NS1_11comp_targetILNS1_3genE3ELNS1_11target_archE908ELNS1_3gpuE7ELNS1_3repE0EEENS1_30default_config_static_selectorELNS0_4arch9wavefront6targetE0EEEvT1_
	.globl	_ZN7rocprim17ROCPRIM_400000_NS6detail17trampoline_kernelINS0_14default_configENS1_27scan_by_key_config_selectorIssEEZZNS1_16scan_by_key_implILNS1_25lookback_scan_determinismE0ELb0ES3_N6thrust23THRUST_200600_302600_NS6detail15normal_iteratorINS9_10device_ptrIsEEEESE_SE_sNS9_4plusIvEENS9_8equal_toIvEEsEE10hipError_tPvRmT2_T3_T4_T5_mT6_T7_P12ihipStream_tbENKUlT_T0_E_clISt17integral_constantIbLb1EESY_IbLb0EEEEDaSU_SV_EUlSU_E_NS1_11comp_targetILNS1_3genE3ELNS1_11target_archE908ELNS1_3gpuE7ELNS1_3repE0EEENS1_30default_config_static_selectorELNS0_4arch9wavefront6targetE0EEEvT1_
	.p2align	8
	.type	_ZN7rocprim17ROCPRIM_400000_NS6detail17trampoline_kernelINS0_14default_configENS1_27scan_by_key_config_selectorIssEEZZNS1_16scan_by_key_implILNS1_25lookback_scan_determinismE0ELb0ES3_N6thrust23THRUST_200600_302600_NS6detail15normal_iteratorINS9_10device_ptrIsEEEESE_SE_sNS9_4plusIvEENS9_8equal_toIvEEsEE10hipError_tPvRmT2_T3_T4_T5_mT6_T7_P12ihipStream_tbENKUlT_T0_E_clISt17integral_constantIbLb1EESY_IbLb0EEEEDaSU_SV_EUlSU_E_NS1_11comp_targetILNS1_3genE3ELNS1_11target_archE908ELNS1_3gpuE7ELNS1_3repE0EEENS1_30default_config_static_selectorELNS0_4arch9wavefront6targetE0EEEvT1_,@function
_ZN7rocprim17ROCPRIM_400000_NS6detail17trampoline_kernelINS0_14default_configENS1_27scan_by_key_config_selectorIssEEZZNS1_16scan_by_key_implILNS1_25lookback_scan_determinismE0ELb0ES3_N6thrust23THRUST_200600_302600_NS6detail15normal_iteratorINS9_10device_ptrIsEEEESE_SE_sNS9_4plusIvEENS9_8equal_toIvEEsEE10hipError_tPvRmT2_T3_T4_T5_mT6_T7_P12ihipStream_tbENKUlT_T0_E_clISt17integral_constantIbLb1EESY_IbLb0EEEEDaSU_SV_EUlSU_E_NS1_11comp_targetILNS1_3genE3ELNS1_11target_archE908ELNS1_3gpuE7ELNS1_3repE0EEENS1_30default_config_static_selectorELNS0_4arch9wavefront6targetE0EEEvT1_: ; @_ZN7rocprim17ROCPRIM_400000_NS6detail17trampoline_kernelINS0_14default_configENS1_27scan_by_key_config_selectorIssEEZZNS1_16scan_by_key_implILNS1_25lookback_scan_determinismE0ELb0ES3_N6thrust23THRUST_200600_302600_NS6detail15normal_iteratorINS9_10device_ptrIsEEEESE_SE_sNS9_4plusIvEENS9_8equal_toIvEEsEE10hipError_tPvRmT2_T3_T4_T5_mT6_T7_P12ihipStream_tbENKUlT_T0_E_clISt17integral_constantIbLb1EESY_IbLb0EEEEDaSU_SV_EUlSU_E_NS1_11comp_targetILNS1_3genE3ELNS1_11target_archE908ELNS1_3gpuE7ELNS1_3repE0EEENS1_30default_config_static_selectorELNS0_4arch9wavefront6targetE0EEEvT1_
; %bb.0:
	.section	.rodata,"a",@progbits
	.p2align	6, 0x0
	.amdhsa_kernel _ZN7rocprim17ROCPRIM_400000_NS6detail17trampoline_kernelINS0_14default_configENS1_27scan_by_key_config_selectorIssEEZZNS1_16scan_by_key_implILNS1_25lookback_scan_determinismE0ELb0ES3_N6thrust23THRUST_200600_302600_NS6detail15normal_iteratorINS9_10device_ptrIsEEEESE_SE_sNS9_4plusIvEENS9_8equal_toIvEEsEE10hipError_tPvRmT2_T3_T4_T5_mT6_T7_P12ihipStream_tbENKUlT_T0_E_clISt17integral_constantIbLb1EESY_IbLb0EEEEDaSU_SV_EUlSU_E_NS1_11comp_targetILNS1_3genE3ELNS1_11target_archE908ELNS1_3gpuE7ELNS1_3repE0EEENS1_30default_config_static_selectorELNS0_4arch9wavefront6targetE0EEEvT1_
		.amdhsa_group_segment_fixed_size 0
		.amdhsa_private_segment_fixed_size 0
		.amdhsa_kernarg_size 112
		.amdhsa_user_sgpr_count 6
		.amdhsa_user_sgpr_private_segment_buffer 1
		.amdhsa_user_sgpr_dispatch_ptr 0
		.amdhsa_user_sgpr_queue_ptr 0
		.amdhsa_user_sgpr_kernarg_segment_ptr 1
		.amdhsa_user_sgpr_dispatch_id 0
		.amdhsa_user_sgpr_flat_scratch_init 0
		.amdhsa_user_sgpr_private_segment_size 0
		.amdhsa_wavefront_size32 1
		.amdhsa_uses_dynamic_stack 0
		.amdhsa_system_sgpr_private_segment_wavefront_offset 0
		.amdhsa_system_sgpr_workgroup_id_x 1
		.amdhsa_system_sgpr_workgroup_id_y 0
		.amdhsa_system_sgpr_workgroup_id_z 0
		.amdhsa_system_sgpr_workgroup_info 0
		.amdhsa_system_vgpr_workitem_id 0
		.amdhsa_next_free_vgpr 1
		.amdhsa_next_free_sgpr 1
		.amdhsa_reserve_vcc 0
		.amdhsa_reserve_flat_scratch 0
		.amdhsa_float_round_mode_32 0
		.amdhsa_float_round_mode_16_64 0
		.amdhsa_float_denorm_mode_32 3
		.amdhsa_float_denorm_mode_16_64 3
		.amdhsa_dx10_clamp 1
		.amdhsa_ieee_mode 1
		.amdhsa_fp16_overflow 0
		.amdhsa_workgroup_processor_mode 1
		.amdhsa_memory_ordered 1
		.amdhsa_forward_progress 1
		.amdhsa_shared_vgpr_count 0
		.amdhsa_exception_fp_ieee_invalid_op 0
		.amdhsa_exception_fp_denorm_src 0
		.amdhsa_exception_fp_ieee_div_zero 0
		.amdhsa_exception_fp_ieee_overflow 0
		.amdhsa_exception_fp_ieee_underflow 0
		.amdhsa_exception_fp_ieee_inexact 0
		.amdhsa_exception_int_div_zero 0
	.end_amdhsa_kernel
	.section	.text._ZN7rocprim17ROCPRIM_400000_NS6detail17trampoline_kernelINS0_14default_configENS1_27scan_by_key_config_selectorIssEEZZNS1_16scan_by_key_implILNS1_25lookback_scan_determinismE0ELb0ES3_N6thrust23THRUST_200600_302600_NS6detail15normal_iteratorINS9_10device_ptrIsEEEESE_SE_sNS9_4plusIvEENS9_8equal_toIvEEsEE10hipError_tPvRmT2_T3_T4_T5_mT6_T7_P12ihipStream_tbENKUlT_T0_E_clISt17integral_constantIbLb1EESY_IbLb0EEEEDaSU_SV_EUlSU_E_NS1_11comp_targetILNS1_3genE3ELNS1_11target_archE908ELNS1_3gpuE7ELNS1_3repE0EEENS1_30default_config_static_selectorELNS0_4arch9wavefront6targetE0EEEvT1_,"axG",@progbits,_ZN7rocprim17ROCPRIM_400000_NS6detail17trampoline_kernelINS0_14default_configENS1_27scan_by_key_config_selectorIssEEZZNS1_16scan_by_key_implILNS1_25lookback_scan_determinismE0ELb0ES3_N6thrust23THRUST_200600_302600_NS6detail15normal_iteratorINS9_10device_ptrIsEEEESE_SE_sNS9_4plusIvEENS9_8equal_toIvEEsEE10hipError_tPvRmT2_T3_T4_T5_mT6_T7_P12ihipStream_tbENKUlT_T0_E_clISt17integral_constantIbLb1EESY_IbLb0EEEEDaSU_SV_EUlSU_E_NS1_11comp_targetILNS1_3genE3ELNS1_11target_archE908ELNS1_3gpuE7ELNS1_3repE0EEENS1_30default_config_static_selectorELNS0_4arch9wavefront6targetE0EEEvT1_,comdat
.Lfunc_end265:
	.size	_ZN7rocprim17ROCPRIM_400000_NS6detail17trampoline_kernelINS0_14default_configENS1_27scan_by_key_config_selectorIssEEZZNS1_16scan_by_key_implILNS1_25lookback_scan_determinismE0ELb0ES3_N6thrust23THRUST_200600_302600_NS6detail15normal_iteratorINS9_10device_ptrIsEEEESE_SE_sNS9_4plusIvEENS9_8equal_toIvEEsEE10hipError_tPvRmT2_T3_T4_T5_mT6_T7_P12ihipStream_tbENKUlT_T0_E_clISt17integral_constantIbLb1EESY_IbLb0EEEEDaSU_SV_EUlSU_E_NS1_11comp_targetILNS1_3genE3ELNS1_11target_archE908ELNS1_3gpuE7ELNS1_3repE0EEENS1_30default_config_static_selectorELNS0_4arch9wavefront6targetE0EEEvT1_, .Lfunc_end265-_ZN7rocprim17ROCPRIM_400000_NS6detail17trampoline_kernelINS0_14default_configENS1_27scan_by_key_config_selectorIssEEZZNS1_16scan_by_key_implILNS1_25lookback_scan_determinismE0ELb0ES3_N6thrust23THRUST_200600_302600_NS6detail15normal_iteratorINS9_10device_ptrIsEEEESE_SE_sNS9_4plusIvEENS9_8equal_toIvEEsEE10hipError_tPvRmT2_T3_T4_T5_mT6_T7_P12ihipStream_tbENKUlT_T0_E_clISt17integral_constantIbLb1EESY_IbLb0EEEEDaSU_SV_EUlSU_E_NS1_11comp_targetILNS1_3genE3ELNS1_11target_archE908ELNS1_3gpuE7ELNS1_3repE0EEENS1_30default_config_static_selectorELNS0_4arch9wavefront6targetE0EEEvT1_
                                        ; -- End function
	.set _ZN7rocprim17ROCPRIM_400000_NS6detail17trampoline_kernelINS0_14default_configENS1_27scan_by_key_config_selectorIssEEZZNS1_16scan_by_key_implILNS1_25lookback_scan_determinismE0ELb0ES3_N6thrust23THRUST_200600_302600_NS6detail15normal_iteratorINS9_10device_ptrIsEEEESE_SE_sNS9_4plusIvEENS9_8equal_toIvEEsEE10hipError_tPvRmT2_T3_T4_T5_mT6_T7_P12ihipStream_tbENKUlT_T0_E_clISt17integral_constantIbLb1EESY_IbLb0EEEEDaSU_SV_EUlSU_E_NS1_11comp_targetILNS1_3genE3ELNS1_11target_archE908ELNS1_3gpuE7ELNS1_3repE0EEENS1_30default_config_static_selectorELNS0_4arch9wavefront6targetE0EEEvT1_.num_vgpr, 0
	.set _ZN7rocprim17ROCPRIM_400000_NS6detail17trampoline_kernelINS0_14default_configENS1_27scan_by_key_config_selectorIssEEZZNS1_16scan_by_key_implILNS1_25lookback_scan_determinismE0ELb0ES3_N6thrust23THRUST_200600_302600_NS6detail15normal_iteratorINS9_10device_ptrIsEEEESE_SE_sNS9_4plusIvEENS9_8equal_toIvEEsEE10hipError_tPvRmT2_T3_T4_T5_mT6_T7_P12ihipStream_tbENKUlT_T0_E_clISt17integral_constantIbLb1EESY_IbLb0EEEEDaSU_SV_EUlSU_E_NS1_11comp_targetILNS1_3genE3ELNS1_11target_archE908ELNS1_3gpuE7ELNS1_3repE0EEENS1_30default_config_static_selectorELNS0_4arch9wavefront6targetE0EEEvT1_.num_agpr, 0
	.set _ZN7rocprim17ROCPRIM_400000_NS6detail17trampoline_kernelINS0_14default_configENS1_27scan_by_key_config_selectorIssEEZZNS1_16scan_by_key_implILNS1_25lookback_scan_determinismE0ELb0ES3_N6thrust23THRUST_200600_302600_NS6detail15normal_iteratorINS9_10device_ptrIsEEEESE_SE_sNS9_4plusIvEENS9_8equal_toIvEEsEE10hipError_tPvRmT2_T3_T4_T5_mT6_T7_P12ihipStream_tbENKUlT_T0_E_clISt17integral_constantIbLb1EESY_IbLb0EEEEDaSU_SV_EUlSU_E_NS1_11comp_targetILNS1_3genE3ELNS1_11target_archE908ELNS1_3gpuE7ELNS1_3repE0EEENS1_30default_config_static_selectorELNS0_4arch9wavefront6targetE0EEEvT1_.numbered_sgpr, 0
	.set _ZN7rocprim17ROCPRIM_400000_NS6detail17trampoline_kernelINS0_14default_configENS1_27scan_by_key_config_selectorIssEEZZNS1_16scan_by_key_implILNS1_25lookback_scan_determinismE0ELb0ES3_N6thrust23THRUST_200600_302600_NS6detail15normal_iteratorINS9_10device_ptrIsEEEESE_SE_sNS9_4plusIvEENS9_8equal_toIvEEsEE10hipError_tPvRmT2_T3_T4_T5_mT6_T7_P12ihipStream_tbENKUlT_T0_E_clISt17integral_constantIbLb1EESY_IbLb0EEEEDaSU_SV_EUlSU_E_NS1_11comp_targetILNS1_3genE3ELNS1_11target_archE908ELNS1_3gpuE7ELNS1_3repE0EEENS1_30default_config_static_selectorELNS0_4arch9wavefront6targetE0EEEvT1_.num_named_barrier, 0
	.set _ZN7rocprim17ROCPRIM_400000_NS6detail17trampoline_kernelINS0_14default_configENS1_27scan_by_key_config_selectorIssEEZZNS1_16scan_by_key_implILNS1_25lookback_scan_determinismE0ELb0ES3_N6thrust23THRUST_200600_302600_NS6detail15normal_iteratorINS9_10device_ptrIsEEEESE_SE_sNS9_4plusIvEENS9_8equal_toIvEEsEE10hipError_tPvRmT2_T3_T4_T5_mT6_T7_P12ihipStream_tbENKUlT_T0_E_clISt17integral_constantIbLb1EESY_IbLb0EEEEDaSU_SV_EUlSU_E_NS1_11comp_targetILNS1_3genE3ELNS1_11target_archE908ELNS1_3gpuE7ELNS1_3repE0EEENS1_30default_config_static_selectorELNS0_4arch9wavefront6targetE0EEEvT1_.private_seg_size, 0
	.set _ZN7rocprim17ROCPRIM_400000_NS6detail17trampoline_kernelINS0_14default_configENS1_27scan_by_key_config_selectorIssEEZZNS1_16scan_by_key_implILNS1_25lookback_scan_determinismE0ELb0ES3_N6thrust23THRUST_200600_302600_NS6detail15normal_iteratorINS9_10device_ptrIsEEEESE_SE_sNS9_4plusIvEENS9_8equal_toIvEEsEE10hipError_tPvRmT2_T3_T4_T5_mT6_T7_P12ihipStream_tbENKUlT_T0_E_clISt17integral_constantIbLb1EESY_IbLb0EEEEDaSU_SV_EUlSU_E_NS1_11comp_targetILNS1_3genE3ELNS1_11target_archE908ELNS1_3gpuE7ELNS1_3repE0EEENS1_30default_config_static_selectorELNS0_4arch9wavefront6targetE0EEEvT1_.uses_vcc, 0
	.set _ZN7rocprim17ROCPRIM_400000_NS6detail17trampoline_kernelINS0_14default_configENS1_27scan_by_key_config_selectorIssEEZZNS1_16scan_by_key_implILNS1_25lookback_scan_determinismE0ELb0ES3_N6thrust23THRUST_200600_302600_NS6detail15normal_iteratorINS9_10device_ptrIsEEEESE_SE_sNS9_4plusIvEENS9_8equal_toIvEEsEE10hipError_tPvRmT2_T3_T4_T5_mT6_T7_P12ihipStream_tbENKUlT_T0_E_clISt17integral_constantIbLb1EESY_IbLb0EEEEDaSU_SV_EUlSU_E_NS1_11comp_targetILNS1_3genE3ELNS1_11target_archE908ELNS1_3gpuE7ELNS1_3repE0EEENS1_30default_config_static_selectorELNS0_4arch9wavefront6targetE0EEEvT1_.uses_flat_scratch, 0
	.set _ZN7rocprim17ROCPRIM_400000_NS6detail17trampoline_kernelINS0_14default_configENS1_27scan_by_key_config_selectorIssEEZZNS1_16scan_by_key_implILNS1_25lookback_scan_determinismE0ELb0ES3_N6thrust23THRUST_200600_302600_NS6detail15normal_iteratorINS9_10device_ptrIsEEEESE_SE_sNS9_4plusIvEENS9_8equal_toIvEEsEE10hipError_tPvRmT2_T3_T4_T5_mT6_T7_P12ihipStream_tbENKUlT_T0_E_clISt17integral_constantIbLb1EESY_IbLb0EEEEDaSU_SV_EUlSU_E_NS1_11comp_targetILNS1_3genE3ELNS1_11target_archE908ELNS1_3gpuE7ELNS1_3repE0EEENS1_30default_config_static_selectorELNS0_4arch9wavefront6targetE0EEEvT1_.has_dyn_sized_stack, 0
	.set _ZN7rocprim17ROCPRIM_400000_NS6detail17trampoline_kernelINS0_14default_configENS1_27scan_by_key_config_selectorIssEEZZNS1_16scan_by_key_implILNS1_25lookback_scan_determinismE0ELb0ES3_N6thrust23THRUST_200600_302600_NS6detail15normal_iteratorINS9_10device_ptrIsEEEESE_SE_sNS9_4plusIvEENS9_8equal_toIvEEsEE10hipError_tPvRmT2_T3_T4_T5_mT6_T7_P12ihipStream_tbENKUlT_T0_E_clISt17integral_constantIbLb1EESY_IbLb0EEEEDaSU_SV_EUlSU_E_NS1_11comp_targetILNS1_3genE3ELNS1_11target_archE908ELNS1_3gpuE7ELNS1_3repE0EEENS1_30default_config_static_selectorELNS0_4arch9wavefront6targetE0EEEvT1_.has_recursion, 0
	.set _ZN7rocprim17ROCPRIM_400000_NS6detail17trampoline_kernelINS0_14default_configENS1_27scan_by_key_config_selectorIssEEZZNS1_16scan_by_key_implILNS1_25lookback_scan_determinismE0ELb0ES3_N6thrust23THRUST_200600_302600_NS6detail15normal_iteratorINS9_10device_ptrIsEEEESE_SE_sNS9_4plusIvEENS9_8equal_toIvEEsEE10hipError_tPvRmT2_T3_T4_T5_mT6_T7_P12ihipStream_tbENKUlT_T0_E_clISt17integral_constantIbLb1EESY_IbLb0EEEEDaSU_SV_EUlSU_E_NS1_11comp_targetILNS1_3genE3ELNS1_11target_archE908ELNS1_3gpuE7ELNS1_3repE0EEENS1_30default_config_static_selectorELNS0_4arch9wavefront6targetE0EEEvT1_.has_indirect_call, 0
	.section	.AMDGPU.csdata,"",@progbits
; Kernel info:
; codeLenInByte = 0
; TotalNumSgprs: 0
; NumVgprs: 0
; ScratchSize: 0
; MemoryBound: 0
; FloatMode: 240
; IeeeMode: 1
; LDSByteSize: 0 bytes/workgroup (compile time only)
; SGPRBlocks: 0
; VGPRBlocks: 0
; NumSGPRsForWavesPerEU: 1
; NumVGPRsForWavesPerEU: 1
; Occupancy: 16
; WaveLimiterHint : 0
; COMPUTE_PGM_RSRC2:SCRATCH_EN: 0
; COMPUTE_PGM_RSRC2:USER_SGPR: 6
; COMPUTE_PGM_RSRC2:TRAP_HANDLER: 0
; COMPUTE_PGM_RSRC2:TGID_X_EN: 1
; COMPUTE_PGM_RSRC2:TGID_Y_EN: 0
; COMPUTE_PGM_RSRC2:TGID_Z_EN: 0
; COMPUTE_PGM_RSRC2:TIDIG_COMP_CNT: 0
	.section	.text._ZN7rocprim17ROCPRIM_400000_NS6detail17trampoline_kernelINS0_14default_configENS1_27scan_by_key_config_selectorIssEEZZNS1_16scan_by_key_implILNS1_25lookback_scan_determinismE0ELb0ES3_N6thrust23THRUST_200600_302600_NS6detail15normal_iteratorINS9_10device_ptrIsEEEESE_SE_sNS9_4plusIvEENS9_8equal_toIvEEsEE10hipError_tPvRmT2_T3_T4_T5_mT6_T7_P12ihipStream_tbENKUlT_T0_E_clISt17integral_constantIbLb1EESY_IbLb0EEEEDaSU_SV_EUlSU_E_NS1_11comp_targetILNS1_3genE2ELNS1_11target_archE906ELNS1_3gpuE6ELNS1_3repE0EEENS1_30default_config_static_selectorELNS0_4arch9wavefront6targetE0EEEvT1_,"axG",@progbits,_ZN7rocprim17ROCPRIM_400000_NS6detail17trampoline_kernelINS0_14default_configENS1_27scan_by_key_config_selectorIssEEZZNS1_16scan_by_key_implILNS1_25lookback_scan_determinismE0ELb0ES3_N6thrust23THRUST_200600_302600_NS6detail15normal_iteratorINS9_10device_ptrIsEEEESE_SE_sNS9_4plusIvEENS9_8equal_toIvEEsEE10hipError_tPvRmT2_T3_T4_T5_mT6_T7_P12ihipStream_tbENKUlT_T0_E_clISt17integral_constantIbLb1EESY_IbLb0EEEEDaSU_SV_EUlSU_E_NS1_11comp_targetILNS1_3genE2ELNS1_11target_archE906ELNS1_3gpuE6ELNS1_3repE0EEENS1_30default_config_static_selectorELNS0_4arch9wavefront6targetE0EEEvT1_,comdat
	.protected	_ZN7rocprim17ROCPRIM_400000_NS6detail17trampoline_kernelINS0_14default_configENS1_27scan_by_key_config_selectorIssEEZZNS1_16scan_by_key_implILNS1_25lookback_scan_determinismE0ELb0ES3_N6thrust23THRUST_200600_302600_NS6detail15normal_iteratorINS9_10device_ptrIsEEEESE_SE_sNS9_4plusIvEENS9_8equal_toIvEEsEE10hipError_tPvRmT2_T3_T4_T5_mT6_T7_P12ihipStream_tbENKUlT_T0_E_clISt17integral_constantIbLb1EESY_IbLb0EEEEDaSU_SV_EUlSU_E_NS1_11comp_targetILNS1_3genE2ELNS1_11target_archE906ELNS1_3gpuE6ELNS1_3repE0EEENS1_30default_config_static_selectorELNS0_4arch9wavefront6targetE0EEEvT1_ ; -- Begin function _ZN7rocprim17ROCPRIM_400000_NS6detail17trampoline_kernelINS0_14default_configENS1_27scan_by_key_config_selectorIssEEZZNS1_16scan_by_key_implILNS1_25lookback_scan_determinismE0ELb0ES3_N6thrust23THRUST_200600_302600_NS6detail15normal_iteratorINS9_10device_ptrIsEEEESE_SE_sNS9_4plusIvEENS9_8equal_toIvEEsEE10hipError_tPvRmT2_T3_T4_T5_mT6_T7_P12ihipStream_tbENKUlT_T0_E_clISt17integral_constantIbLb1EESY_IbLb0EEEEDaSU_SV_EUlSU_E_NS1_11comp_targetILNS1_3genE2ELNS1_11target_archE906ELNS1_3gpuE6ELNS1_3repE0EEENS1_30default_config_static_selectorELNS0_4arch9wavefront6targetE0EEEvT1_
	.globl	_ZN7rocprim17ROCPRIM_400000_NS6detail17trampoline_kernelINS0_14default_configENS1_27scan_by_key_config_selectorIssEEZZNS1_16scan_by_key_implILNS1_25lookback_scan_determinismE0ELb0ES3_N6thrust23THRUST_200600_302600_NS6detail15normal_iteratorINS9_10device_ptrIsEEEESE_SE_sNS9_4plusIvEENS9_8equal_toIvEEsEE10hipError_tPvRmT2_T3_T4_T5_mT6_T7_P12ihipStream_tbENKUlT_T0_E_clISt17integral_constantIbLb1EESY_IbLb0EEEEDaSU_SV_EUlSU_E_NS1_11comp_targetILNS1_3genE2ELNS1_11target_archE906ELNS1_3gpuE6ELNS1_3repE0EEENS1_30default_config_static_selectorELNS0_4arch9wavefront6targetE0EEEvT1_
	.p2align	8
	.type	_ZN7rocprim17ROCPRIM_400000_NS6detail17trampoline_kernelINS0_14default_configENS1_27scan_by_key_config_selectorIssEEZZNS1_16scan_by_key_implILNS1_25lookback_scan_determinismE0ELb0ES3_N6thrust23THRUST_200600_302600_NS6detail15normal_iteratorINS9_10device_ptrIsEEEESE_SE_sNS9_4plusIvEENS9_8equal_toIvEEsEE10hipError_tPvRmT2_T3_T4_T5_mT6_T7_P12ihipStream_tbENKUlT_T0_E_clISt17integral_constantIbLb1EESY_IbLb0EEEEDaSU_SV_EUlSU_E_NS1_11comp_targetILNS1_3genE2ELNS1_11target_archE906ELNS1_3gpuE6ELNS1_3repE0EEENS1_30default_config_static_selectorELNS0_4arch9wavefront6targetE0EEEvT1_,@function
_ZN7rocprim17ROCPRIM_400000_NS6detail17trampoline_kernelINS0_14default_configENS1_27scan_by_key_config_selectorIssEEZZNS1_16scan_by_key_implILNS1_25lookback_scan_determinismE0ELb0ES3_N6thrust23THRUST_200600_302600_NS6detail15normal_iteratorINS9_10device_ptrIsEEEESE_SE_sNS9_4plusIvEENS9_8equal_toIvEEsEE10hipError_tPvRmT2_T3_T4_T5_mT6_T7_P12ihipStream_tbENKUlT_T0_E_clISt17integral_constantIbLb1EESY_IbLb0EEEEDaSU_SV_EUlSU_E_NS1_11comp_targetILNS1_3genE2ELNS1_11target_archE906ELNS1_3gpuE6ELNS1_3repE0EEENS1_30default_config_static_selectorELNS0_4arch9wavefront6targetE0EEEvT1_: ; @_ZN7rocprim17ROCPRIM_400000_NS6detail17trampoline_kernelINS0_14default_configENS1_27scan_by_key_config_selectorIssEEZZNS1_16scan_by_key_implILNS1_25lookback_scan_determinismE0ELb0ES3_N6thrust23THRUST_200600_302600_NS6detail15normal_iteratorINS9_10device_ptrIsEEEESE_SE_sNS9_4plusIvEENS9_8equal_toIvEEsEE10hipError_tPvRmT2_T3_T4_T5_mT6_T7_P12ihipStream_tbENKUlT_T0_E_clISt17integral_constantIbLb1EESY_IbLb0EEEEDaSU_SV_EUlSU_E_NS1_11comp_targetILNS1_3genE2ELNS1_11target_archE906ELNS1_3gpuE6ELNS1_3repE0EEENS1_30default_config_static_selectorELNS0_4arch9wavefront6targetE0EEEvT1_
; %bb.0:
	.section	.rodata,"a",@progbits
	.p2align	6, 0x0
	.amdhsa_kernel _ZN7rocprim17ROCPRIM_400000_NS6detail17trampoline_kernelINS0_14default_configENS1_27scan_by_key_config_selectorIssEEZZNS1_16scan_by_key_implILNS1_25lookback_scan_determinismE0ELb0ES3_N6thrust23THRUST_200600_302600_NS6detail15normal_iteratorINS9_10device_ptrIsEEEESE_SE_sNS9_4plusIvEENS9_8equal_toIvEEsEE10hipError_tPvRmT2_T3_T4_T5_mT6_T7_P12ihipStream_tbENKUlT_T0_E_clISt17integral_constantIbLb1EESY_IbLb0EEEEDaSU_SV_EUlSU_E_NS1_11comp_targetILNS1_3genE2ELNS1_11target_archE906ELNS1_3gpuE6ELNS1_3repE0EEENS1_30default_config_static_selectorELNS0_4arch9wavefront6targetE0EEEvT1_
		.amdhsa_group_segment_fixed_size 0
		.amdhsa_private_segment_fixed_size 0
		.amdhsa_kernarg_size 112
		.amdhsa_user_sgpr_count 6
		.amdhsa_user_sgpr_private_segment_buffer 1
		.amdhsa_user_sgpr_dispatch_ptr 0
		.amdhsa_user_sgpr_queue_ptr 0
		.amdhsa_user_sgpr_kernarg_segment_ptr 1
		.amdhsa_user_sgpr_dispatch_id 0
		.amdhsa_user_sgpr_flat_scratch_init 0
		.amdhsa_user_sgpr_private_segment_size 0
		.amdhsa_wavefront_size32 1
		.amdhsa_uses_dynamic_stack 0
		.amdhsa_system_sgpr_private_segment_wavefront_offset 0
		.amdhsa_system_sgpr_workgroup_id_x 1
		.amdhsa_system_sgpr_workgroup_id_y 0
		.amdhsa_system_sgpr_workgroup_id_z 0
		.amdhsa_system_sgpr_workgroup_info 0
		.amdhsa_system_vgpr_workitem_id 0
		.amdhsa_next_free_vgpr 1
		.amdhsa_next_free_sgpr 1
		.amdhsa_reserve_vcc 0
		.amdhsa_reserve_flat_scratch 0
		.amdhsa_float_round_mode_32 0
		.amdhsa_float_round_mode_16_64 0
		.amdhsa_float_denorm_mode_32 3
		.amdhsa_float_denorm_mode_16_64 3
		.amdhsa_dx10_clamp 1
		.amdhsa_ieee_mode 1
		.amdhsa_fp16_overflow 0
		.amdhsa_workgroup_processor_mode 1
		.amdhsa_memory_ordered 1
		.amdhsa_forward_progress 1
		.amdhsa_shared_vgpr_count 0
		.amdhsa_exception_fp_ieee_invalid_op 0
		.amdhsa_exception_fp_denorm_src 0
		.amdhsa_exception_fp_ieee_div_zero 0
		.amdhsa_exception_fp_ieee_overflow 0
		.amdhsa_exception_fp_ieee_underflow 0
		.amdhsa_exception_fp_ieee_inexact 0
		.amdhsa_exception_int_div_zero 0
	.end_amdhsa_kernel
	.section	.text._ZN7rocprim17ROCPRIM_400000_NS6detail17trampoline_kernelINS0_14default_configENS1_27scan_by_key_config_selectorIssEEZZNS1_16scan_by_key_implILNS1_25lookback_scan_determinismE0ELb0ES3_N6thrust23THRUST_200600_302600_NS6detail15normal_iteratorINS9_10device_ptrIsEEEESE_SE_sNS9_4plusIvEENS9_8equal_toIvEEsEE10hipError_tPvRmT2_T3_T4_T5_mT6_T7_P12ihipStream_tbENKUlT_T0_E_clISt17integral_constantIbLb1EESY_IbLb0EEEEDaSU_SV_EUlSU_E_NS1_11comp_targetILNS1_3genE2ELNS1_11target_archE906ELNS1_3gpuE6ELNS1_3repE0EEENS1_30default_config_static_selectorELNS0_4arch9wavefront6targetE0EEEvT1_,"axG",@progbits,_ZN7rocprim17ROCPRIM_400000_NS6detail17trampoline_kernelINS0_14default_configENS1_27scan_by_key_config_selectorIssEEZZNS1_16scan_by_key_implILNS1_25lookback_scan_determinismE0ELb0ES3_N6thrust23THRUST_200600_302600_NS6detail15normal_iteratorINS9_10device_ptrIsEEEESE_SE_sNS9_4plusIvEENS9_8equal_toIvEEsEE10hipError_tPvRmT2_T3_T4_T5_mT6_T7_P12ihipStream_tbENKUlT_T0_E_clISt17integral_constantIbLb1EESY_IbLb0EEEEDaSU_SV_EUlSU_E_NS1_11comp_targetILNS1_3genE2ELNS1_11target_archE906ELNS1_3gpuE6ELNS1_3repE0EEENS1_30default_config_static_selectorELNS0_4arch9wavefront6targetE0EEEvT1_,comdat
.Lfunc_end266:
	.size	_ZN7rocprim17ROCPRIM_400000_NS6detail17trampoline_kernelINS0_14default_configENS1_27scan_by_key_config_selectorIssEEZZNS1_16scan_by_key_implILNS1_25lookback_scan_determinismE0ELb0ES3_N6thrust23THRUST_200600_302600_NS6detail15normal_iteratorINS9_10device_ptrIsEEEESE_SE_sNS9_4plusIvEENS9_8equal_toIvEEsEE10hipError_tPvRmT2_T3_T4_T5_mT6_T7_P12ihipStream_tbENKUlT_T0_E_clISt17integral_constantIbLb1EESY_IbLb0EEEEDaSU_SV_EUlSU_E_NS1_11comp_targetILNS1_3genE2ELNS1_11target_archE906ELNS1_3gpuE6ELNS1_3repE0EEENS1_30default_config_static_selectorELNS0_4arch9wavefront6targetE0EEEvT1_, .Lfunc_end266-_ZN7rocprim17ROCPRIM_400000_NS6detail17trampoline_kernelINS0_14default_configENS1_27scan_by_key_config_selectorIssEEZZNS1_16scan_by_key_implILNS1_25lookback_scan_determinismE0ELb0ES3_N6thrust23THRUST_200600_302600_NS6detail15normal_iteratorINS9_10device_ptrIsEEEESE_SE_sNS9_4plusIvEENS9_8equal_toIvEEsEE10hipError_tPvRmT2_T3_T4_T5_mT6_T7_P12ihipStream_tbENKUlT_T0_E_clISt17integral_constantIbLb1EESY_IbLb0EEEEDaSU_SV_EUlSU_E_NS1_11comp_targetILNS1_3genE2ELNS1_11target_archE906ELNS1_3gpuE6ELNS1_3repE0EEENS1_30default_config_static_selectorELNS0_4arch9wavefront6targetE0EEEvT1_
                                        ; -- End function
	.set _ZN7rocprim17ROCPRIM_400000_NS6detail17trampoline_kernelINS0_14default_configENS1_27scan_by_key_config_selectorIssEEZZNS1_16scan_by_key_implILNS1_25lookback_scan_determinismE0ELb0ES3_N6thrust23THRUST_200600_302600_NS6detail15normal_iteratorINS9_10device_ptrIsEEEESE_SE_sNS9_4plusIvEENS9_8equal_toIvEEsEE10hipError_tPvRmT2_T3_T4_T5_mT6_T7_P12ihipStream_tbENKUlT_T0_E_clISt17integral_constantIbLb1EESY_IbLb0EEEEDaSU_SV_EUlSU_E_NS1_11comp_targetILNS1_3genE2ELNS1_11target_archE906ELNS1_3gpuE6ELNS1_3repE0EEENS1_30default_config_static_selectorELNS0_4arch9wavefront6targetE0EEEvT1_.num_vgpr, 0
	.set _ZN7rocprim17ROCPRIM_400000_NS6detail17trampoline_kernelINS0_14default_configENS1_27scan_by_key_config_selectorIssEEZZNS1_16scan_by_key_implILNS1_25lookback_scan_determinismE0ELb0ES3_N6thrust23THRUST_200600_302600_NS6detail15normal_iteratorINS9_10device_ptrIsEEEESE_SE_sNS9_4plusIvEENS9_8equal_toIvEEsEE10hipError_tPvRmT2_T3_T4_T5_mT6_T7_P12ihipStream_tbENKUlT_T0_E_clISt17integral_constantIbLb1EESY_IbLb0EEEEDaSU_SV_EUlSU_E_NS1_11comp_targetILNS1_3genE2ELNS1_11target_archE906ELNS1_3gpuE6ELNS1_3repE0EEENS1_30default_config_static_selectorELNS0_4arch9wavefront6targetE0EEEvT1_.num_agpr, 0
	.set _ZN7rocprim17ROCPRIM_400000_NS6detail17trampoline_kernelINS0_14default_configENS1_27scan_by_key_config_selectorIssEEZZNS1_16scan_by_key_implILNS1_25lookback_scan_determinismE0ELb0ES3_N6thrust23THRUST_200600_302600_NS6detail15normal_iteratorINS9_10device_ptrIsEEEESE_SE_sNS9_4plusIvEENS9_8equal_toIvEEsEE10hipError_tPvRmT2_T3_T4_T5_mT6_T7_P12ihipStream_tbENKUlT_T0_E_clISt17integral_constantIbLb1EESY_IbLb0EEEEDaSU_SV_EUlSU_E_NS1_11comp_targetILNS1_3genE2ELNS1_11target_archE906ELNS1_3gpuE6ELNS1_3repE0EEENS1_30default_config_static_selectorELNS0_4arch9wavefront6targetE0EEEvT1_.numbered_sgpr, 0
	.set _ZN7rocprim17ROCPRIM_400000_NS6detail17trampoline_kernelINS0_14default_configENS1_27scan_by_key_config_selectorIssEEZZNS1_16scan_by_key_implILNS1_25lookback_scan_determinismE0ELb0ES3_N6thrust23THRUST_200600_302600_NS6detail15normal_iteratorINS9_10device_ptrIsEEEESE_SE_sNS9_4plusIvEENS9_8equal_toIvEEsEE10hipError_tPvRmT2_T3_T4_T5_mT6_T7_P12ihipStream_tbENKUlT_T0_E_clISt17integral_constantIbLb1EESY_IbLb0EEEEDaSU_SV_EUlSU_E_NS1_11comp_targetILNS1_3genE2ELNS1_11target_archE906ELNS1_3gpuE6ELNS1_3repE0EEENS1_30default_config_static_selectorELNS0_4arch9wavefront6targetE0EEEvT1_.num_named_barrier, 0
	.set _ZN7rocprim17ROCPRIM_400000_NS6detail17trampoline_kernelINS0_14default_configENS1_27scan_by_key_config_selectorIssEEZZNS1_16scan_by_key_implILNS1_25lookback_scan_determinismE0ELb0ES3_N6thrust23THRUST_200600_302600_NS6detail15normal_iteratorINS9_10device_ptrIsEEEESE_SE_sNS9_4plusIvEENS9_8equal_toIvEEsEE10hipError_tPvRmT2_T3_T4_T5_mT6_T7_P12ihipStream_tbENKUlT_T0_E_clISt17integral_constantIbLb1EESY_IbLb0EEEEDaSU_SV_EUlSU_E_NS1_11comp_targetILNS1_3genE2ELNS1_11target_archE906ELNS1_3gpuE6ELNS1_3repE0EEENS1_30default_config_static_selectorELNS0_4arch9wavefront6targetE0EEEvT1_.private_seg_size, 0
	.set _ZN7rocprim17ROCPRIM_400000_NS6detail17trampoline_kernelINS0_14default_configENS1_27scan_by_key_config_selectorIssEEZZNS1_16scan_by_key_implILNS1_25lookback_scan_determinismE0ELb0ES3_N6thrust23THRUST_200600_302600_NS6detail15normal_iteratorINS9_10device_ptrIsEEEESE_SE_sNS9_4plusIvEENS9_8equal_toIvEEsEE10hipError_tPvRmT2_T3_T4_T5_mT6_T7_P12ihipStream_tbENKUlT_T0_E_clISt17integral_constantIbLb1EESY_IbLb0EEEEDaSU_SV_EUlSU_E_NS1_11comp_targetILNS1_3genE2ELNS1_11target_archE906ELNS1_3gpuE6ELNS1_3repE0EEENS1_30default_config_static_selectorELNS0_4arch9wavefront6targetE0EEEvT1_.uses_vcc, 0
	.set _ZN7rocprim17ROCPRIM_400000_NS6detail17trampoline_kernelINS0_14default_configENS1_27scan_by_key_config_selectorIssEEZZNS1_16scan_by_key_implILNS1_25lookback_scan_determinismE0ELb0ES3_N6thrust23THRUST_200600_302600_NS6detail15normal_iteratorINS9_10device_ptrIsEEEESE_SE_sNS9_4plusIvEENS9_8equal_toIvEEsEE10hipError_tPvRmT2_T3_T4_T5_mT6_T7_P12ihipStream_tbENKUlT_T0_E_clISt17integral_constantIbLb1EESY_IbLb0EEEEDaSU_SV_EUlSU_E_NS1_11comp_targetILNS1_3genE2ELNS1_11target_archE906ELNS1_3gpuE6ELNS1_3repE0EEENS1_30default_config_static_selectorELNS0_4arch9wavefront6targetE0EEEvT1_.uses_flat_scratch, 0
	.set _ZN7rocprim17ROCPRIM_400000_NS6detail17trampoline_kernelINS0_14default_configENS1_27scan_by_key_config_selectorIssEEZZNS1_16scan_by_key_implILNS1_25lookback_scan_determinismE0ELb0ES3_N6thrust23THRUST_200600_302600_NS6detail15normal_iteratorINS9_10device_ptrIsEEEESE_SE_sNS9_4plusIvEENS9_8equal_toIvEEsEE10hipError_tPvRmT2_T3_T4_T5_mT6_T7_P12ihipStream_tbENKUlT_T0_E_clISt17integral_constantIbLb1EESY_IbLb0EEEEDaSU_SV_EUlSU_E_NS1_11comp_targetILNS1_3genE2ELNS1_11target_archE906ELNS1_3gpuE6ELNS1_3repE0EEENS1_30default_config_static_selectorELNS0_4arch9wavefront6targetE0EEEvT1_.has_dyn_sized_stack, 0
	.set _ZN7rocprim17ROCPRIM_400000_NS6detail17trampoline_kernelINS0_14default_configENS1_27scan_by_key_config_selectorIssEEZZNS1_16scan_by_key_implILNS1_25lookback_scan_determinismE0ELb0ES3_N6thrust23THRUST_200600_302600_NS6detail15normal_iteratorINS9_10device_ptrIsEEEESE_SE_sNS9_4plusIvEENS9_8equal_toIvEEsEE10hipError_tPvRmT2_T3_T4_T5_mT6_T7_P12ihipStream_tbENKUlT_T0_E_clISt17integral_constantIbLb1EESY_IbLb0EEEEDaSU_SV_EUlSU_E_NS1_11comp_targetILNS1_3genE2ELNS1_11target_archE906ELNS1_3gpuE6ELNS1_3repE0EEENS1_30default_config_static_selectorELNS0_4arch9wavefront6targetE0EEEvT1_.has_recursion, 0
	.set _ZN7rocprim17ROCPRIM_400000_NS6detail17trampoline_kernelINS0_14default_configENS1_27scan_by_key_config_selectorIssEEZZNS1_16scan_by_key_implILNS1_25lookback_scan_determinismE0ELb0ES3_N6thrust23THRUST_200600_302600_NS6detail15normal_iteratorINS9_10device_ptrIsEEEESE_SE_sNS9_4plusIvEENS9_8equal_toIvEEsEE10hipError_tPvRmT2_T3_T4_T5_mT6_T7_P12ihipStream_tbENKUlT_T0_E_clISt17integral_constantIbLb1EESY_IbLb0EEEEDaSU_SV_EUlSU_E_NS1_11comp_targetILNS1_3genE2ELNS1_11target_archE906ELNS1_3gpuE6ELNS1_3repE0EEENS1_30default_config_static_selectorELNS0_4arch9wavefront6targetE0EEEvT1_.has_indirect_call, 0
	.section	.AMDGPU.csdata,"",@progbits
; Kernel info:
; codeLenInByte = 0
; TotalNumSgprs: 0
; NumVgprs: 0
; ScratchSize: 0
; MemoryBound: 0
; FloatMode: 240
; IeeeMode: 1
; LDSByteSize: 0 bytes/workgroup (compile time only)
; SGPRBlocks: 0
; VGPRBlocks: 0
; NumSGPRsForWavesPerEU: 1
; NumVGPRsForWavesPerEU: 1
; Occupancy: 16
; WaveLimiterHint : 0
; COMPUTE_PGM_RSRC2:SCRATCH_EN: 0
; COMPUTE_PGM_RSRC2:USER_SGPR: 6
; COMPUTE_PGM_RSRC2:TRAP_HANDLER: 0
; COMPUTE_PGM_RSRC2:TGID_X_EN: 1
; COMPUTE_PGM_RSRC2:TGID_Y_EN: 0
; COMPUTE_PGM_RSRC2:TGID_Z_EN: 0
; COMPUTE_PGM_RSRC2:TIDIG_COMP_CNT: 0
	.section	.text._ZN7rocprim17ROCPRIM_400000_NS6detail17trampoline_kernelINS0_14default_configENS1_27scan_by_key_config_selectorIssEEZZNS1_16scan_by_key_implILNS1_25lookback_scan_determinismE0ELb0ES3_N6thrust23THRUST_200600_302600_NS6detail15normal_iteratorINS9_10device_ptrIsEEEESE_SE_sNS9_4plusIvEENS9_8equal_toIvEEsEE10hipError_tPvRmT2_T3_T4_T5_mT6_T7_P12ihipStream_tbENKUlT_T0_E_clISt17integral_constantIbLb1EESY_IbLb0EEEEDaSU_SV_EUlSU_E_NS1_11comp_targetILNS1_3genE10ELNS1_11target_archE1200ELNS1_3gpuE4ELNS1_3repE0EEENS1_30default_config_static_selectorELNS0_4arch9wavefront6targetE0EEEvT1_,"axG",@progbits,_ZN7rocprim17ROCPRIM_400000_NS6detail17trampoline_kernelINS0_14default_configENS1_27scan_by_key_config_selectorIssEEZZNS1_16scan_by_key_implILNS1_25lookback_scan_determinismE0ELb0ES3_N6thrust23THRUST_200600_302600_NS6detail15normal_iteratorINS9_10device_ptrIsEEEESE_SE_sNS9_4plusIvEENS9_8equal_toIvEEsEE10hipError_tPvRmT2_T3_T4_T5_mT6_T7_P12ihipStream_tbENKUlT_T0_E_clISt17integral_constantIbLb1EESY_IbLb0EEEEDaSU_SV_EUlSU_E_NS1_11comp_targetILNS1_3genE10ELNS1_11target_archE1200ELNS1_3gpuE4ELNS1_3repE0EEENS1_30default_config_static_selectorELNS0_4arch9wavefront6targetE0EEEvT1_,comdat
	.protected	_ZN7rocprim17ROCPRIM_400000_NS6detail17trampoline_kernelINS0_14default_configENS1_27scan_by_key_config_selectorIssEEZZNS1_16scan_by_key_implILNS1_25lookback_scan_determinismE0ELb0ES3_N6thrust23THRUST_200600_302600_NS6detail15normal_iteratorINS9_10device_ptrIsEEEESE_SE_sNS9_4plusIvEENS9_8equal_toIvEEsEE10hipError_tPvRmT2_T3_T4_T5_mT6_T7_P12ihipStream_tbENKUlT_T0_E_clISt17integral_constantIbLb1EESY_IbLb0EEEEDaSU_SV_EUlSU_E_NS1_11comp_targetILNS1_3genE10ELNS1_11target_archE1200ELNS1_3gpuE4ELNS1_3repE0EEENS1_30default_config_static_selectorELNS0_4arch9wavefront6targetE0EEEvT1_ ; -- Begin function _ZN7rocprim17ROCPRIM_400000_NS6detail17trampoline_kernelINS0_14default_configENS1_27scan_by_key_config_selectorIssEEZZNS1_16scan_by_key_implILNS1_25lookback_scan_determinismE0ELb0ES3_N6thrust23THRUST_200600_302600_NS6detail15normal_iteratorINS9_10device_ptrIsEEEESE_SE_sNS9_4plusIvEENS9_8equal_toIvEEsEE10hipError_tPvRmT2_T3_T4_T5_mT6_T7_P12ihipStream_tbENKUlT_T0_E_clISt17integral_constantIbLb1EESY_IbLb0EEEEDaSU_SV_EUlSU_E_NS1_11comp_targetILNS1_3genE10ELNS1_11target_archE1200ELNS1_3gpuE4ELNS1_3repE0EEENS1_30default_config_static_selectorELNS0_4arch9wavefront6targetE0EEEvT1_
	.globl	_ZN7rocprim17ROCPRIM_400000_NS6detail17trampoline_kernelINS0_14default_configENS1_27scan_by_key_config_selectorIssEEZZNS1_16scan_by_key_implILNS1_25lookback_scan_determinismE0ELb0ES3_N6thrust23THRUST_200600_302600_NS6detail15normal_iteratorINS9_10device_ptrIsEEEESE_SE_sNS9_4plusIvEENS9_8equal_toIvEEsEE10hipError_tPvRmT2_T3_T4_T5_mT6_T7_P12ihipStream_tbENKUlT_T0_E_clISt17integral_constantIbLb1EESY_IbLb0EEEEDaSU_SV_EUlSU_E_NS1_11comp_targetILNS1_3genE10ELNS1_11target_archE1200ELNS1_3gpuE4ELNS1_3repE0EEENS1_30default_config_static_selectorELNS0_4arch9wavefront6targetE0EEEvT1_
	.p2align	8
	.type	_ZN7rocprim17ROCPRIM_400000_NS6detail17trampoline_kernelINS0_14default_configENS1_27scan_by_key_config_selectorIssEEZZNS1_16scan_by_key_implILNS1_25lookback_scan_determinismE0ELb0ES3_N6thrust23THRUST_200600_302600_NS6detail15normal_iteratorINS9_10device_ptrIsEEEESE_SE_sNS9_4plusIvEENS9_8equal_toIvEEsEE10hipError_tPvRmT2_T3_T4_T5_mT6_T7_P12ihipStream_tbENKUlT_T0_E_clISt17integral_constantIbLb1EESY_IbLb0EEEEDaSU_SV_EUlSU_E_NS1_11comp_targetILNS1_3genE10ELNS1_11target_archE1200ELNS1_3gpuE4ELNS1_3repE0EEENS1_30default_config_static_selectorELNS0_4arch9wavefront6targetE0EEEvT1_,@function
_ZN7rocprim17ROCPRIM_400000_NS6detail17trampoline_kernelINS0_14default_configENS1_27scan_by_key_config_selectorIssEEZZNS1_16scan_by_key_implILNS1_25lookback_scan_determinismE0ELb0ES3_N6thrust23THRUST_200600_302600_NS6detail15normal_iteratorINS9_10device_ptrIsEEEESE_SE_sNS9_4plusIvEENS9_8equal_toIvEEsEE10hipError_tPvRmT2_T3_T4_T5_mT6_T7_P12ihipStream_tbENKUlT_T0_E_clISt17integral_constantIbLb1EESY_IbLb0EEEEDaSU_SV_EUlSU_E_NS1_11comp_targetILNS1_3genE10ELNS1_11target_archE1200ELNS1_3gpuE4ELNS1_3repE0EEENS1_30default_config_static_selectorELNS0_4arch9wavefront6targetE0EEEvT1_: ; @_ZN7rocprim17ROCPRIM_400000_NS6detail17trampoline_kernelINS0_14default_configENS1_27scan_by_key_config_selectorIssEEZZNS1_16scan_by_key_implILNS1_25lookback_scan_determinismE0ELb0ES3_N6thrust23THRUST_200600_302600_NS6detail15normal_iteratorINS9_10device_ptrIsEEEESE_SE_sNS9_4plusIvEENS9_8equal_toIvEEsEE10hipError_tPvRmT2_T3_T4_T5_mT6_T7_P12ihipStream_tbENKUlT_T0_E_clISt17integral_constantIbLb1EESY_IbLb0EEEEDaSU_SV_EUlSU_E_NS1_11comp_targetILNS1_3genE10ELNS1_11target_archE1200ELNS1_3gpuE4ELNS1_3repE0EEENS1_30default_config_static_selectorELNS0_4arch9wavefront6targetE0EEEvT1_
; %bb.0:
	.section	.rodata,"a",@progbits
	.p2align	6, 0x0
	.amdhsa_kernel _ZN7rocprim17ROCPRIM_400000_NS6detail17trampoline_kernelINS0_14default_configENS1_27scan_by_key_config_selectorIssEEZZNS1_16scan_by_key_implILNS1_25lookback_scan_determinismE0ELb0ES3_N6thrust23THRUST_200600_302600_NS6detail15normal_iteratorINS9_10device_ptrIsEEEESE_SE_sNS9_4plusIvEENS9_8equal_toIvEEsEE10hipError_tPvRmT2_T3_T4_T5_mT6_T7_P12ihipStream_tbENKUlT_T0_E_clISt17integral_constantIbLb1EESY_IbLb0EEEEDaSU_SV_EUlSU_E_NS1_11comp_targetILNS1_3genE10ELNS1_11target_archE1200ELNS1_3gpuE4ELNS1_3repE0EEENS1_30default_config_static_selectorELNS0_4arch9wavefront6targetE0EEEvT1_
		.amdhsa_group_segment_fixed_size 0
		.amdhsa_private_segment_fixed_size 0
		.amdhsa_kernarg_size 112
		.amdhsa_user_sgpr_count 6
		.amdhsa_user_sgpr_private_segment_buffer 1
		.amdhsa_user_sgpr_dispatch_ptr 0
		.amdhsa_user_sgpr_queue_ptr 0
		.amdhsa_user_sgpr_kernarg_segment_ptr 1
		.amdhsa_user_sgpr_dispatch_id 0
		.amdhsa_user_sgpr_flat_scratch_init 0
		.amdhsa_user_sgpr_private_segment_size 0
		.amdhsa_wavefront_size32 1
		.amdhsa_uses_dynamic_stack 0
		.amdhsa_system_sgpr_private_segment_wavefront_offset 0
		.amdhsa_system_sgpr_workgroup_id_x 1
		.amdhsa_system_sgpr_workgroup_id_y 0
		.amdhsa_system_sgpr_workgroup_id_z 0
		.amdhsa_system_sgpr_workgroup_info 0
		.amdhsa_system_vgpr_workitem_id 0
		.amdhsa_next_free_vgpr 1
		.amdhsa_next_free_sgpr 1
		.amdhsa_reserve_vcc 0
		.amdhsa_reserve_flat_scratch 0
		.amdhsa_float_round_mode_32 0
		.amdhsa_float_round_mode_16_64 0
		.amdhsa_float_denorm_mode_32 3
		.amdhsa_float_denorm_mode_16_64 3
		.amdhsa_dx10_clamp 1
		.amdhsa_ieee_mode 1
		.amdhsa_fp16_overflow 0
		.amdhsa_workgroup_processor_mode 1
		.amdhsa_memory_ordered 1
		.amdhsa_forward_progress 1
		.amdhsa_shared_vgpr_count 0
		.amdhsa_exception_fp_ieee_invalid_op 0
		.amdhsa_exception_fp_denorm_src 0
		.amdhsa_exception_fp_ieee_div_zero 0
		.amdhsa_exception_fp_ieee_overflow 0
		.amdhsa_exception_fp_ieee_underflow 0
		.amdhsa_exception_fp_ieee_inexact 0
		.amdhsa_exception_int_div_zero 0
	.end_amdhsa_kernel
	.section	.text._ZN7rocprim17ROCPRIM_400000_NS6detail17trampoline_kernelINS0_14default_configENS1_27scan_by_key_config_selectorIssEEZZNS1_16scan_by_key_implILNS1_25lookback_scan_determinismE0ELb0ES3_N6thrust23THRUST_200600_302600_NS6detail15normal_iteratorINS9_10device_ptrIsEEEESE_SE_sNS9_4plusIvEENS9_8equal_toIvEEsEE10hipError_tPvRmT2_T3_T4_T5_mT6_T7_P12ihipStream_tbENKUlT_T0_E_clISt17integral_constantIbLb1EESY_IbLb0EEEEDaSU_SV_EUlSU_E_NS1_11comp_targetILNS1_3genE10ELNS1_11target_archE1200ELNS1_3gpuE4ELNS1_3repE0EEENS1_30default_config_static_selectorELNS0_4arch9wavefront6targetE0EEEvT1_,"axG",@progbits,_ZN7rocprim17ROCPRIM_400000_NS6detail17trampoline_kernelINS0_14default_configENS1_27scan_by_key_config_selectorIssEEZZNS1_16scan_by_key_implILNS1_25lookback_scan_determinismE0ELb0ES3_N6thrust23THRUST_200600_302600_NS6detail15normal_iteratorINS9_10device_ptrIsEEEESE_SE_sNS9_4plusIvEENS9_8equal_toIvEEsEE10hipError_tPvRmT2_T3_T4_T5_mT6_T7_P12ihipStream_tbENKUlT_T0_E_clISt17integral_constantIbLb1EESY_IbLb0EEEEDaSU_SV_EUlSU_E_NS1_11comp_targetILNS1_3genE10ELNS1_11target_archE1200ELNS1_3gpuE4ELNS1_3repE0EEENS1_30default_config_static_selectorELNS0_4arch9wavefront6targetE0EEEvT1_,comdat
.Lfunc_end267:
	.size	_ZN7rocprim17ROCPRIM_400000_NS6detail17trampoline_kernelINS0_14default_configENS1_27scan_by_key_config_selectorIssEEZZNS1_16scan_by_key_implILNS1_25lookback_scan_determinismE0ELb0ES3_N6thrust23THRUST_200600_302600_NS6detail15normal_iteratorINS9_10device_ptrIsEEEESE_SE_sNS9_4plusIvEENS9_8equal_toIvEEsEE10hipError_tPvRmT2_T3_T4_T5_mT6_T7_P12ihipStream_tbENKUlT_T0_E_clISt17integral_constantIbLb1EESY_IbLb0EEEEDaSU_SV_EUlSU_E_NS1_11comp_targetILNS1_3genE10ELNS1_11target_archE1200ELNS1_3gpuE4ELNS1_3repE0EEENS1_30default_config_static_selectorELNS0_4arch9wavefront6targetE0EEEvT1_, .Lfunc_end267-_ZN7rocprim17ROCPRIM_400000_NS6detail17trampoline_kernelINS0_14default_configENS1_27scan_by_key_config_selectorIssEEZZNS1_16scan_by_key_implILNS1_25lookback_scan_determinismE0ELb0ES3_N6thrust23THRUST_200600_302600_NS6detail15normal_iteratorINS9_10device_ptrIsEEEESE_SE_sNS9_4plusIvEENS9_8equal_toIvEEsEE10hipError_tPvRmT2_T3_T4_T5_mT6_T7_P12ihipStream_tbENKUlT_T0_E_clISt17integral_constantIbLb1EESY_IbLb0EEEEDaSU_SV_EUlSU_E_NS1_11comp_targetILNS1_3genE10ELNS1_11target_archE1200ELNS1_3gpuE4ELNS1_3repE0EEENS1_30default_config_static_selectorELNS0_4arch9wavefront6targetE0EEEvT1_
                                        ; -- End function
	.set _ZN7rocprim17ROCPRIM_400000_NS6detail17trampoline_kernelINS0_14default_configENS1_27scan_by_key_config_selectorIssEEZZNS1_16scan_by_key_implILNS1_25lookback_scan_determinismE0ELb0ES3_N6thrust23THRUST_200600_302600_NS6detail15normal_iteratorINS9_10device_ptrIsEEEESE_SE_sNS9_4plusIvEENS9_8equal_toIvEEsEE10hipError_tPvRmT2_T3_T4_T5_mT6_T7_P12ihipStream_tbENKUlT_T0_E_clISt17integral_constantIbLb1EESY_IbLb0EEEEDaSU_SV_EUlSU_E_NS1_11comp_targetILNS1_3genE10ELNS1_11target_archE1200ELNS1_3gpuE4ELNS1_3repE0EEENS1_30default_config_static_selectorELNS0_4arch9wavefront6targetE0EEEvT1_.num_vgpr, 0
	.set _ZN7rocprim17ROCPRIM_400000_NS6detail17trampoline_kernelINS0_14default_configENS1_27scan_by_key_config_selectorIssEEZZNS1_16scan_by_key_implILNS1_25lookback_scan_determinismE0ELb0ES3_N6thrust23THRUST_200600_302600_NS6detail15normal_iteratorINS9_10device_ptrIsEEEESE_SE_sNS9_4plusIvEENS9_8equal_toIvEEsEE10hipError_tPvRmT2_T3_T4_T5_mT6_T7_P12ihipStream_tbENKUlT_T0_E_clISt17integral_constantIbLb1EESY_IbLb0EEEEDaSU_SV_EUlSU_E_NS1_11comp_targetILNS1_3genE10ELNS1_11target_archE1200ELNS1_3gpuE4ELNS1_3repE0EEENS1_30default_config_static_selectorELNS0_4arch9wavefront6targetE0EEEvT1_.num_agpr, 0
	.set _ZN7rocprim17ROCPRIM_400000_NS6detail17trampoline_kernelINS0_14default_configENS1_27scan_by_key_config_selectorIssEEZZNS1_16scan_by_key_implILNS1_25lookback_scan_determinismE0ELb0ES3_N6thrust23THRUST_200600_302600_NS6detail15normal_iteratorINS9_10device_ptrIsEEEESE_SE_sNS9_4plusIvEENS9_8equal_toIvEEsEE10hipError_tPvRmT2_T3_T4_T5_mT6_T7_P12ihipStream_tbENKUlT_T0_E_clISt17integral_constantIbLb1EESY_IbLb0EEEEDaSU_SV_EUlSU_E_NS1_11comp_targetILNS1_3genE10ELNS1_11target_archE1200ELNS1_3gpuE4ELNS1_3repE0EEENS1_30default_config_static_selectorELNS0_4arch9wavefront6targetE0EEEvT1_.numbered_sgpr, 0
	.set _ZN7rocprim17ROCPRIM_400000_NS6detail17trampoline_kernelINS0_14default_configENS1_27scan_by_key_config_selectorIssEEZZNS1_16scan_by_key_implILNS1_25lookback_scan_determinismE0ELb0ES3_N6thrust23THRUST_200600_302600_NS6detail15normal_iteratorINS9_10device_ptrIsEEEESE_SE_sNS9_4plusIvEENS9_8equal_toIvEEsEE10hipError_tPvRmT2_T3_T4_T5_mT6_T7_P12ihipStream_tbENKUlT_T0_E_clISt17integral_constantIbLb1EESY_IbLb0EEEEDaSU_SV_EUlSU_E_NS1_11comp_targetILNS1_3genE10ELNS1_11target_archE1200ELNS1_3gpuE4ELNS1_3repE0EEENS1_30default_config_static_selectorELNS0_4arch9wavefront6targetE0EEEvT1_.num_named_barrier, 0
	.set _ZN7rocprim17ROCPRIM_400000_NS6detail17trampoline_kernelINS0_14default_configENS1_27scan_by_key_config_selectorIssEEZZNS1_16scan_by_key_implILNS1_25lookback_scan_determinismE0ELb0ES3_N6thrust23THRUST_200600_302600_NS6detail15normal_iteratorINS9_10device_ptrIsEEEESE_SE_sNS9_4plusIvEENS9_8equal_toIvEEsEE10hipError_tPvRmT2_T3_T4_T5_mT6_T7_P12ihipStream_tbENKUlT_T0_E_clISt17integral_constantIbLb1EESY_IbLb0EEEEDaSU_SV_EUlSU_E_NS1_11comp_targetILNS1_3genE10ELNS1_11target_archE1200ELNS1_3gpuE4ELNS1_3repE0EEENS1_30default_config_static_selectorELNS0_4arch9wavefront6targetE0EEEvT1_.private_seg_size, 0
	.set _ZN7rocprim17ROCPRIM_400000_NS6detail17trampoline_kernelINS0_14default_configENS1_27scan_by_key_config_selectorIssEEZZNS1_16scan_by_key_implILNS1_25lookback_scan_determinismE0ELb0ES3_N6thrust23THRUST_200600_302600_NS6detail15normal_iteratorINS9_10device_ptrIsEEEESE_SE_sNS9_4plusIvEENS9_8equal_toIvEEsEE10hipError_tPvRmT2_T3_T4_T5_mT6_T7_P12ihipStream_tbENKUlT_T0_E_clISt17integral_constantIbLb1EESY_IbLb0EEEEDaSU_SV_EUlSU_E_NS1_11comp_targetILNS1_3genE10ELNS1_11target_archE1200ELNS1_3gpuE4ELNS1_3repE0EEENS1_30default_config_static_selectorELNS0_4arch9wavefront6targetE0EEEvT1_.uses_vcc, 0
	.set _ZN7rocprim17ROCPRIM_400000_NS6detail17trampoline_kernelINS0_14default_configENS1_27scan_by_key_config_selectorIssEEZZNS1_16scan_by_key_implILNS1_25lookback_scan_determinismE0ELb0ES3_N6thrust23THRUST_200600_302600_NS6detail15normal_iteratorINS9_10device_ptrIsEEEESE_SE_sNS9_4plusIvEENS9_8equal_toIvEEsEE10hipError_tPvRmT2_T3_T4_T5_mT6_T7_P12ihipStream_tbENKUlT_T0_E_clISt17integral_constantIbLb1EESY_IbLb0EEEEDaSU_SV_EUlSU_E_NS1_11comp_targetILNS1_3genE10ELNS1_11target_archE1200ELNS1_3gpuE4ELNS1_3repE0EEENS1_30default_config_static_selectorELNS0_4arch9wavefront6targetE0EEEvT1_.uses_flat_scratch, 0
	.set _ZN7rocprim17ROCPRIM_400000_NS6detail17trampoline_kernelINS0_14default_configENS1_27scan_by_key_config_selectorIssEEZZNS1_16scan_by_key_implILNS1_25lookback_scan_determinismE0ELb0ES3_N6thrust23THRUST_200600_302600_NS6detail15normal_iteratorINS9_10device_ptrIsEEEESE_SE_sNS9_4plusIvEENS9_8equal_toIvEEsEE10hipError_tPvRmT2_T3_T4_T5_mT6_T7_P12ihipStream_tbENKUlT_T0_E_clISt17integral_constantIbLb1EESY_IbLb0EEEEDaSU_SV_EUlSU_E_NS1_11comp_targetILNS1_3genE10ELNS1_11target_archE1200ELNS1_3gpuE4ELNS1_3repE0EEENS1_30default_config_static_selectorELNS0_4arch9wavefront6targetE0EEEvT1_.has_dyn_sized_stack, 0
	.set _ZN7rocprim17ROCPRIM_400000_NS6detail17trampoline_kernelINS0_14default_configENS1_27scan_by_key_config_selectorIssEEZZNS1_16scan_by_key_implILNS1_25lookback_scan_determinismE0ELb0ES3_N6thrust23THRUST_200600_302600_NS6detail15normal_iteratorINS9_10device_ptrIsEEEESE_SE_sNS9_4plusIvEENS9_8equal_toIvEEsEE10hipError_tPvRmT2_T3_T4_T5_mT6_T7_P12ihipStream_tbENKUlT_T0_E_clISt17integral_constantIbLb1EESY_IbLb0EEEEDaSU_SV_EUlSU_E_NS1_11comp_targetILNS1_3genE10ELNS1_11target_archE1200ELNS1_3gpuE4ELNS1_3repE0EEENS1_30default_config_static_selectorELNS0_4arch9wavefront6targetE0EEEvT1_.has_recursion, 0
	.set _ZN7rocprim17ROCPRIM_400000_NS6detail17trampoline_kernelINS0_14default_configENS1_27scan_by_key_config_selectorIssEEZZNS1_16scan_by_key_implILNS1_25lookback_scan_determinismE0ELb0ES3_N6thrust23THRUST_200600_302600_NS6detail15normal_iteratorINS9_10device_ptrIsEEEESE_SE_sNS9_4plusIvEENS9_8equal_toIvEEsEE10hipError_tPvRmT2_T3_T4_T5_mT6_T7_P12ihipStream_tbENKUlT_T0_E_clISt17integral_constantIbLb1EESY_IbLb0EEEEDaSU_SV_EUlSU_E_NS1_11comp_targetILNS1_3genE10ELNS1_11target_archE1200ELNS1_3gpuE4ELNS1_3repE0EEENS1_30default_config_static_selectorELNS0_4arch9wavefront6targetE0EEEvT1_.has_indirect_call, 0
	.section	.AMDGPU.csdata,"",@progbits
; Kernel info:
; codeLenInByte = 0
; TotalNumSgprs: 0
; NumVgprs: 0
; ScratchSize: 0
; MemoryBound: 0
; FloatMode: 240
; IeeeMode: 1
; LDSByteSize: 0 bytes/workgroup (compile time only)
; SGPRBlocks: 0
; VGPRBlocks: 0
; NumSGPRsForWavesPerEU: 1
; NumVGPRsForWavesPerEU: 1
; Occupancy: 16
; WaveLimiterHint : 0
; COMPUTE_PGM_RSRC2:SCRATCH_EN: 0
; COMPUTE_PGM_RSRC2:USER_SGPR: 6
; COMPUTE_PGM_RSRC2:TRAP_HANDLER: 0
; COMPUTE_PGM_RSRC2:TGID_X_EN: 1
; COMPUTE_PGM_RSRC2:TGID_Y_EN: 0
; COMPUTE_PGM_RSRC2:TGID_Z_EN: 0
; COMPUTE_PGM_RSRC2:TIDIG_COMP_CNT: 0
	.section	.text._ZN7rocprim17ROCPRIM_400000_NS6detail17trampoline_kernelINS0_14default_configENS1_27scan_by_key_config_selectorIssEEZZNS1_16scan_by_key_implILNS1_25lookback_scan_determinismE0ELb0ES3_N6thrust23THRUST_200600_302600_NS6detail15normal_iteratorINS9_10device_ptrIsEEEESE_SE_sNS9_4plusIvEENS9_8equal_toIvEEsEE10hipError_tPvRmT2_T3_T4_T5_mT6_T7_P12ihipStream_tbENKUlT_T0_E_clISt17integral_constantIbLb1EESY_IbLb0EEEEDaSU_SV_EUlSU_E_NS1_11comp_targetILNS1_3genE9ELNS1_11target_archE1100ELNS1_3gpuE3ELNS1_3repE0EEENS1_30default_config_static_selectorELNS0_4arch9wavefront6targetE0EEEvT1_,"axG",@progbits,_ZN7rocprim17ROCPRIM_400000_NS6detail17trampoline_kernelINS0_14default_configENS1_27scan_by_key_config_selectorIssEEZZNS1_16scan_by_key_implILNS1_25lookback_scan_determinismE0ELb0ES3_N6thrust23THRUST_200600_302600_NS6detail15normal_iteratorINS9_10device_ptrIsEEEESE_SE_sNS9_4plusIvEENS9_8equal_toIvEEsEE10hipError_tPvRmT2_T3_T4_T5_mT6_T7_P12ihipStream_tbENKUlT_T0_E_clISt17integral_constantIbLb1EESY_IbLb0EEEEDaSU_SV_EUlSU_E_NS1_11comp_targetILNS1_3genE9ELNS1_11target_archE1100ELNS1_3gpuE3ELNS1_3repE0EEENS1_30default_config_static_selectorELNS0_4arch9wavefront6targetE0EEEvT1_,comdat
	.protected	_ZN7rocprim17ROCPRIM_400000_NS6detail17trampoline_kernelINS0_14default_configENS1_27scan_by_key_config_selectorIssEEZZNS1_16scan_by_key_implILNS1_25lookback_scan_determinismE0ELb0ES3_N6thrust23THRUST_200600_302600_NS6detail15normal_iteratorINS9_10device_ptrIsEEEESE_SE_sNS9_4plusIvEENS9_8equal_toIvEEsEE10hipError_tPvRmT2_T3_T4_T5_mT6_T7_P12ihipStream_tbENKUlT_T0_E_clISt17integral_constantIbLb1EESY_IbLb0EEEEDaSU_SV_EUlSU_E_NS1_11comp_targetILNS1_3genE9ELNS1_11target_archE1100ELNS1_3gpuE3ELNS1_3repE0EEENS1_30default_config_static_selectorELNS0_4arch9wavefront6targetE0EEEvT1_ ; -- Begin function _ZN7rocprim17ROCPRIM_400000_NS6detail17trampoline_kernelINS0_14default_configENS1_27scan_by_key_config_selectorIssEEZZNS1_16scan_by_key_implILNS1_25lookback_scan_determinismE0ELb0ES3_N6thrust23THRUST_200600_302600_NS6detail15normal_iteratorINS9_10device_ptrIsEEEESE_SE_sNS9_4plusIvEENS9_8equal_toIvEEsEE10hipError_tPvRmT2_T3_T4_T5_mT6_T7_P12ihipStream_tbENKUlT_T0_E_clISt17integral_constantIbLb1EESY_IbLb0EEEEDaSU_SV_EUlSU_E_NS1_11comp_targetILNS1_3genE9ELNS1_11target_archE1100ELNS1_3gpuE3ELNS1_3repE0EEENS1_30default_config_static_selectorELNS0_4arch9wavefront6targetE0EEEvT1_
	.globl	_ZN7rocprim17ROCPRIM_400000_NS6detail17trampoline_kernelINS0_14default_configENS1_27scan_by_key_config_selectorIssEEZZNS1_16scan_by_key_implILNS1_25lookback_scan_determinismE0ELb0ES3_N6thrust23THRUST_200600_302600_NS6detail15normal_iteratorINS9_10device_ptrIsEEEESE_SE_sNS9_4plusIvEENS9_8equal_toIvEEsEE10hipError_tPvRmT2_T3_T4_T5_mT6_T7_P12ihipStream_tbENKUlT_T0_E_clISt17integral_constantIbLb1EESY_IbLb0EEEEDaSU_SV_EUlSU_E_NS1_11comp_targetILNS1_3genE9ELNS1_11target_archE1100ELNS1_3gpuE3ELNS1_3repE0EEENS1_30default_config_static_selectorELNS0_4arch9wavefront6targetE0EEEvT1_
	.p2align	8
	.type	_ZN7rocprim17ROCPRIM_400000_NS6detail17trampoline_kernelINS0_14default_configENS1_27scan_by_key_config_selectorIssEEZZNS1_16scan_by_key_implILNS1_25lookback_scan_determinismE0ELb0ES3_N6thrust23THRUST_200600_302600_NS6detail15normal_iteratorINS9_10device_ptrIsEEEESE_SE_sNS9_4plusIvEENS9_8equal_toIvEEsEE10hipError_tPvRmT2_T3_T4_T5_mT6_T7_P12ihipStream_tbENKUlT_T0_E_clISt17integral_constantIbLb1EESY_IbLb0EEEEDaSU_SV_EUlSU_E_NS1_11comp_targetILNS1_3genE9ELNS1_11target_archE1100ELNS1_3gpuE3ELNS1_3repE0EEENS1_30default_config_static_selectorELNS0_4arch9wavefront6targetE0EEEvT1_,@function
_ZN7rocprim17ROCPRIM_400000_NS6detail17trampoline_kernelINS0_14default_configENS1_27scan_by_key_config_selectorIssEEZZNS1_16scan_by_key_implILNS1_25lookback_scan_determinismE0ELb0ES3_N6thrust23THRUST_200600_302600_NS6detail15normal_iteratorINS9_10device_ptrIsEEEESE_SE_sNS9_4plusIvEENS9_8equal_toIvEEsEE10hipError_tPvRmT2_T3_T4_T5_mT6_T7_P12ihipStream_tbENKUlT_T0_E_clISt17integral_constantIbLb1EESY_IbLb0EEEEDaSU_SV_EUlSU_E_NS1_11comp_targetILNS1_3genE9ELNS1_11target_archE1100ELNS1_3gpuE3ELNS1_3repE0EEENS1_30default_config_static_selectorELNS0_4arch9wavefront6targetE0EEEvT1_: ; @_ZN7rocprim17ROCPRIM_400000_NS6detail17trampoline_kernelINS0_14default_configENS1_27scan_by_key_config_selectorIssEEZZNS1_16scan_by_key_implILNS1_25lookback_scan_determinismE0ELb0ES3_N6thrust23THRUST_200600_302600_NS6detail15normal_iteratorINS9_10device_ptrIsEEEESE_SE_sNS9_4plusIvEENS9_8equal_toIvEEsEE10hipError_tPvRmT2_T3_T4_T5_mT6_T7_P12ihipStream_tbENKUlT_T0_E_clISt17integral_constantIbLb1EESY_IbLb0EEEEDaSU_SV_EUlSU_E_NS1_11comp_targetILNS1_3genE9ELNS1_11target_archE1100ELNS1_3gpuE3ELNS1_3repE0EEENS1_30default_config_static_selectorELNS0_4arch9wavefront6targetE0EEEvT1_
; %bb.0:
	.section	.rodata,"a",@progbits
	.p2align	6, 0x0
	.amdhsa_kernel _ZN7rocprim17ROCPRIM_400000_NS6detail17trampoline_kernelINS0_14default_configENS1_27scan_by_key_config_selectorIssEEZZNS1_16scan_by_key_implILNS1_25lookback_scan_determinismE0ELb0ES3_N6thrust23THRUST_200600_302600_NS6detail15normal_iteratorINS9_10device_ptrIsEEEESE_SE_sNS9_4plusIvEENS9_8equal_toIvEEsEE10hipError_tPvRmT2_T3_T4_T5_mT6_T7_P12ihipStream_tbENKUlT_T0_E_clISt17integral_constantIbLb1EESY_IbLb0EEEEDaSU_SV_EUlSU_E_NS1_11comp_targetILNS1_3genE9ELNS1_11target_archE1100ELNS1_3gpuE3ELNS1_3repE0EEENS1_30default_config_static_selectorELNS0_4arch9wavefront6targetE0EEEvT1_
		.amdhsa_group_segment_fixed_size 0
		.amdhsa_private_segment_fixed_size 0
		.amdhsa_kernarg_size 112
		.amdhsa_user_sgpr_count 6
		.amdhsa_user_sgpr_private_segment_buffer 1
		.amdhsa_user_sgpr_dispatch_ptr 0
		.amdhsa_user_sgpr_queue_ptr 0
		.amdhsa_user_sgpr_kernarg_segment_ptr 1
		.amdhsa_user_sgpr_dispatch_id 0
		.amdhsa_user_sgpr_flat_scratch_init 0
		.amdhsa_user_sgpr_private_segment_size 0
		.amdhsa_wavefront_size32 1
		.amdhsa_uses_dynamic_stack 0
		.amdhsa_system_sgpr_private_segment_wavefront_offset 0
		.amdhsa_system_sgpr_workgroup_id_x 1
		.amdhsa_system_sgpr_workgroup_id_y 0
		.amdhsa_system_sgpr_workgroup_id_z 0
		.amdhsa_system_sgpr_workgroup_info 0
		.amdhsa_system_vgpr_workitem_id 0
		.amdhsa_next_free_vgpr 1
		.amdhsa_next_free_sgpr 1
		.amdhsa_reserve_vcc 0
		.amdhsa_reserve_flat_scratch 0
		.amdhsa_float_round_mode_32 0
		.amdhsa_float_round_mode_16_64 0
		.amdhsa_float_denorm_mode_32 3
		.amdhsa_float_denorm_mode_16_64 3
		.amdhsa_dx10_clamp 1
		.amdhsa_ieee_mode 1
		.amdhsa_fp16_overflow 0
		.amdhsa_workgroup_processor_mode 1
		.amdhsa_memory_ordered 1
		.amdhsa_forward_progress 1
		.amdhsa_shared_vgpr_count 0
		.amdhsa_exception_fp_ieee_invalid_op 0
		.amdhsa_exception_fp_denorm_src 0
		.amdhsa_exception_fp_ieee_div_zero 0
		.amdhsa_exception_fp_ieee_overflow 0
		.amdhsa_exception_fp_ieee_underflow 0
		.amdhsa_exception_fp_ieee_inexact 0
		.amdhsa_exception_int_div_zero 0
	.end_amdhsa_kernel
	.section	.text._ZN7rocprim17ROCPRIM_400000_NS6detail17trampoline_kernelINS0_14default_configENS1_27scan_by_key_config_selectorIssEEZZNS1_16scan_by_key_implILNS1_25lookback_scan_determinismE0ELb0ES3_N6thrust23THRUST_200600_302600_NS6detail15normal_iteratorINS9_10device_ptrIsEEEESE_SE_sNS9_4plusIvEENS9_8equal_toIvEEsEE10hipError_tPvRmT2_T3_T4_T5_mT6_T7_P12ihipStream_tbENKUlT_T0_E_clISt17integral_constantIbLb1EESY_IbLb0EEEEDaSU_SV_EUlSU_E_NS1_11comp_targetILNS1_3genE9ELNS1_11target_archE1100ELNS1_3gpuE3ELNS1_3repE0EEENS1_30default_config_static_selectorELNS0_4arch9wavefront6targetE0EEEvT1_,"axG",@progbits,_ZN7rocprim17ROCPRIM_400000_NS6detail17trampoline_kernelINS0_14default_configENS1_27scan_by_key_config_selectorIssEEZZNS1_16scan_by_key_implILNS1_25lookback_scan_determinismE0ELb0ES3_N6thrust23THRUST_200600_302600_NS6detail15normal_iteratorINS9_10device_ptrIsEEEESE_SE_sNS9_4plusIvEENS9_8equal_toIvEEsEE10hipError_tPvRmT2_T3_T4_T5_mT6_T7_P12ihipStream_tbENKUlT_T0_E_clISt17integral_constantIbLb1EESY_IbLb0EEEEDaSU_SV_EUlSU_E_NS1_11comp_targetILNS1_3genE9ELNS1_11target_archE1100ELNS1_3gpuE3ELNS1_3repE0EEENS1_30default_config_static_selectorELNS0_4arch9wavefront6targetE0EEEvT1_,comdat
.Lfunc_end268:
	.size	_ZN7rocprim17ROCPRIM_400000_NS6detail17trampoline_kernelINS0_14default_configENS1_27scan_by_key_config_selectorIssEEZZNS1_16scan_by_key_implILNS1_25lookback_scan_determinismE0ELb0ES3_N6thrust23THRUST_200600_302600_NS6detail15normal_iteratorINS9_10device_ptrIsEEEESE_SE_sNS9_4plusIvEENS9_8equal_toIvEEsEE10hipError_tPvRmT2_T3_T4_T5_mT6_T7_P12ihipStream_tbENKUlT_T0_E_clISt17integral_constantIbLb1EESY_IbLb0EEEEDaSU_SV_EUlSU_E_NS1_11comp_targetILNS1_3genE9ELNS1_11target_archE1100ELNS1_3gpuE3ELNS1_3repE0EEENS1_30default_config_static_selectorELNS0_4arch9wavefront6targetE0EEEvT1_, .Lfunc_end268-_ZN7rocprim17ROCPRIM_400000_NS6detail17trampoline_kernelINS0_14default_configENS1_27scan_by_key_config_selectorIssEEZZNS1_16scan_by_key_implILNS1_25lookback_scan_determinismE0ELb0ES3_N6thrust23THRUST_200600_302600_NS6detail15normal_iteratorINS9_10device_ptrIsEEEESE_SE_sNS9_4plusIvEENS9_8equal_toIvEEsEE10hipError_tPvRmT2_T3_T4_T5_mT6_T7_P12ihipStream_tbENKUlT_T0_E_clISt17integral_constantIbLb1EESY_IbLb0EEEEDaSU_SV_EUlSU_E_NS1_11comp_targetILNS1_3genE9ELNS1_11target_archE1100ELNS1_3gpuE3ELNS1_3repE0EEENS1_30default_config_static_selectorELNS0_4arch9wavefront6targetE0EEEvT1_
                                        ; -- End function
	.set _ZN7rocprim17ROCPRIM_400000_NS6detail17trampoline_kernelINS0_14default_configENS1_27scan_by_key_config_selectorIssEEZZNS1_16scan_by_key_implILNS1_25lookback_scan_determinismE0ELb0ES3_N6thrust23THRUST_200600_302600_NS6detail15normal_iteratorINS9_10device_ptrIsEEEESE_SE_sNS9_4plusIvEENS9_8equal_toIvEEsEE10hipError_tPvRmT2_T3_T4_T5_mT6_T7_P12ihipStream_tbENKUlT_T0_E_clISt17integral_constantIbLb1EESY_IbLb0EEEEDaSU_SV_EUlSU_E_NS1_11comp_targetILNS1_3genE9ELNS1_11target_archE1100ELNS1_3gpuE3ELNS1_3repE0EEENS1_30default_config_static_selectorELNS0_4arch9wavefront6targetE0EEEvT1_.num_vgpr, 0
	.set _ZN7rocprim17ROCPRIM_400000_NS6detail17trampoline_kernelINS0_14default_configENS1_27scan_by_key_config_selectorIssEEZZNS1_16scan_by_key_implILNS1_25lookback_scan_determinismE0ELb0ES3_N6thrust23THRUST_200600_302600_NS6detail15normal_iteratorINS9_10device_ptrIsEEEESE_SE_sNS9_4plusIvEENS9_8equal_toIvEEsEE10hipError_tPvRmT2_T3_T4_T5_mT6_T7_P12ihipStream_tbENKUlT_T0_E_clISt17integral_constantIbLb1EESY_IbLb0EEEEDaSU_SV_EUlSU_E_NS1_11comp_targetILNS1_3genE9ELNS1_11target_archE1100ELNS1_3gpuE3ELNS1_3repE0EEENS1_30default_config_static_selectorELNS0_4arch9wavefront6targetE0EEEvT1_.num_agpr, 0
	.set _ZN7rocprim17ROCPRIM_400000_NS6detail17trampoline_kernelINS0_14default_configENS1_27scan_by_key_config_selectorIssEEZZNS1_16scan_by_key_implILNS1_25lookback_scan_determinismE0ELb0ES3_N6thrust23THRUST_200600_302600_NS6detail15normal_iteratorINS9_10device_ptrIsEEEESE_SE_sNS9_4plusIvEENS9_8equal_toIvEEsEE10hipError_tPvRmT2_T3_T4_T5_mT6_T7_P12ihipStream_tbENKUlT_T0_E_clISt17integral_constantIbLb1EESY_IbLb0EEEEDaSU_SV_EUlSU_E_NS1_11comp_targetILNS1_3genE9ELNS1_11target_archE1100ELNS1_3gpuE3ELNS1_3repE0EEENS1_30default_config_static_selectorELNS0_4arch9wavefront6targetE0EEEvT1_.numbered_sgpr, 0
	.set _ZN7rocprim17ROCPRIM_400000_NS6detail17trampoline_kernelINS0_14default_configENS1_27scan_by_key_config_selectorIssEEZZNS1_16scan_by_key_implILNS1_25lookback_scan_determinismE0ELb0ES3_N6thrust23THRUST_200600_302600_NS6detail15normal_iteratorINS9_10device_ptrIsEEEESE_SE_sNS9_4plusIvEENS9_8equal_toIvEEsEE10hipError_tPvRmT2_T3_T4_T5_mT6_T7_P12ihipStream_tbENKUlT_T0_E_clISt17integral_constantIbLb1EESY_IbLb0EEEEDaSU_SV_EUlSU_E_NS1_11comp_targetILNS1_3genE9ELNS1_11target_archE1100ELNS1_3gpuE3ELNS1_3repE0EEENS1_30default_config_static_selectorELNS0_4arch9wavefront6targetE0EEEvT1_.num_named_barrier, 0
	.set _ZN7rocprim17ROCPRIM_400000_NS6detail17trampoline_kernelINS0_14default_configENS1_27scan_by_key_config_selectorIssEEZZNS1_16scan_by_key_implILNS1_25lookback_scan_determinismE0ELb0ES3_N6thrust23THRUST_200600_302600_NS6detail15normal_iteratorINS9_10device_ptrIsEEEESE_SE_sNS9_4plusIvEENS9_8equal_toIvEEsEE10hipError_tPvRmT2_T3_T4_T5_mT6_T7_P12ihipStream_tbENKUlT_T0_E_clISt17integral_constantIbLb1EESY_IbLb0EEEEDaSU_SV_EUlSU_E_NS1_11comp_targetILNS1_3genE9ELNS1_11target_archE1100ELNS1_3gpuE3ELNS1_3repE0EEENS1_30default_config_static_selectorELNS0_4arch9wavefront6targetE0EEEvT1_.private_seg_size, 0
	.set _ZN7rocprim17ROCPRIM_400000_NS6detail17trampoline_kernelINS0_14default_configENS1_27scan_by_key_config_selectorIssEEZZNS1_16scan_by_key_implILNS1_25lookback_scan_determinismE0ELb0ES3_N6thrust23THRUST_200600_302600_NS6detail15normal_iteratorINS9_10device_ptrIsEEEESE_SE_sNS9_4plusIvEENS9_8equal_toIvEEsEE10hipError_tPvRmT2_T3_T4_T5_mT6_T7_P12ihipStream_tbENKUlT_T0_E_clISt17integral_constantIbLb1EESY_IbLb0EEEEDaSU_SV_EUlSU_E_NS1_11comp_targetILNS1_3genE9ELNS1_11target_archE1100ELNS1_3gpuE3ELNS1_3repE0EEENS1_30default_config_static_selectorELNS0_4arch9wavefront6targetE0EEEvT1_.uses_vcc, 0
	.set _ZN7rocprim17ROCPRIM_400000_NS6detail17trampoline_kernelINS0_14default_configENS1_27scan_by_key_config_selectorIssEEZZNS1_16scan_by_key_implILNS1_25lookback_scan_determinismE0ELb0ES3_N6thrust23THRUST_200600_302600_NS6detail15normal_iteratorINS9_10device_ptrIsEEEESE_SE_sNS9_4plusIvEENS9_8equal_toIvEEsEE10hipError_tPvRmT2_T3_T4_T5_mT6_T7_P12ihipStream_tbENKUlT_T0_E_clISt17integral_constantIbLb1EESY_IbLb0EEEEDaSU_SV_EUlSU_E_NS1_11comp_targetILNS1_3genE9ELNS1_11target_archE1100ELNS1_3gpuE3ELNS1_3repE0EEENS1_30default_config_static_selectorELNS0_4arch9wavefront6targetE0EEEvT1_.uses_flat_scratch, 0
	.set _ZN7rocprim17ROCPRIM_400000_NS6detail17trampoline_kernelINS0_14default_configENS1_27scan_by_key_config_selectorIssEEZZNS1_16scan_by_key_implILNS1_25lookback_scan_determinismE0ELb0ES3_N6thrust23THRUST_200600_302600_NS6detail15normal_iteratorINS9_10device_ptrIsEEEESE_SE_sNS9_4plusIvEENS9_8equal_toIvEEsEE10hipError_tPvRmT2_T3_T4_T5_mT6_T7_P12ihipStream_tbENKUlT_T0_E_clISt17integral_constantIbLb1EESY_IbLb0EEEEDaSU_SV_EUlSU_E_NS1_11comp_targetILNS1_3genE9ELNS1_11target_archE1100ELNS1_3gpuE3ELNS1_3repE0EEENS1_30default_config_static_selectorELNS0_4arch9wavefront6targetE0EEEvT1_.has_dyn_sized_stack, 0
	.set _ZN7rocprim17ROCPRIM_400000_NS6detail17trampoline_kernelINS0_14default_configENS1_27scan_by_key_config_selectorIssEEZZNS1_16scan_by_key_implILNS1_25lookback_scan_determinismE0ELb0ES3_N6thrust23THRUST_200600_302600_NS6detail15normal_iteratorINS9_10device_ptrIsEEEESE_SE_sNS9_4plusIvEENS9_8equal_toIvEEsEE10hipError_tPvRmT2_T3_T4_T5_mT6_T7_P12ihipStream_tbENKUlT_T0_E_clISt17integral_constantIbLb1EESY_IbLb0EEEEDaSU_SV_EUlSU_E_NS1_11comp_targetILNS1_3genE9ELNS1_11target_archE1100ELNS1_3gpuE3ELNS1_3repE0EEENS1_30default_config_static_selectorELNS0_4arch9wavefront6targetE0EEEvT1_.has_recursion, 0
	.set _ZN7rocprim17ROCPRIM_400000_NS6detail17trampoline_kernelINS0_14default_configENS1_27scan_by_key_config_selectorIssEEZZNS1_16scan_by_key_implILNS1_25lookback_scan_determinismE0ELb0ES3_N6thrust23THRUST_200600_302600_NS6detail15normal_iteratorINS9_10device_ptrIsEEEESE_SE_sNS9_4plusIvEENS9_8equal_toIvEEsEE10hipError_tPvRmT2_T3_T4_T5_mT6_T7_P12ihipStream_tbENKUlT_T0_E_clISt17integral_constantIbLb1EESY_IbLb0EEEEDaSU_SV_EUlSU_E_NS1_11comp_targetILNS1_3genE9ELNS1_11target_archE1100ELNS1_3gpuE3ELNS1_3repE0EEENS1_30default_config_static_selectorELNS0_4arch9wavefront6targetE0EEEvT1_.has_indirect_call, 0
	.section	.AMDGPU.csdata,"",@progbits
; Kernel info:
; codeLenInByte = 0
; TotalNumSgprs: 0
; NumVgprs: 0
; ScratchSize: 0
; MemoryBound: 0
; FloatMode: 240
; IeeeMode: 1
; LDSByteSize: 0 bytes/workgroup (compile time only)
; SGPRBlocks: 0
; VGPRBlocks: 0
; NumSGPRsForWavesPerEU: 1
; NumVGPRsForWavesPerEU: 1
; Occupancy: 16
; WaveLimiterHint : 0
; COMPUTE_PGM_RSRC2:SCRATCH_EN: 0
; COMPUTE_PGM_RSRC2:USER_SGPR: 6
; COMPUTE_PGM_RSRC2:TRAP_HANDLER: 0
; COMPUTE_PGM_RSRC2:TGID_X_EN: 1
; COMPUTE_PGM_RSRC2:TGID_Y_EN: 0
; COMPUTE_PGM_RSRC2:TGID_Z_EN: 0
; COMPUTE_PGM_RSRC2:TIDIG_COMP_CNT: 0
	.section	.text._ZN7rocprim17ROCPRIM_400000_NS6detail17trampoline_kernelINS0_14default_configENS1_27scan_by_key_config_selectorIssEEZZNS1_16scan_by_key_implILNS1_25lookback_scan_determinismE0ELb0ES3_N6thrust23THRUST_200600_302600_NS6detail15normal_iteratorINS9_10device_ptrIsEEEESE_SE_sNS9_4plusIvEENS9_8equal_toIvEEsEE10hipError_tPvRmT2_T3_T4_T5_mT6_T7_P12ihipStream_tbENKUlT_T0_E_clISt17integral_constantIbLb1EESY_IbLb0EEEEDaSU_SV_EUlSU_E_NS1_11comp_targetILNS1_3genE8ELNS1_11target_archE1030ELNS1_3gpuE2ELNS1_3repE0EEENS1_30default_config_static_selectorELNS0_4arch9wavefront6targetE0EEEvT1_,"axG",@progbits,_ZN7rocprim17ROCPRIM_400000_NS6detail17trampoline_kernelINS0_14default_configENS1_27scan_by_key_config_selectorIssEEZZNS1_16scan_by_key_implILNS1_25lookback_scan_determinismE0ELb0ES3_N6thrust23THRUST_200600_302600_NS6detail15normal_iteratorINS9_10device_ptrIsEEEESE_SE_sNS9_4plusIvEENS9_8equal_toIvEEsEE10hipError_tPvRmT2_T3_T4_T5_mT6_T7_P12ihipStream_tbENKUlT_T0_E_clISt17integral_constantIbLb1EESY_IbLb0EEEEDaSU_SV_EUlSU_E_NS1_11comp_targetILNS1_3genE8ELNS1_11target_archE1030ELNS1_3gpuE2ELNS1_3repE0EEENS1_30default_config_static_selectorELNS0_4arch9wavefront6targetE0EEEvT1_,comdat
	.protected	_ZN7rocprim17ROCPRIM_400000_NS6detail17trampoline_kernelINS0_14default_configENS1_27scan_by_key_config_selectorIssEEZZNS1_16scan_by_key_implILNS1_25lookback_scan_determinismE0ELb0ES3_N6thrust23THRUST_200600_302600_NS6detail15normal_iteratorINS9_10device_ptrIsEEEESE_SE_sNS9_4plusIvEENS9_8equal_toIvEEsEE10hipError_tPvRmT2_T3_T4_T5_mT6_T7_P12ihipStream_tbENKUlT_T0_E_clISt17integral_constantIbLb1EESY_IbLb0EEEEDaSU_SV_EUlSU_E_NS1_11comp_targetILNS1_3genE8ELNS1_11target_archE1030ELNS1_3gpuE2ELNS1_3repE0EEENS1_30default_config_static_selectorELNS0_4arch9wavefront6targetE0EEEvT1_ ; -- Begin function _ZN7rocprim17ROCPRIM_400000_NS6detail17trampoline_kernelINS0_14default_configENS1_27scan_by_key_config_selectorIssEEZZNS1_16scan_by_key_implILNS1_25lookback_scan_determinismE0ELb0ES3_N6thrust23THRUST_200600_302600_NS6detail15normal_iteratorINS9_10device_ptrIsEEEESE_SE_sNS9_4plusIvEENS9_8equal_toIvEEsEE10hipError_tPvRmT2_T3_T4_T5_mT6_T7_P12ihipStream_tbENKUlT_T0_E_clISt17integral_constantIbLb1EESY_IbLb0EEEEDaSU_SV_EUlSU_E_NS1_11comp_targetILNS1_3genE8ELNS1_11target_archE1030ELNS1_3gpuE2ELNS1_3repE0EEENS1_30default_config_static_selectorELNS0_4arch9wavefront6targetE0EEEvT1_
	.globl	_ZN7rocprim17ROCPRIM_400000_NS6detail17trampoline_kernelINS0_14default_configENS1_27scan_by_key_config_selectorIssEEZZNS1_16scan_by_key_implILNS1_25lookback_scan_determinismE0ELb0ES3_N6thrust23THRUST_200600_302600_NS6detail15normal_iteratorINS9_10device_ptrIsEEEESE_SE_sNS9_4plusIvEENS9_8equal_toIvEEsEE10hipError_tPvRmT2_T3_T4_T5_mT6_T7_P12ihipStream_tbENKUlT_T0_E_clISt17integral_constantIbLb1EESY_IbLb0EEEEDaSU_SV_EUlSU_E_NS1_11comp_targetILNS1_3genE8ELNS1_11target_archE1030ELNS1_3gpuE2ELNS1_3repE0EEENS1_30default_config_static_selectorELNS0_4arch9wavefront6targetE0EEEvT1_
	.p2align	8
	.type	_ZN7rocprim17ROCPRIM_400000_NS6detail17trampoline_kernelINS0_14default_configENS1_27scan_by_key_config_selectorIssEEZZNS1_16scan_by_key_implILNS1_25lookback_scan_determinismE0ELb0ES3_N6thrust23THRUST_200600_302600_NS6detail15normal_iteratorINS9_10device_ptrIsEEEESE_SE_sNS9_4plusIvEENS9_8equal_toIvEEsEE10hipError_tPvRmT2_T3_T4_T5_mT6_T7_P12ihipStream_tbENKUlT_T0_E_clISt17integral_constantIbLb1EESY_IbLb0EEEEDaSU_SV_EUlSU_E_NS1_11comp_targetILNS1_3genE8ELNS1_11target_archE1030ELNS1_3gpuE2ELNS1_3repE0EEENS1_30default_config_static_selectorELNS0_4arch9wavefront6targetE0EEEvT1_,@function
_ZN7rocprim17ROCPRIM_400000_NS6detail17trampoline_kernelINS0_14default_configENS1_27scan_by_key_config_selectorIssEEZZNS1_16scan_by_key_implILNS1_25lookback_scan_determinismE0ELb0ES3_N6thrust23THRUST_200600_302600_NS6detail15normal_iteratorINS9_10device_ptrIsEEEESE_SE_sNS9_4plusIvEENS9_8equal_toIvEEsEE10hipError_tPvRmT2_T3_T4_T5_mT6_T7_P12ihipStream_tbENKUlT_T0_E_clISt17integral_constantIbLb1EESY_IbLb0EEEEDaSU_SV_EUlSU_E_NS1_11comp_targetILNS1_3genE8ELNS1_11target_archE1030ELNS1_3gpuE2ELNS1_3repE0EEENS1_30default_config_static_selectorELNS0_4arch9wavefront6targetE0EEEvT1_: ; @_ZN7rocprim17ROCPRIM_400000_NS6detail17trampoline_kernelINS0_14default_configENS1_27scan_by_key_config_selectorIssEEZZNS1_16scan_by_key_implILNS1_25lookback_scan_determinismE0ELb0ES3_N6thrust23THRUST_200600_302600_NS6detail15normal_iteratorINS9_10device_ptrIsEEEESE_SE_sNS9_4plusIvEENS9_8equal_toIvEEsEE10hipError_tPvRmT2_T3_T4_T5_mT6_T7_P12ihipStream_tbENKUlT_T0_E_clISt17integral_constantIbLb1EESY_IbLb0EEEEDaSU_SV_EUlSU_E_NS1_11comp_targetILNS1_3genE8ELNS1_11target_archE1030ELNS1_3gpuE2ELNS1_3repE0EEENS1_30default_config_static_selectorELNS0_4arch9wavefront6targetE0EEEvT1_
; %bb.0:
	s_endpgm
	.section	.rodata,"a",@progbits
	.p2align	6, 0x0
	.amdhsa_kernel _ZN7rocprim17ROCPRIM_400000_NS6detail17trampoline_kernelINS0_14default_configENS1_27scan_by_key_config_selectorIssEEZZNS1_16scan_by_key_implILNS1_25lookback_scan_determinismE0ELb0ES3_N6thrust23THRUST_200600_302600_NS6detail15normal_iteratorINS9_10device_ptrIsEEEESE_SE_sNS9_4plusIvEENS9_8equal_toIvEEsEE10hipError_tPvRmT2_T3_T4_T5_mT6_T7_P12ihipStream_tbENKUlT_T0_E_clISt17integral_constantIbLb1EESY_IbLb0EEEEDaSU_SV_EUlSU_E_NS1_11comp_targetILNS1_3genE8ELNS1_11target_archE1030ELNS1_3gpuE2ELNS1_3repE0EEENS1_30default_config_static_selectorELNS0_4arch9wavefront6targetE0EEEvT1_
		.amdhsa_group_segment_fixed_size 0
		.amdhsa_private_segment_fixed_size 0
		.amdhsa_kernarg_size 112
		.amdhsa_user_sgpr_count 6
		.amdhsa_user_sgpr_private_segment_buffer 1
		.amdhsa_user_sgpr_dispatch_ptr 0
		.amdhsa_user_sgpr_queue_ptr 0
		.amdhsa_user_sgpr_kernarg_segment_ptr 1
		.amdhsa_user_sgpr_dispatch_id 0
		.amdhsa_user_sgpr_flat_scratch_init 0
		.amdhsa_user_sgpr_private_segment_size 0
		.amdhsa_wavefront_size32 1
		.amdhsa_uses_dynamic_stack 0
		.amdhsa_system_sgpr_private_segment_wavefront_offset 0
		.amdhsa_system_sgpr_workgroup_id_x 1
		.amdhsa_system_sgpr_workgroup_id_y 0
		.amdhsa_system_sgpr_workgroup_id_z 0
		.amdhsa_system_sgpr_workgroup_info 0
		.amdhsa_system_vgpr_workitem_id 0
		.amdhsa_next_free_vgpr 1
		.amdhsa_next_free_sgpr 1
		.amdhsa_reserve_vcc 0
		.amdhsa_reserve_flat_scratch 0
		.amdhsa_float_round_mode_32 0
		.amdhsa_float_round_mode_16_64 0
		.amdhsa_float_denorm_mode_32 3
		.amdhsa_float_denorm_mode_16_64 3
		.amdhsa_dx10_clamp 1
		.amdhsa_ieee_mode 1
		.amdhsa_fp16_overflow 0
		.amdhsa_workgroup_processor_mode 1
		.amdhsa_memory_ordered 1
		.amdhsa_forward_progress 1
		.amdhsa_shared_vgpr_count 0
		.amdhsa_exception_fp_ieee_invalid_op 0
		.amdhsa_exception_fp_denorm_src 0
		.amdhsa_exception_fp_ieee_div_zero 0
		.amdhsa_exception_fp_ieee_overflow 0
		.amdhsa_exception_fp_ieee_underflow 0
		.amdhsa_exception_fp_ieee_inexact 0
		.amdhsa_exception_int_div_zero 0
	.end_amdhsa_kernel
	.section	.text._ZN7rocprim17ROCPRIM_400000_NS6detail17trampoline_kernelINS0_14default_configENS1_27scan_by_key_config_selectorIssEEZZNS1_16scan_by_key_implILNS1_25lookback_scan_determinismE0ELb0ES3_N6thrust23THRUST_200600_302600_NS6detail15normal_iteratorINS9_10device_ptrIsEEEESE_SE_sNS9_4plusIvEENS9_8equal_toIvEEsEE10hipError_tPvRmT2_T3_T4_T5_mT6_T7_P12ihipStream_tbENKUlT_T0_E_clISt17integral_constantIbLb1EESY_IbLb0EEEEDaSU_SV_EUlSU_E_NS1_11comp_targetILNS1_3genE8ELNS1_11target_archE1030ELNS1_3gpuE2ELNS1_3repE0EEENS1_30default_config_static_selectorELNS0_4arch9wavefront6targetE0EEEvT1_,"axG",@progbits,_ZN7rocprim17ROCPRIM_400000_NS6detail17trampoline_kernelINS0_14default_configENS1_27scan_by_key_config_selectorIssEEZZNS1_16scan_by_key_implILNS1_25lookback_scan_determinismE0ELb0ES3_N6thrust23THRUST_200600_302600_NS6detail15normal_iteratorINS9_10device_ptrIsEEEESE_SE_sNS9_4plusIvEENS9_8equal_toIvEEsEE10hipError_tPvRmT2_T3_T4_T5_mT6_T7_P12ihipStream_tbENKUlT_T0_E_clISt17integral_constantIbLb1EESY_IbLb0EEEEDaSU_SV_EUlSU_E_NS1_11comp_targetILNS1_3genE8ELNS1_11target_archE1030ELNS1_3gpuE2ELNS1_3repE0EEENS1_30default_config_static_selectorELNS0_4arch9wavefront6targetE0EEEvT1_,comdat
.Lfunc_end269:
	.size	_ZN7rocprim17ROCPRIM_400000_NS6detail17trampoline_kernelINS0_14default_configENS1_27scan_by_key_config_selectorIssEEZZNS1_16scan_by_key_implILNS1_25lookback_scan_determinismE0ELb0ES3_N6thrust23THRUST_200600_302600_NS6detail15normal_iteratorINS9_10device_ptrIsEEEESE_SE_sNS9_4plusIvEENS9_8equal_toIvEEsEE10hipError_tPvRmT2_T3_T4_T5_mT6_T7_P12ihipStream_tbENKUlT_T0_E_clISt17integral_constantIbLb1EESY_IbLb0EEEEDaSU_SV_EUlSU_E_NS1_11comp_targetILNS1_3genE8ELNS1_11target_archE1030ELNS1_3gpuE2ELNS1_3repE0EEENS1_30default_config_static_selectorELNS0_4arch9wavefront6targetE0EEEvT1_, .Lfunc_end269-_ZN7rocprim17ROCPRIM_400000_NS6detail17trampoline_kernelINS0_14default_configENS1_27scan_by_key_config_selectorIssEEZZNS1_16scan_by_key_implILNS1_25lookback_scan_determinismE0ELb0ES3_N6thrust23THRUST_200600_302600_NS6detail15normal_iteratorINS9_10device_ptrIsEEEESE_SE_sNS9_4plusIvEENS9_8equal_toIvEEsEE10hipError_tPvRmT2_T3_T4_T5_mT6_T7_P12ihipStream_tbENKUlT_T0_E_clISt17integral_constantIbLb1EESY_IbLb0EEEEDaSU_SV_EUlSU_E_NS1_11comp_targetILNS1_3genE8ELNS1_11target_archE1030ELNS1_3gpuE2ELNS1_3repE0EEENS1_30default_config_static_selectorELNS0_4arch9wavefront6targetE0EEEvT1_
                                        ; -- End function
	.set _ZN7rocprim17ROCPRIM_400000_NS6detail17trampoline_kernelINS0_14default_configENS1_27scan_by_key_config_selectorIssEEZZNS1_16scan_by_key_implILNS1_25lookback_scan_determinismE0ELb0ES3_N6thrust23THRUST_200600_302600_NS6detail15normal_iteratorINS9_10device_ptrIsEEEESE_SE_sNS9_4plusIvEENS9_8equal_toIvEEsEE10hipError_tPvRmT2_T3_T4_T5_mT6_T7_P12ihipStream_tbENKUlT_T0_E_clISt17integral_constantIbLb1EESY_IbLb0EEEEDaSU_SV_EUlSU_E_NS1_11comp_targetILNS1_3genE8ELNS1_11target_archE1030ELNS1_3gpuE2ELNS1_3repE0EEENS1_30default_config_static_selectorELNS0_4arch9wavefront6targetE0EEEvT1_.num_vgpr, 0
	.set _ZN7rocprim17ROCPRIM_400000_NS6detail17trampoline_kernelINS0_14default_configENS1_27scan_by_key_config_selectorIssEEZZNS1_16scan_by_key_implILNS1_25lookback_scan_determinismE0ELb0ES3_N6thrust23THRUST_200600_302600_NS6detail15normal_iteratorINS9_10device_ptrIsEEEESE_SE_sNS9_4plusIvEENS9_8equal_toIvEEsEE10hipError_tPvRmT2_T3_T4_T5_mT6_T7_P12ihipStream_tbENKUlT_T0_E_clISt17integral_constantIbLb1EESY_IbLb0EEEEDaSU_SV_EUlSU_E_NS1_11comp_targetILNS1_3genE8ELNS1_11target_archE1030ELNS1_3gpuE2ELNS1_3repE0EEENS1_30default_config_static_selectorELNS0_4arch9wavefront6targetE0EEEvT1_.num_agpr, 0
	.set _ZN7rocprim17ROCPRIM_400000_NS6detail17trampoline_kernelINS0_14default_configENS1_27scan_by_key_config_selectorIssEEZZNS1_16scan_by_key_implILNS1_25lookback_scan_determinismE0ELb0ES3_N6thrust23THRUST_200600_302600_NS6detail15normal_iteratorINS9_10device_ptrIsEEEESE_SE_sNS9_4plusIvEENS9_8equal_toIvEEsEE10hipError_tPvRmT2_T3_T4_T5_mT6_T7_P12ihipStream_tbENKUlT_T0_E_clISt17integral_constantIbLb1EESY_IbLb0EEEEDaSU_SV_EUlSU_E_NS1_11comp_targetILNS1_3genE8ELNS1_11target_archE1030ELNS1_3gpuE2ELNS1_3repE0EEENS1_30default_config_static_selectorELNS0_4arch9wavefront6targetE0EEEvT1_.numbered_sgpr, 0
	.set _ZN7rocprim17ROCPRIM_400000_NS6detail17trampoline_kernelINS0_14default_configENS1_27scan_by_key_config_selectorIssEEZZNS1_16scan_by_key_implILNS1_25lookback_scan_determinismE0ELb0ES3_N6thrust23THRUST_200600_302600_NS6detail15normal_iteratorINS9_10device_ptrIsEEEESE_SE_sNS9_4plusIvEENS9_8equal_toIvEEsEE10hipError_tPvRmT2_T3_T4_T5_mT6_T7_P12ihipStream_tbENKUlT_T0_E_clISt17integral_constantIbLb1EESY_IbLb0EEEEDaSU_SV_EUlSU_E_NS1_11comp_targetILNS1_3genE8ELNS1_11target_archE1030ELNS1_3gpuE2ELNS1_3repE0EEENS1_30default_config_static_selectorELNS0_4arch9wavefront6targetE0EEEvT1_.num_named_barrier, 0
	.set _ZN7rocprim17ROCPRIM_400000_NS6detail17trampoline_kernelINS0_14default_configENS1_27scan_by_key_config_selectorIssEEZZNS1_16scan_by_key_implILNS1_25lookback_scan_determinismE0ELb0ES3_N6thrust23THRUST_200600_302600_NS6detail15normal_iteratorINS9_10device_ptrIsEEEESE_SE_sNS9_4plusIvEENS9_8equal_toIvEEsEE10hipError_tPvRmT2_T3_T4_T5_mT6_T7_P12ihipStream_tbENKUlT_T0_E_clISt17integral_constantIbLb1EESY_IbLb0EEEEDaSU_SV_EUlSU_E_NS1_11comp_targetILNS1_3genE8ELNS1_11target_archE1030ELNS1_3gpuE2ELNS1_3repE0EEENS1_30default_config_static_selectorELNS0_4arch9wavefront6targetE0EEEvT1_.private_seg_size, 0
	.set _ZN7rocprim17ROCPRIM_400000_NS6detail17trampoline_kernelINS0_14default_configENS1_27scan_by_key_config_selectorIssEEZZNS1_16scan_by_key_implILNS1_25lookback_scan_determinismE0ELb0ES3_N6thrust23THRUST_200600_302600_NS6detail15normal_iteratorINS9_10device_ptrIsEEEESE_SE_sNS9_4plusIvEENS9_8equal_toIvEEsEE10hipError_tPvRmT2_T3_T4_T5_mT6_T7_P12ihipStream_tbENKUlT_T0_E_clISt17integral_constantIbLb1EESY_IbLb0EEEEDaSU_SV_EUlSU_E_NS1_11comp_targetILNS1_3genE8ELNS1_11target_archE1030ELNS1_3gpuE2ELNS1_3repE0EEENS1_30default_config_static_selectorELNS0_4arch9wavefront6targetE0EEEvT1_.uses_vcc, 0
	.set _ZN7rocprim17ROCPRIM_400000_NS6detail17trampoline_kernelINS0_14default_configENS1_27scan_by_key_config_selectorIssEEZZNS1_16scan_by_key_implILNS1_25lookback_scan_determinismE0ELb0ES3_N6thrust23THRUST_200600_302600_NS6detail15normal_iteratorINS9_10device_ptrIsEEEESE_SE_sNS9_4plusIvEENS9_8equal_toIvEEsEE10hipError_tPvRmT2_T3_T4_T5_mT6_T7_P12ihipStream_tbENKUlT_T0_E_clISt17integral_constantIbLb1EESY_IbLb0EEEEDaSU_SV_EUlSU_E_NS1_11comp_targetILNS1_3genE8ELNS1_11target_archE1030ELNS1_3gpuE2ELNS1_3repE0EEENS1_30default_config_static_selectorELNS0_4arch9wavefront6targetE0EEEvT1_.uses_flat_scratch, 0
	.set _ZN7rocprim17ROCPRIM_400000_NS6detail17trampoline_kernelINS0_14default_configENS1_27scan_by_key_config_selectorIssEEZZNS1_16scan_by_key_implILNS1_25lookback_scan_determinismE0ELb0ES3_N6thrust23THRUST_200600_302600_NS6detail15normal_iteratorINS9_10device_ptrIsEEEESE_SE_sNS9_4plusIvEENS9_8equal_toIvEEsEE10hipError_tPvRmT2_T3_T4_T5_mT6_T7_P12ihipStream_tbENKUlT_T0_E_clISt17integral_constantIbLb1EESY_IbLb0EEEEDaSU_SV_EUlSU_E_NS1_11comp_targetILNS1_3genE8ELNS1_11target_archE1030ELNS1_3gpuE2ELNS1_3repE0EEENS1_30default_config_static_selectorELNS0_4arch9wavefront6targetE0EEEvT1_.has_dyn_sized_stack, 0
	.set _ZN7rocprim17ROCPRIM_400000_NS6detail17trampoline_kernelINS0_14default_configENS1_27scan_by_key_config_selectorIssEEZZNS1_16scan_by_key_implILNS1_25lookback_scan_determinismE0ELb0ES3_N6thrust23THRUST_200600_302600_NS6detail15normal_iteratorINS9_10device_ptrIsEEEESE_SE_sNS9_4plusIvEENS9_8equal_toIvEEsEE10hipError_tPvRmT2_T3_T4_T5_mT6_T7_P12ihipStream_tbENKUlT_T0_E_clISt17integral_constantIbLb1EESY_IbLb0EEEEDaSU_SV_EUlSU_E_NS1_11comp_targetILNS1_3genE8ELNS1_11target_archE1030ELNS1_3gpuE2ELNS1_3repE0EEENS1_30default_config_static_selectorELNS0_4arch9wavefront6targetE0EEEvT1_.has_recursion, 0
	.set _ZN7rocprim17ROCPRIM_400000_NS6detail17trampoline_kernelINS0_14default_configENS1_27scan_by_key_config_selectorIssEEZZNS1_16scan_by_key_implILNS1_25lookback_scan_determinismE0ELb0ES3_N6thrust23THRUST_200600_302600_NS6detail15normal_iteratorINS9_10device_ptrIsEEEESE_SE_sNS9_4plusIvEENS9_8equal_toIvEEsEE10hipError_tPvRmT2_T3_T4_T5_mT6_T7_P12ihipStream_tbENKUlT_T0_E_clISt17integral_constantIbLb1EESY_IbLb0EEEEDaSU_SV_EUlSU_E_NS1_11comp_targetILNS1_3genE8ELNS1_11target_archE1030ELNS1_3gpuE2ELNS1_3repE0EEENS1_30default_config_static_selectorELNS0_4arch9wavefront6targetE0EEEvT1_.has_indirect_call, 0
	.section	.AMDGPU.csdata,"",@progbits
; Kernel info:
; codeLenInByte = 4
; TotalNumSgprs: 0
; NumVgprs: 0
; ScratchSize: 0
; MemoryBound: 0
; FloatMode: 240
; IeeeMode: 1
; LDSByteSize: 0 bytes/workgroup (compile time only)
; SGPRBlocks: 0
; VGPRBlocks: 0
; NumSGPRsForWavesPerEU: 1
; NumVGPRsForWavesPerEU: 1
; Occupancy: 16
; WaveLimiterHint : 0
; COMPUTE_PGM_RSRC2:SCRATCH_EN: 0
; COMPUTE_PGM_RSRC2:USER_SGPR: 6
; COMPUTE_PGM_RSRC2:TRAP_HANDLER: 0
; COMPUTE_PGM_RSRC2:TGID_X_EN: 1
; COMPUTE_PGM_RSRC2:TGID_Y_EN: 0
; COMPUTE_PGM_RSRC2:TGID_Z_EN: 0
; COMPUTE_PGM_RSRC2:TIDIG_COMP_CNT: 0
	.section	.text._ZN7rocprim17ROCPRIM_400000_NS6detail30init_device_scan_by_key_kernelINS1_19lookback_scan_stateINS0_5tupleIJsbEEELb0ELb1EEEN6thrust23THRUST_200600_302600_NS6detail15normal_iteratorINS8_10device_ptrIsEEEEjNS1_16block_id_wrapperIjLb1EEEEEvT_jjPNSG_10value_typeET0_PNSt15iterator_traitsISJ_E10value_typeEmT1_T2_,"axG",@progbits,_ZN7rocprim17ROCPRIM_400000_NS6detail30init_device_scan_by_key_kernelINS1_19lookback_scan_stateINS0_5tupleIJsbEEELb0ELb1EEEN6thrust23THRUST_200600_302600_NS6detail15normal_iteratorINS8_10device_ptrIsEEEEjNS1_16block_id_wrapperIjLb1EEEEEvT_jjPNSG_10value_typeET0_PNSt15iterator_traitsISJ_E10value_typeEmT1_T2_,comdat
	.protected	_ZN7rocprim17ROCPRIM_400000_NS6detail30init_device_scan_by_key_kernelINS1_19lookback_scan_stateINS0_5tupleIJsbEEELb0ELb1EEEN6thrust23THRUST_200600_302600_NS6detail15normal_iteratorINS8_10device_ptrIsEEEEjNS1_16block_id_wrapperIjLb1EEEEEvT_jjPNSG_10value_typeET0_PNSt15iterator_traitsISJ_E10value_typeEmT1_T2_ ; -- Begin function _ZN7rocprim17ROCPRIM_400000_NS6detail30init_device_scan_by_key_kernelINS1_19lookback_scan_stateINS0_5tupleIJsbEEELb0ELb1EEEN6thrust23THRUST_200600_302600_NS6detail15normal_iteratorINS8_10device_ptrIsEEEEjNS1_16block_id_wrapperIjLb1EEEEEvT_jjPNSG_10value_typeET0_PNSt15iterator_traitsISJ_E10value_typeEmT1_T2_
	.globl	_ZN7rocprim17ROCPRIM_400000_NS6detail30init_device_scan_by_key_kernelINS1_19lookback_scan_stateINS0_5tupleIJsbEEELb0ELb1EEEN6thrust23THRUST_200600_302600_NS6detail15normal_iteratorINS8_10device_ptrIsEEEEjNS1_16block_id_wrapperIjLb1EEEEEvT_jjPNSG_10value_typeET0_PNSt15iterator_traitsISJ_E10value_typeEmT1_T2_
	.p2align	8
	.type	_ZN7rocprim17ROCPRIM_400000_NS6detail30init_device_scan_by_key_kernelINS1_19lookback_scan_stateINS0_5tupleIJsbEEELb0ELb1EEEN6thrust23THRUST_200600_302600_NS6detail15normal_iteratorINS8_10device_ptrIsEEEEjNS1_16block_id_wrapperIjLb1EEEEEvT_jjPNSG_10value_typeET0_PNSt15iterator_traitsISJ_E10value_typeEmT1_T2_,@function
_ZN7rocprim17ROCPRIM_400000_NS6detail30init_device_scan_by_key_kernelINS1_19lookback_scan_stateINS0_5tupleIJsbEEELb0ELb1EEEN6thrust23THRUST_200600_302600_NS6detail15normal_iteratorINS8_10device_ptrIsEEEEjNS1_16block_id_wrapperIjLb1EEEEEvT_jjPNSG_10value_typeET0_PNSt15iterator_traitsISJ_E10value_typeEmT1_T2_: ; @_ZN7rocprim17ROCPRIM_400000_NS6detail30init_device_scan_by_key_kernelINS1_19lookback_scan_stateINS0_5tupleIJsbEEELb0ELb1EEEN6thrust23THRUST_200600_302600_NS6detail15normal_iteratorINS8_10device_ptrIsEEEEjNS1_16block_id_wrapperIjLb1EEEEEvT_jjPNSG_10value_typeET0_PNSt15iterator_traitsISJ_E10value_typeEmT1_T2_
; %bb.0:
	s_clause 0x2
	s_load_dword s0, s[4:5], 0x4c
	s_load_dwordx8 s[8:15], s[4:5], 0x0
	s_load_dword s7, s[4:5], 0x40
	s_waitcnt lgkmcnt(0)
	s_and_b32 s16, s0, 0xffff
	s_cmp_eq_u64 s[12:13], 0
	v_mad_u64_u32 v[0:1], null, s6, s16, v[0:1]
	s_cbranch_scc1 .LBB270_6
; %bb.1:
	s_cmp_lt_u32 s11, s10
	s_mov_b32 s1, 0
	s_cselect_b32 s0, s11, 0
	s_mov_b32 s2, exec_lo
	v_cmpx_eq_u32_e64 s0, v0
	s_cbranch_execz .LBB270_5
; %bb.2:
	s_add_i32 s0, s11, 32
	v_mov_b32_e32 v3, 0
	s_lshl_b64 s[0:1], s[0:1], 3
	s_add_u32 s0, s8, s0
	s_addc_u32 s1, s9, s1
	global_load_dwordx2 v[1:2], v3, s[0:1] glc dlc
	s_waitcnt vmcnt(0)
	v_and_b32_e32 v4, 0xff, v2
	v_cmp_ne_u64_e32 vcc_lo, 0, v[3:4]
	s_cbranch_vccnz .LBB270_4
.LBB270_3:                              ; =>This Inner Loop Header: Depth=1
	global_load_dwordx2 v[1:2], v3, s[0:1] glc dlc
	s_waitcnt vmcnt(0)
	v_and_b32_e32 v4, 0xff, v2
	v_cmp_eq_u64_e32 vcc_lo, 0, v[3:4]
	s_cbranch_vccnz .LBB270_3
.LBB270_4:
	v_mov_b32_e32 v2, 0
	global_store_short v2, v1, s[12:13]
	global_store_byte_d16_hi v2, v1, s[12:13] offset:2
.LBB270_5:
	s_or_b32 exec_lo, exec_lo, s2
.LBB270_6:
	s_mov_b32 s0, exec_lo
	v_cmpx_eq_u32_e32 0, v0
	s_cbranch_execz .LBB270_8
; %bb.7:
	s_load_dwordx2 s[2:3], s[4:5], 0x38
	v_mov_b32_e32 v1, 0
	s_waitcnt lgkmcnt(0)
	global_store_dword v1, v1, s[2:3]
.LBB270_8:
	s_or_b32 exec_lo, exec_lo, s0
	s_mov_b32 s0, exec_lo
	v_cmpx_gt_u32_e64 s10, v0
	s_cbranch_execz .LBB270_10
; %bb.9:
	v_add_nc_u32_e32 v1, 32, v0
	v_mov_b32_e32 v2, 0
	v_lshlrev_b64 v[3:4], 3, v[1:2]
	v_mov_b32_e32 v1, v2
	v_add_co_u32 v3, vcc_lo, s8, v3
	v_add_co_ci_u32_e64 v4, null, s9, v4, vcc_lo
	global_store_dwordx2 v[3:4], v[1:2], off
.LBB270_10:
	s_or_b32 exec_lo, exec_lo, s0
	v_mov_b32_e32 v1, 0
	s_mov_b32 s0, exec_lo
	v_cmpx_gt_u32_e32 32, v0
	s_cbranch_execz .LBB270_12
; %bb.11:
	v_lshlrev_b64 v[2:3], 3, v[0:1]
	v_mov_b32_e32 v4, 0xff
	v_add_co_u32 v5, vcc_lo, s8, v2
	v_add_co_ci_u32_e64 v6, null, s9, v3, vcc_lo
	v_mov_b32_e32 v3, v1
	global_store_dwordx2 v[5:6], v[3:4], off
.LBB270_12:
	s_or_b32 exec_lo, exec_lo, s0
	s_load_dwordx2 s[2:3], s[4:5], 0x28
	s_mov_b32 s0, exec_lo
	s_waitcnt lgkmcnt(0)
	v_cmpx_gt_u64_e64 s[2:3], v[0:1]
	s_cbranch_execz .LBB270_15
; %bb.13:
	s_clause 0x1
	s_load_dword s6, s[4:5], 0x30
	s_load_dwordx2 s[8:9], s[4:5], 0x20
	s_mov_b32 s1, 0
	v_lshlrev_b64 v[4:5], 1, v[0:1]
	s_mul_i32 s4, s7, s16
	s_waitcnt lgkmcnt(0)
	v_mad_u64_u32 v[2:3], null, s6, v0, 0
	s_add_i32 s0, s6, -1
	s_mul_hi_u32 s7, s6, s4
	s_lshl_b64 s[10:11], s[0:1], 1
	s_mul_i32 s6, s6, s4
	s_add_u32 s0, s14, s10
	s_addc_u32 s5, s15, s11
	v_lshlrev_b64 v[2:3], 1, v[2:3]
	s_lshl_b64 s[6:7], s[6:7], 1
	v_add_co_u32 v2, vcc_lo, s0, v2
	v_add_co_ci_u32_e64 v3, null, s5, v3, vcc_lo
	v_add_co_u32 v4, vcc_lo, s8, v4
	v_add_co_ci_u32_e64 v5, null, s9, v5, vcc_lo
	s_mov_b32 s5, s1
	s_lshl_b64 s[8:9], s[4:5], 1
	.p2align	6
.LBB270_14:                             ; =>This Inner Loop Header: Depth=1
	global_load_ushort v6, v[2:3], off
	v_add_co_u32 v0, vcc_lo, v0, s4
	v_add_co_ci_u32_e64 v1, null, 0, v1, vcc_lo
	v_add_co_u32 v2, vcc_lo, v2, s6
	v_add_co_ci_u32_e64 v3, null, s7, v3, vcc_lo
	v_cmp_le_u64_e32 vcc_lo, s[2:3], v[0:1]
	s_or_b32 s1, vcc_lo, s1
	s_waitcnt vmcnt(0)
	global_store_short v[4:5], v6, off
	v_add_co_u32 v4, s0, v4, s8
	v_add_co_ci_u32_e64 v5, null, s9, v5, s0
	s_andn2_b32 exec_lo, exec_lo, s1
	s_cbranch_execnz .LBB270_14
.LBB270_15:
	s_endpgm
	.section	.rodata,"a",@progbits
	.p2align	6, 0x0
	.amdhsa_kernel _ZN7rocprim17ROCPRIM_400000_NS6detail30init_device_scan_by_key_kernelINS1_19lookback_scan_stateINS0_5tupleIJsbEEELb0ELb1EEEN6thrust23THRUST_200600_302600_NS6detail15normal_iteratorINS8_10device_ptrIsEEEEjNS1_16block_id_wrapperIjLb1EEEEEvT_jjPNSG_10value_typeET0_PNSt15iterator_traitsISJ_E10value_typeEmT1_T2_
		.amdhsa_group_segment_fixed_size 0
		.amdhsa_private_segment_fixed_size 0
		.amdhsa_kernarg_size 320
		.amdhsa_user_sgpr_count 6
		.amdhsa_user_sgpr_private_segment_buffer 1
		.amdhsa_user_sgpr_dispatch_ptr 0
		.amdhsa_user_sgpr_queue_ptr 0
		.amdhsa_user_sgpr_kernarg_segment_ptr 1
		.amdhsa_user_sgpr_dispatch_id 0
		.amdhsa_user_sgpr_flat_scratch_init 0
		.amdhsa_user_sgpr_private_segment_size 0
		.amdhsa_wavefront_size32 1
		.amdhsa_uses_dynamic_stack 0
		.amdhsa_system_sgpr_private_segment_wavefront_offset 0
		.amdhsa_system_sgpr_workgroup_id_x 1
		.amdhsa_system_sgpr_workgroup_id_y 0
		.amdhsa_system_sgpr_workgroup_id_z 0
		.amdhsa_system_sgpr_workgroup_info 0
		.amdhsa_system_vgpr_workitem_id 0
		.amdhsa_next_free_vgpr 7
		.amdhsa_next_free_sgpr 17
		.amdhsa_reserve_vcc 1
		.amdhsa_reserve_flat_scratch 0
		.amdhsa_float_round_mode_32 0
		.amdhsa_float_round_mode_16_64 0
		.amdhsa_float_denorm_mode_32 3
		.amdhsa_float_denorm_mode_16_64 3
		.amdhsa_dx10_clamp 1
		.amdhsa_ieee_mode 1
		.amdhsa_fp16_overflow 0
		.amdhsa_workgroup_processor_mode 1
		.amdhsa_memory_ordered 1
		.amdhsa_forward_progress 1
		.amdhsa_shared_vgpr_count 0
		.amdhsa_exception_fp_ieee_invalid_op 0
		.amdhsa_exception_fp_denorm_src 0
		.amdhsa_exception_fp_ieee_div_zero 0
		.amdhsa_exception_fp_ieee_overflow 0
		.amdhsa_exception_fp_ieee_underflow 0
		.amdhsa_exception_fp_ieee_inexact 0
		.amdhsa_exception_int_div_zero 0
	.end_amdhsa_kernel
	.section	.text._ZN7rocprim17ROCPRIM_400000_NS6detail30init_device_scan_by_key_kernelINS1_19lookback_scan_stateINS0_5tupleIJsbEEELb0ELb1EEEN6thrust23THRUST_200600_302600_NS6detail15normal_iteratorINS8_10device_ptrIsEEEEjNS1_16block_id_wrapperIjLb1EEEEEvT_jjPNSG_10value_typeET0_PNSt15iterator_traitsISJ_E10value_typeEmT1_T2_,"axG",@progbits,_ZN7rocprim17ROCPRIM_400000_NS6detail30init_device_scan_by_key_kernelINS1_19lookback_scan_stateINS0_5tupleIJsbEEELb0ELb1EEEN6thrust23THRUST_200600_302600_NS6detail15normal_iteratorINS8_10device_ptrIsEEEEjNS1_16block_id_wrapperIjLb1EEEEEvT_jjPNSG_10value_typeET0_PNSt15iterator_traitsISJ_E10value_typeEmT1_T2_,comdat
.Lfunc_end270:
	.size	_ZN7rocprim17ROCPRIM_400000_NS6detail30init_device_scan_by_key_kernelINS1_19lookback_scan_stateINS0_5tupleIJsbEEELb0ELb1EEEN6thrust23THRUST_200600_302600_NS6detail15normal_iteratorINS8_10device_ptrIsEEEEjNS1_16block_id_wrapperIjLb1EEEEEvT_jjPNSG_10value_typeET0_PNSt15iterator_traitsISJ_E10value_typeEmT1_T2_, .Lfunc_end270-_ZN7rocprim17ROCPRIM_400000_NS6detail30init_device_scan_by_key_kernelINS1_19lookback_scan_stateINS0_5tupleIJsbEEELb0ELb1EEEN6thrust23THRUST_200600_302600_NS6detail15normal_iteratorINS8_10device_ptrIsEEEEjNS1_16block_id_wrapperIjLb1EEEEEvT_jjPNSG_10value_typeET0_PNSt15iterator_traitsISJ_E10value_typeEmT1_T2_
                                        ; -- End function
	.set _ZN7rocprim17ROCPRIM_400000_NS6detail30init_device_scan_by_key_kernelINS1_19lookback_scan_stateINS0_5tupleIJsbEEELb0ELb1EEEN6thrust23THRUST_200600_302600_NS6detail15normal_iteratorINS8_10device_ptrIsEEEEjNS1_16block_id_wrapperIjLb1EEEEEvT_jjPNSG_10value_typeET0_PNSt15iterator_traitsISJ_E10value_typeEmT1_T2_.num_vgpr, 7
	.set _ZN7rocprim17ROCPRIM_400000_NS6detail30init_device_scan_by_key_kernelINS1_19lookback_scan_stateINS0_5tupleIJsbEEELb0ELb1EEEN6thrust23THRUST_200600_302600_NS6detail15normal_iteratorINS8_10device_ptrIsEEEEjNS1_16block_id_wrapperIjLb1EEEEEvT_jjPNSG_10value_typeET0_PNSt15iterator_traitsISJ_E10value_typeEmT1_T2_.num_agpr, 0
	.set _ZN7rocprim17ROCPRIM_400000_NS6detail30init_device_scan_by_key_kernelINS1_19lookback_scan_stateINS0_5tupleIJsbEEELb0ELb1EEEN6thrust23THRUST_200600_302600_NS6detail15normal_iteratorINS8_10device_ptrIsEEEEjNS1_16block_id_wrapperIjLb1EEEEEvT_jjPNSG_10value_typeET0_PNSt15iterator_traitsISJ_E10value_typeEmT1_T2_.numbered_sgpr, 17
	.set _ZN7rocprim17ROCPRIM_400000_NS6detail30init_device_scan_by_key_kernelINS1_19lookback_scan_stateINS0_5tupleIJsbEEELb0ELb1EEEN6thrust23THRUST_200600_302600_NS6detail15normal_iteratorINS8_10device_ptrIsEEEEjNS1_16block_id_wrapperIjLb1EEEEEvT_jjPNSG_10value_typeET0_PNSt15iterator_traitsISJ_E10value_typeEmT1_T2_.num_named_barrier, 0
	.set _ZN7rocprim17ROCPRIM_400000_NS6detail30init_device_scan_by_key_kernelINS1_19lookback_scan_stateINS0_5tupleIJsbEEELb0ELb1EEEN6thrust23THRUST_200600_302600_NS6detail15normal_iteratorINS8_10device_ptrIsEEEEjNS1_16block_id_wrapperIjLb1EEEEEvT_jjPNSG_10value_typeET0_PNSt15iterator_traitsISJ_E10value_typeEmT1_T2_.private_seg_size, 0
	.set _ZN7rocprim17ROCPRIM_400000_NS6detail30init_device_scan_by_key_kernelINS1_19lookback_scan_stateINS0_5tupleIJsbEEELb0ELb1EEEN6thrust23THRUST_200600_302600_NS6detail15normal_iteratorINS8_10device_ptrIsEEEEjNS1_16block_id_wrapperIjLb1EEEEEvT_jjPNSG_10value_typeET0_PNSt15iterator_traitsISJ_E10value_typeEmT1_T2_.uses_vcc, 1
	.set _ZN7rocprim17ROCPRIM_400000_NS6detail30init_device_scan_by_key_kernelINS1_19lookback_scan_stateINS0_5tupleIJsbEEELb0ELb1EEEN6thrust23THRUST_200600_302600_NS6detail15normal_iteratorINS8_10device_ptrIsEEEEjNS1_16block_id_wrapperIjLb1EEEEEvT_jjPNSG_10value_typeET0_PNSt15iterator_traitsISJ_E10value_typeEmT1_T2_.uses_flat_scratch, 0
	.set _ZN7rocprim17ROCPRIM_400000_NS6detail30init_device_scan_by_key_kernelINS1_19lookback_scan_stateINS0_5tupleIJsbEEELb0ELb1EEEN6thrust23THRUST_200600_302600_NS6detail15normal_iteratorINS8_10device_ptrIsEEEEjNS1_16block_id_wrapperIjLb1EEEEEvT_jjPNSG_10value_typeET0_PNSt15iterator_traitsISJ_E10value_typeEmT1_T2_.has_dyn_sized_stack, 0
	.set _ZN7rocprim17ROCPRIM_400000_NS6detail30init_device_scan_by_key_kernelINS1_19lookback_scan_stateINS0_5tupleIJsbEEELb0ELb1EEEN6thrust23THRUST_200600_302600_NS6detail15normal_iteratorINS8_10device_ptrIsEEEEjNS1_16block_id_wrapperIjLb1EEEEEvT_jjPNSG_10value_typeET0_PNSt15iterator_traitsISJ_E10value_typeEmT1_T2_.has_recursion, 0
	.set _ZN7rocprim17ROCPRIM_400000_NS6detail30init_device_scan_by_key_kernelINS1_19lookback_scan_stateINS0_5tupleIJsbEEELb0ELb1EEEN6thrust23THRUST_200600_302600_NS6detail15normal_iteratorINS8_10device_ptrIsEEEEjNS1_16block_id_wrapperIjLb1EEEEEvT_jjPNSG_10value_typeET0_PNSt15iterator_traitsISJ_E10value_typeEmT1_T2_.has_indirect_call, 0
	.section	.AMDGPU.csdata,"",@progbits
; Kernel info:
; codeLenInByte = 600
; TotalNumSgprs: 19
; NumVgprs: 7
; ScratchSize: 0
; MemoryBound: 0
; FloatMode: 240
; IeeeMode: 1
; LDSByteSize: 0 bytes/workgroup (compile time only)
; SGPRBlocks: 0
; VGPRBlocks: 0
; NumSGPRsForWavesPerEU: 19
; NumVGPRsForWavesPerEU: 7
; Occupancy: 16
; WaveLimiterHint : 0
; COMPUTE_PGM_RSRC2:SCRATCH_EN: 0
; COMPUTE_PGM_RSRC2:USER_SGPR: 6
; COMPUTE_PGM_RSRC2:TRAP_HANDLER: 0
; COMPUTE_PGM_RSRC2:TGID_X_EN: 1
; COMPUTE_PGM_RSRC2:TGID_Y_EN: 0
; COMPUTE_PGM_RSRC2:TGID_Z_EN: 0
; COMPUTE_PGM_RSRC2:TIDIG_COMP_CNT: 0
	.section	.text._ZN7rocprim17ROCPRIM_400000_NS6detail30init_device_scan_by_key_kernelINS1_19lookback_scan_stateINS0_5tupleIJsbEEELb0ELb1EEENS1_16block_id_wrapperIjLb1EEEEEvT_jjPNS9_10value_typeET0_,"axG",@progbits,_ZN7rocprim17ROCPRIM_400000_NS6detail30init_device_scan_by_key_kernelINS1_19lookback_scan_stateINS0_5tupleIJsbEEELb0ELb1EEENS1_16block_id_wrapperIjLb1EEEEEvT_jjPNS9_10value_typeET0_,comdat
	.protected	_ZN7rocprim17ROCPRIM_400000_NS6detail30init_device_scan_by_key_kernelINS1_19lookback_scan_stateINS0_5tupleIJsbEEELb0ELb1EEENS1_16block_id_wrapperIjLb1EEEEEvT_jjPNS9_10value_typeET0_ ; -- Begin function _ZN7rocprim17ROCPRIM_400000_NS6detail30init_device_scan_by_key_kernelINS1_19lookback_scan_stateINS0_5tupleIJsbEEELb0ELb1EEENS1_16block_id_wrapperIjLb1EEEEEvT_jjPNS9_10value_typeET0_
	.globl	_ZN7rocprim17ROCPRIM_400000_NS6detail30init_device_scan_by_key_kernelINS1_19lookback_scan_stateINS0_5tupleIJsbEEELb0ELb1EEENS1_16block_id_wrapperIjLb1EEEEEvT_jjPNS9_10value_typeET0_
	.p2align	8
	.type	_ZN7rocprim17ROCPRIM_400000_NS6detail30init_device_scan_by_key_kernelINS1_19lookback_scan_stateINS0_5tupleIJsbEEELb0ELb1EEENS1_16block_id_wrapperIjLb1EEEEEvT_jjPNS9_10value_typeET0_,@function
_ZN7rocprim17ROCPRIM_400000_NS6detail30init_device_scan_by_key_kernelINS1_19lookback_scan_stateINS0_5tupleIJsbEEELb0ELb1EEENS1_16block_id_wrapperIjLb1EEEEEvT_jjPNS9_10value_typeET0_: ; @_ZN7rocprim17ROCPRIM_400000_NS6detail30init_device_scan_by_key_kernelINS1_19lookback_scan_stateINS0_5tupleIJsbEEELb0ELb1EEENS1_16block_id_wrapperIjLb1EEEEEvT_jjPNS9_10value_typeET0_
; %bb.0:
	s_clause 0x1
	s_load_dword s0, s[4:5], 0x2c
	s_load_dwordx8 s[8:15], s[4:5], 0x0
	s_waitcnt lgkmcnt(0)
	s_and_b32 s0, s0, 0xffff
	s_cmp_eq_u64 s[12:13], 0
	v_mad_u64_u32 v[0:1], null, s6, s0, v[0:1]
	s_cbranch_scc1 .LBB271_6
; %bb.1:
	s_cmp_lt_u32 s11, s10
	s_mov_b32 s1, 0
	s_cselect_b32 s0, s11, 0
	s_mov_b32 s2, exec_lo
	v_cmpx_eq_u32_e64 s0, v0
	s_cbranch_execz .LBB271_5
; %bb.2:
	s_add_i32 s0, s11, 32
	v_mov_b32_e32 v3, 0
	s_lshl_b64 s[0:1], s[0:1], 3
	s_add_u32 s0, s8, s0
	s_addc_u32 s1, s9, s1
	global_load_dwordx2 v[1:2], v3, s[0:1] glc dlc
	s_waitcnt vmcnt(0)
	v_and_b32_e32 v4, 0xff, v2
	v_cmp_ne_u64_e32 vcc_lo, 0, v[3:4]
	s_cbranch_vccnz .LBB271_4
.LBB271_3:                              ; =>This Inner Loop Header: Depth=1
	global_load_dwordx2 v[1:2], v3, s[0:1] glc dlc
	s_waitcnt vmcnt(0)
	v_and_b32_e32 v4, 0xff, v2
	v_cmp_eq_u64_e32 vcc_lo, 0, v[3:4]
	s_cbranch_vccnz .LBB271_3
.LBB271_4:
	v_mov_b32_e32 v2, 0
	global_store_short v2, v1, s[12:13]
	global_store_byte_d16_hi v2, v1, s[12:13] offset:2
.LBB271_5:
	s_or_b32 exec_lo, exec_lo, s2
.LBB271_6:
	s_mov_b32 s0, exec_lo
	v_cmpx_eq_u32_e32 0, v0
	s_cbranch_execz .LBB271_8
; %bb.7:
	v_mov_b32_e32 v1, 0
	global_store_dword v1, v1, s[14:15]
.LBB271_8:
	s_or_b32 exec_lo, exec_lo, s0
	s_mov_b32 s0, exec_lo
	v_cmpx_gt_u32_e64 s10, v0
	s_cbranch_execz .LBB271_10
; %bb.9:
	v_add_nc_u32_e32 v1, 32, v0
	v_mov_b32_e32 v2, 0
	v_lshlrev_b64 v[3:4], 3, v[1:2]
	v_mov_b32_e32 v1, v2
	v_add_co_u32 v3, vcc_lo, s8, v3
	v_add_co_ci_u32_e64 v4, null, s9, v4, vcc_lo
	global_store_dwordx2 v[3:4], v[1:2], off
.LBB271_10:
	s_or_b32 exec_lo, exec_lo, s0
	s_mov_b32 s0, exec_lo
	v_cmpx_gt_u32_e32 32, v0
	s_cbranch_execz .LBB271_12
; %bb.11:
	v_mov_b32_e32 v1, 0
	v_mov_b32_e32 v4, 0xff
	v_lshlrev_b64 v[2:3], 3, v[0:1]
	v_add_co_u32 v5, vcc_lo, s8, v2
	v_add_co_ci_u32_e64 v6, null, s9, v3, vcc_lo
	v_mov_b32_e32 v3, v1
	global_store_dwordx2 v[5:6], v[3:4], off
.LBB271_12:
	s_endpgm
	.section	.rodata,"a",@progbits
	.p2align	6, 0x0
	.amdhsa_kernel _ZN7rocprim17ROCPRIM_400000_NS6detail30init_device_scan_by_key_kernelINS1_19lookback_scan_stateINS0_5tupleIJsbEEELb0ELb1EEENS1_16block_id_wrapperIjLb1EEEEEvT_jjPNS9_10value_typeET0_
		.amdhsa_group_segment_fixed_size 0
		.amdhsa_private_segment_fixed_size 0
		.amdhsa_kernarg_size 288
		.amdhsa_user_sgpr_count 6
		.amdhsa_user_sgpr_private_segment_buffer 1
		.amdhsa_user_sgpr_dispatch_ptr 0
		.amdhsa_user_sgpr_queue_ptr 0
		.amdhsa_user_sgpr_kernarg_segment_ptr 1
		.amdhsa_user_sgpr_dispatch_id 0
		.amdhsa_user_sgpr_flat_scratch_init 0
		.amdhsa_user_sgpr_private_segment_size 0
		.amdhsa_wavefront_size32 1
		.amdhsa_uses_dynamic_stack 0
		.amdhsa_system_sgpr_private_segment_wavefront_offset 0
		.amdhsa_system_sgpr_workgroup_id_x 1
		.amdhsa_system_sgpr_workgroup_id_y 0
		.amdhsa_system_sgpr_workgroup_id_z 0
		.amdhsa_system_sgpr_workgroup_info 0
		.amdhsa_system_vgpr_workitem_id 0
		.amdhsa_next_free_vgpr 7
		.amdhsa_next_free_sgpr 16
		.amdhsa_reserve_vcc 1
		.amdhsa_reserve_flat_scratch 0
		.amdhsa_float_round_mode_32 0
		.amdhsa_float_round_mode_16_64 0
		.amdhsa_float_denorm_mode_32 3
		.amdhsa_float_denorm_mode_16_64 3
		.amdhsa_dx10_clamp 1
		.amdhsa_ieee_mode 1
		.amdhsa_fp16_overflow 0
		.amdhsa_workgroup_processor_mode 1
		.amdhsa_memory_ordered 1
		.amdhsa_forward_progress 1
		.amdhsa_shared_vgpr_count 0
		.amdhsa_exception_fp_ieee_invalid_op 0
		.amdhsa_exception_fp_denorm_src 0
		.amdhsa_exception_fp_ieee_div_zero 0
		.amdhsa_exception_fp_ieee_overflow 0
		.amdhsa_exception_fp_ieee_underflow 0
		.amdhsa_exception_fp_ieee_inexact 0
		.amdhsa_exception_int_div_zero 0
	.end_amdhsa_kernel
	.section	.text._ZN7rocprim17ROCPRIM_400000_NS6detail30init_device_scan_by_key_kernelINS1_19lookback_scan_stateINS0_5tupleIJsbEEELb0ELb1EEENS1_16block_id_wrapperIjLb1EEEEEvT_jjPNS9_10value_typeET0_,"axG",@progbits,_ZN7rocprim17ROCPRIM_400000_NS6detail30init_device_scan_by_key_kernelINS1_19lookback_scan_stateINS0_5tupleIJsbEEELb0ELb1EEENS1_16block_id_wrapperIjLb1EEEEEvT_jjPNS9_10value_typeET0_,comdat
.Lfunc_end271:
	.size	_ZN7rocprim17ROCPRIM_400000_NS6detail30init_device_scan_by_key_kernelINS1_19lookback_scan_stateINS0_5tupleIJsbEEELb0ELb1EEENS1_16block_id_wrapperIjLb1EEEEEvT_jjPNS9_10value_typeET0_, .Lfunc_end271-_ZN7rocprim17ROCPRIM_400000_NS6detail30init_device_scan_by_key_kernelINS1_19lookback_scan_stateINS0_5tupleIJsbEEELb0ELb1EEENS1_16block_id_wrapperIjLb1EEEEEvT_jjPNS9_10value_typeET0_
                                        ; -- End function
	.set _ZN7rocprim17ROCPRIM_400000_NS6detail30init_device_scan_by_key_kernelINS1_19lookback_scan_stateINS0_5tupleIJsbEEELb0ELb1EEENS1_16block_id_wrapperIjLb1EEEEEvT_jjPNS9_10value_typeET0_.num_vgpr, 7
	.set _ZN7rocprim17ROCPRIM_400000_NS6detail30init_device_scan_by_key_kernelINS1_19lookback_scan_stateINS0_5tupleIJsbEEELb0ELb1EEENS1_16block_id_wrapperIjLb1EEEEEvT_jjPNS9_10value_typeET0_.num_agpr, 0
	.set _ZN7rocprim17ROCPRIM_400000_NS6detail30init_device_scan_by_key_kernelINS1_19lookback_scan_stateINS0_5tupleIJsbEEELb0ELb1EEENS1_16block_id_wrapperIjLb1EEEEEvT_jjPNS9_10value_typeET0_.numbered_sgpr, 16
	.set _ZN7rocprim17ROCPRIM_400000_NS6detail30init_device_scan_by_key_kernelINS1_19lookback_scan_stateINS0_5tupleIJsbEEELb0ELb1EEENS1_16block_id_wrapperIjLb1EEEEEvT_jjPNS9_10value_typeET0_.num_named_barrier, 0
	.set _ZN7rocprim17ROCPRIM_400000_NS6detail30init_device_scan_by_key_kernelINS1_19lookback_scan_stateINS0_5tupleIJsbEEELb0ELb1EEENS1_16block_id_wrapperIjLb1EEEEEvT_jjPNS9_10value_typeET0_.private_seg_size, 0
	.set _ZN7rocprim17ROCPRIM_400000_NS6detail30init_device_scan_by_key_kernelINS1_19lookback_scan_stateINS0_5tupleIJsbEEELb0ELb1EEENS1_16block_id_wrapperIjLb1EEEEEvT_jjPNS9_10value_typeET0_.uses_vcc, 1
	.set _ZN7rocprim17ROCPRIM_400000_NS6detail30init_device_scan_by_key_kernelINS1_19lookback_scan_stateINS0_5tupleIJsbEEELb0ELb1EEENS1_16block_id_wrapperIjLb1EEEEEvT_jjPNS9_10value_typeET0_.uses_flat_scratch, 0
	.set _ZN7rocprim17ROCPRIM_400000_NS6detail30init_device_scan_by_key_kernelINS1_19lookback_scan_stateINS0_5tupleIJsbEEELb0ELb1EEENS1_16block_id_wrapperIjLb1EEEEEvT_jjPNS9_10value_typeET0_.has_dyn_sized_stack, 0
	.set _ZN7rocprim17ROCPRIM_400000_NS6detail30init_device_scan_by_key_kernelINS1_19lookback_scan_stateINS0_5tupleIJsbEEELb0ELb1EEENS1_16block_id_wrapperIjLb1EEEEEvT_jjPNS9_10value_typeET0_.has_recursion, 0
	.set _ZN7rocprim17ROCPRIM_400000_NS6detail30init_device_scan_by_key_kernelINS1_19lookback_scan_stateINS0_5tupleIJsbEEELb0ELb1EEENS1_16block_id_wrapperIjLb1EEEEEvT_jjPNS9_10value_typeET0_.has_indirect_call, 0
	.section	.AMDGPU.csdata,"",@progbits
; Kernel info:
; codeLenInByte = 332
; TotalNumSgprs: 18
; NumVgprs: 7
; ScratchSize: 0
; MemoryBound: 0
; FloatMode: 240
; IeeeMode: 1
; LDSByteSize: 0 bytes/workgroup (compile time only)
; SGPRBlocks: 0
; VGPRBlocks: 0
; NumSGPRsForWavesPerEU: 18
; NumVGPRsForWavesPerEU: 7
; Occupancy: 16
; WaveLimiterHint : 0
; COMPUTE_PGM_RSRC2:SCRATCH_EN: 0
; COMPUTE_PGM_RSRC2:USER_SGPR: 6
; COMPUTE_PGM_RSRC2:TRAP_HANDLER: 0
; COMPUTE_PGM_RSRC2:TGID_X_EN: 1
; COMPUTE_PGM_RSRC2:TGID_Y_EN: 0
; COMPUTE_PGM_RSRC2:TGID_Z_EN: 0
; COMPUTE_PGM_RSRC2:TIDIG_COMP_CNT: 0
	.section	.text._ZN7rocprim17ROCPRIM_400000_NS6detail17trampoline_kernelINS0_14default_configENS1_27scan_by_key_config_selectorIssEEZZNS1_16scan_by_key_implILNS1_25lookback_scan_determinismE0ELb0ES3_N6thrust23THRUST_200600_302600_NS6detail15normal_iteratorINS9_10device_ptrIsEEEESE_SE_sNS9_4plusIvEENS9_8equal_toIvEEsEE10hipError_tPvRmT2_T3_T4_T5_mT6_T7_P12ihipStream_tbENKUlT_T0_E_clISt17integral_constantIbLb0EESY_IbLb1EEEEDaSU_SV_EUlSU_E_NS1_11comp_targetILNS1_3genE0ELNS1_11target_archE4294967295ELNS1_3gpuE0ELNS1_3repE0EEENS1_30default_config_static_selectorELNS0_4arch9wavefront6targetE0EEEvT1_,"axG",@progbits,_ZN7rocprim17ROCPRIM_400000_NS6detail17trampoline_kernelINS0_14default_configENS1_27scan_by_key_config_selectorIssEEZZNS1_16scan_by_key_implILNS1_25lookback_scan_determinismE0ELb0ES3_N6thrust23THRUST_200600_302600_NS6detail15normal_iteratorINS9_10device_ptrIsEEEESE_SE_sNS9_4plusIvEENS9_8equal_toIvEEsEE10hipError_tPvRmT2_T3_T4_T5_mT6_T7_P12ihipStream_tbENKUlT_T0_E_clISt17integral_constantIbLb0EESY_IbLb1EEEEDaSU_SV_EUlSU_E_NS1_11comp_targetILNS1_3genE0ELNS1_11target_archE4294967295ELNS1_3gpuE0ELNS1_3repE0EEENS1_30default_config_static_selectorELNS0_4arch9wavefront6targetE0EEEvT1_,comdat
	.protected	_ZN7rocprim17ROCPRIM_400000_NS6detail17trampoline_kernelINS0_14default_configENS1_27scan_by_key_config_selectorIssEEZZNS1_16scan_by_key_implILNS1_25lookback_scan_determinismE0ELb0ES3_N6thrust23THRUST_200600_302600_NS6detail15normal_iteratorINS9_10device_ptrIsEEEESE_SE_sNS9_4plusIvEENS9_8equal_toIvEEsEE10hipError_tPvRmT2_T3_T4_T5_mT6_T7_P12ihipStream_tbENKUlT_T0_E_clISt17integral_constantIbLb0EESY_IbLb1EEEEDaSU_SV_EUlSU_E_NS1_11comp_targetILNS1_3genE0ELNS1_11target_archE4294967295ELNS1_3gpuE0ELNS1_3repE0EEENS1_30default_config_static_selectorELNS0_4arch9wavefront6targetE0EEEvT1_ ; -- Begin function _ZN7rocprim17ROCPRIM_400000_NS6detail17trampoline_kernelINS0_14default_configENS1_27scan_by_key_config_selectorIssEEZZNS1_16scan_by_key_implILNS1_25lookback_scan_determinismE0ELb0ES3_N6thrust23THRUST_200600_302600_NS6detail15normal_iteratorINS9_10device_ptrIsEEEESE_SE_sNS9_4plusIvEENS9_8equal_toIvEEsEE10hipError_tPvRmT2_T3_T4_T5_mT6_T7_P12ihipStream_tbENKUlT_T0_E_clISt17integral_constantIbLb0EESY_IbLb1EEEEDaSU_SV_EUlSU_E_NS1_11comp_targetILNS1_3genE0ELNS1_11target_archE4294967295ELNS1_3gpuE0ELNS1_3repE0EEENS1_30default_config_static_selectorELNS0_4arch9wavefront6targetE0EEEvT1_
	.globl	_ZN7rocprim17ROCPRIM_400000_NS6detail17trampoline_kernelINS0_14default_configENS1_27scan_by_key_config_selectorIssEEZZNS1_16scan_by_key_implILNS1_25lookback_scan_determinismE0ELb0ES3_N6thrust23THRUST_200600_302600_NS6detail15normal_iteratorINS9_10device_ptrIsEEEESE_SE_sNS9_4plusIvEENS9_8equal_toIvEEsEE10hipError_tPvRmT2_T3_T4_T5_mT6_T7_P12ihipStream_tbENKUlT_T0_E_clISt17integral_constantIbLb0EESY_IbLb1EEEEDaSU_SV_EUlSU_E_NS1_11comp_targetILNS1_3genE0ELNS1_11target_archE4294967295ELNS1_3gpuE0ELNS1_3repE0EEENS1_30default_config_static_selectorELNS0_4arch9wavefront6targetE0EEEvT1_
	.p2align	8
	.type	_ZN7rocprim17ROCPRIM_400000_NS6detail17trampoline_kernelINS0_14default_configENS1_27scan_by_key_config_selectorIssEEZZNS1_16scan_by_key_implILNS1_25lookback_scan_determinismE0ELb0ES3_N6thrust23THRUST_200600_302600_NS6detail15normal_iteratorINS9_10device_ptrIsEEEESE_SE_sNS9_4plusIvEENS9_8equal_toIvEEsEE10hipError_tPvRmT2_T3_T4_T5_mT6_T7_P12ihipStream_tbENKUlT_T0_E_clISt17integral_constantIbLb0EESY_IbLb1EEEEDaSU_SV_EUlSU_E_NS1_11comp_targetILNS1_3genE0ELNS1_11target_archE4294967295ELNS1_3gpuE0ELNS1_3repE0EEENS1_30default_config_static_selectorELNS0_4arch9wavefront6targetE0EEEvT1_,@function
_ZN7rocprim17ROCPRIM_400000_NS6detail17trampoline_kernelINS0_14default_configENS1_27scan_by_key_config_selectorIssEEZZNS1_16scan_by_key_implILNS1_25lookback_scan_determinismE0ELb0ES3_N6thrust23THRUST_200600_302600_NS6detail15normal_iteratorINS9_10device_ptrIsEEEESE_SE_sNS9_4plusIvEENS9_8equal_toIvEEsEE10hipError_tPvRmT2_T3_T4_T5_mT6_T7_P12ihipStream_tbENKUlT_T0_E_clISt17integral_constantIbLb0EESY_IbLb1EEEEDaSU_SV_EUlSU_E_NS1_11comp_targetILNS1_3genE0ELNS1_11target_archE4294967295ELNS1_3gpuE0ELNS1_3repE0EEENS1_30default_config_static_selectorELNS0_4arch9wavefront6targetE0EEEvT1_: ; @_ZN7rocprim17ROCPRIM_400000_NS6detail17trampoline_kernelINS0_14default_configENS1_27scan_by_key_config_selectorIssEEZZNS1_16scan_by_key_implILNS1_25lookback_scan_determinismE0ELb0ES3_N6thrust23THRUST_200600_302600_NS6detail15normal_iteratorINS9_10device_ptrIsEEEESE_SE_sNS9_4plusIvEENS9_8equal_toIvEEsEE10hipError_tPvRmT2_T3_T4_T5_mT6_T7_P12ihipStream_tbENKUlT_T0_E_clISt17integral_constantIbLb0EESY_IbLb1EEEEDaSU_SV_EUlSU_E_NS1_11comp_targetILNS1_3genE0ELNS1_11target_archE4294967295ELNS1_3gpuE0ELNS1_3repE0EEENS1_30default_config_static_selectorELNS0_4arch9wavefront6targetE0EEEvT1_
; %bb.0:
	.section	.rodata,"a",@progbits
	.p2align	6, 0x0
	.amdhsa_kernel _ZN7rocprim17ROCPRIM_400000_NS6detail17trampoline_kernelINS0_14default_configENS1_27scan_by_key_config_selectorIssEEZZNS1_16scan_by_key_implILNS1_25lookback_scan_determinismE0ELb0ES3_N6thrust23THRUST_200600_302600_NS6detail15normal_iteratorINS9_10device_ptrIsEEEESE_SE_sNS9_4plusIvEENS9_8equal_toIvEEsEE10hipError_tPvRmT2_T3_T4_T5_mT6_T7_P12ihipStream_tbENKUlT_T0_E_clISt17integral_constantIbLb0EESY_IbLb1EEEEDaSU_SV_EUlSU_E_NS1_11comp_targetILNS1_3genE0ELNS1_11target_archE4294967295ELNS1_3gpuE0ELNS1_3repE0EEENS1_30default_config_static_selectorELNS0_4arch9wavefront6targetE0EEEvT1_
		.amdhsa_group_segment_fixed_size 0
		.amdhsa_private_segment_fixed_size 0
		.amdhsa_kernarg_size 112
		.amdhsa_user_sgpr_count 6
		.amdhsa_user_sgpr_private_segment_buffer 1
		.amdhsa_user_sgpr_dispatch_ptr 0
		.amdhsa_user_sgpr_queue_ptr 0
		.amdhsa_user_sgpr_kernarg_segment_ptr 1
		.amdhsa_user_sgpr_dispatch_id 0
		.amdhsa_user_sgpr_flat_scratch_init 0
		.amdhsa_user_sgpr_private_segment_size 0
		.amdhsa_wavefront_size32 1
		.amdhsa_uses_dynamic_stack 0
		.amdhsa_system_sgpr_private_segment_wavefront_offset 0
		.amdhsa_system_sgpr_workgroup_id_x 1
		.amdhsa_system_sgpr_workgroup_id_y 0
		.amdhsa_system_sgpr_workgroup_id_z 0
		.amdhsa_system_sgpr_workgroup_info 0
		.amdhsa_system_vgpr_workitem_id 0
		.amdhsa_next_free_vgpr 1
		.amdhsa_next_free_sgpr 1
		.amdhsa_reserve_vcc 0
		.amdhsa_reserve_flat_scratch 0
		.amdhsa_float_round_mode_32 0
		.amdhsa_float_round_mode_16_64 0
		.amdhsa_float_denorm_mode_32 3
		.amdhsa_float_denorm_mode_16_64 3
		.amdhsa_dx10_clamp 1
		.amdhsa_ieee_mode 1
		.amdhsa_fp16_overflow 0
		.amdhsa_workgroup_processor_mode 1
		.amdhsa_memory_ordered 1
		.amdhsa_forward_progress 1
		.amdhsa_shared_vgpr_count 0
		.amdhsa_exception_fp_ieee_invalid_op 0
		.amdhsa_exception_fp_denorm_src 0
		.amdhsa_exception_fp_ieee_div_zero 0
		.amdhsa_exception_fp_ieee_overflow 0
		.amdhsa_exception_fp_ieee_underflow 0
		.amdhsa_exception_fp_ieee_inexact 0
		.amdhsa_exception_int_div_zero 0
	.end_amdhsa_kernel
	.section	.text._ZN7rocprim17ROCPRIM_400000_NS6detail17trampoline_kernelINS0_14default_configENS1_27scan_by_key_config_selectorIssEEZZNS1_16scan_by_key_implILNS1_25lookback_scan_determinismE0ELb0ES3_N6thrust23THRUST_200600_302600_NS6detail15normal_iteratorINS9_10device_ptrIsEEEESE_SE_sNS9_4plusIvEENS9_8equal_toIvEEsEE10hipError_tPvRmT2_T3_T4_T5_mT6_T7_P12ihipStream_tbENKUlT_T0_E_clISt17integral_constantIbLb0EESY_IbLb1EEEEDaSU_SV_EUlSU_E_NS1_11comp_targetILNS1_3genE0ELNS1_11target_archE4294967295ELNS1_3gpuE0ELNS1_3repE0EEENS1_30default_config_static_selectorELNS0_4arch9wavefront6targetE0EEEvT1_,"axG",@progbits,_ZN7rocprim17ROCPRIM_400000_NS6detail17trampoline_kernelINS0_14default_configENS1_27scan_by_key_config_selectorIssEEZZNS1_16scan_by_key_implILNS1_25lookback_scan_determinismE0ELb0ES3_N6thrust23THRUST_200600_302600_NS6detail15normal_iteratorINS9_10device_ptrIsEEEESE_SE_sNS9_4plusIvEENS9_8equal_toIvEEsEE10hipError_tPvRmT2_T3_T4_T5_mT6_T7_P12ihipStream_tbENKUlT_T0_E_clISt17integral_constantIbLb0EESY_IbLb1EEEEDaSU_SV_EUlSU_E_NS1_11comp_targetILNS1_3genE0ELNS1_11target_archE4294967295ELNS1_3gpuE0ELNS1_3repE0EEENS1_30default_config_static_selectorELNS0_4arch9wavefront6targetE0EEEvT1_,comdat
.Lfunc_end272:
	.size	_ZN7rocprim17ROCPRIM_400000_NS6detail17trampoline_kernelINS0_14default_configENS1_27scan_by_key_config_selectorIssEEZZNS1_16scan_by_key_implILNS1_25lookback_scan_determinismE0ELb0ES3_N6thrust23THRUST_200600_302600_NS6detail15normal_iteratorINS9_10device_ptrIsEEEESE_SE_sNS9_4plusIvEENS9_8equal_toIvEEsEE10hipError_tPvRmT2_T3_T4_T5_mT6_T7_P12ihipStream_tbENKUlT_T0_E_clISt17integral_constantIbLb0EESY_IbLb1EEEEDaSU_SV_EUlSU_E_NS1_11comp_targetILNS1_3genE0ELNS1_11target_archE4294967295ELNS1_3gpuE0ELNS1_3repE0EEENS1_30default_config_static_selectorELNS0_4arch9wavefront6targetE0EEEvT1_, .Lfunc_end272-_ZN7rocprim17ROCPRIM_400000_NS6detail17trampoline_kernelINS0_14default_configENS1_27scan_by_key_config_selectorIssEEZZNS1_16scan_by_key_implILNS1_25lookback_scan_determinismE0ELb0ES3_N6thrust23THRUST_200600_302600_NS6detail15normal_iteratorINS9_10device_ptrIsEEEESE_SE_sNS9_4plusIvEENS9_8equal_toIvEEsEE10hipError_tPvRmT2_T3_T4_T5_mT6_T7_P12ihipStream_tbENKUlT_T0_E_clISt17integral_constantIbLb0EESY_IbLb1EEEEDaSU_SV_EUlSU_E_NS1_11comp_targetILNS1_3genE0ELNS1_11target_archE4294967295ELNS1_3gpuE0ELNS1_3repE0EEENS1_30default_config_static_selectorELNS0_4arch9wavefront6targetE0EEEvT1_
                                        ; -- End function
	.set _ZN7rocprim17ROCPRIM_400000_NS6detail17trampoline_kernelINS0_14default_configENS1_27scan_by_key_config_selectorIssEEZZNS1_16scan_by_key_implILNS1_25lookback_scan_determinismE0ELb0ES3_N6thrust23THRUST_200600_302600_NS6detail15normal_iteratorINS9_10device_ptrIsEEEESE_SE_sNS9_4plusIvEENS9_8equal_toIvEEsEE10hipError_tPvRmT2_T3_T4_T5_mT6_T7_P12ihipStream_tbENKUlT_T0_E_clISt17integral_constantIbLb0EESY_IbLb1EEEEDaSU_SV_EUlSU_E_NS1_11comp_targetILNS1_3genE0ELNS1_11target_archE4294967295ELNS1_3gpuE0ELNS1_3repE0EEENS1_30default_config_static_selectorELNS0_4arch9wavefront6targetE0EEEvT1_.num_vgpr, 0
	.set _ZN7rocprim17ROCPRIM_400000_NS6detail17trampoline_kernelINS0_14default_configENS1_27scan_by_key_config_selectorIssEEZZNS1_16scan_by_key_implILNS1_25lookback_scan_determinismE0ELb0ES3_N6thrust23THRUST_200600_302600_NS6detail15normal_iteratorINS9_10device_ptrIsEEEESE_SE_sNS9_4plusIvEENS9_8equal_toIvEEsEE10hipError_tPvRmT2_T3_T4_T5_mT6_T7_P12ihipStream_tbENKUlT_T0_E_clISt17integral_constantIbLb0EESY_IbLb1EEEEDaSU_SV_EUlSU_E_NS1_11comp_targetILNS1_3genE0ELNS1_11target_archE4294967295ELNS1_3gpuE0ELNS1_3repE0EEENS1_30default_config_static_selectorELNS0_4arch9wavefront6targetE0EEEvT1_.num_agpr, 0
	.set _ZN7rocprim17ROCPRIM_400000_NS6detail17trampoline_kernelINS0_14default_configENS1_27scan_by_key_config_selectorIssEEZZNS1_16scan_by_key_implILNS1_25lookback_scan_determinismE0ELb0ES3_N6thrust23THRUST_200600_302600_NS6detail15normal_iteratorINS9_10device_ptrIsEEEESE_SE_sNS9_4plusIvEENS9_8equal_toIvEEsEE10hipError_tPvRmT2_T3_T4_T5_mT6_T7_P12ihipStream_tbENKUlT_T0_E_clISt17integral_constantIbLb0EESY_IbLb1EEEEDaSU_SV_EUlSU_E_NS1_11comp_targetILNS1_3genE0ELNS1_11target_archE4294967295ELNS1_3gpuE0ELNS1_3repE0EEENS1_30default_config_static_selectorELNS0_4arch9wavefront6targetE0EEEvT1_.numbered_sgpr, 0
	.set _ZN7rocprim17ROCPRIM_400000_NS6detail17trampoline_kernelINS0_14default_configENS1_27scan_by_key_config_selectorIssEEZZNS1_16scan_by_key_implILNS1_25lookback_scan_determinismE0ELb0ES3_N6thrust23THRUST_200600_302600_NS6detail15normal_iteratorINS9_10device_ptrIsEEEESE_SE_sNS9_4plusIvEENS9_8equal_toIvEEsEE10hipError_tPvRmT2_T3_T4_T5_mT6_T7_P12ihipStream_tbENKUlT_T0_E_clISt17integral_constantIbLb0EESY_IbLb1EEEEDaSU_SV_EUlSU_E_NS1_11comp_targetILNS1_3genE0ELNS1_11target_archE4294967295ELNS1_3gpuE0ELNS1_3repE0EEENS1_30default_config_static_selectorELNS0_4arch9wavefront6targetE0EEEvT1_.num_named_barrier, 0
	.set _ZN7rocprim17ROCPRIM_400000_NS6detail17trampoline_kernelINS0_14default_configENS1_27scan_by_key_config_selectorIssEEZZNS1_16scan_by_key_implILNS1_25lookback_scan_determinismE0ELb0ES3_N6thrust23THRUST_200600_302600_NS6detail15normal_iteratorINS9_10device_ptrIsEEEESE_SE_sNS9_4plusIvEENS9_8equal_toIvEEsEE10hipError_tPvRmT2_T3_T4_T5_mT6_T7_P12ihipStream_tbENKUlT_T0_E_clISt17integral_constantIbLb0EESY_IbLb1EEEEDaSU_SV_EUlSU_E_NS1_11comp_targetILNS1_3genE0ELNS1_11target_archE4294967295ELNS1_3gpuE0ELNS1_3repE0EEENS1_30default_config_static_selectorELNS0_4arch9wavefront6targetE0EEEvT1_.private_seg_size, 0
	.set _ZN7rocprim17ROCPRIM_400000_NS6detail17trampoline_kernelINS0_14default_configENS1_27scan_by_key_config_selectorIssEEZZNS1_16scan_by_key_implILNS1_25lookback_scan_determinismE0ELb0ES3_N6thrust23THRUST_200600_302600_NS6detail15normal_iteratorINS9_10device_ptrIsEEEESE_SE_sNS9_4plusIvEENS9_8equal_toIvEEsEE10hipError_tPvRmT2_T3_T4_T5_mT6_T7_P12ihipStream_tbENKUlT_T0_E_clISt17integral_constantIbLb0EESY_IbLb1EEEEDaSU_SV_EUlSU_E_NS1_11comp_targetILNS1_3genE0ELNS1_11target_archE4294967295ELNS1_3gpuE0ELNS1_3repE0EEENS1_30default_config_static_selectorELNS0_4arch9wavefront6targetE0EEEvT1_.uses_vcc, 0
	.set _ZN7rocprim17ROCPRIM_400000_NS6detail17trampoline_kernelINS0_14default_configENS1_27scan_by_key_config_selectorIssEEZZNS1_16scan_by_key_implILNS1_25lookback_scan_determinismE0ELb0ES3_N6thrust23THRUST_200600_302600_NS6detail15normal_iteratorINS9_10device_ptrIsEEEESE_SE_sNS9_4plusIvEENS9_8equal_toIvEEsEE10hipError_tPvRmT2_T3_T4_T5_mT6_T7_P12ihipStream_tbENKUlT_T0_E_clISt17integral_constantIbLb0EESY_IbLb1EEEEDaSU_SV_EUlSU_E_NS1_11comp_targetILNS1_3genE0ELNS1_11target_archE4294967295ELNS1_3gpuE0ELNS1_3repE0EEENS1_30default_config_static_selectorELNS0_4arch9wavefront6targetE0EEEvT1_.uses_flat_scratch, 0
	.set _ZN7rocprim17ROCPRIM_400000_NS6detail17trampoline_kernelINS0_14default_configENS1_27scan_by_key_config_selectorIssEEZZNS1_16scan_by_key_implILNS1_25lookback_scan_determinismE0ELb0ES3_N6thrust23THRUST_200600_302600_NS6detail15normal_iteratorINS9_10device_ptrIsEEEESE_SE_sNS9_4plusIvEENS9_8equal_toIvEEsEE10hipError_tPvRmT2_T3_T4_T5_mT6_T7_P12ihipStream_tbENKUlT_T0_E_clISt17integral_constantIbLb0EESY_IbLb1EEEEDaSU_SV_EUlSU_E_NS1_11comp_targetILNS1_3genE0ELNS1_11target_archE4294967295ELNS1_3gpuE0ELNS1_3repE0EEENS1_30default_config_static_selectorELNS0_4arch9wavefront6targetE0EEEvT1_.has_dyn_sized_stack, 0
	.set _ZN7rocprim17ROCPRIM_400000_NS6detail17trampoline_kernelINS0_14default_configENS1_27scan_by_key_config_selectorIssEEZZNS1_16scan_by_key_implILNS1_25lookback_scan_determinismE0ELb0ES3_N6thrust23THRUST_200600_302600_NS6detail15normal_iteratorINS9_10device_ptrIsEEEESE_SE_sNS9_4plusIvEENS9_8equal_toIvEEsEE10hipError_tPvRmT2_T3_T4_T5_mT6_T7_P12ihipStream_tbENKUlT_T0_E_clISt17integral_constantIbLb0EESY_IbLb1EEEEDaSU_SV_EUlSU_E_NS1_11comp_targetILNS1_3genE0ELNS1_11target_archE4294967295ELNS1_3gpuE0ELNS1_3repE0EEENS1_30default_config_static_selectorELNS0_4arch9wavefront6targetE0EEEvT1_.has_recursion, 0
	.set _ZN7rocprim17ROCPRIM_400000_NS6detail17trampoline_kernelINS0_14default_configENS1_27scan_by_key_config_selectorIssEEZZNS1_16scan_by_key_implILNS1_25lookback_scan_determinismE0ELb0ES3_N6thrust23THRUST_200600_302600_NS6detail15normal_iteratorINS9_10device_ptrIsEEEESE_SE_sNS9_4plusIvEENS9_8equal_toIvEEsEE10hipError_tPvRmT2_T3_T4_T5_mT6_T7_P12ihipStream_tbENKUlT_T0_E_clISt17integral_constantIbLb0EESY_IbLb1EEEEDaSU_SV_EUlSU_E_NS1_11comp_targetILNS1_3genE0ELNS1_11target_archE4294967295ELNS1_3gpuE0ELNS1_3repE0EEENS1_30default_config_static_selectorELNS0_4arch9wavefront6targetE0EEEvT1_.has_indirect_call, 0
	.section	.AMDGPU.csdata,"",@progbits
; Kernel info:
; codeLenInByte = 0
; TotalNumSgprs: 0
; NumVgprs: 0
; ScratchSize: 0
; MemoryBound: 0
; FloatMode: 240
; IeeeMode: 1
; LDSByteSize: 0 bytes/workgroup (compile time only)
; SGPRBlocks: 0
; VGPRBlocks: 0
; NumSGPRsForWavesPerEU: 1
; NumVGPRsForWavesPerEU: 1
; Occupancy: 16
; WaveLimiterHint : 0
; COMPUTE_PGM_RSRC2:SCRATCH_EN: 0
; COMPUTE_PGM_RSRC2:USER_SGPR: 6
; COMPUTE_PGM_RSRC2:TRAP_HANDLER: 0
; COMPUTE_PGM_RSRC2:TGID_X_EN: 1
; COMPUTE_PGM_RSRC2:TGID_Y_EN: 0
; COMPUTE_PGM_RSRC2:TGID_Z_EN: 0
; COMPUTE_PGM_RSRC2:TIDIG_COMP_CNT: 0
	.section	.text._ZN7rocprim17ROCPRIM_400000_NS6detail17trampoline_kernelINS0_14default_configENS1_27scan_by_key_config_selectorIssEEZZNS1_16scan_by_key_implILNS1_25lookback_scan_determinismE0ELb0ES3_N6thrust23THRUST_200600_302600_NS6detail15normal_iteratorINS9_10device_ptrIsEEEESE_SE_sNS9_4plusIvEENS9_8equal_toIvEEsEE10hipError_tPvRmT2_T3_T4_T5_mT6_T7_P12ihipStream_tbENKUlT_T0_E_clISt17integral_constantIbLb0EESY_IbLb1EEEEDaSU_SV_EUlSU_E_NS1_11comp_targetILNS1_3genE10ELNS1_11target_archE1201ELNS1_3gpuE5ELNS1_3repE0EEENS1_30default_config_static_selectorELNS0_4arch9wavefront6targetE0EEEvT1_,"axG",@progbits,_ZN7rocprim17ROCPRIM_400000_NS6detail17trampoline_kernelINS0_14default_configENS1_27scan_by_key_config_selectorIssEEZZNS1_16scan_by_key_implILNS1_25lookback_scan_determinismE0ELb0ES3_N6thrust23THRUST_200600_302600_NS6detail15normal_iteratorINS9_10device_ptrIsEEEESE_SE_sNS9_4plusIvEENS9_8equal_toIvEEsEE10hipError_tPvRmT2_T3_T4_T5_mT6_T7_P12ihipStream_tbENKUlT_T0_E_clISt17integral_constantIbLb0EESY_IbLb1EEEEDaSU_SV_EUlSU_E_NS1_11comp_targetILNS1_3genE10ELNS1_11target_archE1201ELNS1_3gpuE5ELNS1_3repE0EEENS1_30default_config_static_selectorELNS0_4arch9wavefront6targetE0EEEvT1_,comdat
	.protected	_ZN7rocprim17ROCPRIM_400000_NS6detail17trampoline_kernelINS0_14default_configENS1_27scan_by_key_config_selectorIssEEZZNS1_16scan_by_key_implILNS1_25lookback_scan_determinismE0ELb0ES3_N6thrust23THRUST_200600_302600_NS6detail15normal_iteratorINS9_10device_ptrIsEEEESE_SE_sNS9_4plusIvEENS9_8equal_toIvEEsEE10hipError_tPvRmT2_T3_T4_T5_mT6_T7_P12ihipStream_tbENKUlT_T0_E_clISt17integral_constantIbLb0EESY_IbLb1EEEEDaSU_SV_EUlSU_E_NS1_11comp_targetILNS1_3genE10ELNS1_11target_archE1201ELNS1_3gpuE5ELNS1_3repE0EEENS1_30default_config_static_selectorELNS0_4arch9wavefront6targetE0EEEvT1_ ; -- Begin function _ZN7rocprim17ROCPRIM_400000_NS6detail17trampoline_kernelINS0_14default_configENS1_27scan_by_key_config_selectorIssEEZZNS1_16scan_by_key_implILNS1_25lookback_scan_determinismE0ELb0ES3_N6thrust23THRUST_200600_302600_NS6detail15normal_iteratorINS9_10device_ptrIsEEEESE_SE_sNS9_4plusIvEENS9_8equal_toIvEEsEE10hipError_tPvRmT2_T3_T4_T5_mT6_T7_P12ihipStream_tbENKUlT_T0_E_clISt17integral_constantIbLb0EESY_IbLb1EEEEDaSU_SV_EUlSU_E_NS1_11comp_targetILNS1_3genE10ELNS1_11target_archE1201ELNS1_3gpuE5ELNS1_3repE0EEENS1_30default_config_static_selectorELNS0_4arch9wavefront6targetE0EEEvT1_
	.globl	_ZN7rocprim17ROCPRIM_400000_NS6detail17trampoline_kernelINS0_14default_configENS1_27scan_by_key_config_selectorIssEEZZNS1_16scan_by_key_implILNS1_25lookback_scan_determinismE0ELb0ES3_N6thrust23THRUST_200600_302600_NS6detail15normal_iteratorINS9_10device_ptrIsEEEESE_SE_sNS9_4plusIvEENS9_8equal_toIvEEsEE10hipError_tPvRmT2_T3_T4_T5_mT6_T7_P12ihipStream_tbENKUlT_T0_E_clISt17integral_constantIbLb0EESY_IbLb1EEEEDaSU_SV_EUlSU_E_NS1_11comp_targetILNS1_3genE10ELNS1_11target_archE1201ELNS1_3gpuE5ELNS1_3repE0EEENS1_30default_config_static_selectorELNS0_4arch9wavefront6targetE0EEEvT1_
	.p2align	8
	.type	_ZN7rocprim17ROCPRIM_400000_NS6detail17trampoline_kernelINS0_14default_configENS1_27scan_by_key_config_selectorIssEEZZNS1_16scan_by_key_implILNS1_25lookback_scan_determinismE0ELb0ES3_N6thrust23THRUST_200600_302600_NS6detail15normal_iteratorINS9_10device_ptrIsEEEESE_SE_sNS9_4plusIvEENS9_8equal_toIvEEsEE10hipError_tPvRmT2_T3_T4_T5_mT6_T7_P12ihipStream_tbENKUlT_T0_E_clISt17integral_constantIbLb0EESY_IbLb1EEEEDaSU_SV_EUlSU_E_NS1_11comp_targetILNS1_3genE10ELNS1_11target_archE1201ELNS1_3gpuE5ELNS1_3repE0EEENS1_30default_config_static_selectorELNS0_4arch9wavefront6targetE0EEEvT1_,@function
_ZN7rocprim17ROCPRIM_400000_NS6detail17trampoline_kernelINS0_14default_configENS1_27scan_by_key_config_selectorIssEEZZNS1_16scan_by_key_implILNS1_25lookback_scan_determinismE0ELb0ES3_N6thrust23THRUST_200600_302600_NS6detail15normal_iteratorINS9_10device_ptrIsEEEESE_SE_sNS9_4plusIvEENS9_8equal_toIvEEsEE10hipError_tPvRmT2_T3_T4_T5_mT6_T7_P12ihipStream_tbENKUlT_T0_E_clISt17integral_constantIbLb0EESY_IbLb1EEEEDaSU_SV_EUlSU_E_NS1_11comp_targetILNS1_3genE10ELNS1_11target_archE1201ELNS1_3gpuE5ELNS1_3repE0EEENS1_30default_config_static_selectorELNS0_4arch9wavefront6targetE0EEEvT1_: ; @_ZN7rocprim17ROCPRIM_400000_NS6detail17trampoline_kernelINS0_14default_configENS1_27scan_by_key_config_selectorIssEEZZNS1_16scan_by_key_implILNS1_25lookback_scan_determinismE0ELb0ES3_N6thrust23THRUST_200600_302600_NS6detail15normal_iteratorINS9_10device_ptrIsEEEESE_SE_sNS9_4plusIvEENS9_8equal_toIvEEsEE10hipError_tPvRmT2_T3_T4_T5_mT6_T7_P12ihipStream_tbENKUlT_T0_E_clISt17integral_constantIbLb0EESY_IbLb1EEEEDaSU_SV_EUlSU_E_NS1_11comp_targetILNS1_3genE10ELNS1_11target_archE1201ELNS1_3gpuE5ELNS1_3repE0EEENS1_30default_config_static_selectorELNS0_4arch9wavefront6targetE0EEEvT1_
; %bb.0:
	.section	.rodata,"a",@progbits
	.p2align	6, 0x0
	.amdhsa_kernel _ZN7rocprim17ROCPRIM_400000_NS6detail17trampoline_kernelINS0_14default_configENS1_27scan_by_key_config_selectorIssEEZZNS1_16scan_by_key_implILNS1_25lookback_scan_determinismE0ELb0ES3_N6thrust23THRUST_200600_302600_NS6detail15normal_iteratorINS9_10device_ptrIsEEEESE_SE_sNS9_4plusIvEENS9_8equal_toIvEEsEE10hipError_tPvRmT2_T3_T4_T5_mT6_T7_P12ihipStream_tbENKUlT_T0_E_clISt17integral_constantIbLb0EESY_IbLb1EEEEDaSU_SV_EUlSU_E_NS1_11comp_targetILNS1_3genE10ELNS1_11target_archE1201ELNS1_3gpuE5ELNS1_3repE0EEENS1_30default_config_static_selectorELNS0_4arch9wavefront6targetE0EEEvT1_
		.amdhsa_group_segment_fixed_size 0
		.amdhsa_private_segment_fixed_size 0
		.amdhsa_kernarg_size 112
		.amdhsa_user_sgpr_count 6
		.amdhsa_user_sgpr_private_segment_buffer 1
		.amdhsa_user_sgpr_dispatch_ptr 0
		.amdhsa_user_sgpr_queue_ptr 0
		.amdhsa_user_sgpr_kernarg_segment_ptr 1
		.amdhsa_user_sgpr_dispatch_id 0
		.amdhsa_user_sgpr_flat_scratch_init 0
		.amdhsa_user_sgpr_private_segment_size 0
		.amdhsa_wavefront_size32 1
		.amdhsa_uses_dynamic_stack 0
		.amdhsa_system_sgpr_private_segment_wavefront_offset 0
		.amdhsa_system_sgpr_workgroup_id_x 1
		.amdhsa_system_sgpr_workgroup_id_y 0
		.amdhsa_system_sgpr_workgroup_id_z 0
		.amdhsa_system_sgpr_workgroup_info 0
		.amdhsa_system_vgpr_workitem_id 0
		.amdhsa_next_free_vgpr 1
		.amdhsa_next_free_sgpr 1
		.amdhsa_reserve_vcc 0
		.amdhsa_reserve_flat_scratch 0
		.amdhsa_float_round_mode_32 0
		.amdhsa_float_round_mode_16_64 0
		.amdhsa_float_denorm_mode_32 3
		.amdhsa_float_denorm_mode_16_64 3
		.amdhsa_dx10_clamp 1
		.amdhsa_ieee_mode 1
		.amdhsa_fp16_overflow 0
		.amdhsa_workgroup_processor_mode 1
		.amdhsa_memory_ordered 1
		.amdhsa_forward_progress 1
		.amdhsa_shared_vgpr_count 0
		.amdhsa_exception_fp_ieee_invalid_op 0
		.amdhsa_exception_fp_denorm_src 0
		.amdhsa_exception_fp_ieee_div_zero 0
		.amdhsa_exception_fp_ieee_overflow 0
		.amdhsa_exception_fp_ieee_underflow 0
		.amdhsa_exception_fp_ieee_inexact 0
		.amdhsa_exception_int_div_zero 0
	.end_amdhsa_kernel
	.section	.text._ZN7rocprim17ROCPRIM_400000_NS6detail17trampoline_kernelINS0_14default_configENS1_27scan_by_key_config_selectorIssEEZZNS1_16scan_by_key_implILNS1_25lookback_scan_determinismE0ELb0ES3_N6thrust23THRUST_200600_302600_NS6detail15normal_iteratorINS9_10device_ptrIsEEEESE_SE_sNS9_4plusIvEENS9_8equal_toIvEEsEE10hipError_tPvRmT2_T3_T4_T5_mT6_T7_P12ihipStream_tbENKUlT_T0_E_clISt17integral_constantIbLb0EESY_IbLb1EEEEDaSU_SV_EUlSU_E_NS1_11comp_targetILNS1_3genE10ELNS1_11target_archE1201ELNS1_3gpuE5ELNS1_3repE0EEENS1_30default_config_static_selectorELNS0_4arch9wavefront6targetE0EEEvT1_,"axG",@progbits,_ZN7rocprim17ROCPRIM_400000_NS6detail17trampoline_kernelINS0_14default_configENS1_27scan_by_key_config_selectorIssEEZZNS1_16scan_by_key_implILNS1_25lookback_scan_determinismE0ELb0ES3_N6thrust23THRUST_200600_302600_NS6detail15normal_iteratorINS9_10device_ptrIsEEEESE_SE_sNS9_4plusIvEENS9_8equal_toIvEEsEE10hipError_tPvRmT2_T3_T4_T5_mT6_T7_P12ihipStream_tbENKUlT_T0_E_clISt17integral_constantIbLb0EESY_IbLb1EEEEDaSU_SV_EUlSU_E_NS1_11comp_targetILNS1_3genE10ELNS1_11target_archE1201ELNS1_3gpuE5ELNS1_3repE0EEENS1_30default_config_static_selectorELNS0_4arch9wavefront6targetE0EEEvT1_,comdat
.Lfunc_end273:
	.size	_ZN7rocprim17ROCPRIM_400000_NS6detail17trampoline_kernelINS0_14default_configENS1_27scan_by_key_config_selectorIssEEZZNS1_16scan_by_key_implILNS1_25lookback_scan_determinismE0ELb0ES3_N6thrust23THRUST_200600_302600_NS6detail15normal_iteratorINS9_10device_ptrIsEEEESE_SE_sNS9_4plusIvEENS9_8equal_toIvEEsEE10hipError_tPvRmT2_T3_T4_T5_mT6_T7_P12ihipStream_tbENKUlT_T0_E_clISt17integral_constantIbLb0EESY_IbLb1EEEEDaSU_SV_EUlSU_E_NS1_11comp_targetILNS1_3genE10ELNS1_11target_archE1201ELNS1_3gpuE5ELNS1_3repE0EEENS1_30default_config_static_selectorELNS0_4arch9wavefront6targetE0EEEvT1_, .Lfunc_end273-_ZN7rocprim17ROCPRIM_400000_NS6detail17trampoline_kernelINS0_14default_configENS1_27scan_by_key_config_selectorIssEEZZNS1_16scan_by_key_implILNS1_25lookback_scan_determinismE0ELb0ES3_N6thrust23THRUST_200600_302600_NS6detail15normal_iteratorINS9_10device_ptrIsEEEESE_SE_sNS9_4plusIvEENS9_8equal_toIvEEsEE10hipError_tPvRmT2_T3_T4_T5_mT6_T7_P12ihipStream_tbENKUlT_T0_E_clISt17integral_constantIbLb0EESY_IbLb1EEEEDaSU_SV_EUlSU_E_NS1_11comp_targetILNS1_3genE10ELNS1_11target_archE1201ELNS1_3gpuE5ELNS1_3repE0EEENS1_30default_config_static_selectorELNS0_4arch9wavefront6targetE0EEEvT1_
                                        ; -- End function
	.set _ZN7rocprim17ROCPRIM_400000_NS6detail17trampoline_kernelINS0_14default_configENS1_27scan_by_key_config_selectorIssEEZZNS1_16scan_by_key_implILNS1_25lookback_scan_determinismE0ELb0ES3_N6thrust23THRUST_200600_302600_NS6detail15normal_iteratorINS9_10device_ptrIsEEEESE_SE_sNS9_4plusIvEENS9_8equal_toIvEEsEE10hipError_tPvRmT2_T3_T4_T5_mT6_T7_P12ihipStream_tbENKUlT_T0_E_clISt17integral_constantIbLb0EESY_IbLb1EEEEDaSU_SV_EUlSU_E_NS1_11comp_targetILNS1_3genE10ELNS1_11target_archE1201ELNS1_3gpuE5ELNS1_3repE0EEENS1_30default_config_static_selectorELNS0_4arch9wavefront6targetE0EEEvT1_.num_vgpr, 0
	.set _ZN7rocprim17ROCPRIM_400000_NS6detail17trampoline_kernelINS0_14default_configENS1_27scan_by_key_config_selectorIssEEZZNS1_16scan_by_key_implILNS1_25lookback_scan_determinismE0ELb0ES3_N6thrust23THRUST_200600_302600_NS6detail15normal_iteratorINS9_10device_ptrIsEEEESE_SE_sNS9_4plusIvEENS9_8equal_toIvEEsEE10hipError_tPvRmT2_T3_T4_T5_mT6_T7_P12ihipStream_tbENKUlT_T0_E_clISt17integral_constantIbLb0EESY_IbLb1EEEEDaSU_SV_EUlSU_E_NS1_11comp_targetILNS1_3genE10ELNS1_11target_archE1201ELNS1_3gpuE5ELNS1_3repE0EEENS1_30default_config_static_selectorELNS0_4arch9wavefront6targetE0EEEvT1_.num_agpr, 0
	.set _ZN7rocprim17ROCPRIM_400000_NS6detail17trampoline_kernelINS0_14default_configENS1_27scan_by_key_config_selectorIssEEZZNS1_16scan_by_key_implILNS1_25lookback_scan_determinismE0ELb0ES3_N6thrust23THRUST_200600_302600_NS6detail15normal_iteratorINS9_10device_ptrIsEEEESE_SE_sNS9_4plusIvEENS9_8equal_toIvEEsEE10hipError_tPvRmT2_T3_T4_T5_mT6_T7_P12ihipStream_tbENKUlT_T0_E_clISt17integral_constantIbLb0EESY_IbLb1EEEEDaSU_SV_EUlSU_E_NS1_11comp_targetILNS1_3genE10ELNS1_11target_archE1201ELNS1_3gpuE5ELNS1_3repE0EEENS1_30default_config_static_selectorELNS0_4arch9wavefront6targetE0EEEvT1_.numbered_sgpr, 0
	.set _ZN7rocprim17ROCPRIM_400000_NS6detail17trampoline_kernelINS0_14default_configENS1_27scan_by_key_config_selectorIssEEZZNS1_16scan_by_key_implILNS1_25lookback_scan_determinismE0ELb0ES3_N6thrust23THRUST_200600_302600_NS6detail15normal_iteratorINS9_10device_ptrIsEEEESE_SE_sNS9_4plusIvEENS9_8equal_toIvEEsEE10hipError_tPvRmT2_T3_T4_T5_mT6_T7_P12ihipStream_tbENKUlT_T0_E_clISt17integral_constantIbLb0EESY_IbLb1EEEEDaSU_SV_EUlSU_E_NS1_11comp_targetILNS1_3genE10ELNS1_11target_archE1201ELNS1_3gpuE5ELNS1_3repE0EEENS1_30default_config_static_selectorELNS0_4arch9wavefront6targetE0EEEvT1_.num_named_barrier, 0
	.set _ZN7rocprim17ROCPRIM_400000_NS6detail17trampoline_kernelINS0_14default_configENS1_27scan_by_key_config_selectorIssEEZZNS1_16scan_by_key_implILNS1_25lookback_scan_determinismE0ELb0ES3_N6thrust23THRUST_200600_302600_NS6detail15normal_iteratorINS9_10device_ptrIsEEEESE_SE_sNS9_4plusIvEENS9_8equal_toIvEEsEE10hipError_tPvRmT2_T3_T4_T5_mT6_T7_P12ihipStream_tbENKUlT_T0_E_clISt17integral_constantIbLb0EESY_IbLb1EEEEDaSU_SV_EUlSU_E_NS1_11comp_targetILNS1_3genE10ELNS1_11target_archE1201ELNS1_3gpuE5ELNS1_3repE0EEENS1_30default_config_static_selectorELNS0_4arch9wavefront6targetE0EEEvT1_.private_seg_size, 0
	.set _ZN7rocprim17ROCPRIM_400000_NS6detail17trampoline_kernelINS0_14default_configENS1_27scan_by_key_config_selectorIssEEZZNS1_16scan_by_key_implILNS1_25lookback_scan_determinismE0ELb0ES3_N6thrust23THRUST_200600_302600_NS6detail15normal_iteratorINS9_10device_ptrIsEEEESE_SE_sNS9_4plusIvEENS9_8equal_toIvEEsEE10hipError_tPvRmT2_T3_T4_T5_mT6_T7_P12ihipStream_tbENKUlT_T0_E_clISt17integral_constantIbLb0EESY_IbLb1EEEEDaSU_SV_EUlSU_E_NS1_11comp_targetILNS1_3genE10ELNS1_11target_archE1201ELNS1_3gpuE5ELNS1_3repE0EEENS1_30default_config_static_selectorELNS0_4arch9wavefront6targetE0EEEvT1_.uses_vcc, 0
	.set _ZN7rocprim17ROCPRIM_400000_NS6detail17trampoline_kernelINS0_14default_configENS1_27scan_by_key_config_selectorIssEEZZNS1_16scan_by_key_implILNS1_25lookback_scan_determinismE0ELb0ES3_N6thrust23THRUST_200600_302600_NS6detail15normal_iteratorINS9_10device_ptrIsEEEESE_SE_sNS9_4plusIvEENS9_8equal_toIvEEsEE10hipError_tPvRmT2_T3_T4_T5_mT6_T7_P12ihipStream_tbENKUlT_T0_E_clISt17integral_constantIbLb0EESY_IbLb1EEEEDaSU_SV_EUlSU_E_NS1_11comp_targetILNS1_3genE10ELNS1_11target_archE1201ELNS1_3gpuE5ELNS1_3repE0EEENS1_30default_config_static_selectorELNS0_4arch9wavefront6targetE0EEEvT1_.uses_flat_scratch, 0
	.set _ZN7rocprim17ROCPRIM_400000_NS6detail17trampoline_kernelINS0_14default_configENS1_27scan_by_key_config_selectorIssEEZZNS1_16scan_by_key_implILNS1_25lookback_scan_determinismE0ELb0ES3_N6thrust23THRUST_200600_302600_NS6detail15normal_iteratorINS9_10device_ptrIsEEEESE_SE_sNS9_4plusIvEENS9_8equal_toIvEEsEE10hipError_tPvRmT2_T3_T4_T5_mT6_T7_P12ihipStream_tbENKUlT_T0_E_clISt17integral_constantIbLb0EESY_IbLb1EEEEDaSU_SV_EUlSU_E_NS1_11comp_targetILNS1_3genE10ELNS1_11target_archE1201ELNS1_3gpuE5ELNS1_3repE0EEENS1_30default_config_static_selectorELNS0_4arch9wavefront6targetE0EEEvT1_.has_dyn_sized_stack, 0
	.set _ZN7rocprim17ROCPRIM_400000_NS6detail17trampoline_kernelINS0_14default_configENS1_27scan_by_key_config_selectorIssEEZZNS1_16scan_by_key_implILNS1_25lookback_scan_determinismE0ELb0ES3_N6thrust23THRUST_200600_302600_NS6detail15normal_iteratorINS9_10device_ptrIsEEEESE_SE_sNS9_4plusIvEENS9_8equal_toIvEEsEE10hipError_tPvRmT2_T3_T4_T5_mT6_T7_P12ihipStream_tbENKUlT_T0_E_clISt17integral_constantIbLb0EESY_IbLb1EEEEDaSU_SV_EUlSU_E_NS1_11comp_targetILNS1_3genE10ELNS1_11target_archE1201ELNS1_3gpuE5ELNS1_3repE0EEENS1_30default_config_static_selectorELNS0_4arch9wavefront6targetE0EEEvT1_.has_recursion, 0
	.set _ZN7rocprim17ROCPRIM_400000_NS6detail17trampoline_kernelINS0_14default_configENS1_27scan_by_key_config_selectorIssEEZZNS1_16scan_by_key_implILNS1_25lookback_scan_determinismE0ELb0ES3_N6thrust23THRUST_200600_302600_NS6detail15normal_iteratorINS9_10device_ptrIsEEEESE_SE_sNS9_4plusIvEENS9_8equal_toIvEEsEE10hipError_tPvRmT2_T3_T4_T5_mT6_T7_P12ihipStream_tbENKUlT_T0_E_clISt17integral_constantIbLb0EESY_IbLb1EEEEDaSU_SV_EUlSU_E_NS1_11comp_targetILNS1_3genE10ELNS1_11target_archE1201ELNS1_3gpuE5ELNS1_3repE0EEENS1_30default_config_static_selectorELNS0_4arch9wavefront6targetE0EEEvT1_.has_indirect_call, 0
	.section	.AMDGPU.csdata,"",@progbits
; Kernel info:
; codeLenInByte = 0
; TotalNumSgprs: 0
; NumVgprs: 0
; ScratchSize: 0
; MemoryBound: 0
; FloatMode: 240
; IeeeMode: 1
; LDSByteSize: 0 bytes/workgroup (compile time only)
; SGPRBlocks: 0
; VGPRBlocks: 0
; NumSGPRsForWavesPerEU: 1
; NumVGPRsForWavesPerEU: 1
; Occupancy: 16
; WaveLimiterHint : 0
; COMPUTE_PGM_RSRC2:SCRATCH_EN: 0
; COMPUTE_PGM_RSRC2:USER_SGPR: 6
; COMPUTE_PGM_RSRC2:TRAP_HANDLER: 0
; COMPUTE_PGM_RSRC2:TGID_X_EN: 1
; COMPUTE_PGM_RSRC2:TGID_Y_EN: 0
; COMPUTE_PGM_RSRC2:TGID_Z_EN: 0
; COMPUTE_PGM_RSRC2:TIDIG_COMP_CNT: 0
	.section	.text._ZN7rocprim17ROCPRIM_400000_NS6detail17trampoline_kernelINS0_14default_configENS1_27scan_by_key_config_selectorIssEEZZNS1_16scan_by_key_implILNS1_25lookback_scan_determinismE0ELb0ES3_N6thrust23THRUST_200600_302600_NS6detail15normal_iteratorINS9_10device_ptrIsEEEESE_SE_sNS9_4plusIvEENS9_8equal_toIvEEsEE10hipError_tPvRmT2_T3_T4_T5_mT6_T7_P12ihipStream_tbENKUlT_T0_E_clISt17integral_constantIbLb0EESY_IbLb1EEEEDaSU_SV_EUlSU_E_NS1_11comp_targetILNS1_3genE5ELNS1_11target_archE942ELNS1_3gpuE9ELNS1_3repE0EEENS1_30default_config_static_selectorELNS0_4arch9wavefront6targetE0EEEvT1_,"axG",@progbits,_ZN7rocprim17ROCPRIM_400000_NS6detail17trampoline_kernelINS0_14default_configENS1_27scan_by_key_config_selectorIssEEZZNS1_16scan_by_key_implILNS1_25lookback_scan_determinismE0ELb0ES3_N6thrust23THRUST_200600_302600_NS6detail15normal_iteratorINS9_10device_ptrIsEEEESE_SE_sNS9_4plusIvEENS9_8equal_toIvEEsEE10hipError_tPvRmT2_T3_T4_T5_mT6_T7_P12ihipStream_tbENKUlT_T0_E_clISt17integral_constantIbLb0EESY_IbLb1EEEEDaSU_SV_EUlSU_E_NS1_11comp_targetILNS1_3genE5ELNS1_11target_archE942ELNS1_3gpuE9ELNS1_3repE0EEENS1_30default_config_static_selectorELNS0_4arch9wavefront6targetE0EEEvT1_,comdat
	.protected	_ZN7rocprim17ROCPRIM_400000_NS6detail17trampoline_kernelINS0_14default_configENS1_27scan_by_key_config_selectorIssEEZZNS1_16scan_by_key_implILNS1_25lookback_scan_determinismE0ELb0ES3_N6thrust23THRUST_200600_302600_NS6detail15normal_iteratorINS9_10device_ptrIsEEEESE_SE_sNS9_4plusIvEENS9_8equal_toIvEEsEE10hipError_tPvRmT2_T3_T4_T5_mT6_T7_P12ihipStream_tbENKUlT_T0_E_clISt17integral_constantIbLb0EESY_IbLb1EEEEDaSU_SV_EUlSU_E_NS1_11comp_targetILNS1_3genE5ELNS1_11target_archE942ELNS1_3gpuE9ELNS1_3repE0EEENS1_30default_config_static_selectorELNS0_4arch9wavefront6targetE0EEEvT1_ ; -- Begin function _ZN7rocprim17ROCPRIM_400000_NS6detail17trampoline_kernelINS0_14default_configENS1_27scan_by_key_config_selectorIssEEZZNS1_16scan_by_key_implILNS1_25lookback_scan_determinismE0ELb0ES3_N6thrust23THRUST_200600_302600_NS6detail15normal_iteratorINS9_10device_ptrIsEEEESE_SE_sNS9_4plusIvEENS9_8equal_toIvEEsEE10hipError_tPvRmT2_T3_T4_T5_mT6_T7_P12ihipStream_tbENKUlT_T0_E_clISt17integral_constantIbLb0EESY_IbLb1EEEEDaSU_SV_EUlSU_E_NS1_11comp_targetILNS1_3genE5ELNS1_11target_archE942ELNS1_3gpuE9ELNS1_3repE0EEENS1_30default_config_static_selectorELNS0_4arch9wavefront6targetE0EEEvT1_
	.globl	_ZN7rocprim17ROCPRIM_400000_NS6detail17trampoline_kernelINS0_14default_configENS1_27scan_by_key_config_selectorIssEEZZNS1_16scan_by_key_implILNS1_25lookback_scan_determinismE0ELb0ES3_N6thrust23THRUST_200600_302600_NS6detail15normal_iteratorINS9_10device_ptrIsEEEESE_SE_sNS9_4plusIvEENS9_8equal_toIvEEsEE10hipError_tPvRmT2_T3_T4_T5_mT6_T7_P12ihipStream_tbENKUlT_T0_E_clISt17integral_constantIbLb0EESY_IbLb1EEEEDaSU_SV_EUlSU_E_NS1_11comp_targetILNS1_3genE5ELNS1_11target_archE942ELNS1_3gpuE9ELNS1_3repE0EEENS1_30default_config_static_selectorELNS0_4arch9wavefront6targetE0EEEvT1_
	.p2align	8
	.type	_ZN7rocprim17ROCPRIM_400000_NS6detail17trampoline_kernelINS0_14default_configENS1_27scan_by_key_config_selectorIssEEZZNS1_16scan_by_key_implILNS1_25lookback_scan_determinismE0ELb0ES3_N6thrust23THRUST_200600_302600_NS6detail15normal_iteratorINS9_10device_ptrIsEEEESE_SE_sNS9_4plusIvEENS9_8equal_toIvEEsEE10hipError_tPvRmT2_T3_T4_T5_mT6_T7_P12ihipStream_tbENKUlT_T0_E_clISt17integral_constantIbLb0EESY_IbLb1EEEEDaSU_SV_EUlSU_E_NS1_11comp_targetILNS1_3genE5ELNS1_11target_archE942ELNS1_3gpuE9ELNS1_3repE0EEENS1_30default_config_static_selectorELNS0_4arch9wavefront6targetE0EEEvT1_,@function
_ZN7rocprim17ROCPRIM_400000_NS6detail17trampoline_kernelINS0_14default_configENS1_27scan_by_key_config_selectorIssEEZZNS1_16scan_by_key_implILNS1_25lookback_scan_determinismE0ELb0ES3_N6thrust23THRUST_200600_302600_NS6detail15normal_iteratorINS9_10device_ptrIsEEEESE_SE_sNS9_4plusIvEENS9_8equal_toIvEEsEE10hipError_tPvRmT2_T3_T4_T5_mT6_T7_P12ihipStream_tbENKUlT_T0_E_clISt17integral_constantIbLb0EESY_IbLb1EEEEDaSU_SV_EUlSU_E_NS1_11comp_targetILNS1_3genE5ELNS1_11target_archE942ELNS1_3gpuE9ELNS1_3repE0EEENS1_30default_config_static_selectorELNS0_4arch9wavefront6targetE0EEEvT1_: ; @_ZN7rocprim17ROCPRIM_400000_NS6detail17trampoline_kernelINS0_14default_configENS1_27scan_by_key_config_selectorIssEEZZNS1_16scan_by_key_implILNS1_25lookback_scan_determinismE0ELb0ES3_N6thrust23THRUST_200600_302600_NS6detail15normal_iteratorINS9_10device_ptrIsEEEESE_SE_sNS9_4plusIvEENS9_8equal_toIvEEsEE10hipError_tPvRmT2_T3_T4_T5_mT6_T7_P12ihipStream_tbENKUlT_T0_E_clISt17integral_constantIbLb0EESY_IbLb1EEEEDaSU_SV_EUlSU_E_NS1_11comp_targetILNS1_3genE5ELNS1_11target_archE942ELNS1_3gpuE9ELNS1_3repE0EEENS1_30default_config_static_selectorELNS0_4arch9wavefront6targetE0EEEvT1_
; %bb.0:
	.section	.rodata,"a",@progbits
	.p2align	6, 0x0
	.amdhsa_kernel _ZN7rocprim17ROCPRIM_400000_NS6detail17trampoline_kernelINS0_14default_configENS1_27scan_by_key_config_selectorIssEEZZNS1_16scan_by_key_implILNS1_25lookback_scan_determinismE0ELb0ES3_N6thrust23THRUST_200600_302600_NS6detail15normal_iteratorINS9_10device_ptrIsEEEESE_SE_sNS9_4plusIvEENS9_8equal_toIvEEsEE10hipError_tPvRmT2_T3_T4_T5_mT6_T7_P12ihipStream_tbENKUlT_T0_E_clISt17integral_constantIbLb0EESY_IbLb1EEEEDaSU_SV_EUlSU_E_NS1_11comp_targetILNS1_3genE5ELNS1_11target_archE942ELNS1_3gpuE9ELNS1_3repE0EEENS1_30default_config_static_selectorELNS0_4arch9wavefront6targetE0EEEvT1_
		.amdhsa_group_segment_fixed_size 0
		.amdhsa_private_segment_fixed_size 0
		.amdhsa_kernarg_size 112
		.amdhsa_user_sgpr_count 6
		.amdhsa_user_sgpr_private_segment_buffer 1
		.amdhsa_user_sgpr_dispatch_ptr 0
		.amdhsa_user_sgpr_queue_ptr 0
		.amdhsa_user_sgpr_kernarg_segment_ptr 1
		.amdhsa_user_sgpr_dispatch_id 0
		.amdhsa_user_sgpr_flat_scratch_init 0
		.amdhsa_user_sgpr_private_segment_size 0
		.amdhsa_wavefront_size32 1
		.amdhsa_uses_dynamic_stack 0
		.amdhsa_system_sgpr_private_segment_wavefront_offset 0
		.amdhsa_system_sgpr_workgroup_id_x 1
		.amdhsa_system_sgpr_workgroup_id_y 0
		.amdhsa_system_sgpr_workgroup_id_z 0
		.amdhsa_system_sgpr_workgroup_info 0
		.amdhsa_system_vgpr_workitem_id 0
		.amdhsa_next_free_vgpr 1
		.amdhsa_next_free_sgpr 1
		.amdhsa_reserve_vcc 0
		.amdhsa_reserve_flat_scratch 0
		.amdhsa_float_round_mode_32 0
		.amdhsa_float_round_mode_16_64 0
		.amdhsa_float_denorm_mode_32 3
		.amdhsa_float_denorm_mode_16_64 3
		.amdhsa_dx10_clamp 1
		.amdhsa_ieee_mode 1
		.amdhsa_fp16_overflow 0
		.amdhsa_workgroup_processor_mode 1
		.amdhsa_memory_ordered 1
		.amdhsa_forward_progress 1
		.amdhsa_shared_vgpr_count 0
		.amdhsa_exception_fp_ieee_invalid_op 0
		.amdhsa_exception_fp_denorm_src 0
		.amdhsa_exception_fp_ieee_div_zero 0
		.amdhsa_exception_fp_ieee_overflow 0
		.amdhsa_exception_fp_ieee_underflow 0
		.amdhsa_exception_fp_ieee_inexact 0
		.amdhsa_exception_int_div_zero 0
	.end_amdhsa_kernel
	.section	.text._ZN7rocprim17ROCPRIM_400000_NS6detail17trampoline_kernelINS0_14default_configENS1_27scan_by_key_config_selectorIssEEZZNS1_16scan_by_key_implILNS1_25lookback_scan_determinismE0ELb0ES3_N6thrust23THRUST_200600_302600_NS6detail15normal_iteratorINS9_10device_ptrIsEEEESE_SE_sNS9_4plusIvEENS9_8equal_toIvEEsEE10hipError_tPvRmT2_T3_T4_T5_mT6_T7_P12ihipStream_tbENKUlT_T0_E_clISt17integral_constantIbLb0EESY_IbLb1EEEEDaSU_SV_EUlSU_E_NS1_11comp_targetILNS1_3genE5ELNS1_11target_archE942ELNS1_3gpuE9ELNS1_3repE0EEENS1_30default_config_static_selectorELNS0_4arch9wavefront6targetE0EEEvT1_,"axG",@progbits,_ZN7rocprim17ROCPRIM_400000_NS6detail17trampoline_kernelINS0_14default_configENS1_27scan_by_key_config_selectorIssEEZZNS1_16scan_by_key_implILNS1_25lookback_scan_determinismE0ELb0ES3_N6thrust23THRUST_200600_302600_NS6detail15normal_iteratorINS9_10device_ptrIsEEEESE_SE_sNS9_4plusIvEENS9_8equal_toIvEEsEE10hipError_tPvRmT2_T3_T4_T5_mT6_T7_P12ihipStream_tbENKUlT_T0_E_clISt17integral_constantIbLb0EESY_IbLb1EEEEDaSU_SV_EUlSU_E_NS1_11comp_targetILNS1_3genE5ELNS1_11target_archE942ELNS1_3gpuE9ELNS1_3repE0EEENS1_30default_config_static_selectorELNS0_4arch9wavefront6targetE0EEEvT1_,comdat
.Lfunc_end274:
	.size	_ZN7rocprim17ROCPRIM_400000_NS6detail17trampoline_kernelINS0_14default_configENS1_27scan_by_key_config_selectorIssEEZZNS1_16scan_by_key_implILNS1_25lookback_scan_determinismE0ELb0ES3_N6thrust23THRUST_200600_302600_NS6detail15normal_iteratorINS9_10device_ptrIsEEEESE_SE_sNS9_4plusIvEENS9_8equal_toIvEEsEE10hipError_tPvRmT2_T3_T4_T5_mT6_T7_P12ihipStream_tbENKUlT_T0_E_clISt17integral_constantIbLb0EESY_IbLb1EEEEDaSU_SV_EUlSU_E_NS1_11comp_targetILNS1_3genE5ELNS1_11target_archE942ELNS1_3gpuE9ELNS1_3repE0EEENS1_30default_config_static_selectorELNS0_4arch9wavefront6targetE0EEEvT1_, .Lfunc_end274-_ZN7rocprim17ROCPRIM_400000_NS6detail17trampoline_kernelINS0_14default_configENS1_27scan_by_key_config_selectorIssEEZZNS1_16scan_by_key_implILNS1_25lookback_scan_determinismE0ELb0ES3_N6thrust23THRUST_200600_302600_NS6detail15normal_iteratorINS9_10device_ptrIsEEEESE_SE_sNS9_4plusIvEENS9_8equal_toIvEEsEE10hipError_tPvRmT2_T3_T4_T5_mT6_T7_P12ihipStream_tbENKUlT_T0_E_clISt17integral_constantIbLb0EESY_IbLb1EEEEDaSU_SV_EUlSU_E_NS1_11comp_targetILNS1_3genE5ELNS1_11target_archE942ELNS1_3gpuE9ELNS1_3repE0EEENS1_30default_config_static_selectorELNS0_4arch9wavefront6targetE0EEEvT1_
                                        ; -- End function
	.set _ZN7rocprim17ROCPRIM_400000_NS6detail17trampoline_kernelINS0_14default_configENS1_27scan_by_key_config_selectorIssEEZZNS1_16scan_by_key_implILNS1_25lookback_scan_determinismE0ELb0ES3_N6thrust23THRUST_200600_302600_NS6detail15normal_iteratorINS9_10device_ptrIsEEEESE_SE_sNS9_4plusIvEENS9_8equal_toIvEEsEE10hipError_tPvRmT2_T3_T4_T5_mT6_T7_P12ihipStream_tbENKUlT_T0_E_clISt17integral_constantIbLb0EESY_IbLb1EEEEDaSU_SV_EUlSU_E_NS1_11comp_targetILNS1_3genE5ELNS1_11target_archE942ELNS1_3gpuE9ELNS1_3repE0EEENS1_30default_config_static_selectorELNS0_4arch9wavefront6targetE0EEEvT1_.num_vgpr, 0
	.set _ZN7rocprim17ROCPRIM_400000_NS6detail17trampoline_kernelINS0_14default_configENS1_27scan_by_key_config_selectorIssEEZZNS1_16scan_by_key_implILNS1_25lookback_scan_determinismE0ELb0ES3_N6thrust23THRUST_200600_302600_NS6detail15normal_iteratorINS9_10device_ptrIsEEEESE_SE_sNS9_4plusIvEENS9_8equal_toIvEEsEE10hipError_tPvRmT2_T3_T4_T5_mT6_T7_P12ihipStream_tbENKUlT_T0_E_clISt17integral_constantIbLb0EESY_IbLb1EEEEDaSU_SV_EUlSU_E_NS1_11comp_targetILNS1_3genE5ELNS1_11target_archE942ELNS1_3gpuE9ELNS1_3repE0EEENS1_30default_config_static_selectorELNS0_4arch9wavefront6targetE0EEEvT1_.num_agpr, 0
	.set _ZN7rocprim17ROCPRIM_400000_NS6detail17trampoline_kernelINS0_14default_configENS1_27scan_by_key_config_selectorIssEEZZNS1_16scan_by_key_implILNS1_25lookback_scan_determinismE0ELb0ES3_N6thrust23THRUST_200600_302600_NS6detail15normal_iteratorINS9_10device_ptrIsEEEESE_SE_sNS9_4plusIvEENS9_8equal_toIvEEsEE10hipError_tPvRmT2_T3_T4_T5_mT6_T7_P12ihipStream_tbENKUlT_T0_E_clISt17integral_constantIbLb0EESY_IbLb1EEEEDaSU_SV_EUlSU_E_NS1_11comp_targetILNS1_3genE5ELNS1_11target_archE942ELNS1_3gpuE9ELNS1_3repE0EEENS1_30default_config_static_selectorELNS0_4arch9wavefront6targetE0EEEvT1_.numbered_sgpr, 0
	.set _ZN7rocprim17ROCPRIM_400000_NS6detail17trampoline_kernelINS0_14default_configENS1_27scan_by_key_config_selectorIssEEZZNS1_16scan_by_key_implILNS1_25lookback_scan_determinismE0ELb0ES3_N6thrust23THRUST_200600_302600_NS6detail15normal_iteratorINS9_10device_ptrIsEEEESE_SE_sNS9_4plusIvEENS9_8equal_toIvEEsEE10hipError_tPvRmT2_T3_T4_T5_mT6_T7_P12ihipStream_tbENKUlT_T0_E_clISt17integral_constantIbLb0EESY_IbLb1EEEEDaSU_SV_EUlSU_E_NS1_11comp_targetILNS1_3genE5ELNS1_11target_archE942ELNS1_3gpuE9ELNS1_3repE0EEENS1_30default_config_static_selectorELNS0_4arch9wavefront6targetE0EEEvT1_.num_named_barrier, 0
	.set _ZN7rocprim17ROCPRIM_400000_NS6detail17trampoline_kernelINS0_14default_configENS1_27scan_by_key_config_selectorIssEEZZNS1_16scan_by_key_implILNS1_25lookback_scan_determinismE0ELb0ES3_N6thrust23THRUST_200600_302600_NS6detail15normal_iteratorINS9_10device_ptrIsEEEESE_SE_sNS9_4plusIvEENS9_8equal_toIvEEsEE10hipError_tPvRmT2_T3_T4_T5_mT6_T7_P12ihipStream_tbENKUlT_T0_E_clISt17integral_constantIbLb0EESY_IbLb1EEEEDaSU_SV_EUlSU_E_NS1_11comp_targetILNS1_3genE5ELNS1_11target_archE942ELNS1_3gpuE9ELNS1_3repE0EEENS1_30default_config_static_selectorELNS0_4arch9wavefront6targetE0EEEvT1_.private_seg_size, 0
	.set _ZN7rocprim17ROCPRIM_400000_NS6detail17trampoline_kernelINS0_14default_configENS1_27scan_by_key_config_selectorIssEEZZNS1_16scan_by_key_implILNS1_25lookback_scan_determinismE0ELb0ES3_N6thrust23THRUST_200600_302600_NS6detail15normal_iteratorINS9_10device_ptrIsEEEESE_SE_sNS9_4plusIvEENS9_8equal_toIvEEsEE10hipError_tPvRmT2_T3_T4_T5_mT6_T7_P12ihipStream_tbENKUlT_T0_E_clISt17integral_constantIbLb0EESY_IbLb1EEEEDaSU_SV_EUlSU_E_NS1_11comp_targetILNS1_3genE5ELNS1_11target_archE942ELNS1_3gpuE9ELNS1_3repE0EEENS1_30default_config_static_selectorELNS0_4arch9wavefront6targetE0EEEvT1_.uses_vcc, 0
	.set _ZN7rocprim17ROCPRIM_400000_NS6detail17trampoline_kernelINS0_14default_configENS1_27scan_by_key_config_selectorIssEEZZNS1_16scan_by_key_implILNS1_25lookback_scan_determinismE0ELb0ES3_N6thrust23THRUST_200600_302600_NS6detail15normal_iteratorINS9_10device_ptrIsEEEESE_SE_sNS9_4plusIvEENS9_8equal_toIvEEsEE10hipError_tPvRmT2_T3_T4_T5_mT6_T7_P12ihipStream_tbENKUlT_T0_E_clISt17integral_constantIbLb0EESY_IbLb1EEEEDaSU_SV_EUlSU_E_NS1_11comp_targetILNS1_3genE5ELNS1_11target_archE942ELNS1_3gpuE9ELNS1_3repE0EEENS1_30default_config_static_selectorELNS0_4arch9wavefront6targetE0EEEvT1_.uses_flat_scratch, 0
	.set _ZN7rocprim17ROCPRIM_400000_NS6detail17trampoline_kernelINS0_14default_configENS1_27scan_by_key_config_selectorIssEEZZNS1_16scan_by_key_implILNS1_25lookback_scan_determinismE0ELb0ES3_N6thrust23THRUST_200600_302600_NS6detail15normal_iteratorINS9_10device_ptrIsEEEESE_SE_sNS9_4plusIvEENS9_8equal_toIvEEsEE10hipError_tPvRmT2_T3_T4_T5_mT6_T7_P12ihipStream_tbENKUlT_T0_E_clISt17integral_constantIbLb0EESY_IbLb1EEEEDaSU_SV_EUlSU_E_NS1_11comp_targetILNS1_3genE5ELNS1_11target_archE942ELNS1_3gpuE9ELNS1_3repE0EEENS1_30default_config_static_selectorELNS0_4arch9wavefront6targetE0EEEvT1_.has_dyn_sized_stack, 0
	.set _ZN7rocprim17ROCPRIM_400000_NS6detail17trampoline_kernelINS0_14default_configENS1_27scan_by_key_config_selectorIssEEZZNS1_16scan_by_key_implILNS1_25lookback_scan_determinismE0ELb0ES3_N6thrust23THRUST_200600_302600_NS6detail15normal_iteratorINS9_10device_ptrIsEEEESE_SE_sNS9_4plusIvEENS9_8equal_toIvEEsEE10hipError_tPvRmT2_T3_T4_T5_mT6_T7_P12ihipStream_tbENKUlT_T0_E_clISt17integral_constantIbLb0EESY_IbLb1EEEEDaSU_SV_EUlSU_E_NS1_11comp_targetILNS1_3genE5ELNS1_11target_archE942ELNS1_3gpuE9ELNS1_3repE0EEENS1_30default_config_static_selectorELNS0_4arch9wavefront6targetE0EEEvT1_.has_recursion, 0
	.set _ZN7rocprim17ROCPRIM_400000_NS6detail17trampoline_kernelINS0_14default_configENS1_27scan_by_key_config_selectorIssEEZZNS1_16scan_by_key_implILNS1_25lookback_scan_determinismE0ELb0ES3_N6thrust23THRUST_200600_302600_NS6detail15normal_iteratorINS9_10device_ptrIsEEEESE_SE_sNS9_4plusIvEENS9_8equal_toIvEEsEE10hipError_tPvRmT2_T3_T4_T5_mT6_T7_P12ihipStream_tbENKUlT_T0_E_clISt17integral_constantIbLb0EESY_IbLb1EEEEDaSU_SV_EUlSU_E_NS1_11comp_targetILNS1_3genE5ELNS1_11target_archE942ELNS1_3gpuE9ELNS1_3repE0EEENS1_30default_config_static_selectorELNS0_4arch9wavefront6targetE0EEEvT1_.has_indirect_call, 0
	.section	.AMDGPU.csdata,"",@progbits
; Kernel info:
; codeLenInByte = 0
; TotalNumSgprs: 0
; NumVgprs: 0
; ScratchSize: 0
; MemoryBound: 0
; FloatMode: 240
; IeeeMode: 1
; LDSByteSize: 0 bytes/workgroup (compile time only)
; SGPRBlocks: 0
; VGPRBlocks: 0
; NumSGPRsForWavesPerEU: 1
; NumVGPRsForWavesPerEU: 1
; Occupancy: 16
; WaveLimiterHint : 0
; COMPUTE_PGM_RSRC2:SCRATCH_EN: 0
; COMPUTE_PGM_RSRC2:USER_SGPR: 6
; COMPUTE_PGM_RSRC2:TRAP_HANDLER: 0
; COMPUTE_PGM_RSRC2:TGID_X_EN: 1
; COMPUTE_PGM_RSRC2:TGID_Y_EN: 0
; COMPUTE_PGM_RSRC2:TGID_Z_EN: 0
; COMPUTE_PGM_RSRC2:TIDIG_COMP_CNT: 0
	.section	.text._ZN7rocprim17ROCPRIM_400000_NS6detail17trampoline_kernelINS0_14default_configENS1_27scan_by_key_config_selectorIssEEZZNS1_16scan_by_key_implILNS1_25lookback_scan_determinismE0ELb0ES3_N6thrust23THRUST_200600_302600_NS6detail15normal_iteratorINS9_10device_ptrIsEEEESE_SE_sNS9_4plusIvEENS9_8equal_toIvEEsEE10hipError_tPvRmT2_T3_T4_T5_mT6_T7_P12ihipStream_tbENKUlT_T0_E_clISt17integral_constantIbLb0EESY_IbLb1EEEEDaSU_SV_EUlSU_E_NS1_11comp_targetILNS1_3genE4ELNS1_11target_archE910ELNS1_3gpuE8ELNS1_3repE0EEENS1_30default_config_static_selectorELNS0_4arch9wavefront6targetE0EEEvT1_,"axG",@progbits,_ZN7rocprim17ROCPRIM_400000_NS6detail17trampoline_kernelINS0_14default_configENS1_27scan_by_key_config_selectorIssEEZZNS1_16scan_by_key_implILNS1_25lookback_scan_determinismE0ELb0ES3_N6thrust23THRUST_200600_302600_NS6detail15normal_iteratorINS9_10device_ptrIsEEEESE_SE_sNS9_4plusIvEENS9_8equal_toIvEEsEE10hipError_tPvRmT2_T3_T4_T5_mT6_T7_P12ihipStream_tbENKUlT_T0_E_clISt17integral_constantIbLb0EESY_IbLb1EEEEDaSU_SV_EUlSU_E_NS1_11comp_targetILNS1_3genE4ELNS1_11target_archE910ELNS1_3gpuE8ELNS1_3repE0EEENS1_30default_config_static_selectorELNS0_4arch9wavefront6targetE0EEEvT1_,comdat
	.protected	_ZN7rocprim17ROCPRIM_400000_NS6detail17trampoline_kernelINS0_14default_configENS1_27scan_by_key_config_selectorIssEEZZNS1_16scan_by_key_implILNS1_25lookback_scan_determinismE0ELb0ES3_N6thrust23THRUST_200600_302600_NS6detail15normal_iteratorINS9_10device_ptrIsEEEESE_SE_sNS9_4plusIvEENS9_8equal_toIvEEsEE10hipError_tPvRmT2_T3_T4_T5_mT6_T7_P12ihipStream_tbENKUlT_T0_E_clISt17integral_constantIbLb0EESY_IbLb1EEEEDaSU_SV_EUlSU_E_NS1_11comp_targetILNS1_3genE4ELNS1_11target_archE910ELNS1_3gpuE8ELNS1_3repE0EEENS1_30default_config_static_selectorELNS0_4arch9wavefront6targetE0EEEvT1_ ; -- Begin function _ZN7rocprim17ROCPRIM_400000_NS6detail17trampoline_kernelINS0_14default_configENS1_27scan_by_key_config_selectorIssEEZZNS1_16scan_by_key_implILNS1_25lookback_scan_determinismE0ELb0ES3_N6thrust23THRUST_200600_302600_NS6detail15normal_iteratorINS9_10device_ptrIsEEEESE_SE_sNS9_4plusIvEENS9_8equal_toIvEEsEE10hipError_tPvRmT2_T3_T4_T5_mT6_T7_P12ihipStream_tbENKUlT_T0_E_clISt17integral_constantIbLb0EESY_IbLb1EEEEDaSU_SV_EUlSU_E_NS1_11comp_targetILNS1_3genE4ELNS1_11target_archE910ELNS1_3gpuE8ELNS1_3repE0EEENS1_30default_config_static_selectorELNS0_4arch9wavefront6targetE0EEEvT1_
	.globl	_ZN7rocprim17ROCPRIM_400000_NS6detail17trampoline_kernelINS0_14default_configENS1_27scan_by_key_config_selectorIssEEZZNS1_16scan_by_key_implILNS1_25lookback_scan_determinismE0ELb0ES3_N6thrust23THRUST_200600_302600_NS6detail15normal_iteratorINS9_10device_ptrIsEEEESE_SE_sNS9_4plusIvEENS9_8equal_toIvEEsEE10hipError_tPvRmT2_T3_T4_T5_mT6_T7_P12ihipStream_tbENKUlT_T0_E_clISt17integral_constantIbLb0EESY_IbLb1EEEEDaSU_SV_EUlSU_E_NS1_11comp_targetILNS1_3genE4ELNS1_11target_archE910ELNS1_3gpuE8ELNS1_3repE0EEENS1_30default_config_static_selectorELNS0_4arch9wavefront6targetE0EEEvT1_
	.p2align	8
	.type	_ZN7rocprim17ROCPRIM_400000_NS6detail17trampoline_kernelINS0_14default_configENS1_27scan_by_key_config_selectorIssEEZZNS1_16scan_by_key_implILNS1_25lookback_scan_determinismE0ELb0ES3_N6thrust23THRUST_200600_302600_NS6detail15normal_iteratorINS9_10device_ptrIsEEEESE_SE_sNS9_4plusIvEENS9_8equal_toIvEEsEE10hipError_tPvRmT2_T3_T4_T5_mT6_T7_P12ihipStream_tbENKUlT_T0_E_clISt17integral_constantIbLb0EESY_IbLb1EEEEDaSU_SV_EUlSU_E_NS1_11comp_targetILNS1_3genE4ELNS1_11target_archE910ELNS1_3gpuE8ELNS1_3repE0EEENS1_30default_config_static_selectorELNS0_4arch9wavefront6targetE0EEEvT1_,@function
_ZN7rocprim17ROCPRIM_400000_NS6detail17trampoline_kernelINS0_14default_configENS1_27scan_by_key_config_selectorIssEEZZNS1_16scan_by_key_implILNS1_25lookback_scan_determinismE0ELb0ES3_N6thrust23THRUST_200600_302600_NS6detail15normal_iteratorINS9_10device_ptrIsEEEESE_SE_sNS9_4plusIvEENS9_8equal_toIvEEsEE10hipError_tPvRmT2_T3_T4_T5_mT6_T7_P12ihipStream_tbENKUlT_T0_E_clISt17integral_constantIbLb0EESY_IbLb1EEEEDaSU_SV_EUlSU_E_NS1_11comp_targetILNS1_3genE4ELNS1_11target_archE910ELNS1_3gpuE8ELNS1_3repE0EEENS1_30default_config_static_selectorELNS0_4arch9wavefront6targetE0EEEvT1_: ; @_ZN7rocprim17ROCPRIM_400000_NS6detail17trampoline_kernelINS0_14default_configENS1_27scan_by_key_config_selectorIssEEZZNS1_16scan_by_key_implILNS1_25lookback_scan_determinismE0ELb0ES3_N6thrust23THRUST_200600_302600_NS6detail15normal_iteratorINS9_10device_ptrIsEEEESE_SE_sNS9_4plusIvEENS9_8equal_toIvEEsEE10hipError_tPvRmT2_T3_T4_T5_mT6_T7_P12ihipStream_tbENKUlT_T0_E_clISt17integral_constantIbLb0EESY_IbLb1EEEEDaSU_SV_EUlSU_E_NS1_11comp_targetILNS1_3genE4ELNS1_11target_archE910ELNS1_3gpuE8ELNS1_3repE0EEENS1_30default_config_static_selectorELNS0_4arch9wavefront6targetE0EEEvT1_
; %bb.0:
	.section	.rodata,"a",@progbits
	.p2align	6, 0x0
	.amdhsa_kernel _ZN7rocprim17ROCPRIM_400000_NS6detail17trampoline_kernelINS0_14default_configENS1_27scan_by_key_config_selectorIssEEZZNS1_16scan_by_key_implILNS1_25lookback_scan_determinismE0ELb0ES3_N6thrust23THRUST_200600_302600_NS6detail15normal_iteratorINS9_10device_ptrIsEEEESE_SE_sNS9_4plusIvEENS9_8equal_toIvEEsEE10hipError_tPvRmT2_T3_T4_T5_mT6_T7_P12ihipStream_tbENKUlT_T0_E_clISt17integral_constantIbLb0EESY_IbLb1EEEEDaSU_SV_EUlSU_E_NS1_11comp_targetILNS1_3genE4ELNS1_11target_archE910ELNS1_3gpuE8ELNS1_3repE0EEENS1_30default_config_static_selectorELNS0_4arch9wavefront6targetE0EEEvT1_
		.amdhsa_group_segment_fixed_size 0
		.amdhsa_private_segment_fixed_size 0
		.amdhsa_kernarg_size 112
		.amdhsa_user_sgpr_count 6
		.amdhsa_user_sgpr_private_segment_buffer 1
		.amdhsa_user_sgpr_dispatch_ptr 0
		.amdhsa_user_sgpr_queue_ptr 0
		.amdhsa_user_sgpr_kernarg_segment_ptr 1
		.amdhsa_user_sgpr_dispatch_id 0
		.amdhsa_user_sgpr_flat_scratch_init 0
		.amdhsa_user_sgpr_private_segment_size 0
		.amdhsa_wavefront_size32 1
		.amdhsa_uses_dynamic_stack 0
		.amdhsa_system_sgpr_private_segment_wavefront_offset 0
		.amdhsa_system_sgpr_workgroup_id_x 1
		.amdhsa_system_sgpr_workgroup_id_y 0
		.amdhsa_system_sgpr_workgroup_id_z 0
		.amdhsa_system_sgpr_workgroup_info 0
		.amdhsa_system_vgpr_workitem_id 0
		.amdhsa_next_free_vgpr 1
		.amdhsa_next_free_sgpr 1
		.amdhsa_reserve_vcc 0
		.amdhsa_reserve_flat_scratch 0
		.amdhsa_float_round_mode_32 0
		.amdhsa_float_round_mode_16_64 0
		.amdhsa_float_denorm_mode_32 3
		.amdhsa_float_denorm_mode_16_64 3
		.amdhsa_dx10_clamp 1
		.amdhsa_ieee_mode 1
		.amdhsa_fp16_overflow 0
		.amdhsa_workgroup_processor_mode 1
		.amdhsa_memory_ordered 1
		.amdhsa_forward_progress 1
		.amdhsa_shared_vgpr_count 0
		.amdhsa_exception_fp_ieee_invalid_op 0
		.amdhsa_exception_fp_denorm_src 0
		.amdhsa_exception_fp_ieee_div_zero 0
		.amdhsa_exception_fp_ieee_overflow 0
		.amdhsa_exception_fp_ieee_underflow 0
		.amdhsa_exception_fp_ieee_inexact 0
		.amdhsa_exception_int_div_zero 0
	.end_amdhsa_kernel
	.section	.text._ZN7rocprim17ROCPRIM_400000_NS6detail17trampoline_kernelINS0_14default_configENS1_27scan_by_key_config_selectorIssEEZZNS1_16scan_by_key_implILNS1_25lookback_scan_determinismE0ELb0ES3_N6thrust23THRUST_200600_302600_NS6detail15normal_iteratorINS9_10device_ptrIsEEEESE_SE_sNS9_4plusIvEENS9_8equal_toIvEEsEE10hipError_tPvRmT2_T3_T4_T5_mT6_T7_P12ihipStream_tbENKUlT_T0_E_clISt17integral_constantIbLb0EESY_IbLb1EEEEDaSU_SV_EUlSU_E_NS1_11comp_targetILNS1_3genE4ELNS1_11target_archE910ELNS1_3gpuE8ELNS1_3repE0EEENS1_30default_config_static_selectorELNS0_4arch9wavefront6targetE0EEEvT1_,"axG",@progbits,_ZN7rocprim17ROCPRIM_400000_NS6detail17trampoline_kernelINS0_14default_configENS1_27scan_by_key_config_selectorIssEEZZNS1_16scan_by_key_implILNS1_25lookback_scan_determinismE0ELb0ES3_N6thrust23THRUST_200600_302600_NS6detail15normal_iteratorINS9_10device_ptrIsEEEESE_SE_sNS9_4plusIvEENS9_8equal_toIvEEsEE10hipError_tPvRmT2_T3_T4_T5_mT6_T7_P12ihipStream_tbENKUlT_T0_E_clISt17integral_constantIbLb0EESY_IbLb1EEEEDaSU_SV_EUlSU_E_NS1_11comp_targetILNS1_3genE4ELNS1_11target_archE910ELNS1_3gpuE8ELNS1_3repE0EEENS1_30default_config_static_selectorELNS0_4arch9wavefront6targetE0EEEvT1_,comdat
.Lfunc_end275:
	.size	_ZN7rocprim17ROCPRIM_400000_NS6detail17trampoline_kernelINS0_14default_configENS1_27scan_by_key_config_selectorIssEEZZNS1_16scan_by_key_implILNS1_25lookback_scan_determinismE0ELb0ES3_N6thrust23THRUST_200600_302600_NS6detail15normal_iteratorINS9_10device_ptrIsEEEESE_SE_sNS9_4plusIvEENS9_8equal_toIvEEsEE10hipError_tPvRmT2_T3_T4_T5_mT6_T7_P12ihipStream_tbENKUlT_T0_E_clISt17integral_constantIbLb0EESY_IbLb1EEEEDaSU_SV_EUlSU_E_NS1_11comp_targetILNS1_3genE4ELNS1_11target_archE910ELNS1_3gpuE8ELNS1_3repE0EEENS1_30default_config_static_selectorELNS0_4arch9wavefront6targetE0EEEvT1_, .Lfunc_end275-_ZN7rocprim17ROCPRIM_400000_NS6detail17trampoline_kernelINS0_14default_configENS1_27scan_by_key_config_selectorIssEEZZNS1_16scan_by_key_implILNS1_25lookback_scan_determinismE0ELb0ES3_N6thrust23THRUST_200600_302600_NS6detail15normal_iteratorINS9_10device_ptrIsEEEESE_SE_sNS9_4plusIvEENS9_8equal_toIvEEsEE10hipError_tPvRmT2_T3_T4_T5_mT6_T7_P12ihipStream_tbENKUlT_T0_E_clISt17integral_constantIbLb0EESY_IbLb1EEEEDaSU_SV_EUlSU_E_NS1_11comp_targetILNS1_3genE4ELNS1_11target_archE910ELNS1_3gpuE8ELNS1_3repE0EEENS1_30default_config_static_selectorELNS0_4arch9wavefront6targetE0EEEvT1_
                                        ; -- End function
	.set _ZN7rocprim17ROCPRIM_400000_NS6detail17trampoline_kernelINS0_14default_configENS1_27scan_by_key_config_selectorIssEEZZNS1_16scan_by_key_implILNS1_25lookback_scan_determinismE0ELb0ES3_N6thrust23THRUST_200600_302600_NS6detail15normal_iteratorINS9_10device_ptrIsEEEESE_SE_sNS9_4plusIvEENS9_8equal_toIvEEsEE10hipError_tPvRmT2_T3_T4_T5_mT6_T7_P12ihipStream_tbENKUlT_T0_E_clISt17integral_constantIbLb0EESY_IbLb1EEEEDaSU_SV_EUlSU_E_NS1_11comp_targetILNS1_3genE4ELNS1_11target_archE910ELNS1_3gpuE8ELNS1_3repE0EEENS1_30default_config_static_selectorELNS0_4arch9wavefront6targetE0EEEvT1_.num_vgpr, 0
	.set _ZN7rocprim17ROCPRIM_400000_NS6detail17trampoline_kernelINS0_14default_configENS1_27scan_by_key_config_selectorIssEEZZNS1_16scan_by_key_implILNS1_25lookback_scan_determinismE0ELb0ES3_N6thrust23THRUST_200600_302600_NS6detail15normal_iteratorINS9_10device_ptrIsEEEESE_SE_sNS9_4plusIvEENS9_8equal_toIvEEsEE10hipError_tPvRmT2_T3_T4_T5_mT6_T7_P12ihipStream_tbENKUlT_T0_E_clISt17integral_constantIbLb0EESY_IbLb1EEEEDaSU_SV_EUlSU_E_NS1_11comp_targetILNS1_3genE4ELNS1_11target_archE910ELNS1_3gpuE8ELNS1_3repE0EEENS1_30default_config_static_selectorELNS0_4arch9wavefront6targetE0EEEvT1_.num_agpr, 0
	.set _ZN7rocprim17ROCPRIM_400000_NS6detail17trampoline_kernelINS0_14default_configENS1_27scan_by_key_config_selectorIssEEZZNS1_16scan_by_key_implILNS1_25lookback_scan_determinismE0ELb0ES3_N6thrust23THRUST_200600_302600_NS6detail15normal_iteratorINS9_10device_ptrIsEEEESE_SE_sNS9_4plusIvEENS9_8equal_toIvEEsEE10hipError_tPvRmT2_T3_T4_T5_mT6_T7_P12ihipStream_tbENKUlT_T0_E_clISt17integral_constantIbLb0EESY_IbLb1EEEEDaSU_SV_EUlSU_E_NS1_11comp_targetILNS1_3genE4ELNS1_11target_archE910ELNS1_3gpuE8ELNS1_3repE0EEENS1_30default_config_static_selectorELNS0_4arch9wavefront6targetE0EEEvT1_.numbered_sgpr, 0
	.set _ZN7rocprim17ROCPRIM_400000_NS6detail17trampoline_kernelINS0_14default_configENS1_27scan_by_key_config_selectorIssEEZZNS1_16scan_by_key_implILNS1_25lookback_scan_determinismE0ELb0ES3_N6thrust23THRUST_200600_302600_NS6detail15normal_iteratorINS9_10device_ptrIsEEEESE_SE_sNS9_4plusIvEENS9_8equal_toIvEEsEE10hipError_tPvRmT2_T3_T4_T5_mT6_T7_P12ihipStream_tbENKUlT_T0_E_clISt17integral_constantIbLb0EESY_IbLb1EEEEDaSU_SV_EUlSU_E_NS1_11comp_targetILNS1_3genE4ELNS1_11target_archE910ELNS1_3gpuE8ELNS1_3repE0EEENS1_30default_config_static_selectorELNS0_4arch9wavefront6targetE0EEEvT1_.num_named_barrier, 0
	.set _ZN7rocprim17ROCPRIM_400000_NS6detail17trampoline_kernelINS0_14default_configENS1_27scan_by_key_config_selectorIssEEZZNS1_16scan_by_key_implILNS1_25lookback_scan_determinismE0ELb0ES3_N6thrust23THRUST_200600_302600_NS6detail15normal_iteratorINS9_10device_ptrIsEEEESE_SE_sNS9_4plusIvEENS9_8equal_toIvEEsEE10hipError_tPvRmT2_T3_T4_T5_mT6_T7_P12ihipStream_tbENKUlT_T0_E_clISt17integral_constantIbLb0EESY_IbLb1EEEEDaSU_SV_EUlSU_E_NS1_11comp_targetILNS1_3genE4ELNS1_11target_archE910ELNS1_3gpuE8ELNS1_3repE0EEENS1_30default_config_static_selectorELNS0_4arch9wavefront6targetE0EEEvT1_.private_seg_size, 0
	.set _ZN7rocprim17ROCPRIM_400000_NS6detail17trampoline_kernelINS0_14default_configENS1_27scan_by_key_config_selectorIssEEZZNS1_16scan_by_key_implILNS1_25lookback_scan_determinismE0ELb0ES3_N6thrust23THRUST_200600_302600_NS6detail15normal_iteratorINS9_10device_ptrIsEEEESE_SE_sNS9_4plusIvEENS9_8equal_toIvEEsEE10hipError_tPvRmT2_T3_T4_T5_mT6_T7_P12ihipStream_tbENKUlT_T0_E_clISt17integral_constantIbLb0EESY_IbLb1EEEEDaSU_SV_EUlSU_E_NS1_11comp_targetILNS1_3genE4ELNS1_11target_archE910ELNS1_3gpuE8ELNS1_3repE0EEENS1_30default_config_static_selectorELNS0_4arch9wavefront6targetE0EEEvT1_.uses_vcc, 0
	.set _ZN7rocprim17ROCPRIM_400000_NS6detail17trampoline_kernelINS0_14default_configENS1_27scan_by_key_config_selectorIssEEZZNS1_16scan_by_key_implILNS1_25lookback_scan_determinismE0ELb0ES3_N6thrust23THRUST_200600_302600_NS6detail15normal_iteratorINS9_10device_ptrIsEEEESE_SE_sNS9_4plusIvEENS9_8equal_toIvEEsEE10hipError_tPvRmT2_T3_T4_T5_mT6_T7_P12ihipStream_tbENKUlT_T0_E_clISt17integral_constantIbLb0EESY_IbLb1EEEEDaSU_SV_EUlSU_E_NS1_11comp_targetILNS1_3genE4ELNS1_11target_archE910ELNS1_3gpuE8ELNS1_3repE0EEENS1_30default_config_static_selectorELNS0_4arch9wavefront6targetE0EEEvT1_.uses_flat_scratch, 0
	.set _ZN7rocprim17ROCPRIM_400000_NS6detail17trampoline_kernelINS0_14default_configENS1_27scan_by_key_config_selectorIssEEZZNS1_16scan_by_key_implILNS1_25lookback_scan_determinismE0ELb0ES3_N6thrust23THRUST_200600_302600_NS6detail15normal_iteratorINS9_10device_ptrIsEEEESE_SE_sNS9_4plusIvEENS9_8equal_toIvEEsEE10hipError_tPvRmT2_T3_T4_T5_mT6_T7_P12ihipStream_tbENKUlT_T0_E_clISt17integral_constantIbLb0EESY_IbLb1EEEEDaSU_SV_EUlSU_E_NS1_11comp_targetILNS1_3genE4ELNS1_11target_archE910ELNS1_3gpuE8ELNS1_3repE0EEENS1_30default_config_static_selectorELNS0_4arch9wavefront6targetE0EEEvT1_.has_dyn_sized_stack, 0
	.set _ZN7rocprim17ROCPRIM_400000_NS6detail17trampoline_kernelINS0_14default_configENS1_27scan_by_key_config_selectorIssEEZZNS1_16scan_by_key_implILNS1_25lookback_scan_determinismE0ELb0ES3_N6thrust23THRUST_200600_302600_NS6detail15normal_iteratorINS9_10device_ptrIsEEEESE_SE_sNS9_4plusIvEENS9_8equal_toIvEEsEE10hipError_tPvRmT2_T3_T4_T5_mT6_T7_P12ihipStream_tbENKUlT_T0_E_clISt17integral_constantIbLb0EESY_IbLb1EEEEDaSU_SV_EUlSU_E_NS1_11comp_targetILNS1_3genE4ELNS1_11target_archE910ELNS1_3gpuE8ELNS1_3repE0EEENS1_30default_config_static_selectorELNS0_4arch9wavefront6targetE0EEEvT1_.has_recursion, 0
	.set _ZN7rocprim17ROCPRIM_400000_NS6detail17trampoline_kernelINS0_14default_configENS1_27scan_by_key_config_selectorIssEEZZNS1_16scan_by_key_implILNS1_25lookback_scan_determinismE0ELb0ES3_N6thrust23THRUST_200600_302600_NS6detail15normal_iteratorINS9_10device_ptrIsEEEESE_SE_sNS9_4plusIvEENS9_8equal_toIvEEsEE10hipError_tPvRmT2_T3_T4_T5_mT6_T7_P12ihipStream_tbENKUlT_T0_E_clISt17integral_constantIbLb0EESY_IbLb1EEEEDaSU_SV_EUlSU_E_NS1_11comp_targetILNS1_3genE4ELNS1_11target_archE910ELNS1_3gpuE8ELNS1_3repE0EEENS1_30default_config_static_selectorELNS0_4arch9wavefront6targetE0EEEvT1_.has_indirect_call, 0
	.section	.AMDGPU.csdata,"",@progbits
; Kernel info:
; codeLenInByte = 0
; TotalNumSgprs: 0
; NumVgprs: 0
; ScratchSize: 0
; MemoryBound: 0
; FloatMode: 240
; IeeeMode: 1
; LDSByteSize: 0 bytes/workgroup (compile time only)
; SGPRBlocks: 0
; VGPRBlocks: 0
; NumSGPRsForWavesPerEU: 1
; NumVGPRsForWavesPerEU: 1
; Occupancy: 16
; WaveLimiterHint : 0
; COMPUTE_PGM_RSRC2:SCRATCH_EN: 0
; COMPUTE_PGM_RSRC2:USER_SGPR: 6
; COMPUTE_PGM_RSRC2:TRAP_HANDLER: 0
; COMPUTE_PGM_RSRC2:TGID_X_EN: 1
; COMPUTE_PGM_RSRC2:TGID_Y_EN: 0
; COMPUTE_PGM_RSRC2:TGID_Z_EN: 0
; COMPUTE_PGM_RSRC2:TIDIG_COMP_CNT: 0
	.section	.text._ZN7rocprim17ROCPRIM_400000_NS6detail17trampoline_kernelINS0_14default_configENS1_27scan_by_key_config_selectorIssEEZZNS1_16scan_by_key_implILNS1_25lookback_scan_determinismE0ELb0ES3_N6thrust23THRUST_200600_302600_NS6detail15normal_iteratorINS9_10device_ptrIsEEEESE_SE_sNS9_4plusIvEENS9_8equal_toIvEEsEE10hipError_tPvRmT2_T3_T4_T5_mT6_T7_P12ihipStream_tbENKUlT_T0_E_clISt17integral_constantIbLb0EESY_IbLb1EEEEDaSU_SV_EUlSU_E_NS1_11comp_targetILNS1_3genE3ELNS1_11target_archE908ELNS1_3gpuE7ELNS1_3repE0EEENS1_30default_config_static_selectorELNS0_4arch9wavefront6targetE0EEEvT1_,"axG",@progbits,_ZN7rocprim17ROCPRIM_400000_NS6detail17trampoline_kernelINS0_14default_configENS1_27scan_by_key_config_selectorIssEEZZNS1_16scan_by_key_implILNS1_25lookback_scan_determinismE0ELb0ES3_N6thrust23THRUST_200600_302600_NS6detail15normal_iteratorINS9_10device_ptrIsEEEESE_SE_sNS9_4plusIvEENS9_8equal_toIvEEsEE10hipError_tPvRmT2_T3_T4_T5_mT6_T7_P12ihipStream_tbENKUlT_T0_E_clISt17integral_constantIbLb0EESY_IbLb1EEEEDaSU_SV_EUlSU_E_NS1_11comp_targetILNS1_3genE3ELNS1_11target_archE908ELNS1_3gpuE7ELNS1_3repE0EEENS1_30default_config_static_selectorELNS0_4arch9wavefront6targetE0EEEvT1_,comdat
	.protected	_ZN7rocprim17ROCPRIM_400000_NS6detail17trampoline_kernelINS0_14default_configENS1_27scan_by_key_config_selectorIssEEZZNS1_16scan_by_key_implILNS1_25lookback_scan_determinismE0ELb0ES3_N6thrust23THRUST_200600_302600_NS6detail15normal_iteratorINS9_10device_ptrIsEEEESE_SE_sNS9_4plusIvEENS9_8equal_toIvEEsEE10hipError_tPvRmT2_T3_T4_T5_mT6_T7_P12ihipStream_tbENKUlT_T0_E_clISt17integral_constantIbLb0EESY_IbLb1EEEEDaSU_SV_EUlSU_E_NS1_11comp_targetILNS1_3genE3ELNS1_11target_archE908ELNS1_3gpuE7ELNS1_3repE0EEENS1_30default_config_static_selectorELNS0_4arch9wavefront6targetE0EEEvT1_ ; -- Begin function _ZN7rocprim17ROCPRIM_400000_NS6detail17trampoline_kernelINS0_14default_configENS1_27scan_by_key_config_selectorIssEEZZNS1_16scan_by_key_implILNS1_25lookback_scan_determinismE0ELb0ES3_N6thrust23THRUST_200600_302600_NS6detail15normal_iteratorINS9_10device_ptrIsEEEESE_SE_sNS9_4plusIvEENS9_8equal_toIvEEsEE10hipError_tPvRmT2_T3_T4_T5_mT6_T7_P12ihipStream_tbENKUlT_T0_E_clISt17integral_constantIbLb0EESY_IbLb1EEEEDaSU_SV_EUlSU_E_NS1_11comp_targetILNS1_3genE3ELNS1_11target_archE908ELNS1_3gpuE7ELNS1_3repE0EEENS1_30default_config_static_selectorELNS0_4arch9wavefront6targetE0EEEvT1_
	.globl	_ZN7rocprim17ROCPRIM_400000_NS6detail17trampoline_kernelINS0_14default_configENS1_27scan_by_key_config_selectorIssEEZZNS1_16scan_by_key_implILNS1_25lookback_scan_determinismE0ELb0ES3_N6thrust23THRUST_200600_302600_NS6detail15normal_iteratorINS9_10device_ptrIsEEEESE_SE_sNS9_4plusIvEENS9_8equal_toIvEEsEE10hipError_tPvRmT2_T3_T4_T5_mT6_T7_P12ihipStream_tbENKUlT_T0_E_clISt17integral_constantIbLb0EESY_IbLb1EEEEDaSU_SV_EUlSU_E_NS1_11comp_targetILNS1_3genE3ELNS1_11target_archE908ELNS1_3gpuE7ELNS1_3repE0EEENS1_30default_config_static_selectorELNS0_4arch9wavefront6targetE0EEEvT1_
	.p2align	8
	.type	_ZN7rocprim17ROCPRIM_400000_NS6detail17trampoline_kernelINS0_14default_configENS1_27scan_by_key_config_selectorIssEEZZNS1_16scan_by_key_implILNS1_25lookback_scan_determinismE0ELb0ES3_N6thrust23THRUST_200600_302600_NS6detail15normal_iteratorINS9_10device_ptrIsEEEESE_SE_sNS9_4plusIvEENS9_8equal_toIvEEsEE10hipError_tPvRmT2_T3_T4_T5_mT6_T7_P12ihipStream_tbENKUlT_T0_E_clISt17integral_constantIbLb0EESY_IbLb1EEEEDaSU_SV_EUlSU_E_NS1_11comp_targetILNS1_3genE3ELNS1_11target_archE908ELNS1_3gpuE7ELNS1_3repE0EEENS1_30default_config_static_selectorELNS0_4arch9wavefront6targetE0EEEvT1_,@function
_ZN7rocprim17ROCPRIM_400000_NS6detail17trampoline_kernelINS0_14default_configENS1_27scan_by_key_config_selectorIssEEZZNS1_16scan_by_key_implILNS1_25lookback_scan_determinismE0ELb0ES3_N6thrust23THRUST_200600_302600_NS6detail15normal_iteratorINS9_10device_ptrIsEEEESE_SE_sNS9_4plusIvEENS9_8equal_toIvEEsEE10hipError_tPvRmT2_T3_T4_T5_mT6_T7_P12ihipStream_tbENKUlT_T0_E_clISt17integral_constantIbLb0EESY_IbLb1EEEEDaSU_SV_EUlSU_E_NS1_11comp_targetILNS1_3genE3ELNS1_11target_archE908ELNS1_3gpuE7ELNS1_3repE0EEENS1_30default_config_static_selectorELNS0_4arch9wavefront6targetE0EEEvT1_: ; @_ZN7rocprim17ROCPRIM_400000_NS6detail17trampoline_kernelINS0_14default_configENS1_27scan_by_key_config_selectorIssEEZZNS1_16scan_by_key_implILNS1_25lookback_scan_determinismE0ELb0ES3_N6thrust23THRUST_200600_302600_NS6detail15normal_iteratorINS9_10device_ptrIsEEEESE_SE_sNS9_4plusIvEENS9_8equal_toIvEEsEE10hipError_tPvRmT2_T3_T4_T5_mT6_T7_P12ihipStream_tbENKUlT_T0_E_clISt17integral_constantIbLb0EESY_IbLb1EEEEDaSU_SV_EUlSU_E_NS1_11comp_targetILNS1_3genE3ELNS1_11target_archE908ELNS1_3gpuE7ELNS1_3repE0EEENS1_30default_config_static_selectorELNS0_4arch9wavefront6targetE0EEEvT1_
; %bb.0:
	.section	.rodata,"a",@progbits
	.p2align	6, 0x0
	.amdhsa_kernel _ZN7rocprim17ROCPRIM_400000_NS6detail17trampoline_kernelINS0_14default_configENS1_27scan_by_key_config_selectorIssEEZZNS1_16scan_by_key_implILNS1_25lookback_scan_determinismE0ELb0ES3_N6thrust23THRUST_200600_302600_NS6detail15normal_iteratorINS9_10device_ptrIsEEEESE_SE_sNS9_4plusIvEENS9_8equal_toIvEEsEE10hipError_tPvRmT2_T3_T4_T5_mT6_T7_P12ihipStream_tbENKUlT_T0_E_clISt17integral_constantIbLb0EESY_IbLb1EEEEDaSU_SV_EUlSU_E_NS1_11comp_targetILNS1_3genE3ELNS1_11target_archE908ELNS1_3gpuE7ELNS1_3repE0EEENS1_30default_config_static_selectorELNS0_4arch9wavefront6targetE0EEEvT1_
		.amdhsa_group_segment_fixed_size 0
		.amdhsa_private_segment_fixed_size 0
		.amdhsa_kernarg_size 112
		.amdhsa_user_sgpr_count 6
		.amdhsa_user_sgpr_private_segment_buffer 1
		.amdhsa_user_sgpr_dispatch_ptr 0
		.amdhsa_user_sgpr_queue_ptr 0
		.amdhsa_user_sgpr_kernarg_segment_ptr 1
		.amdhsa_user_sgpr_dispatch_id 0
		.amdhsa_user_sgpr_flat_scratch_init 0
		.amdhsa_user_sgpr_private_segment_size 0
		.amdhsa_wavefront_size32 1
		.amdhsa_uses_dynamic_stack 0
		.amdhsa_system_sgpr_private_segment_wavefront_offset 0
		.amdhsa_system_sgpr_workgroup_id_x 1
		.amdhsa_system_sgpr_workgroup_id_y 0
		.amdhsa_system_sgpr_workgroup_id_z 0
		.amdhsa_system_sgpr_workgroup_info 0
		.amdhsa_system_vgpr_workitem_id 0
		.amdhsa_next_free_vgpr 1
		.amdhsa_next_free_sgpr 1
		.amdhsa_reserve_vcc 0
		.amdhsa_reserve_flat_scratch 0
		.amdhsa_float_round_mode_32 0
		.amdhsa_float_round_mode_16_64 0
		.amdhsa_float_denorm_mode_32 3
		.amdhsa_float_denorm_mode_16_64 3
		.amdhsa_dx10_clamp 1
		.amdhsa_ieee_mode 1
		.amdhsa_fp16_overflow 0
		.amdhsa_workgroup_processor_mode 1
		.amdhsa_memory_ordered 1
		.amdhsa_forward_progress 1
		.amdhsa_shared_vgpr_count 0
		.amdhsa_exception_fp_ieee_invalid_op 0
		.amdhsa_exception_fp_denorm_src 0
		.amdhsa_exception_fp_ieee_div_zero 0
		.amdhsa_exception_fp_ieee_overflow 0
		.amdhsa_exception_fp_ieee_underflow 0
		.amdhsa_exception_fp_ieee_inexact 0
		.amdhsa_exception_int_div_zero 0
	.end_amdhsa_kernel
	.section	.text._ZN7rocprim17ROCPRIM_400000_NS6detail17trampoline_kernelINS0_14default_configENS1_27scan_by_key_config_selectorIssEEZZNS1_16scan_by_key_implILNS1_25lookback_scan_determinismE0ELb0ES3_N6thrust23THRUST_200600_302600_NS6detail15normal_iteratorINS9_10device_ptrIsEEEESE_SE_sNS9_4plusIvEENS9_8equal_toIvEEsEE10hipError_tPvRmT2_T3_T4_T5_mT6_T7_P12ihipStream_tbENKUlT_T0_E_clISt17integral_constantIbLb0EESY_IbLb1EEEEDaSU_SV_EUlSU_E_NS1_11comp_targetILNS1_3genE3ELNS1_11target_archE908ELNS1_3gpuE7ELNS1_3repE0EEENS1_30default_config_static_selectorELNS0_4arch9wavefront6targetE0EEEvT1_,"axG",@progbits,_ZN7rocprim17ROCPRIM_400000_NS6detail17trampoline_kernelINS0_14default_configENS1_27scan_by_key_config_selectorIssEEZZNS1_16scan_by_key_implILNS1_25lookback_scan_determinismE0ELb0ES3_N6thrust23THRUST_200600_302600_NS6detail15normal_iteratorINS9_10device_ptrIsEEEESE_SE_sNS9_4plusIvEENS9_8equal_toIvEEsEE10hipError_tPvRmT2_T3_T4_T5_mT6_T7_P12ihipStream_tbENKUlT_T0_E_clISt17integral_constantIbLb0EESY_IbLb1EEEEDaSU_SV_EUlSU_E_NS1_11comp_targetILNS1_3genE3ELNS1_11target_archE908ELNS1_3gpuE7ELNS1_3repE0EEENS1_30default_config_static_selectorELNS0_4arch9wavefront6targetE0EEEvT1_,comdat
.Lfunc_end276:
	.size	_ZN7rocprim17ROCPRIM_400000_NS6detail17trampoline_kernelINS0_14default_configENS1_27scan_by_key_config_selectorIssEEZZNS1_16scan_by_key_implILNS1_25lookback_scan_determinismE0ELb0ES3_N6thrust23THRUST_200600_302600_NS6detail15normal_iteratorINS9_10device_ptrIsEEEESE_SE_sNS9_4plusIvEENS9_8equal_toIvEEsEE10hipError_tPvRmT2_T3_T4_T5_mT6_T7_P12ihipStream_tbENKUlT_T0_E_clISt17integral_constantIbLb0EESY_IbLb1EEEEDaSU_SV_EUlSU_E_NS1_11comp_targetILNS1_3genE3ELNS1_11target_archE908ELNS1_3gpuE7ELNS1_3repE0EEENS1_30default_config_static_selectorELNS0_4arch9wavefront6targetE0EEEvT1_, .Lfunc_end276-_ZN7rocprim17ROCPRIM_400000_NS6detail17trampoline_kernelINS0_14default_configENS1_27scan_by_key_config_selectorIssEEZZNS1_16scan_by_key_implILNS1_25lookback_scan_determinismE0ELb0ES3_N6thrust23THRUST_200600_302600_NS6detail15normal_iteratorINS9_10device_ptrIsEEEESE_SE_sNS9_4plusIvEENS9_8equal_toIvEEsEE10hipError_tPvRmT2_T3_T4_T5_mT6_T7_P12ihipStream_tbENKUlT_T0_E_clISt17integral_constantIbLb0EESY_IbLb1EEEEDaSU_SV_EUlSU_E_NS1_11comp_targetILNS1_3genE3ELNS1_11target_archE908ELNS1_3gpuE7ELNS1_3repE0EEENS1_30default_config_static_selectorELNS0_4arch9wavefront6targetE0EEEvT1_
                                        ; -- End function
	.set _ZN7rocprim17ROCPRIM_400000_NS6detail17trampoline_kernelINS0_14default_configENS1_27scan_by_key_config_selectorIssEEZZNS1_16scan_by_key_implILNS1_25lookback_scan_determinismE0ELb0ES3_N6thrust23THRUST_200600_302600_NS6detail15normal_iteratorINS9_10device_ptrIsEEEESE_SE_sNS9_4plusIvEENS9_8equal_toIvEEsEE10hipError_tPvRmT2_T3_T4_T5_mT6_T7_P12ihipStream_tbENKUlT_T0_E_clISt17integral_constantIbLb0EESY_IbLb1EEEEDaSU_SV_EUlSU_E_NS1_11comp_targetILNS1_3genE3ELNS1_11target_archE908ELNS1_3gpuE7ELNS1_3repE0EEENS1_30default_config_static_selectorELNS0_4arch9wavefront6targetE0EEEvT1_.num_vgpr, 0
	.set _ZN7rocprim17ROCPRIM_400000_NS6detail17trampoline_kernelINS0_14default_configENS1_27scan_by_key_config_selectorIssEEZZNS1_16scan_by_key_implILNS1_25lookback_scan_determinismE0ELb0ES3_N6thrust23THRUST_200600_302600_NS6detail15normal_iteratorINS9_10device_ptrIsEEEESE_SE_sNS9_4plusIvEENS9_8equal_toIvEEsEE10hipError_tPvRmT2_T3_T4_T5_mT6_T7_P12ihipStream_tbENKUlT_T0_E_clISt17integral_constantIbLb0EESY_IbLb1EEEEDaSU_SV_EUlSU_E_NS1_11comp_targetILNS1_3genE3ELNS1_11target_archE908ELNS1_3gpuE7ELNS1_3repE0EEENS1_30default_config_static_selectorELNS0_4arch9wavefront6targetE0EEEvT1_.num_agpr, 0
	.set _ZN7rocprim17ROCPRIM_400000_NS6detail17trampoline_kernelINS0_14default_configENS1_27scan_by_key_config_selectorIssEEZZNS1_16scan_by_key_implILNS1_25lookback_scan_determinismE0ELb0ES3_N6thrust23THRUST_200600_302600_NS6detail15normal_iteratorINS9_10device_ptrIsEEEESE_SE_sNS9_4plusIvEENS9_8equal_toIvEEsEE10hipError_tPvRmT2_T3_T4_T5_mT6_T7_P12ihipStream_tbENKUlT_T0_E_clISt17integral_constantIbLb0EESY_IbLb1EEEEDaSU_SV_EUlSU_E_NS1_11comp_targetILNS1_3genE3ELNS1_11target_archE908ELNS1_3gpuE7ELNS1_3repE0EEENS1_30default_config_static_selectorELNS0_4arch9wavefront6targetE0EEEvT1_.numbered_sgpr, 0
	.set _ZN7rocprim17ROCPRIM_400000_NS6detail17trampoline_kernelINS0_14default_configENS1_27scan_by_key_config_selectorIssEEZZNS1_16scan_by_key_implILNS1_25lookback_scan_determinismE0ELb0ES3_N6thrust23THRUST_200600_302600_NS6detail15normal_iteratorINS9_10device_ptrIsEEEESE_SE_sNS9_4plusIvEENS9_8equal_toIvEEsEE10hipError_tPvRmT2_T3_T4_T5_mT6_T7_P12ihipStream_tbENKUlT_T0_E_clISt17integral_constantIbLb0EESY_IbLb1EEEEDaSU_SV_EUlSU_E_NS1_11comp_targetILNS1_3genE3ELNS1_11target_archE908ELNS1_3gpuE7ELNS1_3repE0EEENS1_30default_config_static_selectorELNS0_4arch9wavefront6targetE0EEEvT1_.num_named_barrier, 0
	.set _ZN7rocprim17ROCPRIM_400000_NS6detail17trampoline_kernelINS0_14default_configENS1_27scan_by_key_config_selectorIssEEZZNS1_16scan_by_key_implILNS1_25lookback_scan_determinismE0ELb0ES3_N6thrust23THRUST_200600_302600_NS6detail15normal_iteratorINS9_10device_ptrIsEEEESE_SE_sNS9_4plusIvEENS9_8equal_toIvEEsEE10hipError_tPvRmT2_T3_T4_T5_mT6_T7_P12ihipStream_tbENKUlT_T0_E_clISt17integral_constantIbLb0EESY_IbLb1EEEEDaSU_SV_EUlSU_E_NS1_11comp_targetILNS1_3genE3ELNS1_11target_archE908ELNS1_3gpuE7ELNS1_3repE0EEENS1_30default_config_static_selectorELNS0_4arch9wavefront6targetE0EEEvT1_.private_seg_size, 0
	.set _ZN7rocprim17ROCPRIM_400000_NS6detail17trampoline_kernelINS0_14default_configENS1_27scan_by_key_config_selectorIssEEZZNS1_16scan_by_key_implILNS1_25lookback_scan_determinismE0ELb0ES3_N6thrust23THRUST_200600_302600_NS6detail15normal_iteratorINS9_10device_ptrIsEEEESE_SE_sNS9_4plusIvEENS9_8equal_toIvEEsEE10hipError_tPvRmT2_T3_T4_T5_mT6_T7_P12ihipStream_tbENKUlT_T0_E_clISt17integral_constantIbLb0EESY_IbLb1EEEEDaSU_SV_EUlSU_E_NS1_11comp_targetILNS1_3genE3ELNS1_11target_archE908ELNS1_3gpuE7ELNS1_3repE0EEENS1_30default_config_static_selectorELNS0_4arch9wavefront6targetE0EEEvT1_.uses_vcc, 0
	.set _ZN7rocprim17ROCPRIM_400000_NS6detail17trampoline_kernelINS0_14default_configENS1_27scan_by_key_config_selectorIssEEZZNS1_16scan_by_key_implILNS1_25lookback_scan_determinismE0ELb0ES3_N6thrust23THRUST_200600_302600_NS6detail15normal_iteratorINS9_10device_ptrIsEEEESE_SE_sNS9_4plusIvEENS9_8equal_toIvEEsEE10hipError_tPvRmT2_T3_T4_T5_mT6_T7_P12ihipStream_tbENKUlT_T0_E_clISt17integral_constantIbLb0EESY_IbLb1EEEEDaSU_SV_EUlSU_E_NS1_11comp_targetILNS1_3genE3ELNS1_11target_archE908ELNS1_3gpuE7ELNS1_3repE0EEENS1_30default_config_static_selectorELNS0_4arch9wavefront6targetE0EEEvT1_.uses_flat_scratch, 0
	.set _ZN7rocprim17ROCPRIM_400000_NS6detail17trampoline_kernelINS0_14default_configENS1_27scan_by_key_config_selectorIssEEZZNS1_16scan_by_key_implILNS1_25lookback_scan_determinismE0ELb0ES3_N6thrust23THRUST_200600_302600_NS6detail15normal_iteratorINS9_10device_ptrIsEEEESE_SE_sNS9_4plusIvEENS9_8equal_toIvEEsEE10hipError_tPvRmT2_T3_T4_T5_mT6_T7_P12ihipStream_tbENKUlT_T0_E_clISt17integral_constantIbLb0EESY_IbLb1EEEEDaSU_SV_EUlSU_E_NS1_11comp_targetILNS1_3genE3ELNS1_11target_archE908ELNS1_3gpuE7ELNS1_3repE0EEENS1_30default_config_static_selectorELNS0_4arch9wavefront6targetE0EEEvT1_.has_dyn_sized_stack, 0
	.set _ZN7rocprim17ROCPRIM_400000_NS6detail17trampoline_kernelINS0_14default_configENS1_27scan_by_key_config_selectorIssEEZZNS1_16scan_by_key_implILNS1_25lookback_scan_determinismE0ELb0ES3_N6thrust23THRUST_200600_302600_NS6detail15normal_iteratorINS9_10device_ptrIsEEEESE_SE_sNS9_4plusIvEENS9_8equal_toIvEEsEE10hipError_tPvRmT2_T3_T4_T5_mT6_T7_P12ihipStream_tbENKUlT_T0_E_clISt17integral_constantIbLb0EESY_IbLb1EEEEDaSU_SV_EUlSU_E_NS1_11comp_targetILNS1_3genE3ELNS1_11target_archE908ELNS1_3gpuE7ELNS1_3repE0EEENS1_30default_config_static_selectorELNS0_4arch9wavefront6targetE0EEEvT1_.has_recursion, 0
	.set _ZN7rocprim17ROCPRIM_400000_NS6detail17trampoline_kernelINS0_14default_configENS1_27scan_by_key_config_selectorIssEEZZNS1_16scan_by_key_implILNS1_25lookback_scan_determinismE0ELb0ES3_N6thrust23THRUST_200600_302600_NS6detail15normal_iteratorINS9_10device_ptrIsEEEESE_SE_sNS9_4plusIvEENS9_8equal_toIvEEsEE10hipError_tPvRmT2_T3_T4_T5_mT6_T7_P12ihipStream_tbENKUlT_T0_E_clISt17integral_constantIbLb0EESY_IbLb1EEEEDaSU_SV_EUlSU_E_NS1_11comp_targetILNS1_3genE3ELNS1_11target_archE908ELNS1_3gpuE7ELNS1_3repE0EEENS1_30default_config_static_selectorELNS0_4arch9wavefront6targetE0EEEvT1_.has_indirect_call, 0
	.section	.AMDGPU.csdata,"",@progbits
; Kernel info:
; codeLenInByte = 0
; TotalNumSgprs: 0
; NumVgprs: 0
; ScratchSize: 0
; MemoryBound: 0
; FloatMode: 240
; IeeeMode: 1
; LDSByteSize: 0 bytes/workgroup (compile time only)
; SGPRBlocks: 0
; VGPRBlocks: 0
; NumSGPRsForWavesPerEU: 1
; NumVGPRsForWavesPerEU: 1
; Occupancy: 16
; WaveLimiterHint : 0
; COMPUTE_PGM_RSRC2:SCRATCH_EN: 0
; COMPUTE_PGM_RSRC2:USER_SGPR: 6
; COMPUTE_PGM_RSRC2:TRAP_HANDLER: 0
; COMPUTE_PGM_RSRC2:TGID_X_EN: 1
; COMPUTE_PGM_RSRC2:TGID_Y_EN: 0
; COMPUTE_PGM_RSRC2:TGID_Z_EN: 0
; COMPUTE_PGM_RSRC2:TIDIG_COMP_CNT: 0
	.section	.text._ZN7rocprim17ROCPRIM_400000_NS6detail17trampoline_kernelINS0_14default_configENS1_27scan_by_key_config_selectorIssEEZZNS1_16scan_by_key_implILNS1_25lookback_scan_determinismE0ELb0ES3_N6thrust23THRUST_200600_302600_NS6detail15normal_iteratorINS9_10device_ptrIsEEEESE_SE_sNS9_4plusIvEENS9_8equal_toIvEEsEE10hipError_tPvRmT2_T3_T4_T5_mT6_T7_P12ihipStream_tbENKUlT_T0_E_clISt17integral_constantIbLb0EESY_IbLb1EEEEDaSU_SV_EUlSU_E_NS1_11comp_targetILNS1_3genE2ELNS1_11target_archE906ELNS1_3gpuE6ELNS1_3repE0EEENS1_30default_config_static_selectorELNS0_4arch9wavefront6targetE0EEEvT1_,"axG",@progbits,_ZN7rocprim17ROCPRIM_400000_NS6detail17trampoline_kernelINS0_14default_configENS1_27scan_by_key_config_selectorIssEEZZNS1_16scan_by_key_implILNS1_25lookback_scan_determinismE0ELb0ES3_N6thrust23THRUST_200600_302600_NS6detail15normal_iteratorINS9_10device_ptrIsEEEESE_SE_sNS9_4plusIvEENS9_8equal_toIvEEsEE10hipError_tPvRmT2_T3_T4_T5_mT6_T7_P12ihipStream_tbENKUlT_T0_E_clISt17integral_constantIbLb0EESY_IbLb1EEEEDaSU_SV_EUlSU_E_NS1_11comp_targetILNS1_3genE2ELNS1_11target_archE906ELNS1_3gpuE6ELNS1_3repE0EEENS1_30default_config_static_selectorELNS0_4arch9wavefront6targetE0EEEvT1_,comdat
	.protected	_ZN7rocprim17ROCPRIM_400000_NS6detail17trampoline_kernelINS0_14default_configENS1_27scan_by_key_config_selectorIssEEZZNS1_16scan_by_key_implILNS1_25lookback_scan_determinismE0ELb0ES3_N6thrust23THRUST_200600_302600_NS6detail15normal_iteratorINS9_10device_ptrIsEEEESE_SE_sNS9_4plusIvEENS9_8equal_toIvEEsEE10hipError_tPvRmT2_T3_T4_T5_mT6_T7_P12ihipStream_tbENKUlT_T0_E_clISt17integral_constantIbLb0EESY_IbLb1EEEEDaSU_SV_EUlSU_E_NS1_11comp_targetILNS1_3genE2ELNS1_11target_archE906ELNS1_3gpuE6ELNS1_3repE0EEENS1_30default_config_static_selectorELNS0_4arch9wavefront6targetE0EEEvT1_ ; -- Begin function _ZN7rocprim17ROCPRIM_400000_NS6detail17trampoline_kernelINS0_14default_configENS1_27scan_by_key_config_selectorIssEEZZNS1_16scan_by_key_implILNS1_25lookback_scan_determinismE0ELb0ES3_N6thrust23THRUST_200600_302600_NS6detail15normal_iteratorINS9_10device_ptrIsEEEESE_SE_sNS9_4plusIvEENS9_8equal_toIvEEsEE10hipError_tPvRmT2_T3_T4_T5_mT6_T7_P12ihipStream_tbENKUlT_T0_E_clISt17integral_constantIbLb0EESY_IbLb1EEEEDaSU_SV_EUlSU_E_NS1_11comp_targetILNS1_3genE2ELNS1_11target_archE906ELNS1_3gpuE6ELNS1_3repE0EEENS1_30default_config_static_selectorELNS0_4arch9wavefront6targetE0EEEvT1_
	.globl	_ZN7rocprim17ROCPRIM_400000_NS6detail17trampoline_kernelINS0_14default_configENS1_27scan_by_key_config_selectorIssEEZZNS1_16scan_by_key_implILNS1_25lookback_scan_determinismE0ELb0ES3_N6thrust23THRUST_200600_302600_NS6detail15normal_iteratorINS9_10device_ptrIsEEEESE_SE_sNS9_4plusIvEENS9_8equal_toIvEEsEE10hipError_tPvRmT2_T3_T4_T5_mT6_T7_P12ihipStream_tbENKUlT_T0_E_clISt17integral_constantIbLb0EESY_IbLb1EEEEDaSU_SV_EUlSU_E_NS1_11comp_targetILNS1_3genE2ELNS1_11target_archE906ELNS1_3gpuE6ELNS1_3repE0EEENS1_30default_config_static_selectorELNS0_4arch9wavefront6targetE0EEEvT1_
	.p2align	8
	.type	_ZN7rocprim17ROCPRIM_400000_NS6detail17trampoline_kernelINS0_14default_configENS1_27scan_by_key_config_selectorIssEEZZNS1_16scan_by_key_implILNS1_25lookback_scan_determinismE0ELb0ES3_N6thrust23THRUST_200600_302600_NS6detail15normal_iteratorINS9_10device_ptrIsEEEESE_SE_sNS9_4plusIvEENS9_8equal_toIvEEsEE10hipError_tPvRmT2_T3_T4_T5_mT6_T7_P12ihipStream_tbENKUlT_T0_E_clISt17integral_constantIbLb0EESY_IbLb1EEEEDaSU_SV_EUlSU_E_NS1_11comp_targetILNS1_3genE2ELNS1_11target_archE906ELNS1_3gpuE6ELNS1_3repE0EEENS1_30default_config_static_selectorELNS0_4arch9wavefront6targetE0EEEvT1_,@function
_ZN7rocprim17ROCPRIM_400000_NS6detail17trampoline_kernelINS0_14default_configENS1_27scan_by_key_config_selectorIssEEZZNS1_16scan_by_key_implILNS1_25lookback_scan_determinismE0ELb0ES3_N6thrust23THRUST_200600_302600_NS6detail15normal_iteratorINS9_10device_ptrIsEEEESE_SE_sNS9_4plusIvEENS9_8equal_toIvEEsEE10hipError_tPvRmT2_T3_T4_T5_mT6_T7_P12ihipStream_tbENKUlT_T0_E_clISt17integral_constantIbLb0EESY_IbLb1EEEEDaSU_SV_EUlSU_E_NS1_11comp_targetILNS1_3genE2ELNS1_11target_archE906ELNS1_3gpuE6ELNS1_3repE0EEENS1_30default_config_static_selectorELNS0_4arch9wavefront6targetE0EEEvT1_: ; @_ZN7rocprim17ROCPRIM_400000_NS6detail17trampoline_kernelINS0_14default_configENS1_27scan_by_key_config_selectorIssEEZZNS1_16scan_by_key_implILNS1_25lookback_scan_determinismE0ELb0ES3_N6thrust23THRUST_200600_302600_NS6detail15normal_iteratorINS9_10device_ptrIsEEEESE_SE_sNS9_4plusIvEENS9_8equal_toIvEEsEE10hipError_tPvRmT2_T3_T4_T5_mT6_T7_P12ihipStream_tbENKUlT_T0_E_clISt17integral_constantIbLb0EESY_IbLb1EEEEDaSU_SV_EUlSU_E_NS1_11comp_targetILNS1_3genE2ELNS1_11target_archE906ELNS1_3gpuE6ELNS1_3repE0EEENS1_30default_config_static_selectorELNS0_4arch9wavefront6targetE0EEEvT1_
; %bb.0:
	.section	.rodata,"a",@progbits
	.p2align	6, 0x0
	.amdhsa_kernel _ZN7rocprim17ROCPRIM_400000_NS6detail17trampoline_kernelINS0_14default_configENS1_27scan_by_key_config_selectorIssEEZZNS1_16scan_by_key_implILNS1_25lookback_scan_determinismE0ELb0ES3_N6thrust23THRUST_200600_302600_NS6detail15normal_iteratorINS9_10device_ptrIsEEEESE_SE_sNS9_4plusIvEENS9_8equal_toIvEEsEE10hipError_tPvRmT2_T3_T4_T5_mT6_T7_P12ihipStream_tbENKUlT_T0_E_clISt17integral_constantIbLb0EESY_IbLb1EEEEDaSU_SV_EUlSU_E_NS1_11comp_targetILNS1_3genE2ELNS1_11target_archE906ELNS1_3gpuE6ELNS1_3repE0EEENS1_30default_config_static_selectorELNS0_4arch9wavefront6targetE0EEEvT1_
		.amdhsa_group_segment_fixed_size 0
		.amdhsa_private_segment_fixed_size 0
		.amdhsa_kernarg_size 112
		.amdhsa_user_sgpr_count 6
		.amdhsa_user_sgpr_private_segment_buffer 1
		.amdhsa_user_sgpr_dispatch_ptr 0
		.amdhsa_user_sgpr_queue_ptr 0
		.amdhsa_user_sgpr_kernarg_segment_ptr 1
		.amdhsa_user_sgpr_dispatch_id 0
		.amdhsa_user_sgpr_flat_scratch_init 0
		.amdhsa_user_sgpr_private_segment_size 0
		.amdhsa_wavefront_size32 1
		.amdhsa_uses_dynamic_stack 0
		.amdhsa_system_sgpr_private_segment_wavefront_offset 0
		.amdhsa_system_sgpr_workgroup_id_x 1
		.amdhsa_system_sgpr_workgroup_id_y 0
		.amdhsa_system_sgpr_workgroup_id_z 0
		.amdhsa_system_sgpr_workgroup_info 0
		.amdhsa_system_vgpr_workitem_id 0
		.amdhsa_next_free_vgpr 1
		.amdhsa_next_free_sgpr 1
		.amdhsa_reserve_vcc 0
		.amdhsa_reserve_flat_scratch 0
		.amdhsa_float_round_mode_32 0
		.amdhsa_float_round_mode_16_64 0
		.amdhsa_float_denorm_mode_32 3
		.amdhsa_float_denorm_mode_16_64 3
		.amdhsa_dx10_clamp 1
		.amdhsa_ieee_mode 1
		.amdhsa_fp16_overflow 0
		.amdhsa_workgroup_processor_mode 1
		.amdhsa_memory_ordered 1
		.amdhsa_forward_progress 1
		.amdhsa_shared_vgpr_count 0
		.amdhsa_exception_fp_ieee_invalid_op 0
		.amdhsa_exception_fp_denorm_src 0
		.amdhsa_exception_fp_ieee_div_zero 0
		.amdhsa_exception_fp_ieee_overflow 0
		.amdhsa_exception_fp_ieee_underflow 0
		.amdhsa_exception_fp_ieee_inexact 0
		.amdhsa_exception_int_div_zero 0
	.end_amdhsa_kernel
	.section	.text._ZN7rocprim17ROCPRIM_400000_NS6detail17trampoline_kernelINS0_14default_configENS1_27scan_by_key_config_selectorIssEEZZNS1_16scan_by_key_implILNS1_25lookback_scan_determinismE0ELb0ES3_N6thrust23THRUST_200600_302600_NS6detail15normal_iteratorINS9_10device_ptrIsEEEESE_SE_sNS9_4plusIvEENS9_8equal_toIvEEsEE10hipError_tPvRmT2_T3_T4_T5_mT6_T7_P12ihipStream_tbENKUlT_T0_E_clISt17integral_constantIbLb0EESY_IbLb1EEEEDaSU_SV_EUlSU_E_NS1_11comp_targetILNS1_3genE2ELNS1_11target_archE906ELNS1_3gpuE6ELNS1_3repE0EEENS1_30default_config_static_selectorELNS0_4arch9wavefront6targetE0EEEvT1_,"axG",@progbits,_ZN7rocprim17ROCPRIM_400000_NS6detail17trampoline_kernelINS0_14default_configENS1_27scan_by_key_config_selectorIssEEZZNS1_16scan_by_key_implILNS1_25lookback_scan_determinismE0ELb0ES3_N6thrust23THRUST_200600_302600_NS6detail15normal_iteratorINS9_10device_ptrIsEEEESE_SE_sNS9_4plusIvEENS9_8equal_toIvEEsEE10hipError_tPvRmT2_T3_T4_T5_mT6_T7_P12ihipStream_tbENKUlT_T0_E_clISt17integral_constantIbLb0EESY_IbLb1EEEEDaSU_SV_EUlSU_E_NS1_11comp_targetILNS1_3genE2ELNS1_11target_archE906ELNS1_3gpuE6ELNS1_3repE0EEENS1_30default_config_static_selectorELNS0_4arch9wavefront6targetE0EEEvT1_,comdat
.Lfunc_end277:
	.size	_ZN7rocprim17ROCPRIM_400000_NS6detail17trampoline_kernelINS0_14default_configENS1_27scan_by_key_config_selectorIssEEZZNS1_16scan_by_key_implILNS1_25lookback_scan_determinismE0ELb0ES3_N6thrust23THRUST_200600_302600_NS6detail15normal_iteratorINS9_10device_ptrIsEEEESE_SE_sNS9_4plusIvEENS9_8equal_toIvEEsEE10hipError_tPvRmT2_T3_T4_T5_mT6_T7_P12ihipStream_tbENKUlT_T0_E_clISt17integral_constantIbLb0EESY_IbLb1EEEEDaSU_SV_EUlSU_E_NS1_11comp_targetILNS1_3genE2ELNS1_11target_archE906ELNS1_3gpuE6ELNS1_3repE0EEENS1_30default_config_static_selectorELNS0_4arch9wavefront6targetE0EEEvT1_, .Lfunc_end277-_ZN7rocprim17ROCPRIM_400000_NS6detail17trampoline_kernelINS0_14default_configENS1_27scan_by_key_config_selectorIssEEZZNS1_16scan_by_key_implILNS1_25lookback_scan_determinismE0ELb0ES3_N6thrust23THRUST_200600_302600_NS6detail15normal_iteratorINS9_10device_ptrIsEEEESE_SE_sNS9_4plusIvEENS9_8equal_toIvEEsEE10hipError_tPvRmT2_T3_T4_T5_mT6_T7_P12ihipStream_tbENKUlT_T0_E_clISt17integral_constantIbLb0EESY_IbLb1EEEEDaSU_SV_EUlSU_E_NS1_11comp_targetILNS1_3genE2ELNS1_11target_archE906ELNS1_3gpuE6ELNS1_3repE0EEENS1_30default_config_static_selectorELNS0_4arch9wavefront6targetE0EEEvT1_
                                        ; -- End function
	.set _ZN7rocprim17ROCPRIM_400000_NS6detail17trampoline_kernelINS0_14default_configENS1_27scan_by_key_config_selectorIssEEZZNS1_16scan_by_key_implILNS1_25lookback_scan_determinismE0ELb0ES3_N6thrust23THRUST_200600_302600_NS6detail15normal_iteratorINS9_10device_ptrIsEEEESE_SE_sNS9_4plusIvEENS9_8equal_toIvEEsEE10hipError_tPvRmT2_T3_T4_T5_mT6_T7_P12ihipStream_tbENKUlT_T0_E_clISt17integral_constantIbLb0EESY_IbLb1EEEEDaSU_SV_EUlSU_E_NS1_11comp_targetILNS1_3genE2ELNS1_11target_archE906ELNS1_3gpuE6ELNS1_3repE0EEENS1_30default_config_static_selectorELNS0_4arch9wavefront6targetE0EEEvT1_.num_vgpr, 0
	.set _ZN7rocprim17ROCPRIM_400000_NS6detail17trampoline_kernelINS0_14default_configENS1_27scan_by_key_config_selectorIssEEZZNS1_16scan_by_key_implILNS1_25lookback_scan_determinismE0ELb0ES3_N6thrust23THRUST_200600_302600_NS6detail15normal_iteratorINS9_10device_ptrIsEEEESE_SE_sNS9_4plusIvEENS9_8equal_toIvEEsEE10hipError_tPvRmT2_T3_T4_T5_mT6_T7_P12ihipStream_tbENKUlT_T0_E_clISt17integral_constantIbLb0EESY_IbLb1EEEEDaSU_SV_EUlSU_E_NS1_11comp_targetILNS1_3genE2ELNS1_11target_archE906ELNS1_3gpuE6ELNS1_3repE0EEENS1_30default_config_static_selectorELNS0_4arch9wavefront6targetE0EEEvT1_.num_agpr, 0
	.set _ZN7rocprim17ROCPRIM_400000_NS6detail17trampoline_kernelINS0_14default_configENS1_27scan_by_key_config_selectorIssEEZZNS1_16scan_by_key_implILNS1_25lookback_scan_determinismE0ELb0ES3_N6thrust23THRUST_200600_302600_NS6detail15normal_iteratorINS9_10device_ptrIsEEEESE_SE_sNS9_4plusIvEENS9_8equal_toIvEEsEE10hipError_tPvRmT2_T3_T4_T5_mT6_T7_P12ihipStream_tbENKUlT_T0_E_clISt17integral_constantIbLb0EESY_IbLb1EEEEDaSU_SV_EUlSU_E_NS1_11comp_targetILNS1_3genE2ELNS1_11target_archE906ELNS1_3gpuE6ELNS1_3repE0EEENS1_30default_config_static_selectorELNS0_4arch9wavefront6targetE0EEEvT1_.numbered_sgpr, 0
	.set _ZN7rocprim17ROCPRIM_400000_NS6detail17trampoline_kernelINS0_14default_configENS1_27scan_by_key_config_selectorIssEEZZNS1_16scan_by_key_implILNS1_25lookback_scan_determinismE0ELb0ES3_N6thrust23THRUST_200600_302600_NS6detail15normal_iteratorINS9_10device_ptrIsEEEESE_SE_sNS9_4plusIvEENS9_8equal_toIvEEsEE10hipError_tPvRmT2_T3_T4_T5_mT6_T7_P12ihipStream_tbENKUlT_T0_E_clISt17integral_constantIbLb0EESY_IbLb1EEEEDaSU_SV_EUlSU_E_NS1_11comp_targetILNS1_3genE2ELNS1_11target_archE906ELNS1_3gpuE6ELNS1_3repE0EEENS1_30default_config_static_selectorELNS0_4arch9wavefront6targetE0EEEvT1_.num_named_barrier, 0
	.set _ZN7rocprim17ROCPRIM_400000_NS6detail17trampoline_kernelINS0_14default_configENS1_27scan_by_key_config_selectorIssEEZZNS1_16scan_by_key_implILNS1_25lookback_scan_determinismE0ELb0ES3_N6thrust23THRUST_200600_302600_NS6detail15normal_iteratorINS9_10device_ptrIsEEEESE_SE_sNS9_4plusIvEENS9_8equal_toIvEEsEE10hipError_tPvRmT2_T3_T4_T5_mT6_T7_P12ihipStream_tbENKUlT_T0_E_clISt17integral_constantIbLb0EESY_IbLb1EEEEDaSU_SV_EUlSU_E_NS1_11comp_targetILNS1_3genE2ELNS1_11target_archE906ELNS1_3gpuE6ELNS1_3repE0EEENS1_30default_config_static_selectorELNS0_4arch9wavefront6targetE0EEEvT1_.private_seg_size, 0
	.set _ZN7rocprim17ROCPRIM_400000_NS6detail17trampoline_kernelINS0_14default_configENS1_27scan_by_key_config_selectorIssEEZZNS1_16scan_by_key_implILNS1_25lookback_scan_determinismE0ELb0ES3_N6thrust23THRUST_200600_302600_NS6detail15normal_iteratorINS9_10device_ptrIsEEEESE_SE_sNS9_4plusIvEENS9_8equal_toIvEEsEE10hipError_tPvRmT2_T3_T4_T5_mT6_T7_P12ihipStream_tbENKUlT_T0_E_clISt17integral_constantIbLb0EESY_IbLb1EEEEDaSU_SV_EUlSU_E_NS1_11comp_targetILNS1_3genE2ELNS1_11target_archE906ELNS1_3gpuE6ELNS1_3repE0EEENS1_30default_config_static_selectorELNS0_4arch9wavefront6targetE0EEEvT1_.uses_vcc, 0
	.set _ZN7rocprim17ROCPRIM_400000_NS6detail17trampoline_kernelINS0_14default_configENS1_27scan_by_key_config_selectorIssEEZZNS1_16scan_by_key_implILNS1_25lookback_scan_determinismE0ELb0ES3_N6thrust23THRUST_200600_302600_NS6detail15normal_iteratorINS9_10device_ptrIsEEEESE_SE_sNS9_4plusIvEENS9_8equal_toIvEEsEE10hipError_tPvRmT2_T3_T4_T5_mT6_T7_P12ihipStream_tbENKUlT_T0_E_clISt17integral_constantIbLb0EESY_IbLb1EEEEDaSU_SV_EUlSU_E_NS1_11comp_targetILNS1_3genE2ELNS1_11target_archE906ELNS1_3gpuE6ELNS1_3repE0EEENS1_30default_config_static_selectorELNS0_4arch9wavefront6targetE0EEEvT1_.uses_flat_scratch, 0
	.set _ZN7rocprim17ROCPRIM_400000_NS6detail17trampoline_kernelINS0_14default_configENS1_27scan_by_key_config_selectorIssEEZZNS1_16scan_by_key_implILNS1_25lookback_scan_determinismE0ELb0ES3_N6thrust23THRUST_200600_302600_NS6detail15normal_iteratorINS9_10device_ptrIsEEEESE_SE_sNS9_4plusIvEENS9_8equal_toIvEEsEE10hipError_tPvRmT2_T3_T4_T5_mT6_T7_P12ihipStream_tbENKUlT_T0_E_clISt17integral_constantIbLb0EESY_IbLb1EEEEDaSU_SV_EUlSU_E_NS1_11comp_targetILNS1_3genE2ELNS1_11target_archE906ELNS1_3gpuE6ELNS1_3repE0EEENS1_30default_config_static_selectorELNS0_4arch9wavefront6targetE0EEEvT1_.has_dyn_sized_stack, 0
	.set _ZN7rocprim17ROCPRIM_400000_NS6detail17trampoline_kernelINS0_14default_configENS1_27scan_by_key_config_selectorIssEEZZNS1_16scan_by_key_implILNS1_25lookback_scan_determinismE0ELb0ES3_N6thrust23THRUST_200600_302600_NS6detail15normal_iteratorINS9_10device_ptrIsEEEESE_SE_sNS9_4plusIvEENS9_8equal_toIvEEsEE10hipError_tPvRmT2_T3_T4_T5_mT6_T7_P12ihipStream_tbENKUlT_T0_E_clISt17integral_constantIbLb0EESY_IbLb1EEEEDaSU_SV_EUlSU_E_NS1_11comp_targetILNS1_3genE2ELNS1_11target_archE906ELNS1_3gpuE6ELNS1_3repE0EEENS1_30default_config_static_selectorELNS0_4arch9wavefront6targetE0EEEvT1_.has_recursion, 0
	.set _ZN7rocprim17ROCPRIM_400000_NS6detail17trampoline_kernelINS0_14default_configENS1_27scan_by_key_config_selectorIssEEZZNS1_16scan_by_key_implILNS1_25lookback_scan_determinismE0ELb0ES3_N6thrust23THRUST_200600_302600_NS6detail15normal_iteratorINS9_10device_ptrIsEEEESE_SE_sNS9_4plusIvEENS9_8equal_toIvEEsEE10hipError_tPvRmT2_T3_T4_T5_mT6_T7_P12ihipStream_tbENKUlT_T0_E_clISt17integral_constantIbLb0EESY_IbLb1EEEEDaSU_SV_EUlSU_E_NS1_11comp_targetILNS1_3genE2ELNS1_11target_archE906ELNS1_3gpuE6ELNS1_3repE0EEENS1_30default_config_static_selectorELNS0_4arch9wavefront6targetE0EEEvT1_.has_indirect_call, 0
	.section	.AMDGPU.csdata,"",@progbits
; Kernel info:
; codeLenInByte = 0
; TotalNumSgprs: 0
; NumVgprs: 0
; ScratchSize: 0
; MemoryBound: 0
; FloatMode: 240
; IeeeMode: 1
; LDSByteSize: 0 bytes/workgroup (compile time only)
; SGPRBlocks: 0
; VGPRBlocks: 0
; NumSGPRsForWavesPerEU: 1
; NumVGPRsForWavesPerEU: 1
; Occupancy: 16
; WaveLimiterHint : 0
; COMPUTE_PGM_RSRC2:SCRATCH_EN: 0
; COMPUTE_PGM_RSRC2:USER_SGPR: 6
; COMPUTE_PGM_RSRC2:TRAP_HANDLER: 0
; COMPUTE_PGM_RSRC2:TGID_X_EN: 1
; COMPUTE_PGM_RSRC2:TGID_Y_EN: 0
; COMPUTE_PGM_RSRC2:TGID_Z_EN: 0
; COMPUTE_PGM_RSRC2:TIDIG_COMP_CNT: 0
	.section	.text._ZN7rocprim17ROCPRIM_400000_NS6detail17trampoline_kernelINS0_14default_configENS1_27scan_by_key_config_selectorIssEEZZNS1_16scan_by_key_implILNS1_25lookback_scan_determinismE0ELb0ES3_N6thrust23THRUST_200600_302600_NS6detail15normal_iteratorINS9_10device_ptrIsEEEESE_SE_sNS9_4plusIvEENS9_8equal_toIvEEsEE10hipError_tPvRmT2_T3_T4_T5_mT6_T7_P12ihipStream_tbENKUlT_T0_E_clISt17integral_constantIbLb0EESY_IbLb1EEEEDaSU_SV_EUlSU_E_NS1_11comp_targetILNS1_3genE10ELNS1_11target_archE1200ELNS1_3gpuE4ELNS1_3repE0EEENS1_30default_config_static_selectorELNS0_4arch9wavefront6targetE0EEEvT1_,"axG",@progbits,_ZN7rocprim17ROCPRIM_400000_NS6detail17trampoline_kernelINS0_14default_configENS1_27scan_by_key_config_selectorIssEEZZNS1_16scan_by_key_implILNS1_25lookback_scan_determinismE0ELb0ES3_N6thrust23THRUST_200600_302600_NS6detail15normal_iteratorINS9_10device_ptrIsEEEESE_SE_sNS9_4plusIvEENS9_8equal_toIvEEsEE10hipError_tPvRmT2_T3_T4_T5_mT6_T7_P12ihipStream_tbENKUlT_T0_E_clISt17integral_constantIbLb0EESY_IbLb1EEEEDaSU_SV_EUlSU_E_NS1_11comp_targetILNS1_3genE10ELNS1_11target_archE1200ELNS1_3gpuE4ELNS1_3repE0EEENS1_30default_config_static_selectorELNS0_4arch9wavefront6targetE0EEEvT1_,comdat
	.protected	_ZN7rocprim17ROCPRIM_400000_NS6detail17trampoline_kernelINS0_14default_configENS1_27scan_by_key_config_selectorIssEEZZNS1_16scan_by_key_implILNS1_25lookback_scan_determinismE0ELb0ES3_N6thrust23THRUST_200600_302600_NS6detail15normal_iteratorINS9_10device_ptrIsEEEESE_SE_sNS9_4plusIvEENS9_8equal_toIvEEsEE10hipError_tPvRmT2_T3_T4_T5_mT6_T7_P12ihipStream_tbENKUlT_T0_E_clISt17integral_constantIbLb0EESY_IbLb1EEEEDaSU_SV_EUlSU_E_NS1_11comp_targetILNS1_3genE10ELNS1_11target_archE1200ELNS1_3gpuE4ELNS1_3repE0EEENS1_30default_config_static_selectorELNS0_4arch9wavefront6targetE0EEEvT1_ ; -- Begin function _ZN7rocprim17ROCPRIM_400000_NS6detail17trampoline_kernelINS0_14default_configENS1_27scan_by_key_config_selectorIssEEZZNS1_16scan_by_key_implILNS1_25lookback_scan_determinismE0ELb0ES3_N6thrust23THRUST_200600_302600_NS6detail15normal_iteratorINS9_10device_ptrIsEEEESE_SE_sNS9_4plusIvEENS9_8equal_toIvEEsEE10hipError_tPvRmT2_T3_T4_T5_mT6_T7_P12ihipStream_tbENKUlT_T0_E_clISt17integral_constantIbLb0EESY_IbLb1EEEEDaSU_SV_EUlSU_E_NS1_11comp_targetILNS1_3genE10ELNS1_11target_archE1200ELNS1_3gpuE4ELNS1_3repE0EEENS1_30default_config_static_selectorELNS0_4arch9wavefront6targetE0EEEvT1_
	.globl	_ZN7rocprim17ROCPRIM_400000_NS6detail17trampoline_kernelINS0_14default_configENS1_27scan_by_key_config_selectorIssEEZZNS1_16scan_by_key_implILNS1_25lookback_scan_determinismE0ELb0ES3_N6thrust23THRUST_200600_302600_NS6detail15normal_iteratorINS9_10device_ptrIsEEEESE_SE_sNS9_4plusIvEENS9_8equal_toIvEEsEE10hipError_tPvRmT2_T3_T4_T5_mT6_T7_P12ihipStream_tbENKUlT_T0_E_clISt17integral_constantIbLb0EESY_IbLb1EEEEDaSU_SV_EUlSU_E_NS1_11comp_targetILNS1_3genE10ELNS1_11target_archE1200ELNS1_3gpuE4ELNS1_3repE0EEENS1_30default_config_static_selectorELNS0_4arch9wavefront6targetE0EEEvT1_
	.p2align	8
	.type	_ZN7rocprim17ROCPRIM_400000_NS6detail17trampoline_kernelINS0_14default_configENS1_27scan_by_key_config_selectorIssEEZZNS1_16scan_by_key_implILNS1_25lookback_scan_determinismE0ELb0ES3_N6thrust23THRUST_200600_302600_NS6detail15normal_iteratorINS9_10device_ptrIsEEEESE_SE_sNS9_4plusIvEENS9_8equal_toIvEEsEE10hipError_tPvRmT2_T3_T4_T5_mT6_T7_P12ihipStream_tbENKUlT_T0_E_clISt17integral_constantIbLb0EESY_IbLb1EEEEDaSU_SV_EUlSU_E_NS1_11comp_targetILNS1_3genE10ELNS1_11target_archE1200ELNS1_3gpuE4ELNS1_3repE0EEENS1_30default_config_static_selectorELNS0_4arch9wavefront6targetE0EEEvT1_,@function
_ZN7rocprim17ROCPRIM_400000_NS6detail17trampoline_kernelINS0_14default_configENS1_27scan_by_key_config_selectorIssEEZZNS1_16scan_by_key_implILNS1_25lookback_scan_determinismE0ELb0ES3_N6thrust23THRUST_200600_302600_NS6detail15normal_iteratorINS9_10device_ptrIsEEEESE_SE_sNS9_4plusIvEENS9_8equal_toIvEEsEE10hipError_tPvRmT2_T3_T4_T5_mT6_T7_P12ihipStream_tbENKUlT_T0_E_clISt17integral_constantIbLb0EESY_IbLb1EEEEDaSU_SV_EUlSU_E_NS1_11comp_targetILNS1_3genE10ELNS1_11target_archE1200ELNS1_3gpuE4ELNS1_3repE0EEENS1_30default_config_static_selectorELNS0_4arch9wavefront6targetE0EEEvT1_: ; @_ZN7rocprim17ROCPRIM_400000_NS6detail17trampoline_kernelINS0_14default_configENS1_27scan_by_key_config_selectorIssEEZZNS1_16scan_by_key_implILNS1_25lookback_scan_determinismE0ELb0ES3_N6thrust23THRUST_200600_302600_NS6detail15normal_iteratorINS9_10device_ptrIsEEEESE_SE_sNS9_4plusIvEENS9_8equal_toIvEEsEE10hipError_tPvRmT2_T3_T4_T5_mT6_T7_P12ihipStream_tbENKUlT_T0_E_clISt17integral_constantIbLb0EESY_IbLb1EEEEDaSU_SV_EUlSU_E_NS1_11comp_targetILNS1_3genE10ELNS1_11target_archE1200ELNS1_3gpuE4ELNS1_3repE0EEENS1_30default_config_static_selectorELNS0_4arch9wavefront6targetE0EEEvT1_
; %bb.0:
	.section	.rodata,"a",@progbits
	.p2align	6, 0x0
	.amdhsa_kernel _ZN7rocprim17ROCPRIM_400000_NS6detail17trampoline_kernelINS0_14default_configENS1_27scan_by_key_config_selectorIssEEZZNS1_16scan_by_key_implILNS1_25lookback_scan_determinismE0ELb0ES3_N6thrust23THRUST_200600_302600_NS6detail15normal_iteratorINS9_10device_ptrIsEEEESE_SE_sNS9_4plusIvEENS9_8equal_toIvEEsEE10hipError_tPvRmT2_T3_T4_T5_mT6_T7_P12ihipStream_tbENKUlT_T0_E_clISt17integral_constantIbLb0EESY_IbLb1EEEEDaSU_SV_EUlSU_E_NS1_11comp_targetILNS1_3genE10ELNS1_11target_archE1200ELNS1_3gpuE4ELNS1_3repE0EEENS1_30default_config_static_selectorELNS0_4arch9wavefront6targetE0EEEvT1_
		.amdhsa_group_segment_fixed_size 0
		.amdhsa_private_segment_fixed_size 0
		.amdhsa_kernarg_size 112
		.amdhsa_user_sgpr_count 6
		.amdhsa_user_sgpr_private_segment_buffer 1
		.amdhsa_user_sgpr_dispatch_ptr 0
		.amdhsa_user_sgpr_queue_ptr 0
		.amdhsa_user_sgpr_kernarg_segment_ptr 1
		.amdhsa_user_sgpr_dispatch_id 0
		.amdhsa_user_sgpr_flat_scratch_init 0
		.amdhsa_user_sgpr_private_segment_size 0
		.amdhsa_wavefront_size32 1
		.amdhsa_uses_dynamic_stack 0
		.amdhsa_system_sgpr_private_segment_wavefront_offset 0
		.amdhsa_system_sgpr_workgroup_id_x 1
		.amdhsa_system_sgpr_workgroup_id_y 0
		.amdhsa_system_sgpr_workgroup_id_z 0
		.amdhsa_system_sgpr_workgroup_info 0
		.amdhsa_system_vgpr_workitem_id 0
		.amdhsa_next_free_vgpr 1
		.amdhsa_next_free_sgpr 1
		.amdhsa_reserve_vcc 0
		.amdhsa_reserve_flat_scratch 0
		.amdhsa_float_round_mode_32 0
		.amdhsa_float_round_mode_16_64 0
		.amdhsa_float_denorm_mode_32 3
		.amdhsa_float_denorm_mode_16_64 3
		.amdhsa_dx10_clamp 1
		.amdhsa_ieee_mode 1
		.amdhsa_fp16_overflow 0
		.amdhsa_workgroup_processor_mode 1
		.amdhsa_memory_ordered 1
		.amdhsa_forward_progress 1
		.amdhsa_shared_vgpr_count 0
		.amdhsa_exception_fp_ieee_invalid_op 0
		.amdhsa_exception_fp_denorm_src 0
		.amdhsa_exception_fp_ieee_div_zero 0
		.amdhsa_exception_fp_ieee_overflow 0
		.amdhsa_exception_fp_ieee_underflow 0
		.amdhsa_exception_fp_ieee_inexact 0
		.amdhsa_exception_int_div_zero 0
	.end_amdhsa_kernel
	.section	.text._ZN7rocprim17ROCPRIM_400000_NS6detail17trampoline_kernelINS0_14default_configENS1_27scan_by_key_config_selectorIssEEZZNS1_16scan_by_key_implILNS1_25lookback_scan_determinismE0ELb0ES3_N6thrust23THRUST_200600_302600_NS6detail15normal_iteratorINS9_10device_ptrIsEEEESE_SE_sNS9_4plusIvEENS9_8equal_toIvEEsEE10hipError_tPvRmT2_T3_T4_T5_mT6_T7_P12ihipStream_tbENKUlT_T0_E_clISt17integral_constantIbLb0EESY_IbLb1EEEEDaSU_SV_EUlSU_E_NS1_11comp_targetILNS1_3genE10ELNS1_11target_archE1200ELNS1_3gpuE4ELNS1_3repE0EEENS1_30default_config_static_selectorELNS0_4arch9wavefront6targetE0EEEvT1_,"axG",@progbits,_ZN7rocprim17ROCPRIM_400000_NS6detail17trampoline_kernelINS0_14default_configENS1_27scan_by_key_config_selectorIssEEZZNS1_16scan_by_key_implILNS1_25lookback_scan_determinismE0ELb0ES3_N6thrust23THRUST_200600_302600_NS6detail15normal_iteratorINS9_10device_ptrIsEEEESE_SE_sNS9_4plusIvEENS9_8equal_toIvEEsEE10hipError_tPvRmT2_T3_T4_T5_mT6_T7_P12ihipStream_tbENKUlT_T0_E_clISt17integral_constantIbLb0EESY_IbLb1EEEEDaSU_SV_EUlSU_E_NS1_11comp_targetILNS1_3genE10ELNS1_11target_archE1200ELNS1_3gpuE4ELNS1_3repE0EEENS1_30default_config_static_selectorELNS0_4arch9wavefront6targetE0EEEvT1_,comdat
.Lfunc_end278:
	.size	_ZN7rocprim17ROCPRIM_400000_NS6detail17trampoline_kernelINS0_14default_configENS1_27scan_by_key_config_selectorIssEEZZNS1_16scan_by_key_implILNS1_25lookback_scan_determinismE0ELb0ES3_N6thrust23THRUST_200600_302600_NS6detail15normal_iteratorINS9_10device_ptrIsEEEESE_SE_sNS9_4plusIvEENS9_8equal_toIvEEsEE10hipError_tPvRmT2_T3_T4_T5_mT6_T7_P12ihipStream_tbENKUlT_T0_E_clISt17integral_constantIbLb0EESY_IbLb1EEEEDaSU_SV_EUlSU_E_NS1_11comp_targetILNS1_3genE10ELNS1_11target_archE1200ELNS1_3gpuE4ELNS1_3repE0EEENS1_30default_config_static_selectorELNS0_4arch9wavefront6targetE0EEEvT1_, .Lfunc_end278-_ZN7rocprim17ROCPRIM_400000_NS6detail17trampoline_kernelINS0_14default_configENS1_27scan_by_key_config_selectorIssEEZZNS1_16scan_by_key_implILNS1_25lookback_scan_determinismE0ELb0ES3_N6thrust23THRUST_200600_302600_NS6detail15normal_iteratorINS9_10device_ptrIsEEEESE_SE_sNS9_4plusIvEENS9_8equal_toIvEEsEE10hipError_tPvRmT2_T3_T4_T5_mT6_T7_P12ihipStream_tbENKUlT_T0_E_clISt17integral_constantIbLb0EESY_IbLb1EEEEDaSU_SV_EUlSU_E_NS1_11comp_targetILNS1_3genE10ELNS1_11target_archE1200ELNS1_3gpuE4ELNS1_3repE0EEENS1_30default_config_static_selectorELNS0_4arch9wavefront6targetE0EEEvT1_
                                        ; -- End function
	.set _ZN7rocprim17ROCPRIM_400000_NS6detail17trampoline_kernelINS0_14default_configENS1_27scan_by_key_config_selectorIssEEZZNS1_16scan_by_key_implILNS1_25lookback_scan_determinismE0ELb0ES3_N6thrust23THRUST_200600_302600_NS6detail15normal_iteratorINS9_10device_ptrIsEEEESE_SE_sNS9_4plusIvEENS9_8equal_toIvEEsEE10hipError_tPvRmT2_T3_T4_T5_mT6_T7_P12ihipStream_tbENKUlT_T0_E_clISt17integral_constantIbLb0EESY_IbLb1EEEEDaSU_SV_EUlSU_E_NS1_11comp_targetILNS1_3genE10ELNS1_11target_archE1200ELNS1_3gpuE4ELNS1_3repE0EEENS1_30default_config_static_selectorELNS0_4arch9wavefront6targetE0EEEvT1_.num_vgpr, 0
	.set _ZN7rocprim17ROCPRIM_400000_NS6detail17trampoline_kernelINS0_14default_configENS1_27scan_by_key_config_selectorIssEEZZNS1_16scan_by_key_implILNS1_25lookback_scan_determinismE0ELb0ES3_N6thrust23THRUST_200600_302600_NS6detail15normal_iteratorINS9_10device_ptrIsEEEESE_SE_sNS9_4plusIvEENS9_8equal_toIvEEsEE10hipError_tPvRmT2_T3_T4_T5_mT6_T7_P12ihipStream_tbENKUlT_T0_E_clISt17integral_constantIbLb0EESY_IbLb1EEEEDaSU_SV_EUlSU_E_NS1_11comp_targetILNS1_3genE10ELNS1_11target_archE1200ELNS1_3gpuE4ELNS1_3repE0EEENS1_30default_config_static_selectorELNS0_4arch9wavefront6targetE0EEEvT1_.num_agpr, 0
	.set _ZN7rocprim17ROCPRIM_400000_NS6detail17trampoline_kernelINS0_14default_configENS1_27scan_by_key_config_selectorIssEEZZNS1_16scan_by_key_implILNS1_25lookback_scan_determinismE0ELb0ES3_N6thrust23THRUST_200600_302600_NS6detail15normal_iteratorINS9_10device_ptrIsEEEESE_SE_sNS9_4plusIvEENS9_8equal_toIvEEsEE10hipError_tPvRmT2_T3_T4_T5_mT6_T7_P12ihipStream_tbENKUlT_T0_E_clISt17integral_constantIbLb0EESY_IbLb1EEEEDaSU_SV_EUlSU_E_NS1_11comp_targetILNS1_3genE10ELNS1_11target_archE1200ELNS1_3gpuE4ELNS1_3repE0EEENS1_30default_config_static_selectorELNS0_4arch9wavefront6targetE0EEEvT1_.numbered_sgpr, 0
	.set _ZN7rocprim17ROCPRIM_400000_NS6detail17trampoline_kernelINS0_14default_configENS1_27scan_by_key_config_selectorIssEEZZNS1_16scan_by_key_implILNS1_25lookback_scan_determinismE0ELb0ES3_N6thrust23THRUST_200600_302600_NS6detail15normal_iteratorINS9_10device_ptrIsEEEESE_SE_sNS9_4plusIvEENS9_8equal_toIvEEsEE10hipError_tPvRmT2_T3_T4_T5_mT6_T7_P12ihipStream_tbENKUlT_T0_E_clISt17integral_constantIbLb0EESY_IbLb1EEEEDaSU_SV_EUlSU_E_NS1_11comp_targetILNS1_3genE10ELNS1_11target_archE1200ELNS1_3gpuE4ELNS1_3repE0EEENS1_30default_config_static_selectorELNS0_4arch9wavefront6targetE0EEEvT1_.num_named_barrier, 0
	.set _ZN7rocprim17ROCPRIM_400000_NS6detail17trampoline_kernelINS0_14default_configENS1_27scan_by_key_config_selectorIssEEZZNS1_16scan_by_key_implILNS1_25lookback_scan_determinismE0ELb0ES3_N6thrust23THRUST_200600_302600_NS6detail15normal_iteratorINS9_10device_ptrIsEEEESE_SE_sNS9_4plusIvEENS9_8equal_toIvEEsEE10hipError_tPvRmT2_T3_T4_T5_mT6_T7_P12ihipStream_tbENKUlT_T0_E_clISt17integral_constantIbLb0EESY_IbLb1EEEEDaSU_SV_EUlSU_E_NS1_11comp_targetILNS1_3genE10ELNS1_11target_archE1200ELNS1_3gpuE4ELNS1_3repE0EEENS1_30default_config_static_selectorELNS0_4arch9wavefront6targetE0EEEvT1_.private_seg_size, 0
	.set _ZN7rocprim17ROCPRIM_400000_NS6detail17trampoline_kernelINS0_14default_configENS1_27scan_by_key_config_selectorIssEEZZNS1_16scan_by_key_implILNS1_25lookback_scan_determinismE0ELb0ES3_N6thrust23THRUST_200600_302600_NS6detail15normal_iteratorINS9_10device_ptrIsEEEESE_SE_sNS9_4plusIvEENS9_8equal_toIvEEsEE10hipError_tPvRmT2_T3_T4_T5_mT6_T7_P12ihipStream_tbENKUlT_T0_E_clISt17integral_constantIbLb0EESY_IbLb1EEEEDaSU_SV_EUlSU_E_NS1_11comp_targetILNS1_3genE10ELNS1_11target_archE1200ELNS1_3gpuE4ELNS1_3repE0EEENS1_30default_config_static_selectorELNS0_4arch9wavefront6targetE0EEEvT1_.uses_vcc, 0
	.set _ZN7rocprim17ROCPRIM_400000_NS6detail17trampoline_kernelINS0_14default_configENS1_27scan_by_key_config_selectorIssEEZZNS1_16scan_by_key_implILNS1_25lookback_scan_determinismE0ELb0ES3_N6thrust23THRUST_200600_302600_NS6detail15normal_iteratorINS9_10device_ptrIsEEEESE_SE_sNS9_4plusIvEENS9_8equal_toIvEEsEE10hipError_tPvRmT2_T3_T4_T5_mT6_T7_P12ihipStream_tbENKUlT_T0_E_clISt17integral_constantIbLb0EESY_IbLb1EEEEDaSU_SV_EUlSU_E_NS1_11comp_targetILNS1_3genE10ELNS1_11target_archE1200ELNS1_3gpuE4ELNS1_3repE0EEENS1_30default_config_static_selectorELNS0_4arch9wavefront6targetE0EEEvT1_.uses_flat_scratch, 0
	.set _ZN7rocprim17ROCPRIM_400000_NS6detail17trampoline_kernelINS0_14default_configENS1_27scan_by_key_config_selectorIssEEZZNS1_16scan_by_key_implILNS1_25lookback_scan_determinismE0ELb0ES3_N6thrust23THRUST_200600_302600_NS6detail15normal_iteratorINS9_10device_ptrIsEEEESE_SE_sNS9_4plusIvEENS9_8equal_toIvEEsEE10hipError_tPvRmT2_T3_T4_T5_mT6_T7_P12ihipStream_tbENKUlT_T0_E_clISt17integral_constantIbLb0EESY_IbLb1EEEEDaSU_SV_EUlSU_E_NS1_11comp_targetILNS1_3genE10ELNS1_11target_archE1200ELNS1_3gpuE4ELNS1_3repE0EEENS1_30default_config_static_selectorELNS0_4arch9wavefront6targetE0EEEvT1_.has_dyn_sized_stack, 0
	.set _ZN7rocprim17ROCPRIM_400000_NS6detail17trampoline_kernelINS0_14default_configENS1_27scan_by_key_config_selectorIssEEZZNS1_16scan_by_key_implILNS1_25lookback_scan_determinismE0ELb0ES3_N6thrust23THRUST_200600_302600_NS6detail15normal_iteratorINS9_10device_ptrIsEEEESE_SE_sNS9_4plusIvEENS9_8equal_toIvEEsEE10hipError_tPvRmT2_T3_T4_T5_mT6_T7_P12ihipStream_tbENKUlT_T0_E_clISt17integral_constantIbLb0EESY_IbLb1EEEEDaSU_SV_EUlSU_E_NS1_11comp_targetILNS1_3genE10ELNS1_11target_archE1200ELNS1_3gpuE4ELNS1_3repE0EEENS1_30default_config_static_selectorELNS0_4arch9wavefront6targetE0EEEvT1_.has_recursion, 0
	.set _ZN7rocprim17ROCPRIM_400000_NS6detail17trampoline_kernelINS0_14default_configENS1_27scan_by_key_config_selectorIssEEZZNS1_16scan_by_key_implILNS1_25lookback_scan_determinismE0ELb0ES3_N6thrust23THRUST_200600_302600_NS6detail15normal_iteratorINS9_10device_ptrIsEEEESE_SE_sNS9_4plusIvEENS9_8equal_toIvEEsEE10hipError_tPvRmT2_T3_T4_T5_mT6_T7_P12ihipStream_tbENKUlT_T0_E_clISt17integral_constantIbLb0EESY_IbLb1EEEEDaSU_SV_EUlSU_E_NS1_11comp_targetILNS1_3genE10ELNS1_11target_archE1200ELNS1_3gpuE4ELNS1_3repE0EEENS1_30default_config_static_selectorELNS0_4arch9wavefront6targetE0EEEvT1_.has_indirect_call, 0
	.section	.AMDGPU.csdata,"",@progbits
; Kernel info:
; codeLenInByte = 0
; TotalNumSgprs: 0
; NumVgprs: 0
; ScratchSize: 0
; MemoryBound: 0
; FloatMode: 240
; IeeeMode: 1
; LDSByteSize: 0 bytes/workgroup (compile time only)
; SGPRBlocks: 0
; VGPRBlocks: 0
; NumSGPRsForWavesPerEU: 1
; NumVGPRsForWavesPerEU: 1
; Occupancy: 16
; WaveLimiterHint : 0
; COMPUTE_PGM_RSRC2:SCRATCH_EN: 0
; COMPUTE_PGM_RSRC2:USER_SGPR: 6
; COMPUTE_PGM_RSRC2:TRAP_HANDLER: 0
; COMPUTE_PGM_RSRC2:TGID_X_EN: 1
; COMPUTE_PGM_RSRC2:TGID_Y_EN: 0
; COMPUTE_PGM_RSRC2:TGID_Z_EN: 0
; COMPUTE_PGM_RSRC2:TIDIG_COMP_CNT: 0
	.section	.text._ZN7rocprim17ROCPRIM_400000_NS6detail17trampoline_kernelINS0_14default_configENS1_27scan_by_key_config_selectorIssEEZZNS1_16scan_by_key_implILNS1_25lookback_scan_determinismE0ELb0ES3_N6thrust23THRUST_200600_302600_NS6detail15normal_iteratorINS9_10device_ptrIsEEEESE_SE_sNS9_4plusIvEENS9_8equal_toIvEEsEE10hipError_tPvRmT2_T3_T4_T5_mT6_T7_P12ihipStream_tbENKUlT_T0_E_clISt17integral_constantIbLb0EESY_IbLb1EEEEDaSU_SV_EUlSU_E_NS1_11comp_targetILNS1_3genE9ELNS1_11target_archE1100ELNS1_3gpuE3ELNS1_3repE0EEENS1_30default_config_static_selectorELNS0_4arch9wavefront6targetE0EEEvT1_,"axG",@progbits,_ZN7rocprim17ROCPRIM_400000_NS6detail17trampoline_kernelINS0_14default_configENS1_27scan_by_key_config_selectorIssEEZZNS1_16scan_by_key_implILNS1_25lookback_scan_determinismE0ELb0ES3_N6thrust23THRUST_200600_302600_NS6detail15normal_iteratorINS9_10device_ptrIsEEEESE_SE_sNS9_4plusIvEENS9_8equal_toIvEEsEE10hipError_tPvRmT2_T3_T4_T5_mT6_T7_P12ihipStream_tbENKUlT_T0_E_clISt17integral_constantIbLb0EESY_IbLb1EEEEDaSU_SV_EUlSU_E_NS1_11comp_targetILNS1_3genE9ELNS1_11target_archE1100ELNS1_3gpuE3ELNS1_3repE0EEENS1_30default_config_static_selectorELNS0_4arch9wavefront6targetE0EEEvT1_,comdat
	.protected	_ZN7rocprim17ROCPRIM_400000_NS6detail17trampoline_kernelINS0_14default_configENS1_27scan_by_key_config_selectorIssEEZZNS1_16scan_by_key_implILNS1_25lookback_scan_determinismE0ELb0ES3_N6thrust23THRUST_200600_302600_NS6detail15normal_iteratorINS9_10device_ptrIsEEEESE_SE_sNS9_4plusIvEENS9_8equal_toIvEEsEE10hipError_tPvRmT2_T3_T4_T5_mT6_T7_P12ihipStream_tbENKUlT_T0_E_clISt17integral_constantIbLb0EESY_IbLb1EEEEDaSU_SV_EUlSU_E_NS1_11comp_targetILNS1_3genE9ELNS1_11target_archE1100ELNS1_3gpuE3ELNS1_3repE0EEENS1_30default_config_static_selectorELNS0_4arch9wavefront6targetE0EEEvT1_ ; -- Begin function _ZN7rocprim17ROCPRIM_400000_NS6detail17trampoline_kernelINS0_14default_configENS1_27scan_by_key_config_selectorIssEEZZNS1_16scan_by_key_implILNS1_25lookback_scan_determinismE0ELb0ES3_N6thrust23THRUST_200600_302600_NS6detail15normal_iteratorINS9_10device_ptrIsEEEESE_SE_sNS9_4plusIvEENS9_8equal_toIvEEsEE10hipError_tPvRmT2_T3_T4_T5_mT6_T7_P12ihipStream_tbENKUlT_T0_E_clISt17integral_constantIbLb0EESY_IbLb1EEEEDaSU_SV_EUlSU_E_NS1_11comp_targetILNS1_3genE9ELNS1_11target_archE1100ELNS1_3gpuE3ELNS1_3repE0EEENS1_30default_config_static_selectorELNS0_4arch9wavefront6targetE0EEEvT1_
	.globl	_ZN7rocprim17ROCPRIM_400000_NS6detail17trampoline_kernelINS0_14default_configENS1_27scan_by_key_config_selectorIssEEZZNS1_16scan_by_key_implILNS1_25lookback_scan_determinismE0ELb0ES3_N6thrust23THRUST_200600_302600_NS6detail15normal_iteratorINS9_10device_ptrIsEEEESE_SE_sNS9_4plusIvEENS9_8equal_toIvEEsEE10hipError_tPvRmT2_T3_T4_T5_mT6_T7_P12ihipStream_tbENKUlT_T0_E_clISt17integral_constantIbLb0EESY_IbLb1EEEEDaSU_SV_EUlSU_E_NS1_11comp_targetILNS1_3genE9ELNS1_11target_archE1100ELNS1_3gpuE3ELNS1_3repE0EEENS1_30default_config_static_selectorELNS0_4arch9wavefront6targetE0EEEvT1_
	.p2align	8
	.type	_ZN7rocprim17ROCPRIM_400000_NS6detail17trampoline_kernelINS0_14default_configENS1_27scan_by_key_config_selectorIssEEZZNS1_16scan_by_key_implILNS1_25lookback_scan_determinismE0ELb0ES3_N6thrust23THRUST_200600_302600_NS6detail15normal_iteratorINS9_10device_ptrIsEEEESE_SE_sNS9_4plusIvEENS9_8equal_toIvEEsEE10hipError_tPvRmT2_T3_T4_T5_mT6_T7_P12ihipStream_tbENKUlT_T0_E_clISt17integral_constantIbLb0EESY_IbLb1EEEEDaSU_SV_EUlSU_E_NS1_11comp_targetILNS1_3genE9ELNS1_11target_archE1100ELNS1_3gpuE3ELNS1_3repE0EEENS1_30default_config_static_selectorELNS0_4arch9wavefront6targetE0EEEvT1_,@function
_ZN7rocprim17ROCPRIM_400000_NS6detail17trampoline_kernelINS0_14default_configENS1_27scan_by_key_config_selectorIssEEZZNS1_16scan_by_key_implILNS1_25lookback_scan_determinismE0ELb0ES3_N6thrust23THRUST_200600_302600_NS6detail15normal_iteratorINS9_10device_ptrIsEEEESE_SE_sNS9_4plusIvEENS9_8equal_toIvEEsEE10hipError_tPvRmT2_T3_T4_T5_mT6_T7_P12ihipStream_tbENKUlT_T0_E_clISt17integral_constantIbLb0EESY_IbLb1EEEEDaSU_SV_EUlSU_E_NS1_11comp_targetILNS1_3genE9ELNS1_11target_archE1100ELNS1_3gpuE3ELNS1_3repE0EEENS1_30default_config_static_selectorELNS0_4arch9wavefront6targetE0EEEvT1_: ; @_ZN7rocprim17ROCPRIM_400000_NS6detail17trampoline_kernelINS0_14default_configENS1_27scan_by_key_config_selectorIssEEZZNS1_16scan_by_key_implILNS1_25lookback_scan_determinismE0ELb0ES3_N6thrust23THRUST_200600_302600_NS6detail15normal_iteratorINS9_10device_ptrIsEEEESE_SE_sNS9_4plusIvEENS9_8equal_toIvEEsEE10hipError_tPvRmT2_T3_T4_T5_mT6_T7_P12ihipStream_tbENKUlT_T0_E_clISt17integral_constantIbLb0EESY_IbLb1EEEEDaSU_SV_EUlSU_E_NS1_11comp_targetILNS1_3genE9ELNS1_11target_archE1100ELNS1_3gpuE3ELNS1_3repE0EEENS1_30default_config_static_selectorELNS0_4arch9wavefront6targetE0EEEvT1_
; %bb.0:
	.section	.rodata,"a",@progbits
	.p2align	6, 0x0
	.amdhsa_kernel _ZN7rocprim17ROCPRIM_400000_NS6detail17trampoline_kernelINS0_14default_configENS1_27scan_by_key_config_selectorIssEEZZNS1_16scan_by_key_implILNS1_25lookback_scan_determinismE0ELb0ES3_N6thrust23THRUST_200600_302600_NS6detail15normal_iteratorINS9_10device_ptrIsEEEESE_SE_sNS9_4plusIvEENS9_8equal_toIvEEsEE10hipError_tPvRmT2_T3_T4_T5_mT6_T7_P12ihipStream_tbENKUlT_T0_E_clISt17integral_constantIbLb0EESY_IbLb1EEEEDaSU_SV_EUlSU_E_NS1_11comp_targetILNS1_3genE9ELNS1_11target_archE1100ELNS1_3gpuE3ELNS1_3repE0EEENS1_30default_config_static_selectorELNS0_4arch9wavefront6targetE0EEEvT1_
		.amdhsa_group_segment_fixed_size 0
		.amdhsa_private_segment_fixed_size 0
		.amdhsa_kernarg_size 112
		.amdhsa_user_sgpr_count 6
		.amdhsa_user_sgpr_private_segment_buffer 1
		.amdhsa_user_sgpr_dispatch_ptr 0
		.amdhsa_user_sgpr_queue_ptr 0
		.amdhsa_user_sgpr_kernarg_segment_ptr 1
		.amdhsa_user_sgpr_dispatch_id 0
		.amdhsa_user_sgpr_flat_scratch_init 0
		.amdhsa_user_sgpr_private_segment_size 0
		.amdhsa_wavefront_size32 1
		.amdhsa_uses_dynamic_stack 0
		.amdhsa_system_sgpr_private_segment_wavefront_offset 0
		.amdhsa_system_sgpr_workgroup_id_x 1
		.amdhsa_system_sgpr_workgroup_id_y 0
		.amdhsa_system_sgpr_workgroup_id_z 0
		.amdhsa_system_sgpr_workgroup_info 0
		.amdhsa_system_vgpr_workitem_id 0
		.amdhsa_next_free_vgpr 1
		.amdhsa_next_free_sgpr 1
		.amdhsa_reserve_vcc 0
		.amdhsa_reserve_flat_scratch 0
		.amdhsa_float_round_mode_32 0
		.amdhsa_float_round_mode_16_64 0
		.amdhsa_float_denorm_mode_32 3
		.amdhsa_float_denorm_mode_16_64 3
		.amdhsa_dx10_clamp 1
		.amdhsa_ieee_mode 1
		.amdhsa_fp16_overflow 0
		.amdhsa_workgroup_processor_mode 1
		.amdhsa_memory_ordered 1
		.amdhsa_forward_progress 1
		.amdhsa_shared_vgpr_count 0
		.amdhsa_exception_fp_ieee_invalid_op 0
		.amdhsa_exception_fp_denorm_src 0
		.amdhsa_exception_fp_ieee_div_zero 0
		.amdhsa_exception_fp_ieee_overflow 0
		.amdhsa_exception_fp_ieee_underflow 0
		.amdhsa_exception_fp_ieee_inexact 0
		.amdhsa_exception_int_div_zero 0
	.end_amdhsa_kernel
	.section	.text._ZN7rocprim17ROCPRIM_400000_NS6detail17trampoline_kernelINS0_14default_configENS1_27scan_by_key_config_selectorIssEEZZNS1_16scan_by_key_implILNS1_25lookback_scan_determinismE0ELb0ES3_N6thrust23THRUST_200600_302600_NS6detail15normal_iteratorINS9_10device_ptrIsEEEESE_SE_sNS9_4plusIvEENS9_8equal_toIvEEsEE10hipError_tPvRmT2_T3_T4_T5_mT6_T7_P12ihipStream_tbENKUlT_T0_E_clISt17integral_constantIbLb0EESY_IbLb1EEEEDaSU_SV_EUlSU_E_NS1_11comp_targetILNS1_3genE9ELNS1_11target_archE1100ELNS1_3gpuE3ELNS1_3repE0EEENS1_30default_config_static_selectorELNS0_4arch9wavefront6targetE0EEEvT1_,"axG",@progbits,_ZN7rocprim17ROCPRIM_400000_NS6detail17trampoline_kernelINS0_14default_configENS1_27scan_by_key_config_selectorIssEEZZNS1_16scan_by_key_implILNS1_25lookback_scan_determinismE0ELb0ES3_N6thrust23THRUST_200600_302600_NS6detail15normal_iteratorINS9_10device_ptrIsEEEESE_SE_sNS9_4plusIvEENS9_8equal_toIvEEsEE10hipError_tPvRmT2_T3_T4_T5_mT6_T7_P12ihipStream_tbENKUlT_T0_E_clISt17integral_constantIbLb0EESY_IbLb1EEEEDaSU_SV_EUlSU_E_NS1_11comp_targetILNS1_3genE9ELNS1_11target_archE1100ELNS1_3gpuE3ELNS1_3repE0EEENS1_30default_config_static_selectorELNS0_4arch9wavefront6targetE0EEEvT1_,comdat
.Lfunc_end279:
	.size	_ZN7rocprim17ROCPRIM_400000_NS6detail17trampoline_kernelINS0_14default_configENS1_27scan_by_key_config_selectorIssEEZZNS1_16scan_by_key_implILNS1_25lookback_scan_determinismE0ELb0ES3_N6thrust23THRUST_200600_302600_NS6detail15normal_iteratorINS9_10device_ptrIsEEEESE_SE_sNS9_4plusIvEENS9_8equal_toIvEEsEE10hipError_tPvRmT2_T3_T4_T5_mT6_T7_P12ihipStream_tbENKUlT_T0_E_clISt17integral_constantIbLb0EESY_IbLb1EEEEDaSU_SV_EUlSU_E_NS1_11comp_targetILNS1_3genE9ELNS1_11target_archE1100ELNS1_3gpuE3ELNS1_3repE0EEENS1_30default_config_static_selectorELNS0_4arch9wavefront6targetE0EEEvT1_, .Lfunc_end279-_ZN7rocprim17ROCPRIM_400000_NS6detail17trampoline_kernelINS0_14default_configENS1_27scan_by_key_config_selectorIssEEZZNS1_16scan_by_key_implILNS1_25lookback_scan_determinismE0ELb0ES3_N6thrust23THRUST_200600_302600_NS6detail15normal_iteratorINS9_10device_ptrIsEEEESE_SE_sNS9_4plusIvEENS9_8equal_toIvEEsEE10hipError_tPvRmT2_T3_T4_T5_mT6_T7_P12ihipStream_tbENKUlT_T0_E_clISt17integral_constantIbLb0EESY_IbLb1EEEEDaSU_SV_EUlSU_E_NS1_11comp_targetILNS1_3genE9ELNS1_11target_archE1100ELNS1_3gpuE3ELNS1_3repE0EEENS1_30default_config_static_selectorELNS0_4arch9wavefront6targetE0EEEvT1_
                                        ; -- End function
	.set _ZN7rocprim17ROCPRIM_400000_NS6detail17trampoline_kernelINS0_14default_configENS1_27scan_by_key_config_selectorIssEEZZNS1_16scan_by_key_implILNS1_25lookback_scan_determinismE0ELb0ES3_N6thrust23THRUST_200600_302600_NS6detail15normal_iteratorINS9_10device_ptrIsEEEESE_SE_sNS9_4plusIvEENS9_8equal_toIvEEsEE10hipError_tPvRmT2_T3_T4_T5_mT6_T7_P12ihipStream_tbENKUlT_T0_E_clISt17integral_constantIbLb0EESY_IbLb1EEEEDaSU_SV_EUlSU_E_NS1_11comp_targetILNS1_3genE9ELNS1_11target_archE1100ELNS1_3gpuE3ELNS1_3repE0EEENS1_30default_config_static_selectorELNS0_4arch9wavefront6targetE0EEEvT1_.num_vgpr, 0
	.set _ZN7rocprim17ROCPRIM_400000_NS6detail17trampoline_kernelINS0_14default_configENS1_27scan_by_key_config_selectorIssEEZZNS1_16scan_by_key_implILNS1_25lookback_scan_determinismE0ELb0ES3_N6thrust23THRUST_200600_302600_NS6detail15normal_iteratorINS9_10device_ptrIsEEEESE_SE_sNS9_4plusIvEENS9_8equal_toIvEEsEE10hipError_tPvRmT2_T3_T4_T5_mT6_T7_P12ihipStream_tbENKUlT_T0_E_clISt17integral_constantIbLb0EESY_IbLb1EEEEDaSU_SV_EUlSU_E_NS1_11comp_targetILNS1_3genE9ELNS1_11target_archE1100ELNS1_3gpuE3ELNS1_3repE0EEENS1_30default_config_static_selectorELNS0_4arch9wavefront6targetE0EEEvT1_.num_agpr, 0
	.set _ZN7rocprim17ROCPRIM_400000_NS6detail17trampoline_kernelINS0_14default_configENS1_27scan_by_key_config_selectorIssEEZZNS1_16scan_by_key_implILNS1_25lookback_scan_determinismE0ELb0ES3_N6thrust23THRUST_200600_302600_NS6detail15normal_iteratorINS9_10device_ptrIsEEEESE_SE_sNS9_4plusIvEENS9_8equal_toIvEEsEE10hipError_tPvRmT2_T3_T4_T5_mT6_T7_P12ihipStream_tbENKUlT_T0_E_clISt17integral_constantIbLb0EESY_IbLb1EEEEDaSU_SV_EUlSU_E_NS1_11comp_targetILNS1_3genE9ELNS1_11target_archE1100ELNS1_3gpuE3ELNS1_3repE0EEENS1_30default_config_static_selectorELNS0_4arch9wavefront6targetE0EEEvT1_.numbered_sgpr, 0
	.set _ZN7rocprim17ROCPRIM_400000_NS6detail17trampoline_kernelINS0_14default_configENS1_27scan_by_key_config_selectorIssEEZZNS1_16scan_by_key_implILNS1_25lookback_scan_determinismE0ELb0ES3_N6thrust23THRUST_200600_302600_NS6detail15normal_iteratorINS9_10device_ptrIsEEEESE_SE_sNS9_4plusIvEENS9_8equal_toIvEEsEE10hipError_tPvRmT2_T3_T4_T5_mT6_T7_P12ihipStream_tbENKUlT_T0_E_clISt17integral_constantIbLb0EESY_IbLb1EEEEDaSU_SV_EUlSU_E_NS1_11comp_targetILNS1_3genE9ELNS1_11target_archE1100ELNS1_3gpuE3ELNS1_3repE0EEENS1_30default_config_static_selectorELNS0_4arch9wavefront6targetE0EEEvT1_.num_named_barrier, 0
	.set _ZN7rocprim17ROCPRIM_400000_NS6detail17trampoline_kernelINS0_14default_configENS1_27scan_by_key_config_selectorIssEEZZNS1_16scan_by_key_implILNS1_25lookback_scan_determinismE0ELb0ES3_N6thrust23THRUST_200600_302600_NS6detail15normal_iteratorINS9_10device_ptrIsEEEESE_SE_sNS9_4plusIvEENS9_8equal_toIvEEsEE10hipError_tPvRmT2_T3_T4_T5_mT6_T7_P12ihipStream_tbENKUlT_T0_E_clISt17integral_constantIbLb0EESY_IbLb1EEEEDaSU_SV_EUlSU_E_NS1_11comp_targetILNS1_3genE9ELNS1_11target_archE1100ELNS1_3gpuE3ELNS1_3repE0EEENS1_30default_config_static_selectorELNS0_4arch9wavefront6targetE0EEEvT1_.private_seg_size, 0
	.set _ZN7rocprim17ROCPRIM_400000_NS6detail17trampoline_kernelINS0_14default_configENS1_27scan_by_key_config_selectorIssEEZZNS1_16scan_by_key_implILNS1_25lookback_scan_determinismE0ELb0ES3_N6thrust23THRUST_200600_302600_NS6detail15normal_iteratorINS9_10device_ptrIsEEEESE_SE_sNS9_4plusIvEENS9_8equal_toIvEEsEE10hipError_tPvRmT2_T3_T4_T5_mT6_T7_P12ihipStream_tbENKUlT_T0_E_clISt17integral_constantIbLb0EESY_IbLb1EEEEDaSU_SV_EUlSU_E_NS1_11comp_targetILNS1_3genE9ELNS1_11target_archE1100ELNS1_3gpuE3ELNS1_3repE0EEENS1_30default_config_static_selectorELNS0_4arch9wavefront6targetE0EEEvT1_.uses_vcc, 0
	.set _ZN7rocprim17ROCPRIM_400000_NS6detail17trampoline_kernelINS0_14default_configENS1_27scan_by_key_config_selectorIssEEZZNS1_16scan_by_key_implILNS1_25lookback_scan_determinismE0ELb0ES3_N6thrust23THRUST_200600_302600_NS6detail15normal_iteratorINS9_10device_ptrIsEEEESE_SE_sNS9_4plusIvEENS9_8equal_toIvEEsEE10hipError_tPvRmT2_T3_T4_T5_mT6_T7_P12ihipStream_tbENKUlT_T0_E_clISt17integral_constantIbLb0EESY_IbLb1EEEEDaSU_SV_EUlSU_E_NS1_11comp_targetILNS1_3genE9ELNS1_11target_archE1100ELNS1_3gpuE3ELNS1_3repE0EEENS1_30default_config_static_selectorELNS0_4arch9wavefront6targetE0EEEvT1_.uses_flat_scratch, 0
	.set _ZN7rocprim17ROCPRIM_400000_NS6detail17trampoline_kernelINS0_14default_configENS1_27scan_by_key_config_selectorIssEEZZNS1_16scan_by_key_implILNS1_25lookback_scan_determinismE0ELb0ES3_N6thrust23THRUST_200600_302600_NS6detail15normal_iteratorINS9_10device_ptrIsEEEESE_SE_sNS9_4plusIvEENS9_8equal_toIvEEsEE10hipError_tPvRmT2_T3_T4_T5_mT6_T7_P12ihipStream_tbENKUlT_T0_E_clISt17integral_constantIbLb0EESY_IbLb1EEEEDaSU_SV_EUlSU_E_NS1_11comp_targetILNS1_3genE9ELNS1_11target_archE1100ELNS1_3gpuE3ELNS1_3repE0EEENS1_30default_config_static_selectorELNS0_4arch9wavefront6targetE0EEEvT1_.has_dyn_sized_stack, 0
	.set _ZN7rocprim17ROCPRIM_400000_NS6detail17trampoline_kernelINS0_14default_configENS1_27scan_by_key_config_selectorIssEEZZNS1_16scan_by_key_implILNS1_25lookback_scan_determinismE0ELb0ES3_N6thrust23THRUST_200600_302600_NS6detail15normal_iteratorINS9_10device_ptrIsEEEESE_SE_sNS9_4plusIvEENS9_8equal_toIvEEsEE10hipError_tPvRmT2_T3_T4_T5_mT6_T7_P12ihipStream_tbENKUlT_T0_E_clISt17integral_constantIbLb0EESY_IbLb1EEEEDaSU_SV_EUlSU_E_NS1_11comp_targetILNS1_3genE9ELNS1_11target_archE1100ELNS1_3gpuE3ELNS1_3repE0EEENS1_30default_config_static_selectorELNS0_4arch9wavefront6targetE0EEEvT1_.has_recursion, 0
	.set _ZN7rocprim17ROCPRIM_400000_NS6detail17trampoline_kernelINS0_14default_configENS1_27scan_by_key_config_selectorIssEEZZNS1_16scan_by_key_implILNS1_25lookback_scan_determinismE0ELb0ES3_N6thrust23THRUST_200600_302600_NS6detail15normal_iteratorINS9_10device_ptrIsEEEESE_SE_sNS9_4plusIvEENS9_8equal_toIvEEsEE10hipError_tPvRmT2_T3_T4_T5_mT6_T7_P12ihipStream_tbENKUlT_T0_E_clISt17integral_constantIbLb0EESY_IbLb1EEEEDaSU_SV_EUlSU_E_NS1_11comp_targetILNS1_3genE9ELNS1_11target_archE1100ELNS1_3gpuE3ELNS1_3repE0EEENS1_30default_config_static_selectorELNS0_4arch9wavefront6targetE0EEEvT1_.has_indirect_call, 0
	.section	.AMDGPU.csdata,"",@progbits
; Kernel info:
; codeLenInByte = 0
; TotalNumSgprs: 0
; NumVgprs: 0
; ScratchSize: 0
; MemoryBound: 0
; FloatMode: 240
; IeeeMode: 1
; LDSByteSize: 0 bytes/workgroup (compile time only)
; SGPRBlocks: 0
; VGPRBlocks: 0
; NumSGPRsForWavesPerEU: 1
; NumVGPRsForWavesPerEU: 1
; Occupancy: 16
; WaveLimiterHint : 0
; COMPUTE_PGM_RSRC2:SCRATCH_EN: 0
; COMPUTE_PGM_RSRC2:USER_SGPR: 6
; COMPUTE_PGM_RSRC2:TRAP_HANDLER: 0
; COMPUTE_PGM_RSRC2:TGID_X_EN: 1
; COMPUTE_PGM_RSRC2:TGID_Y_EN: 0
; COMPUTE_PGM_RSRC2:TGID_Z_EN: 0
; COMPUTE_PGM_RSRC2:TIDIG_COMP_CNT: 0
	.section	.text._ZN7rocprim17ROCPRIM_400000_NS6detail17trampoline_kernelINS0_14default_configENS1_27scan_by_key_config_selectorIssEEZZNS1_16scan_by_key_implILNS1_25lookback_scan_determinismE0ELb0ES3_N6thrust23THRUST_200600_302600_NS6detail15normal_iteratorINS9_10device_ptrIsEEEESE_SE_sNS9_4plusIvEENS9_8equal_toIvEEsEE10hipError_tPvRmT2_T3_T4_T5_mT6_T7_P12ihipStream_tbENKUlT_T0_E_clISt17integral_constantIbLb0EESY_IbLb1EEEEDaSU_SV_EUlSU_E_NS1_11comp_targetILNS1_3genE8ELNS1_11target_archE1030ELNS1_3gpuE2ELNS1_3repE0EEENS1_30default_config_static_selectorELNS0_4arch9wavefront6targetE0EEEvT1_,"axG",@progbits,_ZN7rocprim17ROCPRIM_400000_NS6detail17trampoline_kernelINS0_14default_configENS1_27scan_by_key_config_selectorIssEEZZNS1_16scan_by_key_implILNS1_25lookback_scan_determinismE0ELb0ES3_N6thrust23THRUST_200600_302600_NS6detail15normal_iteratorINS9_10device_ptrIsEEEESE_SE_sNS9_4plusIvEENS9_8equal_toIvEEsEE10hipError_tPvRmT2_T3_T4_T5_mT6_T7_P12ihipStream_tbENKUlT_T0_E_clISt17integral_constantIbLb0EESY_IbLb1EEEEDaSU_SV_EUlSU_E_NS1_11comp_targetILNS1_3genE8ELNS1_11target_archE1030ELNS1_3gpuE2ELNS1_3repE0EEENS1_30default_config_static_selectorELNS0_4arch9wavefront6targetE0EEEvT1_,comdat
	.protected	_ZN7rocprim17ROCPRIM_400000_NS6detail17trampoline_kernelINS0_14default_configENS1_27scan_by_key_config_selectorIssEEZZNS1_16scan_by_key_implILNS1_25lookback_scan_determinismE0ELb0ES3_N6thrust23THRUST_200600_302600_NS6detail15normal_iteratorINS9_10device_ptrIsEEEESE_SE_sNS9_4plusIvEENS9_8equal_toIvEEsEE10hipError_tPvRmT2_T3_T4_T5_mT6_T7_P12ihipStream_tbENKUlT_T0_E_clISt17integral_constantIbLb0EESY_IbLb1EEEEDaSU_SV_EUlSU_E_NS1_11comp_targetILNS1_3genE8ELNS1_11target_archE1030ELNS1_3gpuE2ELNS1_3repE0EEENS1_30default_config_static_selectorELNS0_4arch9wavefront6targetE0EEEvT1_ ; -- Begin function _ZN7rocprim17ROCPRIM_400000_NS6detail17trampoline_kernelINS0_14default_configENS1_27scan_by_key_config_selectorIssEEZZNS1_16scan_by_key_implILNS1_25lookback_scan_determinismE0ELb0ES3_N6thrust23THRUST_200600_302600_NS6detail15normal_iteratorINS9_10device_ptrIsEEEESE_SE_sNS9_4plusIvEENS9_8equal_toIvEEsEE10hipError_tPvRmT2_T3_T4_T5_mT6_T7_P12ihipStream_tbENKUlT_T0_E_clISt17integral_constantIbLb0EESY_IbLb1EEEEDaSU_SV_EUlSU_E_NS1_11comp_targetILNS1_3genE8ELNS1_11target_archE1030ELNS1_3gpuE2ELNS1_3repE0EEENS1_30default_config_static_selectorELNS0_4arch9wavefront6targetE0EEEvT1_
	.globl	_ZN7rocprim17ROCPRIM_400000_NS6detail17trampoline_kernelINS0_14default_configENS1_27scan_by_key_config_selectorIssEEZZNS1_16scan_by_key_implILNS1_25lookback_scan_determinismE0ELb0ES3_N6thrust23THRUST_200600_302600_NS6detail15normal_iteratorINS9_10device_ptrIsEEEESE_SE_sNS9_4plusIvEENS9_8equal_toIvEEsEE10hipError_tPvRmT2_T3_T4_T5_mT6_T7_P12ihipStream_tbENKUlT_T0_E_clISt17integral_constantIbLb0EESY_IbLb1EEEEDaSU_SV_EUlSU_E_NS1_11comp_targetILNS1_3genE8ELNS1_11target_archE1030ELNS1_3gpuE2ELNS1_3repE0EEENS1_30default_config_static_selectorELNS0_4arch9wavefront6targetE0EEEvT1_
	.p2align	8
	.type	_ZN7rocprim17ROCPRIM_400000_NS6detail17trampoline_kernelINS0_14default_configENS1_27scan_by_key_config_selectorIssEEZZNS1_16scan_by_key_implILNS1_25lookback_scan_determinismE0ELb0ES3_N6thrust23THRUST_200600_302600_NS6detail15normal_iteratorINS9_10device_ptrIsEEEESE_SE_sNS9_4plusIvEENS9_8equal_toIvEEsEE10hipError_tPvRmT2_T3_T4_T5_mT6_T7_P12ihipStream_tbENKUlT_T0_E_clISt17integral_constantIbLb0EESY_IbLb1EEEEDaSU_SV_EUlSU_E_NS1_11comp_targetILNS1_3genE8ELNS1_11target_archE1030ELNS1_3gpuE2ELNS1_3repE0EEENS1_30default_config_static_selectorELNS0_4arch9wavefront6targetE0EEEvT1_,@function
_ZN7rocprim17ROCPRIM_400000_NS6detail17trampoline_kernelINS0_14default_configENS1_27scan_by_key_config_selectorIssEEZZNS1_16scan_by_key_implILNS1_25lookback_scan_determinismE0ELb0ES3_N6thrust23THRUST_200600_302600_NS6detail15normal_iteratorINS9_10device_ptrIsEEEESE_SE_sNS9_4plusIvEENS9_8equal_toIvEEsEE10hipError_tPvRmT2_T3_T4_T5_mT6_T7_P12ihipStream_tbENKUlT_T0_E_clISt17integral_constantIbLb0EESY_IbLb1EEEEDaSU_SV_EUlSU_E_NS1_11comp_targetILNS1_3genE8ELNS1_11target_archE1030ELNS1_3gpuE2ELNS1_3repE0EEENS1_30default_config_static_selectorELNS0_4arch9wavefront6targetE0EEEvT1_: ; @_ZN7rocprim17ROCPRIM_400000_NS6detail17trampoline_kernelINS0_14default_configENS1_27scan_by_key_config_selectorIssEEZZNS1_16scan_by_key_implILNS1_25lookback_scan_determinismE0ELb0ES3_N6thrust23THRUST_200600_302600_NS6detail15normal_iteratorINS9_10device_ptrIsEEEESE_SE_sNS9_4plusIvEENS9_8equal_toIvEEsEE10hipError_tPvRmT2_T3_T4_T5_mT6_T7_P12ihipStream_tbENKUlT_T0_E_clISt17integral_constantIbLb0EESY_IbLb1EEEEDaSU_SV_EUlSU_E_NS1_11comp_targetILNS1_3genE8ELNS1_11target_archE1030ELNS1_3gpuE2ELNS1_3repE0EEENS1_30default_config_static_selectorELNS0_4arch9wavefront6targetE0EEEvT1_
; %bb.0:
	s_clause 0x1
	s_load_dwordx4 s[24:27], s[4:5], 0x28
	s_load_dwordx2 s[30:31], s[4:5], 0x38
	v_cmp_ne_u32_e64 s1, 0, v0
	v_cmp_eq_u32_e64 s0, 0, v0
	s_and_saveexec_b32 s2, s0
	s_cbranch_execz .LBB280_4
; %bb.1:
	s_mov_b32 s6, exec_lo
	s_mov_b32 s3, exec_lo
	v_mbcnt_lo_u32_b32 v1, s6, 0
                                        ; implicit-def: $vgpr2
	v_cmpx_eq_u32_e32 0, v1
	s_cbranch_execz .LBB280_3
; %bb.2:
	s_load_dwordx2 s[8:9], s[4:5], 0x68
	s_bcnt1_i32_b32 s6, s6
	v_mov_b32_e32 v2, 0
	v_mov_b32_e32 v3, s6
	s_waitcnt lgkmcnt(0)
	global_atomic_add v2, v2, v3, s[8:9] glc
.LBB280_3:
	s_or_b32 exec_lo, exec_lo, s3
	s_waitcnt vmcnt(0)
	v_readfirstlane_b32 s3, v2
	v_mov_b32_e32 v2, 0
	v_add_nc_u32_e32 v1, s3, v1
	ds_write_b32 v2, v1
.LBB280_4:
	s_or_b32 exec_lo, exec_lo, s2
	v_mov_b32_e32 v1, 0
	s_clause 0x2
	s_load_dwordx8 s[8:15], s[4:5], 0x0
	s_load_dword s6, s[4:5], 0x40
	s_load_dwordx8 s[16:23], s[4:5], 0x48
	s_waitcnt lgkmcnt(0)
	s_barrier
	buffer_gl0_inv
	ds_read_b32 v1, v1
	s_waitcnt lgkmcnt(0)
	s_barrier
	buffer_gl0_inv
	s_barrier
	buffer_gl0_inv
	s_lshl_b64 s[28:29], s[10:11], 1
	s_mul_i32 s2, s31, s6
	s_add_u32 s4, s8, s28
	s_addc_u32 s5, s9, s29
	s_mul_hi_u32 s3, s30, s6
	s_add_u32 s7, s12, s28
	v_readfirstlane_b32 s36, v1
	s_addc_u32 s8, s13, s29
	s_add_i32 s9, s3, s2
	s_cmp_lg_u64 s[20:21], 0
	s_mov_b32 s3, 0
	s_mul_i32 s2, s36, 0x280
	s_cselect_b32 s39, -1, 0
	s_lshl_b64 s[12:13], s[2:3], 1
	s_mul_i32 s2, s30, s6
	s_add_u32 s20, s4, s12
	s_addc_u32 s21, s5, s13
	s_add_u32 s37, s7, s12
	s_addc_u32 s38, s8, s13
	;; [unrolled: 2-line block ×3, first 2 shown]
	s_add_u32 s4, s16, -1
	s_addc_u32 s5, s17, -1
	s_mul_i32 s33, s4, 0xfffffd80
	v_cmp_ge_u64_e64 s27, s[34:35], s[4:5]
	s_and_b32 vcc_lo, exec_lo, s27
	s_cbranch_vccz .LBB280_61
; %bb.5:
	v_mov_b32_e32 v1, s20
	v_mov_b32_e32 v2, s21
	s_add_i32 s40, s33, s26
	v_cmp_gt_u32_e64 s11, s40, v0
	flat_load_ushort v1, v[1:2]
	s_waitcnt vmcnt(0) lgkmcnt(0)
	v_mov_b32_e32 v2, v1
	s_and_saveexec_b32 s2, s11
	s_cbranch_execz .LBB280_7
; %bb.6:
	v_lshlrev_b32_e32 v2, 1, v0
	v_add_co_u32 v2, s3, s20, v2
	v_add_co_ci_u32_e64 v3, null, s21, 0, s3
	flat_load_ushort v2, v[2:3]
.LBB280_7:
	s_or_b32 exec_lo, exec_lo, s2
	v_or_b32_e32 v3, 64, v0
	v_cmp_gt_u32_e64 s10, s40, v3
	v_mov_b32_e32 v3, v1
	s_and_saveexec_b32 s2, s10
	s_cbranch_execz .LBB280_9
; %bb.8:
	v_lshlrev_b32_e32 v3, 1, v0
	v_add_co_u32 v3, s3, s20, v3
	v_add_co_ci_u32_e64 v4, null, s21, 0, s3
	flat_load_ushort v3, v[3:4] offset:128
.LBB280_9:
	s_or_b32 exec_lo, exec_lo, s2
	v_or_b32_e32 v4, 0x80, v0
	v_cmp_gt_u32_e64 s9, s40, v4
	v_mov_b32_e32 v4, v1
	s_and_saveexec_b32 s2, s9
	s_cbranch_execz .LBB280_11
; %bb.10:
	v_lshlrev_b32_e32 v4, 1, v0
	v_add_co_u32 v4, s3, s20, v4
	v_add_co_ci_u32_e64 v5, null, s21, 0, s3
	flat_load_ushort v4, v[4:5] offset:256
.LBB280_11:
	s_or_b32 exec_lo, exec_lo, s2
	v_or_b32_e32 v5, 0xc0, v0
	v_cmp_gt_u32_e64 s8, s40, v5
	v_mov_b32_e32 v5, v1
	s_and_saveexec_b32 s2, s8
	s_cbranch_execz .LBB280_13
; %bb.12:
	v_lshlrev_b32_e32 v5, 1, v0
	v_add_co_u32 v5, s3, s20, v5
	v_add_co_ci_u32_e64 v6, null, s21, 0, s3
	flat_load_ushort v5, v[5:6] offset:384
.LBB280_13:
	s_or_b32 exec_lo, exec_lo, s2
	v_or_b32_e32 v6, 0x100, v0
	v_cmp_gt_u32_e64 s7, s40, v6
	v_mov_b32_e32 v6, v1
	s_and_saveexec_b32 s2, s7
	s_cbranch_execz .LBB280_15
; %bb.14:
	v_lshlrev_b32_e32 v6, 1, v0
	v_add_co_u32 v6, s3, s20, v6
	v_add_co_ci_u32_e64 v7, null, s21, 0, s3
	flat_load_ushort v6, v[6:7] offset:512
.LBB280_15:
	s_or_b32 exec_lo, exec_lo, s2
	v_or_b32_e32 v7, 0x140, v0
	v_cmp_gt_u32_e64 s6, s40, v7
	v_mov_b32_e32 v7, v1
	s_and_saveexec_b32 s2, s6
	s_cbranch_execz .LBB280_17
; %bb.16:
	v_lshlrev_b32_e32 v7, 1, v0
	v_add_co_u32 v7, s3, s20, v7
	v_add_co_ci_u32_e64 v8, null, s21, 0, s3
	flat_load_ushort v7, v[7:8] offset:640
.LBB280_17:
	s_or_b32 exec_lo, exec_lo, s2
	v_or_b32_e32 v8, 0x180, v0
	v_cmp_gt_u32_e64 s5, s40, v8
	v_mov_b32_e32 v8, v1
	s_and_saveexec_b32 s2, s5
	s_cbranch_execz .LBB280_19
; %bb.18:
	v_lshlrev_b32_e32 v8, 1, v0
	v_add_co_u32 v8, s3, s20, v8
	v_add_co_ci_u32_e64 v9, null, s21, 0, s3
	flat_load_ushort v8, v[8:9] offset:768
.LBB280_19:
	s_or_b32 exec_lo, exec_lo, s2
	v_or_b32_e32 v9, 0x1c0, v0
	v_cmp_gt_u32_e64 s4, s40, v9
	v_mov_b32_e32 v9, v1
	s_and_saveexec_b32 s2, s4
	s_cbranch_execz .LBB280_21
; %bb.20:
	v_lshlrev_b32_e32 v9, 1, v0
	v_add_co_u32 v9, s3, s20, v9
	v_add_co_ci_u32_e64 v10, null, s21, 0, s3
	flat_load_ushort v9, v[9:10] offset:896
.LBB280_21:
	s_or_b32 exec_lo, exec_lo, s2
	v_or_b32_e32 v10, 0x200, v0
	v_cmp_gt_u32_e64 s3, s40, v10
	v_mov_b32_e32 v10, v1
	s_and_saveexec_b32 s2, s3
	s_cbranch_execz .LBB280_23
; %bb.22:
	v_lshlrev_b32_e32 v10, 1, v0
	v_add_co_u32 v10, s16, s20, v10
	v_add_co_ci_u32_e64 v11, null, s21, 0, s16
	flat_load_ushort v10, v[10:11] offset:1024
.LBB280_23:
	s_or_b32 exec_lo, exec_lo, s2
	v_or_b32_e32 v11, 0x240, v0
	s_mov_b32 s16, exec_lo
	v_cmp_gt_u32_e64 s2, s40, v11
	v_cmpx_le_u32_e64 s40, v11
	s_xor_b32 s16, exec_lo, s16
	s_andn2_saveexec_b32 s16, s16
	s_cbranch_execz .LBB280_25
; %bb.24:
	v_lshlrev_b32_e32 v1, 1, v0
	v_add_co_u32 v11, s17, s20, v1
	v_add_co_ci_u32_e64 v12, null, s21, 0, s17
	flat_load_ushort v1, v[11:12] offset:1152
.LBB280_25:
	s_or_b32 exec_lo, exec_lo, s16
	v_lshlrev_b32_e32 v13, 1, v0
	s_cmp_eq_u64 s[34:35], 0
	s_mov_b64 s[16:17], s[20:21]
	s_waitcnt vmcnt(0) lgkmcnt(0)
	ds_write_b16 v13, v2
	ds_write_b16 v13, v3 offset:128
	ds_write_b16 v13, v4 offset:256
	;; [unrolled: 1-line block ×8, first 2 shown]
	v_mad_u32_u24 v23, v0, 18, v13
	ds_write_b16 v13, v1 offset:1152
	s_waitcnt lgkmcnt(0)
	s_barrier
	buffer_gl0_inv
	ds_read2_b32 v[11:12], v23 offset1:1
	ds_read2_b32 v[9:10], v23 offset0:2 offset1:3
	ds_read_b32 v22, v23 offset:16
	s_cbranch_scc1 .LBB280_29
; %bb.26:
	s_andn2_b32 vcc_lo, exec_lo, s39
	s_cbranch_vccnz .LBB280_201
; %bb.27:
	s_lshl_b64 s[16:17], s[34:35], 1
	s_add_u32 s16, s22, s16
	s_addc_u32 s17, s23, s17
	s_add_u32 s16, s16, -2
	s_addc_u32 s17, s17, -1
	s_cbranch_execnz .LBB280_29
.LBB280_28:
	s_add_u32 s16, s20, -2
	s_addc_u32 s17, s21, -1
.LBB280_29:
	v_mov_b32_e32 v1, s16
	v_mov_b32_e32 v2, s17
	s_waitcnt lgkmcnt(0)
	v_lshrrev_b32_e32 v24, 16, v22
	flat_load_ushort v28, v[1:2]
	v_mad_i32_i24 v1, 0xffffffee, v0, v23
	ds_write_b16 v1, v24 offset:1280
	s_waitcnt vmcnt(0) lgkmcnt(0)
	s_barrier
	buffer_gl0_inv
	s_and_saveexec_b32 s16, s1
; %bb.30:
	v_mul_i32_i24_e32 v1, 0xffffffee, v0
	v_add_nc_u32_e32 v1, v23, v1
	ds_read_u16 v28, v1 offset:1278
; %bb.31:
	s_or_b32 exec_lo, exec_lo, s16
	v_mov_b32_e32 v1, 0
	v_lshlrev_b32_e32 v14, 1, v0
	s_waitcnt lgkmcnt(0)
	s_barrier
	buffer_gl0_inv
	v_mov_b32_e32 v2, v1
	v_mov_b32_e32 v3, v1
	v_mov_b32_e32 v4, v1
	v_mov_b32_e32 v5, v1
	s_and_saveexec_b32 s16, s11
	s_cbranch_execnz .LBB280_192
; %bb.32:
	s_or_b32 exec_lo, exec_lo, s16
	s_and_saveexec_b32 s11, s10
	s_cbranch_execnz .LBB280_193
.LBB280_33:
	s_or_b32 exec_lo, exec_lo, s11
	s_and_saveexec_b32 s10, s9
	s_cbranch_execnz .LBB280_194
.LBB280_34:
	s_or_b32 exec_lo, exec_lo, s10
	s_and_saveexec_b32 s9, s8
	s_cbranch_execnz .LBB280_195
.LBB280_35:
	s_or_b32 exec_lo, exec_lo, s9
	s_and_saveexec_b32 s8, s7
	s_cbranch_execnz .LBB280_196
.LBB280_36:
	s_or_b32 exec_lo, exec_lo, s8
	s_and_saveexec_b32 s7, s6
	s_cbranch_execnz .LBB280_197
.LBB280_37:
	s_or_b32 exec_lo, exec_lo, s7
	s_and_saveexec_b32 s6, s5
	s_cbranch_execnz .LBB280_198
.LBB280_38:
	s_or_b32 exec_lo, exec_lo, s6
	s_and_saveexec_b32 s5, s4
	s_cbranch_execnz .LBB280_199
.LBB280_39:
	s_or_b32 exec_lo, exec_lo, s5
	s_and_saveexec_b32 s4, s3
	s_cbranch_execnz .LBB280_200
.LBB280_40:
	s_or_b32 exec_lo, exec_lo, s4
	s_and_saveexec_b32 s3, s2
	s_cbranch_execz .LBB280_42
.LBB280_41:
	v_add_co_u32 v6, s2, s37, v14
	v_add_co_ci_u32_e64 v7, null, s38, 0, s2
	s_waitcnt vmcnt(0) lgkmcnt(0)
	flat_load_short_d16_hi v5, v[6:7] offset:1152
.LBB280_42:
	s_or_b32 exec_lo, exec_lo, s3
	v_mul_u32_u24_e32 v29, 10, v0
	s_waitcnt vmcnt(0) lgkmcnt(0)
	ds_write_b16 v13, v1
	ds_write_b16_d16_hi v13, v1 offset:128
	ds_write_b16 v13, v2 offset:256
	ds_write_b16_d16_hi v13, v2 offset:384
	ds_write_b16 v13, v3 offset:512
	ds_write_b16_d16_hi v13, v3 offset:640
	ds_write_b16 v13, v4 offset:768
	ds_write_b16_d16_hi v13, v4 offset:896
	ds_write_b16 v13, v5 offset:1024
	ds_write_b16_d16_hi v13, v5 offset:1152
	v_mov_b32_e32 v18, 0
	v_mov_b32_e32 v1, 0
	;; [unrolled: 1-line block ×3, first 2 shown]
	v_cmp_gt_u32_e32 vcc_lo, s40, v29
	v_mov_b32_e32 v26, 0
	v_mov_b32_e32 v25, 0
	;; [unrolled: 1-line block ×13, first 2 shown]
	s_mov_b32 s2, 0
	s_mov_b32 s3, 0
	s_waitcnt lgkmcnt(0)
	s_barrier
	buffer_gl0_inv
                                        ; implicit-def: $sgpr4
                                        ; implicit-def: $vgpr7
	s_and_saveexec_b32 s5, vcc_lo
	s_cbranch_execz .LBB280_60
; %bb.43:
	ds_read_u16 v18, v23
	v_cmp_eq_u16_e32 vcc_lo, v28, v11
	v_or_b32_e32 v2, 1, v29
	v_mov_b32_e32 v1, 0
	v_mov_b32_e32 v27, 0
	;; [unrolled: 1-line block ×3, first 2 shown]
	v_cndmask_b32_e64 v21, 0x10000, 0, vcc_lo
	v_mov_b32_e32 v25, 0
	v_mov_b32_e32 v8, 0
	;; [unrolled: 1-line block ×11, first 2 shown]
	s_mov_b32 s6, 0
	s_mov_b32 s3, exec_lo
                                        ; implicit-def: $sgpr4
                                        ; implicit-def: $vgpr7
	v_cmpx_gt_u32_e64 s40, v2
	s_cbranch_execz .LBB280_59
; %bb.44:
	ds_read_b128 v[1:4], v23 offset:2
	v_add_nc_u32_e32 v5, 2, v29
	v_cmp_eq_u16_sdwa s4, v11, v11 src0_sel:DWORD src1_sel:WORD_1
	v_mov_b32_e32 v27, 0
	v_mov_b32_e32 v26, 0
	v_mov_b32_e32 v25, 0
	v_cmp_gt_u32_e32 vcc_lo, s40, v5
	v_cndmask_b32_e64 v20, 0x10000, 0, s4
	v_mov_b32_e32 v8, 0
	v_mov_b32_e32 v6, 0
	;; [unrolled: 1-line block ×9, first 2 shown]
	s_mov_b32 s7, 0
                                        ; implicit-def: $sgpr4
                                        ; implicit-def: $vgpr7
	s_and_saveexec_b32 s6, vcc_lo
	s_cbranch_execz .LBB280_58
; %bb.45:
	v_add_nc_u32_e32 v5, 3, v29
	v_cmp_eq_u16_sdwa s4, v11, v12 src0_sel:WORD_1 src1_sel:DWORD
	v_mov_b32_e32 v26, 0
	v_mov_b32_e32 v25, 0
	;; [unrolled: 1-line block ×3, first 2 shown]
	v_cmp_gt_u32_e32 vcc_lo, s40, v5
	v_cndmask_b32_e64 v11, 0x10000, 0, s4
	v_mov_b32_e32 v6, 0
	v_mov_b32_e32 v5, 0
	;; [unrolled: 1-line block ×7, first 2 shown]
	s_mov_b32 s8, 0
                                        ; implicit-def: $sgpr4
                                        ; implicit-def: $vgpr7
	s_and_saveexec_b32 s7, vcc_lo
	s_cbranch_execz .LBB280_57
; %bb.46:
	v_add_nc_u32_e32 v5, 4, v29
	v_cmp_eq_u16_sdwa s4, v12, v12 src0_sel:DWORD src1_sel:WORD_1
	v_mov_b32_e32 v25, 0
	v_mov_b32_e32 v8, 0
	;; [unrolled: 1-line block ×3, first 2 shown]
	v_cmp_gt_u32_e32 vcc_lo, s40, v5
	v_cndmask_b32_e64 v17, 0x10000, 0, s4
	v_mov_b32_e32 v5, 0
	v_mov_b32_e32 v16, 0
	;; [unrolled: 1-line block ×5, first 2 shown]
	s_mov_b32 s9, 0
                                        ; implicit-def: $sgpr4
                                        ; implicit-def: $vgpr7
	s_and_saveexec_b32 s8, vcc_lo
	s_cbranch_execz .LBB280_56
; %bb.47:
	v_add_nc_u32_e32 v5, 5, v29
	v_cmp_eq_u16_sdwa s4, v12, v9 src0_sel:WORD_1 src1_sel:DWORD
	v_mov_b32_e32 v8, 0
	v_mov_b32_e32 v6, 0
	;; [unrolled: 1-line block ×3, first 2 shown]
	v_cmp_gt_u32_e32 vcc_lo, s40, v5
	v_cndmask_b32_e64 v12, 0x10000, 0, s4
	v_mov_b32_e32 v5, 0
	v_mov_b32_e32 v14, 0
	;; [unrolled: 1-line block ×3, first 2 shown]
	s_mov_b32 s10, 0
                                        ; implicit-def: $sgpr4
                                        ; implicit-def: $vgpr7
	s_and_saveexec_b32 s9, vcc_lo
	s_cbranch_execz .LBB280_55
; %bb.48:
	v_add_nc_u32_e32 v7, 6, v29
	v_cmp_eq_u16_sdwa s4, v9, v9 src0_sel:DWORD src1_sel:WORD_1
	v_mov_b32_e32 v6, 0
	v_mov_b32_e32 v5, 0
	;; [unrolled: 1-line block ×3, first 2 shown]
	v_cmp_gt_u32_e32 vcc_lo, s40, v7
	v_cndmask_b32_e64 v8, 0x10000, 0, s4
	v_mov_b32_e32 v13, 0
	s_mov_b32 s11, 0
                                        ; implicit-def: $sgpr4
                                        ; implicit-def: $vgpr7
	s_and_saveexec_b32 s10, vcc_lo
	s_cbranch_execz .LBB280_54
; %bb.49:
	v_add_nc_u32_e32 v7, 7, v29
	v_cmp_eq_u16_sdwa s4, v9, v10 src0_sel:WORD_1 src1_sel:DWORD
	v_mov_b32_e32 v5, 0
	v_mov_b32_e32 v13, 0
	s_mov_b32 s16, 0
	v_cmp_gt_u32_e32 vcc_lo, s40, v7
	v_cndmask_b32_e64 v6, 0x10000, 0, s4
                                        ; implicit-def: $sgpr4
                                        ; implicit-def: $vgpr7
	s_and_saveexec_b32 s11, vcc_lo
	s_cbranch_execz .LBB280_53
; %bb.50:
	v_add_nc_u32_e32 v7, 8, v29
	v_cmp_eq_u16_sdwa s4, v10, v10 src0_sel:DWORD src1_sel:WORD_1
	v_mov_b32_e32 v13, 0
	v_cmp_gt_u32_e32 vcc_lo, s40, v7
	v_cndmask_b32_e64 v5, 0x10000, 0, s4
                                        ; implicit-def: $sgpr4
                                        ; implicit-def: $vgpr7
	s_and_saveexec_b32 s17, vcc_lo
	s_xor_b32 s17, exec_lo, s17
	s_cbranch_execz .LBB280_52
; %bb.51:
	ds_read_u16 v7, v23 offset:18
	v_cmp_eq_u16_sdwa s4, v10, v22 src0_sel:WORD_1 src1_sel:DWORD
	v_add_nc_u32_e32 v9, 9, v29
	v_cndmask_b32_e64 v10, 0x10000, 0, s4
	v_cmp_gt_u32_e32 vcc_lo, s40, v9
	v_cmp_ne_u16_e64 s4, v22, v24
	s_waitcnt lgkmcnt(1)
	v_or_b32_sdwa v13, v10, v4 dst_sel:DWORD dst_unused:UNUSED_PAD src0_sel:DWORD src1_sel:WORD_1
	s_and_b32 s16, vcc_lo, exec_lo
.LBB280_52:
	s_or_b32 exec_lo, exec_lo, s17
	s_waitcnt lgkmcnt(0)
	v_and_or_b32 v5, 0xffff, v4, v5
	s_and_b32 s16, s16, exec_lo
.LBB280_53:
	s_or_b32 exec_lo, exec_lo, s11
	s_waitcnt lgkmcnt(0)
	v_or_b32_sdwa v6, v6, v3 dst_sel:DWORD dst_unused:UNUSED_PAD src0_sel:DWORD src1_sel:WORD_1
	v_mov_b32_e32 v14, v5
	s_and_b32 s11, s16, exec_lo
.LBB280_54:
	s_or_b32 exec_lo, exec_lo, s10
	s_waitcnt lgkmcnt(0)
	v_and_or_b32 v8, 0xffff, v3, v8
	v_mov_b32_e32 v15, v6
	s_and_b32 s10, s11, exec_lo
.LBB280_55:
	s_or_b32 exec_lo, exec_lo, s9
	s_waitcnt lgkmcnt(0)
	v_or_b32_sdwa v25, v12, v2 dst_sel:DWORD dst_unused:UNUSED_PAD src0_sel:DWORD src1_sel:WORD_1
	v_mov_b32_e32 v16, v8
	s_and_b32 s9, s10, exec_lo
.LBB280_56:
	s_or_b32 exec_lo, exec_lo, s8
	s_waitcnt lgkmcnt(0)
	v_and_or_b32 v26, 0xffff, v2, v17
	v_mov_b32_e32 v17, v25
	s_and_b32 s8, s9, exec_lo
.LBB280_57:
	s_or_b32 exec_lo, exec_lo, s7
	s_waitcnt lgkmcnt(0)
	v_or_b32_sdwa v27, v11, v1 dst_sel:DWORD dst_unused:UNUSED_PAD src0_sel:DWORD src1_sel:WORD_1
	v_mov_b32_e32 v19, v26
	s_and_b32 s7, s8, exec_lo
.LBB280_58:
	s_or_b32 exec_lo, exec_lo, s6
	s_waitcnt lgkmcnt(0)
	v_and_or_b32 v1, 0xffff, v1, v20
	v_mov_b32_e32 v20, v27
	s_and_b32 s6, s7, exec_lo
.LBB280_59:
	s_or_b32 exec_lo, exec_lo, s3
	s_waitcnt lgkmcnt(0)
	v_or_b32_e32 v18, v21, v18
	v_mov_b32_e32 v21, v1
	s_and_b32 s3, s6, exec_lo
.LBB280_60:
	s_or_b32 exec_lo, exec_lo, s5
	v_lshlrev_b32_e32 v9, 1, v0
	s_and_b32 vcc_lo, exec_lo, s2
	s_cbranch_vccnz .LBB280_62
	s_branch .LBB280_70
.LBB280_61:
                                        ; implicit-def: $sgpr4
                                        ; implicit-def: $vgpr7
                                        ; implicit-def: $vgpr18
                                        ; implicit-def: $vgpr1
                                        ; implicit-def: $vgpr27
                                        ; implicit-def: $vgpr26
                                        ; implicit-def: $vgpr25
                                        ; implicit-def: $vgpr8
                                        ; implicit-def: $vgpr6
                                        ; implicit-def: $vgpr5
                                        ; implicit-def: $vgpr21
                                        ; implicit-def: $vgpr20
                                        ; implicit-def: $vgpr19
                                        ; implicit-def: $vgpr17
                                        ; implicit-def: $vgpr16
                                        ; implicit-def: $vgpr15
                                        ; implicit-def: $vgpr14
                                        ; implicit-def: $vgpr13
	v_lshlrev_b32_e32 v9, 1, v0
	s_cbranch_execz .LBB280_70
.LBB280_62:
	v_add_co_u32 v1, s2, s20, v9
	v_add_co_ci_u32_e64 v2, null, s21, 0, s2
	v_mad_u32_u24 v6, v0, 18, v9
	s_cmp_eq_u64 s[34:35], 0
	s_clause 0x9
	flat_load_ushort v3, v[1:2]
	flat_load_ushort v4, v[1:2] offset:128
	flat_load_ushort v5, v[1:2] offset:256
	;; [unrolled: 1-line block ×9, first 2 shown]
	s_waitcnt vmcnt(9) lgkmcnt(9)
	ds_write_b16 v9, v3
	s_waitcnt vmcnt(8) lgkmcnt(9)
	ds_write_b16 v9, v4 offset:128
	s_waitcnt vmcnt(7) lgkmcnt(9)
	ds_write_b16 v9, v5 offset:256
	;; [unrolled: 2-line block ×9, first 2 shown]
	s_waitcnt lgkmcnt(0)
	s_barrier
	buffer_gl0_inv
	ds_read2_b32 v[3:4], v6 offset1:1
	ds_read2_b32 v[1:2], v6 offset0:2 offset1:3
	ds_read_b32 v5, v6 offset:16
	s_cbranch_scc1 .LBB280_67
; %bb.63:
	s_andn2_b32 vcc_lo, exec_lo, s39
	s_cbranch_vccnz .LBB280_202
; %bb.64:
	s_lshl_b64 s[2:3], s[34:35], 1
	s_add_u32 s2, s22, s2
	s_addc_u32 s3, s23, s3
	s_add_u32 s2, s2, -2
	s_addc_u32 s3, s3, -1
	s_cbranch_execnz .LBB280_66
.LBB280_65:
	s_add_u32 s2, s20, -2
	s_addc_u32 s3, s21, -1
.LBB280_66:
	s_mov_b64 s[20:21], s[2:3]
.LBB280_67:
	v_mov_b32_e32 v7, s20
	v_mov_b32_e32 v8, s21
	v_mad_i32_i24 v10, 0xffffffee, v0, v6
	flat_load_ushort v8, v[7:8]
	s_waitcnt lgkmcnt(1)
	v_lshrrev_b32_e32 v7, 16, v5
	ds_write_b16 v10, v7 offset:1280
	s_waitcnt vmcnt(0) lgkmcnt(0)
	s_barrier
	buffer_gl0_inv
	s_and_saveexec_b32 s2, s1
; %bb.68:
	v_mul_i32_i24_e32 v8, 0xffffffee, v0
	v_add_nc_u32_e32 v8, v6, v8
	ds_read_u16 v8, v8 offset:1278
; %bb.69:
	s_or_b32 exec_lo, exec_lo, s2
	v_add_co_u32 v10, s2, s37, v9
	v_add_co_ci_u32_e64 v11, null, s38, 0, s2
	s_waitcnt lgkmcnt(0)
	s_barrier
	buffer_gl0_inv
	s_clause 0x9
	flat_load_ushort v12, v[10:11]
	flat_load_ushort v13, v[10:11] offset:128
	flat_load_ushort v14, v[10:11] offset:256
	;; [unrolled: 1-line block ×9, first 2 shown]
	v_cmp_eq_u16_sdwa s2, v3, v3 src0_sel:DWORD src1_sel:WORD_1
	v_cmp_eq_u16_e32 vcc_lo, v8, v3
	v_cmp_ne_u16_e64 s4, v5, v7
	s_mov_b32 s3, -1
	s_waitcnt vmcnt(9) lgkmcnt(9)
	ds_write_b16 v9, v12
	s_waitcnt vmcnt(8) lgkmcnt(9)
	ds_write_b16 v9, v13 offset:128
	s_waitcnt vmcnt(7) lgkmcnt(9)
	ds_write_b16 v9, v14 offset:256
	;; [unrolled: 2-line block ×9, first 2 shown]
	v_cndmask_b32_e64 v8, 0x10000, 0, s2
	v_cmp_eq_u16_sdwa s2, v3, v4 src0_sel:WORD_1 src1_sel:DWORD
	s_waitcnt lgkmcnt(0)
	s_barrier
	buffer_gl0_inv
	ds_read2_b32 v[10:11], v6 offset1:1
	ds_read2_b32 v[12:13], v6 offset0:2 offset1:3
	ds_read_b32 v14, v6 offset:16
	v_cndmask_b32_e64 v3, 0x10000, 0, s2
	v_cmp_eq_u16_sdwa s2, v4, v4 src0_sel:DWORD src1_sel:WORD_1
	v_cndmask_b32_e64 v6, 0x10000, 0, vcc_lo
	v_cndmask_b32_e64 v15, 0x10000, 0, s2
	v_cmp_eq_u16_sdwa s2, v4, v1 src0_sel:WORD_1 src1_sel:DWORD
	v_cndmask_b32_e64 v4, 0x10000, 0, s2
	v_cmp_eq_u16_sdwa s2, v1, v1 src0_sel:DWORD src1_sel:WORD_1
	s_waitcnt lgkmcnt(2)
	v_and_or_b32 v18, 0xffff, v10, v6
	v_cndmask_b32_e64 v16, 0x10000, 0, s2
	v_cmp_eq_u16_sdwa s2, v1, v2 src0_sel:WORD_1 src1_sel:DWORD
	v_or_b32_sdwa v1, v8, v10 dst_sel:DWORD dst_unused:UNUSED_PAD src0_sel:DWORD src1_sel:WORD_1
	v_and_or_b32 v27, 0xffff, v11, v3
	v_or_b32_sdwa v26, v15, v11 dst_sel:DWORD dst_unused:UNUSED_PAD src0_sel:DWORD src1_sel:WORD_1
	s_waitcnt lgkmcnt(1)
	v_and_or_b32 v25, 0xffff, v12, v4
	v_cndmask_b32_e64 v17, 0x10000, 0, s2
	v_cmp_eq_u16_sdwa s2, v2, v2 src0_sel:DWORD src1_sel:WORD_1
	v_or_b32_sdwa v8, v16, v12 dst_sel:DWORD dst_unused:UNUSED_PAD src0_sel:DWORD src1_sel:WORD_1
	s_waitcnt lgkmcnt(0)
	v_lshrrev_b32_e32 v7, 16, v14
	v_mov_b32_e32 v21, v1
	v_and_or_b32 v6, 0xffff, v13, v17
	v_cndmask_b32_e64 v19, 0x10000, 0, s2
	v_cmp_eq_u16_sdwa s2, v2, v5 src0_sel:WORD_1 src1_sel:DWORD
	v_mov_b32_e32 v20, v27
	v_mov_b32_e32 v17, v25
	;; [unrolled: 1-line block ×3, first 2 shown]
	v_or_b32_sdwa v5, v19, v13 dst_sel:DWORD dst_unused:UNUSED_PAD src0_sel:DWORD src1_sel:WORD_1
	v_cndmask_b32_e64 v2, 0x10000, 0, s2
	v_mov_b32_e32 v19, v26
	v_mov_b32_e32 v15, v6
	v_and_or_b32 v13, 0xffff, v14, v2
	v_mov_b32_e32 v14, v5
.LBB280_70:
	v_mov_b32_e32 v10, 0
	s_and_saveexec_b32 s2, s3
	s_cbranch_execz .LBB280_72
; %bb.71:
	v_cndmask_b32_e64 v2, 0, 0x10000, s4
	v_mov_b32_e32 v14, v5
	v_mov_b32_e32 v15, v6
	;; [unrolled: 1-line block ×4, first 2 shown]
	v_or_b32_sdwa v10, v2, v7 dst_sel:DWORD dst_unused:UNUSED_PAD src0_sel:DWORD src1_sel:WORD_0
	v_mov_b32_e32 v19, v26
	v_mov_b32_e32 v20, v27
	;; [unrolled: 1-line block ×3, first 2 shown]
.LBB280_72:
	s_or_b32 exec_lo, exec_lo, s2
	v_or3_b32 v1, v14, v13, v15
	v_cmp_gt_u32_e64 s10, 0x10000, v21
	v_cmp_gt_u32_e64 s9, 0x10000, v20
	;; [unrolled: 1-line block ×8, first 2 shown]
	v_or3_b32 v12, v1, v16, v17
	v_cmp_gt_u32_e64 s3, 0x10000, v10
	v_lshrrev_b32_e32 v11, 3, v0
	s_cmp_lg_u32 s36, 0
	v_cmp_gt_u32_e32 vcc_lo, 32, v0
	s_barrier
	buffer_gl0_inv
	s_cbranch_scc0 .LBB280_122
; %bb.73:
	v_cndmask_b32_e64 v1, 0, v18, s10
	v_or3_b32 v2, v12, v19, v20
	v_and_b32_e32 v3, 4, v11
	v_lshrrev_b32_e32 v22, 16, v18
	v_add_nc_u16 v1, v1, v21
	v_or3_b32 v2, v2, v21, v10
	v_lshl_add_u32 v3, v0, 2, v3
	v_cndmask_b32_e64 v1, 0, v1, s9
	v_and_b32_e32 v2, 0xff0000, v2
	v_add_nc_u16 v1, v1, v20
	v_cmp_eq_u32_e64 s11, 0, v2
	v_cndmask_b32_e64 v1, 0, v1, s8
	v_cndmask_b32_e64 v23, 1, v22, s11
	v_add_nc_u16 v1, v1, v19
	v_cndmask_b32_e64 v1, 0, v1, s7
	v_add_nc_u16 v1, v1, v17
	;; [unrolled: 2-line block ×7, first 2 shown]
	ds_write_b8 v3, v23 offset:2
	ds_write_b16 v3, v24
	s_waitcnt lgkmcnt(0)
	s_barrier
	buffer_gl0_inv
	s_and_saveexec_b32 s16, vcc_lo
	s_cbranch_execz .LBB280_85
; %bb.74:
	v_lshrrev_b32_e32 v1, 2, v0
	v_lshlrev_b32_e32 v2, 3, v0
	s_mov_b32 s17, exec_lo
	v_and_b32_e32 v1, 12, v1
	v_add_nc_u32_e32 v1, v1, v2
	ds_read_u8 v3, v1 offset:6
	ds_read_b32 v2, v1
	ds_read_u16 v4, v1 offset:4
	s_waitcnt lgkmcnt(2)
	v_cmp_eq_u16_e64 s11, 0, v3
	v_and_b32_e32 v6, 1, v3
	s_waitcnt lgkmcnt(1)
	v_and_b32_e32 v3, 0x10000, v2
	v_cndmask_b32_e64 v5, 0, v2, s11
	v_cmp_eq_u32_e64 s11, 1, v6
	v_mbcnt_lo_u32_b32 v6, -1, 0
	s_waitcnt lgkmcnt(0)
	v_add_nc_u16 v5, v5, v4
	v_and_b32_e32 v4, 0xff000000, v2
	v_cndmask_b32_e64 v7, v3, 0x10000, s11
	v_and_b32_e32 v8, 0xffff, v5
	v_or_b32_e32 v25, v7, v4
	v_or3_b32 v26, v4, v8, v7
	v_and_b32_e32 v7, 15, v6
	v_lshrrev_b32_e32 v8, 16, v25
	v_mov_b32_dpp v27, v26 row_shr:1 row_mask:0xf bank_mask:0xf
	v_cmpx_ne_u32_e32 0, v7
	s_cbranch_execz .LBB280_76
; %bb.75:
	v_mov_b32_e32 v8, 0xff
	v_mov_b32_e32 v26, 1
	v_and_b32_sdwa v8, v25, v8 dst_sel:DWORD dst_unused:UNUSED_PAD src0_sel:WORD_1 src1_sel:DWORD
	v_and_b32_e32 v25, 0x10000, v25
	v_and_b32_sdwa v26, v27, v26 dst_sel:DWORD dst_unused:UNUSED_PAD src0_sel:WORD_1 src1_sel:DWORD
	v_cmp_eq_u16_e64 s11, 0, v8
	v_cndmask_b32_e64 v27, 0, v27, s11
	v_cmp_ne_u32_e64 s11, 0, v25
	v_add_nc_u16 v5, v27, v5
	v_cndmask_b32_e64 v8, v26, 1, s11
	v_and_b32_e32 v26, 0xffff, v5
	v_lshlrev_b32_e32 v25, 16, v8
	v_or3_b32 v26, v25, v26, v4
.LBB280_76:
	s_or_b32 exec_lo, exec_lo, s17
	v_lshrrev_b32_e32 v25, 16, v26
	v_mov_b32_dpp v27, v26 row_shr:2 row_mask:0xf bank_mask:0xf
	s_mov_b32 s17, exec_lo
	v_cmpx_lt_u32_e32 1, v7
	s_cbranch_execz .LBB280_78
; %bb.77:
	v_mov_b32_e32 v28, 0
	v_mov_b32_e32 v8, 1
	v_and_b32_e32 v26, 0x10000, v26
	v_cmp_eq_u16_sdwa s11, v25, v28 src0_sel:BYTE_0 src1_sel:DWORD
	v_and_b32_sdwa v8, v27, v8 dst_sel:DWORD dst_unused:UNUSED_PAD src0_sel:WORD_1 src1_sel:DWORD
	v_cndmask_b32_e64 v25, 0, v27, s11
	v_cmp_ne_u32_e64 s11, 0, v26
	v_add_nc_u16 v5, v25, v5
	v_cndmask_b32_e64 v8, v8, 1, s11
	v_and_b32_e32 v26, 0xffff, v5
	v_lshlrev_b32_e32 v25, 16, v8
	v_or3_b32 v26, v25, v26, v4
	v_mov_b32_e32 v25, v8
.LBB280_78:
	s_or_b32 exec_lo, exec_lo, s17
	v_mov_b32_dpp v27, v26 row_shr:4 row_mask:0xf bank_mask:0xf
	s_mov_b32 s17, exec_lo
	v_cmpx_lt_u32_e32 3, v7
	s_cbranch_execz .LBB280_80
; %bb.79:
	v_mov_b32_e32 v26, 0
	v_mov_b32_e32 v8, 1
	v_and_b32_e32 v28, 1, v25
	v_cmp_eq_u16_sdwa s11, v25, v26 src0_sel:BYTE_0 src1_sel:DWORD
	v_and_b32_sdwa v8, v27, v8 dst_sel:DWORD dst_unused:UNUSED_PAD src0_sel:WORD_1 src1_sel:DWORD
	v_cndmask_b32_e64 v25, 0, v27, s11
	v_cmp_eq_u32_e64 s11, 1, v28
	v_add_nc_u16 v5, v25, v5
	v_cndmask_b32_e64 v8, v8, 1, s11
	v_and_b32_e32 v26, 0xffff, v5
	v_lshlrev_b32_e32 v25, 16, v8
	v_or3_b32 v26, v25, v26, v4
	v_mov_b32_e32 v25, v8
.LBB280_80:
	s_or_b32 exec_lo, exec_lo, s17
	v_mov_b32_dpp v27, v26 row_shr:8 row_mask:0xf bank_mask:0xf
	s_mov_b32 s17, exec_lo
	v_cmpx_lt_u32_e32 7, v7
	s_cbranch_execz .LBB280_82
; %bb.81:
	v_mov_b32_e32 v8, 0
	v_mov_b32_e32 v7, 1
	v_and_b32_e32 v26, 1, v25
	v_cmp_eq_u16_sdwa s11, v25, v8 src0_sel:BYTE_0 src1_sel:DWORD
	v_and_b32_sdwa v7, v27, v7 dst_sel:DWORD dst_unused:UNUSED_PAD src0_sel:WORD_1 src1_sel:DWORD
	v_cndmask_b32_e64 v25, 0, v27, s11
	v_cmp_eq_u32_e64 s11, 1, v26
	v_add_nc_u16 v5, v25, v5
	v_cndmask_b32_e64 v8, v7, 1, s11
	v_and_b32_e32 v25, 0xffff, v5
	v_lshlrev_b32_e32 v7, 16, v8
	v_or3_b32 v26, v7, v25, v4
	v_mov_b32_e32 v25, v8
.LBB280_82:
	s_or_b32 exec_lo, exec_lo, s17
	ds_swizzle_b32 v7, v26 offset:swizzle(BROADCAST,32,15)
	v_and_b32_e32 v26, 16, v6
	s_mov_b32 s17, exec_lo
	v_cmpx_ne_u32_e32 0, v26
	s_cbranch_execz .LBB280_84
; %bb.83:
	v_mov_b32_e32 v8, 0
	v_mov_b32_e32 v26, 1
	v_cmp_eq_u16_sdwa s11, v25, v8 src0_sel:BYTE_0 src1_sel:DWORD
	v_and_b32_e32 v25, 1, v25
	s_waitcnt lgkmcnt(0)
	v_cndmask_b32_e64 v8, 0, v7, s11
	v_and_b32_sdwa v7, v7, v26 dst_sel:DWORD dst_unused:UNUSED_PAD src0_sel:WORD_1 src1_sel:DWORD
	v_cmp_eq_u32_e64 s11, 1, v25
	v_add_nc_u16 v5, v8, v5
	v_cndmask_b32_e64 v8, v7, 1, s11
.LBB280_84:
	s_or_b32 exec_lo, exec_lo, s17
	s_waitcnt lgkmcnt(0)
	v_and_b32_e32 v7, 0xff, v8
	v_add_nc_u32_e32 v8, -1, v6
	v_and_b32_e32 v5, 0xffff, v5
	; wave barrier
	v_lshlrev_b32_e32 v7, 16, v7
	v_cmp_gt_i32_e64 s11, 0, v8
	v_or3_b32 v4, v7, v5, v4
	v_cndmask_b32_e64 v6, v8, v6, s11
	v_lshlrev_b32_e32 v5, 2, v6
	v_mov_b32_e32 v6, 1
	ds_bpermute_b32 v4, v5, v4
	v_and_b32_e32 v5, 0xff0000, v2
	v_cmp_eq_u32_e64 s11, 0, v5
	s_waitcnt lgkmcnt(0)
	v_cndmask_b32_e64 v5, 0, v4, s11
	v_and_b32_sdwa v4, v4, v6 dst_sel:DWORD dst_unused:UNUSED_PAD src0_sel:WORD_1 src1_sel:DWORD
	v_cmp_eq_u32_e64 s11, 0, v3
	v_add_nc_u16 v2, v5, v2
	v_cndmask_b32_e64 v3, 1, v4, s11
	v_cndmask_b32_e64 v2, v2, v24, s0
	;; [unrolled: 1-line block ×3, first 2 shown]
	ds_write_b16 v1, v2
	ds_write_b8 v1, v3 offset:2
	; wave barrier
	ds_read_u8 v4, v1 offset:6
	ds_read_u16 v5, v1 offset:4
	s_waitcnt lgkmcnt(1)
	v_cmp_eq_u16_e64 s11, 0, v4
	v_and_b32_e32 v4, 1, v4
	v_cndmask_b32_e64 v2, 0, v2, s11
	v_cmp_eq_u32_e64 s11, 1, v4
	s_waitcnt lgkmcnt(0)
	v_add_nc_u16 v2, v2, v5
	v_cndmask_b32_e64 v3, v3, 1, s11
	ds_write_b16 v1, v2 offset:4
	ds_write_b8 v1, v3 offset:6
.LBB280_85:
	s_or_b32 exec_lo, exec_lo, s16
	s_waitcnt lgkmcnt(0)
	s_barrier
	buffer_gl0_inv
	s_and_saveexec_b32 s11, s1
	s_cbranch_execz .LBB280_87
; %bb.86:
	v_add_nc_u32_e32 v1, -1, v0
	v_lshrrev_b32_e32 v2, 3, v1
	v_and_b32_e32 v2, 0x1ffffffc, v2
	v_lshl_add_u32 v1, v1, 2, v2
	ds_read_u16 v24, v1
	ds_read_u8 v23, v1 offset:2
.LBB280_87:
	s_or_b32 exec_lo, exec_lo, s11
	s_and_saveexec_b32 s20, vcc_lo
	s_cbranch_execz .LBB280_127
; %bb.88:
	v_mov_b32_e32 v6, 0
	v_mbcnt_lo_u32_b32 v25, -1, 0
	s_mov_b32 s17, 0
	ds_read_b32 v1, v6 offset:256
	v_cmp_eq_u32_e64 s11, 0, v25
	s_and_saveexec_b32 s21, s11
	s_cbranch_execz .LBB280_90
; %bb.89:
	s_add_i32 s16, s36, 32
	v_mov_b32_e32 v2, 1
	s_lshl_b64 s[16:17], s[16:17], 3
	s_add_u32 s16, s24, s16
	s_addc_u32 s17, s25, s17
	s_waitcnt lgkmcnt(0)
	global_store_dwordx2 v6, v[1:2], s[16:17]
.LBB280_90:
	s_or_b32 exec_lo, exec_lo, s21
	v_xad_u32 v2, v25, -1, s36
	v_add_nc_u32_e32 v5, 32, v2
	v_lshlrev_b64 v[3:4], 3, v[5:6]
	v_add_co_u32 v7, vcc_lo, s24, v3
	v_add_co_ci_u32_e64 v8, null, s25, v4, vcc_lo
	global_load_dwordx2 v[4:5], v[7:8], off glc dlc
	s_waitcnt vmcnt(0)
	v_cmp_eq_u16_sdwa s17, v5, v6 src0_sel:BYTE_0 src1_sel:DWORD
	s_and_saveexec_b32 s16, s17
	s_cbranch_execz .LBB280_94
; %bb.91:
	v_mov_b32_e32 v3, 0
	s_mov_b32 s17, 0
.LBB280_92:                             ; =>This Inner Loop Header: Depth=1
	global_load_dwordx2 v[4:5], v[7:8], off glc dlc
	s_waitcnt vmcnt(0)
	v_cmp_ne_u16_sdwa s21, v5, v3 src0_sel:BYTE_0 src1_sel:DWORD
	s_or_b32 s17, s21, s17
	s_andn2_b32 exec_lo, exec_lo, s17
	s_cbranch_execnz .LBB280_92
; %bb.93:
	s_or_b32 exec_lo, exec_lo, s17
.LBB280_94:
	s_or_b32 exec_lo, exec_lo, s16
	v_cmp_ne_u32_e32 vcc_lo, 31, v25
	v_and_b32_e32 v33, 0xffffff, v4
	v_mov_b32_e32 v6, 2
	v_lshlrev_b32_e64 v26, v25, -1
	v_bfe_u32 v7, v4, 16, 8
	v_add_co_ci_u32_e64 v3, null, 0, v25, vcc_lo
	v_cmp_eq_u16_sdwa s16, v5, v6 src0_sel:BYTE_0 src1_sel:DWORD
	v_lshrrev_b32_e32 v6, 16, v4
	v_lshlrev_b32_e32 v8, 2, v3
	v_and_or_b32 v3, s16, v26, 0x80000000
	s_mov_b32 s16, exec_lo
	ds_bpermute_b32 v27, v8, v33
	v_ffbl_b32_e32 v3, v3
	v_cmpx_lt_u32_e64 v25, v3
	s_cbranch_execz .LBB280_96
; %bb.95:
	v_and_b32_e32 v6, 0xff0000, v4
	v_mov_b32_e32 v7, 1
	v_and_b32_e32 v28, 0x10000, v6
	v_cmp_eq_u32_e32 vcc_lo, 0, v6
	s_waitcnt lgkmcnt(0)
	v_and_b32_sdwa v7, v27, v7 dst_sel:DWORD dst_unused:UNUSED_PAD src0_sel:WORD_1 src1_sel:DWORD
	v_cndmask_b32_e32 v27, 0, v27, vcc_lo
	v_cmp_ne_u32_e32 vcc_lo, 0, v28
	v_add_nc_u16 v4, v27, v4
	v_cndmask_b32_e64 v6, v7, 1, vcc_lo
	v_lshlrev_b32_e32 v7, 16, v6
	v_or_b32_sdwa v33, v7, v4 dst_sel:DWORD dst_unused:UNUSED_PAD src0_sel:DWORD src1_sel:WORD_0
	v_mov_b32_e32 v7, v6
.LBB280_96:
	s_or_b32 exec_lo, exec_lo, s16
	v_cmp_gt_u32_e32 vcc_lo, 30, v25
	v_add_nc_u32_e32 v28, 2, v25
	s_mov_b32 s16, exec_lo
	s_waitcnt lgkmcnt(0)
	v_cndmask_b32_e64 v27, 0, 2, vcc_lo
	v_add_lshl_u32 v27, v27, v25, 2
	ds_bpermute_b32 v29, v27, v33
	v_cmpx_le_u32_e64 v28, v3
	s_cbranch_execz .LBB280_98
; %bb.97:
	v_mov_b32_e32 v6, 1
	v_and_b32_e32 v30, 1, v7
	v_cmp_eq_u16_e32 vcc_lo, 0, v7
	s_waitcnt lgkmcnt(0)
	v_and_b32_sdwa v6, v29, v6 dst_sel:DWORD dst_unused:UNUSED_PAD src0_sel:WORD_1 src1_sel:DWORD
	v_cndmask_b32_e32 v7, 0, v29, vcc_lo
	v_cmp_eq_u32_e32 vcc_lo, 1, v30
	v_add_nc_u16 v4, v7, v4
	v_cndmask_b32_e64 v6, v6, 1, vcc_lo
	v_lshlrev_b32_e32 v7, 16, v6
	v_or_b32_sdwa v33, v7, v4 dst_sel:DWORD dst_unused:UNUSED_PAD src0_sel:DWORD src1_sel:WORD_0
	v_mov_b32_e32 v7, v6
.LBB280_98:
	s_or_b32 exec_lo, exec_lo, s16
	v_cmp_gt_u32_e32 vcc_lo, 28, v25
	v_add_nc_u32_e32 v30, 4, v25
	s_mov_b32 s16, exec_lo
	s_waitcnt lgkmcnt(0)
	v_cndmask_b32_e64 v29, 0, 4, vcc_lo
	v_add_lshl_u32 v29, v29, v25, 2
	ds_bpermute_b32 v31, v29, v33
	v_cmpx_le_u32_e64 v30, v3
	s_cbranch_execz .LBB280_100
; %bb.99:
	v_mov_b32_e32 v6, 1
	v_and_b32_e32 v32, 1, v7
	v_cmp_eq_u16_e32 vcc_lo, 0, v7
	s_waitcnt lgkmcnt(0)
	v_and_b32_sdwa v6, v31, v6 dst_sel:DWORD dst_unused:UNUSED_PAD src0_sel:WORD_1 src1_sel:DWORD
	v_cndmask_b32_e32 v7, 0, v31, vcc_lo
	v_cmp_eq_u32_e32 vcc_lo, 1, v32
	v_add_nc_u16 v4, v7, v4
	v_cndmask_b32_e64 v6, v6, 1, vcc_lo
	v_lshlrev_b32_e32 v7, 16, v6
	v_or_b32_sdwa v33, v7, v4 dst_sel:DWORD dst_unused:UNUSED_PAD src0_sel:DWORD src1_sel:WORD_0
	v_mov_b32_e32 v7, v6
.LBB280_100:
	;; [unrolled: 24-line block ×3, first 2 shown]
	s_or_b32 exec_lo, exec_lo, s16
	v_lshl_or_b32 v35, v25, 2, 64
	v_add_nc_u32_e32 v36, 16, v25
	s_mov_b32 s16, exec_lo
	ds_bpermute_b32 v33, v35, v33
	v_cmpx_le_u32_e64 v36, v3
	s_cbranch_execz .LBB280_104
; %bb.103:
	v_mov_b32_e32 v3, 1
	v_cmp_eq_u16_e32 vcc_lo, 0, v7
	v_and_b32_e32 v7, 1, v7
	s_waitcnt lgkmcnt(0)
	v_and_b32_sdwa v3, v33, v3 dst_sel:DWORD dst_unused:UNUSED_PAD src0_sel:WORD_1 src1_sel:DWORD
	v_cndmask_b32_e32 v6, 0, v33, vcc_lo
	v_cmp_eq_u32_e32 vcc_lo, 1, v7
	v_add_nc_u16 v4, v6, v4
	v_cndmask_b32_e64 v6, v3, 1, vcc_lo
.LBB280_104:
	s_or_b32 exec_lo, exec_lo, s16
	v_mov_b32_e32 v3, 0
	v_mov_b32_e32 v37, 2
	;; [unrolled: 1-line block ×3, first 2 shown]
	s_branch .LBB280_107
.LBB280_105:                            ;   in Loop: Header=BB280_107 Depth=1
	s_or_b32 exec_lo, exec_lo, s16
	v_cmp_eq_u16_sdwa vcc_lo, v33, v3 src0_sel:BYTE_0 src1_sel:DWORD
	v_and_b32_e32 v6, 1, v33
	v_and_b32_e32 v7, 1, v7
	v_subrev_nc_u32_e32 v2, 32, v2
	s_mov_b32 s16, 0
	v_cndmask_b32_e32 v4, 0, v4, vcc_lo
	v_cmp_eq_u32_e32 vcc_lo, 1, v6
	v_add_nc_u16 v4, v4, v34
	v_cndmask_b32_e64 v6, v7, 1, vcc_lo
.LBB280_106:                            ;   in Loop: Header=BB280_107 Depth=1
	s_and_b32 vcc_lo, exec_lo, s16
	s_cbranch_vccnz .LBB280_123
.LBB280_107:                            ; =>This Loop Header: Depth=1
                                        ;     Child Loop BB280_110 Depth 2
	v_cmp_ne_u16_sdwa s16, v5, v37 src0_sel:BYTE_0 src1_sel:DWORD
	s_waitcnt lgkmcnt(0)
	v_mov_b32_e32 v33, v6
	v_mov_b32_e32 v34, v4
                                        ; implicit-def: $vgpr6
                                        ; implicit-def: $vgpr4
	s_cmp_lg_u32 s16, exec_lo
	s_mov_b32 s16, -1
	s_cbranch_scc1 .LBB280_106
; %bb.108:                              ;   in Loop: Header=BB280_107 Depth=1
	v_lshlrev_b64 v[4:5], 3, v[2:3]
	v_add_co_u32 v6, vcc_lo, s24, v4
	v_add_co_ci_u32_e64 v7, null, s25, v5, vcc_lo
	global_load_dwordx2 v[4:5], v[6:7], off glc dlc
	s_waitcnt vmcnt(0)
	v_cmp_eq_u16_sdwa s17, v5, v3 src0_sel:BYTE_0 src1_sel:DWORD
	s_and_saveexec_b32 s16, s17
	s_cbranch_execz .LBB280_112
; %bb.109:                              ;   in Loop: Header=BB280_107 Depth=1
	s_mov_b32 s17, 0
.LBB280_110:                            ;   Parent Loop BB280_107 Depth=1
                                        ; =>  This Inner Loop Header: Depth=2
	global_load_dwordx2 v[4:5], v[6:7], off glc dlc
	s_waitcnt vmcnt(0)
	v_cmp_ne_u16_sdwa s21, v5, v3 src0_sel:BYTE_0 src1_sel:DWORD
	s_or_b32 s17, s21, s17
	s_andn2_b32 exec_lo, exec_lo, s17
	s_cbranch_execnz .LBB280_110
; %bb.111:                              ;   in Loop: Header=BB280_107 Depth=1
	s_or_b32 exec_lo, exec_lo, s17
.LBB280_112:                            ;   in Loop: Header=BB280_107 Depth=1
	s_or_b32 exec_lo, exec_lo, s16
	v_and_b32_e32 v40, 0xffffff, v4
	v_cmp_eq_u16_sdwa s16, v5, v37 src0_sel:BYTE_0 src1_sel:DWORD
	v_lshrrev_b32_e32 v7, 16, v4
	v_bfe_u32 v39, v4, 16, 8
	ds_bpermute_b32 v41, v8, v40
	v_and_or_b32 v6, s16, v26, 0x80000000
	s_mov_b32 s16, exec_lo
	v_ffbl_b32_e32 v6, v6
	v_cmpx_lt_u32_e64 v25, v6
	s_cbranch_execz .LBB280_114
; %bb.113:                              ;   in Loop: Header=BB280_107 Depth=1
	v_and_b32_e32 v7, 0xff0000, v4
	s_waitcnt lgkmcnt(0)
	v_and_b32_sdwa v40, v41, v38 dst_sel:DWORD dst_unused:UNUSED_PAD src0_sel:WORD_1 src1_sel:DWORD
	v_and_b32_e32 v39, 0x10000, v7
	v_cmp_eq_u32_e32 vcc_lo, 0, v7
	v_cndmask_b32_e32 v41, 0, v41, vcc_lo
	v_cmp_ne_u32_e32 vcc_lo, 0, v39
	v_add_nc_u16 v4, v41, v4
	v_cndmask_b32_e64 v7, v40, 1, vcc_lo
	v_lshlrev_b32_e32 v39, 16, v7
	v_or_b32_sdwa v40, v39, v4 dst_sel:DWORD dst_unused:UNUSED_PAD src0_sel:DWORD src1_sel:WORD_0
	v_mov_b32_e32 v39, v7
.LBB280_114:                            ;   in Loop: Header=BB280_107 Depth=1
	s_or_b32 exec_lo, exec_lo, s16
	s_waitcnt lgkmcnt(0)
	ds_bpermute_b32 v41, v27, v40
	s_mov_b32 s16, exec_lo
	v_cmpx_le_u32_e64 v28, v6
	s_cbranch_execz .LBB280_116
; %bb.115:                              ;   in Loop: Header=BB280_107 Depth=1
	v_and_b32_e32 v7, 1, v39
	v_cmp_eq_u16_e32 vcc_lo, 0, v39
	s_waitcnt lgkmcnt(0)
	v_and_b32_sdwa v40, v41, v38 dst_sel:DWORD dst_unused:UNUSED_PAD src0_sel:WORD_1 src1_sel:DWORD
	v_cndmask_b32_e32 v39, 0, v41, vcc_lo
	v_cmp_eq_u32_e32 vcc_lo, 1, v7
	v_add_nc_u16 v4, v39, v4
	v_cndmask_b32_e64 v7, v40, 1, vcc_lo
	v_lshlrev_b32_e32 v39, 16, v7
	v_or_b32_sdwa v40, v39, v4 dst_sel:DWORD dst_unused:UNUSED_PAD src0_sel:DWORD src1_sel:WORD_0
	v_mov_b32_e32 v39, v7
.LBB280_116:                            ;   in Loop: Header=BB280_107 Depth=1
	s_or_b32 exec_lo, exec_lo, s16
	s_waitcnt lgkmcnt(0)
	ds_bpermute_b32 v41, v29, v40
	s_mov_b32 s16, exec_lo
	v_cmpx_le_u32_e64 v30, v6
	s_cbranch_execz .LBB280_118
; %bb.117:                              ;   in Loop: Header=BB280_107 Depth=1
	v_and_b32_e32 v7, 1, v39
	v_cmp_eq_u16_e32 vcc_lo, 0, v39
	s_waitcnt lgkmcnt(0)
	v_and_b32_sdwa v40, v41, v38 dst_sel:DWORD dst_unused:UNUSED_PAD src0_sel:WORD_1 src1_sel:DWORD
	v_cndmask_b32_e32 v39, 0, v41, vcc_lo
	v_cmp_eq_u32_e32 vcc_lo, 1, v7
	v_add_nc_u16 v4, v39, v4
	v_cndmask_b32_e64 v7, v40, 1, vcc_lo
	v_lshlrev_b32_e32 v39, 16, v7
	v_or_b32_sdwa v40, v39, v4 dst_sel:DWORD dst_unused:UNUSED_PAD src0_sel:DWORD src1_sel:WORD_0
	v_mov_b32_e32 v39, v7
.LBB280_118:                            ;   in Loop: Header=BB280_107 Depth=1
	;; [unrolled: 19-line block ×3, first 2 shown]
	s_or_b32 exec_lo, exec_lo, s16
	ds_bpermute_b32 v40, v35, v40
	s_mov_b32 s16, exec_lo
	v_cmpx_le_u32_e64 v36, v6
	s_cbranch_execz .LBB280_105
; %bb.121:                              ;   in Loop: Header=BB280_107 Depth=1
	v_cmp_eq_u16_e32 vcc_lo, 0, v39
	v_and_b32_e32 v7, 1, v39
	s_waitcnt lgkmcnt(0)
	v_lshrrev_b32_e32 v39, 16, v40
	v_cndmask_b32_e32 v6, 0, v40, vcc_lo
	v_cmp_eq_u32_e32 vcc_lo, 1, v7
	v_add_nc_u16 v4, v6, v4
	v_cndmask_b32_e64 v7, v39, 1, vcc_lo
	s_branch .LBB280_105
.LBB280_122:
                                        ; implicit-def: $vgpr25
                                        ; implicit-def: $vgpr3
                                        ; implicit-def: $vgpr4
                                        ; implicit-def: $vgpr5
                                        ; implicit-def: $vgpr6
                                        ; implicit-def: $vgpr7
                                        ; implicit-def: $vgpr8
                                        ; implicit-def: $vgpr22
                                        ; implicit-def: $vgpr23
                                        ; implicit-def: $vgpr24
	s_cbranch_execnz .LBB280_128
	s_branch .LBB280_147
.LBB280_123:
	s_and_saveexec_b32 s16, s11
	s_cbranch_execz .LBB280_125
; %bb.124:
	v_and_b32_e32 v2, 0xff0000, v1
	v_mov_b32_e32 v3, 1
	v_and_b32_e32 v4, 0x10000, v1
	s_mov_b32 s23, 0
	s_add_i32 s22, s36, 32
	v_cmp_eq_u32_e32 vcc_lo, 0, v2
	v_and_b32_sdwa v3, v33, v3 dst_sel:WORD_1 dst_unused:UNUSED_PAD src0_sel:DWORD src1_sel:DWORD
	s_lshl_b64 s[22:23], s[22:23], 3
	s_add_u32 s22, s24, s22
	v_cndmask_b32_e32 v2, 0, v34, vcc_lo
	v_cmp_eq_u32_e32 vcc_lo, 0, v4
	s_addc_u32 s23, s25, s23
	v_add_nc_u16 v1, v2, v1
	v_cndmask_b32_e32 v2, 0x10000, v3, vcc_lo
	v_mov_b32_e32 v3, 0
	v_or_b32_sdwa v1, v2, v1 dst_sel:DWORD dst_unused:UNUSED_PAD src0_sel:DWORD src1_sel:WORD_0
	v_mov_b32_e32 v2, 2
	global_store_dwordx2 v3, v[1:2], s[22:23]
.LBB280_125:
	s_or_b32 exec_lo, exec_lo, s16
	s_and_b32 exec_lo, exec_lo, s0
	s_cbranch_execz .LBB280_127
; %bb.126:
	v_mov_b32_e32 v1, 0
	ds_write_b16 v1, v34
	ds_write_b8 v1, v33 offset:2
.LBB280_127:
	s_or_b32 exec_lo, exec_lo, s20
	v_mov_b32_e32 v1, 0
	v_and_b32_e32 v3, 0x10000, v18
	v_cmp_gt_u32_e32 vcc_lo, 0x10000, v18
	s_waitcnt lgkmcnt(0)
	s_waitcnt_vscnt null, 0x0
	s_barrier
	buffer_gl0_inv
	ds_read_b32 v2, v1
	v_cndmask_b32_e32 v4, 0, v24, vcc_lo
	v_cmp_ne_u32_e32 vcc_lo, 0, v3
	v_cndmask_b32_e64 v4, v4, 0, s0
	v_cndmask_b32_e64 v3, v23, 1, vcc_lo
	v_add_nc_u16 v4, v4, v18
	v_cndmask_b32_e64 v3, v3, v22, s0
	v_cmp_eq_u16_sdwa vcc_lo, v3, v1 src0_sel:BYTE_0 src1_sel:DWORD
	s_waitcnt lgkmcnt(0)
	v_cndmask_b32_e32 v1, 0, v2, vcc_lo
	v_add_nc_u16 v1, v4, v1
	v_cndmask_b32_e64 v2, 0, v1, s10
	v_and_b32_e32 v25, 0xffff, v1
	v_add_nc_u16 v3, v2, v21
	v_cndmask_b32_e64 v2, 0, v3, s9
	v_add_nc_u16 v4, v2, v20
	v_cndmask_b32_e64 v2, 0, v4, s8
	;; [unrolled: 2-line block ×8, first 2 shown]
	v_add_nc_u16 v24, v2, v10
	s_branch .LBB280_147
.LBB280_128:
	s_cmp_lg_u64 s[30:31], 0
	s_cselect_b32 s2, -1, 0
	s_cmp_lg_u64 s[18:19], 0
	s_cselect_b32 s3, -1, 0
	s_and_b32 s2, s2, s3
	s_and_b32 s3, s0, s2
	s_and_saveexec_b32 s2, s3
	s_cbranch_execz .LBB280_130
; %bb.129:
	v_mov_b32_e32 v1, 0
	v_mov_b32_e32 v3, 1
	v_cmp_gt_u32_e32 vcc_lo, 0x10000, v18
	v_and_b32_e32 v4, 0x10000, v18
	s_clause 0x1
	global_load_ushort v2, v1, s[18:19]
	global_load_ubyte v1, v1, s[18:19] offset:2
	s_waitcnt vmcnt(1)
	v_cndmask_b32_e32 v2, 0, v2, vcc_lo
	s_waitcnt vmcnt(0)
	v_and_b32_sdwa v1, v1, v3 dst_sel:WORD_1 dst_unused:UNUSED_PAD src0_sel:DWORD src1_sel:DWORD
	v_cmp_eq_u32_e32 vcc_lo, 0, v4
	v_add_nc_u16 v2, v2, v18
	v_cndmask_b32_e32 v1, 0x10000, v1, vcc_lo
	v_or_b32_sdwa v18, v1, v2 dst_sel:DWORD dst_unused:UNUSED_PAD src0_sel:DWORD src1_sel:WORD_0
.LBB280_130:
	s_or_b32 exec_lo, exec_lo, s2
	v_cmp_gt_u32_e32 vcc_lo, 0x10000, v21
	v_cmp_gt_u32_e64 s2, 0x10000, v20
	v_cmp_gt_u32_e64 s3, 0x10000, v19
	;; [unrolled: 1-line block ×4, first 2 shown]
	v_cndmask_b32_e32 v1, 0, v18, vcc_lo
	v_cmp_gt_u32_e64 s6, 0x10000, v15
	v_cmp_gt_u32_e64 s7, 0x10000, v14
	;; [unrolled: 1-line block ×4, first 2 shown]
	v_add_nc_u16 v3, v1, v21
	v_and_b32_e32 v11, 4, v11
	s_mov_b32 s11, exec_lo
	v_cndmask_b32_e64 v1, 0, v3, s2
	v_lshl_add_u32 v11, v0, 2, v11
	v_add_nc_u16 v4, v1, v20
	v_cndmask_b32_e64 v1, 0, v4, s3
	v_add_nc_u16 v5, v1, v19
	v_cndmask_b32_e64 v1, 0, v5, s4
	;; [unrolled: 2-line block ×5, first 2 shown]
	v_add_nc_u16 v22, v1, v14
	v_or3_b32 v1, v12, v19, v20
	v_cndmask_b32_e64 v2, 0, v22, s8
	v_or3_b32 v1, v1, v21, v10
	v_add_nc_u16 v23, v2, v13
	v_and_b32_e32 v1, 0xff0000, v1
	v_lshrrev_b32_e32 v2, 16, v18
	v_cndmask_b32_e64 v12, 0, v23, s9
	v_cmp_eq_u32_e64 s10, 0, v1
	v_add_nc_u16 v24, v12, v10
	v_cndmask_b32_e64 v1, 1, v2, s10
	ds_write_b8 v11, v1 offset:2
	ds_write_b16 v11, v24
	s_waitcnt lgkmcnt(0)
	s_barrier
	buffer_gl0_inv
	v_cmpx_gt_u32_e32 32, v0
	s_cbranch_execz .LBB280_142
; %bb.131:
	v_lshrrev_b32_e32 v2, 2, v0
	v_lshlrev_b32_e32 v11, 3, v0
	s_mov_b32 s16, exec_lo
	v_and_b32_e32 v2, 12, v2
	v_add_nc_u32_e32 v2, v2, v11
	ds_read_u8 v12, v2 offset:6
	ds_read_b32 v11, v2
	ds_read_u16 v25, v2 offset:4
	s_waitcnt lgkmcnt(2)
	v_cmp_eq_u16_e64 s10, 0, v12
	v_and_b32_e32 v27, 1, v12
	s_waitcnt lgkmcnt(1)
	v_and_b32_e32 v12, 0x10000, v11
	v_cndmask_b32_e64 v26, 0, v11, s10
	v_cmp_eq_u32_e64 s10, 1, v27
	v_mbcnt_lo_u32_b32 v27, -1, 0
	s_waitcnt lgkmcnt(0)
	v_add_nc_u16 v26, v26, v25
	v_and_b32_e32 v25, 0xff000000, v11
	v_cndmask_b32_e64 v28, v12, 0x10000, s10
	v_and_b32_e32 v29, 0xffff, v26
	v_or_b32_e32 v30, v28, v25
	v_or3_b32 v31, v25, v29, v28
	v_and_b32_e32 v28, 15, v27
	v_lshrrev_b32_e32 v29, 16, v30
	v_mov_b32_dpp v32, v31 row_shr:1 row_mask:0xf bank_mask:0xf
	v_cmpx_ne_u32_e32 0, v28
	s_cbranch_execz .LBB280_133
; %bb.132:
	v_mov_b32_e32 v29, 0xff
	v_mov_b32_e32 v31, 1
	v_and_b32_sdwa v29, v30, v29 dst_sel:DWORD dst_unused:UNUSED_PAD src0_sel:WORD_1 src1_sel:DWORD
	v_and_b32_e32 v30, 0x10000, v30
	v_and_b32_sdwa v31, v32, v31 dst_sel:DWORD dst_unused:UNUSED_PAD src0_sel:WORD_1 src1_sel:DWORD
	v_cmp_eq_u16_e64 s10, 0, v29
	v_cndmask_b32_e64 v32, 0, v32, s10
	v_cmp_ne_u32_e64 s10, 0, v30
	v_add_nc_u16 v26, v32, v26
	v_cndmask_b32_e64 v29, v31, 1, s10
	v_and_b32_e32 v31, 0xffff, v26
	v_lshlrev_b32_e32 v30, 16, v29
	v_or3_b32 v31, v30, v31, v25
.LBB280_133:
	s_or_b32 exec_lo, exec_lo, s16
	v_lshrrev_b32_e32 v30, 16, v31
	v_mov_b32_dpp v32, v31 row_shr:2 row_mask:0xf bank_mask:0xf
	s_mov_b32 s16, exec_lo
	v_cmpx_lt_u32_e32 1, v28
	s_cbranch_execz .LBB280_135
; %bb.134:
	v_mov_b32_e32 v33, 0
	v_mov_b32_e32 v29, 1
	v_and_b32_e32 v31, 0x10000, v31
	v_cmp_eq_u16_sdwa s10, v30, v33 src0_sel:BYTE_0 src1_sel:DWORD
	v_and_b32_sdwa v29, v32, v29 dst_sel:DWORD dst_unused:UNUSED_PAD src0_sel:WORD_1 src1_sel:DWORD
	v_cndmask_b32_e64 v30, 0, v32, s10
	v_cmp_ne_u32_e64 s10, 0, v31
	v_add_nc_u16 v26, v30, v26
	v_cndmask_b32_e64 v29, v29, 1, s10
	v_and_b32_e32 v31, 0xffff, v26
	v_lshlrev_b32_e32 v30, 16, v29
	v_or3_b32 v31, v30, v31, v25
	v_mov_b32_e32 v30, v29
.LBB280_135:
	s_or_b32 exec_lo, exec_lo, s16
	v_mov_b32_dpp v32, v31 row_shr:4 row_mask:0xf bank_mask:0xf
	s_mov_b32 s16, exec_lo
	v_cmpx_lt_u32_e32 3, v28
	s_cbranch_execz .LBB280_137
; %bb.136:
	v_mov_b32_e32 v31, 0
	v_mov_b32_e32 v29, 1
	v_and_b32_e32 v33, 1, v30
	v_cmp_eq_u16_sdwa s10, v30, v31 src0_sel:BYTE_0 src1_sel:DWORD
	v_and_b32_sdwa v29, v32, v29 dst_sel:DWORD dst_unused:UNUSED_PAD src0_sel:WORD_1 src1_sel:DWORD
	v_cndmask_b32_e64 v30, 0, v32, s10
	v_cmp_eq_u32_e64 s10, 1, v33
	v_add_nc_u16 v26, v30, v26
	v_cndmask_b32_e64 v29, v29, 1, s10
	v_and_b32_e32 v31, 0xffff, v26
	v_lshlrev_b32_e32 v30, 16, v29
	v_or3_b32 v31, v30, v31, v25
	v_mov_b32_e32 v30, v29
.LBB280_137:
	s_or_b32 exec_lo, exec_lo, s16
	v_mov_b32_dpp v32, v31 row_shr:8 row_mask:0xf bank_mask:0xf
	s_mov_b32 s16, exec_lo
	v_cmpx_lt_u32_e32 7, v28
	s_cbranch_execz .LBB280_139
; %bb.138:
	v_mov_b32_e32 v29, 0
	v_mov_b32_e32 v28, 1
	v_and_b32_e32 v31, 1, v30
	v_cmp_eq_u16_sdwa s10, v30, v29 src0_sel:BYTE_0 src1_sel:DWORD
	v_and_b32_sdwa v28, v32, v28 dst_sel:DWORD dst_unused:UNUSED_PAD src0_sel:WORD_1 src1_sel:DWORD
	v_cndmask_b32_e64 v30, 0, v32, s10
	v_cmp_eq_u32_e64 s10, 1, v31
	v_add_nc_u16 v26, v30, v26
	v_cndmask_b32_e64 v29, v28, 1, s10
	v_and_b32_e32 v30, 0xffff, v26
	v_lshlrev_b32_e32 v28, 16, v29
	v_or3_b32 v31, v28, v30, v25
	v_mov_b32_e32 v30, v29
.LBB280_139:
	s_or_b32 exec_lo, exec_lo, s16
	ds_swizzle_b32 v28, v31 offset:swizzle(BROADCAST,32,15)
	v_and_b32_e32 v31, 16, v27
	s_mov_b32 s16, exec_lo
	v_cmpx_ne_u32_e32 0, v31
	s_cbranch_execz .LBB280_141
; %bb.140:
	v_mov_b32_e32 v29, 0
	v_mov_b32_e32 v31, 1
	v_cmp_eq_u16_sdwa s10, v30, v29 src0_sel:BYTE_0 src1_sel:DWORD
	v_and_b32_e32 v30, 1, v30
	s_waitcnt lgkmcnt(0)
	v_cndmask_b32_e64 v29, 0, v28, s10
	v_and_b32_sdwa v28, v28, v31 dst_sel:DWORD dst_unused:UNUSED_PAD src0_sel:WORD_1 src1_sel:DWORD
	v_cmp_eq_u32_e64 s10, 1, v30
	v_add_nc_u16 v26, v29, v26
	v_cndmask_b32_e64 v29, v28, 1, s10
.LBB280_141:
	s_or_b32 exec_lo, exec_lo, s16
	s_waitcnt lgkmcnt(0)
	v_and_b32_e32 v28, 0xff, v29
	v_add_nc_u32_e32 v29, -1, v27
	v_and_b32_e32 v26, 0xffff, v26
	; wave barrier
	v_lshlrev_b32_e32 v28, 16, v28
	v_cmp_gt_i32_e64 s10, 0, v29
	v_or3_b32 v25, v28, v26, v25
	v_cndmask_b32_e64 v27, v29, v27, s10
	v_lshlrev_b32_e32 v26, 2, v27
	v_mov_b32_e32 v27, 1
	ds_bpermute_b32 v25, v26, v25
	v_and_b32_e32 v26, 0xff0000, v11
	v_cmp_eq_u32_e64 s10, 0, v26
	s_waitcnt lgkmcnt(0)
	v_cndmask_b32_e64 v26, 0, v25, s10
	v_and_b32_sdwa v25, v25, v27 dst_sel:DWORD dst_unused:UNUSED_PAD src0_sel:WORD_1 src1_sel:DWORD
	v_cmp_eq_u32_e64 s10, 0, v12
	v_add_nc_u16 v11, v26, v11
	v_cndmask_b32_e64 v12, 1, v25, s10
	v_cndmask_b32_e64 v11, v11, v24, s0
	;; [unrolled: 1-line block ×3, first 2 shown]
	ds_write_b16 v2, v11
	ds_write_b8 v2, v1 offset:2
	; wave barrier
	ds_read_u8 v12, v2 offset:6
	ds_read_u16 v25, v2 offset:4
	s_waitcnt lgkmcnt(1)
	v_cmp_eq_u16_e64 s10, 0, v12
	v_and_b32_e32 v12, 1, v12
	v_cndmask_b32_e64 v11, 0, v11, s10
	v_cmp_eq_u32_e64 s10, 1, v12
	s_waitcnt lgkmcnt(0)
	v_add_nc_u16 v11, v11, v25
	v_cndmask_b32_e64 v1, v1, 1, s10
	ds_write_b16 v2, v11 offset:4
	ds_write_b8 v2, v1 offset:6
.LBB280_142:
	s_or_b32 exec_lo, exec_lo, s11
	s_waitcnt lgkmcnt(0)
	s_barrier
	buffer_gl0_inv
	s_and_saveexec_b32 s10, s1
	s_cbranch_execz .LBB280_144
; %bb.143:
	v_add_nc_u32_e32 v1, -1, v0
	v_cmp_gt_u32_e64 s1, 0x10000, v18
	v_lshrrev_b32_e32 v2, 3, v1
	v_and_b32_e32 v2, 0x1ffffffc, v2
	v_lshl_add_u32 v1, v1, 2, v2
	ds_read_u16 v1, v1
	;;#ASMSTART
	;;#ASMEND
	s_waitcnt lgkmcnt(0)
	v_cndmask_b32_e64 v1, 0, v1, s1
	v_add_nc_u32_e32 v18, v1, v18
	v_cndmask_b32_e32 v1, 0, v18, vcc_lo
	v_add_nc_u16 v3, v1, v21
	v_cndmask_b32_e64 v1, 0, v3, s2
	v_add_nc_u16 v4, v1, v20
	v_cndmask_b32_e64 v1, 0, v4, s3
	;; [unrolled: 2-line block ×8, first 2 shown]
	v_add_nc_u16 v24, v1, v10
.LBB280_144:
	s_or_b32 exec_lo, exec_lo, s10
	s_and_saveexec_b32 s1, s0
	s_cbranch_execz .LBB280_146
; %bb.145:
	v_mov_b32_e32 v10, 0
	ds_read_u8 v1, v10 offset:258
	ds_read_u16 v2, v10 offset:256
	s_waitcnt lgkmcnt(1)
	v_lshlrev_b32_e32 v1, 16, v1
	s_waitcnt lgkmcnt(0)
	v_or_b32_e32 v1, v1, v2
	v_mov_b32_e32 v2, 2
	global_store_dwordx2 v10, v[1:2], s[24:25] offset:256
.LBB280_146:
	s_or_b32 exec_lo, exec_lo, s1
	v_mov_b32_e32 v25, v18
.LBB280_147:
	s_add_u32 s0, s14, s28
	v_mov_b32_e32 v1, 0
	s_addc_u32 s1, s15, s29
	s_add_u32 s0, s0, s12
	s_addc_u32 s1, s1, s13
	s_and_b32 vcc_lo, exec_lo, s27
	s_cbranch_vccz .LBB280_187
; %bb.148:
	v_mul_u32_u24_e32 v2, 10, v0
	v_mov_b32_e32 v10, 0
	v_mov_b32_e32 v11, 0
	;; [unrolled: 1-line block ×4, first 2 shown]
	s_add_i32 s33, s33, s26
	s_mov_b32 s2, exec_lo
	v_cmpx_gt_u32_e64 s33, v2
	s_cbranch_execz .LBB280_168
; %bb.149:
	v_or_b32_e32 v13, 1, v2
	v_and_b32_e32 v1, 0xffff, v25
	v_mov_b32_e32 v10, 0
	v_mov_b32_e32 v11, 0
	;; [unrolled: 1-line block ×3, first 2 shown]
	v_cmp_gt_u32_e32 vcc_lo, s33, v13
	v_mov_b32_e32 v13, 0
	s_and_saveexec_b32 s3, vcc_lo
	s_cbranch_execz .LBB280_167
; %bb.150:
	v_perm_b32 v1, v3, v1, 0x5040100
	v_add_nc_u32_e32 v14, 2, v2
	v_mov_b32_e32 v13, 0
	v_mov_b32_e32 v12, 0
	;; [unrolled: 1-line block ×4, first 2 shown]
	s_mov_b32 s4, exec_lo
	v_cmpx_gt_u32_e64 s33, v14
	s_cbranch_execz .LBB280_166
; %bb.151:
	v_add_nc_u32_e32 v14, 3, v2
	v_bfi_b32 v10, 0xffff, v4, 0
	v_mov_b32_e32 v13, 0
	v_mov_b32_e32 v12, 0
	;; [unrolled: 1-line block ×3, first 2 shown]
	s_mov_b32 s5, exec_lo
	v_cmpx_gt_u32_e64 s33, v14
	s_cbranch_execz .LBB280_165
; %bb.152:
	v_add_nc_u32_e32 v14, 4, v2
	v_perm_b32 v10, v5, v10, 0x5040100
	v_mov_b32_e32 v13, 0
	v_mov_b32_e32 v12, 0
	;; [unrolled: 1-line block ×3, first 2 shown]
	s_mov_b32 s6, exec_lo
	v_cmpx_gt_u32_e64 s33, v14
	s_cbranch_execz .LBB280_164
; %bb.153:
	v_add_nc_u32_e32 v14, 5, v2
	v_bfi_b32 v11, 0xffff, v6, 0
	v_mov_b32_e32 v13, 0
	v_mov_b32_e32 v12, 0
	s_mov_b32 s7, exec_lo
	v_cmpx_gt_u32_e64 s33, v14
	s_cbranch_execz .LBB280_163
; %bb.154:
	v_add_nc_u32_e32 v14, 6, v2
	v_perm_b32 v11, v7, v11, 0x5040100
	v_mov_b32_e32 v13, 0
	v_mov_b32_e32 v12, 0
	s_mov_b32 s8, exec_lo
	v_cmpx_gt_u32_e64 s33, v14
	s_cbranch_execz .LBB280_162
; %bb.155:
	v_add_nc_u32_e32 v14, 7, v2
	v_bfi_b32 v12, 0xffff, v8, 0
	v_mov_b32_e32 v13, 0
	s_mov_b32 s9, exec_lo
	v_cmpx_gt_u32_e64 s33, v14
	s_cbranch_execz .LBB280_161
; %bb.156:
	v_add_nc_u32_e32 v14, 8, v2
	v_perm_b32 v12, v22, v12, 0x5040100
	v_mov_b32_e32 v13, 0
	s_mov_b32 s10, exec_lo
	v_cmpx_gt_u32_e64 s33, v14
	s_cbranch_execz .LBB280_160
; %bb.157:
	v_add_nc_u32_e32 v14, 9, v2
	v_bfi_b32 v13, 0xffff, v23, 0
	s_mov_b32 s11, exec_lo
	v_cmpx_gt_u32_e64 s33, v14
; %bb.158:
	v_perm_b32 v13, v24, v13, 0x5040100
; %bb.159:
	s_or_b32 exec_lo, exec_lo, s11
.LBB280_160:
	s_or_b32 exec_lo, exec_lo, s10
.LBB280_161:
	s_or_b32 exec_lo, exec_lo, s9
.LBB280_162:
	s_or_b32 exec_lo, exec_lo, s8
.LBB280_163:
	s_or_b32 exec_lo, exec_lo, s7
.LBB280_164:
	s_or_b32 exec_lo, exec_lo, s6
.LBB280_165:
	s_or_b32 exec_lo, exec_lo, s5
.LBB280_166:
	s_or_b32 exec_lo, exec_lo, s4
.LBB280_167:
	s_or_b32 exec_lo, exec_lo, s3
.LBB280_168:
	s_or_b32 exec_lo, exec_lo, s2
	v_lshlrev_b32_e32 v18, 1, v2
	s_waitcnt_vscnt null, 0x0
	s_barrier
	buffer_gl0_inv
	ds_write2_b32 v18, v1, v10 offset1:1
	ds_write2_b32 v18, v11, v12 offset0:2 offset1:3
	v_mad_i32_i24 v1, 0xffffffee, v0, v18
	ds_write_b32 v18, v13 offset:16
	s_waitcnt lgkmcnt(0)
	s_barrier
	buffer_gl0_inv
	ds_read_u16 v19, v1 offset:128
	ds_read_u16 v17, v1 offset:256
	;; [unrolled: 1-line block ×9, first 2 shown]
	v_add_co_u32 v1, s2, s0, v9
	v_add_co_ci_u32_e64 v2, null, s1, 0, s2
	s_mov_b32 s2, exec_lo
	v_cmpx_gt_u32_e64 s33, v0
	s_cbranch_execz .LBB280_170
; %bb.169:
	v_mul_i32_i24_e32 v20, 0xffffffee, v0
	v_add_nc_u32_e32 v18, v18, v20
	ds_read_u16 v18, v18
	s_waitcnt lgkmcnt(0)
	flat_store_short v[1:2], v18
.LBB280_170:
	s_or_b32 exec_lo, exec_lo, s2
	v_or_b32_e32 v18, 64, v0
	s_mov_b32 s2, exec_lo
	v_cmpx_gt_u32_e64 s33, v18
	s_cbranch_execz .LBB280_172
; %bb.171:
	s_waitcnt lgkmcnt(8)
	flat_store_short v[1:2], v19 offset:128
.LBB280_172:
	s_or_b32 exec_lo, exec_lo, s2
	v_or_b32_e32 v18, 0x80, v0
	s_mov_b32 s2, exec_lo
	v_cmpx_gt_u32_e64 s33, v18
	s_cbranch_execz .LBB280_174
; %bb.173:
	s_waitcnt lgkmcnt(7)
	flat_store_short v[1:2], v17 offset:256
.LBB280_174:
	s_or_b32 exec_lo, exec_lo, s2
	s_waitcnt lgkmcnt(7)
	v_or_b32_e32 v17, 0xc0, v0
	s_mov_b32 s2, exec_lo
	v_cmpx_gt_u32_e64 s33, v17
	s_cbranch_execz .LBB280_176
; %bb.175:
	s_waitcnt lgkmcnt(6)
	flat_store_short v[1:2], v16 offset:384
.LBB280_176:
	s_or_b32 exec_lo, exec_lo, s2
	s_waitcnt lgkmcnt(6)
	;; [unrolled: 10-line block ×6, first 2 shown]
	v_or_b32_e32 v12, 0x200, v0
	s_mov_b32 s2, exec_lo
	v_cmpx_gt_u32_e64 s33, v12
	s_cbranch_execz .LBB280_186
; %bb.185:
	s_waitcnt lgkmcnt(1)
	flat_store_short v[1:2], v11 offset:1024
.LBB280_186:
	s_or_b32 exec_lo, exec_lo, s2
	v_or_b32_e32 v1, 0x240, v0
	v_cmp_gt_u32_e64 s2, s33, v1
	s_branch .LBB280_189
.LBB280_187:
	s_mov_b32 s2, 0
                                        ; implicit-def: $vgpr10
	s_cbranch_execz .LBB280_189
; %bb.188:
	v_mul_u32_u24_e32 v1, 20, v0
	v_perm_b32 v2, v5, v4, 0x5040100
	v_perm_b32 v3, v3, v25, 0x5040100
	;; [unrolled: 1-line block ×3, first 2 shown]
	v_mul_i32_i24_e32 v6, 0xffffffee, v0
	v_perm_b32 v4, v22, v8, 0x5040100
	s_waitcnt lgkmcnt(0)
	s_waitcnt_vscnt null, 0x0
	s_barrier
	v_perm_b32 v7, v24, v23, 0x5040100
	buffer_gl0_inv
	ds_write2_b32 v1, v3, v2 offset1:1
	ds_write2_b32 v1, v5, v4 offset0:2 offset1:3
	v_mad_u32_u24 v2, v0, 20, v6
	s_or_b32 s2, s2, exec_lo
	ds_write_b32 v1, v7 offset:16
	s_waitcnt lgkmcnt(0)
	s_barrier
	buffer_gl0_inv
	ds_read_u16 v3, v2
	ds_read_u16 v4, v2 offset:128
	ds_read_u16 v5, v2 offset:256
	;; [unrolled: 1-line block ×9, first 2 shown]
	v_add_co_u32 v1, s3, s0, v9
	v_add_co_ci_u32_e64 v2, null, s1, 0, s3
	s_waitcnt lgkmcnt(9)
	flat_store_short v[1:2], v3
	s_waitcnt lgkmcnt(9)
	flat_store_short v[1:2], v4 offset:128
	s_waitcnt lgkmcnt(9)
	flat_store_short v[1:2], v5 offset:256
	;; [unrolled: 2-line block ×8, first 2 shown]
.LBB280_189:
	s_and_saveexec_b32 s3, s2
	s_cbranch_execnz .LBB280_191
; %bb.190:
	s_endpgm
.LBB280_191:
	v_lshlrev_b32_e32 v0, 1, v0
	v_add_co_u32 v0, s0, s0, v0
	v_add_co_ci_u32_e64 v1, null, s1, 0, s0
	s_waitcnt lgkmcnt(0)
	flat_store_short v[0:1], v10 offset:1152
	s_endpgm
.LBB280_192:
	v_add_co_u32 v3, s11, s37, v14
	v_add_co_ci_u32_e64 v4, null, s38, 0, s11
	v_mov_b32_e32 v2, v1
	v_mov_b32_e32 v5, v1
	;; [unrolled: 1-line block ×3, first 2 shown]
	flat_load_short_d16 v2, v[3:4]
	v_mov_b32_e32 v3, v1
	v_mov_b32_e32 v4, v1
	s_waitcnt vmcnt(0) lgkmcnt(0)
	v_mov_b32_e32 v1, v2
	v_mov_b32_e32 v2, v3
	;; [unrolled: 1-line block ×8, first 2 shown]
	s_or_b32 exec_lo, exec_lo, s16
	s_and_saveexec_b32 s11, s10
	s_cbranch_execz .LBB280_33
.LBB280_193:
	v_add_co_u32 v6, s10, s37, v14
	v_add_co_ci_u32_e64 v7, null, s38, 0, s10
	flat_load_short_d16_hi v1, v[6:7] offset:128
	s_or_b32 exec_lo, exec_lo, s11
	s_and_saveexec_b32 s10, s9
	s_cbranch_execz .LBB280_34
.LBB280_194:
	v_add_co_u32 v6, s9, s37, v14
	v_add_co_ci_u32_e64 v7, null, s38, 0, s9
	flat_load_short_d16 v2, v[6:7] offset:256
	s_or_b32 exec_lo, exec_lo, s10
	s_and_saveexec_b32 s9, s8
	s_cbranch_execz .LBB280_35
.LBB280_195:
	v_add_co_u32 v6, s8, s37, v14
	v_add_co_ci_u32_e64 v7, null, s38, 0, s8
	s_waitcnt vmcnt(0) lgkmcnt(0)
	flat_load_short_d16_hi v2, v[6:7] offset:384
	s_or_b32 exec_lo, exec_lo, s9
	s_and_saveexec_b32 s8, s7
	s_cbranch_execz .LBB280_36
.LBB280_196:
	v_add_co_u32 v6, s7, s37, v14
	v_add_co_ci_u32_e64 v7, null, s38, 0, s7
	flat_load_short_d16 v3, v[6:7] offset:512
	s_or_b32 exec_lo, exec_lo, s8
	s_and_saveexec_b32 s7, s6
	s_cbranch_execz .LBB280_37
.LBB280_197:
	v_add_co_u32 v6, s6, s37, v14
	v_add_co_ci_u32_e64 v7, null, s38, 0, s6
	s_waitcnt vmcnt(0) lgkmcnt(0)
	flat_load_short_d16_hi v3, v[6:7] offset:640
	s_or_b32 exec_lo, exec_lo, s7
	s_and_saveexec_b32 s6, s5
	s_cbranch_execz .LBB280_38
.LBB280_198:
	v_add_co_u32 v6, s5, s37, v14
	v_add_co_ci_u32_e64 v7, null, s38, 0, s5
	flat_load_short_d16 v4, v[6:7] offset:768
	s_or_b32 exec_lo, exec_lo, s6
	s_and_saveexec_b32 s5, s4
	s_cbranch_execz .LBB280_39
.LBB280_199:
	v_add_co_u32 v6, s4, s37, v14
	v_add_co_ci_u32_e64 v7, null, s38, 0, s4
	s_waitcnt vmcnt(0) lgkmcnt(0)
	flat_load_short_d16_hi v4, v[6:7] offset:896
	s_or_b32 exec_lo, exec_lo, s5
	s_and_saveexec_b32 s4, s3
	s_cbranch_execz .LBB280_40
.LBB280_200:
	v_add_co_u32 v6, s3, s37, v14
	v_add_co_ci_u32_e64 v7, null, s38, 0, s3
	flat_load_short_d16 v5, v[6:7] offset:1024
	s_or_b32 exec_lo, exec_lo, s4
	s_and_saveexec_b32 s3, s2
	s_cbranch_execnz .LBB280_41
	s_branch .LBB280_42
.LBB280_201:
                                        ; implicit-def: $sgpr16_sgpr17
	s_branch .LBB280_28
.LBB280_202:
                                        ; implicit-def: $sgpr2_sgpr3
	s_branch .LBB280_65
	.section	.rodata,"a",@progbits
	.p2align	6, 0x0
	.amdhsa_kernel _ZN7rocprim17ROCPRIM_400000_NS6detail17trampoline_kernelINS0_14default_configENS1_27scan_by_key_config_selectorIssEEZZNS1_16scan_by_key_implILNS1_25lookback_scan_determinismE0ELb0ES3_N6thrust23THRUST_200600_302600_NS6detail15normal_iteratorINS9_10device_ptrIsEEEESE_SE_sNS9_4plusIvEENS9_8equal_toIvEEsEE10hipError_tPvRmT2_T3_T4_T5_mT6_T7_P12ihipStream_tbENKUlT_T0_E_clISt17integral_constantIbLb0EESY_IbLb1EEEEDaSU_SV_EUlSU_E_NS1_11comp_targetILNS1_3genE8ELNS1_11target_archE1030ELNS1_3gpuE2ELNS1_3repE0EEENS1_30default_config_static_selectorELNS0_4arch9wavefront6targetE0EEEvT1_
		.amdhsa_group_segment_fixed_size 1536
		.amdhsa_private_segment_fixed_size 0
		.amdhsa_kernarg_size 112
		.amdhsa_user_sgpr_count 6
		.amdhsa_user_sgpr_private_segment_buffer 1
		.amdhsa_user_sgpr_dispatch_ptr 0
		.amdhsa_user_sgpr_queue_ptr 0
		.amdhsa_user_sgpr_kernarg_segment_ptr 1
		.amdhsa_user_sgpr_dispatch_id 0
		.amdhsa_user_sgpr_flat_scratch_init 0
		.amdhsa_user_sgpr_private_segment_size 0
		.amdhsa_wavefront_size32 1
		.amdhsa_uses_dynamic_stack 0
		.amdhsa_system_sgpr_private_segment_wavefront_offset 0
		.amdhsa_system_sgpr_workgroup_id_x 1
		.amdhsa_system_sgpr_workgroup_id_y 0
		.amdhsa_system_sgpr_workgroup_id_z 0
		.amdhsa_system_sgpr_workgroup_info 0
		.amdhsa_system_vgpr_workitem_id 0
		.amdhsa_next_free_vgpr 42
		.amdhsa_next_free_sgpr 41
		.amdhsa_reserve_vcc 1
		.amdhsa_reserve_flat_scratch 1
		.amdhsa_float_round_mode_32 0
		.amdhsa_float_round_mode_16_64 0
		.amdhsa_float_denorm_mode_32 3
		.amdhsa_float_denorm_mode_16_64 3
		.amdhsa_dx10_clamp 1
		.amdhsa_ieee_mode 1
		.amdhsa_fp16_overflow 0
		.amdhsa_workgroup_processor_mode 1
		.amdhsa_memory_ordered 1
		.amdhsa_forward_progress 1
		.amdhsa_shared_vgpr_count 0
		.amdhsa_exception_fp_ieee_invalid_op 0
		.amdhsa_exception_fp_denorm_src 0
		.amdhsa_exception_fp_ieee_div_zero 0
		.amdhsa_exception_fp_ieee_overflow 0
		.amdhsa_exception_fp_ieee_underflow 0
		.amdhsa_exception_fp_ieee_inexact 0
		.amdhsa_exception_int_div_zero 0
	.end_amdhsa_kernel
	.section	.text._ZN7rocprim17ROCPRIM_400000_NS6detail17trampoline_kernelINS0_14default_configENS1_27scan_by_key_config_selectorIssEEZZNS1_16scan_by_key_implILNS1_25lookback_scan_determinismE0ELb0ES3_N6thrust23THRUST_200600_302600_NS6detail15normal_iteratorINS9_10device_ptrIsEEEESE_SE_sNS9_4plusIvEENS9_8equal_toIvEEsEE10hipError_tPvRmT2_T3_T4_T5_mT6_T7_P12ihipStream_tbENKUlT_T0_E_clISt17integral_constantIbLb0EESY_IbLb1EEEEDaSU_SV_EUlSU_E_NS1_11comp_targetILNS1_3genE8ELNS1_11target_archE1030ELNS1_3gpuE2ELNS1_3repE0EEENS1_30default_config_static_selectorELNS0_4arch9wavefront6targetE0EEEvT1_,"axG",@progbits,_ZN7rocprim17ROCPRIM_400000_NS6detail17trampoline_kernelINS0_14default_configENS1_27scan_by_key_config_selectorIssEEZZNS1_16scan_by_key_implILNS1_25lookback_scan_determinismE0ELb0ES3_N6thrust23THRUST_200600_302600_NS6detail15normal_iteratorINS9_10device_ptrIsEEEESE_SE_sNS9_4plusIvEENS9_8equal_toIvEEsEE10hipError_tPvRmT2_T3_T4_T5_mT6_T7_P12ihipStream_tbENKUlT_T0_E_clISt17integral_constantIbLb0EESY_IbLb1EEEEDaSU_SV_EUlSU_E_NS1_11comp_targetILNS1_3genE8ELNS1_11target_archE1030ELNS1_3gpuE2ELNS1_3repE0EEENS1_30default_config_static_selectorELNS0_4arch9wavefront6targetE0EEEvT1_,comdat
.Lfunc_end280:
	.size	_ZN7rocprim17ROCPRIM_400000_NS6detail17trampoline_kernelINS0_14default_configENS1_27scan_by_key_config_selectorIssEEZZNS1_16scan_by_key_implILNS1_25lookback_scan_determinismE0ELb0ES3_N6thrust23THRUST_200600_302600_NS6detail15normal_iteratorINS9_10device_ptrIsEEEESE_SE_sNS9_4plusIvEENS9_8equal_toIvEEsEE10hipError_tPvRmT2_T3_T4_T5_mT6_T7_P12ihipStream_tbENKUlT_T0_E_clISt17integral_constantIbLb0EESY_IbLb1EEEEDaSU_SV_EUlSU_E_NS1_11comp_targetILNS1_3genE8ELNS1_11target_archE1030ELNS1_3gpuE2ELNS1_3repE0EEENS1_30default_config_static_selectorELNS0_4arch9wavefront6targetE0EEEvT1_, .Lfunc_end280-_ZN7rocprim17ROCPRIM_400000_NS6detail17trampoline_kernelINS0_14default_configENS1_27scan_by_key_config_selectorIssEEZZNS1_16scan_by_key_implILNS1_25lookback_scan_determinismE0ELb0ES3_N6thrust23THRUST_200600_302600_NS6detail15normal_iteratorINS9_10device_ptrIsEEEESE_SE_sNS9_4plusIvEENS9_8equal_toIvEEsEE10hipError_tPvRmT2_T3_T4_T5_mT6_T7_P12ihipStream_tbENKUlT_T0_E_clISt17integral_constantIbLb0EESY_IbLb1EEEEDaSU_SV_EUlSU_E_NS1_11comp_targetILNS1_3genE8ELNS1_11target_archE1030ELNS1_3gpuE2ELNS1_3repE0EEENS1_30default_config_static_selectorELNS0_4arch9wavefront6targetE0EEEvT1_
                                        ; -- End function
	.set _ZN7rocprim17ROCPRIM_400000_NS6detail17trampoline_kernelINS0_14default_configENS1_27scan_by_key_config_selectorIssEEZZNS1_16scan_by_key_implILNS1_25lookback_scan_determinismE0ELb0ES3_N6thrust23THRUST_200600_302600_NS6detail15normal_iteratorINS9_10device_ptrIsEEEESE_SE_sNS9_4plusIvEENS9_8equal_toIvEEsEE10hipError_tPvRmT2_T3_T4_T5_mT6_T7_P12ihipStream_tbENKUlT_T0_E_clISt17integral_constantIbLb0EESY_IbLb1EEEEDaSU_SV_EUlSU_E_NS1_11comp_targetILNS1_3genE8ELNS1_11target_archE1030ELNS1_3gpuE2ELNS1_3repE0EEENS1_30default_config_static_selectorELNS0_4arch9wavefront6targetE0EEEvT1_.num_vgpr, 42
	.set _ZN7rocprim17ROCPRIM_400000_NS6detail17trampoline_kernelINS0_14default_configENS1_27scan_by_key_config_selectorIssEEZZNS1_16scan_by_key_implILNS1_25lookback_scan_determinismE0ELb0ES3_N6thrust23THRUST_200600_302600_NS6detail15normal_iteratorINS9_10device_ptrIsEEEESE_SE_sNS9_4plusIvEENS9_8equal_toIvEEsEE10hipError_tPvRmT2_T3_T4_T5_mT6_T7_P12ihipStream_tbENKUlT_T0_E_clISt17integral_constantIbLb0EESY_IbLb1EEEEDaSU_SV_EUlSU_E_NS1_11comp_targetILNS1_3genE8ELNS1_11target_archE1030ELNS1_3gpuE2ELNS1_3repE0EEENS1_30default_config_static_selectorELNS0_4arch9wavefront6targetE0EEEvT1_.num_agpr, 0
	.set _ZN7rocprim17ROCPRIM_400000_NS6detail17trampoline_kernelINS0_14default_configENS1_27scan_by_key_config_selectorIssEEZZNS1_16scan_by_key_implILNS1_25lookback_scan_determinismE0ELb0ES3_N6thrust23THRUST_200600_302600_NS6detail15normal_iteratorINS9_10device_ptrIsEEEESE_SE_sNS9_4plusIvEENS9_8equal_toIvEEsEE10hipError_tPvRmT2_T3_T4_T5_mT6_T7_P12ihipStream_tbENKUlT_T0_E_clISt17integral_constantIbLb0EESY_IbLb1EEEEDaSU_SV_EUlSU_E_NS1_11comp_targetILNS1_3genE8ELNS1_11target_archE1030ELNS1_3gpuE2ELNS1_3repE0EEENS1_30default_config_static_selectorELNS0_4arch9wavefront6targetE0EEEvT1_.numbered_sgpr, 41
	.set _ZN7rocprim17ROCPRIM_400000_NS6detail17trampoline_kernelINS0_14default_configENS1_27scan_by_key_config_selectorIssEEZZNS1_16scan_by_key_implILNS1_25lookback_scan_determinismE0ELb0ES3_N6thrust23THRUST_200600_302600_NS6detail15normal_iteratorINS9_10device_ptrIsEEEESE_SE_sNS9_4plusIvEENS9_8equal_toIvEEsEE10hipError_tPvRmT2_T3_T4_T5_mT6_T7_P12ihipStream_tbENKUlT_T0_E_clISt17integral_constantIbLb0EESY_IbLb1EEEEDaSU_SV_EUlSU_E_NS1_11comp_targetILNS1_3genE8ELNS1_11target_archE1030ELNS1_3gpuE2ELNS1_3repE0EEENS1_30default_config_static_selectorELNS0_4arch9wavefront6targetE0EEEvT1_.num_named_barrier, 0
	.set _ZN7rocprim17ROCPRIM_400000_NS6detail17trampoline_kernelINS0_14default_configENS1_27scan_by_key_config_selectorIssEEZZNS1_16scan_by_key_implILNS1_25lookback_scan_determinismE0ELb0ES3_N6thrust23THRUST_200600_302600_NS6detail15normal_iteratorINS9_10device_ptrIsEEEESE_SE_sNS9_4plusIvEENS9_8equal_toIvEEsEE10hipError_tPvRmT2_T3_T4_T5_mT6_T7_P12ihipStream_tbENKUlT_T0_E_clISt17integral_constantIbLb0EESY_IbLb1EEEEDaSU_SV_EUlSU_E_NS1_11comp_targetILNS1_3genE8ELNS1_11target_archE1030ELNS1_3gpuE2ELNS1_3repE0EEENS1_30default_config_static_selectorELNS0_4arch9wavefront6targetE0EEEvT1_.private_seg_size, 0
	.set _ZN7rocprim17ROCPRIM_400000_NS6detail17trampoline_kernelINS0_14default_configENS1_27scan_by_key_config_selectorIssEEZZNS1_16scan_by_key_implILNS1_25lookback_scan_determinismE0ELb0ES3_N6thrust23THRUST_200600_302600_NS6detail15normal_iteratorINS9_10device_ptrIsEEEESE_SE_sNS9_4plusIvEENS9_8equal_toIvEEsEE10hipError_tPvRmT2_T3_T4_T5_mT6_T7_P12ihipStream_tbENKUlT_T0_E_clISt17integral_constantIbLb0EESY_IbLb1EEEEDaSU_SV_EUlSU_E_NS1_11comp_targetILNS1_3genE8ELNS1_11target_archE1030ELNS1_3gpuE2ELNS1_3repE0EEENS1_30default_config_static_selectorELNS0_4arch9wavefront6targetE0EEEvT1_.uses_vcc, 1
	.set _ZN7rocprim17ROCPRIM_400000_NS6detail17trampoline_kernelINS0_14default_configENS1_27scan_by_key_config_selectorIssEEZZNS1_16scan_by_key_implILNS1_25lookback_scan_determinismE0ELb0ES3_N6thrust23THRUST_200600_302600_NS6detail15normal_iteratorINS9_10device_ptrIsEEEESE_SE_sNS9_4plusIvEENS9_8equal_toIvEEsEE10hipError_tPvRmT2_T3_T4_T5_mT6_T7_P12ihipStream_tbENKUlT_T0_E_clISt17integral_constantIbLb0EESY_IbLb1EEEEDaSU_SV_EUlSU_E_NS1_11comp_targetILNS1_3genE8ELNS1_11target_archE1030ELNS1_3gpuE2ELNS1_3repE0EEENS1_30default_config_static_selectorELNS0_4arch9wavefront6targetE0EEEvT1_.uses_flat_scratch, 1
	.set _ZN7rocprim17ROCPRIM_400000_NS6detail17trampoline_kernelINS0_14default_configENS1_27scan_by_key_config_selectorIssEEZZNS1_16scan_by_key_implILNS1_25lookback_scan_determinismE0ELb0ES3_N6thrust23THRUST_200600_302600_NS6detail15normal_iteratorINS9_10device_ptrIsEEEESE_SE_sNS9_4plusIvEENS9_8equal_toIvEEsEE10hipError_tPvRmT2_T3_T4_T5_mT6_T7_P12ihipStream_tbENKUlT_T0_E_clISt17integral_constantIbLb0EESY_IbLb1EEEEDaSU_SV_EUlSU_E_NS1_11comp_targetILNS1_3genE8ELNS1_11target_archE1030ELNS1_3gpuE2ELNS1_3repE0EEENS1_30default_config_static_selectorELNS0_4arch9wavefront6targetE0EEEvT1_.has_dyn_sized_stack, 0
	.set _ZN7rocprim17ROCPRIM_400000_NS6detail17trampoline_kernelINS0_14default_configENS1_27scan_by_key_config_selectorIssEEZZNS1_16scan_by_key_implILNS1_25lookback_scan_determinismE0ELb0ES3_N6thrust23THRUST_200600_302600_NS6detail15normal_iteratorINS9_10device_ptrIsEEEESE_SE_sNS9_4plusIvEENS9_8equal_toIvEEsEE10hipError_tPvRmT2_T3_T4_T5_mT6_T7_P12ihipStream_tbENKUlT_T0_E_clISt17integral_constantIbLb0EESY_IbLb1EEEEDaSU_SV_EUlSU_E_NS1_11comp_targetILNS1_3genE8ELNS1_11target_archE1030ELNS1_3gpuE2ELNS1_3repE0EEENS1_30default_config_static_selectorELNS0_4arch9wavefront6targetE0EEEvT1_.has_recursion, 0
	.set _ZN7rocprim17ROCPRIM_400000_NS6detail17trampoline_kernelINS0_14default_configENS1_27scan_by_key_config_selectorIssEEZZNS1_16scan_by_key_implILNS1_25lookback_scan_determinismE0ELb0ES3_N6thrust23THRUST_200600_302600_NS6detail15normal_iteratorINS9_10device_ptrIsEEEESE_SE_sNS9_4plusIvEENS9_8equal_toIvEEsEE10hipError_tPvRmT2_T3_T4_T5_mT6_T7_P12ihipStream_tbENKUlT_T0_E_clISt17integral_constantIbLb0EESY_IbLb1EEEEDaSU_SV_EUlSU_E_NS1_11comp_targetILNS1_3genE8ELNS1_11target_archE1030ELNS1_3gpuE2ELNS1_3repE0EEENS1_30default_config_static_selectorELNS0_4arch9wavefront6targetE0EEEvT1_.has_indirect_call, 0
	.section	.AMDGPU.csdata,"",@progbits
; Kernel info:
; codeLenInByte = 10436
; TotalNumSgprs: 43
; NumVgprs: 42
; ScratchSize: 0
; MemoryBound: 0
; FloatMode: 240
; IeeeMode: 1
; LDSByteSize: 1536 bytes/workgroup (compile time only)
; SGPRBlocks: 0
; VGPRBlocks: 5
; NumSGPRsForWavesPerEU: 43
; NumVGPRsForWavesPerEU: 42
; Occupancy: 16
; WaveLimiterHint : 1
; COMPUTE_PGM_RSRC2:SCRATCH_EN: 0
; COMPUTE_PGM_RSRC2:USER_SGPR: 6
; COMPUTE_PGM_RSRC2:TRAP_HANDLER: 0
; COMPUTE_PGM_RSRC2:TGID_X_EN: 1
; COMPUTE_PGM_RSRC2:TGID_Y_EN: 0
; COMPUTE_PGM_RSRC2:TGID_Z_EN: 0
; COMPUTE_PGM_RSRC2:TIDIG_COMP_CNT: 0
	.section	.text._ZN7rocprim17ROCPRIM_400000_NS6detail17trampoline_kernelINS0_14default_configENS1_27scan_by_key_config_selectorIssEEZZNS1_16scan_by_key_implILNS1_25lookback_scan_determinismE0ELb0ES3_N6thrust23THRUST_200600_302600_NS6detail15normal_iteratorINS9_10device_ptrIsEEEESE_SE_sNS9_10multipliesIsEENS9_8equal_toIsEEsEE10hipError_tPvRmT2_T3_T4_T5_mT6_T7_P12ihipStream_tbENKUlT_T0_E_clISt17integral_constantIbLb0EESZ_EEDaSU_SV_EUlSU_E_NS1_11comp_targetILNS1_3genE0ELNS1_11target_archE4294967295ELNS1_3gpuE0ELNS1_3repE0EEENS1_30default_config_static_selectorELNS0_4arch9wavefront6targetE0EEEvT1_,"axG",@progbits,_ZN7rocprim17ROCPRIM_400000_NS6detail17trampoline_kernelINS0_14default_configENS1_27scan_by_key_config_selectorIssEEZZNS1_16scan_by_key_implILNS1_25lookback_scan_determinismE0ELb0ES3_N6thrust23THRUST_200600_302600_NS6detail15normal_iteratorINS9_10device_ptrIsEEEESE_SE_sNS9_10multipliesIsEENS9_8equal_toIsEEsEE10hipError_tPvRmT2_T3_T4_T5_mT6_T7_P12ihipStream_tbENKUlT_T0_E_clISt17integral_constantIbLb0EESZ_EEDaSU_SV_EUlSU_E_NS1_11comp_targetILNS1_3genE0ELNS1_11target_archE4294967295ELNS1_3gpuE0ELNS1_3repE0EEENS1_30default_config_static_selectorELNS0_4arch9wavefront6targetE0EEEvT1_,comdat
	.protected	_ZN7rocprim17ROCPRIM_400000_NS6detail17trampoline_kernelINS0_14default_configENS1_27scan_by_key_config_selectorIssEEZZNS1_16scan_by_key_implILNS1_25lookback_scan_determinismE0ELb0ES3_N6thrust23THRUST_200600_302600_NS6detail15normal_iteratorINS9_10device_ptrIsEEEESE_SE_sNS9_10multipliesIsEENS9_8equal_toIsEEsEE10hipError_tPvRmT2_T3_T4_T5_mT6_T7_P12ihipStream_tbENKUlT_T0_E_clISt17integral_constantIbLb0EESZ_EEDaSU_SV_EUlSU_E_NS1_11comp_targetILNS1_3genE0ELNS1_11target_archE4294967295ELNS1_3gpuE0ELNS1_3repE0EEENS1_30default_config_static_selectorELNS0_4arch9wavefront6targetE0EEEvT1_ ; -- Begin function _ZN7rocprim17ROCPRIM_400000_NS6detail17trampoline_kernelINS0_14default_configENS1_27scan_by_key_config_selectorIssEEZZNS1_16scan_by_key_implILNS1_25lookback_scan_determinismE0ELb0ES3_N6thrust23THRUST_200600_302600_NS6detail15normal_iteratorINS9_10device_ptrIsEEEESE_SE_sNS9_10multipliesIsEENS9_8equal_toIsEEsEE10hipError_tPvRmT2_T3_T4_T5_mT6_T7_P12ihipStream_tbENKUlT_T0_E_clISt17integral_constantIbLb0EESZ_EEDaSU_SV_EUlSU_E_NS1_11comp_targetILNS1_3genE0ELNS1_11target_archE4294967295ELNS1_3gpuE0ELNS1_3repE0EEENS1_30default_config_static_selectorELNS0_4arch9wavefront6targetE0EEEvT1_
	.globl	_ZN7rocprim17ROCPRIM_400000_NS6detail17trampoline_kernelINS0_14default_configENS1_27scan_by_key_config_selectorIssEEZZNS1_16scan_by_key_implILNS1_25lookback_scan_determinismE0ELb0ES3_N6thrust23THRUST_200600_302600_NS6detail15normal_iteratorINS9_10device_ptrIsEEEESE_SE_sNS9_10multipliesIsEENS9_8equal_toIsEEsEE10hipError_tPvRmT2_T3_T4_T5_mT6_T7_P12ihipStream_tbENKUlT_T0_E_clISt17integral_constantIbLb0EESZ_EEDaSU_SV_EUlSU_E_NS1_11comp_targetILNS1_3genE0ELNS1_11target_archE4294967295ELNS1_3gpuE0ELNS1_3repE0EEENS1_30default_config_static_selectorELNS0_4arch9wavefront6targetE0EEEvT1_
	.p2align	8
	.type	_ZN7rocprim17ROCPRIM_400000_NS6detail17trampoline_kernelINS0_14default_configENS1_27scan_by_key_config_selectorIssEEZZNS1_16scan_by_key_implILNS1_25lookback_scan_determinismE0ELb0ES3_N6thrust23THRUST_200600_302600_NS6detail15normal_iteratorINS9_10device_ptrIsEEEESE_SE_sNS9_10multipliesIsEENS9_8equal_toIsEEsEE10hipError_tPvRmT2_T3_T4_T5_mT6_T7_P12ihipStream_tbENKUlT_T0_E_clISt17integral_constantIbLb0EESZ_EEDaSU_SV_EUlSU_E_NS1_11comp_targetILNS1_3genE0ELNS1_11target_archE4294967295ELNS1_3gpuE0ELNS1_3repE0EEENS1_30default_config_static_selectorELNS0_4arch9wavefront6targetE0EEEvT1_,@function
_ZN7rocprim17ROCPRIM_400000_NS6detail17trampoline_kernelINS0_14default_configENS1_27scan_by_key_config_selectorIssEEZZNS1_16scan_by_key_implILNS1_25lookback_scan_determinismE0ELb0ES3_N6thrust23THRUST_200600_302600_NS6detail15normal_iteratorINS9_10device_ptrIsEEEESE_SE_sNS9_10multipliesIsEENS9_8equal_toIsEEsEE10hipError_tPvRmT2_T3_T4_T5_mT6_T7_P12ihipStream_tbENKUlT_T0_E_clISt17integral_constantIbLb0EESZ_EEDaSU_SV_EUlSU_E_NS1_11comp_targetILNS1_3genE0ELNS1_11target_archE4294967295ELNS1_3gpuE0ELNS1_3repE0EEENS1_30default_config_static_selectorELNS0_4arch9wavefront6targetE0EEEvT1_: ; @_ZN7rocprim17ROCPRIM_400000_NS6detail17trampoline_kernelINS0_14default_configENS1_27scan_by_key_config_selectorIssEEZZNS1_16scan_by_key_implILNS1_25lookback_scan_determinismE0ELb0ES3_N6thrust23THRUST_200600_302600_NS6detail15normal_iteratorINS9_10device_ptrIsEEEESE_SE_sNS9_10multipliesIsEENS9_8equal_toIsEEsEE10hipError_tPvRmT2_T3_T4_T5_mT6_T7_P12ihipStream_tbENKUlT_T0_E_clISt17integral_constantIbLb0EESZ_EEDaSU_SV_EUlSU_E_NS1_11comp_targetILNS1_3genE0ELNS1_11target_archE4294967295ELNS1_3gpuE0ELNS1_3repE0EEENS1_30default_config_static_selectorELNS0_4arch9wavefront6targetE0EEEvT1_
; %bb.0:
	.section	.rodata,"a",@progbits
	.p2align	6, 0x0
	.amdhsa_kernel _ZN7rocprim17ROCPRIM_400000_NS6detail17trampoline_kernelINS0_14default_configENS1_27scan_by_key_config_selectorIssEEZZNS1_16scan_by_key_implILNS1_25lookback_scan_determinismE0ELb0ES3_N6thrust23THRUST_200600_302600_NS6detail15normal_iteratorINS9_10device_ptrIsEEEESE_SE_sNS9_10multipliesIsEENS9_8equal_toIsEEsEE10hipError_tPvRmT2_T3_T4_T5_mT6_T7_P12ihipStream_tbENKUlT_T0_E_clISt17integral_constantIbLb0EESZ_EEDaSU_SV_EUlSU_E_NS1_11comp_targetILNS1_3genE0ELNS1_11target_archE4294967295ELNS1_3gpuE0ELNS1_3repE0EEENS1_30default_config_static_selectorELNS0_4arch9wavefront6targetE0EEEvT1_
		.amdhsa_group_segment_fixed_size 0
		.amdhsa_private_segment_fixed_size 0
		.amdhsa_kernarg_size 112
		.amdhsa_user_sgpr_count 6
		.amdhsa_user_sgpr_private_segment_buffer 1
		.amdhsa_user_sgpr_dispatch_ptr 0
		.amdhsa_user_sgpr_queue_ptr 0
		.amdhsa_user_sgpr_kernarg_segment_ptr 1
		.amdhsa_user_sgpr_dispatch_id 0
		.amdhsa_user_sgpr_flat_scratch_init 0
		.amdhsa_user_sgpr_private_segment_size 0
		.amdhsa_wavefront_size32 1
		.amdhsa_uses_dynamic_stack 0
		.amdhsa_system_sgpr_private_segment_wavefront_offset 0
		.amdhsa_system_sgpr_workgroup_id_x 1
		.amdhsa_system_sgpr_workgroup_id_y 0
		.amdhsa_system_sgpr_workgroup_id_z 0
		.amdhsa_system_sgpr_workgroup_info 0
		.amdhsa_system_vgpr_workitem_id 0
		.amdhsa_next_free_vgpr 1
		.amdhsa_next_free_sgpr 1
		.amdhsa_reserve_vcc 0
		.amdhsa_reserve_flat_scratch 0
		.amdhsa_float_round_mode_32 0
		.amdhsa_float_round_mode_16_64 0
		.amdhsa_float_denorm_mode_32 3
		.amdhsa_float_denorm_mode_16_64 3
		.amdhsa_dx10_clamp 1
		.amdhsa_ieee_mode 1
		.amdhsa_fp16_overflow 0
		.amdhsa_workgroup_processor_mode 1
		.amdhsa_memory_ordered 1
		.amdhsa_forward_progress 1
		.amdhsa_shared_vgpr_count 0
		.amdhsa_exception_fp_ieee_invalid_op 0
		.amdhsa_exception_fp_denorm_src 0
		.amdhsa_exception_fp_ieee_div_zero 0
		.amdhsa_exception_fp_ieee_overflow 0
		.amdhsa_exception_fp_ieee_underflow 0
		.amdhsa_exception_fp_ieee_inexact 0
		.amdhsa_exception_int_div_zero 0
	.end_amdhsa_kernel
	.section	.text._ZN7rocprim17ROCPRIM_400000_NS6detail17trampoline_kernelINS0_14default_configENS1_27scan_by_key_config_selectorIssEEZZNS1_16scan_by_key_implILNS1_25lookback_scan_determinismE0ELb0ES3_N6thrust23THRUST_200600_302600_NS6detail15normal_iteratorINS9_10device_ptrIsEEEESE_SE_sNS9_10multipliesIsEENS9_8equal_toIsEEsEE10hipError_tPvRmT2_T3_T4_T5_mT6_T7_P12ihipStream_tbENKUlT_T0_E_clISt17integral_constantIbLb0EESZ_EEDaSU_SV_EUlSU_E_NS1_11comp_targetILNS1_3genE0ELNS1_11target_archE4294967295ELNS1_3gpuE0ELNS1_3repE0EEENS1_30default_config_static_selectorELNS0_4arch9wavefront6targetE0EEEvT1_,"axG",@progbits,_ZN7rocprim17ROCPRIM_400000_NS6detail17trampoline_kernelINS0_14default_configENS1_27scan_by_key_config_selectorIssEEZZNS1_16scan_by_key_implILNS1_25lookback_scan_determinismE0ELb0ES3_N6thrust23THRUST_200600_302600_NS6detail15normal_iteratorINS9_10device_ptrIsEEEESE_SE_sNS9_10multipliesIsEENS9_8equal_toIsEEsEE10hipError_tPvRmT2_T3_T4_T5_mT6_T7_P12ihipStream_tbENKUlT_T0_E_clISt17integral_constantIbLb0EESZ_EEDaSU_SV_EUlSU_E_NS1_11comp_targetILNS1_3genE0ELNS1_11target_archE4294967295ELNS1_3gpuE0ELNS1_3repE0EEENS1_30default_config_static_selectorELNS0_4arch9wavefront6targetE0EEEvT1_,comdat
.Lfunc_end281:
	.size	_ZN7rocprim17ROCPRIM_400000_NS6detail17trampoline_kernelINS0_14default_configENS1_27scan_by_key_config_selectorIssEEZZNS1_16scan_by_key_implILNS1_25lookback_scan_determinismE0ELb0ES3_N6thrust23THRUST_200600_302600_NS6detail15normal_iteratorINS9_10device_ptrIsEEEESE_SE_sNS9_10multipliesIsEENS9_8equal_toIsEEsEE10hipError_tPvRmT2_T3_T4_T5_mT6_T7_P12ihipStream_tbENKUlT_T0_E_clISt17integral_constantIbLb0EESZ_EEDaSU_SV_EUlSU_E_NS1_11comp_targetILNS1_3genE0ELNS1_11target_archE4294967295ELNS1_3gpuE0ELNS1_3repE0EEENS1_30default_config_static_selectorELNS0_4arch9wavefront6targetE0EEEvT1_, .Lfunc_end281-_ZN7rocprim17ROCPRIM_400000_NS6detail17trampoline_kernelINS0_14default_configENS1_27scan_by_key_config_selectorIssEEZZNS1_16scan_by_key_implILNS1_25lookback_scan_determinismE0ELb0ES3_N6thrust23THRUST_200600_302600_NS6detail15normal_iteratorINS9_10device_ptrIsEEEESE_SE_sNS9_10multipliesIsEENS9_8equal_toIsEEsEE10hipError_tPvRmT2_T3_T4_T5_mT6_T7_P12ihipStream_tbENKUlT_T0_E_clISt17integral_constantIbLb0EESZ_EEDaSU_SV_EUlSU_E_NS1_11comp_targetILNS1_3genE0ELNS1_11target_archE4294967295ELNS1_3gpuE0ELNS1_3repE0EEENS1_30default_config_static_selectorELNS0_4arch9wavefront6targetE0EEEvT1_
                                        ; -- End function
	.set _ZN7rocprim17ROCPRIM_400000_NS6detail17trampoline_kernelINS0_14default_configENS1_27scan_by_key_config_selectorIssEEZZNS1_16scan_by_key_implILNS1_25lookback_scan_determinismE0ELb0ES3_N6thrust23THRUST_200600_302600_NS6detail15normal_iteratorINS9_10device_ptrIsEEEESE_SE_sNS9_10multipliesIsEENS9_8equal_toIsEEsEE10hipError_tPvRmT2_T3_T4_T5_mT6_T7_P12ihipStream_tbENKUlT_T0_E_clISt17integral_constantIbLb0EESZ_EEDaSU_SV_EUlSU_E_NS1_11comp_targetILNS1_3genE0ELNS1_11target_archE4294967295ELNS1_3gpuE0ELNS1_3repE0EEENS1_30default_config_static_selectorELNS0_4arch9wavefront6targetE0EEEvT1_.num_vgpr, 0
	.set _ZN7rocprim17ROCPRIM_400000_NS6detail17trampoline_kernelINS0_14default_configENS1_27scan_by_key_config_selectorIssEEZZNS1_16scan_by_key_implILNS1_25lookback_scan_determinismE0ELb0ES3_N6thrust23THRUST_200600_302600_NS6detail15normal_iteratorINS9_10device_ptrIsEEEESE_SE_sNS9_10multipliesIsEENS9_8equal_toIsEEsEE10hipError_tPvRmT2_T3_T4_T5_mT6_T7_P12ihipStream_tbENKUlT_T0_E_clISt17integral_constantIbLb0EESZ_EEDaSU_SV_EUlSU_E_NS1_11comp_targetILNS1_3genE0ELNS1_11target_archE4294967295ELNS1_3gpuE0ELNS1_3repE0EEENS1_30default_config_static_selectorELNS0_4arch9wavefront6targetE0EEEvT1_.num_agpr, 0
	.set _ZN7rocprim17ROCPRIM_400000_NS6detail17trampoline_kernelINS0_14default_configENS1_27scan_by_key_config_selectorIssEEZZNS1_16scan_by_key_implILNS1_25lookback_scan_determinismE0ELb0ES3_N6thrust23THRUST_200600_302600_NS6detail15normal_iteratorINS9_10device_ptrIsEEEESE_SE_sNS9_10multipliesIsEENS9_8equal_toIsEEsEE10hipError_tPvRmT2_T3_T4_T5_mT6_T7_P12ihipStream_tbENKUlT_T0_E_clISt17integral_constantIbLb0EESZ_EEDaSU_SV_EUlSU_E_NS1_11comp_targetILNS1_3genE0ELNS1_11target_archE4294967295ELNS1_3gpuE0ELNS1_3repE0EEENS1_30default_config_static_selectorELNS0_4arch9wavefront6targetE0EEEvT1_.numbered_sgpr, 0
	.set _ZN7rocprim17ROCPRIM_400000_NS6detail17trampoline_kernelINS0_14default_configENS1_27scan_by_key_config_selectorIssEEZZNS1_16scan_by_key_implILNS1_25lookback_scan_determinismE0ELb0ES3_N6thrust23THRUST_200600_302600_NS6detail15normal_iteratorINS9_10device_ptrIsEEEESE_SE_sNS9_10multipliesIsEENS9_8equal_toIsEEsEE10hipError_tPvRmT2_T3_T4_T5_mT6_T7_P12ihipStream_tbENKUlT_T0_E_clISt17integral_constantIbLb0EESZ_EEDaSU_SV_EUlSU_E_NS1_11comp_targetILNS1_3genE0ELNS1_11target_archE4294967295ELNS1_3gpuE0ELNS1_3repE0EEENS1_30default_config_static_selectorELNS0_4arch9wavefront6targetE0EEEvT1_.num_named_barrier, 0
	.set _ZN7rocprim17ROCPRIM_400000_NS6detail17trampoline_kernelINS0_14default_configENS1_27scan_by_key_config_selectorIssEEZZNS1_16scan_by_key_implILNS1_25lookback_scan_determinismE0ELb0ES3_N6thrust23THRUST_200600_302600_NS6detail15normal_iteratorINS9_10device_ptrIsEEEESE_SE_sNS9_10multipliesIsEENS9_8equal_toIsEEsEE10hipError_tPvRmT2_T3_T4_T5_mT6_T7_P12ihipStream_tbENKUlT_T0_E_clISt17integral_constantIbLb0EESZ_EEDaSU_SV_EUlSU_E_NS1_11comp_targetILNS1_3genE0ELNS1_11target_archE4294967295ELNS1_3gpuE0ELNS1_3repE0EEENS1_30default_config_static_selectorELNS0_4arch9wavefront6targetE0EEEvT1_.private_seg_size, 0
	.set _ZN7rocprim17ROCPRIM_400000_NS6detail17trampoline_kernelINS0_14default_configENS1_27scan_by_key_config_selectorIssEEZZNS1_16scan_by_key_implILNS1_25lookback_scan_determinismE0ELb0ES3_N6thrust23THRUST_200600_302600_NS6detail15normal_iteratorINS9_10device_ptrIsEEEESE_SE_sNS9_10multipliesIsEENS9_8equal_toIsEEsEE10hipError_tPvRmT2_T3_T4_T5_mT6_T7_P12ihipStream_tbENKUlT_T0_E_clISt17integral_constantIbLb0EESZ_EEDaSU_SV_EUlSU_E_NS1_11comp_targetILNS1_3genE0ELNS1_11target_archE4294967295ELNS1_3gpuE0ELNS1_3repE0EEENS1_30default_config_static_selectorELNS0_4arch9wavefront6targetE0EEEvT1_.uses_vcc, 0
	.set _ZN7rocprim17ROCPRIM_400000_NS6detail17trampoline_kernelINS0_14default_configENS1_27scan_by_key_config_selectorIssEEZZNS1_16scan_by_key_implILNS1_25lookback_scan_determinismE0ELb0ES3_N6thrust23THRUST_200600_302600_NS6detail15normal_iteratorINS9_10device_ptrIsEEEESE_SE_sNS9_10multipliesIsEENS9_8equal_toIsEEsEE10hipError_tPvRmT2_T3_T4_T5_mT6_T7_P12ihipStream_tbENKUlT_T0_E_clISt17integral_constantIbLb0EESZ_EEDaSU_SV_EUlSU_E_NS1_11comp_targetILNS1_3genE0ELNS1_11target_archE4294967295ELNS1_3gpuE0ELNS1_3repE0EEENS1_30default_config_static_selectorELNS0_4arch9wavefront6targetE0EEEvT1_.uses_flat_scratch, 0
	.set _ZN7rocprim17ROCPRIM_400000_NS6detail17trampoline_kernelINS0_14default_configENS1_27scan_by_key_config_selectorIssEEZZNS1_16scan_by_key_implILNS1_25lookback_scan_determinismE0ELb0ES3_N6thrust23THRUST_200600_302600_NS6detail15normal_iteratorINS9_10device_ptrIsEEEESE_SE_sNS9_10multipliesIsEENS9_8equal_toIsEEsEE10hipError_tPvRmT2_T3_T4_T5_mT6_T7_P12ihipStream_tbENKUlT_T0_E_clISt17integral_constantIbLb0EESZ_EEDaSU_SV_EUlSU_E_NS1_11comp_targetILNS1_3genE0ELNS1_11target_archE4294967295ELNS1_3gpuE0ELNS1_3repE0EEENS1_30default_config_static_selectorELNS0_4arch9wavefront6targetE0EEEvT1_.has_dyn_sized_stack, 0
	.set _ZN7rocprim17ROCPRIM_400000_NS6detail17trampoline_kernelINS0_14default_configENS1_27scan_by_key_config_selectorIssEEZZNS1_16scan_by_key_implILNS1_25lookback_scan_determinismE0ELb0ES3_N6thrust23THRUST_200600_302600_NS6detail15normal_iteratorINS9_10device_ptrIsEEEESE_SE_sNS9_10multipliesIsEENS9_8equal_toIsEEsEE10hipError_tPvRmT2_T3_T4_T5_mT6_T7_P12ihipStream_tbENKUlT_T0_E_clISt17integral_constantIbLb0EESZ_EEDaSU_SV_EUlSU_E_NS1_11comp_targetILNS1_3genE0ELNS1_11target_archE4294967295ELNS1_3gpuE0ELNS1_3repE0EEENS1_30default_config_static_selectorELNS0_4arch9wavefront6targetE0EEEvT1_.has_recursion, 0
	.set _ZN7rocprim17ROCPRIM_400000_NS6detail17trampoline_kernelINS0_14default_configENS1_27scan_by_key_config_selectorIssEEZZNS1_16scan_by_key_implILNS1_25lookback_scan_determinismE0ELb0ES3_N6thrust23THRUST_200600_302600_NS6detail15normal_iteratorINS9_10device_ptrIsEEEESE_SE_sNS9_10multipliesIsEENS9_8equal_toIsEEsEE10hipError_tPvRmT2_T3_T4_T5_mT6_T7_P12ihipStream_tbENKUlT_T0_E_clISt17integral_constantIbLb0EESZ_EEDaSU_SV_EUlSU_E_NS1_11comp_targetILNS1_3genE0ELNS1_11target_archE4294967295ELNS1_3gpuE0ELNS1_3repE0EEENS1_30default_config_static_selectorELNS0_4arch9wavefront6targetE0EEEvT1_.has_indirect_call, 0
	.section	.AMDGPU.csdata,"",@progbits
; Kernel info:
; codeLenInByte = 0
; TotalNumSgprs: 0
; NumVgprs: 0
; ScratchSize: 0
; MemoryBound: 0
; FloatMode: 240
; IeeeMode: 1
; LDSByteSize: 0 bytes/workgroup (compile time only)
; SGPRBlocks: 0
; VGPRBlocks: 0
; NumSGPRsForWavesPerEU: 1
; NumVGPRsForWavesPerEU: 1
; Occupancy: 16
; WaveLimiterHint : 0
; COMPUTE_PGM_RSRC2:SCRATCH_EN: 0
; COMPUTE_PGM_RSRC2:USER_SGPR: 6
; COMPUTE_PGM_RSRC2:TRAP_HANDLER: 0
; COMPUTE_PGM_RSRC2:TGID_X_EN: 1
; COMPUTE_PGM_RSRC2:TGID_Y_EN: 0
; COMPUTE_PGM_RSRC2:TGID_Z_EN: 0
; COMPUTE_PGM_RSRC2:TIDIG_COMP_CNT: 0
	.section	.text._ZN7rocprim17ROCPRIM_400000_NS6detail17trampoline_kernelINS0_14default_configENS1_27scan_by_key_config_selectorIssEEZZNS1_16scan_by_key_implILNS1_25lookback_scan_determinismE0ELb0ES3_N6thrust23THRUST_200600_302600_NS6detail15normal_iteratorINS9_10device_ptrIsEEEESE_SE_sNS9_10multipliesIsEENS9_8equal_toIsEEsEE10hipError_tPvRmT2_T3_T4_T5_mT6_T7_P12ihipStream_tbENKUlT_T0_E_clISt17integral_constantIbLb0EESZ_EEDaSU_SV_EUlSU_E_NS1_11comp_targetILNS1_3genE10ELNS1_11target_archE1201ELNS1_3gpuE5ELNS1_3repE0EEENS1_30default_config_static_selectorELNS0_4arch9wavefront6targetE0EEEvT1_,"axG",@progbits,_ZN7rocprim17ROCPRIM_400000_NS6detail17trampoline_kernelINS0_14default_configENS1_27scan_by_key_config_selectorIssEEZZNS1_16scan_by_key_implILNS1_25lookback_scan_determinismE0ELb0ES3_N6thrust23THRUST_200600_302600_NS6detail15normal_iteratorINS9_10device_ptrIsEEEESE_SE_sNS9_10multipliesIsEENS9_8equal_toIsEEsEE10hipError_tPvRmT2_T3_T4_T5_mT6_T7_P12ihipStream_tbENKUlT_T0_E_clISt17integral_constantIbLb0EESZ_EEDaSU_SV_EUlSU_E_NS1_11comp_targetILNS1_3genE10ELNS1_11target_archE1201ELNS1_3gpuE5ELNS1_3repE0EEENS1_30default_config_static_selectorELNS0_4arch9wavefront6targetE0EEEvT1_,comdat
	.protected	_ZN7rocprim17ROCPRIM_400000_NS6detail17trampoline_kernelINS0_14default_configENS1_27scan_by_key_config_selectorIssEEZZNS1_16scan_by_key_implILNS1_25lookback_scan_determinismE0ELb0ES3_N6thrust23THRUST_200600_302600_NS6detail15normal_iteratorINS9_10device_ptrIsEEEESE_SE_sNS9_10multipliesIsEENS9_8equal_toIsEEsEE10hipError_tPvRmT2_T3_T4_T5_mT6_T7_P12ihipStream_tbENKUlT_T0_E_clISt17integral_constantIbLb0EESZ_EEDaSU_SV_EUlSU_E_NS1_11comp_targetILNS1_3genE10ELNS1_11target_archE1201ELNS1_3gpuE5ELNS1_3repE0EEENS1_30default_config_static_selectorELNS0_4arch9wavefront6targetE0EEEvT1_ ; -- Begin function _ZN7rocprim17ROCPRIM_400000_NS6detail17trampoline_kernelINS0_14default_configENS1_27scan_by_key_config_selectorIssEEZZNS1_16scan_by_key_implILNS1_25lookback_scan_determinismE0ELb0ES3_N6thrust23THRUST_200600_302600_NS6detail15normal_iteratorINS9_10device_ptrIsEEEESE_SE_sNS9_10multipliesIsEENS9_8equal_toIsEEsEE10hipError_tPvRmT2_T3_T4_T5_mT6_T7_P12ihipStream_tbENKUlT_T0_E_clISt17integral_constantIbLb0EESZ_EEDaSU_SV_EUlSU_E_NS1_11comp_targetILNS1_3genE10ELNS1_11target_archE1201ELNS1_3gpuE5ELNS1_3repE0EEENS1_30default_config_static_selectorELNS0_4arch9wavefront6targetE0EEEvT1_
	.globl	_ZN7rocprim17ROCPRIM_400000_NS6detail17trampoline_kernelINS0_14default_configENS1_27scan_by_key_config_selectorIssEEZZNS1_16scan_by_key_implILNS1_25lookback_scan_determinismE0ELb0ES3_N6thrust23THRUST_200600_302600_NS6detail15normal_iteratorINS9_10device_ptrIsEEEESE_SE_sNS9_10multipliesIsEENS9_8equal_toIsEEsEE10hipError_tPvRmT2_T3_T4_T5_mT6_T7_P12ihipStream_tbENKUlT_T0_E_clISt17integral_constantIbLb0EESZ_EEDaSU_SV_EUlSU_E_NS1_11comp_targetILNS1_3genE10ELNS1_11target_archE1201ELNS1_3gpuE5ELNS1_3repE0EEENS1_30default_config_static_selectorELNS0_4arch9wavefront6targetE0EEEvT1_
	.p2align	8
	.type	_ZN7rocprim17ROCPRIM_400000_NS6detail17trampoline_kernelINS0_14default_configENS1_27scan_by_key_config_selectorIssEEZZNS1_16scan_by_key_implILNS1_25lookback_scan_determinismE0ELb0ES3_N6thrust23THRUST_200600_302600_NS6detail15normal_iteratorINS9_10device_ptrIsEEEESE_SE_sNS9_10multipliesIsEENS9_8equal_toIsEEsEE10hipError_tPvRmT2_T3_T4_T5_mT6_T7_P12ihipStream_tbENKUlT_T0_E_clISt17integral_constantIbLb0EESZ_EEDaSU_SV_EUlSU_E_NS1_11comp_targetILNS1_3genE10ELNS1_11target_archE1201ELNS1_3gpuE5ELNS1_3repE0EEENS1_30default_config_static_selectorELNS0_4arch9wavefront6targetE0EEEvT1_,@function
_ZN7rocprim17ROCPRIM_400000_NS6detail17trampoline_kernelINS0_14default_configENS1_27scan_by_key_config_selectorIssEEZZNS1_16scan_by_key_implILNS1_25lookback_scan_determinismE0ELb0ES3_N6thrust23THRUST_200600_302600_NS6detail15normal_iteratorINS9_10device_ptrIsEEEESE_SE_sNS9_10multipliesIsEENS9_8equal_toIsEEsEE10hipError_tPvRmT2_T3_T4_T5_mT6_T7_P12ihipStream_tbENKUlT_T0_E_clISt17integral_constantIbLb0EESZ_EEDaSU_SV_EUlSU_E_NS1_11comp_targetILNS1_3genE10ELNS1_11target_archE1201ELNS1_3gpuE5ELNS1_3repE0EEENS1_30default_config_static_selectorELNS0_4arch9wavefront6targetE0EEEvT1_: ; @_ZN7rocprim17ROCPRIM_400000_NS6detail17trampoline_kernelINS0_14default_configENS1_27scan_by_key_config_selectorIssEEZZNS1_16scan_by_key_implILNS1_25lookback_scan_determinismE0ELb0ES3_N6thrust23THRUST_200600_302600_NS6detail15normal_iteratorINS9_10device_ptrIsEEEESE_SE_sNS9_10multipliesIsEENS9_8equal_toIsEEsEE10hipError_tPvRmT2_T3_T4_T5_mT6_T7_P12ihipStream_tbENKUlT_T0_E_clISt17integral_constantIbLb0EESZ_EEDaSU_SV_EUlSU_E_NS1_11comp_targetILNS1_3genE10ELNS1_11target_archE1201ELNS1_3gpuE5ELNS1_3repE0EEENS1_30default_config_static_selectorELNS0_4arch9wavefront6targetE0EEEvT1_
; %bb.0:
	.section	.rodata,"a",@progbits
	.p2align	6, 0x0
	.amdhsa_kernel _ZN7rocprim17ROCPRIM_400000_NS6detail17trampoline_kernelINS0_14default_configENS1_27scan_by_key_config_selectorIssEEZZNS1_16scan_by_key_implILNS1_25lookback_scan_determinismE0ELb0ES3_N6thrust23THRUST_200600_302600_NS6detail15normal_iteratorINS9_10device_ptrIsEEEESE_SE_sNS9_10multipliesIsEENS9_8equal_toIsEEsEE10hipError_tPvRmT2_T3_T4_T5_mT6_T7_P12ihipStream_tbENKUlT_T0_E_clISt17integral_constantIbLb0EESZ_EEDaSU_SV_EUlSU_E_NS1_11comp_targetILNS1_3genE10ELNS1_11target_archE1201ELNS1_3gpuE5ELNS1_3repE0EEENS1_30default_config_static_selectorELNS0_4arch9wavefront6targetE0EEEvT1_
		.amdhsa_group_segment_fixed_size 0
		.amdhsa_private_segment_fixed_size 0
		.amdhsa_kernarg_size 112
		.amdhsa_user_sgpr_count 6
		.amdhsa_user_sgpr_private_segment_buffer 1
		.amdhsa_user_sgpr_dispatch_ptr 0
		.amdhsa_user_sgpr_queue_ptr 0
		.amdhsa_user_sgpr_kernarg_segment_ptr 1
		.amdhsa_user_sgpr_dispatch_id 0
		.amdhsa_user_sgpr_flat_scratch_init 0
		.amdhsa_user_sgpr_private_segment_size 0
		.amdhsa_wavefront_size32 1
		.amdhsa_uses_dynamic_stack 0
		.amdhsa_system_sgpr_private_segment_wavefront_offset 0
		.amdhsa_system_sgpr_workgroup_id_x 1
		.amdhsa_system_sgpr_workgroup_id_y 0
		.amdhsa_system_sgpr_workgroup_id_z 0
		.amdhsa_system_sgpr_workgroup_info 0
		.amdhsa_system_vgpr_workitem_id 0
		.amdhsa_next_free_vgpr 1
		.amdhsa_next_free_sgpr 1
		.amdhsa_reserve_vcc 0
		.amdhsa_reserve_flat_scratch 0
		.amdhsa_float_round_mode_32 0
		.amdhsa_float_round_mode_16_64 0
		.amdhsa_float_denorm_mode_32 3
		.amdhsa_float_denorm_mode_16_64 3
		.amdhsa_dx10_clamp 1
		.amdhsa_ieee_mode 1
		.amdhsa_fp16_overflow 0
		.amdhsa_workgroup_processor_mode 1
		.amdhsa_memory_ordered 1
		.amdhsa_forward_progress 1
		.amdhsa_shared_vgpr_count 0
		.amdhsa_exception_fp_ieee_invalid_op 0
		.amdhsa_exception_fp_denorm_src 0
		.amdhsa_exception_fp_ieee_div_zero 0
		.amdhsa_exception_fp_ieee_overflow 0
		.amdhsa_exception_fp_ieee_underflow 0
		.amdhsa_exception_fp_ieee_inexact 0
		.amdhsa_exception_int_div_zero 0
	.end_amdhsa_kernel
	.section	.text._ZN7rocprim17ROCPRIM_400000_NS6detail17trampoline_kernelINS0_14default_configENS1_27scan_by_key_config_selectorIssEEZZNS1_16scan_by_key_implILNS1_25lookback_scan_determinismE0ELb0ES3_N6thrust23THRUST_200600_302600_NS6detail15normal_iteratorINS9_10device_ptrIsEEEESE_SE_sNS9_10multipliesIsEENS9_8equal_toIsEEsEE10hipError_tPvRmT2_T3_T4_T5_mT6_T7_P12ihipStream_tbENKUlT_T0_E_clISt17integral_constantIbLb0EESZ_EEDaSU_SV_EUlSU_E_NS1_11comp_targetILNS1_3genE10ELNS1_11target_archE1201ELNS1_3gpuE5ELNS1_3repE0EEENS1_30default_config_static_selectorELNS0_4arch9wavefront6targetE0EEEvT1_,"axG",@progbits,_ZN7rocprim17ROCPRIM_400000_NS6detail17trampoline_kernelINS0_14default_configENS1_27scan_by_key_config_selectorIssEEZZNS1_16scan_by_key_implILNS1_25lookback_scan_determinismE0ELb0ES3_N6thrust23THRUST_200600_302600_NS6detail15normal_iteratorINS9_10device_ptrIsEEEESE_SE_sNS9_10multipliesIsEENS9_8equal_toIsEEsEE10hipError_tPvRmT2_T3_T4_T5_mT6_T7_P12ihipStream_tbENKUlT_T0_E_clISt17integral_constantIbLb0EESZ_EEDaSU_SV_EUlSU_E_NS1_11comp_targetILNS1_3genE10ELNS1_11target_archE1201ELNS1_3gpuE5ELNS1_3repE0EEENS1_30default_config_static_selectorELNS0_4arch9wavefront6targetE0EEEvT1_,comdat
.Lfunc_end282:
	.size	_ZN7rocprim17ROCPRIM_400000_NS6detail17trampoline_kernelINS0_14default_configENS1_27scan_by_key_config_selectorIssEEZZNS1_16scan_by_key_implILNS1_25lookback_scan_determinismE0ELb0ES3_N6thrust23THRUST_200600_302600_NS6detail15normal_iteratorINS9_10device_ptrIsEEEESE_SE_sNS9_10multipliesIsEENS9_8equal_toIsEEsEE10hipError_tPvRmT2_T3_T4_T5_mT6_T7_P12ihipStream_tbENKUlT_T0_E_clISt17integral_constantIbLb0EESZ_EEDaSU_SV_EUlSU_E_NS1_11comp_targetILNS1_3genE10ELNS1_11target_archE1201ELNS1_3gpuE5ELNS1_3repE0EEENS1_30default_config_static_selectorELNS0_4arch9wavefront6targetE0EEEvT1_, .Lfunc_end282-_ZN7rocprim17ROCPRIM_400000_NS6detail17trampoline_kernelINS0_14default_configENS1_27scan_by_key_config_selectorIssEEZZNS1_16scan_by_key_implILNS1_25lookback_scan_determinismE0ELb0ES3_N6thrust23THRUST_200600_302600_NS6detail15normal_iteratorINS9_10device_ptrIsEEEESE_SE_sNS9_10multipliesIsEENS9_8equal_toIsEEsEE10hipError_tPvRmT2_T3_T4_T5_mT6_T7_P12ihipStream_tbENKUlT_T0_E_clISt17integral_constantIbLb0EESZ_EEDaSU_SV_EUlSU_E_NS1_11comp_targetILNS1_3genE10ELNS1_11target_archE1201ELNS1_3gpuE5ELNS1_3repE0EEENS1_30default_config_static_selectorELNS0_4arch9wavefront6targetE0EEEvT1_
                                        ; -- End function
	.set _ZN7rocprim17ROCPRIM_400000_NS6detail17trampoline_kernelINS0_14default_configENS1_27scan_by_key_config_selectorIssEEZZNS1_16scan_by_key_implILNS1_25lookback_scan_determinismE0ELb0ES3_N6thrust23THRUST_200600_302600_NS6detail15normal_iteratorINS9_10device_ptrIsEEEESE_SE_sNS9_10multipliesIsEENS9_8equal_toIsEEsEE10hipError_tPvRmT2_T3_T4_T5_mT6_T7_P12ihipStream_tbENKUlT_T0_E_clISt17integral_constantIbLb0EESZ_EEDaSU_SV_EUlSU_E_NS1_11comp_targetILNS1_3genE10ELNS1_11target_archE1201ELNS1_3gpuE5ELNS1_3repE0EEENS1_30default_config_static_selectorELNS0_4arch9wavefront6targetE0EEEvT1_.num_vgpr, 0
	.set _ZN7rocprim17ROCPRIM_400000_NS6detail17trampoline_kernelINS0_14default_configENS1_27scan_by_key_config_selectorIssEEZZNS1_16scan_by_key_implILNS1_25lookback_scan_determinismE0ELb0ES3_N6thrust23THRUST_200600_302600_NS6detail15normal_iteratorINS9_10device_ptrIsEEEESE_SE_sNS9_10multipliesIsEENS9_8equal_toIsEEsEE10hipError_tPvRmT2_T3_T4_T5_mT6_T7_P12ihipStream_tbENKUlT_T0_E_clISt17integral_constantIbLb0EESZ_EEDaSU_SV_EUlSU_E_NS1_11comp_targetILNS1_3genE10ELNS1_11target_archE1201ELNS1_3gpuE5ELNS1_3repE0EEENS1_30default_config_static_selectorELNS0_4arch9wavefront6targetE0EEEvT1_.num_agpr, 0
	.set _ZN7rocprim17ROCPRIM_400000_NS6detail17trampoline_kernelINS0_14default_configENS1_27scan_by_key_config_selectorIssEEZZNS1_16scan_by_key_implILNS1_25lookback_scan_determinismE0ELb0ES3_N6thrust23THRUST_200600_302600_NS6detail15normal_iteratorINS9_10device_ptrIsEEEESE_SE_sNS9_10multipliesIsEENS9_8equal_toIsEEsEE10hipError_tPvRmT2_T3_T4_T5_mT6_T7_P12ihipStream_tbENKUlT_T0_E_clISt17integral_constantIbLb0EESZ_EEDaSU_SV_EUlSU_E_NS1_11comp_targetILNS1_3genE10ELNS1_11target_archE1201ELNS1_3gpuE5ELNS1_3repE0EEENS1_30default_config_static_selectorELNS0_4arch9wavefront6targetE0EEEvT1_.numbered_sgpr, 0
	.set _ZN7rocprim17ROCPRIM_400000_NS6detail17trampoline_kernelINS0_14default_configENS1_27scan_by_key_config_selectorIssEEZZNS1_16scan_by_key_implILNS1_25lookback_scan_determinismE0ELb0ES3_N6thrust23THRUST_200600_302600_NS6detail15normal_iteratorINS9_10device_ptrIsEEEESE_SE_sNS9_10multipliesIsEENS9_8equal_toIsEEsEE10hipError_tPvRmT2_T3_T4_T5_mT6_T7_P12ihipStream_tbENKUlT_T0_E_clISt17integral_constantIbLb0EESZ_EEDaSU_SV_EUlSU_E_NS1_11comp_targetILNS1_3genE10ELNS1_11target_archE1201ELNS1_3gpuE5ELNS1_3repE0EEENS1_30default_config_static_selectorELNS0_4arch9wavefront6targetE0EEEvT1_.num_named_barrier, 0
	.set _ZN7rocprim17ROCPRIM_400000_NS6detail17trampoline_kernelINS0_14default_configENS1_27scan_by_key_config_selectorIssEEZZNS1_16scan_by_key_implILNS1_25lookback_scan_determinismE0ELb0ES3_N6thrust23THRUST_200600_302600_NS6detail15normal_iteratorINS9_10device_ptrIsEEEESE_SE_sNS9_10multipliesIsEENS9_8equal_toIsEEsEE10hipError_tPvRmT2_T3_T4_T5_mT6_T7_P12ihipStream_tbENKUlT_T0_E_clISt17integral_constantIbLb0EESZ_EEDaSU_SV_EUlSU_E_NS1_11comp_targetILNS1_3genE10ELNS1_11target_archE1201ELNS1_3gpuE5ELNS1_3repE0EEENS1_30default_config_static_selectorELNS0_4arch9wavefront6targetE0EEEvT1_.private_seg_size, 0
	.set _ZN7rocprim17ROCPRIM_400000_NS6detail17trampoline_kernelINS0_14default_configENS1_27scan_by_key_config_selectorIssEEZZNS1_16scan_by_key_implILNS1_25lookback_scan_determinismE0ELb0ES3_N6thrust23THRUST_200600_302600_NS6detail15normal_iteratorINS9_10device_ptrIsEEEESE_SE_sNS9_10multipliesIsEENS9_8equal_toIsEEsEE10hipError_tPvRmT2_T3_T4_T5_mT6_T7_P12ihipStream_tbENKUlT_T0_E_clISt17integral_constantIbLb0EESZ_EEDaSU_SV_EUlSU_E_NS1_11comp_targetILNS1_3genE10ELNS1_11target_archE1201ELNS1_3gpuE5ELNS1_3repE0EEENS1_30default_config_static_selectorELNS0_4arch9wavefront6targetE0EEEvT1_.uses_vcc, 0
	.set _ZN7rocprim17ROCPRIM_400000_NS6detail17trampoline_kernelINS0_14default_configENS1_27scan_by_key_config_selectorIssEEZZNS1_16scan_by_key_implILNS1_25lookback_scan_determinismE0ELb0ES3_N6thrust23THRUST_200600_302600_NS6detail15normal_iteratorINS9_10device_ptrIsEEEESE_SE_sNS9_10multipliesIsEENS9_8equal_toIsEEsEE10hipError_tPvRmT2_T3_T4_T5_mT6_T7_P12ihipStream_tbENKUlT_T0_E_clISt17integral_constantIbLb0EESZ_EEDaSU_SV_EUlSU_E_NS1_11comp_targetILNS1_3genE10ELNS1_11target_archE1201ELNS1_3gpuE5ELNS1_3repE0EEENS1_30default_config_static_selectorELNS0_4arch9wavefront6targetE0EEEvT1_.uses_flat_scratch, 0
	.set _ZN7rocprim17ROCPRIM_400000_NS6detail17trampoline_kernelINS0_14default_configENS1_27scan_by_key_config_selectorIssEEZZNS1_16scan_by_key_implILNS1_25lookback_scan_determinismE0ELb0ES3_N6thrust23THRUST_200600_302600_NS6detail15normal_iteratorINS9_10device_ptrIsEEEESE_SE_sNS9_10multipliesIsEENS9_8equal_toIsEEsEE10hipError_tPvRmT2_T3_T4_T5_mT6_T7_P12ihipStream_tbENKUlT_T0_E_clISt17integral_constantIbLb0EESZ_EEDaSU_SV_EUlSU_E_NS1_11comp_targetILNS1_3genE10ELNS1_11target_archE1201ELNS1_3gpuE5ELNS1_3repE0EEENS1_30default_config_static_selectorELNS0_4arch9wavefront6targetE0EEEvT1_.has_dyn_sized_stack, 0
	.set _ZN7rocprim17ROCPRIM_400000_NS6detail17trampoline_kernelINS0_14default_configENS1_27scan_by_key_config_selectorIssEEZZNS1_16scan_by_key_implILNS1_25lookback_scan_determinismE0ELb0ES3_N6thrust23THRUST_200600_302600_NS6detail15normal_iteratorINS9_10device_ptrIsEEEESE_SE_sNS9_10multipliesIsEENS9_8equal_toIsEEsEE10hipError_tPvRmT2_T3_T4_T5_mT6_T7_P12ihipStream_tbENKUlT_T0_E_clISt17integral_constantIbLb0EESZ_EEDaSU_SV_EUlSU_E_NS1_11comp_targetILNS1_3genE10ELNS1_11target_archE1201ELNS1_3gpuE5ELNS1_3repE0EEENS1_30default_config_static_selectorELNS0_4arch9wavefront6targetE0EEEvT1_.has_recursion, 0
	.set _ZN7rocprim17ROCPRIM_400000_NS6detail17trampoline_kernelINS0_14default_configENS1_27scan_by_key_config_selectorIssEEZZNS1_16scan_by_key_implILNS1_25lookback_scan_determinismE0ELb0ES3_N6thrust23THRUST_200600_302600_NS6detail15normal_iteratorINS9_10device_ptrIsEEEESE_SE_sNS9_10multipliesIsEENS9_8equal_toIsEEsEE10hipError_tPvRmT2_T3_T4_T5_mT6_T7_P12ihipStream_tbENKUlT_T0_E_clISt17integral_constantIbLb0EESZ_EEDaSU_SV_EUlSU_E_NS1_11comp_targetILNS1_3genE10ELNS1_11target_archE1201ELNS1_3gpuE5ELNS1_3repE0EEENS1_30default_config_static_selectorELNS0_4arch9wavefront6targetE0EEEvT1_.has_indirect_call, 0
	.section	.AMDGPU.csdata,"",@progbits
; Kernel info:
; codeLenInByte = 0
; TotalNumSgprs: 0
; NumVgprs: 0
; ScratchSize: 0
; MemoryBound: 0
; FloatMode: 240
; IeeeMode: 1
; LDSByteSize: 0 bytes/workgroup (compile time only)
; SGPRBlocks: 0
; VGPRBlocks: 0
; NumSGPRsForWavesPerEU: 1
; NumVGPRsForWavesPerEU: 1
; Occupancy: 16
; WaveLimiterHint : 0
; COMPUTE_PGM_RSRC2:SCRATCH_EN: 0
; COMPUTE_PGM_RSRC2:USER_SGPR: 6
; COMPUTE_PGM_RSRC2:TRAP_HANDLER: 0
; COMPUTE_PGM_RSRC2:TGID_X_EN: 1
; COMPUTE_PGM_RSRC2:TGID_Y_EN: 0
; COMPUTE_PGM_RSRC2:TGID_Z_EN: 0
; COMPUTE_PGM_RSRC2:TIDIG_COMP_CNT: 0
	.section	.text._ZN7rocprim17ROCPRIM_400000_NS6detail17trampoline_kernelINS0_14default_configENS1_27scan_by_key_config_selectorIssEEZZNS1_16scan_by_key_implILNS1_25lookback_scan_determinismE0ELb0ES3_N6thrust23THRUST_200600_302600_NS6detail15normal_iteratorINS9_10device_ptrIsEEEESE_SE_sNS9_10multipliesIsEENS9_8equal_toIsEEsEE10hipError_tPvRmT2_T3_T4_T5_mT6_T7_P12ihipStream_tbENKUlT_T0_E_clISt17integral_constantIbLb0EESZ_EEDaSU_SV_EUlSU_E_NS1_11comp_targetILNS1_3genE5ELNS1_11target_archE942ELNS1_3gpuE9ELNS1_3repE0EEENS1_30default_config_static_selectorELNS0_4arch9wavefront6targetE0EEEvT1_,"axG",@progbits,_ZN7rocprim17ROCPRIM_400000_NS6detail17trampoline_kernelINS0_14default_configENS1_27scan_by_key_config_selectorIssEEZZNS1_16scan_by_key_implILNS1_25lookback_scan_determinismE0ELb0ES3_N6thrust23THRUST_200600_302600_NS6detail15normal_iteratorINS9_10device_ptrIsEEEESE_SE_sNS9_10multipliesIsEENS9_8equal_toIsEEsEE10hipError_tPvRmT2_T3_T4_T5_mT6_T7_P12ihipStream_tbENKUlT_T0_E_clISt17integral_constantIbLb0EESZ_EEDaSU_SV_EUlSU_E_NS1_11comp_targetILNS1_3genE5ELNS1_11target_archE942ELNS1_3gpuE9ELNS1_3repE0EEENS1_30default_config_static_selectorELNS0_4arch9wavefront6targetE0EEEvT1_,comdat
	.protected	_ZN7rocprim17ROCPRIM_400000_NS6detail17trampoline_kernelINS0_14default_configENS1_27scan_by_key_config_selectorIssEEZZNS1_16scan_by_key_implILNS1_25lookback_scan_determinismE0ELb0ES3_N6thrust23THRUST_200600_302600_NS6detail15normal_iteratorINS9_10device_ptrIsEEEESE_SE_sNS9_10multipliesIsEENS9_8equal_toIsEEsEE10hipError_tPvRmT2_T3_T4_T5_mT6_T7_P12ihipStream_tbENKUlT_T0_E_clISt17integral_constantIbLb0EESZ_EEDaSU_SV_EUlSU_E_NS1_11comp_targetILNS1_3genE5ELNS1_11target_archE942ELNS1_3gpuE9ELNS1_3repE0EEENS1_30default_config_static_selectorELNS0_4arch9wavefront6targetE0EEEvT1_ ; -- Begin function _ZN7rocprim17ROCPRIM_400000_NS6detail17trampoline_kernelINS0_14default_configENS1_27scan_by_key_config_selectorIssEEZZNS1_16scan_by_key_implILNS1_25lookback_scan_determinismE0ELb0ES3_N6thrust23THRUST_200600_302600_NS6detail15normal_iteratorINS9_10device_ptrIsEEEESE_SE_sNS9_10multipliesIsEENS9_8equal_toIsEEsEE10hipError_tPvRmT2_T3_T4_T5_mT6_T7_P12ihipStream_tbENKUlT_T0_E_clISt17integral_constantIbLb0EESZ_EEDaSU_SV_EUlSU_E_NS1_11comp_targetILNS1_3genE5ELNS1_11target_archE942ELNS1_3gpuE9ELNS1_3repE0EEENS1_30default_config_static_selectorELNS0_4arch9wavefront6targetE0EEEvT1_
	.globl	_ZN7rocprim17ROCPRIM_400000_NS6detail17trampoline_kernelINS0_14default_configENS1_27scan_by_key_config_selectorIssEEZZNS1_16scan_by_key_implILNS1_25lookback_scan_determinismE0ELb0ES3_N6thrust23THRUST_200600_302600_NS6detail15normal_iteratorINS9_10device_ptrIsEEEESE_SE_sNS9_10multipliesIsEENS9_8equal_toIsEEsEE10hipError_tPvRmT2_T3_T4_T5_mT6_T7_P12ihipStream_tbENKUlT_T0_E_clISt17integral_constantIbLb0EESZ_EEDaSU_SV_EUlSU_E_NS1_11comp_targetILNS1_3genE5ELNS1_11target_archE942ELNS1_3gpuE9ELNS1_3repE0EEENS1_30default_config_static_selectorELNS0_4arch9wavefront6targetE0EEEvT1_
	.p2align	8
	.type	_ZN7rocprim17ROCPRIM_400000_NS6detail17trampoline_kernelINS0_14default_configENS1_27scan_by_key_config_selectorIssEEZZNS1_16scan_by_key_implILNS1_25lookback_scan_determinismE0ELb0ES3_N6thrust23THRUST_200600_302600_NS6detail15normal_iteratorINS9_10device_ptrIsEEEESE_SE_sNS9_10multipliesIsEENS9_8equal_toIsEEsEE10hipError_tPvRmT2_T3_T4_T5_mT6_T7_P12ihipStream_tbENKUlT_T0_E_clISt17integral_constantIbLb0EESZ_EEDaSU_SV_EUlSU_E_NS1_11comp_targetILNS1_3genE5ELNS1_11target_archE942ELNS1_3gpuE9ELNS1_3repE0EEENS1_30default_config_static_selectorELNS0_4arch9wavefront6targetE0EEEvT1_,@function
_ZN7rocprim17ROCPRIM_400000_NS6detail17trampoline_kernelINS0_14default_configENS1_27scan_by_key_config_selectorIssEEZZNS1_16scan_by_key_implILNS1_25lookback_scan_determinismE0ELb0ES3_N6thrust23THRUST_200600_302600_NS6detail15normal_iteratorINS9_10device_ptrIsEEEESE_SE_sNS9_10multipliesIsEENS9_8equal_toIsEEsEE10hipError_tPvRmT2_T3_T4_T5_mT6_T7_P12ihipStream_tbENKUlT_T0_E_clISt17integral_constantIbLb0EESZ_EEDaSU_SV_EUlSU_E_NS1_11comp_targetILNS1_3genE5ELNS1_11target_archE942ELNS1_3gpuE9ELNS1_3repE0EEENS1_30default_config_static_selectorELNS0_4arch9wavefront6targetE0EEEvT1_: ; @_ZN7rocprim17ROCPRIM_400000_NS6detail17trampoline_kernelINS0_14default_configENS1_27scan_by_key_config_selectorIssEEZZNS1_16scan_by_key_implILNS1_25lookback_scan_determinismE0ELb0ES3_N6thrust23THRUST_200600_302600_NS6detail15normal_iteratorINS9_10device_ptrIsEEEESE_SE_sNS9_10multipliesIsEENS9_8equal_toIsEEsEE10hipError_tPvRmT2_T3_T4_T5_mT6_T7_P12ihipStream_tbENKUlT_T0_E_clISt17integral_constantIbLb0EESZ_EEDaSU_SV_EUlSU_E_NS1_11comp_targetILNS1_3genE5ELNS1_11target_archE942ELNS1_3gpuE9ELNS1_3repE0EEENS1_30default_config_static_selectorELNS0_4arch9wavefront6targetE0EEEvT1_
; %bb.0:
	.section	.rodata,"a",@progbits
	.p2align	6, 0x0
	.amdhsa_kernel _ZN7rocprim17ROCPRIM_400000_NS6detail17trampoline_kernelINS0_14default_configENS1_27scan_by_key_config_selectorIssEEZZNS1_16scan_by_key_implILNS1_25lookback_scan_determinismE0ELb0ES3_N6thrust23THRUST_200600_302600_NS6detail15normal_iteratorINS9_10device_ptrIsEEEESE_SE_sNS9_10multipliesIsEENS9_8equal_toIsEEsEE10hipError_tPvRmT2_T3_T4_T5_mT6_T7_P12ihipStream_tbENKUlT_T0_E_clISt17integral_constantIbLb0EESZ_EEDaSU_SV_EUlSU_E_NS1_11comp_targetILNS1_3genE5ELNS1_11target_archE942ELNS1_3gpuE9ELNS1_3repE0EEENS1_30default_config_static_selectorELNS0_4arch9wavefront6targetE0EEEvT1_
		.amdhsa_group_segment_fixed_size 0
		.amdhsa_private_segment_fixed_size 0
		.amdhsa_kernarg_size 112
		.amdhsa_user_sgpr_count 6
		.amdhsa_user_sgpr_private_segment_buffer 1
		.amdhsa_user_sgpr_dispatch_ptr 0
		.amdhsa_user_sgpr_queue_ptr 0
		.amdhsa_user_sgpr_kernarg_segment_ptr 1
		.amdhsa_user_sgpr_dispatch_id 0
		.amdhsa_user_sgpr_flat_scratch_init 0
		.amdhsa_user_sgpr_private_segment_size 0
		.amdhsa_wavefront_size32 1
		.amdhsa_uses_dynamic_stack 0
		.amdhsa_system_sgpr_private_segment_wavefront_offset 0
		.amdhsa_system_sgpr_workgroup_id_x 1
		.amdhsa_system_sgpr_workgroup_id_y 0
		.amdhsa_system_sgpr_workgroup_id_z 0
		.amdhsa_system_sgpr_workgroup_info 0
		.amdhsa_system_vgpr_workitem_id 0
		.amdhsa_next_free_vgpr 1
		.amdhsa_next_free_sgpr 1
		.amdhsa_reserve_vcc 0
		.amdhsa_reserve_flat_scratch 0
		.amdhsa_float_round_mode_32 0
		.amdhsa_float_round_mode_16_64 0
		.amdhsa_float_denorm_mode_32 3
		.amdhsa_float_denorm_mode_16_64 3
		.amdhsa_dx10_clamp 1
		.amdhsa_ieee_mode 1
		.amdhsa_fp16_overflow 0
		.amdhsa_workgroup_processor_mode 1
		.amdhsa_memory_ordered 1
		.amdhsa_forward_progress 1
		.amdhsa_shared_vgpr_count 0
		.amdhsa_exception_fp_ieee_invalid_op 0
		.amdhsa_exception_fp_denorm_src 0
		.amdhsa_exception_fp_ieee_div_zero 0
		.amdhsa_exception_fp_ieee_overflow 0
		.amdhsa_exception_fp_ieee_underflow 0
		.amdhsa_exception_fp_ieee_inexact 0
		.amdhsa_exception_int_div_zero 0
	.end_amdhsa_kernel
	.section	.text._ZN7rocprim17ROCPRIM_400000_NS6detail17trampoline_kernelINS0_14default_configENS1_27scan_by_key_config_selectorIssEEZZNS1_16scan_by_key_implILNS1_25lookback_scan_determinismE0ELb0ES3_N6thrust23THRUST_200600_302600_NS6detail15normal_iteratorINS9_10device_ptrIsEEEESE_SE_sNS9_10multipliesIsEENS9_8equal_toIsEEsEE10hipError_tPvRmT2_T3_T4_T5_mT6_T7_P12ihipStream_tbENKUlT_T0_E_clISt17integral_constantIbLb0EESZ_EEDaSU_SV_EUlSU_E_NS1_11comp_targetILNS1_3genE5ELNS1_11target_archE942ELNS1_3gpuE9ELNS1_3repE0EEENS1_30default_config_static_selectorELNS0_4arch9wavefront6targetE0EEEvT1_,"axG",@progbits,_ZN7rocprim17ROCPRIM_400000_NS6detail17trampoline_kernelINS0_14default_configENS1_27scan_by_key_config_selectorIssEEZZNS1_16scan_by_key_implILNS1_25lookback_scan_determinismE0ELb0ES3_N6thrust23THRUST_200600_302600_NS6detail15normal_iteratorINS9_10device_ptrIsEEEESE_SE_sNS9_10multipliesIsEENS9_8equal_toIsEEsEE10hipError_tPvRmT2_T3_T4_T5_mT6_T7_P12ihipStream_tbENKUlT_T0_E_clISt17integral_constantIbLb0EESZ_EEDaSU_SV_EUlSU_E_NS1_11comp_targetILNS1_3genE5ELNS1_11target_archE942ELNS1_3gpuE9ELNS1_3repE0EEENS1_30default_config_static_selectorELNS0_4arch9wavefront6targetE0EEEvT1_,comdat
.Lfunc_end283:
	.size	_ZN7rocprim17ROCPRIM_400000_NS6detail17trampoline_kernelINS0_14default_configENS1_27scan_by_key_config_selectorIssEEZZNS1_16scan_by_key_implILNS1_25lookback_scan_determinismE0ELb0ES3_N6thrust23THRUST_200600_302600_NS6detail15normal_iteratorINS9_10device_ptrIsEEEESE_SE_sNS9_10multipliesIsEENS9_8equal_toIsEEsEE10hipError_tPvRmT2_T3_T4_T5_mT6_T7_P12ihipStream_tbENKUlT_T0_E_clISt17integral_constantIbLb0EESZ_EEDaSU_SV_EUlSU_E_NS1_11comp_targetILNS1_3genE5ELNS1_11target_archE942ELNS1_3gpuE9ELNS1_3repE0EEENS1_30default_config_static_selectorELNS0_4arch9wavefront6targetE0EEEvT1_, .Lfunc_end283-_ZN7rocprim17ROCPRIM_400000_NS6detail17trampoline_kernelINS0_14default_configENS1_27scan_by_key_config_selectorIssEEZZNS1_16scan_by_key_implILNS1_25lookback_scan_determinismE0ELb0ES3_N6thrust23THRUST_200600_302600_NS6detail15normal_iteratorINS9_10device_ptrIsEEEESE_SE_sNS9_10multipliesIsEENS9_8equal_toIsEEsEE10hipError_tPvRmT2_T3_T4_T5_mT6_T7_P12ihipStream_tbENKUlT_T0_E_clISt17integral_constantIbLb0EESZ_EEDaSU_SV_EUlSU_E_NS1_11comp_targetILNS1_3genE5ELNS1_11target_archE942ELNS1_3gpuE9ELNS1_3repE0EEENS1_30default_config_static_selectorELNS0_4arch9wavefront6targetE0EEEvT1_
                                        ; -- End function
	.set _ZN7rocprim17ROCPRIM_400000_NS6detail17trampoline_kernelINS0_14default_configENS1_27scan_by_key_config_selectorIssEEZZNS1_16scan_by_key_implILNS1_25lookback_scan_determinismE0ELb0ES3_N6thrust23THRUST_200600_302600_NS6detail15normal_iteratorINS9_10device_ptrIsEEEESE_SE_sNS9_10multipliesIsEENS9_8equal_toIsEEsEE10hipError_tPvRmT2_T3_T4_T5_mT6_T7_P12ihipStream_tbENKUlT_T0_E_clISt17integral_constantIbLb0EESZ_EEDaSU_SV_EUlSU_E_NS1_11comp_targetILNS1_3genE5ELNS1_11target_archE942ELNS1_3gpuE9ELNS1_3repE0EEENS1_30default_config_static_selectorELNS0_4arch9wavefront6targetE0EEEvT1_.num_vgpr, 0
	.set _ZN7rocprim17ROCPRIM_400000_NS6detail17trampoline_kernelINS0_14default_configENS1_27scan_by_key_config_selectorIssEEZZNS1_16scan_by_key_implILNS1_25lookback_scan_determinismE0ELb0ES3_N6thrust23THRUST_200600_302600_NS6detail15normal_iteratorINS9_10device_ptrIsEEEESE_SE_sNS9_10multipliesIsEENS9_8equal_toIsEEsEE10hipError_tPvRmT2_T3_T4_T5_mT6_T7_P12ihipStream_tbENKUlT_T0_E_clISt17integral_constantIbLb0EESZ_EEDaSU_SV_EUlSU_E_NS1_11comp_targetILNS1_3genE5ELNS1_11target_archE942ELNS1_3gpuE9ELNS1_3repE0EEENS1_30default_config_static_selectorELNS0_4arch9wavefront6targetE0EEEvT1_.num_agpr, 0
	.set _ZN7rocprim17ROCPRIM_400000_NS6detail17trampoline_kernelINS0_14default_configENS1_27scan_by_key_config_selectorIssEEZZNS1_16scan_by_key_implILNS1_25lookback_scan_determinismE0ELb0ES3_N6thrust23THRUST_200600_302600_NS6detail15normal_iteratorINS9_10device_ptrIsEEEESE_SE_sNS9_10multipliesIsEENS9_8equal_toIsEEsEE10hipError_tPvRmT2_T3_T4_T5_mT6_T7_P12ihipStream_tbENKUlT_T0_E_clISt17integral_constantIbLb0EESZ_EEDaSU_SV_EUlSU_E_NS1_11comp_targetILNS1_3genE5ELNS1_11target_archE942ELNS1_3gpuE9ELNS1_3repE0EEENS1_30default_config_static_selectorELNS0_4arch9wavefront6targetE0EEEvT1_.numbered_sgpr, 0
	.set _ZN7rocprim17ROCPRIM_400000_NS6detail17trampoline_kernelINS0_14default_configENS1_27scan_by_key_config_selectorIssEEZZNS1_16scan_by_key_implILNS1_25lookback_scan_determinismE0ELb0ES3_N6thrust23THRUST_200600_302600_NS6detail15normal_iteratorINS9_10device_ptrIsEEEESE_SE_sNS9_10multipliesIsEENS9_8equal_toIsEEsEE10hipError_tPvRmT2_T3_T4_T5_mT6_T7_P12ihipStream_tbENKUlT_T0_E_clISt17integral_constantIbLb0EESZ_EEDaSU_SV_EUlSU_E_NS1_11comp_targetILNS1_3genE5ELNS1_11target_archE942ELNS1_3gpuE9ELNS1_3repE0EEENS1_30default_config_static_selectorELNS0_4arch9wavefront6targetE0EEEvT1_.num_named_barrier, 0
	.set _ZN7rocprim17ROCPRIM_400000_NS6detail17trampoline_kernelINS0_14default_configENS1_27scan_by_key_config_selectorIssEEZZNS1_16scan_by_key_implILNS1_25lookback_scan_determinismE0ELb0ES3_N6thrust23THRUST_200600_302600_NS6detail15normal_iteratorINS9_10device_ptrIsEEEESE_SE_sNS9_10multipliesIsEENS9_8equal_toIsEEsEE10hipError_tPvRmT2_T3_T4_T5_mT6_T7_P12ihipStream_tbENKUlT_T0_E_clISt17integral_constantIbLb0EESZ_EEDaSU_SV_EUlSU_E_NS1_11comp_targetILNS1_3genE5ELNS1_11target_archE942ELNS1_3gpuE9ELNS1_3repE0EEENS1_30default_config_static_selectorELNS0_4arch9wavefront6targetE0EEEvT1_.private_seg_size, 0
	.set _ZN7rocprim17ROCPRIM_400000_NS6detail17trampoline_kernelINS0_14default_configENS1_27scan_by_key_config_selectorIssEEZZNS1_16scan_by_key_implILNS1_25lookback_scan_determinismE0ELb0ES3_N6thrust23THRUST_200600_302600_NS6detail15normal_iteratorINS9_10device_ptrIsEEEESE_SE_sNS9_10multipliesIsEENS9_8equal_toIsEEsEE10hipError_tPvRmT2_T3_T4_T5_mT6_T7_P12ihipStream_tbENKUlT_T0_E_clISt17integral_constantIbLb0EESZ_EEDaSU_SV_EUlSU_E_NS1_11comp_targetILNS1_3genE5ELNS1_11target_archE942ELNS1_3gpuE9ELNS1_3repE0EEENS1_30default_config_static_selectorELNS0_4arch9wavefront6targetE0EEEvT1_.uses_vcc, 0
	.set _ZN7rocprim17ROCPRIM_400000_NS6detail17trampoline_kernelINS0_14default_configENS1_27scan_by_key_config_selectorIssEEZZNS1_16scan_by_key_implILNS1_25lookback_scan_determinismE0ELb0ES3_N6thrust23THRUST_200600_302600_NS6detail15normal_iteratorINS9_10device_ptrIsEEEESE_SE_sNS9_10multipliesIsEENS9_8equal_toIsEEsEE10hipError_tPvRmT2_T3_T4_T5_mT6_T7_P12ihipStream_tbENKUlT_T0_E_clISt17integral_constantIbLb0EESZ_EEDaSU_SV_EUlSU_E_NS1_11comp_targetILNS1_3genE5ELNS1_11target_archE942ELNS1_3gpuE9ELNS1_3repE0EEENS1_30default_config_static_selectorELNS0_4arch9wavefront6targetE0EEEvT1_.uses_flat_scratch, 0
	.set _ZN7rocprim17ROCPRIM_400000_NS6detail17trampoline_kernelINS0_14default_configENS1_27scan_by_key_config_selectorIssEEZZNS1_16scan_by_key_implILNS1_25lookback_scan_determinismE0ELb0ES3_N6thrust23THRUST_200600_302600_NS6detail15normal_iteratorINS9_10device_ptrIsEEEESE_SE_sNS9_10multipliesIsEENS9_8equal_toIsEEsEE10hipError_tPvRmT2_T3_T4_T5_mT6_T7_P12ihipStream_tbENKUlT_T0_E_clISt17integral_constantIbLb0EESZ_EEDaSU_SV_EUlSU_E_NS1_11comp_targetILNS1_3genE5ELNS1_11target_archE942ELNS1_3gpuE9ELNS1_3repE0EEENS1_30default_config_static_selectorELNS0_4arch9wavefront6targetE0EEEvT1_.has_dyn_sized_stack, 0
	.set _ZN7rocprim17ROCPRIM_400000_NS6detail17trampoline_kernelINS0_14default_configENS1_27scan_by_key_config_selectorIssEEZZNS1_16scan_by_key_implILNS1_25lookback_scan_determinismE0ELb0ES3_N6thrust23THRUST_200600_302600_NS6detail15normal_iteratorINS9_10device_ptrIsEEEESE_SE_sNS9_10multipliesIsEENS9_8equal_toIsEEsEE10hipError_tPvRmT2_T3_T4_T5_mT6_T7_P12ihipStream_tbENKUlT_T0_E_clISt17integral_constantIbLb0EESZ_EEDaSU_SV_EUlSU_E_NS1_11comp_targetILNS1_3genE5ELNS1_11target_archE942ELNS1_3gpuE9ELNS1_3repE0EEENS1_30default_config_static_selectorELNS0_4arch9wavefront6targetE0EEEvT1_.has_recursion, 0
	.set _ZN7rocprim17ROCPRIM_400000_NS6detail17trampoline_kernelINS0_14default_configENS1_27scan_by_key_config_selectorIssEEZZNS1_16scan_by_key_implILNS1_25lookback_scan_determinismE0ELb0ES3_N6thrust23THRUST_200600_302600_NS6detail15normal_iteratorINS9_10device_ptrIsEEEESE_SE_sNS9_10multipliesIsEENS9_8equal_toIsEEsEE10hipError_tPvRmT2_T3_T4_T5_mT6_T7_P12ihipStream_tbENKUlT_T0_E_clISt17integral_constantIbLb0EESZ_EEDaSU_SV_EUlSU_E_NS1_11comp_targetILNS1_3genE5ELNS1_11target_archE942ELNS1_3gpuE9ELNS1_3repE0EEENS1_30default_config_static_selectorELNS0_4arch9wavefront6targetE0EEEvT1_.has_indirect_call, 0
	.section	.AMDGPU.csdata,"",@progbits
; Kernel info:
; codeLenInByte = 0
; TotalNumSgprs: 0
; NumVgprs: 0
; ScratchSize: 0
; MemoryBound: 0
; FloatMode: 240
; IeeeMode: 1
; LDSByteSize: 0 bytes/workgroup (compile time only)
; SGPRBlocks: 0
; VGPRBlocks: 0
; NumSGPRsForWavesPerEU: 1
; NumVGPRsForWavesPerEU: 1
; Occupancy: 16
; WaveLimiterHint : 0
; COMPUTE_PGM_RSRC2:SCRATCH_EN: 0
; COMPUTE_PGM_RSRC2:USER_SGPR: 6
; COMPUTE_PGM_RSRC2:TRAP_HANDLER: 0
; COMPUTE_PGM_RSRC2:TGID_X_EN: 1
; COMPUTE_PGM_RSRC2:TGID_Y_EN: 0
; COMPUTE_PGM_RSRC2:TGID_Z_EN: 0
; COMPUTE_PGM_RSRC2:TIDIG_COMP_CNT: 0
	.section	.text._ZN7rocprim17ROCPRIM_400000_NS6detail17trampoline_kernelINS0_14default_configENS1_27scan_by_key_config_selectorIssEEZZNS1_16scan_by_key_implILNS1_25lookback_scan_determinismE0ELb0ES3_N6thrust23THRUST_200600_302600_NS6detail15normal_iteratorINS9_10device_ptrIsEEEESE_SE_sNS9_10multipliesIsEENS9_8equal_toIsEEsEE10hipError_tPvRmT2_T3_T4_T5_mT6_T7_P12ihipStream_tbENKUlT_T0_E_clISt17integral_constantIbLb0EESZ_EEDaSU_SV_EUlSU_E_NS1_11comp_targetILNS1_3genE4ELNS1_11target_archE910ELNS1_3gpuE8ELNS1_3repE0EEENS1_30default_config_static_selectorELNS0_4arch9wavefront6targetE0EEEvT1_,"axG",@progbits,_ZN7rocprim17ROCPRIM_400000_NS6detail17trampoline_kernelINS0_14default_configENS1_27scan_by_key_config_selectorIssEEZZNS1_16scan_by_key_implILNS1_25lookback_scan_determinismE0ELb0ES3_N6thrust23THRUST_200600_302600_NS6detail15normal_iteratorINS9_10device_ptrIsEEEESE_SE_sNS9_10multipliesIsEENS9_8equal_toIsEEsEE10hipError_tPvRmT2_T3_T4_T5_mT6_T7_P12ihipStream_tbENKUlT_T0_E_clISt17integral_constantIbLb0EESZ_EEDaSU_SV_EUlSU_E_NS1_11comp_targetILNS1_3genE4ELNS1_11target_archE910ELNS1_3gpuE8ELNS1_3repE0EEENS1_30default_config_static_selectorELNS0_4arch9wavefront6targetE0EEEvT1_,comdat
	.protected	_ZN7rocprim17ROCPRIM_400000_NS6detail17trampoline_kernelINS0_14default_configENS1_27scan_by_key_config_selectorIssEEZZNS1_16scan_by_key_implILNS1_25lookback_scan_determinismE0ELb0ES3_N6thrust23THRUST_200600_302600_NS6detail15normal_iteratorINS9_10device_ptrIsEEEESE_SE_sNS9_10multipliesIsEENS9_8equal_toIsEEsEE10hipError_tPvRmT2_T3_T4_T5_mT6_T7_P12ihipStream_tbENKUlT_T0_E_clISt17integral_constantIbLb0EESZ_EEDaSU_SV_EUlSU_E_NS1_11comp_targetILNS1_3genE4ELNS1_11target_archE910ELNS1_3gpuE8ELNS1_3repE0EEENS1_30default_config_static_selectorELNS0_4arch9wavefront6targetE0EEEvT1_ ; -- Begin function _ZN7rocprim17ROCPRIM_400000_NS6detail17trampoline_kernelINS0_14default_configENS1_27scan_by_key_config_selectorIssEEZZNS1_16scan_by_key_implILNS1_25lookback_scan_determinismE0ELb0ES3_N6thrust23THRUST_200600_302600_NS6detail15normal_iteratorINS9_10device_ptrIsEEEESE_SE_sNS9_10multipliesIsEENS9_8equal_toIsEEsEE10hipError_tPvRmT2_T3_T4_T5_mT6_T7_P12ihipStream_tbENKUlT_T0_E_clISt17integral_constantIbLb0EESZ_EEDaSU_SV_EUlSU_E_NS1_11comp_targetILNS1_3genE4ELNS1_11target_archE910ELNS1_3gpuE8ELNS1_3repE0EEENS1_30default_config_static_selectorELNS0_4arch9wavefront6targetE0EEEvT1_
	.globl	_ZN7rocprim17ROCPRIM_400000_NS6detail17trampoline_kernelINS0_14default_configENS1_27scan_by_key_config_selectorIssEEZZNS1_16scan_by_key_implILNS1_25lookback_scan_determinismE0ELb0ES3_N6thrust23THRUST_200600_302600_NS6detail15normal_iteratorINS9_10device_ptrIsEEEESE_SE_sNS9_10multipliesIsEENS9_8equal_toIsEEsEE10hipError_tPvRmT2_T3_T4_T5_mT6_T7_P12ihipStream_tbENKUlT_T0_E_clISt17integral_constantIbLb0EESZ_EEDaSU_SV_EUlSU_E_NS1_11comp_targetILNS1_3genE4ELNS1_11target_archE910ELNS1_3gpuE8ELNS1_3repE0EEENS1_30default_config_static_selectorELNS0_4arch9wavefront6targetE0EEEvT1_
	.p2align	8
	.type	_ZN7rocprim17ROCPRIM_400000_NS6detail17trampoline_kernelINS0_14default_configENS1_27scan_by_key_config_selectorIssEEZZNS1_16scan_by_key_implILNS1_25lookback_scan_determinismE0ELb0ES3_N6thrust23THRUST_200600_302600_NS6detail15normal_iteratorINS9_10device_ptrIsEEEESE_SE_sNS9_10multipliesIsEENS9_8equal_toIsEEsEE10hipError_tPvRmT2_T3_T4_T5_mT6_T7_P12ihipStream_tbENKUlT_T0_E_clISt17integral_constantIbLb0EESZ_EEDaSU_SV_EUlSU_E_NS1_11comp_targetILNS1_3genE4ELNS1_11target_archE910ELNS1_3gpuE8ELNS1_3repE0EEENS1_30default_config_static_selectorELNS0_4arch9wavefront6targetE0EEEvT1_,@function
_ZN7rocprim17ROCPRIM_400000_NS6detail17trampoline_kernelINS0_14default_configENS1_27scan_by_key_config_selectorIssEEZZNS1_16scan_by_key_implILNS1_25lookback_scan_determinismE0ELb0ES3_N6thrust23THRUST_200600_302600_NS6detail15normal_iteratorINS9_10device_ptrIsEEEESE_SE_sNS9_10multipliesIsEENS9_8equal_toIsEEsEE10hipError_tPvRmT2_T3_T4_T5_mT6_T7_P12ihipStream_tbENKUlT_T0_E_clISt17integral_constantIbLb0EESZ_EEDaSU_SV_EUlSU_E_NS1_11comp_targetILNS1_3genE4ELNS1_11target_archE910ELNS1_3gpuE8ELNS1_3repE0EEENS1_30default_config_static_selectorELNS0_4arch9wavefront6targetE0EEEvT1_: ; @_ZN7rocprim17ROCPRIM_400000_NS6detail17trampoline_kernelINS0_14default_configENS1_27scan_by_key_config_selectorIssEEZZNS1_16scan_by_key_implILNS1_25lookback_scan_determinismE0ELb0ES3_N6thrust23THRUST_200600_302600_NS6detail15normal_iteratorINS9_10device_ptrIsEEEESE_SE_sNS9_10multipliesIsEENS9_8equal_toIsEEsEE10hipError_tPvRmT2_T3_T4_T5_mT6_T7_P12ihipStream_tbENKUlT_T0_E_clISt17integral_constantIbLb0EESZ_EEDaSU_SV_EUlSU_E_NS1_11comp_targetILNS1_3genE4ELNS1_11target_archE910ELNS1_3gpuE8ELNS1_3repE0EEENS1_30default_config_static_selectorELNS0_4arch9wavefront6targetE0EEEvT1_
; %bb.0:
	.section	.rodata,"a",@progbits
	.p2align	6, 0x0
	.amdhsa_kernel _ZN7rocprim17ROCPRIM_400000_NS6detail17trampoline_kernelINS0_14default_configENS1_27scan_by_key_config_selectorIssEEZZNS1_16scan_by_key_implILNS1_25lookback_scan_determinismE0ELb0ES3_N6thrust23THRUST_200600_302600_NS6detail15normal_iteratorINS9_10device_ptrIsEEEESE_SE_sNS9_10multipliesIsEENS9_8equal_toIsEEsEE10hipError_tPvRmT2_T3_T4_T5_mT6_T7_P12ihipStream_tbENKUlT_T0_E_clISt17integral_constantIbLb0EESZ_EEDaSU_SV_EUlSU_E_NS1_11comp_targetILNS1_3genE4ELNS1_11target_archE910ELNS1_3gpuE8ELNS1_3repE0EEENS1_30default_config_static_selectorELNS0_4arch9wavefront6targetE0EEEvT1_
		.amdhsa_group_segment_fixed_size 0
		.amdhsa_private_segment_fixed_size 0
		.amdhsa_kernarg_size 112
		.amdhsa_user_sgpr_count 6
		.amdhsa_user_sgpr_private_segment_buffer 1
		.amdhsa_user_sgpr_dispatch_ptr 0
		.amdhsa_user_sgpr_queue_ptr 0
		.amdhsa_user_sgpr_kernarg_segment_ptr 1
		.amdhsa_user_sgpr_dispatch_id 0
		.amdhsa_user_sgpr_flat_scratch_init 0
		.amdhsa_user_sgpr_private_segment_size 0
		.amdhsa_wavefront_size32 1
		.amdhsa_uses_dynamic_stack 0
		.amdhsa_system_sgpr_private_segment_wavefront_offset 0
		.amdhsa_system_sgpr_workgroup_id_x 1
		.amdhsa_system_sgpr_workgroup_id_y 0
		.amdhsa_system_sgpr_workgroup_id_z 0
		.amdhsa_system_sgpr_workgroup_info 0
		.amdhsa_system_vgpr_workitem_id 0
		.amdhsa_next_free_vgpr 1
		.amdhsa_next_free_sgpr 1
		.amdhsa_reserve_vcc 0
		.amdhsa_reserve_flat_scratch 0
		.amdhsa_float_round_mode_32 0
		.amdhsa_float_round_mode_16_64 0
		.amdhsa_float_denorm_mode_32 3
		.amdhsa_float_denorm_mode_16_64 3
		.amdhsa_dx10_clamp 1
		.amdhsa_ieee_mode 1
		.amdhsa_fp16_overflow 0
		.amdhsa_workgroup_processor_mode 1
		.amdhsa_memory_ordered 1
		.amdhsa_forward_progress 1
		.amdhsa_shared_vgpr_count 0
		.amdhsa_exception_fp_ieee_invalid_op 0
		.amdhsa_exception_fp_denorm_src 0
		.amdhsa_exception_fp_ieee_div_zero 0
		.amdhsa_exception_fp_ieee_overflow 0
		.amdhsa_exception_fp_ieee_underflow 0
		.amdhsa_exception_fp_ieee_inexact 0
		.amdhsa_exception_int_div_zero 0
	.end_amdhsa_kernel
	.section	.text._ZN7rocprim17ROCPRIM_400000_NS6detail17trampoline_kernelINS0_14default_configENS1_27scan_by_key_config_selectorIssEEZZNS1_16scan_by_key_implILNS1_25lookback_scan_determinismE0ELb0ES3_N6thrust23THRUST_200600_302600_NS6detail15normal_iteratorINS9_10device_ptrIsEEEESE_SE_sNS9_10multipliesIsEENS9_8equal_toIsEEsEE10hipError_tPvRmT2_T3_T4_T5_mT6_T7_P12ihipStream_tbENKUlT_T0_E_clISt17integral_constantIbLb0EESZ_EEDaSU_SV_EUlSU_E_NS1_11comp_targetILNS1_3genE4ELNS1_11target_archE910ELNS1_3gpuE8ELNS1_3repE0EEENS1_30default_config_static_selectorELNS0_4arch9wavefront6targetE0EEEvT1_,"axG",@progbits,_ZN7rocprim17ROCPRIM_400000_NS6detail17trampoline_kernelINS0_14default_configENS1_27scan_by_key_config_selectorIssEEZZNS1_16scan_by_key_implILNS1_25lookback_scan_determinismE0ELb0ES3_N6thrust23THRUST_200600_302600_NS6detail15normal_iteratorINS9_10device_ptrIsEEEESE_SE_sNS9_10multipliesIsEENS9_8equal_toIsEEsEE10hipError_tPvRmT2_T3_T4_T5_mT6_T7_P12ihipStream_tbENKUlT_T0_E_clISt17integral_constantIbLb0EESZ_EEDaSU_SV_EUlSU_E_NS1_11comp_targetILNS1_3genE4ELNS1_11target_archE910ELNS1_3gpuE8ELNS1_3repE0EEENS1_30default_config_static_selectorELNS0_4arch9wavefront6targetE0EEEvT1_,comdat
.Lfunc_end284:
	.size	_ZN7rocprim17ROCPRIM_400000_NS6detail17trampoline_kernelINS0_14default_configENS1_27scan_by_key_config_selectorIssEEZZNS1_16scan_by_key_implILNS1_25lookback_scan_determinismE0ELb0ES3_N6thrust23THRUST_200600_302600_NS6detail15normal_iteratorINS9_10device_ptrIsEEEESE_SE_sNS9_10multipliesIsEENS9_8equal_toIsEEsEE10hipError_tPvRmT2_T3_T4_T5_mT6_T7_P12ihipStream_tbENKUlT_T0_E_clISt17integral_constantIbLb0EESZ_EEDaSU_SV_EUlSU_E_NS1_11comp_targetILNS1_3genE4ELNS1_11target_archE910ELNS1_3gpuE8ELNS1_3repE0EEENS1_30default_config_static_selectorELNS0_4arch9wavefront6targetE0EEEvT1_, .Lfunc_end284-_ZN7rocprim17ROCPRIM_400000_NS6detail17trampoline_kernelINS0_14default_configENS1_27scan_by_key_config_selectorIssEEZZNS1_16scan_by_key_implILNS1_25lookback_scan_determinismE0ELb0ES3_N6thrust23THRUST_200600_302600_NS6detail15normal_iteratorINS9_10device_ptrIsEEEESE_SE_sNS9_10multipliesIsEENS9_8equal_toIsEEsEE10hipError_tPvRmT2_T3_T4_T5_mT6_T7_P12ihipStream_tbENKUlT_T0_E_clISt17integral_constantIbLb0EESZ_EEDaSU_SV_EUlSU_E_NS1_11comp_targetILNS1_3genE4ELNS1_11target_archE910ELNS1_3gpuE8ELNS1_3repE0EEENS1_30default_config_static_selectorELNS0_4arch9wavefront6targetE0EEEvT1_
                                        ; -- End function
	.set _ZN7rocprim17ROCPRIM_400000_NS6detail17trampoline_kernelINS0_14default_configENS1_27scan_by_key_config_selectorIssEEZZNS1_16scan_by_key_implILNS1_25lookback_scan_determinismE0ELb0ES3_N6thrust23THRUST_200600_302600_NS6detail15normal_iteratorINS9_10device_ptrIsEEEESE_SE_sNS9_10multipliesIsEENS9_8equal_toIsEEsEE10hipError_tPvRmT2_T3_T4_T5_mT6_T7_P12ihipStream_tbENKUlT_T0_E_clISt17integral_constantIbLb0EESZ_EEDaSU_SV_EUlSU_E_NS1_11comp_targetILNS1_3genE4ELNS1_11target_archE910ELNS1_3gpuE8ELNS1_3repE0EEENS1_30default_config_static_selectorELNS0_4arch9wavefront6targetE0EEEvT1_.num_vgpr, 0
	.set _ZN7rocprim17ROCPRIM_400000_NS6detail17trampoline_kernelINS0_14default_configENS1_27scan_by_key_config_selectorIssEEZZNS1_16scan_by_key_implILNS1_25lookback_scan_determinismE0ELb0ES3_N6thrust23THRUST_200600_302600_NS6detail15normal_iteratorINS9_10device_ptrIsEEEESE_SE_sNS9_10multipliesIsEENS9_8equal_toIsEEsEE10hipError_tPvRmT2_T3_T4_T5_mT6_T7_P12ihipStream_tbENKUlT_T0_E_clISt17integral_constantIbLb0EESZ_EEDaSU_SV_EUlSU_E_NS1_11comp_targetILNS1_3genE4ELNS1_11target_archE910ELNS1_3gpuE8ELNS1_3repE0EEENS1_30default_config_static_selectorELNS0_4arch9wavefront6targetE0EEEvT1_.num_agpr, 0
	.set _ZN7rocprim17ROCPRIM_400000_NS6detail17trampoline_kernelINS0_14default_configENS1_27scan_by_key_config_selectorIssEEZZNS1_16scan_by_key_implILNS1_25lookback_scan_determinismE0ELb0ES3_N6thrust23THRUST_200600_302600_NS6detail15normal_iteratorINS9_10device_ptrIsEEEESE_SE_sNS9_10multipliesIsEENS9_8equal_toIsEEsEE10hipError_tPvRmT2_T3_T4_T5_mT6_T7_P12ihipStream_tbENKUlT_T0_E_clISt17integral_constantIbLb0EESZ_EEDaSU_SV_EUlSU_E_NS1_11comp_targetILNS1_3genE4ELNS1_11target_archE910ELNS1_3gpuE8ELNS1_3repE0EEENS1_30default_config_static_selectorELNS0_4arch9wavefront6targetE0EEEvT1_.numbered_sgpr, 0
	.set _ZN7rocprim17ROCPRIM_400000_NS6detail17trampoline_kernelINS0_14default_configENS1_27scan_by_key_config_selectorIssEEZZNS1_16scan_by_key_implILNS1_25lookback_scan_determinismE0ELb0ES3_N6thrust23THRUST_200600_302600_NS6detail15normal_iteratorINS9_10device_ptrIsEEEESE_SE_sNS9_10multipliesIsEENS9_8equal_toIsEEsEE10hipError_tPvRmT2_T3_T4_T5_mT6_T7_P12ihipStream_tbENKUlT_T0_E_clISt17integral_constantIbLb0EESZ_EEDaSU_SV_EUlSU_E_NS1_11comp_targetILNS1_3genE4ELNS1_11target_archE910ELNS1_3gpuE8ELNS1_3repE0EEENS1_30default_config_static_selectorELNS0_4arch9wavefront6targetE0EEEvT1_.num_named_barrier, 0
	.set _ZN7rocprim17ROCPRIM_400000_NS6detail17trampoline_kernelINS0_14default_configENS1_27scan_by_key_config_selectorIssEEZZNS1_16scan_by_key_implILNS1_25lookback_scan_determinismE0ELb0ES3_N6thrust23THRUST_200600_302600_NS6detail15normal_iteratorINS9_10device_ptrIsEEEESE_SE_sNS9_10multipliesIsEENS9_8equal_toIsEEsEE10hipError_tPvRmT2_T3_T4_T5_mT6_T7_P12ihipStream_tbENKUlT_T0_E_clISt17integral_constantIbLb0EESZ_EEDaSU_SV_EUlSU_E_NS1_11comp_targetILNS1_3genE4ELNS1_11target_archE910ELNS1_3gpuE8ELNS1_3repE0EEENS1_30default_config_static_selectorELNS0_4arch9wavefront6targetE0EEEvT1_.private_seg_size, 0
	.set _ZN7rocprim17ROCPRIM_400000_NS6detail17trampoline_kernelINS0_14default_configENS1_27scan_by_key_config_selectorIssEEZZNS1_16scan_by_key_implILNS1_25lookback_scan_determinismE0ELb0ES3_N6thrust23THRUST_200600_302600_NS6detail15normal_iteratorINS9_10device_ptrIsEEEESE_SE_sNS9_10multipliesIsEENS9_8equal_toIsEEsEE10hipError_tPvRmT2_T3_T4_T5_mT6_T7_P12ihipStream_tbENKUlT_T0_E_clISt17integral_constantIbLb0EESZ_EEDaSU_SV_EUlSU_E_NS1_11comp_targetILNS1_3genE4ELNS1_11target_archE910ELNS1_3gpuE8ELNS1_3repE0EEENS1_30default_config_static_selectorELNS0_4arch9wavefront6targetE0EEEvT1_.uses_vcc, 0
	.set _ZN7rocprim17ROCPRIM_400000_NS6detail17trampoline_kernelINS0_14default_configENS1_27scan_by_key_config_selectorIssEEZZNS1_16scan_by_key_implILNS1_25lookback_scan_determinismE0ELb0ES3_N6thrust23THRUST_200600_302600_NS6detail15normal_iteratorINS9_10device_ptrIsEEEESE_SE_sNS9_10multipliesIsEENS9_8equal_toIsEEsEE10hipError_tPvRmT2_T3_T4_T5_mT6_T7_P12ihipStream_tbENKUlT_T0_E_clISt17integral_constantIbLb0EESZ_EEDaSU_SV_EUlSU_E_NS1_11comp_targetILNS1_3genE4ELNS1_11target_archE910ELNS1_3gpuE8ELNS1_3repE0EEENS1_30default_config_static_selectorELNS0_4arch9wavefront6targetE0EEEvT1_.uses_flat_scratch, 0
	.set _ZN7rocprim17ROCPRIM_400000_NS6detail17trampoline_kernelINS0_14default_configENS1_27scan_by_key_config_selectorIssEEZZNS1_16scan_by_key_implILNS1_25lookback_scan_determinismE0ELb0ES3_N6thrust23THRUST_200600_302600_NS6detail15normal_iteratorINS9_10device_ptrIsEEEESE_SE_sNS9_10multipliesIsEENS9_8equal_toIsEEsEE10hipError_tPvRmT2_T3_T4_T5_mT6_T7_P12ihipStream_tbENKUlT_T0_E_clISt17integral_constantIbLb0EESZ_EEDaSU_SV_EUlSU_E_NS1_11comp_targetILNS1_3genE4ELNS1_11target_archE910ELNS1_3gpuE8ELNS1_3repE0EEENS1_30default_config_static_selectorELNS0_4arch9wavefront6targetE0EEEvT1_.has_dyn_sized_stack, 0
	.set _ZN7rocprim17ROCPRIM_400000_NS6detail17trampoline_kernelINS0_14default_configENS1_27scan_by_key_config_selectorIssEEZZNS1_16scan_by_key_implILNS1_25lookback_scan_determinismE0ELb0ES3_N6thrust23THRUST_200600_302600_NS6detail15normal_iteratorINS9_10device_ptrIsEEEESE_SE_sNS9_10multipliesIsEENS9_8equal_toIsEEsEE10hipError_tPvRmT2_T3_T4_T5_mT6_T7_P12ihipStream_tbENKUlT_T0_E_clISt17integral_constantIbLb0EESZ_EEDaSU_SV_EUlSU_E_NS1_11comp_targetILNS1_3genE4ELNS1_11target_archE910ELNS1_3gpuE8ELNS1_3repE0EEENS1_30default_config_static_selectorELNS0_4arch9wavefront6targetE0EEEvT1_.has_recursion, 0
	.set _ZN7rocprim17ROCPRIM_400000_NS6detail17trampoline_kernelINS0_14default_configENS1_27scan_by_key_config_selectorIssEEZZNS1_16scan_by_key_implILNS1_25lookback_scan_determinismE0ELb0ES3_N6thrust23THRUST_200600_302600_NS6detail15normal_iteratorINS9_10device_ptrIsEEEESE_SE_sNS9_10multipliesIsEENS9_8equal_toIsEEsEE10hipError_tPvRmT2_T3_T4_T5_mT6_T7_P12ihipStream_tbENKUlT_T0_E_clISt17integral_constantIbLb0EESZ_EEDaSU_SV_EUlSU_E_NS1_11comp_targetILNS1_3genE4ELNS1_11target_archE910ELNS1_3gpuE8ELNS1_3repE0EEENS1_30default_config_static_selectorELNS0_4arch9wavefront6targetE0EEEvT1_.has_indirect_call, 0
	.section	.AMDGPU.csdata,"",@progbits
; Kernel info:
; codeLenInByte = 0
; TotalNumSgprs: 0
; NumVgprs: 0
; ScratchSize: 0
; MemoryBound: 0
; FloatMode: 240
; IeeeMode: 1
; LDSByteSize: 0 bytes/workgroup (compile time only)
; SGPRBlocks: 0
; VGPRBlocks: 0
; NumSGPRsForWavesPerEU: 1
; NumVGPRsForWavesPerEU: 1
; Occupancy: 16
; WaveLimiterHint : 0
; COMPUTE_PGM_RSRC2:SCRATCH_EN: 0
; COMPUTE_PGM_RSRC2:USER_SGPR: 6
; COMPUTE_PGM_RSRC2:TRAP_HANDLER: 0
; COMPUTE_PGM_RSRC2:TGID_X_EN: 1
; COMPUTE_PGM_RSRC2:TGID_Y_EN: 0
; COMPUTE_PGM_RSRC2:TGID_Z_EN: 0
; COMPUTE_PGM_RSRC2:TIDIG_COMP_CNT: 0
	.section	.text._ZN7rocprim17ROCPRIM_400000_NS6detail17trampoline_kernelINS0_14default_configENS1_27scan_by_key_config_selectorIssEEZZNS1_16scan_by_key_implILNS1_25lookback_scan_determinismE0ELb0ES3_N6thrust23THRUST_200600_302600_NS6detail15normal_iteratorINS9_10device_ptrIsEEEESE_SE_sNS9_10multipliesIsEENS9_8equal_toIsEEsEE10hipError_tPvRmT2_T3_T4_T5_mT6_T7_P12ihipStream_tbENKUlT_T0_E_clISt17integral_constantIbLb0EESZ_EEDaSU_SV_EUlSU_E_NS1_11comp_targetILNS1_3genE3ELNS1_11target_archE908ELNS1_3gpuE7ELNS1_3repE0EEENS1_30default_config_static_selectorELNS0_4arch9wavefront6targetE0EEEvT1_,"axG",@progbits,_ZN7rocprim17ROCPRIM_400000_NS6detail17trampoline_kernelINS0_14default_configENS1_27scan_by_key_config_selectorIssEEZZNS1_16scan_by_key_implILNS1_25lookback_scan_determinismE0ELb0ES3_N6thrust23THRUST_200600_302600_NS6detail15normal_iteratorINS9_10device_ptrIsEEEESE_SE_sNS9_10multipliesIsEENS9_8equal_toIsEEsEE10hipError_tPvRmT2_T3_T4_T5_mT6_T7_P12ihipStream_tbENKUlT_T0_E_clISt17integral_constantIbLb0EESZ_EEDaSU_SV_EUlSU_E_NS1_11comp_targetILNS1_3genE3ELNS1_11target_archE908ELNS1_3gpuE7ELNS1_3repE0EEENS1_30default_config_static_selectorELNS0_4arch9wavefront6targetE0EEEvT1_,comdat
	.protected	_ZN7rocprim17ROCPRIM_400000_NS6detail17trampoline_kernelINS0_14default_configENS1_27scan_by_key_config_selectorIssEEZZNS1_16scan_by_key_implILNS1_25lookback_scan_determinismE0ELb0ES3_N6thrust23THRUST_200600_302600_NS6detail15normal_iteratorINS9_10device_ptrIsEEEESE_SE_sNS9_10multipliesIsEENS9_8equal_toIsEEsEE10hipError_tPvRmT2_T3_T4_T5_mT6_T7_P12ihipStream_tbENKUlT_T0_E_clISt17integral_constantIbLb0EESZ_EEDaSU_SV_EUlSU_E_NS1_11comp_targetILNS1_3genE3ELNS1_11target_archE908ELNS1_3gpuE7ELNS1_3repE0EEENS1_30default_config_static_selectorELNS0_4arch9wavefront6targetE0EEEvT1_ ; -- Begin function _ZN7rocprim17ROCPRIM_400000_NS6detail17trampoline_kernelINS0_14default_configENS1_27scan_by_key_config_selectorIssEEZZNS1_16scan_by_key_implILNS1_25lookback_scan_determinismE0ELb0ES3_N6thrust23THRUST_200600_302600_NS6detail15normal_iteratorINS9_10device_ptrIsEEEESE_SE_sNS9_10multipliesIsEENS9_8equal_toIsEEsEE10hipError_tPvRmT2_T3_T4_T5_mT6_T7_P12ihipStream_tbENKUlT_T0_E_clISt17integral_constantIbLb0EESZ_EEDaSU_SV_EUlSU_E_NS1_11comp_targetILNS1_3genE3ELNS1_11target_archE908ELNS1_3gpuE7ELNS1_3repE0EEENS1_30default_config_static_selectorELNS0_4arch9wavefront6targetE0EEEvT1_
	.globl	_ZN7rocprim17ROCPRIM_400000_NS6detail17trampoline_kernelINS0_14default_configENS1_27scan_by_key_config_selectorIssEEZZNS1_16scan_by_key_implILNS1_25lookback_scan_determinismE0ELb0ES3_N6thrust23THRUST_200600_302600_NS6detail15normal_iteratorINS9_10device_ptrIsEEEESE_SE_sNS9_10multipliesIsEENS9_8equal_toIsEEsEE10hipError_tPvRmT2_T3_T4_T5_mT6_T7_P12ihipStream_tbENKUlT_T0_E_clISt17integral_constantIbLb0EESZ_EEDaSU_SV_EUlSU_E_NS1_11comp_targetILNS1_3genE3ELNS1_11target_archE908ELNS1_3gpuE7ELNS1_3repE0EEENS1_30default_config_static_selectorELNS0_4arch9wavefront6targetE0EEEvT1_
	.p2align	8
	.type	_ZN7rocprim17ROCPRIM_400000_NS6detail17trampoline_kernelINS0_14default_configENS1_27scan_by_key_config_selectorIssEEZZNS1_16scan_by_key_implILNS1_25lookback_scan_determinismE0ELb0ES3_N6thrust23THRUST_200600_302600_NS6detail15normal_iteratorINS9_10device_ptrIsEEEESE_SE_sNS9_10multipliesIsEENS9_8equal_toIsEEsEE10hipError_tPvRmT2_T3_T4_T5_mT6_T7_P12ihipStream_tbENKUlT_T0_E_clISt17integral_constantIbLb0EESZ_EEDaSU_SV_EUlSU_E_NS1_11comp_targetILNS1_3genE3ELNS1_11target_archE908ELNS1_3gpuE7ELNS1_3repE0EEENS1_30default_config_static_selectorELNS0_4arch9wavefront6targetE0EEEvT1_,@function
_ZN7rocprim17ROCPRIM_400000_NS6detail17trampoline_kernelINS0_14default_configENS1_27scan_by_key_config_selectorIssEEZZNS1_16scan_by_key_implILNS1_25lookback_scan_determinismE0ELb0ES3_N6thrust23THRUST_200600_302600_NS6detail15normal_iteratorINS9_10device_ptrIsEEEESE_SE_sNS9_10multipliesIsEENS9_8equal_toIsEEsEE10hipError_tPvRmT2_T3_T4_T5_mT6_T7_P12ihipStream_tbENKUlT_T0_E_clISt17integral_constantIbLb0EESZ_EEDaSU_SV_EUlSU_E_NS1_11comp_targetILNS1_3genE3ELNS1_11target_archE908ELNS1_3gpuE7ELNS1_3repE0EEENS1_30default_config_static_selectorELNS0_4arch9wavefront6targetE0EEEvT1_: ; @_ZN7rocprim17ROCPRIM_400000_NS6detail17trampoline_kernelINS0_14default_configENS1_27scan_by_key_config_selectorIssEEZZNS1_16scan_by_key_implILNS1_25lookback_scan_determinismE0ELb0ES3_N6thrust23THRUST_200600_302600_NS6detail15normal_iteratorINS9_10device_ptrIsEEEESE_SE_sNS9_10multipliesIsEENS9_8equal_toIsEEsEE10hipError_tPvRmT2_T3_T4_T5_mT6_T7_P12ihipStream_tbENKUlT_T0_E_clISt17integral_constantIbLb0EESZ_EEDaSU_SV_EUlSU_E_NS1_11comp_targetILNS1_3genE3ELNS1_11target_archE908ELNS1_3gpuE7ELNS1_3repE0EEENS1_30default_config_static_selectorELNS0_4arch9wavefront6targetE0EEEvT1_
; %bb.0:
	.section	.rodata,"a",@progbits
	.p2align	6, 0x0
	.amdhsa_kernel _ZN7rocprim17ROCPRIM_400000_NS6detail17trampoline_kernelINS0_14default_configENS1_27scan_by_key_config_selectorIssEEZZNS1_16scan_by_key_implILNS1_25lookback_scan_determinismE0ELb0ES3_N6thrust23THRUST_200600_302600_NS6detail15normal_iteratorINS9_10device_ptrIsEEEESE_SE_sNS9_10multipliesIsEENS9_8equal_toIsEEsEE10hipError_tPvRmT2_T3_T4_T5_mT6_T7_P12ihipStream_tbENKUlT_T0_E_clISt17integral_constantIbLb0EESZ_EEDaSU_SV_EUlSU_E_NS1_11comp_targetILNS1_3genE3ELNS1_11target_archE908ELNS1_3gpuE7ELNS1_3repE0EEENS1_30default_config_static_selectorELNS0_4arch9wavefront6targetE0EEEvT1_
		.amdhsa_group_segment_fixed_size 0
		.amdhsa_private_segment_fixed_size 0
		.amdhsa_kernarg_size 112
		.amdhsa_user_sgpr_count 6
		.amdhsa_user_sgpr_private_segment_buffer 1
		.amdhsa_user_sgpr_dispatch_ptr 0
		.amdhsa_user_sgpr_queue_ptr 0
		.amdhsa_user_sgpr_kernarg_segment_ptr 1
		.amdhsa_user_sgpr_dispatch_id 0
		.amdhsa_user_sgpr_flat_scratch_init 0
		.amdhsa_user_sgpr_private_segment_size 0
		.amdhsa_wavefront_size32 1
		.amdhsa_uses_dynamic_stack 0
		.amdhsa_system_sgpr_private_segment_wavefront_offset 0
		.amdhsa_system_sgpr_workgroup_id_x 1
		.amdhsa_system_sgpr_workgroup_id_y 0
		.amdhsa_system_sgpr_workgroup_id_z 0
		.amdhsa_system_sgpr_workgroup_info 0
		.amdhsa_system_vgpr_workitem_id 0
		.amdhsa_next_free_vgpr 1
		.amdhsa_next_free_sgpr 1
		.amdhsa_reserve_vcc 0
		.amdhsa_reserve_flat_scratch 0
		.amdhsa_float_round_mode_32 0
		.amdhsa_float_round_mode_16_64 0
		.amdhsa_float_denorm_mode_32 3
		.amdhsa_float_denorm_mode_16_64 3
		.amdhsa_dx10_clamp 1
		.amdhsa_ieee_mode 1
		.amdhsa_fp16_overflow 0
		.amdhsa_workgroup_processor_mode 1
		.amdhsa_memory_ordered 1
		.amdhsa_forward_progress 1
		.amdhsa_shared_vgpr_count 0
		.amdhsa_exception_fp_ieee_invalid_op 0
		.amdhsa_exception_fp_denorm_src 0
		.amdhsa_exception_fp_ieee_div_zero 0
		.amdhsa_exception_fp_ieee_overflow 0
		.amdhsa_exception_fp_ieee_underflow 0
		.amdhsa_exception_fp_ieee_inexact 0
		.amdhsa_exception_int_div_zero 0
	.end_amdhsa_kernel
	.section	.text._ZN7rocprim17ROCPRIM_400000_NS6detail17trampoline_kernelINS0_14default_configENS1_27scan_by_key_config_selectorIssEEZZNS1_16scan_by_key_implILNS1_25lookback_scan_determinismE0ELb0ES3_N6thrust23THRUST_200600_302600_NS6detail15normal_iteratorINS9_10device_ptrIsEEEESE_SE_sNS9_10multipliesIsEENS9_8equal_toIsEEsEE10hipError_tPvRmT2_T3_T4_T5_mT6_T7_P12ihipStream_tbENKUlT_T0_E_clISt17integral_constantIbLb0EESZ_EEDaSU_SV_EUlSU_E_NS1_11comp_targetILNS1_3genE3ELNS1_11target_archE908ELNS1_3gpuE7ELNS1_3repE0EEENS1_30default_config_static_selectorELNS0_4arch9wavefront6targetE0EEEvT1_,"axG",@progbits,_ZN7rocprim17ROCPRIM_400000_NS6detail17trampoline_kernelINS0_14default_configENS1_27scan_by_key_config_selectorIssEEZZNS1_16scan_by_key_implILNS1_25lookback_scan_determinismE0ELb0ES3_N6thrust23THRUST_200600_302600_NS6detail15normal_iteratorINS9_10device_ptrIsEEEESE_SE_sNS9_10multipliesIsEENS9_8equal_toIsEEsEE10hipError_tPvRmT2_T3_T4_T5_mT6_T7_P12ihipStream_tbENKUlT_T0_E_clISt17integral_constantIbLb0EESZ_EEDaSU_SV_EUlSU_E_NS1_11comp_targetILNS1_3genE3ELNS1_11target_archE908ELNS1_3gpuE7ELNS1_3repE0EEENS1_30default_config_static_selectorELNS0_4arch9wavefront6targetE0EEEvT1_,comdat
.Lfunc_end285:
	.size	_ZN7rocprim17ROCPRIM_400000_NS6detail17trampoline_kernelINS0_14default_configENS1_27scan_by_key_config_selectorIssEEZZNS1_16scan_by_key_implILNS1_25lookback_scan_determinismE0ELb0ES3_N6thrust23THRUST_200600_302600_NS6detail15normal_iteratorINS9_10device_ptrIsEEEESE_SE_sNS9_10multipliesIsEENS9_8equal_toIsEEsEE10hipError_tPvRmT2_T3_T4_T5_mT6_T7_P12ihipStream_tbENKUlT_T0_E_clISt17integral_constantIbLb0EESZ_EEDaSU_SV_EUlSU_E_NS1_11comp_targetILNS1_3genE3ELNS1_11target_archE908ELNS1_3gpuE7ELNS1_3repE0EEENS1_30default_config_static_selectorELNS0_4arch9wavefront6targetE0EEEvT1_, .Lfunc_end285-_ZN7rocprim17ROCPRIM_400000_NS6detail17trampoline_kernelINS0_14default_configENS1_27scan_by_key_config_selectorIssEEZZNS1_16scan_by_key_implILNS1_25lookback_scan_determinismE0ELb0ES3_N6thrust23THRUST_200600_302600_NS6detail15normal_iteratorINS9_10device_ptrIsEEEESE_SE_sNS9_10multipliesIsEENS9_8equal_toIsEEsEE10hipError_tPvRmT2_T3_T4_T5_mT6_T7_P12ihipStream_tbENKUlT_T0_E_clISt17integral_constantIbLb0EESZ_EEDaSU_SV_EUlSU_E_NS1_11comp_targetILNS1_3genE3ELNS1_11target_archE908ELNS1_3gpuE7ELNS1_3repE0EEENS1_30default_config_static_selectorELNS0_4arch9wavefront6targetE0EEEvT1_
                                        ; -- End function
	.set _ZN7rocprim17ROCPRIM_400000_NS6detail17trampoline_kernelINS0_14default_configENS1_27scan_by_key_config_selectorIssEEZZNS1_16scan_by_key_implILNS1_25lookback_scan_determinismE0ELb0ES3_N6thrust23THRUST_200600_302600_NS6detail15normal_iteratorINS9_10device_ptrIsEEEESE_SE_sNS9_10multipliesIsEENS9_8equal_toIsEEsEE10hipError_tPvRmT2_T3_T4_T5_mT6_T7_P12ihipStream_tbENKUlT_T0_E_clISt17integral_constantIbLb0EESZ_EEDaSU_SV_EUlSU_E_NS1_11comp_targetILNS1_3genE3ELNS1_11target_archE908ELNS1_3gpuE7ELNS1_3repE0EEENS1_30default_config_static_selectorELNS0_4arch9wavefront6targetE0EEEvT1_.num_vgpr, 0
	.set _ZN7rocprim17ROCPRIM_400000_NS6detail17trampoline_kernelINS0_14default_configENS1_27scan_by_key_config_selectorIssEEZZNS1_16scan_by_key_implILNS1_25lookback_scan_determinismE0ELb0ES3_N6thrust23THRUST_200600_302600_NS6detail15normal_iteratorINS9_10device_ptrIsEEEESE_SE_sNS9_10multipliesIsEENS9_8equal_toIsEEsEE10hipError_tPvRmT2_T3_T4_T5_mT6_T7_P12ihipStream_tbENKUlT_T0_E_clISt17integral_constantIbLb0EESZ_EEDaSU_SV_EUlSU_E_NS1_11comp_targetILNS1_3genE3ELNS1_11target_archE908ELNS1_3gpuE7ELNS1_3repE0EEENS1_30default_config_static_selectorELNS0_4arch9wavefront6targetE0EEEvT1_.num_agpr, 0
	.set _ZN7rocprim17ROCPRIM_400000_NS6detail17trampoline_kernelINS0_14default_configENS1_27scan_by_key_config_selectorIssEEZZNS1_16scan_by_key_implILNS1_25lookback_scan_determinismE0ELb0ES3_N6thrust23THRUST_200600_302600_NS6detail15normal_iteratorINS9_10device_ptrIsEEEESE_SE_sNS9_10multipliesIsEENS9_8equal_toIsEEsEE10hipError_tPvRmT2_T3_T4_T5_mT6_T7_P12ihipStream_tbENKUlT_T0_E_clISt17integral_constantIbLb0EESZ_EEDaSU_SV_EUlSU_E_NS1_11comp_targetILNS1_3genE3ELNS1_11target_archE908ELNS1_3gpuE7ELNS1_3repE0EEENS1_30default_config_static_selectorELNS0_4arch9wavefront6targetE0EEEvT1_.numbered_sgpr, 0
	.set _ZN7rocprim17ROCPRIM_400000_NS6detail17trampoline_kernelINS0_14default_configENS1_27scan_by_key_config_selectorIssEEZZNS1_16scan_by_key_implILNS1_25lookback_scan_determinismE0ELb0ES3_N6thrust23THRUST_200600_302600_NS6detail15normal_iteratorINS9_10device_ptrIsEEEESE_SE_sNS9_10multipliesIsEENS9_8equal_toIsEEsEE10hipError_tPvRmT2_T3_T4_T5_mT6_T7_P12ihipStream_tbENKUlT_T0_E_clISt17integral_constantIbLb0EESZ_EEDaSU_SV_EUlSU_E_NS1_11comp_targetILNS1_3genE3ELNS1_11target_archE908ELNS1_3gpuE7ELNS1_3repE0EEENS1_30default_config_static_selectorELNS0_4arch9wavefront6targetE0EEEvT1_.num_named_barrier, 0
	.set _ZN7rocprim17ROCPRIM_400000_NS6detail17trampoline_kernelINS0_14default_configENS1_27scan_by_key_config_selectorIssEEZZNS1_16scan_by_key_implILNS1_25lookback_scan_determinismE0ELb0ES3_N6thrust23THRUST_200600_302600_NS6detail15normal_iteratorINS9_10device_ptrIsEEEESE_SE_sNS9_10multipliesIsEENS9_8equal_toIsEEsEE10hipError_tPvRmT2_T3_T4_T5_mT6_T7_P12ihipStream_tbENKUlT_T0_E_clISt17integral_constantIbLb0EESZ_EEDaSU_SV_EUlSU_E_NS1_11comp_targetILNS1_3genE3ELNS1_11target_archE908ELNS1_3gpuE7ELNS1_3repE0EEENS1_30default_config_static_selectorELNS0_4arch9wavefront6targetE0EEEvT1_.private_seg_size, 0
	.set _ZN7rocprim17ROCPRIM_400000_NS6detail17trampoline_kernelINS0_14default_configENS1_27scan_by_key_config_selectorIssEEZZNS1_16scan_by_key_implILNS1_25lookback_scan_determinismE0ELb0ES3_N6thrust23THRUST_200600_302600_NS6detail15normal_iteratorINS9_10device_ptrIsEEEESE_SE_sNS9_10multipliesIsEENS9_8equal_toIsEEsEE10hipError_tPvRmT2_T3_T4_T5_mT6_T7_P12ihipStream_tbENKUlT_T0_E_clISt17integral_constantIbLb0EESZ_EEDaSU_SV_EUlSU_E_NS1_11comp_targetILNS1_3genE3ELNS1_11target_archE908ELNS1_3gpuE7ELNS1_3repE0EEENS1_30default_config_static_selectorELNS0_4arch9wavefront6targetE0EEEvT1_.uses_vcc, 0
	.set _ZN7rocprim17ROCPRIM_400000_NS6detail17trampoline_kernelINS0_14default_configENS1_27scan_by_key_config_selectorIssEEZZNS1_16scan_by_key_implILNS1_25lookback_scan_determinismE0ELb0ES3_N6thrust23THRUST_200600_302600_NS6detail15normal_iteratorINS9_10device_ptrIsEEEESE_SE_sNS9_10multipliesIsEENS9_8equal_toIsEEsEE10hipError_tPvRmT2_T3_T4_T5_mT6_T7_P12ihipStream_tbENKUlT_T0_E_clISt17integral_constantIbLb0EESZ_EEDaSU_SV_EUlSU_E_NS1_11comp_targetILNS1_3genE3ELNS1_11target_archE908ELNS1_3gpuE7ELNS1_3repE0EEENS1_30default_config_static_selectorELNS0_4arch9wavefront6targetE0EEEvT1_.uses_flat_scratch, 0
	.set _ZN7rocprim17ROCPRIM_400000_NS6detail17trampoline_kernelINS0_14default_configENS1_27scan_by_key_config_selectorIssEEZZNS1_16scan_by_key_implILNS1_25lookback_scan_determinismE0ELb0ES3_N6thrust23THRUST_200600_302600_NS6detail15normal_iteratorINS9_10device_ptrIsEEEESE_SE_sNS9_10multipliesIsEENS9_8equal_toIsEEsEE10hipError_tPvRmT2_T3_T4_T5_mT6_T7_P12ihipStream_tbENKUlT_T0_E_clISt17integral_constantIbLb0EESZ_EEDaSU_SV_EUlSU_E_NS1_11comp_targetILNS1_3genE3ELNS1_11target_archE908ELNS1_3gpuE7ELNS1_3repE0EEENS1_30default_config_static_selectorELNS0_4arch9wavefront6targetE0EEEvT1_.has_dyn_sized_stack, 0
	.set _ZN7rocprim17ROCPRIM_400000_NS6detail17trampoline_kernelINS0_14default_configENS1_27scan_by_key_config_selectorIssEEZZNS1_16scan_by_key_implILNS1_25lookback_scan_determinismE0ELb0ES3_N6thrust23THRUST_200600_302600_NS6detail15normal_iteratorINS9_10device_ptrIsEEEESE_SE_sNS9_10multipliesIsEENS9_8equal_toIsEEsEE10hipError_tPvRmT2_T3_T4_T5_mT6_T7_P12ihipStream_tbENKUlT_T0_E_clISt17integral_constantIbLb0EESZ_EEDaSU_SV_EUlSU_E_NS1_11comp_targetILNS1_3genE3ELNS1_11target_archE908ELNS1_3gpuE7ELNS1_3repE0EEENS1_30default_config_static_selectorELNS0_4arch9wavefront6targetE0EEEvT1_.has_recursion, 0
	.set _ZN7rocprim17ROCPRIM_400000_NS6detail17trampoline_kernelINS0_14default_configENS1_27scan_by_key_config_selectorIssEEZZNS1_16scan_by_key_implILNS1_25lookback_scan_determinismE0ELb0ES3_N6thrust23THRUST_200600_302600_NS6detail15normal_iteratorINS9_10device_ptrIsEEEESE_SE_sNS9_10multipliesIsEENS9_8equal_toIsEEsEE10hipError_tPvRmT2_T3_T4_T5_mT6_T7_P12ihipStream_tbENKUlT_T0_E_clISt17integral_constantIbLb0EESZ_EEDaSU_SV_EUlSU_E_NS1_11comp_targetILNS1_3genE3ELNS1_11target_archE908ELNS1_3gpuE7ELNS1_3repE0EEENS1_30default_config_static_selectorELNS0_4arch9wavefront6targetE0EEEvT1_.has_indirect_call, 0
	.section	.AMDGPU.csdata,"",@progbits
; Kernel info:
; codeLenInByte = 0
; TotalNumSgprs: 0
; NumVgprs: 0
; ScratchSize: 0
; MemoryBound: 0
; FloatMode: 240
; IeeeMode: 1
; LDSByteSize: 0 bytes/workgroup (compile time only)
; SGPRBlocks: 0
; VGPRBlocks: 0
; NumSGPRsForWavesPerEU: 1
; NumVGPRsForWavesPerEU: 1
; Occupancy: 16
; WaveLimiterHint : 0
; COMPUTE_PGM_RSRC2:SCRATCH_EN: 0
; COMPUTE_PGM_RSRC2:USER_SGPR: 6
; COMPUTE_PGM_RSRC2:TRAP_HANDLER: 0
; COMPUTE_PGM_RSRC2:TGID_X_EN: 1
; COMPUTE_PGM_RSRC2:TGID_Y_EN: 0
; COMPUTE_PGM_RSRC2:TGID_Z_EN: 0
; COMPUTE_PGM_RSRC2:TIDIG_COMP_CNT: 0
	.section	.text._ZN7rocprim17ROCPRIM_400000_NS6detail17trampoline_kernelINS0_14default_configENS1_27scan_by_key_config_selectorIssEEZZNS1_16scan_by_key_implILNS1_25lookback_scan_determinismE0ELb0ES3_N6thrust23THRUST_200600_302600_NS6detail15normal_iteratorINS9_10device_ptrIsEEEESE_SE_sNS9_10multipliesIsEENS9_8equal_toIsEEsEE10hipError_tPvRmT2_T3_T4_T5_mT6_T7_P12ihipStream_tbENKUlT_T0_E_clISt17integral_constantIbLb0EESZ_EEDaSU_SV_EUlSU_E_NS1_11comp_targetILNS1_3genE2ELNS1_11target_archE906ELNS1_3gpuE6ELNS1_3repE0EEENS1_30default_config_static_selectorELNS0_4arch9wavefront6targetE0EEEvT1_,"axG",@progbits,_ZN7rocprim17ROCPRIM_400000_NS6detail17trampoline_kernelINS0_14default_configENS1_27scan_by_key_config_selectorIssEEZZNS1_16scan_by_key_implILNS1_25lookback_scan_determinismE0ELb0ES3_N6thrust23THRUST_200600_302600_NS6detail15normal_iteratorINS9_10device_ptrIsEEEESE_SE_sNS9_10multipliesIsEENS9_8equal_toIsEEsEE10hipError_tPvRmT2_T3_T4_T5_mT6_T7_P12ihipStream_tbENKUlT_T0_E_clISt17integral_constantIbLb0EESZ_EEDaSU_SV_EUlSU_E_NS1_11comp_targetILNS1_3genE2ELNS1_11target_archE906ELNS1_3gpuE6ELNS1_3repE0EEENS1_30default_config_static_selectorELNS0_4arch9wavefront6targetE0EEEvT1_,comdat
	.protected	_ZN7rocprim17ROCPRIM_400000_NS6detail17trampoline_kernelINS0_14default_configENS1_27scan_by_key_config_selectorIssEEZZNS1_16scan_by_key_implILNS1_25lookback_scan_determinismE0ELb0ES3_N6thrust23THRUST_200600_302600_NS6detail15normal_iteratorINS9_10device_ptrIsEEEESE_SE_sNS9_10multipliesIsEENS9_8equal_toIsEEsEE10hipError_tPvRmT2_T3_T4_T5_mT6_T7_P12ihipStream_tbENKUlT_T0_E_clISt17integral_constantIbLb0EESZ_EEDaSU_SV_EUlSU_E_NS1_11comp_targetILNS1_3genE2ELNS1_11target_archE906ELNS1_3gpuE6ELNS1_3repE0EEENS1_30default_config_static_selectorELNS0_4arch9wavefront6targetE0EEEvT1_ ; -- Begin function _ZN7rocprim17ROCPRIM_400000_NS6detail17trampoline_kernelINS0_14default_configENS1_27scan_by_key_config_selectorIssEEZZNS1_16scan_by_key_implILNS1_25lookback_scan_determinismE0ELb0ES3_N6thrust23THRUST_200600_302600_NS6detail15normal_iteratorINS9_10device_ptrIsEEEESE_SE_sNS9_10multipliesIsEENS9_8equal_toIsEEsEE10hipError_tPvRmT2_T3_T4_T5_mT6_T7_P12ihipStream_tbENKUlT_T0_E_clISt17integral_constantIbLb0EESZ_EEDaSU_SV_EUlSU_E_NS1_11comp_targetILNS1_3genE2ELNS1_11target_archE906ELNS1_3gpuE6ELNS1_3repE0EEENS1_30default_config_static_selectorELNS0_4arch9wavefront6targetE0EEEvT1_
	.globl	_ZN7rocprim17ROCPRIM_400000_NS6detail17trampoline_kernelINS0_14default_configENS1_27scan_by_key_config_selectorIssEEZZNS1_16scan_by_key_implILNS1_25lookback_scan_determinismE0ELb0ES3_N6thrust23THRUST_200600_302600_NS6detail15normal_iteratorINS9_10device_ptrIsEEEESE_SE_sNS9_10multipliesIsEENS9_8equal_toIsEEsEE10hipError_tPvRmT2_T3_T4_T5_mT6_T7_P12ihipStream_tbENKUlT_T0_E_clISt17integral_constantIbLb0EESZ_EEDaSU_SV_EUlSU_E_NS1_11comp_targetILNS1_3genE2ELNS1_11target_archE906ELNS1_3gpuE6ELNS1_3repE0EEENS1_30default_config_static_selectorELNS0_4arch9wavefront6targetE0EEEvT1_
	.p2align	8
	.type	_ZN7rocprim17ROCPRIM_400000_NS6detail17trampoline_kernelINS0_14default_configENS1_27scan_by_key_config_selectorIssEEZZNS1_16scan_by_key_implILNS1_25lookback_scan_determinismE0ELb0ES3_N6thrust23THRUST_200600_302600_NS6detail15normal_iteratorINS9_10device_ptrIsEEEESE_SE_sNS9_10multipliesIsEENS9_8equal_toIsEEsEE10hipError_tPvRmT2_T3_T4_T5_mT6_T7_P12ihipStream_tbENKUlT_T0_E_clISt17integral_constantIbLb0EESZ_EEDaSU_SV_EUlSU_E_NS1_11comp_targetILNS1_3genE2ELNS1_11target_archE906ELNS1_3gpuE6ELNS1_3repE0EEENS1_30default_config_static_selectorELNS0_4arch9wavefront6targetE0EEEvT1_,@function
_ZN7rocprim17ROCPRIM_400000_NS6detail17trampoline_kernelINS0_14default_configENS1_27scan_by_key_config_selectorIssEEZZNS1_16scan_by_key_implILNS1_25lookback_scan_determinismE0ELb0ES3_N6thrust23THRUST_200600_302600_NS6detail15normal_iteratorINS9_10device_ptrIsEEEESE_SE_sNS9_10multipliesIsEENS9_8equal_toIsEEsEE10hipError_tPvRmT2_T3_T4_T5_mT6_T7_P12ihipStream_tbENKUlT_T0_E_clISt17integral_constantIbLb0EESZ_EEDaSU_SV_EUlSU_E_NS1_11comp_targetILNS1_3genE2ELNS1_11target_archE906ELNS1_3gpuE6ELNS1_3repE0EEENS1_30default_config_static_selectorELNS0_4arch9wavefront6targetE0EEEvT1_: ; @_ZN7rocprim17ROCPRIM_400000_NS6detail17trampoline_kernelINS0_14default_configENS1_27scan_by_key_config_selectorIssEEZZNS1_16scan_by_key_implILNS1_25lookback_scan_determinismE0ELb0ES3_N6thrust23THRUST_200600_302600_NS6detail15normal_iteratorINS9_10device_ptrIsEEEESE_SE_sNS9_10multipliesIsEENS9_8equal_toIsEEsEE10hipError_tPvRmT2_T3_T4_T5_mT6_T7_P12ihipStream_tbENKUlT_T0_E_clISt17integral_constantIbLb0EESZ_EEDaSU_SV_EUlSU_E_NS1_11comp_targetILNS1_3genE2ELNS1_11target_archE906ELNS1_3gpuE6ELNS1_3repE0EEENS1_30default_config_static_selectorELNS0_4arch9wavefront6targetE0EEEvT1_
; %bb.0:
	.section	.rodata,"a",@progbits
	.p2align	6, 0x0
	.amdhsa_kernel _ZN7rocprim17ROCPRIM_400000_NS6detail17trampoline_kernelINS0_14default_configENS1_27scan_by_key_config_selectorIssEEZZNS1_16scan_by_key_implILNS1_25lookback_scan_determinismE0ELb0ES3_N6thrust23THRUST_200600_302600_NS6detail15normal_iteratorINS9_10device_ptrIsEEEESE_SE_sNS9_10multipliesIsEENS9_8equal_toIsEEsEE10hipError_tPvRmT2_T3_T4_T5_mT6_T7_P12ihipStream_tbENKUlT_T0_E_clISt17integral_constantIbLb0EESZ_EEDaSU_SV_EUlSU_E_NS1_11comp_targetILNS1_3genE2ELNS1_11target_archE906ELNS1_3gpuE6ELNS1_3repE0EEENS1_30default_config_static_selectorELNS0_4arch9wavefront6targetE0EEEvT1_
		.amdhsa_group_segment_fixed_size 0
		.amdhsa_private_segment_fixed_size 0
		.amdhsa_kernarg_size 112
		.amdhsa_user_sgpr_count 6
		.amdhsa_user_sgpr_private_segment_buffer 1
		.amdhsa_user_sgpr_dispatch_ptr 0
		.amdhsa_user_sgpr_queue_ptr 0
		.amdhsa_user_sgpr_kernarg_segment_ptr 1
		.amdhsa_user_sgpr_dispatch_id 0
		.amdhsa_user_sgpr_flat_scratch_init 0
		.amdhsa_user_sgpr_private_segment_size 0
		.amdhsa_wavefront_size32 1
		.amdhsa_uses_dynamic_stack 0
		.amdhsa_system_sgpr_private_segment_wavefront_offset 0
		.amdhsa_system_sgpr_workgroup_id_x 1
		.amdhsa_system_sgpr_workgroup_id_y 0
		.amdhsa_system_sgpr_workgroup_id_z 0
		.amdhsa_system_sgpr_workgroup_info 0
		.amdhsa_system_vgpr_workitem_id 0
		.amdhsa_next_free_vgpr 1
		.amdhsa_next_free_sgpr 1
		.amdhsa_reserve_vcc 0
		.amdhsa_reserve_flat_scratch 0
		.amdhsa_float_round_mode_32 0
		.amdhsa_float_round_mode_16_64 0
		.amdhsa_float_denorm_mode_32 3
		.amdhsa_float_denorm_mode_16_64 3
		.amdhsa_dx10_clamp 1
		.amdhsa_ieee_mode 1
		.amdhsa_fp16_overflow 0
		.amdhsa_workgroup_processor_mode 1
		.amdhsa_memory_ordered 1
		.amdhsa_forward_progress 1
		.amdhsa_shared_vgpr_count 0
		.amdhsa_exception_fp_ieee_invalid_op 0
		.amdhsa_exception_fp_denorm_src 0
		.amdhsa_exception_fp_ieee_div_zero 0
		.amdhsa_exception_fp_ieee_overflow 0
		.amdhsa_exception_fp_ieee_underflow 0
		.amdhsa_exception_fp_ieee_inexact 0
		.amdhsa_exception_int_div_zero 0
	.end_amdhsa_kernel
	.section	.text._ZN7rocprim17ROCPRIM_400000_NS6detail17trampoline_kernelINS0_14default_configENS1_27scan_by_key_config_selectorIssEEZZNS1_16scan_by_key_implILNS1_25lookback_scan_determinismE0ELb0ES3_N6thrust23THRUST_200600_302600_NS6detail15normal_iteratorINS9_10device_ptrIsEEEESE_SE_sNS9_10multipliesIsEENS9_8equal_toIsEEsEE10hipError_tPvRmT2_T3_T4_T5_mT6_T7_P12ihipStream_tbENKUlT_T0_E_clISt17integral_constantIbLb0EESZ_EEDaSU_SV_EUlSU_E_NS1_11comp_targetILNS1_3genE2ELNS1_11target_archE906ELNS1_3gpuE6ELNS1_3repE0EEENS1_30default_config_static_selectorELNS0_4arch9wavefront6targetE0EEEvT1_,"axG",@progbits,_ZN7rocprim17ROCPRIM_400000_NS6detail17trampoline_kernelINS0_14default_configENS1_27scan_by_key_config_selectorIssEEZZNS1_16scan_by_key_implILNS1_25lookback_scan_determinismE0ELb0ES3_N6thrust23THRUST_200600_302600_NS6detail15normal_iteratorINS9_10device_ptrIsEEEESE_SE_sNS9_10multipliesIsEENS9_8equal_toIsEEsEE10hipError_tPvRmT2_T3_T4_T5_mT6_T7_P12ihipStream_tbENKUlT_T0_E_clISt17integral_constantIbLb0EESZ_EEDaSU_SV_EUlSU_E_NS1_11comp_targetILNS1_3genE2ELNS1_11target_archE906ELNS1_3gpuE6ELNS1_3repE0EEENS1_30default_config_static_selectorELNS0_4arch9wavefront6targetE0EEEvT1_,comdat
.Lfunc_end286:
	.size	_ZN7rocprim17ROCPRIM_400000_NS6detail17trampoline_kernelINS0_14default_configENS1_27scan_by_key_config_selectorIssEEZZNS1_16scan_by_key_implILNS1_25lookback_scan_determinismE0ELb0ES3_N6thrust23THRUST_200600_302600_NS6detail15normal_iteratorINS9_10device_ptrIsEEEESE_SE_sNS9_10multipliesIsEENS9_8equal_toIsEEsEE10hipError_tPvRmT2_T3_T4_T5_mT6_T7_P12ihipStream_tbENKUlT_T0_E_clISt17integral_constantIbLb0EESZ_EEDaSU_SV_EUlSU_E_NS1_11comp_targetILNS1_3genE2ELNS1_11target_archE906ELNS1_3gpuE6ELNS1_3repE0EEENS1_30default_config_static_selectorELNS0_4arch9wavefront6targetE0EEEvT1_, .Lfunc_end286-_ZN7rocprim17ROCPRIM_400000_NS6detail17trampoline_kernelINS0_14default_configENS1_27scan_by_key_config_selectorIssEEZZNS1_16scan_by_key_implILNS1_25lookback_scan_determinismE0ELb0ES3_N6thrust23THRUST_200600_302600_NS6detail15normal_iteratorINS9_10device_ptrIsEEEESE_SE_sNS9_10multipliesIsEENS9_8equal_toIsEEsEE10hipError_tPvRmT2_T3_T4_T5_mT6_T7_P12ihipStream_tbENKUlT_T0_E_clISt17integral_constantIbLb0EESZ_EEDaSU_SV_EUlSU_E_NS1_11comp_targetILNS1_3genE2ELNS1_11target_archE906ELNS1_3gpuE6ELNS1_3repE0EEENS1_30default_config_static_selectorELNS0_4arch9wavefront6targetE0EEEvT1_
                                        ; -- End function
	.set _ZN7rocprim17ROCPRIM_400000_NS6detail17trampoline_kernelINS0_14default_configENS1_27scan_by_key_config_selectorIssEEZZNS1_16scan_by_key_implILNS1_25lookback_scan_determinismE0ELb0ES3_N6thrust23THRUST_200600_302600_NS6detail15normal_iteratorINS9_10device_ptrIsEEEESE_SE_sNS9_10multipliesIsEENS9_8equal_toIsEEsEE10hipError_tPvRmT2_T3_T4_T5_mT6_T7_P12ihipStream_tbENKUlT_T0_E_clISt17integral_constantIbLb0EESZ_EEDaSU_SV_EUlSU_E_NS1_11comp_targetILNS1_3genE2ELNS1_11target_archE906ELNS1_3gpuE6ELNS1_3repE0EEENS1_30default_config_static_selectorELNS0_4arch9wavefront6targetE0EEEvT1_.num_vgpr, 0
	.set _ZN7rocprim17ROCPRIM_400000_NS6detail17trampoline_kernelINS0_14default_configENS1_27scan_by_key_config_selectorIssEEZZNS1_16scan_by_key_implILNS1_25lookback_scan_determinismE0ELb0ES3_N6thrust23THRUST_200600_302600_NS6detail15normal_iteratorINS9_10device_ptrIsEEEESE_SE_sNS9_10multipliesIsEENS9_8equal_toIsEEsEE10hipError_tPvRmT2_T3_T4_T5_mT6_T7_P12ihipStream_tbENKUlT_T0_E_clISt17integral_constantIbLb0EESZ_EEDaSU_SV_EUlSU_E_NS1_11comp_targetILNS1_3genE2ELNS1_11target_archE906ELNS1_3gpuE6ELNS1_3repE0EEENS1_30default_config_static_selectorELNS0_4arch9wavefront6targetE0EEEvT1_.num_agpr, 0
	.set _ZN7rocprim17ROCPRIM_400000_NS6detail17trampoline_kernelINS0_14default_configENS1_27scan_by_key_config_selectorIssEEZZNS1_16scan_by_key_implILNS1_25lookback_scan_determinismE0ELb0ES3_N6thrust23THRUST_200600_302600_NS6detail15normal_iteratorINS9_10device_ptrIsEEEESE_SE_sNS9_10multipliesIsEENS9_8equal_toIsEEsEE10hipError_tPvRmT2_T3_T4_T5_mT6_T7_P12ihipStream_tbENKUlT_T0_E_clISt17integral_constantIbLb0EESZ_EEDaSU_SV_EUlSU_E_NS1_11comp_targetILNS1_3genE2ELNS1_11target_archE906ELNS1_3gpuE6ELNS1_3repE0EEENS1_30default_config_static_selectorELNS0_4arch9wavefront6targetE0EEEvT1_.numbered_sgpr, 0
	.set _ZN7rocprim17ROCPRIM_400000_NS6detail17trampoline_kernelINS0_14default_configENS1_27scan_by_key_config_selectorIssEEZZNS1_16scan_by_key_implILNS1_25lookback_scan_determinismE0ELb0ES3_N6thrust23THRUST_200600_302600_NS6detail15normal_iteratorINS9_10device_ptrIsEEEESE_SE_sNS9_10multipliesIsEENS9_8equal_toIsEEsEE10hipError_tPvRmT2_T3_T4_T5_mT6_T7_P12ihipStream_tbENKUlT_T0_E_clISt17integral_constantIbLb0EESZ_EEDaSU_SV_EUlSU_E_NS1_11comp_targetILNS1_3genE2ELNS1_11target_archE906ELNS1_3gpuE6ELNS1_3repE0EEENS1_30default_config_static_selectorELNS0_4arch9wavefront6targetE0EEEvT1_.num_named_barrier, 0
	.set _ZN7rocprim17ROCPRIM_400000_NS6detail17trampoline_kernelINS0_14default_configENS1_27scan_by_key_config_selectorIssEEZZNS1_16scan_by_key_implILNS1_25lookback_scan_determinismE0ELb0ES3_N6thrust23THRUST_200600_302600_NS6detail15normal_iteratorINS9_10device_ptrIsEEEESE_SE_sNS9_10multipliesIsEENS9_8equal_toIsEEsEE10hipError_tPvRmT2_T3_T4_T5_mT6_T7_P12ihipStream_tbENKUlT_T0_E_clISt17integral_constantIbLb0EESZ_EEDaSU_SV_EUlSU_E_NS1_11comp_targetILNS1_3genE2ELNS1_11target_archE906ELNS1_3gpuE6ELNS1_3repE0EEENS1_30default_config_static_selectorELNS0_4arch9wavefront6targetE0EEEvT1_.private_seg_size, 0
	.set _ZN7rocprim17ROCPRIM_400000_NS6detail17trampoline_kernelINS0_14default_configENS1_27scan_by_key_config_selectorIssEEZZNS1_16scan_by_key_implILNS1_25lookback_scan_determinismE0ELb0ES3_N6thrust23THRUST_200600_302600_NS6detail15normal_iteratorINS9_10device_ptrIsEEEESE_SE_sNS9_10multipliesIsEENS9_8equal_toIsEEsEE10hipError_tPvRmT2_T3_T4_T5_mT6_T7_P12ihipStream_tbENKUlT_T0_E_clISt17integral_constantIbLb0EESZ_EEDaSU_SV_EUlSU_E_NS1_11comp_targetILNS1_3genE2ELNS1_11target_archE906ELNS1_3gpuE6ELNS1_3repE0EEENS1_30default_config_static_selectorELNS0_4arch9wavefront6targetE0EEEvT1_.uses_vcc, 0
	.set _ZN7rocprim17ROCPRIM_400000_NS6detail17trampoline_kernelINS0_14default_configENS1_27scan_by_key_config_selectorIssEEZZNS1_16scan_by_key_implILNS1_25lookback_scan_determinismE0ELb0ES3_N6thrust23THRUST_200600_302600_NS6detail15normal_iteratorINS9_10device_ptrIsEEEESE_SE_sNS9_10multipliesIsEENS9_8equal_toIsEEsEE10hipError_tPvRmT2_T3_T4_T5_mT6_T7_P12ihipStream_tbENKUlT_T0_E_clISt17integral_constantIbLb0EESZ_EEDaSU_SV_EUlSU_E_NS1_11comp_targetILNS1_3genE2ELNS1_11target_archE906ELNS1_3gpuE6ELNS1_3repE0EEENS1_30default_config_static_selectorELNS0_4arch9wavefront6targetE0EEEvT1_.uses_flat_scratch, 0
	.set _ZN7rocprim17ROCPRIM_400000_NS6detail17trampoline_kernelINS0_14default_configENS1_27scan_by_key_config_selectorIssEEZZNS1_16scan_by_key_implILNS1_25lookback_scan_determinismE0ELb0ES3_N6thrust23THRUST_200600_302600_NS6detail15normal_iteratorINS9_10device_ptrIsEEEESE_SE_sNS9_10multipliesIsEENS9_8equal_toIsEEsEE10hipError_tPvRmT2_T3_T4_T5_mT6_T7_P12ihipStream_tbENKUlT_T0_E_clISt17integral_constantIbLb0EESZ_EEDaSU_SV_EUlSU_E_NS1_11comp_targetILNS1_3genE2ELNS1_11target_archE906ELNS1_3gpuE6ELNS1_3repE0EEENS1_30default_config_static_selectorELNS0_4arch9wavefront6targetE0EEEvT1_.has_dyn_sized_stack, 0
	.set _ZN7rocprim17ROCPRIM_400000_NS6detail17trampoline_kernelINS0_14default_configENS1_27scan_by_key_config_selectorIssEEZZNS1_16scan_by_key_implILNS1_25lookback_scan_determinismE0ELb0ES3_N6thrust23THRUST_200600_302600_NS6detail15normal_iteratorINS9_10device_ptrIsEEEESE_SE_sNS9_10multipliesIsEENS9_8equal_toIsEEsEE10hipError_tPvRmT2_T3_T4_T5_mT6_T7_P12ihipStream_tbENKUlT_T0_E_clISt17integral_constantIbLb0EESZ_EEDaSU_SV_EUlSU_E_NS1_11comp_targetILNS1_3genE2ELNS1_11target_archE906ELNS1_3gpuE6ELNS1_3repE0EEENS1_30default_config_static_selectorELNS0_4arch9wavefront6targetE0EEEvT1_.has_recursion, 0
	.set _ZN7rocprim17ROCPRIM_400000_NS6detail17trampoline_kernelINS0_14default_configENS1_27scan_by_key_config_selectorIssEEZZNS1_16scan_by_key_implILNS1_25lookback_scan_determinismE0ELb0ES3_N6thrust23THRUST_200600_302600_NS6detail15normal_iteratorINS9_10device_ptrIsEEEESE_SE_sNS9_10multipliesIsEENS9_8equal_toIsEEsEE10hipError_tPvRmT2_T3_T4_T5_mT6_T7_P12ihipStream_tbENKUlT_T0_E_clISt17integral_constantIbLb0EESZ_EEDaSU_SV_EUlSU_E_NS1_11comp_targetILNS1_3genE2ELNS1_11target_archE906ELNS1_3gpuE6ELNS1_3repE0EEENS1_30default_config_static_selectorELNS0_4arch9wavefront6targetE0EEEvT1_.has_indirect_call, 0
	.section	.AMDGPU.csdata,"",@progbits
; Kernel info:
; codeLenInByte = 0
; TotalNumSgprs: 0
; NumVgprs: 0
; ScratchSize: 0
; MemoryBound: 0
; FloatMode: 240
; IeeeMode: 1
; LDSByteSize: 0 bytes/workgroup (compile time only)
; SGPRBlocks: 0
; VGPRBlocks: 0
; NumSGPRsForWavesPerEU: 1
; NumVGPRsForWavesPerEU: 1
; Occupancy: 16
; WaveLimiterHint : 0
; COMPUTE_PGM_RSRC2:SCRATCH_EN: 0
; COMPUTE_PGM_RSRC2:USER_SGPR: 6
; COMPUTE_PGM_RSRC2:TRAP_HANDLER: 0
; COMPUTE_PGM_RSRC2:TGID_X_EN: 1
; COMPUTE_PGM_RSRC2:TGID_Y_EN: 0
; COMPUTE_PGM_RSRC2:TGID_Z_EN: 0
; COMPUTE_PGM_RSRC2:TIDIG_COMP_CNT: 0
	.section	.text._ZN7rocprim17ROCPRIM_400000_NS6detail17trampoline_kernelINS0_14default_configENS1_27scan_by_key_config_selectorIssEEZZNS1_16scan_by_key_implILNS1_25lookback_scan_determinismE0ELb0ES3_N6thrust23THRUST_200600_302600_NS6detail15normal_iteratorINS9_10device_ptrIsEEEESE_SE_sNS9_10multipliesIsEENS9_8equal_toIsEEsEE10hipError_tPvRmT2_T3_T4_T5_mT6_T7_P12ihipStream_tbENKUlT_T0_E_clISt17integral_constantIbLb0EESZ_EEDaSU_SV_EUlSU_E_NS1_11comp_targetILNS1_3genE10ELNS1_11target_archE1200ELNS1_3gpuE4ELNS1_3repE0EEENS1_30default_config_static_selectorELNS0_4arch9wavefront6targetE0EEEvT1_,"axG",@progbits,_ZN7rocprim17ROCPRIM_400000_NS6detail17trampoline_kernelINS0_14default_configENS1_27scan_by_key_config_selectorIssEEZZNS1_16scan_by_key_implILNS1_25lookback_scan_determinismE0ELb0ES3_N6thrust23THRUST_200600_302600_NS6detail15normal_iteratorINS9_10device_ptrIsEEEESE_SE_sNS9_10multipliesIsEENS9_8equal_toIsEEsEE10hipError_tPvRmT2_T3_T4_T5_mT6_T7_P12ihipStream_tbENKUlT_T0_E_clISt17integral_constantIbLb0EESZ_EEDaSU_SV_EUlSU_E_NS1_11comp_targetILNS1_3genE10ELNS1_11target_archE1200ELNS1_3gpuE4ELNS1_3repE0EEENS1_30default_config_static_selectorELNS0_4arch9wavefront6targetE0EEEvT1_,comdat
	.protected	_ZN7rocprim17ROCPRIM_400000_NS6detail17trampoline_kernelINS0_14default_configENS1_27scan_by_key_config_selectorIssEEZZNS1_16scan_by_key_implILNS1_25lookback_scan_determinismE0ELb0ES3_N6thrust23THRUST_200600_302600_NS6detail15normal_iteratorINS9_10device_ptrIsEEEESE_SE_sNS9_10multipliesIsEENS9_8equal_toIsEEsEE10hipError_tPvRmT2_T3_T4_T5_mT6_T7_P12ihipStream_tbENKUlT_T0_E_clISt17integral_constantIbLb0EESZ_EEDaSU_SV_EUlSU_E_NS1_11comp_targetILNS1_3genE10ELNS1_11target_archE1200ELNS1_3gpuE4ELNS1_3repE0EEENS1_30default_config_static_selectorELNS0_4arch9wavefront6targetE0EEEvT1_ ; -- Begin function _ZN7rocprim17ROCPRIM_400000_NS6detail17trampoline_kernelINS0_14default_configENS1_27scan_by_key_config_selectorIssEEZZNS1_16scan_by_key_implILNS1_25lookback_scan_determinismE0ELb0ES3_N6thrust23THRUST_200600_302600_NS6detail15normal_iteratorINS9_10device_ptrIsEEEESE_SE_sNS9_10multipliesIsEENS9_8equal_toIsEEsEE10hipError_tPvRmT2_T3_T4_T5_mT6_T7_P12ihipStream_tbENKUlT_T0_E_clISt17integral_constantIbLb0EESZ_EEDaSU_SV_EUlSU_E_NS1_11comp_targetILNS1_3genE10ELNS1_11target_archE1200ELNS1_3gpuE4ELNS1_3repE0EEENS1_30default_config_static_selectorELNS0_4arch9wavefront6targetE0EEEvT1_
	.globl	_ZN7rocprim17ROCPRIM_400000_NS6detail17trampoline_kernelINS0_14default_configENS1_27scan_by_key_config_selectorIssEEZZNS1_16scan_by_key_implILNS1_25lookback_scan_determinismE0ELb0ES3_N6thrust23THRUST_200600_302600_NS6detail15normal_iteratorINS9_10device_ptrIsEEEESE_SE_sNS9_10multipliesIsEENS9_8equal_toIsEEsEE10hipError_tPvRmT2_T3_T4_T5_mT6_T7_P12ihipStream_tbENKUlT_T0_E_clISt17integral_constantIbLb0EESZ_EEDaSU_SV_EUlSU_E_NS1_11comp_targetILNS1_3genE10ELNS1_11target_archE1200ELNS1_3gpuE4ELNS1_3repE0EEENS1_30default_config_static_selectorELNS0_4arch9wavefront6targetE0EEEvT1_
	.p2align	8
	.type	_ZN7rocprim17ROCPRIM_400000_NS6detail17trampoline_kernelINS0_14default_configENS1_27scan_by_key_config_selectorIssEEZZNS1_16scan_by_key_implILNS1_25lookback_scan_determinismE0ELb0ES3_N6thrust23THRUST_200600_302600_NS6detail15normal_iteratorINS9_10device_ptrIsEEEESE_SE_sNS9_10multipliesIsEENS9_8equal_toIsEEsEE10hipError_tPvRmT2_T3_T4_T5_mT6_T7_P12ihipStream_tbENKUlT_T0_E_clISt17integral_constantIbLb0EESZ_EEDaSU_SV_EUlSU_E_NS1_11comp_targetILNS1_3genE10ELNS1_11target_archE1200ELNS1_3gpuE4ELNS1_3repE0EEENS1_30default_config_static_selectorELNS0_4arch9wavefront6targetE0EEEvT1_,@function
_ZN7rocprim17ROCPRIM_400000_NS6detail17trampoline_kernelINS0_14default_configENS1_27scan_by_key_config_selectorIssEEZZNS1_16scan_by_key_implILNS1_25lookback_scan_determinismE0ELb0ES3_N6thrust23THRUST_200600_302600_NS6detail15normal_iteratorINS9_10device_ptrIsEEEESE_SE_sNS9_10multipliesIsEENS9_8equal_toIsEEsEE10hipError_tPvRmT2_T3_T4_T5_mT6_T7_P12ihipStream_tbENKUlT_T0_E_clISt17integral_constantIbLb0EESZ_EEDaSU_SV_EUlSU_E_NS1_11comp_targetILNS1_3genE10ELNS1_11target_archE1200ELNS1_3gpuE4ELNS1_3repE0EEENS1_30default_config_static_selectorELNS0_4arch9wavefront6targetE0EEEvT1_: ; @_ZN7rocprim17ROCPRIM_400000_NS6detail17trampoline_kernelINS0_14default_configENS1_27scan_by_key_config_selectorIssEEZZNS1_16scan_by_key_implILNS1_25lookback_scan_determinismE0ELb0ES3_N6thrust23THRUST_200600_302600_NS6detail15normal_iteratorINS9_10device_ptrIsEEEESE_SE_sNS9_10multipliesIsEENS9_8equal_toIsEEsEE10hipError_tPvRmT2_T3_T4_T5_mT6_T7_P12ihipStream_tbENKUlT_T0_E_clISt17integral_constantIbLb0EESZ_EEDaSU_SV_EUlSU_E_NS1_11comp_targetILNS1_3genE10ELNS1_11target_archE1200ELNS1_3gpuE4ELNS1_3repE0EEENS1_30default_config_static_selectorELNS0_4arch9wavefront6targetE0EEEvT1_
; %bb.0:
	.section	.rodata,"a",@progbits
	.p2align	6, 0x0
	.amdhsa_kernel _ZN7rocprim17ROCPRIM_400000_NS6detail17trampoline_kernelINS0_14default_configENS1_27scan_by_key_config_selectorIssEEZZNS1_16scan_by_key_implILNS1_25lookback_scan_determinismE0ELb0ES3_N6thrust23THRUST_200600_302600_NS6detail15normal_iteratorINS9_10device_ptrIsEEEESE_SE_sNS9_10multipliesIsEENS9_8equal_toIsEEsEE10hipError_tPvRmT2_T3_T4_T5_mT6_T7_P12ihipStream_tbENKUlT_T0_E_clISt17integral_constantIbLb0EESZ_EEDaSU_SV_EUlSU_E_NS1_11comp_targetILNS1_3genE10ELNS1_11target_archE1200ELNS1_3gpuE4ELNS1_3repE0EEENS1_30default_config_static_selectorELNS0_4arch9wavefront6targetE0EEEvT1_
		.amdhsa_group_segment_fixed_size 0
		.amdhsa_private_segment_fixed_size 0
		.amdhsa_kernarg_size 112
		.amdhsa_user_sgpr_count 6
		.amdhsa_user_sgpr_private_segment_buffer 1
		.amdhsa_user_sgpr_dispatch_ptr 0
		.amdhsa_user_sgpr_queue_ptr 0
		.amdhsa_user_sgpr_kernarg_segment_ptr 1
		.amdhsa_user_sgpr_dispatch_id 0
		.amdhsa_user_sgpr_flat_scratch_init 0
		.amdhsa_user_sgpr_private_segment_size 0
		.amdhsa_wavefront_size32 1
		.amdhsa_uses_dynamic_stack 0
		.amdhsa_system_sgpr_private_segment_wavefront_offset 0
		.amdhsa_system_sgpr_workgroup_id_x 1
		.amdhsa_system_sgpr_workgroup_id_y 0
		.amdhsa_system_sgpr_workgroup_id_z 0
		.amdhsa_system_sgpr_workgroup_info 0
		.amdhsa_system_vgpr_workitem_id 0
		.amdhsa_next_free_vgpr 1
		.amdhsa_next_free_sgpr 1
		.amdhsa_reserve_vcc 0
		.amdhsa_reserve_flat_scratch 0
		.amdhsa_float_round_mode_32 0
		.amdhsa_float_round_mode_16_64 0
		.amdhsa_float_denorm_mode_32 3
		.amdhsa_float_denorm_mode_16_64 3
		.amdhsa_dx10_clamp 1
		.amdhsa_ieee_mode 1
		.amdhsa_fp16_overflow 0
		.amdhsa_workgroup_processor_mode 1
		.amdhsa_memory_ordered 1
		.amdhsa_forward_progress 1
		.amdhsa_shared_vgpr_count 0
		.amdhsa_exception_fp_ieee_invalid_op 0
		.amdhsa_exception_fp_denorm_src 0
		.amdhsa_exception_fp_ieee_div_zero 0
		.amdhsa_exception_fp_ieee_overflow 0
		.amdhsa_exception_fp_ieee_underflow 0
		.amdhsa_exception_fp_ieee_inexact 0
		.amdhsa_exception_int_div_zero 0
	.end_amdhsa_kernel
	.section	.text._ZN7rocprim17ROCPRIM_400000_NS6detail17trampoline_kernelINS0_14default_configENS1_27scan_by_key_config_selectorIssEEZZNS1_16scan_by_key_implILNS1_25lookback_scan_determinismE0ELb0ES3_N6thrust23THRUST_200600_302600_NS6detail15normal_iteratorINS9_10device_ptrIsEEEESE_SE_sNS9_10multipliesIsEENS9_8equal_toIsEEsEE10hipError_tPvRmT2_T3_T4_T5_mT6_T7_P12ihipStream_tbENKUlT_T0_E_clISt17integral_constantIbLb0EESZ_EEDaSU_SV_EUlSU_E_NS1_11comp_targetILNS1_3genE10ELNS1_11target_archE1200ELNS1_3gpuE4ELNS1_3repE0EEENS1_30default_config_static_selectorELNS0_4arch9wavefront6targetE0EEEvT1_,"axG",@progbits,_ZN7rocprim17ROCPRIM_400000_NS6detail17trampoline_kernelINS0_14default_configENS1_27scan_by_key_config_selectorIssEEZZNS1_16scan_by_key_implILNS1_25lookback_scan_determinismE0ELb0ES3_N6thrust23THRUST_200600_302600_NS6detail15normal_iteratorINS9_10device_ptrIsEEEESE_SE_sNS9_10multipliesIsEENS9_8equal_toIsEEsEE10hipError_tPvRmT2_T3_T4_T5_mT6_T7_P12ihipStream_tbENKUlT_T0_E_clISt17integral_constantIbLb0EESZ_EEDaSU_SV_EUlSU_E_NS1_11comp_targetILNS1_3genE10ELNS1_11target_archE1200ELNS1_3gpuE4ELNS1_3repE0EEENS1_30default_config_static_selectorELNS0_4arch9wavefront6targetE0EEEvT1_,comdat
.Lfunc_end287:
	.size	_ZN7rocprim17ROCPRIM_400000_NS6detail17trampoline_kernelINS0_14default_configENS1_27scan_by_key_config_selectorIssEEZZNS1_16scan_by_key_implILNS1_25lookback_scan_determinismE0ELb0ES3_N6thrust23THRUST_200600_302600_NS6detail15normal_iteratorINS9_10device_ptrIsEEEESE_SE_sNS9_10multipliesIsEENS9_8equal_toIsEEsEE10hipError_tPvRmT2_T3_T4_T5_mT6_T7_P12ihipStream_tbENKUlT_T0_E_clISt17integral_constantIbLb0EESZ_EEDaSU_SV_EUlSU_E_NS1_11comp_targetILNS1_3genE10ELNS1_11target_archE1200ELNS1_3gpuE4ELNS1_3repE0EEENS1_30default_config_static_selectorELNS0_4arch9wavefront6targetE0EEEvT1_, .Lfunc_end287-_ZN7rocprim17ROCPRIM_400000_NS6detail17trampoline_kernelINS0_14default_configENS1_27scan_by_key_config_selectorIssEEZZNS1_16scan_by_key_implILNS1_25lookback_scan_determinismE0ELb0ES3_N6thrust23THRUST_200600_302600_NS6detail15normal_iteratorINS9_10device_ptrIsEEEESE_SE_sNS9_10multipliesIsEENS9_8equal_toIsEEsEE10hipError_tPvRmT2_T3_T4_T5_mT6_T7_P12ihipStream_tbENKUlT_T0_E_clISt17integral_constantIbLb0EESZ_EEDaSU_SV_EUlSU_E_NS1_11comp_targetILNS1_3genE10ELNS1_11target_archE1200ELNS1_3gpuE4ELNS1_3repE0EEENS1_30default_config_static_selectorELNS0_4arch9wavefront6targetE0EEEvT1_
                                        ; -- End function
	.set _ZN7rocprim17ROCPRIM_400000_NS6detail17trampoline_kernelINS0_14default_configENS1_27scan_by_key_config_selectorIssEEZZNS1_16scan_by_key_implILNS1_25lookback_scan_determinismE0ELb0ES3_N6thrust23THRUST_200600_302600_NS6detail15normal_iteratorINS9_10device_ptrIsEEEESE_SE_sNS9_10multipliesIsEENS9_8equal_toIsEEsEE10hipError_tPvRmT2_T3_T4_T5_mT6_T7_P12ihipStream_tbENKUlT_T0_E_clISt17integral_constantIbLb0EESZ_EEDaSU_SV_EUlSU_E_NS1_11comp_targetILNS1_3genE10ELNS1_11target_archE1200ELNS1_3gpuE4ELNS1_3repE0EEENS1_30default_config_static_selectorELNS0_4arch9wavefront6targetE0EEEvT1_.num_vgpr, 0
	.set _ZN7rocprim17ROCPRIM_400000_NS6detail17trampoline_kernelINS0_14default_configENS1_27scan_by_key_config_selectorIssEEZZNS1_16scan_by_key_implILNS1_25lookback_scan_determinismE0ELb0ES3_N6thrust23THRUST_200600_302600_NS6detail15normal_iteratorINS9_10device_ptrIsEEEESE_SE_sNS9_10multipliesIsEENS9_8equal_toIsEEsEE10hipError_tPvRmT2_T3_T4_T5_mT6_T7_P12ihipStream_tbENKUlT_T0_E_clISt17integral_constantIbLb0EESZ_EEDaSU_SV_EUlSU_E_NS1_11comp_targetILNS1_3genE10ELNS1_11target_archE1200ELNS1_3gpuE4ELNS1_3repE0EEENS1_30default_config_static_selectorELNS0_4arch9wavefront6targetE0EEEvT1_.num_agpr, 0
	.set _ZN7rocprim17ROCPRIM_400000_NS6detail17trampoline_kernelINS0_14default_configENS1_27scan_by_key_config_selectorIssEEZZNS1_16scan_by_key_implILNS1_25lookback_scan_determinismE0ELb0ES3_N6thrust23THRUST_200600_302600_NS6detail15normal_iteratorINS9_10device_ptrIsEEEESE_SE_sNS9_10multipliesIsEENS9_8equal_toIsEEsEE10hipError_tPvRmT2_T3_T4_T5_mT6_T7_P12ihipStream_tbENKUlT_T0_E_clISt17integral_constantIbLb0EESZ_EEDaSU_SV_EUlSU_E_NS1_11comp_targetILNS1_3genE10ELNS1_11target_archE1200ELNS1_3gpuE4ELNS1_3repE0EEENS1_30default_config_static_selectorELNS0_4arch9wavefront6targetE0EEEvT1_.numbered_sgpr, 0
	.set _ZN7rocprim17ROCPRIM_400000_NS6detail17trampoline_kernelINS0_14default_configENS1_27scan_by_key_config_selectorIssEEZZNS1_16scan_by_key_implILNS1_25lookback_scan_determinismE0ELb0ES3_N6thrust23THRUST_200600_302600_NS6detail15normal_iteratorINS9_10device_ptrIsEEEESE_SE_sNS9_10multipliesIsEENS9_8equal_toIsEEsEE10hipError_tPvRmT2_T3_T4_T5_mT6_T7_P12ihipStream_tbENKUlT_T0_E_clISt17integral_constantIbLb0EESZ_EEDaSU_SV_EUlSU_E_NS1_11comp_targetILNS1_3genE10ELNS1_11target_archE1200ELNS1_3gpuE4ELNS1_3repE0EEENS1_30default_config_static_selectorELNS0_4arch9wavefront6targetE0EEEvT1_.num_named_barrier, 0
	.set _ZN7rocprim17ROCPRIM_400000_NS6detail17trampoline_kernelINS0_14default_configENS1_27scan_by_key_config_selectorIssEEZZNS1_16scan_by_key_implILNS1_25lookback_scan_determinismE0ELb0ES3_N6thrust23THRUST_200600_302600_NS6detail15normal_iteratorINS9_10device_ptrIsEEEESE_SE_sNS9_10multipliesIsEENS9_8equal_toIsEEsEE10hipError_tPvRmT2_T3_T4_T5_mT6_T7_P12ihipStream_tbENKUlT_T0_E_clISt17integral_constantIbLb0EESZ_EEDaSU_SV_EUlSU_E_NS1_11comp_targetILNS1_3genE10ELNS1_11target_archE1200ELNS1_3gpuE4ELNS1_3repE0EEENS1_30default_config_static_selectorELNS0_4arch9wavefront6targetE0EEEvT1_.private_seg_size, 0
	.set _ZN7rocprim17ROCPRIM_400000_NS6detail17trampoline_kernelINS0_14default_configENS1_27scan_by_key_config_selectorIssEEZZNS1_16scan_by_key_implILNS1_25lookback_scan_determinismE0ELb0ES3_N6thrust23THRUST_200600_302600_NS6detail15normal_iteratorINS9_10device_ptrIsEEEESE_SE_sNS9_10multipliesIsEENS9_8equal_toIsEEsEE10hipError_tPvRmT2_T3_T4_T5_mT6_T7_P12ihipStream_tbENKUlT_T0_E_clISt17integral_constantIbLb0EESZ_EEDaSU_SV_EUlSU_E_NS1_11comp_targetILNS1_3genE10ELNS1_11target_archE1200ELNS1_3gpuE4ELNS1_3repE0EEENS1_30default_config_static_selectorELNS0_4arch9wavefront6targetE0EEEvT1_.uses_vcc, 0
	.set _ZN7rocprim17ROCPRIM_400000_NS6detail17trampoline_kernelINS0_14default_configENS1_27scan_by_key_config_selectorIssEEZZNS1_16scan_by_key_implILNS1_25lookback_scan_determinismE0ELb0ES3_N6thrust23THRUST_200600_302600_NS6detail15normal_iteratorINS9_10device_ptrIsEEEESE_SE_sNS9_10multipliesIsEENS9_8equal_toIsEEsEE10hipError_tPvRmT2_T3_T4_T5_mT6_T7_P12ihipStream_tbENKUlT_T0_E_clISt17integral_constantIbLb0EESZ_EEDaSU_SV_EUlSU_E_NS1_11comp_targetILNS1_3genE10ELNS1_11target_archE1200ELNS1_3gpuE4ELNS1_3repE0EEENS1_30default_config_static_selectorELNS0_4arch9wavefront6targetE0EEEvT1_.uses_flat_scratch, 0
	.set _ZN7rocprim17ROCPRIM_400000_NS6detail17trampoline_kernelINS0_14default_configENS1_27scan_by_key_config_selectorIssEEZZNS1_16scan_by_key_implILNS1_25lookback_scan_determinismE0ELb0ES3_N6thrust23THRUST_200600_302600_NS6detail15normal_iteratorINS9_10device_ptrIsEEEESE_SE_sNS9_10multipliesIsEENS9_8equal_toIsEEsEE10hipError_tPvRmT2_T3_T4_T5_mT6_T7_P12ihipStream_tbENKUlT_T0_E_clISt17integral_constantIbLb0EESZ_EEDaSU_SV_EUlSU_E_NS1_11comp_targetILNS1_3genE10ELNS1_11target_archE1200ELNS1_3gpuE4ELNS1_3repE0EEENS1_30default_config_static_selectorELNS0_4arch9wavefront6targetE0EEEvT1_.has_dyn_sized_stack, 0
	.set _ZN7rocprim17ROCPRIM_400000_NS6detail17trampoline_kernelINS0_14default_configENS1_27scan_by_key_config_selectorIssEEZZNS1_16scan_by_key_implILNS1_25lookback_scan_determinismE0ELb0ES3_N6thrust23THRUST_200600_302600_NS6detail15normal_iteratorINS9_10device_ptrIsEEEESE_SE_sNS9_10multipliesIsEENS9_8equal_toIsEEsEE10hipError_tPvRmT2_T3_T4_T5_mT6_T7_P12ihipStream_tbENKUlT_T0_E_clISt17integral_constantIbLb0EESZ_EEDaSU_SV_EUlSU_E_NS1_11comp_targetILNS1_3genE10ELNS1_11target_archE1200ELNS1_3gpuE4ELNS1_3repE0EEENS1_30default_config_static_selectorELNS0_4arch9wavefront6targetE0EEEvT1_.has_recursion, 0
	.set _ZN7rocprim17ROCPRIM_400000_NS6detail17trampoline_kernelINS0_14default_configENS1_27scan_by_key_config_selectorIssEEZZNS1_16scan_by_key_implILNS1_25lookback_scan_determinismE0ELb0ES3_N6thrust23THRUST_200600_302600_NS6detail15normal_iteratorINS9_10device_ptrIsEEEESE_SE_sNS9_10multipliesIsEENS9_8equal_toIsEEsEE10hipError_tPvRmT2_T3_T4_T5_mT6_T7_P12ihipStream_tbENKUlT_T0_E_clISt17integral_constantIbLb0EESZ_EEDaSU_SV_EUlSU_E_NS1_11comp_targetILNS1_3genE10ELNS1_11target_archE1200ELNS1_3gpuE4ELNS1_3repE0EEENS1_30default_config_static_selectorELNS0_4arch9wavefront6targetE0EEEvT1_.has_indirect_call, 0
	.section	.AMDGPU.csdata,"",@progbits
; Kernel info:
; codeLenInByte = 0
; TotalNumSgprs: 0
; NumVgprs: 0
; ScratchSize: 0
; MemoryBound: 0
; FloatMode: 240
; IeeeMode: 1
; LDSByteSize: 0 bytes/workgroup (compile time only)
; SGPRBlocks: 0
; VGPRBlocks: 0
; NumSGPRsForWavesPerEU: 1
; NumVGPRsForWavesPerEU: 1
; Occupancy: 16
; WaveLimiterHint : 0
; COMPUTE_PGM_RSRC2:SCRATCH_EN: 0
; COMPUTE_PGM_RSRC2:USER_SGPR: 6
; COMPUTE_PGM_RSRC2:TRAP_HANDLER: 0
; COMPUTE_PGM_RSRC2:TGID_X_EN: 1
; COMPUTE_PGM_RSRC2:TGID_Y_EN: 0
; COMPUTE_PGM_RSRC2:TGID_Z_EN: 0
; COMPUTE_PGM_RSRC2:TIDIG_COMP_CNT: 0
	.section	.text._ZN7rocprim17ROCPRIM_400000_NS6detail17trampoline_kernelINS0_14default_configENS1_27scan_by_key_config_selectorIssEEZZNS1_16scan_by_key_implILNS1_25lookback_scan_determinismE0ELb0ES3_N6thrust23THRUST_200600_302600_NS6detail15normal_iteratorINS9_10device_ptrIsEEEESE_SE_sNS9_10multipliesIsEENS9_8equal_toIsEEsEE10hipError_tPvRmT2_T3_T4_T5_mT6_T7_P12ihipStream_tbENKUlT_T0_E_clISt17integral_constantIbLb0EESZ_EEDaSU_SV_EUlSU_E_NS1_11comp_targetILNS1_3genE9ELNS1_11target_archE1100ELNS1_3gpuE3ELNS1_3repE0EEENS1_30default_config_static_selectorELNS0_4arch9wavefront6targetE0EEEvT1_,"axG",@progbits,_ZN7rocprim17ROCPRIM_400000_NS6detail17trampoline_kernelINS0_14default_configENS1_27scan_by_key_config_selectorIssEEZZNS1_16scan_by_key_implILNS1_25lookback_scan_determinismE0ELb0ES3_N6thrust23THRUST_200600_302600_NS6detail15normal_iteratorINS9_10device_ptrIsEEEESE_SE_sNS9_10multipliesIsEENS9_8equal_toIsEEsEE10hipError_tPvRmT2_T3_T4_T5_mT6_T7_P12ihipStream_tbENKUlT_T0_E_clISt17integral_constantIbLb0EESZ_EEDaSU_SV_EUlSU_E_NS1_11comp_targetILNS1_3genE9ELNS1_11target_archE1100ELNS1_3gpuE3ELNS1_3repE0EEENS1_30default_config_static_selectorELNS0_4arch9wavefront6targetE0EEEvT1_,comdat
	.protected	_ZN7rocprim17ROCPRIM_400000_NS6detail17trampoline_kernelINS0_14default_configENS1_27scan_by_key_config_selectorIssEEZZNS1_16scan_by_key_implILNS1_25lookback_scan_determinismE0ELb0ES3_N6thrust23THRUST_200600_302600_NS6detail15normal_iteratorINS9_10device_ptrIsEEEESE_SE_sNS9_10multipliesIsEENS9_8equal_toIsEEsEE10hipError_tPvRmT2_T3_T4_T5_mT6_T7_P12ihipStream_tbENKUlT_T0_E_clISt17integral_constantIbLb0EESZ_EEDaSU_SV_EUlSU_E_NS1_11comp_targetILNS1_3genE9ELNS1_11target_archE1100ELNS1_3gpuE3ELNS1_3repE0EEENS1_30default_config_static_selectorELNS0_4arch9wavefront6targetE0EEEvT1_ ; -- Begin function _ZN7rocprim17ROCPRIM_400000_NS6detail17trampoline_kernelINS0_14default_configENS1_27scan_by_key_config_selectorIssEEZZNS1_16scan_by_key_implILNS1_25lookback_scan_determinismE0ELb0ES3_N6thrust23THRUST_200600_302600_NS6detail15normal_iteratorINS9_10device_ptrIsEEEESE_SE_sNS9_10multipliesIsEENS9_8equal_toIsEEsEE10hipError_tPvRmT2_T3_T4_T5_mT6_T7_P12ihipStream_tbENKUlT_T0_E_clISt17integral_constantIbLb0EESZ_EEDaSU_SV_EUlSU_E_NS1_11comp_targetILNS1_3genE9ELNS1_11target_archE1100ELNS1_3gpuE3ELNS1_3repE0EEENS1_30default_config_static_selectorELNS0_4arch9wavefront6targetE0EEEvT1_
	.globl	_ZN7rocprim17ROCPRIM_400000_NS6detail17trampoline_kernelINS0_14default_configENS1_27scan_by_key_config_selectorIssEEZZNS1_16scan_by_key_implILNS1_25lookback_scan_determinismE0ELb0ES3_N6thrust23THRUST_200600_302600_NS6detail15normal_iteratorINS9_10device_ptrIsEEEESE_SE_sNS9_10multipliesIsEENS9_8equal_toIsEEsEE10hipError_tPvRmT2_T3_T4_T5_mT6_T7_P12ihipStream_tbENKUlT_T0_E_clISt17integral_constantIbLb0EESZ_EEDaSU_SV_EUlSU_E_NS1_11comp_targetILNS1_3genE9ELNS1_11target_archE1100ELNS1_3gpuE3ELNS1_3repE0EEENS1_30default_config_static_selectorELNS0_4arch9wavefront6targetE0EEEvT1_
	.p2align	8
	.type	_ZN7rocprim17ROCPRIM_400000_NS6detail17trampoline_kernelINS0_14default_configENS1_27scan_by_key_config_selectorIssEEZZNS1_16scan_by_key_implILNS1_25lookback_scan_determinismE0ELb0ES3_N6thrust23THRUST_200600_302600_NS6detail15normal_iteratorINS9_10device_ptrIsEEEESE_SE_sNS9_10multipliesIsEENS9_8equal_toIsEEsEE10hipError_tPvRmT2_T3_T4_T5_mT6_T7_P12ihipStream_tbENKUlT_T0_E_clISt17integral_constantIbLb0EESZ_EEDaSU_SV_EUlSU_E_NS1_11comp_targetILNS1_3genE9ELNS1_11target_archE1100ELNS1_3gpuE3ELNS1_3repE0EEENS1_30default_config_static_selectorELNS0_4arch9wavefront6targetE0EEEvT1_,@function
_ZN7rocprim17ROCPRIM_400000_NS6detail17trampoline_kernelINS0_14default_configENS1_27scan_by_key_config_selectorIssEEZZNS1_16scan_by_key_implILNS1_25lookback_scan_determinismE0ELb0ES3_N6thrust23THRUST_200600_302600_NS6detail15normal_iteratorINS9_10device_ptrIsEEEESE_SE_sNS9_10multipliesIsEENS9_8equal_toIsEEsEE10hipError_tPvRmT2_T3_T4_T5_mT6_T7_P12ihipStream_tbENKUlT_T0_E_clISt17integral_constantIbLb0EESZ_EEDaSU_SV_EUlSU_E_NS1_11comp_targetILNS1_3genE9ELNS1_11target_archE1100ELNS1_3gpuE3ELNS1_3repE0EEENS1_30default_config_static_selectorELNS0_4arch9wavefront6targetE0EEEvT1_: ; @_ZN7rocprim17ROCPRIM_400000_NS6detail17trampoline_kernelINS0_14default_configENS1_27scan_by_key_config_selectorIssEEZZNS1_16scan_by_key_implILNS1_25lookback_scan_determinismE0ELb0ES3_N6thrust23THRUST_200600_302600_NS6detail15normal_iteratorINS9_10device_ptrIsEEEESE_SE_sNS9_10multipliesIsEENS9_8equal_toIsEEsEE10hipError_tPvRmT2_T3_T4_T5_mT6_T7_P12ihipStream_tbENKUlT_T0_E_clISt17integral_constantIbLb0EESZ_EEDaSU_SV_EUlSU_E_NS1_11comp_targetILNS1_3genE9ELNS1_11target_archE1100ELNS1_3gpuE3ELNS1_3repE0EEENS1_30default_config_static_selectorELNS0_4arch9wavefront6targetE0EEEvT1_
; %bb.0:
	.section	.rodata,"a",@progbits
	.p2align	6, 0x0
	.amdhsa_kernel _ZN7rocprim17ROCPRIM_400000_NS6detail17trampoline_kernelINS0_14default_configENS1_27scan_by_key_config_selectorIssEEZZNS1_16scan_by_key_implILNS1_25lookback_scan_determinismE0ELb0ES3_N6thrust23THRUST_200600_302600_NS6detail15normal_iteratorINS9_10device_ptrIsEEEESE_SE_sNS9_10multipliesIsEENS9_8equal_toIsEEsEE10hipError_tPvRmT2_T3_T4_T5_mT6_T7_P12ihipStream_tbENKUlT_T0_E_clISt17integral_constantIbLb0EESZ_EEDaSU_SV_EUlSU_E_NS1_11comp_targetILNS1_3genE9ELNS1_11target_archE1100ELNS1_3gpuE3ELNS1_3repE0EEENS1_30default_config_static_selectorELNS0_4arch9wavefront6targetE0EEEvT1_
		.amdhsa_group_segment_fixed_size 0
		.amdhsa_private_segment_fixed_size 0
		.amdhsa_kernarg_size 112
		.amdhsa_user_sgpr_count 6
		.amdhsa_user_sgpr_private_segment_buffer 1
		.amdhsa_user_sgpr_dispatch_ptr 0
		.amdhsa_user_sgpr_queue_ptr 0
		.amdhsa_user_sgpr_kernarg_segment_ptr 1
		.amdhsa_user_sgpr_dispatch_id 0
		.amdhsa_user_sgpr_flat_scratch_init 0
		.amdhsa_user_sgpr_private_segment_size 0
		.amdhsa_wavefront_size32 1
		.amdhsa_uses_dynamic_stack 0
		.amdhsa_system_sgpr_private_segment_wavefront_offset 0
		.amdhsa_system_sgpr_workgroup_id_x 1
		.amdhsa_system_sgpr_workgroup_id_y 0
		.amdhsa_system_sgpr_workgroup_id_z 0
		.amdhsa_system_sgpr_workgroup_info 0
		.amdhsa_system_vgpr_workitem_id 0
		.amdhsa_next_free_vgpr 1
		.amdhsa_next_free_sgpr 1
		.amdhsa_reserve_vcc 0
		.amdhsa_reserve_flat_scratch 0
		.amdhsa_float_round_mode_32 0
		.amdhsa_float_round_mode_16_64 0
		.amdhsa_float_denorm_mode_32 3
		.amdhsa_float_denorm_mode_16_64 3
		.amdhsa_dx10_clamp 1
		.amdhsa_ieee_mode 1
		.amdhsa_fp16_overflow 0
		.amdhsa_workgroup_processor_mode 1
		.amdhsa_memory_ordered 1
		.amdhsa_forward_progress 1
		.amdhsa_shared_vgpr_count 0
		.amdhsa_exception_fp_ieee_invalid_op 0
		.amdhsa_exception_fp_denorm_src 0
		.amdhsa_exception_fp_ieee_div_zero 0
		.amdhsa_exception_fp_ieee_overflow 0
		.amdhsa_exception_fp_ieee_underflow 0
		.amdhsa_exception_fp_ieee_inexact 0
		.amdhsa_exception_int_div_zero 0
	.end_amdhsa_kernel
	.section	.text._ZN7rocprim17ROCPRIM_400000_NS6detail17trampoline_kernelINS0_14default_configENS1_27scan_by_key_config_selectorIssEEZZNS1_16scan_by_key_implILNS1_25lookback_scan_determinismE0ELb0ES3_N6thrust23THRUST_200600_302600_NS6detail15normal_iteratorINS9_10device_ptrIsEEEESE_SE_sNS9_10multipliesIsEENS9_8equal_toIsEEsEE10hipError_tPvRmT2_T3_T4_T5_mT6_T7_P12ihipStream_tbENKUlT_T0_E_clISt17integral_constantIbLb0EESZ_EEDaSU_SV_EUlSU_E_NS1_11comp_targetILNS1_3genE9ELNS1_11target_archE1100ELNS1_3gpuE3ELNS1_3repE0EEENS1_30default_config_static_selectorELNS0_4arch9wavefront6targetE0EEEvT1_,"axG",@progbits,_ZN7rocprim17ROCPRIM_400000_NS6detail17trampoline_kernelINS0_14default_configENS1_27scan_by_key_config_selectorIssEEZZNS1_16scan_by_key_implILNS1_25lookback_scan_determinismE0ELb0ES3_N6thrust23THRUST_200600_302600_NS6detail15normal_iteratorINS9_10device_ptrIsEEEESE_SE_sNS9_10multipliesIsEENS9_8equal_toIsEEsEE10hipError_tPvRmT2_T3_T4_T5_mT6_T7_P12ihipStream_tbENKUlT_T0_E_clISt17integral_constantIbLb0EESZ_EEDaSU_SV_EUlSU_E_NS1_11comp_targetILNS1_3genE9ELNS1_11target_archE1100ELNS1_3gpuE3ELNS1_3repE0EEENS1_30default_config_static_selectorELNS0_4arch9wavefront6targetE0EEEvT1_,comdat
.Lfunc_end288:
	.size	_ZN7rocprim17ROCPRIM_400000_NS6detail17trampoline_kernelINS0_14default_configENS1_27scan_by_key_config_selectorIssEEZZNS1_16scan_by_key_implILNS1_25lookback_scan_determinismE0ELb0ES3_N6thrust23THRUST_200600_302600_NS6detail15normal_iteratorINS9_10device_ptrIsEEEESE_SE_sNS9_10multipliesIsEENS9_8equal_toIsEEsEE10hipError_tPvRmT2_T3_T4_T5_mT6_T7_P12ihipStream_tbENKUlT_T0_E_clISt17integral_constantIbLb0EESZ_EEDaSU_SV_EUlSU_E_NS1_11comp_targetILNS1_3genE9ELNS1_11target_archE1100ELNS1_3gpuE3ELNS1_3repE0EEENS1_30default_config_static_selectorELNS0_4arch9wavefront6targetE0EEEvT1_, .Lfunc_end288-_ZN7rocprim17ROCPRIM_400000_NS6detail17trampoline_kernelINS0_14default_configENS1_27scan_by_key_config_selectorIssEEZZNS1_16scan_by_key_implILNS1_25lookback_scan_determinismE0ELb0ES3_N6thrust23THRUST_200600_302600_NS6detail15normal_iteratorINS9_10device_ptrIsEEEESE_SE_sNS9_10multipliesIsEENS9_8equal_toIsEEsEE10hipError_tPvRmT2_T3_T4_T5_mT6_T7_P12ihipStream_tbENKUlT_T0_E_clISt17integral_constantIbLb0EESZ_EEDaSU_SV_EUlSU_E_NS1_11comp_targetILNS1_3genE9ELNS1_11target_archE1100ELNS1_3gpuE3ELNS1_3repE0EEENS1_30default_config_static_selectorELNS0_4arch9wavefront6targetE0EEEvT1_
                                        ; -- End function
	.set _ZN7rocprim17ROCPRIM_400000_NS6detail17trampoline_kernelINS0_14default_configENS1_27scan_by_key_config_selectorIssEEZZNS1_16scan_by_key_implILNS1_25lookback_scan_determinismE0ELb0ES3_N6thrust23THRUST_200600_302600_NS6detail15normal_iteratorINS9_10device_ptrIsEEEESE_SE_sNS9_10multipliesIsEENS9_8equal_toIsEEsEE10hipError_tPvRmT2_T3_T4_T5_mT6_T7_P12ihipStream_tbENKUlT_T0_E_clISt17integral_constantIbLb0EESZ_EEDaSU_SV_EUlSU_E_NS1_11comp_targetILNS1_3genE9ELNS1_11target_archE1100ELNS1_3gpuE3ELNS1_3repE0EEENS1_30default_config_static_selectorELNS0_4arch9wavefront6targetE0EEEvT1_.num_vgpr, 0
	.set _ZN7rocprim17ROCPRIM_400000_NS6detail17trampoline_kernelINS0_14default_configENS1_27scan_by_key_config_selectorIssEEZZNS1_16scan_by_key_implILNS1_25lookback_scan_determinismE0ELb0ES3_N6thrust23THRUST_200600_302600_NS6detail15normal_iteratorINS9_10device_ptrIsEEEESE_SE_sNS9_10multipliesIsEENS9_8equal_toIsEEsEE10hipError_tPvRmT2_T3_T4_T5_mT6_T7_P12ihipStream_tbENKUlT_T0_E_clISt17integral_constantIbLb0EESZ_EEDaSU_SV_EUlSU_E_NS1_11comp_targetILNS1_3genE9ELNS1_11target_archE1100ELNS1_3gpuE3ELNS1_3repE0EEENS1_30default_config_static_selectorELNS0_4arch9wavefront6targetE0EEEvT1_.num_agpr, 0
	.set _ZN7rocprim17ROCPRIM_400000_NS6detail17trampoline_kernelINS0_14default_configENS1_27scan_by_key_config_selectorIssEEZZNS1_16scan_by_key_implILNS1_25lookback_scan_determinismE0ELb0ES3_N6thrust23THRUST_200600_302600_NS6detail15normal_iteratorINS9_10device_ptrIsEEEESE_SE_sNS9_10multipliesIsEENS9_8equal_toIsEEsEE10hipError_tPvRmT2_T3_T4_T5_mT6_T7_P12ihipStream_tbENKUlT_T0_E_clISt17integral_constantIbLb0EESZ_EEDaSU_SV_EUlSU_E_NS1_11comp_targetILNS1_3genE9ELNS1_11target_archE1100ELNS1_3gpuE3ELNS1_3repE0EEENS1_30default_config_static_selectorELNS0_4arch9wavefront6targetE0EEEvT1_.numbered_sgpr, 0
	.set _ZN7rocprim17ROCPRIM_400000_NS6detail17trampoline_kernelINS0_14default_configENS1_27scan_by_key_config_selectorIssEEZZNS1_16scan_by_key_implILNS1_25lookback_scan_determinismE0ELb0ES3_N6thrust23THRUST_200600_302600_NS6detail15normal_iteratorINS9_10device_ptrIsEEEESE_SE_sNS9_10multipliesIsEENS9_8equal_toIsEEsEE10hipError_tPvRmT2_T3_T4_T5_mT6_T7_P12ihipStream_tbENKUlT_T0_E_clISt17integral_constantIbLb0EESZ_EEDaSU_SV_EUlSU_E_NS1_11comp_targetILNS1_3genE9ELNS1_11target_archE1100ELNS1_3gpuE3ELNS1_3repE0EEENS1_30default_config_static_selectorELNS0_4arch9wavefront6targetE0EEEvT1_.num_named_barrier, 0
	.set _ZN7rocprim17ROCPRIM_400000_NS6detail17trampoline_kernelINS0_14default_configENS1_27scan_by_key_config_selectorIssEEZZNS1_16scan_by_key_implILNS1_25lookback_scan_determinismE0ELb0ES3_N6thrust23THRUST_200600_302600_NS6detail15normal_iteratorINS9_10device_ptrIsEEEESE_SE_sNS9_10multipliesIsEENS9_8equal_toIsEEsEE10hipError_tPvRmT2_T3_T4_T5_mT6_T7_P12ihipStream_tbENKUlT_T0_E_clISt17integral_constantIbLb0EESZ_EEDaSU_SV_EUlSU_E_NS1_11comp_targetILNS1_3genE9ELNS1_11target_archE1100ELNS1_3gpuE3ELNS1_3repE0EEENS1_30default_config_static_selectorELNS0_4arch9wavefront6targetE0EEEvT1_.private_seg_size, 0
	.set _ZN7rocprim17ROCPRIM_400000_NS6detail17trampoline_kernelINS0_14default_configENS1_27scan_by_key_config_selectorIssEEZZNS1_16scan_by_key_implILNS1_25lookback_scan_determinismE0ELb0ES3_N6thrust23THRUST_200600_302600_NS6detail15normal_iteratorINS9_10device_ptrIsEEEESE_SE_sNS9_10multipliesIsEENS9_8equal_toIsEEsEE10hipError_tPvRmT2_T3_T4_T5_mT6_T7_P12ihipStream_tbENKUlT_T0_E_clISt17integral_constantIbLb0EESZ_EEDaSU_SV_EUlSU_E_NS1_11comp_targetILNS1_3genE9ELNS1_11target_archE1100ELNS1_3gpuE3ELNS1_3repE0EEENS1_30default_config_static_selectorELNS0_4arch9wavefront6targetE0EEEvT1_.uses_vcc, 0
	.set _ZN7rocprim17ROCPRIM_400000_NS6detail17trampoline_kernelINS0_14default_configENS1_27scan_by_key_config_selectorIssEEZZNS1_16scan_by_key_implILNS1_25lookback_scan_determinismE0ELb0ES3_N6thrust23THRUST_200600_302600_NS6detail15normal_iteratorINS9_10device_ptrIsEEEESE_SE_sNS9_10multipliesIsEENS9_8equal_toIsEEsEE10hipError_tPvRmT2_T3_T4_T5_mT6_T7_P12ihipStream_tbENKUlT_T0_E_clISt17integral_constantIbLb0EESZ_EEDaSU_SV_EUlSU_E_NS1_11comp_targetILNS1_3genE9ELNS1_11target_archE1100ELNS1_3gpuE3ELNS1_3repE0EEENS1_30default_config_static_selectorELNS0_4arch9wavefront6targetE0EEEvT1_.uses_flat_scratch, 0
	.set _ZN7rocprim17ROCPRIM_400000_NS6detail17trampoline_kernelINS0_14default_configENS1_27scan_by_key_config_selectorIssEEZZNS1_16scan_by_key_implILNS1_25lookback_scan_determinismE0ELb0ES3_N6thrust23THRUST_200600_302600_NS6detail15normal_iteratorINS9_10device_ptrIsEEEESE_SE_sNS9_10multipliesIsEENS9_8equal_toIsEEsEE10hipError_tPvRmT2_T3_T4_T5_mT6_T7_P12ihipStream_tbENKUlT_T0_E_clISt17integral_constantIbLb0EESZ_EEDaSU_SV_EUlSU_E_NS1_11comp_targetILNS1_3genE9ELNS1_11target_archE1100ELNS1_3gpuE3ELNS1_3repE0EEENS1_30default_config_static_selectorELNS0_4arch9wavefront6targetE0EEEvT1_.has_dyn_sized_stack, 0
	.set _ZN7rocprim17ROCPRIM_400000_NS6detail17trampoline_kernelINS0_14default_configENS1_27scan_by_key_config_selectorIssEEZZNS1_16scan_by_key_implILNS1_25lookback_scan_determinismE0ELb0ES3_N6thrust23THRUST_200600_302600_NS6detail15normal_iteratorINS9_10device_ptrIsEEEESE_SE_sNS9_10multipliesIsEENS9_8equal_toIsEEsEE10hipError_tPvRmT2_T3_T4_T5_mT6_T7_P12ihipStream_tbENKUlT_T0_E_clISt17integral_constantIbLb0EESZ_EEDaSU_SV_EUlSU_E_NS1_11comp_targetILNS1_3genE9ELNS1_11target_archE1100ELNS1_3gpuE3ELNS1_3repE0EEENS1_30default_config_static_selectorELNS0_4arch9wavefront6targetE0EEEvT1_.has_recursion, 0
	.set _ZN7rocprim17ROCPRIM_400000_NS6detail17trampoline_kernelINS0_14default_configENS1_27scan_by_key_config_selectorIssEEZZNS1_16scan_by_key_implILNS1_25lookback_scan_determinismE0ELb0ES3_N6thrust23THRUST_200600_302600_NS6detail15normal_iteratorINS9_10device_ptrIsEEEESE_SE_sNS9_10multipliesIsEENS9_8equal_toIsEEsEE10hipError_tPvRmT2_T3_T4_T5_mT6_T7_P12ihipStream_tbENKUlT_T0_E_clISt17integral_constantIbLb0EESZ_EEDaSU_SV_EUlSU_E_NS1_11comp_targetILNS1_3genE9ELNS1_11target_archE1100ELNS1_3gpuE3ELNS1_3repE0EEENS1_30default_config_static_selectorELNS0_4arch9wavefront6targetE0EEEvT1_.has_indirect_call, 0
	.section	.AMDGPU.csdata,"",@progbits
; Kernel info:
; codeLenInByte = 0
; TotalNumSgprs: 0
; NumVgprs: 0
; ScratchSize: 0
; MemoryBound: 0
; FloatMode: 240
; IeeeMode: 1
; LDSByteSize: 0 bytes/workgroup (compile time only)
; SGPRBlocks: 0
; VGPRBlocks: 0
; NumSGPRsForWavesPerEU: 1
; NumVGPRsForWavesPerEU: 1
; Occupancy: 16
; WaveLimiterHint : 0
; COMPUTE_PGM_RSRC2:SCRATCH_EN: 0
; COMPUTE_PGM_RSRC2:USER_SGPR: 6
; COMPUTE_PGM_RSRC2:TRAP_HANDLER: 0
; COMPUTE_PGM_RSRC2:TGID_X_EN: 1
; COMPUTE_PGM_RSRC2:TGID_Y_EN: 0
; COMPUTE_PGM_RSRC2:TGID_Z_EN: 0
; COMPUTE_PGM_RSRC2:TIDIG_COMP_CNT: 0
	.section	.text._ZN7rocprim17ROCPRIM_400000_NS6detail17trampoline_kernelINS0_14default_configENS1_27scan_by_key_config_selectorIssEEZZNS1_16scan_by_key_implILNS1_25lookback_scan_determinismE0ELb0ES3_N6thrust23THRUST_200600_302600_NS6detail15normal_iteratorINS9_10device_ptrIsEEEESE_SE_sNS9_10multipliesIsEENS9_8equal_toIsEEsEE10hipError_tPvRmT2_T3_T4_T5_mT6_T7_P12ihipStream_tbENKUlT_T0_E_clISt17integral_constantIbLb0EESZ_EEDaSU_SV_EUlSU_E_NS1_11comp_targetILNS1_3genE8ELNS1_11target_archE1030ELNS1_3gpuE2ELNS1_3repE0EEENS1_30default_config_static_selectorELNS0_4arch9wavefront6targetE0EEEvT1_,"axG",@progbits,_ZN7rocprim17ROCPRIM_400000_NS6detail17trampoline_kernelINS0_14default_configENS1_27scan_by_key_config_selectorIssEEZZNS1_16scan_by_key_implILNS1_25lookback_scan_determinismE0ELb0ES3_N6thrust23THRUST_200600_302600_NS6detail15normal_iteratorINS9_10device_ptrIsEEEESE_SE_sNS9_10multipliesIsEENS9_8equal_toIsEEsEE10hipError_tPvRmT2_T3_T4_T5_mT6_T7_P12ihipStream_tbENKUlT_T0_E_clISt17integral_constantIbLb0EESZ_EEDaSU_SV_EUlSU_E_NS1_11comp_targetILNS1_3genE8ELNS1_11target_archE1030ELNS1_3gpuE2ELNS1_3repE0EEENS1_30default_config_static_selectorELNS0_4arch9wavefront6targetE0EEEvT1_,comdat
	.protected	_ZN7rocprim17ROCPRIM_400000_NS6detail17trampoline_kernelINS0_14default_configENS1_27scan_by_key_config_selectorIssEEZZNS1_16scan_by_key_implILNS1_25lookback_scan_determinismE0ELb0ES3_N6thrust23THRUST_200600_302600_NS6detail15normal_iteratorINS9_10device_ptrIsEEEESE_SE_sNS9_10multipliesIsEENS9_8equal_toIsEEsEE10hipError_tPvRmT2_T3_T4_T5_mT6_T7_P12ihipStream_tbENKUlT_T0_E_clISt17integral_constantIbLb0EESZ_EEDaSU_SV_EUlSU_E_NS1_11comp_targetILNS1_3genE8ELNS1_11target_archE1030ELNS1_3gpuE2ELNS1_3repE0EEENS1_30default_config_static_selectorELNS0_4arch9wavefront6targetE0EEEvT1_ ; -- Begin function _ZN7rocprim17ROCPRIM_400000_NS6detail17trampoline_kernelINS0_14default_configENS1_27scan_by_key_config_selectorIssEEZZNS1_16scan_by_key_implILNS1_25lookback_scan_determinismE0ELb0ES3_N6thrust23THRUST_200600_302600_NS6detail15normal_iteratorINS9_10device_ptrIsEEEESE_SE_sNS9_10multipliesIsEENS9_8equal_toIsEEsEE10hipError_tPvRmT2_T3_T4_T5_mT6_T7_P12ihipStream_tbENKUlT_T0_E_clISt17integral_constantIbLb0EESZ_EEDaSU_SV_EUlSU_E_NS1_11comp_targetILNS1_3genE8ELNS1_11target_archE1030ELNS1_3gpuE2ELNS1_3repE0EEENS1_30default_config_static_selectorELNS0_4arch9wavefront6targetE0EEEvT1_
	.globl	_ZN7rocprim17ROCPRIM_400000_NS6detail17trampoline_kernelINS0_14default_configENS1_27scan_by_key_config_selectorIssEEZZNS1_16scan_by_key_implILNS1_25lookback_scan_determinismE0ELb0ES3_N6thrust23THRUST_200600_302600_NS6detail15normal_iteratorINS9_10device_ptrIsEEEESE_SE_sNS9_10multipliesIsEENS9_8equal_toIsEEsEE10hipError_tPvRmT2_T3_T4_T5_mT6_T7_P12ihipStream_tbENKUlT_T0_E_clISt17integral_constantIbLb0EESZ_EEDaSU_SV_EUlSU_E_NS1_11comp_targetILNS1_3genE8ELNS1_11target_archE1030ELNS1_3gpuE2ELNS1_3repE0EEENS1_30default_config_static_selectorELNS0_4arch9wavefront6targetE0EEEvT1_
	.p2align	8
	.type	_ZN7rocprim17ROCPRIM_400000_NS6detail17trampoline_kernelINS0_14default_configENS1_27scan_by_key_config_selectorIssEEZZNS1_16scan_by_key_implILNS1_25lookback_scan_determinismE0ELb0ES3_N6thrust23THRUST_200600_302600_NS6detail15normal_iteratorINS9_10device_ptrIsEEEESE_SE_sNS9_10multipliesIsEENS9_8equal_toIsEEsEE10hipError_tPvRmT2_T3_T4_T5_mT6_T7_P12ihipStream_tbENKUlT_T0_E_clISt17integral_constantIbLb0EESZ_EEDaSU_SV_EUlSU_E_NS1_11comp_targetILNS1_3genE8ELNS1_11target_archE1030ELNS1_3gpuE2ELNS1_3repE0EEENS1_30default_config_static_selectorELNS0_4arch9wavefront6targetE0EEEvT1_,@function
_ZN7rocprim17ROCPRIM_400000_NS6detail17trampoline_kernelINS0_14default_configENS1_27scan_by_key_config_selectorIssEEZZNS1_16scan_by_key_implILNS1_25lookback_scan_determinismE0ELb0ES3_N6thrust23THRUST_200600_302600_NS6detail15normal_iteratorINS9_10device_ptrIsEEEESE_SE_sNS9_10multipliesIsEENS9_8equal_toIsEEsEE10hipError_tPvRmT2_T3_T4_T5_mT6_T7_P12ihipStream_tbENKUlT_T0_E_clISt17integral_constantIbLb0EESZ_EEDaSU_SV_EUlSU_E_NS1_11comp_targetILNS1_3genE8ELNS1_11target_archE1030ELNS1_3gpuE2ELNS1_3repE0EEENS1_30default_config_static_selectorELNS0_4arch9wavefront6targetE0EEEvT1_: ; @_ZN7rocprim17ROCPRIM_400000_NS6detail17trampoline_kernelINS0_14default_configENS1_27scan_by_key_config_selectorIssEEZZNS1_16scan_by_key_implILNS1_25lookback_scan_determinismE0ELb0ES3_N6thrust23THRUST_200600_302600_NS6detail15normal_iteratorINS9_10device_ptrIsEEEESE_SE_sNS9_10multipliesIsEENS9_8equal_toIsEEsEE10hipError_tPvRmT2_T3_T4_T5_mT6_T7_P12ihipStream_tbENKUlT_T0_E_clISt17integral_constantIbLb0EESZ_EEDaSU_SV_EUlSU_E_NS1_11comp_targetILNS1_3genE8ELNS1_11target_archE1030ELNS1_3gpuE2ELNS1_3repE0EEENS1_30default_config_static_selectorELNS0_4arch9wavefront6targetE0EEEvT1_
; %bb.0:
	s_clause 0x4
	s_load_dwordx8 s[8:15], s[4:5], 0x0
	s_load_dwordx2 s[30:31], s[4:5], 0x38
	s_load_dword s2, s[4:5], 0x40
	s_load_dwordx8 s[16:23], s[4:5], 0x48
	s_load_dwordx4 s[24:27], s[4:5], 0x28
	s_mov_b32 s1, 0
	s_waitcnt lgkmcnt(0)
	s_barrier
	buffer_gl0_inv
	s_lshl_b64 s[28:29], s[10:11], 1
	s_add_u32 s4, s8, s28
	s_mul_i32 s0, s31, s2
	s_mul_hi_u32 s3, s30, s2
	s_addc_u32 s5, s9, s29
	s_add_u32 s7, s12, s28
	s_addc_u32 s8, s13, s29
	s_add_i32 s3, s3, s0
	s_cmp_lg_u64 s[20:21], 0
	s_mul_i32 s0, s6, 0x280
	s_cselect_b32 s37, -1, 0
	s_lshl_b64 s[20:21], s[0:1], 1
	s_mul_i32 s0, s30, s2
	s_add_u32 s12, s4, s20
	s_addc_u32 s13, s5, s21
	s_add_u32 s11, s7, s20
	s_addc_u32 s36, s8, s21
	s_add_u32 s34, s0, s6
	s_addc_u32 s35, s3, 0
	s_add_u32 s2, s16, -1
	s_addc_u32 s3, s17, -1
	s_mul_i32 s33, s2, 0xfffffd80
	v_cmp_ge_u64_e64 s27, s[34:35], s[2:3]
	s_and_b32 vcc_lo, exec_lo, s27
	s_cbranch_vccz .LBB289_57
; %bb.1:
	v_mov_b32_e32 v1, s12
	v_mov_b32_e32 v2, s13
	s_add_i32 s38, s33, s26
	v_cmp_gt_u32_e64 s10, s38, v0
	flat_load_ushort v1, v[1:2]
	s_waitcnt vmcnt(0) lgkmcnt(0)
	v_mov_b32_e32 v2, v1
	s_and_saveexec_b32 s0, s10
	s_cbranch_execz .LBB289_3
; %bb.2:
	v_lshlrev_b32_e32 v2, 1, v0
	v_add_co_u32 v2, s1, s12, v2
	v_add_co_ci_u32_e64 v3, null, s13, 0, s1
	flat_load_ushort v2, v[2:3]
.LBB289_3:
	s_or_b32 exec_lo, exec_lo, s0
	v_or_b32_e32 v3, 64, v0
	v_cmp_gt_u32_e64 s9, s38, v3
	v_mov_b32_e32 v3, v1
	s_and_saveexec_b32 s0, s9
	s_cbranch_execz .LBB289_5
; %bb.4:
	v_lshlrev_b32_e32 v3, 1, v0
	v_add_co_u32 v3, s1, s12, v3
	v_add_co_ci_u32_e64 v4, null, s13, 0, s1
	flat_load_ushort v3, v[3:4] offset:128
.LBB289_5:
	s_or_b32 exec_lo, exec_lo, s0
	v_or_b32_e32 v4, 0x80, v0
	v_cmp_gt_u32_e64 s8, s38, v4
	v_mov_b32_e32 v4, v1
	s_and_saveexec_b32 s0, s8
	s_cbranch_execz .LBB289_7
; %bb.6:
	v_lshlrev_b32_e32 v4, 1, v0
	v_add_co_u32 v4, s1, s12, v4
	v_add_co_ci_u32_e64 v5, null, s13, 0, s1
	flat_load_ushort v4, v[4:5] offset:256
.LBB289_7:
	;; [unrolled: 12-line block ×8, first 2 shown]
	s_or_b32 exec_lo, exec_lo, s0
	v_or_b32_e32 v11, 0x240, v0
	s_mov_b32 s16, exec_lo
	v_cmp_gt_u32_e64 s0, s38, v11
	v_cmpx_le_u32_e64 s38, v11
	s_xor_b32 s16, exec_lo, s16
	s_andn2_saveexec_b32 s16, s16
	s_cbranch_execz .LBB289_21
; %bb.20:
	v_lshlrev_b32_e32 v1, 1, v0
	v_add_co_u32 v11, s17, s12, v1
	v_add_co_ci_u32_e64 v12, null, s13, 0, s17
	flat_load_ushort v1, v[11:12] offset:1152
.LBB289_21:
	s_or_b32 exec_lo, exec_lo, s16
	v_lshlrev_b32_e32 v13, 1, v0
	s_cmp_eq_u64 s[34:35], 0
	s_mov_b64 s[16:17], s[12:13]
	s_waitcnt vmcnt(0) lgkmcnt(0)
	ds_write_b16 v13, v2
	ds_write_b16 v13, v3 offset:128
	ds_write_b16 v13, v4 offset:256
	;; [unrolled: 1-line block ×8, first 2 shown]
	v_mad_u32_u24 v23, v0, 18, v13
	ds_write_b16 v13, v1 offset:1152
	s_waitcnt lgkmcnt(0)
	s_barrier
	buffer_gl0_inv
	ds_read2_b32 v[11:12], v23 offset1:1
	ds_read2_b32 v[9:10], v23 offset0:2 offset1:3
	ds_read_b32 v22, v23 offset:16
	s_cbranch_scc1 .LBB289_25
; %bb.22:
	s_andn2_b32 vcc_lo, exec_lo, s37
	s_cbranch_vccnz .LBB289_199
; %bb.23:
	s_lshl_b64 s[16:17], s[34:35], 1
	s_add_u32 s16, s22, s16
	s_addc_u32 s17, s23, s17
	s_add_u32 s16, s16, -2
	s_addc_u32 s17, s17, -1
	s_cbranch_execnz .LBB289_25
.LBB289_24:
	s_add_u32 s16, s12, -2
	s_addc_u32 s17, s13, -1
.LBB289_25:
	v_mov_b32_e32 v1, s16
	v_mov_b32_e32 v2, s17
	s_waitcnt lgkmcnt(0)
	v_lshrrev_b32_e32 v24, 16, v22
	s_mov_b32 s16, exec_lo
	flat_load_ushort v28, v[1:2]
	v_mad_i32_i24 v1, 0xffffffee, v0, v23
	ds_write_b16 v1, v24 offset:1280
	s_waitcnt vmcnt(0) lgkmcnt(0)
	s_barrier
	buffer_gl0_inv
	v_cmpx_ne_u32_e32 0, v0
; %bb.26:
	v_mul_i32_i24_e32 v1, 0xffffffee, v0
	v_add_nc_u32_e32 v1, v23, v1
	ds_read_u16 v28, v1 offset:1278
; %bb.27:
	s_or_b32 exec_lo, exec_lo, s16
	v_mov_b32_e32 v1, 0
	v_lshlrev_b32_e32 v14, 1, v0
	s_waitcnt lgkmcnt(0)
	s_barrier
	buffer_gl0_inv
	v_mov_b32_e32 v2, v1
	v_mov_b32_e32 v3, v1
	;; [unrolled: 1-line block ×4, first 2 shown]
	s_and_saveexec_b32 s16, s10
	s_cbranch_execnz .LBB289_190
; %bb.28:
	s_or_b32 exec_lo, exec_lo, s16
	s_and_saveexec_b32 s10, s9
	s_cbranch_execnz .LBB289_191
.LBB289_29:
	s_or_b32 exec_lo, exec_lo, s10
	s_and_saveexec_b32 s9, s8
	s_cbranch_execnz .LBB289_192
.LBB289_30:
	s_or_b32 exec_lo, exec_lo, s9
	s_and_saveexec_b32 s8, s7
	s_cbranch_execnz .LBB289_193
.LBB289_31:
	s_or_b32 exec_lo, exec_lo, s8
	s_and_saveexec_b32 s7, s5
	s_cbranch_execnz .LBB289_194
.LBB289_32:
	s_or_b32 exec_lo, exec_lo, s7
	s_and_saveexec_b32 s5, s4
	s_cbranch_execnz .LBB289_195
.LBB289_33:
	s_or_b32 exec_lo, exec_lo, s5
	s_and_saveexec_b32 s4, s3
	s_cbranch_execnz .LBB289_196
.LBB289_34:
	s_or_b32 exec_lo, exec_lo, s4
	s_and_saveexec_b32 s3, s2
	s_cbranch_execnz .LBB289_197
.LBB289_35:
	s_or_b32 exec_lo, exec_lo, s3
	s_and_saveexec_b32 s2, s1
	s_cbranch_execnz .LBB289_198
.LBB289_36:
	s_or_b32 exec_lo, exec_lo, s2
	s_and_saveexec_b32 s1, s0
	s_cbranch_execz .LBB289_38
.LBB289_37:
	v_add_co_u32 v6, s0, s11, v14
	v_add_co_ci_u32_e64 v7, null, s36, 0, s0
	s_waitcnt vmcnt(0) lgkmcnt(0)
	flat_load_short_d16_hi v5, v[6:7] offset:1152
.LBB289_38:
	s_or_b32 exec_lo, exec_lo, s1
	v_mul_u32_u24_e32 v29, 10, v0
	s_waitcnt vmcnt(0) lgkmcnt(0)
	ds_write_b16 v13, v1
	ds_write_b16_d16_hi v13, v1 offset:128
	ds_write_b16 v13, v2 offset:256
	ds_write_b16_d16_hi v13, v2 offset:384
	ds_write_b16 v13, v3 offset:512
	;; [unrolled: 2-line block ×4, first 2 shown]
	ds_write_b16_d16_hi v13, v5 offset:1152
	v_mov_b32_e32 v18, 0
	v_mov_b32_e32 v1, 0
	;; [unrolled: 1-line block ×3, first 2 shown]
	v_cmp_gt_u32_e32 vcc_lo, s38, v29
	v_mov_b32_e32 v26, 0
	v_mov_b32_e32 v25, 0
	;; [unrolled: 1-line block ×13, first 2 shown]
	s_mov_b32 s0, 0
	s_mov_b32 s1, 0
	s_waitcnt lgkmcnt(0)
	s_barrier
	buffer_gl0_inv
                                        ; implicit-def: $sgpr2
                                        ; implicit-def: $vgpr7
	s_and_saveexec_b32 s3, vcc_lo
	s_cbranch_execz .LBB289_56
; %bb.39:
	ds_read_u16 v18, v23
	v_cmp_eq_u16_e32 vcc_lo, v28, v11
	v_or_b32_e32 v2, 1, v29
	v_mov_b32_e32 v1, 0
	v_mov_b32_e32 v27, 0
	;; [unrolled: 1-line block ×3, first 2 shown]
	v_cndmask_b32_e64 v21, 0x10000, 0, vcc_lo
	v_mov_b32_e32 v25, 0
	v_mov_b32_e32 v8, 0
	;; [unrolled: 1-line block ×11, first 2 shown]
	s_mov_b32 s4, 0
	s_mov_b32 s1, exec_lo
                                        ; implicit-def: $sgpr2
                                        ; implicit-def: $vgpr7
	v_cmpx_gt_u32_e64 s38, v2
	s_cbranch_execz .LBB289_55
; %bb.40:
	ds_read_b128 v[1:4], v23 offset:2
	v_add_nc_u32_e32 v5, 2, v29
	v_cmp_eq_u16_sdwa s2, v11, v11 src0_sel:DWORD src1_sel:WORD_1
	v_mov_b32_e32 v27, 0
	v_mov_b32_e32 v26, 0
	v_mov_b32_e32 v25, 0
	v_cmp_gt_u32_e32 vcc_lo, s38, v5
	v_cndmask_b32_e64 v20, 0x10000, 0, s2
	v_mov_b32_e32 v8, 0
	v_mov_b32_e32 v6, 0
	;; [unrolled: 1-line block ×9, first 2 shown]
	s_mov_b32 s5, 0
                                        ; implicit-def: $sgpr2
                                        ; implicit-def: $vgpr7
	s_and_saveexec_b32 s4, vcc_lo
	s_cbranch_execz .LBB289_54
; %bb.41:
	v_add_nc_u32_e32 v5, 3, v29
	v_cmp_eq_u16_sdwa s2, v11, v12 src0_sel:WORD_1 src1_sel:DWORD
	v_mov_b32_e32 v26, 0
	v_mov_b32_e32 v25, 0
	;; [unrolled: 1-line block ×3, first 2 shown]
	v_cmp_gt_u32_e32 vcc_lo, s38, v5
	v_cndmask_b32_e64 v11, 0x10000, 0, s2
	v_mov_b32_e32 v6, 0
	v_mov_b32_e32 v5, 0
	;; [unrolled: 1-line block ×7, first 2 shown]
	s_mov_b32 s7, 0
                                        ; implicit-def: $sgpr2
                                        ; implicit-def: $vgpr7
	s_and_saveexec_b32 s5, vcc_lo
	s_cbranch_execz .LBB289_53
; %bb.42:
	v_add_nc_u32_e32 v5, 4, v29
	v_cmp_eq_u16_sdwa s2, v12, v12 src0_sel:DWORD src1_sel:WORD_1
	v_mov_b32_e32 v25, 0
	v_mov_b32_e32 v8, 0
	v_mov_b32_e32 v6, 0
	v_cmp_gt_u32_e32 vcc_lo, s38, v5
	v_cndmask_b32_e64 v17, 0x10000, 0, s2
	v_mov_b32_e32 v5, 0
	v_mov_b32_e32 v16, 0
	;; [unrolled: 1-line block ×5, first 2 shown]
	s_mov_b32 s8, 0
                                        ; implicit-def: $sgpr2
                                        ; implicit-def: $vgpr7
	s_and_saveexec_b32 s7, vcc_lo
	s_cbranch_execz .LBB289_52
; %bb.43:
	v_add_nc_u32_e32 v5, 5, v29
	v_cmp_eq_u16_sdwa s2, v12, v9 src0_sel:WORD_1 src1_sel:DWORD
	v_mov_b32_e32 v8, 0
	v_mov_b32_e32 v6, 0
	v_mov_b32_e32 v15, 0
	v_cmp_gt_u32_e32 vcc_lo, s38, v5
	v_cndmask_b32_e64 v12, 0x10000, 0, s2
	v_mov_b32_e32 v5, 0
	v_mov_b32_e32 v14, 0
	;; [unrolled: 1-line block ×3, first 2 shown]
	s_mov_b32 s9, 0
                                        ; implicit-def: $sgpr2
                                        ; implicit-def: $vgpr7
	s_and_saveexec_b32 s8, vcc_lo
	s_cbranch_execz .LBB289_51
; %bb.44:
	v_add_nc_u32_e32 v7, 6, v29
	v_cmp_eq_u16_sdwa s2, v9, v9 src0_sel:DWORD src1_sel:WORD_1
	v_mov_b32_e32 v6, 0
	v_mov_b32_e32 v5, 0
	;; [unrolled: 1-line block ×3, first 2 shown]
	v_cmp_gt_u32_e32 vcc_lo, s38, v7
	v_cndmask_b32_e64 v8, 0x10000, 0, s2
	v_mov_b32_e32 v13, 0
	s_mov_b32 s10, 0
                                        ; implicit-def: $sgpr2
                                        ; implicit-def: $vgpr7
	s_and_saveexec_b32 s9, vcc_lo
	s_cbranch_execz .LBB289_50
; %bb.45:
	v_add_nc_u32_e32 v7, 7, v29
	v_cmp_eq_u16_sdwa s2, v9, v10 src0_sel:WORD_1 src1_sel:DWORD
	v_mov_b32_e32 v5, 0
	v_mov_b32_e32 v13, 0
	s_mov_b32 s16, 0
	v_cmp_gt_u32_e32 vcc_lo, s38, v7
	v_cndmask_b32_e64 v6, 0x10000, 0, s2
                                        ; implicit-def: $sgpr2
                                        ; implicit-def: $vgpr7
	s_and_saveexec_b32 s10, vcc_lo
	s_cbranch_execz .LBB289_49
; %bb.46:
	v_add_nc_u32_e32 v7, 8, v29
	v_cmp_eq_u16_sdwa s2, v10, v10 src0_sel:DWORD src1_sel:WORD_1
	v_mov_b32_e32 v13, 0
	v_cmp_gt_u32_e32 vcc_lo, s38, v7
	v_cndmask_b32_e64 v5, 0x10000, 0, s2
                                        ; implicit-def: $sgpr2
                                        ; implicit-def: $vgpr7
	s_and_saveexec_b32 s17, vcc_lo
	s_xor_b32 s17, exec_lo, s17
	s_cbranch_execz .LBB289_48
; %bb.47:
	ds_read_u16 v7, v23 offset:18
	v_cmp_eq_u16_sdwa s2, v10, v22 src0_sel:WORD_1 src1_sel:DWORD
	v_add_nc_u32_e32 v9, 9, v29
	v_cndmask_b32_e64 v10, 0x10000, 0, s2
	v_cmp_gt_u32_e32 vcc_lo, s38, v9
	v_cmp_ne_u16_e64 s2, v22, v24
	s_waitcnt lgkmcnt(1)
	v_or_b32_sdwa v13, v10, v4 dst_sel:DWORD dst_unused:UNUSED_PAD src0_sel:DWORD src1_sel:WORD_1
	s_and_b32 s16, vcc_lo, exec_lo
.LBB289_48:
	s_or_b32 exec_lo, exec_lo, s17
	s_waitcnt lgkmcnt(0)
	v_and_or_b32 v5, 0xffff, v4, v5
	s_and_b32 s16, s16, exec_lo
.LBB289_49:
	s_or_b32 exec_lo, exec_lo, s10
	s_waitcnt lgkmcnt(0)
	v_or_b32_sdwa v6, v6, v3 dst_sel:DWORD dst_unused:UNUSED_PAD src0_sel:DWORD src1_sel:WORD_1
	v_mov_b32_e32 v14, v5
	s_and_b32 s10, s16, exec_lo
.LBB289_50:
	s_or_b32 exec_lo, exec_lo, s9
	s_waitcnt lgkmcnt(0)
	v_and_or_b32 v8, 0xffff, v3, v8
	v_mov_b32_e32 v15, v6
	s_and_b32 s9, s10, exec_lo
.LBB289_51:
	s_or_b32 exec_lo, exec_lo, s8
	s_waitcnt lgkmcnt(0)
	v_or_b32_sdwa v25, v12, v2 dst_sel:DWORD dst_unused:UNUSED_PAD src0_sel:DWORD src1_sel:WORD_1
	v_mov_b32_e32 v16, v8
	s_and_b32 s8, s9, exec_lo
.LBB289_52:
	s_or_b32 exec_lo, exec_lo, s7
	s_waitcnt lgkmcnt(0)
	v_and_or_b32 v26, 0xffff, v2, v17
	v_mov_b32_e32 v17, v25
	s_and_b32 s7, s8, exec_lo
.LBB289_53:
	s_or_b32 exec_lo, exec_lo, s5
	s_waitcnt lgkmcnt(0)
	v_or_b32_sdwa v27, v11, v1 dst_sel:DWORD dst_unused:UNUSED_PAD src0_sel:DWORD src1_sel:WORD_1
	v_mov_b32_e32 v19, v26
	s_and_b32 s5, s7, exec_lo
.LBB289_54:
	s_or_b32 exec_lo, exec_lo, s4
	s_waitcnt lgkmcnt(0)
	v_and_or_b32 v1, 0xffff, v1, v20
	v_mov_b32_e32 v20, v27
	s_and_b32 s4, s5, exec_lo
.LBB289_55:
	s_or_b32 exec_lo, exec_lo, s1
	s_waitcnt lgkmcnt(0)
	v_or_b32_e32 v18, v21, v18
	v_mov_b32_e32 v21, v1
	s_and_b32 s1, s4, exec_lo
.LBB289_56:
	s_or_b32 exec_lo, exec_lo, s3
	v_lshlrev_b32_e32 v9, 1, v0
	s_and_b32 vcc_lo, exec_lo, s0
	s_cbranch_vccnz .LBB289_58
	s_branch .LBB289_66
.LBB289_57:
                                        ; implicit-def: $sgpr2
                                        ; implicit-def: $vgpr7
                                        ; implicit-def: $vgpr18
                                        ; implicit-def: $vgpr1
                                        ; implicit-def: $vgpr27
                                        ; implicit-def: $vgpr26
                                        ; implicit-def: $vgpr25
                                        ; implicit-def: $vgpr8
                                        ; implicit-def: $vgpr6
                                        ; implicit-def: $vgpr5
                                        ; implicit-def: $vgpr21
                                        ; implicit-def: $vgpr20
                                        ; implicit-def: $vgpr19
                                        ; implicit-def: $vgpr17
                                        ; implicit-def: $vgpr16
                                        ; implicit-def: $vgpr15
                                        ; implicit-def: $vgpr14
                                        ; implicit-def: $vgpr13
	v_lshlrev_b32_e32 v9, 1, v0
	s_cbranch_execz .LBB289_66
.LBB289_58:
	v_add_co_u32 v1, s0, s12, v9
	v_add_co_ci_u32_e64 v2, null, s13, 0, s0
	v_mad_u32_u24 v6, v0, 18, v9
	s_cmp_eq_u64 s[34:35], 0
	s_clause 0x9
	flat_load_ushort v3, v[1:2]
	flat_load_ushort v4, v[1:2] offset:128
	flat_load_ushort v5, v[1:2] offset:256
	;; [unrolled: 1-line block ×9, first 2 shown]
	s_waitcnt vmcnt(9) lgkmcnt(9)
	ds_write_b16 v9, v3
	s_waitcnt vmcnt(8) lgkmcnt(9)
	ds_write_b16 v9, v4 offset:128
	s_waitcnt vmcnt(7) lgkmcnt(9)
	ds_write_b16 v9, v5 offset:256
	;; [unrolled: 2-line block ×9, first 2 shown]
	s_waitcnt lgkmcnt(0)
	s_barrier
	buffer_gl0_inv
	ds_read2_b32 v[3:4], v6 offset1:1
	ds_read2_b32 v[1:2], v6 offset0:2 offset1:3
	ds_read_b32 v5, v6 offset:16
	s_cbranch_scc1 .LBB289_63
; %bb.59:
	s_andn2_b32 vcc_lo, exec_lo, s37
	s_cbranch_vccnz .LBB289_200
; %bb.60:
	s_lshl_b64 s[0:1], s[34:35], 1
	s_add_u32 s0, s22, s0
	s_addc_u32 s1, s23, s1
	s_add_u32 s0, s0, -2
	s_addc_u32 s1, s1, -1
	s_cbranch_execnz .LBB289_62
.LBB289_61:
	s_add_u32 s0, s12, -2
	s_addc_u32 s1, s13, -1
.LBB289_62:
	s_mov_b64 s[12:13], s[0:1]
.LBB289_63:
	v_mov_b32_e32 v7, s12
	v_mov_b32_e32 v8, s13
	v_mad_i32_i24 v10, 0xffffffee, v0, v6
	s_mov_b32 s0, exec_lo
	flat_load_ushort v8, v[7:8]
	s_waitcnt lgkmcnt(1)
	v_lshrrev_b32_e32 v7, 16, v5
	ds_write_b16 v10, v7 offset:1280
	s_waitcnt vmcnt(0) lgkmcnt(0)
	s_barrier
	buffer_gl0_inv
	v_cmpx_ne_u32_e32 0, v0
; %bb.64:
	v_mul_i32_i24_e32 v8, 0xffffffee, v0
	v_add_nc_u32_e32 v8, v6, v8
	ds_read_u16 v8, v8 offset:1278
; %bb.65:
	s_or_b32 exec_lo, exec_lo, s0
	v_add_co_u32 v10, s0, s11, v9
	v_add_co_ci_u32_e64 v11, null, s36, 0, s0
	s_waitcnt lgkmcnt(0)
	s_barrier
	buffer_gl0_inv
	s_clause 0x9
	flat_load_ushort v12, v[10:11]
	flat_load_ushort v13, v[10:11] offset:128
	flat_load_ushort v14, v[10:11] offset:256
	;; [unrolled: 1-line block ×9, first 2 shown]
	v_cmp_eq_u16_sdwa s0, v3, v3 src0_sel:DWORD src1_sel:WORD_1
	v_cmp_eq_u16_e32 vcc_lo, v8, v3
	v_cmp_ne_u16_e64 s2, v5, v7
	s_mov_b32 s1, -1
	s_waitcnt vmcnt(9) lgkmcnt(9)
	ds_write_b16 v9, v12
	s_waitcnt vmcnt(8) lgkmcnt(9)
	ds_write_b16 v9, v13 offset:128
	s_waitcnt vmcnt(7) lgkmcnt(9)
	ds_write_b16 v9, v14 offset:256
	;; [unrolled: 2-line block ×9, first 2 shown]
	v_cndmask_b32_e64 v8, 0x10000, 0, s0
	v_cmp_eq_u16_sdwa s0, v3, v4 src0_sel:WORD_1 src1_sel:DWORD
	s_waitcnt lgkmcnt(0)
	s_barrier
	buffer_gl0_inv
	ds_read2_b32 v[10:11], v6 offset1:1
	ds_read2_b32 v[12:13], v6 offset0:2 offset1:3
	ds_read_b32 v14, v6 offset:16
	v_cndmask_b32_e64 v3, 0x10000, 0, s0
	v_cmp_eq_u16_sdwa s0, v4, v4 src0_sel:DWORD src1_sel:WORD_1
	v_cndmask_b32_e64 v6, 0x10000, 0, vcc_lo
	v_cndmask_b32_e64 v15, 0x10000, 0, s0
	v_cmp_eq_u16_sdwa s0, v4, v1 src0_sel:WORD_1 src1_sel:DWORD
	v_cndmask_b32_e64 v4, 0x10000, 0, s0
	v_cmp_eq_u16_sdwa s0, v1, v1 src0_sel:DWORD src1_sel:WORD_1
	s_waitcnt lgkmcnt(2)
	v_and_or_b32 v18, 0xffff, v10, v6
	v_cndmask_b32_e64 v16, 0x10000, 0, s0
	v_cmp_eq_u16_sdwa s0, v1, v2 src0_sel:WORD_1 src1_sel:DWORD
	v_or_b32_sdwa v1, v8, v10 dst_sel:DWORD dst_unused:UNUSED_PAD src0_sel:DWORD src1_sel:WORD_1
	v_and_or_b32 v27, 0xffff, v11, v3
	v_or_b32_sdwa v26, v15, v11 dst_sel:DWORD dst_unused:UNUSED_PAD src0_sel:DWORD src1_sel:WORD_1
	s_waitcnt lgkmcnt(1)
	v_and_or_b32 v25, 0xffff, v12, v4
	v_cndmask_b32_e64 v17, 0x10000, 0, s0
	v_cmp_eq_u16_sdwa s0, v2, v2 src0_sel:DWORD src1_sel:WORD_1
	v_or_b32_sdwa v8, v16, v12 dst_sel:DWORD dst_unused:UNUSED_PAD src0_sel:DWORD src1_sel:WORD_1
	s_waitcnt lgkmcnt(0)
	v_lshrrev_b32_e32 v7, 16, v14
	v_mov_b32_e32 v21, v1
	v_and_or_b32 v6, 0xffff, v13, v17
	v_cndmask_b32_e64 v19, 0x10000, 0, s0
	v_cmp_eq_u16_sdwa s0, v2, v5 src0_sel:WORD_1 src1_sel:DWORD
	v_mov_b32_e32 v20, v27
	v_mov_b32_e32 v17, v25
	;; [unrolled: 1-line block ×3, first 2 shown]
	v_or_b32_sdwa v5, v19, v13 dst_sel:DWORD dst_unused:UNUSED_PAD src0_sel:DWORD src1_sel:WORD_1
	v_cndmask_b32_e64 v2, 0x10000, 0, s0
	v_mov_b32_e32 v19, v26
	v_mov_b32_e32 v15, v6
	v_and_or_b32 v13, 0xffff, v14, v2
	v_mov_b32_e32 v14, v5
.LBB289_66:
	v_mov_b32_e32 v10, 0
	s_and_saveexec_b32 s0, s1
	s_cbranch_execz .LBB289_68
; %bb.67:
	v_cndmask_b32_e64 v2, 0, 0x10000, s2
	v_mov_b32_e32 v14, v5
	v_mov_b32_e32 v15, v6
	;; [unrolled: 1-line block ×4, first 2 shown]
	v_or_b32_sdwa v10, v2, v7 dst_sel:DWORD dst_unused:UNUSED_PAD src0_sel:DWORD src1_sel:WORD_0
	v_mov_b32_e32 v19, v26
	v_mov_b32_e32 v20, v27
	;; [unrolled: 1-line block ×3, first 2 shown]
.LBB289_68:
	s_or_b32 exec_lo, exec_lo, s0
	v_or3_b32 v1, v14, v13, v15
	v_cmp_gt_u32_e64 s9, 0x10000, v21
	v_cmp_gt_u32_e64 s8, 0x10000, v20
	;; [unrolled: 1-line block ×8, first 2 shown]
	v_or3_b32 v12, v1, v16, v17
	v_cmp_gt_u32_e64 s1, 0x10000, v10
	v_lshrrev_b32_e32 v11, 3, v0
	s_cmp_lg_u32 s6, 0
	v_cmp_gt_u32_e32 vcc_lo, 32, v0
	s_barrier
	buffer_gl0_inv
	s_cbranch_scc0 .LBB289_118
; %bb.69:
	v_cndmask_b32_e64 v1, 1, v18, s9
	v_or3_b32 v2, v12, v19, v20
	v_and_b32_e32 v3, 4, v11
	v_lshrrev_b32_e32 v22, 16, v18
	v_mul_lo_u16 v1, v1, v21
	v_or3_b32 v2, v2, v21, v10
	v_lshl_add_u32 v3, v0, 2, v3
	v_cndmask_b32_e64 v1, 1, v1, s8
	v_and_b32_e32 v2, 0xff0000, v2
	v_mul_lo_u16 v1, v1, v20
	v_cmp_eq_u32_e64 s10, 0, v2
	v_cndmask_b32_e64 v1, 1, v1, s7
	v_cndmask_b32_e64 v23, 1, v22, s10
	v_mul_lo_u16 v1, v1, v19
	v_cndmask_b32_e64 v1, 1, v1, s5
	v_mul_lo_u16 v1, v1, v17
	;; [unrolled: 2-line block ×7, first 2 shown]
	ds_write_b8 v3, v23 offset:2
	ds_write_b16 v3, v24
	s_waitcnt lgkmcnt(0)
	s_barrier
	buffer_gl0_inv
	s_and_saveexec_b32 s11, vcc_lo
	s_cbranch_execz .LBB289_81
; %bb.70:
	v_lshrrev_b32_e32 v1, 2, v0
	v_lshlrev_b32_e32 v2, 3, v0
	s_mov_b32 s12, exec_lo
	v_and_b32_e32 v1, 12, v1
	v_add_nc_u32_e32 v1, v1, v2
	ds_read_u8 v3, v1 offset:6
	ds_read_b32 v2, v1
	ds_read_u16 v4, v1 offset:4
	s_waitcnt lgkmcnt(2)
	v_cmp_eq_u16_e64 s10, 0, v3
	v_and_b32_e32 v6, 1, v3
	s_waitcnt lgkmcnt(1)
	v_and_b32_e32 v3, 0x10000, v2
	v_cndmask_b32_e64 v5, 1, v2, s10
	v_cmp_eq_u32_e64 s10, 1, v6
	v_mbcnt_lo_u32_b32 v6, -1, 0
	s_waitcnt lgkmcnt(0)
	v_mul_lo_u16 v5, v5, v4
	v_and_b32_e32 v4, 0xff000000, v2
	v_cndmask_b32_e64 v7, v3, 0x10000, s10
	v_and_b32_e32 v8, 0xffff, v5
	v_or_b32_e32 v25, v7, v4
	v_or3_b32 v26, v4, v8, v7
	v_and_b32_e32 v7, 15, v6
	v_lshrrev_b32_e32 v8, 16, v25
	v_mov_b32_dpp v27, v26 row_shr:1 row_mask:0xf bank_mask:0xf
	v_cmpx_ne_u32_e32 0, v7
	s_cbranch_execz .LBB289_72
; %bb.71:
	v_mov_b32_e32 v8, 0xff
	v_mov_b32_e32 v26, 1
	v_and_b32_sdwa v8, v25, v8 dst_sel:DWORD dst_unused:UNUSED_PAD src0_sel:WORD_1 src1_sel:DWORD
	v_and_b32_e32 v25, 0x10000, v25
	v_and_b32_sdwa v26, v27, v26 dst_sel:DWORD dst_unused:UNUSED_PAD src0_sel:WORD_1 src1_sel:DWORD
	v_cmp_eq_u16_e64 s10, 0, v8
	v_cndmask_b32_e64 v27, 1, v27, s10
	v_cmp_ne_u32_e64 s10, 0, v25
	v_mul_lo_u16 v5, v27, v5
	v_cndmask_b32_e64 v8, v26, 1, s10
	v_and_b32_e32 v26, 0xffff, v5
	v_lshlrev_b32_e32 v25, 16, v8
	v_or3_b32 v26, v25, v26, v4
.LBB289_72:
	s_or_b32 exec_lo, exec_lo, s12
	v_lshrrev_b32_e32 v25, 16, v26
	v_mov_b32_dpp v27, v26 row_shr:2 row_mask:0xf bank_mask:0xf
	s_mov_b32 s12, exec_lo
	v_cmpx_lt_u32_e32 1, v7
	s_cbranch_execz .LBB289_74
; %bb.73:
	v_mov_b32_e32 v28, 0
	v_mov_b32_e32 v8, 1
	v_and_b32_e32 v26, 0x10000, v26
	v_cmp_eq_u16_sdwa s10, v25, v28 src0_sel:BYTE_0 src1_sel:DWORD
	v_and_b32_sdwa v8, v27, v8 dst_sel:DWORD dst_unused:UNUSED_PAD src0_sel:WORD_1 src1_sel:DWORD
	v_cndmask_b32_e64 v25, 1, v27, s10
	v_cmp_ne_u32_e64 s10, 0, v26
	v_mul_lo_u16 v5, v25, v5
	v_cndmask_b32_e64 v8, v8, 1, s10
	v_and_b32_e32 v26, 0xffff, v5
	v_lshlrev_b32_e32 v25, 16, v8
	v_or3_b32 v26, v25, v26, v4
	v_mov_b32_e32 v25, v8
.LBB289_74:
	s_or_b32 exec_lo, exec_lo, s12
	v_mov_b32_dpp v27, v26 row_shr:4 row_mask:0xf bank_mask:0xf
	s_mov_b32 s12, exec_lo
	v_cmpx_lt_u32_e32 3, v7
	s_cbranch_execz .LBB289_76
; %bb.75:
	v_mov_b32_e32 v26, 0
	v_mov_b32_e32 v8, 1
	v_and_b32_e32 v28, 1, v25
	v_cmp_eq_u16_sdwa s10, v25, v26 src0_sel:BYTE_0 src1_sel:DWORD
	v_and_b32_sdwa v8, v27, v8 dst_sel:DWORD dst_unused:UNUSED_PAD src0_sel:WORD_1 src1_sel:DWORD
	v_cndmask_b32_e64 v25, 1, v27, s10
	v_cmp_eq_u32_e64 s10, 1, v28
	v_mul_lo_u16 v5, v25, v5
	v_cndmask_b32_e64 v8, v8, 1, s10
	v_and_b32_e32 v26, 0xffff, v5
	v_lshlrev_b32_e32 v25, 16, v8
	v_or3_b32 v26, v25, v26, v4
	v_mov_b32_e32 v25, v8
.LBB289_76:
	s_or_b32 exec_lo, exec_lo, s12
	v_mov_b32_dpp v27, v26 row_shr:8 row_mask:0xf bank_mask:0xf
	s_mov_b32 s12, exec_lo
	v_cmpx_lt_u32_e32 7, v7
	s_cbranch_execz .LBB289_78
; %bb.77:
	v_mov_b32_e32 v8, 0
	v_mov_b32_e32 v7, 1
	v_and_b32_e32 v26, 1, v25
	v_cmp_eq_u16_sdwa s10, v25, v8 src0_sel:BYTE_0 src1_sel:DWORD
	v_and_b32_sdwa v7, v27, v7 dst_sel:DWORD dst_unused:UNUSED_PAD src0_sel:WORD_1 src1_sel:DWORD
	v_cndmask_b32_e64 v25, 1, v27, s10
	v_cmp_eq_u32_e64 s10, 1, v26
	v_mul_lo_u16 v5, v25, v5
	v_cndmask_b32_e64 v8, v7, 1, s10
	v_and_b32_e32 v25, 0xffff, v5
	v_lshlrev_b32_e32 v7, 16, v8
	v_or3_b32 v26, v7, v25, v4
	v_mov_b32_e32 v25, v8
.LBB289_78:
	s_or_b32 exec_lo, exec_lo, s12
	ds_swizzle_b32 v7, v26 offset:swizzle(BROADCAST,32,15)
	v_and_b32_e32 v26, 16, v6
	s_mov_b32 s12, exec_lo
	v_cmpx_ne_u32_e32 0, v26
	s_cbranch_execz .LBB289_80
; %bb.79:
	v_mov_b32_e32 v8, 0
	v_mov_b32_e32 v26, 1
	v_cmp_eq_u16_sdwa s10, v25, v8 src0_sel:BYTE_0 src1_sel:DWORD
	v_and_b32_e32 v25, 1, v25
	s_waitcnt lgkmcnt(0)
	v_cndmask_b32_e64 v8, 1, v7, s10
	v_and_b32_sdwa v7, v7, v26 dst_sel:DWORD dst_unused:UNUSED_PAD src0_sel:WORD_1 src1_sel:DWORD
	v_cmp_eq_u32_e64 s10, 1, v25
	v_mul_lo_u16 v5, v8, v5
	v_cndmask_b32_e64 v8, v7, 1, s10
.LBB289_80:
	s_or_b32 exec_lo, exec_lo, s12
	s_waitcnt lgkmcnt(0)
	v_and_b32_e32 v7, 0xff, v8
	v_add_nc_u32_e32 v8, -1, v6
	v_and_b32_e32 v5, 0xffff, v5
	; wave barrier
	v_lshlrev_b32_e32 v7, 16, v7
	v_cmp_gt_i32_e64 s10, 0, v8
	v_or3_b32 v4, v7, v5, v4
	v_cndmask_b32_e64 v6, v8, v6, s10
	v_lshlrev_b32_e32 v5, 2, v6
	v_mov_b32_e32 v6, 1
	ds_bpermute_b32 v4, v5, v4
	v_and_b32_e32 v5, 0xff0000, v2
	v_cmp_eq_u32_e64 s10, 0, v5
	s_waitcnt lgkmcnt(0)
	v_cndmask_b32_e64 v5, 1, v4, s10
	v_and_b32_sdwa v4, v4, v6 dst_sel:DWORD dst_unused:UNUSED_PAD src0_sel:WORD_1 src1_sel:DWORD
	v_cmp_eq_u32_e64 s10, 0, v3
	v_mul_lo_u16 v2, v5, v2
	v_cndmask_b32_e64 v3, 1, v4, s10
	v_cmp_eq_u32_e64 s10, 0, v0
	v_cndmask_b32_e64 v2, v2, v24, s10
	v_cndmask_b32_e64 v3, v3, v23, s10
	ds_write_b16 v1, v2
	ds_write_b8 v1, v3 offset:2
	; wave barrier
	ds_read_u8 v4, v1 offset:6
	ds_read_u16 v5, v1 offset:4
	s_waitcnt lgkmcnt(1)
	v_cmp_eq_u16_e64 s10, 0, v4
	v_and_b32_e32 v4, 1, v4
	v_cndmask_b32_e64 v2, 1, v2, s10
	v_cmp_eq_u32_e64 s10, 1, v4
	s_waitcnt lgkmcnt(0)
	v_mul_lo_u16 v2, v2, v5
	v_cndmask_b32_e64 v3, v3, 1, s10
	ds_write_b16 v1, v2 offset:4
	ds_write_b8 v1, v3 offset:6
.LBB289_81:
	s_or_b32 exec_lo, exec_lo, s11
	v_cmp_eq_u32_e64 s11, 0, v0
	v_cmp_ne_u32_e64 s10, 0, v0
	s_waitcnt lgkmcnt(0)
	s_barrier
	buffer_gl0_inv
	s_and_saveexec_b32 s12, s10
	s_cbranch_execz .LBB289_83
; %bb.82:
	v_add_nc_u32_e32 v1, -1, v0
	v_lshrrev_b32_e32 v2, 3, v1
	v_and_b32_e32 v2, 0x1ffffffc, v2
	v_lshl_add_u32 v1, v1, 2, v2
	ds_read_u16 v24, v1
	ds_read_u8 v23, v1 offset:2
.LBB289_83:
	s_or_b32 exec_lo, exec_lo, s12
	s_and_saveexec_b32 s13, vcc_lo
	s_cbranch_execz .LBB289_123
; %bb.84:
	v_mov_b32_e32 v6, 0
	v_mbcnt_lo_u32_b32 v25, -1, 0
	s_mov_b32 s17, 0
	ds_read_b32 v1, v6 offset:256
	v_cmp_eq_u32_e64 s12, 0, v25
	s_and_saveexec_b32 s22, s12
	s_cbranch_execz .LBB289_86
; %bb.85:
	s_add_i32 s16, s6, 32
	v_mov_b32_e32 v2, 1
	s_lshl_b64 s[16:17], s[16:17], 3
	s_add_u32 s16, s24, s16
	s_addc_u32 s17, s25, s17
	s_waitcnt lgkmcnt(0)
	global_store_dwordx2 v6, v[1:2], s[16:17]
.LBB289_86:
	s_or_b32 exec_lo, exec_lo, s22
	v_xad_u32 v2, v25, -1, s6
	v_add_nc_u32_e32 v5, 32, v2
	v_lshlrev_b64 v[3:4], 3, v[5:6]
	v_add_co_u32 v7, vcc_lo, s24, v3
	v_add_co_ci_u32_e64 v8, null, s25, v4, vcc_lo
	global_load_dwordx2 v[4:5], v[7:8], off glc dlc
	s_waitcnt vmcnt(0)
	v_cmp_eq_u16_sdwa s17, v5, v6 src0_sel:BYTE_0 src1_sel:DWORD
	s_and_saveexec_b32 s16, s17
	s_cbranch_execz .LBB289_90
; %bb.87:
	v_mov_b32_e32 v3, 0
	s_mov_b32 s17, 0
.LBB289_88:                             ; =>This Inner Loop Header: Depth=1
	global_load_dwordx2 v[4:5], v[7:8], off glc dlc
	s_waitcnt vmcnt(0)
	v_cmp_ne_u16_sdwa s22, v5, v3 src0_sel:BYTE_0 src1_sel:DWORD
	s_or_b32 s17, s22, s17
	s_andn2_b32 exec_lo, exec_lo, s17
	s_cbranch_execnz .LBB289_88
; %bb.89:
	s_or_b32 exec_lo, exec_lo, s17
.LBB289_90:
	s_or_b32 exec_lo, exec_lo, s16
	v_cmp_ne_u32_e32 vcc_lo, 31, v25
	v_and_b32_e32 v33, 0xffffff, v4
	v_mov_b32_e32 v6, 2
	v_lshlrev_b32_e64 v26, v25, -1
	v_bfe_u32 v7, v4, 16, 8
	v_add_co_ci_u32_e64 v3, null, 0, v25, vcc_lo
	v_cmp_eq_u16_sdwa s16, v5, v6 src0_sel:BYTE_0 src1_sel:DWORD
	v_lshrrev_b32_e32 v6, 16, v4
	v_lshlrev_b32_e32 v8, 2, v3
	v_and_or_b32 v3, s16, v26, 0x80000000
	s_mov_b32 s16, exec_lo
	ds_bpermute_b32 v27, v8, v33
	v_ffbl_b32_e32 v3, v3
	v_cmpx_lt_u32_e64 v25, v3
	s_cbranch_execz .LBB289_92
; %bb.91:
	v_and_b32_e32 v6, 0xff0000, v4
	v_mov_b32_e32 v7, 1
	v_and_b32_e32 v28, 0x10000, v6
	v_cmp_eq_u32_e32 vcc_lo, 0, v6
	s_waitcnt lgkmcnt(0)
	v_and_b32_sdwa v7, v27, v7 dst_sel:DWORD dst_unused:UNUSED_PAD src0_sel:WORD_1 src1_sel:DWORD
	v_cndmask_b32_e32 v27, 1, v27, vcc_lo
	v_cmp_ne_u32_e32 vcc_lo, 0, v28
	v_mul_lo_u16 v4, v27, v4
	v_cndmask_b32_e64 v6, v7, 1, vcc_lo
	v_lshlrev_b32_e32 v7, 16, v6
	v_or_b32_sdwa v33, v7, v4 dst_sel:DWORD dst_unused:UNUSED_PAD src0_sel:DWORD src1_sel:WORD_0
	v_mov_b32_e32 v7, v6
.LBB289_92:
	s_or_b32 exec_lo, exec_lo, s16
	v_cmp_gt_u32_e32 vcc_lo, 30, v25
	v_add_nc_u32_e32 v28, 2, v25
	s_mov_b32 s16, exec_lo
	s_waitcnt lgkmcnt(0)
	v_cndmask_b32_e64 v27, 0, 2, vcc_lo
	v_add_lshl_u32 v27, v27, v25, 2
	ds_bpermute_b32 v29, v27, v33
	v_cmpx_le_u32_e64 v28, v3
	s_cbranch_execz .LBB289_94
; %bb.93:
	v_mov_b32_e32 v6, 1
	v_and_b32_e32 v30, 1, v7
	v_cmp_eq_u16_e32 vcc_lo, 0, v7
	s_waitcnt lgkmcnt(0)
	v_and_b32_sdwa v6, v29, v6 dst_sel:DWORD dst_unused:UNUSED_PAD src0_sel:WORD_1 src1_sel:DWORD
	v_cndmask_b32_e32 v7, 1, v29, vcc_lo
	v_cmp_eq_u32_e32 vcc_lo, 1, v30
	v_mul_lo_u16 v4, v7, v4
	v_cndmask_b32_e64 v6, v6, 1, vcc_lo
	v_lshlrev_b32_e32 v7, 16, v6
	v_or_b32_sdwa v33, v7, v4 dst_sel:DWORD dst_unused:UNUSED_PAD src0_sel:DWORD src1_sel:WORD_0
	v_mov_b32_e32 v7, v6
.LBB289_94:
	s_or_b32 exec_lo, exec_lo, s16
	v_cmp_gt_u32_e32 vcc_lo, 28, v25
	v_add_nc_u32_e32 v30, 4, v25
	s_mov_b32 s16, exec_lo
	s_waitcnt lgkmcnt(0)
	v_cndmask_b32_e64 v29, 0, 4, vcc_lo
	v_add_lshl_u32 v29, v29, v25, 2
	ds_bpermute_b32 v31, v29, v33
	v_cmpx_le_u32_e64 v30, v3
	s_cbranch_execz .LBB289_96
; %bb.95:
	v_mov_b32_e32 v6, 1
	v_and_b32_e32 v32, 1, v7
	v_cmp_eq_u16_e32 vcc_lo, 0, v7
	s_waitcnt lgkmcnt(0)
	v_and_b32_sdwa v6, v31, v6 dst_sel:DWORD dst_unused:UNUSED_PAD src0_sel:WORD_1 src1_sel:DWORD
	v_cndmask_b32_e32 v7, 1, v31, vcc_lo
	v_cmp_eq_u32_e32 vcc_lo, 1, v32
	v_mul_lo_u16 v4, v7, v4
	v_cndmask_b32_e64 v6, v6, 1, vcc_lo
	v_lshlrev_b32_e32 v7, 16, v6
	v_or_b32_sdwa v33, v7, v4 dst_sel:DWORD dst_unused:UNUSED_PAD src0_sel:DWORD src1_sel:WORD_0
	v_mov_b32_e32 v7, v6
.LBB289_96:
	;; [unrolled: 24-line block ×3, first 2 shown]
	s_or_b32 exec_lo, exec_lo, s16
	v_lshl_or_b32 v35, v25, 2, 64
	v_add_nc_u32_e32 v36, 16, v25
	s_mov_b32 s16, exec_lo
	ds_bpermute_b32 v33, v35, v33
	v_cmpx_le_u32_e64 v36, v3
	s_cbranch_execz .LBB289_100
; %bb.99:
	v_mov_b32_e32 v3, 1
	v_cmp_eq_u16_e32 vcc_lo, 0, v7
	v_and_b32_e32 v7, 1, v7
	s_waitcnt lgkmcnt(0)
	v_and_b32_sdwa v3, v33, v3 dst_sel:DWORD dst_unused:UNUSED_PAD src0_sel:WORD_1 src1_sel:DWORD
	v_cndmask_b32_e32 v6, 1, v33, vcc_lo
	v_cmp_eq_u32_e32 vcc_lo, 1, v7
	v_mul_lo_u16 v4, v6, v4
	v_cndmask_b32_e64 v6, v3, 1, vcc_lo
.LBB289_100:
	s_or_b32 exec_lo, exec_lo, s16
	v_mov_b32_e32 v3, 0
	v_mov_b32_e32 v37, 2
	;; [unrolled: 1-line block ×3, first 2 shown]
	s_branch .LBB289_103
.LBB289_101:                            ;   in Loop: Header=BB289_103 Depth=1
	s_or_b32 exec_lo, exec_lo, s16
	v_cmp_eq_u16_sdwa vcc_lo, v33, v3 src0_sel:BYTE_0 src1_sel:DWORD
	v_and_b32_e32 v6, 1, v33
	v_and_b32_e32 v7, 1, v7
	v_subrev_nc_u32_e32 v2, 32, v2
	s_mov_b32 s16, 0
	v_cndmask_b32_e32 v4, 1, v4, vcc_lo
	v_cmp_eq_u32_e32 vcc_lo, 1, v6
	v_mul_lo_u16 v4, v4, v34
	v_cndmask_b32_e64 v6, v7, 1, vcc_lo
.LBB289_102:                            ;   in Loop: Header=BB289_103 Depth=1
	s_and_b32 vcc_lo, exec_lo, s16
	s_cbranch_vccnz .LBB289_119
.LBB289_103:                            ; =>This Loop Header: Depth=1
                                        ;     Child Loop BB289_106 Depth 2
	v_cmp_ne_u16_sdwa s16, v5, v37 src0_sel:BYTE_0 src1_sel:DWORD
	s_waitcnt lgkmcnt(0)
	v_mov_b32_e32 v33, v6
	v_mov_b32_e32 v34, v4
                                        ; implicit-def: $vgpr6
                                        ; implicit-def: $vgpr4
	s_cmp_lg_u32 s16, exec_lo
	s_mov_b32 s16, -1
	s_cbranch_scc1 .LBB289_102
; %bb.104:                              ;   in Loop: Header=BB289_103 Depth=1
	v_lshlrev_b64 v[4:5], 3, v[2:3]
	v_add_co_u32 v6, vcc_lo, s24, v4
	v_add_co_ci_u32_e64 v7, null, s25, v5, vcc_lo
	global_load_dwordx2 v[4:5], v[6:7], off glc dlc
	s_waitcnt vmcnt(0)
	v_cmp_eq_u16_sdwa s17, v5, v3 src0_sel:BYTE_0 src1_sel:DWORD
	s_and_saveexec_b32 s16, s17
	s_cbranch_execz .LBB289_108
; %bb.105:                              ;   in Loop: Header=BB289_103 Depth=1
	s_mov_b32 s17, 0
.LBB289_106:                            ;   Parent Loop BB289_103 Depth=1
                                        ; =>  This Inner Loop Header: Depth=2
	global_load_dwordx2 v[4:5], v[6:7], off glc dlc
	s_waitcnt vmcnt(0)
	v_cmp_ne_u16_sdwa s22, v5, v3 src0_sel:BYTE_0 src1_sel:DWORD
	s_or_b32 s17, s22, s17
	s_andn2_b32 exec_lo, exec_lo, s17
	s_cbranch_execnz .LBB289_106
; %bb.107:                              ;   in Loop: Header=BB289_103 Depth=1
	s_or_b32 exec_lo, exec_lo, s17
.LBB289_108:                            ;   in Loop: Header=BB289_103 Depth=1
	s_or_b32 exec_lo, exec_lo, s16
	v_and_b32_e32 v40, 0xffffff, v4
	v_cmp_eq_u16_sdwa s16, v5, v37 src0_sel:BYTE_0 src1_sel:DWORD
	v_lshrrev_b32_e32 v7, 16, v4
	v_bfe_u32 v39, v4, 16, 8
	ds_bpermute_b32 v41, v8, v40
	v_and_or_b32 v6, s16, v26, 0x80000000
	s_mov_b32 s16, exec_lo
	v_ffbl_b32_e32 v6, v6
	v_cmpx_lt_u32_e64 v25, v6
	s_cbranch_execz .LBB289_110
; %bb.109:                              ;   in Loop: Header=BB289_103 Depth=1
	v_and_b32_e32 v7, 0xff0000, v4
	s_waitcnt lgkmcnt(0)
	v_and_b32_sdwa v40, v41, v38 dst_sel:DWORD dst_unused:UNUSED_PAD src0_sel:WORD_1 src1_sel:DWORD
	v_and_b32_e32 v39, 0x10000, v7
	v_cmp_eq_u32_e32 vcc_lo, 0, v7
	v_cndmask_b32_e32 v41, 1, v41, vcc_lo
	v_cmp_ne_u32_e32 vcc_lo, 0, v39
	v_mul_lo_u16 v4, v41, v4
	v_cndmask_b32_e64 v7, v40, 1, vcc_lo
	v_lshlrev_b32_e32 v39, 16, v7
	v_or_b32_sdwa v40, v39, v4 dst_sel:DWORD dst_unused:UNUSED_PAD src0_sel:DWORD src1_sel:WORD_0
	v_mov_b32_e32 v39, v7
.LBB289_110:                            ;   in Loop: Header=BB289_103 Depth=1
	s_or_b32 exec_lo, exec_lo, s16
	s_waitcnt lgkmcnt(0)
	ds_bpermute_b32 v41, v27, v40
	s_mov_b32 s16, exec_lo
	v_cmpx_le_u32_e64 v28, v6
	s_cbranch_execz .LBB289_112
; %bb.111:                              ;   in Loop: Header=BB289_103 Depth=1
	v_and_b32_e32 v7, 1, v39
	v_cmp_eq_u16_e32 vcc_lo, 0, v39
	s_waitcnt lgkmcnt(0)
	v_and_b32_sdwa v40, v41, v38 dst_sel:DWORD dst_unused:UNUSED_PAD src0_sel:WORD_1 src1_sel:DWORD
	v_cndmask_b32_e32 v39, 1, v41, vcc_lo
	v_cmp_eq_u32_e32 vcc_lo, 1, v7
	v_mul_lo_u16 v4, v39, v4
	v_cndmask_b32_e64 v7, v40, 1, vcc_lo
	v_lshlrev_b32_e32 v39, 16, v7
	v_or_b32_sdwa v40, v39, v4 dst_sel:DWORD dst_unused:UNUSED_PAD src0_sel:DWORD src1_sel:WORD_0
	v_mov_b32_e32 v39, v7
.LBB289_112:                            ;   in Loop: Header=BB289_103 Depth=1
	s_or_b32 exec_lo, exec_lo, s16
	s_waitcnt lgkmcnt(0)
	ds_bpermute_b32 v41, v29, v40
	s_mov_b32 s16, exec_lo
	v_cmpx_le_u32_e64 v30, v6
	s_cbranch_execz .LBB289_114
; %bb.113:                              ;   in Loop: Header=BB289_103 Depth=1
	v_and_b32_e32 v7, 1, v39
	v_cmp_eq_u16_e32 vcc_lo, 0, v39
	s_waitcnt lgkmcnt(0)
	v_and_b32_sdwa v40, v41, v38 dst_sel:DWORD dst_unused:UNUSED_PAD src0_sel:WORD_1 src1_sel:DWORD
	v_cndmask_b32_e32 v39, 1, v41, vcc_lo
	v_cmp_eq_u32_e32 vcc_lo, 1, v7
	v_mul_lo_u16 v4, v39, v4
	v_cndmask_b32_e64 v7, v40, 1, vcc_lo
	v_lshlrev_b32_e32 v39, 16, v7
	v_or_b32_sdwa v40, v39, v4 dst_sel:DWORD dst_unused:UNUSED_PAD src0_sel:DWORD src1_sel:WORD_0
	v_mov_b32_e32 v39, v7
.LBB289_114:                            ;   in Loop: Header=BB289_103 Depth=1
	;; [unrolled: 19-line block ×3, first 2 shown]
	s_or_b32 exec_lo, exec_lo, s16
	ds_bpermute_b32 v40, v35, v40
	s_mov_b32 s16, exec_lo
	v_cmpx_le_u32_e64 v36, v6
	s_cbranch_execz .LBB289_101
; %bb.117:                              ;   in Loop: Header=BB289_103 Depth=1
	v_cmp_eq_u16_e32 vcc_lo, 0, v39
	v_and_b32_e32 v7, 1, v39
	s_waitcnt lgkmcnt(0)
	v_lshrrev_b32_e32 v39, 16, v40
	v_cndmask_b32_e32 v6, 1, v40, vcc_lo
	v_cmp_eq_u32_e32 vcc_lo, 1, v7
	v_mul_lo_u16 v4, v6, v4
	v_cndmask_b32_e64 v7, v39, 1, vcc_lo
	s_branch .LBB289_101
.LBB289_118:
                                        ; implicit-def: $vgpr25
                                        ; implicit-def: $vgpr3
                                        ; implicit-def: $vgpr4
                                        ; implicit-def: $vgpr5
                                        ; implicit-def: $vgpr6
                                        ; implicit-def: $vgpr7
                                        ; implicit-def: $vgpr8
                                        ; implicit-def: $vgpr22
                                        ; implicit-def: $vgpr23
                                        ; implicit-def: $vgpr24
	s_cbranch_execnz .LBB289_126
	s_branch .LBB289_145
.LBB289_119:
	s_and_saveexec_b32 s16, s12
	s_cbranch_execz .LBB289_121
; %bb.120:
	v_and_b32_e32 v2, 0xff0000, v1
	v_mov_b32_e32 v3, 1
	v_and_b32_e32 v4, 0x10000, v1
	s_mov_b32 s23, 0
	s_add_i32 s22, s6, 32
	v_cmp_eq_u32_e32 vcc_lo, 0, v2
	v_and_b32_sdwa v3, v33, v3 dst_sel:WORD_1 dst_unused:UNUSED_PAD src0_sel:DWORD src1_sel:DWORD
	s_lshl_b64 s[22:23], s[22:23], 3
	s_add_u32 s22, s24, s22
	v_cndmask_b32_e32 v2, 1, v34, vcc_lo
	v_cmp_eq_u32_e32 vcc_lo, 0, v4
	s_addc_u32 s23, s25, s23
	v_mul_lo_u16 v1, v2, v1
	v_cndmask_b32_e32 v2, 0x10000, v3, vcc_lo
	v_mov_b32_e32 v3, 0
	v_or_b32_sdwa v1, v2, v1 dst_sel:DWORD dst_unused:UNUSED_PAD src0_sel:DWORD src1_sel:WORD_0
	v_mov_b32_e32 v2, 2
	global_store_dwordx2 v3, v[1:2], s[22:23]
.LBB289_121:
	s_or_b32 exec_lo, exec_lo, s16
	s_and_b32 exec_lo, exec_lo, s11
	s_cbranch_execz .LBB289_123
; %bb.122:
	v_mov_b32_e32 v1, 0
	ds_write_b16 v1, v34
	ds_write_b8 v1, v33 offset:2
.LBB289_123:
	s_or_b32 exec_lo, exec_lo, s13
	v_mov_b32_e32 v1, 0
	s_waitcnt lgkmcnt(0)
	s_waitcnt_vscnt null, 0x0
	s_barrier
	buffer_gl0_inv
	v_mov_b32_e32 v3, v18
	ds_read_b32 v2, v1
	s_and_saveexec_b32 s6, s10
; %bb.124:
	v_and_b32_e32 v3, 0x10000, v18
	v_cmp_gt_u32_e32 vcc_lo, 0x10000, v18
	v_cndmask_b32_e32 v4, 1, v24, vcc_lo
	v_cmp_ne_u32_e32 vcc_lo, 0, v3
	v_mul_lo_u16 v3, v4, v18
	v_cndmask_b32_e64 v22, v23, 1, vcc_lo
; %bb.125:
	s_or_b32 exec_lo, exec_lo, s6
	v_cmp_eq_u16_sdwa vcc_lo, v22, v1 src0_sel:BYTE_0 src1_sel:DWORD
	s_waitcnt lgkmcnt(0)
	v_cndmask_b32_e32 v1, 1, v2, vcc_lo
	v_mul_lo_u16 v1, v1, v3
	v_cndmask_b32_e64 v2, 1, v1, s9
	v_and_b32_e32 v25, 0xffff, v1
	v_mul_lo_u16 v3, v2, v21
	v_cndmask_b32_e64 v2, 1, v3, s8
	v_mul_lo_u16 v4, v2, v20
	v_cndmask_b32_e64 v2, 1, v4, s7
	;; [unrolled: 2-line block ×8, first 2 shown]
	v_mul_lo_u16 v24, v2, v10
	s_branch .LBB289_145
.LBB289_126:
	s_cmp_lg_u64 s[30:31], 0
	v_cmp_eq_u32_e32 vcc_lo, 0, v0
	s_cselect_b32 s1, -1, 0
	s_cmp_lg_u64 s[18:19], 0
	v_cmp_ne_u32_e64 s0, 0, v0
	s_cselect_b32 s2, -1, 0
	s_and_b32 s1, s1, s2
	s_and_b32 s1, vcc_lo, s1
	s_and_saveexec_b32 s2, s1
	s_cbranch_execz .LBB289_128
; %bb.127:
	v_mov_b32_e32 v1, 0
	v_mov_b32_e32 v3, 1
	v_cmp_gt_u32_e64 s1, 0x10000, v18
	v_and_b32_e32 v4, 0x10000, v18
	s_clause 0x1
	global_load_ushort v2, v1, s[18:19]
	global_load_ubyte v1, v1, s[18:19] offset:2
	s_waitcnt vmcnt(1)
	v_cndmask_b32_e64 v2, 1, v2, s1
	s_waitcnt vmcnt(0)
	v_and_b32_sdwa v1, v1, v3 dst_sel:WORD_1 dst_unused:UNUSED_PAD src0_sel:DWORD src1_sel:DWORD
	v_cmp_eq_u32_e64 s1, 0, v4
	v_mul_lo_u16 v2, v2, v18
	v_cndmask_b32_e64 v1, 0x10000, v1, s1
	v_or_b32_sdwa v18, v1, v2 dst_sel:DWORD dst_unused:UNUSED_PAD src0_sel:DWORD src1_sel:WORD_0
.LBB289_128:
	s_or_b32 exec_lo, exec_lo, s2
	v_cmp_gt_u32_e64 s1, 0x10000, v21
	v_cmp_gt_u32_e64 s2, 0x10000, v20
	;; [unrolled: 1-line block ×5, first 2 shown]
	v_cndmask_b32_e64 v1, 1, v18, s1
	v_cmp_gt_u32_e64 s6, 0x10000, v15
	v_cmp_gt_u32_e64 s7, 0x10000, v14
	;; [unrolled: 1-line block ×4, first 2 shown]
	v_mul_lo_u16 v3, v1, v21
	v_and_b32_e32 v11, 4, v11
	s_mov_b32 s11, exec_lo
	v_cndmask_b32_e64 v1, 1, v3, s2
	v_lshl_add_u32 v11, v0, 2, v11
	v_mul_lo_u16 v4, v1, v20
	v_cndmask_b32_e64 v1, 1, v4, s3
	v_mul_lo_u16 v5, v1, v19
	v_cndmask_b32_e64 v1, 1, v5, s4
	;; [unrolled: 2-line block ×5, first 2 shown]
	v_mul_lo_u16 v22, v1, v14
	v_or3_b32 v1, v12, v19, v20
	v_cndmask_b32_e64 v2, 1, v22, s8
	v_or3_b32 v1, v1, v21, v10
	v_mul_lo_u16 v23, v2, v13
	v_and_b32_e32 v1, 0xff0000, v1
	v_lshrrev_b32_e32 v2, 16, v18
	v_cndmask_b32_e64 v12, 1, v23, s9
	v_cmp_eq_u32_e64 s10, 0, v1
	v_mul_lo_u16 v24, v12, v10
	v_cndmask_b32_e64 v1, 1, v2, s10
	ds_write_b8 v11, v1 offset:2
	ds_write_b16 v11, v24
	s_waitcnt lgkmcnt(0)
	s_barrier
	buffer_gl0_inv
	v_cmpx_gt_u32_e32 32, v0
	s_cbranch_execz .LBB289_140
; %bb.129:
	v_lshrrev_b32_e32 v2, 2, v0
	v_lshlrev_b32_e32 v11, 3, v0
	s_mov_b32 s12, exec_lo
	v_and_b32_e32 v2, 12, v2
	v_add_nc_u32_e32 v2, v2, v11
	ds_read_u8 v12, v2 offset:6
	ds_read_b32 v11, v2
	ds_read_u16 v25, v2 offset:4
	s_waitcnt lgkmcnt(2)
	v_cmp_eq_u16_e64 s10, 0, v12
	v_and_b32_e32 v27, 1, v12
	s_waitcnt lgkmcnt(1)
	v_and_b32_e32 v12, 0x10000, v11
	v_cndmask_b32_e64 v26, 1, v11, s10
	v_cmp_eq_u32_e64 s10, 1, v27
	v_mbcnt_lo_u32_b32 v27, -1, 0
	s_waitcnt lgkmcnt(0)
	v_mul_lo_u16 v26, v26, v25
	v_and_b32_e32 v25, 0xff000000, v11
	v_cndmask_b32_e64 v28, v12, 0x10000, s10
	v_and_b32_e32 v29, 0xffff, v26
	v_or_b32_e32 v30, v28, v25
	v_or3_b32 v31, v25, v29, v28
	v_and_b32_e32 v28, 15, v27
	v_lshrrev_b32_e32 v29, 16, v30
	v_mov_b32_dpp v32, v31 row_shr:1 row_mask:0xf bank_mask:0xf
	v_cmpx_ne_u32_e32 0, v28
	s_cbranch_execz .LBB289_131
; %bb.130:
	v_mov_b32_e32 v29, 0xff
	v_mov_b32_e32 v31, 1
	v_and_b32_sdwa v29, v30, v29 dst_sel:DWORD dst_unused:UNUSED_PAD src0_sel:WORD_1 src1_sel:DWORD
	v_and_b32_e32 v30, 0x10000, v30
	v_and_b32_sdwa v31, v32, v31 dst_sel:DWORD dst_unused:UNUSED_PAD src0_sel:WORD_1 src1_sel:DWORD
	v_cmp_eq_u16_e64 s10, 0, v29
	v_cndmask_b32_e64 v32, 1, v32, s10
	v_cmp_ne_u32_e64 s10, 0, v30
	v_mul_lo_u16 v26, v32, v26
	v_cndmask_b32_e64 v29, v31, 1, s10
	v_and_b32_e32 v31, 0xffff, v26
	v_lshlrev_b32_e32 v30, 16, v29
	v_or3_b32 v31, v30, v31, v25
.LBB289_131:
	s_or_b32 exec_lo, exec_lo, s12
	v_lshrrev_b32_e32 v30, 16, v31
	v_mov_b32_dpp v32, v31 row_shr:2 row_mask:0xf bank_mask:0xf
	s_mov_b32 s12, exec_lo
	v_cmpx_lt_u32_e32 1, v28
	s_cbranch_execz .LBB289_133
; %bb.132:
	v_mov_b32_e32 v33, 0
	v_mov_b32_e32 v29, 1
	v_and_b32_e32 v31, 0x10000, v31
	v_cmp_eq_u16_sdwa s10, v30, v33 src0_sel:BYTE_0 src1_sel:DWORD
	v_and_b32_sdwa v29, v32, v29 dst_sel:DWORD dst_unused:UNUSED_PAD src0_sel:WORD_1 src1_sel:DWORD
	v_cndmask_b32_e64 v30, 1, v32, s10
	v_cmp_ne_u32_e64 s10, 0, v31
	v_mul_lo_u16 v26, v30, v26
	v_cndmask_b32_e64 v29, v29, 1, s10
	v_and_b32_e32 v31, 0xffff, v26
	v_lshlrev_b32_e32 v30, 16, v29
	v_or3_b32 v31, v30, v31, v25
	v_mov_b32_e32 v30, v29
.LBB289_133:
	s_or_b32 exec_lo, exec_lo, s12
	v_mov_b32_dpp v32, v31 row_shr:4 row_mask:0xf bank_mask:0xf
	s_mov_b32 s12, exec_lo
	v_cmpx_lt_u32_e32 3, v28
	s_cbranch_execz .LBB289_135
; %bb.134:
	v_mov_b32_e32 v31, 0
	v_mov_b32_e32 v29, 1
	v_and_b32_e32 v33, 1, v30
	v_cmp_eq_u16_sdwa s10, v30, v31 src0_sel:BYTE_0 src1_sel:DWORD
	v_and_b32_sdwa v29, v32, v29 dst_sel:DWORD dst_unused:UNUSED_PAD src0_sel:WORD_1 src1_sel:DWORD
	v_cndmask_b32_e64 v30, 1, v32, s10
	v_cmp_eq_u32_e64 s10, 1, v33
	v_mul_lo_u16 v26, v30, v26
	v_cndmask_b32_e64 v29, v29, 1, s10
	v_and_b32_e32 v31, 0xffff, v26
	v_lshlrev_b32_e32 v30, 16, v29
	v_or3_b32 v31, v30, v31, v25
	v_mov_b32_e32 v30, v29
.LBB289_135:
	s_or_b32 exec_lo, exec_lo, s12
	v_mov_b32_dpp v32, v31 row_shr:8 row_mask:0xf bank_mask:0xf
	s_mov_b32 s12, exec_lo
	v_cmpx_lt_u32_e32 7, v28
	s_cbranch_execz .LBB289_137
; %bb.136:
	v_mov_b32_e32 v29, 0
	v_mov_b32_e32 v28, 1
	v_and_b32_e32 v31, 1, v30
	v_cmp_eq_u16_sdwa s10, v30, v29 src0_sel:BYTE_0 src1_sel:DWORD
	v_and_b32_sdwa v28, v32, v28 dst_sel:DWORD dst_unused:UNUSED_PAD src0_sel:WORD_1 src1_sel:DWORD
	v_cndmask_b32_e64 v30, 1, v32, s10
	v_cmp_eq_u32_e64 s10, 1, v31
	v_mul_lo_u16 v26, v30, v26
	v_cndmask_b32_e64 v29, v28, 1, s10
	v_and_b32_e32 v30, 0xffff, v26
	v_lshlrev_b32_e32 v28, 16, v29
	v_or3_b32 v31, v28, v30, v25
	v_mov_b32_e32 v30, v29
.LBB289_137:
	s_or_b32 exec_lo, exec_lo, s12
	ds_swizzle_b32 v28, v31 offset:swizzle(BROADCAST,32,15)
	v_and_b32_e32 v31, 16, v27
	s_mov_b32 s12, exec_lo
	v_cmpx_ne_u32_e32 0, v31
	s_cbranch_execz .LBB289_139
; %bb.138:
	v_mov_b32_e32 v29, 0
	v_mov_b32_e32 v31, 1
	v_cmp_eq_u16_sdwa s10, v30, v29 src0_sel:BYTE_0 src1_sel:DWORD
	v_and_b32_e32 v30, 1, v30
	s_waitcnt lgkmcnt(0)
	v_cndmask_b32_e64 v29, 1, v28, s10
	v_and_b32_sdwa v28, v28, v31 dst_sel:DWORD dst_unused:UNUSED_PAD src0_sel:WORD_1 src1_sel:DWORD
	v_cmp_eq_u32_e64 s10, 1, v30
	v_mul_lo_u16 v26, v29, v26
	v_cndmask_b32_e64 v29, v28, 1, s10
.LBB289_139:
	s_or_b32 exec_lo, exec_lo, s12
	s_waitcnt lgkmcnt(0)
	v_and_b32_e32 v28, 0xff, v29
	v_add_nc_u32_e32 v29, -1, v27
	v_and_b32_e32 v26, 0xffff, v26
	; wave barrier
	v_lshlrev_b32_e32 v28, 16, v28
	v_cmp_gt_i32_e64 s10, 0, v29
	v_or3_b32 v25, v28, v26, v25
	v_cndmask_b32_e64 v27, v29, v27, s10
	v_lshlrev_b32_e32 v26, 2, v27
	v_mov_b32_e32 v27, 1
	ds_bpermute_b32 v25, v26, v25
	v_and_b32_e32 v26, 0xff0000, v11
	v_cmp_eq_u32_e64 s10, 0, v26
	s_waitcnt lgkmcnt(0)
	v_cndmask_b32_e64 v26, 1, v25, s10
	v_and_b32_sdwa v25, v25, v27 dst_sel:DWORD dst_unused:UNUSED_PAD src0_sel:WORD_1 src1_sel:DWORD
	v_cmp_eq_u32_e64 s10, 0, v12
	v_mul_lo_u16 v11, v26, v11
	v_cndmask_b32_e64 v12, 1, v25, s10
	v_cndmask_b32_e32 v11, v11, v24, vcc_lo
	v_cndmask_b32_e32 v1, v12, v1, vcc_lo
	ds_write_b16 v2, v11
	ds_write_b8 v2, v1 offset:2
	; wave barrier
	ds_read_u8 v12, v2 offset:6
	ds_read_u16 v25, v2 offset:4
	s_waitcnt lgkmcnt(1)
	v_cmp_eq_u16_e64 s10, 0, v12
	v_and_b32_e32 v12, 1, v12
	v_cndmask_b32_e64 v11, 1, v11, s10
	v_cmp_eq_u32_e64 s10, 1, v12
	s_waitcnt lgkmcnt(0)
	v_mul_lo_u16 v11, v11, v25
	v_cndmask_b32_e64 v1, v1, 1, s10
	ds_write_b16 v2, v11 offset:4
	ds_write_b8 v2, v1 offset:6
.LBB289_140:
	s_or_b32 exec_lo, exec_lo, s11
	s_waitcnt lgkmcnt(0)
	s_barrier
	buffer_gl0_inv
	s_and_saveexec_b32 s10, s0
	s_cbranch_execz .LBB289_142
; %bb.141:
	v_add_nc_u32_e32 v1, -1, v0
	v_cmp_gt_u32_e64 s0, 0x10000, v18
	v_lshrrev_b32_e32 v2, 3, v1
	v_and_b32_e32 v2, 0x1ffffffc, v2
	v_lshl_add_u32 v1, v1, 2, v2
	ds_read_u16 v1, v1
	;;#ASMSTART
	;;#ASMEND
	s_waitcnt lgkmcnt(0)
	v_cndmask_b32_e64 v1, 1, v1, s0
	v_mul_lo_u32 v18, v1, v18
	v_cndmask_b32_e64 v1, 1, v18, s1
	v_mul_lo_u16 v3, v1, v21
	v_cndmask_b32_e64 v1, 1, v3, s2
	v_mul_lo_u16 v4, v1, v20
	;; [unrolled: 2-line block ×9, first 2 shown]
.LBB289_142:
	s_or_b32 exec_lo, exec_lo, s10
	s_and_saveexec_b32 s0, vcc_lo
	s_cbranch_execz .LBB289_144
; %bb.143:
	v_mov_b32_e32 v10, 0
	ds_read_u8 v1, v10 offset:258
	ds_read_u16 v2, v10 offset:256
	s_waitcnt lgkmcnt(1)
	v_lshlrev_b32_e32 v1, 16, v1
	s_waitcnt lgkmcnt(0)
	v_or_b32_e32 v1, v1, v2
	v_mov_b32_e32 v2, 2
	global_store_dwordx2 v10, v[1:2], s[24:25] offset:256
.LBB289_144:
	s_or_b32 exec_lo, exec_lo, s0
	v_mov_b32_e32 v25, v18
.LBB289_145:
	s_add_u32 s0, s14, s28
	v_mov_b32_e32 v1, 0
	s_addc_u32 s1, s15, s29
	s_add_u32 s0, s0, s20
	s_addc_u32 s1, s1, s21
	s_and_b32 vcc_lo, exec_lo, s27
	s_cbranch_vccz .LBB289_185
; %bb.146:
	v_mul_u32_u24_e32 v2, 10, v0
	v_mov_b32_e32 v10, 0
	v_mov_b32_e32 v11, 0
	;; [unrolled: 1-line block ×4, first 2 shown]
	s_add_i32 s33, s33, s26
	s_mov_b32 s2, exec_lo
	v_cmpx_gt_u32_e64 s33, v2
	s_cbranch_execz .LBB289_166
; %bb.147:
	v_or_b32_e32 v13, 1, v2
	v_and_b32_e32 v1, 0xffff, v25
	v_mov_b32_e32 v10, 0
	v_mov_b32_e32 v11, 0
	;; [unrolled: 1-line block ×3, first 2 shown]
	v_cmp_gt_u32_e32 vcc_lo, s33, v13
	v_mov_b32_e32 v13, 0
	s_and_saveexec_b32 s3, vcc_lo
	s_cbranch_execz .LBB289_165
; %bb.148:
	v_perm_b32 v1, v3, v1, 0x5040100
	v_add_nc_u32_e32 v14, 2, v2
	v_mov_b32_e32 v13, 0
	v_mov_b32_e32 v12, 0
	;; [unrolled: 1-line block ×4, first 2 shown]
	s_mov_b32 s4, exec_lo
	v_cmpx_gt_u32_e64 s33, v14
	s_cbranch_execz .LBB289_164
; %bb.149:
	v_add_nc_u32_e32 v14, 3, v2
	v_bfi_b32 v10, 0xffff, v4, 0
	v_mov_b32_e32 v13, 0
	v_mov_b32_e32 v12, 0
	;; [unrolled: 1-line block ×3, first 2 shown]
	s_mov_b32 s5, exec_lo
	v_cmpx_gt_u32_e64 s33, v14
	s_cbranch_execz .LBB289_163
; %bb.150:
	v_add_nc_u32_e32 v14, 4, v2
	v_perm_b32 v10, v5, v10, 0x5040100
	v_mov_b32_e32 v13, 0
	v_mov_b32_e32 v12, 0
	;; [unrolled: 1-line block ×3, first 2 shown]
	s_mov_b32 s6, exec_lo
	v_cmpx_gt_u32_e64 s33, v14
	s_cbranch_execz .LBB289_162
; %bb.151:
	v_add_nc_u32_e32 v14, 5, v2
	v_bfi_b32 v11, 0xffff, v6, 0
	v_mov_b32_e32 v13, 0
	v_mov_b32_e32 v12, 0
	s_mov_b32 s7, exec_lo
	v_cmpx_gt_u32_e64 s33, v14
	s_cbranch_execz .LBB289_161
; %bb.152:
	v_add_nc_u32_e32 v14, 6, v2
	v_perm_b32 v11, v7, v11, 0x5040100
	v_mov_b32_e32 v13, 0
	v_mov_b32_e32 v12, 0
	s_mov_b32 s8, exec_lo
	v_cmpx_gt_u32_e64 s33, v14
	s_cbranch_execz .LBB289_160
; %bb.153:
	v_add_nc_u32_e32 v14, 7, v2
	v_bfi_b32 v12, 0xffff, v8, 0
	v_mov_b32_e32 v13, 0
	s_mov_b32 s9, exec_lo
	v_cmpx_gt_u32_e64 s33, v14
	s_cbranch_execz .LBB289_159
; %bb.154:
	v_add_nc_u32_e32 v14, 8, v2
	v_perm_b32 v12, v22, v12, 0x5040100
	v_mov_b32_e32 v13, 0
	s_mov_b32 s10, exec_lo
	v_cmpx_gt_u32_e64 s33, v14
	s_cbranch_execz .LBB289_158
; %bb.155:
	v_add_nc_u32_e32 v14, 9, v2
	v_bfi_b32 v13, 0xffff, v23, 0
	s_mov_b32 s11, exec_lo
	v_cmpx_gt_u32_e64 s33, v14
; %bb.156:
	v_perm_b32 v13, v24, v13, 0x5040100
; %bb.157:
	s_or_b32 exec_lo, exec_lo, s11
.LBB289_158:
	s_or_b32 exec_lo, exec_lo, s10
.LBB289_159:
	s_or_b32 exec_lo, exec_lo, s9
.LBB289_160:
	s_or_b32 exec_lo, exec_lo, s8
.LBB289_161:
	s_or_b32 exec_lo, exec_lo, s7
.LBB289_162:
	s_or_b32 exec_lo, exec_lo, s6
.LBB289_163:
	s_or_b32 exec_lo, exec_lo, s5
.LBB289_164:
	s_or_b32 exec_lo, exec_lo, s4
.LBB289_165:
	s_or_b32 exec_lo, exec_lo, s3
.LBB289_166:
	s_or_b32 exec_lo, exec_lo, s2
	v_lshlrev_b32_e32 v18, 1, v2
	s_waitcnt_vscnt null, 0x0
	s_barrier
	buffer_gl0_inv
	ds_write2_b32 v18, v1, v10 offset1:1
	ds_write2_b32 v18, v11, v12 offset0:2 offset1:3
	v_mad_i32_i24 v1, 0xffffffee, v0, v18
	ds_write_b32 v18, v13 offset:16
	s_waitcnt lgkmcnt(0)
	s_barrier
	buffer_gl0_inv
	ds_read_u16 v19, v1 offset:128
	ds_read_u16 v17, v1 offset:256
	;; [unrolled: 1-line block ×9, first 2 shown]
	v_add_co_u32 v1, s2, s0, v9
	v_add_co_ci_u32_e64 v2, null, s1, 0, s2
	s_mov_b32 s2, exec_lo
	v_cmpx_gt_u32_e64 s33, v0
	s_cbranch_execz .LBB289_168
; %bb.167:
	v_mul_i32_i24_e32 v20, 0xffffffee, v0
	v_add_nc_u32_e32 v18, v18, v20
	ds_read_u16 v18, v18
	s_waitcnt lgkmcnt(0)
	flat_store_short v[1:2], v18
.LBB289_168:
	s_or_b32 exec_lo, exec_lo, s2
	v_or_b32_e32 v18, 64, v0
	s_mov_b32 s2, exec_lo
	v_cmpx_gt_u32_e64 s33, v18
	s_cbranch_execz .LBB289_170
; %bb.169:
	s_waitcnt lgkmcnt(8)
	flat_store_short v[1:2], v19 offset:128
.LBB289_170:
	s_or_b32 exec_lo, exec_lo, s2
	v_or_b32_e32 v18, 0x80, v0
	s_mov_b32 s2, exec_lo
	v_cmpx_gt_u32_e64 s33, v18
	s_cbranch_execz .LBB289_172
; %bb.171:
	s_waitcnt lgkmcnt(7)
	flat_store_short v[1:2], v17 offset:256
.LBB289_172:
	s_or_b32 exec_lo, exec_lo, s2
	s_waitcnt lgkmcnt(7)
	v_or_b32_e32 v17, 0xc0, v0
	s_mov_b32 s2, exec_lo
	v_cmpx_gt_u32_e64 s33, v17
	s_cbranch_execz .LBB289_174
; %bb.173:
	s_waitcnt lgkmcnt(6)
	flat_store_short v[1:2], v16 offset:384
.LBB289_174:
	s_or_b32 exec_lo, exec_lo, s2
	s_waitcnt lgkmcnt(6)
	;; [unrolled: 10-line block ×6, first 2 shown]
	v_or_b32_e32 v12, 0x200, v0
	s_mov_b32 s2, exec_lo
	v_cmpx_gt_u32_e64 s33, v12
	s_cbranch_execz .LBB289_184
; %bb.183:
	s_waitcnt lgkmcnt(1)
	flat_store_short v[1:2], v11 offset:1024
.LBB289_184:
	s_or_b32 exec_lo, exec_lo, s2
	v_or_b32_e32 v1, 0x240, v0
	v_cmp_gt_u32_e64 s2, s33, v1
	s_branch .LBB289_187
.LBB289_185:
	s_mov_b32 s2, 0
                                        ; implicit-def: $vgpr10
	s_cbranch_execz .LBB289_187
; %bb.186:
	v_mul_u32_u24_e32 v1, 20, v0
	v_perm_b32 v2, v5, v4, 0x5040100
	v_perm_b32 v3, v3, v25, 0x5040100
	;; [unrolled: 1-line block ×3, first 2 shown]
	v_mul_i32_i24_e32 v6, 0xffffffee, v0
	v_perm_b32 v4, v22, v8, 0x5040100
	s_waitcnt lgkmcnt(0)
	s_waitcnt_vscnt null, 0x0
	s_barrier
	v_perm_b32 v7, v24, v23, 0x5040100
	buffer_gl0_inv
	ds_write2_b32 v1, v3, v2 offset1:1
	ds_write2_b32 v1, v5, v4 offset0:2 offset1:3
	v_mad_u32_u24 v2, v0, 20, v6
	s_or_b32 s2, s2, exec_lo
	ds_write_b32 v1, v7 offset:16
	s_waitcnt lgkmcnt(0)
	s_barrier
	buffer_gl0_inv
	ds_read_u16 v3, v2
	ds_read_u16 v4, v2 offset:128
	ds_read_u16 v5, v2 offset:256
	;; [unrolled: 1-line block ×9, first 2 shown]
	v_add_co_u32 v1, s3, s0, v9
	v_add_co_ci_u32_e64 v2, null, s1, 0, s3
	s_waitcnt lgkmcnt(9)
	flat_store_short v[1:2], v3
	s_waitcnt lgkmcnt(9)
	flat_store_short v[1:2], v4 offset:128
	s_waitcnt lgkmcnt(9)
	flat_store_short v[1:2], v5 offset:256
	;; [unrolled: 2-line block ×8, first 2 shown]
.LBB289_187:
	s_and_saveexec_b32 s3, s2
	s_cbranch_execnz .LBB289_189
; %bb.188:
	s_endpgm
.LBB289_189:
	v_lshlrev_b32_e32 v0, 1, v0
	v_add_co_u32 v0, s0, s0, v0
	v_add_co_ci_u32_e64 v1, null, s1, 0, s0
	s_waitcnt lgkmcnt(0)
	flat_store_short v[0:1], v10 offset:1152
	s_endpgm
.LBB289_190:
	v_add_co_u32 v3, s10, s11, v14
	v_add_co_ci_u32_e64 v4, null, s36, 0, s10
	v_mov_b32_e32 v2, v1
	v_mov_b32_e32 v5, v1
	;; [unrolled: 1-line block ×3, first 2 shown]
	flat_load_short_d16 v2, v[3:4]
	v_mov_b32_e32 v3, v1
	v_mov_b32_e32 v4, v1
	s_waitcnt vmcnt(0) lgkmcnt(0)
	v_mov_b32_e32 v1, v2
	v_mov_b32_e32 v2, v3
	;; [unrolled: 1-line block ×8, first 2 shown]
	s_or_b32 exec_lo, exec_lo, s16
	s_and_saveexec_b32 s10, s9
	s_cbranch_execz .LBB289_29
.LBB289_191:
	v_add_co_u32 v6, s9, s11, v14
	v_add_co_ci_u32_e64 v7, null, s36, 0, s9
	flat_load_short_d16_hi v1, v[6:7] offset:128
	s_or_b32 exec_lo, exec_lo, s10
	s_and_saveexec_b32 s9, s8
	s_cbranch_execz .LBB289_30
.LBB289_192:
	v_add_co_u32 v6, s8, s11, v14
	v_add_co_ci_u32_e64 v7, null, s36, 0, s8
	flat_load_short_d16 v2, v[6:7] offset:256
	s_or_b32 exec_lo, exec_lo, s9
	s_and_saveexec_b32 s8, s7
	s_cbranch_execz .LBB289_31
.LBB289_193:
	v_add_co_u32 v6, s7, s11, v14
	v_add_co_ci_u32_e64 v7, null, s36, 0, s7
	s_waitcnt vmcnt(0) lgkmcnt(0)
	flat_load_short_d16_hi v2, v[6:7] offset:384
	s_or_b32 exec_lo, exec_lo, s8
	s_and_saveexec_b32 s7, s5
	s_cbranch_execz .LBB289_32
.LBB289_194:
	v_add_co_u32 v6, s5, s11, v14
	v_add_co_ci_u32_e64 v7, null, s36, 0, s5
	flat_load_short_d16 v3, v[6:7] offset:512
	s_or_b32 exec_lo, exec_lo, s7
	s_and_saveexec_b32 s5, s4
	s_cbranch_execz .LBB289_33
.LBB289_195:
	v_add_co_u32 v6, s4, s11, v14
	v_add_co_ci_u32_e64 v7, null, s36, 0, s4
	s_waitcnt vmcnt(0) lgkmcnt(0)
	flat_load_short_d16_hi v3, v[6:7] offset:640
	s_or_b32 exec_lo, exec_lo, s5
	s_and_saveexec_b32 s4, s3
	s_cbranch_execz .LBB289_34
.LBB289_196:
	v_add_co_u32 v6, s3, s11, v14
	v_add_co_ci_u32_e64 v7, null, s36, 0, s3
	flat_load_short_d16 v4, v[6:7] offset:768
	s_or_b32 exec_lo, exec_lo, s4
	s_and_saveexec_b32 s3, s2
	s_cbranch_execz .LBB289_35
.LBB289_197:
	v_add_co_u32 v6, s2, s11, v14
	v_add_co_ci_u32_e64 v7, null, s36, 0, s2
	s_waitcnt vmcnt(0) lgkmcnt(0)
	flat_load_short_d16_hi v4, v[6:7] offset:896
	s_or_b32 exec_lo, exec_lo, s3
	s_and_saveexec_b32 s2, s1
	s_cbranch_execz .LBB289_36
.LBB289_198:
	v_add_co_u32 v6, s1, s11, v14
	v_add_co_ci_u32_e64 v7, null, s36, 0, s1
	flat_load_short_d16 v5, v[6:7] offset:1024
	s_or_b32 exec_lo, exec_lo, s2
	s_and_saveexec_b32 s1, s0
	s_cbranch_execnz .LBB289_37
	s_branch .LBB289_38
.LBB289_199:
                                        ; implicit-def: $sgpr16_sgpr17
	s_branch .LBB289_24
.LBB289_200:
                                        ; implicit-def: $sgpr0_sgpr1
	s_branch .LBB289_61
	.section	.rodata,"a",@progbits
	.p2align	6, 0x0
	.amdhsa_kernel _ZN7rocprim17ROCPRIM_400000_NS6detail17trampoline_kernelINS0_14default_configENS1_27scan_by_key_config_selectorIssEEZZNS1_16scan_by_key_implILNS1_25lookback_scan_determinismE0ELb0ES3_N6thrust23THRUST_200600_302600_NS6detail15normal_iteratorINS9_10device_ptrIsEEEESE_SE_sNS9_10multipliesIsEENS9_8equal_toIsEEsEE10hipError_tPvRmT2_T3_T4_T5_mT6_T7_P12ihipStream_tbENKUlT_T0_E_clISt17integral_constantIbLb0EESZ_EEDaSU_SV_EUlSU_E_NS1_11comp_targetILNS1_3genE8ELNS1_11target_archE1030ELNS1_3gpuE2ELNS1_3repE0EEENS1_30default_config_static_selectorELNS0_4arch9wavefront6targetE0EEEvT1_
		.amdhsa_group_segment_fixed_size 1536
		.amdhsa_private_segment_fixed_size 0
		.amdhsa_kernarg_size 112
		.amdhsa_user_sgpr_count 6
		.amdhsa_user_sgpr_private_segment_buffer 1
		.amdhsa_user_sgpr_dispatch_ptr 0
		.amdhsa_user_sgpr_queue_ptr 0
		.amdhsa_user_sgpr_kernarg_segment_ptr 1
		.amdhsa_user_sgpr_dispatch_id 0
		.amdhsa_user_sgpr_flat_scratch_init 0
		.amdhsa_user_sgpr_private_segment_size 0
		.amdhsa_wavefront_size32 1
		.amdhsa_uses_dynamic_stack 0
		.amdhsa_system_sgpr_private_segment_wavefront_offset 0
		.amdhsa_system_sgpr_workgroup_id_x 1
		.amdhsa_system_sgpr_workgroup_id_y 0
		.amdhsa_system_sgpr_workgroup_id_z 0
		.amdhsa_system_sgpr_workgroup_info 0
		.amdhsa_system_vgpr_workitem_id 0
		.amdhsa_next_free_vgpr 42
		.amdhsa_next_free_sgpr 39
		.amdhsa_reserve_vcc 1
		.amdhsa_reserve_flat_scratch 1
		.amdhsa_float_round_mode_32 0
		.amdhsa_float_round_mode_16_64 0
		.amdhsa_float_denorm_mode_32 3
		.amdhsa_float_denorm_mode_16_64 3
		.amdhsa_dx10_clamp 1
		.amdhsa_ieee_mode 1
		.amdhsa_fp16_overflow 0
		.amdhsa_workgroup_processor_mode 1
		.amdhsa_memory_ordered 1
		.amdhsa_forward_progress 1
		.amdhsa_shared_vgpr_count 0
		.amdhsa_exception_fp_ieee_invalid_op 0
		.amdhsa_exception_fp_denorm_src 0
		.amdhsa_exception_fp_ieee_div_zero 0
		.amdhsa_exception_fp_ieee_overflow 0
		.amdhsa_exception_fp_ieee_underflow 0
		.amdhsa_exception_fp_ieee_inexact 0
		.amdhsa_exception_int_div_zero 0
	.end_amdhsa_kernel
	.section	.text._ZN7rocprim17ROCPRIM_400000_NS6detail17trampoline_kernelINS0_14default_configENS1_27scan_by_key_config_selectorIssEEZZNS1_16scan_by_key_implILNS1_25lookback_scan_determinismE0ELb0ES3_N6thrust23THRUST_200600_302600_NS6detail15normal_iteratorINS9_10device_ptrIsEEEESE_SE_sNS9_10multipliesIsEENS9_8equal_toIsEEsEE10hipError_tPvRmT2_T3_T4_T5_mT6_T7_P12ihipStream_tbENKUlT_T0_E_clISt17integral_constantIbLb0EESZ_EEDaSU_SV_EUlSU_E_NS1_11comp_targetILNS1_3genE8ELNS1_11target_archE1030ELNS1_3gpuE2ELNS1_3repE0EEENS1_30default_config_static_selectorELNS0_4arch9wavefront6targetE0EEEvT1_,"axG",@progbits,_ZN7rocprim17ROCPRIM_400000_NS6detail17trampoline_kernelINS0_14default_configENS1_27scan_by_key_config_selectorIssEEZZNS1_16scan_by_key_implILNS1_25lookback_scan_determinismE0ELb0ES3_N6thrust23THRUST_200600_302600_NS6detail15normal_iteratorINS9_10device_ptrIsEEEESE_SE_sNS9_10multipliesIsEENS9_8equal_toIsEEsEE10hipError_tPvRmT2_T3_T4_T5_mT6_T7_P12ihipStream_tbENKUlT_T0_E_clISt17integral_constantIbLb0EESZ_EEDaSU_SV_EUlSU_E_NS1_11comp_targetILNS1_3genE8ELNS1_11target_archE1030ELNS1_3gpuE2ELNS1_3repE0EEENS1_30default_config_static_selectorELNS0_4arch9wavefront6targetE0EEEvT1_,comdat
.Lfunc_end289:
	.size	_ZN7rocprim17ROCPRIM_400000_NS6detail17trampoline_kernelINS0_14default_configENS1_27scan_by_key_config_selectorIssEEZZNS1_16scan_by_key_implILNS1_25lookback_scan_determinismE0ELb0ES3_N6thrust23THRUST_200600_302600_NS6detail15normal_iteratorINS9_10device_ptrIsEEEESE_SE_sNS9_10multipliesIsEENS9_8equal_toIsEEsEE10hipError_tPvRmT2_T3_T4_T5_mT6_T7_P12ihipStream_tbENKUlT_T0_E_clISt17integral_constantIbLb0EESZ_EEDaSU_SV_EUlSU_E_NS1_11comp_targetILNS1_3genE8ELNS1_11target_archE1030ELNS1_3gpuE2ELNS1_3repE0EEENS1_30default_config_static_selectorELNS0_4arch9wavefront6targetE0EEEvT1_, .Lfunc_end289-_ZN7rocprim17ROCPRIM_400000_NS6detail17trampoline_kernelINS0_14default_configENS1_27scan_by_key_config_selectorIssEEZZNS1_16scan_by_key_implILNS1_25lookback_scan_determinismE0ELb0ES3_N6thrust23THRUST_200600_302600_NS6detail15normal_iteratorINS9_10device_ptrIsEEEESE_SE_sNS9_10multipliesIsEENS9_8equal_toIsEEsEE10hipError_tPvRmT2_T3_T4_T5_mT6_T7_P12ihipStream_tbENKUlT_T0_E_clISt17integral_constantIbLb0EESZ_EEDaSU_SV_EUlSU_E_NS1_11comp_targetILNS1_3genE8ELNS1_11target_archE1030ELNS1_3gpuE2ELNS1_3repE0EEENS1_30default_config_static_selectorELNS0_4arch9wavefront6targetE0EEEvT1_
                                        ; -- End function
	.set _ZN7rocprim17ROCPRIM_400000_NS6detail17trampoline_kernelINS0_14default_configENS1_27scan_by_key_config_selectorIssEEZZNS1_16scan_by_key_implILNS1_25lookback_scan_determinismE0ELb0ES3_N6thrust23THRUST_200600_302600_NS6detail15normal_iteratorINS9_10device_ptrIsEEEESE_SE_sNS9_10multipliesIsEENS9_8equal_toIsEEsEE10hipError_tPvRmT2_T3_T4_T5_mT6_T7_P12ihipStream_tbENKUlT_T0_E_clISt17integral_constantIbLb0EESZ_EEDaSU_SV_EUlSU_E_NS1_11comp_targetILNS1_3genE8ELNS1_11target_archE1030ELNS1_3gpuE2ELNS1_3repE0EEENS1_30default_config_static_selectorELNS0_4arch9wavefront6targetE0EEEvT1_.num_vgpr, 42
	.set _ZN7rocprim17ROCPRIM_400000_NS6detail17trampoline_kernelINS0_14default_configENS1_27scan_by_key_config_selectorIssEEZZNS1_16scan_by_key_implILNS1_25lookback_scan_determinismE0ELb0ES3_N6thrust23THRUST_200600_302600_NS6detail15normal_iteratorINS9_10device_ptrIsEEEESE_SE_sNS9_10multipliesIsEENS9_8equal_toIsEEsEE10hipError_tPvRmT2_T3_T4_T5_mT6_T7_P12ihipStream_tbENKUlT_T0_E_clISt17integral_constantIbLb0EESZ_EEDaSU_SV_EUlSU_E_NS1_11comp_targetILNS1_3genE8ELNS1_11target_archE1030ELNS1_3gpuE2ELNS1_3repE0EEENS1_30default_config_static_selectorELNS0_4arch9wavefront6targetE0EEEvT1_.num_agpr, 0
	.set _ZN7rocprim17ROCPRIM_400000_NS6detail17trampoline_kernelINS0_14default_configENS1_27scan_by_key_config_selectorIssEEZZNS1_16scan_by_key_implILNS1_25lookback_scan_determinismE0ELb0ES3_N6thrust23THRUST_200600_302600_NS6detail15normal_iteratorINS9_10device_ptrIsEEEESE_SE_sNS9_10multipliesIsEENS9_8equal_toIsEEsEE10hipError_tPvRmT2_T3_T4_T5_mT6_T7_P12ihipStream_tbENKUlT_T0_E_clISt17integral_constantIbLb0EESZ_EEDaSU_SV_EUlSU_E_NS1_11comp_targetILNS1_3genE8ELNS1_11target_archE1030ELNS1_3gpuE2ELNS1_3repE0EEENS1_30default_config_static_selectorELNS0_4arch9wavefront6targetE0EEEvT1_.numbered_sgpr, 39
	.set _ZN7rocprim17ROCPRIM_400000_NS6detail17trampoline_kernelINS0_14default_configENS1_27scan_by_key_config_selectorIssEEZZNS1_16scan_by_key_implILNS1_25lookback_scan_determinismE0ELb0ES3_N6thrust23THRUST_200600_302600_NS6detail15normal_iteratorINS9_10device_ptrIsEEEESE_SE_sNS9_10multipliesIsEENS9_8equal_toIsEEsEE10hipError_tPvRmT2_T3_T4_T5_mT6_T7_P12ihipStream_tbENKUlT_T0_E_clISt17integral_constantIbLb0EESZ_EEDaSU_SV_EUlSU_E_NS1_11comp_targetILNS1_3genE8ELNS1_11target_archE1030ELNS1_3gpuE2ELNS1_3repE0EEENS1_30default_config_static_selectorELNS0_4arch9wavefront6targetE0EEEvT1_.num_named_barrier, 0
	.set _ZN7rocprim17ROCPRIM_400000_NS6detail17trampoline_kernelINS0_14default_configENS1_27scan_by_key_config_selectorIssEEZZNS1_16scan_by_key_implILNS1_25lookback_scan_determinismE0ELb0ES3_N6thrust23THRUST_200600_302600_NS6detail15normal_iteratorINS9_10device_ptrIsEEEESE_SE_sNS9_10multipliesIsEENS9_8equal_toIsEEsEE10hipError_tPvRmT2_T3_T4_T5_mT6_T7_P12ihipStream_tbENKUlT_T0_E_clISt17integral_constantIbLb0EESZ_EEDaSU_SV_EUlSU_E_NS1_11comp_targetILNS1_3genE8ELNS1_11target_archE1030ELNS1_3gpuE2ELNS1_3repE0EEENS1_30default_config_static_selectorELNS0_4arch9wavefront6targetE0EEEvT1_.private_seg_size, 0
	.set _ZN7rocprim17ROCPRIM_400000_NS6detail17trampoline_kernelINS0_14default_configENS1_27scan_by_key_config_selectorIssEEZZNS1_16scan_by_key_implILNS1_25lookback_scan_determinismE0ELb0ES3_N6thrust23THRUST_200600_302600_NS6detail15normal_iteratorINS9_10device_ptrIsEEEESE_SE_sNS9_10multipliesIsEENS9_8equal_toIsEEsEE10hipError_tPvRmT2_T3_T4_T5_mT6_T7_P12ihipStream_tbENKUlT_T0_E_clISt17integral_constantIbLb0EESZ_EEDaSU_SV_EUlSU_E_NS1_11comp_targetILNS1_3genE8ELNS1_11target_archE1030ELNS1_3gpuE2ELNS1_3repE0EEENS1_30default_config_static_selectorELNS0_4arch9wavefront6targetE0EEEvT1_.uses_vcc, 1
	.set _ZN7rocprim17ROCPRIM_400000_NS6detail17trampoline_kernelINS0_14default_configENS1_27scan_by_key_config_selectorIssEEZZNS1_16scan_by_key_implILNS1_25lookback_scan_determinismE0ELb0ES3_N6thrust23THRUST_200600_302600_NS6detail15normal_iteratorINS9_10device_ptrIsEEEESE_SE_sNS9_10multipliesIsEENS9_8equal_toIsEEsEE10hipError_tPvRmT2_T3_T4_T5_mT6_T7_P12ihipStream_tbENKUlT_T0_E_clISt17integral_constantIbLb0EESZ_EEDaSU_SV_EUlSU_E_NS1_11comp_targetILNS1_3genE8ELNS1_11target_archE1030ELNS1_3gpuE2ELNS1_3repE0EEENS1_30default_config_static_selectorELNS0_4arch9wavefront6targetE0EEEvT1_.uses_flat_scratch, 1
	.set _ZN7rocprim17ROCPRIM_400000_NS6detail17trampoline_kernelINS0_14default_configENS1_27scan_by_key_config_selectorIssEEZZNS1_16scan_by_key_implILNS1_25lookback_scan_determinismE0ELb0ES3_N6thrust23THRUST_200600_302600_NS6detail15normal_iteratorINS9_10device_ptrIsEEEESE_SE_sNS9_10multipliesIsEENS9_8equal_toIsEEsEE10hipError_tPvRmT2_T3_T4_T5_mT6_T7_P12ihipStream_tbENKUlT_T0_E_clISt17integral_constantIbLb0EESZ_EEDaSU_SV_EUlSU_E_NS1_11comp_targetILNS1_3genE8ELNS1_11target_archE1030ELNS1_3gpuE2ELNS1_3repE0EEENS1_30default_config_static_selectorELNS0_4arch9wavefront6targetE0EEEvT1_.has_dyn_sized_stack, 0
	.set _ZN7rocprim17ROCPRIM_400000_NS6detail17trampoline_kernelINS0_14default_configENS1_27scan_by_key_config_selectorIssEEZZNS1_16scan_by_key_implILNS1_25lookback_scan_determinismE0ELb0ES3_N6thrust23THRUST_200600_302600_NS6detail15normal_iteratorINS9_10device_ptrIsEEEESE_SE_sNS9_10multipliesIsEENS9_8equal_toIsEEsEE10hipError_tPvRmT2_T3_T4_T5_mT6_T7_P12ihipStream_tbENKUlT_T0_E_clISt17integral_constantIbLb0EESZ_EEDaSU_SV_EUlSU_E_NS1_11comp_targetILNS1_3genE8ELNS1_11target_archE1030ELNS1_3gpuE2ELNS1_3repE0EEENS1_30default_config_static_selectorELNS0_4arch9wavefront6targetE0EEEvT1_.has_recursion, 0
	.set _ZN7rocprim17ROCPRIM_400000_NS6detail17trampoline_kernelINS0_14default_configENS1_27scan_by_key_config_selectorIssEEZZNS1_16scan_by_key_implILNS1_25lookback_scan_determinismE0ELb0ES3_N6thrust23THRUST_200600_302600_NS6detail15normal_iteratorINS9_10device_ptrIsEEEESE_SE_sNS9_10multipliesIsEENS9_8equal_toIsEEsEE10hipError_tPvRmT2_T3_T4_T5_mT6_T7_P12ihipStream_tbENKUlT_T0_E_clISt17integral_constantIbLb0EESZ_EEDaSU_SV_EUlSU_E_NS1_11comp_targetILNS1_3genE8ELNS1_11target_archE1030ELNS1_3gpuE2ELNS1_3repE0EEENS1_30default_config_static_selectorELNS0_4arch9wavefront6targetE0EEEvT1_.has_indirect_call, 0
	.section	.AMDGPU.csdata,"",@progbits
; Kernel info:
; codeLenInByte = 10340
; TotalNumSgprs: 41
; NumVgprs: 42
; ScratchSize: 0
; MemoryBound: 0
; FloatMode: 240
; IeeeMode: 1
; LDSByteSize: 1536 bytes/workgroup (compile time only)
; SGPRBlocks: 0
; VGPRBlocks: 5
; NumSGPRsForWavesPerEU: 41
; NumVGPRsForWavesPerEU: 42
; Occupancy: 16
; WaveLimiterHint : 1
; COMPUTE_PGM_RSRC2:SCRATCH_EN: 0
; COMPUTE_PGM_RSRC2:USER_SGPR: 6
; COMPUTE_PGM_RSRC2:TRAP_HANDLER: 0
; COMPUTE_PGM_RSRC2:TGID_X_EN: 1
; COMPUTE_PGM_RSRC2:TGID_Y_EN: 0
; COMPUTE_PGM_RSRC2:TGID_Z_EN: 0
; COMPUTE_PGM_RSRC2:TIDIG_COMP_CNT: 0
	.section	.text._ZN7rocprim17ROCPRIM_400000_NS6detail17trampoline_kernelINS0_14default_configENS1_27scan_by_key_config_selectorIssEEZZNS1_16scan_by_key_implILNS1_25lookback_scan_determinismE0ELb0ES3_N6thrust23THRUST_200600_302600_NS6detail15normal_iteratorINS9_10device_ptrIsEEEESE_SE_sNS9_10multipliesIsEENS9_8equal_toIsEEsEE10hipError_tPvRmT2_T3_T4_T5_mT6_T7_P12ihipStream_tbENKUlT_T0_E_clISt17integral_constantIbLb1EESZ_EEDaSU_SV_EUlSU_E_NS1_11comp_targetILNS1_3genE0ELNS1_11target_archE4294967295ELNS1_3gpuE0ELNS1_3repE0EEENS1_30default_config_static_selectorELNS0_4arch9wavefront6targetE0EEEvT1_,"axG",@progbits,_ZN7rocprim17ROCPRIM_400000_NS6detail17trampoline_kernelINS0_14default_configENS1_27scan_by_key_config_selectorIssEEZZNS1_16scan_by_key_implILNS1_25lookback_scan_determinismE0ELb0ES3_N6thrust23THRUST_200600_302600_NS6detail15normal_iteratorINS9_10device_ptrIsEEEESE_SE_sNS9_10multipliesIsEENS9_8equal_toIsEEsEE10hipError_tPvRmT2_T3_T4_T5_mT6_T7_P12ihipStream_tbENKUlT_T0_E_clISt17integral_constantIbLb1EESZ_EEDaSU_SV_EUlSU_E_NS1_11comp_targetILNS1_3genE0ELNS1_11target_archE4294967295ELNS1_3gpuE0ELNS1_3repE0EEENS1_30default_config_static_selectorELNS0_4arch9wavefront6targetE0EEEvT1_,comdat
	.protected	_ZN7rocprim17ROCPRIM_400000_NS6detail17trampoline_kernelINS0_14default_configENS1_27scan_by_key_config_selectorIssEEZZNS1_16scan_by_key_implILNS1_25lookback_scan_determinismE0ELb0ES3_N6thrust23THRUST_200600_302600_NS6detail15normal_iteratorINS9_10device_ptrIsEEEESE_SE_sNS9_10multipliesIsEENS9_8equal_toIsEEsEE10hipError_tPvRmT2_T3_T4_T5_mT6_T7_P12ihipStream_tbENKUlT_T0_E_clISt17integral_constantIbLb1EESZ_EEDaSU_SV_EUlSU_E_NS1_11comp_targetILNS1_3genE0ELNS1_11target_archE4294967295ELNS1_3gpuE0ELNS1_3repE0EEENS1_30default_config_static_selectorELNS0_4arch9wavefront6targetE0EEEvT1_ ; -- Begin function _ZN7rocprim17ROCPRIM_400000_NS6detail17trampoline_kernelINS0_14default_configENS1_27scan_by_key_config_selectorIssEEZZNS1_16scan_by_key_implILNS1_25lookback_scan_determinismE0ELb0ES3_N6thrust23THRUST_200600_302600_NS6detail15normal_iteratorINS9_10device_ptrIsEEEESE_SE_sNS9_10multipliesIsEENS9_8equal_toIsEEsEE10hipError_tPvRmT2_T3_T4_T5_mT6_T7_P12ihipStream_tbENKUlT_T0_E_clISt17integral_constantIbLb1EESZ_EEDaSU_SV_EUlSU_E_NS1_11comp_targetILNS1_3genE0ELNS1_11target_archE4294967295ELNS1_3gpuE0ELNS1_3repE0EEENS1_30default_config_static_selectorELNS0_4arch9wavefront6targetE0EEEvT1_
	.globl	_ZN7rocprim17ROCPRIM_400000_NS6detail17trampoline_kernelINS0_14default_configENS1_27scan_by_key_config_selectorIssEEZZNS1_16scan_by_key_implILNS1_25lookback_scan_determinismE0ELb0ES3_N6thrust23THRUST_200600_302600_NS6detail15normal_iteratorINS9_10device_ptrIsEEEESE_SE_sNS9_10multipliesIsEENS9_8equal_toIsEEsEE10hipError_tPvRmT2_T3_T4_T5_mT6_T7_P12ihipStream_tbENKUlT_T0_E_clISt17integral_constantIbLb1EESZ_EEDaSU_SV_EUlSU_E_NS1_11comp_targetILNS1_3genE0ELNS1_11target_archE4294967295ELNS1_3gpuE0ELNS1_3repE0EEENS1_30default_config_static_selectorELNS0_4arch9wavefront6targetE0EEEvT1_
	.p2align	8
	.type	_ZN7rocprim17ROCPRIM_400000_NS6detail17trampoline_kernelINS0_14default_configENS1_27scan_by_key_config_selectorIssEEZZNS1_16scan_by_key_implILNS1_25lookback_scan_determinismE0ELb0ES3_N6thrust23THRUST_200600_302600_NS6detail15normal_iteratorINS9_10device_ptrIsEEEESE_SE_sNS9_10multipliesIsEENS9_8equal_toIsEEsEE10hipError_tPvRmT2_T3_T4_T5_mT6_T7_P12ihipStream_tbENKUlT_T0_E_clISt17integral_constantIbLb1EESZ_EEDaSU_SV_EUlSU_E_NS1_11comp_targetILNS1_3genE0ELNS1_11target_archE4294967295ELNS1_3gpuE0ELNS1_3repE0EEENS1_30default_config_static_selectorELNS0_4arch9wavefront6targetE0EEEvT1_,@function
_ZN7rocprim17ROCPRIM_400000_NS6detail17trampoline_kernelINS0_14default_configENS1_27scan_by_key_config_selectorIssEEZZNS1_16scan_by_key_implILNS1_25lookback_scan_determinismE0ELb0ES3_N6thrust23THRUST_200600_302600_NS6detail15normal_iteratorINS9_10device_ptrIsEEEESE_SE_sNS9_10multipliesIsEENS9_8equal_toIsEEsEE10hipError_tPvRmT2_T3_T4_T5_mT6_T7_P12ihipStream_tbENKUlT_T0_E_clISt17integral_constantIbLb1EESZ_EEDaSU_SV_EUlSU_E_NS1_11comp_targetILNS1_3genE0ELNS1_11target_archE4294967295ELNS1_3gpuE0ELNS1_3repE0EEENS1_30default_config_static_selectorELNS0_4arch9wavefront6targetE0EEEvT1_: ; @_ZN7rocprim17ROCPRIM_400000_NS6detail17trampoline_kernelINS0_14default_configENS1_27scan_by_key_config_selectorIssEEZZNS1_16scan_by_key_implILNS1_25lookback_scan_determinismE0ELb0ES3_N6thrust23THRUST_200600_302600_NS6detail15normal_iteratorINS9_10device_ptrIsEEEESE_SE_sNS9_10multipliesIsEENS9_8equal_toIsEEsEE10hipError_tPvRmT2_T3_T4_T5_mT6_T7_P12ihipStream_tbENKUlT_T0_E_clISt17integral_constantIbLb1EESZ_EEDaSU_SV_EUlSU_E_NS1_11comp_targetILNS1_3genE0ELNS1_11target_archE4294967295ELNS1_3gpuE0ELNS1_3repE0EEENS1_30default_config_static_selectorELNS0_4arch9wavefront6targetE0EEEvT1_
; %bb.0:
	.section	.rodata,"a",@progbits
	.p2align	6, 0x0
	.amdhsa_kernel _ZN7rocprim17ROCPRIM_400000_NS6detail17trampoline_kernelINS0_14default_configENS1_27scan_by_key_config_selectorIssEEZZNS1_16scan_by_key_implILNS1_25lookback_scan_determinismE0ELb0ES3_N6thrust23THRUST_200600_302600_NS6detail15normal_iteratorINS9_10device_ptrIsEEEESE_SE_sNS9_10multipliesIsEENS9_8equal_toIsEEsEE10hipError_tPvRmT2_T3_T4_T5_mT6_T7_P12ihipStream_tbENKUlT_T0_E_clISt17integral_constantIbLb1EESZ_EEDaSU_SV_EUlSU_E_NS1_11comp_targetILNS1_3genE0ELNS1_11target_archE4294967295ELNS1_3gpuE0ELNS1_3repE0EEENS1_30default_config_static_selectorELNS0_4arch9wavefront6targetE0EEEvT1_
		.amdhsa_group_segment_fixed_size 0
		.amdhsa_private_segment_fixed_size 0
		.amdhsa_kernarg_size 112
		.amdhsa_user_sgpr_count 6
		.amdhsa_user_sgpr_private_segment_buffer 1
		.amdhsa_user_sgpr_dispatch_ptr 0
		.amdhsa_user_sgpr_queue_ptr 0
		.amdhsa_user_sgpr_kernarg_segment_ptr 1
		.amdhsa_user_sgpr_dispatch_id 0
		.amdhsa_user_sgpr_flat_scratch_init 0
		.amdhsa_user_sgpr_private_segment_size 0
		.amdhsa_wavefront_size32 1
		.amdhsa_uses_dynamic_stack 0
		.amdhsa_system_sgpr_private_segment_wavefront_offset 0
		.amdhsa_system_sgpr_workgroup_id_x 1
		.amdhsa_system_sgpr_workgroup_id_y 0
		.amdhsa_system_sgpr_workgroup_id_z 0
		.amdhsa_system_sgpr_workgroup_info 0
		.amdhsa_system_vgpr_workitem_id 0
		.amdhsa_next_free_vgpr 1
		.amdhsa_next_free_sgpr 1
		.amdhsa_reserve_vcc 0
		.amdhsa_reserve_flat_scratch 0
		.amdhsa_float_round_mode_32 0
		.amdhsa_float_round_mode_16_64 0
		.amdhsa_float_denorm_mode_32 3
		.amdhsa_float_denorm_mode_16_64 3
		.amdhsa_dx10_clamp 1
		.amdhsa_ieee_mode 1
		.amdhsa_fp16_overflow 0
		.amdhsa_workgroup_processor_mode 1
		.amdhsa_memory_ordered 1
		.amdhsa_forward_progress 1
		.amdhsa_shared_vgpr_count 0
		.amdhsa_exception_fp_ieee_invalid_op 0
		.amdhsa_exception_fp_denorm_src 0
		.amdhsa_exception_fp_ieee_div_zero 0
		.amdhsa_exception_fp_ieee_overflow 0
		.amdhsa_exception_fp_ieee_underflow 0
		.amdhsa_exception_fp_ieee_inexact 0
		.amdhsa_exception_int_div_zero 0
	.end_amdhsa_kernel
	.section	.text._ZN7rocprim17ROCPRIM_400000_NS6detail17trampoline_kernelINS0_14default_configENS1_27scan_by_key_config_selectorIssEEZZNS1_16scan_by_key_implILNS1_25lookback_scan_determinismE0ELb0ES3_N6thrust23THRUST_200600_302600_NS6detail15normal_iteratorINS9_10device_ptrIsEEEESE_SE_sNS9_10multipliesIsEENS9_8equal_toIsEEsEE10hipError_tPvRmT2_T3_T4_T5_mT6_T7_P12ihipStream_tbENKUlT_T0_E_clISt17integral_constantIbLb1EESZ_EEDaSU_SV_EUlSU_E_NS1_11comp_targetILNS1_3genE0ELNS1_11target_archE4294967295ELNS1_3gpuE0ELNS1_3repE0EEENS1_30default_config_static_selectorELNS0_4arch9wavefront6targetE0EEEvT1_,"axG",@progbits,_ZN7rocprim17ROCPRIM_400000_NS6detail17trampoline_kernelINS0_14default_configENS1_27scan_by_key_config_selectorIssEEZZNS1_16scan_by_key_implILNS1_25lookback_scan_determinismE0ELb0ES3_N6thrust23THRUST_200600_302600_NS6detail15normal_iteratorINS9_10device_ptrIsEEEESE_SE_sNS9_10multipliesIsEENS9_8equal_toIsEEsEE10hipError_tPvRmT2_T3_T4_T5_mT6_T7_P12ihipStream_tbENKUlT_T0_E_clISt17integral_constantIbLb1EESZ_EEDaSU_SV_EUlSU_E_NS1_11comp_targetILNS1_3genE0ELNS1_11target_archE4294967295ELNS1_3gpuE0ELNS1_3repE0EEENS1_30default_config_static_selectorELNS0_4arch9wavefront6targetE0EEEvT1_,comdat
.Lfunc_end290:
	.size	_ZN7rocprim17ROCPRIM_400000_NS6detail17trampoline_kernelINS0_14default_configENS1_27scan_by_key_config_selectorIssEEZZNS1_16scan_by_key_implILNS1_25lookback_scan_determinismE0ELb0ES3_N6thrust23THRUST_200600_302600_NS6detail15normal_iteratorINS9_10device_ptrIsEEEESE_SE_sNS9_10multipliesIsEENS9_8equal_toIsEEsEE10hipError_tPvRmT2_T3_T4_T5_mT6_T7_P12ihipStream_tbENKUlT_T0_E_clISt17integral_constantIbLb1EESZ_EEDaSU_SV_EUlSU_E_NS1_11comp_targetILNS1_3genE0ELNS1_11target_archE4294967295ELNS1_3gpuE0ELNS1_3repE0EEENS1_30default_config_static_selectorELNS0_4arch9wavefront6targetE0EEEvT1_, .Lfunc_end290-_ZN7rocprim17ROCPRIM_400000_NS6detail17trampoline_kernelINS0_14default_configENS1_27scan_by_key_config_selectorIssEEZZNS1_16scan_by_key_implILNS1_25lookback_scan_determinismE0ELb0ES3_N6thrust23THRUST_200600_302600_NS6detail15normal_iteratorINS9_10device_ptrIsEEEESE_SE_sNS9_10multipliesIsEENS9_8equal_toIsEEsEE10hipError_tPvRmT2_T3_T4_T5_mT6_T7_P12ihipStream_tbENKUlT_T0_E_clISt17integral_constantIbLb1EESZ_EEDaSU_SV_EUlSU_E_NS1_11comp_targetILNS1_3genE0ELNS1_11target_archE4294967295ELNS1_3gpuE0ELNS1_3repE0EEENS1_30default_config_static_selectorELNS0_4arch9wavefront6targetE0EEEvT1_
                                        ; -- End function
	.set _ZN7rocprim17ROCPRIM_400000_NS6detail17trampoline_kernelINS0_14default_configENS1_27scan_by_key_config_selectorIssEEZZNS1_16scan_by_key_implILNS1_25lookback_scan_determinismE0ELb0ES3_N6thrust23THRUST_200600_302600_NS6detail15normal_iteratorINS9_10device_ptrIsEEEESE_SE_sNS9_10multipliesIsEENS9_8equal_toIsEEsEE10hipError_tPvRmT2_T3_T4_T5_mT6_T7_P12ihipStream_tbENKUlT_T0_E_clISt17integral_constantIbLb1EESZ_EEDaSU_SV_EUlSU_E_NS1_11comp_targetILNS1_3genE0ELNS1_11target_archE4294967295ELNS1_3gpuE0ELNS1_3repE0EEENS1_30default_config_static_selectorELNS0_4arch9wavefront6targetE0EEEvT1_.num_vgpr, 0
	.set _ZN7rocprim17ROCPRIM_400000_NS6detail17trampoline_kernelINS0_14default_configENS1_27scan_by_key_config_selectorIssEEZZNS1_16scan_by_key_implILNS1_25lookback_scan_determinismE0ELb0ES3_N6thrust23THRUST_200600_302600_NS6detail15normal_iteratorINS9_10device_ptrIsEEEESE_SE_sNS9_10multipliesIsEENS9_8equal_toIsEEsEE10hipError_tPvRmT2_T3_T4_T5_mT6_T7_P12ihipStream_tbENKUlT_T0_E_clISt17integral_constantIbLb1EESZ_EEDaSU_SV_EUlSU_E_NS1_11comp_targetILNS1_3genE0ELNS1_11target_archE4294967295ELNS1_3gpuE0ELNS1_3repE0EEENS1_30default_config_static_selectorELNS0_4arch9wavefront6targetE0EEEvT1_.num_agpr, 0
	.set _ZN7rocprim17ROCPRIM_400000_NS6detail17trampoline_kernelINS0_14default_configENS1_27scan_by_key_config_selectorIssEEZZNS1_16scan_by_key_implILNS1_25lookback_scan_determinismE0ELb0ES3_N6thrust23THRUST_200600_302600_NS6detail15normal_iteratorINS9_10device_ptrIsEEEESE_SE_sNS9_10multipliesIsEENS9_8equal_toIsEEsEE10hipError_tPvRmT2_T3_T4_T5_mT6_T7_P12ihipStream_tbENKUlT_T0_E_clISt17integral_constantIbLb1EESZ_EEDaSU_SV_EUlSU_E_NS1_11comp_targetILNS1_3genE0ELNS1_11target_archE4294967295ELNS1_3gpuE0ELNS1_3repE0EEENS1_30default_config_static_selectorELNS0_4arch9wavefront6targetE0EEEvT1_.numbered_sgpr, 0
	.set _ZN7rocprim17ROCPRIM_400000_NS6detail17trampoline_kernelINS0_14default_configENS1_27scan_by_key_config_selectorIssEEZZNS1_16scan_by_key_implILNS1_25lookback_scan_determinismE0ELb0ES3_N6thrust23THRUST_200600_302600_NS6detail15normal_iteratorINS9_10device_ptrIsEEEESE_SE_sNS9_10multipliesIsEENS9_8equal_toIsEEsEE10hipError_tPvRmT2_T3_T4_T5_mT6_T7_P12ihipStream_tbENKUlT_T0_E_clISt17integral_constantIbLb1EESZ_EEDaSU_SV_EUlSU_E_NS1_11comp_targetILNS1_3genE0ELNS1_11target_archE4294967295ELNS1_3gpuE0ELNS1_3repE0EEENS1_30default_config_static_selectorELNS0_4arch9wavefront6targetE0EEEvT1_.num_named_barrier, 0
	.set _ZN7rocprim17ROCPRIM_400000_NS6detail17trampoline_kernelINS0_14default_configENS1_27scan_by_key_config_selectorIssEEZZNS1_16scan_by_key_implILNS1_25lookback_scan_determinismE0ELb0ES3_N6thrust23THRUST_200600_302600_NS6detail15normal_iteratorINS9_10device_ptrIsEEEESE_SE_sNS9_10multipliesIsEENS9_8equal_toIsEEsEE10hipError_tPvRmT2_T3_T4_T5_mT6_T7_P12ihipStream_tbENKUlT_T0_E_clISt17integral_constantIbLb1EESZ_EEDaSU_SV_EUlSU_E_NS1_11comp_targetILNS1_3genE0ELNS1_11target_archE4294967295ELNS1_3gpuE0ELNS1_3repE0EEENS1_30default_config_static_selectorELNS0_4arch9wavefront6targetE0EEEvT1_.private_seg_size, 0
	.set _ZN7rocprim17ROCPRIM_400000_NS6detail17trampoline_kernelINS0_14default_configENS1_27scan_by_key_config_selectorIssEEZZNS1_16scan_by_key_implILNS1_25lookback_scan_determinismE0ELb0ES3_N6thrust23THRUST_200600_302600_NS6detail15normal_iteratorINS9_10device_ptrIsEEEESE_SE_sNS9_10multipliesIsEENS9_8equal_toIsEEsEE10hipError_tPvRmT2_T3_T4_T5_mT6_T7_P12ihipStream_tbENKUlT_T0_E_clISt17integral_constantIbLb1EESZ_EEDaSU_SV_EUlSU_E_NS1_11comp_targetILNS1_3genE0ELNS1_11target_archE4294967295ELNS1_3gpuE0ELNS1_3repE0EEENS1_30default_config_static_selectorELNS0_4arch9wavefront6targetE0EEEvT1_.uses_vcc, 0
	.set _ZN7rocprim17ROCPRIM_400000_NS6detail17trampoline_kernelINS0_14default_configENS1_27scan_by_key_config_selectorIssEEZZNS1_16scan_by_key_implILNS1_25lookback_scan_determinismE0ELb0ES3_N6thrust23THRUST_200600_302600_NS6detail15normal_iteratorINS9_10device_ptrIsEEEESE_SE_sNS9_10multipliesIsEENS9_8equal_toIsEEsEE10hipError_tPvRmT2_T3_T4_T5_mT6_T7_P12ihipStream_tbENKUlT_T0_E_clISt17integral_constantIbLb1EESZ_EEDaSU_SV_EUlSU_E_NS1_11comp_targetILNS1_3genE0ELNS1_11target_archE4294967295ELNS1_3gpuE0ELNS1_3repE0EEENS1_30default_config_static_selectorELNS0_4arch9wavefront6targetE0EEEvT1_.uses_flat_scratch, 0
	.set _ZN7rocprim17ROCPRIM_400000_NS6detail17trampoline_kernelINS0_14default_configENS1_27scan_by_key_config_selectorIssEEZZNS1_16scan_by_key_implILNS1_25lookback_scan_determinismE0ELb0ES3_N6thrust23THRUST_200600_302600_NS6detail15normal_iteratorINS9_10device_ptrIsEEEESE_SE_sNS9_10multipliesIsEENS9_8equal_toIsEEsEE10hipError_tPvRmT2_T3_T4_T5_mT6_T7_P12ihipStream_tbENKUlT_T0_E_clISt17integral_constantIbLb1EESZ_EEDaSU_SV_EUlSU_E_NS1_11comp_targetILNS1_3genE0ELNS1_11target_archE4294967295ELNS1_3gpuE0ELNS1_3repE0EEENS1_30default_config_static_selectorELNS0_4arch9wavefront6targetE0EEEvT1_.has_dyn_sized_stack, 0
	.set _ZN7rocprim17ROCPRIM_400000_NS6detail17trampoline_kernelINS0_14default_configENS1_27scan_by_key_config_selectorIssEEZZNS1_16scan_by_key_implILNS1_25lookback_scan_determinismE0ELb0ES3_N6thrust23THRUST_200600_302600_NS6detail15normal_iteratorINS9_10device_ptrIsEEEESE_SE_sNS9_10multipliesIsEENS9_8equal_toIsEEsEE10hipError_tPvRmT2_T3_T4_T5_mT6_T7_P12ihipStream_tbENKUlT_T0_E_clISt17integral_constantIbLb1EESZ_EEDaSU_SV_EUlSU_E_NS1_11comp_targetILNS1_3genE0ELNS1_11target_archE4294967295ELNS1_3gpuE0ELNS1_3repE0EEENS1_30default_config_static_selectorELNS0_4arch9wavefront6targetE0EEEvT1_.has_recursion, 0
	.set _ZN7rocprim17ROCPRIM_400000_NS6detail17trampoline_kernelINS0_14default_configENS1_27scan_by_key_config_selectorIssEEZZNS1_16scan_by_key_implILNS1_25lookback_scan_determinismE0ELb0ES3_N6thrust23THRUST_200600_302600_NS6detail15normal_iteratorINS9_10device_ptrIsEEEESE_SE_sNS9_10multipliesIsEENS9_8equal_toIsEEsEE10hipError_tPvRmT2_T3_T4_T5_mT6_T7_P12ihipStream_tbENKUlT_T0_E_clISt17integral_constantIbLb1EESZ_EEDaSU_SV_EUlSU_E_NS1_11comp_targetILNS1_3genE0ELNS1_11target_archE4294967295ELNS1_3gpuE0ELNS1_3repE0EEENS1_30default_config_static_selectorELNS0_4arch9wavefront6targetE0EEEvT1_.has_indirect_call, 0
	.section	.AMDGPU.csdata,"",@progbits
; Kernel info:
; codeLenInByte = 0
; TotalNumSgprs: 0
; NumVgprs: 0
; ScratchSize: 0
; MemoryBound: 0
; FloatMode: 240
; IeeeMode: 1
; LDSByteSize: 0 bytes/workgroup (compile time only)
; SGPRBlocks: 0
; VGPRBlocks: 0
; NumSGPRsForWavesPerEU: 1
; NumVGPRsForWavesPerEU: 1
; Occupancy: 16
; WaveLimiterHint : 0
; COMPUTE_PGM_RSRC2:SCRATCH_EN: 0
; COMPUTE_PGM_RSRC2:USER_SGPR: 6
; COMPUTE_PGM_RSRC2:TRAP_HANDLER: 0
; COMPUTE_PGM_RSRC2:TGID_X_EN: 1
; COMPUTE_PGM_RSRC2:TGID_Y_EN: 0
; COMPUTE_PGM_RSRC2:TGID_Z_EN: 0
; COMPUTE_PGM_RSRC2:TIDIG_COMP_CNT: 0
	.section	.text._ZN7rocprim17ROCPRIM_400000_NS6detail17trampoline_kernelINS0_14default_configENS1_27scan_by_key_config_selectorIssEEZZNS1_16scan_by_key_implILNS1_25lookback_scan_determinismE0ELb0ES3_N6thrust23THRUST_200600_302600_NS6detail15normal_iteratorINS9_10device_ptrIsEEEESE_SE_sNS9_10multipliesIsEENS9_8equal_toIsEEsEE10hipError_tPvRmT2_T3_T4_T5_mT6_T7_P12ihipStream_tbENKUlT_T0_E_clISt17integral_constantIbLb1EESZ_EEDaSU_SV_EUlSU_E_NS1_11comp_targetILNS1_3genE10ELNS1_11target_archE1201ELNS1_3gpuE5ELNS1_3repE0EEENS1_30default_config_static_selectorELNS0_4arch9wavefront6targetE0EEEvT1_,"axG",@progbits,_ZN7rocprim17ROCPRIM_400000_NS6detail17trampoline_kernelINS0_14default_configENS1_27scan_by_key_config_selectorIssEEZZNS1_16scan_by_key_implILNS1_25lookback_scan_determinismE0ELb0ES3_N6thrust23THRUST_200600_302600_NS6detail15normal_iteratorINS9_10device_ptrIsEEEESE_SE_sNS9_10multipliesIsEENS9_8equal_toIsEEsEE10hipError_tPvRmT2_T3_T4_T5_mT6_T7_P12ihipStream_tbENKUlT_T0_E_clISt17integral_constantIbLb1EESZ_EEDaSU_SV_EUlSU_E_NS1_11comp_targetILNS1_3genE10ELNS1_11target_archE1201ELNS1_3gpuE5ELNS1_3repE0EEENS1_30default_config_static_selectorELNS0_4arch9wavefront6targetE0EEEvT1_,comdat
	.protected	_ZN7rocprim17ROCPRIM_400000_NS6detail17trampoline_kernelINS0_14default_configENS1_27scan_by_key_config_selectorIssEEZZNS1_16scan_by_key_implILNS1_25lookback_scan_determinismE0ELb0ES3_N6thrust23THRUST_200600_302600_NS6detail15normal_iteratorINS9_10device_ptrIsEEEESE_SE_sNS9_10multipliesIsEENS9_8equal_toIsEEsEE10hipError_tPvRmT2_T3_T4_T5_mT6_T7_P12ihipStream_tbENKUlT_T0_E_clISt17integral_constantIbLb1EESZ_EEDaSU_SV_EUlSU_E_NS1_11comp_targetILNS1_3genE10ELNS1_11target_archE1201ELNS1_3gpuE5ELNS1_3repE0EEENS1_30default_config_static_selectorELNS0_4arch9wavefront6targetE0EEEvT1_ ; -- Begin function _ZN7rocprim17ROCPRIM_400000_NS6detail17trampoline_kernelINS0_14default_configENS1_27scan_by_key_config_selectorIssEEZZNS1_16scan_by_key_implILNS1_25lookback_scan_determinismE0ELb0ES3_N6thrust23THRUST_200600_302600_NS6detail15normal_iteratorINS9_10device_ptrIsEEEESE_SE_sNS9_10multipliesIsEENS9_8equal_toIsEEsEE10hipError_tPvRmT2_T3_T4_T5_mT6_T7_P12ihipStream_tbENKUlT_T0_E_clISt17integral_constantIbLb1EESZ_EEDaSU_SV_EUlSU_E_NS1_11comp_targetILNS1_3genE10ELNS1_11target_archE1201ELNS1_3gpuE5ELNS1_3repE0EEENS1_30default_config_static_selectorELNS0_4arch9wavefront6targetE0EEEvT1_
	.globl	_ZN7rocprim17ROCPRIM_400000_NS6detail17trampoline_kernelINS0_14default_configENS1_27scan_by_key_config_selectorIssEEZZNS1_16scan_by_key_implILNS1_25lookback_scan_determinismE0ELb0ES3_N6thrust23THRUST_200600_302600_NS6detail15normal_iteratorINS9_10device_ptrIsEEEESE_SE_sNS9_10multipliesIsEENS9_8equal_toIsEEsEE10hipError_tPvRmT2_T3_T4_T5_mT6_T7_P12ihipStream_tbENKUlT_T0_E_clISt17integral_constantIbLb1EESZ_EEDaSU_SV_EUlSU_E_NS1_11comp_targetILNS1_3genE10ELNS1_11target_archE1201ELNS1_3gpuE5ELNS1_3repE0EEENS1_30default_config_static_selectorELNS0_4arch9wavefront6targetE0EEEvT1_
	.p2align	8
	.type	_ZN7rocprim17ROCPRIM_400000_NS6detail17trampoline_kernelINS0_14default_configENS1_27scan_by_key_config_selectorIssEEZZNS1_16scan_by_key_implILNS1_25lookback_scan_determinismE0ELb0ES3_N6thrust23THRUST_200600_302600_NS6detail15normal_iteratorINS9_10device_ptrIsEEEESE_SE_sNS9_10multipliesIsEENS9_8equal_toIsEEsEE10hipError_tPvRmT2_T3_T4_T5_mT6_T7_P12ihipStream_tbENKUlT_T0_E_clISt17integral_constantIbLb1EESZ_EEDaSU_SV_EUlSU_E_NS1_11comp_targetILNS1_3genE10ELNS1_11target_archE1201ELNS1_3gpuE5ELNS1_3repE0EEENS1_30default_config_static_selectorELNS0_4arch9wavefront6targetE0EEEvT1_,@function
_ZN7rocprim17ROCPRIM_400000_NS6detail17trampoline_kernelINS0_14default_configENS1_27scan_by_key_config_selectorIssEEZZNS1_16scan_by_key_implILNS1_25lookback_scan_determinismE0ELb0ES3_N6thrust23THRUST_200600_302600_NS6detail15normal_iteratorINS9_10device_ptrIsEEEESE_SE_sNS9_10multipliesIsEENS9_8equal_toIsEEsEE10hipError_tPvRmT2_T3_T4_T5_mT6_T7_P12ihipStream_tbENKUlT_T0_E_clISt17integral_constantIbLb1EESZ_EEDaSU_SV_EUlSU_E_NS1_11comp_targetILNS1_3genE10ELNS1_11target_archE1201ELNS1_3gpuE5ELNS1_3repE0EEENS1_30default_config_static_selectorELNS0_4arch9wavefront6targetE0EEEvT1_: ; @_ZN7rocprim17ROCPRIM_400000_NS6detail17trampoline_kernelINS0_14default_configENS1_27scan_by_key_config_selectorIssEEZZNS1_16scan_by_key_implILNS1_25lookback_scan_determinismE0ELb0ES3_N6thrust23THRUST_200600_302600_NS6detail15normal_iteratorINS9_10device_ptrIsEEEESE_SE_sNS9_10multipliesIsEENS9_8equal_toIsEEsEE10hipError_tPvRmT2_T3_T4_T5_mT6_T7_P12ihipStream_tbENKUlT_T0_E_clISt17integral_constantIbLb1EESZ_EEDaSU_SV_EUlSU_E_NS1_11comp_targetILNS1_3genE10ELNS1_11target_archE1201ELNS1_3gpuE5ELNS1_3repE0EEENS1_30default_config_static_selectorELNS0_4arch9wavefront6targetE0EEEvT1_
; %bb.0:
	.section	.rodata,"a",@progbits
	.p2align	6, 0x0
	.amdhsa_kernel _ZN7rocprim17ROCPRIM_400000_NS6detail17trampoline_kernelINS0_14default_configENS1_27scan_by_key_config_selectorIssEEZZNS1_16scan_by_key_implILNS1_25lookback_scan_determinismE0ELb0ES3_N6thrust23THRUST_200600_302600_NS6detail15normal_iteratorINS9_10device_ptrIsEEEESE_SE_sNS9_10multipliesIsEENS9_8equal_toIsEEsEE10hipError_tPvRmT2_T3_T4_T5_mT6_T7_P12ihipStream_tbENKUlT_T0_E_clISt17integral_constantIbLb1EESZ_EEDaSU_SV_EUlSU_E_NS1_11comp_targetILNS1_3genE10ELNS1_11target_archE1201ELNS1_3gpuE5ELNS1_3repE0EEENS1_30default_config_static_selectorELNS0_4arch9wavefront6targetE0EEEvT1_
		.amdhsa_group_segment_fixed_size 0
		.amdhsa_private_segment_fixed_size 0
		.amdhsa_kernarg_size 112
		.amdhsa_user_sgpr_count 6
		.amdhsa_user_sgpr_private_segment_buffer 1
		.amdhsa_user_sgpr_dispatch_ptr 0
		.amdhsa_user_sgpr_queue_ptr 0
		.amdhsa_user_sgpr_kernarg_segment_ptr 1
		.amdhsa_user_sgpr_dispatch_id 0
		.amdhsa_user_sgpr_flat_scratch_init 0
		.amdhsa_user_sgpr_private_segment_size 0
		.amdhsa_wavefront_size32 1
		.amdhsa_uses_dynamic_stack 0
		.amdhsa_system_sgpr_private_segment_wavefront_offset 0
		.amdhsa_system_sgpr_workgroup_id_x 1
		.amdhsa_system_sgpr_workgroup_id_y 0
		.amdhsa_system_sgpr_workgroup_id_z 0
		.amdhsa_system_sgpr_workgroup_info 0
		.amdhsa_system_vgpr_workitem_id 0
		.amdhsa_next_free_vgpr 1
		.amdhsa_next_free_sgpr 1
		.amdhsa_reserve_vcc 0
		.amdhsa_reserve_flat_scratch 0
		.amdhsa_float_round_mode_32 0
		.amdhsa_float_round_mode_16_64 0
		.amdhsa_float_denorm_mode_32 3
		.amdhsa_float_denorm_mode_16_64 3
		.amdhsa_dx10_clamp 1
		.amdhsa_ieee_mode 1
		.amdhsa_fp16_overflow 0
		.amdhsa_workgroup_processor_mode 1
		.amdhsa_memory_ordered 1
		.amdhsa_forward_progress 1
		.amdhsa_shared_vgpr_count 0
		.amdhsa_exception_fp_ieee_invalid_op 0
		.amdhsa_exception_fp_denorm_src 0
		.amdhsa_exception_fp_ieee_div_zero 0
		.amdhsa_exception_fp_ieee_overflow 0
		.amdhsa_exception_fp_ieee_underflow 0
		.amdhsa_exception_fp_ieee_inexact 0
		.amdhsa_exception_int_div_zero 0
	.end_amdhsa_kernel
	.section	.text._ZN7rocprim17ROCPRIM_400000_NS6detail17trampoline_kernelINS0_14default_configENS1_27scan_by_key_config_selectorIssEEZZNS1_16scan_by_key_implILNS1_25lookback_scan_determinismE0ELb0ES3_N6thrust23THRUST_200600_302600_NS6detail15normal_iteratorINS9_10device_ptrIsEEEESE_SE_sNS9_10multipliesIsEENS9_8equal_toIsEEsEE10hipError_tPvRmT2_T3_T4_T5_mT6_T7_P12ihipStream_tbENKUlT_T0_E_clISt17integral_constantIbLb1EESZ_EEDaSU_SV_EUlSU_E_NS1_11comp_targetILNS1_3genE10ELNS1_11target_archE1201ELNS1_3gpuE5ELNS1_3repE0EEENS1_30default_config_static_selectorELNS0_4arch9wavefront6targetE0EEEvT1_,"axG",@progbits,_ZN7rocprim17ROCPRIM_400000_NS6detail17trampoline_kernelINS0_14default_configENS1_27scan_by_key_config_selectorIssEEZZNS1_16scan_by_key_implILNS1_25lookback_scan_determinismE0ELb0ES3_N6thrust23THRUST_200600_302600_NS6detail15normal_iteratorINS9_10device_ptrIsEEEESE_SE_sNS9_10multipliesIsEENS9_8equal_toIsEEsEE10hipError_tPvRmT2_T3_T4_T5_mT6_T7_P12ihipStream_tbENKUlT_T0_E_clISt17integral_constantIbLb1EESZ_EEDaSU_SV_EUlSU_E_NS1_11comp_targetILNS1_3genE10ELNS1_11target_archE1201ELNS1_3gpuE5ELNS1_3repE0EEENS1_30default_config_static_selectorELNS0_4arch9wavefront6targetE0EEEvT1_,comdat
.Lfunc_end291:
	.size	_ZN7rocprim17ROCPRIM_400000_NS6detail17trampoline_kernelINS0_14default_configENS1_27scan_by_key_config_selectorIssEEZZNS1_16scan_by_key_implILNS1_25lookback_scan_determinismE0ELb0ES3_N6thrust23THRUST_200600_302600_NS6detail15normal_iteratorINS9_10device_ptrIsEEEESE_SE_sNS9_10multipliesIsEENS9_8equal_toIsEEsEE10hipError_tPvRmT2_T3_T4_T5_mT6_T7_P12ihipStream_tbENKUlT_T0_E_clISt17integral_constantIbLb1EESZ_EEDaSU_SV_EUlSU_E_NS1_11comp_targetILNS1_3genE10ELNS1_11target_archE1201ELNS1_3gpuE5ELNS1_3repE0EEENS1_30default_config_static_selectorELNS0_4arch9wavefront6targetE0EEEvT1_, .Lfunc_end291-_ZN7rocprim17ROCPRIM_400000_NS6detail17trampoline_kernelINS0_14default_configENS1_27scan_by_key_config_selectorIssEEZZNS1_16scan_by_key_implILNS1_25lookback_scan_determinismE0ELb0ES3_N6thrust23THRUST_200600_302600_NS6detail15normal_iteratorINS9_10device_ptrIsEEEESE_SE_sNS9_10multipliesIsEENS9_8equal_toIsEEsEE10hipError_tPvRmT2_T3_T4_T5_mT6_T7_P12ihipStream_tbENKUlT_T0_E_clISt17integral_constantIbLb1EESZ_EEDaSU_SV_EUlSU_E_NS1_11comp_targetILNS1_3genE10ELNS1_11target_archE1201ELNS1_3gpuE5ELNS1_3repE0EEENS1_30default_config_static_selectorELNS0_4arch9wavefront6targetE0EEEvT1_
                                        ; -- End function
	.set _ZN7rocprim17ROCPRIM_400000_NS6detail17trampoline_kernelINS0_14default_configENS1_27scan_by_key_config_selectorIssEEZZNS1_16scan_by_key_implILNS1_25lookback_scan_determinismE0ELb0ES3_N6thrust23THRUST_200600_302600_NS6detail15normal_iteratorINS9_10device_ptrIsEEEESE_SE_sNS9_10multipliesIsEENS9_8equal_toIsEEsEE10hipError_tPvRmT2_T3_T4_T5_mT6_T7_P12ihipStream_tbENKUlT_T0_E_clISt17integral_constantIbLb1EESZ_EEDaSU_SV_EUlSU_E_NS1_11comp_targetILNS1_3genE10ELNS1_11target_archE1201ELNS1_3gpuE5ELNS1_3repE0EEENS1_30default_config_static_selectorELNS0_4arch9wavefront6targetE0EEEvT1_.num_vgpr, 0
	.set _ZN7rocprim17ROCPRIM_400000_NS6detail17trampoline_kernelINS0_14default_configENS1_27scan_by_key_config_selectorIssEEZZNS1_16scan_by_key_implILNS1_25lookback_scan_determinismE0ELb0ES3_N6thrust23THRUST_200600_302600_NS6detail15normal_iteratorINS9_10device_ptrIsEEEESE_SE_sNS9_10multipliesIsEENS9_8equal_toIsEEsEE10hipError_tPvRmT2_T3_T4_T5_mT6_T7_P12ihipStream_tbENKUlT_T0_E_clISt17integral_constantIbLb1EESZ_EEDaSU_SV_EUlSU_E_NS1_11comp_targetILNS1_3genE10ELNS1_11target_archE1201ELNS1_3gpuE5ELNS1_3repE0EEENS1_30default_config_static_selectorELNS0_4arch9wavefront6targetE0EEEvT1_.num_agpr, 0
	.set _ZN7rocprim17ROCPRIM_400000_NS6detail17trampoline_kernelINS0_14default_configENS1_27scan_by_key_config_selectorIssEEZZNS1_16scan_by_key_implILNS1_25lookback_scan_determinismE0ELb0ES3_N6thrust23THRUST_200600_302600_NS6detail15normal_iteratorINS9_10device_ptrIsEEEESE_SE_sNS9_10multipliesIsEENS9_8equal_toIsEEsEE10hipError_tPvRmT2_T3_T4_T5_mT6_T7_P12ihipStream_tbENKUlT_T0_E_clISt17integral_constantIbLb1EESZ_EEDaSU_SV_EUlSU_E_NS1_11comp_targetILNS1_3genE10ELNS1_11target_archE1201ELNS1_3gpuE5ELNS1_3repE0EEENS1_30default_config_static_selectorELNS0_4arch9wavefront6targetE0EEEvT1_.numbered_sgpr, 0
	.set _ZN7rocprim17ROCPRIM_400000_NS6detail17trampoline_kernelINS0_14default_configENS1_27scan_by_key_config_selectorIssEEZZNS1_16scan_by_key_implILNS1_25lookback_scan_determinismE0ELb0ES3_N6thrust23THRUST_200600_302600_NS6detail15normal_iteratorINS9_10device_ptrIsEEEESE_SE_sNS9_10multipliesIsEENS9_8equal_toIsEEsEE10hipError_tPvRmT2_T3_T4_T5_mT6_T7_P12ihipStream_tbENKUlT_T0_E_clISt17integral_constantIbLb1EESZ_EEDaSU_SV_EUlSU_E_NS1_11comp_targetILNS1_3genE10ELNS1_11target_archE1201ELNS1_3gpuE5ELNS1_3repE0EEENS1_30default_config_static_selectorELNS0_4arch9wavefront6targetE0EEEvT1_.num_named_barrier, 0
	.set _ZN7rocprim17ROCPRIM_400000_NS6detail17trampoline_kernelINS0_14default_configENS1_27scan_by_key_config_selectorIssEEZZNS1_16scan_by_key_implILNS1_25lookback_scan_determinismE0ELb0ES3_N6thrust23THRUST_200600_302600_NS6detail15normal_iteratorINS9_10device_ptrIsEEEESE_SE_sNS9_10multipliesIsEENS9_8equal_toIsEEsEE10hipError_tPvRmT2_T3_T4_T5_mT6_T7_P12ihipStream_tbENKUlT_T0_E_clISt17integral_constantIbLb1EESZ_EEDaSU_SV_EUlSU_E_NS1_11comp_targetILNS1_3genE10ELNS1_11target_archE1201ELNS1_3gpuE5ELNS1_3repE0EEENS1_30default_config_static_selectorELNS0_4arch9wavefront6targetE0EEEvT1_.private_seg_size, 0
	.set _ZN7rocprim17ROCPRIM_400000_NS6detail17trampoline_kernelINS0_14default_configENS1_27scan_by_key_config_selectorIssEEZZNS1_16scan_by_key_implILNS1_25lookback_scan_determinismE0ELb0ES3_N6thrust23THRUST_200600_302600_NS6detail15normal_iteratorINS9_10device_ptrIsEEEESE_SE_sNS9_10multipliesIsEENS9_8equal_toIsEEsEE10hipError_tPvRmT2_T3_T4_T5_mT6_T7_P12ihipStream_tbENKUlT_T0_E_clISt17integral_constantIbLb1EESZ_EEDaSU_SV_EUlSU_E_NS1_11comp_targetILNS1_3genE10ELNS1_11target_archE1201ELNS1_3gpuE5ELNS1_3repE0EEENS1_30default_config_static_selectorELNS0_4arch9wavefront6targetE0EEEvT1_.uses_vcc, 0
	.set _ZN7rocprim17ROCPRIM_400000_NS6detail17trampoline_kernelINS0_14default_configENS1_27scan_by_key_config_selectorIssEEZZNS1_16scan_by_key_implILNS1_25lookback_scan_determinismE0ELb0ES3_N6thrust23THRUST_200600_302600_NS6detail15normal_iteratorINS9_10device_ptrIsEEEESE_SE_sNS9_10multipliesIsEENS9_8equal_toIsEEsEE10hipError_tPvRmT2_T3_T4_T5_mT6_T7_P12ihipStream_tbENKUlT_T0_E_clISt17integral_constantIbLb1EESZ_EEDaSU_SV_EUlSU_E_NS1_11comp_targetILNS1_3genE10ELNS1_11target_archE1201ELNS1_3gpuE5ELNS1_3repE0EEENS1_30default_config_static_selectorELNS0_4arch9wavefront6targetE0EEEvT1_.uses_flat_scratch, 0
	.set _ZN7rocprim17ROCPRIM_400000_NS6detail17trampoline_kernelINS0_14default_configENS1_27scan_by_key_config_selectorIssEEZZNS1_16scan_by_key_implILNS1_25lookback_scan_determinismE0ELb0ES3_N6thrust23THRUST_200600_302600_NS6detail15normal_iteratorINS9_10device_ptrIsEEEESE_SE_sNS9_10multipliesIsEENS9_8equal_toIsEEsEE10hipError_tPvRmT2_T3_T4_T5_mT6_T7_P12ihipStream_tbENKUlT_T0_E_clISt17integral_constantIbLb1EESZ_EEDaSU_SV_EUlSU_E_NS1_11comp_targetILNS1_3genE10ELNS1_11target_archE1201ELNS1_3gpuE5ELNS1_3repE0EEENS1_30default_config_static_selectorELNS0_4arch9wavefront6targetE0EEEvT1_.has_dyn_sized_stack, 0
	.set _ZN7rocprim17ROCPRIM_400000_NS6detail17trampoline_kernelINS0_14default_configENS1_27scan_by_key_config_selectorIssEEZZNS1_16scan_by_key_implILNS1_25lookback_scan_determinismE0ELb0ES3_N6thrust23THRUST_200600_302600_NS6detail15normal_iteratorINS9_10device_ptrIsEEEESE_SE_sNS9_10multipliesIsEENS9_8equal_toIsEEsEE10hipError_tPvRmT2_T3_T4_T5_mT6_T7_P12ihipStream_tbENKUlT_T0_E_clISt17integral_constantIbLb1EESZ_EEDaSU_SV_EUlSU_E_NS1_11comp_targetILNS1_3genE10ELNS1_11target_archE1201ELNS1_3gpuE5ELNS1_3repE0EEENS1_30default_config_static_selectorELNS0_4arch9wavefront6targetE0EEEvT1_.has_recursion, 0
	.set _ZN7rocprim17ROCPRIM_400000_NS6detail17trampoline_kernelINS0_14default_configENS1_27scan_by_key_config_selectorIssEEZZNS1_16scan_by_key_implILNS1_25lookback_scan_determinismE0ELb0ES3_N6thrust23THRUST_200600_302600_NS6detail15normal_iteratorINS9_10device_ptrIsEEEESE_SE_sNS9_10multipliesIsEENS9_8equal_toIsEEsEE10hipError_tPvRmT2_T3_T4_T5_mT6_T7_P12ihipStream_tbENKUlT_T0_E_clISt17integral_constantIbLb1EESZ_EEDaSU_SV_EUlSU_E_NS1_11comp_targetILNS1_3genE10ELNS1_11target_archE1201ELNS1_3gpuE5ELNS1_3repE0EEENS1_30default_config_static_selectorELNS0_4arch9wavefront6targetE0EEEvT1_.has_indirect_call, 0
	.section	.AMDGPU.csdata,"",@progbits
; Kernel info:
; codeLenInByte = 0
; TotalNumSgprs: 0
; NumVgprs: 0
; ScratchSize: 0
; MemoryBound: 0
; FloatMode: 240
; IeeeMode: 1
; LDSByteSize: 0 bytes/workgroup (compile time only)
; SGPRBlocks: 0
; VGPRBlocks: 0
; NumSGPRsForWavesPerEU: 1
; NumVGPRsForWavesPerEU: 1
; Occupancy: 16
; WaveLimiterHint : 0
; COMPUTE_PGM_RSRC2:SCRATCH_EN: 0
; COMPUTE_PGM_RSRC2:USER_SGPR: 6
; COMPUTE_PGM_RSRC2:TRAP_HANDLER: 0
; COMPUTE_PGM_RSRC2:TGID_X_EN: 1
; COMPUTE_PGM_RSRC2:TGID_Y_EN: 0
; COMPUTE_PGM_RSRC2:TGID_Z_EN: 0
; COMPUTE_PGM_RSRC2:TIDIG_COMP_CNT: 0
	.section	.text._ZN7rocprim17ROCPRIM_400000_NS6detail17trampoline_kernelINS0_14default_configENS1_27scan_by_key_config_selectorIssEEZZNS1_16scan_by_key_implILNS1_25lookback_scan_determinismE0ELb0ES3_N6thrust23THRUST_200600_302600_NS6detail15normal_iteratorINS9_10device_ptrIsEEEESE_SE_sNS9_10multipliesIsEENS9_8equal_toIsEEsEE10hipError_tPvRmT2_T3_T4_T5_mT6_T7_P12ihipStream_tbENKUlT_T0_E_clISt17integral_constantIbLb1EESZ_EEDaSU_SV_EUlSU_E_NS1_11comp_targetILNS1_3genE5ELNS1_11target_archE942ELNS1_3gpuE9ELNS1_3repE0EEENS1_30default_config_static_selectorELNS0_4arch9wavefront6targetE0EEEvT1_,"axG",@progbits,_ZN7rocprim17ROCPRIM_400000_NS6detail17trampoline_kernelINS0_14default_configENS1_27scan_by_key_config_selectorIssEEZZNS1_16scan_by_key_implILNS1_25lookback_scan_determinismE0ELb0ES3_N6thrust23THRUST_200600_302600_NS6detail15normal_iteratorINS9_10device_ptrIsEEEESE_SE_sNS9_10multipliesIsEENS9_8equal_toIsEEsEE10hipError_tPvRmT2_T3_T4_T5_mT6_T7_P12ihipStream_tbENKUlT_T0_E_clISt17integral_constantIbLb1EESZ_EEDaSU_SV_EUlSU_E_NS1_11comp_targetILNS1_3genE5ELNS1_11target_archE942ELNS1_3gpuE9ELNS1_3repE0EEENS1_30default_config_static_selectorELNS0_4arch9wavefront6targetE0EEEvT1_,comdat
	.protected	_ZN7rocprim17ROCPRIM_400000_NS6detail17trampoline_kernelINS0_14default_configENS1_27scan_by_key_config_selectorIssEEZZNS1_16scan_by_key_implILNS1_25lookback_scan_determinismE0ELb0ES3_N6thrust23THRUST_200600_302600_NS6detail15normal_iteratorINS9_10device_ptrIsEEEESE_SE_sNS9_10multipliesIsEENS9_8equal_toIsEEsEE10hipError_tPvRmT2_T3_T4_T5_mT6_T7_P12ihipStream_tbENKUlT_T0_E_clISt17integral_constantIbLb1EESZ_EEDaSU_SV_EUlSU_E_NS1_11comp_targetILNS1_3genE5ELNS1_11target_archE942ELNS1_3gpuE9ELNS1_3repE0EEENS1_30default_config_static_selectorELNS0_4arch9wavefront6targetE0EEEvT1_ ; -- Begin function _ZN7rocprim17ROCPRIM_400000_NS6detail17trampoline_kernelINS0_14default_configENS1_27scan_by_key_config_selectorIssEEZZNS1_16scan_by_key_implILNS1_25lookback_scan_determinismE0ELb0ES3_N6thrust23THRUST_200600_302600_NS6detail15normal_iteratorINS9_10device_ptrIsEEEESE_SE_sNS9_10multipliesIsEENS9_8equal_toIsEEsEE10hipError_tPvRmT2_T3_T4_T5_mT6_T7_P12ihipStream_tbENKUlT_T0_E_clISt17integral_constantIbLb1EESZ_EEDaSU_SV_EUlSU_E_NS1_11comp_targetILNS1_3genE5ELNS1_11target_archE942ELNS1_3gpuE9ELNS1_3repE0EEENS1_30default_config_static_selectorELNS0_4arch9wavefront6targetE0EEEvT1_
	.globl	_ZN7rocprim17ROCPRIM_400000_NS6detail17trampoline_kernelINS0_14default_configENS1_27scan_by_key_config_selectorIssEEZZNS1_16scan_by_key_implILNS1_25lookback_scan_determinismE0ELb0ES3_N6thrust23THRUST_200600_302600_NS6detail15normal_iteratorINS9_10device_ptrIsEEEESE_SE_sNS9_10multipliesIsEENS9_8equal_toIsEEsEE10hipError_tPvRmT2_T3_T4_T5_mT6_T7_P12ihipStream_tbENKUlT_T0_E_clISt17integral_constantIbLb1EESZ_EEDaSU_SV_EUlSU_E_NS1_11comp_targetILNS1_3genE5ELNS1_11target_archE942ELNS1_3gpuE9ELNS1_3repE0EEENS1_30default_config_static_selectorELNS0_4arch9wavefront6targetE0EEEvT1_
	.p2align	8
	.type	_ZN7rocprim17ROCPRIM_400000_NS6detail17trampoline_kernelINS0_14default_configENS1_27scan_by_key_config_selectorIssEEZZNS1_16scan_by_key_implILNS1_25lookback_scan_determinismE0ELb0ES3_N6thrust23THRUST_200600_302600_NS6detail15normal_iteratorINS9_10device_ptrIsEEEESE_SE_sNS9_10multipliesIsEENS9_8equal_toIsEEsEE10hipError_tPvRmT2_T3_T4_T5_mT6_T7_P12ihipStream_tbENKUlT_T0_E_clISt17integral_constantIbLb1EESZ_EEDaSU_SV_EUlSU_E_NS1_11comp_targetILNS1_3genE5ELNS1_11target_archE942ELNS1_3gpuE9ELNS1_3repE0EEENS1_30default_config_static_selectorELNS0_4arch9wavefront6targetE0EEEvT1_,@function
_ZN7rocprim17ROCPRIM_400000_NS6detail17trampoline_kernelINS0_14default_configENS1_27scan_by_key_config_selectorIssEEZZNS1_16scan_by_key_implILNS1_25lookback_scan_determinismE0ELb0ES3_N6thrust23THRUST_200600_302600_NS6detail15normal_iteratorINS9_10device_ptrIsEEEESE_SE_sNS9_10multipliesIsEENS9_8equal_toIsEEsEE10hipError_tPvRmT2_T3_T4_T5_mT6_T7_P12ihipStream_tbENKUlT_T0_E_clISt17integral_constantIbLb1EESZ_EEDaSU_SV_EUlSU_E_NS1_11comp_targetILNS1_3genE5ELNS1_11target_archE942ELNS1_3gpuE9ELNS1_3repE0EEENS1_30default_config_static_selectorELNS0_4arch9wavefront6targetE0EEEvT1_: ; @_ZN7rocprim17ROCPRIM_400000_NS6detail17trampoline_kernelINS0_14default_configENS1_27scan_by_key_config_selectorIssEEZZNS1_16scan_by_key_implILNS1_25lookback_scan_determinismE0ELb0ES3_N6thrust23THRUST_200600_302600_NS6detail15normal_iteratorINS9_10device_ptrIsEEEESE_SE_sNS9_10multipliesIsEENS9_8equal_toIsEEsEE10hipError_tPvRmT2_T3_T4_T5_mT6_T7_P12ihipStream_tbENKUlT_T0_E_clISt17integral_constantIbLb1EESZ_EEDaSU_SV_EUlSU_E_NS1_11comp_targetILNS1_3genE5ELNS1_11target_archE942ELNS1_3gpuE9ELNS1_3repE0EEENS1_30default_config_static_selectorELNS0_4arch9wavefront6targetE0EEEvT1_
; %bb.0:
	.section	.rodata,"a",@progbits
	.p2align	6, 0x0
	.amdhsa_kernel _ZN7rocprim17ROCPRIM_400000_NS6detail17trampoline_kernelINS0_14default_configENS1_27scan_by_key_config_selectorIssEEZZNS1_16scan_by_key_implILNS1_25lookback_scan_determinismE0ELb0ES3_N6thrust23THRUST_200600_302600_NS6detail15normal_iteratorINS9_10device_ptrIsEEEESE_SE_sNS9_10multipliesIsEENS9_8equal_toIsEEsEE10hipError_tPvRmT2_T3_T4_T5_mT6_T7_P12ihipStream_tbENKUlT_T0_E_clISt17integral_constantIbLb1EESZ_EEDaSU_SV_EUlSU_E_NS1_11comp_targetILNS1_3genE5ELNS1_11target_archE942ELNS1_3gpuE9ELNS1_3repE0EEENS1_30default_config_static_selectorELNS0_4arch9wavefront6targetE0EEEvT1_
		.amdhsa_group_segment_fixed_size 0
		.amdhsa_private_segment_fixed_size 0
		.amdhsa_kernarg_size 112
		.amdhsa_user_sgpr_count 6
		.amdhsa_user_sgpr_private_segment_buffer 1
		.amdhsa_user_sgpr_dispatch_ptr 0
		.amdhsa_user_sgpr_queue_ptr 0
		.amdhsa_user_sgpr_kernarg_segment_ptr 1
		.amdhsa_user_sgpr_dispatch_id 0
		.amdhsa_user_sgpr_flat_scratch_init 0
		.amdhsa_user_sgpr_private_segment_size 0
		.amdhsa_wavefront_size32 1
		.amdhsa_uses_dynamic_stack 0
		.amdhsa_system_sgpr_private_segment_wavefront_offset 0
		.amdhsa_system_sgpr_workgroup_id_x 1
		.amdhsa_system_sgpr_workgroup_id_y 0
		.amdhsa_system_sgpr_workgroup_id_z 0
		.amdhsa_system_sgpr_workgroup_info 0
		.amdhsa_system_vgpr_workitem_id 0
		.amdhsa_next_free_vgpr 1
		.amdhsa_next_free_sgpr 1
		.amdhsa_reserve_vcc 0
		.amdhsa_reserve_flat_scratch 0
		.amdhsa_float_round_mode_32 0
		.amdhsa_float_round_mode_16_64 0
		.amdhsa_float_denorm_mode_32 3
		.amdhsa_float_denorm_mode_16_64 3
		.amdhsa_dx10_clamp 1
		.amdhsa_ieee_mode 1
		.amdhsa_fp16_overflow 0
		.amdhsa_workgroup_processor_mode 1
		.amdhsa_memory_ordered 1
		.amdhsa_forward_progress 1
		.amdhsa_shared_vgpr_count 0
		.amdhsa_exception_fp_ieee_invalid_op 0
		.amdhsa_exception_fp_denorm_src 0
		.amdhsa_exception_fp_ieee_div_zero 0
		.amdhsa_exception_fp_ieee_overflow 0
		.amdhsa_exception_fp_ieee_underflow 0
		.amdhsa_exception_fp_ieee_inexact 0
		.amdhsa_exception_int_div_zero 0
	.end_amdhsa_kernel
	.section	.text._ZN7rocprim17ROCPRIM_400000_NS6detail17trampoline_kernelINS0_14default_configENS1_27scan_by_key_config_selectorIssEEZZNS1_16scan_by_key_implILNS1_25lookback_scan_determinismE0ELb0ES3_N6thrust23THRUST_200600_302600_NS6detail15normal_iteratorINS9_10device_ptrIsEEEESE_SE_sNS9_10multipliesIsEENS9_8equal_toIsEEsEE10hipError_tPvRmT2_T3_T4_T5_mT6_T7_P12ihipStream_tbENKUlT_T0_E_clISt17integral_constantIbLb1EESZ_EEDaSU_SV_EUlSU_E_NS1_11comp_targetILNS1_3genE5ELNS1_11target_archE942ELNS1_3gpuE9ELNS1_3repE0EEENS1_30default_config_static_selectorELNS0_4arch9wavefront6targetE0EEEvT1_,"axG",@progbits,_ZN7rocprim17ROCPRIM_400000_NS6detail17trampoline_kernelINS0_14default_configENS1_27scan_by_key_config_selectorIssEEZZNS1_16scan_by_key_implILNS1_25lookback_scan_determinismE0ELb0ES3_N6thrust23THRUST_200600_302600_NS6detail15normal_iteratorINS9_10device_ptrIsEEEESE_SE_sNS9_10multipliesIsEENS9_8equal_toIsEEsEE10hipError_tPvRmT2_T3_T4_T5_mT6_T7_P12ihipStream_tbENKUlT_T0_E_clISt17integral_constantIbLb1EESZ_EEDaSU_SV_EUlSU_E_NS1_11comp_targetILNS1_3genE5ELNS1_11target_archE942ELNS1_3gpuE9ELNS1_3repE0EEENS1_30default_config_static_selectorELNS0_4arch9wavefront6targetE0EEEvT1_,comdat
.Lfunc_end292:
	.size	_ZN7rocprim17ROCPRIM_400000_NS6detail17trampoline_kernelINS0_14default_configENS1_27scan_by_key_config_selectorIssEEZZNS1_16scan_by_key_implILNS1_25lookback_scan_determinismE0ELb0ES3_N6thrust23THRUST_200600_302600_NS6detail15normal_iteratorINS9_10device_ptrIsEEEESE_SE_sNS9_10multipliesIsEENS9_8equal_toIsEEsEE10hipError_tPvRmT2_T3_T4_T5_mT6_T7_P12ihipStream_tbENKUlT_T0_E_clISt17integral_constantIbLb1EESZ_EEDaSU_SV_EUlSU_E_NS1_11comp_targetILNS1_3genE5ELNS1_11target_archE942ELNS1_3gpuE9ELNS1_3repE0EEENS1_30default_config_static_selectorELNS0_4arch9wavefront6targetE0EEEvT1_, .Lfunc_end292-_ZN7rocprim17ROCPRIM_400000_NS6detail17trampoline_kernelINS0_14default_configENS1_27scan_by_key_config_selectorIssEEZZNS1_16scan_by_key_implILNS1_25lookback_scan_determinismE0ELb0ES3_N6thrust23THRUST_200600_302600_NS6detail15normal_iteratorINS9_10device_ptrIsEEEESE_SE_sNS9_10multipliesIsEENS9_8equal_toIsEEsEE10hipError_tPvRmT2_T3_T4_T5_mT6_T7_P12ihipStream_tbENKUlT_T0_E_clISt17integral_constantIbLb1EESZ_EEDaSU_SV_EUlSU_E_NS1_11comp_targetILNS1_3genE5ELNS1_11target_archE942ELNS1_3gpuE9ELNS1_3repE0EEENS1_30default_config_static_selectorELNS0_4arch9wavefront6targetE0EEEvT1_
                                        ; -- End function
	.set _ZN7rocprim17ROCPRIM_400000_NS6detail17trampoline_kernelINS0_14default_configENS1_27scan_by_key_config_selectorIssEEZZNS1_16scan_by_key_implILNS1_25lookback_scan_determinismE0ELb0ES3_N6thrust23THRUST_200600_302600_NS6detail15normal_iteratorINS9_10device_ptrIsEEEESE_SE_sNS9_10multipliesIsEENS9_8equal_toIsEEsEE10hipError_tPvRmT2_T3_T4_T5_mT6_T7_P12ihipStream_tbENKUlT_T0_E_clISt17integral_constantIbLb1EESZ_EEDaSU_SV_EUlSU_E_NS1_11comp_targetILNS1_3genE5ELNS1_11target_archE942ELNS1_3gpuE9ELNS1_3repE0EEENS1_30default_config_static_selectorELNS0_4arch9wavefront6targetE0EEEvT1_.num_vgpr, 0
	.set _ZN7rocprim17ROCPRIM_400000_NS6detail17trampoline_kernelINS0_14default_configENS1_27scan_by_key_config_selectorIssEEZZNS1_16scan_by_key_implILNS1_25lookback_scan_determinismE0ELb0ES3_N6thrust23THRUST_200600_302600_NS6detail15normal_iteratorINS9_10device_ptrIsEEEESE_SE_sNS9_10multipliesIsEENS9_8equal_toIsEEsEE10hipError_tPvRmT2_T3_T4_T5_mT6_T7_P12ihipStream_tbENKUlT_T0_E_clISt17integral_constantIbLb1EESZ_EEDaSU_SV_EUlSU_E_NS1_11comp_targetILNS1_3genE5ELNS1_11target_archE942ELNS1_3gpuE9ELNS1_3repE0EEENS1_30default_config_static_selectorELNS0_4arch9wavefront6targetE0EEEvT1_.num_agpr, 0
	.set _ZN7rocprim17ROCPRIM_400000_NS6detail17trampoline_kernelINS0_14default_configENS1_27scan_by_key_config_selectorIssEEZZNS1_16scan_by_key_implILNS1_25lookback_scan_determinismE0ELb0ES3_N6thrust23THRUST_200600_302600_NS6detail15normal_iteratorINS9_10device_ptrIsEEEESE_SE_sNS9_10multipliesIsEENS9_8equal_toIsEEsEE10hipError_tPvRmT2_T3_T4_T5_mT6_T7_P12ihipStream_tbENKUlT_T0_E_clISt17integral_constantIbLb1EESZ_EEDaSU_SV_EUlSU_E_NS1_11comp_targetILNS1_3genE5ELNS1_11target_archE942ELNS1_3gpuE9ELNS1_3repE0EEENS1_30default_config_static_selectorELNS0_4arch9wavefront6targetE0EEEvT1_.numbered_sgpr, 0
	.set _ZN7rocprim17ROCPRIM_400000_NS6detail17trampoline_kernelINS0_14default_configENS1_27scan_by_key_config_selectorIssEEZZNS1_16scan_by_key_implILNS1_25lookback_scan_determinismE0ELb0ES3_N6thrust23THRUST_200600_302600_NS6detail15normal_iteratorINS9_10device_ptrIsEEEESE_SE_sNS9_10multipliesIsEENS9_8equal_toIsEEsEE10hipError_tPvRmT2_T3_T4_T5_mT6_T7_P12ihipStream_tbENKUlT_T0_E_clISt17integral_constantIbLb1EESZ_EEDaSU_SV_EUlSU_E_NS1_11comp_targetILNS1_3genE5ELNS1_11target_archE942ELNS1_3gpuE9ELNS1_3repE0EEENS1_30default_config_static_selectorELNS0_4arch9wavefront6targetE0EEEvT1_.num_named_barrier, 0
	.set _ZN7rocprim17ROCPRIM_400000_NS6detail17trampoline_kernelINS0_14default_configENS1_27scan_by_key_config_selectorIssEEZZNS1_16scan_by_key_implILNS1_25lookback_scan_determinismE0ELb0ES3_N6thrust23THRUST_200600_302600_NS6detail15normal_iteratorINS9_10device_ptrIsEEEESE_SE_sNS9_10multipliesIsEENS9_8equal_toIsEEsEE10hipError_tPvRmT2_T3_T4_T5_mT6_T7_P12ihipStream_tbENKUlT_T0_E_clISt17integral_constantIbLb1EESZ_EEDaSU_SV_EUlSU_E_NS1_11comp_targetILNS1_3genE5ELNS1_11target_archE942ELNS1_3gpuE9ELNS1_3repE0EEENS1_30default_config_static_selectorELNS0_4arch9wavefront6targetE0EEEvT1_.private_seg_size, 0
	.set _ZN7rocprim17ROCPRIM_400000_NS6detail17trampoline_kernelINS0_14default_configENS1_27scan_by_key_config_selectorIssEEZZNS1_16scan_by_key_implILNS1_25lookback_scan_determinismE0ELb0ES3_N6thrust23THRUST_200600_302600_NS6detail15normal_iteratorINS9_10device_ptrIsEEEESE_SE_sNS9_10multipliesIsEENS9_8equal_toIsEEsEE10hipError_tPvRmT2_T3_T4_T5_mT6_T7_P12ihipStream_tbENKUlT_T0_E_clISt17integral_constantIbLb1EESZ_EEDaSU_SV_EUlSU_E_NS1_11comp_targetILNS1_3genE5ELNS1_11target_archE942ELNS1_3gpuE9ELNS1_3repE0EEENS1_30default_config_static_selectorELNS0_4arch9wavefront6targetE0EEEvT1_.uses_vcc, 0
	.set _ZN7rocprim17ROCPRIM_400000_NS6detail17trampoline_kernelINS0_14default_configENS1_27scan_by_key_config_selectorIssEEZZNS1_16scan_by_key_implILNS1_25lookback_scan_determinismE0ELb0ES3_N6thrust23THRUST_200600_302600_NS6detail15normal_iteratorINS9_10device_ptrIsEEEESE_SE_sNS9_10multipliesIsEENS9_8equal_toIsEEsEE10hipError_tPvRmT2_T3_T4_T5_mT6_T7_P12ihipStream_tbENKUlT_T0_E_clISt17integral_constantIbLb1EESZ_EEDaSU_SV_EUlSU_E_NS1_11comp_targetILNS1_3genE5ELNS1_11target_archE942ELNS1_3gpuE9ELNS1_3repE0EEENS1_30default_config_static_selectorELNS0_4arch9wavefront6targetE0EEEvT1_.uses_flat_scratch, 0
	.set _ZN7rocprim17ROCPRIM_400000_NS6detail17trampoline_kernelINS0_14default_configENS1_27scan_by_key_config_selectorIssEEZZNS1_16scan_by_key_implILNS1_25lookback_scan_determinismE0ELb0ES3_N6thrust23THRUST_200600_302600_NS6detail15normal_iteratorINS9_10device_ptrIsEEEESE_SE_sNS9_10multipliesIsEENS9_8equal_toIsEEsEE10hipError_tPvRmT2_T3_T4_T5_mT6_T7_P12ihipStream_tbENKUlT_T0_E_clISt17integral_constantIbLb1EESZ_EEDaSU_SV_EUlSU_E_NS1_11comp_targetILNS1_3genE5ELNS1_11target_archE942ELNS1_3gpuE9ELNS1_3repE0EEENS1_30default_config_static_selectorELNS0_4arch9wavefront6targetE0EEEvT1_.has_dyn_sized_stack, 0
	.set _ZN7rocprim17ROCPRIM_400000_NS6detail17trampoline_kernelINS0_14default_configENS1_27scan_by_key_config_selectorIssEEZZNS1_16scan_by_key_implILNS1_25lookback_scan_determinismE0ELb0ES3_N6thrust23THRUST_200600_302600_NS6detail15normal_iteratorINS9_10device_ptrIsEEEESE_SE_sNS9_10multipliesIsEENS9_8equal_toIsEEsEE10hipError_tPvRmT2_T3_T4_T5_mT6_T7_P12ihipStream_tbENKUlT_T0_E_clISt17integral_constantIbLb1EESZ_EEDaSU_SV_EUlSU_E_NS1_11comp_targetILNS1_3genE5ELNS1_11target_archE942ELNS1_3gpuE9ELNS1_3repE0EEENS1_30default_config_static_selectorELNS0_4arch9wavefront6targetE0EEEvT1_.has_recursion, 0
	.set _ZN7rocprim17ROCPRIM_400000_NS6detail17trampoline_kernelINS0_14default_configENS1_27scan_by_key_config_selectorIssEEZZNS1_16scan_by_key_implILNS1_25lookback_scan_determinismE0ELb0ES3_N6thrust23THRUST_200600_302600_NS6detail15normal_iteratorINS9_10device_ptrIsEEEESE_SE_sNS9_10multipliesIsEENS9_8equal_toIsEEsEE10hipError_tPvRmT2_T3_T4_T5_mT6_T7_P12ihipStream_tbENKUlT_T0_E_clISt17integral_constantIbLb1EESZ_EEDaSU_SV_EUlSU_E_NS1_11comp_targetILNS1_3genE5ELNS1_11target_archE942ELNS1_3gpuE9ELNS1_3repE0EEENS1_30default_config_static_selectorELNS0_4arch9wavefront6targetE0EEEvT1_.has_indirect_call, 0
	.section	.AMDGPU.csdata,"",@progbits
; Kernel info:
; codeLenInByte = 0
; TotalNumSgprs: 0
; NumVgprs: 0
; ScratchSize: 0
; MemoryBound: 0
; FloatMode: 240
; IeeeMode: 1
; LDSByteSize: 0 bytes/workgroup (compile time only)
; SGPRBlocks: 0
; VGPRBlocks: 0
; NumSGPRsForWavesPerEU: 1
; NumVGPRsForWavesPerEU: 1
; Occupancy: 16
; WaveLimiterHint : 0
; COMPUTE_PGM_RSRC2:SCRATCH_EN: 0
; COMPUTE_PGM_RSRC2:USER_SGPR: 6
; COMPUTE_PGM_RSRC2:TRAP_HANDLER: 0
; COMPUTE_PGM_RSRC2:TGID_X_EN: 1
; COMPUTE_PGM_RSRC2:TGID_Y_EN: 0
; COMPUTE_PGM_RSRC2:TGID_Z_EN: 0
; COMPUTE_PGM_RSRC2:TIDIG_COMP_CNT: 0
	.section	.text._ZN7rocprim17ROCPRIM_400000_NS6detail17trampoline_kernelINS0_14default_configENS1_27scan_by_key_config_selectorIssEEZZNS1_16scan_by_key_implILNS1_25lookback_scan_determinismE0ELb0ES3_N6thrust23THRUST_200600_302600_NS6detail15normal_iteratorINS9_10device_ptrIsEEEESE_SE_sNS9_10multipliesIsEENS9_8equal_toIsEEsEE10hipError_tPvRmT2_T3_T4_T5_mT6_T7_P12ihipStream_tbENKUlT_T0_E_clISt17integral_constantIbLb1EESZ_EEDaSU_SV_EUlSU_E_NS1_11comp_targetILNS1_3genE4ELNS1_11target_archE910ELNS1_3gpuE8ELNS1_3repE0EEENS1_30default_config_static_selectorELNS0_4arch9wavefront6targetE0EEEvT1_,"axG",@progbits,_ZN7rocprim17ROCPRIM_400000_NS6detail17trampoline_kernelINS0_14default_configENS1_27scan_by_key_config_selectorIssEEZZNS1_16scan_by_key_implILNS1_25lookback_scan_determinismE0ELb0ES3_N6thrust23THRUST_200600_302600_NS6detail15normal_iteratorINS9_10device_ptrIsEEEESE_SE_sNS9_10multipliesIsEENS9_8equal_toIsEEsEE10hipError_tPvRmT2_T3_T4_T5_mT6_T7_P12ihipStream_tbENKUlT_T0_E_clISt17integral_constantIbLb1EESZ_EEDaSU_SV_EUlSU_E_NS1_11comp_targetILNS1_3genE4ELNS1_11target_archE910ELNS1_3gpuE8ELNS1_3repE0EEENS1_30default_config_static_selectorELNS0_4arch9wavefront6targetE0EEEvT1_,comdat
	.protected	_ZN7rocprim17ROCPRIM_400000_NS6detail17trampoline_kernelINS0_14default_configENS1_27scan_by_key_config_selectorIssEEZZNS1_16scan_by_key_implILNS1_25lookback_scan_determinismE0ELb0ES3_N6thrust23THRUST_200600_302600_NS6detail15normal_iteratorINS9_10device_ptrIsEEEESE_SE_sNS9_10multipliesIsEENS9_8equal_toIsEEsEE10hipError_tPvRmT2_T3_T4_T5_mT6_T7_P12ihipStream_tbENKUlT_T0_E_clISt17integral_constantIbLb1EESZ_EEDaSU_SV_EUlSU_E_NS1_11comp_targetILNS1_3genE4ELNS1_11target_archE910ELNS1_3gpuE8ELNS1_3repE0EEENS1_30default_config_static_selectorELNS0_4arch9wavefront6targetE0EEEvT1_ ; -- Begin function _ZN7rocprim17ROCPRIM_400000_NS6detail17trampoline_kernelINS0_14default_configENS1_27scan_by_key_config_selectorIssEEZZNS1_16scan_by_key_implILNS1_25lookback_scan_determinismE0ELb0ES3_N6thrust23THRUST_200600_302600_NS6detail15normal_iteratorINS9_10device_ptrIsEEEESE_SE_sNS9_10multipliesIsEENS9_8equal_toIsEEsEE10hipError_tPvRmT2_T3_T4_T5_mT6_T7_P12ihipStream_tbENKUlT_T0_E_clISt17integral_constantIbLb1EESZ_EEDaSU_SV_EUlSU_E_NS1_11comp_targetILNS1_3genE4ELNS1_11target_archE910ELNS1_3gpuE8ELNS1_3repE0EEENS1_30default_config_static_selectorELNS0_4arch9wavefront6targetE0EEEvT1_
	.globl	_ZN7rocprim17ROCPRIM_400000_NS6detail17trampoline_kernelINS0_14default_configENS1_27scan_by_key_config_selectorIssEEZZNS1_16scan_by_key_implILNS1_25lookback_scan_determinismE0ELb0ES3_N6thrust23THRUST_200600_302600_NS6detail15normal_iteratorINS9_10device_ptrIsEEEESE_SE_sNS9_10multipliesIsEENS9_8equal_toIsEEsEE10hipError_tPvRmT2_T3_T4_T5_mT6_T7_P12ihipStream_tbENKUlT_T0_E_clISt17integral_constantIbLb1EESZ_EEDaSU_SV_EUlSU_E_NS1_11comp_targetILNS1_3genE4ELNS1_11target_archE910ELNS1_3gpuE8ELNS1_3repE0EEENS1_30default_config_static_selectorELNS0_4arch9wavefront6targetE0EEEvT1_
	.p2align	8
	.type	_ZN7rocprim17ROCPRIM_400000_NS6detail17trampoline_kernelINS0_14default_configENS1_27scan_by_key_config_selectorIssEEZZNS1_16scan_by_key_implILNS1_25lookback_scan_determinismE0ELb0ES3_N6thrust23THRUST_200600_302600_NS6detail15normal_iteratorINS9_10device_ptrIsEEEESE_SE_sNS9_10multipliesIsEENS9_8equal_toIsEEsEE10hipError_tPvRmT2_T3_T4_T5_mT6_T7_P12ihipStream_tbENKUlT_T0_E_clISt17integral_constantIbLb1EESZ_EEDaSU_SV_EUlSU_E_NS1_11comp_targetILNS1_3genE4ELNS1_11target_archE910ELNS1_3gpuE8ELNS1_3repE0EEENS1_30default_config_static_selectorELNS0_4arch9wavefront6targetE0EEEvT1_,@function
_ZN7rocprim17ROCPRIM_400000_NS6detail17trampoline_kernelINS0_14default_configENS1_27scan_by_key_config_selectorIssEEZZNS1_16scan_by_key_implILNS1_25lookback_scan_determinismE0ELb0ES3_N6thrust23THRUST_200600_302600_NS6detail15normal_iteratorINS9_10device_ptrIsEEEESE_SE_sNS9_10multipliesIsEENS9_8equal_toIsEEsEE10hipError_tPvRmT2_T3_T4_T5_mT6_T7_P12ihipStream_tbENKUlT_T0_E_clISt17integral_constantIbLb1EESZ_EEDaSU_SV_EUlSU_E_NS1_11comp_targetILNS1_3genE4ELNS1_11target_archE910ELNS1_3gpuE8ELNS1_3repE0EEENS1_30default_config_static_selectorELNS0_4arch9wavefront6targetE0EEEvT1_: ; @_ZN7rocprim17ROCPRIM_400000_NS6detail17trampoline_kernelINS0_14default_configENS1_27scan_by_key_config_selectorIssEEZZNS1_16scan_by_key_implILNS1_25lookback_scan_determinismE0ELb0ES3_N6thrust23THRUST_200600_302600_NS6detail15normal_iteratorINS9_10device_ptrIsEEEESE_SE_sNS9_10multipliesIsEENS9_8equal_toIsEEsEE10hipError_tPvRmT2_T3_T4_T5_mT6_T7_P12ihipStream_tbENKUlT_T0_E_clISt17integral_constantIbLb1EESZ_EEDaSU_SV_EUlSU_E_NS1_11comp_targetILNS1_3genE4ELNS1_11target_archE910ELNS1_3gpuE8ELNS1_3repE0EEENS1_30default_config_static_selectorELNS0_4arch9wavefront6targetE0EEEvT1_
; %bb.0:
	.section	.rodata,"a",@progbits
	.p2align	6, 0x0
	.amdhsa_kernel _ZN7rocprim17ROCPRIM_400000_NS6detail17trampoline_kernelINS0_14default_configENS1_27scan_by_key_config_selectorIssEEZZNS1_16scan_by_key_implILNS1_25lookback_scan_determinismE0ELb0ES3_N6thrust23THRUST_200600_302600_NS6detail15normal_iteratorINS9_10device_ptrIsEEEESE_SE_sNS9_10multipliesIsEENS9_8equal_toIsEEsEE10hipError_tPvRmT2_T3_T4_T5_mT6_T7_P12ihipStream_tbENKUlT_T0_E_clISt17integral_constantIbLb1EESZ_EEDaSU_SV_EUlSU_E_NS1_11comp_targetILNS1_3genE4ELNS1_11target_archE910ELNS1_3gpuE8ELNS1_3repE0EEENS1_30default_config_static_selectorELNS0_4arch9wavefront6targetE0EEEvT1_
		.amdhsa_group_segment_fixed_size 0
		.amdhsa_private_segment_fixed_size 0
		.amdhsa_kernarg_size 112
		.amdhsa_user_sgpr_count 6
		.amdhsa_user_sgpr_private_segment_buffer 1
		.amdhsa_user_sgpr_dispatch_ptr 0
		.amdhsa_user_sgpr_queue_ptr 0
		.amdhsa_user_sgpr_kernarg_segment_ptr 1
		.amdhsa_user_sgpr_dispatch_id 0
		.amdhsa_user_sgpr_flat_scratch_init 0
		.amdhsa_user_sgpr_private_segment_size 0
		.amdhsa_wavefront_size32 1
		.amdhsa_uses_dynamic_stack 0
		.amdhsa_system_sgpr_private_segment_wavefront_offset 0
		.amdhsa_system_sgpr_workgroup_id_x 1
		.amdhsa_system_sgpr_workgroup_id_y 0
		.amdhsa_system_sgpr_workgroup_id_z 0
		.amdhsa_system_sgpr_workgroup_info 0
		.amdhsa_system_vgpr_workitem_id 0
		.amdhsa_next_free_vgpr 1
		.amdhsa_next_free_sgpr 1
		.amdhsa_reserve_vcc 0
		.amdhsa_reserve_flat_scratch 0
		.amdhsa_float_round_mode_32 0
		.amdhsa_float_round_mode_16_64 0
		.amdhsa_float_denorm_mode_32 3
		.amdhsa_float_denorm_mode_16_64 3
		.amdhsa_dx10_clamp 1
		.amdhsa_ieee_mode 1
		.amdhsa_fp16_overflow 0
		.amdhsa_workgroup_processor_mode 1
		.amdhsa_memory_ordered 1
		.amdhsa_forward_progress 1
		.amdhsa_shared_vgpr_count 0
		.amdhsa_exception_fp_ieee_invalid_op 0
		.amdhsa_exception_fp_denorm_src 0
		.amdhsa_exception_fp_ieee_div_zero 0
		.amdhsa_exception_fp_ieee_overflow 0
		.amdhsa_exception_fp_ieee_underflow 0
		.amdhsa_exception_fp_ieee_inexact 0
		.amdhsa_exception_int_div_zero 0
	.end_amdhsa_kernel
	.section	.text._ZN7rocprim17ROCPRIM_400000_NS6detail17trampoline_kernelINS0_14default_configENS1_27scan_by_key_config_selectorIssEEZZNS1_16scan_by_key_implILNS1_25lookback_scan_determinismE0ELb0ES3_N6thrust23THRUST_200600_302600_NS6detail15normal_iteratorINS9_10device_ptrIsEEEESE_SE_sNS9_10multipliesIsEENS9_8equal_toIsEEsEE10hipError_tPvRmT2_T3_T4_T5_mT6_T7_P12ihipStream_tbENKUlT_T0_E_clISt17integral_constantIbLb1EESZ_EEDaSU_SV_EUlSU_E_NS1_11comp_targetILNS1_3genE4ELNS1_11target_archE910ELNS1_3gpuE8ELNS1_3repE0EEENS1_30default_config_static_selectorELNS0_4arch9wavefront6targetE0EEEvT1_,"axG",@progbits,_ZN7rocprim17ROCPRIM_400000_NS6detail17trampoline_kernelINS0_14default_configENS1_27scan_by_key_config_selectorIssEEZZNS1_16scan_by_key_implILNS1_25lookback_scan_determinismE0ELb0ES3_N6thrust23THRUST_200600_302600_NS6detail15normal_iteratorINS9_10device_ptrIsEEEESE_SE_sNS9_10multipliesIsEENS9_8equal_toIsEEsEE10hipError_tPvRmT2_T3_T4_T5_mT6_T7_P12ihipStream_tbENKUlT_T0_E_clISt17integral_constantIbLb1EESZ_EEDaSU_SV_EUlSU_E_NS1_11comp_targetILNS1_3genE4ELNS1_11target_archE910ELNS1_3gpuE8ELNS1_3repE0EEENS1_30default_config_static_selectorELNS0_4arch9wavefront6targetE0EEEvT1_,comdat
.Lfunc_end293:
	.size	_ZN7rocprim17ROCPRIM_400000_NS6detail17trampoline_kernelINS0_14default_configENS1_27scan_by_key_config_selectorIssEEZZNS1_16scan_by_key_implILNS1_25lookback_scan_determinismE0ELb0ES3_N6thrust23THRUST_200600_302600_NS6detail15normal_iteratorINS9_10device_ptrIsEEEESE_SE_sNS9_10multipliesIsEENS9_8equal_toIsEEsEE10hipError_tPvRmT2_T3_T4_T5_mT6_T7_P12ihipStream_tbENKUlT_T0_E_clISt17integral_constantIbLb1EESZ_EEDaSU_SV_EUlSU_E_NS1_11comp_targetILNS1_3genE4ELNS1_11target_archE910ELNS1_3gpuE8ELNS1_3repE0EEENS1_30default_config_static_selectorELNS0_4arch9wavefront6targetE0EEEvT1_, .Lfunc_end293-_ZN7rocprim17ROCPRIM_400000_NS6detail17trampoline_kernelINS0_14default_configENS1_27scan_by_key_config_selectorIssEEZZNS1_16scan_by_key_implILNS1_25lookback_scan_determinismE0ELb0ES3_N6thrust23THRUST_200600_302600_NS6detail15normal_iteratorINS9_10device_ptrIsEEEESE_SE_sNS9_10multipliesIsEENS9_8equal_toIsEEsEE10hipError_tPvRmT2_T3_T4_T5_mT6_T7_P12ihipStream_tbENKUlT_T0_E_clISt17integral_constantIbLb1EESZ_EEDaSU_SV_EUlSU_E_NS1_11comp_targetILNS1_3genE4ELNS1_11target_archE910ELNS1_3gpuE8ELNS1_3repE0EEENS1_30default_config_static_selectorELNS0_4arch9wavefront6targetE0EEEvT1_
                                        ; -- End function
	.set _ZN7rocprim17ROCPRIM_400000_NS6detail17trampoline_kernelINS0_14default_configENS1_27scan_by_key_config_selectorIssEEZZNS1_16scan_by_key_implILNS1_25lookback_scan_determinismE0ELb0ES3_N6thrust23THRUST_200600_302600_NS6detail15normal_iteratorINS9_10device_ptrIsEEEESE_SE_sNS9_10multipliesIsEENS9_8equal_toIsEEsEE10hipError_tPvRmT2_T3_T4_T5_mT6_T7_P12ihipStream_tbENKUlT_T0_E_clISt17integral_constantIbLb1EESZ_EEDaSU_SV_EUlSU_E_NS1_11comp_targetILNS1_3genE4ELNS1_11target_archE910ELNS1_3gpuE8ELNS1_3repE0EEENS1_30default_config_static_selectorELNS0_4arch9wavefront6targetE0EEEvT1_.num_vgpr, 0
	.set _ZN7rocprim17ROCPRIM_400000_NS6detail17trampoline_kernelINS0_14default_configENS1_27scan_by_key_config_selectorIssEEZZNS1_16scan_by_key_implILNS1_25lookback_scan_determinismE0ELb0ES3_N6thrust23THRUST_200600_302600_NS6detail15normal_iteratorINS9_10device_ptrIsEEEESE_SE_sNS9_10multipliesIsEENS9_8equal_toIsEEsEE10hipError_tPvRmT2_T3_T4_T5_mT6_T7_P12ihipStream_tbENKUlT_T0_E_clISt17integral_constantIbLb1EESZ_EEDaSU_SV_EUlSU_E_NS1_11comp_targetILNS1_3genE4ELNS1_11target_archE910ELNS1_3gpuE8ELNS1_3repE0EEENS1_30default_config_static_selectorELNS0_4arch9wavefront6targetE0EEEvT1_.num_agpr, 0
	.set _ZN7rocprim17ROCPRIM_400000_NS6detail17trampoline_kernelINS0_14default_configENS1_27scan_by_key_config_selectorIssEEZZNS1_16scan_by_key_implILNS1_25lookback_scan_determinismE0ELb0ES3_N6thrust23THRUST_200600_302600_NS6detail15normal_iteratorINS9_10device_ptrIsEEEESE_SE_sNS9_10multipliesIsEENS9_8equal_toIsEEsEE10hipError_tPvRmT2_T3_T4_T5_mT6_T7_P12ihipStream_tbENKUlT_T0_E_clISt17integral_constantIbLb1EESZ_EEDaSU_SV_EUlSU_E_NS1_11comp_targetILNS1_3genE4ELNS1_11target_archE910ELNS1_3gpuE8ELNS1_3repE0EEENS1_30default_config_static_selectorELNS0_4arch9wavefront6targetE0EEEvT1_.numbered_sgpr, 0
	.set _ZN7rocprim17ROCPRIM_400000_NS6detail17trampoline_kernelINS0_14default_configENS1_27scan_by_key_config_selectorIssEEZZNS1_16scan_by_key_implILNS1_25lookback_scan_determinismE0ELb0ES3_N6thrust23THRUST_200600_302600_NS6detail15normal_iteratorINS9_10device_ptrIsEEEESE_SE_sNS9_10multipliesIsEENS9_8equal_toIsEEsEE10hipError_tPvRmT2_T3_T4_T5_mT6_T7_P12ihipStream_tbENKUlT_T0_E_clISt17integral_constantIbLb1EESZ_EEDaSU_SV_EUlSU_E_NS1_11comp_targetILNS1_3genE4ELNS1_11target_archE910ELNS1_3gpuE8ELNS1_3repE0EEENS1_30default_config_static_selectorELNS0_4arch9wavefront6targetE0EEEvT1_.num_named_barrier, 0
	.set _ZN7rocprim17ROCPRIM_400000_NS6detail17trampoline_kernelINS0_14default_configENS1_27scan_by_key_config_selectorIssEEZZNS1_16scan_by_key_implILNS1_25lookback_scan_determinismE0ELb0ES3_N6thrust23THRUST_200600_302600_NS6detail15normal_iteratorINS9_10device_ptrIsEEEESE_SE_sNS9_10multipliesIsEENS9_8equal_toIsEEsEE10hipError_tPvRmT2_T3_T4_T5_mT6_T7_P12ihipStream_tbENKUlT_T0_E_clISt17integral_constantIbLb1EESZ_EEDaSU_SV_EUlSU_E_NS1_11comp_targetILNS1_3genE4ELNS1_11target_archE910ELNS1_3gpuE8ELNS1_3repE0EEENS1_30default_config_static_selectorELNS0_4arch9wavefront6targetE0EEEvT1_.private_seg_size, 0
	.set _ZN7rocprim17ROCPRIM_400000_NS6detail17trampoline_kernelINS0_14default_configENS1_27scan_by_key_config_selectorIssEEZZNS1_16scan_by_key_implILNS1_25lookback_scan_determinismE0ELb0ES3_N6thrust23THRUST_200600_302600_NS6detail15normal_iteratorINS9_10device_ptrIsEEEESE_SE_sNS9_10multipliesIsEENS9_8equal_toIsEEsEE10hipError_tPvRmT2_T3_T4_T5_mT6_T7_P12ihipStream_tbENKUlT_T0_E_clISt17integral_constantIbLb1EESZ_EEDaSU_SV_EUlSU_E_NS1_11comp_targetILNS1_3genE4ELNS1_11target_archE910ELNS1_3gpuE8ELNS1_3repE0EEENS1_30default_config_static_selectorELNS0_4arch9wavefront6targetE0EEEvT1_.uses_vcc, 0
	.set _ZN7rocprim17ROCPRIM_400000_NS6detail17trampoline_kernelINS0_14default_configENS1_27scan_by_key_config_selectorIssEEZZNS1_16scan_by_key_implILNS1_25lookback_scan_determinismE0ELb0ES3_N6thrust23THRUST_200600_302600_NS6detail15normal_iteratorINS9_10device_ptrIsEEEESE_SE_sNS9_10multipliesIsEENS9_8equal_toIsEEsEE10hipError_tPvRmT2_T3_T4_T5_mT6_T7_P12ihipStream_tbENKUlT_T0_E_clISt17integral_constantIbLb1EESZ_EEDaSU_SV_EUlSU_E_NS1_11comp_targetILNS1_3genE4ELNS1_11target_archE910ELNS1_3gpuE8ELNS1_3repE0EEENS1_30default_config_static_selectorELNS0_4arch9wavefront6targetE0EEEvT1_.uses_flat_scratch, 0
	.set _ZN7rocprim17ROCPRIM_400000_NS6detail17trampoline_kernelINS0_14default_configENS1_27scan_by_key_config_selectorIssEEZZNS1_16scan_by_key_implILNS1_25lookback_scan_determinismE0ELb0ES3_N6thrust23THRUST_200600_302600_NS6detail15normal_iteratorINS9_10device_ptrIsEEEESE_SE_sNS9_10multipliesIsEENS9_8equal_toIsEEsEE10hipError_tPvRmT2_T3_T4_T5_mT6_T7_P12ihipStream_tbENKUlT_T0_E_clISt17integral_constantIbLb1EESZ_EEDaSU_SV_EUlSU_E_NS1_11comp_targetILNS1_3genE4ELNS1_11target_archE910ELNS1_3gpuE8ELNS1_3repE0EEENS1_30default_config_static_selectorELNS0_4arch9wavefront6targetE0EEEvT1_.has_dyn_sized_stack, 0
	.set _ZN7rocprim17ROCPRIM_400000_NS6detail17trampoline_kernelINS0_14default_configENS1_27scan_by_key_config_selectorIssEEZZNS1_16scan_by_key_implILNS1_25lookback_scan_determinismE0ELb0ES3_N6thrust23THRUST_200600_302600_NS6detail15normal_iteratorINS9_10device_ptrIsEEEESE_SE_sNS9_10multipliesIsEENS9_8equal_toIsEEsEE10hipError_tPvRmT2_T3_T4_T5_mT6_T7_P12ihipStream_tbENKUlT_T0_E_clISt17integral_constantIbLb1EESZ_EEDaSU_SV_EUlSU_E_NS1_11comp_targetILNS1_3genE4ELNS1_11target_archE910ELNS1_3gpuE8ELNS1_3repE0EEENS1_30default_config_static_selectorELNS0_4arch9wavefront6targetE0EEEvT1_.has_recursion, 0
	.set _ZN7rocprim17ROCPRIM_400000_NS6detail17trampoline_kernelINS0_14default_configENS1_27scan_by_key_config_selectorIssEEZZNS1_16scan_by_key_implILNS1_25lookback_scan_determinismE0ELb0ES3_N6thrust23THRUST_200600_302600_NS6detail15normal_iteratorINS9_10device_ptrIsEEEESE_SE_sNS9_10multipliesIsEENS9_8equal_toIsEEsEE10hipError_tPvRmT2_T3_T4_T5_mT6_T7_P12ihipStream_tbENKUlT_T0_E_clISt17integral_constantIbLb1EESZ_EEDaSU_SV_EUlSU_E_NS1_11comp_targetILNS1_3genE4ELNS1_11target_archE910ELNS1_3gpuE8ELNS1_3repE0EEENS1_30default_config_static_selectorELNS0_4arch9wavefront6targetE0EEEvT1_.has_indirect_call, 0
	.section	.AMDGPU.csdata,"",@progbits
; Kernel info:
; codeLenInByte = 0
; TotalNumSgprs: 0
; NumVgprs: 0
; ScratchSize: 0
; MemoryBound: 0
; FloatMode: 240
; IeeeMode: 1
; LDSByteSize: 0 bytes/workgroup (compile time only)
; SGPRBlocks: 0
; VGPRBlocks: 0
; NumSGPRsForWavesPerEU: 1
; NumVGPRsForWavesPerEU: 1
; Occupancy: 16
; WaveLimiterHint : 0
; COMPUTE_PGM_RSRC2:SCRATCH_EN: 0
; COMPUTE_PGM_RSRC2:USER_SGPR: 6
; COMPUTE_PGM_RSRC2:TRAP_HANDLER: 0
; COMPUTE_PGM_RSRC2:TGID_X_EN: 1
; COMPUTE_PGM_RSRC2:TGID_Y_EN: 0
; COMPUTE_PGM_RSRC2:TGID_Z_EN: 0
; COMPUTE_PGM_RSRC2:TIDIG_COMP_CNT: 0
	.section	.text._ZN7rocprim17ROCPRIM_400000_NS6detail17trampoline_kernelINS0_14default_configENS1_27scan_by_key_config_selectorIssEEZZNS1_16scan_by_key_implILNS1_25lookback_scan_determinismE0ELb0ES3_N6thrust23THRUST_200600_302600_NS6detail15normal_iteratorINS9_10device_ptrIsEEEESE_SE_sNS9_10multipliesIsEENS9_8equal_toIsEEsEE10hipError_tPvRmT2_T3_T4_T5_mT6_T7_P12ihipStream_tbENKUlT_T0_E_clISt17integral_constantIbLb1EESZ_EEDaSU_SV_EUlSU_E_NS1_11comp_targetILNS1_3genE3ELNS1_11target_archE908ELNS1_3gpuE7ELNS1_3repE0EEENS1_30default_config_static_selectorELNS0_4arch9wavefront6targetE0EEEvT1_,"axG",@progbits,_ZN7rocprim17ROCPRIM_400000_NS6detail17trampoline_kernelINS0_14default_configENS1_27scan_by_key_config_selectorIssEEZZNS1_16scan_by_key_implILNS1_25lookback_scan_determinismE0ELb0ES3_N6thrust23THRUST_200600_302600_NS6detail15normal_iteratorINS9_10device_ptrIsEEEESE_SE_sNS9_10multipliesIsEENS9_8equal_toIsEEsEE10hipError_tPvRmT2_T3_T4_T5_mT6_T7_P12ihipStream_tbENKUlT_T0_E_clISt17integral_constantIbLb1EESZ_EEDaSU_SV_EUlSU_E_NS1_11comp_targetILNS1_3genE3ELNS1_11target_archE908ELNS1_3gpuE7ELNS1_3repE0EEENS1_30default_config_static_selectorELNS0_4arch9wavefront6targetE0EEEvT1_,comdat
	.protected	_ZN7rocprim17ROCPRIM_400000_NS6detail17trampoline_kernelINS0_14default_configENS1_27scan_by_key_config_selectorIssEEZZNS1_16scan_by_key_implILNS1_25lookback_scan_determinismE0ELb0ES3_N6thrust23THRUST_200600_302600_NS6detail15normal_iteratorINS9_10device_ptrIsEEEESE_SE_sNS9_10multipliesIsEENS9_8equal_toIsEEsEE10hipError_tPvRmT2_T3_T4_T5_mT6_T7_P12ihipStream_tbENKUlT_T0_E_clISt17integral_constantIbLb1EESZ_EEDaSU_SV_EUlSU_E_NS1_11comp_targetILNS1_3genE3ELNS1_11target_archE908ELNS1_3gpuE7ELNS1_3repE0EEENS1_30default_config_static_selectorELNS0_4arch9wavefront6targetE0EEEvT1_ ; -- Begin function _ZN7rocprim17ROCPRIM_400000_NS6detail17trampoline_kernelINS0_14default_configENS1_27scan_by_key_config_selectorIssEEZZNS1_16scan_by_key_implILNS1_25lookback_scan_determinismE0ELb0ES3_N6thrust23THRUST_200600_302600_NS6detail15normal_iteratorINS9_10device_ptrIsEEEESE_SE_sNS9_10multipliesIsEENS9_8equal_toIsEEsEE10hipError_tPvRmT2_T3_T4_T5_mT6_T7_P12ihipStream_tbENKUlT_T0_E_clISt17integral_constantIbLb1EESZ_EEDaSU_SV_EUlSU_E_NS1_11comp_targetILNS1_3genE3ELNS1_11target_archE908ELNS1_3gpuE7ELNS1_3repE0EEENS1_30default_config_static_selectorELNS0_4arch9wavefront6targetE0EEEvT1_
	.globl	_ZN7rocprim17ROCPRIM_400000_NS6detail17trampoline_kernelINS0_14default_configENS1_27scan_by_key_config_selectorIssEEZZNS1_16scan_by_key_implILNS1_25lookback_scan_determinismE0ELb0ES3_N6thrust23THRUST_200600_302600_NS6detail15normal_iteratorINS9_10device_ptrIsEEEESE_SE_sNS9_10multipliesIsEENS9_8equal_toIsEEsEE10hipError_tPvRmT2_T3_T4_T5_mT6_T7_P12ihipStream_tbENKUlT_T0_E_clISt17integral_constantIbLb1EESZ_EEDaSU_SV_EUlSU_E_NS1_11comp_targetILNS1_3genE3ELNS1_11target_archE908ELNS1_3gpuE7ELNS1_3repE0EEENS1_30default_config_static_selectorELNS0_4arch9wavefront6targetE0EEEvT1_
	.p2align	8
	.type	_ZN7rocprim17ROCPRIM_400000_NS6detail17trampoline_kernelINS0_14default_configENS1_27scan_by_key_config_selectorIssEEZZNS1_16scan_by_key_implILNS1_25lookback_scan_determinismE0ELb0ES3_N6thrust23THRUST_200600_302600_NS6detail15normal_iteratorINS9_10device_ptrIsEEEESE_SE_sNS9_10multipliesIsEENS9_8equal_toIsEEsEE10hipError_tPvRmT2_T3_T4_T5_mT6_T7_P12ihipStream_tbENKUlT_T0_E_clISt17integral_constantIbLb1EESZ_EEDaSU_SV_EUlSU_E_NS1_11comp_targetILNS1_3genE3ELNS1_11target_archE908ELNS1_3gpuE7ELNS1_3repE0EEENS1_30default_config_static_selectorELNS0_4arch9wavefront6targetE0EEEvT1_,@function
_ZN7rocprim17ROCPRIM_400000_NS6detail17trampoline_kernelINS0_14default_configENS1_27scan_by_key_config_selectorIssEEZZNS1_16scan_by_key_implILNS1_25lookback_scan_determinismE0ELb0ES3_N6thrust23THRUST_200600_302600_NS6detail15normal_iteratorINS9_10device_ptrIsEEEESE_SE_sNS9_10multipliesIsEENS9_8equal_toIsEEsEE10hipError_tPvRmT2_T3_T4_T5_mT6_T7_P12ihipStream_tbENKUlT_T0_E_clISt17integral_constantIbLb1EESZ_EEDaSU_SV_EUlSU_E_NS1_11comp_targetILNS1_3genE3ELNS1_11target_archE908ELNS1_3gpuE7ELNS1_3repE0EEENS1_30default_config_static_selectorELNS0_4arch9wavefront6targetE0EEEvT1_: ; @_ZN7rocprim17ROCPRIM_400000_NS6detail17trampoline_kernelINS0_14default_configENS1_27scan_by_key_config_selectorIssEEZZNS1_16scan_by_key_implILNS1_25lookback_scan_determinismE0ELb0ES3_N6thrust23THRUST_200600_302600_NS6detail15normal_iteratorINS9_10device_ptrIsEEEESE_SE_sNS9_10multipliesIsEENS9_8equal_toIsEEsEE10hipError_tPvRmT2_T3_T4_T5_mT6_T7_P12ihipStream_tbENKUlT_T0_E_clISt17integral_constantIbLb1EESZ_EEDaSU_SV_EUlSU_E_NS1_11comp_targetILNS1_3genE3ELNS1_11target_archE908ELNS1_3gpuE7ELNS1_3repE0EEENS1_30default_config_static_selectorELNS0_4arch9wavefront6targetE0EEEvT1_
; %bb.0:
	.section	.rodata,"a",@progbits
	.p2align	6, 0x0
	.amdhsa_kernel _ZN7rocprim17ROCPRIM_400000_NS6detail17trampoline_kernelINS0_14default_configENS1_27scan_by_key_config_selectorIssEEZZNS1_16scan_by_key_implILNS1_25lookback_scan_determinismE0ELb0ES3_N6thrust23THRUST_200600_302600_NS6detail15normal_iteratorINS9_10device_ptrIsEEEESE_SE_sNS9_10multipliesIsEENS9_8equal_toIsEEsEE10hipError_tPvRmT2_T3_T4_T5_mT6_T7_P12ihipStream_tbENKUlT_T0_E_clISt17integral_constantIbLb1EESZ_EEDaSU_SV_EUlSU_E_NS1_11comp_targetILNS1_3genE3ELNS1_11target_archE908ELNS1_3gpuE7ELNS1_3repE0EEENS1_30default_config_static_selectorELNS0_4arch9wavefront6targetE0EEEvT1_
		.amdhsa_group_segment_fixed_size 0
		.amdhsa_private_segment_fixed_size 0
		.amdhsa_kernarg_size 112
		.amdhsa_user_sgpr_count 6
		.amdhsa_user_sgpr_private_segment_buffer 1
		.amdhsa_user_sgpr_dispatch_ptr 0
		.amdhsa_user_sgpr_queue_ptr 0
		.amdhsa_user_sgpr_kernarg_segment_ptr 1
		.amdhsa_user_sgpr_dispatch_id 0
		.amdhsa_user_sgpr_flat_scratch_init 0
		.amdhsa_user_sgpr_private_segment_size 0
		.amdhsa_wavefront_size32 1
		.amdhsa_uses_dynamic_stack 0
		.amdhsa_system_sgpr_private_segment_wavefront_offset 0
		.amdhsa_system_sgpr_workgroup_id_x 1
		.amdhsa_system_sgpr_workgroup_id_y 0
		.amdhsa_system_sgpr_workgroup_id_z 0
		.amdhsa_system_sgpr_workgroup_info 0
		.amdhsa_system_vgpr_workitem_id 0
		.amdhsa_next_free_vgpr 1
		.amdhsa_next_free_sgpr 1
		.amdhsa_reserve_vcc 0
		.amdhsa_reserve_flat_scratch 0
		.amdhsa_float_round_mode_32 0
		.amdhsa_float_round_mode_16_64 0
		.amdhsa_float_denorm_mode_32 3
		.amdhsa_float_denorm_mode_16_64 3
		.amdhsa_dx10_clamp 1
		.amdhsa_ieee_mode 1
		.amdhsa_fp16_overflow 0
		.amdhsa_workgroup_processor_mode 1
		.amdhsa_memory_ordered 1
		.amdhsa_forward_progress 1
		.amdhsa_shared_vgpr_count 0
		.amdhsa_exception_fp_ieee_invalid_op 0
		.amdhsa_exception_fp_denorm_src 0
		.amdhsa_exception_fp_ieee_div_zero 0
		.amdhsa_exception_fp_ieee_overflow 0
		.amdhsa_exception_fp_ieee_underflow 0
		.amdhsa_exception_fp_ieee_inexact 0
		.amdhsa_exception_int_div_zero 0
	.end_amdhsa_kernel
	.section	.text._ZN7rocprim17ROCPRIM_400000_NS6detail17trampoline_kernelINS0_14default_configENS1_27scan_by_key_config_selectorIssEEZZNS1_16scan_by_key_implILNS1_25lookback_scan_determinismE0ELb0ES3_N6thrust23THRUST_200600_302600_NS6detail15normal_iteratorINS9_10device_ptrIsEEEESE_SE_sNS9_10multipliesIsEENS9_8equal_toIsEEsEE10hipError_tPvRmT2_T3_T4_T5_mT6_T7_P12ihipStream_tbENKUlT_T0_E_clISt17integral_constantIbLb1EESZ_EEDaSU_SV_EUlSU_E_NS1_11comp_targetILNS1_3genE3ELNS1_11target_archE908ELNS1_3gpuE7ELNS1_3repE0EEENS1_30default_config_static_selectorELNS0_4arch9wavefront6targetE0EEEvT1_,"axG",@progbits,_ZN7rocprim17ROCPRIM_400000_NS6detail17trampoline_kernelINS0_14default_configENS1_27scan_by_key_config_selectorIssEEZZNS1_16scan_by_key_implILNS1_25lookback_scan_determinismE0ELb0ES3_N6thrust23THRUST_200600_302600_NS6detail15normal_iteratorINS9_10device_ptrIsEEEESE_SE_sNS9_10multipliesIsEENS9_8equal_toIsEEsEE10hipError_tPvRmT2_T3_T4_T5_mT6_T7_P12ihipStream_tbENKUlT_T0_E_clISt17integral_constantIbLb1EESZ_EEDaSU_SV_EUlSU_E_NS1_11comp_targetILNS1_3genE3ELNS1_11target_archE908ELNS1_3gpuE7ELNS1_3repE0EEENS1_30default_config_static_selectorELNS0_4arch9wavefront6targetE0EEEvT1_,comdat
.Lfunc_end294:
	.size	_ZN7rocprim17ROCPRIM_400000_NS6detail17trampoline_kernelINS0_14default_configENS1_27scan_by_key_config_selectorIssEEZZNS1_16scan_by_key_implILNS1_25lookback_scan_determinismE0ELb0ES3_N6thrust23THRUST_200600_302600_NS6detail15normal_iteratorINS9_10device_ptrIsEEEESE_SE_sNS9_10multipliesIsEENS9_8equal_toIsEEsEE10hipError_tPvRmT2_T3_T4_T5_mT6_T7_P12ihipStream_tbENKUlT_T0_E_clISt17integral_constantIbLb1EESZ_EEDaSU_SV_EUlSU_E_NS1_11comp_targetILNS1_3genE3ELNS1_11target_archE908ELNS1_3gpuE7ELNS1_3repE0EEENS1_30default_config_static_selectorELNS0_4arch9wavefront6targetE0EEEvT1_, .Lfunc_end294-_ZN7rocprim17ROCPRIM_400000_NS6detail17trampoline_kernelINS0_14default_configENS1_27scan_by_key_config_selectorIssEEZZNS1_16scan_by_key_implILNS1_25lookback_scan_determinismE0ELb0ES3_N6thrust23THRUST_200600_302600_NS6detail15normal_iteratorINS9_10device_ptrIsEEEESE_SE_sNS9_10multipliesIsEENS9_8equal_toIsEEsEE10hipError_tPvRmT2_T3_T4_T5_mT6_T7_P12ihipStream_tbENKUlT_T0_E_clISt17integral_constantIbLb1EESZ_EEDaSU_SV_EUlSU_E_NS1_11comp_targetILNS1_3genE3ELNS1_11target_archE908ELNS1_3gpuE7ELNS1_3repE0EEENS1_30default_config_static_selectorELNS0_4arch9wavefront6targetE0EEEvT1_
                                        ; -- End function
	.set _ZN7rocprim17ROCPRIM_400000_NS6detail17trampoline_kernelINS0_14default_configENS1_27scan_by_key_config_selectorIssEEZZNS1_16scan_by_key_implILNS1_25lookback_scan_determinismE0ELb0ES3_N6thrust23THRUST_200600_302600_NS6detail15normal_iteratorINS9_10device_ptrIsEEEESE_SE_sNS9_10multipliesIsEENS9_8equal_toIsEEsEE10hipError_tPvRmT2_T3_T4_T5_mT6_T7_P12ihipStream_tbENKUlT_T0_E_clISt17integral_constantIbLb1EESZ_EEDaSU_SV_EUlSU_E_NS1_11comp_targetILNS1_3genE3ELNS1_11target_archE908ELNS1_3gpuE7ELNS1_3repE0EEENS1_30default_config_static_selectorELNS0_4arch9wavefront6targetE0EEEvT1_.num_vgpr, 0
	.set _ZN7rocprim17ROCPRIM_400000_NS6detail17trampoline_kernelINS0_14default_configENS1_27scan_by_key_config_selectorIssEEZZNS1_16scan_by_key_implILNS1_25lookback_scan_determinismE0ELb0ES3_N6thrust23THRUST_200600_302600_NS6detail15normal_iteratorINS9_10device_ptrIsEEEESE_SE_sNS9_10multipliesIsEENS9_8equal_toIsEEsEE10hipError_tPvRmT2_T3_T4_T5_mT6_T7_P12ihipStream_tbENKUlT_T0_E_clISt17integral_constantIbLb1EESZ_EEDaSU_SV_EUlSU_E_NS1_11comp_targetILNS1_3genE3ELNS1_11target_archE908ELNS1_3gpuE7ELNS1_3repE0EEENS1_30default_config_static_selectorELNS0_4arch9wavefront6targetE0EEEvT1_.num_agpr, 0
	.set _ZN7rocprim17ROCPRIM_400000_NS6detail17trampoline_kernelINS0_14default_configENS1_27scan_by_key_config_selectorIssEEZZNS1_16scan_by_key_implILNS1_25lookback_scan_determinismE0ELb0ES3_N6thrust23THRUST_200600_302600_NS6detail15normal_iteratorINS9_10device_ptrIsEEEESE_SE_sNS9_10multipliesIsEENS9_8equal_toIsEEsEE10hipError_tPvRmT2_T3_T4_T5_mT6_T7_P12ihipStream_tbENKUlT_T0_E_clISt17integral_constantIbLb1EESZ_EEDaSU_SV_EUlSU_E_NS1_11comp_targetILNS1_3genE3ELNS1_11target_archE908ELNS1_3gpuE7ELNS1_3repE0EEENS1_30default_config_static_selectorELNS0_4arch9wavefront6targetE0EEEvT1_.numbered_sgpr, 0
	.set _ZN7rocprim17ROCPRIM_400000_NS6detail17trampoline_kernelINS0_14default_configENS1_27scan_by_key_config_selectorIssEEZZNS1_16scan_by_key_implILNS1_25lookback_scan_determinismE0ELb0ES3_N6thrust23THRUST_200600_302600_NS6detail15normal_iteratorINS9_10device_ptrIsEEEESE_SE_sNS9_10multipliesIsEENS9_8equal_toIsEEsEE10hipError_tPvRmT2_T3_T4_T5_mT6_T7_P12ihipStream_tbENKUlT_T0_E_clISt17integral_constantIbLb1EESZ_EEDaSU_SV_EUlSU_E_NS1_11comp_targetILNS1_3genE3ELNS1_11target_archE908ELNS1_3gpuE7ELNS1_3repE0EEENS1_30default_config_static_selectorELNS0_4arch9wavefront6targetE0EEEvT1_.num_named_barrier, 0
	.set _ZN7rocprim17ROCPRIM_400000_NS6detail17trampoline_kernelINS0_14default_configENS1_27scan_by_key_config_selectorIssEEZZNS1_16scan_by_key_implILNS1_25lookback_scan_determinismE0ELb0ES3_N6thrust23THRUST_200600_302600_NS6detail15normal_iteratorINS9_10device_ptrIsEEEESE_SE_sNS9_10multipliesIsEENS9_8equal_toIsEEsEE10hipError_tPvRmT2_T3_T4_T5_mT6_T7_P12ihipStream_tbENKUlT_T0_E_clISt17integral_constantIbLb1EESZ_EEDaSU_SV_EUlSU_E_NS1_11comp_targetILNS1_3genE3ELNS1_11target_archE908ELNS1_3gpuE7ELNS1_3repE0EEENS1_30default_config_static_selectorELNS0_4arch9wavefront6targetE0EEEvT1_.private_seg_size, 0
	.set _ZN7rocprim17ROCPRIM_400000_NS6detail17trampoline_kernelINS0_14default_configENS1_27scan_by_key_config_selectorIssEEZZNS1_16scan_by_key_implILNS1_25lookback_scan_determinismE0ELb0ES3_N6thrust23THRUST_200600_302600_NS6detail15normal_iteratorINS9_10device_ptrIsEEEESE_SE_sNS9_10multipliesIsEENS9_8equal_toIsEEsEE10hipError_tPvRmT2_T3_T4_T5_mT6_T7_P12ihipStream_tbENKUlT_T0_E_clISt17integral_constantIbLb1EESZ_EEDaSU_SV_EUlSU_E_NS1_11comp_targetILNS1_3genE3ELNS1_11target_archE908ELNS1_3gpuE7ELNS1_3repE0EEENS1_30default_config_static_selectorELNS0_4arch9wavefront6targetE0EEEvT1_.uses_vcc, 0
	.set _ZN7rocprim17ROCPRIM_400000_NS6detail17trampoline_kernelINS0_14default_configENS1_27scan_by_key_config_selectorIssEEZZNS1_16scan_by_key_implILNS1_25lookback_scan_determinismE0ELb0ES3_N6thrust23THRUST_200600_302600_NS6detail15normal_iteratorINS9_10device_ptrIsEEEESE_SE_sNS9_10multipliesIsEENS9_8equal_toIsEEsEE10hipError_tPvRmT2_T3_T4_T5_mT6_T7_P12ihipStream_tbENKUlT_T0_E_clISt17integral_constantIbLb1EESZ_EEDaSU_SV_EUlSU_E_NS1_11comp_targetILNS1_3genE3ELNS1_11target_archE908ELNS1_3gpuE7ELNS1_3repE0EEENS1_30default_config_static_selectorELNS0_4arch9wavefront6targetE0EEEvT1_.uses_flat_scratch, 0
	.set _ZN7rocprim17ROCPRIM_400000_NS6detail17trampoline_kernelINS0_14default_configENS1_27scan_by_key_config_selectorIssEEZZNS1_16scan_by_key_implILNS1_25lookback_scan_determinismE0ELb0ES3_N6thrust23THRUST_200600_302600_NS6detail15normal_iteratorINS9_10device_ptrIsEEEESE_SE_sNS9_10multipliesIsEENS9_8equal_toIsEEsEE10hipError_tPvRmT2_T3_T4_T5_mT6_T7_P12ihipStream_tbENKUlT_T0_E_clISt17integral_constantIbLb1EESZ_EEDaSU_SV_EUlSU_E_NS1_11comp_targetILNS1_3genE3ELNS1_11target_archE908ELNS1_3gpuE7ELNS1_3repE0EEENS1_30default_config_static_selectorELNS0_4arch9wavefront6targetE0EEEvT1_.has_dyn_sized_stack, 0
	.set _ZN7rocprim17ROCPRIM_400000_NS6detail17trampoline_kernelINS0_14default_configENS1_27scan_by_key_config_selectorIssEEZZNS1_16scan_by_key_implILNS1_25lookback_scan_determinismE0ELb0ES3_N6thrust23THRUST_200600_302600_NS6detail15normal_iteratorINS9_10device_ptrIsEEEESE_SE_sNS9_10multipliesIsEENS9_8equal_toIsEEsEE10hipError_tPvRmT2_T3_T4_T5_mT6_T7_P12ihipStream_tbENKUlT_T0_E_clISt17integral_constantIbLb1EESZ_EEDaSU_SV_EUlSU_E_NS1_11comp_targetILNS1_3genE3ELNS1_11target_archE908ELNS1_3gpuE7ELNS1_3repE0EEENS1_30default_config_static_selectorELNS0_4arch9wavefront6targetE0EEEvT1_.has_recursion, 0
	.set _ZN7rocprim17ROCPRIM_400000_NS6detail17trampoline_kernelINS0_14default_configENS1_27scan_by_key_config_selectorIssEEZZNS1_16scan_by_key_implILNS1_25lookback_scan_determinismE0ELb0ES3_N6thrust23THRUST_200600_302600_NS6detail15normal_iteratorINS9_10device_ptrIsEEEESE_SE_sNS9_10multipliesIsEENS9_8equal_toIsEEsEE10hipError_tPvRmT2_T3_T4_T5_mT6_T7_P12ihipStream_tbENKUlT_T0_E_clISt17integral_constantIbLb1EESZ_EEDaSU_SV_EUlSU_E_NS1_11comp_targetILNS1_3genE3ELNS1_11target_archE908ELNS1_3gpuE7ELNS1_3repE0EEENS1_30default_config_static_selectorELNS0_4arch9wavefront6targetE0EEEvT1_.has_indirect_call, 0
	.section	.AMDGPU.csdata,"",@progbits
; Kernel info:
; codeLenInByte = 0
; TotalNumSgprs: 0
; NumVgprs: 0
; ScratchSize: 0
; MemoryBound: 0
; FloatMode: 240
; IeeeMode: 1
; LDSByteSize: 0 bytes/workgroup (compile time only)
; SGPRBlocks: 0
; VGPRBlocks: 0
; NumSGPRsForWavesPerEU: 1
; NumVGPRsForWavesPerEU: 1
; Occupancy: 16
; WaveLimiterHint : 0
; COMPUTE_PGM_RSRC2:SCRATCH_EN: 0
; COMPUTE_PGM_RSRC2:USER_SGPR: 6
; COMPUTE_PGM_RSRC2:TRAP_HANDLER: 0
; COMPUTE_PGM_RSRC2:TGID_X_EN: 1
; COMPUTE_PGM_RSRC2:TGID_Y_EN: 0
; COMPUTE_PGM_RSRC2:TGID_Z_EN: 0
; COMPUTE_PGM_RSRC2:TIDIG_COMP_CNT: 0
	.section	.text._ZN7rocprim17ROCPRIM_400000_NS6detail17trampoline_kernelINS0_14default_configENS1_27scan_by_key_config_selectorIssEEZZNS1_16scan_by_key_implILNS1_25lookback_scan_determinismE0ELb0ES3_N6thrust23THRUST_200600_302600_NS6detail15normal_iteratorINS9_10device_ptrIsEEEESE_SE_sNS9_10multipliesIsEENS9_8equal_toIsEEsEE10hipError_tPvRmT2_T3_T4_T5_mT6_T7_P12ihipStream_tbENKUlT_T0_E_clISt17integral_constantIbLb1EESZ_EEDaSU_SV_EUlSU_E_NS1_11comp_targetILNS1_3genE2ELNS1_11target_archE906ELNS1_3gpuE6ELNS1_3repE0EEENS1_30default_config_static_selectorELNS0_4arch9wavefront6targetE0EEEvT1_,"axG",@progbits,_ZN7rocprim17ROCPRIM_400000_NS6detail17trampoline_kernelINS0_14default_configENS1_27scan_by_key_config_selectorIssEEZZNS1_16scan_by_key_implILNS1_25lookback_scan_determinismE0ELb0ES3_N6thrust23THRUST_200600_302600_NS6detail15normal_iteratorINS9_10device_ptrIsEEEESE_SE_sNS9_10multipliesIsEENS9_8equal_toIsEEsEE10hipError_tPvRmT2_T3_T4_T5_mT6_T7_P12ihipStream_tbENKUlT_T0_E_clISt17integral_constantIbLb1EESZ_EEDaSU_SV_EUlSU_E_NS1_11comp_targetILNS1_3genE2ELNS1_11target_archE906ELNS1_3gpuE6ELNS1_3repE0EEENS1_30default_config_static_selectorELNS0_4arch9wavefront6targetE0EEEvT1_,comdat
	.protected	_ZN7rocprim17ROCPRIM_400000_NS6detail17trampoline_kernelINS0_14default_configENS1_27scan_by_key_config_selectorIssEEZZNS1_16scan_by_key_implILNS1_25lookback_scan_determinismE0ELb0ES3_N6thrust23THRUST_200600_302600_NS6detail15normal_iteratorINS9_10device_ptrIsEEEESE_SE_sNS9_10multipliesIsEENS9_8equal_toIsEEsEE10hipError_tPvRmT2_T3_T4_T5_mT6_T7_P12ihipStream_tbENKUlT_T0_E_clISt17integral_constantIbLb1EESZ_EEDaSU_SV_EUlSU_E_NS1_11comp_targetILNS1_3genE2ELNS1_11target_archE906ELNS1_3gpuE6ELNS1_3repE0EEENS1_30default_config_static_selectorELNS0_4arch9wavefront6targetE0EEEvT1_ ; -- Begin function _ZN7rocprim17ROCPRIM_400000_NS6detail17trampoline_kernelINS0_14default_configENS1_27scan_by_key_config_selectorIssEEZZNS1_16scan_by_key_implILNS1_25lookback_scan_determinismE0ELb0ES3_N6thrust23THRUST_200600_302600_NS6detail15normal_iteratorINS9_10device_ptrIsEEEESE_SE_sNS9_10multipliesIsEENS9_8equal_toIsEEsEE10hipError_tPvRmT2_T3_T4_T5_mT6_T7_P12ihipStream_tbENKUlT_T0_E_clISt17integral_constantIbLb1EESZ_EEDaSU_SV_EUlSU_E_NS1_11comp_targetILNS1_3genE2ELNS1_11target_archE906ELNS1_3gpuE6ELNS1_3repE0EEENS1_30default_config_static_selectorELNS0_4arch9wavefront6targetE0EEEvT1_
	.globl	_ZN7rocprim17ROCPRIM_400000_NS6detail17trampoline_kernelINS0_14default_configENS1_27scan_by_key_config_selectorIssEEZZNS1_16scan_by_key_implILNS1_25lookback_scan_determinismE0ELb0ES3_N6thrust23THRUST_200600_302600_NS6detail15normal_iteratorINS9_10device_ptrIsEEEESE_SE_sNS9_10multipliesIsEENS9_8equal_toIsEEsEE10hipError_tPvRmT2_T3_T4_T5_mT6_T7_P12ihipStream_tbENKUlT_T0_E_clISt17integral_constantIbLb1EESZ_EEDaSU_SV_EUlSU_E_NS1_11comp_targetILNS1_3genE2ELNS1_11target_archE906ELNS1_3gpuE6ELNS1_3repE0EEENS1_30default_config_static_selectorELNS0_4arch9wavefront6targetE0EEEvT1_
	.p2align	8
	.type	_ZN7rocprim17ROCPRIM_400000_NS6detail17trampoline_kernelINS0_14default_configENS1_27scan_by_key_config_selectorIssEEZZNS1_16scan_by_key_implILNS1_25lookback_scan_determinismE0ELb0ES3_N6thrust23THRUST_200600_302600_NS6detail15normal_iteratorINS9_10device_ptrIsEEEESE_SE_sNS9_10multipliesIsEENS9_8equal_toIsEEsEE10hipError_tPvRmT2_T3_T4_T5_mT6_T7_P12ihipStream_tbENKUlT_T0_E_clISt17integral_constantIbLb1EESZ_EEDaSU_SV_EUlSU_E_NS1_11comp_targetILNS1_3genE2ELNS1_11target_archE906ELNS1_3gpuE6ELNS1_3repE0EEENS1_30default_config_static_selectorELNS0_4arch9wavefront6targetE0EEEvT1_,@function
_ZN7rocprim17ROCPRIM_400000_NS6detail17trampoline_kernelINS0_14default_configENS1_27scan_by_key_config_selectorIssEEZZNS1_16scan_by_key_implILNS1_25lookback_scan_determinismE0ELb0ES3_N6thrust23THRUST_200600_302600_NS6detail15normal_iteratorINS9_10device_ptrIsEEEESE_SE_sNS9_10multipliesIsEENS9_8equal_toIsEEsEE10hipError_tPvRmT2_T3_T4_T5_mT6_T7_P12ihipStream_tbENKUlT_T0_E_clISt17integral_constantIbLb1EESZ_EEDaSU_SV_EUlSU_E_NS1_11comp_targetILNS1_3genE2ELNS1_11target_archE906ELNS1_3gpuE6ELNS1_3repE0EEENS1_30default_config_static_selectorELNS0_4arch9wavefront6targetE0EEEvT1_: ; @_ZN7rocprim17ROCPRIM_400000_NS6detail17trampoline_kernelINS0_14default_configENS1_27scan_by_key_config_selectorIssEEZZNS1_16scan_by_key_implILNS1_25lookback_scan_determinismE0ELb0ES3_N6thrust23THRUST_200600_302600_NS6detail15normal_iteratorINS9_10device_ptrIsEEEESE_SE_sNS9_10multipliesIsEENS9_8equal_toIsEEsEE10hipError_tPvRmT2_T3_T4_T5_mT6_T7_P12ihipStream_tbENKUlT_T0_E_clISt17integral_constantIbLb1EESZ_EEDaSU_SV_EUlSU_E_NS1_11comp_targetILNS1_3genE2ELNS1_11target_archE906ELNS1_3gpuE6ELNS1_3repE0EEENS1_30default_config_static_selectorELNS0_4arch9wavefront6targetE0EEEvT1_
; %bb.0:
	.section	.rodata,"a",@progbits
	.p2align	6, 0x0
	.amdhsa_kernel _ZN7rocprim17ROCPRIM_400000_NS6detail17trampoline_kernelINS0_14default_configENS1_27scan_by_key_config_selectorIssEEZZNS1_16scan_by_key_implILNS1_25lookback_scan_determinismE0ELb0ES3_N6thrust23THRUST_200600_302600_NS6detail15normal_iteratorINS9_10device_ptrIsEEEESE_SE_sNS9_10multipliesIsEENS9_8equal_toIsEEsEE10hipError_tPvRmT2_T3_T4_T5_mT6_T7_P12ihipStream_tbENKUlT_T0_E_clISt17integral_constantIbLb1EESZ_EEDaSU_SV_EUlSU_E_NS1_11comp_targetILNS1_3genE2ELNS1_11target_archE906ELNS1_3gpuE6ELNS1_3repE0EEENS1_30default_config_static_selectorELNS0_4arch9wavefront6targetE0EEEvT1_
		.amdhsa_group_segment_fixed_size 0
		.amdhsa_private_segment_fixed_size 0
		.amdhsa_kernarg_size 112
		.amdhsa_user_sgpr_count 6
		.amdhsa_user_sgpr_private_segment_buffer 1
		.amdhsa_user_sgpr_dispatch_ptr 0
		.amdhsa_user_sgpr_queue_ptr 0
		.amdhsa_user_sgpr_kernarg_segment_ptr 1
		.amdhsa_user_sgpr_dispatch_id 0
		.amdhsa_user_sgpr_flat_scratch_init 0
		.amdhsa_user_sgpr_private_segment_size 0
		.amdhsa_wavefront_size32 1
		.amdhsa_uses_dynamic_stack 0
		.amdhsa_system_sgpr_private_segment_wavefront_offset 0
		.amdhsa_system_sgpr_workgroup_id_x 1
		.amdhsa_system_sgpr_workgroup_id_y 0
		.amdhsa_system_sgpr_workgroup_id_z 0
		.amdhsa_system_sgpr_workgroup_info 0
		.amdhsa_system_vgpr_workitem_id 0
		.amdhsa_next_free_vgpr 1
		.amdhsa_next_free_sgpr 1
		.amdhsa_reserve_vcc 0
		.amdhsa_reserve_flat_scratch 0
		.amdhsa_float_round_mode_32 0
		.amdhsa_float_round_mode_16_64 0
		.amdhsa_float_denorm_mode_32 3
		.amdhsa_float_denorm_mode_16_64 3
		.amdhsa_dx10_clamp 1
		.amdhsa_ieee_mode 1
		.amdhsa_fp16_overflow 0
		.amdhsa_workgroup_processor_mode 1
		.amdhsa_memory_ordered 1
		.amdhsa_forward_progress 1
		.amdhsa_shared_vgpr_count 0
		.amdhsa_exception_fp_ieee_invalid_op 0
		.amdhsa_exception_fp_denorm_src 0
		.amdhsa_exception_fp_ieee_div_zero 0
		.amdhsa_exception_fp_ieee_overflow 0
		.amdhsa_exception_fp_ieee_underflow 0
		.amdhsa_exception_fp_ieee_inexact 0
		.amdhsa_exception_int_div_zero 0
	.end_amdhsa_kernel
	.section	.text._ZN7rocprim17ROCPRIM_400000_NS6detail17trampoline_kernelINS0_14default_configENS1_27scan_by_key_config_selectorIssEEZZNS1_16scan_by_key_implILNS1_25lookback_scan_determinismE0ELb0ES3_N6thrust23THRUST_200600_302600_NS6detail15normal_iteratorINS9_10device_ptrIsEEEESE_SE_sNS9_10multipliesIsEENS9_8equal_toIsEEsEE10hipError_tPvRmT2_T3_T4_T5_mT6_T7_P12ihipStream_tbENKUlT_T0_E_clISt17integral_constantIbLb1EESZ_EEDaSU_SV_EUlSU_E_NS1_11comp_targetILNS1_3genE2ELNS1_11target_archE906ELNS1_3gpuE6ELNS1_3repE0EEENS1_30default_config_static_selectorELNS0_4arch9wavefront6targetE0EEEvT1_,"axG",@progbits,_ZN7rocprim17ROCPRIM_400000_NS6detail17trampoline_kernelINS0_14default_configENS1_27scan_by_key_config_selectorIssEEZZNS1_16scan_by_key_implILNS1_25lookback_scan_determinismE0ELb0ES3_N6thrust23THRUST_200600_302600_NS6detail15normal_iteratorINS9_10device_ptrIsEEEESE_SE_sNS9_10multipliesIsEENS9_8equal_toIsEEsEE10hipError_tPvRmT2_T3_T4_T5_mT6_T7_P12ihipStream_tbENKUlT_T0_E_clISt17integral_constantIbLb1EESZ_EEDaSU_SV_EUlSU_E_NS1_11comp_targetILNS1_3genE2ELNS1_11target_archE906ELNS1_3gpuE6ELNS1_3repE0EEENS1_30default_config_static_selectorELNS0_4arch9wavefront6targetE0EEEvT1_,comdat
.Lfunc_end295:
	.size	_ZN7rocprim17ROCPRIM_400000_NS6detail17trampoline_kernelINS0_14default_configENS1_27scan_by_key_config_selectorIssEEZZNS1_16scan_by_key_implILNS1_25lookback_scan_determinismE0ELb0ES3_N6thrust23THRUST_200600_302600_NS6detail15normal_iteratorINS9_10device_ptrIsEEEESE_SE_sNS9_10multipliesIsEENS9_8equal_toIsEEsEE10hipError_tPvRmT2_T3_T4_T5_mT6_T7_P12ihipStream_tbENKUlT_T0_E_clISt17integral_constantIbLb1EESZ_EEDaSU_SV_EUlSU_E_NS1_11comp_targetILNS1_3genE2ELNS1_11target_archE906ELNS1_3gpuE6ELNS1_3repE0EEENS1_30default_config_static_selectorELNS0_4arch9wavefront6targetE0EEEvT1_, .Lfunc_end295-_ZN7rocprim17ROCPRIM_400000_NS6detail17trampoline_kernelINS0_14default_configENS1_27scan_by_key_config_selectorIssEEZZNS1_16scan_by_key_implILNS1_25lookback_scan_determinismE0ELb0ES3_N6thrust23THRUST_200600_302600_NS6detail15normal_iteratorINS9_10device_ptrIsEEEESE_SE_sNS9_10multipliesIsEENS9_8equal_toIsEEsEE10hipError_tPvRmT2_T3_T4_T5_mT6_T7_P12ihipStream_tbENKUlT_T0_E_clISt17integral_constantIbLb1EESZ_EEDaSU_SV_EUlSU_E_NS1_11comp_targetILNS1_3genE2ELNS1_11target_archE906ELNS1_3gpuE6ELNS1_3repE0EEENS1_30default_config_static_selectorELNS0_4arch9wavefront6targetE0EEEvT1_
                                        ; -- End function
	.set _ZN7rocprim17ROCPRIM_400000_NS6detail17trampoline_kernelINS0_14default_configENS1_27scan_by_key_config_selectorIssEEZZNS1_16scan_by_key_implILNS1_25lookback_scan_determinismE0ELb0ES3_N6thrust23THRUST_200600_302600_NS6detail15normal_iteratorINS9_10device_ptrIsEEEESE_SE_sNS9_10multipliesIsEENS9_8equal_toIsEEsEE10hipError_tPvRmT2_T3_T4_T5_mT6_T7_P12ihipStream_tbENKUlT_T0_E_clISt17integral_constantIbLb1EESZ_EEDaSU_SV_EUlSU_E_NS1_11comp_targetILNS1_3genE2ELNS1_11target_archE906ELNS1_3gpuE6ELNS1_3repE0EEENS1_30default_config_static_selectorELNS0_4arch9wavefront6targetE0EEEvT1_.num_vgpr, 0
	.set _ZN7rocprim17ROCPRIM_400000_NS6detail17trampoline_kernelINS0_14default_configENS1_27scan_by_key_config_selectorIssEEZZNS1_16scan_by_key_implILNS1_25lookback_scan_determinismE0ELb0ES3_N6thrust23THRUST_200600_302600_NS6detail15normal_iteratorINS9_10device_ptrIsEEEESE_SE_sNS9_10multipliesIsEENS9_8equal_toIsEEsEE10hipError_tPvRmT2_T3_T4_T5_mT6_T7_P12ihipStream_tbENKUlT_T0_E_clISt17integral_constantIbLb1EESZ_EEDaSU_SV_EUlSU_E_NS1_11comp_targetILNS1_3genE2ELNS1_11target_archE906ELNS1_3gpuE6ELNS1_3repE0EEENS1_30default_config_static_selectorELNS0_4arch9wavefront6targetE0EEEvT1_.num_agpr, 0
	.set _ZN7rocprim17ROCPRIM_400000_NS6detail17trampoline_kernelINS0_14default_configENS1_27scan_by_key_config_selectorIssEEZZNS1_16scan_by_key_implILNS1_25lookback_scan_determinismE0ELb0ES3_N6thrust23THRUST_200600_302600_NS6detail15normal_iteratorINS9_10device_ptrIsEEEESE_SE_sNS9_10multipliesIsEENS9_8equal_toIsEEsEE10hipError_tPvRmT2_T3_T4_T5_mT6_T7_P12ihipStream_tbENKUlT_T0_E_clISt17integral_constantIbLb1EESZ_EEDaSU_SV_EUlSU_E_NS1_11comp_targetILNS1_3genE2ELNS1_11target_archE906ELNS1_3gpuE6ELNS1_3repE0EEENS1_30default_config_static_selectorELNS0_4arch9wavefront6targetE0EEEvT1_.numbered_sgpr, 0
	.set _ZN7rocprim17ROCPRIM_400000_NS6detail17trampoline_kernelINS0_14default_configENS1_27scan_by_key_config_selectorIssEEZZNS1_16scan_by_key_implILNS1_25lookback_scan_determinismE0ELb0ES3_N6thrust23THRUST_200600_302600_NS6detail15normal_iteratorINS9_10device_ptrIsEEEESE_SE_sNS9_10multipliesIsEENS9_8equal_toIsEEsEE10hipError_tPvRmT2_T3_T4_T5_mT6_T7_P12ihipStream_tbENKUlT_T0_E_clISt17integral_constantIbLb1EESZ_EEDaSU_SV_EUlSU_E_NS1_11comp_targetILNS1_3genE2ELNS1_11target_archE906ELNS1_3gpuE6ELNS1_3repE0EEENS1_30default_config_static_selectorELNS0_4arch9wavefront6targetE0EEEvT1_.num_named_barrier, 0
	.set _ZN7rocprim17ROCPRIM_400000_NS6detail17trampoline_kernelINS0_14default_configENS1_27scan_by_key_config_selectorIssEEZZNS1_16scan_by_key_implILNS1_25lookback_scan_determinismE0ELb0ES3_N6thrust23THRUST_200600_302600_NS6detail15normal_iteratorINS9_10device_ptrIsEEEESE_SE_sNS9_10multipliesIsEENS9_8equal_toIsEEsEE10hipError_tPvRmT2_T3_T4_T5_mT6_T7_P12ihipStream_tbENKUlT_T0_E_clISt17integral_constantIbLb1EESZ_EEDaSU_SV_EUlSU_E_NS1_11comp_targetILNS1_3genE2ELNS1_11target_archE906ELNS1_3gpuE6ELNS1_3repE0EEENS1_30default_config_static_selectorELNS0_4arch9wavefront6targetE0EEEvT1_.private_seg_size, 0
	.set _ZN7rocprim17ROCPRIM_400000_NS6detail17trampoline_kernelINS0_14default_configENS1_27scan_by_key_config_selectorIssEEZZNS1_16scan_by_key_implILNS1_25lookback_scan_determinismE0ELb0ES3_N6thrust23THRUST_200600_302600_NS6detail15normal_iteratorINS9_10device_ptrIsEEEESE_SE_sNS9_10multipliesIsEENS9_8equal_toIsEEsEE10hipError_tPvRmT2_T3_T4_T5_mT6_T7_P12ihipStream_tbENKUlT_T0_E_clISt17integral_constantIbLb1EESZ_EEDaSU_SV_EUlSU_E_NS1_11comp_targetILNS1_3genE2ELNS1_11target_archE906ELNS1_3gpuE6ELNS1_3repE0EEENS1_30default_config_static_selectorELNS0_4arch9wavefront6targetE0EEEvT1_.uses_vcc, 0
	.set _ZN7rocprim17ROCPRIM_400000_NS6detail17trampoline_kernelINS0_14default_configENS1_27scan_by_key_config_selectorIssEEZZNS1_16scan_by_key_implILNS1_25lookback_scan_determinismE0ELb0ES3_N6thrust23THRUST_200600_302600_NS6detail15normal_iteratorINS9_10device_ptrIsEEEESE_SE_sNS9_10multipliesIsEENS9_8equal_toIsEEsEE10hipError_tPvRmT2_T3_T4_T5_mT6_T7_P12ihipStream_tbENKUlT_T0_E_clISt17integral_constantIbLb1EESZ_EEDaSU_SV_EUlSU_E_NS1_11comp_targetILNS1_3genE2ELNS1_11target_archE906ELNS1_3gpuE6ELNS1_3repE0EEENS1_30default_config_static_selectorELNS0_4arch9wavefront6targetE0EEEvT1_.uses_flat_scratch, 0
	.set _ZN7rocprim17ROCPRIM_400000_NS6detail17trampoline_kernelINS0_14default_configENS1_27scan_by_key_config_selectorIssEEZZNS1_16scan_by_key_implILNS1_25lookback_scan_determinismE0ELb0ES3_N6thrust23THRUST_200600_302600_NS6detail15normal_iteratorINS9_10device_ptrIsEEEESE_SE_sNS9_10multipliesIsEENS9_8equal_toIsEEsEE10hipError_tPvRmT2_T3_T4_T5_mT6_T7_P12ihipStream_tbENKUlT_T0_E_clISt17integral_constantIbLb1EESZ_EEDaSU_SV_EUlSU_E_NS1_11comp_targetILNS1_3genE2ELNS1_11target_archE906ELNS1_3gpuE6ELNS1_3repE0EEENS1_30default_config_static_selectorELNS0_4arch9wavefront6targetE0EEEvT1_.has_dyn_sized_stack, 0
	.set _ZN7rocprim17ROCPRIM_400000_NS6detail17trampoline_kernelINS0_14default_configENS1_27scan_by_key_config_selectorIssEEZZNS1_16scan_by_key_implILNS1_25lookback_scan_determinismE0ELb0ES3_N6thrust23THRUST_200600_302600_NS6detail15normal_iteratorINS9_10device_ptrIsEEEESE_SE_sNS9_10multipliesIsEENS9_8equal_toIsEEsEE10hipError_tPvRmT2_T3_T4_T5_mT6_T7_P12ihipStream_tbENKUlT_T0_E_clISt17integral_constantIbLb1EESZ_EEDaSU_SV_EUlSU_E_NS1_11comp_targetILNS1_3genE2ELNS1_11target_archE906ELNS1_3gpuE6ELNS1_3repE0EEENS1_30default_config_static_selectorELNS0_4arch9wavefront6targetE0EEEvT1_.has_recursion, 0
	.set _ZN7rocprim17ROCPRIM_400000_NS6detail17trampoline_kernelINS0_14default_configENS1_27scan_by_key_config_selectorIssEEZZNS1_16scan_by_key_implILNS1_25lookback_scan_determinismE0ELb0ES3_N6thrust23THRUST_200600_302600_NS6detail15normal_iteratorINS9_10device_ptrIsEEEESE_SE_sNS9_10multipliesIsEENS9_8equal_toIsEEsEE10hipError_tPvRmT2_T3_T4_T5_mT6_T7_P12ihipStream_tbENKUlT_T0_E_clISt17integral_constantIbLb1EESZ_EEDaSU_SV_EUlSU_E_NS1_11comp_targetILNS1_3genE2ELNS1_11target_archE906ELNS1_3gpuE6ELNS1_3repE0EEENS1_30default_config_static_selectorELNS0_4arch9wavefront6targetE0EEEvT1_.has_indirect_call, 0
	.section	.AMDGPU.csdata,"",@progbits
; Kernel info:
; codeLenInByte = 0
; TotalNumSgprs: 0
; NumVgprs: 0
; ScratchSize: 0
; MemoryBound: 0
; FloatMode: 240
; IeeeMode: 1
; LDSByteSize: 0 bytes/workgroup (compile time only)
; SGPRBlocks: 0
; VGPRBlocks: 0
; NumSGPRsForWavesPerEU: 1
; NumVGPRsForWavesPerEU: 1
; Occupancy: 16
; WaveLimiterHint : 0
; COMPUTE_PGM_RSRC2:SCRATCH_EN: 0
; COMPUTE_PGM_RSRC2:USER_SGPR: 6
; COMPUTE_PGM_RSRC2:TRAP_HANDLER: 0
; COMPUTE_PGM_RSRC2:TGID_X_EN: 1
; COMPUTE_PGM_RSRC2:TGID_Y_EN: 0
; COMPUTE_PGM_RSRC2:TGID_Z_EN: 0
; COMPUTE_PGM_RSRC2:TIDIG_COMP_CNT: 0
	.section	.text._ZN7rocprim17ROCPRIM_400000_NS6detail17trampoline_kernelINS0_14default_configENS1_27scan_by_key_config_selectorIssEEZZNS1_16scan_by_key_implILNS1_25lookback_scan_determinismE0ELb0ES3_N6thrust23THRUST_200600_302600_NS6detail15normal_iteratorINS9_10device_ptrIsEEEESE_SE_sNS9_10multipliesIsEENS9_8equal_toIsEEsEE10hipError_tPvRmT2_T3_T4_T5_mT6_T7_P12ihipStream_tbENKUlT_T0_E_clISt17integral_constantIbLb1EESZ_EEDaSU_SV_EUlSU_E_NS1_11comp_targetILNS1_3genE10ELNS1_11target_archE1200ELNS1_3gpuE4ELNS1_3repE0EEENS1_30default_config_static_selectorELNS0_4arch9wavefront6targetE0EEEvT1_,"axG",@progbits,_ZN7rocprim17ROCPRIM_400000_NS6detail17trampoline_kernelINS0_14default_configENS1_27scan_by_key_config_selectorIssEEZZNS1_16scan_by_key_implILNS1_25lookback_scan_determinismE0ELb0ES3_N6thrust23THRUST_200600_302600_NS6detail15normal_iteratorINS9_10device_ptrIsEEEESE_SE_sNS9_10multipliesIsEENS9_8equal_toIsEEsEE10hipError_tPvRmT2_T3_T4_T5_mT6_T7_P12ihipStream_tbENKUlT_T0_E_clISt17integral_constantIbLb1EESZ_EEDaSU_SV_EUlSU_E_NS1_11comp_targetILNS1_3genE10ELNS1_11target_archE1200ELNS1_3gpuE4ELNS1_3repE0EEENS1_30default_config_static_selectorELNS0_4arch9wavefront6targetE0EEEvT1_,comdat
	.protected	_ZN7rocprim17ROCPRIM_400000_NS6detail17trampoline_kernelINS0_14default_configENS1_27scan_by_key_config_selectorIssEEZZNS1_16scan_by_key_implILNS1_25lookback_scan_determinismE0ELb0ES3_N6thrust23THRUST_200600_302600_NS6detail15normal_iteratorINS9_10device_ptrIsEEEESE_SE_sNS9_10multipliesIsEENS9_8equal_toIsEEsEE10hipError_tPvRmT2_T3_T4_T5_mT6_T7_P12ihipStream_tbENKUlT_T0_E_clISt17integral_constantIbLb1EESZ_EEDaSU_SV_EUlSU_E_NS1_11comp_targetILNS1_3genE10ELNS1_11target_archE1200ELNS1_3gpuE4ELNS1_3repE0EEENS1_30default_config_static_selectorELNS0_4arch9wavefront6targetE0EEEvT1_ ; -- Begin function _ZN7rocprim17ROCPRIM_400000_NS6detail17trampoline_kernelINS0_14default_configENS1_27scan_by_key_config_selectorIssEEZZNS1_16scan_by_key_implILNS1_25lookback_scan_determinismE0ELb0ES3_N6thrust23THRUST_200600_302600_NS6detail15normal_iteratorINS9_10device_ptrIsEEEESE_SE_sNS9_10multipliesIsEENS9_8equal_toIsEEsEE10hipError_tPvRmT2_T3_T4_T5_mT6_T7_P12ihipStream_tbENKUlT_T0_E_clISt17integral_constantIbLb1EESZ_EEDaSU_SV_EUlSU_E_NS1_11comp_targetILNS1_3genE10ELNS1_11target_archE1200ELNS1_3gpuE4ELNS1_3repE0EEENS1_30default_config_static_selectorELNS0_4arch9wavefront6targetE0EEEvT1_
	.globl	_ZN7rocprim17ROCPRIM_400000_NS6detail17trampoline_kernelINS0_14default_configENS1_27scan_by_key_config_selectorIssEEZZNS1_16scan_by_key_implILNS1_25lookback_scan_determinismE0ELb0ES3_N6thrust23THRUST_200600_302600_NS6detail15normal_iteratorINS9_10device_ptrIsEEEESE_SE_sNS9_10multipliesIsEENS9_8equal_toIsEEsEE10hipError_tPvRmT2_T3_T4_T5_mT6_T7_P12ihipStream_tbENKUlT_T0_E_clISt17integral_constantIbLb1EESZ_EEDaSU_SV_EUlSU_E_NS1_11comp_targetILNS1_3genE10ELNS1_11target_archE1200ELNS1_3gpuE4ELNS1_3repE0EEENS1_30default_config_static_selectorELNS0_4arch9wavefront6targetE0EEEvT1_
	.p2align	8
	.type	_ZN7rocprim17ROCPRIM_400000_NS6detail17trampoline_kernelINS0_14default_configENS1_27scan_by_key_config_selectorIssEEZZNS1_16scan_by_key_implILNS1_25lookback_scan_determinismE0ELb0ES3_N6thrust23THRUST_200600_302600_NS6detail15normal_iteratorINS9_10device_ptrIsEEEESE_SE_sNS9_10multipliesIsEENS9_8equal_toIsEEsEE10hipError_tPvRmT2_T3_T4_T5_mT6_T7_P12ihipStream_tbENKUlT_T0_E_clISt17integral_constantIbLb1EESZ_EEDaSU_SV_EUlSU_E_NS1_11comp_targetILNS1_3genE10ELNS1_11target_archE1200ELNS1_3gpuE4ELNS1_3repE0EEENS1_30default_config_static_selectorELNS0_4arch9wavefront6targetE0EEEvT1_,@function
_ZN7rocprim17ROCPRIM_400000_NS6detail17trampoline_kernelINS0_14default_configENS1_27scan_by_key_config_selectorIssEEZZNS1_16scan_by_key_implILNS1_25lookback_scan_determinismE0ELb0ES3_N6thrust23THRUST_200600_302600_NS6detail15normal_iteratorINS9_10device_ptrIsEEEESE_SE_sNS9_10multipliesIsEENS9_8equal_toIsEEsEE10hipError_tPvRmT2_T3_T4_T5_mT6_T7_P12ihipStream_tbENKUlT_T0_E_clISt17integral_constantIbLb1EESZ_EEDaSU_SV_EUlSU_E_NS1_11comp_targetILNS1_3genE10ELNS1_11target_archE1200ELNS1_3gpuE4ELNS1_3repE0EEENS1_30default_config_static_selectorELNS0_4arch9wavefront6targetE0EEEvT1_: ; @_ZN7rocprim17ROCPRIM_400000_NS6detail17trampoline_kernelINS0_14default_configENS1_27scan_by_key_config_selectorIssEEZZNS1_16scan_by_key_implILNS1_25lookback_scan_determinismE0ELb0ES3_N6thrust23THRUST_200600_302600_NS6detail15normal_iteratorINS9_10device_ptrIsEEEESE_SE_sNS9_10multipliesIsEENS9_8equal_toIsEEsEE10hipError_tPvRmT2_T3_T4_T5_mT6_T7_P12ihipStream_tbENKUlT_T0_E_clISt17integral_constantIbLb1EESZ_EEDaSU_SV_EUlSU_E_NS1_11comp_targetILNS1_3genE10ELNS1_11target_archE1200ELNS1_3gpuE4ELNS1_3repE0EEENS1_30default_config_static_selectorELNS0_4arch9wavefront6targetE0EEEvT1_
; %bb.0:
	.section	.rodata,"a",@progbits
	.p2align	6, 0x0
	.amdhsa_kernel _ZN7rocprim17ROCPRIM_400000_NS6detail17trampoline_kernelINS0_14default_configENS1_27scan_by_key_config_selectorIssEEZZNS1_16scan_by_key_implILNS1_25lookback_scan_determinismE0ELb0ES3_N6thrust23THRUST_200600_302600_NS6detail15normal_iteratorINS9_10device_ptrIsEEEESE_SE_sNS9_10multipliesIsEENS9_8equal_toIsEEsEE10hipError_tPvRmT2_T3_T4_T5_mT6_T7_P12ihipStream_tbENKUlT_T0_E_clISt17integral_constantIbLb1EESZ_EEDaSU_SV_EUlSU_E_NS1_11comp_targetILNS1_3genE10ELNS1_11target_archE1200ELNS1_3gpuE4ELNS1_3repE0EEENS1_30default_config_static_selectorELNS0_4arch9wavefront6targetE0EEEvT1_
		.amdhsa_group_segment_fixed_size 0
		.amdhsa_private_segment_fixed_size 0
		.amdhsa_kernarg_size 112
		.amdhsa_user_sgpr_count 6
		.amdhsa_user_sgpr_private_segment_buffer 1
		.amdhsa_user_sgpr_dispatch_ptr 0
		.amdhsa_user_sgpr_queue_ptr 0
		.amdhsa_user_sgpr_kernarg_segment_ptr 1
		.amdhsa_user_sgpr_dispatch_id 0
		.amdhsa_user_sgpr_flat_scratch_init 0
		.amdhsa_user_sgpr_private_segment_size 0
		.amdhsa_wavefront_size32 1
		.amdhsa_uses_dynamic_stack 0
		.amdhsa_system_sgpr_private_segment_wavefront_offset 0
		.amdhsa_system_sgpr_workgroup_id_x 1
		.amdhsa_system_sgpr_workgroup_id_y 0
		.amdhsa_system_sgpr_workgroup_id_z 0
		.amdhsa_system_sgpr_workgroup_info 0
		.amdhsa_system_vgpr_workitem_id 0
		.amdhsa_next_free_vgpr 1
		.amdhsa_next_free_sgpr 1
		.amdhsa_reserve_vcc 0
		.amdhsa_reserve_flat_scratch 0
		.amdhsa_float_round_mode_32 0
		.amdhsa_float_round_mode_16_64 0
		.amdhsa_float_denorm_mode_32 3
		.amdhsa_float_denorm_mode_16_64 3
		.amdhsa_dx10_clamp 1
		.amdhsa_ieee_mode 1
		.amdhsa_fp16_overflow 0
		.amdhsa_workgroup_processor_mode 1
		.amdhsa_memory_ordered 1
		.amdhsa_forward_progress 1
		.amdhsa_shared_vgpr_count 0
		.amdhsa_exception_fp_ieee_invalid_op 0
		.amdhsa_exception_fp_denorm_src 0
		.amdhsa_exception_fp_ieee_div_zero 0
		.amdhsa_exception_fp_ieee_overflow 0
		.amdhsa_exception_fp_ieee_underflow 0
		.amdhsa_exception_fp_ieee_inexact 0
		.amdhsa_exception_int_div_zero 0
	.end_amdhsa_kernel
	.section	.text._ZN7rocprim17ROCPRIM_400000_NS6detail17trampoline_kernelINS0_14default_configENS1_27scan_by_key_config_selectorIssEEZZNS1_16scan_by_key_implILNS1_25lookback_scan_determinismE0ELb0ES3_N6thrust23THRUST_200600_302600_NS6detail15normal_iteratorINS9_10device_ptrIsEEEESE_SE_sNS9_10multipliesIsEENS9_8equal_toIsEEsEE10hipError_tPvRmT2_T3_T4_T5_mT6_T7_P12ihipStream_tbENKUlT_T0_E_clISt17integral_constantIbLb1EESZ_EEDaSU_SV_EUlSU_E_NS1_11comp_targetILNS1_3genE10ELNS1_11target_archE1200ELNS1_3gpuE4ELNS1_3repE0EEENS1_30default_config_static_selectorELNS0_4arch9wavefront6targetE0EEEvT1_,"axG",@progbits,_ZN7rocprim17ROCPRIM_400000_NS6detail17trampoline_kernelINS0_14default_configENS1_27scan_by_key_config_selectorIssEEZZNS1_16scan_by_key_implILNS1_25lookback_scan_determinismE0ELb0ES3_N6thrust23THRUST_200600_302600_NS6detail15normal_iteratorINS9_10device_ptrIsEEEESE_SE_sNS9_10multipliesIsEENS9_8equal_toIsEEsEE10hipError_tPvRmT2_T3_T4_T5_mT6_T7_P12ihipStream_tbENKUlT_T0_E_clISt17integral_constantIbLb1EESZ_EEDaSU_SV_EUlSU_E_NS1_11comp_targetILNS1_3genE10ELNS1_11target_archE1200ELNS1_3gpuE4ELNS1_3repE0EEENS1_30default_config_static_selectorELNS0_4arch9wavefront6targetE0EEEvT1_,comdat
.Lfunc_end296:
	.size	_ZN7rocprim17ROCPRIM_400000_NS6detail17trampoline_kernelINS0_14default_configENS1_27scan_by_key_config_selectorIssEEZZNS1_16scan_by_key_implILNS1_25lookback_scan_determinismE0ELb0ES3_N6thrust23THRUST_200600_302600_NS6detail15normal_iteratorINS9_10device_ptrIsEEEESE_SE_sNS9_10multipliesIsEENS9_8equal_toIsEEsEE10hipError_tPvRmT2_T3_T4_T5_mT6_T7_P12ihipStream_tbENKUlT_T0_E_clISt17integral_constantIbLb1EESZ_EEDaSU_SV_EUlSU_E_NS1_11comp_targetILNS1_3genE10ELNS1_11target_archE1200ELNS1_3gpuE4ELNS1_3repE0EEENS1_30default_config_static_selectorELNS0_4arch9wavefront6targetE0EEEvT1_, .Lfunc_end296-_ZN7rocprim17ROCPRIM_400000_NS6detail17trampoline_kernelINS0_14default_configENS1_27scan_by_key_config_selectorIssEEZZNS1_16scan_by_key_implILNS1_25lookback_scan_determinismE0ELb0ES3_N6thrust23THRUST_200600_302600_NS6detail15normal_iteratorINS9_10device_ptrIsEEEESE_SE_sNS9_10multipliesIsEENS9_8equal_toIsEEsEE10hipError_tPvRmT2_T3_T4_T5_mT6_T7_P12ihipStream_tbENKUlT_T0_E_clISt17integral_constantIbLb1EESZ_EEDaSU_SV_EUlSU_E_NS1_11comp_targetILNS1_3genE10ELNS1_11target_archE1200ELNS1_3gpuE4ELNS1_3repE0EEENS1_30default_config_static_selectorELNS0_4arch9wavefront6targetE0EEEvT1_
                                        ; -- End function
	.set _ZN7rocprim17ROCPRIM_400000_NS6detail17trampoline_kernelINS0_14default_configENS1_27scan_by_key_config_selectorIssEEZZNS1_16scan_by_key_implILNS1_25lookback_scan_determinismE0ELb0ES3_N6thrust23THRUST_200600_302600_NS6detail15normal_iteratorINS9_10device_ptrIsEEEESE_SE_sNS9_10multipliesIsEENS9_8equal_toIsEEsEE10hipError_tPvRmT2_T3_T4_T5_mT6_T7_P12ihipStream_tbENKUlT_T0_E_clISt17integral_constantIbLb1EESZ_EEDaSU_SV_EUlSU_E_NS1_11comp_targetILNS1_3genE10ELNS1_11target_archE1200ELNS1_3gpuE4ELNS1_3repE0EEENS1_30default_config_static_selectorELNS0_4arch9wavefront6targetE0EEEvT1_.num_vgpr, 0
	.set _ZN7rocprim17ROCPRIM_400000_NS6detail17trampoline_kernelINS0_14default_configENS1_27scan_by_key_config_selectorIssEEZZNS1_16scan_by_key_implILNS1_25lookback_scan_determinismE0ELb0ES3_N6thrust23THRUST_200600_302600_NS6detail15normal_iteratorINS9_10device_ptrIsEEEESE_SE_sNS9_10multipliesIsEENS9_8equal_toIsEEsEE10hipError_tPvRmT2_T3_T4_T5_mT6_T7_P12ihipStream_tbENKUlT_T0_E_clISt17integral_constantIbLb1EESZ_EEDaSU_SV_EUlSU_E_NS1_11comp_targetILNS1_3genE10ELNS1_11target_archE1200ELNS1_3gpuE4ELNS1_3repE0EEENS1_30default_config_static_selectorELNS0_4arch9wavefront6targetE0EEEvT1_.num_agpr, 0
	.set _ZN7rocprim17ROCPRIM_400000_NS6detail17trampoline_kernelINS0_14default_configENS1_27scan_by_key_config_selectorIssEEZZNS1_16scan_by_key_implILNS1_25lookback_scan_determinismE0ELb0ES3_N6thrust23THRUST_200600_302600_NS6detail15normal_iteratorINS9_10device_ptrIsEEEESE_SE_sNS9_10multipliesIsEENS9_8equal_toIsEEsEE10hipError_tPvRmT2_T3_T4_T5_mT6_T7_P12ihipStream_tbENKUlT_T0_E_clISt17integral_constantIbLb1EESZ_EEDaSU_SV_EUlSU_E_NS1_11comp_targetILNS1_3genE10ELNS1_11target_archE1200ELNS1_3gpuE4ELNS1_3repE0EEENS1_30default_config_static_selectorELNS0_4arch9wavefront6targetE0EEEvT1_.numbered_sgpr, 0
	.set _ZN7rocprim17ROCPRIM_400000_NS6detail17trampoline_kernelINS0_14default_configENS1_27scan_by_key_config_selectorIssEEZZNS1_16scan_by_key_implILNS1_25lookback_scan_determinismE0ELb0ES3_N6thrust23THRUST_200600_302600_NS6detail15normal_iteratorINS9_10device_ptrIsEEEESE_SE_sNS9_10multipliesIsEENS9_8equal_toIsEEsEE10hipError_tPvRmT2_T3_T4_T5_mT6_T7_P12ihipStream_tbENKUlT_T0_E_clISt17integral_constantIbLb1EESZ_EEDaSU_SV_EUlSU_E_NS1_11comp_targetILNS1_3genE10ELNS1_11target_archE1200ELNS1_3gpuE4ELNS1_3repE0EEENS1_30default_config_static_selectorELNS0_4arch9wavefront6targetE0EEEvT1_.num_named_barrier, 0
	.set _ZN7rocprim17ROCPRIM_400000_NS6detail17trampoline_kernelINS0_14default_configENS1_27scan_by_key_config_selectorIssEEZZNS1_16scan_by_key_implILNS1_25lookback_scan_determinismE0ELb0ES3_N6thrust23THRUST_200600_302600_NS6detail15normal_iteratorINS9_10device_ptrIsEEEESE_SE_sNS9_10multipliesIsEENS9_8equal_toIsEEsEE10hipError_tPvRmT2_T3_T4_T5_mT6_T7_P12ihipStream_tbENKUlT_T0_E_clISt17integral_constantIbLb1EESZ_EEDaSU_SV_EUlSU_E_NS1_11comp_targetILNS1_3genE10ELNS1_11target_archE1200ELNS1_3gpuE4ELNS1_3repE0EEENS1_30default_config_static_selectorELNS0_4arch9wavefront6targetE0EEEvT1_.private_seg_size, 0
	.set _ZN7rocprim17ROCPRIM_400000_NS6detail17trampoline_kernelINS0_14default_configENS1_27scan_by_key_config_selectorIssEEZZNS1_16scan_by_key_implILNS1_25lookback_scan_determinismE0ELb0ES3_N6thrust23THRUST_200600_302600_NS6detail15normal_iteratorINS9_10device_ptrIsEEEESE_SE_sNS9_10multipliesIsEENS9_8equal_toIsEEsEE10hipError_tPvRmT2_T3_T4_T5_mT6_T7_P12ihipStream_tbENKUlT_T0_E_clISt17integral_constantIbLb1EESZ_EEDaSU_SV_EUlSU_E_NS1_11comp_targetILNS1_3genE10ELNS1_11target_archE1200ELNS1_3gpuE4ELNS1_3repE0EEENS1_30default_config_static_selectorELNS0_4arch9wavefront6targetE0EEEvT1_.uses_vcc, 0
	.set _ZN7rocprim17ROCPRIM_400000_NS6detail17trampoline_kernelINS0_14default_configENS1_27scan_by_key_config_selectorIssEEZZNS1_16scan_by_key_implILNS1_25lookback_scan_determinismE0ELb0ES3_N6thrust23THRUST_200600_302600_NS6detail15normal_iteratorINS9_10device_ptrIsEEEESE_SE_sNS9_10multipliesIsEENS9_8equal_toIsEEsEE10hipError_tPvRmT2_T3_T4_T5_mT6_T7_P12ihipStream_tbENKUlT_T0_E_clISt17integral_constantIbLb1EESZ_EEDaSU_SV_EUlSU_E_NS1_11comp_targetILNS1_3genE10ELNS1_11target_archE1200ELNS1_3gpuE4ELNS1_3repE0EEENS1_30default_config_static_selectorELNS0_4arch9wavefront6targetE0EEEvT1_.uses_flat_scratch, 0
	.set _ZN7rocprim17ROCPRIM_400000_NS6detail17trampoline_kernelINS0_14default_configENS1_27scan_by_key_config_selectorIssEEZZNS1_16scan_by_key_implILNS1_25lookback_scan_determinismE0ELb0ES3_N6thrust23THRUST_200600_302600_NS6detail15normal_iteratorINS9_10device_ptrIsEEEESE_SE_sNS9_10multipliesIsEENS9_8equal_toIsEEsEE10hipError_tPvRmT2_T3_T4_T5_mT6_T7_P12ihipStream_tbENKUlT_T0_E_clISt17integral_constantIbLb1EESZ_EEDaSU_SV_EUlSU_E_NS1_11comp_targetILNS1_3genE10ELNS1_11target_archE1200ELNS1_3gpuE4ELNS1_3repE0EEENS1_30default_config_static_selectorELNS0_4arch9wavefront6targetE0EEEvT1_.has_dyn_sized_stack, 0
	.set _ZN7rocprim17ROCPRIM_400000_NS6detail17trampoline_kernelINS0_14default_configENS1_27scan_by_key_config_selectorIssEEZZNS1_16scan_by_key_implILNS1_25lookback_scan_determinismE0ELb0ES3_N6thrust23THRUST_200600_302600_NS6detail15normal_iteratorINS9_10device_ptrIsEEEESE_SE_sNS9_10multipliesIsEENS9_8equal_toIsEEsEE10hipError_tPvRmT2_T3_T4_T5_mT6_T7_P12ihipStream_tbENKUlT_T0_E_clISt17integral_constantIbLb1EESZ_EEDaSU_SV_EUlSU_E_NS1_11comp_targetILNS1_3genE10ELNS1_11target_archE1200ELNS1_3gpuE4ELNS1_3repE0EEENS1_30default_config_static_selectorELNS0_4arch9wavefront6targetE0EEEvT1_.has_recursion, 0
	.set _ZN7rocprim17ROCPRIM_400000_NS6detail17trampoline_kernelINS0_14default_configENS1_27scan_by_key_config_selectorIssEEZZNS1_16scan_by_key_implILNS1_25lookback_scan_determinismE0ELb0ES3_N6thrust23THRUST_200600_302600_NS6detail15normal_iteratorINS9_10device_ptrIsEEEESE_SE_sNS9_10multipliesIsEENS9_8equal_toIsEEsEE10hipError_tPvRmT2_T3_T4_T5_mT6_T7_P12ihipStream_tbENKUlT_T0_E_clISt17integral_constantIbLb1EESZ_EEDaSU_SV_EUlSU_E_NS1_11comp_targetILNS1_3genE10ELNS1_11target_archE1200ELNS1_3gpuE4ELNS1_3repE0EEENS1_30default_config_static_selectorELNS0_4arch9wavefront6targetE0EEEvT1_.has_indirect_call, 0
	.section	.AMDGPU.csdata,"",@progbits
; Kernel info:
; codeLenInByte = 0
; TotalNumSgprs: 0
; NumVgprs: 0
; ScratchSize: 0
; MemoryBound: 0
; FloatMode: 240
; IeeeMode: 1
; LDSByteSize: 0 bytes/workgroup (compile time only)
; SGPRBlocks: 0
; VGPRBlocks: 0
; NumSGPRsForWavesPerEU: 1
; NumVGPRsForWavesPerEU: 1
; Occupancy: 16
; WaveLimiterHint : 0
; COMPUTE_PGM_RSRC2:SCRATCH_EN: 0
; COMPUTE_PGM_RSRC2:USER_SGPR: 6
; COMPUTE_PGM_RSRC2:TRAP_HANDLER: 0
; COMPUTE_PGM_RSRC2:TGID_X_EN: 1
; COMPUTE_PGM_RSRC2:TGID_Y_EN: 0
; COMPUTE_PGM_RSRC2:TGID_Z_EN: 0
; COMPUTE_PGM_RSRC2:TIDIG_COMP_CNT: 0
	.section	.text._ZN7rocprim17ROCPRIM_400000_NS6detail17trampoline_kernelINS0_14default_configENS1_27scan_by_key_config_selectorIssEEZZNS1_16scan_by_key_implILNS1_25lookback_scan_determinismE0ELb0ES3_N6thrust23THRUST_200600_302600_NS6detail15normal_iteratorINS9_10device_ptrIsEEEESE_SE_sNS9_10multipliesIsEENS9_8equal_toIsEEsEE10hipError_tPvRmT2_T3_T4_T5_mT6_T7_P12ihipStream_tbENKUlT_T0_E_clISt17integral_constantIbLb1EESZ_EEDaSU_SV_EUlSU_E_NS1_11comp_targetILNS1_3genE9ELNS1_11target_archE1100ELNS1_3gpuE3ELNS1_3repE0EEENS1_30default_config_static_selectorELNS0_4arch9wavefront6targetE0EEEvT1_,"axG",@progbits,_ZN7rocprim17ROCPRIM_400000_NS6detail17trampoline_kernelINS0_14default_configENS1_27scan_by_key_config_selectorIssEEZZNS1_16scan_by_key_implILNS1_25lookback_scan_determinismE0ELb0ES3_N6thrust23THRUST_200600_302600_NS6detail15normal_iteratorINS9_10device_ptrIsEEEESE_SE_sNS9_10multipliesIsEENS9_8equal_toIsEEsEE10hipError_tPvRmT2_T3_T4_T5_mT6_T7_P12ihipStream_tbENKUlT_T0_E_clISt17integral_constantIbLb1EESZ_EEDaSU_SV_EUlSU_E_NS1_11comp_targetILNS1_3genE9ELNS1_11target_archE1100ELNS1_3gpuE3ELNS1_3repE0EEENS1_30default_config_static_selectorELNS0_4arch9wavefront6targetE0EEEvT1_,comdat
	.protected	_ZN7rocprim17ROCPRIM_400000_NS6detail17trampoline_kernelINS0_14default_configENS1_27scan_by_key_config_selectorIssEEZZNS1_16scan_by_key_implILNS1_25lookback_scan_determinismE0ELb0ES3_N6thrust23THRUST_200600_302600_NS6detail15normal_iteratorINS9_10device_ptrIsEEEESE_SE_sNS9_10multipliesIsEENS9_8equal_toIsEEsEE10hipError_tPvRmT2_T3_T4_T5_mT6_T7_P12ihipStream_tbENKUlT_T0_E_clISt17integral_constantIbLb1EESZ_EEDaSU_SV_EUlSU_E_NS1_11comp_targetILNS1_3genE9ELNS1_11target_archE1100ELNS1_3gpuE3ELNS1_3repE0EEENS1_30default_config_static_selectorELNS0_4arch9wavefront6targetE0EEEvT1_ ; -- Begin function _ZN7rocprim17ROCPRIM_400000_NS6detail17trampoline_kernelINS0_14default_configENS1_27scan_by_key_config_selectorIssEEZZNS1_16scan_by_key_implILNS1_25lookback_scan_determinismE0ELb0ES3_N6thrust23THRUST_200600_302600_NS6detail15normal_iteratorINS9_10device_ptrIsEEEESE_SE_sNS9_10multipliesIsEENS9_8equal_toIsEEsEE10hipError_tPvRmT2_T3_T4_T5_mT6_T7_P12ihipStream_tbENKUlT_T0_E_clISt17integral_constantIbLb1EESZ_EEDaSU_SV_EUlSU_E_NS1_11comp_targetILNS1_3genE9ELNS1_11target_archE1100ELNS1_3gpuE3ELNS1_3repE0EEENS1_30default_config_static_selectorELNS0_4arch9wavefront6targetE0EEEvT1_
	.globl	_ZN7rocprim17ROCPRIM_400000_NS6detail17trampoline_kernelINS0_14default_configENS1_27scan_by_key_config_selectorIssEEZZNS1_16scan_by_key_implILNS1_25lookback_scan_determinismE0ELb0ES3_N6thrust23THRUST_200600_302600_NS6detail15normal_iteratorINS9_10device_ptrIsEEEESE_SE_sNS9_10multipliesIsEENS9_8equal_toIsEEsEE10hipError_tPvRmT2_T3_T4_T5_mT6_T7_P12ihipStream_tbENKUlT_T0_E_clISt17integral_constantIbLb1EESZ_EEDaSU_SV_EUlSU_E_NS1_11comp_targetILNS1_3genE9ELNS1_11target_archE1100ELNS1_3gpuE3ELNS1_3repE0EEENS1_30default_config_static_selectorELNS0_4arch9wavefront6targetE0EEEvT1_
	.p2align	8
	.type	_ZN7rocprim17ROCPRIM_400000_NS6detail17trampoline_kernelINS0_14default_configENS1_27scan_by_key_config_selectorIssEEZZNS1_16scan_by_key_implILNS1_25lookback_scan_determinismE0ELb0ES3_N6thrust23THRUST_200600_302600_NS6detail15normal_iteratorINS9_10device_ptrIsEEEESE_SE_sNS9_10multipliesIsEENS9_8equal_toIsEEsEE10hipError_tPvRmT2_T3_T4_T5_mT6_T7_P12ihipStream_tbENKUlT_T0_E_clISt17integral_constantIbLb1EESZ_EEDaSU_SV_EUlSU_E_NS1_11comp_targetILNS1_3genE9ELNS1_11target_archE1100ELNS1_3gpuE3ELNS1_3repE0EEENS1_30default_config_static_selectorELNS0_4arch9wavefront6targetE0EEEvT1_,@function
_ZN7rocprim17ROCPRIM_400000_NS6detail17trampoline_kernelINS0_14default_configENS1_27scan_by_key_config_selectorIssEEZZNS1_16scan_by_key_implILNS1_25lookback_scan_determinismE0ELb0ES3_N6thrust23THRUST_200600_302600_NS6detail15normal_iteratorINS9_10device_ptrIsEEEESE_SE_sNS9_10multipliesIsEENS9_8equal_toIsEEsEE10hipError_tPvRmT2_T3_T4_T5_mT6_T7_P12ihipStream_tbENKUlT_T0_E_clISt17integral_constantIbLb1EESZ_EEDaSU_SV_EUlSU_E_NS1_11comp_targetILNS1_3genE9ELNS1_11target_archE1100ELNS1_3gpuE3ELNS1_3repE0EEENS1_30default_config_static_selectorELNS0_4arch9wavefront6targetE0EEEvT1_: ; @_ZN7rocprim17ROCPRIM_400000_NS6detail17trampoline_kernelINS0_14default_configENS1_27scan_by_key_config_selectorIssEEZZNS1_16scan_by_key_implILNS1_25lookback_scan_determinismE0ELb0ES3_N6thrust23THRUST_200600_302600_NS6detail15normal_iteratorINS9_10device_ptrIsEEEESE_SE_sNS9_10multipliesIsEENS9_8equal_toIsEEsEE10hipError_tPvRmT2_T3_T4_T5_mT6_T7_P12ihipStream_tbENKUlT_T0_E_clISt17integral_constantIbLb1EESZ_EEDaSU_SV_EUlSU_E_NS1_11comp_targetILNS1_3genE9ELNS1_11target_archE1100ELNS1_3gpuE3ELNS1_3repE0EEENS1_30default_config_static_selectorELNS0_4arch9wavefront6targetE0EEEvT1_
; %bb.0:
	.section	.rodata,"a",@progbits
	.p2align	6, 0x0
	.amdhsa_kernel _ZN7rocprim17ROCPRIM_400000_NS6detail17trampoline_kernelINS0_14default_configENS1_27scan_by_key_config_selectorIssEEZZNS1_16scan_by_key_implILNS1_25lookback_scan_determinismE0ELb0ES3_N6thrust23THRUST_200600_302600_NS6detail15normal_iteratorINS9_10device_ptrIsEEEESE_SE_sNS9_10multipliesIsEENS9_8equal_toIsEEsEE10hipError_tPvRmT2_T3_T4_T5_mT6_T7_P12ihipStream_tbENKUlT_T0_E_clISt17integral_constantIbLb1EESZ_EEDaSU_SV_EUlSU_E_NS1_11comp_targetILNS1_3genE9ELNS1_11target_archE1100ELNS1_3gpuE3ELNS1_3repE0EEENS1_30default_config_static_selectorELNS0_4arch9wavefront6targetE0EEEvT1_
		.amdhsa_group_segment_fixed_size 0
		.amdhsa_private_segment_fixed_size 0
		.amdhsa_kernarg_size 112
		.amdhsa_user_sgpr_count 6
		.amdhsa_user_sgpr_private_segment_buffer 1
		.amdhsa_user_sgpr_dispatch_ptr 0
		.amdhsa_user_sgpr_queue_ptr 0
		.amdhsa_user_sgpr_kernarg_segment_ptr 1
		.amdhsa_user_sgpr_dispatch_id 0
		.amdhsa_user_sgpr_flat_scratch_init 0
		.amdhsa_user_sgpr_private_segment_size 0
		.amdhsa_wavefront_size32 1
		.amdhsa_uses_dynamic_stack 0
		.amdhsa_system_sgpr_private_segment_wavefront_offset 0
		.amdhsa_system_sgpr_workgroup_id_x 1
		.amdhsa_system_sgpr_workgroup_id_y 0
		.amdhsa_system_sgpr_workgroup_id_z 0
		.amdhsa_system_sgpr_workgroup_info 0
		.amdhsa_system_vgpr_workitem_id 0
		.amdhsa_next_free_vgpr 1
		.amdhsa_next_free_sgpr 1
		.amdhsa_reserve_vcc 0
		.amdhsa_reserve_flat_scratch 0
		.amdhsa_float_round_mode_32 0
		.amdhsa_float_round_mode_16_64 0
		.amdhsa_float_denorm_mode_32 3
		.amdhsa_float_denorm_mode_16_64 3
		.amdhsa_dx10_clamp 1
		.amdhsa_ieee_mode 1
		.amdhsa_fp16_overflow 0
		.amdhsa_workgroup_processor_mode 1
		.amdhsa_memory_ordered 1
		.amdhsa_forward_progress 1
		.amdhsa_shared_vgpr_count 0
		.amdhsa_exception_fp_ieee_invalid_op 0
		.amdhsa_exception_fp_denorm_src 0
		.amdhsa_exception_fp_ieee_div_zero 0
		.amdhsa_exception_fp_ieee_overflow 0
		.amdhsa_exception_fp_ieee_underflow 0
		.amdhsa_exception_fp_ieee_inexact 0
		.amdhsa_exception_int_div_zero 0
	.end_amdhsa_kernel
	.section	.text._ZN7rocprim17ROCPRIM_400000_NS6detail17trampoline_kernelINS0_14default_configENS1_27scan_by_key_config_selectorIssEEZZNS1_16scan_by_key_implILNS1_25lookback_scan_determinismE0ELb0ES3_N6thrust23THRUST_200600_302600_NS6detail15normal_iteratorINS9_10device_ptrIsEEEESE_SE_sNS9_10multipliesIsEENS9_8equal_toIsEEsEE10hipError_tPvRmT2_T3_T4_T5_mT6_T7_P12ihipStream_tbENKUlT_T0_E_clISt17integral_constantIbLb1EESZ_EEDaSU_SV_EUlSU_E_NS1_11comp_targetILNS1_3genE9ELNS1_11target_archE1100ELNS1_3gpuE3ELNS1_3repE0EEENS1_30default_config_static_selectorELNS0_4arch9wavefront6targetE0EEEvT1_,"axG",@progbits,_ZN7rocprim17ROCPRIM_400000_NS6detail17trampoline_kernelINS0_14default_configENS1_27scan_by_key_config_selectorIssEEZZNS1_16scan_by_key_implILNS1_25lookback_scan_determinismE0ELb0ES3_N6thrust23THRUST_200600_302600_NS6detail15normal_iteratorINS9_10device_ptrIsEEEESE_SE_sNS9_10multipliesIsEENS9_8equal_toIsEEsEE10hipError_tPvRmT2_T3_T4_T5_mT6_T7_P12ihipStream_tbENKUlT_T0_E_clISt17integral_constantIbLb1EESZ_EEDaSU_SV_EUlSU_E_NS1_11comp_targetILNS1_3genE9ELNS1_11target_archE1100ELNS1_3gpuE3ELNS1_3repE0EEENS1_30default_config_static_selectorELNS0_4arch9wavefront6targetE0EEEvT1_,comdat
.Lfunc_end297:
	.size	_ZN7rocprim17ROCPRIM_400000_NS6detail17trampoline_kernelINS0_14default_configENS1_27scan_by_key_config_selectorIssEEZZNS1_16scan_by_key_implILNS1_25lookback_scan_determinismE0ELb0ES3_N6thrust23THRUST_200600_302600_NS6detail15normal_iteratorINS9_10device_ptrIsEEEESE_SE_sNS9_10multipliesIsEENS9_8equal_toIsEEsEE10hipError_tPvRmT2_T3_T4_T5_mT6_T7_P12ihipStream_tbENKUlT_T0_E_clISt17integral_constantIbLb1EESZ_EEDaSU_SV_EUlSU_E_NS1_11comp_targetILNS1_3genE9ELNS1_11target_archE1100ELNS1_3gpuE3ELNS1_3repE0EEENS1_30default_config_static_selectorELNS0_4arch9wavefront6targetE0EEEvT1_, .Lfunc_end297-_ZN7rocprim17ROCPRIM_400000_NS6detail17trampoline_kernelINS0_14default_configENS1_27scan_by_key_config_selectorIssEEZZNS1_16scan_by_key_implILNS1_25lookback_scan_determinismE0ELb0ES3_N6thrust23THRUST_200600_302600_NS6detail15normal_iteratorINS9_10device_ptrIsEEEESE_SE_sNS9_10multipliesIsEENS9_8equal_toIsEEsEE10hipError_tPvRmT2_T3_T4_T5_mT6_T7_P12ihipStream_tbENKUlT_T0_E_clISt17integral_constantIbLb1EESZ_EEDaSU_SV_EUlSU_E_NS1_11comp_targetILNS1_3genE9ELNS1_11target_archE1100ELNS1_3gpuE3ELNS1_3repE0EEENS1_30default_config_static_selectorELNS0_4arch9wavefront6targetE0EEEvT1_
                                        ; -- End function
	.set _ZN7rocprim17ROCPRIM_400000_NS6detail17trampoline_kernelINS0_14default_configENS1_27scan_by_key_config_selectorIssEEZZNS1_16scan_by_key_implILNS1_25lookback_scan_determinismE0ELb0ES3_N6thrust23THRUST_200600_302600_NS6detail15normal_iteratorINS9_10device_ptrIsEEEESE_SE_sNS9_10multipliesIsEENS9_8equal_toIsEEsEE10hipError_tPvRmT2_T3_T4_T5_mT6_T7_P12ihipStream_tbENKUlT_T0_E_clISt17integral_constantIbLb1EESZ_EEDaSU_SV_EUlSU_E_NS1_11comp_targetILNS1_3genE9ELNS1_11target_archE1100ELNS1_3gpuE3ELNS1_3repE0EEENS1_30default_config_static_selectorELNS0_4arch9wavefront6targetE0EEEvT1_.num_vgpr, 0
	.set _ZN7rocprim17ROCPRIM_400000_NS6detail17trampoline_kernelINS0_14default_configENS1_27scan_by_key_config_selectorIssEEZZNS1_16scan_by_key_implILNS1_25lookback_scan_determinismE0ELb0ES3_N6thrust23THRUST_200600_302600_NS6detail15normal_iteratorINS9_10device_ptrIsEEEESE_SE_sNS9_10multipliesIsEENS9_8equal_toIsEEsEE10hipError_tPvRmT2_T3_T4_T5_mT6_T7_P12ihipStream_tbENKUlT_T0_E_clISt17integral_constantIbLb1EESZ_EEDaSU_SV_EUlSU_E_NS1_11comp_targetILNS1_3genE9ELNS1_11target_archE1100ELNS1_3gpuE3ELNS1_3repE0EEENS1_30default_config_static_selectorELNS0_4arch9wavefront6targetE0EEEvT1_.num_agpr, 0
	.set _ZN7rocprim17ROCPRIM_400000_NS6detail17trampoline_kernelINS0_14default_configENS1_27scan_by_key_config_selectorIssEEZZNS1_16scan_by_key_implILNS1_25lookback_scan_determinismE0ELb0ES3_N6thrust23THRUST_200600_302600_NS6detail15normal_iteratorINS9_10device_ptrIsEEEESE_SE_sNS9_10multipliesIsEENS9_8equal_toIsEEsEE10hipError_tPvRmT2_T3_T4_T5_mT6_T7_P12ihipStream_tbENKUlT_T0_E_clISt17integral_constantIbLb1EESZ_EEDaSU_SV_EUlSU_E_NS1_11comp_targetILNS1_3genE9ELNS1_11target_archE1100ELNS1_3gpuE3ELNS1_3repE0EEENS1_30default_config_static_selectorELNS0_4arch9wavefront6targetE0EEEvT1_.numbered_sgpr, 0
	.set _ZN7rocprim17ROCPRIM_400000_NS6detail17trampoline_kernelINS0_14default_configENS1_27scan_by_key_config_selectorIssEEZZNS1_16scan_by_key_implILNS1_25lookback_scan_determinismE0ELb0ES3_N6thrust23THRUST_200600_302600_NS6detail15normal_iteratorINS9_10device_ptrIsEEEESE_SE_sNS9_10multipliesIsEENS9_8equal_toIsEEsEE10hipError_tPvRmT2_T3_T4_T5_mT6_T7_P12ihipStream_tbENKUlT_T0_E_clISt17integral_constantIbLb1EESZ_EEDaSU_SV_EUlSU_E_NS1_11comp_targetILNS1_3genE9ELNS1_11target_archE1100ELNS1_3gpuE3ELNS1_3repE0EEENS1_30default_config_static_selectorELNS0_4arch9wavefront6targetE0EEEvT1_.num_named_barrier, 0
	.set _ZN7rocprim17ROCPRIM_400000_NS6detail17trampoline_kernelINS0_14default_configENS1_27scan_by_key_config_selectorIssEEZZNS1_16scan_by_key_implILNS1_25lookback_scan_determinismE0ELb0ES3_N6thrust23THRUST_200600_302600_NS6detail15normal_iteratorINS9_10device_ptrIsEEEESE_SE_sNS9_10multipliesIsEENS9_8equal_toIsEEsEE10hipError_tPvRmT2_T3_T4_T5_mT6_T7_P12ihipStream_tbENKUlT_T0_E_clISt17integral_constantIbLb1EESZ_EEDaSU_SV_EUlSU_E_NS1_11comp_targetILNS1_3genE9ELNS1_11target_archE1100ELNS1_3gpuE3ELNS1_3repE0EEENS1_30default_config_static_selectorELNS0_4arch9wavefront6targetE0EEEvT1_.private_seg_size, 0
	.set _ZN7rocprim17ROCPRIM_400000_NS6detail17trampoline_kernelINS0_14default_configENS1_27scan_by_key_config_selectorIssEEZZNS1_16scan_by_key_implILNS1_25lookback_scan_determinismE0ELb0ES3_N6thrust23THRUST_200600_302600_NS6detail15normal_iteratorINS9_10device_ptrIsEEEESE_SE_sNS9_10multipliesIsEENS9_8equal_toIsEEsEE10hipError_tPvRmT2_T3_T4_T5_mT6_T7_P12ihipStream_tbENKUlT_T0_E_clISt17integral_constantIbLb1EESZ_EEDaSU_SV_EUlSU_E_NS1_11comp_targetILNS1_3genE9ELNS1_11target_archE1100ELNS1_3gpuE3ELNS1_3repE0EEENS1_30default_config_static_selectorELNS0_4arch9wavefront6targetE0EEEvT1_.uses_vcc, 0
	.set _ZN7rocprim17ROCPRIM_400000_NS6detail17trampoline_kernelINS0_14default_configENS1_27scan_by_key_config_selectorIssEEZZNS1_16scan_by_key_implILNS1_25lookback_scan_determinismE0ELb0ES3_N6thrust23THRUST_200600_302600_NS6detail15normal_iteratorINS9_10device_ptrIsEEEESE_SE_sNS9_10multipliesIsEENS9_8equal_toIsEEsEE10hipError_tPvRmT2_T3_T4_T5_mT6_T7_P12ihipStream_tbENKUlT_T0_E_clISt17integral_constantIbLb1EESZ_EEDaSU_SV_EUlSU_E_NS1_11comp_targetILNS1_3genE9ELNS1_11target_archE1100ELNS1_3gpuE3ELNS1_3repE0EEENS1_30default_config_static_selectorELNS0_4arch9wavefront6targetE0EEEvT1_.uses_flat_scratch, 0
	.set _ZN7rocprim17ROCPRIM_400000_NS6detail17trampoline_kernelINS0_14default_configENS1_27scan_by_key_config_selectorIssEEZZNS1_16scan_by_key_implILNS1_25lookback_scan_determinismE0ELb0ES3_N6thrust23THRUST_200600_302600_NS6detail15normal_iteratorINS9_10device_ptrIsEEEESE_SE_sNS9_10multipliesIsEENS9_8equal_toIsEEsEE10hipError_tPvRmT2_T3_T4_T5_mT6_T7_P12ihipStream_tbENKUlT_T0_E_clISt17integral_constantIbLb1EESZ_EEDaSU_SV_EUlSU_E_NS1_11comp_targetILNS1_3genE9ELNS1_11target_archE1100ELNS1_3gpuE3ELNS1_3repE0EEENS1_30default_config_static_selectorELNS0_4arch9wavefront6targetE0EEEvT1_.has_dyn_sized_stack, 0
	.set _ZN7rocprim17ROCPRIM_400000_NS6detail17trampoline_kernelINS0_14default_configENS1_27scan_by_key_config_selectorIssEEZZNS1_16scan_by_key_implILNS1_25lookback_scan_determinismE0ELb0ES3_N6thrust23THRUST_200600_302600_NS6detail15normal_iteratorINS9_10device_ptrIsEEEESE_SE_sNS9_10multipliesIsEENS9_8equal_toIsEEsEE10hipError_tPvRmT2_T3_T4_T5_mT6_T7_P12ihipStream_tbENKUlT_T0_E_clISt17integral_constantIbLb1EESZ_EEDaSU_SV_EUlSU_E_NS1_11comp_targetILNS1_3genE9ELNS1_11target_archE1100ELNS1_3gpuE3ELNS1_3repE0EEENS1_30default_config_static_selectorELNS0_4arch9wavefront6targetE0EEEvT1_.has_recursion, 0
	.set _ZN7rocprim17ROCPRIM_400000_NS6detail17trampoline_kernelINS0_14default_configENS1_27scan_by_key_config_selectorIssEEZZNS1_16scan_by_key_implILNS1_25lookback_scan_determinismE0ELb0ES3_N6thrust23THRUST_200600_302600_NS6detail15normal_iteratorINS9_10device_ptrIsEEEESE_SE_sNS9_10multipliesIsEENS9_8equal_toIsEEsEE10hipError_tPvRmT2_T3_T4_T5_mT6_T7_P12ihipStream_tbENKUlT_T0_E_clISt17integral_constantIbLb1EESZ_EEDaSU_SV_EUlSU_E_NS1_11comp_targetILNS1_3genE9ELNS1_11target_archE1100ELNS1_3gpuE3ELNS1_3repE0EEENS1_30default_config_static_selectorELNS0_4arch9wavefront6targetE0EEEvT1_.has_indirect_call, 0
	.section	.AMDGPU.csdata,"",@progbits
; Kernel info:
; codeLenInByte = 0
; TotalNumSgprs: 0
; NumVgprs: 0
; ScratchSize: 0
; MemoryBound: 0
; FloatMode: 240
; IeeeMode: 1
; LDSByteSize: 0 bytes/workgroup (compile time only)
; SGPRBlocks: 0
; VGPRBlocks: 0
; NumSGPRsForWavesPerEU: 1
; NumVGPRsForWavesPerEU: 1
; Occupancy: 16
; WaveLimiterHint : 0
; COMPUTE_PGM_RSRC2:SCRATCH_EN: 0
; COMPUTE_PGM_RSRC2:USER_SGPR: 6
; COMPUTE_PGM_RSRC2:TRAP_HANDLER: 0
; COMPUTE_PGM_RSRC2:TGID_X_EN: 1
; COMPUTE_PGM_RSRC2:TGID_Y_EN: 0
; COMPUTE_PGM_RSRC2:TGID_Z_EN: 0
; COMPUTE_PGM_RSRC2:TIDIG_COMP_CNT: 0
	.section	.text._ZN7rocprim17ROCPRIM_400000_NS6detail17trampoline_kernelINS0_14default_configENS1_27scan_by_key_config_selectorIssEEZZNS1_16scan_by_key_implILNS1_25lookback_scan_determinismE0ELb0ES3_N6thrust23THRUST_200600_302600_NS6detail15normal_iteratorINS9_10device_ptrIsEEEESE_SE_sNS9_10multipliesIsEENS9_8equal_toIsEEsEE10hipError_tPvRmT2_T3_T4_T5_mT6_T7_P12ihipStream_tbENKUlT_T0_E_clISt17integral_constantIbLb1EESZ_EEDaSU_SV_EUlSU_E_NS1_11comp_targetILNS1_3genE8ELNS1_11target_archE1030ELNS1_3gpuE2ELNS1_3repE0EEENS1_30default_config_static_selectorELNS0_4arch9wavefront6targetE0EEEvT1_,"axG",@progbits,_ZN7rocprim17ROCPRIM_400000_NS6detail17trampoline_kernelINS0_14default_configENS1_27scan_by_key_config_selectorIssEEZZNS1_16scan_by_key_implILNS1_25lookback_scan_determinismE0ELb0ES3_N6thrust23THRUST_200600_302600_NS6detail15normal_iteratorINS9_10device_ptrIsEEEESE_SE_sNS9_10multipliesIsEENS9_8equal_toIsEEsEE10hipError_tPvRmT2_T3_T4_T5_mT6_T7_P12ihipStream_tbENKUlT_T0_E_clISt17integral_constantIbLb1EESZ_EEDaSU_SV_EUlSU_E_NS1_11comp_targetILNS1_3genE8ELNS1_11target_archE1030ELNS1_3gpuE2ELNS1_3repE0EEENS1_30default_config_static_selectorELNS0_4arch9wavefront6targetE0EEEvT1_,comdat
	.protected	_ZN7rocprim17ROCPRIM_400000_NS6detail17trampoline_kernelINS0_14default_configENS1_27scan_by_key_config_selectorIssEEZZNS1_16scan_by_key_implILNS1_25lookback_scan_determinismE0ELb0ES3_N6thrust23THRUST_200600_302600_NS6detail15normal_iteratorINS9_10device_ptrIsEEEESE_SE_sNS9_10multipliesIsEENS9_8equal_toIsEEsEE10hipError_tPvRmT2_T3_T4_T5_mT6_T7_P12ihipStream_tbENKUlT_T0_E_clISt17integral_constantIbLb1EESZ_EEDaSU_SV_EUlSU_E_NS1_11comp_targetILNS1_3genE8ELNS1_11target_archE1030ELNS1_3gpuE2ELNS1_3repE0EEENS1_30default_config_static_selectorELNS0_4arch9wavefront6targetE0EEEvT1_ ; -- Begin function _ZN7rocprim17ROCPRIM_400000_NS6detail17trampoline_kernelINS0_14default_configENS1_27scan_by_key_config_selectorIssEEZZNS1_16scan_by_key_implILNS1_25lookback_scan_determinismE0ELb0ES3_N6thrust23THRUST_200600_302600_NS6detail15normal_iteratorINS9_10device_ptrIsEEEESE_SE_sNS9_10multipliesIsEENS9_8equal_toIsEEsEE10hipError_tPvRmT2_T3_T4_T5_mT6_T7_P12ihipStream_tbENKUlT_T0_E_clISt17integral_constantIbLb1EESZ_EEDaSU_SV_EUlSU_E_NS1_11comp_targetILNS1_3genE8ELNS1_11target_archE1030ELNS1_3gpuE2ELNS1_3repE0EEENS1_30default_config_static_selectorELNS0_4arch9wavefront6targetE0EEEvT1_
	.globl	_ZN7rocprim17ROCPRIM_400000_NS6detail17trampoline_kernelINS0_14default_configENS1_27scan_by_key_config_selectorIssEEZZNS1_16scan_by_key_implILNS1_25lookback_scan_determinismE0ELb0ES3_N6thrust23THRUST_200600_302600_NS6detail15normal_iteratorINS9_10device_ptrIsEEEESE_SE_sNS9_10multipliesIsEENS9_8equal_toIsEEsEE10hipError_tPvRmT2_T3_T4_T5_mT6_T7_P12ihipStream_tbENKUlT_T0_E_clISt17integral_constantIbLb1EESZ_EEDaSU_SV_EUlSU_E_NS1_11comp_targetILNS1_3genE8ELNS1_11target_archE1030ELNS1_3gpuE2ELNS1_3repE0EEENS1_30default_config_static_selectorELNS0_4arch9wavefront6targetE0EEEvT1_
	.p2align	8
	.type	_ZN7rocprim17ROCPRIM_400000_NS6detail17trampoline_kernelINS0_14default_configENS1_27scan_by_key_config_selectorIssEEZZNS1_16scan_by_key_implILNS1_25lookback_scan_determinismE0ELb0ES3_N6thrust23THRUST_200600_302600_NS6detail15normal_iteratorINS9_10device_ptrIsEEEESE_SE_sNS9_10multipliesIsEENS9_8equal_toIsEEsEE10hipError_tPvRmT2_T3_T4_T5_mT6_T7_P12ihipStream_tbENKUlT_T0_E_clISt17integral_constantIbLb1EESZ_EEDaSU_SV_EUlSU_E_NS1_11comp_targetILNS1_3genE8ELNS1_11target_archE1030ELNS1_3gpuE2ELNS1_3repE0EEENS1_30default_config_static_selectorELNS0_4arch9wavefront6targetE0EEEvT1_,@function
_ZN7rocprim17ROCPRIM_400000_NS6detail17trampoline_kernelINS0_14default_configENS1_27scan_by_key_config_selectorIssEEZZNS1_16scan_by_key_implILNS1_25lookback_scan_determinismE0ELb0ES3_N6thrust23THRUST_200600_302600_NS6detail15normal_iteratorINS9_10device_ptrIsEEEESE_SE_sNS9_10multipliesIsEENS9_8equal_toIsEEsEE10hipError_tPvRmT2_T3_T4_T5_mT6_T7_P12ihipStream_tbENKUlT_T0_E_clISt17integral_constantIbLb1EESZ_EEDaSU_SV_EUlSU_E_NS1_11comp_targetILNS1_3genE8ELNS1_11target_archE1030ELNS1_3gpuE2ELNS1_3repE0EEENS1_30default_config_static_selectorELNS0_4arch9wavefront6targetE0EEEvT1_: ; @_ZN7rocprim17ROCPRIM_400000_NS6detail17trampoline_kernelINS0_14default_configENS1_27scan_by_key_config_selectorIssEEZZNS1_16scan_by_key_implILNS1_25lookback_scan_determinismE0ELb0ES3_N6thrust23THRUST_200600_302600_NS6detail15normal_iteratorINS9_10device_ptrIsEEEESE_SE_sNS9_10multipliesIsEENS9_8equal_toIsEEsEE10hipError_tPvRmT2_T3_T4_T5_mT6_T7_P12ihipStream_tbENKUlT_T0_E_clISt17integral_constantIbLb1EESZ_EEDaSU_SV_EUlSU_E_NS1_11comp_targetILNS1_3genE8ELNS1_11target_archE1030ELNS1_3gpuE2ELNS1_3repE0EEENS1_30default_config_static_selectorELNS0_4arch9wavefront6targetE0EEEvT1_
; %bb.0:
	s_endpgm
	.section	.rodata,"a",@progbits
	.p2align	6, 0x0
	.amdhsa_kernel _ZN7rocprim17ROCPRIM_400000_NS6detail17trampoline_kernelINS0_14default_configENS1_27scan_by_key_config_selectorIssEEZZNS1_16scan_by_key_implILNS1_25lookback_scan_determinismE0ELb0ES3_N6thrust23THRUST_200600_302600_NS6detail15normal_iteratorINS9_10device_ptrIsEEEESE_SE_sNS9_10multipliesIsEENS9_8equal_toIsEEsEE10hipError_tPvRmT2_T3_T4_T5_mT6_T7_P12ihipStream_tbENKUlT_T0_E_clISt17integral_constantIbLb1EESZ_EEDaSU_SV_EUlSU_E_NS1_11comp_targetILNS1_3genE8ELNS1_11target_archE1030ELNS1_3gpuE2ELNS1_3repE0EEENS1_30default_config_static_selectorELNS0_4arch9wavefront6targetE0EEEvT1_
		.amdhsa_group_segment_fixed_size 0
		.amdhsa_private_segment_fixed_size 0
		.amdhsa_kernarg_size 112
		.amdhsa_user_sgpr_count 6
		.amdhsa_user_sgpr_private_segment_buffer 1
		.amdhsa_user_sgpr_dispatch_ptr 0
		.amdhsa_user_sgpr_queue_ptr 0
		.amdhsa_user_sgpr_kernarg_segment_ptr 1
		.amdhsa_user_sgpr_dispatch_id 0
		.amdhsa_user_sgpr_flat_scratch_init 0
		.amdhsa_user_sgpr_private_segment_size 0
		.amdhsa_wavefront_size32 1
		.amdhsa_uses_dynamic_stack 0
		.amdhsa_system_sgpr_private_segment_wavefront_offset 0
		.amdhsa_system_sgpr_workgroup_id_x 1
		.amdhsa_system_sgpr_workgroup_id_y 0
		.amdhsa_system_sgpr_workgroup_id_z 0
		.amdhsa_system_sgpr_workgroup_info 0
		.amdhsa_system_vgpr_workitem_id 0
		.amdhsa_next_free_vgpr 1
		.amdhsa_next_free_sgpr 1
		.amdhsa_reserve_vcc 0
		.amdhsa_reserve_flat_scratch 0
		.amdhsa_float_round_mode_32 0
		.amdhsa_float_round_mode_16_64 0
		.amdhsa_float_denorm_mode_32 3
		.amdhsa_float_denorm_mode_16_64 3
		.amdhsa_dx10_clamp 1
		.amdhsa_ieee_mode 1
		.amdhsa_fp16_overflow 0
		.amdhsa_workgroup_processor_mode 1
		.amdhsa_memory_ordered 1
		.amdhsa_forward_progress 1
		.amdhsa_shared_vgpr_count 0
		.amdhsa_exception_fp_ieee_invalid_op 0
		.amdhsa_exception_fp_denorm_src 0
		.amdhsa_exception_fp_ieee_div_zero 0
		.amdhsa_exception_fp_ieee_overflow 0
		.amdhsa_exception_fp_ieee_underflow 0
		.amdhsa_exception_fp_ieee_inexact 0
		.amdhsa_exception_int_div_zero 0
	.end_amdhsa_kernel
	.section	.text._ZN7rocprim17ROCPRIM_400000_NS6detail17trampoline_kernelINS0_14default_configENS1_27scan_by_key_config_selectorIssEEZZNS1_16scan_by_key_implILNS1_25lookback_scan_determinismE0ELb0ES3_N6thrust23THRUST_200600_302600_NS6detail15normal_iteratorINS9_10device_ptrIsEEEESE_SE_sNS9_10multipliesIsEENS9_8equal_toIsEEsEE10hipError_tPvRmT2_T3_T4_T5_mT6_T7_P12ihipStream_tbENKUlT_T0_E_clISt17integral_constantIbLb1EESZ_EEDaSU_SV_EUlSU_E_NS1_11comp_targetILNS1_3genE8ELNS1_11target_archE1030ELNS1_3gpuE2ELNS1_3repE0EEENS1_30default_config_static_selectorELNS0_4arch9wavefront6targetE0EEEvT1_,"axG",@progbits,_ZN7rocprim17ROCPRIM_400000_NS6detail17trampoline_kernelINS0_14default_configENS1_27scan_by_key_config_selectorIssEEZZNS1_16scan_by_key_implILNS1_25lookback_scan_determinismE0ELb0ES3_N6thrust23THRUST_200600_302600_NS6detail15normal_iteratorINS9_10device_ptrIsEEEESE_SE_sNS9_10multipliesIsEENS9_8equal_toIsEEsEE10hipError_tPvRmT2_T3_T4_T5_mT6_T7_P12ihipStream_tbENKUlT_T0_E_clISt17integral_constantIbLb1EESZ_EEDaSU_SV_EUlSU_E_NS1_11comp_targetILNS1_3genE8ELNS1_11target_archE1030ELNS1_3gpuE2ELNS1_3repE0EEENS1_30default_config_static_selectorELNS0_4arch9wavefront6targetE0EEEvT1_,comdat
.Lfunc_end298:
	.size	_ZN7rocprim17ROCPRIM_400000_NS6detail17trampoline_kernelINS0_14default_configENS1_27scan_by_key_config_selectorIssEEZZNS1_16scan_by_key_implILNS1_25lookback_scan_determinismE0ELb0ES3_N6thrust23THRUST_200600_302600_NS6detail15normal_iteratorINS9_10device_ptrIsEEEESE_SE_sNS9_10multipliesIsEENS9_8equal_toIsEEsEE10hipError_tPvRmT2_T3_T4_T5_mT6_T7_P12ihipStream_tbENKUlT_T0_E_clISt17integral_constantIbLb1EESZ_EEDaSU_SV_EUlSU_E_NS1_11comp_targetILNS1_3genE8ELNS1_11target_archE1030ELNS1_3gpuE2ELNS1_3repE0EEENS1_30default_config_static_selectorELNS0_4arch9wavefront6targetE0EEEvT1_, .Lfunc_end298-_ZN7rocprim17ROCPRIM_400000_NS6detail17trampoline_kernelINS0_14default_configENS1_27scan_by_key_config_selectorIssEEZZNS1_16scan_by_key_implILNS1_25lookback_scan_determinismE0ELb0ES3_N6thrust23THRUST_200600_302600_NS6detail15normal_iteratorINS9_10device_ptrIsEEEESE_SE_sNS9_10multipliesIsEENS9_8equal_toIsEEsEE10hipError_tPvRmT2_T3_T4_T5_mT6_T7_P12ihipStream_tbENKUlT_T0_E_clISt17integral_constantIbLb1EESZ_EEDaSU_SV_EUlSU_E_NS1_11comp_targetILNS1_3genE8ELNS1_11target_archE1030ELNS1_3gpuE2ELNS1_3repE0EEENS1_30default_config_static_selectorELNS0_4arch9wavefront6targetE0EEEvT1_
                                        ; -- End function
	.set _ZN7rocprim17ROCPRIM_400000_NS6detail17trampoline_kernelINS0_14default_configENS1_27scan_by_key_config_selectorIssEEZZNS1_16scan_by_key_implILNS1_25lookback_scan_determinismE0ELb0ES3_N6thrust23THRUST_200600_302600_NS6detail15normal_iteratorINS9_10device_ptrIsEEEESE_SE_sNS9_10multipliesIsEENS9_8equal_toIsEEsEE10hipError_tPvRmT2_T3_T4_T5_mT6_T7_P12ihipStream_tbENKUlT_T0_E_clISt17integral_constantIbLb1EESZ_EEDaSU_SV_EUlSU_E_NS1_11comp_targetILNS1_3genE8ELNS1_11target_archE1030ELNS1_3gpuE2ELNS1_3repE0EEENS1_30default_config_static_selectorELNS0_4arch9wavefront6targetE0EEEvT1_.num_vgpr, 0
	.set _ZN7rocprim17ROCPRIM_400000_NS6detail17trampoline_kernelINS0_14default_configENS1_27scan_by_key_config_selectorIssEEZZNS1_16scan_by_key_implILNS1_25lookback_scan_determinismE0ELb0ES3_N6thrust23THRUST_200600_302600_NS6detail15normal_iteratorINS9_10device_ptrIsEEEESE_SE_sNS9_10multipliesIsEENS9_8equal_toIsEEsEE10hipError_tPvRmT2_T3_T4_T5_mT6_T7_P12ihipStream_tbENKUlT_T0_E_clISt17integral_constantIbLb1EESZ_EEDaSU_SV_EUlSU_E_NS1_11comp_targetILNS1_3genE8ELNS1_11target_archE1030ELNS1_3gpuE2ELNS1_3repE0EEENS1_30default_config_static_selectorELNS0_4arch9wavefront6targetE0EEEvT1_.num_agpr, 0
	.set _ZN7rocprim17ROCPRIM_400000_NS6detail17trampoline_kernelINS0_14default_configENS1_27scan_by_key_config_selectorIssEEZZNS1_16scan_by_key_implILNS1_25lookback_scan_determinismE0ELb0ES3_N6thrust23THRUST_200600_302600_NS6detail15normal_iteratorINS9_10device_ptrIsEEEESE_SE_sNS9_10multipliesIsEENS9_8equal_toIsEEsEE10hipError_tPvRmT2_T3_T4_T5_mT6_T7_P12ihipStream_tbENKUlT_T0_E_clISt17integral_constantIbLb1EESZ_EEDaSU_SV_EUlSU_E_NS1_11comp_targetILNS1_3genE8ELNS1_11target_archE1030ELNS1_3gpuE2ELNS1_3repE0EEENS1_30default_config_static_selectorELNS0_4arch9wavefront6targetE0EEEvT1_.numbered_sgpr, 0
	.set _ZN7rocprim17ROCPRIM_400000_NS6detail17trampoline_kernelINS0_14default_configENS1_27scan_by_key_config_selectorIssEEZZNS1_16scan_by_key_implILNS1_25lookback_scan_determinismE0ELb0ES3_N6thrust23THRUST_200600_302600_NS6detail15normal_iteratorINS9_10device_ptrIsEEEESE_SE_sNS9_10multipliesIsEENS9_8equal_toIsEEsEE10hipError_tPvRmT2_T3_T4_T5_mT6_T7_P12ihipStream_tbENKUlT_T0_E_clISt17integral_constantIbLb1EESZ_EEDaSU_SV_EUlSU_E_NS1_11comp_targetILNS1_3genE8ELNS1_11target_archE1030ELNS1_3gpuE2ELNS1_3repE0EEENS1_30default_config_static_selectorELNS0_4arch9wavefront6targetE0EEEvT1_.num_named_barrier, 0
	.set _ZN7rocprim17ROCPRIM_400000_NS6detail17trampoline_kernelINS0_14default_configENS1_27scan_by_key_config_selectorIssEEZZNS1_16scan_by_key_implILNS1_25lookback_scan_determinismE0ELb0ES3_N6thrust23THRUST_200600_302600_NS6detail15normal_iteratorINS9_10device_ptrIsEEEESE_SE_sNS9_10multipliesIsEENS9_8equal_toIsEEsEE10hipError_tPvRmT2_T3_T4_T5_mT6_T7_P12ihipStream_tbENKUlT_T0_E_clISt17integral_constantIbLb1EESZ_EEDaSU_SV_EUlSU_E_NS1_11comp_targetILNS1_3genE8ELNS1_11target_archE1030ELNS1_3gpuE2ELNS1_3repE0EEENS1_30default_config_static_selectorELNS0_4arch9wavefront6targetE0EEEvT1_.private_seg_size, 0
	.set _ZN7rocprim17ROCPRIM_400000_NS6detail17trampoline_kernelINS0_14default_configENS1_27scan_by_key_config_selectorIssEEZZNS1_16scan_by_key_implILNS1_25lookback_scan_determinismE0ELb0ES3_N6thrust23THRUST_200600_302600_NS6detail15normal_iteratorINS9_10device_ptrIsEEEESE_SE_sNS9_10multipliesIsEENS9_8equal_toIsEEsEE10hipError_tPvRmT2_T3_T4_T5_mT6_T7_P12ihipStream_tbENKUlT_T0_E_clISt17integral_constantIbLb1EESZ_EEDaSU_SV_EUlSU_E_NS1_11comp_targetILNS1_3genE8ELNS1_11target_archE1030ELNS1_3gpuE2ELNS1_3repE0EEENS1_30default_config_static_selectorELNS0_4arch9wavefront6targetE0EEEvT1_.uses_vcc, 0
	.set _ZN7rocprim17ROCPRIM_400000_NS6detail17trampoline_kernelINS0_14default_configENS1_27scan_by_key_config_selectorIssEEZZNS1_16scan_by_key_implILNS1_25lookback_scan_determinismE0ELb0ES3_N6thrust23THRUST_200600_302600_NS6detail15normal_iteratorINS9_10device_ptrIsEEEESE_SE_sNS9_10multipliesIsEENS9_8equal_toIsEEsEE10hipError_tPvRmT2_T3_T4_T5_mT6_T7_P12ihipStream_tbENKUlT_T0_E_clISt17integral_constantIbLb1EESZ_EEDaSU_SV_EUlSU_E_NS1_11comp_targetILNS1_3genE8ELNS1_11target_archE1030ELNS1_3gpuE2ELNS1_3repE0EEENS1_30default_config_static_selectorELNS0_4arch9wavefront6targetE0EEEvT1_.uses_flat_scratch, 0
	.set _ZN7rocprim17ROCPRIM_400000_NS6detail17trampoline_kernelINS0_14default_configENS1_27scan_by_key_config_selectorIssEEZZNS1_16scan_by_key_implILNS1_25lookback_scan_determinismE0ELb0ES3_N6thrust23THRUST_200600_302600_NS6detail15normal_iteratorINS9_10device_ptrIsEEEESE_SE_sNS9_10multipliesIsEENS9_8equal_toIsEEsEE10hipError_tPvRmT2_T3_T4_T5_mT6_T7_P12ihipStream_tbENKUlT_T0_E_clISt17integral_constantIbLb1EESZ_EEDaSU_SV_EUlSU_E_NS1_11comp_targetILNS1_3genE8ELNS1_11target_archE1030ELNS1_3gpuE2ELNS1_3repE0EEENS1_30default_config_static_selectorELNS0_4arch9wavefront6targetE0EEEvT1_.has_dyn_sized_stack, 0
	.set _ZN7rocprim17ROCPRIM_400000_NS6detail17trampoline_kernelINS0_14default_configENS1_27scan_by_key_config_selectorIssEEZZNS1_16scan_by_key_implILNS1_25lookback_scan_determinismE0ELb0ES3_N6thrust23THRUST_200600_302600_NS6detail15normal_iteratorINS9_10device_ptrIsEEEESE_SE_sNS9_10multipliesIsEENS9_8equal_toIsEEsEE10hipError_tPvRmT2_T3_T4_T5_mT6_T7_P12ihipStream_tbENKUlT_T0_E_clISt17integral_constantIbLb1EESZ_EEDaSU_SV_EUlSU_E_NS1_11comp_targetILNS1_3genE8ELNS1_11target_archE1030ELNS1_3gpuE2ELNS1_3repE0EEENS1_30default_config_static_selectorELNS0_4arch9wavefront6targetE0EEEvT1_.has_recursion, 0
	.set _ZN7rocprim17ROCPRIM_400000_NS6detail17trampoline_kernelINS0_14default_configENS1_27scan_by_key_config_selectorIssEEZZNS1_16scan_by_key_implILNS1_25lookback_scan_determinismE0ELb0ES3_N6thrust23THRUST_200600_302600_NS6detail15normal_iteratorINS9_10device_ptrIsEEEESE_SE_sNS9_10multipliesIsEENS9_8equal_toIsEEsEE10hipError_tPvRmT2_T3_T4_T5_mT6_T7_P12ihipStream_tbENKUlT_T0_E_clISt17integral_constantIbLb1EESZ_EEDaSU_SV_EUlSU_E_NS1_11comp_targetILNS1_3genE8ELNS1_11target_archE1030ELNS1_3gpuE2ELNS1_3repE0EEENS1_30default_config_static_selectorELNS0_4arch9wavefront6targetE0EEEvT1_.has_indirect_call, 0
	.section	.AMDGPU.csdata,"",@progbits
; Kernel info:
; codeLenInByte = 4
; TotalNumSgprs: 0
; NumVgprs: 0
; ScratchSize: 0
; MemoryBound: 0
; FloatMode: 240
; IeeeMode: 1
; LDSByteSize: 0 bytes/workgroup (compile time only)
; SGPRBlocks: 0
; VGPRBlocks: 0
; NumSGPRsForWavesPerEU: 1
; NumVGPRsForWavesPerEU: 1
; Occupancy: 16
; WaveLimiterHint : 0
; COMPUTE_PGM_RSRC2:SCRATCH_EN: 0
; COMPUTE_PGM_RSRC2:USER_SGPR: 6
; COMPUTE_PGM_RSRC2:TRAP_HANDLER: 0
; COMPUTE_PGM_RSRC2:TGID_X_EN: 1
; COMPUTE_PGM_RSRC2:TGID_Y_EN: 0
; COMPUTE_PGM_RSRC2:TGID_Z_EN: 0
; COMPUTE_PGM_RSRC2:TIDIG_COMP_CNT: 0
	.section	.text._ZN7rocprim17ROCPRIM_400000_NS6detail17trampoline_kernelINS0_14default_configENS1_27scan_by_key_config_selectorIssEEZZNS1_16scan_by_key_implILNS1_25lookback_scan_determinismE0ELb0ES3_N6thrust23THRUST_200600_302600_NS6detail15normal_iteratorINS9_10device_ptrIsEEEESE_SE_sNS9_10multipliesIsEENS9_8equal_toIsEEsEE10hipError_tPvRmT2_T3_T4_T5_mT6_T7_P12ihipStream_tbENKUlT_T0_E_clISt17integral_constantIbLb1EESY_IbLb0EEEEDaSU_SV_EUlSU_E_NS1_11comp_targetILNS1_3genE0ELNS1_11target_archE4294967295ELNS1_3gpuE0ELNS1_3repE0EEENS1_30default_config_static_selectorELNS0_4arch9wavefront6targetE0EEEvT1_,"axG",@progbits,_ZN7rocprim17ROCPRIM_400000_NS6detail17trampoline_kernelINS0_14default_configENS1_27scan_by_key_config_selectorIssEEZZNS1_16scan_by_key_implILNS1_25lookback_scan_determinismE0ELb0ES3_N6thrust23THRUST_200600_302600_NS6detail15normal_iteratorINS9_10device_ptrIsEEEESE_SE_sNS9_10multipliesIsEENS9_8equal_toIsEEsEE10hipError_tPvRmT2_T3_T4_T5_mT6_T7_P12ihipStream_tbENKUlT_T0_E_clISt17integral_constantIbLb1EESY_IbLb0EEEEDaSU_SV_EUlSU_E_NS1_11comp_targetILNS1_3genE0ELNS1_11target_archE4294967295ELNS1_3gpuE0ELNS1_3repE0EEENS1_30default_config_static_selectorELNS0_4arch9wavefront6targetE0EEEvT1_,comdat
	.protected	_ZN7rocprim17ROCPRIM_400000_NS6detail17trampoline_kernelINS0_14default_configENS1_27scan_by_key_config_selectorIssEEZZNS1_16scan_by_key_implILNS1_25lookback_scan_determinismE0ELb0ES3_N6thrust23THRUST_200600_302600_NS6detail15normal_iteratorINS9_10device_ptrIsEEEESE_SE_sNS9_10multipliesIsEENS9_8equal_toIsEEsEE10hipError_tPvRmT2_T3_T4_T5_mT6_T7_P12ihipStream_tbENKUlT_T0_E_clISt17integral_constantIbLb1EESY_IbLb0EEEEDaSU_SV_EUlSU_E_NS1_11comp_targetILNS1_3genE0ELNS1_11target_archE4294967295ELNS1_3gpuE0ELNS1_3repE0EEENS1_30default_config_static_selectorELNS0_4arch9wavefront6targetE0EEEvT1_ ; -- Begin function _ZN7rocprim17ROCPRIM_400000_NS6detail17trampoline_kernelINS0_14default_configENS1_27scan_by_key_config_selectorIssEEZZNS1_16scan_by_key_implILNS1_25lookback_scan_determinismE0ELb0ES3_N6thrust23THRUST_200600_302600_NS6detail15normal_iteratorINS9_10device_ptrIsEEEESE_SE_sNS9_10multipliesIsEENS9_8equal_toIsEEsEE10hipError_tPvRmT2_T3_T4_T5_mT6_T7_P12ihipStream_tbENKUlT_T0_E_clISt17integral_constantIbLb1EESY_IbLb0EEEEDaSU_SV_EUlSU_E_NS1_11comp_targetILNS1_3genE0ELNS1_11target_archE4294967295ELNS1_3gpuE0ELNS1_3repE0EEENS1_30default_config_static_selectorELNS0_4arch9wavefront6targetE0EEEvT1_
	.globl	_ZN7rocprim17ROCPRIM_400000_NS6detail17trampoline_kernelINS0_14default_configENS1_27scan_by_key_config_selectorIssEEZZNS1_16scan_by_key_implILNS1_25lookback_scan_determinismE0ELb0ES3_N6thrust23THRUST_200600_302600_NS6detail15normal_iteratorINS9_10device_ptrIsEEEESE_SE_sNS9_10multipliesIsEENS9_8equal_toIsEEsEE10hipError_tPvRmT2_T3_T4_T5_mT6_T7_P12ihipStream_tbENKUlT_T0_E_clISt17integral_constantIbLb1EESY_IbLb0EEEEDaSU_SV_EUlSU_E_NS1_11comp_targetILNS1_3genE0ELNS1_11target_archE4294967295ELNS1_3gpuE0ELNS1_3repE0EEENS1_30default_config_static_selectorELNS0_4arch9wavefront6targetE0EEEvT1_
	.p2align	8
	.type	_ZN7rocprim17ROCPRIM_400000_NS6detail17trampoline_kernelINS0_14default_configENS1_27scan_by_key_config_selectorIssEEZZNS1_16scan_by_key_implILNS1_25lookback_scan_determinismE0ELb0ES3_N6thrust23THRUST_200600_302600_NS6detail15normal_iteratorINS9_10device_ptrIsEEEESE_SE_sNS9_10multipliesIsEENS9_8equal_toIsEEsEE10hipError_tPvRmT2_T3_T4_T5_mT6_T7_P12ihipStream_tbENKUlT_T0_E_clISt17integral_constantIbLb1EESY_IbLb0EEEEDaSU_SV_EUlSU_E_NS1_11comp_targetILNS1_3genE0ELNS1_11target_archE4294967295ELNS1_3gpuE0ELNS1_3repE0EEENS1_30default_config_static_selectorELNS0_4arch9wavefront6targetE0EEEvT1_,@function
_ZN7rocprim17ROCPRIM_400000_NS6detail17trampoline_kernelINS0_14default_configENS1_27scan_by_key_config_selectorIssEEZZNS1_16scan_by_key_implILNS1_25lookback_scan_determinismE0ELb0ES3_N6thrust23THRUST_200600_302600_NS6detail15normal_iteratorINS9_10device_ptrIsEEEESE_SE_sNS9_10multipliesIsEENS9_8equal_toIsEEsEE10hipError_tPvRmT2_T3_T4_T5_mT6_T7_P12ihipStream_tbENKUlT_T0_E_clISt17integral_constantIbLb1EESY_IbLb0EEEEDaSU_SV_EUlSU_E_NS1_11comp_targetILNS1_3genE0ELNS1_11target_archE4294967295ELNS1_3gpuE0ELNS1_3repE0EEENS1_30default_config_static_selectorELNS0_4arch9wavefront6targetE0EEEvT1_: ; @_ZN7rocprim17ROCPRIM_400000_NS6detail17trampoline_kernelINS0_14default_configENS1_27scan_by_key_config_selectorIssEEZZNS1_16scan_by_key_implILNS1_25lookback_scan_determinismE0ELb0ES3_N6thrust23THRUST_200600_302600_NS6detail15normal_iteratorINS9_10device_ptrIsEEEESE_SE_sNS9_10multipliesIsEENS9_8equal_toIsEEsEE10hipError_tPvRmT2_T3_T4_T5_mT6_T7_P12ihipStream_tbENKUlT_T0_E_clISt17integral_constantIbLb1EESY_IbLb0EEEEDaSU_SV_EUlSU_E_NS1_11comp_targetILNS1_3genE0ELNS1_11target_archE4294967295ELNS1_3gpuE0ELNS1_3repE0EEENS1_30default_config_static_selectorELNS0_4arch9wavefront6targetE0EEEvT1_
; %bb.0:
	.section	.rodata,"a",@progbits
	.p2align	6, 0x0
	.amdhsa_kernel _ZN7rocprim17ROCPRIM_400000_NS6detail17trampoline_kernelINS0_14default_configENS1_27scan_by_key_config_selectorIssEEZZNS1_16scan_by_key_implILNS1_25lookback_scan_determinismE0ELb0ES3_N6thrust23THRUST_200600_302600_NS6detail15normal_iteratorINS9_10device_ptrIsEEEESE_SE_sNS9_10multipliesIsEENS9_8equal_toIsEEsEE10hipError_tPvRmT2_T3_T4_T5_mT6_T7_P12ihipStream_tbENKUlT_T0_E_clISt17integral_constantIbLb1EESY_IbLb0EEEEDaSU_SV_EUlSU_E_NS1_11comp_targetILNS1_3genE0ELNS1_11target_archE4294967295ELNS1_3gpuE0ELNS1_3repE0EEENS1_30default_config_static_selectorELNS0_4arch9wavefront6targetE0EEEvT1_
		.amdhsa_group_segment_fixed_size 0
		.amdhsa_private_segment_fixed_size 0
		.amdhsa_kernarg_size 112
		.amdhsa_user_sgpr_count 6
		.amdhsa_user_sgpr_private_segment_buffer 1
		.amdhsa_user_sgpr_dispatch_ptr 0
		.amdhsa_user_sgpr_queue_ptr 0
		.amdhsa_user_sgpr_kernarg_segment_ptr 1
		.amdhsa_user_sgpr_dispatch_id 0
		.amdhsa_user_sgpr_flat_scratch_init 0
		.amdhsa_user_sgpr_private_segment_size 0
		.amdhsa_wavefront_size32 1
		.amdhsa_uses_dynamic_stack 0
		.amdhsa_system_sgpr_private_segment_wavefront_offset 0
		.amdhsa_system_sgpr_workgroup_id_x 1
		.amdhsa_system_sgpr_workgroup_id_y 0
		.amdhsa_system_sgpr_workgroup_id_z 0
		.amdhsa_system_sgpr_workgroup_info 0
		.amdhsa_system_vgpr_workitem_id 0
		.amdhsa_next_free_vgpr 1
		.amdhsa_next_free_sgpr 1
		.amdhsa_reserve_vcc 0
		.amdhsa_reserve_flat_scratch 0
		.amdhsa_float_round_mode_32 0
		.amdhsa_float_round_mode_16_64 0
		.amdhsa_float_denorm_mode_32 3
		.amdhsa_float_denorm_mode_16_64 3
		.amdhsa_dx10_clamp 1
		.amdhsa_ieee_mode 1
		.amdhsa_fp16_overflow 0
		.amdhsa_workgroup_processor_mode 1
		.amdhsa_memory_ordered 1
		.amdhsa_forward_progress 1
		.amdhsa_shared_vgpr_count 0
		.amdhsa_exception_fp_ieee_invalid_op 0
		.amdhsa_exception_fp_denorm_src 0
		.amdhsa_exception_fp_ieee_div_zero 0
		.amdhsa_exception_fp_ieee_overflow 0
		.amdhsa_exception_fp_ieee_underflow 0
		.amdhsa_exception_fp_ieee_inexact 0
		.amdhsa_exception_int_div_zero 0
	.end_amdhsa_kernel
	.section	.text._ZN7rocprim17ROCPRIM_400000_NS6detail17trampoline_kernelINS0_14default_configENS1_27scan_by_key_config_selectorIssEEZZNS1_16scan_by_key_implILNS1_25lookback_scan_determinismE0ELb0ES3_N6thrust23THRUST_200600_302600_NS6detail15normal_iteratorINS9_10device_ptrIsEEEESE_SE_sNS9_10multipliesIsEENS9_8equal_toIsEEsEE10hipError_tPvRmT2_T3_T4_T5_mT6_T7_P12ihipStream_tbENKUlT_T0_E_clISt17integral_constantIbLb1EESY_IbLb0EEEEDaSU_SV_EUlSU_E_NS1_11comp_targetILNS1_3genE0ELNS1_11target_archE4294967295ELNS1_3gpuE0ELNS1_3repE0EEENS1_30default_config_static_selectorELNS0_4arch9wavefront6targetE0EEEvT1_,"axG",@progbits,_ZN7rocprim17ROCPRIM_400000_NS6detail17trampoline_kernelINS0_14default_configENS1_27scan_by_key_config_selectorIssEEZZNS1_16scan_by_key_implILNS1_25lookback_scan_determinismE0ELb0ES3_N6thrust23THRUST_200600_302600_NS6detail15normal_iteratorINS9_10device_ptrIsEEEESE_SE_sNS9_10multipliesIsEENS9_8equal_toIsEEsEE10hipError_tPvRmT2_T3_T4_T5_mT6_T7_P12ihipStream_tbENKUlT_T0_E_clISt17integral_constantIbLb1EESY_IbLb0EEEEDaSU_SV_EUlSU_E_NS1_11comp_targetILNS1_3genE0ELNS1_11target_archE4294967295ELNS1_3gpuE0ELNS1_3repE0EEENS1_30default_config_static_selectorELNS0_4arch9wavefront6targetE0EEEvT1_,comdat
.Lfunc_end299:
	.size	_ZN7rocprim17ROCPRIM_400000_NS6detail17trampoline_kernelINS0_14default_configENS1_27scan_by_key_config_selectorIssEEZZNS1_16scan_by_key_implILNS1_25lookback_scan_determinismE0ELb0ES3_N6thrust23THRUST_200600_302600_NS6detail15normal_iteratorINS9_10device_ptrIsEEEESE_SE_sNS9_10multipliesIsEENS9_8equal_toIsEEsEE10hipError_tPvRmT2_T3_T4_T5_mT6_T7_P12ihipStream_tbENKUlT_T0_E_clISt17integral_constantIbLb1EESY_IbLb0EEEEDaSU_SV_EUlSU_E_NS1_11comp_targetILNS1_3genE0ELNS1_11target_archE4294967295ELNS1_3gpuE0ELNS1_3repE0EEENS1_30default_config_static_selectorELNS0_4arch9wavefront6targetE0EEEvT1_, .Lfunc_end299-_ZN7rocprim17ROCPRIM_400000_NS6detail17trampoline_kernelINS0_14default_configENS1_27scan_by_key_config_selectorIssEEZZNS1_16scan_by_key_implILNS1_25lookback_scan_determinismE0ELb0ES3_N6thrust23THRUST_200600_302600_NS6detail15normal_iteratorINS9_10device_ptrIsEEEESE_SE_sNS9_10multipliesIsEENS9_8equal_toIsEEsEE10hipError_tPvRmT2_T3_T4_T5_mT6_T7_P12ihipStream_tbENKUlT_T0_E_clISt17integral_constantIbLb1EESY_IbLb0EEEEDaSU_SV_EUlSU_E_NS1_11comp_targetILNS1_3genE0ELNS1_11target_archE4294967295ELNS1_3gpuE0ELNS1_3repE0EEENS1_30default_config_static_selectorELNS0_4arch9wavefront6targetE0EEEvT1_
                                        ; -- End function
	.set _ZN7rocprim17ROCPRIM_400000_NS6detail17trampoline_kernelINS0_14default_configENS1_27scan_by_key_config_selectorIssEEZZNS1_16scan_by_key_implILNS1_25lookback_scan_determinismE0ELb0ES3_N6thrust23THRUST_200600_302600_NS6detail15normal_iteratorINS9_10device_ptrIsEEEESE_SE_sNS9_10multipliesIsEENS9_8equal_toIsEEsEE10hipError_tPvRmT2_T3_T4_T5_mT6_T7_P12ihipStream_tbENKUlT_T0_E_clISt17integral_constantIbLb1EESY_IbLb0EEEEDaSU_SV_EUlSU_E_NS1_11comp_targetILNS1_3genE0ELNS1_11target_archE4294967295ELNS1_3gpuE0ELNS1_3repE0EEENS1_30default_config_static_selectorELNS0_4arch9wavefront6targetE0EEEvT1_.num_vgpr, 0
	.set _ZN7rocprim17ROCPRIM_400000_NS6detail17trampoline_kernelINS0_14default_configENS1_27scan_by_key_config_selectorIssEEZZNS1_16scan_by_key_implILNS1_25lookback_scan_determinismE0ELb0ES3_N6thrust23THRUST_200600_302600_NS6detail15normal_iteratorINS9_10device_ptrIsEEEESE_SE_sNS9_10multipliesIsEENS9_8equal_toIsEEsEE10hipError_tPvRmT2_T3_T4_T5_mT6_T7_P12ihipStream_tbENKUlT_T0_E_clISt17integral_constantIbLb1EESY_IbLb0EEEEDaSU_SV_EUlSU_E_NS1_11comp_targetILNS1_3genE0ELNS1_11target_archE4294967295ELNS1_3gpuE0ELNS1_3repE0EEENS1_30default_config_static_selectorELNS0_4arch9wavefront6targetE0EEEvT1_.num_agpr, 0
	.set _ZN7rocprim17ROCPRIM_400000_NS6detail17trampoline_kernelINS0_14default_configENS1_27scan_by_key_config_selectorIssEEZZNS1_16scan_by_key_implILNS1_25lookback_scan_determinismE0ELb0ES3_N6thrust23THRUST_200600_302600_NS6detail15normal_iteratorINS9_10device_ptrIsEEEESE_SE_sNS9_10multipliesIsEENS9_8equal_toIsEEsEE10hipError_tPvRmT2_T3_T4_T5_mT6_T7_P12ihipStream_tbENKUlT_T0_E_clISt17integral_constantIbLb1EESY_IbLb0EEEEDaSU_SV_EUlSU_E_NS1_11comp_targetILNS1_3genE0ELNS1_11target_archE4294967295ELNS1_3gpuE0ELNS1_3repE0EEENS1_30default_config_static_selectorELNS0_4arch9wavefront6targetE0EEEvT1_.numbered_sgpr, 0
	.set _ZN7rocprim17ROCPRIM_400000_NS6detail17trampoline_kernelINS0_14default_configENS1_27scan_by_key_config_selectorIssEEZZNS1_16scan_by_key_implILNS1_25lookback_scan_determinismE0ELb0ES3_N6thrust23THRUST_200600_302600_NS6detail15normal_iteratorINS9_10device_ptrIsEEEESE_SE_sNS9_10multipliesIsEENS9_8equal_toIsEEsEE10hipError_tPvRmT2_T3_T4_T5_mT6_T7_P12ihipStream_tbENKUlT_T0_E_clISt17integral_constantIbLb1EESY_IbLb0EEEEDaSU_SV_EUlSU_E_NS1_11comp_targetILNS1_3genE0ELNS1_11target_archE4294967295ELNS1_3gpuE0ELNS1_3repE0EEENS1_30default_config_static_selectorELNS0_4arch9wavefront6targetE0EEEvT1_.num_named_barrier, 0
	.set _ZN7rocprim17ROCPRIM_400000_NS6detail17trampoline_kernelINS0_14default_configENS1_27scan_by_key_config_selectorIssEEZZNS1_16scan_by_key_implILNS1_25lookback_scan_determinismE0ELb0ES3_N6thrust23THRUST_200600_302600_NS6detail15normal_iteratorINS9_10device_ptrIsEEEESE_SE_sNS9_10multipliesIsEENS9_8equal_toIsEEsEE10hipError_tPvRmT2_T3_T4_T5_mT6_T7_P12ihipStream_tbENKUlT_T0_E_clISt17integral_constantIbLb1EESY_IbLb0EEEEDaSU_SV_EUlSU_E_NS1_11comp_targetILNS1_3genE0ELNS1_11target_archE4294967295ELNS1_3gpuE0ELNS1_3repE0EEENS1_30default_config_static_selectorELNS0_4arch9wavefront6targetE0EEEvT1_.private_seg_size, 0
	.set _ZN7rocprim17ROCPRIM_400000_NS6detail17trampoline_kernelINS0_14default_configENS1_27scan_by_key_config_selectorIssEEZZNS1_16scan_by_key_implILNS1_25lookback_scan_determinismE0ELb0ES3_N6thrust23THRUST_200600_302600_NS6detail15normal_iteratorINS9_10device_ptrIsEEEESE_SE_sNS9_10multipliesIsEENS9_8equal_toIsEEsEE10hipError_tPvRmT2_T3_T4_T5_mT6_T7_P12ihipStream_tbENKUlT_T0_E_clISt17integral_constantIbLb1EESY_IbLb0EEEEDaSU_SV_EUlSU_E_NS1_11comp_targetILNS1_3genE0ELNS1_11target_archE4294967295ELNS1_3gpuE0ELNS1_3repE0EEENS1_30default_config_static_selectorELNS0_4arch9wavefront6targetE0EEEvT1_.uses_vcc, 0
	.set _ZN7rocprim17ROCPRIM_400000_NS6detail17trampoline_kernelINS0_14default_configENS1_27scan_by_key_config_selectorIssEEZZNS1_16scan_by_key_implILNS1_25lookback_scan_determinismE0ELb0ES3_N6thrust23THRUST_200600_302600_NS6detail15normal_iteratorINS9_10device_ptrIsEEEESE_SE_sNS9_10multipliesIsEENS9_8equal_toIsEEsEE10hipError_tPvRmT2_T3_T4_T5_mT6_T7_P12ihipStream_tbENKUlT_T0_E_clISt17integral_constantIbLb1EESY_IbLb0EEEEDaSU_SV_EUlSU_E_NS1_11comp_targetILNS1_3genE0ELNS1_11target_archE4294967295ELNS1_3gpuE0ELNS1_3repE0EEENS1_30default_config_static_selectorELNS0_4arch9wavefront6targetE0EEEvT1_.uses_flat_scratch, 0
	.set _ZN7rocprim17ROCPRIM_400000_NS6detail17trampoline_kernelINS0_14default_configENS1_27scan_by_key_config_selectorIssEEZZNS1_16scan_by_key_implILNS1_25lookback_scan_determinismE0ELb0ES3_N6thrust23THRUST_200600_302600_NS6detail15normal_iteratorINS9_10device_ptrIsEEEESE_SE_sNS9_10multipliesIsEENS9_8equal_toIsEEsEE10hipError_tPvRmT2_T3_T4_T5_mT6_T7_P12ihipStream_tbENKUlT_T0_E_clISt17integral_constantIbLb1EESY_IbLb0EEEEDaSU_SV_EUlSU_E_NS1_11comp_targetILNS1_3genE0ELNS1_11target_archE4294967295ELNS1_3gpuE0ELNS1_3repE0EEENS1_30default_config_static_selectorELNS0_4arch9wavefront6targetE0EEEvT1_.has_dyn_sized_stack, 0
	.set _ZN7rocprim17ROCPRIM_400000_NS6detail17trampoline_kernelINS0_14default_configENS1_27scan_by_key_config_selectorIssEEZZNS1_16scan_by_key_implILNS1_25lookback_scan_determinismE0ELb0ES3_N6thrust23THRUST_200600_302600_NS6detail15normal_iteratorINS9_10device_ptrIsEEEESE_SE_sNS9_10multipliesIsEENS9_8equal_toIsEEsEE10hipError_tPvRmT2_T3_T4_T5_mT6_T7_P12ihipStream_tbENKUlT_T0_E_clISt17integral_constantIbLb1EESY_IbLb0EEEEDaSU_SV_EUlSU_E_NS1_11comp_targetILNS1_3genE0ELNS1_11target_archE4294967295ELNS1_3gpuE0ELNS1_3repE0EEENS1_30default_config_static_selectorELNS0_4arch9wavefront6targetE0EEEvT1_.has_recursion, 0
	.set _ZN7rocprim17ROCPRIM_400000_NS6detail17trampoline_kernelINS0_14default_configENS1_27scan_by_key_config_selectorIssEEZZNS1_16scan_by_key_implILNS1_25lookback_scan_determinismE0ELb0ES3_N6thrust23THRUST_200600_302600_NS6detail15normal_iteratorINS9_10device_ptrIsEEEESE_SE_sNS9_10multipliesIsEENS9_8equal_toIsEEsEE10hipError_tPvRmT2_T3_T4_T5_mT6_T7_P12ihipStream_tbENKUlT_T0_E_clISt17integral_constantIbLb1EESY_IbLb0EEEEDaSU_SV_EUlSU_E_NS1_11comp_targetILNS1_3genE0ELNS1_11target_archE4294967295ELNS1_3gpuE0ELNS1_3repE0EEENS1_30default_config_static_selectorELNS0_4arch9wavefront6targetE0EEEvT1_.has_indirect_call, 0
	.section	.AMDGPU.csdata,"",@progbits
; Kernel info:
; codeLenInByte = 0
; TotalNumSgprs: 0
; NumVgprs: 0
; ScratchSize: 0
; MemoryBound: 0
; FloatMode: 240
; IeeeMode: 1
; LDSByteSize: 0 bytes/workgroup (compile time only)
; SGPRBlocks: 0
; VGPRBlocks: 0
; NumSGPRsForWavesPerEU: 1
; NumVGPRsForWavesPerEU: 1
; Occupancy: 16
; WaveLimiterHint : 0
; COMPUTE_PGM_RSRC2:SCRATCH_EN: 0
; COMPUTE_PGM_RSRC2:USER_SGPR: 6
; COMPUTE_PGM_RSRC2:TRAP_HANDLER: 0
; COMPUTE_PGM_RSRC2:TGID_X_EN: 1
; COMPUTE_PGM_RSRC2:TGID_Y_EN: 0
; COMPUTE_PGM_RSRC2:TGID_Z_EN: 0
; COMPUTE_PGM_RSRC2:TIDIG_COMP_CNT: 0
	.section	.text._ZN7rocprim17ROCPRIM_400000_NS6detail17trampoline_kernelINS0_14default_configENS1_27scan_by_key_config_selectorIssEEZZNS1_16scan_by_key_implILNS1_25lookback_scan_determinismE0ELb0ES3_N6thrust23THRUST_200600_302600_NS6detail15normal_iteratorINS9_10device_ptrIsEEEESE_SE_sNS9_10multipliesIsEENS9_8equal_toIsEEsEE10hipError_tPvRmT2_T3_T4_T5_mT6_T7_P12ihipStream_tbENKUlT_T0_E_clISt17integral_constantIbLb1EESY_IbLb0EEEEDaSU_SV_EUlSU_E_NS1_11comp_targetILNS1_3genE10ELNS1_11target_archE1201ELNS1_3gpuE5ELNS1_3repE0EEENS1_30default_config_static_selectorELNS0_4arch9wavefront6targetE0EEEvT1_,"axG",@progbits,_ZN7rocprim17ROCPRIM_400000_NS6detail17trampoline_kernelINS0_14default_configENS1_27scan_by_key_config_selectorIssEEZZNS1_16scan_by_key_implILNS1_25lookback_scan_determinismE0ELb0ES3_N6thrust23THRUST_200600_302600_NS6detail15normal_iteratorINS9_10device_ptrIsEEEESE_SE_sNS9_10multipliesIsEENS9_8equal_toIsEEsEE10hipError_tPvRmT2_T3_T4_T5_mT6_T7_P12ihipStream_tbENKUlT_T0_E_clISt17integral_constantIbLb1EESY_IbLb0EEEEDaSU_SV_EUlSU_E_NS1_11comp_targetILNS1_3genE10ELNS1_11target_archE1201ELNS1_3gpuE5ELNS1_3repE0EEENS1_30default_config_static_selectorELNS0_4arch9wavefront6targetE0EEEvT1_,comdat
	.protected	_ZN7rocprim17ROCPRIM_400000_NS6detail17trampoline_kernelINS0_14default_configENS1_27scan_by_key_config_selectorIssEEZZNS1_16scan_by_key_implILNS1_25lookback_scan_determinismE0ELb0ES3_N6thrust23THRUST_200600_302600_NS6detail15normal_iteratorINS9_10device_ptrIsEEEESE_SE_sNS9_10multipliesIsEENS9_8equal_toIsEEsEE10hipError_tPvRmT2_T3_T4_T5_mT6_T7_P12ihipStream_tbENKUlT_T0_E_clISt17integral_constantIbLb1EESY_IbLb0EEEEDaSU_SV_EUlSU_E_NS1_11comp_targetILNS1_3genE10ELNS1_11target_archE1201ELNS1_3gpuE5ELNS1_3repE0EEENS1_30default_config_static_selectorELNS0_4arch9wavefront6targetE0EEEvT1_ ; -- Begin function _ZN7rocprim17ROCPRIM_400000_NS6detail17trampoline_kernelINS0_14default_configENS1_27scan_by_key_config_selectorIssEEZZNS1_16scan_by_key_implILNS1_25lookback_scan_determinismE0ELb0ES3_N6thrust23THRUST_200600_302600_NS6detail15normal_iteratorINS9_10device_ptrIsEEEESE_SE_sNS9_10multipliesIsEENS9_8equal_toIsEEsEE10hipError_tPvRmT2_T3_T4_T5_mT6_T7_P12ihipStream_tbENKUlT_T0_E_clISt17integral_constantIbLb1EESY_IbLb0EEEEDaSU_SV_EUlSU_E_NS1_11comp_targetILNS1_3genE10ELNS1_11target_archE1201ELNS1_3gpuE5ELNS1_3repE0EEENS1_30default_config_static_selectorELNS0_4arch9wavefront6targetE0EEEvT1_
	.globl	_ZN7rocprim17ROCPRIM_400000_NS6detail17trampoline_kernelINS0_14default_configENS1_27scan_by_key_config_selectorIssEEZZNS1_16scan_by_key_implILNS1_25lookback_scan_determinismE0ELb0ES3_N6thrust23THRUST_200600_302600_NS6detail15normal_iteratorINS9_10device_ptrIsEEEESE_SE_sNS9_10multipliesIsEENS9_8equal_toIsEEsEE10hipError_tPvRmT2_T3_T4_T5_mT6_T7_P12ihipStream_tbENKUlT_T0_E_clISt17integral_constantIbLb1EESY_IbLb0EEEEDaSU_SV_EUlSU_E_NS1_11comp_targetILNS1_3genE10ELNS1_11target_archE1201ELNS1_3gpuE5ELNS1_3repE0EEENS1_30default_config_static_selectorELNS0_4arch9wavefront6targetE0EEEvT1_
	.p2align	8
	.type	_ZN7rocprim17ROCPRIM_400000_NS6detail17trampoline_kernelINS0_14default_configENS1_27scan_by_key_config_selectorIssEEZZNS1_16scan_by_key_implILNS1_25lookback_scan_determinismE0ELb0ES3_N6thrust23THRUST_200600_302600_NS6detail15normal_iteratorINS9_10device_ptrIsEEEESE_SE_sNS9_10multipliesIsEENS9_8equal_toIsEEsEE10hipError_tPvRmT2_T3_T4_T5_mT6_T7_P12ihipStream_tbENKUlT_T0_E_clISt17integral_constantIbLb1EESY_IbLb0EEEEDaSU_SV_EUlSU_E_NS1_11comp_targetILNS1_3genE10ELNS1_11target_archE1201ELNS1_3gpuE5ELNS1_3repE0EEENS1_30default_config_static_selectorELNS0_4arch9wavefront6targetE0EEEvT1_,@function
_ZN7rocprim17ROCPRIM_400000_NS6detail17trampoline_kernelINS0_14default_configENS1_27scan_by_key_config_selectorIssEEZZNS1_16scan_by_key_implILNS1_25lookback_scan_determinismE0ELb0ES3_N6thrust23THRUST_200600_302600_NS6detail15normal_iteratorINS9_10device_ptrIsEEEESE_SE_sNS9_10multipliesIsEENS9_8equal_toIsEEsEE10hipError_tPvRmT2_T3_T4_T5_mT6_T7_P12ihipStream_tbENKUlT_T0_E_clISt17integral_constantIbLb1EESY_IbLb0EEEEDaSU_SV_EUlSU_E_NS1_11comp_targetILNS1_3genE10ELNS1_11target_archE1201ELNS1_3gpuE5ELNS1_3repE0EEENS1_30default_config_static_selectorELNS0_4arch9wavefront6targetE0EEEvT1_: ; @_ZN7rocprim17ROCPRIM_400000_NS6detail17trampoline_kernelINS0_14default_configENS1_27scan_by_key_config_selectorIssEEZZNS1_16scan_by_key_implILNS1_25lookback_scan_determinismE0ELb0ES3_N6thrust23THRUST_200600_302600_NS6detail15normal_iteratorINS9_10device_ptrIsEEEESE_SE_sNS9_10multipliesIsEENS9_8equal_toIsEEsEE10hipError_tPvRmT2_T3_T4_T5_mT6_T7_P12ihipStream_tbENKUlT_T0_E_clISt17integral_constantIbLb1EESY_IbLb0EEEEDaSU_SV_EUlSU_E_NS1_11comp_targetILNS1_3genE10ELNS1_11target_archE1201ELNS1_3gpuE5ELNS1_3repE0EEENS1_30default_config_static_selectorELNS0_4arch9wavefront6targetE0EEEvT1_
; %bb.0:
	.section	.rodata,"a",@progbits
	.p2align	6, 0x0
	.amdhsa_kernel _ZN7rocprim17ROCPRIM_400000_NS6detail17trampoline_kernelINS0_14default_configENS1_27scan_by_key_config_selectorIssEEZZNS1_16scan_by_key_implILNS1_25lookback_scan_determinismE0ELb0ES3_N6thrust23THRUST_200600_302600_NS6detail15normal_iteratorINS9_10device_ptrIsEEEESE_SE_sNS9_10multipliesIsEENS9_8equal_toIsEEsEE10hipError_tPvRmT2_T3_T4_T5_mT6_T7_P12ihipStream_tbENKUlT_T0_E_clISt17integral_constantIbLb1EESY_IbLb0EEEEDaSU_SV_EUlSU_E_NS1_11comp_targetILNS1_3genE10ELNS1_11target_archE1201ELNS1_3gpuE5ELNS1_3repE0EEENS1_30default_config_static_selectorELNS0_4arch9wavefront6targetE0EEEvT1_
		.amdhsa_group_segment_fixed_size 0
		.amdhsa_private_segment_fixed_size 0
		.amdhsa_kernarg_size 112
		.amdhsa_user_sgpr_count 6
		.amdhsa_user_sgpr_private_segment_buffer 1
		.amdhsa_user_sgpr_dispatch_ptr 0
		.amdhsa_user_sgpr_queue_ptr 0
		.amdhsa_user_sgpr_kernarg_segment_ptr 1
		.amdhsa_user_sgpr_dispatch_id 0
		.amdhsa_user_sgpr_flat_scratch_init 0
		.amdhsa_user_sgpr_private_segment_size 0
		.amdhsa_wavefront_size32 1
		.amdhsa_uses_dynamic_stack 0
		.amdhsa_system_sgpr_private_segment_wavefront_offset 0
		.amdhsa_system_sgpr_workgroup_id_x 1
		.amdhsa_system_sgpr_workgroup_id_y 0
		.amdhsa_system_sgpr_workgroup_id_z 0
		.amdhsa_system_sgpr_workgroup_info 0
		.amdhsa_system_vgpr_workitem_id 0
		.amdhsa_next_free_vgpr 1
		.amdhsa_next_free_sgpr 1
		.amdhsa_reserve_vcc 0
		.amdhsa_reserve_flat_scratch 0
		.amdhsa_float_round_mode_32 0
		.amdhsa_float_round_mode_16_64 0
		.amdhsa_float_denorm_mode_32 3
		.amdhsa_float_denorm_mode_16_64 3
		.amdhsa_dx10_clamp 1
		.amdhsa_ieee_mode 1
		.amdhsa_fp16_overflow 0
		.amdhsa_workgroup_processor_mode 1
		.amdhsa_memory_ordered 1
		.amdhsa_forward_progress 1
		.amdhsa_shared_vgpr_count 0
		.amdhsa_exception_fp_ieee_invalid_op 0
		.amdhsa_exception_fp_denorm_src 0
		.amdhsa_exception_fp_ieee_div_zero 0
		.amdhsa_exception_fp_ieee_overflow 0
		.amdhsa_exception_fp_ieee_underflow 0
		.amdhsa_exception_fp_ieee_inexact 0
		.amdhsa_exception_int_div_zero 0
	.end_amdhsa_kernel
	.section	.text._ZN7rocprim17ROCPRIM_400000_NS6detail17trampoline_kernelINS0_14default_configENS1_27scan_by_key_config_selectorIssEEZZNS1_16scan_by_key_implILNS1_25lookback_scan_determinismE0ELb0ES3_N6thrust23THRUST_200600_302600_NS6detail15normal_iteratorINS9_10device_ptrIsEEEESE_SE_sNS9_10multipliesIsEENS9_8equal_toIsEEsEE10hipError_tPvRmT2_T3_T4_T5_mT6_T7_P12ihipStream_tbENKUlT_T0_E_clISt17integral_constantIbLb1EESY_IbLb0EEEEDaSU_SV_EUlSU_E_NS1_11comp_targetILNS1_3genE10ELNS1_11target_archE1201ELNS1_3gpuE5ELNS1_3repE0EEENS1_30default_config_static_selectorELNS0_4arch9wavefront6targetE0EEEvT1_,"axG",@progbits,_ZN7rocprim17ROCPRIM_400000_NS6detail17trampoline_kernelINS0_14default_configENS1_27scan_by_key_config_selectorIssEEZZNS1_16scan_by_key_implILNS1_25lookback_scan_determinismE0ELb0ES3_N6thrust23THRUST_200600_302600_NS6detail15normal_iteratorINS9_10device_ptrIsEEEESE_SE_sNS9_10multipliesIsEENS9_8equal_toIsEEsEE10hipError_tPvRmT2_T3_T4_T5_mT6_T7_P12ihipStream_tbENKUlT_T0_E_clISt17integral_constantIbLb1EESY_IbLb0EEEEDaSU_SV_EUlSU_E_NS1_11comp_targetILNS1_3genE10ELNS1_11target_archE1201ELNS1_3gpuE5ELNS1_3repE0EEENS1_30default_config_static_selectorELNS0_4arch9wavefront6targetE0EEEvT1_,comdat
.Lfunc_end300:
	.size	_ZN7rocprim17ROCPRIM_400000_NS6detail17trampoline_kernelINS0_14default_configENS1_27scan_by_key_config_selectorIssEEZZNS1_16scan_by_key_implILNS1_25lookback_scan_determinismE0ELb0ES3_N6thrust23THRUST_200600_302600_NS6detail15normal_iteratorINS9_10device_ptrIsEEEESE_SE_sNS9_10multipliesIsEENS9_8equal_toIsEEsEE10hipError_tPvRmT2_T3_T4_T5_mT6_T7_P12ihipStream_tbENKUlT_T0_E_clISt17integral_constantIbLb1EESY_IbLb0EEEEDaSU_SV_EUlSU_E_NS1_11comp_targetILNS1_3genE10ELNS1_11target_archE1201ELNS1_3gpuE5ELNS1_3repE0EEENS1_30default_config_static_selectorELNS0_4arch9wavefront6targetE0EEEvT1_, .Lfunc_end300-_ZN7rocprim17ROCPRIM_400000_NS6detail17trampoline_kernelINS0_14default_configENS1_27scan_by_key_config_selectorIssEEZZNS1_16scan_by_key_implILNS1_25lookback_scan_determinismE0ELb0ES3_N6thrust23THRUST_200600_302600_NS6detail15normal_iteratorINS9_10device_ptrIsEEEESE_SE_sNS9_10multipliesIsEENS9_8equal_toIsEEsEE10hipError_tPvRmT2_T3_T4_T5_mT6_T7_P12ihipStream_tbENKUlT_T0_E_clISt17integral_constantIbLb1EESY_IbLb0EEEEDaSU_SV_EUlSU_E_NS1_11comp_targetILNS1_3genE10ELNS1_11target_archE1201ELNS1_3gpuE5ELNS1_3repE0EEENS1_30default_config_static_selectorELNS0_4arch9wavefront6targetE0EEEvT1_
                                        ; -- End function
	.set _ZN7rocprim17ROCPRIM_400000_NS6detail17trampoline_kernelINS0_14default_configENS1_27scan_by_key_config_selectorIssEEZZNS1_16scan_by_key_implILNS1_25lookback_scan_determinismE0ELb0ES3_N6thrust23THRUST_200600_302600_NS6detail15normal_iteratorINS9_10device_ptrIsEEEESE_SE_sNS9_10multipliesIsEENS9_8equal_toIsEEsEE10hipError_tPvRmT2_T3_T4_T5_mT6_T7_P12ihipStream_tbENKUlT_T0_E_clISt17integral_constantIbLb1EESY_IbLb0EEEEDaSU_SV_EUlSU_E_NS1_11comp_targetILNS1_3genE10ELNS1_11target_archE1201ELNS1_3gpuE5ELNS1_3repE0EEENS1_30default_config_static_selectorELNS0_4arch9wavefront6targetE0EEEvT1_.num_vgpr, 0
	.set _ZN7rocprim17ROCPRIM_400000_NS6detail17trampoline_kernelINS0_14default_configENS1_27scan_by_key_config_selectorIssEEZZNS1_16scan_by_key_implILNS1_25lookback_scan_determinismE0ELb0ES3_N6thrust23THRUST_200600_302600_NS6detail15normal_iteratorINS9_10device_ptrIsEEEESE_SE_sNS9_10multipliesIsEENS9_8equal_toIsEEsEE10hipError_tPvRmT2_T3_T4_T5_mT6_T7_P12ihipStream_tbENKUlT_T0_E_clISt17integral_constantIbLb1EESY_IbLb0EEEEDaSU_SV_EUlSU_E_NS1_11comp_targetILNS1_3genE10ELNS1_11target_archE1201ELNS1_3gpuE5ELNS1_3repE0EEENS1_30default_config_static_selectorELNS0_4arch9wavefront6targetE0EEEvT1_.num_agpr, 0
	.set _ZN7rocprim17ROCPRIM_400000_NS6detail17trampoline_kernelINS0_14default_configENS1_27scan_by_key_config_selectorIssEEZZNS1_16scan_by_key_implILNS1_25lookback_scan_determinismE0ELb0ES3_N6thrust23THRUST_200600_302600_NS6detail15normal_iteratorINS9_10device_ptrIsEEEESE_SE_sNS9_10multipliesIsEENS9_8equal_toIsEEsEE10hipError_tPvRmT2_T3_T4_T5_mT6_T7_P12ihipStream_tbENKUlT_T0_E_clISt17integral_constantIbLb1EESY_IbLb0EEEEDaSU_SV_EUlSU_E_NS1_11comp_targetILNS1_3genE10ELNS1_11target_archE1201ELNS1_3gpuE5ELNS1_3repE0EEENS1_30default_config_static_selectorELNS0_4arch9wavefront6targetE0EEEvT1_.numbered_sgpr, 0
	.set _ZN7rocprim17ROCPRIM_400000_NS6detail17trampoline_kernelINS0_14default_configENS1_27scan_by_key_config_selectorIssEEZZNS1_16scan_by_key_implILNS1_25lookback_scan_determinismE0ELb0ES3_N6thrust23THRUST_200600_302600_NS6detail15normal_iteratorINS9_10device_ptrIsEEEESE_SE_sNS9_10multipliesIsEENS9_8equal_toIsEEsEE10hipError_tPvRmT2_T3_T4_T5_mT6_T7_P12ihipStream_tbENKUlT_T0_E_clISt17integral_constantIbLb1EESY_IbLb0EEEEDaSU_SV_EUlSU_E_NS1_11comp_targetILNS1_3genE10ELNS1_11target_archE1201ELNS1_3gpuE5ELNS1_3repE0EEENS1_30default_config_static_selectorELNS0_4arch9wavefront6targetE0EEEvT1_.num_named_barrier, 0
	.set _ZN7rocprim17ROCPRIM_400000_NS6detail17trampoline_kernelINS0_14default_configENS1_27scan_by_key_config_selectorIssEEZZNS1_16scan_by_key_implILNS1_25lookback_scan_determinismE0ELb0ES3_N6thrust23THRUST_200600_302600_NS6detail15normal_iteratorINS9_10device_ptrIsEEEESE_SE_sNS9_10multipliesIsEENS9_8equal_toIsEEsEE10hipError_tPvRmT2_T3_T4_T5_mT6_T7_P12ihipStream_tbENKUlT_T0_E_clISt17integral_constantIbLb1EESY_IbLb0EEEEDaSU_SV_EUlSU_E_NS1_11comp_targetILNS1_3genE10ELNS1_11target_archE1201ELNS1_3gpuE5ELNS1_3repE0EEENS1_30default_config_static_selectorELNS0_4arch9wavefront6targetE0EEEvT1_.private_seg_size, 0
	.set _ZN7rocprim17ROCPRIM_400000_NS6detail17trampoline_kernelINS0_14default_configENS1_27scan_by_key_config_selectorIssEEZZNS1_16scan_by_key_implILNS1_25lookback_scan_determinismE0ELb0ES3_N6thrust23THRUST_200600_302600_NS6detail15normal_iteratorINS9_10device_ptrIsEEEESE_SE_sNS9_10multipliesIsEENS9_8equal_toIsEEsEE10hipError_tPvRmT2_T3_T4_T5_mT6_T7_P12ihipStream_tbENKUlT_T0_E_clISt17integral_constantIbLb1EESY_IbLb0EEEEDaSU_SV_EUlSU_E_NS1_11comp_targetILNS1_3genE10ELNS1_11target_archE1201ELNS1_3gpuE5ELNS1_3repE0EEENS1_30default_config_static_selectorELNS0_4arch9wavefront6targetE0EEEvT1_.uses_vcc, 0
	.set _ZN7rocprim17ROCPRIM_400000_NS6detail17trampoline_kernelINS0_14default_configENS1_27scan_by_key_config_selectorIssEEZZNS1_16scan_by_key_implILNS1_25lookback_scan_determinismE0ELb0ES3_N6thrust23THRUST_200600_302600_NS6detail15normal_iteratorINS9_10device_ptrIsEEEESE_SE_sNS9_10multipliesIsEENS9_8equal_toIsEEsEE10hipError_tPvRmT2_T3_T4_T5_mT6_T7_P12ihipStream_tbENKUlT_T0_E_clISt17integral_constantIbLb1EESY_IbLb0EEEEDaSU_SV_EUlSU_E_NS1_11comp_targetILNS1_3genE10ELNS1_11target_archE1201ELNS1_3gpuE5ELNS1_3repE0EEENS1_30default_config_static_selectorELNS0_4arch9wavefront6targetE0EEEvT1_.uses_flat_scratch, 0
	.set _ZN7rocprim17ROCPRIM_400000_NS6detail17trampoline_kernelINS0_14default_configENS1_27scan_by_key_config_selectorIssEEZZNS1_16scan_by_key_implILNS1_25lookback_scan_determinismE0ELb0ES3_N6thrust23THRUST_200600_302600_NS6detail15normal_iteratorINS9_10device_ptrIsEEEESE_SE_sNS9_10multipliesIsEENS9_8equal_toIsEEsEE10hipError_tPvRmT2_T3_T4_T5_mT6_T7_P12ihipStream_tbENKUlT_T0_E_clISt17integral_constantIbLb1EESY_IbLb0EEEEDaSU_SV_EUlSU_E_NS1_11comp_targetILNS1_3genE10ELNS1_11target_archE1201ELNS1_3gpuE5ELNS1_3repE0EEENS1_30default_config_static_selectorELNS0_4arch9wavefront6targetE0EEEvT1_.has_dyn_sized_stack, 0
	.set _ZN7rocprim17ROCPRIM_400000_NS6detail17trampoline_kernelINS0_14default_configENS1_27scan_by_key_config_selectorIssEEZZNS1_16scan_by_key_implILNS1_25lookback_scan_determinismE0ELb0ES3_N6thrust23THRUST_200600_302600_NS6detail15normal_iteratorINS9_10device_ptrIsEEEESE_SE_sNS9_10multipliesIsEENS9_8equal_toIsEEsEE10hipError_tPvRmT2_T3_T4_T5_mT6_T7_P12ihipStream_tbENKUlT_T0_E_clISt17integral_constantIbLb1EESY_IbLb0EEEEDaSU_SV_EUlSU_E_NS1_11comp_targetILNS1_3genE10ELNS1_11target_archE1201ELNS1_3gpuE5ELNS1_3repE0EEENS1_30default_config_static_selectorELNS0_4arch9wavefront6targetE0EEEvT1_.has_recursion, 0
	.set _ZN7rocprim17ROCPRIM_400000_NS6detail17trampoline_kernelINS0_14default_configENS1_27scan_by_key_config_selectorIssEEZZNS1_16scan_by_key_implILNS1_25lookback_scan_determinismE0ELb0ES3_N6thrust23THRUST_200600_302600_NS6detail15normal_iteratorINS9_10device_ptrIsEEEESE_SE_sNS9_10multipliesIsEENS9_8equal_toIsEEsEE10hipError_tPvRmT2_T3_T4_T5_mT6_T7_P12ihipStream_tbENKUlT_T0_E_clISt17integral_constantIbLb1EESY_IbLb0EEEEDaSU_SV_EUlSU_E_NS1_11comp_targetILNS1_3genE10ELNS1_11target_archE1201ELNS1_3gpuE5ELNS1_3repE0EEENS1_30default_config_static_selectorELNS0_4arch9wavefront6targetE0EEEvT1_.has_indirect_call, 0
	.section	.AMDGPU.csdata,"",@progbits
; Kernel info:
; codeLenInByte = 0
; TotalNumSgprs: 0
; NumVgprs: 0
; ScratchSize: 0
; MemoryBound: 0
; FloatMode: 240
; IeeeMode: 1
; LDSByteSize: 0 bytes/workgroup (compile time only)
; SGPRBlocks: 0
; VGPRBlocks: 0
; NumSGPRsForWavesPerEU: 1
; NumVGPRsForWavesPerEU: 1
; Occupancy: 16
; WaveLimiterHint : 0
; COMPUTE_PGM_RSRC2:SCRATCH_EN: 0
; COMPUTE_PGM_RSRC2:USER_SGPR: 6
; COMPUTE_PGM_RSRC2:TRAP_HANDLER: 0
; COMPUTE_PGM_RSRC2:TGID_X_EN: 1
; COMPUTE_PGM_RSRC2:TGID_Y_EN: 0
; COMPUTE_PGM_RSRC2:TGID_Z_EN: 0
; COMPUTE_PGM_RSRC2:TIDIG_COMP_CNT: 0
	.section	.text._ZN7rocprim17ROCPRIM_400000_NS6detail17trampoline_kernelINS0_14default_configENS1_27scan_by_key_config_selectorIssEEZZNS1_16scan_by_key_implILNS1_25lookback_scan_determinismE0ELb0ES3_N6thrust23THRUST_200600_302600_NS6detail15normal_iteratorINS9_10device_ptrIsEEEESE_SE_sNS9_10multipliesIsEENS9_8equal_toIsEEsEE10hipError_tPvRmT2_T3_T4_T5_mT6_T7_P12ihipStream_tbENKUlT_T0_E_clISt17integral_constantIbLb1EESY_IbLb0EEEEDaSU_SV_EUlSU_E_NS1_11comp_targetILNS1_3genE5ELNS1_11target_archE942ELNS1_3gpuE9ELNS1_3repE0EEENS1_30default_config_static_selectorELNS0_4arch9wavefront6targetE0EEEvT1_,"axG",@progbits,_ZN7rocprim17ROCPRIM_400000_NS6detail17trampoline_kernelINS0_14default_configENS1_27scan_by_key_config_selectorIssEEZZNS1_16scan_by_key_implILNS1_25lookback_scan_determinismE0ELb0ES3_N6thrust23THRUST_200600_302600_NS6detail15normal_iteratorINS9_10device_ptrIsEEEESE_SE_sNS9_10multipliesIsEENS9_8equal_toIsEEsEE10hipError_tPvRmT2_T3_T4_T5_mT6_T7_P12ihipStream_tbENKUlT_T0_E_clISt17integral_constantIbLb1EESY_IbLb0EEEEDaSU_SV_EUlSU_E_NS1_11comp_targetILNS1_3genE5ELNS1_11target_archE942ELNS1_3gpuE9ELNS1_3repE0EEENS1_30default_config_static_selectorELNS0_4arch9wavefront6targetE0EEEvT1_,comdat
	.protected	_ZN7rocprim17ROCPRIM_400000_NS6detail17trampoline_kernelINS0_14default_configENS1_27scan_by_key_config_selectorIssEEZZNS1_16scan_by_key_implILNS1_25lookback_scan_determinismE0ELb0ES3_N6thrust23THRUST_200600_302600_NS6detail15normal_iteratorINS9_10device_ptrIsEEEESE_SE_sNS9_10multipliesIsEENS9_8equal_toIsEEsEE10hipError_tPvRmT2_T3_T4_T5_mT6_T7_P12ihipStream_tbENKUlT_T0_E_clISt17integral_constantIbLb1EESY_IbLb0EEEEDaSU_SV_EUlSU_E_NS1_11comp_targetILNS1_3genE5ELNS1_11target_archE942ELNS1_3gpuE9ELNS1_3repE0EEENS1_30default_config_static_selectorELNS0_4arch9wavefront6targetE0EEEvT1_ ; -- Begin function _ZN7rocprim17ROCPRIM_400000_NS6detail17trampoline_kernelINS0_14default_configENS1_27scan_by_key_config_selectorIssEEZZNS1_16scan_by_key_implILNS1_25lookback_scan_determinismE0ELb0ES3_N6thrust23THRUST_200600_302600_NS6detail15normal_iteratorINS9_10device_ptrIsEEEESE_SE_sNS9_10multipliesIsEENS9_8equal_toIsEEsEE10hipError_tPvRmT2_T3_T4_T5_mT6_T7_P12ihipStream_tbENKUlT_T0_E_clISt17integral_constantIbLb1EESY_IbLb0EEEEDaSU_SV_EUlSU_E_NS1_11comp_targetILNS1_3genE5ELNS1_11target_archE942ELNS1_3gpuE9ELNS1_3repE0EEENS1_30default_config_static_selectorELNS0_4arch9wavefront6targetE0EEEvT1_
	.globl	_ZN7rocprim17ROCPRIM_400000_NS6detail17trampoline_kernelINS0_14default_configENS1_27scan_by_key_config_selectorIssEEZZNS1_16scan_by_key_implILNS1_25lookback_scan_determinismE0ELb0ES3_N6thrust23THRUST_200600_302600_NS6detail15normal_iteratorINS9_10device_ptrIsEEEESE_SE_sNS9_10multipliesIsEENS9_8equal_toIsEEsEE10hipError_tPvRmT2_T3_T4_T5_mT6_T7_P12ihipStream_tbENKUlT_T0_E_clISt17integral_constantIbLb1EESY_IbLb0EEEEDaSU_SV_EUlSU_E_NS1_11comp_targetILNS1_3genE5ELNS1_11target_archE942ELNS1_3gpuE9ELNS1_3repE0EEENS1_30default_config_static_selectorELNS0_4arch9wavefront6targetE0EEEvT1_
	.p2align	8
	.type	_ZN7rocprim17ROCPRIM_400000_NS6detail17trampoline_kernelINS0_14default_configENS1_27scan_by_key_config_selectorIssEEZZNS1_16scan_by_key_implILNS1_25lookback_scan_determinismE0ELb0ES3_N6thrust23THRUST_200600_302600_NS6detail15normal_iteratorINS9_10device_ptrIsEEEESE_SE_sNS9_10multipliesIsEENS9_8equal_toIsEEsEE10hipError_tPvRmT2_T3_T4_T5_mT6_T7_P12ihipStream_tbENKUlT_T0_E_clISt17integral_constantIbLb1EESY_IbLb0EEEEDaSU_SV_EUlSU_E_NS1_11comp_targetILNS1_3genE5ELNS1_11target_archE942ELNS1_3gpuE9ELNS1_3repE0EEENS1_30default_config_static_selectorELNS0_4arch9wavefront6targetE0EEEvT1_,@function
_ZN7rocprim17ROCPRIM_400000_NS6detail17trampoline_kernelINS0_14default_configENS1_27scan_by_key_config_selectorIssEEZZNS1_16scan_by_key_implILNS1_25lookback_scan_determinismE0ELb0ES3_N6thrust23THRUST_200600_302600_NS6detail15normal_iteratorINS9_10device_ptrIsEEEESE_SE_sNS9_10multipliesIsEENS9_8equal_toIsEEsEE10hipError_tPvRmT2_T3_T4_T5_mT6_T7_P12ihipStream_tbENKUlT_T0_E_clISt17integral_constantIbLb1EESY_IbLb0EEEEDaSU_SV_EUlSU_E_NS1_11comp_targetILNS1_3genE5ELNS1_11target_archE942ELNS1_3gpuE9ELNS1_3repE0EEENS1_30default_config_static_selectorELNS0_4arch9wavefront6targetE0EEEvT1_: ; @_ZN7rocprim17ROCPRIM_400000_NS6detail17trampoline_kernelINS0_14default_configENS1_27scan_by_key_config_selectorIssEEZZNS1_16scan_by_key_implILNS1_25lookback_scan_determinismE0ELb0ES3_N6thrust23THRUST_200600_302600_NS6detail15normal_iteratorINS9_10device_ptrIsEEEESE_SE_sNS9_10multipliesIsEENS9_8equal_toIsEEsEE10hipError_tPvRmT2_T3_T4_T5_mT6_T7_P12ihipStream_tbENKUlT_T0_E_clISt17integral_constantIbLb1EESY_IbLb0EEEEDaSU_SV_EUlSU_E_NS1_11comp_targetILNS1_3genE5ELNS1_11target_archE942ELNS1_3gpuE9ELNS1_3repE0EEENS1_30default_config_static_selectorELNS0_4arch9wavefront6targetE0EEEvT1_
; %bb.0:
	.section	.rodata,"a",@progbits
	.p2align	6, 0x0
	.amdhsa_kernel _ZN7rocprim17ROCPRIM_400000_NS6detail17trampoline_kernelINS0_14default_configENS1_27scan_by_key_config_selectorIssEEZZNS1_16scan_by_key_implILNS1_25lookback_scan_determinismE0ELb0ES3_N6thrust23THRUST_200600_302600_NS6detail15normal_iteratorINS9_10device_ptrIsEEEESE_SE_sNS9_10multipliesIsEENS9_8equal_toIsEEsEE10hipError_tPvRmT2_T3_T4_T5_mT6_T7_P12ihipStream_tbENKUlT_T0_E_clISt17integral_constantIbLb1EESY_IbLb0EEEEDaSU_SV_EUlSU_E_NS1_11comp_targetILNS1_3genE5ELNS1_11target_archE942ELNS1_3gpuE9ELNS1_3repE0EEENS1_30default_config_static_selectorELNS0_4arch9wavefront6targetE0EEEvT1_
		.amdhsa_group_segment_fixed_size 0
		.amdhsa_private_segment_fixed_size 0
		.amdhsa_kernarg_size 112
		.amdhsa_user_sgpr_count 6
		.amdhsa_user_sgpr_private_segment_buffer 1
		.amdhsa_user_sgpr_dispatch_ptr 0
		.amdhsa_user_sgpr_queue_ptr 0
		.amdhsa_user_sgpr_kernarg_segment_ptr 1
		.amdhsa_user_sgpr_dispatch_id 0
		.amdhsa_user_sgpr_flat_scratch_init 0
		.amdhsa_user_sgpr_private_segment_size 0
		.amdhsa_wavefront_size32 1
		.amdhsa_uses_dynamic_stack 0
		.amdhsa_system_sgpr_private_segment_wavefront_offset 0
		.amdhsa_system_sgpr_workgroup_id_x 1
		.amdhsa_system_sgpr_workgroup_id_y 0
		.amdhsa_system_sgpr_workgroup_id_z 0
		.amdhsa_system_sgpr_workgroup_info 0
		.amdhsa_system_vgpr_workitem_id 0
		.amdhsa_next_free_vgpr 1
		.amdhsa_next_free_sgpr 1
		.amdhsa_reserve_vcc 0
		.amdhsa_reserve_flat_scratch 0
		.amdhsa_float_round_mode_32 0
		.amdhsa_float_round_mode_16_64 0
		.amdhsa_float_denorm_mode_32 3
		.amdhsa_float_denorm_mode_16_64 3
		.amdhsa_dx10_clamp 1
		.amdhsa_ieee_mode 1
		.amdhsa_fp16_overflow 0
		.amdhsa_workgroup_processor_mode 1
		.amdhsa_memory_ordered 1
		.amdhsa_forward_progress 1
		.amdhsa_shared_vgpr_count 0
		.amdhsa_exception_fp_ieee_invalid_op 0
		.amdhsa_exception_fp_denorm_src 0
		.amdhsa_exception_fp_ieee_div_zero 0
		.amdhsa_exception_fp_ieee_overflow 0
		.amdhsa_exception_fp_ieee_underflow 0
		.amdhsa_exception_fp_ieee_inexact 0
		.amdhsa_exception_int_div_zero 0
	.end_amdhsa_kernel
	.section	.text._ZN7rocprim17ROCPRIM_400000_NS6detail17trampoline_kernelINS0_14default_configENS1_27scan_by_key_config_selectorIssEEZZNS1_16scan_by_key_implILNS1_25lookback_scan_determinismE0ELb0ES3_N6thrust23THRUST_200600_302600_NS6detail15normal_iteratorINS9_10device_ptrIsEEEESE_SE_sNS9_10multipliesIsEENS9_8equal_toIsEEsEE10hipError_tPvRmT2_T3_T4_T5_mT6_T7_P12ihipStream_tbENKUlT_T0_E_clISt17integral_constantIbLb1EESY_IbLb0EEEEDaSU_SV_EUlSU_E_NS1_11comp_targetILNS1_3genE5ELNS1_11target_archE942ELNS1_3gpuE9ELNS1_3repE0EEENS1_30default_config_static_selectorELNS0_4arch9wavefront6targetE0EEEvT1_,"axG",@progbits,_ZN7rocprim17ROCPRIM_400000_NS6detail17trampoline_kernelINS0_14default_configENS1_27scan_by_key_config_selectorIssEEZZNS1_16scan_by_key_implILNS1_25lookback_scan_determinismE0ELb0ES3_N6thrust23THRUST_200600_302600_NS6detail15normal_iteratorINS9_10device_ptrIsEEEESE_SE_sNS9_10multipliesIsEENS9_8equal_toIsEEsEE10hipError_tPvRmT2_T3_T4_T5_mT6_T7_P12ihipStream_tbENKUlT_T0_E_clISt17integral_constantIbLb1EESY_IbLb0EEEEDaSU_SV_EUlSU_E_NS1_11comp_targetILNS1_3genE5ELNS1_11target_archE942ELNS1_3gpuE9ELNS1_3repE0EEENS1_30default_config_static_selectorELNS0_4arch9wavefront6targetE0EEEvT1_,comdat
.Lfunc_end301:
	.size	_ZN7rocprim17ROCPRIM_400000_NS6detail17trampoline_kernelINS0_14default_configENS1_27scan_by_key_config_selectorIssEEZZNS1_16scan_by_key_implILNS1_25lookback_scan_determinismE0ELb0ES3_N6thrust23THRUST_200600_302600_NS6detail15normal_iteratorINS9_10device_ptrIsEEEESE_SE_sNS9_10multipliesIsEENS9_8equal_toIsEEsEE10hipError_tPvRmT2_T3_T4_T5_mT6_T7_P12ihipStream_tbENKUlT_T0_E_clISt17integral_constantIbLb1EESY_IbLb0EEEEDaSU_SV_EUlSU_E_NS1_11comp_targetILNS1_3genE5ELNS1_11target_archE942ELNS1_3gpuE9ELNS1_3repE0EEENS1_30default_config_static_selectorELNS0_4arch9wavefront6targetE0EEEvT1_, .Lfunc_end301-_ZN7rocprim17ROCPRIM_400000_NS6detail17trampoline_kernelINS0_14default_configENS1_27scan_by_key_config_selectorIssEEZZNS1_16scan_by_key_implILNS1_25lookback_scan_determinismE0ELb0ES3_N6thrust23THRUST_200600_302600_NS6detail15normal_iteratorINS9_10device_ptrIsEEEESE_SE_sNS9_10multipliesIsEENS9_8equal_toIsEEsEE10hipError_tPvRmT2_T3_T4_T5_mT6_T7_P12ihipStream_tbENKUlT_T0_E_clISt17integral_constantIbLb1EESY_IbLb0EEEEDaSU_SV_EUlSU_E_NS1_11comp_targetILNS1_3genE5ELNS1_11target_archE942ELNS1_3gpuE9ELNS1_3repE0EEENS1_30default_config_static_selectorELNS0_4arch9wavefront6targetE0EEEvT1_
                                        ; -- End function
	.set _ZN7rocprim17ROCPRIM_400000_NS6detail17trampoline_kernelINS0_14default_configENS1_27scan_by_key_config_selectorIssEEZZNS1_16scan_by_key_implILNS1_25lookback_scan_determinismE0ELb0ES3_N6thrust23THRUST_200600_302600_NS6detail15normal_iteratorINS9_10device_ptrIsEEEESE_SE_sNS9_10multipliesIsEENS9_8equal_toIsEEsEE10hipError_tPvRmT2_T3_T4_T5_mT6_T7_P12ihipStream_tbENKUlT_T0_E_clISt17integral_constantIbLb1EESY_IbLb0EEEEDaSU_SV_EUlSU_E_NS1_11comp_targetILNS1_3genE5ELNS1_11target_archE942ELNS1_3gpuE9ELNS1_3repE0EEENS1_30default_config_static_selectorELNS0_4arch9wavefront6targetE0EEEvT1_.num_vgpr, 0
	.set _ZN7rocprim17ROCPRIM_400000_NS6detail17trampoline_kernelINS0_14default_configENS1_27scan_by_key_config_selectorIssEEZZNS1_16scan_by_key_implILNS1_25lookback_scan_determinismE0ELb0ES3_N6thrust23THRUST_200600_302600_NS6detail15normal_iteratorINS9_10device_ptrIsEEEESE_SE_sNS9_10multipliesIsEENS9_8equal_toIsEEsEE10hipError_tPvRmT2_T3_T4_T5_mT6_T7_P12ihipStream_tbENKUlT_T0_E_clISt17integral_constantIbLb1EESY_IbLb0EEEEDaSU_SV_EUlSU_E_NS1_11comp_targetILNS1_3genE5ELNS1_11target_archE942ELNS1_3gpuE9ELNS1_3repE0EEENS1_30default_config_static_selectorELNS0_4arch9wavefront6targetE0EEEvT1_.num_agpr, 0
	.set _ZN7rocprim17ROCPRIM_400000_NS6detail17trampoline_kernelINS0_14default_configENS1_27scan_by_key_config_selectorIssEEZZNS1_16scan_by_key_implILNS1_25lookback_scan_determinismE0ELb0ES3_N6thrust23THRUST_200600_302600_NS6detail15normal_iteratorINS9_10device_ptrIsEEEESE_SE_sNS9_10multipliesIsEENS9_8equal_toIsEEsEE10hipError_tPvRmT2_T3_T4_T5_mT6_T7_P12ihipStream_tbENKUlT_T0_E_clISt17integral_constantIbLb1EESY_IbLb0EEEEDaSU_SV_EUlSU_E_NS1_11comp_targetILNS1_3genE5ELNS1_11target_archE942ELNS1_3gpuE9ELNS1_3repE0EEENS1_30default_config_static_selectorELNS0_4arch9wavefront6targetE0EEEvT1_.numbered_sgpr, 0
	.set _ZN7rocprim17ROCPRIM_400000_NS6detail17trampoline_kernelINS0_14default_configENS1_27scan_by_key_config_selectorIssEEZZNS1_16scan_by_key_implILNS1_25lookback_scan_determinismE0ELb0ES3_N6thrust23THRUST_200600_302600_NS6detail15normal_iteratorINS9_10device_ptrIsEEEESE_SE_sNS9_10multipliesIsEENS9_8equal_toIsEEsEE10hipError_tPvRmT2_T3_T4_T5_mT6_T7_P12ihipStream_tbENKUlT_T0_E_clISt17integral_constantIbLb1EESY_IbLb0EEEEDaSU_SV_EUlSU_E_NS1_11comp_targetILNS1_3genE5ELNS1_11target_archE942ELNS1_3gpuE9ELNS1_3repE0EEENS1_30default_config_static_selectorELNS0_4arch9wavefront6targetE0EEEvT1_.num_named_barrier, 0
	.set _ZN7rocprim17ROCPRIM_400000_NS6detail17trampoline_kernelINS0_14default_configENS1_27scan_by_key_config_selectorIssEEZZNS1_16scan_by_key_implILNS1_25lookback_scan_determinismE0ELb0ES3_N6thrust23THRUST_200600_302600_NS6detail15normal_iteratorINS9_10device_ptrIsEEEESE_SE_sNS9_10multipliesIsEENS9_8equal_toIsEEsEE10hipError_tPvRmT2_T3_T4_T5_mT6_T7_P12ihipStream_tbENKUlT_T0_E_clISt17integral_constantIbLb1EESY_IbLb0EEEEDaSU_SV_EUlSU_E_NS1_11comp_targetILNS1_3genE5ELNS1_11target_archE942ELNS1_3gpuE9ELNS1_3repE0EEENS1_30default_config_static_selectorELNS0_4arch9wavefront6targetE0EEEvT1_.private_seg_size, 0
	.set _ZN7rocprim17ROCPRIM_400000_NS6detail17trampoline_kernelINS0_14default_configENS1_27scan_by_key_config_selectorIssEEZZNS1_16scan_by_key_implILNS1_25lookback_scan_determinismE0ELb0ES3_N6thrust23THRUST_200600_302600_NS6detail15normal_iteratorINS9_10device_ptrIsEEEESE_SE_sNS9_10multipliesIsEENS9_8equal_toIsEEsEE10hipError_tPvRmT2_T3_T4_T5_mT6_T7_P12ihipStream_tbENKUlT_T0_E_clISt17integral_constantIbLb1EESY_IbLb0EEEEDaSU_SV_EUlSU_E_NS1_11comp_targetILNS1_3genE5ELNS1_11target_archE942ELNS1_3gpuE9ELNS1_3repE0EEENS1_30default_config_static_selectorELNS0_4arch9wavefront6targetE0EEEvT1_.uses_vcc, 0
	.set _ZN7rocprim17ROCPRIM_400000_NS6detail17trampoline_kernelINS0_14default_configENS1_27scan_by_key_config_selectorIssEEZZNS1_16scan_by_key_implILNS1_25lookback_scan_determinismE0ELb0ES3_N6thrust23THRUST_200600_302600_NS6detail15normal_iteratorINS9_10device_ptrIsEEEESE_SE_sNS9_10multipliesIsEENS9_8equal_toIsEEsEE10hipError_tPvRmT2_T3_T4_T5_mT6_T7_P12ihipStream_tbENKUlT_T0_E_clISt17integral_constantIbLb1EESY_IbLb0EEEEDaSU_SV_EUlSU_E_NS1_11comp_targetILNS1_3genE5ELNS1_11target_archE942ELNS1_3gpuE9ELNS1_3repE0EEENS1_30default_config_static_selectorELNS0_4arch9wavefront6targetE0EEEvT1_.uses_flat_scratch, 0
	.set _ZN7rocprim17ROCPRIM_400000_NS6detail17trampoline_kernelINS0_14default_configENS1_27scan_by_key_config_selectorIssEEZZNS1_16scan_by_key_implILNS1_25lookback_scan_determinismE0ELb0ES3_N6thrust23THRUST_200600_302600_NS6detail15normal_iteratorINS9_10device_ptrIsEEEESE_SE_sNS9_10multipliesIsEENS9_8equal_toIsEEsEE10hipError_tPvRmT2_T3_T4_T5_mT6_T7_P12ihipStream_tbENKUlT_T0_E_clISt17integral_constantIbLb1EESY_IbLb0EEEEDaSU_SV_EUlSU_E_NS1_11comp_targetILNS1_3genE5ELNS1_11target_archE942ELNS1_3gpuE9ELNS1_3repE0EEENS1_30default_config_static_selectorELNS0_4arch9wavefront6targetE0EEEvT1_.has_dyn_sized_stack, 0
	.set _ZN7rocprim17ROCPRIM_400000_NS6detail17trampoline_kernelINS0_14default_configENS1_27scan_by_key_config_selectorIssEEZZNS1_16scan_by_key_implILNS1_25lookback_scan_determinismE0ELb0ES3_N6thrust23THRUST_200600_302600_NS6detail15normal_iteratorINS9_10device_ptrIsEEEESE_SE_sNS9_10multipliesIsEENS9_8equal_toIsEEsEE10hipError_tPvRmT2_T3_T4_T5_mT6_T7_P12ihipStream_tbENKUlT_T0_E_clISt17integral_constantIbLb1EESY_IbLb0EEEEDaSU_SV_EUlSU_E_NS1_11comp_targetILNS1_3genE5ELNS1_11target_archE942ELNS1_3gpuE9ELNS1_3repE0EEENS1_30default_config_static_selectorELNS0_4arch9wavefront6targetE0EEEvT1_.has_recursion, 0
	.set _ZN7rocprim17ROCPRIM_400000_NS6detail17trampoline_kernelINS0_14default_configENS1_27scan_by_key_config_selectorIssEEZZNS1_16scan_by_key_implILNS1_25lookback_scan_determinismE0ELb0ES3_N6thrust23THRUST_200600_302600_NS6detail15normal_iteratorINS9_10device_ptrIsEEEESE_SE_sNS9_10multipliesIsEENS9_8equal_toIsEEsEE10hipError_tPvRmT2_T3_T4_T5_mT6_T7_P12ihipStream_tbENKUlT_T0_E_clISt17integral_constantIbLb1EESY_IbLb0EEEEDaSU_SV_EUlSU_E_NS1_11comp_targetILNS1_3genE5ELNS1_11target_archE942ELNS1_3gpuE9ELNS1_3repE0EEENS1_30default_config_static_selectorELNS0_4arch9wavefront6targetE0EEEvT1_.has_indirect_call, 0
	.section	.AMDGPU.csdata,"",@progbits
; Kernel info:
; codeLenInByte = 0
; TotalNumSgprs: 0
; NumVgprs: 0
; ScratchSize: 0
; MemoryBound: 0
; FloatMode: 240
; IeeeMode: 1
; LDSByteSize: 0 bytes/workgroup (compile time only)
; SGPRBlocks: 0
; VGPRBlocks: 0
; NumSGPRsForWavesPerEU: 1
; NumVGPRsForWavesPerEU: 1
; Occupancy: 16
; WaveLimiterHint : 0
; COMPUTE_PGM_RSRC2:SCRATCH_EN: 0
; COMPUTE_PGM_RSRC2:USER_SGPR: 6
; COMPUTE_PGM_RSRC2:TRAP_HANDLER: 0
; COMPUTE_PGM_RSRC2:TGID_X_EN: 1
; COMPUTE_PGM_RSRC2:TGID_Y_EN: 0
; COMPUTE_PGM_RSRC2:TGID_Z_EN: 0
; COMPUTE_PGM_RSRC2:TIDIG_COMP_CNT: 0
	.section	.text._ZN7rocprim17ROCPRIM_400000_NS6detail17trampoline_kernelINS0_14default_configENS1_27scan_by_key_config_selectorIssEEZZNS1_16scan_by_key_implILNS1_25lookback_scan_determinismE0ELb0ES3_N6thrust23THRUST_200600_302600_NS6detail15normal_iteratorINS9_10device_ptrIsEEEESE_SE_sNS9_10multipliesIsEENS9_8equal_toIsEEsEE10hipError_tPvRmT2_T3_T4_T5_mT6_T7_P12ihipStream_tbENKUlT_T0_E_clISt17integral_constantIbLb1EESY_IbLb0EEEEDaSU_SV_EUlSU_E_NS1_11comp_targetILNS1_3genE4ELNS1_11target_archE910ELNS1_3gpuE8ELNS1_3repE0EEENS1_30default_config_static_selectorELNS0_4arch9wavefront6targetE0EEEvT1_,"axG",@progbits,_ZN7rocprim17ROCPRIM_400000_NS6detail17trampoline_kernelINS0_14default_configENS1_27scan_by_key_config_selectorIssEEZZNS1_16scan_by_key_implILNS1_25lookback_scan_determinismE0ELb0ES3_N6thrust23THRUST_200600_302600_NS6detail15normal_iteratorINS9_10device_ptrIsEEEESE_SE_sNS9_10multipliesIsEENS9_8equal_toIsEEsEE10hipError_tPvRmT2_T3_T4_T5_mT6_T7_P12ihipStream_tbENKUlT_T0_E_clISt17integral_constantIbLb1EESY_IbLb0EEEEDaSU_SV_EUlSU_E_NS1_11comp_targetILNS1_3genE4ELNS1_11target_archE910ELNS1_3gpuE8ELNS1_3repE0EEENS1_30default_config_static_selectorELNS0_4arch9wavefront6targetE0EEEvT1_,comdat
	.protected	_ZN7rocprim17ROCPRIM_400000_NS6detail17trampoline_kernelINS0_14default_configENS1_27scan_by_key_config_selectorIssEEZZNS1_16scan_by_key_implILNS1_25lookback_scan_determinismE0ELb0ES3_N6thrust23THRUST_200600_302600_NS6detail15normal_iteratorINS9_10device_ptrIsEEEESE_SE_sNS9_10multipliesIsEENS9_8equal_toIsEEsEE10hipError_tPvRmT2_T3_T4_T5_mT6_T7_P12ihipStream_tbENKUlT_T0_E_clISt17integral_constantIbLb1EESY_IbLb0EEEEDaSU_SV_EUlSU_E_NS1_11comp_targetILNS1_3genE4ELNS1_11target_archE910ELNS1_3gpuE8ELNS1_3repE0EEENS1_30default_config_static_selectorELNS0_4arch9wavefront6targetE0EEEvT1_ ; -- Begin function _ZN7rocprim17ROCPRIM_400000_NS6detail17trampoline_kernelINS0_14default_configENS1_27scan_by_key_config_selectorIssEEZZNS1_16scan_by_key_implILNS1_25lookback_scan_determinismE0ELb0ES3_N6thrust23THRUST_200600_302600_NS6detail15normal_iteratorINS9_10device_ptrIsEEEESE_SE_sNS9_10multipliesIsEENS9_8equal_toIsEEsEE10hipError_tPvRmT2_T3_T4_T5_mT6_T7_P12ihipStream_tbENKUlT_T0_E_clISt17integral_constantIbLb1EESY_IbLb0EEEEDaSU_SV_EUlSU_E_NS1_11comp_targetILNS1_3genE4ELNS1_11target_archE910ELNS1_3gpuE8ELNS1_3repE0EEENS1_30default_config_static_selectorELNS0_4arch9wavefront6targetE0EEEvT1_
	.globl	_ZN7rocprim17ROCPRIM_400000_NS6detail17trampoline_kernelINS0_14default_configENS1_27scan_by_key_config_selectorIssEEZZNS1_16scan_by_key_implILNS1_25lookback_scan_determinismE0ELb0ES3_N6thrust23THRUST_200600_302600_NS6detail15normal_iteratorINS9_10device_ptrIsEEEESE_SE_sNS9_10multipliesIsEENS9_8equal_toIsEEsEE10hipError_tPvRmT2_T3_T4_T5_mT6_T7_P12ihipStream_tbENKUlT_T0_E_clISt17integral_constantIbLb1EESY_IbLb0EEEEDaSU_SV_EUlSU_E_NS1_11comp_targetILNS1_3genE4ELNS1_11target_archE910ELNS1_3gpuE8ELNS1_3repE0EEENS1_30default_config_static_selectorELNS0_4arch9wavefront6targetE0EEEvT1_
	.p2align	8
	.type	_ZN7rocprim17ROCPRIM_400000_NS6detail17trampoline_kernelINS0_14default_configENS1_27scan_by_key_config_selectorIssEEZZNS1_16scan_by_key_implILNS1_25lookback_scan_determinismE0ELb0ES3_N6thrust23THRUST_200600_302600_NS6detail15normal_iteratorINS9_10device_ptrIsEEEESE_SE_sNS9_10multipliesIsEENS9_8equal_toIsEEsEE10hipError_tPvRmT2_T3_T4_T5_mT6_T7_P12ihipStream_tbENKUlT_T0_E_clISt17integral_constantIbLb1EESY_IbLb0EEEEDaSU_SV_EUlSU_E_NS1_11comp_targetILNS1_3genE4ELNS1_11target_archE910ELNS1_3gpuE8ELNS1_3repE0EEENS1_30default_config_static_selectorELNS0_4arch9wavefront6targetE0EEEvT1_,@function
_ZN7rocprim17ROCPRIM_400000_NS6detail17trampoline_kernelINS0_14default_configENS1_27scan_by_key_config_selectorIssEEZZNS1_16scan_by_key_implILNS1_25lookback_scan_determinismE0ELb0ES3_N6thrust23THRUST_200600_302600_NS6detail15normal_iteratorINS9_10device_ptrIsEEEESE_SE_sNS9_10multipliesIsEENS9_8equal_toIsEEsEE10hipError_tPvRmT2_T3_T4_T5_mT6_T7_P12ihipStream_tbENKUlT_T0_E_clISt17integral_constantIbLb1EESY_IbLb0EEEEDaSU_SV_EUlSU_E_NS1_11comp_targetILNS1_3genE4ELNS1_11target_archE910ELNS1_3gpuE8ELNS1_3repE0EEENS1_30default_config_static_selectorELNS0_4arch9wavefront6targetE0EEEvT1_: ; @_ZN7rocprim17ROCPRIM_400000_NS6detail17trampoline_kernelINS0_14default_configENS1_27scan_by_key_config_selectorIssEEZZNS1_16scan_by_key_implILNS1_25lookback_scan_determinismE0ELb0ES3_N6thrust23THRUST_200600_302600_NS6detail15normal_iteratorINS9_10device_ptrIsEEEESE_SE_sNS9_10multipliesIsEENS9_8equal_toIsEEsEE10hipError_tPvRmT2_T3_T4_T5_mT6_T7_P12ihipStream_tbENKUlT_T0_E_clISt17integral_constantIbLb1EESY_IbLb0EEEEDaSU_SV_EUlSU_E_NS1_11comp_targetILNS1_3genE4ELNS1_11target_archE910ELNS1_3gpuE8ELNS1_3repE0EEENS1_30default_config_static_selectorELNS0_4arch9wavefront6targetE0EEEvT1_
; %bb.0:
	.section	.rodata,"a",@progbits
	.p2align	6, 0x0
	.amdhsa_kernel _ZN7rocprim17ROCPRIM_400000_NS6detail17trampoline_kernelINS0_14default_configENS1_27scan_by_key_config_selectorIssEEZZNS1_16scan_by_key_implILNS1_25lookback_scan_determinismE0ELb0ES3_N6thrust23THRUST_200600_302600_NS6detail15normal_iteratorINS9_10device_ptrIsEEEESE_SE_sNS9_10multipliesIsEENS9_8equal_toIsEEsEE10hipError_tPvRmT2_T3_T4_T5_mT6_T7_P12ihipStream_tbENKUlT_T0_E_clISt17integral_constantIbLb1EESY_IbLb0EEEEDaSU_SV_EUlSU_E_NS1_11comp_targetILNS1_3genE4ELNS1_11target_archE910ELNS1_3gpuE8ELNS1_3repE0EEENS1_30default_config_static_selectorELNS0_4arch9wavefront6targetE0EEEvT1_
		.amdhsa_group_segment_fixed_size 0
		.amdhsa_private_segment_fixed_size 0
		.amdhsa_kernarg_size 112
		.amdhsa_user_sgpr_count 6
		.amdhsa_user_sgpr_private_segment_buffer 1
		.amdhsa_user_sgpr_dispatch_ptr 0
		.amdhsa_user_sgpr_queue_ptr 0
		.amdhsa_user_sgpr_kernarg_segment_ptr 1
		.amdhsa_user_sgpr_dispatch_id 0
		.amdhsa_user_sgpr_flat_scratch_init 0
		.amdhsa_user_sgpr_private_segment_size 0
		.amdhsa_wavefront_size32 1
		.amdhsa_uses_dynamic_stack 0
		.amdhsa_system_sgpr_private_segment_wavefront_offset 0
		.amdhsa_system_sgpr_workgroup_id_x 1
		.amdhsa_system_sgpr_workgroup_id_y 0
		.amdhsa_system_sgpr_workgroup_id_z 0
		.amdhsa_system_sgpr_workgroup_info 0
		.amdhsa_system_vgpr_workitem_id 0
		.amdhsa_next_free_vgpr 1
		.amdhsa_next_free_sgpr 1
		.amdhsa_reserve_vcc 0
		.amdhsa_reserve_flat_scratch 0
		.amdhsa_float_round_mode_32 0
		.amdhsa_float_round_mode_16_64 0
		.amdhsa_float_denorm_mode_32 3
		.amdhsa_float_denorm_mode_16_64 3
		.amdhsa_dx10_clamp 1
		.amdhsa_ieee_mode 1
		.amdhsa_fp16_overflow 0
		.amdhsa_workgroup_processor_mode 1
		.amdhsa_memory_ordered 1
		.amdhsa_forward_progress 1
		.amdhsa_shared_vgpr_count 0
		.amdhsa_exception_fp_ieee_invalid_op 0
		.amdhsa_exception_fp_denorm_src 0
		.amdhsa_exception_fp_ieee_div_zero 0
		.amdhsa_exception_fp_ieee_overflow 0
		.amdhsa_exception_fp_ieee_underflow 0
		.amdhsa_exception_fp_ieee_inexact 0
		.amdhsa_exception_int_div_zero 0
	.end_amdhsa_kernel
	.section	.text._ZN7rocprim17ROCPRIM_400000_NS6detail17trampoline_kernelINS0_14default_configENS1_27scan_by_key_config_selectorIssEEZZNS1_16scan_by_key_implILNS1_25lookback_scan_determinismE0ELb0ES3_N6thrust23THRUST_200600_302600_NS6detail15normal_iteratorINS9_10device_ptrIsEEEESE_SE_sNS9_10multipliesIsEENS9_8equal_toIsEEsEE10hipError_tPvRmT2_T3_T4_T5_mT6_T7_P12ihipStream_tbENKUlT_T0_E_clISt17integral_constantIbLb1EESY_IbLb0EEEEDaSU_SV_EUlSU_E_NS1_11comp_targetILNS1_3genE4ELNS1_11target_archE910ELNS1_3gpuE8ELNS1_3repE0EEENS1_30default_config_static_selectorELNS0_4arch9wavefront6targetE0EEEvT1_,"axG",@progbits,_ZN7rocprim17ROCPRIM_400000_NS6detail17trampoline_kernelINS0_14default_configENS1_27scan_by_key_config_selectorIssEEZZNS1_16scan_by_key_implILNS1_25lookback_scan_determinismE0ELb0ES3_N6thrust23THRUST_200600_302600_NS6detail15normal_iteratorINS9_10device_ptrIsEEEESE_SE_sNS9_10multipliesIsEENS9_8equal_toIsEEsEE10hipError_tPvRmT2_T3_T4_T5_mT6_T7_P12ihipStream_tbENKUlT_T0_E_clISt17integral_constantIbLb1EESY_IbLb0EEEEDaSU_SV_EUlSU_E_NS1_11comp_targetILNS1_3genE4ELNS1_11target_archE910ELNS1_3gpuE8ELNS1_3repE0EEENS1_30default_config_static_selectorELNS0_4arch9wavefront6targetE0EEEvT1_,comdat
.Lfunc_end302:
	.size	_ZN7rocprim17ROCPRIM_400000_NS6detail17trampoline_kernelINS0_14default_configENS1_27scan_by_key_config_selectorIssEEZZNS1_16scan_by_key_implILNS1_25lookback_scan_determinismE0ELb0ES3_N6thrust23THRUST_200600_302600_NS6detail15normal_iteratorINS9_10device_ptrIsEEEESE_SE_sNS9_10multipliesIsEENS9_8equal_toIsEEsEE10hipError_tPvRmT2_T3_T4_T5_mT6_T7_P12ihipStream_tbENKUlT_T0_E_clISt17integral_constantIbLb1EESY_IbLb0EEEEDaSU_SV_EUlSU_E_NS1_11comp_targetILNS1_3genE4ELNS1_11target_archE910ELNS1_3gpuE8ELNS1_3repE0EEENS1_30default_config_static_selectorELNS0_4arch9wavefront6targetE0EEEvT1_, .Lfunc_end302-_ZN7rocprim17ROCPRIM_400000_NS6detail17trampoline_kernelINS0_14default_configENS1_27scan_by_key_config_selectorIssEEZZNS1_16scan_by_key_implILNS1_25lookback_scan_determinismE0ELb0ES3_N6thrust23THRUST_200600_302600_NS6detail15normal_iteratorINS9_10device_ptrIsEEEESE_SE_sNS9_10multipliesIsEENS9_8equal_toIsEEsEE10hipError_tPvRmT2_T3_T4_T5_mT6_T7_P12ihipStream_tbENKUlT_T0_E_clISt17integral_constantIbLb1EESY_IbLb0EEEEDaSU_SV_EUlSU_E_NS1_11comp_targetILNS1_3genE4ELNS1_11target_archE910ELNS1_3gpuE8ELNS1_3repE0EEENS1_30default_config_static_selectorELNS0_4arch9wavefront6targetE0EEEvT1_
                                        ; -- End function
	.set _ZN7rocprim17ROCPRIM_400000_NS6detail17trampoline_kernelINS0_14default_configENS1_27scan_by_key_config_selectorIssEEZZNS1_16scan_by_key_implILNS1_25lookback_scan_determinismE0ELb0ES3_N6thrust23THRUST_200600_302600_NS6detail15normal_iteratorINS9_10device_ptrIsEEEESE_SE_sNS9_10multipliesIsEENS9_8equal_toIsEEsEE10hipError_tPvRmT2_T3_T4_T5_mT6_T7_P12ihipStream_tbENKUlT_T0_E_clISt17integral_constantIbLb1EESY_IbLb0EEEEDaSU_SV_EUlSU_E_NS1_11comp_targetILNS1_3genE4ELNS1_11target_archE910ELNS1_3gpuE8ELNS1_3repE0EEENS1_30default_config_static_selectorELNS0_4arch9wavefront6targetE0EEEvT1_.num_vgpr, 0
	.set _ZN7rocprim17ROCPRIM_400000_NS6detail17trampoline_kernelINS0_14default_configENS1_27scan_by_key_config_selectorIssEEZZNS1_16scan_by_key_implILNS1_25lookback_scan_determinismE0ELb0ES3_N6thrust23THRUST_200600_302600_NS6detail15normal_iteratorINS9_10device_ptrIsEEEESE_SE_sNS9_10multipliesIsEENS9_8equal_toIsEEsEE10hipError_tPvRmT2_T3_T4_T5_mT6_T7_P12ihipStream_tbENKUlT_T0_E_clISt17integral_constantIbLb1EESY_IbLb0EEEEDaSU_SV_EUlSU_E_NS1_11comp_targetILNS1_3genE4ELNS1_11target_archE910ELNS1_3gpuE8ELNS1_3repE0EEENS1_30default_config_static_selectorELNS0_4arch9wavefront6targetE0EEEvT1_.num_agpr, 0
	.set _ZN7rocprim17ROCPRIM_400000_NS6detail17trampoline_kernelINS0_14default_configENS1_27scan_by_key_config_selectorIssEEZZNS1_16scan_by_key_implILNS1_25lookback_scan_determinismE0ELb0ES3_N6thrust23THRUST_200600_302600_NS6detail15normal_iteratorINS9_10device_ptrIsEEEESE_SE_sNS9_10multipliesIsEENS9_8equal_toIsEEsEE10hipError_tPvRmT2_T3_T4_T5_mT6_T7_P12ihipStream_tbENKUlT_T0_E_clISt17integral_constantIbLb1EESY_IbLb0EEEEDaSU_SV_EUlSU_E_NS1_11comp_targetILNS1_3genE4ELNS1_11target_archE910ELNS1_3gpuE8ELNS1_3repE0EEENS1_30default_config_static_selectorELNS0_4arch9wavefront6targetE0EEEvT1_.numbered_sgpr, 0
	.set _ZN7rocprim17ROCPRIM_400000_NS6detail17trampoline_kernelINS0_14default_configENS1_27scan_by_key_config_selectorIssEEZZNS1_16scan_by_key_implILNS1_25lookback_scan_determinismE0ELb0ES3_N6thrust23THRUST_200600_302600_NS6detail15normal_iteratorINS9_10device_ptrIsEEEESE_SE_sNS9_10multipliesIsEENS9_8equal_toIsEEsEE10hipError_tPvRmT2_T3_T4_T5_mT6_T7_P12ihipStream_tbENKUlT_T0_E_clISt17integral_constantIbLb1EESY_IbLb0EEEEDaSU_SV_EUlSU_E_NS1_11comp_targetILNS1_3genE4ELNS1_11target_archE910ELNS1_3gpuE8ELNS1_3repE0EEENS1_30default_config_static_selectorELNS0_4arch9wavefront6targetE0EEEvT1_.num_named_barrier, 0
	.set _ZN7rocprim17ROCPRIM_400000_NS6detail17trampoline_kernelINS0_14default_configENS1_27scan_by_key_config_selectorIssEEZZNS1_16scan_by_key_implILNS1_25lookback_scan_determinismE0ELb0ES3_N6thrust23THRUST_200600_302600_NS6detail15normal_iteratorINS9_10device_ptrIsEEEESE_SE_sNS9_10multipliesIsEENS9_8equal_toIsEEsEE10hipError_tPvRmT2_T3_T4_T5_mT6_T7_P12ihipStream_tbENKUlT_T0_E_clISt17integral_constantIbLb1EESY_IbLb0EEEEDaSU_SV_EUlSU_E_NS1_11comp_targetILNS1_3genE4ELNS1_11target_archE910ELNS1_3gpuE8ELNS1_3repE0EEENS1_30default_config_static_selectorELNS0_4arch9wavefront6targetE0EEEvT1_.private_seg_size, 0
	.set _ZN7rocprim17ROCPRIM_400000_NS6detail17trampoline_kernelINS0_14default_configENS1_27scan_by_key_config_selectorIssEEZZNS1_16scan_by_key_implILNS1_25lookback_scan_determinismE0ELb0ES3_N6thrust23THRUST_200600_302600_NS6detail15normal_iteratorINS9_10device_ptrIsEEEESE_SE_sNS9_10multipliesIsEENS9_8equal_toIsEEsEE10hipError_tPvRmT2_T3_T4_T5_mT6_T7_P12ihipStream_tbENKUlT_T0_E_clISt17integral_constantIbLb1EESY_IbLb0EEEEDaSU_SV_EUlSU_E_NS1_11comp_targetILNS1_3genE4ELNS1_11target_archE910ELNS1_3gpuE8ELNS1_3repE0EEENS1_30default_config_static_selectorELNS0_4arch9wavefront6targetE0EEEvT1_.uses_vcc, 0
	.set _ZN7rocprim17ROCPRIM_400000_NS6detail17trampoline_kernelINS0_14default_configENS1_27scan_by_key_config_selectorIssEEZZNS1_16scan_by_key_implILNS1_25lookback_scan_determinismE0ELb0ES3_N6thrust23THRUST_200600_302600_NS6detail15normal_iteratorINS9_10device_ptrIsEEEESE_SE_sNS9_10multipliesIsEENS9_8equal_toIsEEsEE10hipError_tPvRmT2_T3_T4_T5_mT6_T7_P12ihipStream_tbENKUlT_T0_E_clISt17integral_constantIbLb1EESY_IbLb0EEEEDaSU_SV_EUlSU_E_NS1_11comp_targetILNS1_3genE4ELNS1_11target_archE910ELNS1_3gpuE8ELNS1_3repE0EEENS1_30default_config_static_selectorELNS0_4arch9wavefront6targetE0EEEvT1_.uses_flat_scratch, 0
	.set _ZN7rocprim17ROCPRIM_400000_NS6detail17trampoline_kernelINS0_14default_configENS1_27scan_by_key_config_selectorIssEEZZNS1_16scan_by_key_implILNS1_25lookback_scan_determinismE0ELb0ES3_N6thrust23THRUST_200600_302600_NS6detail15normal_iteratorINS9_10device_ptrIsEEEESE_SE_sNS9_10multipliesIsEENS9_8equal_toIsEEsEE10hipError_tPvRmT2_T3_T4_T5_mT6_T7_P12ihipStream_tbENKUlT_T0_E_clISt17integral_constantIbLb1EESY_IbLb0EEEEDaSU_SV_EUlSU_E_NS1_11comp_targetILNS1_3genE4ELNS1_11target_archE910ELNS1_3gpuE8ELNS1_3repE0EEENS1_30default_config_static_selectorELNS0_4arch9wavefront6targetE0EEEvT1_.has_dyn_sized_stack, 0
	.set _ZN7rocprim17ROCPRIM_400000_NS6detail17trampoline_kernelINS0_14default_configENS1_27scan_by_key_config_selectorIssEEZZNS1_16scan_by_key_implILNS1_25lookback_scan_determinismE0ELb0ES3_N6thrust23THRUST_200600_302600_NS6detail15normal_iteratorINS9_10device_ptrIsEEEESE_SE_sNS9_10multipliesIsEENS9_8equal_toIsEEsEE10hipError_tPvRmT2_T3_T4_T5_mT6_T7_P12ihipStream_tbENKUlT_T0_E_clISt17integral_constantIbLb1EESY_IbLb0EEEEDaSU_SV_EUlSU_E_NS1_11comp_targetILNS1_3genE4ELNS1_11target_archE910ELNS1_3gpuE8ELNS1_3repE0EEENS1_30default_config_static_selectorELNS0_4arch9wavefront6targetE0EEEvT1_.has_recursion, 0
	.set _ZN7rocprim17ROCPRIM_400000_NS6detail17trampoline_kernelINS0_14default_configENS1_27scan_by_key_config_selectorIssEEZZNS1_16scan_by_key_implILNS1_25lookback_scan_determinismE0ELb0ES3_N6thrust23THRUST_200600_302600_NS6detail15normal_iteratorINS9_10device_ptrIsEEEESE_SE_sNS9_10multipliesIsEENS9_8equal_toIsEEsEE10hipError_tPvRmT2_T3_T4_T5_mT6_T7_P12ihipStream_tbENKUlT_T0_E_clISt17integral_constantIbLb1EESY_IbLb0EEEEDaSU_SV_EUlSU_E_NS1_11comp_targetILNS1_3genE4ELNS1_11target_archE910ELNS1_3gpuE8ELNS1_3repE0EEENS1_30default_config_static_selectorELNS0_4arch9wavefront6targetE0EEEvT1_.has_indirect_call, 0
	.section	.AMDGPU.csdata,"",@progbits
; Kernel info:
; codeLenInByte = 0
; TotalNumSgprs: 0
; NumVgprs: 0
; ScratchSize: 0
; MemoryBound: 0
; FloatMode: 240
; IeeeMode: 1
; LDSByteSize: 0 bytes/workgroup (compile time only)
; SGPRBlocks: 0
; VGPRBlocks: 0
; NumSGPRsForWavesPerEU: 1
; NumVGPRsForWavesPerEU: 1
; Occupancy: 16
; WaveLimiterHint : 0
; COMPUTE_PGM_RSRC2:SCRATCH_EN: 0
; COMPUTE_PGM_RSRC2:USER_SGPR: 6
; COMPUTE_PGM_RSRC2:TRAP_HANDLER: 0
; COMPUTE_PGM_RSRC2:TGID_X_EN: 1
; COMPUTE_PGM_RSRC2:TGID_Y_EN: 0
; COMPUTE_PGM_RSRC2:TGID_Z_EN: 0
; COMPUTE_PGM_RSRC2:TIDIG_COMP_CNT: 0
	.section	.text._ZN7rocprim17ROCPRIM_400000_NS6detail17trampoline_kernelINS0_14default_configENS1_27scan_by_key_config_selectorIssEEZZNS1_16scan_by_key_implILNS1_25lookback_scan_determinismE0ELb0ES3_N6thrust23THRUST_200600_302600_NS6detail15normal_iteratorINS9_10device_ptrIsEEEESE_SE_sNS9_10multipliesIsEENS9_8equal_toIsEEsEE10hipError_tPvRmT2_T3_T4_T5_mT6_T7_P12ihipStream_tbENKUlT_T0_E_clISt17integral_constantIbLb1EESY_IbLb0EEEEDaSU_SV_EUlSU_E_NS1_11comp_targetILNS1_3genE3ELNS1_11target_archE908ELNS1_3gpuE7ELNS1_3repE0EEENS1_30default_config_static_selectorELNS0_4arch9wavefront6targetE0EEEvT1_,"axG",@progbits,_ZN7rocprim17ROCPRIM_400000_NS6detail17trampoline_kernelINS0_14default_configENS1_27scan_by_key_config_selectorIssEEZZNS1_16scan_by_key_implILNS1_25lookback_scan_determinismE0ELb0ES3_N6thrust23THRUST_200600_302600_NS6detail15normal_iteratorINS9_10device_ptrIsEEEESE_SE_sNS9_10multipliesIsEENS9_8equal_toIsEEsEE10hipError_tPvRmT2_T3_T4_T5_mT6_T7_P12ihipStream_tbENKUlT_T0_E_clISt17integral_constantIbLb1EESY_IbLb0EEEEDaSU_SV_EUlSU_E_NS1_11comp_targetILNS1_3genE3ELNS1_11target_archE908ELNS1_3gpuE7ELNS1_3repE0EEENS1_30default_config_static_selectorELNS0_4arch9wavefront6targetE0EEEvT1_,comdat
	.protected	_ZN7rocprim17ROCPRIM_400000_NS6detail17trampoline_kernelINS0_14default_configENS1_27scan_by_key_config_selectorIssEEZZNS1_16scan_by_key_implILNS1_25lookback_scan_determinismE0ELb0ES3_N6thrust23THRUST_200600_302600_NS6detail15normal_iteratorINS9_10device_ptrIsEEEESE_SE_sNS9_10multipliesIsEENS9_8equal_toIsEEsEE10hipError_tPvRmT2_T3_T4_T5_mT6_T7_P12ihipStream_tbENKUlT_T0_E_clISt17integral_constantIbLb1EESY_IbLb0EEEEDaSU_SV_EUlSU_E_NS1_11comp_targetILNS1_3genE3ELNS1_11target_archE908ELNS1_3gpuE7ELNS1_3repE0EEENS1_30default_config_static_selectorELNS0_4arch9wavefront6targetE0EEEvT1_ ; -- Begin function _ZN7rocprim17ROCPRIM_400000_NS6detail17trampoline_kernelINS0_14default_configENS1_27scan_by_key_config_selectorIssEEZZNS1_16scan_by_key_implILNS1_25lookback_scan_determinismE0ELb0ES3_N6thrust23THRUST_200600_302600_NS6detail15normal_iteratorINS9_10device_ptrIsEEEESE_SE_sNS9_10multipliesIsEENS9_8equal_toIsEEsEE10hipError_tPvRmT2_T3_T4_T5_mT6_T7_P12ihipStream_tbENKUlT_T0_E_clISt17integral_constantIbLb1EESY_IbLb0EEEEDaSU_SV_EUlSU_E_NS1_11comp_targetILNS1_3genE3ELNS1_11target_archE908ELNS1_3gpuE7ELNS1_3repE0EEENS1_30default_config_static_selectorELNS0_4arch9wavefront6targetE0EEEvT1_
	.globl	_ZN7rocprim17ROCPRIM_400000_NS6detail17trampoline_kernelINS0_14default_configENS1_27scan_by_key_config_selectorIssEEZZNS1_16scan_by_key_implILNS1_25lookback_scan_determinismE0ELb0ES3_N6thrust23THRUST_200600_302600_NS6detail15normal_iteratorINS9_10device_ptrIsEEEESE_SE_sNS9_10multipliesIsEENS9_8equal_toIsEEsEE10hipError_tPvRmT2_T3_T4_T5_mT6_T7_P12ihipStream_tbENKUlT_T0_E_clISt17integral_constantIbLb1EESY_IbLb0EEEEDaSU_SV_EUlSU_E_NS1_11comp_targetILNS1_3genE3ELNS1_11target_archE908ELNS1_3gpuE7ELNS1_3repE0EEENS1_30default_config_static_selectorELNS0_4arch9wavefront6targetE0EEEvT1_
	.p2align	8
	.type	_ZN7rocprim17ROCPRIM_400000_NS6detail17trampoline_kernelINS0_14default_configENS1_27scan_by_key_config_selectorIssEEZZNS1_16scan_by_key_implILNS1_25lookback_scan_determinismE0ELb0ES3_N6thrust23THRUST_200600_302600_NS6detail15normal_iteratorINS9_10device_ptrIsEEEESE_SE_sNS9_10multipliesIsEENS9_8equal_toIsEEsEE10hipError_tPvRmT2_T3_T4_T5_mT6_T7_P12ihipStream_tbENKUlT_T0_E_clISt17integral_constantIbLb1EESY_IbLb0EEEEDaSU_SV_EUlSU_E_NS1_11comp_targetILNS1_3genE3ELNS1_11target_archE908ELNS1_3gpuE7ELNS1_3repE0EEENS1_30default_config_static_selectorELNS0_4arch9wavefront6targetE0EEEvT1_,@function
_ZN7rocprim17ROCPRIM_400000_NS6detail17trampoline_kernelINS0_14default_configENS1_27scan_by_key_config_selectorIssEEZZNS1_16scan_by_key_implILNS1_25lookback_scan_determinismE0ELb0ES3_N6thrust23THRUST_200600_302600_NS6detail15normal_iteratorINS9_10device_ptrIsEEEESE_SE_sNS9_10multipliesIsEENS9_8equal_toIsEEsEE10hipError_tPvRmT2_T3_T4_T5_mT6_T7_P12ihipStream_tbENKUlT_T0_E_clISt17integral_constantIbLb1EESY_IbLb0EEEEDaSU_SV_EUlSU_E_NS1_11comp_targetILNS1_3genE3ELNS1_11target_archE908ELNS1_3gpuE7ELNS1_3repE0EEENS1_30default_config_static_selectorELNS0_4arch9wavefront6targetE0EEEvT1_: ; @_ZN7rocprim17ROCPRIM_400000_NS6detail17trampoline_kernelINS0_14default_configENS1_27scan_by_key_config_selectorIssEEZZNS1_16scan_by_key_implILNS1_25lookback_scan_determinismE0ELb0ES3_N6thrust23THRUST_200600_302600_NS6detail15normal_iteratorINS9_10device_ptrIsEEEESE_SE_sNS9_10multipliesIsEENS9_8equal_toIsEEsEE10hipError_tPvRmT2_T3_T4_T5_mT6_T7_P12ihipStream_tbENKUlT_T0_E_clISt17integral_constantIbLb1EESY_IbLb0EEEEDaSU_SV_EUlSU_E_NS1_11comp_targetILNS1_3genE3ELNS1_11target_archE908ELNS1_3gpuE7ELNS1_3repE0EEENS1_30default_config_static_selectorELNS0_4arch9wavefront6targetE0EEEvT1_
; %bb.0:
	.section	.rodata,"a",@progbits
	.p2align	6, 0x0
	.amdhsa_kernel _ZN7rocprim17ROCPRIM_400000_NS6detail17trampoline_kernelINS0_14default_configENS1_27scan_by_key_config_selectorIssEEZZNS1_16scan_by_key_implILNS1_25lookback_scan_determinismE0ELb0ES3_N6thrust23THRUST_200600_302600_NS6detail15normal_iteratorINS9_10device_ptrIsEEEESE_SE_sNS9_10multipliesIsEENS9_8equal_toIsEEsEE10hipError_tPvRmT2_T3_T4_T5_mT6_T7_P12ihipStream_tbENKUlT_T0_E_clISt17integral_constantIbLb1EESY_IbLb0EEEEDaSU_SV_EUlSU_E_NS1_11comp_targetILNS1_3genE3ELNS1_11target_archE908ELNS1_3gpuE7ELNS1_3repE0EEENS1_30default_config_static_selectorELNS0_4arch9wavefront6targetE0EEEvT1_
		.amdhsa_group_segment_fixed_size 0
		.amdhsa_private_segment_fixed_size 0
		.amdhsa_kernarg_size 112
		.amdhsa_user_sgpr_count 6
		.amdhsa_user_sgpr_private_segment_buffer 1
		.amdhsa_user_sgpr_dispatch_ptr 0
		.amdhsa_user_sgpr_queue_ptr 0
		.amdhsa_user_sgpr_kernarg_segment_ptr 1
		.amdhsa_user_sgpr_dispatch_id 0
		.amdhsa_user_sgpr_flat_scratch_init 0
		.amdhsa_user_sgpr_private_segment_size 0
		.amdhsa_wavefront_size32 1
		.amdhsa_uses_dynamic_stack 0
		.amdhsa_system_sgpr_private_segment_wavefront_offset 0
		.amdhsa_system_sgpr_workgroup_id_x 1
		.amdhsa_system_sgpr_workgroup_id_y 0
		.amdhsa_system_sgpr_workgroup_id_z 0
		.amdhsa_system_sgpr_workgroup_info 0
		.amdhsa_system_vgpr_workitem_id 0
		.amdhsa_next_free_vgpr 1
		.amdhsa_next_free_sgpr 1
		.amdhsa_reserve_vcc 0
		.amdhsa_reserve_flat_scratch 0
		.amdhsa_float_round_mode_32 0
		.amdhsa_float_round_mode_16_64 0
		.amdhsa_float_denorm_mode_32 3
		.amdhsa_float_denorm_mode_16_64 3
		.amdhsa_dx10_clamp 1
		.amdhsa_ieee_mode 1
		.amdhsa_fp16_overflow 0
		.amdhsa_workgroup_processor_mode 1
		.amdhsa_memory_ordered 1
		.amdhsa_forward_progress 1
		.amdhsa_shared_vgpr_count 0
		.amdhsa_exception_fp_ieee_invalid_op 0
		.amdhsa_exception_fp_denorm_src 0
		.amdhsa_exception_fp_ieee_div_zero 0
		.amdhsa_exception_fp_ieee_overflow 0
		.amdhsa_exception_fp_ieee_underflow 0
		.amdhsa_exception_fp_ieee_inexact 0
		.amdhsa_exception_int_div_zero 0
	.end_amdhsa_kernel
	.section	.text._ZN7rocprim17ROCPRIM_400000_NS6detail17trampoline_kernelINS0_14default_configENS1_27scan_by_key_config_selectorIssEEZZNS1_16scan_by_key_implILNS1_25lookback_scan_determinismE0ELb0ES3_N6thrust23THRUST_200600_302600_NS6detail15normal_iteratorINS9_10device_ptrIsEEEESE_SE_sNS9_10multipliesIsEENS9_8equal_toIsEEsEE10hipError_tPvRmT2_T3_T4_T5_mT6_T7_P12ihipStream_tbENKUlT_T0_E_clISt17integral_constantIbLb1EESY_IbLb0EEEEDaSU_SV_EUlSU_E_NS1_11comp_targetILNS1_3genE3ELNS1_11target_archE908ELNS1_3gpuE7ELNS1_3repE0EEENS1_30default_config_static_selectorELNS0_4arch9wavefront6targetE0EEEvT1_,"axG",@progbits,_ZN7rocprim17ROCPRIM_400000_NS6detail17trampoline_kernelINS0_14default_configENS1_27scan_by_key_config_selectorIssEEZZNS1_16scan_by_key_implILNS1_25lookback_scan_determinismE0ELb0ES3_N6thrust23THRUST_200600_302600_NS6detail15normal_iteratorINS9_10device_ptrIsEEEESE_SE_sNS9_10multipliesIsEENS9_8equal_toIsEEsEE10hipError_tPvRmT2_T3_T4_T5_mT6_T7_P12ihipStream_tbENKUlT_T0_E_clISt17integral_constantIbLb1EESY_IbLb0EEEEDaSU_SV_EUlSU_E_NS1_11comp_targetILNS1_3genE3ELNS1_11target_archE908ELNS1_3gpuE7ELNS1_3repE0EEENS1_30default_config_static_selectorELNS0_4arch9wavefront6targetE0EEEvT1_,comdat
.Lfunc_end303:
	.size	_ZN7rocprim17ROCPRIM_400000_NS6detail17trampoline_kernelINS0_14default_configENS1_27scan_by_key_config_selectorIssEEZZNS1_16scan_by_key_implILNS1_25lookback_scan_determinismE0ELb0ES3_N6thrust23THRUST_200600_302600_NS6detail15normal_iteratorINS9_10device_ptrIsEEEESE_SE_sNS9_10multipliesIsEENS9_8equal_toIsEEsEE10hipError_tPvRmT2_T3_T4_T5_mT6_T7_P12ihipStream_tbENKUlT_T0_E_clISt17integral_constantIbLb1EESY_IbLb0EEEEDaSU_SV_EUlSU_E_NS1_11comp_targetILNS1_3genE3ELNS1_11target_archE908ELNS1_3gpuE7ELNS1_3repE0EEENS1_30default_config_static_selectorELNS0_4arch9wavefront6targetE0EEEvT1_, .Lfunc_end303-_ZN7rocprim17ROCPRIM_400000_NS6detail17trampoline_kernelINS0_14default_configENS1_27scan_by_key_config_selectorIssEEZZNS1_16scan_by_key_implILNS1_25lookback_scan_determinismE0ELb0ES3_N6thrust23THRUST_200600_302600_NS6detail15normal_iteratorINS9_10device_ptrIsEEEESE_SE_sNS9_10multipliesIsEENS9_8equal_toIsEEsEE10hipError_tPvRmT2_T3_T4_T5_mT6_T7_P12ihipStream_tbENKUlT_T0_E_clISt17integral_constantIbLb1EESY_IbLb0EEEEDaSU_SV_EUlSU_E_NS1_11comp_targetILNS1_3genE3ELNS1_11target_archE908ELNS1_3gpuE7ELNS1_3repE0EEENS1_30default_config_static_selectorELNS0_4arch9wavefront6targetE0EEEvT1_
                                        ; -- End function
	.set _ZN7rocprim17ROCPRIM_400000_NS6detail17trampoline_kernelINS0_14default_configENS1_27scan_by_key_config_selectorIssEEZZNS1_16scan_by_key_implILNS1_25lookback_scan_determinismE0ELb0ES3_N6thrust23THRUST_200600_302600_NS6detail15normal_iteratorINS9_10device_ptrIsEEEESE_SE_sNS9_10multipliesIsEENS9_8equal_toIsEEsEE10hipError_tPvRmT2_T3_T4_T5_mT6_T7_P12ihipStream_tbENKUlT_T0_E_clISt17integral_constantIbLb1EESY_IbLb0EEEEDaSU_SV_EUlSU_E_NS1_11comp_targetILNS1_3genE3ELNS1_11target_archE908ELNS1_3gpuE7ELNS1_3repE0EEENS1_30default_config_static_selectorELNS0_4arch9wavefront6targetE0EEEvT1_.num_vgpr, 0
	.set _ZN7rocprim17ROCPRIM_400000_NS6detail17trampoline_kernelINS0_14default_configENS1_27scan_by_key_config_selectorIssEEZZNS1_16scan_by_key_implILNS1_25lookback_scan_determinismE0ELb0ES3_N6thrust23THRUST_200600_302600_NS6detail15normal_iteratorINS9_10device_ptrIsEEEESE_SE_sNS9_10multipliesIsEENS9_8equal_toIsEEsEE10hipError_tPvRmT2_T3_T4_T5_mT6_T7_P12ihipStream_tbENKUlT_T0_E_clISt17integral_constantIbLb1EESY_IbLb0EEEEDaSU_SV_EUlSU_E_NS1_11comp_targetILNS1_3genE3ELNS1_11target_archE908ELNS1_3gpuE7ELNS1_3repE0EEENS1_30default_config_static_selectorELNS0_4arch9wavefront6targetE0EEEvT1_.num_agpr, 0
	.set _ZN7rocprim17ROCPRIM_400000_NS6detail17trampoline_kernelINS0_14default_configENS1_27scan_by_key_config_selectorIssEEZZNS1_16scan_by_key_implILNS1_25lookback_scan_determinismE0ELb0ES3_N6thrust23THRUST_200600_302600_NS6detail15normal_iteratorINS9_10device_ptrIsEEEESE_SE_sNS9_10multipliesIsEENS9_8equal_toIsEEsEE10hipError_tPvRmT2_T3_T4_T5_mT6_T7_P12ihipStream_tbENKUlT_T0_E_clISt17integral_constantIbLb1EESY_IbLb0EEEEDaSU_SV_EUlSU_E_NS1_11comp_targetILNS1_3genE3ELNS1_11target_archE908ELNS1_3gpuE7ELNS1_3repE0EEENS1_30default_config_static_selectorELNS0_4arch9wavefront6targetE0EEEvT1_.numbered_sgpr, 0
	.set _ZN7rocprim17ROCPRIM_400000_NS6detail17trampoline_kernelINS0_14default_configENS1_27scan_by_key_config_selectorIssEEZZNS1_16scan_by_key_implILNS1_25lookback_scan_determinismE0ELb0ES3_N6thrust23THRUST_200600_302600_NS6detail15normal_iteratorINS9_10device_ptrIsEEEESE_SE_sNS9_10multipliesIsEENS9_8equal_toIsEEsEE10hipError_tPvRmT2_T3_T4_T5_mT6_T7_P12ihipStream_tbENKUlT_T0_E_clISt17integral_constantIbLb1EESY_IbLb0EEEEDaSU_SV_EUlSU_E_NS1_11comp_targetILNS1_3genE3ELNS1_11target_archE908ELNS1_3gpuE7ELNS1_3repE0EEENS1_30default_config_static_selectorELNS0_4arch9wavefront6targetE0EEEvT1_.num_named_barrier, 0
	.set _ZN7rocprim17ROCPRIM_400000_NS6detail17trampoline_kernelINS0_14default_configENS1_27scan_by_key_config_selectorIssEEZZNS1_16scan_by_key_implILNS1_25lookback_scan_determinismE0ELb0ES3_N6thrust23THRUST_200600_302600_NS6detail15normal_iteratorINS9_10device_ptrIsEEEESE_SE_sNS9_10multipliesIsEENS9_8equal_toIsEEsEE10hipError_tPvRmT2_T3_T4_T5_mT6_T7_P12ihipStream_tbENKUlT_T0_E_clISt17integral_constantIbLb1EESY_IbLb0EEEEDaSU_SV_EUlSU_E_NS1_11comp_targetILNS1_3genE3ELNS1_11target_archE908ELNS1_3gpuE7ELNS1_3repE0EEENS1_30default_config_static_selectorELNS0_4arch9wavefront6targetE0EEEvT1_.private_seg_size, 0
	.set _ZN7rocprim17ROCPRIM_400000_NS6detail17trampoline_kernelINS0_14default_configENS1_27scan_by_key_config_selectorIssEEZZNS1_16scan_by_key_implILNS1_25lookback_scan_determinismE0ELb0ES3_N6thrust23THRUST_200600_302600_NS6detail15normal_iteratorINS9_10device_ptrIsEEEESE_SE_sNS9_10multipliesIsEENS9_8equal_toIsEEsEE10hipError_tPvRmT2_T3_T4_T5_mT6_T7_P12ihipStream_tbENKUlT_T0_E_clISt17integral_constantIbLb1EESY_IbLb0EEEEDaSU_SV_EUlSU_E_NS1_11comp_targetILNS1_3genE3ELNS1_11target_archE908ELNS1_3gpuE7ELNS1_3repE0EEENS1_30default_config_static_selectorELNS0_4arch9wavefront6targetE0EEEvT1_.uses_vcc, 0
	.set _ZN7rocprim17ROCPRIM_400000_NS6detail17trampoline_kernelINS0_14default_configENS1_27scan_by_key_config_selectorIssEEZZNS1_16scan_by_key_implILNS1_25lookback_scan_determinismE0ELb0ES3_N6thrust23THRUST_200600_302600_NS6detail15normal_iteratorINS9_10device_ptrIsEEEESE_SE_sNS9_10multipliesIsEENS9_8equal_toIsEEsEE10hipError_tPvRmT2_T3_T4_T5_mT6_T7_P12ihipStream_tbENKUlT_T0_E_clISt17integral_constantIbLb1EESY_IbLb0EEEEDaSU_SV_EUlSU_E_NS1_11comp_targetILNS1_3genE3ELNS1_11target_archE908ELNS1_3gpuE7ELNS1_3repE0EEENS1_30default_config_static_selectorELNS0_4arch9wavefront6targetE0EEEvT1_.uses_flat_scratch, 0
	.set _ZN7rocprim17ROCPRIM_400000_NS6detail17trampoline_kernelINS0_14default_configENS1_27scan_by_key_config_selectorIssEEZZNS1_16scan_by_key_implILNS1_25lookback_scan_determinismE0ELb0ES3_N6thrust23THRUST_200600_302600_NS6detail15normal_iteratorINS9_10device_ptrIsEEEESE_SE_sNS9_10multipliesIsEENS9_8equal_toIsEEsEE10hipError_tPvRmT2_T3_T4_T5_mT6_T7_P12ihipStream_tbENKUlT_T0_E_clISt17integral_constantIbLb1EESY_IbLb0EEEEDaSU_SV_EUlSU_E_NS1_11comp_targetILNS1_3genE3ELNS1_11target_archE908ELNS1_3gpuE7ELNS1_3repE0EEENS1_30default_config_static_selectorELNS0_4arch9wavefront6targetE0EEEvT1_.has_dyn_sized_stack, 0
	.set _ZN7rocprim17ROCPRIM_400000_NS6detail17trampoline_kernelINS0_14default_configENS1_27scan_by_key_config_selectorIssEEZZNS1_16scan_by_key_implILNS1_25lookback_scan_determinismE0ELb0ES3_N6thrust23THRUST_200600_302600_NS6detail15normal_iteratorINS9_10device_ptrIsEEEESE_SE_sNS9_10multipliesIsEENS9_8equal_toIsEEsEE10hipError_tPvRmT2_T3_T4_T5_mT6_T7_P12ihipStream_tbENKUlT_T0_E_clISt17integral_constantIbLb1EESY_IbLb0EEEEDaSU_SV_EUlSU_E_NS1_11comp_targetILNS1_3genE3ELNS1_11target_archE908ELNS1_3gpuE7ELNS1_3repE0EEENS1_30default_config_static_selectorELNS0_4arch9wavefront6targetE0EEEvT1_.has_recursion, 0
	.set _ZN7rocprim17ROCPRIM_400000_NS6detail17trampoline_kernelINS0_14default_configENS1_27scan_by_key_config_selectorIssEEZZNS1_16scan_by_key_implILNS1_25lookback_scan_determinismE0ELb0ES3_N6thrust23THRUST_200600_302600_NS6detail15normal_iteratorINS9_10device_ptrIsEEEESE_SE_sNS9_10multipliesIsEENS9_8equal_toIsEEsEE10hipError_tPvRmT2_T3_T4_T5_mT6_T7_P12ihipStream_tbENKUlT_T0_E_clISt17integral_constantIbLb1EESY_IbLb0EEEEDaSU_SV_EUlSU_E_NS1_11comp_targetILNS1_3genE3ELNS1_11target_archE908ELNS1_3gpuE7ELNS1_3repE0EEENS1_30default_config_static_selectorELNS0_4arch9wavefront6targetE0EEEvT1_.has_indirect_call, 0
	.section	.AMDGPU.csdata,"",@progbits
; Kernel info:
; codeLenInByte = 0
; TotalNumSgprs: 0
; NumVgprs: 0
; ScratchSize: 0
; MemoryBound: 0
; FloatMode: 240
; IeeeMode: 1
; LDSByteSize: 0 bytes/workgroup (compile time only)
; SGPRBlocks: 0
; VGPRBlocks: 0
; NumSGPRsForWavesPerEU: 1
; NumVGPRsForWavesPerEU: 1
; Occupancy: 16
; WaveLimiterHint : 0
; COMPUTE_PGM_RSRC2:SCRATCH_EN: 0
; COMPUTE_PGM_RSRC2:USER_SGPR: 6
; COMPUTE_PGM_RSRC2:TRAP_HANDLER: 0
; COMPUTE_PGM_RSRC2:TGID_X_EN: 1
; COMPUTE_PGM_RSRC2:TGID_Y_EN: 0
; COMPUTE_PGM_RSRC2:TGID_Z_EN: 0
; COMPUTE_PGM_RSRC2:TIDIG_COMP_CNT: 0
	.section	.text._ZN7rocprim17ROCPRIM_400000_NS6detail17trampoline_kernelINS0_14default_configENS1_27scan_by_key_config_selectorIssEEZZNS1_16scan_by_key_implILNS1_25lookback_scan_determinismE0ELb0ES3_N6thrust23THRUST_200600_302600_NS6detail15normal_iteratorINS9_10device_ptrIsEEEESE_SE_sNS9_10multipliesIsEENS9_8equal_toIsEEsEE10hipError_tPvRmT2_T3_T4_T5_mT6_T7_P12ihipStream_tbENKUlT_T0_E_clISt17integral_constantIbLb1EESY_IbLb0EEEEDaSU_SV_EUlSU_E_NS1_11comp_targetILNS1_3genE2ELNS1_11target_archE906ELNS1_3gpuE6ELNS1_3repE0EEENS1_30default_config_static_selectorELNS0_4arch9wavefront6targetE0EEEvT1_,"axG",@progbits,_ZN7rocprim17ROCPRIM_400000_NS6detail17trampoline_kernelINS0_14default_configENS1_27scan_by_key_config_selectorIssEEZZNS1_16scan_by_key_implILNS1_25lookback_scan_determinismE0ELb0ES3_N6thrust23THRUST_200600_302600_NS6detail15normal_iteratorINS9_10device_ptrIsEEEESE_SE_sNS9_10multipliesIsEENS9_8equal_toIsEEsEE10hipError_tPvRmT2_T3_T4_T5_mT6_T7_P12ihipStream_tbENKUlT_T0_E_clISt17integral_constantIbLb1EESY_IbLb0EEEEDaSU_SV_EUlSU_E_NS1_11comp_targetILNS1_3genE2ELNS1_11target_archE906ELNS1_3gpuE6ELNS1_3repE0EEENS1_30default_config_static_selectorELNS0_4arch9wavefront6targetE0EEEvT1_,comdat
	.protected	_ZN7rocprim17ROCPRIM_400000_NS6detail17trampoline_kernelINS0_14default_configENS1_27scan_by_key_config_selectorIssEEZZNS1_16scan_by_key_implILNS1_25lookback_scan_determinismE0ELb0ES3_N6thrust23THRUST_200600_302600_NS6detail15normal_iteratorINS9_10device_ptrIsEEEESE_SE_sNS9_10multipliesIsEENS9_8equal_toIsEEsEE10hipError_tPvRmT2_T3_T4_T5_mT6_T7_P12ihipStream_tbENKUlT_T0_E_clISt17integral_constantIbLb1EESY_IbLb0EEEEDaSU_SV_EUlSU_E_NS1_11comp_targetILNS1_3genE2ELNS1_11target_archE906ELNS1_3gpuE6ELNS1_3repE0EEENS1_30default_config_static_selectorELNS0_4arch9wavefront6targetE0EEEvT1_ ; -- Begin function _ZN7rocprim17ROCPRIM_400000_NS6detail17trampoline_kernelINS0_14default_configENS1_27scan_by_key_config_selectorIssEEZZNS1_16scan_by_key_implILNS1_25lookback_scan_determinismE0ELb0ES3_N6thrust23THRUST_200600_302600_NS6detail15normal_iteratorINS9_10device_ptrIsEEEESE_SE_sNS9_10multipliesIsEENS9_8equal_toIsEEsEE10hipError_tPvRmT2_T3_T4_T5_mT6_T7_P12ihipStream_tbENKUlT_T0_E_clISt17integral_constantIbLb1EESY_IbLb0EEEEDaSU_SV_EUlSU_E_NS1_11comp_targetILNS1_3genE2ELNS1_11target_archE906ELNS1_3gpuE6ELNS1_3repE0EEENS1_30default_config_static_selectorELNS0_4arch9wavefront6targetE0EEEvT1_
	.globl	_ZN7rocprim17ROCPRIM_400000_NS6detail17trampoline_kernelINS0_14default_configENS1_27scan_by_key_config_selectorIssEEZZNS1_16scan_by_key_implILNS1_25lookback_scan_determinismE0ELb0ES3_N6thrust23THRUST_200600_302600_NS6detail15normal_iteratorINS9_10device_ptrIsEEEESE_SE_sNS9_10multipliesIsEENS9_8equal_toIsEEsEE10hipError_tPvRmT2_T3_T4_T5_mT6_T7_P12ihipStream_tbENKUlT_T0_E_clISt17integral_constantIbLb1EESY_IbLb0EEEEDaSU_SV_EUlSU_E_NS1_11comp_targetILNS1_3genE2ELNS1_11target_archE906ELNS1_3gpuE6ELNS1_3repE0EEENS1_30default_config_static_selectorELNS0_4arch9wavefront6targetE0EEEvT1_
	.p2align	8
	.type	_ZN7rocprim17ROCPRIM_400000_NS6detail17trampoline_kernelINS0_14default_configENS1_27scan_by_key_config_selectorIssEEZZNS1_16scan_by_key_implILNS1_25lookback_scan_determinismE0ELb0ES3_N6thrust23THRUST_200600_302600_NS6detail15normal_iteratorINS9_10device_ptrIsEEEESE_SE_sNS9_10multipliesIsEENS9_8equal_toIsEEsEE10hipError_tPvRmT2_T3_T4_T5_mT6_T7_P12ihipStream_tbENKUlT_T0_E_clISt17integral_constantIbLb1EESY_IbLb0EEEEDaSU_SV_EUlSU_E_NS1_11comp_targetILNS1_3genE2ELNS1_11target_archE906ELNS1_3gpuE6ELNS1_3repE0EEENS1_30default_config_static_selectorELNS0_4arch9wavefront6targetE0EEEvT1_,@function
_ZN7rocprim17ROCPRIM_400000_NS6detail17trampoline_kernelINS0_14default_configENS1_27scan_by_key_config_selectorIssEEZZNS1_16scan_by_key_implILNS1_25lookback_scan_determinismE0ELb0ES3_N6thrust23THRUST_200600_302600_NS6detail15normal_iteratorINS9_10device_ptrIsEEEESE_SE_sNS9_10multipliesIsEENS9_8equal_toIsEEsEE10hipError_tPvRmT2_T3_T4_T5_mT6_T7_P12ihipStream_tbENKUlT_T0_E_clISt17integral_constantIbLb1EESY_IbLb0EEEEDaSU_SV_EUlSU_E_NS1_11comp_targetILNS1_3genE2ELNS1_11target_archE906ELNS1_3gpuE6ELNS1_3repE0EEENS1_30default_config_static_selectorELNS0_4arch9wavefront6targetE0EEEvT1_: ; @_ZN7rocprim17ROCPRIM_400000_NS6detail17trampoline_kernelINS0_14default_configENS1_27scan_by_key_config_selectorIssEEZZNS1_16scan_by_key_implILNS1_25lookback_scan_determinismE0ELb0ES3_N6thrust23THRUST_200600_302600_NS6detail15normal_iteratorINS9_10device_ptrIsEEEESE_SE_sNS9_10multipliesIsEENS9_8equal_toIsEEsEE10hipError_tPvRmT2_T3_T4_T5_mT6_T7_P12ihipStream_tbENKUlT_T0_E_clISt17integral_constantIbLb1EESY_IbLb0EEEEDaSU_SV_EUlSU_E_NS1_11comp_targetILNS1_3genE2ELNS1_11target_archE906ELNS1_3gpuE6ELNS1_3repE0EEENS1_30default_config_static_selectorELNS0_4arch9wavefront6targetE0EEEvT1_
; %bb.0:
	.section	.rodata,"a",@progbits
	.p2align	6, 0x0
	.amdhsa_kernel _ZN7rocprim17ROCPRIM_400000_NS6detail17trampoline_kernelINS0_14default_configENS1_27scan_by_key_config_selectorIssEEZZNS1_16scan_by_key_implILNS1_25lookback_scan_determinismE0ELb0ES3_N6thrust23THRUST_200600_302600_NS6detail15normal_iteratorINS9_10device_ptrIsEEEESE_SE_sNS9_10multipliesIsEENS9_8equal_toIsEEsEE10hipError_tPvRmT2_T3_T4_T5_mT6_T7_P12ihipStream_tbENKUlT_T0_E_clISt17integral_constantIbLb1EESY_IbLb0EEEEDaSU_SV_EUlSU_E_NS1_11comp_targetILNS1_3genE2ELNS1_11target_archE906ELNS1_3gpuE6ELNS1_3repE0EEENS1_30default_config_static_selectorELNS0_4arch9wavefront6targetE0EEEvT1_
		.amdhsa_group_segment_fixed_size 0
		.amdhsa_private_segment_fixed_size 0
		.amdhsa_kernarg_size 112
		.amdhsa_user_sgpr_count 6
		.amdhsa_user_sgpr_private_segment_buffer 1
		.amdhsa_user_sgpr_dispatch_ptr 0
		.amdhsa_user_sgpr_queue_ptr 0
		.amdhsa_user_sgpr_kernarg_segment_ptr 1
		.amdhsa_user_sgpr_dispatch_id 0
		.amdhsa_user_sgpr_flat_scratch_init 0
		.amdhsa_user_sgpr_private_segment_size 0
		.amdhsa_wavefront_size32 1
		.amdhsa_uses_dynamic_stack 0
		.amdhsa_system_sgpr_private_segment_wavefront_offset 0
		.amdhsa_system_sgpr_workgroup_id_x 1
		.amdhsa_system_sgpr_workgroup_id_y 0
		.amdhsa_system_sgpr_workgroup_id_z 0
		.amdhsa_system_sgpr_workgroup_info 0
		.amdhsa_system_vgpr_workitem_id 0
		.amdhsa_next_free_vgpr 1
		.amdhsa_next_free_sgpr 1
		.amdhsa_reserve_vcc 0
		.amdhsa_reserve_flat_scratch 0
		.amdhsa_float_round_mode_32 0
		.amdhsa_float_round_mode_16_64 0
		.amdhsa_float_denorm_mode_32 3
		.amdhsa_float_denorm_mode_16_64 3
		.amdhsa_dx10_clamp 1
		.amdhsa_ieee_mode 1
		.amdhsa_fp16_overflow 0
		.amdhsa_workgroup_processor_mode 1
		.amdhsa_memory_ordered 1
		.amdhsa_forward_progress 1
		.amdhsa_shared_vgpr_count 0
		.amdhsa_exception_fp_ieee_invalid_op 0
		.amdhsa_exception_fp_denorm_src 0
		.amdhsa_exception_fp_ieee_div_zero 0
		.amdhsa_exception_fp_ieee_overflow 0
		.amdhsa_exception_fp_ieee_underflow 0
		.amdhsa_exception_fp_ieee_inexact 0
		.amdhsa_exception_int_div_zero 0
	.end_amdhsa_kernel
	.section	.text._ZN7rocprim17ROCPRIM_400000_NS6detail17trampoline_kernelINS0_14default_configENS1_27scan_by_key_config_selectorIssEEZZNS1_16scan_by_key_implILNS1_25lookback_scan_determinismE0ELb0ES3_N6thrust23THRUST_200600_302600_NS6detail15normal_iteratorINS9_10device_ptrIsEEEESE_SE_sNS9_10multipliesIsEENS9_8equal_toIsEEsEE10hipError_tPvRmT2_T3_T4_T5_mT6_T7_P12ihipStream_tbENKUlT_T0_E_clISt17integral_constantIbLb1EESY_IbLb0EEEEDaSU_SV_EUlSU_E_NS1_11comp_targetILNS1_3genE2ELNS1_11target_archE906ELNS1_3gpuE6ELNS1_3repE0EEENS1_30default_config_static_selectorELNS0_4arch9wavefront6targetE0EEEvT1_,"axG",@progbits,_ZN7rocprim17ROCPRIM_400000_NS6detail17trampoline_kernelINS0_14default_configENS1_27scan_by_key_config_selectorIssEEZZNS1_16scan_by_key_implILNS1_25lookback_scan_determinismE0ELb0ES3_N6thrust23THRUST_200600_302600_NS6detail15normal_iteratorINS9_10device_ptrIsEEEESE_SE_sNS9_10multipliesIsEENS9_8equal_toIsEEsEE10hipError_tPvRmT2_T3_T4_T5_mT6_T7_P12ihipStream_tbENKUlT_T0_E_clISt17integral_constantIbLb1EESY_IbLb0EEEEDaSU_SV_EUlSU_E_NS1_11comp_targetILNS1_3genE2ELNS1_11target_archE906ELNS1_3gpuE6ELNS1_3repE0EEENS1_30default_config_static_selectorELNS0_4arch9wavefront6targetE0EEEvT1_,comdat
.Lfunc_end304:
	.size	_ZN7rocprim17ROCPRIM_400000_NS6detail17trampoline_kernelINS0_14default_configENS1_27scan_by_key_config_selectorIssEEZZNS1_16scan_by_key_implILNS1_25lookback_scan_determinismE0ELb0ES3_N6thrust23THRUST_200600_302600_NS6detail15normal_iteratorINS9_10device_ptrIsEEEESE_SE_sNS9_10multipliesIsEENS9_8equal_toIsEEsEE10hipError_tPvRmT2_T3_T4_T5_mT6_T7_P12ihipStream_tbENKUlT_T0_E_clISt17integral_constantIbLb1EESY_IbLb0EEEEDaSU_SV_EUlSU_E_NS1_11comp_targetILNS1_3genE2ELNS1_11target_archE906ELNS1_3gpuE6ELNS1_3repE0EEENS1_30default_config_static_selectorELNS0_4arch9wavefront6targetE0EEEvT1_, .Lfunc_end304-_ZN7rocprim17ROCPRIM_400000_NS6detail17trampoline_kernelINS0_14default_configENS1_27scan_by_key_config_selectorIssEEZZNS1_16scan_by_key_implILNS1_25lookback_scan_determinismE0ELb0ES3_N6thrust23THRUST_200600_302600_NS6detail15normal_iteratorINS9_10device_ptrIsEEEESE_SE_sNS9_10multipliesIsEENS9_8equal_toIsEEsEE10hipError_tPvRmT2_T3_T4_T5_mT6_T7_P12ihipStream_tbENKUlT_T0_E_clISt17integral_constantIbLb1EESY_IbLb0EEEEDaSU_SV_EUlSU_E_NS1_11comp_targetILNS1_3genE2ELNS1_11target_archE906ELNS1_3gpuE6ELNS1_3repE0EEENS1_30default_config_static_selectorELNS0_4arch9wavefront6targetE0EEEvT1_
                                        ; -- End function
	.set _ZN7rocprim17ROCPRIM_400000_NS6detail17trampoline_kernelINS0_14default_configENS1_27scan_by_key_config_selectorIssEEZZNS1_16scan_by_key_implILNS1_25lookback_scan_determinismE0ELb0ES3_N6thrust23THRUST_200600_302600_NS6detail15normal_iteratorINS9_10device_ptrIsEEEESE_SE_sNS9_10multipliesIsEENS9_8equal_toIsEEsEE10hipError_tPvRmT2_T3_T4_T5_mT6_T7_P12ihipStream_tbENKUlT_T0_E_clISt17integral_constantIbLb1EESY_IbLb0EEEEDaSU_SV_EUlSU_E_NS1_11comp_targetILNS1_3genE2ELNS1_11target_archE906ELNS1_3gpuE6ELNS1_3repE0EEENS1_30default_config_static_selectorELNS0_4arch9wavefront6targetE0EEEvT1_.num_vgpr, 0
	.set _ZN7rocprim17ROCPRIM_400000_NS6detail17trampoline_kernelINS0_14default_configENS1_27scan_by_key_config_selectorIssEEZZNS1_16scan_by_key_implILNS1_25lookback_scan_determinismE0ELb0ES3_N6thrust23THRUST_200600_302600_NS6detail15normal_iteratorINS9_10device_ptrIsEEEESE_SE_sNS9_10multipliesIsEENS9_8equal_toIsEEsEE10hipError_tPvRmT2_T3_T4_T5_mT6_T7_P12ihipStream_tbENKUlT_T0_E_clISt17integral_constantIbLb1EESY_IbLb0EEEEDaSU_SV_EUlSU_E_NS1_11comp_targetILNS1_3genE2ELNS1_11target_archE906ELNS1_3gpuE6ELNS1_3repE0EEENS1_30default_config_static_selectorELNS0_4arch9wavefront6targetE0EEEvT1_.num_agpr, 0
	.set _ZN7rocprim17ROCPRIM_400000_NS6detail17trampoline_kernelINS0_14default_configENS1_27scan_by_key_config_selectorIssEEZZNS1_16scan_by_key_implILNS1_25lookback_scan_determinismE0ELb0ES3_N6thrust23THRUST_200600_302600_NS6detail15normal_iteratorINS9_10device_ptrIsEEEESE_SE_sNS9_10multipliesIsEENS9_8equal_toIsEEsEE10hipError_tPvRmT2_T3_T4_T5_mT6_T7_P12ihipStream_tbENKUlT_T0_E_clISt17integral_constantIbLb1EESY_IbLb0EEEEDaSU_SV_EUlSU_E_NS1_11comp_targetILNS1_3genE2ELNS1_11target_archE906ELNS1_3gpuE6ELNS1_3repE0EEENS1_30default_config_static_selectorELNS0_4arch9wavefront6targetE0EEEvT1_.numbered_sgpr, 0
	.set _ZN7rocprim17ROCPRIM_400000_NS6detail17trampoline_kernelINS0_14default_configENS1_27scan_by_key_config_selectorIssEEZZNS1_16scan_by_key_implILNS1_25lookback_scan_determinismE0ELb0ES3_N6thrust23THRUST_200600_302600_NS6detail15normal_iteratorINS9_10device_ptrIsEEEESE_SE_sNS9_10multipliesIsEENS9_8equal_toIsEEsEE10hipError_tPvRmT2_T3_T4_T5_mT6_T7_P12ihipStream_tbENKUlT_T0_E_clISt17integral_constantIbLb1EESY_IbLb0EEEEDaSU_SV_EUlSU_E_NS1_11comp_targetILNS1_3genE2ELNS1_11target_archE906ELNS1_3gpuE6ELNS1_3repE0EEENS1_30default_config_static_selectorELNS0_4arch9wavefront6targetE0EEEvT1_.num_named_barrier, 0
	.set _ZN7rocprim17ROCPRIM_400000_NS6detail17trampoline_kernelINS0_14default_configENS1_27scan_by_key_config_selectorIssEEZZNS1_16scan_by_key_implILNS1_25lookback_scan_determinismE0ELb0ES3_N6thrust23THRUST_200600_302600_NS6detail15normal_iteratorINS9_10device_ptrIsEEEESE_SE_sNS9_10multipliesIsEENS9_8equal_toIsEEsEE10hipError_tPvRmT2_T3_T4_T5_mT6_T7_P12ihipStream_tbENKUlT_T0_E_clISt17integral_constantIbLb1EESY_IbLb0EEEEDaSU_SV_EUlSU_E_NS1_11comp_targetILNS1_3genE2ELNS1_11target_archE906ELNS1_3gpuE6ELNS1_3repE0EEENS1_30default_config_static_selectorELNS0_4arch9wavefront6targetE0EEEvT1_.private_seg_size, 0
	.set _ZN7rocprim17ROCPRIM_400000_NS6detail17trampoline_kernelINS0_14default_configENS1_27scan_by_key_config_selectorIssEEZZNS1_16scan_by_key_implILNS1_25lookback_scan_determinismE0ELb0ES3_N6thrust23THRUST_200600_302600_NS6detail15normal_iteratorINS9_10device_ptrIsEEEESE_SE_sNS9_10multipliesIsEENS9_8equal_toIsEEsEE10hipError_tPvRmT2_T3_T4_T5_mT6_T7_P12ihipStream_tbENKUlT_T0_E_clISt17integral_constantIbLb1EESY_IbLb0EEEEDaSU_SV_EUlSU_E_NS1_11comp_targetILNS1_3genE2ELNS1_11target_archE906ELNS1_3gpuE6ELNS1_3repE0EEENS1_30default_config_static_selectorELNS0_4arch9wavefront6targetE0EEEvT1_.uses_vcc, 0
	.set _ZN7rocprim17ROCPRIM_400000_NS6detail17trampoline_kernelINS0_14default_configENS1_27scan_by_key_config_selectorIssEEZZNS1_16scan_by_key_implILNS1_25lookback_scan_determinismE0ELb0ES3_N6thrust23THRUST_200600_302600_NS6detail15normal_iteratorINS9_10device_ptrIsEEEESE_SE_sNS9_10multipliesIsEENS9_8equal_toIsEEsEE10hipError_tPvRmT2_T3_T4_T5_mT6_T7_P12ihipStream_tbENKUlT_T0_E_clISt17integral_constantIbLb1EESY_IbLb0EEEEDaSU_SV_EUlSU_E_NS1_11comp_targetILNS1_3genE2ELNS1_11target_archE906ELNS1_3gpuE6ELNS1_3repE0EEENS1_30default_config_static_selectorELNS0_4arch9wavefront6targetE0EEEvT1_.uses_flat_scratch, 0
	.set _ZN7rocprim17ROCPRIM_400000_NS6detail17trampoline_kernelINS0_14default_configENS1_27scan_by_key_config_selectorIssEEZZNS1_16scan_by_key_implILNS1_25lookback_scan_determinismE0ELb0ES3_N6thrust23THRUST_200600_302600_NS6detail15normal_iteratorINS9_10device_ptrIsEEEESE_SE_sNS9_10multipliesIsEENS9_8equal_toIsEEsEE10hipError_tPvRmT2_T3_T4_T5_mT6_T7_P12ihipStream_tbENKUlT_T0_E_clISt17integral_constantIbLb1EESY_IbLb0EEEEDaSU_SV_EUlSU_E_NS1_11comp_targetILNS1_3genE2ELNS1_11target_archE906ELNS1_3gpuE6ELNS1_3repE0EEENS1_30default_config_static_selectorELNS0_4arch9wavefront6targetE0EEEvT1_.has_dyn_sized_stack, 0
	.set _ZN7rocprim17ROCPRIM_400000_NS6detail17trampoline_kernelINS0_14default_configENS1_27scan_by_key_config_selectorIssEEZZNS1_16scan_by_key_implILNS1_25lookback_scan_determinismE0ELb0ES3_N6thrust23THRUST_200600_302600_NS6detail15normal_iteratorINS9_10device_ptrIsEEEESE_SE_sNS9_10multipliesIsEENS9_8equal_toIsEEsEE10hipError_tPvRmT2_T3_T4_T5_mT6_T7_P12ihipStream_tbENKUlT_T0_E_clISt17integral_constantIbLb1EESY_IbLb0EEEEDaSU_SV_EUlSU_E_NS1_11comp_targetILNS1_3genE2ELNS1_11target_archE906ELNS1_3gpuE6ELNS1_3repE0EEENS1_30default_config_static_selectorELNS0_4arch9wavefront6targetE0EEEvT1_.has_recursion, 0
	.set _ZN7rocprim17ROCPRIM_400000_NS6detail17trampoline_kernelINS0_14default_configENS1_27scan_by_key_config_selectorIssEEZZNS1_16scan_by_key_implILNS1_25lookback_scan_determinismE0ELb0ES3_N6thrust23THRUST_200600_302600_NS6detail15normal_iteratorINS9_10device_ptrIsEEEESE_SE_sNS9_10multipliesIsEENS9_8equal_toIsEEsEE10hipError_tPvRmT2_T3_T4_T5_mT6_T7_P12ihipStream_tbENKUlT_T0_E_clISt17integral_constantIbLb1EESY_IbLb0EEEEDaSU_SV_EUlSU_E_NS1_11comp_targetILNS1_3genE2ELNS1_11target_archE906ELNS1_3gpuE6ELNS1_3repE0EEENS1_30default_config_static_selectorELNS0_4arch9wavefront6targetE0EEEvT1_.has_indirect_call, 0
	.section	.AMDGPU.csdata,"",@progbits
; Kernel info:
; codeLenInByte = 0
; TotalNumSgprs: 0
; NumVgprs: 0
; ScratchSize: 0
; MemoryBound: 0
; FloatMode: 240
; IeeeMode: 1
; LDSByteSize: 0 bytes/workgroup (compile time only)
; SGPRBlocks: 0
; VGPRBlocks: 0
; NumSGPRsForWavesPerEU: 1
; NumVGPRsForWavesPerEU: 1
; Occupancy: 16
; WaveLimiterHint : 0
; COMPUTE_PGM_RSRC2:SCRATCH_EN: 0
; COMPUTE_PGM_RSRC2:USER_SGPR: 6
; COMPUTE_PGM_RSRC2:TRAP_HANDLER: 0
; COMPUTE_PGM_RSRC2:TGID_X_EN: 1
; COMPUTE_PGM_RSRC2:TGID_Y_EN: 0
; COMPUTE_PGM_RSRC2:TGID_Z_EN: 0
; COMPUTE_PGM_RSRC2:TIDIG_COMP_CNT: 0
	.section	.text._ZN7rocprim17ROCPRIM_400000_NS6detail17trampoline_kernelINS0_14default_configENS1_27scan_by_key_config_selectorIssEEZZNS1_16scan_by_key_implILNS1_25lookback_scan_determinismE0ELb0ES3_N6thrust23THRUST_200600_302600_NS6detail15normal_iteratorINS9_10device_ptrIsEEEESE_SE_sNS9_10multipliesIsEENS9_8equal_toIsEEsEE10hipError_tPvRmT2_T3_T4_T5_mT6_T7_P12ihipStream_tbENKUlT_T0_E_clISt17integral_constantIbLb1EESY_IbLb0EEEEDaSU_SV_EUlSU_E_NS1_11comp_targetILNS1_3genE10ELNS1_11target_archE1200ELNS1_3gpuE4ELNS1_3repE0EEENS1_30default_config_static_selectorELNS0_4arch9wavefront6targetE0EEEvT1_,"axG",@progbits,_ZN7rocprim17ROCPRIM_400000_NS6detail17trampoline_kernelINS0_14default_configENS1_27scan_by_key_config_selectorIssEEZZNS1_16scan_by_key_implILNS1_25lookback_scan_determinismE0ELb0ES3_N6thrust23THRUST_200600_302600_NS6detail15normal_iteratorINS9_10device_ptrIsEEEESE_SE_sNS9_10multipliesIsEENS9_8equal_toIsEEsEE10hipError_tPvRmT2_T3_T4_T5_mT6_T7_P12ihipStream_tbENKUlT_T0_E_clISt17integral_constantIbLb1EESY_IbLb0EEEEDaSU_SV_EUlSU_E_NS1_11comp_targetILNS1_3genE10ELNS1_11target_archE1200ELNS1_3gpuE4ELNS1_3repE0EEENS1_30default_config_static_selectorELNS0_4arch9wavefront6targetE0EEEvT1_,comdat
	.protected	_ZN7rocprim17ROCPRIM_400000_NS6detail17trampoline_kernelINS0_14default_configENS1_27scan_by_key_config_selectorIssEEZZNS1_16scan_by_key_implILNS1_25lookback_scan_determinismE0ELb0ES3_N6thrust23THRUST_200600_302600_NS6detail15normal_iteratorINS9_10device_ptrIsEEEESE_SE_sNS9_10multipliesIsEENS9_8equal_toIsEEsEE10hipError_tPvRmT2_T3_T4_T5_mT6_T7_P12ihipStream_tbENKUlT_T0_E_clISt17integral_constantIbLb1EESY_IbLb0EEEEDaSU_SV_EUlSU_E_NS1_11comp_targetILNS1_3genE10ELNS1_11target_archE1200ELNS1_3gpuE4ELNS1_3repE0EEENS1_30default_config_static_selectorELNS0_4arch9wavefront6targetE0EEEvT1_ ; -- Begin function _ZN7rocprim17ROCPRIM_400000_NS6detail17trampoline_kernelINS0_14default_configENS1_27scan_by_key_config_selectorIssEEZZNS1_16scan_by_key_implILNS1_25lookback_scan_determinismE0ELb0ES3_N6thrust23THRUST_200600_302600_NS6detail15normal_iteratorINS9_10device_ptrIsEEEESE_SE_sNS9_10multipliesIsEENS9_8equal_toIsEEsEE10hipError_tPvRmT2_T3_T4_T5_mT6_T7_P12ihipStream_tbENKUlT_T0_E_clISt17integral_constantIbLb1EESY_IbLb0EEEEDaSU_SV_EUlSU_E_NS1_11comp_targetILNS1_3genE10ELNS1_11target_archE1200ELNS1_3gpuE4ELNS1_3repE0EEENS1_30default_config_static_selectorELNS0_4arch9wavefront6targetE0EEEvT1_
	.globl	_ZN7rocprim17ROCPRIM_400000_NS6detail17trampoline_kernelINS0_14default_configENS1_27scan_by_key_config_selectorIssEEZZNS1_16scan_by_key_implILNS1_25lookback_scan_determinismE0ELb0ES3_N6thrust23THRUST_200600_302600_NS6detail15normal_iteratorINS9_10device_ptrIsEEEESE_SE_sNS9_10multipliesIsEENS9_8equal_toIsEEsEE10hipError_tPvRmT2_T3_T4_T5_mT6_T7_P12ihipStream_tbENKUlT_T0_E_clISt17integral_constantIbLb1EESY_IbLb0EEEEDaSU_SV_EUlSU_E_NS1_11comp_targetILNS1_3genE10ELNS1_11target_archE1200ELNS1_3gpuE4ELNS1_3repE0EEENS1_30default_config_static_selectorELNS0_4arch9wavefront6targetE0EEEvT1_
	.p2align	8
	.type	_ZN7rocprim17ROCPRIM_400000_NS6detail17trampoline_kernelINS0_14default_configENS1_27scan_by_key_config_selectorIssEEZZNS1_16scan_by_key_implILNS1_25lookback_scan_determinismE0ELb0ES3_N6thrust23THRUST_200600_302600_NS6detail15normal_iteratorINS9_10device_ptrIsEEEESE_SE_sNS9_10multipliesIsEENS9_8equal_toIsEEsEE10hipError_tPvRmT2_T3_T4_T5_mT6_T7_P12ihipStream_tbENKUlT_T0_E_clISt17integral_constantIbLb1EESY_IbLb0EEEEDaSU_SV_EUlSU_E_NS1_11comp_targetILNS1_3genE10ELNS1_11target_archE1200ELNS1_3gpuE4ELNS1_3repE0EEENS1_30default_config_static_selectorELNS0_4arch9wavefront6targetE0EEEvT1_,@function
_ZN7rocprim17ROCPRIM_400000_NS6detail17trampoline_kernelINS0_14default_configENS1_27scan_by_key_config_selectorIssEEZZNS1_16scan_by_key_implILNS1_25lookback_scan_determinismE0ELb0ES3_N6thrust23THRUST_200600_302600_NS6detail15normal_iteratorINS9_10device_ptrIsEEEESE_SE_sNS9_10multipliesIsEENS9_8equal_toIsEEsEE10hipError_tPvRmT2_T3_T4_T5_mT6_T7_P12ihipStream_tbENKUlT_T0_E_clISt17integral_constantIbLb1EESY_IbLb0EEEEDaSU_SV_EUlSU_E_NS1_11comp_targetILNS1_3genE10ELNS1_11target_archE1200ELNS1_3gpuE4ELNS1_3repE0EEENS1_30default_config_static_selectorELNS0_4arch9wavefront6targetE0EEEvT1_: ; @_ZN7rocprim17ROCPRIM_400000_NS6detail17trampoline_kernelINS0_14default_configENS1_27scan_by_key_config_selectorIssEEZZNS1_16scan_by_key_implILNS1_25lookback_scan_determinismE0ELb0ES3_N6thrust23THRUST_200600_302600_NS6detail15normal_iteratorINS9_10device_ptrIsEEEESE_SE_sNS9_10multipliesIsEENS9_8equal_toIsEEsEE10hipError_tPvRmT2_T3_T4_T5_mT6_T7_P12ihipStream_tbENKUlT_T0_E_clISt17integral_constantIbLb1EESY_IbLb0EEEEDaSU_SV_EUlSU_E_NS1_11comp_targetILNS1_3genE10ELNS1_11target_archE1200ELNS1_3gpuE4ELNS1_3repE0EEENS1_30default_config_static_selectorELNS0_4arch9wavefront6targetE0EEEvT1_
; %bb.0:
	.section	.rodata,"a",@progbits
	.p2align	6, 0x0
	.amdhsa_kernel _ZN7rocprim17ROCPRIM_400000_NS6detail17trampoline_kernelINS0_14default_configENS1_27scan_by_key_config_selectorIssEEZZNS1_16scan_by_key_implILNS1_25lookback_scan_determinismE0ELb0ES3_N6thrust23THRUST_200600_302600_NS6detail15normal_iteratorINS9_10device_ptrIsEEEESE_SE_sNS9_10multipliesIsEENS9_8equal_toIsEEsEE10hipError_tPvRmT2_T3_T4_T5_mT6_T7_P12ihipStream_tbENKUlT_T0_E_clISt17integral_constantIbLb1EESY_IbLb0EEEEDaSU_SV_EUlSU_E_NS1_11comp_targetILNS1_3genE10ELNS1_11target_archE1200ELNS1_3gpuE4ELNS1_3repE0EEENS1_30default_config_static_selectorELNS0_4arch9wavefront6targetE0EEEvT1_
		.amdhsa_group_segment_fixed_size 0
		.amdhsa_private_segment_fixed_size 0
		.amdhsa_kernarg_size 112
		.amdhsa_user_sgpr_count 6
		.amdhsa_user_sgpr_private_segment_buffer 1
		.amdhsa_user_sgpr_dispatch_ptr 0
		.amdhsa_user_sgpr_queue_ptr 0
		.amdhsa_user_sgpr_kernarg_segment_ptr 1
		.amdhsa_user_sgpr_dispatch_id 0
		.amdhsa_user_sgpr_flat_scratch_init 0
		.amdhsa_user_sgpr_private_segment_size 0
		.amdhsa_wavefront_size32 1
		.amdhsa_uses_dynamic_stack 0
		.amdhsa_system_sgpr_private_segment_wavefront_offset 0
		.amdhsa_system_sgpr_workgroup_id_x 1
		.amdhsa_system_sgpr_workgroup_id_y 0
		.amdhsa_system_sgpr_workgroup_id_z 0
		.amdhsa_system_sgpr_workgroup_info 0
		.amdhsa_system_vgpr_workitem_id 0
		.amdhsa_next_free_vgpr 1
		.amdhsa_next_free_sgpr 1
		.amdhsa_reserve_vcc 0
		.amdhsa_reserve_flat_scratch 0
		.amdhsa_float_round_mode_32 0
		.amdhsa_float_round_mode_16_64 0
		.amdhsa_float_denorm_mode_32 3
		.amdhsa_float_denorm_mode_16_64 3
		.amdhsa_dx10_clamp 1
		.amdhsa_ieee_mode 1
		.amdhsa_fp16_overflow 0
		.amdhsa_workgroup_processor_mode 1
		.amdhsa_memory_ordered 1
		.amdhsa_forward_progress 1
		.amdhsa_shared_vgpr_count 0
		.amdhsa_exception_fp_ieee_invalid_op 0
		.amdhsa_exception_fp_denorm_src 0
		.amdhsa_exception_fp_ieee_div_zero 0
		.amdhsa_exception_fp_ieee_overflow 0
		.amdhsa_exception_fp_ieee_underflow 0
		.amdhsa_exception_fp_ieee_inexact 0
		.amdhsa_exception_int_div_zero 0
	.end_amdhsa_kernel
	.section	.text._ZN7rocprim17ROCPRIM_400000_NS6detail17trampoline_kernelINS0_14default_configENS1_27scan_by_key_config_selectorIssEEZZNS1_16scan_by_key_implILNS1_25lookback_scan_determinismE0ELb0ES3_N6thrust23THRUST_200600_302600_NS6detail15normal_iteratorINS9_10device_ptrIsEEEESE_SE_sNS9_10multipliesIsEENS9_8equal_toIsEEsEE10hipError_tPvRmT2_T3_T4_T5_mT6_T7_P12ihipStream_tbENKUlT_T0_E_clISt17integral_constantIbLb1EESY_IbLb0EEEEDaSU_SV_EUlSU_E_NS1_11comp_targetILNS1_3genE10ELNS1_11target_archE1200ELNS1_3gpuE4ELNS1_3repE0EEENS1_30default_config_static_selectorELNS0_4arch9wavefront6targetE0EEEvT1_,"axG",@progbits,_ZN7rocprim17ROCPRIM_400000_NS6detail17trampoline_kernelINS0_14default_configENS1_27scan_by_key_config_selectorIssEEZZNS1_16scan_by_key_implILNS1_25lookback_scan_determinismE0ELb0ES3_N6thrust23THRUST_200600_302600_NS6detail15normal_iteratorINS9_10device_ptrIsEEEESE_SE_sNS9_10multipliesIsEENS9_8equal_toIsEEsEE10hipError_tPvRmT2_T3_T4_T5_mT6_T7_P12ihipStream_tbENKUlT_T0_E_clISt17integral_constantIbLb1EESY_IbLb0EEEEDaSU_SV_EUlSU_E_NS1_11comp_targetILNS1_3genE10ELNS1_11target_archE1200ELNS1_3gpuE4ELNS1_3repE0EEENS1_30default_config_static_selectorELNS0_4arch9wavefront6targetE0EEEvT1_,comdat
.Lfunc_end305:
	.size	_ZN7rocprim17ROCPRIM_400000_NS6detail17trampoline_kernelINS0_14default_configENS1_27scan_by_key_config_selectorIssEEZZNS1_16scan_by_key_implILNS1_25lookback_scan_determinismE0ELb0ES3_N6thrust23THRUST_200600_302600_NS6detail15normal_iteratorINS9_10device_ptrIsEEEESE_SE_sNS9_10multipliesIsEENS9_8equal_toIsEEsEE10hipError_tPvRmT2_T3_T4_T5_mT6_T7_P12ihipStream_tbENKUlT_T0_E_clISt17integral_constantIbLb1EESY_IbLb0EEEEDaSU_SV_EUlSU_E_NS1_11comp_targetILNS1_3genE10ELNS1_11target_archE1200ELNS1_3gpuE4ELNS1_3repE0EEENS1_30default_config_static_selectorELNS0_4arch9wavefront6targetE0EEEvT1_, .Lfunc_end305-_ZN7rocprim17ROCPRIM_400000_NS6detail17trampoline_kernelINS0_14default_configENS1_27scan_by_key_config_selectorIssEEZZNS1_16scan_by_key_implILNS1_25lookback_scan_determinismE0ELb0ES3_N6thrust23THRUST_200600_302600_NS6detail15normal_iteratorINS9_10device_ptrIsEEEESE_SE_sNS9_10multipliesIsEENS9_8equal_toIsEEsEE10hipError_tPvRmT2_T3_T4_T5_mT6_T7_P12ihipStream_tbENKUlT_T0_E_clISt17integral_constantIbLb1EESY_IbLb0EEEEDaSU_SV_EUlSU_E_NS1_11comp_targetILNS1_3genE10ELNS1_11target_archE1200ELNS1_3gpuE4ELNS1_3repE0EEENS1_30default_config_static_selectorELNS0_4arch9wavefront6targetE0EEEvT1_
                                        ; -- End function
	.set _ZN7rocprim17ROCPRIM_400000_NS6detail17trampoline_kernelINS0_14default_configENS1_27scan_by_key_config_selectorIssEEZZNS1_16scan_by_key_implILNS1_25lookback_scan_determinismE0ELb0ES3_N6thrust23THRUST_200600_302600_NS6detail15normal_iteratorINS9_10device_ptrIsEEEESE_SE_sNS9_10multipliesIsEENS9_8equal_toIsEEsEE10hipError_tPvRmT2_T3_T4_T5_mT6_T7_P12ihipStream_tbENKUlT_T0_E_clISt17integral_constantIbLb1EESY_IbLb0EEEEDaSU_SV_EUlSU_E_NS1_11comp_targetILNS1_3genE10ELNS1_11target_archE1200ELNS1_3gpuE4ELNS1_3repE0EEENS1_30default_config_static_selectorELNS0_4arch9wavefront6targetE0EEEvT1_.num_vgpr, 0
	.set _ZN7rocprim17ROCPRIM_400000_NS6detail17trampoline_kernelINS0_14default_configENS1_27scan_by_key_config_selectorIssEEZZNS1_16scan_by_key_implILNS1_25lookback_scan_determinismE0ELb0ES3_N6thrust23THRUST_200600_302600_NS6detail15normal_iteratorINS9_10device_ptrIsEEEESE_SE_sNS9_10multipliesIsEENS9_8equal_toIsEEsEE10hipError_tPvRmT2_T3_T4_T5_mT6_T7_P12ihipStream_tbENKUlT_T0_E_clISt17integral_constantIbLb1EESY_IbLb0EEEEDaSU_SV_EUlSU_E_NS1_11comp_targetILNS1_3genE10ELNS1_11target_archE1200ELNS1_3gpuE4ELNS1_3repE0EEENS1_30default_config_static_selectorELNS0_4arch9wavefront6targetE0EEEvT1_.num_agpr, 0
	.set _ZN7rocprim17ROCPRIM_400000_NS6detail17trampoline_kernelINS0_14default_configENS1_27scan_by_key_config_selectorIssEEZZNS1_16scan_by_key_implILNS1_25lookback_scan_determinismE0ELb0ES3_N6thrust23THRUST_200600_302600_NS6detail15normal_iteratorINS9_10device_ptrIsEEEESE_SE_sNS9_10multipliesIsEENS9_8equal_toIsEEsEE10hipError_tPvRmT2_T3_T4_T5_mT6_T7_P12ihipStream_tbENKUlT_T0_E_clISt17integral_constantIbLb1EESY_IbLb0EEEEDaSU_SV_EUlSU_E_NS1_11comp_targetILNS1_3genE10ELNS1_11target_archE1200ELNS1_3gpuE4ELNS1_3repE0EEENS1_30default_config_static_selectorELNS0_4arch9wavefront6targetE0EEEvT1_.numbered_sgpr, 0
	.set _ZN7rocprim17ROCPRIM_400000_NS6detail17trampoline_kernelINS0_14default_configENS1_27scan_by_key_config_selectorIssEEZZNS1_16scan_by_key_implILNS1_25lookback_scan_determinismE0ELb0ES3_N6thrust23THRUST_200600_302600_NS6detail15normal_iteratorINS9_10device_ptrIsEEEESE_SE_sNS9_10multipliesIsEENS9_8equal_toIsEEsEE10hipError_tPvRmT2_T3_T4_T5_mT6_T7_P12ihipStream_tbENKUlT_T0_E_clISt17integral_constantIbLb1EESY_IbLb0EEEEDaSU_SV_EUlSU_E_NS1_11comp_targetILNS1_3genE10ELNS1_11target_archE1200ELNS1_3gpuE4ELNS1_3repE0EEENS1_30default_config_static_selectorELNS0_4arch9wavefront6targetE0EEEvT1_.num_named_barrier, 0
	.set _ZN7rocprim17ROCPRIM_400000_NS6detail17trampoline_kernelINS0_14default_configENS1_27scan_by_key_config_selectorIssEEZZNS1_16scan_by_key_implILNS1_25lookback_scan_determinismE0ELb0ES3_N6thrust23THRUST_200600_302600_NS6detail15normal_iteratorINS9_10device_ptrIsEEEESE_SE_sNS9_10multipliesIsEENS9_8equal_toIsEEsEE10hipError_tPvRmT2_T3_T4_T5_mT6_T7_P12ihipStream_tbENKUlT_T0_E_clISt17integral_constantIbLb1EESY_IbLb0EEEEDaSU_SV_EUlSU_E_NS1_11comp_targetILNS1_3genE10ELNS1_11target_archE1200ELNS1_3gpuE4ELNS1_3repE0EEENS1_30default_config_static_selectorELNS0_4arch9wavefront6targetE0EEEvT1_.private_seg_size, 0
	.set _ZN7rocprim17ROCPRIM_400000_NS6detail17trampoline_kernelINS0_14default_configENS1_27scan_by_key_config_selectorIssEEZZNS1_16scan_by_key_implILNS1_25lookback_scan_determinismE0ELb0ES3_N6thrust23THRUST_200600_302600_NS6detail15normal_iteratorINS9_10device_ptrIsEEEESE_SE_sNS9_10multipliesIsEENS9_8equal_toIsEEsEE10hipError_tPvRmT2_T3_T4_T5_mT6_T7_P12ihipStream_tbENKUlT_T0_E_clISt17integral_constantIbLb1EESY_IbLb0EEEEDaSU_SV_EUlSU_E_NS1_11comp_targetILNS1_3genE10ELNS1_11target_archE1200ELNS1_3gpuE4ELNS1_3repE0EEENS1_30default_config_static_selectorELNS0_4arch9wavefront6targetE0EEEvT1_.uses_vcc, 0
	.set _ZN7rocprim17ROCPRIM_400000_NS6detail17trampoline_kernelINS0_14default_configENS1_27scan_by_key_config_selectorIssEEZZNS1_16scan_by_key_implILNS1_25lookback_scan_determinismE0ELb0ES3_N6thrust23THRUST_200600_302600_NS6detail15normal_iteratorINS9_10device_ptrIsEEEESE_SE_sNS9_10multipliesIsEENS9_8equal_toIsEEsEE10hipError_tPvRmT2_T3_T4_T5_mT6_T7_P12ihipStream_tbENKUlT_T0_E_clISt17integral_constantIbLb1EESY_IbLb0EEEEDaSU_SV_EUlSU_E_NS1_11comp_targetILNS1_3genE10ELNS1_11target_archE1200ELNS1_3gpuE4ELNS1_3repE0EEENS1_30default_config_static_selectorELNS0_4arch9wavefront6targetE0EEEvT1_.uses_flat_scratch, 0
	.set _ZN7rocprim17ROCPRIM_400000_NS6detail17trampoline_kernelINS0_14default_configENS1_27scan_by_key_config_selectorIssEEZZNS1_16scan_by_key_implILNS1_25lookback_scan_determinismE0ELb0ES3_N6thrust23THRUST_200600_302600_NS6detail15normal_iteratorINS9_10device_ptrIsEEEESE_SE_sNS9_10multipliesIsEENS9_8equal_toIsEEsEE10hipError_tPvRmT2_T3_T4_T5_mT6_T7_P12ihipStream_tbENKUlT_T0_E_clISt17integral_constantIbLb1EESY_IbLb0EEEEDaSU_SV_EUlSU_E_NS1_11comp_targetILNS1_3genE10ELNS1_11target_archE1200ELNS1_3gpuE4ELNS1_3repE0EEENS1_30default_config_static_selectorELNS0_4arch9wavefront6targetE0EEEvT1_.has_dyn_sized_stack, 0
	.set _ZN7rocprim17ROCPRIM_400000_NS6detail17trampoline_kernelINS0_14default_configENS1_27scan_by_key_config_selectorIssEEZZNS1_16scan_by_key_implILNS1_25lookback_scan_determinismE0ELb0ES3_N6thrust23THRUST_200600_302600_NS6detail15normal_iteratorINS9_10device_ptrIsEEEESE_SE_sNS9_10multipliesIsEENS9_8equal_toIsEEsEE10hipError_tPvRmT2_T3_T4_T5_mT6_T7_P12ihipStream_tbENKUlT_T0_E_clISt17integral_constantIbLb1EESY_IbLb0EEEEDaSU_SV_EUlSU_E_NS1_11comp_targetILNS1_3genE10ELNS1_11target_archE1200ELNS1_3gpuE4ELNS1_3repE0EEENS1_30default_config_static_selectorELNS0_4arch9wavefront6targetE0EEEvT1_.has_recursion, 0
	.set _ZN7rocprim17ROCPRIM_400000_NS6detail17trampoline_kernelINS0_14default_configENS1_27scan_by_key_config_selectorIssEEZZNS1_16scan_by_key_implILNS1_25lookback_scan_determinismE0ELb0ES3_N6thrust23THRUST_200600_302600_NS6detail15normal_iteratorINS9_10device_ptrIsEEEESE_SE_sNS9_10multipliesIsEENS9_8equal_toIsEEsEE10hipError_tPvRmT2_T3_T4_T5_mT6_T7_P12ihipStream_tbENKUlT_T0_E_clISt17integral_constantIbLb1EESY_IbLb0EEEEDaSU_SV_EUlSU_E_NS1_11comp_targetILNS1_3genE10ELNS1_11target_archE1200ELNS1_3gpuE4ELNS1_3repE0EEENS1_30default_config_static_selectorELNS0_4arch9wavefront6targetE0EEEvT1_.has_indirect_call, 0
	.section	.AMDGPU.csdata,"",@progbits
; Kernel info:
; codeLenInByte = 0
; TotalNumSgprs: 0
; NumVgprs: 0
; ScratchSize: 0
; MemoryBound: 0
; FloatMode: 240
; IeeeMode: 1
; LDSByteSize: 0 bytes/workgroup (compile time only)
; SGPRBlocks: 0
; VGPRBlocks: 0
; NumSGPRsForWavesPerEU: 1
; NumVGPRsForWavesPerEU: 1
; Occupancy: 16
; WaveLimiterHint : 0
; COMPUTE_PGM_RSRC2:SCRATCH_EN: 0
; COMPUTE_PGM_RSRC2:USER_SGPR: 6
; COMPUTE_PGM_RSRC2:TRAP_HANDLER: 0
; COMPUTE_PGM_RSRC2:TGID_X_EN: 1
; COMPUTE_PGM_RSRC2:TGID_Y_EN: 0
; COMPUTE_PGM_RSRC2:TGID_Z_EN: 0
; COMPUTE_PGM_RSRC2:TIDIG_COMP_CNT: 0
	.section	.text._ZN7rocprim17ROCPRIM_400000_NS6detail17trampoline_kernelINS0_14default_configENS1_27scan_by_key_config_selectorIssEEZZNS1_16scan_by_key_implILNS1_25lookback_scan_determinismE0ELb0ES3_N6thrust23THRUST_200600_302600_NS6detail15normal_iteratorINS9_10device_ptrIsEEEESE_SE_sNS9_10multipliesIsEENS9_8equal_toIsEEsEE10hipError_tPvRmT2_T3_T4_T5_mT6_T7_P12ihipStream_tbENKUlT_T0_E_clISt17integral_constantIbLb1EESY_IbLb0EEEEDaSU_SV_EUlSU_E_NS1_11comp_targetILNS1_3genE9ELNS1_11target_archE1100ELNS1_3gpuE3ELNS1_3repE0EEENS1_30default_config_static_selectorELNS0_4arch9wavefront6targetE0EEEvT1_,"axG",@progbits,_ZN7rocprim17ROCPRIM_400000_NS6detail17trampoline_kernelINS0_14default_configENS1_27scan_by_key_config_selectorIssEEZZNS1_16scan_by_key_implILNS1_25lookback_scan_determinismE0ELb0ES3_N6thrust23THRUST_200600_302600_NS6detail15normal_iteratorINS9_10device_ptrIsEEEESE_SE_sNS9_10multipliesIsEENS9_8equal_toIsEEsEE10hipError_tPvRmT2_T3_T4_T5_mT6_T7_P12ihipStream_tbENKUlT_T0_E_clISt17integral_constantIbLb1EESY_IbLb0EEEEDaSU_SV_EUlSU_E_NS1_11comp_targetILNS1_3genE9ELNS1_11target_archE1100ELNS1_3gpuE3ELNS1_3repE0EEENS1_30default_config_static_selectorELNS0_4arch9wavefront6targetE0EEEvT1_,comdat
	.protected	_ZN7rocprim17ROCPRIM_400000_NS6detail17trampoline_kernelINS0_14default_configENS1_27scan_by_key_config_selectorIssEEZZNS1_16scan_by_key_implILNS1_25lookback_scan_determinismE0ELb0ES3_N6thrust23THRUST_200600_302600_NS6detail15normal_iteratorINS9_10device_ptrIsEEEESE_SE_sNS9_10multipliesIsEENS9_8equal_toIsEEsEE10hipError_tPvRmT2_T3_T4_T5_mT6_T7_P12ihipStream_tbENKUlT_T0_E_clISt17integral_constantIbLb1EESY_IbLb0EEEEDaSU_SV_EUlSU_E_NS1_11comp_targetILNS1_3genE9ELNS1_11target_archE1100ELNS1_3gpuE3ELNS1_3repE0EEENS1_30default_config_static_selectorELNS0_4arch9wavefront6targetE0EEEvT1_ ; -- Begin function _ZN7rocprim17ROCPRIM_400000_NS6detail17trampoline_kernelINS0_14default_configENS1_27scan_by_key_config_selectorIssEEZZNS1_16scan_by_key_implILNS1_25lookback_scan_determinismE0ELb0ES3_N6thrust23THRUST_200600_302600_NS6detail15normal_iteratorINS9_10device_ptrIsEEEESE_SE_sNS9_10multipliesIsEENS9_8equal_toIsEEsEE10hipError_tPvRmT2_T3_T4_T5_mT6_T7_P12ihipStream_tbENKUlT_T0_E_clISt17integral_constantIbLb1EESY_IbLb0EEEEDaSU_SV_EUlSU_E_NS1_11comp_targetILNS1_3genE9ELNS1_11target_archE1100ELNS1_3gpuE3ELNS1_3repE0EEENS1_30default_config_static_selectorELNS0_4arch9wavefront6targetE0EEEvT1_
	.globl	_ZN7rocprim17ROCPRIM_400000_NS6detail17trampoline_kernelINS0_14default_configENS1_27scan_by_key_config_selectorIssEEZZNS1_16scan_by_key_implILNS1_25lookback_scan_determinismE0ELb0ES3_N6thrust23THRUST_200600_302600_NS6detail15normal_iteratorINS9_10device_ptrIsEEEESE_SE_sNS9_10multipliesIsEENS9_8equal_toIsEEsEE10hipError_tPvRmT2_T3_T4_T5_mT6_T7_P12ihipStream_tbENKUlT_T0_E_clISt17integral_constantIbLb1EESY_IbLb0EEEEDaSU_SV_EUlSU_E_NS1_11comp_targetILNS1_3genE9ELNS1_11target_archE1100ELNS1_3gpuE3ELNS1_3repE0EEENS1_30default_config_static_selectorELNS0_4arch9wavefront6targetE0EEEvT1_
	.p2align	8
	.type	_ZN7rocprim17ROCPRIM_400000_NS6detail17trampoline_kernelINS0_14default_configENS1_27scan_by_key_config_selectorIssEEZZNS1_16scan_by_key_implILNS1_25lookback_scan_determinismE0ELb0ES3_N6thrust23THRUST_200600_302600_NS6detail15normal_iteratorINS9_10device_ptrIsEEEESE_SE_sNS9_10multipliesIsEENS9_8equal_toIsEEsEE10hipError_tPvRmT2_T3_T4_T5_mT6_T7_P12ihipStream_tbENKUlT_T0_E_clISt17integral_constantIbLb1EESY_IbLb0EEEEDaSU_SV_EUlSU_E_NS1_11comp_targetILNS1_3genE9ELNS1_11target_archE1100ELNS1_3gpuE3ELNS1_3repE0EEENS1_30default_config_static_selectorELNS0_4arch9wavefront6targetE0EEEvT1_,@function
_ZN7rocprim17ROCPRIM_400000_NS6detail17trampoline_kernelINS0_14default_configENS1_27scan_by_key_config_selectorIssEEZZNS1_16scan_by_key_implILNS1_25lookback_scan_determinismE0ELb0ES3_N6thrust23THRUST_200600_302600_NS6detail15normal_iteratorINS9_10device_ptrIsEEEESE_SE_sNS9_10multipliesIsEENS9_8equal_toIsEEsEE10hipError_tPvRmT2_T3_T4_T5_mT6_T7_P12ihipStream_tbENKUlT_T0_E_clISt17integral_constantIbLb1EESY_IbLb0EEEEDaSU_SV_EUlSU_E_NS1_11comp_targetILNS1_3genE9ELNS1_11target_archE1100ELNS1_3gpuE3ELNS1_3repE0EEENS1_30default_config_static_selectorELNS0_4arch9wavefront6targetE0EEEvT1_: ; @_ZN7rocprim17ROCPRIM_400000_NS6detail17trampoline_kernelINS0_14default_configENS1_27scan_by_key_config_selectorIssEEZZNS1_16scan_by_key_implILNS1_25lookback_scan_determinismE0ELb0ES3_N6thrust23THRUST_200600_302600_NS6detail15normal_iteratorINS9_10device_ptrIsEEEESE_SE_sNS9_10multipliesIsEENS9_8equal_toIsEEsEE10hipError_tPvRmT2_T3_T4_T5_mT6_T7_P12ihipStream_tbENKUlT_T0_E_clISt17integral_constantIbLb1EESY_IbLb0EEEEDaSU_SV_EUlSU_E_NS1_11comp_targetILNS1_3genE9ELNS1_11target_archE1100ELNS1_3gpuE3ELNS1_3repE0EEENS1_30default_config_static_selectorELNS0_4arch9wavefront6targetE0EEEvT1_
; %bb.0:
	.section	.rodata,"a",@progbits
	.p2align	6, 0x0
	.amdhsa_kernel _ZN7rocprim17ROCPRIM_400000_NS6detail17trampoline_kernelINS0_14default_configENS1_27scan_by_key_config_selectorIssEEZZNS1_16scan_by_key_implILNS1_25lookback_scan_determinismE0ELb0ES3_N6thrust23THRUST_200600_302600_NS6detail15normal_iteratorINS9_10device_ptrIsEEEESE_SE_sNS9_10multipliesIsEENS9_8equal_toIsEEsEE10hipError_tPvRmT2_T3_T4_T5_mT6_T7_P12ihipStream_tbENKUlT_T0_E_clISt17integral_constantIbLb1EESY_IbLb0EEEEDaSU_SV_EUlSU_E_NS1_11comp_targetILNS1_3genE9ELNS1_11target_archE1100ELNS1_3gpuE3ELNS1_3repE0EEENS1_30default_config_static_selectorELNS0_4arch9wavefront6targetE0EEEvT1_
		.amdhsa_group_segment_fixed_size 0
		.amdhsa_private_segment_fixed_size 0
		.amdhsa_kernarg_size 112
		.amdhsa_user_sgpr_count 6
		.amdhsa_user_sgpr_private_segment_buffer 1
		.amdhsa_user_sgpr_dispatch_ptr 0
		.amdhsa_user_sgpr_queue_ptr 0
		.amdhsa_user_sgpr_kernarg_segment_ptr 1
		.amdhsa_user_sgpr_dispatch_id 0
		.amdhsa_user_sgpr_flat_scratch_init 0
		.amdhsa_user_sgpr_private_segment_size 0
		.amdhsa_wavefront_size32 1
		.amdhsa_uses_dynamic_stack 0
		.amdhsa_system_sgpr_private_segment_wavefront_offset 0
		.amdhsa_system_sgpr_workgroup_id_x 1
		.amdhsa_system_sgpr_workgroup_id_y 0
		.amdhsa_system_sgpr_workgroup_id_z 0
		.amdhsa_system_sgpr_workgroup_info 0
		.amdhsa_system_vgpr_workitem_id 0
		.amdhsa_next_free_vgpr 1
		.amdhsa_next_free_sgpr 1
		.amdhsa_reserve_vcc 0
		.amdhsa_reserve_flat_scratch 0
		.amdhsa_float_round_mode_32 0
		.amdhsa_float_round_mode_16_64 0
		.amdhsa_float_denorm_mode_32 3
		.amdhsa_float_denorm_mode_16_64 3
		.amdhsa_dx10_clamp 1
		.amdhsa_ieee_mode 1
		.amdhsa_fp16_overflow 0
		.amdhsa_workgroup_processor_mode 1
		.amdhsa_memory_ordered 1
		.amdhsa_forward_progress 1
		.amdhsa_shared_vgpr_count 0
		.amdhsa_exception_fp_ieee_invalid_op 0
		.amdhsa_exception_fp_denorm_src 0
		.amdhsa_exception_fp_ieee_div_zero 0
		.amdhsa_exception_fp_ieee_overflow 0
		.amdhsa_exception_fp_ieee_underflow 0
		.amdhsa_exception_fp_ieee_inexact 0
		.amdhsa_exception_int_div_zero 0
	.end_amdhsa_kernel
	.section	.text._ZN7rocprim17ROCPRIM_400000_NS6detail17trampoline_kernelINS0_14default_configENS1_27scan_by_key_config_selectorIssEEZZNS1_16scan_by_key_implILNS1_25lookback_scan_determinismE0ELb0ES3_N6thrust23THRUST_200600_302600_NS6detail15normal_iteratorINS9_10device_ptrIsEEEESE_SE_sNS9_10multipliesIsEENS9_8equal_toIsEEsEE10hipError_tPvRmT2_T3_T4_T5_mT6_T7_P12ihipStream_tbENKUlT_T0_E_clISt17integral_constantIbLb1EESY_IbLb0EEEEDaSU_SV_EUlSU_E_NS1_11comp_targetILNS1_3genE9ELNS1_11target_archE1100ELNS1_3gpuE3ELNS1_3repE0EEENS1_30default_config_static_selectorELNS0_4arch9wavefront6targetE0EEEvT1_,"axG",@progbits,_ZN7rocprim17ROCPRIM_400000_NS6detail17trampoline_kernelINS0_14default_configENS1_27scan_by_key_config_selectorIssEEZZNS1_16scan_by_key_implILNS1_25lookback_scan_determinismE0ELb0ES3_N6thrust23THRUST_200600_302600_NS6detail15normal_iteratorINS9_10device_ptrIsEEEESE_SE_sNS9_10multipliesIsEENS9_8equal_toIsEEsEE10hipError_tPvRmT2_T3_T4_T5_mT6_T7_P12ihipStream_tbENKUlT_T0_E_clISt17integral_constantIbLb1EESY_IbLb0EEEEDaSU_SV_EUlSU_E_NS1_11comp_targetILNS1_3genE9ELNS1_11target_archE1100ELNS1_3gpuE3ELNS1_3repE0EEENS1_30default_config_static_selectorELNS0_4arch9wavefront6targetE0EEEvT1_,comdat
.Lfunc_end306:
	.size	_ZN7rocprim17ROCPRIM_400000_NS6detail17trampoline_kernelINS0_14default_configENS1_27scan_by_key_config_selectorIssEEZZNS1_16scan_by_key_implILNS1_25lookback_scan_determinismE0ELb0ES3_N6thrust23THRUST_200600_302600_NS6detail15normal_iteratorINS9_10device_ptrIsEEEESE_SE_sNS9_10multipliesIsEENS9_8equal_toIsEEsEE10hipError_tPvRmT2_T3_T4_T5_mT6_T7_P12ihipStream_tbENKUlT_T0_E_clISt17integral_constantIbLb1EESY_IbLb0EEEEDaSU_SV_EUlSU_E_NS1_11comp_targetILNS1_3genE9ELNS1_11target_archE1100ELNS1_3gpuE3ELNS1_3repE0EEENS1_30default_config_static_selectorELNS0_4arch9wavefront6targetE0EEEvT1_, .Lfunc_end306-_ZN7rocprim17ROCPRIM_400000_NS6detail17trampoline_kernelINS0_14default_configENS1_27scan_by_key_config_selectorIssEEZZNS1_16scan_by_key_implILNS1_25lookback_scan_determinismE0ELb0ES3_N6thrust23THRUST_200600_302600_NS6detail15normal_iteratorINS9_10device_ptrIsEEEESE_SE_sNS9_10multipliesIsEENS9_8equal_toIsEEsEE10hipError_tPvRmT2_T3_T4_T5_mT6_T7_P12ihipStream_tbENKUlT_T0_E_clISt17integral_constantIbLb1EESY_IbLb0EEEEDaSU_SV_EUlSU_E_NS1_11comp_targetILNS1_3genE9ELNS1_11target_archE1100ELNS1_3gpuE3ELNS1_3repE0EEENS1_30default_config_static_selectorELNS0_4arch9wavefront6targetE0EEEvT1_
                                        ; -- End function
	.set _ZN7rocprim17ROCPRIM_400000_NS6detail17trampoline_kernelINS0_14default_configENS1_27scan_by_key_config_selectorIssEEZZNS1_16scan_by_key_implILNS1_25lookback_scan_determinismE0ELb0ES3_N6thrust23THRUST_200600_302600_NS6detail15normal_iteratorINS9_10device_ptrIsEEEESE_SE_sNS9_10multipliesIsEENS9_8equal_toIsEEsEE10hipError_tPvRmT2_T3_T4_T5_mT6_T7_P12ihipStream_tbENKUlT_T0_E_clISt17integral_constantIbLb1EESY_IbLb0EEEEDaSU_SV_EUlSU_E_NS1_11comp_targetILNS1_3genE9ELNS1_11target_archE1100ELNS1_3gpuE3ELNS1_3repE0EEENS1_30default_config_static_selectorELNS0_4arch9wavefront6targetE0EEEvT1_.num_vgpr, 0
	.set _ZN7rocprim17ROCPRIM_400000_NS6detail17trampoline_kernelINS0_14default_configENS1_27scan_by_key_config_selectorIssEEZZNS1_16scan_by_key_implILNS1_25lookback_scan_determinismE0ELb0ES3_N6thrust23THRUST_200600_302600_NS6detail15normal_iteratorINS9_10device_ptrIsEEEESE_SE_sNS9_10multipliesIsEENS9_8equal_toIsEEsEE10hipError_tPvRmT2_T3_T4_T5_mT6_T7_P12ihipStream_tbENKUlT_T0_E_clISt17integral_constantIbLb1EESY_IbLb0EEEEDaSU_SV_EUlSU_E_NS1_11comp_targetILNS1_3genE9ELNS1_11target_archE1100ELNS1_3gpuE3ELNS1_3repE0EEENS1_30default_config_static_selectorELNS0_4arch9wavefront6targetE0EEEvT1_.num_agpr, 0
	.set _ZN7rocprim17ROCPRIM_400000_NS6detail17trampoline_kernelINS0_14default_configENS1_27scan_by_key_config_selectorIssEEZZNS1_16scan_by_key_implILNS1_25lookback_scan_determinismE0ELb0ES3_N6thrust23THRUST_200600_302600_NS6detail15normal_iteratorINS9_10device_ptrIsEEEESE_SE_sNS9_10multipliesIsEENS9_8equal_toIsEEsEE10hipError_tPvRmT2_T3_T4_T5_mT6_T7_P12ihipStream_tbENKUlT_T0_E_clISt17integral_constantIbLb1EESY_IbLb0EEEEDaSU_SV_EUlSU_E_NS1_11comp_targetILNS1_3genE9ELNS1_11target_archE1100ELNS1_3gpuE3ELNS1_3repE0EEENS1_30default_config_static_selectorELNS0_4arch9wavefront6targetE0EEEvT1_.numbered_sgpr, 0
	.set _ZN7rocprim17ROCPRIM_400000_NS6detail17trampoline_kernelINS0_14default_configENS1_27scan_by_key_config_selectorIssEEZZNS1_16scan_by_key_implILNS1_25lookback_scan_determinismE0ELb0ES3_N6thrust23THRUST_200600_302600_NS6detail15normal_iteratorINS9_10device_ptrIsEEEESE_SE_sNS9_10multipliesIsEENS9_8equal_toIsEEsEE10hipError_tPvRmT2_T3_T4_T5_mT6_T7_P12ihipStream_tbENKUlT_T0_E_clISt17integral_constantIbLb1EESY_IbLb0EEEEDaSU_SV_EUlSU_E_NS1_11comp_targetILNS1_3genE9ELNS1_11target_archE1100ELNS1_3gpuE3ELNS1_3repE0EEENS1_30default_config_static_selectorELNS0_4arch9wavefront6targetE0EEEvT1_.num_named_barrier, 0
	.set _ZN7rocprim17ROCPRIM_400000_NS6detail17trampoline_kernelINS0_14default_configENS1_27scan_by_key_config_selectorIssEEZZNS1_16scan_by_key_implILNS1_25lookback_scan_determinismE0ELb0ES3_N6thrust23THRUST_200600_302600_NS6detail15normal_iteratorINS9_10device_ptrIsEEEESE_SE_sNS9_10multipliesIsEENS9_8equal_toIsEEsEE10hipError_tPvRmT2_T3_T4_T5_mT6_T7_P12ihipStream_tbENKUlT_T0_E_clISt17integral_constantIbLb1EESY_IbLb0EEEEDaSU_SV_EUlSU_E_NS1_11comp_targetILNS1_3genE9ELNS1_11target_archE1100ELNS1_3gpuE3ELNS1_3repE0EEENS1_30default_config_static_selectorELNS0_4arch9wavefront6targetE0EEEvT1_.private_seg_size, 0
	.set _ZN7rocprim17ROCPRIM_400000_NS6detail17trampoline_kernelINS0_14default_configENS1_27scan_by_key_config_selectorIssEEZZNS1_16scan_by_key_implILNS1_25lookback_scan_determinismE0ELb0ES3_N6thrust23THRUST_200600_302600_NS6detail15normal_iteratorINS9_10device_ptrIsEEEESE_SE_sNS9_10multipliesIsEENS9_8equal_toIsEEsEE10hipError_tPvRmT2_T3_T4_T5_mT6_T7_P12ihipStream_tbENKUlT_T0_E_clISt17integral_constantIbLb1EESY_IbLb0EEEEDaSU_SV_EUlSU_E_NS1_11comp_targetILNS1_3genE9ELNS1_11target_archE1100ELNS1_3gpuE3ELNS1_3repE0EEENS1_30default_config_static_selectorELNS0_4arch9wavefront6targetE0EEEvT1_.uses_vcc, 0
	.set _ZN7rocprim17ROCPRIM_400000_NS6detail17trampoline_kernelINS0_14default_configENS1_27scan_by_key_config_selectorIssEEZZNS1_16scan_by_key_implILNS1_25lookback_scan_determinismE0ELb0ES3_N6thrust23THRUST_200600_302600_NS6detail15normal_iteratorINS9_10device_ptrIsEEEESE_SE_sNS9_10multipliesIsEENS9_8equal_toIsEEsEE10hipError_tPvRmT2_T3_T4_T5_mT6_T7_P12ihipStream_tbENKUlT_T0_E_clISt17integral_constantIbLb1EESY_IbLb0EEEEDaSU_SV_EUlSU_E_NS1_11comp_targetILNS1_3genE9ELNS1_11target_archE1100ELNS1_3gpuE3ELNS1_3repE0EEENS1_30default_config_static_selectorELNS0_4arch9wavefront6targetE0EEEvT1_.uses_flat_scratch, 0
	.set _ZN7rocprim17ROCPRIM_400000_NS6detail17trampoline_kernelINS0_14default_configENS1_27scan_by_key_config_selectorIssEEZZNS1_16scan_by_key_implILNS1_25lookback_scan_determinismE0ELb0ES3_N6thrust23THRUST_200600_302600_NS6detail15normal_iteratorINS9_10device_ptrIsEEEESE_SE_sNS9_10multipliesIsEENS9_8equal_toIsEEsEE10hipError_tPvRmT2_T3_T4_T5_mT6_T7_P12ihipStream_tbENKUlT_T0_E_clISt17integral_constantIbLb1EESY_IbLb0EEEEDaSU_SV_EUlSU_E_NS1_11comp_targetILNS1_3genE9ELNS1_11target_archE1100ELNS1_3gpuE3ELNS1_3repE0EEENS1_30default_config_static_selectorELNS0_4arch9wavefront6targetE0EEEvT1_.has_dyn_sized_stack, 0
	.set _ZN7rocprim17ROCPRIM_400000_NS6detail17trampoline_kernelINS0_14default_configENS1_27scan_by_key_config_selectorIssEEZZNS1_16scan_by_key_implILNS1_25lookback_scan_determinismE0ELb0ES3_N6thrust23THRUST_200600_302600_NS6detail15normal_iteratorINS9_10device_ptrIsEEEESE_SE_sNS9_10multipliesIsEENS9_8equal_toIsEEsEE10hipError_tPvRmT2_T3_T4_T5_mT6_T7_P12ihipStream_tbENKUlT_T0_E_clISt17integral_constantIbLb1EESY_IbLb0EEEEDaSU_SV_EUlSU_E_NS1_11comp_targetILNS1_3genE9ELNS1_11target_archE1100ELNS1_3gpuE3ELNS1_3repE0EEENS1_30default_config_static_selectorELNS0_4arch9wavefront6targetE0EEEvT1_.has_recursion, 0
	.set _ZN7rocprim17ROCPRIM_400000_NS6detail17trampoline_kernelINS0_14default_configENS1_27scan_by_key_config_selectorIssEEZZNS1_16scan_by_key_implILNS1_25lookback_scan_determinismE0ELb0ES3_N6thrust23THRUST_200600_302600_NS6detail15normal_iteratorINS9_10device_ptrIsEEEESE_SE_sNS9_10multipliesIsEENS9_8equal_toIsEEsEE10hipError_tPvRmT2_T3_T4_T5_mT6_T7_P12ihipStream_tbENKUlT_T0_E_clISt17integral_constantIbLb1EESY_IbLb0EEEEDaSU_SV_EUlSU_E_NS1_11comp_targetILNS1_3genE9ELNS1_11target_archE1100ELNS1_3gpuE3ELNS1_3repE0EEENS1_30default_config_static_selectorELNS0_4arch9wavefront6targetE0EEEvT1_.has_indirect_call, 0
	.section	.AMDGPU.csdata,"",@progbits
; Kernel info:
; codeLenInByte = 0
; TotalNumSgprs: 0
; NumVgprs: 0
; ScratchSize: 0
; MemoryBound: 0
; FloatMode: 240
; IeeeMode: 1
; LDSByteSize: 0 bytes/workgroup (compile time only)
; SGPRBlocks: 0
; VGPRBlocks: 0
; NumSGPRsForWavesPerEU: 1
; NumVGPRsForWavesPerEU: 1
; Occupancy: 16
; WaveLimiterHint : 0
; COMPUTE_PGM_RSRC2:SCRATCH_EN: 0
; COMPUTE_PGM_RSRC2:USER_SGPR: 6
; COMPUTE_PGM_RSRC2:TRAP_HANDLER: 0
; COMPUTE_PGM_RSRC2:TGID_X_EN: 1
; COMPUTE_PGM_RSRC2:TGID_Y_EN: 0
; COMPUTE_PGM_RSRC2:TGID_Z_EN: 0
; COMPUTE_PGM_RSRC2:TIDIG_COMP_CNT: 0
	.section	.text._ZN7rocprim17ROCPRIM_400000_NS6detail17trampoline_kernelINS0_14default_configENS1_27scan_by_key_config_selectorIssEEZZNS1_16scan_by_key_implILNS1_25lookback_scan_determinismE0ELb0ES3_N6thrust23THRUST_200600_302600_NS6detail15normal_iteratorINS9_10device_ptrIsEEEESE_SE_sNS9_10multipliesIsEENS9_8equal_toIsEEsEE10hipError_tPvRmT2_T3_T4_T5_mT6_T7_P12ihipStream_tbENKUlT_T0_E_clISt17integral_constantIbLb1EESY_IbLb0EEEEDaSU_SV_EUlSU_E_NS1_11comp_targetILNS1_3genE8ELNS1_11target_archE1030ELNS1_3gpuE2ELNS1_3repE0EEENS1_30default_config_static_selectorELNS0_4arch9wavefront6targetE0EEEvT1_,"axG",@progbits,_ZN7rocprim17ROCPRIM_400000_NS6detail17trampoline_kernelINS0_14default_configENS1_27scan_by_key_config_selectorIssEEZZNS1_16scan_by_key_implILNS1_25lookback_scan_determinismE0ELb0ES3_N6thrust23THRUST_200600_302600_NS6detail15normal_iteratorINS9_10device_ptrIsEEEESE_SE_sNS9_10multipliesIsEENS9_8equal_toIsEEsEE10hipError_tPvRmT2_T3_T4_T5_mT6_T7_P12ihipStream_tbENKUlT_T0_E_clISt17integral_constantIbLb1EESY_IbLb0EEEEDaSU_SV_EUlSU_E_NS1_11comp_targetILNS1_3genE8ELNS1_11target_archE1030ELNS1_3gpuE2ELNS1_3repE0EEENS1_30default_config_static_selectorELNS0_4arch9wavefront6targetE0EEEvT1_,comdat
	.protected	_ZN7rocprim17ROCPRIM_400000_NS6detail17trampoline_kernelINS0_14default_configENS1_27scan_by_key_config_selectorIssEEZZNS1_16scan_by_key_implILNS1_25lookback_scan_determinismE0ELb0ES3_N6thrust23THRUST_200600_302600_NS6detail15normal_iteratorINS9_10device_ptrIsEEEESE_SE_sNS9_10multipliesIsEENS9_8equal_toIsEEsEE10hipError_tPvRmT2_T3_T4_T5_mT6_T7_P12ihipStream_tbENKUlT_T0_E_clISt17integral_constantIbLb1EESY_IbLb0EEEEDaSU_SV_EUlSU_E_NS1_11comp_targetILNS1_3genE8ELNS1_11target_archE1030ELNS1_3gpuE2ELNS1_3repE0EEENS1_30default_config_static_selectorELNS0_4arch9wavefront6targetE0EEEvT1_ ; -- Begin function _ZN7rocprim17ROCPRIM_400000_NS6detail17trampoline_kernelINS0_14default_configENS1_27scan_by_key_config_selectorIssEEZZNS1_16scan_by_key_implILNS1_25lookback_scan_determinismE0ELb0ES3_N6thrust23THRUST_200600_302600_NS6detail15normal_iteratorINS9_10device_ptrIsEEEESE_SE_sNS9_10multipliesIsEENS9_8equal_toIsEEsEE10hipError_tPvRmT2_T3_T4_T5_mT6_T7_P12ihipStream_tbENKUlT_T0_E_clISt17integral_constantIbLb1EESY_IbLb0EEEEDaSU_SV_EUlSU_E_NS1_11comp_targetILNS1_3genE8ELNS1_11target_archE1030ELNS1_3gpuE2ELNS1_3repE0EEENS1_30default_config_static_selectorELNS0_4arch9wavefront6targetE0EEEvT1_
	.globl	_ZN7rocprim17ROCPRIM_400000_NS6detail17trampoline_kernelINS0_14default_configENS1_27scan_by_key_config_selectorIssEEZZNS1_16scan_by_key_implILNS1_25lookback_scan_determinismE0ELb0ES3_N6thrust23THRUST_200600_302600_NS6detail15normal_iteratorINS9_10device_ptrIsEEEESE_SE_sNS9_10multipliesIsEENS9_8equal_toIsEEsEE10hipError_tPvRmT2_T3_T4_T5_mT6_T7_P12ihipStream_tbENKUlT_T0_E_clISt17integral_constantIbLb1EESY_IbLb0EEEEDaSU_SV_EUlSU_E_NS1_11comp_targetILNS1_3genE8ELNS1_11target_archE1030ELNS1_3gpuE2ELNS1_3repE0EEENS1_30default_config_static_selectorELNS0_4arch9wavefront6targetE0EEEvT1_
	.p2align	8
	.type	_ZN7rocprim17ROCPRIM_400000_NS6detail17trampoline_kernelINS0_14default_configENS1_27scan_by_key_config_selectorIssEEZZNS1_16scan_by_key_implILNS1_25lookback_scan_determinismE0ELb0ES3_N6thrust23THRUST_200600_302600_NS6detail15normal_iteratorINS9_10device_ptrIsEEEESE_SE_sNS9_10multipliesIsEENS9_8equal_toIsEEsEE10hipError_tPvRmT2_T3_T4_T5_mT6_T7_P12ihipStream_tbENKUlT_T0_E_clISt17integral_constantIbLb1EESY_IbLb0EEEEDaSU_SV_EUlSU_E_NS1_11comp_targetILNS1_3genE8ELNS1_11target_archE1030ELNS1_3gpuE2ELNS1_3repE0EEENS1_30default_config_static_selectorELNS0_4arch9wavefront6targetE0EEEvT1_,@function
_ZN7rocprim17ROCPRIM_400000_NS6detail17trampoline_kernelINS0_14default_configENS1_27scan_by_key_config_selectorIssEEZZNS1_16scan_by_key_implILNS1_25lookback_scan_determinismE0ELb0ES3_N6thrust23THRUST_200600_302600_NS6detail15normal_iteratorINS9_10device_ptrIsEEEESE_SE_sNS9_10multipliesIsEENS9_8equal_toIsEEsEE10hipError_tPvRmT2_T3_T4_T5_mT6_T7_P12ihipStream_tbENKUlT_T0_E_clISt17integral_constantIbLb1EESY_IbLb0EEEEDaSU_SV_EUlSU_E_NS1_11comp_targetILNS1_3genE8ELNS1_11target_archE1030ELNS1_3gpuE2ELNS1_3repE0EEENS1_30default_config_static_selectorELNS0_4arch9wavefront6targetE0EEEvT1_: ; @_ZN7rocprim17ROCPRIM_400000_NS6detail17trampoline_kernelINS0_14default_configENS1_27scan_by_key_config_selectorIssEEZZNS1_16scan_by_key_implILNS1_25lookback_scan_determinismE0ELb0ES3_N6thrust23THRUST_200600_302600_NS6detail15normal_iteratorINS9_10device_ptrIsEEEESE_SE_sNS9_10multipliesIsEENS9_8equal_toIsEEsEE10hipError_tPvRmT2_T3_T4_T5_mT6_T7_P12ihipStream_tbENKUlT_T0_E_clISt17integral_constantIbLb1EESY_IbLb0EEEEDaSU_SV_EUlSU_E_NS1_11comp_targetILNS1_3genE8ELNS1_11target_archE1030ELNS1_3gpuE2ELNS1_3repE0EEENS1_30default_config_static_selectorELNS0_4arch9wavefront6targetE0EEEvT1_
; %bb.0:
	s_endpgm
	.section	.rodata,"a",@progbits
	.p2align	6, 0x0
	.amdhsa_kernel _ZN7rocprim17ROCPRIM_400000_NS6detail17trampoline_kernelINS0_14default_configENS1_27scan_by_key_config_selectorIssEEZZNS1_16scan_by_key_implILNS1_25lookback_scan_determinismE0ELb0ES3_N6thrust23THRUST_200600_302600_NS6detail15normal_iteratorINS9_10device_ptrIsEEEESE_SE_sNS9_10multipliesIsEENS9_8equal_toIsEEsEE10hipError_tPvRmT2_T3_T4_T5_mT6_T7_P12ihipStream_tbENKUlT_T0_E_clISt17integral_constantIbLb1EESY_IbLb0EEEEDaSU_SV_EUlSU_E_NS1_11comp_targetILNS1_3genE8ELNS1_11target_archE1030ELNS1_3gpuE2ELNS1_3repE0EEENS1_30default_config_static_selectorELNS0_4arch9wavefront6targetE0EEEvT1_
		.amdhsa_group_segment_fixed_size 0
		.amdhsa_private_segment_fixed_size 0
		.amdhsa_kernarg_size 112
		.amdhsa_user_sgpr_count 6
		.amdhsa_user_sgpr_private_segment_buffer 1
		.amdhsa_user_sgpr_dispatch_ptr 0
		.amdhsa_user_sgpr_queue_ptr 0
		.amdhsa_user_sgpr_kernarg_segment_ptr 1
		.amdhsa_user_sgpr_dispatch_id 0
		.amdhsa_user_sgpr_flat_scratch_init 0
		.amdhsa_user_sgpr_private_segment_size 0
		.amdhsa_wavefront_size32 1
		.amdhsa_uses_dynamic_stack 0
		.amdhsa_system_sgpr_private_segment_wavefront_offset 0
		.amdhsa_system_sgpr_workgroup_id_x 1
		.amdhsa_system_sgpr_workgroup_id_y 0
		.amdhsa_system_sgpr_workgroup_id_z 0
		.amdhsa_system_sgpr_workgroup_info 0
		.amdhsa_system_vgpr_workitem_id 0
		.amdhsa_next_free_vgpr 1
		.amdhsa_next_free_sgpr 1
		.amdhsa_reserve_vcc 0
		.amdhsa_reserve_flat_scratch 0
		.amdhsa_float_round_mode_32 0
		.amdhsa_float_round_mode_16_64 0
		.amdhsa_float_denorm_mode_32 3
		.amdhsa_float_denorm_mode_16_64 3
		.amdhsa_dx10_clamp 1
		.amdhsa_ieee_mode 1
		.amdhsa_fp16_overflow 0
		.amdhsa_workgroup_processor_mode 1
		.amdhsa_memory_ordered 1
		.amdhsa_forward_progress 1
		.amdhsa_shared_vgpr_count 0
		.amdhsa_exception_fp_ieee_invalid_op 0
		.amdhsa_exception_fp_denorm_src 0
		.amdhsa_exception_fp_ieee_div_zero 0
		.amdhsa_exception_fp_ieee_overflow 0
		.amdhsa_exception_fp_ieee_underflow 0
		.amdhsa_exception_fp_ieee_inexact 0
		.amdhsa_exception_int_div_zero 0
	.end_amdhsa_kernel
	.section	.text._ZN7rocprim17ROCPRIM_400000_NS6detail17trampoline_kernelINS0_14default_configENS1_27scan_by_key_config_selectorIssEEZZNS1_16scan_by_key_implILNS1_25lookback_scan_determinismE0ELb0ES3_N6thrust23THRUST_200600_302600_NS6detail15normal_iteratorINS9_10device_ptrIsEEEESE_SE_sNS9_10multipliesIsEENS9_8equal_toIsEEsEE10hipError_tPvRmT2_T3_T4_T5_mT6_T7_P12ihipStream_tbENKUlT_T0_E_clISt17integral_constantIbLb1EESY_IbLb0EEEEDaSU_SV_EUlSU_E_NS1_11comp_targetILNS1_3genE8ELNS1_11target_archE1030ELNS1_3gpuE2ELNS1_3repE0EEENS1_30default_config_static_selectorELNS0_4arch9wavefront6targetE0EEEvT1_,"axG",@progbits,_ZN7rocprim17ROCPRIM_400000_NS6detail17trampoline_kernelINS0_14default_configENS1_27scan_by_key_config_selectorIssEEZZNS1_16scan_by_key_implILNS1_25lookback_scan_determinismE0ELb0ES3_N6thrust23THRUST_200600_302600_NS6detail15normal_iteratorINS9_10device_ptrIsEEEESE_SE_sNS9_10multipliesIsEENS9_8equal_toIsEEsEE10hipError_tPvRmT2_T3_T4_T5_mT6_T7_P12ihipStream_tbENKUlT_T0_E_clISt17integral_constantIbLb1EESY_IbLb0EEEEDaSU_SV_EUlSU_E_NS1_11comp_targetILNS1_3genE8ELNS1_11target_archE1030ELNS1_3gpuE2ELNS1_3repE0EEENS1_30default_config_static_selectorELNS0_4arch9wavefront6targetE0EEEvT1_,comdat
.Lfunc_end307:
	.size	_ZN7rocprim17ROCPRIM_400000_NS6detail17trampoline_kernelINS0_14default_configENS1_27scan_by_key_config_selectorIssEEZZNS1_16scan_by_key_implILNS1_25lookback_scan_determinismE0ELb0ES3_N6thrust23THRUST_200600_302600_NS6detail15normal_iteratorINS9_10device_ptrIsEEEESE_SE_sNS9_10multipliesIsEENS9_8equal_toIsEEsEE10hipError_tPvRmT2_T3_T4_T5_mT6_T7_P12ihipStream_tbENKUlT_T0_E_clISt17integral_constantIbLb1EESY_IbLb0EEEEDaSU_SV_EUlSU_E_NS1_11comp_targetILNS1_3genE8ELNS1_11target_archE1030ELNS1_3gpuE2ELNS1_3repE0EEENS1_30default_config_static_selectorELNS0_4arch9wavefront6targetE0EEEvT1_, .Lfunc_end307-_ZN7rocprim17ROCPRIM_400000_NS6detail17trampoline_kernelINS0_14default_configENS1_27scan_by_key_config_selectorIssEEZZNS1_16scan_by_key_implILNS1_25lookback_scan_determinismE0ELb0ES3_N6thrust23THRUST_200600_302600_NS6detail15normal_iteratorINS9_10device_ptrIsEEEESE_SE_sNS9_10multipliesIsEENS9_8equal_toIsEEsEE10hipError_tPvRmT2_T3_T4_T5_mT6_T7_P12ihipStream_tbENKUlT_T0_E_clISt17integral_constantIbLb1EESY_IbLb0EEEEDaSU_SV_EUlSU_E_NS1_11comp_targetILNS1_3genE8ELNS1_11target_archE1030ELNS1_3gpuE2ELNS1_3repE0EEENS1_30default_config_static_selectorELNS0_4arch9wavefront6targetE0EEEvT1_
                                        ; -- End function
	.set _ZN7rocprim17ROCPRIM_400000_NS6detail17trampoline_kernelINS0_14default_configENS1_27scan_by_key_config_selectorIssEEZZNS1_16scan_by_key_implILNS1_25lookback_scan_determinismE0ELb0ES3_N6thrust23THRUST_200600_302600_NS6detail15normal_iteratorINS9_10device_ptrIsEEEESE_SE_sNS9_10multipliesIsEENS9_8equal_toIsEEsEE10hipError_tPvRmT2_T3_T4_T5_mT6_T7_P12ihipStream_tbENKUlT_T0_E_clISt17integral_constantIbLb1EESY_IbLb0EEEEDaSU_SV_EUlSU_E_NS1_11comp_targetILNS1_3genE8ELNS1_11target_archE1030ELNS1_3gpuE2ELNS1_3repE0EEENS1_30default_config_static_selectorELNS0_4arch9wavefront6targetE0EEEvT1_.num_vgpr, 0
	.set _ZN7rocprim17ROCPRIM_400000_NS6detail17trampoline_kernelINS0_14default_configENS1_27scan_by_key_config_selectorIssEEZZNS1_16scan_by_key_implILNS1_25lookback_scan_determinismE0ELb0ES3_N6thrust23THRUST_200600_302600_NS6detail15normal_iteratorINS9_10device_ptrIsEEEESE_SE_sNS9_10multipliesIsEENS9_8equal_toIsEEsEE10hipError_tPvRmT2_T3_T4_T5_mT6_T7_P12ihipStream_tbENKUlT_T0_E_clISt17integral_constantIbLb1EESY_IbLb0EEEEDaSU_SV_EUlSU_E_NS1_11comp_targetILNS1_3genE8ELNS1_11target_archE1030ELNS1_3gpuE2ELNS1_3repE0EEENS1_30default_config_static_selectorELNS0_4arch9wavefront6targetE0EEEvT1_.num_agpr, 0
	.set _ZN7rocprim17ROCPRIM_400000_NS6detail17trampoline_kernelINS0_14default_configENS1_27scan_by_key_config_selectorIssEEZZNS1_16scan_by_key_implILNS1_25lookback_scan_determinismE0ELb0ES3_N6thrust23THRUST_200600_302600_NS6detail15normal_iteratorINS9_10device_ptrIsEEEESE_SE_sNS9_10multipliesIsEENS9_8equal_toIsEEsEE10hipError_tPvRmT2_T3_T4_T5_mT6_T7_P12ihipStream_tbENKUlT_T0_E_clISt17integral_constantIbLb1EESY_IbLb0EEEEDaSU_SV_EUlSU_E_NS1_11comp_targetILNS1_3genE8ELNS1_11target_archE1030ELNS1_3gpuE2ELNS1_3repE0EEENS1_30default_config_static_selectorELNS0_4arch9wavefront6targetE0EEEvT1_.numbered_sgpr, 0
	.set _ZN7rocprim17ROCPRIM_400000_NS6detail17trampoline_kernelINS0_14default_configENS1_27scan_by_key_config_selectorIssEEZZNS1_16scan_by_key_implILNS1_25lookback_scan_determinismE0ELb0ES3_N6thrust23THRUST_200600_302600_NS6detail15normal_iteratorINS9_10device_ptrIsEEEESE_SE_sNS9_10multipliesIsEENS9_8equal_toIsEEsEE10hipError_tPvRmT2_T3_T4_T5_mT6_T7_P12ihipStream_tbENKUlT_T0_E_clISt17integral_constantIbLb1EESY_IbLb0EEEEDaSU_SV_EUlSU_E_NS1_11comp_targetILNS1_3genE8ELNS1_11target_archE1030ELNS1_3gpuE2ELNS1_3repE0EEENS1_30default_config_static_selectorELNS0_4arch9wavefront6targetE0EEEvT1_.num_named_barrier, 0
	.set _ZN7rocprim17ROCPRIM_400000_NS6detail17trampoline_kernelINS0_14default_configENS1_27scan_by_key_config_selectorIssEEZZNS1_16scan_by_key_implILNS1_25lookback_scan_determinismE0ELb0ES3_N6thrust23THRUST_200600_302600_NS6detail15normal_iteratorINS9_10device_ptrIsEEEESE_SE_sNS9_10multipliesIsEENS9_8equal_toIsEEsEE10hipError_tPvRmT2_T3_T4_T5_mT6_T7_P12ihipStream_tbENKUlT_T0_E_clISt17integral_constantIbLb1EESY_IbLb0EEEEDaSU_SV_EUlSU_E_NS1_11comp_targetILNS1_3genE8ELNS1_11target_archE1030ELNS1_3gpuE2ELNS1_3repE0EEENS1_30default_config_static_selectorELNS0_4arch9wavefront6targetE0EEEvT1_.private_seg_size, 0
	.set _ZN7rocprim17ROCPRIM_400000_NS6detail17trampoline_kernelINS0_14default_configENS1_27scan_by_key_config_selectorIssEEZZNS1_16scan_by_key_implILNS1_25lookback_scan_determinismE0ELb0ES3_N6thrust23THRUST_200600_302600_NS6detail15normal_iteratorINS9_10device_ptrIsEEEESE_SE_sNS9_10multipliesIsEENS9_8equal_toIsEEsEE10hipError_tPvRmT2_T3_T4_T5_mT6_T7_P12ihipStream_tbENKUlT_T0_E_clISt17integral_constantIbLb1EESY_IbLb0EEEEDaSU_SV_EUlSU_E_NS1_11comp_targetILNS1_3genE8ELNS1_11target_archE1030ELNS1_3gpuE2ELNS1_3repE0EEENS1_30default_config_static_selectorELNS0_4arch9wavefront6targetE0EEEvT1_.uses_vcc, 0
	.set _ZN7rocprim17ROCPRIM_400000_NS6detail17trampoline_kernelINS0_14default_configENS1_27scan_by_key_config_selectorIssEEZZNS1_16scan_by_key_implILNS1_25lookback_scan_determinismE0ELb0ES3_N6thrust23THRUST_200600_302600_NS6detail15normal_iteratorINS9_10device_ptrIsEEEESE_SE_sNS9_10multipliesIsEENS9_8equal_toIsEEsEE10hipError_tPvRmT2_T3_T4_T5_mT6_T7_P12ihipStream_tbENKUlT_T0_E_clISt17integral_constantIbLb1EESY_IbLb0EEEEDaSU_SV_EUlSU_E_NS1_11comp_targetILNS1_3genE8ELNS1_11target_archE1030ELNS1_3gpuE2ELNS1_3repE0EEENS1_30default_config_static_selectorELNS0_4arch9wavefront6targetE0EEEvT1_.uses_flat_scratch, 0
	.set _ZN7rocprim17ROCPRIM_400000_NS6detail17trampoline_kernelINS0_14default_configENS1_27scan_by_key_config_selectorIssEEZZNS1_16scan_by_key_implILNS1_25lookback_scan_determinismE0ELb0ES3_N6thrust23THRUST_200600_302600_NS6detail15normal_iteratorINS9_10device_ptrIsEEEESE_SE_sNS9_10multipliesIsEENS9_8equal_toIsEEsEE10hipError_tPvRmT2_T3_T4_T5_mT6_T7_P12ihipStream_tbENKUlT_T0_E_clISt17integral_constantIbLb1EESY_IbLb0EEEEDaSU_SV_EUlSU_E_NS1_11comp_targetILNS1_3genE8ELNS1_11target_archE1030ELNS1_3gpuE2ELNS1_3repE0EEENS1_30default_config_static_selectorELNS0_4arch9wavefront6targetE0EEEvT1_.has_dyn_sized_stack, 0
	.set _ZN7rocprim17ROCPRIM_400000_NS6detail17trampoline_kernelINS0_14default_configENS1_27scan_by_key_config_selectorIssEEZZNS1_16scan_by_key_implILNS1_25lookback_scan_determinismE0ELb0ES3_N6thrust23THRUST_200600_302600_NS6detail15normal_iteratorINS9_10device_ptrIsEEEESE_SE_sNS9_10multipliesIsEENS9_8equal_toIsEEsEE10hipError_tPvRmT2_T3_T4_T5_mT6_T7_P12ihipStream_tbENKUlT_T0_E_clISt17integral_constantIbLb1EESY_IbLb0EEEEDaSU_SV_EUlSU_E_NS1_11comp_targetILNS1_3genE8ELNS1_11target_archE1030ELNS1_3gpuE2ELNS1_3repE0EEENS1_30default_config_static_selectorELNS0_4arch9wavefront6targetE0EEEvT1_.has_recursion, 0
	.set _ZN7rocprim17ROCPRIM_400000_NS6detail17trampoline_kernelINS0_14default_configENS1_27scan_by_key_config_selectorIssEEZZNS1_16scan_by_key_implILNS1_25lookback_scan_determinismE0ELb0ES3_N6thrust23THRUST_200600_302600_NS6detail15normal_iteratorINS9_10device_ptrIsEEEESE_SE_sNS9_10multipliesIsEENS9_8equal_toIsEEsEE10hipError_tPvRmT2_T3_T4_T5_mT6_T7_P12ihipStream_tbENKUlT_T0_E_clISt17integral_constantIbLb1EESY_IbLb0EEEEDaSU_SV_EUlSU_E_NS1_11comp_targetILNS1_3genE8ELNS1_11target_archE1030ELNS1_3gpuE2ELNS1_3repE0EEENS1_30default_config_static_selectorELNS0_4arch9wavefront6targetE0EEEvT1_.has_indirect_call, 0
	.section	.AMDGPU.csdata,"",@progbits
; Kernel info:
; codeLenInByte = 4
; TotalNumSgprs: 0
; NumVgprs: 0
; ScratchSize: 0
; MemoryBound: 0
; FloatMode: 240
; IeeeMode: 1
; LDSByteSize: 0 bytes/workgroup (compile time only)
; SGPRBlocks: 0
; VGPRBlocks: 0
; NumSGPRsForWavesPerEU: 1
; NumVGPRsForWavesPerEU: 1
; Occupancy: 16
; WaveLimiterHint : 0
; COMPUTE_PGM_RSRC2:SCRATCH_EN: 0
; COMPUTE_PGM_RSRC2:USER_SGPR: 6
; COMPUTE_PGM_RSRC2:TRAP_HANDLER: 0
; COMPUTE_PGM_RSRC2:TGID_X_EN: 1
; COMPUTE_PGM_RSRC2:TGID_Y_EN: 0
; COMPUTE_PGM_RSRC2:TGID_Z_EN: 0
; COMPUTE_PGM_RSRC2:TIDIG_COMP_CNT: 0
	.section	.text._ZN7rocprim17ROCPRIM_400000_NS6detail17trampoline_kernelINS0_14default_configENS1_27scan_by_key_config_selectorIssEEZZNS1_16scan_by_key_implILNS1_25lookback_scan_determinismE0ELb0ES3_N6thrust23THRUST_200600_302600_NS6detail15normal_iteratorINS9_10device_ptrIsEEEESE_SE_sNS9_10multipliesIsEENS9_8equal_toIsEEsEE10hipError_tPvRmT2_T3_T4_T5_mT6_T7_P12ihipStream_tbENKUlT_T0_E_clISt17integral_constantIbLb0EESY_IbLb1EEEEDaSU_SV_EUlSU_E_NS1_11comp_targetILNS1_3genE0ELNS1_11target_archE4294967295ELNS1_3gpuE0ELNS1_3repE0EEENS1_30default_config_static_selectorELNS0_4arch9wavefront6targetE0EEEvT1_,"axG",@progbits,_ZN7rocprim17ROCPRIM_400000_NS6detail17trampoline_kernelINS0_14default_configENS1_27scan_by_key_config_selectorIssEEZZNS1_16scan_by_key_implILNS1_25lookback_scan_determinismE0ELb0ES3_N6thrust23THRUST_200600_302600_NS6detail15normal_iteratorINS9_10device_ptrIsEEEESE_SE_sNS9_10multipliesIsEENS9_8equal_toIsEEsEE10hipError_tPvRmT2_T3_T4_T5_mT6_T7_P12ihipStream_tbENKUlT_T0_E_clISt17integral_constantIbLb0EESY_IbLb1EEEEDaSU_SV_EUlSU_E_NS1_11comp_targetILNS1_3genE0ELNS1_11target_archE4294967295ELNS1_3gpuE0ELNS1_3repE0EEENS1_30default_config_static_selectorELNS0_4arch9wavefront6targetE0EEEvT1_,comdat
	.protected	_ZN7rocprim17ROCPRIM_400000_NS6detail17trampoline_kernelINS0_14default_configENS1_27scan_by_key_config_selectorIssEEZZNS1_16scan_by_key_implILNS1_25lookback_scan_determinismE0ELb0ES3_N6thrust23THRUST_200600_302600_NS6detail15normal_iteratorINS9_10device_ptrIsEEEESE_SE_sNS9_10multipliesIsEENS9_8equal_toIsEEsEE10hipError_tPvRmT2_T3_T4_T5_mT6_T7_P12ihipStream_tbENKUlT_T0_E_clISt17integral_constantIbLb0EESY_IbLb1EEEEDaSU_SV_EUlSU_E_NS1_11comp_targetILNS1_3genE0ELNS1_11target_archE4294967295ELNS1_3gpuE0ELNS1_3repE0EEENS1_30default_config_static_selectorELNS0_4arch9wavefront6targetE0EEEvT1_ ; -- Begin function _ZN7rocprim17ROCPRIM_400000_NS6detail17trampoline_kernelINS0_14default_configENS1_27scan_by_key_config_selectorIssEEZZNS1_16scan_by_key_implILNS1_25lookback_scan_determinismE0ELb0ES3_N6thrust23THRUST_200600_302600_NS6detail15normal_iteratorINS9_10device_ptrIsEEEESE_SE_sNS9_10multipliesIsEENS9_8equal_toIsEEsEE10hipError_tPvRmT2_T3_T4_T5_mT6_T7_P12ihipStream_tbENKUlT_T0_E_clISt17integral_constantIbLb0EESY_IbLb1EEEEDaSU_SV_EUlSU_E_NS1_11comp_targetILNS1_3genE0ELNS1_11target_archE4294967295ELNS1_3gpuE0ELNS1_3repE0EEENS1_30default_config_static_selectorELNS0_4arch9wavefront6targetE0EEEvT1_
	.globl	_ZN7rocprim17ROCPRIM_400000_NS6detail17trampoline_kernelINS0_14default_configENS1_27scan_by_key_config_selectorIssEEZZNS1_16scan_by_key_implILNS1_25lookback_scan_determinismE0ELb0ES3_N6thrust23THRUST_200600_302600_NS6detail15normal_iteratorINS9_10device_ptrIsEEEESE_SE_sNS9_10multipliesIsEENS9_8equal_toIsEEsEE10hipError_tPvRmT2_T3_T4_T5_mT6_T7_P12ihipStream_tbENKUlT_T0_E_clISt17integral_constantIbLb0EESY_IbLb1EEEEDaSU_SV_EUlSU_E_NS1_11comp_targetILNS1_3genE0ELNS1_11target_archE4294967295ELNS1_3gpuE0ELNS1_3repE0EEENS1_30default_config_static_selectorELNS0_4arch9wavefront6targetE0EEEvT1_
	.p2align	8
	.type	_ZN7rocprim17ROCPRIM_400000_NS6detail17trampoline_kernelINS0_14default_configENS1_27scan_by_key_config_selectorIssEEZZNS1_16scan_by_key_implILNS1_25lookback_scan_determinismE0ELb0ES3_N6thrust23THRUST_200600_302600_NS6detail15normal_iteratorINS9_10device_ptrIsEEEESE_SE_sNS9_10multipliesIsEENS9_8equal_toIsEEsEE10hipError_tPvRmT2_T3_T4_T5_mT6_T7_P12ihipStream_tbENKUlT_T0_E_clISt17integral_constantIbLb0EESY_IbLb1EEEEDaSU_SV_EUlSU_E_NS1_11comp_targetILNS1_3genE0ELNS1_11target_archE4294967295ELNS1_3gpuE0ELNS1_3repE0EEENS1_30default_config_static_selectorELNS0_4arch9wavefront6targetE0EEEvT1_,@function
_ZN7rocprim17ROCPRIM_400000_NS6detail17trampoline_kernelINS0_14default_configENS1_27scan_by_key_config_selectorIssEEZZNS1_16scan_by_key_implILNS1_25lookback_scan_determinismE0ELb0ES3_N6thrust23THRUST_200600_302600_NS6detail15normal_iteratorINS9_10device_ptrIsEEEESE_SE_sNS9_10multipliesIsEENS9_8equal_toIsEEsEE10hipError_tPvRmT2_T3_T4_T5_mT6_T7_P12ihipStream_tbENKUlT_T0_E_clISt17integral_constantIbLb0EESY_IbLb1EEEEDaSU_SV_EUlSU_E_NS1_11comp_targetILNS1_3genE0ELNS1_11target_archE4294967295ELNS1_3gpuE0ELNS1_3repE0EEENS1_30default_config_static_selectorELNS0_4arch9wavefront6targetE0EEEvT1_: ; @_ZN7rocprim17ROCPRIM_400000_NS6detail17trampoline_kernelINS0_14default_configENS1_27scan_by_key_config_selectorIssEEZZNS1_16scan_by_key_implILNS1_25lookback_scan_determinismE0ELb0ES3_N6thrust23THRUST_200600_302600_NS6detail15normal_iteratorINS9_10device_ptrIsEEEESE_SE_sNS9_10multipliesIsEENS9_8equal_toIsEEsEE10hipError_tPvRmT2_T3_T4_T5_mT6_T7_P12ihipStream_tbENKUlT_T0_E_clISt17integral_constantIbLb0EESY_IbLb1EEEEDaSU_SV_EUlSU_E_NS1_11comp_targetILNS1_3genE0ELNS1_11target_archE4294967295ELNS1_3gpuE0ELNS1_3repE0EEENS1_30default_config_static_selectorELNS0_4arch9wavefront6targetE0EEEvT1_
; %bb.0:
	.section	.rodata,"a",@progbits
	.p2align	6, 0x0
	.amdhsa_kernel _ZN7rocprim17ROCPRIM_400000_NS6detail17trampoline_kernelINS0_14default_configENS1_27scan_by_key_config_selectorIssEEZZNS1_16scan_by_key_implILNS1_25lookback_scan_determinismE0ELb0ES3_N6thrust23THRUST_200600_302600_NS6detail15normal_iteratorINS9_10device_ptrIsEEEESE_SE_sNS9_10multipliesIsEENS9_8equal_toIsEEsEE10hipError_tPvRmT2_T3_T4_T5_mT6_T7_P12ihipStream_tbENKUlT_T0_E_clISt17integral_constantIbLb0EESY_IbLb1EEEEDaSU_SV_EUlSU_E_NS1_11comp_targetILNS1_3genE0ELNS1_11target_archE4294967295ELNS1_3gpuE0ELNS1_3repE0EEENS1_30default_config_static_selectorELNS0_4arch9wavefront6targetE0EEEvT1_
		.amdhsa_group_segment_fixed_size 0
		.amdhsa_private_segment_fixed_size 0
		.amdhsa_kernarg_size 112
		.amdhsa_user_sgpr_count 6
		.amdhsa_user_sgpr_private_segment_buffer 1
		.amdhsa_user_sgpr_dispatch_ptr 0
		.amdhsa_user_sgpr_queue_ptr 0
		.amdhsa_user_sgpr_kernarg_segment_ptr 1
		.amdhsa_user_sgpr_dispatch_id 0
		.amdhsa_user_sgpr_flat_scratch_init 0
		.amdhsa_user_sgpr_private_segment_size 0
		.amdhsa_wavefront_size32 1
		.amdhsa_uses_dynamic_stack 0
		.amdhsa_system_sgpr_private_segment_wavefront_offset 0
		.amdhsa_system_sgpr_workgroup_id_x 1
		.amdhsa_system_sgpr_workgroup_id_y 0
		.amdhsa_system_sgpr_workgroup_id_z 0
		.amdhsa_system_sgpr_workgroup_info 0
		.amdhsa_system_vgpr_workitem_id 0
		.amdhsa_next_free_vgpr 1
		.amdhsa_next_free_sgpr 1
		.amdhsa_reserve_vcc 0
		.amdhsa_reserve_flat_scratch 0
		.amdhsa_float_round_mode_32 0
		.amdhsa_float_round_mode_16_64 0
		.amdhsa_float_denorm_mode_32 3
		.amdhsa_float_denorm_mode_16_64 3
		.amdhsa_dx10_clamp 1
		.amdhsa_ieee_mode 1
		.amdhsa_fp16_overflow 0
		.amdhsa_workgroup_processor_mode 1
		.amdhsa_memory_ordered 1
		.amdhsa_forward_progress 1
		.amdhsa_shared_vgpr_count 0
		.amdhsa_exception_fp_ieee_invalid_op 0
		.amdhsa_exception_fp_denorm_src 0
		.amdhsa_exception_fp_ieee_div_zero 0
		.amdhsa_exception_fp_ieee_overflow 0
		.amdhsa_exception_fp_ieee_underflow 0
		.amdhsa_exception_fp_ieee_inexact 0
		.amdhsa_exception_int_div_zero 0
	.end_amdhsa_kernel
	.section	.text._ZN7rocprim17ROCPRIM_400000_NS6detail17trampoline_kernelINS0_14default_configENS1_27scan_by_key_config_selectorIssEEZZNS1_16scan_by_key_implILNS1_25lookback_scan_determinismE0ELb0ES3_N6thrust23THRUST_200600_302600_NS6detail15normal_iteratorINS9_10device_ptrIsEEEESE_SE_sNS9_10multipliesIsEENS9_8equal_toIsEEsEE10hipError_tPvRmT2_T3_T4_T5_mT6_T7_P12ihipStream_tbENKUlT_T0_E_clISt17integral_constantIbLb0EESY_IbLb1EEEEDaSU_SV_EUlSU_E_NS1_11comp_targetILNS1_3genE0ELNS1_11target_archE4294967295ELNS1_3gpuE0ELNS1_3repE0EEENS1_30default_config_static_selectorELNS0_4arch9wavefront6targetE0EEEvT1_,"axG",@progbits,_ZN7rocprim17ROCPRIM_400000_NS6detail17trampoline_kernelINS0_14default_configENS1_27scan_by_key_config_selectorIssEEZZNS1_16scan_by_key_implILNS1_25lookback_scan_determinismE0ELb0ES3_N6thrust23THRUST_200600_302600_NS6detail15normal_iteratorINS9_10device_ptrIsEEEESE_SE_sNS9_10multipliesIsEENS9_8equal_toIsEEsEE10hipError_tPvRmT2_T3_T4_T5_mT6_T7_P12ihipStream_tbENKUlT_T0_E_clISt17integral_constantIbLb0EESY_IbLb1EEEEDaSU_SV_EUlSU_E_NS1_11comp_targetILNS1_3genE0ELNS1_11target_archE4294967295ELNS1_3gpuE0ELNS1_3repE0EEENS1_30default_config_static_selectorELNS0_4arch9wavefront6targetE0EEEvT1_,comdat
.Lfunc_end308:
	.size	_ZN7rocprim17ROCPRIM_400000_NS6detail17trampoline_kernelINS0_14default_configENS1_27scan_by_key_config_selectorIssEEZZNS1_16scan_by_key_implILNS1_25lookback_scan_determinismE0ELb0ES3_N6thrust23THRUST_200600_302600_NS6detail15normal_iteratorINS9_10device_ptrIsEEEESE_SE_sNS9_10multipliesIsEENS9_8equal_toIsEEsEE10hipError_tPvRmT2_T3_T4_T5_mT6_T7_P12ihipStream_tbENKUlT_T0_E_clISt17integral_constantIbLb0EESY_IbLb1EEEEDaSU_SV_EUlSU_E_NS1_11comp_targetILNS1_3genE0ELNS1_11target_archE4294967295ELNS1_3gpuE0ELNS1_3repE0EEENS1_30default_config_static_selectorELNS0_4arch9wavefront6targetE0EEEvT1_, .Lfunc_end308-_ZN7rocprim17ROCPRIM_400000_NS6detail17trampoline_kernelINS0_14default_configENS1_27scan_by_key_config_selectorIssEEZZNS1_16scan_by_key_implILNS1_25lookback_scan_determinismE0ELb0ES3_N6thrust23THRUST_200600_302600_NS6detail15normal_iteratorINS9_10device_ptrIsEEEESE_SE_sNS9_10multipliesIsEENS9_8equal_toIsEEsEE10hipError_tPvRmT2_T3_T4_T5_mT6_T7_P12ihipStream_tbENKUlT_T0_E_clISt17integral_constantIbLb0EESY_IbLb1EEEEDaSU_SV_EUlSU_E_NS1_11comp_targetILNS1_3genE0ELNS1_11target_archE4294967295ELNS1_3gpuE0ELNS1_3repE0EEENS1_30default_config_static_selectorELNS0_4arch9wavefront6targetE0EEEvT1_
                                        ; -- End function
	.set _ZN7rocprim17ROCPRIM_400000_NS6detail17trampoline_kernelINS0_14default_configENS1_27scan_by_key_config_selectorIssEEZZNS1_16scan_by_key_implILNS1_25lookback_scan_determinismE0ELb0ES3_N6thrust23THRUST_200600_302600_NS6detail15normal_iteratorINS9_10device_ptrIsEEEESE_SE_sNS9_10multipliesIsEENS9_8equal_toIsEEsEE10hipError_tPvRmT2_T3_T4_T5_mT6_T7_P12ihipStream_tbENKUlT_T0_E_clISt17integral_constantIbLb0EESY_IbLb1EEEEDaSU_SV_EUlSU_E_NS1_11comp_targetILNS1_3genE0ELNS1_11target_archE4294967295ELNS1_3gpuE0ELNS1_3repE0EEENS1_30default_config_static_selectorELNS0_4arch9wavefront6targetE0EEEvT1_.num_vgpr, 0
	.set _ZN7rocprim17ROCPRIM_400000_NS6detail17trampoline_kernelINS0_14default_configENS1_27scan_by_key_config_selectorIssEEZZNS1_16scan_by_key_implILNS1_25lookback_scan_determinismE0ELb0ES3_N6thrust23THRUST_200600_302600_NS6detail15normal_iteratorINS9_10device_ptrIsEEEESE_SE_sNS9_10multipliesIsEENS9_8equal_toIsEEsEE10hipError_tPvRmT2_T3_T4_T5_mT6_T7_P12ihipStream_tbENKUlT_T0_E_clISt17integral_constantIbLb0EESY_IbLb1EEEEDaSU_SV_EUlSU_E_NS1_11comp_targetILNS1_3genE0ELNS1_11target_archE4294967295ELNS1_3gpuE0ELNS1_3repE0EEENS1_30default_config_static_selectorELNS0_4arch9wavefront6targetE0EEEvT1_.num_agpr, 0
	.set _ZN7rocprim17ROCPRIM_400000_NS6detail17trampoline_kernelINS0_14default_configENS1_27scan_by_key_config_selectorIssEEZZNS1_16scan_by_key_implILNS1_25lookback_scan_determinismE0ELb0ES3_N6thrust23THRUST_200600_302600_NS6detail15normal_iteratorINS9_10device_ptrIsEEEESE_SE_sNS9_10multipliesIsEENS9_8equal_toIsEEsEE10hipError_tPvRmT2_T3_T4_T5_mT6_T7_P12ihipStream_tbENKUlT_T0_E_clISt17integral_constantIbLb0EESY_IbLb1EEEEDaSU_SV_EUlSU_E_NS1_11comp_targetILNS1_3genE0ELNS1_11target_archE4294967295ELNS1_3gpuE0ELNS1_3repE0EEENS1_30default_config_static_selectorELNS0_4arch9wavefront6targetE0EEEvT1_.numbered_sgpr, 0
	.set _ZN7rocprim17ROCPRIM_400000_NS6detail17trampoline_kernelINS0_14default_configENS1_27scan_by_key_config_selectorIssEEZZNS1_16scan_by_key_implILNS1_25lookback_scan_determinismE0ELb0ES3_N6thrust23THRUST_200600_302600_NS6detail15normal_iteratorINS9_10device_ptrIsEEEESE_SE_sNS9_10multipliesIsEENS9_8equal_toIsEEsEE10hipError_tPvRmT2_T3_T4_T5_mT6_T7_P12ihipStream_tbENKUlT_T0_E_clISt17integral_constantIbLb0EESY_IbLb1EEEEDaSU_SV_EUlSU_E_NS1_11comp_targetILNS1_3genE0ELNS1_11target_archE4294967295ELNS1_3gpuE0ELNS1_3repE0EEENS1_30default_config_static_selectorELNS0_4arch9wavefront6targetE0EEEvT1_.num_named_barrier, 0
	.set _ZN7rocprim17ROCPRIM_400000_NS6detail17trampoline_kernelINS0_14default_configENS1_27scan_by_key_config_selectorIssEEZZNS1_16scan_by_key_implILNS1_25lookback_scan_determinismE0ELb0ES3_N6thrust23THRUST_200600_302600_NS6detail15normal_iteratorINS9_10device_ptrIsEEEESE_SE_sNS9_10multipliesIsEENS9_8equal_toIsEEsEE10hipError_tPvRmT2_T3_T4_T5_mT6_T7_P12ihipStream_tbENKUlT_T0_E_clISt17integral_constantIbLb0EESY_IbLb1EEEEDaSU_SV_EUlSU_E_NS1_11comp_targetILNS1_3genE0ELNS1_11target_archE4294967295ELNS1_3gpuE0ELNS1_3repE0EEENS1_30default_config_static_selectorELNS0_4arch9wavefront6targetE0EEEvT1_.private_seg_size, 0
	.set _ZN7rocprim17ROCPRIM_400000_NS6detail17trampoline_kernelINS0_14default_configENS1_27scan_by_key_config_selectorIssEEZZNS1_16scan_by_key_implILNS1_25lookback_scan_determinismE0ELb0ES3_N6thrust23THRUST_200600_302600_NS6detail15normal_iteratorINS9_10device_ptrIsEEEESE_SE_sNS9_10multipliesIsEENS9_8equal_toIsEEsEE10hipError_tPvRmT2_T3_T4_T5_mT6_T7_P12ihipStream_tbENKUlT_T0_E_clISt17integral_constantIbLb0EESY_IbLb1EEEEDaSU_SV_EUlSU_E_NS1_11comp_targetILNS1_3genE0ELNS1_11target_archE4294967295ELNS1_3gpuE0ELNS1_3repE0EEENS1_30default_config_static_selectorELNS0_4arch9wavefront6targetE0EEEvT1_.uses_vcc, 0
	.set _ZN7rocprim17ROCPRIM_400000_NS6detail17trampoline_kernelINS0_14default_configENS1_27scan_by_key_config_selectorIssEEZZNS1_16scan_by_key_implILNS1_25lookback_scan_determinismE0ELb0ES3_N6thrust23THRUST_200600_302600_NS6detail15normal_iteratorINS9_10device_ptrIsEEEESE_SE_sNS9_10multipliesIsEENS9_8equal_toIsEEsEE10hipError_tPvRmT2_T3_T4_T5_mT6_T7_P12ihipStream_tbENKUlT_T0_E_clISt17integral_constantIbLb0EESY_IbLb1EEEEDaSU_SV_EUlSU_E_NS1_11comp_targetILNS1_3genE0ELNS1_11target_archE4294967295ELNS1_3gpuE0ELNS1_3repE0EEENS1_30default_config_static_selectorELNS0_4arch9wavefront6targetE0EEEvT1_.uses_flat_scratch, 0
	.set _ZN7rocprim17ROCPRIM_400000_NS6detail17trampoline_kernelINS0_14default_configENS1_27scan_by_key_config_selectorIssEEZZNS1_16scan_by_key_implILNS1_25lookback_scan_determinismE0ELb0ES3_N6thrust23THRUST_200600_302600_NS6detail15normal_iteratorINS9_10device_ptrIsEEEESE_SE_sNS9_10multipliesIsEENS9_8equal_toIsEEsEE10hipError_tPvRmT2_T3_T4_T5_mT6_T7_P12ihipStream_tbENKUlT_T0_E_clISt17integral_constantIbLb0EESY_IbLb1EEEEDaSU_SV_EUlSU_E_NS1_11comp_targetILNS1_3genE0ELNS1_11target_archE4294967295ELNS1_3gpuE0ELNS1_3repE0EEENS1_30default_config_static_selectorELNS0_4arch9wavefront6targetE0EEEvT1_.has_dyn_sized_stack, 0
	.set _ZN7rocprim17ROCPRIM_400000_NS6detail17trampoline_kernelINS0_14default_configENS1_27scan_by_key_config_selectorIssEEZZNS1_16scan_by_key_implILNS1_25lookback_scan_determinismE0ELb0ES3_N6thrust23THRUST_200600_302600_NS6detail15normal_iteratorINS9_10device_ptrIsEEEESE_SE_sNS9_10multipliesIsEENS9_8equal_toIsEEsEE10hipError_tPvRmT2_T3_T4_T5_mT6_T7_P12ihipStream_tbENKUlT_T0_E_clISt17integral_constantIbLb0EESY_IbLb1EEEEDaSU_SV_EUlSU_E_NS1_11comp_targetILNS1_3genE0ELNS1_11target_archE4294967295ELNS1_3gpuE0ELNS1_3repE0EEENS1_30default_config_static_selectorELNS0_4arch9wavefront6targetE0EEEvT1_.has_recursion, 0
	.set _ZN7rocprim17ROCPRIM_400000_NS6detail17trampoline_kernelINS0_14default_configENS1_27scan_by_key_config_selectorIssEEZZNS1_16scan_by_key_implILNS1_25lookback_scan_determinismE0ELb0ES3_N6thrust23THRUST_200600_302600_NS6detail15normal_iteratorINS9_10device_ptrIsEEEESE_SE_sNS9_10multipliesIsEENS9_8equal_toIsEEsEE10hipError_tPvRmT2_T3_T4_T5_mT6_T7_P12ihipStream_tbENKUlT_T0_E_clISt17integral_constantIbLb0EESY_IbLb1EEEEDaSU_SV_EUlSU_E_NS1_11comp_targetILNS1_3genE0ELNS1_11target_archE4294967295ELNS1_3gpuE0ELNS1_3repE0EEENS1_30default_config_static_selectorELNS0_4arch9wavefront6targetE0EEEvT1_.has_indirect_call, 0
	.section	.AMDGPU.csdata,"",@progbits
; Kernel info:
; codeLenInByte = 0
; TotalNumSgprs: 0
; NumVgprs: 0
; ScratchSize: 0
; MemoryBound: 0
; FloatMode: 240
; IeeeMode: 1
; LDSByteSize: 0 bytes/workgroup (compile time only)
; SGPRBlocks: 0
; VGPRBlocks: 0
; NumSGPRsForWavesPerEU: 1
; NumVGPRsForWavesPerEU: 1
; Occupancy: 16
; WaveLimiterHint : 0
; COMPUTE_PGM_RSRC2:SCRATCH_EN: 0
; COMPUTE_PGM_RSRC2:USER_SGPR: 6
; COMPUTE_PGM_RSRC2:TRAP_HANDLER: 0
; COMPUTE_PGM_RSRC2:TGID_X_EN: 1
; COMPUTE_PGM_RSRC2:TGID_Y_EN: 0
; COMPUTE_PGM_RSRC2:TGID_Z_EN: 0
; COMPUTE_PGM_RSRC2:TIDIG_COMP_CNT: 0
	.section	.text._ZN7rocprim17ROCPRIM_400000_NS6detail17trampoline_kernelINS0_14default_configENS1_27scan_by_key_config_selectorIssEEZZNS1_16scan_by_key_implILNS1_25lookback_scan_determinismE0ELb0ES3_N6thrust23THRUST_200600_302600_NS6detail15normal_iteratorINS9_10device_ptrIsEEEESE_SE_sNS9_10multipliesIsEENS9_8equal_toIsEEsEE10hipError_tPvRmT2_T3_T4_T5_mT6_T7_P12ihipStream_tbENKUlT_T0_E_clISt17integral_constantIbLb0EESY_IbLb1EEEEDaSU_SV_EUlSU_E_NS1_11comp_targetILNS1_3genE10ELNS1_11target_archE1201ELNS1_3gpuE5ELNS1_3repE0EEENS1_30default_config_static_selectorELNS0_4arch9wavefront6targetE0EEEvT1_,"axG",@progbits,_ZN7rocprim17ROCPRIM_400000_NS6detail17trampoline_kernelINS0_14default_configENS1_27scan_by_key_config_selectorIssEEZZNS1_16scan_by_key_implILNS1_25lookback_scan_determinismE0ELb0ES3_N6thrust23THRUST_200600_302600_NS6detail15normal_iteratorINS9_10device_ptrIsEEEESE_SE_sNS9_10multipliesIsEENS9_8equal_toIsEEsEE10hipError_tPvRmT2_T3_T4_T5_mT6_T7_P12ihipStream_tbENKUlT_T0_E_clISt17integral_constantIbLb0EESY_IbLb1EEEEDaSU_SV_EUlSU_E_NS1_11comp_targetILNS1_3genE10ELNS1_11target_archE1201ELNS1_3gpuE5ELNS1_3repE0EEENS1_30default_config_static_selectorELNS0_4arch9wavefront6targetE0EEEvT1_,comdat
	.protected	_ZN7rocprim17ROCPRIM_400000_NS6detail17trampoline_kernelINS0_14default_configENS1_27scan_by_key_config_selectorIssEEZZNS1_16scan_by_key_implILNS1_25lookback_scan_determinismE0ELb0ES3_N6thrust23THRUST_200600_302600_NS6detail15normal_iteratorINS9_10device_ptrIsEEEESE_SE_sNS9_10multipliesIsEENS9_8equal_toIsEEsEE10hipError_tPvRmT2_T3_T4_T5_mT6_T7_P12ihipStream_tbENKUlT_T0_E_clISt17integral_constantIbLb0EESY_IbLb1EEEEDaSU_SV_EUlSU_E_NS1_11comp_targetILNS1_3genE10ELNS1_11target_archE1201ELNS1_3gpuE5ELNS1_3repE0EEENS1_30default_config_static_selectorELNS0_4arch9wavefront6targetE0EEEvT1_ ; -- Begin function _ZN7rocprim17ROCPRIM_400000_NS6detail17trampoline_kernelINS0_14default_configENS1_27scan_by_key_config_selectorIssEEZZNS1_16scan_by_key_implILNS1_25lookback_scan_determinismE0ELb0ES3_N6thrust23THRUST_200600_302600_NS6detail15normal_iteratorINS9_10device_ptrIsEEEESE_SE_sNS9_10multipliesIsEENS9_8equal_toIsEEsEE10hipError_tPvRmT2_T3_T4_T5_mT6_T7_P12ihipStream_tbENKUlT_T0_E_clISt17integral_constantIbLb0EESY_IbLb1EEEEDaSU_SV_EUlSU_E_NS1_11comp_targetILNS1_3genE10ELNS1_11target_archE1201ELNS1_3gpuE5ELNS1_3repE0EEENS1_30default_config_static_selectorELNS0_4arch9wavefront6targetE0EEEvT1_
	.globl	_ZN7rocprim17ROCPRIM_400000_NS6detail17trampoline_kernelINS0_14default_configENS1_27scan_by_key_config_selectorIssEEZZNS1_16scan_by_key_implILNS1_25lookback_scan_determinismE0ELb0ES3_N6thrust23THRUST_200600_302600_NS6detail15normal_iteratorINS9_10device_ptrIsEEEESE_SE_sNS9_10multipliesIsEENS9_8equal_toIsEEsEE10hipError_tPvRmT2_T3_T4_T5_mT6_T7_P12ihipStream_tbENKUlT_T0_E_clISt17integral_constantIbLb0EESY_IbLb1EEEEDaSU_SV_EUlSU_E_NS1_11comp_targetILNS1_3genE10ELNS1_11target_archE1201ELNS1_3gpuE5ELNS1_3repE0EEENS1_30default_config_static_selectorELNS0_4arch9wavefront6targetE0EEEvT1_
	.p2align	8
	.type	_ZN7rocprim17ROCPRIM_400000_NS6detail17trampoline_kernelINS0_14default_configENS1_27scan_by_key_config_selectorIssEEZZNS1_16scan_by_key_implILNS1_25lookback_scan_determinismE0ELb0ES3_N6thrust23THRUST_200600_302600_NS6detail15normal_iteratorINS9_10device_ptrIsEEEESE_SE_sNS9_10multipliesIsEENS9_8equal_toIsEEsEE10hipError_tPvRmT2_T3_T4_T5_mT6_T7_P12ihipStream_tbENKUlT_T0_E_clISt17integral_constantIbLb0EESY_IbLb1EEEEDaSU_SV_EUlSU_E_NS1_11comp_targetILNS1_3genE10ELNS1_11target_archE1201ELNS1_3gpuE5ELNS1_3repE0EEENS1_30default_config_static_selectorELNS0_4arch9wavefront6targetE0EEEvT1_,@function
_ZN7rocprim17ROCPRIM_400000_NS6detail17trampoline_kernelINS0_14default_configENS1_27scan_by_key_config_selectorIssEEZZNS1_16scan_by_key_implILNS1_25lookback_scan_determinismE0ELb0ES3_N6thrust23THRUST_200600_302600_NS6detail15normal_iteratorINS9_10device_ptrIsEEEESE_SE_sNS9_10multipliesIsEENS9_8equal_toIsEEsEE10hipError_tPvRmT2_T3_T4_T5_mT6_T7_P12ihipStream_tbENKUlT_T0_E_clISt17integral_constantIbLb0EESY_IbLb1EEEEDaSU_SV_EUlSU_E_NS1_11comp_targetILNS1_3genE10ELNS1_11target_archE1201ELNS1_3gpuE5ELNS1_3repE0EEENS1_30default_config_static_selectorELNS0_4arch9wavefront6targetE0EEEvT1_: ; @_ZN7rocprim17ROCPRIM_400000_NS6detail17trampoline_kernelINS0_14default_configENS1_27scan_by_key_config_selectorIssEEZZNS1_16scan_by_key_implILNS1_25lookback_scan_determinismE0ELb0ES3_N6thrust23THRUST_200600_302600_NS6detail15normal_iteratorINS9_10device_ptrIsEEEESE_SE_sNS9_10multipliesIsEENS9_8equal_toIsEEsEE10hipError_tPvRmT2_T3_T4_T5_mT6_T7_P12ihipStream_tbENKUlT_T0_E_clISt17integral_constantIbLb0EESY_IbLb1EEEEDaSU_SV_EUlSU_E_NS1_11comp_targetILNS1_3genE10ELNS1_11target_archE1201ELNS1_3gpuE5ELNS1_3repE0EEENS1_30default_config_static_selectorELNS0_4arch9wavefront6targetE0EEEvT1_
; %bb.0:
	.section	.rodata,"a",@progbits
	.p2align	6, 0x0
	.amdhsa_kernel _ZN7rocprim17ROCPRIM_400000_NS6detail17trampoline_kernelINS0_14default_configENS1_27scan_by_key_config_selectorIssEEZZNS1_16scan_by_key_implILNS1_25lookback_scan_determinismE0ELb0ES3_N6thrust23THRUST_200600_302600_NS6detail15normal_iteratorINS9_10device_ptrIsEEEESE_SE_sNS9_10multipliesIsEENS9_8equal_toIsEEsEE10hipError_tPvRmT2_T3_T4_T5_mT6_T7_P12ihipStream_tbENKUlT_T0_E_clISt17integral_constantIbLb0EESY_IbLb1EEEEDaSU_SV_EUlSU_E_NS1_11comp_targetILNS1_3genE10ELNS1_11target_archE1201ELNS1_3gpuE5ELNS1_3repE0EEENS1_30default_config_static_selectorELNS0_4arch9wavefront6targetE0EEEvT1_
		.amdhsa_group_segment_fixed_size 0
		.amdhsa_private_segment_fixed_size 0
		.amdhsa_kernarg_size 112
		.amdhsa_user_sgpr_count 6
		.amdhsa_user_sgpr_private_segment_buffer 1
		.amdhsa_user_sgpr_dispatch_ptr 0
		.amdhsa_user_sgpr_queue_ptr 0
		.amdhsa_user_sgpr_kernarg_segment_ptr 1
		.amdhsa_user_sgpr_dispatch_id 0
		.amdhsa_user_sgpr_flat_scratch_init 0
		.amdhsa_user_sgpr_private_segment_size 0
		.amdhsa_wavefront_size32 1
		.amdhsa_uses_dynamic_stack 0
		.amdhsa_system_sgpr_private_segment_wavefront_offset 0
		.amdhsa_system_sgpr_workgroup_id_x 1
		.amdhsa_system_sgpr_workgroup_id_y 0
		.amdhsa_system_sgpr_workgroup_id_z 0
		.amdhsa_system_sgpr_workgroup_info 0
		.amdhsa_system_vgpr_workitem_id 0
		.amdhsa_next_free_vgpr 1
		.amdhsa_next_free_sgpr 1
		.amdhsa_reserve_vcc 0
		.amdhsa_reserve_flat_scratch 0
		.amdhsa_float_round_mode_32 0
		.amdhsa_float_round_mode_16_64 0
		.amdhsa_float_denorm_mode_32 3
		.amdhsa_float_denorm_mode_16_64 3
		.amdhsa_dx10_clamp 1
		.amdhsa_ieee_mode 1
		.amdhsa_fp16_overflow 0
		.amdhsa_workgroup_processor_mode 1
		.amdhsa_memory_ordered 1
		.amdhsa_forward_progress 1
		.amdhsa_shared_vgpr_count 0
		.amdhsa_exception_fp_ieee_invalid_op 0
		.amdhsa_exception_fp_denorm_src 0
		.amdhsa_exception_fp_ieee_div_zero 0
		.amdhsa_exception_fp_ieee_overflow 0
		.amdhsa_exception_fp_ieee_underflow 0
		.amdhsa_exception_fp_ieee_inexact 0
		.amdhsa_exception_int_div_zero 0
	.end_amdhsa_kernel
	.section	.text._ZN7rocprim17ROCPRIM_400000_NS6detail17trampoline_kernelINS0_14default_configENS1_27scan_by_key_config_selectorIssEEZZNS1_16scan_by_key_implILNS1_25lookback_scan_determinismE0ELb0ES3_N6thrust23THRUST_200600_302600_NS6detail15normal_iteratorINS9_10device_ptrIsEEEESE_SE_sNS9_10multipliesIsEENS9_8equal_toIsEEsEE10hipError_tPvRmT2_T3_T4_T5_mT6_T7_P12ihipStream_tbENKUlT_T0_E_clISt17integral_constantIbLb0EESY_IbLb1EEEEDaSU_SV_EUlSU_E_NS1_11comp_targetILNS1_3genE10ELNS1_11target_archE1201ELNS1_3gpuE5ELNS1_3repE0EEENS1_30default_config_static_selectorELNS0_4arch9wavefront6targetE0EEEvT1_,"axG",@progbits,_ZN7rocprim17ROCPRIM_400000_NS6detail17trampoline_kernelINS0_14default_configENS1_27scan_by_key_config_selectorIssEEZZNS1_16scan_by_key_implILNS1_25lookback_scan_determinismE0ELb0ES3_N6thrust23THRUST_200600_302600_NS6detail15normal_iteratorINS9_10device_ptrIsEEEESE_SE_sNS9_10multipliesIsEENS9_8equal_toIsEEsEE10hipError_tPvRmT2_T3_T4_T5_mT6_T7_P12ihipStream_tbENKUlT_T0_E_clISt17integral_constantIbLb0EESY_IbLb1EEEEDaSU_SV_EUlSU_E_NS1_11comp_targetILNS1_3genE10ELNS1_11target_archE1201ELNS1_3gpuE5ELNS1_3repE0EEENS1_30default_config_static_selectorELNS0_4arch9wavefront6targetE0EEEvT1_,comdat
.Lfunc_end309:
	.size	_ZN7rocprim17ROCPRIM_400000_NS6detail17trampoline_kernelINS0_14default_configENS1_27scan_by_key_config_selectorIssEEZZNS1_16scan_by_key_implILNS1_25lookback_scan_determinismE0ELb0ES3_N6thrust23THRUST_200600_302600_NS6detail15normal_iteratorINS9_10device_ptrIsEEEESE_SE_sNS9_10multipliesIsEENS9_8equal_toIsEEsEE10hipError_tPvRmT2_T3_T4_T5_mT6_T7_P12ihipStream_tbENKUlT_T0_E_clISt17integral_constantIbLb0EESY_IbLb1EEEEDaSU_SV_EUlSU_E_NS1_11comp_targetILNS1_3genE10ELNS1_11target_archE1201ELNS1_3gpuE5ELNS1_3repE0EEENS1_30default_config_static_selectorELNS0_4arch9wavefront6targetE0EEEvT1_, .Lfunc_end309-_ZN7rocprim17ROCPRIM_400000_NS6detail17trampoline_kernelINS0_14default_configENS1_27scan_by_key_config_selectorIssEEZZNS1_16scan_by_key_implILNS1_25lookback_scan_determinismE0ELb0ES3_N6thrust23THRUST_200600_302600_NS6detail15normal_iteratorINS9_10device_ptrIsEEEESE_SE_sNS9_10multipliesIsEENS9_8equal_toIsEEsEE10hipError_tPvRmT2_T3_T4_T5_mT6_T7_P12ihipStream_tbENKUlT_T0_E_clISt17integral_constantIbLb0EESY_IbLb1EEEEDaSU_SV_EUlSU_E_NS1_11comp_targetILNS1_3genE10ELNS1_11target_archE1201ELNS1_3gpuE5ELNS1_3repE0EEENS1_30default_config_static_selectorELNS0_4arch9wavefront6targetE0EEEvT1_
                                        ; -- End function
	.set _ZN7rocprim17ROCPRIM_400000_NS6detail17trampoline_kernelINS0_14default_configENS1_27scan_by_key_config_selectorIssEEZZNS1_16scan_by_key_implILNS1_25lookback_scan_determinismE0ELb0ES3_N6thrust23THRUST_200600_302600_NS6detail15normal_iteratorINS9_10device_ptrIsEEEESE_SE_sNS9_10multipliesIsEENS9_8equal_toIsEEsEE10hipError_tPvRmT2_T3_T4_T5_mT6_T7_P12ihipStream_tbENKUlT_T0_E_clISt17integral_constantIbLb0EESY_IbLb1EEEEDaSU_SV_EUlSU_E_NS1_11comp_targetILNS1_3genE10ELNS1_11target_archE1201ELNS1_3gpuE5ELNS1_3repE0EEENS1_30default_config_static_selectorELNS0_4arch9wavefront6targetE0EEEvT1_.num_vgpr, 0
	.set _ZN7rocprim17ROCPRIM_400000_NS6detail17trampoline_kernelINS0_14default_configENS1_27scan_by_key_config_selectorIssEEZZNS1_16scan_by_key_implILNS1_25lookback_scan_determinismE0ELb0ES3_N6thrust23THRUST_200600_302600_NS6detail15normal_iteratorINS9_10device_ptrIsEEEESE_SE_sNS9_10multipliesIsEENS9_8equal_toIsEEsEE10hipError_tPvRmT2_T3_T4_T5_mT6_T7_P12ihipStream_tbENKUlT_T0_E_clISt17integral_constantIbLb0EESY_IbLb1EEEEDaSU_SV_EUlSU_E_NS1_11comp_targetILNS1_3genE10ELNS1_11target_archE1201ELNS1_3gpuE5ELNS1_3repE0EEENS1_30default_config_static_selectorELNS0_4arch9wavefront6targetE0EEEvT1_.num_agpr, 0
	.set _ZN7rocprim17ROCPRIM_400000_NS6detail17trampoline_kernelINS0_14default_configENS1_27scan_by_key_config_selectorIssEEZZNS1_16scan_by_key_implILNS1_25lookback_scan_determinismE0ELb0ES3_N6thrust23THRUST_200600_302600_NS6detail15normal_iteratorINS9_10device_ptrIsEEEESE_SE_sNS9_10multipliesIsEENS9_8equal_toIsEEsEE10hipError_tPvRmT2_T3_T4_T5_mT6_T7_P12ihipStream_tbENKUlT_T0_E_clISt17integral_constantIbLb0EESY_IbLb1EEEEDaSU_SV_EUlSU_E_NS1_11comp_targetILNS1_3genE10ELNS1_11target_archE1201ELNS1_3gpuE5ELNS1_3repE0EEENS1_30default_config_static_selectorELNS0_4arch9wavefront6targetE0EEEvT1_.numbered_sgpr, 0
	.set _ZN7rocprim17ROCPRIM_400000_NS6detail17trampoline_kernelINS0_14default_configENS1_27scan_by_key_config_selectorIssEEZZNS1_16scan_by_key_implILNS1_25lookback_scan_determinismE0ELb0ES3_N6thrust23THRUST_200600_302600_NS6detail15normal_iteratorINS9_10device_ptrIsEEEESE_SE_sNS9_10multipliesIsEENS9_8equal_toIsEEsEE10hipError_tPvRmT2_T3_T4_T5_mT6_T7_P12ihipStream_tbENKUlT_T0_E_clISt17integral_constantIbLb0EESY_IbLb1EEEEDaSU_SV_EUlSU_E_NS1_11comp_targetILNS1_3genE10ELNS1_11target_archE1201ELNS1_3gpuE5ELNS1_3repE0EEENS1_30default_config_static_selectorELNS0_4arch9wavefront6targetE0EEEvT1_.num_named_barrier, 0
	.set _ZN7rocprim17ROCPRIM_400000_NS6detail17trampoline_kernelINS0_14default_configENS1_27scan_by_key_config_selectorIssEEZZNS1_16scan_by_key_implILNS1_25lookback_scan_determinismE0ELb0ES3_N6thrust23THRUST_200600_302600_NS6detail15normal_iteratorINS9_10device_ptrIsEEEESE_SE_sNS9_10multipliesIsEENS9_8equal_toIsEEsEE10hipError_tPvRmT2_T3_T4_T5_mT6_T7_P12ihipStream_tbENKUlT_T0_E_clISt17integral_constantIbLb0EESY_IbLb1EEEEDaSU_SV_EUlSU_E_NS1_11comp_targetILNS1_3genE10ELNS1_11target_archE1201ELNS1_3gpuE5ELNS1_3repE0EEENS1_30default_config_static_selectorELNS0_4arch9wavefront6targetE0EEEvT1_.private_seg_size, 0
	.set _ZN7rocprim17ROCPRIM_400000_NS6detail17trampoline_kernelINS0_14default_configENS1_27scan_by_key_config_selectorIssEEZZNS1_16scan_by_key_implILNS1_25lookback_scan_determinismE0ELb0ES3_N6thrust23THRUST_200600_302600_NS6detail15normal_iteratorINS9_10device_ptrIsEEEESE_SE_sNS9_10multipliesIsEENS9_8equal_toIsEEsEE10hipError_tPvRmT2_T3_T4_T5_mT6_T7_P12ihipStream_tbENKUlT_T0_E_clISt17integral_constantIbLb0EESY_IbLb1EEEEDaSU_SV_EUlSU_E_NS1_11comp_targetILNS1_3genE10ELNS1_11target_archE1201ELNS1_3gpuE5ELNS1_3repE0EEENS1_30default_config_static_selectorELNS0_4arch9wavefront6targetE0EEEvT1_.uses_vcc, 0
	.set _ZN7rocprim17ROCPRIM_400000_NS6detail17trampoline_kernelINS0_14default_configENS1_27scan_by_key_config_selectorIssEEZZNS1_16scan_by_key_implILNS1_25lookback_scan_determinismE0ELb0ES3_N6thrust23THRUST_200600_302600_NS6detail15normal_iteratorINS9_10device_ptrIsEEEESE_SE_sNS9_10multipliesIsEENS9_8equal_toIsEEsEE10hipError_tPvRmT2_T3_T4_T5_mT6_T7_P12ihipStream_tbENKUlT_T0_E_clISt17integral_constantIbLb0EESY_IbLb1EEEEDaSU_SV_EUlSU_E_NS1_11comp_targetILNS1_3genE10ELNS1_11target_archE1201ELNS1_3gpuE5ELNS1_3repE0EEENS1_30default_config_static_selectorELNS0_4arch9wavefront6targetE0EEEvT1_.uses_flat_scratch, 0
	.set _ZN7rocprim17ROCPRIM_400000_NS6detail17trampoline_kernelINS0_14default_configENS1_27scan_by_key_config_selectorIssEEZZNS1_16scan_by_key_implILNS1_25lookback_scan_determinismE0ELb0ES3_N6thrust23THRUST_200600_302600_NS6detail15normal_iteratorINS9_10device_ptrIsEEEESE_SE_sNS9_10multipliesIsEENS9_8equal_toIsEEsEE10hipError_tPvRmT2_T3_T4_T5_mT6_T7_P12ihipStream_tbENKUlT_T0_E_clISt17integral_constantIbLb0EESY_IbLb1EEEEDaSU_SV_EUlSU_E_NS1_11comp_targetILNS1_3genE10ELNS1_11target_archE1201ELNS1_3gpuE5ELNS1_3repE0EEENS1_30default_config_static_selectorELNS0_4arch9wavefront6targetE0EEEvT1_.has_dyn_sized_stack, 0
	.set _ZN7rocprim17ROCPRIM_400000_NS6detail17trampoline_kernelINS0_14default_configENS1_27scan_by_key_config_selectorIssEEZZNS1_16scan_by_key_implILNS1_25lookback_scan_determinismE0ELb0ES3_N6thrust23THRUST_200600_302600_NS6detail15normal_iteratorINS9_10device_ptrIsEEEESE_SE_sNS9_10multipliesIsEENS9_8equal_toIsEEsEE10hipError_tPvRmT2_T3_T4_T5_mT6_T7_P12ihipStream_tbENKUlT_T0_E_clISt17integral_constantIbLb0EESY_IbLb1EEEEDaSU_SV_EUlSU_E_NS1_11comp_targetILNS1_3genE10ELNS1_11target_archE1201ELNS1_3gpuE5ELNS1_3repE0EEENS1_30default_config_static_selectorELNS0_4arch9wavefront6targetE0EEEvT1_.has_recursion, 0
	.set _ZN7rocprim17ROCPRIM_400000_NS6detail17trampoline_kernelINS0_14default_configENS1_27scan_by_key_config_selectorIssEEZZNS1_16scan_by_key_implILNS1_25lookback_scan_determinismE0ELb0ES3_N6thrust23THRUST_200600_302600_NS6detail15normal_iteratorINS9_10device_ptrIsEEEESE_SE_sNS9_10multipliesIsEENS9_8equal_toIsEEsEE10hipError_tPvRmT2_T3_T4_T5_mT6_T7_P12ihipStream_tbENKUlT_T0_E_clISt17integral_constantIbLb0EESY_IbLb1EEEEDaSU_SV_EUlSU_E_NS1_11comp_targetILNS1_3genE10ELNS1_11target_archE1201ELNS1_3gpuE5ELNS1_3repE0EEENS1_30default_config_static_selectorELNS0_4arch9wavefront6targetE0EEEvT1_.has_indirect_call, 0
	.section	.AMDGPU.csdata,"",@progbits
; Kernel info:
; codeLenInByte = 0
; TotalNumSgprs: 0
; NumVgprs: 0
; ScratchSize: 0
; MemoryBound: 0
; FloatMode: 240
; IeeeMode: 1
; LDSByteSize: 0 bytes/workgroup (compile time only)
; SGPRBlocks: 0
; VGPRBlocks: 0
; NumSGPRsForWavesPerEU: 1
; NumVGPRsForWavesPerEU: 1
; Occupancy: 16
; WaveLimiterHint : 0
; COMPUTE_PGM_RSRC2:SCRATCH_EN: 0
; COMPUTE_PGM_RSRC2:USER_SGPR: 6
; COMPUTE_PGM_RSRC2:TRAP_HANDLER: 0
; COMPUTE_PGM_RSRC2:TGID_X_EN: 1
; COMPUTE_PGM_RSRC2:TGID_Y_EN: 0
; COMPUTE_PGM_RSRC2:TGID_Z_EN: 0
; COMPUTE_PGM_RSRC2:TIDIG_COMP_CNT: 0
	.section	.text._ZN7rocprim17ROCPRIM_400000_NS6detail17trampoline_kernelINS0_14default_configENS1_27scan_by_key_config_selectorIssEEZZNS1_16scan_by_key_implILNS1_25lookback_scan_determinismE0ELb0ES3_N6thrust23THRUST_200600_302600_NS6detail15normal_iteratorINS9_10device_ptrIsEEEESE_SE_sNS9_10multipliesIsEENS9_8equal_toIsEEsEE10hipError_tPvRmT2_T3_T4_T5_mT6_T7_P12ihipStream_tbENKUlT_T0_E_clISt17integral_constantIbLb0EESY_IbLb1EEEEDaSU_SV_EUlSU_E_NS1_11comp_targetILNS1_3genE5ELNS1_11target_archE942ELNS1_3gpuE9ELNS1_3repE0EEENS1_30default_config_static_selectorELNS0_4arch9wavefront6targetE0EEEvT1_,"axG",@progbits,_ZN7rocprim17ROCPRIM_400000_NS6detail17trampoline_kernelINS0_14default_configENS1_27scan_by_key_config_selectorIssEEZZNS1_16scan_by_key_implILNS1_25lookback_scan_determinismE0ELb0ES3_N6thrust23THRUST_200600_302600_NS6detail15normal_iteratorINS9_10device_ptrIsEEEESE_SE_sNS9_10multipliesIsEENS9_8equal_toIsEEsEE10hipError_tPvRmT2_T3_T4_T5_mT6_T7_P12ihipStream_tbENKUlT_T0_E_clISt17integral_constantIbLb0EESY_IbLb1EEEEDaSU_SV_EUlSU_E_NS1_11comp_targetILNS1_3genE5ELNS1_11target_archE942ELNS1_3gpuE9ELNS1_3repE0EEENS1_30default_config_static_selectorELNS0_4arch9wavefront6targetE0EEEvT1_,comdat
	.protected	_ZN7rocprim17ROCPRIM_400000_NS6detail17trampoline_kernelINS0_14default_configENS1_27scan_by_key_config_selectorIssEEZZNS1_16scan_by_key_implILNS1_25lookback_scan_determinismE0ELb0ES3_N6thrust23THRUST_200600_302600_NS6detail15normal_iteratorINS9_10device_ptrIsEEEESE_SE_sNS9_10multipliesIsEENS9_8equal_toIsEEsEE10hipError_tPvRmT2_T3_T4_T5_mT6_T7_P12ihipStream_tbENKUlT_T0_E_clISt17integral_constantIbLb0EESY_IbLb1EEEEDaSU_SV_EUlSU_E_NS1_11comp_targetILNS1_3genE5ELNS1_11target_archE942ELNS1_3gpuE9ELNS1_3repE0EEENS1_30default_config_static_selectorELNS0_4arch9wavefront6targetE0EEEvT1_ ; -- Begin function _ZN7rocprim17ROCPRIM_400000_NS6detail17trampoline_kernelINS0_14default_configENS1_27scan_by_key_config_selectorIssEEZZNS1_16scan_by_key_implILNS1_25lookback_scan_determinismE0ELb0ES3_N6thrust23THRUST_200600_302600_NS6detail15normal_iteratorINS9_10device_ptrIsEEEESE_SE_sNS9_10multipliesIsEENS9_8equal_toIsEEsEE10hipError_tPvRmT2_T3_T4_T5_mT6_T7_P12ihipStream_tbENKUlT_T0_E_clISt17integral_constantIbLb0EESY_IbLb1EEEEDaSU_SV_EUlSU_E_NS1_11comp_targetILNS1_3genE5ELNS1_11target_archE942ELNS1_3gpuE9ELNS1_3repE0EEENS1_30default_config_static_selectorELNS0_4arch9wavefront6targetE0EEEvT1_
	.globl	_ZN7rocprim17ROCPRIM_400000_NS6detail17trampoline_kernelINS0_14default_configENS1_27scan_by_key_config_selectorIssEEZZNS1_16scan_by_key_implILNS1_25lookback_scan_determinismE0ELb0ES3_N6thrust23THRUST_200600_302600_NS6detail15normal_iteratorINS9_10device_ptrIsEEEESE_SE_sNS9_10multipliesIsEENS9_8equal_toIsEEsEE10hipError_tPvRmT2_T3_T4_T5_mT6_T7_P12ihipStream_tbENKUlT_T0_E_clISt17integral_constantIbLb0EESY_IbLb1EEEEDaSU_SV_EUlSU_E_NS1_11comp_targetILNS1_3genE5ELNS1_11target_archE942ELNS1_3gpuE9ELNS1_3repE0EEENS1_30default_config_static_selectorELNS0_4arch9wavefront6targetE0EEEvT1_
	.p2align	8
	.type	_ZN7rocprim17ROCPRIM_400000_NS6detail17trampoline_kernelINS0_14default_configENS1_27scan_by_key_config_selectorIssEEZZNS1_16scan_by_key_implILNS1_25lookback_scan_determinismE0ELb0ES3_N6thrust23THRUST_200600_302600_NS6detail15normal_iteratorINS9_10device_ptrIsEEEESE_SE_sNS9_10multipliesIsEENS9_8equal_toIsEEsEE10hipError_tPvRmT2_T3_T4_T5_mT6_T7_P12ihipStream_tbENKUlT_T0_E_clISt17integral_constantIbLb0EESY_IbLb1EEEEDaSU_SV_EUlSU_E_NS1_11comp_targetILNS1_3genE5ELNS1_11target_archE942ELNS1_3gpuE9ELNS1_3repE0EEENS1_30default_config_static_selectorELNS0_4arch9wavefront6targetE0EEEvT1_,@function
_ZN7rocprim17ROCPRIM_400000_NS6detail17trampoline_kernelINS0_14default_configENS1_27scan_by_key_config_selectorIssEEZZNS1_16scan_by_key_implILNS1_25lookback_scan_determinismE0ELb0ES3_N6thrust23THRUST_200600_302600_NS6detail15normal_iteratorINS9_10device_ptrIsEEEESE_SE_sNS9_10multipliesIsEENS9_8equal_toIsEEsEE10hipError_tPvRmT2_T3_T4_T5_mT6_T7_P12ihipStream_tbENKUlT_T0_E_clISt17integral_constantIbLb0EESY_IbLb1EEEEDaSU_SV_EUlSU_E_NS1_11comp_targetILNS1_3genE5ELNS1_11target_archE942ELNS1_3gpuE9ELNS1_3repE0EEENS1_30default_config_static_selectorELNS0_4arch9wavefront6targetE0EEEvT1_: ; @_ZN7rocprim17ROCPRIM_400000_NS6detail17trampoline_kernelINS0_14default_configENS1_27scan_by_key_config_selectorIssEEZZNS1_16scan_by_key_implILNS1_25lookback_scan_determinismE0ELb0ES3_N6thrust23THRUST_200600_302600_NS6detail15normal_iteratorINS9_10device_ptrIsEEEESE_SE_sNS9_10multipliesIsEENS9_8equal_toIsEEsEE10hipError_tPvRmT2_T3_T4_T5_mT6_T7_P12ihipStream_tbENKUlT_T0_E_clISt17integral_constantIbLb0EESY_IbLb1EEEEDaSU_SV_EUlSU_E_NS1_11comp_targetILNS1_3genE5ELNS1_11target_archE942ELNS1_3gpuE9ELNS1_3repE0EEENS1_30default_config_static_selectorELNS0_4arch9wavefront6targetE0EEEvT1_
; %bb.0:
	.section	.rodata,"a",@progbits
	.p2align	6, 0x0
	.amdhsa_kernel _ZN7rocprim17ROCPRIM_400000_NS6detail17trampoline_kernelINS0_14default_configENS1_27scan_by_key_config_selectorIssEEZZNS1_16scan_by_key_implILNS1_25lookback_scan_determinismE0ELb0ES3_N6thrust23THRUST_200600_302600_NS6detail15normal_iteratorINS9_10device_ptrIsEEEESE_SE_sNS9_10multipliesIsEENS9_8equal_toIsEEsEE10hipError_tPvRmT2_T3_T4_T5_mT6_T7_P12ihipStream_tbENKUlT_T0_E_clISt17integral_constantIbLb0EESY_IbLb1EEEEDaSU_SV_EUlSU_E_NS1_11comp_targetILNS1_3genE5ELNS1_11target_archE942ELNS1_3gpuE9ELNS1_3repE0EEENS1_30default_config_static_selectorELNS0_4arch9wavefront6targetE0EEEvT1_
		.amdhsa_group_segment_fixed_size 0
		.amdhsa_private_segment_fixed_size 0
		.amdhsa_kernarg_size 112
		.amdhsa_user_sgpr_count 6
		.amdhsa_user_sgpr_private_segment_buffer 1
		.amdhsa_user_sgpr_dispatch_ptr 0
		.amdhsa_user_sgpr_queue_ptr 0
		.amdhsa_user_sgpr_kernarg_segment_ptr 1
		.amdhsa_user_sgpr_dispatch_id 0
		.amdhsa_user_sgpr_flat_scratch_init 0
		.amdhsa_user_sgpr_private_segment_size 0
		.amdhsa_wavefront_size32 1
		.amdhsa_uses_dynamic_stack 0
		.amdhsa_system_sgpr_private_segment_wavefront_offset 0
		.amdhsa_system_sgpr_workgroup_id_x 1
		.amdhsa_system_sgpr_workgroup_id_y 0
		.amdhsa_system_sgpr_workgroup_id_z 0
		.amdhsa_system_sgpr_workgroup_info 0
		.amdhsa_system_vgpr_workitem_id 0
		.amdhsa_next_free_vgpr 1
		.amdhsa_next_free_sgpr 1
		.amdhsa_reserve_vcc 0
		.amdhsa_reserve_flat_scratch 0
		.amdhsa_float_round_mode_32 0
		.amdhsa_float_round_mode_16_64 0
		.amdhsa_float_denorm_mode_32 3
		.amdhsa_float_denorm_mode_16_64 3
		.amdhsa_dx10_clamp 1
		.amdhsa_ieee_mode 1
		.amdhsa_fp16_overflow 0
		.amdhsa_workgroup_processor_mode 1
		.amdhsa_memory_ordered 1
		.amdhsa_forward_progress 1
		.amdhsa_shared_vgpr_count 0
		.amdhsa_exception_fp_ieee_invalid_op 0
		.amdhsa_exception_fp_denorm_src 0
		.amdhsa_exception_fp_ieee_div_zero 0
		.amdhsa_exception_fp_ieee_overflow 0
		.amdhsa_exception_fp_ieee_underflow 0
		.amdhsa_exception_fp_ieee_inexact 0
		.amdhsa_exception_int_div_zero 0
	.end_amdhsa_kernel
	.section	.text._ZN7rocprim17ROCPRIM_400000_NS6detail17trampoline_kernelINS0_14default_configENS1_27scan_by_key_config_selectorIssEEZZNS1_16scan_by_key_implILNS1_25lookback_scan_determinismE0ELb0ES3_N6thrust23THRUST_200600_302600_NS6detail15normal_iteratorINS9_10device_ptrIsEEEESE_SE_sNS9_10multipliesIsEENS9_8equal_toIsEEsEE10hipError_tPvRmT2_T3_T4_T5_mT6_T7_P12ihipStream_tbENKUlT_T0_E_clISt17integral_constantIbLb0EESY_IbLb1EEEEDaSU_SV_EUlSU_E_NS1_11comp_targetILNS1_3genE5ELNS1_11target_archE942ELNS1_3gpuE9ELNS1_3repE0EEENS1_30default_config_static_selectorELNS0_4arch9wavefront6targetE0EEEvT1_,"axG",@progbits,_ZN7rocprim17ROCPRIM_400000_NS6detail17trampoline_kernelINS0_14default_configENS1_27scan_by_key_config_selectorIssEEZZNS1_16scan_by_key_implILNS1_25lookback_scan_determinismE0ELb0ES3_N6thrust23THRUST_200600_302600_NS6detail15normal_iteratorINS9_10device_ptrIsEEEESE_SE_sNS9_10multipliesIsEENS9_8equal_toIsEEsEE10hipError_tPvRmT2_T3_T4_T5_mT6_T7_P12ihipStream_tbENKUlT_T0_E_clISt17integral_constantIbLb0EESY_IbLb1EEEEDaSU_SV_EUlSU_E_NS1_11comp_targetILNS1_3genE5ELNS1_11target_archE942ELNS1_3gpuE9ELNS1_3repE0EEENS1_30default_config_static_selectorELNS0_4arch9wavefront6targetE0EEEvT1_,comdat
.Lfunc_end310:
	.size	_ZN7rocprim17ROCPRIM_400000_NS6detail17trampoline_kernelINS0_14default_configENS1_27scan_by_key_config_selectorIssEEZZNS1_16scan_by_key_implILNS1_25lookback_scan_determinismE0ELb0ES3_N6thrust23THRUST_200600_302600_NS6detail15normal_iteratorINS9_10device_ptrIsEEEESE_SE_sNS9_10multipliesIsEENS9_8equal_toIsEEsEE10hipError_tPvRmT2_T3_T4_T5_mT6_T7_P12ihipStream_tbENKUlT_T0_E_clISt17integral_constantIbLb0EESY_IbLb1EEEEDaSU_SV_EUlSU_E_NS1_11comp_targetILNS1_3genE5ELNS1_11target_archE942ELNS1_3gpuE9ELNS1_3repE0EEENS1_30default_config_static_selectorELNS0_4arch9wavefront6targetE0EEEvT1_, .Lfunc_end310-_ZN7rocprim17ROCPRIM_400000_NS6detail17trampoline_kernelINS0_14default_configENS1_27scan_by_key_config_selectorIssEEZZNS1_16scan_by_key_implILNS1_25lookback_scan_determinismE0ELb0ES3_N6thrust23THRUST_200600_302600_NS6detail15normal_iteratorINS9_10device_ptrIsEEEESE_SE_sNS9_10multipliesIsEENS9_8equal_toIsEEsEE10hipError_tPvRmT2_T3_T4_T5_mT6_T7_P12ihipStream_tbENKUlT_T0_E_clISt17integral_constantIbLb0EESY_IbLb1EEEEDaSU_SV_EUlSU_E_NS1_11comp_targetILNS1_3genE5ELNS1_11target_archE942ELNS1_3gpuE9ELNS1_3repE0EEENS1_30default_config_static_selectorELNS0_4arch9wavefront6targetE0EEEvT1_
                                        ; -- End function
	.set _ZN7rocprim17ROCPRIM_400000_NS6detail17trampoline_kernelINS0_14default_configENS1_27scan_by_key_config_selectorIssEEZZNS1_16scan_by_key_implILNS1_25lookback_scan_determinismE0ELb0ES3_N6thrust23THRUST_200600_302600_NS6detail15normal_iteratorINS9_10device_ptrIsEEEESE_SE_sNS9_10multipliesIsEENS9_8equal_toIsEEsEE10hipError_tPvRmT2_T3_T4_T5_mT6_T7_P12ihipStream_tbENKUlT_T0_E_clISt17integral_constantIbLb0EESY_IbLb1EEEEDaSU_SV_EUlSU_E_NS1_11comp_targetILNS1_3genE5ELNS1_11target_archE942ELNS1_3gpuE9ELNS1_3repE0EEENS1_30default_config_static_selectorELNS0_4arch9wavefront6targetE0EEEvT1_.num_vgpr, 0
	.set _ZN7rocprim17ROCPRIM_400000_NS6detail17trampoline_kernelINS0_14default_configENS1_27scan_by_key_config_selectorIssEEZZNS1_16scan_by_key_implILNS1_25lookback_scan_determinismE0ELb0ES3_N6thrust23THRUST_200600_302600_NS6detail15normal_iteratorINS9_10device_ptrIsEEEESE_SE_sNS9_10multipliesIsEENS9_8equal_toIsEEsEE10hipError_tPvRmT2_T3_T4_T5_mT6_T7_P12ihipStream_tbENKUlT_T0_E_clISt17integral_constantIbLb0EESY_IbLb1EEEEDaSU_SV_EUlSU_E_NS1_11comp_targetILNS1_3genE5ELNS1_11target_archE942ELNS1_3gpuE9ELNS1_3repE0EEENS1_30default_config_static_selectorELNS0_4arch9wavefront6targetE0EEEvT1_.num_agpr, 0
	.set _ZN7rocprim17ROCPRIM_400000_NS6detail17trampoline_kernelINS0_14default_configENS1_27scan_by_key_config_selectorIssEEZZNS1_16scan_by_key_implILNS1_25lookback_scan_determinismE0ELb0ES3_N6thrust23THRUST_200600_302600_NS6detail15normal_iteratorINS9_10device_ptrIsEEEESE_SE_sNS9_10multipliesIsEENS9_8equal_toIsEEsEE10hipError_tPvRmT2_T3_T4_T5_mT6_T7_P12ihipStream_tbENKUlT_T0_E_clISt17integral_constantIbLb0EESY_IbLb1EEEEDaSU_SV_EUlSU_E_NS1_11comp_targetILNS1_3genE5ELNS1_11target_archE942ELNS1_3gpuE9ELNS1_3repE0EEENS1_30default_config_static_selectorELNS0_4arch9wavefront6targetE0EEEvT1_.numbered_sgpr, 0
	.set _ZN7rocprim17ROCPRIM_400000_NS6detail17trampoline_kernelINS0_14default_configENS1_27scan_by_key_config_selectorIssEEZZNS1_16scan_by_key_implILNS1_25lookback_scan_determinismE0ELb0ES3_N6thrust23THRUST_200600_302600_NS6detail15normal_iteratorINS9_10device_ptrIsEEEESE_SE_sNS9_10multipliesIsEENS9_8equal_toIsEEsEE10hipError_tPvRmT2_T3_T4_T5_mT6_T7_P12ihipStream_tbENKUlT_T0_E_clISt17integral_constantIbLb0EESY_IbLb1EEEEDaSU_SV_EUlSU_E_NS1_11comp_targetILNS1_3genE5ELNS1_11target_archE942ELNS1_3gpuE9ELNS1_3repE0EEENS1_30default_config_static_selectorELNS0_4arch9wavefront6targetE0EEEvT1_.num_named_barrier, 0
	.set _ZN7rocprim17ROCPRIM_400000_NS6detail17trampoline_kernelINS0_14default_configENS1_27scan_by_key_config_selectorIssEEZZNS1_16scan_by_key_implILNS1_25lookback_scan_determinismE0ELb0ES3_N6thrust23THRUST_200600_302600_NS6detail15normal_iteratorINS9_10device_ptrIsEEEESE_SE_sNS9_10multipliesIsEENS9_8equal_toIsEEsEE10hipError_tPvRmT2_T3_T4_T5_mT6_T7_P12ihipStream_tbENKUlT_T0_E_clISt17integral_constantIbLb0EESY_IbLb1EEEEDaSU_SV_EUlSU_E_NS1_11comp_targetILNS1_3genE5ELNS1_11target_archE942ELNS1_3gpuE9ELNS1_3repE0EEENS1_30default_config_static_selectorELNS0_4arch9wavefront6targetE0EEEvT1_.private_seg_size, 0
	.set _ZN7rocprim17ROCPRIM_400000_NS6detail17trampoline_kernelINS0_14default_configENS1_27scan_by_key_config_selectorIssEEZZNS1_16scan_by_key_implILNS1_25lookback_scan_determinismE0ELb0ES3_N6thrust23THRUST_200600_302600_NS6detail15normal_iteratorINS9_10device_ptrIsEEEESE_SE_sNS9_10multipliesIsEENS9_8equal_toIsEEsEE10hipError_tPvRmT2_T3_T4_T5_mT6_T7_P12ihipStream_tbENKUlT_T0_E_clISt17integral_constantIbLb0EESY_IbLb1EEEEDaSU_SV_EUlSU_E_NS1_11comp_targetILNS1_3genE5ELNS1_11target_archE942ELNS1_3gpuE9ELNS1_3repE0EEENS1_30default_config_static_selectorELNS0_4arch9wavefront6targetE0EEEvT1_.uses_vcc, 0
	.set _ZN7rocprim17ROCPRIM_400000_NS6detail17trampoline_kernelINS0_14default_configENS1_27scan_by_key_config_selectorIssEEZZNS1_16scan_by_key_implILNS1_25lookback_scan_determinismE0ELb0ES3_N6thrust23THRUST_200600_302600_NS6detail15normal_iteratorINS9_10device_ptrIsEEEESE_SE_sNS9_10multipliesIsEENS9_8equal_toIsEEsEE10hipError_tPvRmT2_T3_T4_T5_mT6_T7_P12ihipStream_tbENKUlT_T0_E_clISt17integral_constantIbLb0EESY_IbLb1EEEEDaSU_SV_EUlSU_E_NS1_11comp_targetILNS1_3genE5ELNS1_11target_archE942ELNS1_3gpuE9ELNS1_3repE0EEENS1_30default_config_static_selectorELNS0_4arch9wavefront6targetE0EEEvT1_.uses_flat_scratch, 0
	.set _ZN7rocprim17ROCPRIM_400000_NS6detail17trampoline_kernelINS0_14default_configENS1_27scan_by_key_config_selectorIssEEZZNS1_16scan_by_key_implILNS1_25lookback_scan_determinismE0ELb0ES3_N6thrust23THRUST_200600_302600_NS6detail15normal_iteratorINS9_10device_ptrIsEEEESE_SE_sNS9_10multipliesIsEENS9_8equal_toIsEEsEE10hipError_tPvRmT2_T3_T4_T5_mT6_T7_P12ihipStream_tbENKUlT_T0_E_clISt17integral_constantIbLb0EESY_IbLb1EEEEDaSU_SV_EUlSU_E_NS1_11comp_targetILNS1_3genE5ELNS1_11target_archE942ELNS1_3gpuE9ELNS1_3repE0EEENS1_30default_config_static_selectorELNS0_4arch9wavefront6targetE0EEEvT1_.has_dyn_sized_stack, 0
	.set _ZN7rocprim17ROCPRIM_400000_NS6detail17trampoline_kernelINS0_14default_configENS1_27scan_by_key_config_selectorIssEEZZNS1_16scan_by_key_implILNS1_25lookback_scan_determinismE0ELb0ES3_N6thrust23THRUST_200600_302600_NS6detail15normal_iteratorINS9_10device_ptrIsEEEESE_SE_sNS9_10multipliesIsEENS9_8equal_toIsEEsEE10hipError_tPvRmT2_T3_T4_T5_mT6_T7_P12ihipStream_tbENKUlT_T0_E_clISt17integral_constantIbLb0EESY_IbLb1EEEEDaSU_SV_EUlSU_E_NS1_11comp_targetILNS1_3genE5ELNS1_11target_archE942ELNS1_3gpuE9ELNS1_3repE0EEENS1_30default_config_static_selectorELNS0_4arch9wavefront6targetE0EEEvT1_.has_recursion, 0
	.set _ZN7rocprim17ROCPRIM_400000_NS6detail17trampoline_kernelINS0_14default_configENS1_27scan_by_key_config_selectorIssEEZZNS1_16scan_by_key_implILNS1_25lookback_scan_determinismE0ELb0ES3_N6thrust23THRUST_200600_302600_NS6detail15normal_iteratorINS9_10device_ptrIsEEEESE_SE_sNS9_10multipliesIsEENS9_8equal_toIsEEsEE10hipError_tPvRmT2_T3_T4_T5_mT6_T7_P12ihipStream_tbENKUlT_T0_E_clISt17integral_constantIbLb0EESY_IbLb1EEEEDaSU_SV_EUlSU_E_NS1_11comp_targetILNS1_3genE5ELNS1_11target_archE942ELNS1_3gpuE9ELNS1_3repE0EEENS1_30default_config_static_selectorELNS0_4arch9wavefront6targetE0EEEvT1_.has_indirect_call, 0
	.section	.AMDGPU.csdata,"",@progbits
; Kernel info:
; codeLenInByte = 0
; TotalNumSgprs: 0
; NumVgprs: 0
; ScratchSize: 0
; MemoryBound: 0
; FloatMode: 240
; IeeeMode: 1
; LDSByteSize: 0 bytes/workgroup (compile time only)
; SGPRBlocks: 0
; VGPRBlocks: 0
; NumSGPRsForWavesPerEU: 1
; NumVGPRsForWavesPerEU: 1
; Occupancy: 16
; WaveLimiterHint : 0
; COMPUTE_PGM_RSRC2:SCRATCH_EN: 0
; COMPUTE_PGM_RSRC2:USER_SGPR: 6
; COMPUTE_PGM_RSRC2:TRAP_HANDLER: 0
; COMPUTE_PGM_RSRC2:TGID_X_EN: 1
; COMPUTE_PGM_RSRC2:TGID_Y_EN: 0
; COMPUTE_PGM_RSRC2:TGID_Z_EN: 0
; COMPUTE_PGM_RSRC2:TIDIG_COMP_CNT: 0
	.section	.text._ZN7rocprim17ROCPRIM_400000_NS6detail17trampoline_kernelINS0_14default_configENS1_27scan_by_key_config_selectorIssEEZZNS1_16scan_by_key_implILNS1_25lookback_scan_determinismE0ELb0ES3_N6thrust23THRUST_200600_302600_NS6detail15normal_iteratorINS9_10device_ptrIsEEEESE_SE_sNS9_10multipliesIsEENS9_8equal_toIsEEsEE10hipError_tPvRmT2_T3_T4_T5_mT6_T7_P12ihipStream_tbENKUlT_T0_E_clISt17integral_constantIbLb0EESY_IbLb1EEEEDaSU_SV_EUlSU_E_NS1_11comp_targetILNS1_3genE4ELNS1_11target_archE910ELNS1_3gpuE8ELNS1_3repE0EEENS1_30default_config_static_selectorELNS0_4arch9wavefront6targetE0EEEvT1_,"axG",@progbits,_ZN7rocprim17ROCPRIM_400000_NS6detail17trampoline_kernelINS0_14default_configENS1_27scan_by_key_config_selectorIssEEZZNS1_16scan_by_key_implILNS1_25lookback_scan_determinismE0ELb0ES3_N6thrust23THRUST_200600_302600_NS6detail15normal_iteratorINS9_10device_ptrIsEEEESE_SE_sNS9_10multipliesIsEENS9_8equal_toIsEEsEE10hipError_tPvRmT2_T3_T4_T5_mT6_T7_P12ihipStream_tbENKUlT_T0_E_clISt17integral_constantIbLb0EESY_IbLb1EEEEDaSU_SV_EUlSU_E_NS1_11comp_targetILNS1_3genE4ELNS1_11target_archE910ELNS1_3gpuE8ELNS1_3repE0EEENS1_30default_config_static_selectorELNS0_4arch9wavefront6targetE0EEEvT1_,comdat
	.protected	_ZN7rocprim17ROCPRIM_400000_NS6detail17trampoline_kernelINS0_14default_configENS1_27scan_by_key_config_selectorIssEEZZNS1_16scan_by_key_implILNS1_25lookback_scan_determinismE0ELb0ES3_N6thrust23THRUST_200600_302600_NS6detail15normal_iteratorINS9_10device_ptrIsEEEESE_SE_sNS9_10multipliesIsEENS9_8equal_toIsEEsEE10hipError_tPvRmT2_T3_T4_T5_mT6_T7_P12ihipStream_tbENKUlT_T0_E_clISt17integral_constantIbLb0EESY_IbLb1EEEEDaSU_SV_EUlSU_E_NS1_11comp_targetILNS1_3genE4ELNS1_11target_archE910ELNS1_3gpuE8ELNS1_3repE0EEENS1_30default_config_static_selectorELNS0_4arch9wavefront6targetE0EEEvT1_ ; -- Begin function _ZN7rocprim17ROCPRIM_400000_NS6detail17trampoline_kernelINS0_14default_configENS1_27scan_by_key_config_selectorIssEEZZNS1_16scan_by_key_implILNS1_25lookback_scan_determinismE0ELb0ES3_N6thrust23THRUST_200600_302600_NS6detail15normal_iteratorINS9_10device_ptrIsEEEESE_SE_sNS9_10multipliesIsEENS9_8equal_toIsEEsEE10hipError_tPvRmT2_T3_T4_T5_mT6_T7_P12ihipStream_tbENKUlT_T0_E_clISt17integral_constantIbLb0EESY_IbLb1EEEEDaSU_SV_EUlSU_E_NS1_11comp_targetILNS1_3genE4ELNS1_11target_archE910ELNS1_3gpuE8ELNS1_3repE0EEENS1_30default_config_static_selectorELNS0_4arch9wavefront6targetE0EEEvT1_
	.globl	_ZN7rocprim17ROCPRIM_400000_NS6detail17trampoline_kernelINS0_14default_configENS1_27scan_by_key_config_selectorIssEEZZNS1_16scan_by_key_implILNS1_25lookback_scan_determinismE0ELb0ES3_N6thrust23THRUST_200600_302600_NS6detail15normal_iteratorINS9_10device_ptrIsEEEESE_SE_sNS9_10multipliesIsEENS9_8equal_toIsEEsEE10hipError_tPvRmT2_T3_T4_T5_mT6_T7_P12ihipStream_tbENKUlT_T0_E_clISt17integral_constantIbLb0EESY_IbLb1EEEEDaSU_SV_EUlSU_E_NS1_11comp_targetILNS1_3genE4ELNS1_11target_archE910ELNS1_3gpuE8ELNS1_3repE0EEENS1_30default_config_static_selectorELNS0_4arch9wavefront6targetE0EEEvT1_
	.p2align	8
	.type	_ZN7rocprim17ROCPRIM_400000_NS6detail17trampoline_kernelINS0_14default_configENS1_27scan_by_key_config_selectorIssEEZZNS1_16scan_by_key_implILNS1_25lookback_scan_determinismE0ELb0ES3_N6thrust23THRUST_200600_302600_NS6detail15normal_iteratorINS9_10device_ptrIsEEEESE_SE_sNS9_10multipliesIsEENS9_8equal_toIsEEsEE10hipError_tPvRmT2_T3_T4_T5_mT6_T7_P12ihipStream_tbENKUlT_T0_E_clISt17integral_constantIbLb0EESY_IbLb1EEEEDaSU_SV_EUlSU_E_NS1_11comp_targetILNS1_3genE4ELNS1_11target_archE910ELNS1_3gpuE8ELNS1_3repE0EEENS1_30default_config_static_selectorELNS0_4arch9wavefront6targetE0EEEvT1_,@function
_ZN7rocprim17ROCPRIM_400000_NS6detail17trampoline_kernelINS0_14default_configENS1_27scan_by_key_config_selectorIssEEZZNS1_16scan_by_key_implILNS1_25lookback_scan_determinismE0ELb0ES3_N6thrust23THRUST_200600_302600_NS6detail15normal_iteratorINS9_10device_ptrIsEEEESE_SE_sNS9_10multipliesIsEENS9_8equal_toIsEEsEE10hipError_tPvRmT2_T3_T4_T5_mT6_T7_P12ihipStream_tbENKUlT_T0_E_clISt17integral_constantIbLb0EESY_IbLb1EEEEDaSU_SV_EUlSU_E_NS1_11comp_targetILNS1_3genE4ELNS1_11target_archE910ELNS1_3gpuE8ELNS1_3repE0EEENS1_30default_config_static_selectorELNS0_4arch9wavefront6targetE0EEEvT1_: ; @_ZN7rocprim17ROCPRIM_400000_NS6detail17trampoline_kernelINS0_14default_configENS1_27scan_by_key_config_selectorIssEEZZNS1_16scan_by_key_implILNS1_25lookback_scan_determinismE0ELb0ES3_N6thrust23THRUST_200600_302600_NS6detail15normal_iteratorINS9_10device_ptrIsEEEESE_SE_sNS9_10multipliesIsEENS9_8equal_toIsEEsEE10hipError_tPvRmT2_T3_T4_T5_mT6_T7_P12ihipStream_tbENKUlT_T0_E_clISt17integral_constantIbLb0EESY_IbLb1EEEEDaSU_SV_EUlSU_E_NS1_11comp_targetILNS1_3genE4ELNS1_11target_archE910ELNS1_3gpuE8ELNS1_3repE0EEENS1_30default_config_static_selectorELNS0_4arch9wavefront6targetE0EEEvT1_
; %bb.0:
	.section	.rodata,"a",@progbits
	.p2align	6, 0x0
	.amdhsa_kernel _ZN7rocprim17ROCPRIM_400000_NS6detail17trampoline_kernelINS0_14default_configENS1_27scan_by_key_config_selectorIssEEZZNS1_16scan_by_key_implILNS1_25lookback_scan_determinismE0ELb0ES3_N6thrust23THRUST_200600_302600_NS6detail15normal_iteratorINS9_10device_ptrIsEEEESE_SE_sNS9_10multipliesIsEENS9_8equal_toIsEEsEE10hipError_tPvRmT2_T3_T4_T5_mT6_T7_P12ihipStream_tbENKUlT_T0_E_clISt17integral_constantIbLb0EESY_IbLb1EEEEDaSU_SV_EUlSU_E_NS1_11comp_targetILNS1_3genE4ELNS1_11target_archE910ELNS1_3gpuE8ELNS1_3repE0EEENS1_30default_config_static_selectorELNS0_4arch9wavefront6targetE0EEEvT1_
		.amdhsa_group_segment_fixed_size 0
		.amdhsa_private_segment_fixed_size 0
		.amdhsa_kernarg_size 112
		.amdhsa_user_sgpr_count 6
		.amdhsa_user_sgpr_private_segment_buffer 1
		.amdhsa_user_sgpr_dispatch_ptr 0
		.amdhsa_user_sgpr_queue_ptr 0
		.amdhsa_user_sgpr_kernarg_segment_ptr 1
		.amdhsa_user_sgpr_dispatch_id 0
		.amdhsa_user_sgpr_flat_scratch_init 0
		.amdhsa_user_sgpr_private_segment_size 0
		.amdhsa_wavefront_size32 1
		.amdhsa_uses_dynamic_stack 0
		.amdhsa_system_sgpr_private_segment_wavefront_offset 0
		.amdhsa_system_sgpr_workgroup_id_x 1
		.amdhsa_system_sgpr_workgroup_id_y 0
		.amdhsa_system_sgpr_workgroup_id_z 0
		.amdhsa_system_sgpr_workgroup_info 0
		.amdhsa_system_vgpr_workitem_id 0
		.amdhsa_next_free_vgpr 1
		.amdhsa_next_free_sgpr 1
		.amdhsa_reserve_vcc 0
		.amdhsa_reserve_flat_scratch 0
		.amdhsa_float_round_mode_32 0
		.amdhsa_float_round_mode_16_64 0
		.amdhsa_float_denorm_mode_32 3
		.amdhsa_float_denorm_mode_16_64 3
		.amdhsa_dx10_clamp 1
		.amdhsa_ieee_mode 1
		.amdhsa_fp16_overflow 0
		.amdhsa_workgroup_processor_mode 1
		.amdhsa_memory_ordered 1
		.amdhsa_forward_progress 1
		.amdhsa_shared_vgpr_count 0
		.amdhsa_exception_fp_ieee_invalid_op 0
		.amdhsa_exception_fp_denorm_src 0
		.amdhsa_exception_fp_ieee_div_zero 0
		.amdhsa_exception_fp_ieee_overflow 0
		.amdhsa_exception_fp_ieee_underflow 0
		.amdhsa_exception_fp_ieee_inexact 0
		.amdhsa_exception_int_div_zero 0
	.end_amdhsa_kernel
	.section	.text._ZN7rocprim17ROCPRIM_400000_NS6detail17trampoline_kernelINS0_14default_configENS1_27scan_by_key_config_selectorIssEEZZNS1_16scan_by_key_implILNS1_25lookback_scan_determinismE0ELb0ES3_N6thrust23THRUST_200600_302600_NS6detail15normal_iteratorINS9_10device_ptrIsEEEESE_SE_sNS9_10multipliesIsEENS9_8equal_toIsEEsEE10hipError_tPvRmT2_T3_T4_T5_mT6_T7_P12ihipStream_tbENKUlT_T0_E_clISt17integral_constantIbLb0EESY_IbLb1EEEEDaSU_SV_EUlSU_E_NS1_11comp_targetILNS1_3genE4ELNS1_11target_archE910ELNS1_3gpuE8ELNS1_3repE0EEENS1_30default_config_static_selectorELNS0_4arch9wavefront6targetE0EEEvT1_,"axG",@progbits,_ZN7rocprim17ROCPRIM_400000_NS6detail17trampoline_kernelINS0_14default_configENS1_27scan_by_key_config_selectorIssEEZZNS1_16scan_by_key_implILNS1_25lookback_scan_determinismE0ELb0ES3_N6thrust23THRUST_200600_302600_NS6detail15normal_iteratorINS9_10device_ptrIsEEEESE_SE_sNS9_10multipliesIsEENS9_8equal_toIsEEsEE10hipError_tPvRmT2_T3_T4_T5_mT6_T7_P12ihipStream_tbENKUlT_T0_E_clISt17integral_constantIbLb0EESY_IbLb1EEEEDaSU_SV_EUlSU_E_NS1_11comp_targetILNS1_3genE4ELNS1_11target_archE910ELNS1_3gpuE8ELNS1_3repE0EEENS1_30default_config_static_selectorELNS0_4arch9wavefront6targetE0EEEvT1_,comdat
.Lfunc_end311:
	.size	_ZN7rocprim17ROCPRIM_400000_NS6detail17trampoline_kernelINS0_14default_configENS1_27scan_by_key_config_selectorIssEEZZNS1_16scan_by_key_implILNS1_25lookback_scan_determinismE0ELb0ES3_N6thrust23THRUST_200600_302600_NS6detail15normal_iteratorINS9_10device_ptrIsEEEESE_SE_sNS9_10multipliesIsEENS9_8equal_toIsEEsEE10hipError_tPvRmT2_T3_T4_T5_mT6_T7_P12ihipStream_tbENKUlT_T0_E_clISt17integral_constantIbLb0EESY_IbLb1EEEEDaSU_SV_EUlSU_E_NS1_11comp_targetILNS1_3genE4ELNS1_11target_archE910ELNS1_3gpuE8ELNS1_3repE0EEENS1_30default_config_static_selectorELNS0_4arch9wavefront6targetE0EEEvT1_, .Lfunc_end311-_ZN7rocprim17ROCPRIM_400000_NS6detail17trampoline_kernelINS0_14default_configENS1_27scan_by_key_config_selectorIssEEZZNS1_16scan_by_key_implILNS1_25lookback_scan_determinismE0ELb0ES3_N6thrust23THRUST_200600_302600_NS6detail15normal_iteratorINS9_10device_ptrIsEEEESE_SE_sNS9_10multipliesIsEENS9_8equal_toIsEEsEE10hipError_tPvRmT2_T3_T4_T5_mT6_T7_P12ihipStream_tbENKUlT_T0_E_clISt17integral_constantIbLb0EESY_IbLb1EEEEDaSU_SV_EUlSU_E_NS1_11comp_targetILNS1_3genE4ELNS1_11target_archE910ELNS1_3gpuE8ELNS1_3repE0EEENS1_30default_config_static_selectorELNS0_4arch9wavefront6targetE0EEEvT1_
                                        ; -- End function
	.set _ZN7rocprim17ROCPRIM_400000_NS6detail17trampoline_kernelINS0_14default_configENS1_27scan_by_key_config_selectorIssEEZZNS1_16scan_by_key_implILNS1_25lookback_scan_determinismE0ELb0ES3_N6thrust23THRUST_200600_302600_NS6detail15normal_iteratorINS9_10device_ptrIsEEEESE_SE_sNS9_10multipliesIsEENS9_8equal_toIsEEsEE10hipError_tPvRmT2_T3_T4_T5_mT6_T7_P12ihipStream_tbENKUlT_T0_E_clISt17integral_constantIbLb0EESY_IbLb1EEEEDaSU_SV_EUlSU_E_NS1_11comp_targetILNS1_3genE4ELNS1_11target_archE910ELNS1_3gpuE8ELNS1_3repE0EEENS1_30default_config_static_selectorELNS0_4arch9wavefront6targetE0EEEvT1_.num_vgpr, 0
	.set _ZN7rocprim17ROCPRIM_400000_NS6detail17trampoline_kernelINS0_14default_configENS1_27scan_by_key_config_selectorIssEEZZNS1_16scan_by_key_implILNS1_25lookback_scan_determinismE0ELb0ES3_N6thrust23THRUST_200600_302600_NS6detail15normal_iteratorINS9_10device_ptrIsEEEESE_SE_sNS9_10multipliesIsEENS9_8equal_toIsEEsEE10hipError_tPvRmT2_T3_T4_T5_mT6_T7_P12ihipStream_tbENKUlT_T0_E_clISt17integral_constantIbLb0EESY_IbLb1EEEEDaSU_SV_EUlSU_E_NS1_11comp_targetILNS1_3genE4ELNS1_11target_archE910ELNS1_3gpuE8ELNS1_3repE0EEENS1_30default_config_static_selectorELNS0_4arch9wavefront6targetE0EEEvT1_.num_agpr, 0
	.set _ZN7rocprim17ROCPRIM_400000_NS6detail17trampoline_kernelINS0_14default_configENS1_27scan_by_key_config_selectorIssEEZZNS1_16scan_by_key_implILNS1_25lookback_scan_determinismE0ELb0ES3_N6thrust23THRUST_200600_302600_NS6detail15normal_iteratorINS9_10device_ptrIsEEEESE_SE_sNS9_10multipliesIsEENS9_8equal_toIsEEsEE10hipError_tPvRmT2_T3_T4_T5_mT6_T7_P12ihipStream_tbENKUlT_T0_E_clISt17integral_constantIbLb0EESY_IbLb1EEEEDaSU_SV_EUlSU_E_NS1_11comp_targetILNS1_3genE4ELNS1_11target_archE910ELNS1_3gpuE8ELNS1_3repE0EEENS1_30default_config_static_selectorELNS0_4arch9wavefront6targetE0EEEvT1_.numbered_sgpr, 0
	.set _ZN7rocprim17ROCPRIM_400000_NS6detail17trampoline_kernelINS0_14default_configENS1_27scan_by_key_config_selectorIssEEZZNS1_16scan_by_key_implILNS1_25lookback_scan_determinismE0ELb0ES3_N6thrust23THRUST_200600_302600_NS6detail15normal_iteratorINS9_10device_ptrIsEEEESE_SE_sNS9_10multipliesIsEENS9_8equal_toIsEEsEE10hipError_tPvRmT2_T3_T4_T5_mT6_T7_P12ihipStream_tbENKUlT_T0_E_clISt17integral_constantIbLb0EESY_IbLb1EEEEDaSU_SV_EUlSU_E_NS1_11comp_targetILNS1_3genE4ELNS1_11target_archE910ELNS1_3gpuE8ELNS1_3repE0EEENS1_30default_config_static_selectorELNS0_4arch9wavefront6targetE0EEEvT1_.num_named_barrier, 0
	.set _ZN7rocprim17ROCPRIM_400000_NS6detail17trampoline_kernelINS0_14default_configENS1_27scan_by_key_config_selectorIssEEZZNS1_16scan_by_key_implILNS1_25lookback_scan_determinismE0ELb0ES3_N6thrust23THRUST_200600_302600_NS6detail15normal_iteratorINS9_10device_ptrIsEEEESE_SE_sNS9_10multipliesIsEENS9_8equal_toIsEEsEE10hipError_tPvRmT2_T3_T4_T5_mT6_T7_P12ihipStream_tbENKUlT_T0_E_clISt17integral_constantIbLb0EESY_IbLb1EEEEDaSU_SV_EUlSU_E_NS1_11comp_targetILNS1_3genE4ELNS1_11target_archE910ELNS1_3gpuE8ELNS1_3repE0EEENS1_30default_config_static_selectorELNS0_4arch9wavefront6targetE0EEEvT1_.private_seg_size, 0
	.set _ZN7rocprim17ROCPRIM_400000_NS6detail17trampoline_kernelINS0_14default_configENS1_27scan_by_key_config_selectorIssEEZZNS1_16scan_by_key_implILNS1_25lookback_scan_determinismE0ELb0ES3_N6thrust23THRUST_200600_302600_NS6detail15normal_iteratorINS9_10device_ptrIsEEEESE_SE_sNS9_10multipliesIsEENS9_8equal_toIsEEsEE10hipError_tPvRmT2_T3_T4_T5_mT6_T7_P12ihipStream_tbENKUlT_T0_E_clISt17integral_constantIbLb0EESY_IbLb1EEEEDaSU_SV_EUlSU_E_NS1_11comp_targetILNS1_3genE4ELNS1_11target_archE910ELNS1_3gpuE8ELNS1_3repE0EEENS1_30default_config_static_selectorELNS0_4arch9wavefront6targetE0EEEvT1_.uses_vcc, 0
	.set _ZN7rocprim17ROCPRIM_400000_NS6detail17trampoline_kernelINS0_14default_configENS1_27scan_by_key_config_selectorIssEEZZNS1_16scan_by_key_implILNS1_25lookback_scan_determinismE0ELb0ES3_N6thrust23THRUST_200600_302600_NS6detail15normal_iteratorINS9_10device_ptrIsEEEESE_SE_sNS9_10multipliesIsEENS9_8equal_toIsEEsEE10hipError_tPvRmT2_T3_T4_T5_mT6_T7_P12ihipStream_tbENKUlT_T0_E_clISt17integral_constantIbLb0EESY_IbLb1EEEEDaSU_SV_EUlSU_E_NS1_11comp_targetILNS1_3genE4ELNS1_11target_archE910ELNS1_3gpuE8ELNS1_3repE0EEENS1_30default_config_static_selectorELNS0_4arch9wavefront6targetE0EEEvT1_.uses_flat_scratch, 0
	.set _ZN7rocprim17ROCPRIM_400000_NS6detail17trampoline_kernelINS0_14default_configENS1_27scan_by_key_config_selectorIssEEZZNS1_16scan_by_key_implILNS1_25lookback_scan_determinismE0ELb0ES3_N6thrust23THRUST_200600_302600_NS6detail15normal_iteratorINS9_10device_ptrIsEEEESE_SE_sNS9_10multipliesIsEENS9_8equal_toIsEEsEE10hipError_tPvRmT2_T3_T4_T5_mT6_T7_P12ihipStream_tbENKUlT_T0_E_clISt17integral_constantIbLb0EESY_IbLb1EEEEDaSU_SV_EUlSU_E_NS1_11comp_targetILNS1_3genE4ELNS1_11target_archE910ELNS1_3gpuE8ELNS1_3repE0EEENS1_30default_config_static_selectorELNS0_4arch9wavefront6targetE0EEEvT1_.has_dyn_sized_stack, 0
	.set _ZN7rocprim17ROCPRIM_400000_NS6detail17trampoline_kernelINS0_14default_configENS1_27scan_by_key_config_selectorIssEEZZNS1_16scan_by_key_implILNS1_25lookback_scan_determinismE0ELb0ES3_N6thrust23THRUST_200600_302600_NS6detail15normal_iteratorINS9_10device_ptrIsEEEESE_SE_sNS9_10multipliesIsEENS9_8equal_toIsEEsEE10hipError_tPvRmT2_T3_T4_T5_mT6_T7_P12ihipStream_tbENKUlT_T0_E_clISt17integral_constantIbLb0EESY_IbLb1EEEEDaSU_SV_EUlSU_E_NS1_11comp_targetILNS1_3genE4ELNS1_11target_archE910ELNS1_3gpuE8ELNS1_3repE0EEENS1_30default_config_static_selectorELNS0_4arch9wavefront6targetE0EEEvT1_.has_recursion, 0
	.set _ZN7rocprim17ROCPRIM_400000_NS6detail17trampoline_kernelINS0_14default_configENS1_27scan_by_key_config_selectorIssEEZZNS1_16scan_by_key_implILNS1_25lookback_scan_determinismE0ELb0ES3_N6thrust23THRUST_200600_302600_NS6detail15normal_iteratorINS9_10device_ptrIsEEEESE_SE_sNS9_10multipliesIsEENS9_8equal_toIsEEsEE10hipError_tPvRmT2_T3_T4_T5_mT6_T7_P12ihipStream_tbENKUlT_T0_E_clISt17integral_constantIbLb0EESY_IbLb1EEEEDaSU_SV_EUlSU_E_NS1_11comp_targetILNS1_3genE4ELNS1_11target_archE910ELNS1_3gpuE8ELNS1_3repE0EEENS1_30default_config_static_selectorELNS0_4arch9wavefront6targetE0EEEvT1_.has_indirect_call, 0
	.section	.AMDGPU.csdata,"",@progbits
; Kernel info:
; codeLenInByte = 0
; TotalNumSgprs: 0
; NumVgprs: 0
; ScratchSize: 0
; MemoryBound: 0
; FloatMode: 240
; IeeeMode: 1
; LDSByteSize: 0 bytes/workgroup (compile time only)
; SGPRBlocks: 0
; VGPRBlocks: 0
; NumSGPRsForWavesPerEU: 1
; NumVGPRsForWavesPerEU: 1
; Occupancy: 16
; WaveLimiterHint : 0
; COMPUTE_PGM_RSRC2:SCRATCH_EN: 0
; COMPUTE_PGM_RSRC2:USER_SGPR: 6
; COMPUTE_PGM_RSRC2:TRAP_HANDLER: 0
; COMPUTE_PGM_RSRC2:TGID_X_EN: 1
; COMPUTE_PGM_RSRC2:TGID_Y_EN: 0
; COMPUTE_PGM_RSRC2:TGID_Z_EN: 0
; COMPUTE_PGM_RSRC2:TIDIG_COMP_CNT: 0
	.section	.text._ZN7rocprim17ROCPRIM_400000_NS6detail17trampoline_kernelINS0_14default_configENS1_27scan_by_key_config_selectorIssEEZZNS1_16scan_by_key_implILNS1_25lookback_scan_determinismE0ELb0ES3_N6thrust23THRUST_200600_302600_NS6detail15normal_iteratorINS9_10device_ptrIsEEEESE_SE_sNS9_10multipliesIsEENS9_8equal_toIsEEsEE10hipError_tPvRmT2_T3_T4_T5_mT6_T7_P12ihipStream_tbENKUlT_T0_E_clISt17integral_constantIbLb0EESY_IbLb1EEEEDaSU_SV_EUlSU_E_NS1_11comp_targetILNS1_3genE3ELNS1_11target_archE908ELNS1_3gpuE7ELNS1_3repE0EEENS1_30default_config_static_selectorELNS0_4arch9wavefront6targetE0EEEvT1_,"axG",@progbits,_ZN7rocprim17ROCPRIM_400000_NS6detail17trampoline_kernelINS0_14default_configENS1_27scan_by_key_config_selectorIssEEZZNS1_16scan_by_key_implILNS1_25lookback_scan_determinismE0ELb0ES3_N6thrust23THRUST_200600_302600_NS6detail15normal_iteratorINS9_10device_ptrIsEEEESE_SE_sNS9_10multipliesIsEENS9_8equal_toIsEEsEE10hipError_tPvRmT2_T3_T4_T5_mT6_T7_P12ihipStream_tbENKUlT_T0_E_clISt17integral_constantIbLb0EESY_IbLb1EEEEDaSU_SV_EUlSU_E_NS1_11comp_targetILNS1_3genE3ELNS1_11target_archE908ELNS1_3gpuE7ELNS1_3repE0EEENS1_30default_config_static_selectorELNS0_4arch9wavefront6targetE0EEEvT1_,comdat
	.protected	_ZN7rocprim17ROCPRIM_400000_NS6detail17trampoline_kernelINS0_14default_configENS1_27scan_by_key_config_selectorIssEEZZNS1_16scan_by_key_implILNS1_25lookback_scan_determinismE0ELb0ES3_N6thrust23THRUST_200600_302600_NS6detail15normal_iteratorINS9_10device_ptrIsEEEESE_SE_sNS9_10multipliesIsEENS9_8equal_toIsEEsEE10hipError_tPvRmT2_T3_T4_T5_mT6_T7_P12ihipStream_tbENKUlT_T0_E_clISt17integral_constantIbLb0EESY_IbLb1EEEEDaSU_SV_EUlSU_E_NS1_11comp_targetILNS1_3genE3ELNS1_11target_archE908ELNS1_3gpuE7ELNS1_3repE0EEENS1_30default_config_static_selectorELNS0_4arch9wavefront6targetE0EEEvT1_ ; -- Begin function _ZN7rocprim17ROCPRIM_400000_NS6detail17trampoline_kernelINS0_14default_configENS1_27scan_by_key_config_selectorIssEEZZNS1_16scan_by_key_implILNS1_25lookback_scan_determinismE0ELb0ES3_N6thrust23THRUST_200600_302600_NS6detail15normal_iteratorINS9_10device_ptrIsEEEESE_SE_sNS9_10multipliesIsEENS9_8equal_toIsEEsEE10hipError_tPvRmT2_T3_T4_T5_mT6_T7_P12ihipStream_tbENKUlT_T0_E_clISt17integral_constantIbLb0EESY_IbLb1EEEEDaSU_SV_EUlSU_E_NS1_11comp_targetILNS1_3genE3ELNS1_11target_archE908ELNS1_3gpuE7ELNS1_3repE0EEENS1_30default_config_static_selectorELNS0_4arch9wavefront6targetE0EEEvT1_
	.globl	_ZN7rocprim17ROCPRIM_400000_NS6detail17trampoline_kernelINS0_14default_configENS1_27scan_by_key_config_selectorIssEEZZNS1_16scan_by_key_implILNS1_25lookback_scan_determinismE0ELb0ES3_N6thrust23THRUST_200600_302600_NS6detail15normal_iteratorINS9_10device_ptrIsEEEESE_SE_sNS9_10multipliesIsEENS9_8equal_toIsEEsEE10hipError_tPvRmT2_T3_T4_T5_mT6_T7_P12ihipStream_tbENKUlT_T0_E_clISt17integral_constantIbLb0EESY_IbLb1EEEEDaSU_SV_EUlSU_E_NS1_11comp_targetILNS1_3genE3ELNS1_11target_archE908ELNS1_3gpuE7ELNS1_3repE0EEENS1_30default_config_static_selectorELNS0_4arch9wavefront6targetE0EEEvT1_
	.p2align	8
	.type	_ZN7rocprim17ROCPRIM_400000_NS6detail17trampoline_kernelINS0_14default_configENS1_27scan_by_key_config_selectorIssEEZZNS1_16scan_by_key_implILNS1_25lookback_scan_determinismE0ELb0ES3_N6thrust23THRUST_200600_302600_NS6detail15normal_iteratorINS9_10device_ptrIsEEEESE_SE_sNS9_10multipliesIsEENS9_8equal_toIsEEsEE10hipError_tPvRmT2_T3_T4_T5_mT6_T7_P12ihipStream_tbENKUlT_T0_E_clISt17integral_constantIbLb0EESY_IbLb1EEEEDaSU_SV_EUlSU_E_NS1_11comp_targetILNS1_3genE3ELNS1_11target_archE908ELNS1_3gpuE7ELNS1_3repE0EEENS1_30default_config_static_selectorELNS0_4arch9wavefront6targetE0EEEvT1_,@function
_ZN7rocprim17ROCPRIM_400000_NS6detail17trampoline_kernelINS0_14default_configENS1_27scan_by_key_config_selectorIssEEZZNS1_16scan_by_key_implILNS1_25lookback_scan_determinismE0ELb0ES3_N6thrust23THRUST_200600_302600_NS6detail15normal_iteratorINS9_10device_ptrIsEEEESE_SE_sNS9_10multipliesIsEENS9_8equal_toIsEEsEE10hipError_tPvRmT2_T3_T4_T5_mT6_T7_P12ihipStream_tbENKUlT_T0_E_clISt17integral_constantIbLb0EESY_IbLb1EEEEDaSU_SV_EUlSU_E_NS1_11comp_targetILNS1_3genE3ELNS1_11target_archE908ELNS1_3gpuE7ELNS1_3repE0EEENS1_30default_config_static_selectorELNS0_4arch9wavefront6targetE0EEEvT1_: ; @_ZN7rocprim17ROCPRIM_400000_NS6detail17trampoline_kernelINS0_14default_configENS1_27scan_by_key_config_selectorIssEEZZNS1_16scan_by_key_implILNS1_25lookback_scan_determinismE0ELb0ES3_N6thrust23THRUST_200600_302600_NS6detail15normal_iteratorINS9_10device_ptrIsEEEESE_SE_sNS9_10multipliesIsEENS9_8equal_toIsEEsEE10hipError_tPvRmT2_T3_T4_T5_mT6_T7_P12ihipStream_tbENKUlT_T0_E_clISt17integral_constantIbLb0EESY_IbLb1EEEEDaSU_SV_EUlSU_E_NS1_11comp_targetILNS1_3genE3ELNS1_11target_archE908ELNS1_3gpuE7ELNS1_3repE0EEENS1_30default_config_static_selectorELNS0_4arch9wavefront6targetE0EEEvT1_
; %bb.0:
	.section	.rodata,"a",@progbits
	.p2align	6, 0x0
	.amdhsa_kernel _ZN7rocprim17ROCPRIM_400000_NS6detail17trampoline_kernelINS0_14default_configENS1_27scan_by_key_config_selectorIssEEZZNS1_16scan_by_key_implILNS1_25lookback_scan_determinismE0ELb0ES3_N6thrust23THRUST_200600_302600_NS6detail15normal_iteratorINS9_10device_ptrIsEEEESE_SE_sNS9_10multipliesIsEENS9_8equal_toIsEEsEE10hipError_tPvRmT2_T3_T4_T5_mT6_T7_P12ihipStream_tbENKUlT_T0_E_clISt17integral_constantIbLb0EESY_IbLb1EEEEDaSU_SV_EUlSU_E_NS1_11comp_targetILNS1_3genE3ELNS1_11target_archE908ELNS1_3gpuE7ELNS1_3repE0EEENS1_30default_config_static_selectorELNS0_4arch9wavefront6targetE0EEEvT1_
		.amdhsa_group_segment_fixed_size 0
		.amdhsa_private_segment_fixed_size 0
		.amdhsa_kernarg_size 112
		.amdhsa_user_sgpr_count 6
		.amdhsa_user_sgpr_private_segment_buffer 1
		.amdhsa_user_sgpr_dispatch_ptr 0
		.amdhsa_user_sgpr_queue_ptr 0
		.amdhsa_user_sgpr_kernarg_segment_ptr 1
		.amdhsa_user_sgpr_dispatch_id 0
		.amdhsa_user_sgpr_flat_scratch_init 0
		.amdhsa_user_sgpr_private_segment_size 0
		.amdhsa_wavefront_size32 1
		.amdhsa_uses_dynamic_stack 0
		.amdhsa_system_sgpr_private_segment_wavefront_offset 0
		.amdhsa_system_sgpr_workgroup_id_x 1
		.amdhsa_system_sgpr_workgroup_id_y 0
		.amdhsa_system_sgpr_workgroup_id_z 0
		.amdhsa_system_sgpr_workgroup_info 0
		.amdhsa_system_vgpr_workitem_id 0
		.amdhsa_next_free_vgpr 1
		.amdhsa_next_free_sgpr 1
		.amdhsa_reserve_vcc 0
		.amdhsa_reserve_flat_scratch 0
		.amdhsa_float_round_mode_32 0
		.amdhsa_float_round_mode_16_64 0
		.amdhsa_float_denorm_mode_32 3
		.amdhsa_float_denorm_mode_16_64 3
		.amdhsa_dx10_clamp 1
		.amdhsa_ieee_mode 1
		.amdhsa_fp16_overflow 0
		.amdhsa_workgroup_processor_mode 1
		.amdhsa_memory_ordered 1
		.amdhsa_forward_progress 1
		.amdhsa_shared_vgpr_count 0
		.amdhsa_exception_fp_ieee_invalid_op 0
		.amdhsa_exception_fp_denorm_src 0
		.amdhsa_exception_fp_ieee_div_zero 0
		.amdhsa_exception_fp_ieee_overflow 0
		.amdhsa_exception_fp_ieee_underflow 0
		.amdhsa_exception_fp_ieee_inexact 0
		.amdhsa_exception_int_div_zero 0
	.end_amdhsa_kernel
	.section	.text._ZN7rocprim17ROCPRIM_400000_NS6detail17trampoline_kernelINS0_14default_configENS1_27scan_by_key_config_selectorIssEEZZNS1_16scan_by_key_implILNS1_25lookback_scan_determinismE0ELb0ES3_N6thrust23THRUST_200600_302600_NS6detail15normal_iteratorINS9_10device_ptrIsEEEESE_SE_sNS9_10multipliesIsEENS9_8equal_toIsEEsEE10hipError_tPvRmT2_T3_T4_T5_mT6_T7_P12ihipStream_tbENKUlT_T0_E_clISt17integral_constantIbLb0EESY_IbLb1EEEEDaSU_SV_EUlSU_E_NS1_11comp_targetILNS1_3genE3ELNS1_11target_archE908ELNS1_3gpuE7ELNS1_3repE0EEENS1_30default_config_static_selectorELNS0_4arch9wavefront6targetE0EEEvT1_,"axG",@progbits,_ZN7rocprim17ROCPRIM_400000_NS6detail17trampoline_kernelINS0_14default_configENS1_27scan_by_key_config_selectorIssEEZZNS1_16scan_by_key_implILNS1_25lookback_scan_determinismE0ELb0ES3_N6thrust23THRUST_200600_302600_NS6detail15normal_iteratorINS9_10device_ptrIsEEEESE_SE_sNS9_10multipliesIsEENS9_8equal_toIsEEsEE10hipError_tPvRmT2_T3_T4_T5_mT6_T7_P12ihipStream_tbENKUlT_T0_E_clISt17integral_constantIbLb0EESY_IbLb1EEEEDaSU_SV_EUlSU_E_NS1_11comp_targetILNS1_3genE3ELNS1_11target_archE908ELNS1_3gpuE7ELNS1_3repE0EEENS1_30default_config_static_selectorELNS0_4arch9wavefront6targetE0EEEvT1_,comdat
.Lfunc_end312:
	.size	_ZN7rocprim17ROCPRIM_400000_NS6detail17trampoline_kernelINS0_14default_configENS1_27scan_by_key_config_selectorIssEEZZNS1_16scan_by_key_implILNS1_25lookback_scan_determinismE0ELb0ES3_N6thrust23THRUST_200600_302600_NS6detail15normal_iteratorINS9_10device_ptrIsEEEESE_SE_sNS9_10multipliesIsEENS9_8equal_toIsEEsEE10hipError_tPvRmT2_T3_T4_T5_mT6_T7_P12ihipStream_tbENKUlT_T0_E_clISt17integral_constantIbLb0EESY_IbLb1EEEEDaSU_SV_EUlSU_E_NS1_11comp_targetILNS1_3genE3ELNS1_11target_archE908ELNS1_3gpuE7ELNS1_3repE0EEENS1_30default_config_static_selectorELNS0_4arch9wavefront6targetE0EEEvT1_, .Lfunc_end312-_ZN7rocprim17ROCPRIM_400000_NS6detail17trampoline_kernelINS0_14default_configENS1_27scan_by_key_config_selectorIssEEZZNS1_16scan_by_key_implILNS1_25lookback_scan_determinismE0ELb0ES3_N6thrust23THRUST_200600_302600_NS6detail15normal_iteratorINS9_10device_ptrIsEEEESE_SE_sNS9_10multipliesIsEENS9_8equal_toIsEEsEE10hipError_tPvRmT2_T3_T4_T5_mT6_T7_P12ihipStream_tbENKUlT_T0_E_clISt17integral_constantIbLb0EESY_IbLb1EEEEDaSU_SV_EUlSU_E_NS1_11comp_targetILNS1_3genE3ELNS1_11target_archE908ELNS1_3gpuE7ELNS1_3repE0EEENS1_30default_config_static_selectorELNS0_4arch9wavefront6targetE0EEEvT1_
                                        ; -- End function
	.set _ZN7rocprim17ROCPRIM_400000_NS6detail17trampoline_kernelINS0_14default_configENS1_27scan_by_key_config_selectorIssEEZZNS1_16scan_by_key_implILNS1_25lookback_scan_determinismE0ELb0ES3_N6thrust23THRUST_200600_302600_NS6detail15normal_iteratorINS9_10device_ptrIsEEEESE_SE_sNS9_10multipliesIsEENS9_8equal_toIsEEsEE10hipError_tPvRmT2_T3_T4_T5_mT6_T7_P12ihipStream_tbENKUlT_T0_E_clISt17integral_constantIbLb0EESY_IbLb1EEEEDaSU_SV_EUlSU_E_NS1_11comp_targetILNS1_3genE3ELNS1_11target_archE908ELNS1_3gpuE7ELNS1_3repE0EEENS1_30default_config_static_selectorELNS0_4arch9wavefront6targetE0EEEvT1_.num_vgpr, 0
	.set _ZN7rocprim17ROCPRIM_400000_NS6detail17trampoline_kernelINS0_14default_configENS1_27scan_by_key_config_selectorIssEEZZNS1_16scan_by_key_implILNS1_25lookback_scan_determinismE0ELb0ES3_N6thrust23THRUST_200600_302600_NS6detail15normal_iteratorINS9_10device_ptrIsEEEESE_SE_sNS9_10multipliesIsEENS9_8equal_toIsEEsEE10hipError_tPvRmT2_T3_T4_T5_mT6_T7_P12ihipStream_tbENKUlT_T0_E_clISt17integral_constantIbLb0EESY_IbLb1EEEEDaSU_SV_EUlSU_E_NS1_11comp_targetILNS1_3genE3ELNS1_11target_archE908ELNS1_3gpuE7ELNS1_3repE0EEENS1_30default_config_static_selectorELNS0_4arch9wavefront6targetE0EEEvT1_.num_agpr, 0
	.set _ZN7rocprim17ROCPRIM_400000_NS6detail17trampoline_kernelINS0_14default_configENS1_27scan_by_key_config_selectorIssEEZZNS1_16scan_by_key_implILNS1_25lookback_scan_determinismE0ELb0ES3_N6thrust23THRUST_200600_302600_NS6detail15normal_iteratorINS9_10device_ptrIsEEEESE_SE_sNS9_10multipliesIsEENS9_8equal_toIsEEsEE10hipError_tPvRmT2_T3_T4_T5_mT6_T7_P12ihipStream_tbENKUlT_T0_E_clISt17integral_constantIbLb0EESY_IbLb1EEEEDaSU_SV_EUlSU_E_NS1_11comp_targetILNS1_3genE3ELNS1_11target_archE908ELNS1_3gpuE7ELNS1_3repE0EEENS1_30default_config_static_selectorELNS0_4arch9wavefront6targetE0EEEvT1_.numbered_sgpr, 0
	.set _ZN7rocprim17ROCPRIM_400000_NS6detail17trampoline_kernelINS0_14default_configENS1_27scan_by_key_config_selectorIssEEZZNS1_16scan_by_key_implILNS1_25lookback_scan_determinismE0ELb0ES3_N6thrust23THRUST_200600_302600_NS6detail15normal_iteratorINS9_10device_ptrIsEEEESE_SE_sNS9_10multipliesIsEENS9_8equal_toIsEEsEE10hipError_tPvRmT2_T3_T4_T5_mT6_T7_P12ihipStream_tbENKUlT_T0_E_clISt17integral_constantIbLb0EESY_IbLb1EEEEDaSU_SV_EUlSU_E_NS1_11comp_targetILNS1_3genE3ELNS1_11target_archE908ELNS1_3gpuE7ELNS1_3repE0EEENS1_30default_config_static_selectorELNS0_4arch9wavefront6targetE0EEEvT1_.num_named_barrier, 0
	.set _ZN7rocprim17ROCPRIM_400000_NS6detail17trampoline_kernelINS0_14default_configENS1_27scan_by_key_config_selectorIssEEZZNS1_16scan_by_key_implILNS1_25lookback_scan_determinismE0ELb0ES3_N6thrust23THRUST_200600_302600_NS6detail15normal_iteratorINS9_10device_ptrIsEEEESE_SE_sNS9_10multipliesIsEENS9_8equal_toIsEEsEE10hipError_tPvRmT2_T3_T4_T5_mT6_T7_P12ihipStream_tbENKUlT_T0_E_clISt17integral_constantIbLb0EESY_IbLb1EEEEDaSU_SV_EUlSU_E_NS1_11comp_targetILNS1_3genE3ELNS1_11target_archE908ELNS1_3gpuE7ELNS1_3repE0EEENS1_30default_config_static_selectorELNS0_4arch9wavefront6targetE0EEEvT1_.private_seg_size, 0
	.set _ZN7rocprim17ROCPRIM_400000_NS6detail17trampoline_kernelINS0_14default_configENS1_27scan_by_key_config_selectorIssEEZZNS1_16scan_by_key_implILNS1_25lookback_scan_determinismE0ELb0ES3_N6thrust23THRUST_200600_302600_NS6detail15normal_iteratorINS9_10device_ptrIsEEEESE_SE_sNS9_10multipliesIsEENS9_8equal_toIsEEsEE10hipError_tPvRmT2_T3_T4_T5_mT6_T7_P12ihipStream_tbENKUlT_T0_E_clISt17integral_constantIbLb0EESY_IbLb1EEEEDaSU_SV_EUlSU_E_NS1_11comp_targetILNS1_3genE3ELNS1_11target_archE908ELNS1_3gpuE7ELNS1_3repE0EEENS1_30default_config_static_selectorELNS0_4arch9wavefront6targetE0EEEvT1_.uses_vcc, 0
	.set _ZN7rocprim17ROCPRIM_400000_NS6detail17trampoline_kernelINS0_14default_configENS1_27scan_by_key_config_selectorIssEEZZNS1_16scan_by_key_implILNS1_25lookback_scan_determinismE0ELb0ES3_N6thrust23THRUST_200600_302600_NS6detail15normal_iteratorINS9_10device_ptrIsEEEESE_SE_sNS9_10multipliesIsEENS9_8equal_toIsEEsEE10hipError_tPvRmT2_T3_T4_T5_mT6_T7_P12ihipStream_tbENKUlT_T0_E_clISt17integral_constantIbLb0EESY_IbLb1EEEEDaSU_SV_EUlSU_E_NS1_11comp_targetILNS1_3genE3ELNS1_11target_archE908ELNS1_3gpuE7ELNS1_3repE0EEENS1_30default_config_static_selectorELNS0_4arch9wavefront6targetE0EEEvT1_.uses_flat_scratch, 0
	.set _ZN7rocprim17ROCPRIM_400000_NS6detail17trampoline_kernelINS0_14default_configENS1_27scan_by_key_config_selectorIssEEZZNS1_16scan_by_key_implILNS1_25lookback_scan_determinismE0ELb0ES3_N6thrust23THRUST_200600_302600_NS6detail15normal_iteratorINS9_10device_ptrIsEEEESE_SE_sNS9_10multipliesIsEENS9_8equal_toIsEEsEE10hipError_tPvRmT2_T3_T4_T5_mT6_T7_P12ihipStream_tbENKUlT_T0_E_clISt17integral_constantIbLb0EESY_IbLb1EEEEDaSU_SV_EUlSU_E_NS1_11comp_targetILNS1_3genE3ELNS1_11target_archE908ELNS1_3gpuE7ELNS1_3repE0EEENS1_30default_config_static_selectorELNS0_4arch9wavefront6targetE0EEEvT1_.has_dyn_sized_stack, 0
	.set _ZN7rocprim17ROCPRIM_400000_NS6detail17trampoline_kernelINS0_14default_configENS1_27scan_by_key_config_selectorIssEEZZNS1_16scan_by_key_implILNS1_25lookback_scan_determinismE0ELb0ES3_N6thrust23THRUST_200600_302600_NS6detail15normal_iteratorINS9_10device_ptrIsEEEESE_SE_sNS9_10multipliesIsEENS9_8equal_toIsEEsEE10hipError_tPvRmT2_T3_T4_T5_mT6_T7_P12ihipStream_tbENKUlT_T0_E_clISt17integral_constantIbLb0EESY_IbLb1EEEEDaSU_SV_EUlSU_E_NS1_11comp_targetILNS1_3genE3ELNS1_11target_archE908ELNS1_3gpuE7ELNS1_3repE0EEENS1_30default_config_static_selectorELNS0_4arch9wavefront6targetE0EEEvT1_.has_recursion, 0
	.set _ZN7rocprim17ROCPRIM_400000_NS6detail17trampoline_kernelINS0_14default_configENS1_27scan_by_key_config_selectorIssEEZZNS1_16scan_by_key_implILNS1_25lookback_scan_determinismE0ELb0ES3_N6thrust23THRUST_200600_302600_NS6detail15normal_iteratorINS9_10device_ptrIsEEEESE_SE_sNS9_10multipliesIsEENS9_8equal_toIsEEsEE10hipError_tPvRmT2_T3_T4_T5_mT6_T7_P12ihipStream_tbENKUlT_T0_E_clISt17integral_constantIbLb0EESY_IbLb1EEEEDaSU_SV_EUlSU_E_NS1_11comp_targetILNS1_3genE3ELNS1_11target_archE908ELNS1_3gpuE7ELNS1_3repE0EEENS1_30default_config_static_selectorELNS0_4arch9wavefront6targetE0EEEvT1_.has_indirect_call, 0
	.section	.AMDGPU.csdata,"",@progbits
; Kernel info:
; codeLenInByte = 0
; TotalNumSgprs: 0
; NumVgprs: 0
; ScratchSize: 0
; MemoryBound: 0
; FloatMode: 240
; IeeeMode: 1
; LDSByteSize: 0 bytes/workgroup (compile time only)
; SGPRBlocks: 0
; VGPRBlocks: 0
; NumSGPRsForWavesPerEU: 1
; NumVGPRsForWavesPerEU: 1
; Occupancy: 16
; WaveLimiterHint : 0
; COMPUTE_PGM_RSRC2:SCRATCH_EN: 0
; COMPUTE_PGM_RSRC2:USER_SGPR: 6
; COMPUTE_PGM_RSRC2:TRAP_HANDLER: 0
; COMPUTE_PGM_RSRC2:TGID_X_EN: 1
; COMPUTE_PGM_RSRC2:TGID_Y_EN: 0
; COMPUTE_PGM_RSRC2:TGID_Z_EN: 0
; COMPUTE_PGM_RSRC2:TIDIG_COMP_CNT: 0
	.section	.text._ZN7rocprim17ROCPRIM_400000_NS6detail17trampoline_kernelINS0_14default_configENS1_27scan_by_key_config_selectorIssEEZZNS1_16scan_by_key_implILNS1_25lookback_scan_determinismE0ELb0ES3_N6thrust23THRUST_200600_302600_NS6detail15normal_iteratorINS9_10device_ptrIsEEEESE_SE_sNS9_10multipliesIsEENS9_8equal_toIsEEsEE10hipError_tPvRmT2_T3_T4_T5_mT6_T7_P12ihipStream_tbENKUlT_T0_E_clISt17integral_constantIbLb0EESY_IbLb1EEEEDaSU_SV_EUlSU_E_NS1_11comp_targetILNS1_3genE2ELNS1_11target_archE906ELNS1_3gpuE6ELNS1_3repE0EEENS1_30default_config_static_selectorELNS0_4arch9wavefront6targetE0EEEvT1_,"axG",@progbits,_ZN7rocprim17ROCPRIM_400000_NS6detail17trampoline_kernelINS0_14default_configENS1_27scan_by_key_config_selectorIssEEZZNS1_16scan_by_key_implILNS1_25lookback_scan_determinismE0ELb0ES3_N6thrust23THRUST_200600_302600_NS6detail15normal_iteratorINS9_10device_ptrIsEEEESE_SE_sNS9_10multipliesIsEENS9_8equal_toIsEEsEE10hipError_tPvRmT2_T3_T4_T5_mT6_T7_P12ihipStream_tbENKUlT_T0_E_clISt17integral_constantIbLb0EESY_IbLb1EEEEDaSU_SV_EUlSU_E_NS1_11comp_targetILNS1_3genE2ELNS1_11target_archE906ELNS1_3gpuE6ELNS1_3repE0EEENS1_30default_config_static_selectorELNS0_4arch9wavefront6targetE0EEEvT1_,comdat
	.protected	_ZN7rocprim17ROCPRIM_400000_NS6detail17trampoline_kernelINS0_14default_configENS1_27scan_by_key_config_selectorIssEEZZNS1_16scan_by_key_implILNS1_25lookback_scan_determinismE0ELb0ES3_N6thrust23THRUST_200600_302600_NS6detail15normal_iteratorINS9_10device_ptrIsEEEESE_SE_sNS9_10multipliesIsEENS9_8equal_toIsEEsEE10hipError_tPvRmT2_T3_T4_T5_mT6_T7_P12ihipStream_tbENKUlT_T0_E_clISt17integral_constantIbLb0EESY_IbLb1EEEEDaSU_SV_EUlSU_E_NS1_11comp_targetILNS1_3genE2ELNS1_11target_archE906ELNS1_3gpuE6ELNS1_3repE0EEENS1_30default_config_static_selectorELNS0_4arch9wavefront6targetE0EEEvT1_ ; -- Begin function _ZN7rocprim17ROCPRIM_400000_NS6detail17trampoline_kernelINS0_14default_configENS1_27scan_by_key_config_selectorIssEEZZNS1_16scan_by_key_implILNS1_25lookback_scan_determinismE0ELb0ES3_N6thrust23THRUST_200600_302600_NS6detail15normal_iteratorINS9_10device_ptrIsEEEESE_SE_sNS9_10multipliesIsEENS9_8equal_toIsEEsEE10hipError_tPvRmT2_T3_T4_T5_mT6_T7_P12ihipStream_tbENKUlT_T0_E_clISt17integral_constantIbLb0EESY_IbLb1EEEEDaSU_SV_EUlSU_E_NS1_11comp_targetILNS1_3genE2ELNS1_11target_archE906ELNS1_3gpuE6ELNS1_3repE0EEENS1_30default_config_static_selectorELNS0_4arch9wavefront6targetE0EEEvT1_
	.globl	_ZN7rocprim17ROCPRIM_400000_NS6detail17trampoline_kernelINS0_14default_configENS1_27scan_by_key_config_selectorIssEEZZNS1_16scan_by_key_implILNS1_25lookback_scan_determinismE0ELb0ES3_N6thrust23THRUST_200600_302600_NS6detail15normal_iteratorINS9_10device_ptrIsEEEESE_SE_sNS9_10multipliesIsEENS9_8equal_toIsEEsEE10hipError_tPvRmT2_T3_T4_T5_mT6_T7_P12ihipStream_tbENKUlT_T0_E_clISt17integral_constantIbLb0EESY_IbLb1EEEEDaSU_SV_EUlSU_E_NS1_11comp_targetILNS1_3genE2ELNS1_11target_archE906ELNS1_3gpuE6ELNS1_3repE0EEENS1_30default_config_static_selectorELNS0_4arch9wavefront6targetE0EEEvT1_
	.p2align	8
	.type	_ZN7rocprim17ROCPRIM_400000_NS6detail17trampoline_kernelINS0_14default_configENS1_27scan_by_key_config_selectorIssEEZZNS1_16scan_by_key_implILNS1_25lookback_scan_determinismE0ELb0ES3_N6thrust23THRUST_200600_302600_NS6detail15normal_iteratorINS9_10device_ptrIsEEEESE_SE_sNS9_10multipliesIsEENS9_8equal_toIsEEsEE10hipError_tPvRmT2_T3_T4_T5_mT6_T7_P12ihipStream_tbENKUlT_T0_E_clISt17integral_constantIbLb0EESY_IbLb1EEEEDaSU_SV_EUlSU_E_NS1_11comp_targetILNS1_3genE2ELNS1_11target_archE906ELNS1_3gpuE6ELNS1_3repE0EEENS1_30default_config_static_selectorELNS0_4arch9wavefront6targetE0EEEvT1_,@function
_ZN7rocprim17ROCPRIM_400000_NS6detail17trampoline_kernelINS0_14default_configENS1_27scan_by_key_config_selectorIssEEZZNS1_16scan_by_key_implILNS1_25lookback_scan_determinismE0ELb0ES3_N6thrust23THRUST_200600_302600_NS6detail15normal_iteratorINS9_10device_ptrIsEEEESE_SE_sNS9_10multipliesIsEENS9_8equal_toIsEEsEE10hipError_tPvRmT2_T3_T4_T5_mT6_T7_P12ihipStream_tbENKUlT_T0_E_clISt17integral_constantIbLb0EESY_IbLb1EEEEDaSU_SV_EUlSU_E_NS1_11comp_targetILNS1_3genE2ELNS1_11target_archE906ELNS1_3gpuE6ELNS1_3repE0EEENS1_30default_config_static_selectorELNS0_4arch9wavefront6targetE0EEEvT1_: ; @_ZN7rocprim17ROCPRIM_400000_NS6detail17trampoline_kernelINS0_14default_configENS1_27scan_by_key_config_selectorIssEEZZNS1_16scan_by_key_implILNS1_25lookback_scan_determinismE0ELb0ES3_N6thrust23THRUST_200600_302600_NS6detail15normal_iteratorINS9_10device_ptrIsEEEESE_SE_sNS9_10multipliesIsEENS9_8equal_toIsEEsEE10hipError_tPvRmT2_T3_T4_T5_mT6_T7_P12ihipStream_tbENKUlT_T0_E_clISt17integral_constantIbLb0EESY_IbLb1EEEEDaSU_SV_EUlSU_E_NS1_11comp_targetILNS1_3genE2ELNS1_11target_archE906ELNS1_3gpuE6ELNS1_3repE0EEENS1_30default_config_static_selectorELNS0_4arch9wavefront6targetE0EEEvT1_
; %bb.0:
	.section	.rodata,"a",@progbits
	.p2align	6, 0x0
	.amdhsa_kernel _ZN7rocprim17ROCPRIM_400000_NS6detail17trampoline_kernelINS0_14default_configENS1_27scan_by_key_config_selectorIssEEZZNS1_16scan_by_key_implILNS1_25lookback_scan_determinismE0ELb0ES3_N6thrust23THRUST_200600_302600_NS6detail15normal_iteratorINS9_10device_ptrIsEEEESE_SE_sNS9_10multipliesIsEENS9_8equal_toIsEEsEE10hipError_tPvRmT2_T3_T4_T5_mT6_T7_P12ihipStream_tbENKUlT_T0_E_clISt17integral_constantIbLb0EESY_IbLb1EEEEDaSU_SV_EUlSU_E_NS1_11comp_targetILNS1_3genE2ELNS1_11target_archE906ELNS1_3gpuE6ELNS1_3repE0EEENS1_30default_config_static_selectorELNS0_4arch9wavefront6targetE0EEEvT1_
		.amdhsa_group_segment_fixed_size 0
		.amdhsa_private_segment_fixed_size 0
		.amdhsa_kernarg_size 112
		.amdhsa_user_sgpr_count 6
		.amdhsa_user_sgpr_private_segment_buffer 1
		.amdhsa_user_sgpr_dispatch_ptr 0
		.amdhsa_user_sgpr_queue_ptr 0
		.amdhsa_user_sgpr_kernarg_segment_ptr 1
		.amdhsa_user_sgpr_dispatch_id 0
		.amdhsa_user_sgpr_flat_scratch_init 0
		.amdhsa_user_sgpr_private_segment_size 0
		.amdhsa_wavefront_size32 1
		.amdhsa_uses_dynamic_stack 0
		.amdhsa_system_sgpr_private_segment_wavefront_offset 0
		.amdhsa_system_sgpr_workgroup_id_x 1
		.amdhsa_system_sgpr_workgroup_id_y 0
		.amdhsa_system_sgpr_workgroup_id_z 0
		.amdhsa_system_sgpr_workgroup_info 0
		.amdhsa_system_vgpr_workitem_id 0
		.amdhsa_next_free_vgpr 1
		.amdhsa_next_free_sgpr 1
		.amdhsa_reserve_vcc 0
		.amdhsa_reserve_flat_scratch 0
		.amdhsa_float_round_mode_32 0
		.amdhsa_float_round_mode_16_64 0
		.amdhsa_float_denorm_mode_32 3
		.amdhsa_float_denorm_mode_16_64 3
		.amdhsa_dx10_clamp 1
		.amdhsa_ieee_mode 1
		.amdhsa_fp16_overflow 0
		.amdhsa_workgroup_processor_mode 1
		.amdhsa_memory_ordered 1
		.amdhsa_forward_progress 1
		.amdhsa_shared_vgpr_count 0
		.amdhsa_exception_fp_ieee_invalid_op 0
		.amdhsa_exception_fp_denorm_src 0
		.amdhsa_exception_fp_ieee_div_zero 0
		.amdhsa_exception_fp_ieee_overflow 0
		.amdhsa_exception_fp_ieee_underflow 0
		.amdhsa_exception_fp_ieee_inexact 0
		.amdhsa_exception_int_div_zero 0
	.end_amdhsa_kernel
	.section	.text._ZN7rocprim17ROCPRIM_400000_NS6detail17trampoline_kernelINS0_14default_configENS1_27scan_by_key_config_selectorIssEEZZNS1_16scan_by_key_implILNS1_25lookback_scan_determinismE0ELb0ES3_N6thrust23THRUST_200600_302600_NS6detail15normal_iteratorINS9_10device_ptrIsEEEESE_SE_sNS9_10multipliesIsEENS9_8equal_toIsEEsEE10hipError_tPvRmT2_T3_T4_T5_mT6_T7_P12ihipStream_tbENKUlT_T0_E_clISt17integral_constantIbLb0EESY_IbLb1EEEEDaSU_SV_EUlSU_E_NS1_11comp_targetILNS1_3genE2ELNS1_11target_archE906ELNS1_3gpuE6ELNS1_3repE0EEENS1_30default_config_static_selectorELNS0_4arch9wavefront6targetE0EEEvT1_,"axG",@progbits,_ZN7rocprim17ROCPRIM_400000_NS6detail17trampoline_kernelINS0_14default_configENS1_27scan_by_key_config_selectorIssEEZZNS1_16scan_by_key_implILNS1_25lookback_scan_determinismE0ELb0ES3_N6thrust23THRUST_200600_302600_NS6detail15normal_iteratorINS9_10device_ptrIsEEEESE_SE_sNS9_10multipliesIsEENS9_8equal_toIsEEsEE10hipError_tPvRmT2_T3_T4_T5_mT6_T7_P12ihipStream_tbENKUlT_T0_E_clISt17integral_constantIbLb0EESY_IbLb1EEEEDaSU_SV_EUlSU_E_NS1_11comp_targetILNS1_3genE2ELNS1_11target_archE906ELNS1_3gpuE6ELNS1_3repE0EEENS1_30default_config_static_selectorELNS0_4arch9wavefront6targetE0EEEvT1_,comdat
.Lfunc_end313:
	.size	_ZN7rocprim17ROCPRIM_400000_NS6detail17trampoline_kernelINS0_14default_configENS1_27scan_by_key_config_selectorIssEEZZNS1_16scan_by_key_implILNS1_25lookback_scan_determinismE0ELb0ES3_N6thrust23THRUST_200600_302600_NS6detail15normal_iteratorINS9_10device_ptrIsEEEESE_SE_sNS9_10multipliesIsEENS9_8equal_toIsEEsEE10hipError_tPvRmT2_T3_T4_T5_mT6_T7_P12ihipStream_tbENKUlT_T0_E_clISt17integral_constantIbLb0EESY_IbLb1EEEEDaSU_SV_EUlSU_E_NS1_11comp_targetILNS1_3genE2ELNS1_11target_archE906ELNS1_3gpuE6ELNS1_3repE0EEENS1_30default_config_static_selectorELNS0_4arch9wavefront6targetE0EEEvT1_, .Lfunc_end313-_ZN7rocprim17ROCPRIM_400000_NS6detail17trampoline_kernelINS0_14default_configENS1_27scan_by_key_config_selectorIssEEZZNS1_16scan_by_key_implILNS1_25lookback_scan_determinismE0ELb0ES3_N6thrust23THRUST_200600_302600_NS6detail15normal_iteratorINS9_10device_ptrIsEEEESE_SE_sNS9_10multipliesIsEENS9_8equal_toIsEEsEE10hipError_tPvRmT2_T3_T4_T5_mT6_T7_P12ihipStream_tbENKUlT_T0_E_clISt17integral_constantIbLb0EESY_IbLb1EEEEDaSU_SV_EUlSU_E_NS1_11comp_targetILNS1_3genE2ELNS1_11target_archE906ELNS1_3gpuE6ELNS1_3repE0EEENS1_30default_config_static_selectorELNS0_4arch9wavefront6targetE0EEEvT1_
                                        ; -- End function
	.set _ZN7rocprim17ROCPRIM_400000_NS6detail17trampoline_kernelINS0_14default_configENS1_27scan_by_key_config_selectorIssEEZZNS1_16scan_by_key_implILNS1_25lookback_scan_determinismE0ELb0ES3_N6thrust23THRUST_200600_302600_NS6detail15normal_iteratorINS9_10device_ptrIsEEEESE_SE_sNS9_10multipliesIsEENS9_8equal_toIsEEsEE10hipError_tPvRmT2_T3_T4_T5_mT6_T7_P12ihipStream_tbENKUlT_T0_E_clISt17integral_constantIbLb0EESY_IbLb1EEEEDaSU_SV_EUlSU_E_NS1_11comp_targetILNS1_3genE2ELNS1_11target_archE906ELNS1_3gpuE6ELNS1_3repE0EEENS1_30default_config_static_selectorELNS0_4arch9wavefront6targetE0EEEvT1_.num_vgpr, 0
	.set _ZN7rocprim17ROCPRIM_400000_NS6detail17trampoline_kernelINS0_14default_configENS1_27scan_by_key_config_selectorIssEEZZNS1_16scan_by_key_implILNS1_25lookback_scan_determinismE0ELb0ES3_N6thrust23THRUST_200600_302600_NS6detail15normal_iteratorINS9_10device_ptrIsEEEESE_SE_sNS9_10multipliesIsEENS9_8equal_toIsEEsEE10hipError_tPvRmT2_T3_T4_T5_mT6_T7_P12ihipStream_tbENKUlT_T0_E_clISt17integral_constantIbLb0EESY_IbLb1EEEEDaSU_SV_EUlSU_E_NS1_11comp_targetILNS1_3genE2ELNS1_11target_archE906ELNS1_3gpuE6ELNS1_3repE0EEENS1_30default_config_static_selectorELNS0_4arch9wavefront6targetE0EEEvT1_.num_agpr, 0
	.set _ZN7rocprim17ROCPRIM_400000_NS6detail17trampoline_kernelINS0_14default_configENS1_27scan_by_key_config_selectorIssEEZZNS1_16scan_by_key_implILNS1_25lookback_scan_determinismE0ELb0ES3_N6thrust23THRUST_200600_302600_NS6detail15normal_iteratorINS9_10device_ptrIsEEEESE_SE_sNS9_10multipliesIsEENS9_8equal_toIsEEsEE10hipError_tPvRmT2_T3_T4_T5_mT6_T7_P12ihipStream_tbENKUlT_T0_E_clISt17integral_constantIbLb0EESY_IbLb1EEEEDaSU_SV_EUlSU_E_NS1_11comp_targetILNS1_3genE2ELNS1_11target_archE906ELNS1_3gpuE6ELNS1_3repE0EEENS1_30default_config_static_selectorELNS0_4arch9wavefront6targetE0EEEvT1_.numbered_sgpr, 0
	.set _ZN7rocprim17ROCPRIM_400000_NS6detail17trampoline_kernelINS0_14default_configENS1_27scan_by_key_config_selectorIssEEZZNS1_16scan_by_key_implILNS1_25lookback_scan_determinismE0ELb0ES3_N6thrust23THRUST_200600_302600_NS6detail15normal_iteratorINS9_10device_ptrIsEEEESE_SE_sNS9_10multipliesIsEENS9_8equal_toIsEEsEE10hipError_tPvRmT2_T3_T4_T5_mT6_T7_P12ihipStream_tbENKUlT_T0_E_clISt17integral_constantIbLb0EESY_IbLb1EEEEDaSU_SV_EUlSU_E_NS1_11comp_targetILNS1_3genE2ELNS1_11target_archE906ELNS1_3gpuE6ELNS1_3repE0EEENS1_30default_config_static_selectorELNS0_4arch9wavefront6targetE0EEEvT1_.num_named_barrier, 0
	.set _ZN7rocprim17ROCPRIM_400000_NS6detail17trampoline_kernelINS0_14default_configENS1_27scan_by_key_config_selectorIssEEZZNS1_16scan_by_key_implILNS1_25lookback_scan_determinismE0ELb0ES3_N6thrust23THRUST_200600_302600_NS6detail15normal_iteratorINS9_10device_ptrIsEEEESE_SE_sNS9_10multipliesIsEENS9_8equal_toIsEEsEE10hipError_tPvRmT2_T3_T4_T5_mT6_T7_P12ihipStream_tbENKUlT_T0_E_clISt17integral_constantIbLb0EESY_IbLb1EEEEDaSU_SV_EUlSU_E_NS1_11comp_targetILNS1_3genE2ELNS1_11target_archE906ELNS1_3gpuE6ELNS1_3repE0EEENS1_30default_config_static_selectorELNS0_4arch9wavefront6targetE0EEEvT1_.private_seg_size, 0
	.set _ZN7rocprim17ROCPRIM_400000_NS6detail17trampoline_kernelINS0_14default_configENS1_27scan_by_key_config_selectorIssEEZZNS1_16scan_by_key_implILNS1_25lookback_scan_determinismE0ELb0ES3_N6thrust23THRUST_200600_302600_NS6detail15normal_iteratorINS9_10device_ptrIsEEEESE_SE_sNS9_10multipliesIsEENS9_8equal_toIsEEsEE10hipError_tPvRmT2_T3_T4_T5_mT6_T7_P12ihipStream_tbENKUlT_T0_E_clISt17integral_constantIbLb0EESY_IbLb1EEEEDaSU_SV_EUlSU_E_NS1_11comp_targetILNS1_3genE2ELNS1_11target_archE906ELNS1_3gpuE6ELNS1_3repE0EEENS1_30default_config_static_selectorELNS0_4arch9wavefront6targetE0EEEvT1_.uses_vcc, 0
	.set _ZN7rocprim17ROCPRIM_400000_NS6detail17trampoline_kernelINS0_14default_configENS1_27scan_by_key_config_selectorIssEEZZNS1_16scan_by_key_implILNS1_25lookback_scan_determinismE0ELb0ES3_N6thrust23THRUST_200600_302600_NS6detail15normal_iteratorINS9_10device_ptrIsEEEESE_SE_sNS9_10multipliesIsEENS9_8equal_toIsEEsEE10hipError_tPvRmT2_T3_T4_T5_mT6_T7_P12ihipStream_tbENKUlT_T0_E_clISt17integral_constantIbLb0EESY_IbLb1EEEEDaSU_SV_EUlSU_E_NS1_11comp_targetILNS1_3genE2ELNS1_11target_archE906ELNS1_3gpuE6ELNS1_3repE0EEENS1_30default_config_static_selectorELNS0_4arch9wavefront6targetE0EEEvT1_.uses_flat_scratch, 0
	.set _ZN7rocprim17ROCPRIM_400000_NS6detail17trampoline_kernelINS0_14default_configENS1_27scan_by_key_config_selectorIssEEZZNS1_16scan_by_key_implILNS1_25lookback_scan_determinismE0ELb0ES3_N6thrust23THRUST_200600_302600_NS6detail15normal_iteratorINS9_10device_ptrIsEEEESE_SE_sNS9_10multipliesIsEENS9_8equal_toIsEEsEE10hipError_tPvRmT2_T3_T4_T5_mT6_T7_P12ihipStream_tbENKUlT_T0_E_clISt17integral_constantIbLb0EESY_IbLb1EEEEDaSU_SV_EUlSU_E_NS1_11comp_targetILNS1_3genE2ELNS1_11target_archE906ELNS1_3gpuE6ELNS1_3repE0EEENS1_30default_config_static_selectorELNS0_4arch9wavefront6targetE0EEEvT1_.has_dyn_sized_stack, 0
	.set _ZN7rocprim17ROCPRIM_400000_NS6detail17trampoline_kernelINS0_14default_configENS1_27scan_by_key_config_selectorIssEEZZNS1_16scan_by_key_implILNS1_25lookback_scan_determinismE0ELb0ES3_N6thrust23THRUST_200600_302600_NS6detail15normal_iteratorINS9_10device_ptrIsEEEESE_SE_sNS9_10multipliesIsEENS9_8equal_toIsEEsEE10hipError_tPvRmT2_T3_T4_T5_mT6_T7_P12ihipStream_tbENKUlT_T0_E_clISt17integral_constantIbLb0EESY_IbLb1EEEEDaSU_SV_EUlSU_E_NS1_11comp_targetILNS1_3genE2ELNS1_11target_archE906ELNS1_3gpuE6ELNS1_3repE0EEENS1_30default_config_static_selectorELNS0_4arch9wavefront6targetE0EEEvT1_.has_recursion, 0
	.set _ZN7rocprim17ROCPRIM_400000_NS6detail17trampoline_kernelINS0_14default_configENS1_27scan_by_key_config_selectorIssEEZZNS1_16scan_by_key_implILNS1_25lookback_scan_determinismE0ELb0ES3_N6thrust23THRUST_200600_302600_NS6detail15normal_iteratorINS9_10device_ptrIsEEEESE_SE_sNS9_10multipliesIsEENS9_8equal_toIsEEsEE10hipError_tPvRmT2_T3_T4_T5_mT6_T7_P12ihipStream_tbENKUlT_T0_E_clISt17integral_constantIbLb0EESY_IbLb1EEEEDaSU_SV_EUlSU_E_NS1_11comp_targetILNS1_3genE2ELNS1_11target_archE906ELNS1_3gpuE6ELNS1_3repE0EEENS1_30default_config_static_selectorELNS0_4arch9wavefront6targetE0EEEvT1_.has_indirect_call, 0
	.section	.AMDGPU.csdata,"",@progbits
; Kernel info:
; codeLenInByte = 0
; TotalNumSgprs: 0
; NumVgprs: 0
; ScratchSize: 0
; MemoryBound: 0
; FloatMode: 240
; IeeeMode: 1
; LDSByteSize: 0 bytes/workgroup (compile time only)
; SGPRBlocks: 0
; VGPRBlocks: 0
; NumSGPRsForWavesPerEU: 1
; NumVGPRsForWavesPerEU: 1
; Occupancy: 16
; WaveLimiterHint : 0
; COMPUTE_PGM_RSRC2:SCRATCH_EN: 0
; COMPUTE_PGM_RSRC2:USER_SGPR: 6
; COMPUTE_PGM_RSRC2:TRAP_HANDLER: 0
; COMPUTE_PGM_RSRC2:TGID_X_EN: 1
; COMPUTE_PGM_RSRC2:TGID_Y_EN: 0
; COMPUTE_PGM_RSRC2:TGID_Z_EN: 0
; COMPUTE_PGM_RSRC2:TIDIG_COMP_CNT: 0
	.section	.text._ZN7rocprim17ROCPRIM_400000_NS6detail17trampoline_kernelINS0_14default_configENS1_27scan_by_key_config_selectorIssEEZZNS1_16scan_by_key_implILNS1_25lookback_scan_determinismE0ELb0ES3_N6thrust23THRUST_200600_302600_NS6detail15normal_iteratorINS9_10device_ptrIsEEEESE_SE_sNS9_10multipliesIsEENS9_8equal_toIsEEsEE10hipError_tPvRmT2_T3_T4_T5_mT6_T7_P12ihipStream_tbENKUlT_T0_E_clISt17integral_constantIbLb0EESY_IbLb1EEEEDaSU_SV_EUlSU_E_NS1_11comp_targetILNS1_3genE10ELNS1_11target_archE1200ELNS1_3gpuE4ELNS1_3repE0EEENS1_30default_config_static_selectorELNS0_4arch9wavefront6targetE0EEEvT1_,"axG",@progbits,_ZN7rocprim17ROCPRIM_400000_NS6detail17trampoline_kernelINS0_14default_configENS1_27scan_by_key_config_selectorIssEEZZNS1_16scan_by_key_implILNS1_25lookback_scan_determinismE0ELb0ES3_N6thrust23THRUST_200600_302600_NS6detail15normal_iteratorINS9_10device_ptrIsEEEESE_SE_sNS9_10multipliesIsEENS9_8equal_toIsEEsEE10hipError_tPvRmT2_T3_T4_T5_mT6_T7_P12ihipStream_tbENKUlT_T0_E_clISt17integral_constantIbLb0EESY_IbLb1EEEEDaSU_SV_EUlSU_E_NS1_11comp_targetILNS1_3genE10ELNS1_11target_archE1200ELNS1_3gpuE4ELNS1_3repE0EEENS1_30default_config_static_selectorELNS0_4arch9wavefront6targetE0EEEvT1_,comdat
	.protected	_ZN7rocprim17ROCPRIM_400000_NS6detail17trampoline_kernelINS0_14default_configENS1_27scan_by_key_config_selectorIssEEZZNS1_16scan_by_key_implILNS1_25lookback_scan_determinismE0ELb0ES3_N6thrust23THRUST_200600_302600_NS6detail15normal_iteratorINS9_10device_ptrIsEEEESE_SE_sNS9_10multipliesIsEENS9_8equal_toIsEEsEE10hipError_tPvRmT2_T3_T4_T5_mT6_T7_P12ihipStream_tbENKUlT_T0_E_clISt17integral_constantIbLb0EESY_IbLb1EEEEDaSU_SV_EUlSU_E_NS1_11comp_targetILNS1_3genE10ELNS1_11target_archE1200ELNS1_3gpuE4ELNS1_3repE0EEENS1_30default_config_static_selectorELNS0_4arch9wavefront6targetE0EEEvT1_ ; -- Begin function _ZN7rocprim17ROCPRIM_400000_NS6detail17trampoline_kernelINS0_14default_configENS1_27scan_by_key_config_selectorIssEEZZNS1_16scan_by_key_implILNS1_25lookback_scan_determinismE0ELb0ES3_N6thrust23THRUST_200600_302600_NS6detail15normal_iteratorINS9_10device_ptrIsEEEESE_SE_sNS9_10multipliesIsEENS9_8equal_toIsEEsEE10hipError_tPvRmT2_T3_T4_T5_mT6_T7_P12ihipStream_tbENKUlT_T0_E_clISt17integral_constantIbLb0EESY_IbLb1EEEEDaSU_SV_EUlSU_E_NS1_11comp_targetILNS1_3genE10ELNS1_11target_archE1200ELNS1_3gpuE4ELNS1_3repE0EEENS1_30default_config_static_selectorELNS0_4arch9wavefront6targetE0EEEvT1_
	.globl	_ZN7rocprim17ROCPRIM_400000_NS6detail17trampoline_kernelINS0_14default_configENS1_27scan_by_key_config_selectorIssEEZZNS1_16scan_by_key_implILNS1_25lookback_scan_determinismE0ELb0ES3_N6thrust23THRUST_200600_302600_NS6detail15normal_iteratorINS9_10device_ptrIsEEEESE_SE_sNS9_10multipliesIsEENS9_8equal_toIsEEsEE10hipError_tPvRmT2_T3_T4_T5_mT6_T7_P12ihipStream_tbENKUlT_T0_E_clISt17integral_constantIbLb0EESY_IbLb1EEEEDaSU_SV_EUlSU_E_NS1_11comp_targetILNS1_3genE10ELNS1_11target_archE1200ELNS1_3gpuE4ELNS1_3repE0EEENS1_30default_config_static_selectorELNS0_4arch9wavefront6targetE0EEEvT1_
	.p2align	8
	.type	_ZN7rocprim17ROCPRIM_400000_NS6detail17trampoline_kernelINS0_14default_configENS1_27scan_by_key_config_selectorIssEEZZNS1_16scan_by_key_implILNS1_25lookback_scan_determinismE0ELb0ES3_N6thrust23THRUST_200600_302600_NS6detail15normal_iteratorINS9_10device_ptrIsEEEESE_SE_sNS9_10multipliesIsEENS9_8equal_toIsEEsEE10hipError_tPvRmT2_T3_T4_T5_mT6_T7_P12ihipStream_tbENKUlT_T0_E_clISt17integral_constantIbLb0EESY_IbLb1EEEEDaSU_SV_EUlSU_E_NS1_11comp_targetILNS1_3genE10ELNS1_11target_archE1200ELNS1_3gpuE4ELNS1_3repE0EEENS1_30default_config_static_selectorELNS0_4arch9wavefront6targetE0EEEvT1_,@function
_ZN7rocprim17ROCPRIM_400000_NS6detail17trampoline_kernelINS0_14default_configENS1_27scan_by_key_config_selectorIssEEZZNS1_16scan_by_key_implILNS1_25lookback_scan_determinismE0ELb0ES3_N6thrust23THRUST_200600_302600_NS6detail15normal_iteratorINS9_10device_ptrIsEEEESE_SE_sNS9_10multipliesIsEENS9_8equal_toIsEEsEE10hipError_tPvRmT2_T3_T4_T5_mT6_T7_P12ihipStream_tbENKUlT_T0_E_clISt17integral_constantIbLb0EESY_IbLb1EEEEDaSU_SV_EUlSU_E_NS1_11comp_targetILNS1_3genE10ELNS1_11target_archE1200ELNS1_3gpuE4ELNS1_3repE0EEENS1_30default_config_static_selectorELNS0_4arch9wavefront6targetE0EEEvT1_: ; @_ZN7rocprim17ROCPRIM_400000_NS6detail17trampoline_kernelINS0_14default_configENS1_27scan_by_key_config_selectorIssEEZZNS1_16scan_by_key_implILNS1_25lookback_scan_determinismE0ELb0ES3_N6thrust23THRUST_200600_302600_NS6detail15normal_iteratorINS9_10device_ptrIsEEEESE_SE_sNS9_10multipliesIsEENS9_8equal_toIsEEsEE10hipError_tPvRmT2_T3_T4_T5_mT6_T7_P12ihipStream_tbENKUlT_T0_E_clISt17integral_constantIbLb0EESY_IbLb1EEEEDaSU_SV_EUlSU_E_NS1_11comp_targetILNS1_3genE10ELNS1_11target_archE1200ELNS1_3gpuE4ELNS1_3repE0EEENS1_30default_config_static_selectorELNS0_4arch9wavefront6targetE0EEEvT1_
; %bb.0:
	.section	.rodata,"a",@progbits
	.p2align	6, 0x0
	.amdhsa_kernel _ZN7rocprim17ROCPRIM_400000_NS6detail17trampoline_kernelINS0_14default_configENS1_27scan_by_key_config_selectorIssEEZZNS1_16scan_by_key_implILNS1_25lookback_scan_determinismE0ELb0ES3_N6thrust23THRUST_200600_302600_NS6detail15normal_iteratorINS9_10device_ptrIsEEEESE_SE_sNS9_10multipliesIsEENS9_8equal_toIsEEsEE10hipError_tPvRmT2_T3_T4_T5_mT6_T7_P12ihipStream_tbENKUlT_T0_E_clISt17integral_constantIbLb0EESY_IbLb1EEEEDaSU_SV_EUlSU_E_NS1_11comp_targetILNS1_3genE10ELNS1_11target_archE1200ELNS1_3gpuE4ELNS1_3repE0EEENS1_30default_config_static_selectorELNS0_4arch9wavefront6targetE0EEEvT1_
		.amdhsa_group_segment_fixed_size 0
		.amdhsa_private_segment_fixed_size 0
		.amdhsa_kernarg_size 112
		.amdhsa_user_sgpr_count 6
		.amdhsa_user_sgpr_private_segment_buffer 1
		.amdhsa_user_sgpr_dispatch_ptr 0
		.amdhsa_user_sgpr_queue_ptr 0
		.amdhsa_user_sgpr_kernarg_segment_ptr 1
		.amdhsa_user_sgpr_dispatch_id 0
		.amdhsa_user_sgpr_flat_scratch_init 0
		.amdhsa_user_sgpr_private_segment_size 0
		.amdhsa_wavefront_size32 1
		.amdhsa_uses_dynamic_stack 0
		.amdhsa_system_sgpr_private_segment_wavefront_offset 0
		.amdhsa_system_sgpr_workgroup_id_x 1
		.amdhsa_system_sgpr_workgroup_id_y 0
		.amdhsa_system_sgpr_workgroup_id_z 0
		.amdhsa_system_sgpr_workgroup_info 0
		.amdhsa_system_vgpr_workitem_id 0
		.amdhsa_next_free_vgpr 1
		.amdhsa_next_free_sgpr 1
		.amdhsa_reserve_vcc 0
		.amdhsa_reserve_flat_scratch 0
		.amdhsa_float_round_mode_32 0
		.amdhsa_float_round_mode_16_64 0
		.amdhsa_float_denorm_mode_32 3
		.amdhsa_float_denorm_mode_16_64 3
		.amdhsa_dx10_clamp 1
		.amdhsa_ieee_mode 1
		.amdhsa_fp16_overflow 0
		.amdhsa_workgroup_processor_mode 1
		.amdhsa_memory_ordered 1
		.amdhsa_forward_progress 1
		.amdhsa_shared_vgpr_count 0
		.amdhsa_exception_fp_ieee_invalid_op 0
		.amdhsa_exception_fp_denorm_src 0
		.amdhsa_exception_fp_ieee_div_zero 0
		.amdhsa_exception_fp_ieee_overflow 0
		.amdhsa_exception_fp_ieee_underflow 0
		.amdhsa_exception_fp_ieee_inexact 0
		.amdhsa_exception_int_div_zero 0
	.end_amdhsa_kernel
	.section	.text._ZN7rocprim17ROCPRIM_400000_NS6detail17trampoline_kernelINS0_14default_configENS1_27scan_by_key_config_selectorIssEEZZNS1_16scan_by_key_implILNS1_25lookback_scan_determinismE0ELb0ES3_N6thrust23THRUST_200600_302600_NS6detail15normal_iteratorINS9_10device_ptrIsEEEESE_SE_sNS9_10multipliesIsEENS9_8equal_toIsEEsEE10hipError_tPvRmT2_T3_T4_T5_mT6_T7_P12ihipStream_tbENKUlT_T0_E_clISt17integral_constantIbLb0EESY_IbLb1EEEEDaSU_SV_EUlSU_E_NS1_11comp_targetILNS1_3genE10ELNS1_11target_archE1200ELNS1_3gpuE4ELNS1_3repE0EEENS1_30default_config_static_selectorELNS0_4arch9wavefront6targetE0EEEvT1_,"axG",@progbits,_ZN7rocprim17ROCPRIM_400000_NS6detail17trampoline_kernelINS0_14default_configENS1_27scan_by_key_config_selectorIssEEZZNS1_16scan_by_key_implILNS1_25lookback_scan_determinismE0ELb0ES3_N6thrust23THRUST_200600_302600_NS6detail15normal_iteratorINS9_10device_ptrIsEEEESE_SE_sNS9_10multipliesIsEENS9_8equal_toIsEEsEE10hipError_tPvRmT2_T3_T4_T5_mT6_T7_P12ihipStream_tbENKUlT_T0_E_clISt17integral_constantIbLb0EESY_IbLb1EEEEDaSU_SV_EUlSU_E_NS1_11comp_targetILNS1_3genE10ELNS1_11target_archE1200ELNS1_3gpuE4ELNS1_3repE0EEENS1_30default_config_static_selectorELNS0_4arch9wavefront6targetE0EEEvT1_,comdat
.Lfunc_end314:
	.size	_ZN7rocprim17ROCPRIM_400000_NS6detail17trampoline_kernelINS0_14default_configENS1_27scan_by_key_config_selectorIssEEZZNS1_16scan_by_key_implILNS1_25lookback_scan_determinismE0ELb0ES3_N6thrust23THRUST_200600_302600_NS6detail15normal_iteratorINS9_10device_ptrIsEEEESE_SE_sNS9_10multipliesIsEENS9_8equal_toIsEEsEE10hipError_tPvRmT2_T3_T4_T5_mT6_T7_P12ihipStream_tbENKUlT_T0_E_clISt17integral_constantIbLb0EESY_IbLb1EEEEDaSU_SV_EUlSU_E_NS1_11comp_targetILNS1_3genE10ELNS1_11target_archE1200ELNS1_3gpuE4ELNS1_3repE0EEENS1_30default_config_static_selectorELNS0_4arch9wavefront6targetE0EEEvT1_, .Lfunc_end314-_ZN7rocprim17ROCPRIM_400000_NS6detail17trampoline_kernelINS0_14default_configENS1_27scan_by_key_config_selectorIssEEZZNS1_16scan_by_key_implILNS1_25lookback_scan_determinismE0ELb0ES3_N6thrust23THRUST_200600_302600_NS6detail15normal_iteratorINS9_10device_ptrIsEEEESE_SE_sNS9_10multipliesIsEENS9_8equal_toIsEEsEE10hipError_tPvRmT2_T3_T4_T5_mT6_T7_P12ihipStream_tbENKUlT_T0_E_clISt17integral_constantIbLb0EESY_IbLb1EEEEDaSU_SV_EUlSU_E_NS1_11comp_targetILNS1_3genE10ELNS1_11target_archE1200ELNS1_3gpuE4ELNS1_3repE0EEENS1_30default_config_static_selectorELNS0_4arch9wavefront6targetE0EEEvT1_
                                        ; -- End function
	.set _ZN7rocprim17ROCPRIM_400000_NS6detail17trampoline_kernelINS0_14default_configENS1_27scan_by_key_config_selectorIssEEZZNS1_16scan_by_key_implILNS1_25lookback_scan_determinismE0ELb0ES3_N6thrust23THRUST_200600_302600_NS6detail15normal_iteratorINS9_10device_ptrIsEEEESE_SE_sNS9_10multipliesIsEENS9_8equal_toIsEEsEE10hipError_tPvRmT2_T3_T4_T5_mT6_T7_P12ihipStream_tbENKUlT_T0_E_clISt17integral_constantIbLb0EESY_IbLb1EEEEDaSU_SV_EUlSU_E_NS1_11comp_targetILNS1_3genE10ELNS1_11target_archE1200ELNS1_3gpuE4ELNS1_3repE0EEENS1_30default_config_static_selectorELNS0_4arch9wavefront6targetE0EEEvT1_.num_vgpr, 0
	.set _ZN7rocprim17ROCPRIM_400000_NS6detail17trampoline_kernelINS0_14default_configENS1_27scan_by_key_config_selectorIssEEZZNS1_16scan_by_key_implILNS1_25lookback_scan_determinismE0ELb0ES3_N6thrust23THRUST_200600_302600_NS6detail15normal_iteratorINS9_10device_ptrIsEEEESE_SE_sNS9_10multipliesIsEENS9_8equal_toIsEEsEE10hipError_tPvRmT2_T3_T4_T5_mT6_T7_P12ihipStream_tbENKUlT_T0_E_clISt17integral_constantIbLb0EESY_IbLb1EEEEDaSU_SV_EUlSU_E_NS1_11comp_targetILNS1_3genE10ELNS1_11target_archE1200ELNS1_3gpuE4ELNS1_3repE0EEENS1_30default_config_static_selectorELNS0_4arch9wavefront6targetE0EEEvT1_.num_agpr, 0
	.set _ZN7rocprim17ROCPRIM_400000_NS6detail17trampoline_kernelINS0_14default_configENS1_27scan_by_key_config_selectorIssEEZZNS1_16scan_by_key_implILNS1_25lookback_scan_determinismE0ELb0ES3_N6thrust23THRUST_200600_302600_NS6detail15normal_iteratorINS9_10device_ptrIsEEEESE_SE_sNS9_10multipliesIsEENS9_8equal_toIsEEsEE10hipError_tPvRmT2_T3_T4_T5_mT6_T7_P12ihipStream_tbENKUlT_T0_E_clISt17integral_constantIbLb0EESY_IbLb1EEEEDaSU_SV_EUlSU_E_NS1_11comp_targetILNS1_3genE10ELNS1_11target_archE1200ELNS1_3gpuE4ELNS1_3repE0EEENS1_30default_config_static_selectorELNS0_4arch9wavefront6targetE0EEEvT1_.numbered_sgpr, 0
	.set _ZN7rocprim17ROCPRIM_400000_NS6detail17trampoline_kernelINS0_14default_configENS1_27scan_by_key_config_selectorIssEEZZNS1_16scan_by_key_implILNS1_25lookback_scan_determinismE0ELb0ES3_N6thrust23THRUST_200600_302600_NS6detail15normal_iteratorINS9_10device_ptrIsEEEESE_SE_sNS9_10multipliesIsEENS9_8equal_toIsEEsEE10hipError_tPvRmT2_T3_T4_T5_mT6_T7_P12ihipStream_tbENKUlT_T0_E_clISt17integral_constantIbLb0EESY_IbLb1EEEEDaSU_SV_EUlSU_E_NS1_11comp_targetILNS1_3genE10ELNS1_11target_archE1200ELNS1_3gpuE4ELNS1_3repE0EEENS1_30default_config_static_selectorELNS0_4arch9wavefront6targetE0EEEvT1_.num_named_barrier, 0
	.set _ZN7rocprim17ROCPRIM_400000_NS6detail17trampoline_kernelINS0_14default_configENS1_27scan_by_key_config_selectorIssEEZZNS1_16scan_by_key_implILNS1_25lookback_scan_determinismE0ELb0ES3_N6thrust23THRUST_200600_302600_NS6detail15normal_iteratorINS9_10device_ptrIsEEEESE_SE_sNS9_10multipliesIsEENS9_8equal_toIsEEsEE10hipError_tPvRmT2_T3_T4_T5_mT6_T7_P12ihipStream_tbENKUlT_T0_E_clISt17integral_constantIbLb0EESY_IbLb1EEEEDaSU_SV_EUlSU_E_NS1_11comp_targetILNS1_3genE10ELNS1_11target_archE1200ELNS1_3gpuE4ELNS1_3repE0EEENS1_30default_config_static_selectorELNS0_4arch9wavefront6targetE0EEEvT1_.private_seg_size, 0
	.set _ZN7rocprim17ROCPRIM_400000_NS6detail17trampoline_kernelINS0_14default_configENS1_27scan_by_key_config_selectorIssEEZZNS1_16scan_by_key_implILNS1_25lookback_scan_determinismE0ELb0ES3_N6thrust23THRUST_200600_302600_NS6detail15normal_iteratorINS9_10device_ptrIsEEEESE_SE_sNS9_10multipliesIsEENS9_8equal_toIsEEsEE10hipError_tPvRmT2_T3_T4_T5_mT6_T7_P12ihipStream_tbENKUlT_T0_E_clISt17integral_constantIbLb0EESY_IbLb1EEEEDaSU_SV_EUlSU_E_NS1_11comp_targetILNS1_3genE10ELNS1_11target_archE1200ELNS1_3gpuE4ELNS1_3repE0EEENS1_30default_config_static_selectorELNS0_4arch9wavefront6targetE0EEEvT1_.uses_vcc, 0
	.set _ZN7rocprim17ROCPRIM_400000_NS6detail17trampoline_kernelINS0_14default_configENS1_27scan_by_key_config_selectorIssEEZZNS1_16scan_by_key_implILNS1_25lookback_scan_determinismE0ELb0ES3_N6thrust23THRUST_200600_302600_NS6detail15normal_iteratorINS9_10device_ptrIsEEEESE_SE_sNS9_10multipliesIsEENS9_8equal_toIsEEsEE10hipError_tPvRmT2_T3_T4_T5_mT6_T7_P12ihipStream_tbENKUlT_T0_E_clISt17integral_constantIbLb0EESY_IbLb1EEEEDaSU_SV_EUlSU_E_NS1_11comp_targetILNS1_3genE10ELNS1_11target_archE1200ELNS1_3gpuE4ELNS1_3repE0EEENS1_30default_config_static_selectorELNS0_4arch9wavefront6targetE0EEEvT1_.uses_flat_scratch, 0
	.set _ZN7rocprim17ROCPRIM_400000_NS6detail17trampoline_kernelINS0_14default_configENS1_27scan_by_key_config_selectorIssEEZZNS1_16scan_by_key_implILNS1_25lookback_scan_determinismE0ELb0ES3_N6thrust23THRUST_200600_302600_NS6detail15normal_iteratorINS9_10device_ptrIsEEEESE_SE_sNS9_10multipliesIsEENS9_8equal_toIsEEsEE10hipError_tPvRmT2_T3_T4_T5_mT6_T7_P12ihipStream_tbENKUlT_T0_E_clISt17integral_constantIbLb0EESY_IbLb1EEEEDaSU_SV_EUlSU_E_NS1_11comp_targetILNS1_3genE10ELNS1_11target_archE1200ELNS1_3gpuE4ELNS1_3repE0EEENS1_30default_config_static_selectorELNS0_4arch9wavefront6targetE0EEEvT1_.has_dyn_sized_stack, 0
	.set _ZN7rocprim17ROCPRIM_400000_NS6detail17trampoline_kernelINS0_14default_configENS1_27scan_by_key_config_selectorIssEEZZNS1_16scan_by_key_implILNS1_25lookback_scan_determinismE0ELb0ES3_N6thrust23THRUST_200600_302600_NS6detail15normal_iteratorINS9_10device_ptrIsEEEESE_SE_sNS9_10multipliesIsEENS9_8equal_toIsEEsEE10hipError_tPvRmT2_T3_T4_T5_mT6_T7_P12ihipStream_tbENKUlT_T0_E_clISt17integral_constantIbLb0EESY_IbLb1EEEEDaSU_SV_EUlSU_E_NS1_11comp_targetILNS1_3genE10ELNS1_11target_archE1200ELNS1_3gpuE4ELNS1_3repE0EEENS1_30default_config_static_selectorELNS0_4arch9wavefront6targetE0EEEvT1_.has_recursion, 0
	.set _ZN7rocprim17ROCPRIM_400000_NS6detail17trampoline_kernelINS0_14default_configENS1_27scan_by_key_config_selectorIssEEZZNS1_16scan_by_key_implILNS1_25lookback_scan_determinismE0ELb0ES3_N6thrust23THRUST_200600_302600_NS6detail15normal_iteratorINS9_10device_ptrIsEEEESE_SE_sNS9_10multipliesIsEENS9_8equal_toIsEEsEE10hipError_tPvRmT2_T3_T4_T5_mT6_T7_P12ihipStream_tbENKUlT_T0_E_clISt17integral_constantIbLb0EESY_IbLb1EEEEDaSU_SV_EUlSU_E_NS1_11comp_targetILNS1_3genE10ELNS1_11target_archE1200ELNS1_3gpuE4ELNS1_3repE0EEENS1_30default_config_static_selectorELNS0_4arch9wavefront6targetE0EEEvT1_.has_indirect_call, 0
	.section	.AMDGPU.csdata,"",@progbits
; Kernel info:
; codeLenInByte = 0
; TotalNumSgprs: 0
; NumVgprs: 0
; ScratchSize: 0
; MemoryBound: 0
; FloatMode: 240
; IeeeMode: 1
; LDSByteSize: 0 bytes/workgroup (compile time only)
; SGPRBlocks: 0
; VGPRBlocks: 0
; NumSGPRsForWavesPerEU: 1
; NumVGPRsForWavesPerEU: 1
; Occupancy: 16
; WaveLimiterHint : 0
; COMPUTE_PGM_RSRC2:SCRATCH_EN: 0
; COMPUTE_PGM_RSRC2:USER_SGPR: 6
; COMPUTE_PGM_RSRC2:TRAP_HANDLER: 0
; COMPUTE_PGM_RSRC2:TGID_X_EN: 1
; COMPUTE_PGM_RSRC2:TGID_Y_EN: 0
; COMPUTE_PGM_RSRC2:TGID_Z_EN: 0
; COMPUTE_PGM_RSRC2:TIDIG_COMP_CNT: 0
	.section	.text._ZN7rocprim17ROCPRIM_400000_NS6detail17trampoline_kernelINS0_14default_configENS1_27scan_by_key_config_selectorIssEEZZNS1_16scan_by_key_implILNS1_25lookback_scan_determinismE0ELb0ES3_N6thrust23THRUST_200600_302600_NS6detail15normal_iteratorINS9_10device_ptrIsEEEESE_SE_sNS9_10multipliesIsEENS9_8equal_toIsEEsEE10hipError_tPvRmT2_T3_T4_T5_mT6_T7_P12ihipStream_tbENKUlT_T0_E_clISt17integral_constantIbLb0EESY_IbLb1EEEEDaSU_SV_EUlSU_E_NS1_11comp_targetILNS1_3genE9ELNS1_11target_archE1100ELNS1_3gpuE3ELNS1_3repE0EEENS1_30default_config_static_selectorELNS0_4arch9wavefront6targetE0EEEvT1_,"axG",@progbits,_ZN7rocprim17ROCPRIM_400000_NS6detail17trampoline_kernelINS0_14default_configENS1_27scan_by_key_config_selectorIssEEZZNS1_16scan_by_key_implILNS1_25lookback_scan_determinismE0ELb0ES3_N6thrust23THRUST_200600_302600_NS6detail15normal_iteratorINS9_10device_ptrIsEEEESE_SE_sNS9_10multipliesIsEENS9_8equal_toIsEEsEE10hipError_tPvRmT2_T3_T4_T5_mT6_T7_P12ihipStream_tbENKUlT_T0_E_clISt17integral_constantIbLb0EESY_IbLb1EEEEDaSU_SV_EUlSU_E_NS1_11comp_targetILNS1_3genE9ELNS1_11target_archE1100ELNS1_3gpuE3ELNS1_3repE0EEENS1_30default_config_static_selectorELNS0_4arch9wavefront6targetE0EEEvT1_,comdat
	.protected	_ZN7rocprim17ROCPRIM_400000_NS6detail17trampoline_kernelINS0_14default_configENS1_27scan_by_key_config_selectorIssEEZZNS1_16scan_by_key_implILNS1_25lookback_scan_determinismE0ELb0ES3_N6thrust23THRUST_200600_302600_NS6detail15normal_iteratorINS9_10device_ptrIsEEEESE_SE_sNS9_10multipliesIsEENS9_8equal_toIsEEsEE10hipError_tPvRmT2_T3_T4_T5_mT6_T7_P12ihipStream_tbENKUlT_T0_E_clISt17integral_constantIbLb0EESY_IbLb1EEEEDaSU_SV_EUlSU_E_NS1_11comp_targetILNS1_3genE9ELNS1_11target_archE1100ELNS1_3gpuE3ELNS1_3repE0EEENS1_30default_config_static_selectorELNS0_4arch9wavefront6targetE0EEEvT1_ ; -- Begin function _ZN7rocprim17ROCPRIM_400000_NS6detail17trampoline_kernelINS0_14default_configENS1_27scan_by_key_config_selectorIssEEZZNS1_16scan_by_key_implILNS1_25lookback_scan_determinismE0ELb0ES3_N6thrust23THRUST_200600_302600_NS6detail15normal_iteratorINS9_10device_ptrIsEEEESE_SE_sNS9_10multipliesIsEENS9_8equal_toIsEEsEE10hipError_tPvRmT2_T3_T4_T5_mT6_T7_P12ihipStream_tbENKUlT_T0_E_clISt17integral_constantIbLb0EESY_IbLb1EEEEDaSU_SV_EUlSU_E_NS1_11comp_targetILNS1_3genE9ELNS1_11target_archE1100ELNS1_3gpuE3ELNS1_3repE0EEENS1_30default_config_static_selectorELNS0_4arch9wavefront6targetE0EEEvT1_
	.globl	_ZN7rocprim17ROCPRIM_400000_NS6detail17trampoline_kernelINS0_14default_configENS1_27scan_by_key_config_selectorIssEEZZNS1_16scan_by_key_implILNS1_25lookback_scan_determinismE0ELb0ES3_N6thrust23THRUST_200600_302600_NS6detail15normal_iteratorINS9_10device_ptrIsEEEESE_SE_sNS9_10multipliesIsEENS9_8equal_toIsEEsEE10hipError_tPvRmT2_T3_T4_T5_mT6_T7_P12ihipStream_tbENKUlT_T0_E_clISt17integral_constantIbLb0EESY_IbLb1EEEEDaSU_SV_EUlSU_E_NS1_11comp_targetILNS1_3genE9ELNS1_11target_archE1100ELNS1_3gpuE3ELNS1_3repE0EEENS1_30default_config_static_selectorELNS0_4arch9wavefront6targetE0EEEvT1_
	.p2align	8
	.type	_ZN7rocprim17ROCPRIM_400000_NS6detail17trampoline_kernelINS0_14default_configENS1_27scan_by_key_config_selectorIssEEZZNS1_16scan_by_key_implILNS1_25lookback_scan_determinismE0ELb0ES3_N6thrust23THRUST_200600_302600_NS6detail15normal_iteratorINS9_10device_ptrIsEEEESE_SE_sNS9_10multipliesIsEENS9_8equal_toIsEEsEE10hipError_tPvRmT2_T3_T4_T5_mT6_T7_P12ihipStream_tbENKUlT_T0_E_clISt17integral_constantIbLb0EESY_IbLb1EEEEDaSU_SV_EUlSU_E_NS1_11comp_targetILNS1_3genE9ELNS1_11target_archE1100ELNS1_3gpuE3ELNS1_3repE0EEENS1_30default_config_static_selectorELNS0_4arch9wavefront6targetE0EEEvT1_,@function
_ZN7rocprim17ROCPRIM_400000_NS6detail17trampoline_kernelINS0_14default_configENS1_27scan_by_key_config_selectorIssEEZZNS1_16scan_by_key_implILNS1_25lookback_scan_determinismE0ELb0ES3_N6thrust23THRUST_200600_302600_NS6detail15normal_iteratorINS9_10device_ptrIsEEEESE_SE_sNS9_10multipliesIsEENS9_8equal_toIsEEsEE10hipError_tPvRmT2_T3_T4_T5_mT6_T7_P12ihipStream_tbENKUlT_T0_E_clISt17integral_constantIbLb0EESY_IbLb1EEEEDaSU_SV_EUlSU_E_NS1_11comp_targetILNS1_3genE9ELNS1_11target_archE1100ELNS1_3gpuE3ELNS1_3repE0EEENS1_30default_config_static_selectorELNS0_4arch9wavefront6targetE0EEEvT1_: ; @_ZN7rocprim17ROCPRIM_400000_NS6detail17trampoline_kernelINS0_14default_configENS1_27scan_by_key_config_selectorIssEEZZNS1_16scan_by_key_implILNS1_25lookback_scan_determinismE0ELb0ES3_N6thrust23THRUST_200600_302600_NS6detail15normal_iteratorINS9_10device_ptrIsEEEESE_SE_sNS9_10multipliesIsEENS9_8equal_toIsEEsEE10hipError_tPvRmT2_T3_T4_T5_mT6_T7_P12ihipStream_tbENKUlT_T0_E_clISt17integral_constantIbLb0EESY_IbLb1EEEEDaSU_SV_EUlSU_E_NS1_11comp_targetILNS1_3genE9ELNS1_11target_archE1100ELNS1_3gpuE3ELNS1_3repE0EEENS1_30default_config_static_selectorELNS0_4arch9wavefront6targetE0EEEvT1_
; %bb.0:
	.section	.rodata,"a",@progbits
	.p2align	6, 0x0
	.amdhsa_kernel _ZN7rocprim17ROCPRIM_400000_NS6detail17trampoline_kernelINS0_14default_configENS1_27scan_by_key_config_selectorIssEEZZNS1_16scan_by_key_implILNS1_25lookback_scan_determinismE0ELb0ES3_N6thrust23THRUST_200600_302600_NS6detail15normal_iteratorINS9_10device_ptrIsEEEESE_SE_sNS9_10multipliesIsEENS9_8equal_toIsEEsEE10hipError_tPvRmT2_T3_T4_T5_mT6_T7_P12ihipStream_tbENKUlT_T0_E_clISt17integral_constantIbLb0EESY_IbLb1EEEEDaSU_SV_EUlSU_E_NS1_11comp_targetILNS1_3genE9ELNS1_11target_archE1100ELNS1_3gpuE3ELNS1_3repE0EEENS1_30default_config_static_selectorELNS0_4arch9wavefront6targetE0EEEvT1_
		.amdhsa_group_segment_fixed_size 0
		.amdhsa_private_segment_fixed_size 0
		.amdhsa_kernarg_size 112
		.amdhsa_user_sgpr_count 6
		.amdhsa_user_sgpr_private_segment_buffer 1
		.amdhsa_user_sgpr_dispatch_ptr 0
		.amdhsa_user_sgpr_queue_ptr 0
		.amdhsa_user_sgpr_kernarg_segment_ptr 1
		.amdhsa_user_sgpr_dispatch_id 0
		.amdhsa_user_sgpr_flat_scratch_init 0
		.amdhsa_user_sgpr_private_segment_size 0
		.amdhsa_wavefront_size32 1
		.amdhsa_uses_dynamic_stack 0
		.amdhsa_system_sgpr_private_segment_wavefront_offset 0
		.amdhsa_system_sgpr_workgroup_id_x 1
		.amdhsa_system_sgpr_workgroup_id_y 0
		.amdhsa_system_sgpr_workgroup_id_z 0
		.amdhsa_system_sgpr_workgroup_info 0
		.amdhsa_system_vgpr_workitem_id 0
		.amdhsa_next_free_vgpr 1
		.amdhsa_next_free_sgpr 1
		.amdhsa_reserve_vcc 0
		.amdhsa_reserve_flat_scratch 0
		.amdhsa_float_round_mode_32 0
		.amdhsa_float_round_mode_16_64 0
		.amdhsa_float_denorm_mode_32 3
		.amdhsa_float_denorm_mode_16_64 3
		.amdhsa_dx10_clamp 1
		.amdhsa_ieee_mode 1
		.amdhsa_fp16_overflow 0
		.amdhsa_workgroup_processor_mode 1
		.amdhsa_memory_ordered 1
		.amdhsa_forward_progress 1
		.amdhsa_shared_vgpr_count 0
		.amdhsa_exception_fp_ieee_invalid_op 0
		.amdhsa_exception_fp_denorm_src 0
		.amdhsa_exception_fp_ieee_div_zero 0
		.amdhsa_exception_fp_ieee_overflow 0
		.amdhsa_exception_fp_ieee_underflow 0
		.amdhsa_exception_fp_ieee_inexact 0
		.amdhsa_exception_int_div_zero 0
	.end_amdhsa_kernel
	.section	.text._ZN7rocprim17ROCPRIM_400000_NS6detail17trampoline_kernelINS0_14default_configENS1_27scan_by_key_config_selectorIssEEZZNS1_16scan_by_key_implILNS1_25lookback_scan_determinismE0ELb0ES3_N6thrust23THRUST_200600_302600_NS6detail15normal_iteratorINS9_10device_ptrIsEEEESE_SE_sNS9_10multipliesIsEENS9_8equal_toIsEEsEE10hipError_tPvRmT2_T3_T4_T5_mT6_T7_P12ihipStream_tbENKUlT_T0_E_clISt17integral_constantIbLb0EESY_IbLb1EEEEDaSU_SV_EUlSU_E_NS1_11comp_targetILNS1_3genE9ELNS1_11target_archE1100ELNS1_3gpuE3ELNS1_3repE0EEENS1_30default_config_static_selectorELNS0_4arch9wavefront6targetE0EEEvT1_,"axG",@progbits,_ZN7rocprim17ROCPRIM_400000_NS6detail17trampoline_kernelINS0_14default_configENS1_27scan_by_key_config_selectorIssEEZZNS1_16scan_by_key_implILNS1_25lookback_scan_determinismE0ELb0ES3_N6thrust23THRUST_200600_302600_NS6detail15normal_iteratorINS9_10device_ptrIsEEEESE_SE_sNS9_10multipliesIsEENS9_8equal_toIsEEsEE10hipError_tPvRmT2_T3_T4_T5_mT6_T7_P12ihipStream_tbENKUlT_T0_E_clISt17integral_constantIbLb0EESY_IbLb1EEEEDaSU_SV_EUlSU_E_NS1_11comp_targetILNS1_3genE9ELNS1_11target_archE1100ELNS1_3gpuE3ELNS1_3repE0EEENS1_30default_config_static_selectorELNS0_4arch9wavefront6targetE0EEEvT1_,comdat
.Lfunc_end315:
	.size	_ZN7rocprim17ROCPRIM_400000_NS6detail17trampoline_kernelINS0_14default_configENS1_27scan_by_key_config_selectorIssEEZZNS1_16scan_by_key_implILNS1_25lookback_scan_determinismE0ELb0ES3_N6thrust23THRUST_200600_302600_NS6detail15normal_iteratorINS9_10device_ptrIsEEEESE_SE_sNS9_10multipliesIsEENS9_8equal_toIsEEsEE10hipError_tPvRmT2_T3_T4_T5_mT6_T7_P12ihipStream_tbENKUlT_T0_E_clISt17integral_constantIbLb0EESY_IbLb1EEEEDaSU_SV_EUlSU_E_NS1_11comp_targetILNS1_3genE9ELNS1_11target_archE1100ELNS1_3gpuE3ELNS1_3repE0EEENS1_30default_config_static_selectorELNS0_4arch9wavefront6targetE0EEEvT1_, .Lfunc_end315-_ZN7rocprim17ROCPRIM_400000_NS6detail17trampoline_kernelINS0_14default_configENS1_27scan_by_key_config_selectorIssEEZZNS1_16scan_by_key_implILNS1_25lookback_scan_determinismE0ELb0ES3_N6thrust23THRUST_200600_302600_NS6detail15normal_iteratorINS9_10device_ptrIsEEEESE_SE_sNS9_10multipliesIsEENS9_8equal_toIsEEsEE10hipError_tPvRmT2_T3_T4_T5_mT6_T7_P12ihipStream_tbENKUlT_T0_E_clISt17integral_constantIbLb0EESY_IbLb1EEEEDaSU_SV_EUlSU_E_NS1_11comp_targetILNS1_3genE9ELNS1_11target_archE1100ELNS1_3gpuE3ELNS1_3repE0EEENS1_30default_config_static_selectorELNS0_4arch9wavefront6targetE0EEEvT1_
                                        ; -- End function
	.set _ZN7rocprim17ROCPRIM_400000_NS6detail17trampoline_kernelINS0_14default_configENS1_27scan_by_key_config_selectorIssEEZZNS1_16scan_by_key_implILNS1_25lookback_scan_determinismE0ELb0ES3_N6thrust23THRUST_200600_302600_NS6detail15normal_iteratorINS9_10device_ptrIsEEEESE_SE_sNS9_10multipliesIsEENS9_8equal_toIsEEsEE10hipError_tPvRmT2_T3_T4_T5_mT6_T7_P12ihipStream_tbENKUlT_T0_E_clISt17integral_constantIbLb0EESY_IbLb1EEEEDaSU_SV_EUlSU_E_NS1_11comp_targetILNS1_3genE9ELNS1_11target_archE1100ELNS1_3gpuE3ELNS1_3repE0EEENS1_30default_config_static_selectorELNS0_4arch9wavefront6targetE0EEEvT1_.num_vgpr, 0
	.set _ZN7rocprim17ROCPRIM_400000_NS6detail17trampoline_kernelINS0_14default_configENS1_27scan_by_key_config_selectorIssEEZZNS1_16scan_by_key_implILNS1_25lookback_scan_determinismE0ELb0ES3_N6thrust23THRUST_200600_302600_NS6detail15normal_iteratorINS9_10device_ptrIsEEEESE_SE_sNS9_10multipliesIsEENS9_8equal_toIsEEsEE10hipError_tPvRmT2_T3_T4_T5_mT6_T7_P12ihipStream_tbENKUlT_T0_E_clISt17integral_constantIbLb0EESY_IbLb1EEEEDaSU_SV_EUlSU_E_NS1_11comp_targetILNS1_3genE9ELNS1_11target_archE1100ELNS1_3gpuE3ELNS1_3repE0EEENS1_30default_config_static_selectorELNS0_4arch9wavefront6targetE0EEEvT1_.num_agpr, 0
	.set _ZN7rocprim17ROCPRIM_400000_NS6detail17trampoline_kernelINS0_14default_configENS1_27scan_by_key_config_selectorIssEEZZNS1_16scan_by_key_implILNS1_25lookback_scan_determinismE0ELb0ES3_N6thrust23THRUST_200600_302600_NS6detail15normal_iteratorINS9_10device_ptrIsEEEESE_SE_sNS9_10multipliesIsEENS9_8equal_toIsEEsEE10hipError_tPvRmT2_T3_T4_T5_mT6_T7_P12ihipStream_tbENKUlT_T0_E_clISt17integral_constantIbLb0EESY_IbLb1EEEEDaSU_SV_EUlSU_E_NS1_11comp_targetILNS1_3genE9ELNS1_11target_archE1100ELNS1_3gpuE3ELNS1_3repE0EEENS1_30default_config_static_selectorELNS0_4arch9wavefront6targetE0EEEvT1_.numbered_sgpr, 0
	.set _ZN7rocprim17ROCPRIM_400000_NS6detail17trampoline_kernelINS0_14default_configENS1_27scan_by_key_config_selectorIssEEZZNS1_16scan_by_key_implILNS1_25lookback_scan_determinismE0ELb0ES3_N6thrust23THRUST_200600_302600_NS6detail15normal_iteratorINS9_10device_ptrIsEEEESE_SE_sNS9_10multipliesIsEENS9_8equal_toIsEEsEE10hipError_tPvRmT2_T3_T4_T5_mT6_T7_P12ihipStream_tbENKUlT_T0_E_clISt17integral_constantIbLb0EESY_IbLb1EEEEDaSU_SV_EUlSU_E_NS1_11comp_targetILNS1_3genE9ELNS1_11target_archE1100ELNS1_3gpuE3ELNS1_3repE0EEENS1_30default_config_static_selectorELNS0_4arch9wavefront6targetE0EEEvT1_.num_named_barrier, 0
	.set _ZN7rocprim17ROCPRIM_400000_NS6detail17trampoline_kernelINS0_14default_configENS1_27scan_by_key_config_selectorIssEEZZNS1_16scan_by_key_implILNS1_25lookback_scan_determinismE0ELb0ES3_N6thrust23THRUST_200600_302600_NS6detail15normal_iteratorINS9_10device_ptrIsEEEESE_SE_sNS9_10multipliesIsEENS9_8equal_toIsEEsEE10hipError_tPvRmT2_T3_T4_T5_mT6_T7_P12ihipStream_tbENKUlT_T0_E_clISt17integral_constantIbLb0EESY_IbLb1EEEEDaSU_SV_EUlSU_E_NS1_11comp_targetILNS1_3genE9ELNS1_11target_archE1100ELNS1_3gpuE3ELNS1_3repE0EEENS1_30default_config_static_selectorELNS0_4arch9wavefront6targetE0EEEvT1_.private_seg_size, 0
	.set _ZN7rocprim17ROCPRIM_400000_NS6detail17trampoline_kernelINS0_14default_configENS1_27scan_by_key_config_selectorIssEEZZNS1_16scan_by_key_implILNS1_25lookback_scan_determinismE0ELb0ES3_N6thrust23THRUST_200600_302600_NS6detail15normal_iteratorINS9_10device_ptrIsEEEESE_SE_sNS9_10multipliesIsEENS9_8equal_toIsEEsEE10hipError_tPvRmT2_T3_T4_T5_mT6_T7_P12ihipStream_tbENKUlT_T0_E_clISt17integral_constantIbLb0EESY_IbLb1EEEEDaSU_SV_EUlSU_E_NS1_11comp_targetILNS1_3genE9ELNS1_11target_archE1100ELNS1_3gpuE3ELNS1_3repE0EEENS1_30default_config_static_selectorELNS0_4arch9wavefront6targetE0EEEvT1_.uses_vcc, 0
	.set _ZN7rocprim17ROCPRIM_400000_NS6detail17trampoline_kernelINS0_14default_configENS1_27scan_by_key_config_selectorIssEEZZNS1_16scan_by_key_implILNS1_25lookback_scan_determinismE0ELb0ES3_N6thrust23THRUST_200600_302600_NS6detail15normal_iteratorINS9_10device_ptrIsEEEESE_SE_sNS9_10multipliesIsEENS9_8equal_toIsEEsEE10hipError_tPvRmT2_T3_T4_T5_mT6_T7_P12ihipStream_tbENKUlT_T0_E_clISt17integral_constantIbLb0EESY_IbLb1EEEEDaSU_SV_EUlSU_E_NS1_11comp_targetILNS1_3genE9ELNS1_11target_archE1100ELNS1_3gpuE3ELNS1_3repE0EEENS1_30default_config_static_selectorELNS0_4arch9wavefront6targetE0EEEvT1_.uses_flat_scratch, 0
	.set _ZN7rocprim17ROCPRIM_400000_NS6detail17trampoline_kernelINS0_14default_configENS1_27scan_by_key_config_selectorIssEEZZNS1_16scan_by_key_implILNS1_25lookback_scan_determinismE0ELb0ES3_N6thrust23THRUST_200600_302600_NS6detail15normal_iteratorINS9_10device_ptrIsEEEESE_SE_sNS9_10multipliesIsEENS9_8equal_toIsEEsEE10hipError_tPvRmT2_T3_T4_T5_mT6_T7_P12ihipStream_tbENKUlT_T0_E_clISt17integral_constantIbLb0EESY_IbLb1EEEEDaSU_SV_EUlSU_E_NS1_11comp_targetILNS1_3genE9ELNS1_11target_archE1100ELNS1_3gpuE3ELNS1_3repE0EEENS1_30default_config_static_selectorELNS0_4arch9wavefront6targetE0EEEvT1_.has_dyn_sized_stack, 0
	.set _ZN7rocprim17ROCPRIM_400000_NS6detail17trampoline_kernelINS0_14default_configENS1_27scan_by_key_config_selectorIssEEZZNS1_16scan_by_key_implILNS1_25lookback_scan_determinismE0ELb0ES3_N6thrust23THRUST_200600_302600_NS6detail15normal_iteratorINS9_10device_ptrIsEEEESE_SE_sNS9_10multipliesIsEENS9_8equal_toIsEEsEE10hipError_tPvRmT2_T3_T4_T5_mT6_T7_P12ihipStream_tbENKUlT_T0_E_clISt17integral_constantIbLb0EESY_IbLb1EEEEDaSU_SV_EUlSU_E_NS1_11comp_targetILNS1_3genE9ELNS1_11target_archE1100ELNS1_3gpuE3ELNS1_3repE0EEENS1_30default_config_static_selectorELNS0_4arch9wavefront6targetE0EEEvT1_.has_recursion, 0
	.set _ZN7rocprim17ROCPRIM_400000_NS6detail17trampoline_kernelINS0_14default_configENS1_27scan_by_key_config_selectorIssEEZZNS1_16scan_by_key_implILNS1_25lookback_scan_determinismE0ELb0ES3_N6thrust23THRUST_200600_302600_NS6detail15normal_iteratorINS9_10device_ptrIsEEEESE_SE_sNS9_10multipliesIsEENS9_8equal_toIsEEsEE10hipError_tPvRmT2_T3_T4_T5_mT6_T7_P12ihipStream_tbENKUlT_T0_E_clISt17integral_constantIbLb0EESY_IbLb1EEEEDaSU_SV_EUlSU_E_NS1_11comp_targetILNS1_3genE9ELNS1_11target_archE1100ELNS1_3gpuE3ELNS1_3repE0EEENS1_30default_config_static_selectorELNS0_4arch9wavefront6targetE0EEEvT1_.has_indirect_call, 0
	.section	.AMDGPU.csdata,"",@progbits
; Kernel info:
; codeLenInByte = 0
; TotalNumSgprs: 0
; NumVgprs: 0
; ScratchSize: 0
; MemoryBound: 0
; FloatMode: 240
; IeeeMode: 1
; LDSByteSize: 0 bytes/workgroup (compile time only)
; SGPRBlocks: 0
; VGPRBlocks: 0
; NumSGPRsForWavesPerEU: 1
; NumVGPRsForWavesPerEU: 1
; Occupancy: 16
; WaveLimiterHint : 0
; COMPUTE_PGM_RSRC2:SCRATCH_EN: 0
; COMPUTE_PGM_RSRC2:USER_SGPR: 6
; COMPUTE_PGM_RSRC2:TRAP_HANDLER: 0
; COMPUTE_PGM_RSRC2:TGID_X_EN: 1
; COMPUTE_PGM_RSRC2:TGID_Y_EN: 0
; COMPUTE_PGM_RSRC2:TGID_Z_EN: 0
; COMPUTE_PGM_RSRC2:TIDIG_COMP_CNT: 0
	.section	.text._ZN7rocprim17ROCPRIM_400000_NS6detail17trampoline_kernelINS0_14default_configENS1_27scan_by_key_config_selectorIssEEZZNS1_16scan_by_key_implILNS1_25lookback_scan_determinismE0ELb0ES3_N6thrust23THRUST_200600_302600_NS6detail15normal_iteratorINS9_10device_ptrIsEEEESE_SE_sNS9_10multipliesIsEENS9_8equal_toIsEEsEE10hipError_tPvRmT2_T3_T4_T5_mT6_T7_P12ihipStream_tbENKUlT_T0_E_clISt17integral_constantIbLb0EESY_IbLb1EEEEDaSU_SV_EUlSU_E_NS1_11comp_targetILNS1_3genE8ELNS1_11target_archE1030ELNS1_3gpuE2ELNS1_3repE0EEENS1_30default_config_static_selectorELNS0_4arch9wavefront6targetE0EEEvT1_,"axG",@progbits,_ZN7rocprim17ROCPRIM_400000_NS6detail17trampoline_kernelINS0_14default_configENS1_27scan_by_key_config_selectorIssEEZZNS1_16scan_by_key_implILNS1_25lookback_scan_determinismE0ELb0ES3_N6thrust23THRUST_200600_302600_NS6detail15normal_iteratorINS9_10device_ptrIsEEEESE_SE_sNS9_10multipliesIsEENS9_8equal_toIsEEsEE10hipError_tPvRmT2_T3_T4_T5_mT6_T7_P12ihipStream_tbENKUlT_T0_E_clISt17integral_constantIbLb0EESY_IbLb1EEEEDaSU_SV_EUlSU_E_NS1_11comp_targetILNS1_3genE8ELNS1_11target_archE1030ELNS1_3gpuE2ELNS1_3repE0EEENS1_30default_config_static_selectorELNS0_4arch9wavefront6targetE0EEEvT1_,comdat
	.protected	_ZN7rocprim17ROCPRIM_400000_NS6detail17trampoline_kernelINS0_14default_configENS1_27scan_by_key_config_selectorIssEEZZNS1_16scan_by_key_implILNS1_25lookback_scan_determinismE0ELb0ES3_N6thrust23THRUST_200600_302600_NS6detail15normal_iteratorINS9_10device_ptrIsEEEESE_SE_sNS9_10multipliesIsEENS9_8equal_toIsEEsEE10hipError_tPvRmT2_T3_T4_T5_mT6_T7_P12ihipStream_tbENKUlT_T0_E_clISt17integral_constantIbLb0EESY_IbLb1EEEEDaSU_SV_EUlSU_E_NS1_11comp_targetILNS1_3genE8ELNS1_11target_archE1030ELNS1_3gpuE2ELNS1_3repE0EEENS1_30default_config_static_selectorELNS0_4arch9wavefront6targetE0EEEvT1_ ; -- Begin function _ZN7rocprim17ROCPRIM_400000_NS6detail17trampoline_kernelINS0_14default_configENS1_27scan_by_key_config_selectorIssEEZZNS1_16scan_by_key_implILNS1_25lookback_scan_determinismE0ELb0ES3_N6thrust23THRUST_200600_302600_NS6detail15normal_iteratorINS9_10device_ptrIsEEEESE_SE_sNS9_10multipliesIsEENS9_8equal_toIsEEsEE10hipError_tPvRmT2_T3_T4_T5_mT6_T7_P12ihipStream_tbENKUlT_T0_E_clISt17integral_constantIbLb0EESY_IbLb1EEEEDaSU_SV_EUlSU_E_NS1_11comp_targetILNS1_3genE8ELNS1_11target_archE1030ELNS1_3gpuE2ELNS1_3repE0EEENS1_30default_config_static_selectorELNS0_4arch9wavefront6targetE0EEEvT1_
	.globl	_ZN7rocprim17ROCPRIM_400000_NS6detail17trampoline_kernelINS0_14default_configENS1_27scan_by_key_config_selectorIssEEZZNS1_16scan_by_key_implILNS1_25lookback_scan_determinismE0ELb0ES3_N6thrust23THRUST_200600_302600_NS6detail15normal_iteratorINS9_10device_ptrIsEEEESE_SE_sNS9_10multipliesIsEENS9_8equal_toIsEEsEE10hipError_tPvRmT2_T3_T4_T5_mT6_T7_P12ihipStream_tbENKUlT_T0_E_clISt17integral_constantIbLb0EESY_IbLb1EEEEDaSU_SV_EUlSU_E_NS1_11comp_targetILNS1_3genE8ELNS1_11target_archE1030ELNS1_3gpuE2ELNS1_3repE0EEENS1_30default_config_static_selectorELNS0_4arch9wavefront6targetE0EEEvT1_
	.p2align	8
	.type	_ZN7rocprim17ROCPRIM_400000_NS6detail17trampoline_kernelINS0_14default_configENS1_27scan_by_key_config_selectorIssEEZZNS1_16scan_by_key_implILNS1_25lookback_scan_determinismE0ELb0ES3_N6thrust23THRUST_200600_302600_NS6detail15normal_iteratorINS9_10device_ptrIsEEEESE_SE_sNS9_10multipliesIsEENS9_8equal_toIsEEsEE10hipError_tPvRmT2_T3_T4_T5_mT6_T7_P12ihipStream_tbENKUlT_T0_E_clISt17integral_constantIbLb0EESY_IbLb1EEEEDaSU_SV_EUlSU_E_NS1_11comp_targetILNS1_3genE8ELNS1_11target_archE1030ELNS1_3gpuE2ELNS1_3repE0EEENS1_30default_config_static_selectorELNS0_4arch9wavefront6targetE0EEEvT1_,@function
_ZN7rocprim17ROCPRIM_400000_NS6detail17trampoline_kernelINS0_14default_configENS1_27scan_by_key_config_selectorIssEEZZNS1_16scan_by_key_implILNS1_25lookback_scan_determinismE0ELb0ES3_N6thrust23THRUST_200600_302600_NS6detail15normal_iteratorINS9_10device_ptrIsEEEESE_SE_sNS9_10multipliesIsEENS9_8equal_toIsEEsEE10hipError_tPvRmT2_T3_T4_T5_mT6_T7_P12ihipStream_tbENKUlT_T0_E_clISt17integral_constantIbLb0EESY_IbLb1EEEEDaSU_SV_EUlSU_E_NS1_11comp_targetILNS1_3genE8ELNS1_11target_archE1030ELNS1_3gpuE2ELNS1_3repE0EEENS1_30default_config_static_selectorELNS0_4arch9wavefront6targetE0EEEvT1_: ; @_ZN7rocprim17ROCPRIM_400000_NS6detail17trampoline_kernelINS0_14default_configENS1_27scan_by_key_config_selectorIssEEZZNS1_16scan_by_key_implILNS1_25lookback_scan_determinismE0ELb0ES3_N6thrust23THRUST_200600_302600_NS6detail15normal_iteratorINS9_10device_ptrIsEEEESE_SE_sNS9_10multipliesIsEENS9_8equal_toIsEEsEE10hipError_tPvRmT2_T3_T4_T5_mT6_T7_P12ihipStream_tbENKUlT_T0_E_clISt17integral_constantIbLb0EESY_IbLb1EEEEDaSU_SV_EUlSU_E_NS1_11comp_targetILNS1_3genE8ELNS1_11target_archE1030ELNS1_3gpuE2ELNS1_3repE0EEENS1_30default_config_static_selectorELNS0_4arch9wavefront6targetE0EEEvT1_
; %bb.0:
	s_clause 0x1
	s_load_dwordx4 s[24:27], s[4:5], 0x28
	s_load_dwordx2 s[30:31], s[4:5], 0x38
	v_cmp_ne_u32_e64 s1, 0, v0
	v_cmp_eq_u32_e64 s0, 0, v0
	s_and_saveexec_b32 s2, s0
	s_cbranch_execz .LBB316_4
; %bb.1:
	s_mov_b32 s6, exec_lo
	s_mov_b32 s3, exec_lo
	v_mbcnt_lo_u32_b32 v1, s6, 0
                                        ; implicit-def: $vgpr2
	v_cmpx_eq_u32_e32 0, v1
	s_cbranch_execz .LBB316_3
; %bb.2:
	s_load_dwordx2 s[8:9], s[4:5], 0x68
	s_bcnt1_i32_b32 s6, s6
	v_mov_b32_e32 v2, 0
	v_mov_b32_e32 v3, s6
	s_waitcnt lgkmcnt(0)
	global_atomic_add v2, v2, v3, s[8:9] glc
.LBB316_3:
	s_or_b32 exec_lo, exec_lo, s3
	s_waitcnt vmcnt(0)
	v_readfirstlane_b32 s3, v2
	v_mov_b32_e32 v2, 0
	v_add_nc_u32_e32 v1, s3, v1
	ds_write_b32 v2, v1
.LBB316_4:
	s_or_b32 exec_lo, exec_lo, s2
	v_mov_b32_e32 v1, 0
	s_clause 0x2
	s_load_dwordx8 s[8:15], s[4:5], 0x0
	s_load_dword s6, s[4:5], 0x40
	s_load_dwordx8 s[16:23], s[4:5], 0x48
	s_waitcnt lgkmcnt(0)
	s_barrier
	buffer_gl0_inv
	ds_read_b32 v1, v1
	s_waitcnt lgkmcnt(0)
	s_barrier
	buffer_gl0_inv
	s_barrier
	buffer_gl0_inv
	s_lshl_b64 s[28:29], s[10:11], 1
	s_mul_i32 s2, s31, s6
	s_add_u32 s4, s8, s28
	s_addc_u32 s5, s9, s29
	s_mul_hi_u32 s3, s30, s6
	s_add_u32 s7, s12, s28
	v_readfirstlane_b32 s36, v1
	s_addc_u32 s8, s13, s29
	s_add_i32 s9, s3, s2
	s_cmp_lg_u64 s[20:21], 0
	s_mov_b32 s3, 0
	s_mul_i32 s2, s36, 0x280
	s_cselect_b32 s39, -1, 0
	s_lshl_b64 s[12:13], s[2:3], 1
	s_mul_i32 s2, s30, s6
	s_add_u32 s20, s4, s12
	s_addc_u32 s21, s5, s13
	s_add_u32 s37, s7, s12
	s_addc_u32 s38, s8, s13
	;; [unrolled: 2-line block ×3, first 2 shown]
	s_add_u32 s4, s16, -1
	s_addc_u32 s5, s17, -1
	s_mul_i32 s33, s4, 0xfffffd80
	v_cmp_ge_u64_e64 s27, s[34:35], s[4:5]
	s_and_b32 vcc_lo, exec_lo, s27
	s_cbranch_vccz .LBB316_61
; %bb.5:
	v_mov_b32_e32 v1, s20
	v_mov_b32_e32 v2, s21
	s_add_i32 s40, s33, s26
	v_cmp_gt_u32_e64 s11, s40, v0
	flat_load_ushort v1, v[1:2]
	s_waitcnt vmcnt(0) lgkmcnt(0)
	v_mov_b32_e32 v2, v1
	s_and_saveexec_b32 s2, s11
	s_cbranch_execz .LBB316_7
; %bb.6:
	v_lshlrev_b32_e32 v2, 1, v0
	v_add_co_u32 v2, s3, s20, v2
	v_add_co_ci_u32_e64 v3, null, s21, 0, s3
	flat_load_ushort v2, v[2:3]
.LBB316_7:
	s_or_b32 exec_lo, exec_lo, s2
	v_or_b32_e32 v3, 64, v0
	v_cmp_gt_u32_e64 s10, s40, v3
	v_mov_b32_e32 v3, v1
	s_and_saveexec_b32 s2, s10
	s_cbranch_execz .LBB316_9
; %bb.8:
	v_lshlrev_b32_e32 v3, 1, v0
	v_add_co_u32 v3, s3, s20, v3
	v_add_co_ci_u32_e64 v4, null, s21, 0, s3
	flat_load_ushort v3, v[3:4] offset:128
.LBB316_9:
	s_or_b32 exec_lo, exec_lo, s2
	v_or_b32_e32 v4, 0x80, v0
	v_cmp_gt_u32_e64 s9, s40, v4
	v_mov_b32_e32 v4, v1
	s_and_saveexec_b32 s2, s9
	s_cbranch_execz .LBB316_11
; %bb.10:
	v_lshlrev_b32_e32 v4, 1, v0
	v_add_co_u32 v4, s3, s20, v4
	v_add_co_ci_u32_e64 v5, null, s21, 0, s3
	flat_load_ushort v4, v[4:5] offset:256
.LBB316_11:
	;; [unrolled: 12-line block ×8, first 2 shown]
	s_or_b32 exec_lo, exec_lo, s2
	v_or_b32_e32 v11, 0x240, v0
	s_mov_b32 s16, exec_lo
	v_cmp_gt_u32_e64 s2, s40, v11
	v_cmpx_le_u32_e64 s40, v11
	s_xor_b32 s16, exec_lo, s16
	s_andn2_saveexec_b32 s16, s16
	s_cbranch_execz .LBB316_25
; %bb.24:
	v_lshlrev_b32_e32 v1, 1, v0
	v_add_co_u32 v11, s17, s20, v1
	v_add_co_ci_u32_e64 v12, null, s21, 0, s17
	flat_load_ushort v1, v[11:12] offset:1152
.LBB316_25:
	s_or_b32 exec_lo, exec_lo, s16
	v_lshlrev_b32_e32 v13, 1, v0
	s_cmp_eq_u64 s[34:35], 0
	s_mov_b64 s[16:17], s[20:21]
	s_waitcnt vmcnt(0) lgkmcnt(0)
	ds_write_b16 v13, v2
	ds_write_b16 v13, v3 offset:128
	ds_write_b16 v13, v4 offset:256
	ds_write_b16 v13, v5 offset:384
	ds_write_b16 v13, v6 offset:512
	ds_write_b16 v13, v7 offset:640
	ds_write_b16 v13, v8 offset:768
	ds_write_b16 v13, v9 offset:896
	ds_write_b16 v13, v10 offset:1024
	v_mad_u32_u24 v23, v0, 18, v13
	ds_write_b16 v13, v1 offset:1152
	s_waitcnt lgkmcnt(0)
	s_barrier
	buffer_gl0_inv
	ds_read2_b32 v[11:12], v23 offset1:1
	ds_read2_b32 v[9:10], v23 offset0:2 offset1:3
	ds_read_b32 v22, v23 offset:16
	s_cbranch_scc1 .LBB316_29
; %bb.26:
	s_andn2_b32 vcc_lo, exec_lo, s39
	s_cbranch_vccnz .LBB316_203
; %bb.27:
	s_lshl_b64 s[16:17], s[34:35], 1
	s_add_u32 s16, s22, s16
	s_addc_u32 s17, s23, s17
	s_add_u32 s16, s16, -2
	s_addc_u32 s17, s17, -1
	s_cbranch_execnz .LBB316_29
.LBB316_28:
	s_add_u32 s16, s20, -2
	s_addc_u32 s17, s21, -1
.LBB316_29:
	v_mov_b32_e32 v1, s16
	v_mov_b32_e32 v2, s17
	s_waitcnt lgkmcnt(0)
	v_lshrrev_b32_e32 v24, 16, v22
	flat_load_ushort v28, v[1:2]
	v_mad_i32_i24 v1, 0xffffffee, v0, v23
	ds_write_b16 v1, v24 offset:1280
	s_waitcnt vmcnt(0) lgkmcnt(0)
	s_barrier
	buffer_gl0_inv
	s_and_saveexec_b32 s16, s1
; %bb.30:
	v_mul_i32_i24_e32 v1, 0xffffffee, v0
	v_add_nc_u32_e32 v1, v23, v1
	ds_read_u16 v28, v1 offset:1278
; %bb.31:
	s_or_b32 exec_lo, exec_lo, s16
	v_mov_b32_e32 v1, 0
	v_lshlrev_b32_e32 v14, 1, v0
	s_waitcnt lgkmcnt(0)
	s_barrier
	buffer_gl0_inv
	v_mov_b32_e32 v2, v1
	v_mov_b32_e32 v3, v1
	;; [unrolled: 1-line block ×4, first 2 shown]
	s_and_saveexec_b32 s16, s11
	s_cbranch_execnz .LBB316_194
; %bb.32:
	s_or_b32 exec_lo, exec_lo, s16
	s_and_saveexec_b32 s11, s10
	s_cbranch_execnz .LBB316_195
.LBB316_33:
	s_or_b32 exec_lo, exec_lo, s11
	s_and_saveexec_b32 s10, s9
	s_cbranch_execnz .LBB316_196
.LBB316_34:
	s_or_b32 exec_lo, exec_lo, s10
	s_and_saveexec_b32 s9, s8
	s_cbranch_execnz .LBB316_197
.LBB316_35:
	s_or_b32 exec_lo, exec_lo, s9
	s_and_saveexec_b32 s8, s7
	s_cbranch_execnz .LBB316_198
.LBB316_36:
	s_or_b32 exec_lo, exec_lo, s8
	s_and_saveexec_b32 s7, s6
	s_cbranch_execnz .LBB316_199
.LBB316_37:
	s_or_b32 exec_lo, exec_lo, s7
	s_and_saveexec_b32 s6, s5
	s_cbranch_execnz .LBB316_200
.LBB316_38:
	s_or_b32 exec_lo, exec_lo, s6
	s_and_saveexec_b32 s5, s4
	s_cbranch_execnz .LBB316_201
.LBB316_39:
	s_or_b32 exec_lo, exec_lo, s5
	s_and_saveexec_b32 s4, s3
	s_cbranch_execnz .LBB316_202
.LBB316_40:
	s_or_b32 exec_lo, exec_lo, s4
	s_and_saveexec_b32 s3, s2
	s_cbranch_execz .LBB316_42
.LBB316_41:
	v_add_co_u32 v6, s2, s37, v14
	v_add_co_ci_u32_e64 v7, null, s38, 0, s2
	s_waitcnt vmcnt(0) lgkmcnt(0)
	flat_load_short_d16_hi v5, v[6:7] offset:1152
.LBB316_42:
	s_or_b32 exec_lo, exec_lo, s3
	v_mul_u32_u24_e32 v29, 10, v0
	s_waitcnt vmcnt(0) lgkmcnt(0)
	ds_write_b16 v13, v1
	ds_write_b16_d16_hi v13, v1 offset:128
	ds_write_b16 v13, v2 offset:256
	ds_write_b16_d16_hi v13, v2 offset:384
	ds_write_b16 v13, v3 offset:512
	;; [unrolled: 2-line block ×4, first 2 shown]
	ds_write_b16_d16_hi v13, v5 offset:1152
	v_mov_b32_e32 v18, 0
	v_mov_b32_e32 v1, 0
	;; [unrolled: 1-line block ×3, first 2 shown]
	v_cmp_gt_u32_e32 vcc_lo, s40, v29
	v_mov_b32_e32 v26, 0
	v_mov_b32_e32 v25, 0
	;; [unrolled: 1-line block ×13, first 2 shown]
	s_mov_b32 s2, 0
	s_mov_b32 s3, 0
	s_waitcnt lgkmcnt(0)
	s_barrier
	buffer_gl0_inv
                                        ; implicit-def: $sgpr4
                                        ; implicit-def: $vgpr7
	s_and_saveexec_b32 s5, vcc_lo
	s_cbranch_execz .LBB316_60
; %bb.43:
	ds_read_u16 v18, v23
	v_cmp_eq_u16_e32 vcc_lo, v28, v11
	v_or_b32_e32 v2, 1, v29
	v_mov_b32_e32 v1, 0
	v_mov_b32_e32 v27, 0
	;; [unrolled: 1-line block ×3, first 2 shown]
	v_cndmask_b32_e64 v21, 0x10000, 0, vcc_lo
	v_mov_b32_e32 v25, 0
	v_mov_b32_e32 v8, 0
	;; [unrolled: 1-line block ×11, first 2 shown]
	s_mov_b32 s6, 0
	s_mov_b32 s3, exec_lo
                                        ; implicit-def: $sgpr4
                                        ; implicit-def: $vgpr7
	v_cmpx_gt_u32_e64 s40, v2
	s_cbranch_execz .LBB316_59
; %bb.44:
	ds_read_b128 v[1:4], v23 offset:2
	v_add_nc_u32_e32 v5, 2, v29
	v_cmp_eq_u16_sdwa s4, v11, v11 src0_sel:DWORD src1_sel:WORD_1
	v_mov_b32_e32 v27, 0
	v_mov_b32_e32 v26, 0
	v_mov_b32_e32 v25, 0
	v_cmp_gt_u32_e32 vcc_lo, s40, v5
	v_cndmask_b32_e64 v20, 0x10000, 0, s4
	v_mov_b32_e32 v8, 0
	v_mov_b32_e32 v6, 0
	;; [unrolled: 1-line block ×9, first 2 shown]
	s_mov_b32 s7, 0
                                        ; implicit-def: $sgpr4
                                        ; implicit-def: $vgpr7
	s_and_saveexec_b32 s6, vcc_lo
	s_cbranch_execz .LBB316_58
; %bb.45:
	v_add_nc_u32_e32 v5, 3, v29
	v_cmp_eq_u16_sdwa s4, v11, v12 src0_sel:WORD_1 src1_sel:DWORD
	v_mov_b32_e32 v26, 0
	v_mov_b32_e32 v25, 0
	;; [unrolled: 1-line block ×3, first 2 shown]
	v_cmp_gt_u32_e32 vcc_lo, s40, v5
	v_cndmask_b32_e64 v11, 0x10000, 0, s4
	v_mov_b32_e32 v6, 0
	v_mov_b32_e32 v5, 0
	;; [unrolled: 1-line block ×7, first 2 shown]
	s_mov_b32 s8, 0
                                        ; implicit-def: $sgpr4
                                        ; implicit-def: $vgpr7
	s_and_saveexec_b32 s7, vcc_lo
	s_cbranch_execz .LBB316_57
; %bb.46:
	v_add_nc_u32_e32 v5, 4, v29
	v_cmp_eq_u16_sdwa s4, v12, v12 src0_sel:DWORD src1_sel:WORD_1
	v_mov_b32_e32 v25, 0
	v_mov_b32_e32 v8, 0
	;; [unrolled: 1-line block ×3, first 2 shown]
	v_cmp_gt_u32_e32 vcc_lo, s40, v5
	v_cndmask_b32_e64 v17, 0x10000, 0, s4
	v_mov_b32_e32 v5, 0
	v_mov_b32_e32 v16, 0
	;; [unrolled: 1-line block ×5, first 2 shown]
	s_mov_b32 s9, 0
                                        ; implicit-def: $sgpr4
                                        ; implicit-def: $vgpr7
	s_and_saveexec_b32 s8, vcc_lo
	s_cbranch_execz .LBB316_56
; %bb.47:
	v_add_nc_u32_e32 v5, 5, v29
	v_cmp_eq_u16_sdwa s4, v12, v9 src0_sel:WORD_1 src1_sel:DWORD
	v_mov_b32_e32 v8, 0
	v_mov_b32_e32 v6, 0
	;; [unrolled: 1-line block ×3, first 2 shown]
	v_cmp_gt_u32_e32 vcc_lo, s40, v5
	v_cndmask_b32_e64 v12, 0x10000, 0, s4
	v_mov_b32_e32 v5, 0
	v_mov_b32_e32 v14, 0
	;; [unrolled: 1-line block ×3, first 2 shown]
	s_mov_b32 s10, 0
                                        ; implicit-def: $sgpr4
                                        ; implicit-def: $vgpr7
	s_and_saveexec_b32 s9, vcc_lo
	s_cbranch_execz .LBB316_55
; %bb.48:
	v_add_nc_u32_e32 v7, 6, v29
	v_cmp_eq_u16_sdwa s4, v9, v9 src0_sel:DWORD src1_sel:WORD_1
	v_mov_b32_e32 v6, 0
	v_mov_b32_e32 v5, 0
	;; [unrolled: 1-line block ×3, first 2 shown]
	v_cmp_gt_u32_e32 vcc_lo, s40, v7
	v_cndmask_b32_e64 v8, 0x10000, 0, s4
	v_mov_b32_e32 v13, 0
	s_mov_b32 s11, 0
                                        ; implicit-def: $sgpr4
                                        ; implicit-def: $vgpr7
	s_and_saveexec_b32 s10, vcc_lo
	s_cbranch_execz .LBB316_54
; %bb.49:
	v_add_nc_u32_e32 v7, 7, v29
	v_cmp_eq_u16_sdwa s4, v9, v10 src0_sel:WORD_1 src1_sel:DWORD
	v_mov_b32_e32 v5, 0
	v_mov_b32_e32 v13, 0
	s_mov_b32 s16, 0
	v_cmp_gt_u32_e32 vcc_lo, s40, v7
	v_cndmask_b32_e64 v6, 0x10000, 0, s4
                                        ; implicit-def: $sgpr4
                                        ; implicit-def: $vgpr7
	s_and_saveexec_b32 s11, vcc_lo
	s_cbranch_execz .LBB316_53
; %bb.50:
	v_add_nc_u32_e32 v7, 8, v29
	v_cmp_eq_u16_sdwa s4, v10, v10 src0_sel:DWORD src1_sel:WORD_1
	v_mov_b32_e32 v13, 0
	v_cmp_gt_u32_e32 vcc_lo, s40, v7
	v_cndmask_b32_e64 v5, 0x10000, 0, s4
                                        ; implicit-def: $sgpr4
                                        ; implicit-def: $vgpr7
	s_and_saveexec_b32 s17, vcc_lo
	s_xor_b32 s17, exec_lo, s17
	s_cbranch_execz .LBB316_52
; %bb.51:
	ds_read_u16 v7, v23 offset:18
	v_cmp_eq_u16_sdwa s4, v10, v22 src0_sel:WORD_1 src1_sel:DWORD
	v_add_nc_u32_e32 v9, 9, v29
	v_cndmask_b32_e64 v10, 0x10000, 0, s4
	v_cmp_gt_u32_e32 vcc_lo, s40, v9
	v_cmp_ne_u16_e64 s4, v22, v24
	s_waitcnt lgkmcnt(1)
	v_or_b32_sdwa v13, v10, v4 dst_sel:DWORD dst_unused:UNUSED_PAD src0_sel:DWORD src1_sel:WORD_1
	s_and_b32 s16, vcc_lo, exec_lo
.LBB316_52:
	s_or_b32 exec_lo, exec_lo, s17
	s_waitcnt lgkmcnt(0)
	v_and_or_b32 v5, 0xffff, v4, v5
	s_and_b32 s16, s16, exec_lo
.LBB316_53:
	s_or_b32 exec_lo, exec_lo, s11
	s_waitcnt lgkmcnt(0)
	v_or_b32_sdwa v6, v6, v3 dst_sel:DWORD dst_unused:UNUSED_PAD src0_sel:DWORD src1_sel:WORD_1
	v_mov_b32_e32 v14, v5
	s_and_b32 s11, s16, exec_lo
.LBB316_54:
	s_or_b32 exec_lo, exec_lo, s10
	s_waitcnt lgkmcnt(0)
	v_and_or_b32 v8, 0xffff, v3, v8
	v_mov_b32_e32 v15, v6
	s_and_b32 s10, s11, exec_lo
.LBB316_55:
	s_or_b32 exec_lo, exec_lo, s9
	s_waitcnt lgkmcnt(0)
	v_or_b32_sdwa v25, v12, v2 dst_sel:DWORD dst_unused:UNUSED_PAD src0_sel:DWORD src1_sel:WORD_1
	v_mov_b32_e32 v16, v8
	s_and_b32 s9, s10, exec_lo
.LBB316_56:
	s_or_b32 exec_lo, exec_lo, s8
	s_waitcnt lgkmcnt(0)
	v_and_or_b32 v26, 0xffff, v2, v17
	v_mov_b32_e32 v17, v25
	s_and_b32 s8, s9, exec_lo
.LBB316_57:
	s_or_b32 exec_lo, exec_lo, s7
	s_waitcnt lgkmcnt(0)
	v_or_b32_sdwa v27, v11, v1 dst_sel:DWORD dst_unused:UNUSED_PAD src0_sel:DWORD src1_sel:WORD_1
	v_mov_b32_e32 v19, v26
	s_and_b32 s7, s8, exec_lo
.LBB316_58:
	s_or_b32 exec_lo, exec_lo, s6
	s_waitcnt lgkmcnt(0)
	v_and_or_b32 v1, 0xffff, v1, v20
	v_mov_b32_e32 v20, v27
	s_and_b32 s6, s7, exec_lo
.LBB316_59:
	s_or_b32 exec_lo, exec_lo, s3
	s_waitcnt lgkmcnt(0)
	v_or_b32_e32 v18, v21, v18
	v_mov_b32_e32 v21, v1
	s_and_b32 s3, s6, exec_lo
.LBB316_60:
	s_or_b32 exec_lo, exec_lo, s5
	v_lshlrev_b32_e32 v9, 1, v0
	s_and_b32 vcc_lo, exec_lo, s2
	s_cbranch_vccnz .LBB316_62
	s_branch .LBB316_70
.LBB316_61:
                                        ; implicit-def: $sgpr4
                                        ; implicit-def: $vgpr7
                                        ; implicit-def: $vgpr18
                                        ; implicit-def: $vgpr1
                                        ; implicit-def: $vgpr27
                                        ; implicit-def: $vgpr26
                                        ; implicit-def: $vgpr25
                                        ; implicit-def: $vgpr8
                                        ; implicit-def: $vgpr6
                                        ; implicit-def: $vgpr5
                                        ; implicit-def: $vgpr21
                                        ; implicit-def: $vgpr20
                                        ; implicit-def: $vgpr19
                                        ; implicit-def: $vgpr17
                                        ; implicit-def: $vgpr16
                                        ; implicit-def: $vgpr15
                                        ; implicit-def: $vgpr14
                                        ; implicit-def: $vgpr13
	v_lshlrev_b32_e32 v9, 1, v0
	s_cbranch_execz .LBB316_70
.LBB316_62:
	v_add_co_u32 v1, s2, s20, v9
	v_add_co_ci_u32_e64 v2, null, s21, 0, s2
	v_mad_u32_u24 v6, v0, 18, v9
	s_cmp_eq_u64 s[34:35], 0
	s_clause 0x9
	flat_load_ushort v3, v[1:2]
	flat_load_ushort v4, v[1:2] offset:128
	flat_load_ushort v5, v[1:2] offset:256
	;; [unrolled: 1-line block ×9, first 2 shown]
	s_waitcnt vmcnt(9) lgkmcnt(9)
	ds_write_b16 v9, v3
	s_waitcnt vmcnt(8) lgkmcnt(9)
	ds_write_b16 v9, v4 offset:128
	s_waitcnt vmcnt(7) lgkmcnt(9)
	ds_write_b16 v9, v5 offset:256
	;; [unrolled: 2-line block ×9, first 2 shown]
	s_waitcnt lgkmcnt(0)
	s_barrier
	buffer_gl0_inv
	ds_read2_b32 v[3:4], v6 offset1:1
	ds_read2_b32 v[1:2], v6 offset0:2 offset1:3
	ds_read_b32 v5, v6 offset:16
	s_cbranch_scc1 .LBB316_67
; %bb.63:
	s_andn2_b32 vcc_lo, exec_lo, s39
	s_cbranch_vccnz .LBB316_204
; %bb.64:
	s_lshl_b64 s[2:3], s[34:35], 1
	s_add_u32 s2, s22, s2
	s_addc_u32 s3, s23, s3
	s_add_u32 s2, s2, -2
	s_addc_u32 s3, s3, -1
	s_cbranch_execnz .LBB316_66
.LBB316_65:
	s_add_u32 s2, s20, -2
	s_addc_u32 s3, s21, -1
.LBB316_66:
	s_mov_b64 s[20:21], s[2:3]
.LBB316_67:
	v_mov_b32_e32 v7, s20
	v_mov_b32_e32 v8, s21
	v_mad_i32_i24 v10, 0xffffffee, v0, v6
	flat_load_ushort v8, v[7:8]
	s_waitcnt lgkmcnt(1)
	v_lshrrev_b32_e32 v7, 16, v5
	ds_write_b16 v10, v7 offset:1280
	s_waitcnt vmcnt(0) lgkmcnt(0)
	s_barrier
	buffer_gl0_inv
	s_and_saveexec_b32 s2, s1
; %bb.68:
	v_mul_i32_i24_e32 v8, 0xffffffee, v0
	v_add_nc_u32_e32 v8, v6, v8
	ds_read_u16 v8, v8 offset:1278
; %bb.69:
	s_or_b32 exec_lo, exec_lo, s2
	v_add_co_u32 v10, s2, s37, v9
	v_add_co_ci_u32_e64 v11, null, s38, 0, s2
	s_waitcnt lgkmcnt(0)
	s_barrier
	buffer_gl0_inv
	s_clause 0x9
	flat_load_ushort v12, v[10:11]
	flat_load_ushort v13, v[10:11] offset:128
	flat_load_ushort v14, v[10:11] offset:256
	flat_load_ushort v15, v[10:11] offset:384
	flat_load_ushort v16, v[10:11] offset:512
	flat_load_ushort v17, v[10:11] offset:640
	flat_load_ushort v18, v[10:11] offset:768
	flat_load_ushort v19, v[10:11] offset:896
	flat_load_ushort v20, v[10:11] offset:1024
	flat_load_ushort v10, v[10:11] offset:1152
	v_cmp_eq_u16_sdwa s2, v3, v3 src0_sel:DWORD src1_sel:WORD_1
	v_cmp_eq_u16_e32 vcc_lo, v8, v3
	v_cmp_ne_u16_e64 s4, v5, v7
	s_mov_b32 s3, -1
	s_waitcnt vmcnt(9) lgkmcnt(9)
	ds_write_b16 v9, v12
	s_waitcnt vmcnt(8) lgkmcnt(9)
	ds_write_b16 v9, v13 offset:128
	s_waitcnt vmcnt(7) lgkmcnt(9)
	ds_write_b16 v9, v14 offset:256
	;; [unrolled: 2-line block ×9, first 2 shown]
	v_cndmask_b32_e64 v8, 0x10000, 0, s2
	v_cmp_eq_u16_sdwa s2, v3, v4 src0_sel:WORD_1 src1_sel:DWORD
	s_waitcnt lgkmcnt(0)
	s_barrier
	buffer_gl0_inv
	ds_read2_b32 v[10:11], v6 offset1:1
	ds_read2_b32 v[12:13], v6 offset0:2 offset1:3
	ds_read_b32 v14, v6 offset:16
	v_cndmask_b32_e64 v3, 0x10000, 0, s2
	v_cmp_eq_u16_sdwa s2, v4, v4 src0_sel:DWORD src1_sel:WORD_1
	v_cndmask_b32_e64 v6, 0x10000, 0, vcc_lo
	v_cndmask_b32_e64 v15, 0x10000, 0, s2
	v_cmp_eq_u16_sdwa s2, v4, v1 src0_sel:WORD_1 src1_sel:DWORD
	v_cndmask_b32_e64 v4, 0x10000, 0, s2
	v_cmp_eq_u16_sdwa s2, v1, v1 src0_sel:DWORD src1_sel:WORD_1
	s_waitcnt lgkmcnt(2)
	v_and_or_b32 v18, 0xffff, v10, v6
	v_cndmask_b32_e64 v16, 0x10000, 0, s2
	v_cmp_eq_u16_sdwa s2, v1, v2 src0_sel:WORD_1 src1_sel:DWORD
	v_or_b32_sdwa v1, v8, v10 dst_sel:DWORD dst_unused:UNUSED_PAD src0_sel:DWORD src1_sel:WORD_1
	v_and_or_b32 v27, 0xffff, v11, v3
	v_or_b32_sdwa v26, v15, v11 dst_sel:DWORD dst_unused:UNUSED_PAD src0_sel:DWORD src1_sel:WORD_1
	s_waitcnt lgkmcnt(1)
	v_and_or_b32 v25, 0xffff, v12, v4
	v_cndmask_b32_e64 v17, 0x10000, 0, s2
	v_cmp_eq_u16_sdwa s2, v2, v2 src0_sel:DWORD src1_sel:WORD_1
	v_or_b32_sdwa v8, v16, v12 dst_sel:DWORD dst_unused:UNUSED_PAD src0_sel:DWORD src1_sel:WORD_1
	s_waitcnt lgkmcnt(0)
	v_lshrrev_b32_e32 v7, 16, v14
	v_mov_b32_e32 v21, v1
	v_and_or_b32 v6, 0xffff, v13, v17
	v_cndmask_b32_e64 v19, 0x10000, 0, s2
	v_cmp_eq_u16_sdwa s2, v2, v5 src0_sel:WORD_1 src1_sel:DWORD
	v_mov_b32_e32 v20, v27
	v_mov_b32_e32 v17, v25
	;; [unrolled: 1-line block ×3, first 2 shown]
	v_or_b32_sdwa v5, v19, v13 dst_sel:DWORD dst_unused:UNUSED_PAD src0_sel:DWORD src1_sel:WORD_1
	v_cndmask_b32_e64 v2, 0x10000, 0, s2
	v_mov_b32_e32 v19, v26
	v_mov_b32_e32 v15, v6
	v_and_or_b32 v13, 0xffff, v14, v2
	v_mov_b32_e32 v14, v5
.LBB316_70:
	v_mov_b32_e32 v10, 0
	s_and_saveexec_b32 s2, s3
	s_cbranch_execz .LBB316_72
; %bb.71:
	v_cndmask_b32_e64 v2, 0, 0x10000, s4
	v_mov_b32_e32 v14, v5
	v_mov_b32_e32 v15, v6
	;; [unrolled: 1-line block ×4, first 2 shown]
	v_or_b32_sdwa v10, v2, v7 dst_sel:DWORD dst_unused:UNUSED_PAD src0_sel:DWORD src1_sel:WORD_0
	v_mov_b32_e32 v19, v26
	v_mov_b32_e32 v20, v27
	;; [unrolled: 1-line block ×3, first 2 shown]
.LBB316_72:
	s_or_b32 exec_lo, exec_lo, s2
	v_or3_b32 v1, v14, v13, v15
	v_cmp_gt_u32_e64 s10, 0x10000, v21
	v_cmp_gt_u32_e64 s9, 0x10000, v20
	v_cmp_gt_u32_e64 s8, 0x10000, v19
	v_cmp_gt_u32_e64 s7, 0x10000, v17
	v_cmp_gt_u32_e64 s6, 0x10000, v16
	v_cmp_gt_u32_e64 s5, 0x10000, v15
	v_cmp_gt_u32_e64 s4, 0x10000, v14
	v_cmp_gt_u32_e64 s2, 0x10000, v13
	v_or3_b32 v12, v1, v16, v17
	v_cmp_gt_u32_e64 s3, 0x10000, v10
	v_lshrrev_b32_e32 v11, 3, v0
	s_cmp_lg_u32 s36, 0
	v_cmp_gt_u32_e32 vcc_lo, 32, v0
	s_barrier
	buffer_gl0_inv
	s_cbranch_scc0 .LBB316_122
; %bb.73:
	v_cndmask_b32_e64 v1, 1, v18, s10
	v_or3_b32 v2, v12, v19, v20
	v_and_b32_e32 v3, 4, v11
	v_lshrrev_b32_e32 v22, 16, v18
	v_mul_lo_u16 v1, v1, v21
	v_or3_b32 v2, v2, v21, v10
	v_lshl_add_u32 v3, v0, 2, v3
	v_cndmask_b32_e64 v1, 1, v1, s9
	v_and_b32_e32 v2, 0xff0000, v2
	v_mul_lo_u16 v1, v1, v20
	v_cmp_eq_u32_e64 s11, 0, v2
	v_cndmask_b32_e64 v1, 1, v1, s8
	v_cndmask_b32_e64 v23, 1, v22, s11
	v_mul_lo_u16 v1, v1, v19
	v_cndmask_b32_e64 v1, 1, v1, s7
	v_mul_lo_u16 v1, v1, v17
	;; [unrolled: 2-line block ×7, first 2 shown]
	ds_write_b8 v3, v23 offset:2
	ds_write_b16 v3, v24
	s_waitcnt lgkmcnt(0)
	s_barrier
	buffer_gl0_inv
	s_and_saveexec_b32 s16, vcc_lo
	s_cbranch_execz .LBB316_85
; %bb.74:
	v_lshrrev_b32_e32 v1, 2, v0
	v_lshlrev_b32_e32 v2, 3, v0
	s_mov_b32 s17, exec_lo
	v_and_b32_e32 v1, 12, v1
	v_add_nc_u32_e32 v1, v1, v2
	ds_read_u8 v3, v1 offset:6
	ds_read_b32 v2, v1
	ds_read_u16 v4, v1 offset:4
	s_waitcnt lgkmcnt(2)
	v_cmp_eq_u16_e64 s11, 0, v3
	v_and_b32_e32 v6, 1, v3
	s_waitcnt lgkmcnt(1)
	v_and_b32_e32 v3, 0x10000, v2
	v_cndmask_b32_e64 v5, 1, v2, s11
	v_cmp_eq_u32_e64 s11, 1, v6
	v_mbcnt_lo_u32_b32 v6, -1, 0
	s_waitcnt lgkmcnt(0)
	v_mul_lo_u16 v5, v5, v4
	v_and_b32_e32 v4, 0xff000000, v2
	v_cndmask_b32_e64 v7, v3, 0x10000, s11
	v_and_b32_e32 v8, 0xffff, v5
	v_or_b32_e32 v25, v7, v4
	v_or3_b32 v26, v4, v8, v7
	v_and_b32_e32 v7, 15, v6
	v_lshrrev_b32_e32 v8, 16, v25
	v_mov_b32_dpp v27, v26 row_shr:1 row_mask:0xf bank_mask:0xf
	v_cmpx_ne_u32_e32 0, v7
	s_cbranch_execz .LBB316_76
; %bb.75:
	v_mov_b32_e32 v8, 0xff
	v_mov_b32_e32 v26, 1
	v_and_b32_sdwa v8, v25, v8 dst_sel:DWORD dst_unused:UNUSED_PAD src0_sel:WORD_1 src1_sel:DWORD
	v_and_b32_e32 v25, 0x10000, v25
	v_and_b32_sdwa v26, v27, v26 dst_sel:DWORD dst_unused:UNUSED_PAD src0_sel:WORD_1 src1_sel:DWORD
	v_cmp_eq_u16_e64 s11, 0, v8
	v_cndmask_b32_e64 v27, 1, v27, s11
	v_cmp_ne_u32_e64 s11, 0, v25
	v_mul_lo_u16 v5, v27, v5
	v_cndmask_b32_e64 v8, v26, 1, s11
	v_and_b32_e32 v26, 0xffff, v5
	v_lshlrev_b32_e32 v25, 16, v8
	v_or3_b32 v26, v25, v26, v4
.LBB316_76:
	s_or_b32 exec_lo, exec_lo, s17
	v_lshrrev_b32_e32 v25, 16, v26
	v_mov_b32_dpp v27, v26 row_shr:2 row_mask:0xf bank_mask:0xf
	s_mov_b32 s17, exec_lo
	v_cmpx_lt_u32_e32 1, v7
	s_cbranch_execz .LBB316_78
; %bb.77:
	v_mov_b32_e32 v28, 0
	v_mov_b32_e32 v8, 1
	v_and_b32_e32 v26, 0x10000, v26
	v_cmp_eq_u16_sdwa s11, v25, v28 src0_sel:BYTE_0 src1_sel:DWORD
	v_and_b32_sdwa v8, v27, v8 dst_sel:DWORD dst_unused:UNUSED_PAD src0_sel:WORD_1 src1_sel:DWORD
	v_cndmask_b32_e64 v25, 1, v27, s11
	v_cmp_ne_u32_e64 s11, 0, v26
	v_mul_lo_u16 v5, v25, v5
	v_cndmask_b32_e64 v8, v8, 1, s11
	v_and_b32_e32 v26, 0xffff, v5
	v_lshlrev_b32_e32 v25, 16, v8
	v_or3_b32 v26, v25, v26, v4
	v_mov_b32_e32 v25, v8
.LBB316_78:
	s_or_b32 exec_lo, exec_lo, s17
	v_mov_b32_dpp v27, v26 row_shr:4 row_mask:0xf bank_mask:0xf
	s_mov_b32 s17, exec_lo
	v_cmpx_lt_u32_e32 3, v7
	s_cbranch_execz .LBB316_80
; %bb.79:
	v_mov_b32_e32 v26, 0
	v_mov_b32_e32 v8, 1
	v_and_b32_e32 v28, 1, v25
	v_cmp_eq_u16_sdwa s11, v25, v26 src0_sel:BYTE_0 src1_sel:DWORD
	v_and_b32_sdwa v8, v27, v8 dst_sel:DWORD dst_unused:UNUSED_PAD src0_sel:WORD_1 src1_sel:DWORD
	v_cndmask_b32_e64 v25, 1, v27, s11
	v_cmp_eq_u32_e64 s11, 1, v28
	v_mul_lo_u16 v5, v25, v5
	v_cndmask_b32_e64 v8, v8, 1, s11
	v_and_b32_e32 v26, 0xffff, v5
	v_lshlrev_b32_e32 v25, 16, v8
	v_or3_b32 v26, v25, v26, v4
	v_mov_b32_e32 v25, v8
.LBB316_80:
	s_or_b32 exec_lo, exec_lo, s17
	v_mov_b32_dpp v27, v26 row_shr:8 row_mask:0xf bank_mask:0xf
	s_mov_b32 s17, exec_lo
	v_cmpx_lt_u32_e32 7, v7
	s_cbranch_execz .LBB316_82
; %bb.81:
	v_mov_b32_e32 v8, 0
	v_mov_b32_e32 v7, 1
	v_and_b32_e32 v26, 1, v25
	v_cmp_eq_u16_sdwa s11, v25, v8 src0_sel:BYTE_0 src1_sel:DWORD
	v_and_b32_sdwa v7, v27, v7 dst_sel:DWORD dst_unused:UNUSED_PAD src0_sel:WORD_1 src1_sel:DWORD
	v_cndmask_b32_e64 v25, 1, v27, s11
	v_cmp_eq_u32_e64 s11, 1, v26
	v_mul_lo_u16 v5, v25, v5
	v_cndmask_b32_e64 v8, v7, 1, s11
	v_and_b32_e32 v25, 0xffff, v5
	v_lshlrev_b32_e32 v7, 16, v8
	v_or3_b32 v26, v7, v25, v4
	v_mov_b32_e32 v25, v8
.LBB316_82:
	s_or_b32 exec_lo, exec_lo, s17
	ds_swizzle_b32 v7, v26 offset:swizzle(BROADCAST,32,15)
	v_and_b32_e32 v26, 16, v6
	s_mov_b32 s17, exec_lo
	v_cmpx_ne_u32_e32 0, v26
	s_cbranch_execz .LBB316_84
; %bb.83:
	v_mov_b32_e32 v8, 0
	v_mov_b32_e32 v26, 1
	v_cmp_eq_u16_sdwa s11, v25, v8 src0_sel:BYTE_0 src1_sel:DWORD
	v_and_b32_e32 v25, 1, v25
	s_waitcnt lgkmcnt(0)
	v_cndmask_b32_e64 v8, 1, v7, s11
	v_and_b32_sdwa v7, v7, v26 dst_sel:DWORD dst_unused:UNUSED_PAD src0_sel:WORD_1 src1_sel:DWORD
	v_cmp_eq_u32_e64 s11, 1, v25
	v_mul_lo_u16 v5, v8, v5
	v_cndmask_b32_e64 v8, v7, 1, s11
.LBB316_84:
	s_or_b32 exec_lo, exec_lo, s17
	s_waitcnt lgkmcnt(0)
	v_and_b32_e32 v7, 0xff, v8
	v_add_nc_u32_e32 v8, -1, v6
	v_and_b32_e32 v5, 0xffff, v5
	; wave barrier
	v_lshlrev_b32_e32 v7, 16, v7
	v_cmp_gt_i32_e64 s11, 0, v8
	v_or3_b32 v4, v7, v5, v4
	v_cndmask_b32_e64 v6, v8, v6, s11
	v_lshlrev_b32_e32 v5, 2, v6
	v_mov_b32_e32 v6, 1
	ds_bpermute_b32 v4, v5, v4
	v_and_b32_e32 v5, 0xff0000, v2
	v_cmp_eq_u32_e64 s11, 0, v5
	s_waitcnt lgkmcnt(0)
	v_cndmask_b32_e64 v5, 1, v4, s11
	v_and_b32_sdwa v4, v4, v6 dst_sel:DWORD dst_unused:UNUSED_PAD src0_sel:WORD_1 src1_sel:DWORD
	v_cmp_eq_u32_e64 s11, 0, v3
	v_mul_lo_u16 v2, v5, v2
	v_cndmask_b32_e64 v3, 1, v4, s11
	v_cndmask_b32_e64 v2, v2, v24, s0
	;; [unrolled: 1-line block ×3, first 2 shown]
	ds_write_b16 v1, v2
	ds_write_b8 v1, v3 offset:2
	; wave barrier
	ds_read_u8 v4, v1 offset:6
	ds_read_u16 v5, v1 offset:4
	s_waitcnt lgkmcnt(1)
	v_cmp_eq_u16_e64 s11, 0, v4
	v_and_b32_e32 v4, 1, v4
	v_cndmask_b32_e64 v2, 1, v2, s11
	v_cmp_eq_u32_e64 s11, 1, v4
	s_waitcnt lgkmcnt(0)
	v_mul_lo_u16 v2, v2, v5
	v_cndmask_b32_e64 v3, v3, 1, s11
	ds_write_b16 v1, v2 offset:4
	ds_write_b8 v1, v3 offset:6
.LBB316_85:
	s_or_b32 exec_lo, exec_lo, s16
	s_waitcnt lgkmcnt(0)
	s_barrier
	buffer_gl0_inv
	s_and_saveexec_b32 s11, s1
	s_cbranch_execz .LBB316_87
; %bb.86:
	v_add_nc_u32_e32 v1, -1, v0
	v_lshrrev_b32_e32 v2, 3, v1
	v_and_b32_e32 v2, 0x1ffffffc, v2
	v_lshl_add_u32 v1, v1, 2, v2
	ds_read_u16 v24, v1
	ds_read_u8 v23, v1 offset:2
.LBB316_87:
	s_or_b32 exec_lo, exec_lo, s11
	s_and_saveexec_b32 s20, vcc_lo
	s_cbranch_execz .LBB316_127
; %bb.88:
	v_mov_b32_e32 v6, 0
	v_mbcnt_lo_u32_b32 v25, -1, 0
	s_mov_b32 s17, 0
	ds_read_b32 v1, v6 offset:256
	v_cmp_eq_u32_e64 s11, 0, v25
	s_and_saveexec_b32 s21, s11
	s_cbranch_execz .LBB316_90
; %bb.89:
	s_add_i32 s16, s36, 32
	v_mov_b32_e32 v2, 1
	s_lshl_b64 s[16:17], s[16:17], 3
	s_add_u32 s16, s24, s16
	s_addc_u32 s17, s25, s17
	s_waitcnt lgkmcnt(0)
	global_store_dwordx2 v6, v[1:2], s[16:17]
.LBB316_90:
	s_or_b32 exec_lo, exec_lo, s21
	v_xad_u32 v2, v25, -1, s36
	v_add_nc_u32_e32 v5, 32, v2
	v_lshlrev_b64 v[3:4], 3, v[5:6]
	v_add_co_u32 v7, vcc_lo, s24, v3
	v_add_co_ci_u32_e64 v8, null, s25, v4, vcc_lo
	global_load_dwordx2 v[4:5], v[7:8], off glc dlc
	s_waitcnt vmcnt(0)
	v_cmp_eq_u16_sdwa s17, v5, v6 src0_sel:BYTE_0 src1_sel:DWORD
	s_and_saveexec_b32 s16, s17
	s_cbranch_execz .LBB316_94
; %bb.91:
	v_mov_b32_e32 v3, 0
	s_mov_b32 s17, 0
.LBB316_92:                             ; =>This Inner Loop Header: Depth=1
	global_load_dwordx2 v[4:5], v[7:8], off glc dlc
	s_waitcnt vmcnt(0)
	v_cmp_ne_u16_sdwa s21, v5, v3 src0_sel:BYTE_0 src1_sel:DWORD
	s_or_b32 s17, s21, s17
	s_andn2_b32 exec_lo, exec_lo, s17
	s_cbranch_execnz .LBB316_92
; %bb.93:
	s_or_b32 exec_lo, exec_lo, s17
.LBB316_94:
	s_or_b32 exec_lo, exec_lo, s16
	v_cmp_ne_u32_e32 vcc_lo, 31, v25
	v_and_b32_e32 v33, 0xffffff, v4
	v_mov_b32_e32 v6, 2
	v_lshlrev_b32_e64 v26, v25, -1
	v_bfe_u32 v7, v4, 16, 8
	v_add_co_ci_u32_e64 v3, null, 0, v25, vcc_lo
	v_cmp_eq_u16_sdwa s16, v5, v6 src0_sel:BYTE_0 src1_sel:DWORD
	v_lshrrev_b32_e32 v6, 16, v4
	v_lshlrev_b32_e32 v8, 2, v3
	v_and_or_b32 v3, s16, v26, 0x80000000
	s_mov_b32 s16, exec_lo
	ds_bpermute_b32 v27, v8, v33
	v_ffbl_b32_e32 v3, v3
	v_cmpx_lt_u32_e64 v25, v3
	s_cbranch_execz .LBB316_96
; %bb.95:
	v_and_b32_e32 v6, 0xff0000, v4
	v_mov_b32_e32 v7, 1
	v_and_b32_e32 v28, 0x10000, v6
	v_cmp_eq_u32_e32 vcc_lo, 0, v6
	s_waitcnt lgkmcnt(0)
	v_and_b32_sdwa v7, v27, v7 dst_sel:DWORD dst_unused:UNUSED_PAD src0_sel:WORD_1 src1_sel:DWORD
	v_cndmask_b32_e32 v27, 1, v27, vcc_lo
	v_cmp_ne_u32_e32 vcc_lo, 0, v28
	v_mul_lo_u16 v4, v27, v4
	v_cndmask_b32_e64 v6, v7, 1, vcc_lo
	v_lshlrev_b32_e32 v7, 16, v6
	v_or_b32_sdwa v33, v7, v4 dst_sel:DWORD dst_unused:UNUSED_PAD src0_sel:DWORD src1_sel:WORD_0
	v_mov_b32_e32 v7, v6
.LBB316_96:
	s_or_b32 exec_lo, exec_lo, s16
	v_cmp_gt_u32_e32 vcc_lo, 30, v25
	v_add_nc_u32_e32 v28, 2, v25
	s_mov_b32 s16, exec_lo
	s_waitcnt lgkmcnt(0)
	v_cndmask_b32_e64 v27, 0, 2, vcc_lo
	v_add_lshl_u32 v27, v27, v25, 2
	ds_bpermute_b32 v29, v27, v33
	v_cmpx_le_u32_e64 v28, v3
	s_cbranch_execz .LBB316_98
; %bb.97:
	v_mov_b32_e32 v6, 1
	v_and_b32_e32 v30, 1, v7
	v_cmp_eq_u16_e32 vcc_lo, 0, v7
	s_waitcnt lgkmcnt(0)
	v_and_b32_sdwa v6, v29, v6 dst_sel:DWORD dst_unused:UNUSED_PAD src0_sel:WORD_1 src1_sel:DWORD
	v_cndmask_b32_e32 v7, 1, v29, vcc_lo
	v_cmp_eq_u32_e32 vcc_lo, 1, v30
	v_mul_lo_u16 v4, v7, v4
	v_cndmask_b32_e64 v6, v6, 1, vcc_lo
	v_lshlrev_b32_e32 v7, 16, v6
	v_or_b32_sdwa v33, v7, v4 dst_sel:DWORD dst_unused:UNUSED_PAD src0_sel:DWORD src1_sel:WORD_0
	v_mov_b32_e32 v7, v6
.LBB316_98:
	s_or_b32 exec_lo, exec_lo, s16
	v_cmp_gt_u32_e32 vcc_lo, 28, v25
	v_add_nc_u32_e32 v30, 4, v25
	s_mov_b32 s16, exec_lo
	s_waitcnt lgkmcnt(0)
	v_cndmask_b32_e64 v29, 0, 4, vcc_lo
	v_add_lshl_u32 v29, v29, v25, 2
	ds_bpermute_b32 v31, v29, v33
	v_cmpx_le_u32_e64 v30, v3
	s_cbranch_execz .LBB316_100
; %bb.99:
	v_mov_b32_e32 v6, 1
	v_and_b32_e32 v32, 1, v7
	v_cmp_eq_u16_e32 vcc_lo, 0, v7
	s_waitcnt lgkmcnt(0)
	v_and_b32_sdwa v6, v31, v6 dst_sel:DWORD dst_unused:UNUSED_PAD src0_sel:WORD_1 src1_sel:DWORD
	v_cndmask_b32_e32 v7, 1, v31, vcc_lo
	v_cmp_eq_u32_e32 vcc_lo, 1, v32
	v_mul_lo_u16 v4, v7, v4
	v_cndmask_b32_e64 v6, v6, 1, vcc_lo
	v_lshlrev_b32_e32 v7, 16, v6
	v_or_b32_sdwa v33, v7, v4 dst_sel:DWORD dst_unused:UNUSED_PAD src0_sel:DWORD src1_sel:WORD_0
	v_mov_b32_e32 v7, v6
.LBB316_100:
	;; [unrolled: 24-line block ×3, first 2 shown]
	s_or_b32 exec_lo, exec_lo, s16
	v_lshl_or_b32 v35, v25, 2, 64
	v_add_nc_u32_e32 v36, 16, v25
	s_mov_b32 s16, exec_lo
	ds_bpermute_b32 v33, v35, v33
	v_cmpx_le_u32_e64 v36, v3
	s_cbranch_execz .LBB316_104
; %bb.103:
	v_mov_b32_e32 v3, 1
	v_cmp_eq_u16_e32 vcc_lo, 0, v7
	v_and_b32_e32 v7, 1, v7
	s_waitcnt lgkmcnt(0)
	v_and_b32_sdwa v3, v33, v3 dst_sel:DWORD dst_unused:UNUSED_PAD src0_sel:WORD_1 src1_sel:DWORD
	v_cndmask_b32_e32 v6, 1, v33, vcc_lo
	v_cmp_eq_u32_e32 vcc_lo, 1, v7
	v_mul_lo_u16 v4, v6, v4
	v_cndmask_b32_e64 v6, v3, 1, vcc_lo
.LBB316_104:
	s_or_b32 exec_lo, exec_lo, s16
	v_mov_b32_e32 v3, 0
	v_mov_b32_e32 v37, 2
	;; [unrolled: 1-line block ×3, first 2 shown]
	s_branch .LBB316_107
.LBB316_105:                            ;   in Loop: Header=BB316_107 Depth=1
	s_or_b32 exec_lo, exec_lo, s16
	v_cmp_eq_u16_sdwa vcc_lo, v33, v3 src0_sel:BYTE_0 src1_sel:DWORD
	v_and_b32_e32 v6, 1, v33
	v_and_b32_e32 v7, 1, v7
	v_subrev_nc_u32_e32 v2, 32, v2
	s_mov_b32 s16, 0
	v_cndmask_b32_e32 v4, 1, v4, vcc_lo
	v_cmp_eq_u32_e32 vcc_lo, 1, v6
	v_mul_lo_u16 v4, v4, v34
	v_cndmask_b32_e64 v6, v7, 1, vcc_lo
.LBB316_106:                            ;   in Loop: Header=BB316_107 Depth=1
	s_and_b32 vcc_lo, exec_lo, s16
	s_cbranch_vccnz .LBB316_123
.LBB316_107:                            ; =>This Loop Header: Depth=1
                                        ;     Child Loop BB316_110 Depth 2
	v_cmp_ne_u16_sdwa s16, v5, v37 src0_sel:BYTE_0 src1_sel:DWORD
	s_waitcnt lgkmcnt(0)
	v_mov_b32_e32 v33, v6
	v_mov_b32_e32 v34, v4
                                        ; implicit-def: $vgpr6
                                        ; implicit-def: $vgpr4
	s_cmp_lg_u32 s16, exec_lo
	s_mov_b32 s16, -1
	s_cbranch_scc1 .LBB316_106
; %bb.108:                              ;   in Loop: Header=BB316_107 Depth=1
	v_lshlrev_b64 v[4:5], 3, v[2:3]
	v_add_co_u32 v6, vcc_lo, s24, v4
	v_add_co_ci_u32_e64 v7, null, s25, v5, vcc_lo
	global_load_dwordx2 v[4:5], v[6:7], off glc dlc
	s_waitcnt vmcnt(0)
	v_cmp_eq_u16_sdwa s17, v5, v3 src0_sel:BYTE_0 src1_sel:DWORD
	s_and_saveexec_b32 s16, s17
	s_cbranch_execz .LBB316_112
; %bb.109:                              ;   in Loop: Header=BB316_107 Depth=1
	s_mov_b32 s17, 0
.LBB316_110:                            ;   Parent Loop BB316_107 Depth=1
                                        ; =>  This Inner Loop Header: Depth=2
	global_load_dwordx2 v[4:5], v[6:7], off glc dlc
	s_waitcnt vmcnt(0)
	v_cmp_ne_u16_sdwa s21, v5, v3 src0_sel:BYTE_0 src1_sel:DWORD
	s_or_b32 s17, s21, s17
	s_andn2_b32 exec_lo, exec_lo, s17
	s_cbranch_execnz .LBB316_110
; %bb.111:                              ;   in Loop: Header=BB316_107 Depth=1
	s_or_b32 exec_lo, exec_lo, s17
.LBB316_112:                            ;   in Loop: Header=BB316_107 Depth=1
	s_or_b32 exec_lo, exec_lo, s16
	v_and_b32_e32 v40, 0xffffff, v4
	v_cmp_eq_u16_sdwa s16, v5, v37 src0_sel:BYTE_0 src1_sel:DWORD
	v_lshrrev_b32_e32 v7, 16, v4
	v_bfe_u32 v39, v4, 16, 8
	ds_bpermute_b32 v41, v8, v40
	v_and_or_b32 v6, s16, v26, 0x80000000
	s_mov_b32 s16, exec_lo
	v_ffbl_b32_e32 v6, v6
	v_cmpx_lt_u32_e64 v25, v6
	s_cbranch_execz .LBB316_114
; %bb.113:                              ;   in Loop: Header=BB316_107 Depth=1
	v_and_b32_e32 v7, 0xff0000, v4
	s_waitcnt lgkmcnt(0)
	v_and_b32_sdwa v40, v41, v38 dst_sel:DWORD dst_unused:UNUSED_PAD src0_sel:WORD_1 src1_sel:DWORD
	v_and_b32_e32 v39, 0x10000, v7
	v_cmp_eq_u32_e32 vcc_lo, 0, v7
	v_cndmask_b32_e32 v41, 1, v41, vcc_lo
	v_cmp_ne_u32_e32 vcc_lo, 0, v39
	v_mul_lo_u16 v4, v41, v4
	v_cndmask_b32_e64 v7, v40, 1, vcc_lo
	v_lshlrev_b32_e32 v39, 16, v7
	v_or_b32_sdwa v40, v39, v4 dst_sel:DWORD dst_unused:UNUSED_PAD src0_sel:DWORD src1_sel:WORD_0
	v_mov_b32_e32 v39, v7
.LBB316_114:                            ;   in Loop: Header=BB316_107 Depth=1
	s_or_b32 exec_lo, exec_lo, s16
	s_waitcnt lgkmcnt(0)
	ds_bpermute_b32 v41, v27, v40
	s_mov_b32 s16, exec_lo
	v_cmpx_le_u32_e64 v28, v6
	s_cbranch_execz .LBB316_116
; %bb.115:                              ;   in Loop: Header=BB316_107 Depth=1
	v_and_b32_e32 v7, 1, v39
	v_cmp_eq_u16_e32 vcc_lo, 0, v39
	s_waitcnt lgkmcnt(0)
	v_and_b32_sdwa v40, v41, v38 dst_sel:DWORD dst_unused:UNUSED_PAD src0_sel:WORD_1 src1_sel:DWORD
	v_cndmask_b32_e32 v39, 1, v41, vcc_lo
	v_cmp_eq_u32_e32 vcc_lo, 1, v7
	v_mul_lo_u16 v4, v39, v4
	v_cndmask_b32_e64 v7, v40, 1, vcc_lo
	v_lshlrev_b32_e32 v39, 16, v7
	v_or_b32_sdwa v40, v39, v4 dst_sel:DWORD dst_unused:UNUSED_PAD src0_sel:DWORD src1_sel:WORD_0
	v_mov_b32_e32 v39, v7
.LBB316_116:                            ;   in Loop: Header=BB316_107 Depth=1
	s_or_b32 exec_lo, exec_lo, s16
	s_waitcnt lgkmcnt(0)
	ds_bpermute_b32 v41, v29, v40
	s_mov_b32 s16, exec_lo
	v_cmpx_le_u32_e64 v30, v6
	s_cbranch_execz .LBB316_118
; %bb.117:                              ;   in Loop: Header=BB316_107 Depth=1
	v_and_b32_e32 v7, 1, v39
	v_cmp_eq_u16_e32 vcc_lo, 0, v39
	s_waitcnt lgkmcnt(0)
	v_and_b32_sdwa v40, v41, v38 dst_sel:DWORD dst_unused:UNUSED_PAD src0_sel:WORD_1 src1_sel:DWORD
	v_cndmask_b32_e32 v39, 1, v41, vcc_lo
	v_cmp_eq_u32_e32 vcc_lo, 1, v7
	v_mul_lo_u16 v4, v39, v4
	v_cndmask_b32_e64 v7, v40, 1, vcc_lo
	v_lshlrev_b32_e32 v39, 16, v7
	v_or_b32_sdwa v40, v39, v4 dst_sel:DWORD dst_unused:UNUSED_PAD src0_sel:DWORD src1_sel:WORD_0
	v_mov_b32_e32 v39, v7
.LBB316_118:                            ;   in Loop: Header=BB316_107 Depth=1
	;; [unrolled: 19-line block ×3, first 2 shown]
	s_or_b32 exec_lo, exec_lo, s16
	ds_bpermute_b32 v40, v35, v40
	s_mov_b32 s16, exec_lo
	v_cmpx_le_u32_e64 v36, v6
	s_cbranch_execz .LBB316_105
; %bb.121:                              ;   in Loop: Header=BB316_107 Depth=1
	v_cmp_eq_u16_e32 vcc_lo, 0, v39
	v_and_b32_e32 v7, 1, v39
	s_waitcnt lgkmcnt(0)
	v_lshrrev_b32_e32 v39, 16, v40
	v_cndmask_b32_e32 v6, 1, v40, vcc_lo
	v_cmp_eq_u32_e32 vcc_lo, 1, v7
	v_mul_lo_u16 v4, v6, v4
	v_cndmask_b32_e64 v7, v39, 1, vcc_lo
	s_branch .LBB316_105
.LBB316_122:
                                        ; implicit-def: $vgpr25
                                        ; implicit-def: $vgpr3
                                        ; implicit-def: $vgpr4
                                        ; implicit-def: $vgpr5
                                        ; implicit-def: $vgpr6
                                        ; implicit-def: $vgpr7
                                        ; implicit-def: $vgpr8
                                        ; implicit-def: $vgpr22
                                        ; implicit-def: $vgpr23
                                        ; implicit-def: $vgpr24
	s_cbranch_execnz .LBB316_130
	s_branch .LBB316_149
.LBB316_123:
	s_and_saveexec_b32 s16, s11
	s_cbranch_execz .LBB316_125
; %bb.124:
	v_and_b32_e32 v2, 0xff0000, v1
	v_mov_b32_e32 v3, 1
	v_and_b32_e32 v4, 0x10000, v1
	s_mov_b32 s23, 0
	s_add_i32 s22, s36, 32
	v_cmp_eq_u32_e32 vcc_lo, 0, v2
	v_and_b32_sdwa v3, v33, v3 dst_sel:WORD_1 dst_unused:UNUSED_PAD src0_sel:DWORD src1_sel:DWORD
	s_lshl_b64 s[22:23], s[22:23], 3
	s_add_u32 s22, s24, s22
	v_cndmask_b32_e32 v2, 1, v34, vcc_lo
	v_cmp_eq_u32_e32 vcc_lo, 0, v4
	s_addc_u32 s23, s25, s23
	v_mul_lo_u16 v1, v2, v1
	v_cndmask_b32_e32 v2, 0x10000, v3, vcc_lo
	v_mov_b32_e32 v3, 0
	v_or_b32_sdwa v1, v2, v1 dst_sel:DWORD dst_unused:UNUSED_PAD src0_sel:DWORD src1_sel:WORD_0
	v_mov_b32_e32 v2, 2
	global_store_dwordx2 v3, v[1:2], s[22:23]
.LBB316_125:
	s_or_b32 exec_lo, exec_lo, s16
	s_and_b32 exec_lo, exec_lo, s0
	s_cbranch_execz .LBB316_127
; %bb.126:
	v_mov_b32_e32 v1, 0
	ds_write_b16 v1, v34
	ds_write_b8 v1, v33 offset:2
.LBB316_127:
	s_or_b32 exec_lo, exec_lo, s20
	v_mov_b32_e32 v1, 0
	s_waitcnt lgkmcnt(0)
	s_waitcnt_vscnt null, 0x0
	s_barrier
	buffer_gl0_inv
	v_mov_b32_e32 v3, v18
	ds_read_b32 v2, v1
	s_and_saveexec_b32 s11, s1
; %bb.128:
	v_and_b32_e32 v3, 0x10000, v18
	v_cmp_gt_u32_e32 vcc_lo, 0x10000, v18
	v_cndmask_b32_e32 v4, 1, v24, vcc_lo
	v_cmp_ne_u32_e32 vcc_lo, 0, v3
	v_mul_lo_u16 v3, v4, v18
	v_cndmask_b32_e64 v22, v23, 1, vcc_lo
; %bb.129:
	s_or_b32 exec_lo, exec_lo, s11
	v_cmp_eq_u16_sdwa vcc_lo, v22, v1 src0_sel:BYTE_0 src1_sel:DWORD
	s_waitcnt lgkmcnt(0)
	v_cndmask_b32_e32 v1, 1, v2, vcc_lo
	v_mul_lo_u16 v1, v1, v3
	v_cndmask_b32_e64 v2, 1, v1, s10
	v_and_b32_e32 v25, 0xffff, v1
	v_mul_lo_u16 v3, v2, v21
	v_cndmask_b32_e64 v2, 1, v3, s9
	v_mul_lo_u16 v4, v2, v20
	v_cndmask_b32_e64 v2, 1, v4, s8
	;; [unrolled: 2-line block ×8, first 2 shown]
	v_mul_lo_u16 v24, v2, v10
	s_branch .LBB316_149
.LBB316_130:
	s_cmp_lg_u64 s[30:31], 0
	s_cselect_b32 s2, -1, 0
	s_cmp_lg_u64 s[18:19], 0
	s_cselect_b32 s3, -1, 0
	s_and_b32 s2, s2, s3
	s_and_b32 s3, s0, s2
	s_and_saveexec_b32 s2, s3
	s_cbranch_execz .LBB316_132
; %bb.131:
	v_mov_b32_e32 v1, 0
	v_mov_b32_e32 v3, 1
	v_cmp_gt_u32_e32 vcc_lo, 0x10000, v18
	v_and_b32_e32 v4, 0x10000, v18
	s_clause 0x1
	global_load_ushort v2, v1, s[18:19]
	global_load_ubyte v1, v1, s[18:19] offset:2
	s_waitcnt vmcnt(1)
	v_cndmask_b32_e32 v2, 1, v2, vcc_lo
	s_waitcnt vmcnt(0)
	v_and_b32_sdwa v1, v1, v3 dst_sel:WORD_1 dst_unused:UNUSED_PAD src0_sel:DWORD src1_sel:DWORD
	v_cmp_eq_u32_e32 vcc_lo, 0, v4
	v_mul_lo_u16 v2, v2, v18
	v_cndmask_b32_e32 v1, 0x10000, v1, vcc_lo
	v_or_b32_sdwa v18, v1, v2 dst_sel:DWORD dst_unused:UNUSED_PAD src0_sel:DWORD src1_sel:WORD_0
.LBB316_132:
	s_or_b32 exec_lo, exec_lo, s2
	v_cmp_gt_u32_e32 vcc_lo, 0x10000, v21
	v_cmp_gt_u32_e64 s2, 0x10000, v20
	v_cmp_gt_u32_e64 s3, 0x10000, v19
	;; [unrolled: 1-line block ×4, first 2 shown]
	v_cndmask_b32_e32 v1, 1, v18, vcc_lo
	v_cmp_gt_u32_e64 s6, 0x10000, v15
	v_cmp_gt_u32_e64 s7, 0x10000, v14
	;; [unrolled: 1-line block ×4, first 2 shown]
	v_mul_lo_u16 v3, v1, v21
	v_and_b32_e32 v11, 4, v11
	s_mov_b32 s11, exec_lo
	v_cndmask_b32_e64 v1, 1, v3, s2
	v_lshl_add_u32 v11, v0, 2, v11
	v_mul_lo_u16 v4, v1, v20
	v_cndmask_b32_e64 v1, 1, v4, s3
	v_mul_lo_u16 v5, v1, v19
	v_cndmask_b32_e64 v1, 1, v5, s4
	;; [unrolled: 2-line block ×5, first 2 shown]
	v_mul_lo_u16 v22, v1, v14
	v_or3_b32 v1, v12, v19, v20
	v_cndmask_b32_e64 v2, 1, v22, s8
	v_or3_b32 v1, v1, v21, v10
	v_mul_lo_u16 v23, v2, v13
	v_and_b32_e32 v1, 0xff0000, v1
	v_lshrrev_b32_e32 v2, 16, v18
	v_cndmask_b32_e64 v12, 1, v23, s9
	v_cmp_eq_u32_e64 s10, 0, v1
	v_mul_lo_u16 v24, v12, v10
	v_cndmask_b32_e64 v1, 1, v2, s10
	ds_write_b8 v11, v1 offset:2
	ds_write_b16 v11, v24
	s_waitcnt lgkmcnt(0)
	s_barrier
	buffer_gl0_inv
	v_cmpx_gt_u32_e32 32, v0
	s_cbranch_execz .LBB316_144
; %bb.133:
	v_lshrrev_b32_e32 v2, 2, v0
	v_lshlrev_b32_e32 v11, 3, v0
	s_mov_b32 s16, exec_lo
	v_and_b32_e32 v2, 12, v2
	v_add_nc_u32_e32 v2, v2, v11
	ds_read_u8 v12, v2 offset:6
	ds_read_b32 v11, v2
	ds_read_u16 v25, v2 offset:4
	s_waitcnt lgkmcnt(2)
	v_cmp_eq_u16_e64 s10, 0, v12
	v_and_b32_e32 v27, 1, v12
	s_waitcnt lgkmcnt(1)
	v_and_b32_e32 v12, 0x10000, v11
	v_cndmask_b32_e64 v26, 1, v11, s10
	v_cmp_eq_u32_e64 s10, 1, v27
	v_mbcnt_lo_u32_b32 v27, -1, 0
	s_waitcnt lgkmcnt(0)
	v_mul_lo_u16 v26, v26, v25
	v_and_b32_e32 v25, 0xff000000, v11
	v_cndmask_b32_e64 v28, v12, 0x10000, s10
	v_and_b32_e32 v29, 0xffff, v26
	v_or_b32_e32 v30, v28, v25
	v_or3_b32 v31, v25, v29, v28
	v_and_b32_e32 v28, 15, v27
	v_lshrrev_b32_e32 v29, 16, v30
	v_mov_b32_dpp v32, v31 row_shr:1 row_mask:0xf bank_mask:0xf
	v_cmpx_ne_u32_e32 0, v28
	s_cbranch_execz .LBB316_135
; %bb.134:
	v_mov_b32_e32 v29, 0xff
	v_mov_b32_e32 v31, 1
	v_and_b32_sdwa v29, v30, v29 dst_sel:DWORD dst_unused:UNUSED_PAD src0_sel:WORD_1 src1_sel:DWORD
	v_and_b32_e32 v30, 0x10000, v30
	v_and_b32_sdwa v31, v32, v31 dst_sel:DWORD dst_unused:UNUSED_PAD src0_sel:WORD_1 src1_sel:DWORD
	v_cmp_eq_u16_e64 s10, 0, v29
	v_cndmask_b32_e64 v32, 1, v32, s10
	v_cmp_ne_u32_e64 s10, 0, v30
	v_mul_lo_u16 v26, v32, v26
	v_cndmask_b32_e64 v29, v31, 1, s10
	v_and_b32_e32 v31, 0xffff, v26
	v_lshlrev_b32_e32 v30, 16, v29
	v_or3_b32 v31, v30, v31, v25
.LBB316_135:
	s_or_b32 exec_lo, exec_lo, s16
	v_lshrrev_b32_e32 v30, 16, v31
	v_mov_b32_dpp v32, v31 row_shr:2 row_mask:0xf bank_mask:0xf
	s_mov_b32 s16, exec_lo
	v_cmpx_lt_u32_e32 1, v28
	s_cbranch_execz .LBB316_137
; %bb.136:
	v_mov_b32_e32 v33, 0
	v_mov_b32_e32 v29, 1
	v_and_b32_e32 v31, 0x10000, v31
	v_cmp_eq_u16_sdwa s10, v30, v33 src0_sel:BYTE_0 src1_sel:DWORD
	v_and_b32_sdwa v29, v32, v29 dst_sel:DWORD dst_unused:UNUSED_PAD src0_sel:WORD_1 src1_sel:DWORD
	v_cndmask_b32_e64 v30, 1, v32, s10
	v_cmp_ne_u32_e64 s10, 0, v31
	v_mul_lo_u16 v26, v30, v26
	v_cndmask_b32_e64 v29, v29, 1, s10
	v_and_b32_e32 v31, 0xffff, v26
	v_lshlrev_b32_e32 v30, 16, v29
	v_or3_b32 v31, v30, v31, v25
	v_mov_b32_e32 v30, v29
.LBB316_137:
	s_or_b32 exec_lo, exec_lo, s16
	v_mov_b32_dpp v32, v31 row_shr:4 row_mask:0xf bank_mask:0xf
	s_mov_b32 s16, exec_lo
	v_cmpx_lt_u32_e32 3, v28
	s_cbranch_execz .LBB316_139
; %bb.138:
	v_mov_b32_e32 v31, 0
	v_mov_b32_e32 v29, 1
	v_and_b32_e32 v33, 1, v30
	v_cmp_eq_u16_sdwa s10, v30, v31 src0_sel:BYTE_0 src1_sel:DWORD
	v_and_b32_sdwa v29, v32, v29 dst_sel:DWORD dst_unused:UNUSED_PAD src0_sel:WORD_1 src1_sel:DWORD
	v_cndmask_b32_e64 v30, 1, v32, s10
	v_cmp_eq_u32_e64 s10, 1, v33
	v_mul_lo_u16 v26, v30, v26
	v_cndmask_b32_e64 v29, v29, 1, s10
	v_and_b32_e32 v31, 0xffff, v26
	v_lshlrev_b32_e32 v30, 16, v29
	v_or3_b32 v31, v30, v31, v25
	v_mov_b32_e32 v30, v29
.LBB316_139:
	s_or_b32 exec_lo, exec_lo, s16
	v_mov_b32_dpp v32, v31 row_shr:8 row_mask:0xf bank_mask:0xf
	s_mov_b32 s16, exec_lo
	v_cmpx_lt_u32_e32 7, v28
	s_cbranch_execz .LBB316_141
; %bb.140:
	v_mov_b32_e32 v29, 0
	v_mov_b32_e32 v28, 1
	v_and_b32_e32 v31, 1, v30
	v_cmp_eq_u16_sdwa s10, v30, v29 src0_sel:BYTE_0 src1_sel:DWORD
	v_and_b32_sdwa v28, v32, v28 dst_sel:DWORD dst_unused:UNUSED_PAD src0_sel:WORD_1 src1_sel:DWORD
	v_cndmask_b32_e64 v30, 1, v32, s10
	v_cmp_eq_u32_e64 s10, 1, v31
	v_mul_lo_u16 v26, v30, v26
	v_cndmask_b32_e64 v29, v28, 1, s10
	v_and_b32_e32 v30, 0xffff, v26
	v_lshlrev_b32_e32 v28, 16, v29
	v_or3_b32 v31, v28, v30, v25
	v_mov_b32_e32 v30, v29
.LBB316_141:
	s_or_b32 exec_lo, exec_lo, s16
	ds_swizzle_b32 v28, v31 offset:swizzle(BROADCAST,32,15)
	v_and_b32_e32 v31, 16, v27
	s_mov_b32 s16, exec_lo
	v_cmpx_ne_u32_e32 0, v31
	s_cbranch_execz .LBB316_143
; %bb.142:
	v_mov_b32_e32 v29, 0
	v_mov_b32_e32 v31, 1
	v_cmp_eq_u16_sdwa s10, v30, v29 src0_sel:BYTE_0 src1_sel:DWORD
	v_and_b32_e32 v30, 1, v30
	s_waitcnt lgkmcnt(0)
	v_cndmask_b32_e64 v29, 1, v28, s10
	v_and_b32_sdwa v28, v28, v31 dst_sel:DWORD dst_unused:UNUSED_PAD src0_sel:WORD_1 src1_sel:DWORD
	v_cmp_eq_u32_e64 s10, 1, v30
	v_mul_lo_u16 v26, v29, v26
	v_cndmask_b32_e64 v29, v28, 1, s10
.LBB316_143:
	s_or_b32 exec_lo, exec_lo, s16
	s_waitcnt lgkmcnt(0)
	v_and_b32_e32 v28, 0xff, v29
	v_add_nc_u32_e32 v29, -1, v27
	v_and_b32_e32 v26, 0xffff, v26
	; wave barrier
	v_lshlrev_b32_e32 v28, 16, v28
	v_cmp_gt_i32_e64 s10, 0, v29
	v_or3_b32 v25, v28, v26, v25
	v_cndmask_b32_e64 v27, v29, v27, s10
	v_lshlrev_b32_e32 v26, 2, v27
	v_mov_b32_e32 v27, 1
	ds_bpermute_b32 v25, v26, v25
	v_and_b32_e32 v26, 0xff0000, v11
	v_cmp_eq_u32_e64 s10, 0, v26
	s_waitcnt lgkmcnt(0)
	v_cndmask_b32_e64 v26, 1, v25, s10
	v_and_b32_sdwa v25, v25, v27 dst_sel:DWORD dst_unused:UNUSED_PAD src0_sel:WORD_1 src1_sel:DWORD
	v_cmp_eq_u32_e64 s10, 0, v12
	v_mul_lo_u16 v11, v26, v11
	v_cndmask_b32_e64 v12, 1, v25, s10
	v_cndmask_b32_e64 v11, v11, v24, s0
	;; [unrolled: 1-line block ×3, first 2 shown]
	ds_write_b16 v2, v11
	ds_write_b8 v2, v1 offset:2
	; wave barrier
	ds_read_u8 v12, v2 offset:6
	ds_read_u16 v25, v2 offset:4
	s_waitcnt lgkmcnt(1)
	v_cmp_eq_u16_e64 s10, 0, v12
	v_and_b32_e32 v12, 1, v12
	v_cndmask_b32_e64 v11, 1, v11, s10
	v_cmp_eq_u32_e64 s10, 1, v12
	s_waitcnt lgkmcnt(0)
	v_mul_lo_u16 v11, v11, v25
	v_cndmask_b32_e64 v1, v1, 1, s10
	ds_write_b16 v2, v11 offset:4
	ds_write_b8 v2, v1 offset:6
.LBB316_144:
	s_or_b32 exec_lo, exec_lo, s11
	s_waitcnt lgkmcnt(0)
	s_barrier
	buffer_gl0_inv
	s_and_saveexec_b32 s10, s1
	s_cbranch_execz .LBB316_146
; %bb.145:
	v_add_nc_u32_e32 v1, -1, v0
	v_cmp_gt_u32_e64 s1, 0x10000, v18
	v_lshrrev_b32_e32 v2, 3, v1
	v_and_b32_e32 v2, 0x1ffffffc, v2
	v_lshl_add_u32 v1, v1, 2, v2
	ds_read_u16 v1, v1
	;;#ASMSTART
	;;#ASMEND
	s_waitcnt lgkmcnt(0)
	v_cndmask_b32_e64 v1, 1, v1, s1
	v_mul_lo_u32 v18, v1, v18
	v_cndmask_b32_e32 v1, 1, v18, vcc_lo
	v_mul_lo_u16 v3, v1, v21
	v_cndmask_b32_e64 v1, 1, v3, s2
	v_mul_lo_u16 v4, v1, v20
	v_cndmask_b32_e64 v1, 1, v4, s3
	;; [unrolled: 2-line block ×8, first 2 shown]
	v_mul_lo_u16 v24, v1, v10
.LBB316_146:
	s_or_b32 exec_lo, exec_lo, s10
	s_and_saveexec_b32 s1, s0
	s_cbranch_execz .LBB316_148
; %bb.147:
	v_mov_b32_e32 v10, 0
	ds_read_u8 v1, v10 offset:258
	ds_read_u16 v2, v10 offset:256
	s_waitcnt lgkmcnt(1)
	v_lshlrev_b32_e32 v1, 16, v1
	s_waitcnt lgkmcnt(0)
	v_or_b32_e32 v1, v1, v2
	v_mov_b32_e32 v2, 2
	global_store_dwordx2 v10, v[1:2], s[24:25] offset:256
.LBB316_148:
	s_or_b32 exec_lo, exec_lo, s1
	v_mov_b32_e32 v25, v18
.LBB316_149:
	s_add_u32 s0, s14, s28
	v_mov_b32_e32 v1, 0
	s_addc_u32 s1, s15, s29
	s_add_u32 s0, s0, s12
	s_addc_u32 s1, s1, s13
	s_and_b32 vcc_lo, exec_lo, s27
	s_cbranch_vccz .LBB316_189
; %bb.150:
	v_mul_u32_u24_e32 v2, 10, v0
	v_mov_b32_e32 v10, 0
	v_mov_b32_e32 v11, 0
	;; [unrolled: 1-line block ×4, first 2 shown]
	s_add_i32 s33, s33, s26
	s_mov_b32 s2, exec_lo
	v_cmpx_gt_u32_e64 s33, v2
	s_cbranch_execz .LBB316_170
; %bb.151:
	v_or_b32_e32 v13, 1, v2
	v_and_b32_e32 v1, 0xffff, v25
	v_mov_b32_e32 v10, 0
	v_mov_b32_e32 v11, 0
	;; [unrolled: 1-line block ×3, first 2 shown]
	v_cmp_gt_u32_e32 vcc_lo, s33, v13
	v_mov_b32_e32 v13, 0
	s_and_saveexec_b32 s3, vcc_lo
	s_cbranch_execz .LBB316_169
; %bb.152:
	v_perm_b32 v1, v3, v1, 0x5040100
	v_add_nc_u32_e32 v14, 2, v2
	v_mov_b32_e32 v13, 0
	v_mov_b32_e32 v12, 0
	;; [unrolled: 1-line block ×4, first 2 shown]
	s_mov_b32 s4, exec_lo
	v_cmpx_gt_u32_e64 s33, v14
	s_cbranch_execz .LBB316_168
; %bb.153:
	v_add_nc_u32_e32 v14, 3, v2
	v_bfi_b32 v10, 0xffff, v4, 0
	v_mov_b32_e32 v13, 0
	v_mov_b32_e32 v12, 0
	;; [unrolled: 1-line block ×3, first 2 shown]
	s_mov_b32 s5, exec_lo
	v_cmpx_gt_u32_e64 s33, v14
	s_cbranch_execz .LBB316_167
; %bb.154:
	v_add_nc_u32_e32 v14, 4, v2
	v_perm_b32 v10, v5, v10, 0x5040100
	v_mov_b32_e32 v13, 0
	v_mov_b32_e32 v12, 0
	;; [unrolled: 1-line block ×3, first 2 shown]
	s_mov_b32 s6, exec_lo
	v_cmpx_gt_u32_e64 s33, v14
	s_cbranch_execz .LBB316_166
; %bb.155:
	v_add_nc_u32_e32 v14, 5, v2
	v_bfi_b32 v11, 0xffff, v6, 0
	v_mov_b32_e32 v13, 0
	v_mov_b32_e32 v12, 0
	s_mov_b32 s7, exec_lo
	v_cmpx_gt_u32_e64 s33, v14
	s_cbranch_execz .LBB316_165
; %bb.156:
	v_add_nc_u32_e32 v14, 6, v2
	v_perm_b32 v11, v7, v11, 0x5040100
	v_mov_b32_e32 v13, 0
	v_mov_b32_e32 v12, 0
	s_mov_b32 s8, exec_lo
	v_cmpx_gt_u32_e64 s33, v14
	s_cbranch_execz .LBB316_164
; %bb.157:
	v_add_nc_u32_e32 v14, 7, v2
	v_bfi_b32 v12, 0xffff, v8, 0
	v_mov_b32_e32 v13, 0
	s_mov_b32 s9, exec_lo
	v_cmpx_gt_u32_e64 s33, v14
	s_cbranch_execz .LBB316_163
; %bb.158:
	v_add_nc_u32_e32 v14, 8, v2
	v_perm_b32 v12, v22, v12, 0x5040100
	v_mov_b32_e32 v13, 0
	s_mov_b32 s10, exec_lo
	v_cmpx_gt_u32_e64 s33, v14
	s_cbranch_execz .LBB316_162
; %bb.159:
	v_add_nc_u32_e32 v14, 9, v2
	v_bfi_b32 v13, 0xffff, v23, 0
	s_mov_b32 s11, exec_lo
	v_cmpx_gt_u32_e64 s33, v14
; %bb.160:
	v_perm_b32 v13, v24, v13, 0x5040100
; %bb.161:
	s_or_b32 exec_lo, exec_lo, s11
.LBB316_162:
	s_or_b32 exec_lo, exec_lo, s10
.LBB316_163:
	s_or_b32 exec_lo, exec_lo, s9
.LBB316_164:
	s_or_b32 exec_lo, exec_lo, s8
.LBB316_165:
	s_or_b32 exec_lo, exec_lo, s7
.LBB316_166:
	s_or_b32 exec_lo, exec_lo, s6
.LBB316_167:
	s_or_b32 exec_lo, exec_lo, s5
.LBB316_168:
	s_or_b32 exec_lo, exec_lo, s4
.LBB316_169:
	s_or_b32 exec_lo, exec_lo, s3
.LBB316_170:
	s_or_b32 exec_lo, exec_lo, s2
	v_lshlrev_b32_e32 v18, 1, v2
	s_waitcnt_vscnt null, 0x0
	s_barrier
	buffer_gl0_inv
	ds_write2_b32 v18, v1, v10 offset1:1
	ds_write2_b32 v18, v11, v12 offset0:2 offset1:3
	v_mad_i32_i24 v1, 0xffffffee, v0, v18
	ds_write_b32 v18, v13 offset:16
	s_waitcnt lgkmcnt(0)
	s_barrier
	buffer_gl0_inv
	ds_read_u16 v19, v1 offset:128
	ds_read_u16 v17, v1 offset:256
	;; [unrolled: 1-line block ×9, first 2 shown]
	v_add_co_u32 v1, s2, s0, v9
	v_add_co_ci_u32_e64 v2, null, s1, 0, s2
	s_mov_b32 s2, exec_lo
	v_cmpx_gt_u32_e64 s33, v0
	s_cbranch_execz .LBB316_172
; %bb.171:
	v_mul_i32_i24_e32 v20, 0xffffffee, v0
	v_add_nc_u32_e32 v18, v18, v20
	ds_read_u16 v18, v18
	s_waitcnt lgkmcnt(0)
	flat_store_short v[1:2], v18
.LBB316_172:
	s_or_b32 exec_lo, exec_lo, s2
	v_or_b32_e32 v18, 64, v0
	s_mov_b32 s2, exec_lo
	v_cmpx_gt_u32_e64 s33, v18
	s_cbranch_execz .LBB316_174
; %bb.173:
	s_waitcnt lgkmcnt(8)
	flat_store_short v[1:2], v19 offset:128
.LBB316_174:
	s_or_b32 exec_lo, exec_lo, s2
	v_or_b32_e32 v18, 0x80, v0
	s_mov_b32 s2, exec_lo
	v_cmpx_gt_u32_e64 s33, v18
	s_cbranch_execz .LBB316_176
; %bb.175:
	s_waitcnt lgkmcnt(7)
	flat_store_short v[1:2], v17 offset:256
.LBB316_176:
	s_or_b32 exec_lo, exec_lo, s2
	s_waitcnt lgkmcnt(7)
	v_or_b32_e32 v17, 0xc0, v0
	s_mov_b32 s2, exec_lo
	v_cmpx_gt_u32_e64 s33, v17
	s_cbranch_execz .LBB316_178
; %bb.177:
	s_waitcnt lgkmcnt(6)
	flat_store_short v[1:2], v16 offset:384
.LBB316_178:
	s_or_b32 exec_lo, exec_lo, s2
	s_waitcnt lgkmcnt(6)
	;; [unrolled: 10-line block ×6, first 2 shown]
	v_or_b32_e32 v12, 0x200, v0
	s_mov_b32 s2, exec_lo
	v_cmpx_gt_u32_e64 s33, v12
	s_cbranch_execz .LBB316_188
; %bb.187:
	s_waitcnt lgkmcnt(1)
	flat_store_short v[1:2], v11 offset:1024
.LBB316_188:
	s_or_b32 exec_lo, exec_lo, s2
	v_or_b32_e32 v1, 0x240, v0
	v_cmp_gt_u32_e64 s2, s33, v1
	s_branch .LBB316_191
.LBB316_189:
	s_mov_b32 s2, 0
                                        ; implicit-def: $vgpr10
	s_cbranch_execz .LBB316_191
; %bb.190:
	v_mul_u32_u24_e32 v1, 20, v0
	v_perm_b32 v2, v5, v4, 0x5040100
	v_perm_b32 v3, v3, v25, 0x5040100
	;; [unrolled: 1-line block ×3, first 2 shown]
	v_mul_i32_i24_e32 v6, 0xffffffee, v0
	v_perm_b32 v4, v22, v8, 0x5040100
	s_waitcnt lgkmcnt(0)
	s_waitcnt_vscnt null, 0x0
	s_barrier
	v_perm_b32 v7, v24, v23, 0x5040100
	buffer_gl0_inv
	ds_write2_b32 v1, v3, v2 offset1:1
	ds_write2_b32 v1, v5, v4 offset0:2 offset1:3
	v_mad_u32_u24 v2, v0, 20, v6
	s_or_b32 s2, s2, exec_lo
	ds_write_b32 v1, v7 offset:16
	s_waitcnt lgkmcnt(0)
	s_barrier
	buffer_gl0_inv
	ds_read_u16 v3, v2
	ds_read_u16 v4, v2 offset:128
	ds_read_u16 v5, v2 offset:256
	;; [unrolled: 1-line block ×9, first 2 shown]
	v_add_co_u32 v1, s3, s0, v9
	v_add_co_ci_u32_e64 v2, null, s1, 0, s3
	s_waitcnt lgkmcnt(9)
	flat_store_short v[1:2], v3
	s_waitcnt lgkmcnt(9)
	flat_store_short v[1:2], v4 offset:128
	s_waitcnt lgkmcnt(9)
	flat_store_short v[1:2], v5 offset:256
	;; [unrolled: 2-line block ×8, first 2 shown]
.LBB316_191:
	s_and_saveexec_b32 s3, s2
	s_cbranch_execnz .LBB316_193
; %bb.192:
	s_endpgm
.LBB316_193:
	v_lshlrev_b32_e32 v0, 1, v0
	v_add_co_u32 v0, s0, s0, v0
	v_add_co_ci_u32_e64 v1, null, s1, 0, s0
	s_waitcnt lgkmcnt(0)
	flat_store_short v[0:1], v10 offset:1152
	s_endpgm
.LBB316_194:
	v_add_co_u32 v3, s11, s37, v14
	v_add_co_ci_u32_e64 v4, null, s38, 0, s11
	v_mov_b32_e32 v2, v1
	v_mov_b32_e32 v5, v1
	;; [unrolled: 1-line block ×3, first 2 shown]
	flat_load_short_d16 v2, v[3:4]
	v_mov_b32_e32 v3, v1
	v_mov_b32_e32 v4, v1
	s_waitcnt vmcnt(0) lgkmcnt(0)
	v_mov_b32_e32 v1, v2
	v_mov_b32_e32 v2, v3
	;; [unrolled: 1-line block ×8, first 2 shown]
	s_or_b32 exec_lo, exec_lo, s16
	s_and_saveexec_b32 s11, s10
	s_cbranch_execz .LBB316_33
.LBB316_195:
	v_add_co_u32 v6, s10, s37, v14
	v_add_co_ci_u32_e64 v7, null, s38, 0, s10
	flat_load_short_d16_hi v1, v[6:7] offset:128
	s_or_b32 exec_lo, exec_lo, s11
	s_and_saveexec_b32 s10, s9
	s_cbranch_execz .LBB316_34
.LBB316_196:
	v_add_co_u32 v6, s9, s37, v14
	v_add_co_ci_u32_e64 v7, null, s38, 0, s9
	flat_load_short_d16 v2, v[6:7] offset:256
	s_or_b32 exec_lo, exec_lo, s10
	s_and_saveexec_b32 s9, s8
	s_cbranch_execz .LBB316_35
.LBB316_197:
	v_add_co_u32 v6, s8, s37, v14
	v_add_co_ci_u32_e64 v7, null, s38, 0, s8
	s_waitcnt vmcnt(0) lgkmcnt(0)
	flat_load_short_d16_hi v2, v[6:7] offset:384
	s_or_b32 exec_lo, exec_lo, s9
	s_and_saveexec_b32 s8, s7
	s_cbranch_execz .LBB316_36
.LBB316_198:
	v_add_co_u32 v6, s7, s37, v14
	v_add_co_ci_u32_e64 v7, null, s38, 0, s7
	flat_load_short_d16 v3, v[6:7] offset:512
	s_or_b32 exec_lo, exec_lo, s8
	s_and_saveexec_b32 s7, s6
	s_cbranch_execz .LBB316_37
.LBB316_199:
	v_add_co_u32 v6, s6, s37, v14
	v_add_co_ci_u32_e64 v7, null, s38, 0, s6
	s_waitcnt vmcnt(0) lgkmcnt(0)
	flat_load_short_d16_hi v3, v[6:7] offset:640
	s_or_b32 exec_lo, exec_lo, s7
	s_and_saveexec_b32 s6, s5
	s_cbranch_execz .LBB316_38
.LBB316_200:
	v_add_co_u32 v6, s5, s37, v14
	v_add_co_ci_u32_e64 v7, null, s38, 0, s5
	flat_load_short_d16 v4, v[6:7] offset:768
	s_or_b32 exec_lo, exec_lo, s6
	s_and_saveexec_b32 s5, s4
	s_cbranch_execz .LBB316_39
.LBB316_201:
	v_add_co_u32 v6, s4, s37, v14
	v_add_co_ci_u32_e64 v7, null, s38, 0, s4
	s_waitcnt vmcnt(0) lgkmcnt(0)
	flat_load_short_d16_hi v4, v[6:7] offset:896
	s_or_b32 exec_lo, exec_lo, s5
	s_and_saveexec_b32 s4, s3
	s_cbranch_execz .LBB316_40
.LBB316_202:
	v_add_co_u32 v6, s3, s37, v14
	v_add_co_ci_u32_e64 v7, null, s38, 0, s3
	flat_load_short_d16 v5, v[6:7] offset:1024
	s_or_b32 exec_lo, exec_lo, s4
	s_and_saveexec_b32 s3, s2
	s_cbranch_execnz .LBB316_41
	s_branch .LBB316_42
.LBB316_203:
                                        ; implicit-def: $sgpr16_sgpr17
	s_branch .LBB316_28
.LBB316_204:
                                        ; implicit-def: $sgpr2_sgpr3
	s_branch .LBB316_65
	.section	.rodata,"a",@progbits
	.p2align	6, 0x0
	.amdhsa_kernel _ZN7rocprim17ROCPRIM_400000_NS6detail17trampoline_kernelINS0_14default_configENS1_27scan_by_key_config_selectorIssEEZZNS1_16scan_by_key_implILNS1_25lookback_scan_determinismE0ELb0ES3_N6thrust23THRUST_200600_302600_NS6detail15normal_iteratorINS9_10device_ptrIsEEEESE_SE_sNS9_10multipliesIsEENS9_8equal_toIsEEsEE10hipError_tPvRmT2_T3_T4_T5_mT6_T7_P12ihipStream_tbENKUlT_T0_E_clISt17integral_constantIbLb0EESY_IbLb1EEEEDaSU_SV_EUlSU_E_NS1_11comp_targetILNS1_3genE8ELNS1_11target_archE1030ELNS1_3gpuE2ELNS1_3repE0EEENS1_30default_config_static_selectorELNS0_4arch9wavefront6targetE0EEEvT1_
		.amdhsa_group_segment_fixed_size 1536
		.amdhsa_private_segment_fixed_size 0
		.amdhsa_kernarg_size 112
		.amdhsa_user_sgpr_count 6
		.amdhsa_user_sgpr_private_segment_buffer 1
		.amdhsa_user_sgpr_dispatch_ptr 0
		.amdhsa_user_sgpr_queue_ptr 0
		.amdhsa_user_sgpr_kernarg_segment_ptr 1
		.amdhsa_user_sgpr_dispatch_id 0
		.amdhsa_user_sgpr_flat_scratch_init 0
		.amdhsa_user_sgpr_private_segment_size 0
		.amdhsa_wavefront_size32 1
		.amdhsa_uses_dynamic_stack 0
		.amdhsa_system_sgpr_private_segment_wavefront_offset 0
		.amdhsa_system_sgpr_workgroup_id_x 1
		.amdhsa_system_sgpr_workgroup_id_y 0
		.amdhsa_system_sgpr_workgroup_id_z 0
		.amdhsa_system_sgpr_workgroup_info 0
		.amdhsa_system_vgpr_workitem_id 0
		.amdhsa_next_free_vgpr 42
		.amdhsa_next_free_sgpr 41
		.amdhsa_reserve_vcc 1
		.amdhsa_reserve_flat_scratch 1
		.amdhsa_float_round_mode_32 0
		.amdhsa_float_round_mode_16_64 0
		.amdhsa_float_denorm_mode_32 3
		.amdhsa_float_denorm_mode_16_64 3
		.amdhsa_dx10_clamp 1
		.amdhsa_ieee_mode 1
		.amdhsa_fp16_overflow 0
		.amdhsa_workgroup_processor_mode 1
		.amdhsa_memory_ordered 1
		.amdhsa_forward_progress 1
		.amdhsa_shared_vgpr_count 0
		.amdhsa_exception_fp_ieee_invalid_op 0
		.amdhsa_exception_fp_denorm_src 0
		.amdhsa_exception_fp_ieee_div_zero 0
		.amdhsa_exception_fp_ieee_overflow 0
		.amdhsa_exception_fp_ieee_underflow 0
		.amdhsa_exception_fp_ieee_inexact 0
		.amdhsa_exception_int_div_zero 0
	.end_amdhsa_kernel
	.section	.text._ZN7rocprim17ROCPRIM_400000_NS6detail17trampoline_kernelINS0_14default_configENS1_27scan_by_key_config_selectorIssEEZZNS1_16scan_by_key_implILNS1_25lookback_scan_determinismE0ELb0ES3_N6thrust23THRUST_200600_302600_NS6detail15normal_iteratorINS9_10device_ptrIsEEEESE_SE_sNS9_10multipliesIsEENS9_8equal_toIsEEsEE10hipError_tPvRmT2_T3_T4_T5_mT6_T7_P12ihipStream_tbENKUlT_T0_E_clISt17integral_constantIbLb0EESY_IbLb1EEEEDaSU_SV_EUlSU_E_NS1_11comp_targetILNS1_3genE8ELNS1_11target_archE1030ELNS1_3gpuE2ELNS1_3repE0EEENS1_30default_config_static_selectorELNS0_4arch9wavefront6targetE0EEEvT1_,"axG",@progbits,_ZN7rocprim17ROCPRIM_400000_NS6detail17trampoline_kernelINS0_14default_configENS1_27scan_by_key_config_selectorIssEEZZNS1_16scan_by_key_implILNS1_25lookback_scan_determinismE0ELb0ES3_N6thrust23THRUST_200600_302600_NS6detail15normal_iteratorINS9_10device_ptrIsEEEESE_SE_sNS9_10multipliesIsEENS9_8equal_toIsEEsEE10hipError_tPvRmT2_T3_T4_T5_mT6_T7_P12ihipStream_tbENKUlT_T0_E_clISt17integral_constantIbLb0EESY_IbLb1EEEEDaSU_SV_EUlSU_E_NS1_11comp_targetILNS1_3genE8ELNS1_11target_archE1030ELNS1_3gpuE2ELNS1_3repE0EEENS1_30default_config_static_selectorELNS0_4arch9wavefront6targetE0EEEvT1_,comdat
.Lfunc_end316:
	.size	_ZN7rocprim17ROCPRIM_400000_NS6detail17trampoline_kernelINS0_14default_configENS1_27scan_by_key_config_selectorIssEEZZNS1_16scan_by_key_implILNS1_25lookback_scan_determinismE0ELb0ES3_N6thrust23THRUST_200600_302600_NS6detail15normal_iteratorINS9_10device_ptrIsEEEESE_SE_sNS9_10multipliesIsEENS9_8equal_toIsEEsEE10hipError_tPvRmT2_T3_T4_T5_mT6_T7_P12ihipStream_tbENKUlT_T0_E_clISt17integral_constantIbLb0EESY_IbLb1EEEEDaSU_SV_EUlSU_E_NS1_11comp_targetILNS1_3genE8ELNS1_11target_archE1030ELNS1_3gpuE2ELNS1_3repE0EEENS1_30default_config_static_selectorELNS0_4arch9wavefront6targetE0EEEvT1_, .Lfunc_end316-_ZN7rocprim17ROCPRIM_400000_NS6detail17trampoline_kernelINS0_14default_configENS1_27scan_by_key_config_selectorIssEEZZNS1_16scan_by_key_implILNS1_25lookback_scan_determinismE0ELb0ES3_N6thrust23THRUST_200600_302600_NS6detail15normal_iteratorINS9_10device_ptrIsEEEESE_SE_sNS9_10multipliesIsEENS9_8equal_toIsEEsEE10hipError_tPvRmT2_T3_T4_T5_mT6_T7_P12ihipStream_tbENKUlT_T0_E_clISt17integral_constantIbLb0EESY_IbLb1EEEEDaSU_SV_EUlSU_E_NS1_11comp_targetILNS1_3genE8ELNS1_11target_archE1030ELNS1_3gpuE2ELNS1_3repE0EEENS1_30default_config_static_selectorELNS0_4arch9wavefront6targetE0EEEvT1_
                                        ; -- End function
	.set _ZN7rocprim17ROCPRIM_400000_NS6detail17trampoline_kernelINS0_14default_configENS1_27scan_by_key_config_selectorIssEEZZNS1_16scan_by_key_implILNS1_25lookback_scan_determinismE0ELb0ES3_N6thrust23THRUST_200600_302600_NS6detail15normal_iteratorINS9_10device_ptrIsEEEESE_SE_sNS9_10multipliesIsEENS9_8equal_toIsEEsEE10hipError_tPvRmT2_T3_T4_T5_mT6_T7_P12ihipStream_tbENKUlT_T0_E_clISt17integral_constantIbLb0EESY_IbLb1EEEEDaSU_SV_EUlSU_E_NS1_11comp_targetILNS1_3genE8ELNS1_11target_archE1030ELNS1_3gpuE2ELNS1_3repE0EEENS1_30default_config_static_selectorELNS0_4arch9wavefront6targetE0EEEvT1_.num_vgpr, 42
	.set _ZN7rocprim17ROCPRIM_400000_NS6detail17trampoline_kernelINS0_14default_configENS1_27scan_by_key_config_selectorIssEEZZNS1_16scan_by_key_implILNS1_25lookback_scan_determinismE0ELb0ES3_N6thrust23THRUST_200600_302600_NS6detail15normal_iteratorINS9_10device_ptrIsEEEESE_SE_sNS9_10multipliesIsEENS9_8equal_toIsEEsEE10hipError_tPvRmT2_T3_T4_T5_mT6_T7_P12ihipStream_tbENKUlT_T0_E_clISt17integral_constantIbLb0EESY_IbLb1EEEEDaSU_SV_EUlSU_E_NS1_11comp_targetILNS1_3genE8ELNS1_11target_archE1030ELNS1_3gpuE2ELNS1_3repE0EEENS1_30default_config_static_selectorELNS0_4arch9wavefront6targetE0EEEvT1_.num_agpr, 0
	.set _ZN7rocprim17ROCPRIM_400000_NS6detail17trampoline_kernelINS0_14default_configENS1_27scan_by_key_config_selectorIssEEZZNS1_16scan_by_key_implILNS1_25lookback_scan_determinismE0ELb0ES3_N6thrust23THRUST_200600_302600_NS6detail15normal_iteratorINS9_10device_ptrIsEEEESE_SE_sNS9_10multipliesIsEENS9_8equal_toIsEEsEE10hipError_tPvRmT2_T3_T4_T5_mT6_T7_P12ihipStream_tbENKUlT_T0_E_clISt17integral_constantIbLb0EESY_IbLb1EEEEDaSU_SV_EUlSU_E_NS1_11comp_targetILNS1_3genE8ELNS1_11target_archE1030ELNS1_3gpuE2ELNS1_3repE0EEENS1_30default_config_static_selectorELNS0_4arch9wavefront6targetE0EEEvT1_.numbered_sgpr, 41
	.set _ZN7rocprim17ROCPRIM_400000_NS6detail17trampoline_kernelINS0_14default_configENS1_27scan_by_key_config_selectorIssEEZZNS1_16scan_by_key_implILNS1_25lookback_scan_determinismE0ELb0ES3_N6thrust23THRUST_200600_302600_NS6detail15normal_iteratorINS9_10device_ptrIsEEEESE_SE_sNS9_10multipliesIsEENS9_8equal_toIsEEsEE10hipError_tPvRmT2_T3_T4_T5_mT6_T7_P12ihipStream_tbENKUlT_T0_E_clISt17integral_constantIbLb0EESY_IbLb1EEEEDaSU_SV_EUlSU_E_NS1_11comp_targetILNS1_3genE8ELNS1_11target_archE1030ELNS1_3gpuE2ELNS1_3repE0EEENS1_30default_config_static_selectorELNS0_4arch9wavefront6targetE0EEEvT1_.num_named_barrier, 0
	.set _ZN7rocprim17ROCPRIM_400000_NS6detail17trampoline_kernelINS0_14default_configENS1_27scan_by_key_config_selectorIssEEZZNS1_16scan_by_key_implILNS1_25lookback_scan_determinismE0ELb0ES3_N6thrust23THRUST_200600_302600_NS6detail15normal_iteratorINS9_10device_ptrIsEEEESE_SE_sNS9_10multipliesIsEENS9_8equal_toIsEEsEE10hipError_tPvRmT2_T3_T4_T5_mT6_T7_P12ihipStream_tbENKUlT_T0_E_clISt17integral_constantIbLb0EESY_IbLb1EEEEDaSU_SV_EUlSU_E_NS1_11comp_targetILNS1_3genE8ELNS1_11target_archE1030ELNS1_3gpuE2ELNS1_3repE0EEENS1_30default_config_static_selectorELNS0_4arch9wavefront6targetE0EEEvT1_.private_seg_size, 0
	.set _ZN7rocprim17ROCPRIM_400000_NS6detail17trampoline_kernelINS0_14default_configENS1_27scan_by_key_config_selectorIssEEZZNS1_16scan_by_key_implILNS1_25lookback_scan_determinismE0ELb0ES3_N6thrust23THRUST_200600_302600_NS6detail15normal_iteratorINS9_10device_ptrIsEEEESE_SE_sNS9_10multipliesIsEENS9_8equal_toIsEEsEE10hipError_tPvRmT2_T3_T4_T5_mT6_T7_P12ihipStream_tbENKUlT_T0_E_clISt17integral_constantIbLb0EESY_IbLb1EEEEDaSU_SV_EUlSU_E_NS1_11comp_targetILNS1_3genE8ELNS1_11target_archE1030ELNS1_3gpuE2ELNS1_3repE0EEENS1_30default_config_static_selectorELNS0_4arch9wavefront6targetE0EEEvT1_.uses_vcc, 1
	.set _ZN7rocprim17ROCPRIM_400000_NS6detail17trampoline_kernelINS0_14default_configENS1_27scan_by_key_config_selectorIssEEZZNS1_16scan_by_key_implILNS1_25lookback_scan_determinismE0ELb0ES3_N6thrust23THRUST_200600_302600_NS6detail15normal_iteratorINS9_10device_ptrIsEEEESE_SE_sNS9_10multipliesIsEENS9_8equal_toIsEEsEE10hipError_tPvRmT2_T3_T4_T5_mT6_T7_P12ihipStream_tbENKUlT_T0_E_clISt17integral_constantIbLb0EESY_IbLb1EEEEDaSU_SV_EUlSU_E_NS1_11comp_targetILNS1_3genE8ELNS1_11target_archE1030ELNS1_3gpuE2ELNS1_3repE0EEENS1_30default_config_static_selectorELNS0_4arch9wavefront6targetE0EEEvT1_.uses_flat_scratch, 1
	.set _ZN7rocprim17ROCPRIM_400000_NS6detail17trampoline_kernelINS0_14default_configENS1_27scan_by_key_config_selectorIssEEZZNS1_16scan_by_key_implILNS1_25lookback_scan_determinismE0ELb0ES3_N6thrust23THRUST_200600_302600_NS6detail15normal_iteratorINS9_10device_ptrIsEEEESE_SE_sNS9_10multipliesIsEENS9_8equal_toIsEEsEE10hipError_tPvRmT2_T3_T4_T5_mT6_T7_P12ihipStream_tbENKUlT_T0_E_clISt17integral_constantIbLb0EESY_IbLb1EEEEDaSU_SV_EUlSU_E_NS1_11comp_targetILNS1_3genE8ELNS1_11target_archE1030ELNS1_3gpuE2ELNS1_3repE0EEENS1_30default_config_static_selectorELNS0_4arch9wavefront6targetE0EEEvT1_.has_dyn_sized_stack, 0
	.set _ZN7rocprim17ROCPRIM_400000_NS6detail17trampoline_kernelINS0_14default_configENS1_27scan_by_key_config_selectorIssEEZZNS1_16scan_by_key_implILNS1_25lookback_scan_determinismE0ELb0ES3_N6thrust23THRUST_200600_302600_NS6detail15normal_iteratorINS9_10device_ptrIsEEEESE_SE_sNS9_10multipliesIsEENS9_8equal_toIsEEsEE10hipError_tPvRmT2_T3_T4_T5_mT6_T7_P12ihipStream_tbENKUlT_T0_E_clISt17integral_constantIbLb0EESY_IbLb1EEEEDaSU_SV_EUlSU_E_NS1_11comp_targetILNS1_3genE8ELNS1_11target_archE1030ELNS1_3gpuE2ELNS1_3repE0EEENS1_30default_config_static_selectorELNS0_4arch9wavefront6targetE0EEEvT1_.has_recursion, 0
	.set _ZN7rocprim17ROCPRIM_400000_NS6detail17trampoline_kernelINS0_14default_configENS1_27scan_by_key_config_selectorIssEEZZNS1_16scan_by_key_implILNS1_25lookback_scan_determinismE0ELb0ES3_N6thrust23THRUST_200600_302600_NS6detail15normal_iteratorINS9_10device_ptrIsEEEESE_SE_sNS9_10multipliesIsEENS9_8equal_toIsEEsEE10hipError_tPvRmT2_T3_T4_T5_mT6_T7_P12ihipStream_tbENKUlT_T0_E_clISt17integral_constantIbLb0EESY_IbLb1EEEEDaSU_SV_EUlSU_E_NS1_11comp_targetILNS1_3genE8ELNS1_11target_archE1030ELNS1_3gpuE2ELNS1_3repE0EEENS1_30default_config_static_selectorELNS0_4arch9wavefront6targetE0EEEvT1_.has_indirect_call, 0
	.section	.AMDGPU.csdata,"",@progbits
; Kernel info:
; codeLenInByte = 10436
; TotalNumSgprs: 43
; NumVgprs: 42
; ScratchSize: 0
; MemoryBound: 0
; FloatMode: 240
; IeeeMode: 1
; LDSByteSize: 1536 bytes/workgroup (compile time only)
; SGPRBlocks: 0
; VGPRBlocks: 5
; NumSGPRsForWavesPerEU: 43
; NumVGPRsForWavesPerEU: 42
; Occupancy: 16
; WaveLimiterHint : 1
; COMPUTE_PGM_RSRC2:SCRATCH_EN: 0
; COMPUTE_PGM_RSRC2:USER_SGPR: 6
; COMPUTE_PGM_RSRC2:TRAP_HANDLER: 0
; COMPUTE_PGM_RSRC2:TGID_X_EN: 1
; COMPUTE_PGM_RSRC2:TGID_Y_EN: 0
; COMPUTE_PGM_RSRC2:TGID_Z_EN: 0
; COMPUTE_PGM_RSRC2:TIDIG_COMP_CNT: 0
	.section	.text._ZN7rocprim17ROCPRIM_400000_NS6detail17trampoline_kernelINS0_14default_configENS1_27scan_by_key_config_selectorIssEEZZNS1_16scan_by_key_implILNS1_25lookback_scan_determinismE0ELb0ES3_N6thrust23THRUST_200600_302600_NS6detail15normal_iteratorINS9_10device_ptrIsEEEESE_SE_sNS9_4plusIvEENS9_8equal_toIsEEsEE10hipError_tPvRmT2_T3_T4_T5_mT6_T7_P12ihipStream_tbENKUlT_T0_E_clISt17integral_constantIbLb0EESZ_EEDaSU_SV_EUlSU_E_NS1_11comp_targetILNS1_3genE0ELNS1_11target_archE4294967295ELNS1_3gpuE0ELNS1_3repE0EEENS1_30default_config_static_selectorELNS0_4arch9wavefront6targetE0EEEvT1_,"axG",@progbits,_ZN7rocprim17ROCPRIM_400000_NS6detail17trampoline_kernelINS0_14default_configENS1_27scan_by_key_config_selectorIssEEZZNS1_16scan_by_key_implILNS1_25lookback_scan_determinismE0ELb0ES3_N6thrust23THRUST_200600_302600_NS6detail15normal_iteratorINS9_10device_ptrIsEEEESE_SE_sNS9_4plusIvEENS9_8equal_toIsEEsEE10hipError_tPvRmT2_T3_T4_T5_mT6_T7_P12ihipStream_tbENKUlT_T0_E_clISt17integral_constantIbLb0EESZ_EEDaSU_SV_EUlSU_E_NS1_11comp_targetILNS1_3genE0ELNS1_11target_archE4294967295ELNS1_3gpuE0ELNS1_3repE0EEENS1_30default_config_static_selectorELNS0_4arch9wavefront6targetE0EEEvT1_,comdat
	.protected	_ZN7rocprim17ROCPRIM_400000_NS6detail17trampoline_kernelINS0_14default_configENS1_27scan_by_key_config_selectorIssEEZZNS1_16scan_by_key_implILNS1_25lookback_scan_determinismE0ELb0ES3_N6thrust23THRUST_200600_302600_NS6detail15normal_iteratorINS9_10device_ptrIsEEEESE_SE_sNS9_4plusIvEENS9_8equal_toIsEEsEE10hipError_tPvRmT2_T3_T4_T5_mT6_T7_P12ihipStream_tbENKUlT_T0_E_clISt17integral_constantIbLb0EESZ_EEDaSU_SV_EUlSU_E_NS1_11comp_targetILNS1_3genE0ELNS1_11target_archE4294967295ELNS1_3gpuE0ELNS1_3repE0EEENS1_30default_config_static_selectorELNS0_4arch9wavefront6targetE0EEEvT1_ ; -- Begin function _ZN7rocprim17ROCPRIM_400000_NS6detail17trampoline_kernelINS0_14default_configENS1_27scan_by_key_config_selectorIssEEZZNS1_16scan_by_key_implILNS1_25lookback_scan_determinismE0ELb0ES3_N6thrust23THRUST_200600_302600_NS6detail15normal_iteratorINS9_10device_ptrIsEEEESE_SE_sNS9_4plusIvEENS9_8equal_toIsEEsEE10hipError_tPvRmT2_T3_T4_T5_mT6_T7_P12ihipStream_tbENKUlT_T0_E_clISt17integral_constantIbLb0EESZ_EEDaSU_SV_EUlSU_E_NS1_11comp_targetILNS1_3genE0ELNS1_11target_archE4294967295ELNS1_3gpuE0ELNS1_3repE0EEENS1_30default_config_static_selectorELNS0_4arch9wavefront6targetE0EEEvT1_
	.globl	_ZN7rocprim17ROCPRIM_400000_NS6detail17trampoline_kernelINS0_14default_configENS1_27scan_by_key_config_selectorIssEEZZNS1_16scan_by_key_implILNS1_25lookback_scan_determinismE0ELb0ES3_N6thrust23THRUST_200600_302600_NS6detail15normal_iteratorINS9_10device_ptrIsEEEESE_SE_sNS9_4plusIvEENS9_8equal_toIsEEsEE10hipError_tPvRmT2_T3_T4_T5_mT6_T7_P12ihipStream_tbENKUlT_T0_E_clISt17integral_constantIbLb0EESZ_EEDaSU_SV_EUlSU_E_NS1_11comp_targetILNS1_3genE0ELNS1_11target_archE4294967295ELNS1_3gpuE0ELNS1_3repE0EEENS1_30default_config_static_selectorELNS0_4arch9wavefront6targetE0EEEvT1_
	.p2align	8
	.type	_ZN7rocprim17ROCPRIM_400000_NS6detail17trampoline_kernelINS0_14default_configENS1_27scan_by_key_config_selectorIssEEZZNS1_16scan_by_key_implILNS1_25lookback_scan_determinismE0ELb0ES3_N6thrust23THRUST_200600_302600_NS6detail15normal_iteratorINS9_10device_ptrIsEEEESE_SE_sNS9_4plusIvEENS9_8equal_toIsEEsEE10hipError_tPvRmT2_T3_T4_T5_mT6_T7_P12ihipStream_tbENKUlT_T0_E_clISt17integral_constantIbLb0EESZ_EEDaSU_SV_EUlSU_E_NS1_11comp_targetILNS1_3genE0ELNS1_11target_archE4294967295ELNS1_3gpuE0ELNS1_3repE0EEENS1_30default_config_static_selectorELNS0_4arch9wavefront6targetE0EEEvT1_,@function
_ZN7rocprim17ROCPRIM_400000_NS6detail17trampoline_kernelINS0_14default_configENS1_27scan_by_key_config_selectorIssEEZZNS1_16scan_by_key_implILNS1_25lookback_scan_determinismE0ELb0ES3_N6thrust23THRUST_200600_302600_NS6detail15normal_iteratorINS9_10device_ptrIsEEEESE_SE_sNS9_4plusIvEENS9_8equal_toIsEEsEE10hipError_tPvRmT2_T3_T4_T5_mT6_T7_P12ihipStream_tbENKUlT_T0_E_clISt17integral_constantIbLb0EESZ_EEDaSU_SV_EUlSU_E_NS1_11comp_targetILNS1_3genE0ELNS1_11target_archE4294967295ELNS1_3gpuE0ELNS1_3repE0EEENS1_30default_config_static_selectorELNS0_4arch9wavefront6targetE0EEEvT1_: ; @_ZN7rocprim17ROCPRIM_400000_NS6detail17trampoline_kernelINS0_14default_configENS1_27scan_by_key_config_selectorIssEEZZNS1_16scan_by_key_implILNS1_25lookback_scan_determinismE0ELb0ES3_N6thrust23THRUST_200600_302600_NS6detail15normal_iteratorINS9_10device_ptrIsEEEESE_SE_sNS9_4plusIvEENS9_8equal_toIsEEsEE10hipError_tPvRmT2_T3_T4_T5_mT6_T7_P12ihipStream_tbENKUlT_T0_E_clISt17integral_constantIbLb0EESZ_EEDaSU_SV_EUlSU_E_NS1_11comp_targetILNS1_3genE0ELNS1_11target_archE4294967295ELNS1_3gpuE0ELNS1_3repE0EEENS1_30default_config_static_selectorELNS0_4arch9wavefront6targetE0EEEvT1_
; %bb.0:
	.section	.rodata,"a",@progbits
	.p2align	6, 0x0
	.amdhsa_kernel _ZN7rocprim17ROCPRIM_400000_NS6detail17trampoline_kernelINS0_14default_configENS1_27scan_by_key_config_selectorIssEEZZNS1_16scan_by_key_implILNS1_25lookback_scan_determinismE0ELb0ES3_N6thrust23THRUST_200600_302600_NS6detail15normal_iteratorINS9_10device_ptrIsEEEESE_SE_sNS9_4plusIvEENS9_8equal_toIsEEsEE10hipError_tPvRmT2_T3_T4_T5_mT6_T7_P12ihipStream_tbENKUlT_T0_E_clISt17integral_constantIbLb0EESZ_EEDaSU_SV_EUlSU_E_NS1_11comp_targetILNS1_3genE0ELNS1_11target_archE4294967295ELNS1_3gpuE0ELNS1_3repE0EEENS1_30default_config_static_selectorELNS0_4arch9wavefront6targetE0EEEvT1_
		.amdhsa_group_segment_fixed_size 0
		.amdhsa_private_segment_fixed_size 0
		.amdhsa_kernarg_size 112
		.amdhsa_user_sgpr_count 6
		.amdhsa_user_sgpr_private_segment_buffer 1
		.amdhsa_user_sgpr_dispatch_ptr 0
		.amdhsa_user_sgpr_queue_ptr 0
		.amdhsa_user_sgpr_kernarg_segment_ptr 1
		.amdhsa_user_sgpr_dispatch_id 0
		.amdhsa_user_sgpr_flat_scratch_init 0
		.amdhsa_user_sgpr_private_segment_size 0
		.amdhsa_wavefront_size32 1
		.amdhsa_uses_dynamic_stack 0
		.amdhsa_system_sgpr_private_segment_wavefront_offset 0
		.amdhsa_system_sgpr_workgroup_id_x 1
		.amdhsa_system_sgpr_workgroup_id_y 0
		.amdhsa_system_sgpr_workgroup_id_z 0
		.amdhsa_system_sgpr_workgroup_info 0
		.amdhsa_system_vgpr_workitem_id 0
		.amdhsa_next_free_vgpr 1
		.amdhsa_next_free_sgpr 1
		.amdhsa_reserve_vcc 0
		.amdhsa_reserve_flat_scratch 0
		.amdhsa_float_round_mode_32 0
		.amdhsa_float_round_mode_16_64 0
		.amdhsa_float_denorm_mode_32 3
		.amdhsa_float_denorm_mode_16_64 3
		.amdhsa_dx10_clamp 1
		.amdhsa_ieee_mode 1
		.amdhsa_fp16_overflow 0
		.amdhsa_workgroup_processor_mode 1
		.amdhsa_memory_ordered 1
		.amdhsa_forward_progress 1
		.amdhsa_shared_vgpr_count 0
		.amdhsa_exception_fp_ieee_invalid_op 0
		.amdhsa_exception_fp_denorm_src 0
		.amdhsa_exception_fp_ieee_div_zero 0
		.amdhsa_exception_fp_ieee_overflow 0
		.amdhsa_exception_fp_ieee_underflow 0
		.amdhsa_exception_fp_ieee_inexact 0
		.amdhsa_exception_int_div_zero 0
	.end_amdhsa_kernel
	.section	.text._ZN7rocprim17ROCPRIM_400000_NS6detail17trampoline_kernelINS0_14default_configENS1_27scan_by_key_config_selectorIssEEZZNS1_16scan_by_key_implILNS1_25lookback_scan_determinismE0ELb0ES3_N6thrust23THRUST_200600_302600_NS6detail15normal_iteratorINS9_10device_ptrIsEEEESE_SE_sNS9_4plusIvEENS9_8equal_toIsEEsEE10hipError_tPvRmT2_T3_T4_T5_mT6_T7_P12ihipStream_tbENKUlT_T0_E_clISt17integral_constantIbLb0EESZ_EEDaSU_SV_EUlSU_E_NS1_11comp_targetILNS1_3genE0ELNS1_11target_archE4294967295ELNS1_3gpuE0ELNS1_3repE0EEENS1_30default_config_static_selectorELNS0_4arch9wavefront6targetE0EEEvT1_,"axG",@progbits,_ZN7rocprim17ROCPRIM_400000_NS6detail17trampoline_kernelINS0_14default_configENS1_27scan_by_key_config_selectorIssEEZZNS1_16scan_by_key_implILNS1_25lookback_scan_determinismE0ELb0ES3_N6thrust23THRUST_200600_302600_NS6detail15normal_iteratorINS9_10device_ptrIsEEEESE_SE_sNS9_4plusIvEENS9_8equal_toIsEEsEE10hipError_tPvRmT2_T3_T4_T5_mT6_T7_P12ihipStream_tbENKUlT_T0_E_clISt17integral_constantIbLb0EESZ_EEDaSU_SV_EUlSU_E_NS1_11comp_targetILNS1_3genE0ELNS1_11target_archE4294967295ELNS1_3gpuE0ELNS1_3repE0EEENS1_30default_config_static_selectorELNS0_4arch9wavefront6targetE0EEEvT1_,comdat
.Lfunc_end317:
	.size	_ZN7rocprim17ROCPRIM_400000_NS6detail17trampoline_kernelINS0_14default_configENS1_27scan_by_key_config_selectorIssEEZZNS1_16scan_by_key_implILNS1_25lookback_scan_determinismE0ELb0ES3_N6thrust23THRUST_200600_302600_NS6detail15normal_iteratorINS9_10device_ptrIsEEEESE_SE_sNS9_4plusIvEENS9_8equal_toIsEEsEE10hipError_tPvRmT2_T3_T4_T5_mT6_T7_P12ihipStream_tbENKUlT_T0_E_clISt17integral_constantIbLb0EESZ_EEDaSU_SV_EUlSU_E_NS1_11comp_targetILNS1_3genE0ELNS1_11target_archE4294967295ELNS1_3gpuE0ELNS1_3repE0EEENS1_30default_config_static_selectorELNS0_4arch9wavefront6targetE0EEEvT1_, .Lfunc_end317-_ZN7rocprim17ROCPRIM_400000_NS6detail17trampoline_kernelINS0_14default_configENS1_27scan_by_key_config_selectorIssEEZZNS1_16scan_by_key_implILNS1_25lookback_scan_determinismE0ELb0ES3_N6thrust23THRUST_200600_302600_NS6detail15normal_iteratorINS9_10device_ptrIsEEEESE_SE_sNS9_4plusIvEENS9_8equal_toIsEEsEE10hipError_tPvRmT2_T3_T4_T5_mT6_T7_P12ihipStream_tbENKUlT_T0_E_clISt17integral_constantIbLb0EESZ_EEDaSU_SV_EUlSU_E_NS1_11comp_targetILNS1_3genE0ELNS1_11target_archE4294967295ELNS1_3gpuE0ELNS1_3repE0EEENS1_30default_config_static_selectorELNS0_4arch9wavefront6targetE0EEEvT1_
                                        ; -- End function
	.set _ZN7rocprim17ROCPRIM_400000_NS6detail17trampoline_kernelINS0_14default_configENS1_27scan_by_key_config_selectorIssEEZZNS1_16scan_by_key_implILNS1_25lookback_scan_determinismE0ELb0ES3_N6thrust23THRUST_200600_302600_NS6detail15normal_iteratorINS9_10device_ptrIsEEEESE_SE_sNS9_4plusIvEENS9_8equal_toIsEEsEE10hipError_tPvRmT2_T3_T4_T5_mT6_T7_P12ihipStream_tbENKUlT_T0_E_clISt17integral_constantIbLb0EESZ_EEDaSU_SV_EUlSU_E_NS1_11comp_targetILNS1_3genE0ELNS1_11target_archE4294967295ELNS1_3gpuE0ELNS1_3repE0EEENS1_30default_config_static_selectorELNS0_4arch9wavefront6targetE0EEEvT1_.num_vgpr, 0
	.set _ZN7rocprim17ROCPRIM_400000_NS6detail17trampoline_kernelINS0_14default_configENS1_27scan_by_key_config_selectorIssEEZZNS1_16scan_by_key_implILNS1_25lookback_scan_determinismE0ELb0ES3_N6thrust23THRUST_200600_302600_NS6detail15normal_iteratorINS9_10device_ptrIsEEEESE_SE_sNS9_4plusIvEENS9_8equal_toIsEEsEE10hipError_tPvRmT2_T3_T4_T5_mT6_T7_P12ihipStream_tbENKUlT_T0_E_clISt17integral_constantIbLb0EESZ_EEDaSU_SV_EUlSU_E_NS1_11comp_targetILNS1_3genE0ELNS1_11target_archE4294967295ELNS1_3gpuE0ELNS1_3repE0EEENS1_30default_config_static_selectorELNS0_4arch9wavefront6targetE0EEEvT1_.num_agpr, 0
	.set _ZN7rocprim17ROCPRIM_400000_NS6detail17trampoline_kernelINS0_14default_configENS1_27scan_by_key_config_selectorIssEEZZNS1_16scan_by_key_implILNS1_25lookback_scan_determinismE0ELb0ES3_N6thrust23THRUST_200600_302600_NS6detail15normal_iteratorINS9_10device_ptrIsEEEESE_SE_sNS9_4plusIvEENS9_8equal_toIsEEsEE10hipError_tPvRmT2_T3_T4_T5_mT6_T7_P12ihipStream_tbENKUlT_T0_E_clISt17integral_constantIbLb0EESZ_EEDaSU_SV_EUlSU_E_NS1_11comp_targetILNS1_3genE0ELNS1_11target_archE4294967295ELNS1_3gpuE0ELNS1_3repE0EEENS1_30default_config_static_selectorELNS0_4arch9wavefront6targetE0EEEvT1_.numbered_sgpr, 0
	.set _ZN7rocprim17ROCPRIM_400000_NS6detail17trampoline_kernelINS0_14default_configENS1_27scan_by_key_config_selectorIssEEZZNS1_16scan_by_key_implILNS1_25lookback_scan_determinismE0ELb0ES3_N6thrust23THRUST_200600_302600_NS6detail15normal_iteratorINS9_10device_ptrIsEEEESE_SE_sNS9_4plusIvEENS9_8equal_toIsEEsEE10hipError_tPvRmT2_T3_T4_T5_mT6_T7_P12ihipStream_tbENKUlT_T0_E_clISt17integral_constantIbLb0EESZ_EEDaSU_SV_EUlSU_E_NS1_11comp_targetILNS1_3genE0ELNS1_11target_archE4294967295ELNS1_3gpuE0ELNS1_3repE0EEENS1_30default_config_static_selectorELNS0_4arch9wavefront6targetE0EEEvT1_.num_named_barrier, 0
	.set _ZN7rocprim17ROCPRIM_400000_NS6detail17trampoline_kernelINS0_14default_configENS1_27scan_by_key_config_selectorIssEEZZNS1_16scan_by_key_implILNS1_25lookback_scan_determinismE0ELb0ES3_N6thrust23THRUST_200600_302600_NS6detail15normal_iteratorINS9_10device_ptrIsEEEESE_SE_sNS9_4plusIvEENS9_8equal_toIsEEsEE10hipError_tPvRmT2_T3_T4_T5_mT6_T7_P12ihipStream_tbENKUlT_T0_E_clISt17integral_constantIbLb0EESZ_EEDaSU_SV_EUlSU_E_NS1_11comp_targetILNS1_3genE0ELNS1_11target_archE4294967295ELNS1_3gpuE0ELNS1_3repE0EEENS1_30default_config_static_selectorELNS0_4arch9wavefront6targetE0EEEvT1_.private_seg_size, 0
	.set _ZN7rocprim17ROCPRIM_400000_NS6detail17trampoline_kernelINS0_14default_configENS1_27scan_by_key_config_selectorIssEEZZNS1_16scan_by_key_implILNS1_25lookback_scan_determinismE0ELb0ES3_N6thrust23THRUST_200600_302600_NS6detail15normal_iteratorINS9_10device_ptrIsEEEESE_SE_sNS9_4plusIvEENS9_8equal_toIsEEsEE10hipError_tPvRmT2_T3_T4_T5_mT6_T7_P12ihipStream_tbENKUlT_T0_E_clISt17integral_constantIbLb0EESZ_EEDaSU_SV_EUlSU_E_NS1_11comp_targetILNS1_3genE0ELNS1_11target_archE4294967295ELNS1_3gpuE0ELNS1_3repE0EEENS1_30default_config_static_selectorELNS0_4arch9wavefront6targetE0EEEvT1_.uses_vcc, 0
	.set _ZN7rocprim17ROCPRIM_400000_NS6detail17trampoline_kernelINS0_14default_configENS1_27scan_by_key_config_selectorIssEEZZNS1_16scan_by_key_implILNS1_25lookback_scan_determinismE0ELb0ES3_N6thrust23THRUST_200600_302600_NS6detail15normal_iteratorINS9_10device_ptrIsEEEESE_SE_sNS9_4plusIvEENS9_8equal_toIsEEsEE10hipError_tPvRmT2_T3_T4_T5_mT6_T7_P12ihipStream_tbENKUlT_T0_E_clISt17integral_constantIbLb0EESZ_EEDaSU_SV_EUlSU_E_NS1_11comp_targetILNS1_3genE0ELNS1_11target_archE4294967295ELNS1_3gpuE0ELNS1_3repE0EEENS1_30default_config_static_selectorELNS0_4arch9wavefront6targetE0EEEvT1_.uses_flat_scratch, 0
	.set _ZN7rocprim17ROCPRIM_400000_NS6detail17trampoline_kernelINS0_14default_configENS1_27scan_by_key_config_selectorIssEEZZNS1_16scan_by_key_implILNS1_25lookback_scan_determinismE0ELb0ES3_N6thrust23THRUST_200600_302600_NS6detail15normal_iteratorINS9_10device_ptrIsEEEESE_SE_sNS9_4plusIvEENS9_8equal_toIsEEsEE10hipError_tPvRmT2_T3_T4_T5_mT6_T7_P12ihipStream_tbENKUlT_T0_E_clISt17integral_constantIbLb0EESZ_EEDaSU_SV_EUlSU_E_NS1_11comp_targetILNS1_3genE0ELNS1_11target_archE4294967295ELNS1_3gpuE0ELNS1_3repE0EEENS1_30default_config_static_selectorELNS0_4arch9wavefront6targetE0EEEvT1_.has_dyn_sized_stack, 0
	.set _ZN7rocprim17ROCPRIM_400000_NS6detail17trampoline_kernelINS0_14default_configENS1_27scan_by_key_config_selectorIssEEZZNS1_16scan_by_key_implILNS1_25lookback_scan_determinismE0ELb0ES3_N6thrust23THRUST_200600_302600_NS6detail15normal_iteratorINS9_10device_ptrIsEEEESE_SE_sNS9_4plusIvEENS9_8equal_toIsEEsEE10hipError_tPvRmT2_T3_T4_T5_mT6_T7_P12ihipStream_tbENKUlT_T0_E_clISt17integral_constantIbLb0EESZ_EEDaSU_SV_EUlSU_E_NS1_11comp_targetILNS1_3genE0ELNS1_11target_archE4294967295ELNS1_3gpuE0ELNS1_3repE0EEENS1_30default_config_static_selectorELNS0_4arch9wavefront6targetE0EEEvT1_.has_recursion, 0
	.set _ZN7rocprim17ROCPRIM_400000_NS6detail17trampoline_kernelINS0_14default_configENS1_27scan_by_key_config_selectorIssEEZZNS1_16scan_by_key_implILNS1_25lookback_scan_determinismE0ELb0ES3_N6thrust23THRUST_200600_302600_NS6detail15normal_iteratorINS9_10device_ptrIsEEEESE_SE_sNS9_4plusIvEENS9_8equal_toIsEEsEE10hipError_tPvRmT2_T3_T4_T5_mT6_T7_P12ihipStream_tbENKUlT_T0_E_clISt17integral_constantIbLb0EESZ_EEDaSU_SV_EUlSU_E_NS1_11comp_targetILNS1_3genE0ELNS1_11target_archE4294967295ELNS1_3gpuE0ELNS1_3repE0EEENS1_30default_config_static_selectorELNS0_4arch9wavefront6targetE0EEEvT1_.has_indirect_call, 0
	.section	.AMDGPU.csdata,"",@progbits
; Kernel info:
; codeLenInByte = 0
; TotalNumSgprs: 0
; NumVgprs: 0
; ScratchSize: 0
; MemoryBound: 0
; FloatMode: 240
; IeeeMode: 1
; LDSByteSize: 0 bytes/workgroup (compile time only)
; SGPRBlocks: 0
; VGPRBlocks: 0
; NumSGPRsForWavesPerEU: 1
; NumVGPRsForWavesPerEU: 1
; Occupancy: 16
; WaveLimiterHint : 0
; COMPUTE_PGM_RSRC2:SCRATCH_EN: 0
; COMPUTE_PGM_RSRC2:USER_SGPR: 6
; COMPUTE_PGM_RSRC2:TRAP_HANDLER: 0
; COMPUTE_PGM_RSRC2:TGID_X_EN: 1
; COMPUTE_PGM_RSRC2:TGID_Y_EN: 0
; COMPUTE_PGM_RSRC2:TGID_Z_EN: 0
; COMPUTE_PGM_RSRC2:TIDIG_COMP_CNT: 0
	.section	.text._ZN7rocprim17ROCPRIM_400000_NS6detail17trampoline_kernelINS0_14default_configENS1_27scan_by_key_config_selectorIssEEZZNS1_16scan_by_key_implILNS1_25lookback_scan_determinismE0ELb0ES3_N6thrust23THRUST_200600_302600_NS6detail15normal_iteratorINS9_10device_ptrIsEEEESE_SE_sNS9_4plusIvEENS9_8equal_toIsEEsEE10hipError_tPvRmT2_T3_T4_T5_mT6_T7_P12ihipStream_tbENKUlT_T0_E_clISt17integral_constantIbLb0EESZ_EEDaSU_SV_EUlSU_E_NS1_11comp_targetILNS1_3genE10ELNS1_11target_archE1201ELNS1_3gpuE5ELNS1_3repE0EEENS1_30default_config_static_selectorELNS0_4arch9wavefront6targetE0EEEvT1_,"axG",@progbits,_ZN7rocprim17ROCPRIM_400000_NS6detail17trampoline_kernelINS0_14default_configENS1_27scan_by_key_config_selectorIssEEZZNS1_16scan_by_key_implILNS1_25lookback_scan_determinismE0ELb0ES3_N6thrust23THRUST_200600_302600_NS6detail15normal_iteratorINS9_10device_ptrIsEEEESE_SE_sNS9_4plusIvEENS9_8equal_toIsEEsEE10hipError_tPvRmT2_T3_T4_T5_mT6_T7_P12ihipStream_tbENKUlT_T0_E_clISt17integral_constantIbLb0EESZ_EEDaSU_SV_EUlSU_E_NS1_11comp_targetILNS1_3genE10ELNS1_11target_archE1201ELNS1_3gpuE5ELNS1_3repE0EEENS1_30default_config_static_selectorELNS0_4arch9wavefront6targetE0EEEvT1_,comdat
	.protected	_ZN7rocprim17ROCPRIM_400000_NS6detail17trampoline_kernelINS0_14default_configENS1_27scan_by_key_config_selectorIssEEZZNS1_16scan_by_key_implILNS1_25lookback_scan_determinismE0ELb0ES3_N6thrust23THRUST_200600_302600_NS6detail15normal_iteratorINS9_10device_ptrIsEEEESE_SE_sNS9_4plusIvEENS9_8equal_toIsEEsEE10hipError_tPvRmT2_T3_T4_T5_mT6_T7_P12ihipStream_tbENKUlT_T0_E_clISt17integral_constantIbLb0EESZ_EEDaSU_SV_EUlSU_E_NS1_11comp_targetILNS1_3genE10ELNS1_11target_archE1201ELNS1_3gpuE5ELNS1_3repE0EEENS1_30default_config_static_selectorELNS0_4arch9wavefront6targetE0EEEvT1_ ; -- Begin function _ZN7rocprim17ROCPRIM_400000_NS6detail17trampoline_kernelINS0_14default_configENS1_27scan_by_key_config_selectorIssEEZZNS1_16scan_by_key_implILNS1_25lookback_scan_determinismE0ELb0ES3_N6thrust23THRUST_200600_302600_NS6detail15normal_iteratorINS9_10device_ptrIsEEEESE_SE_sNS9_4plusIvEENS9_8equal_toIsEEsEE10hipError_tPvRmT2_T3_T4_T5_mT6_T7_P12ihipStream_tbENKUlT_T0_E_clISt17integral_constantIbLb0EESZ_EEDaSU_SV_EUlSU_E_NS1_11comp_targetILNS1_3genE10ELNS1_11target_archE1201ELNS1_3gpuE5ELNS1_3repE0EEENS1_30default_config_static_selectorELNS0_4arch9wavefront6targetE0EEEvT1_
	.globl	_ZN7rocprim17ROCPRIM_400000_NS6detail17trampoline_kernelINS0_14default_configENS1_27scan_by_key_config_selectorIssEEZZNS1_16scan_by_key_implILNS1_25lookback_scan_determinismE0ELb0ES3_N6thrust23THRUST_200600_302600_NS6detail15normal_iteratorINS9_10device_ptrIsEEEESE_SE_sNS9_4plusIvEENS9_8equal_toIsEEsEE10hipError_tPvRmT2_T3_T4_T5_mT6_T7_P12ihipStream_tbENKUlT_T0_E_clISt17integral_constantIbLb0EESZ_EEDaSU_SV_EUlSU_E_NS1_11comp_targetILNS1_3genE10ELNS1_11target_archE1201ELNS1_3gpuE5ELNS1_3repE0EEENS1_30default_config_static_selectorELNS0_4arch9wavefront6targetE0EEEvT1_
	.p2align	8
	.type	_ZN7rocprim17ROCPRIM_400000_NS6detail17trampoline_kernelINS0_14default_configENS1_27scan_by_key_config_selectorIssEEZZNS1_16scan_by_key_implILNS1_25lookback_scan_determinismE0ELb0ES3_N6thrust23THRUST_200600_302600_NS6detail15normal_iteratorINS9_10device_ptrIsEEEESE_SE_sNS9_4plusIvEENS9_8equal_toIsEEsEE10hipError_tPvRmT2_T3_T4_T5_mT6_T7_P12ihipStream_tbENKUlT_T0_E_clISt17integral_constantIbLb0EESZ_EEDaSU_SV_EUlSU_E_NS1_11comp_targetILNS1_3genE10ELNS1_11target_archE1201ELNS1_3gpuE5ELNS1_3repE0EEENS1_30default_config_static_selectorELNS0_4arch9wavefront6targetE0EEEvT1_,@function
_ZN7rocprim17ROCPRIM_400000_NS6detail17trampoline_kernelINS0_14default_configENS1_27scan_by_key_config_selectorIssEEZZNS1_16scan_by_key_implILNS1_25lookback_scan_determinismE0ELb0ES3_N6thrust23THRUST_200600_302600_NS6detail15normal_iteratorINS9_10device_ptrIsEEEESE_SE_sNS9_4plusIvEENS9_8equal_toIsEEsEE10hipError_tPvRmT2_T3_T4_T5_mT6_T7_P12ihipStream_tbENKUlT_T0_E_clISt17integral_constantIbLb0EESZ_EEDaSU_SV_EUlSU_E_NS1_11comp_targetILNS1_3genE10ELNS1_11target_archE1201ELNS1_3gpuE5ELNS1_3repE0EEENS1_30default_config_static_selectorELNS0_4arch9wavefront6targetE0EEEvT1_: ; @_ZN7rocprim17ROCPRIM_400000_NS6detail17trampoline_kernelINS0_14default_configENS1_27scan_by_key_config_selectorIssEEZZNS1_16scan_by_key_implILNS1_25lookback_scan_determinismE0ELb0ES3_N6thrust23THRUST_200600_302600_NS6detail15normal_iteratorINS9_10device_ptrIsEEEESE_SE_sNS9_4plusIvEENS9_8equal_toIsEEsEE10hipError_tPvRmT2_T3_T4_T5_mT6_T7_P12ihipStream_tbENKUlT_T0_E_clISt17integral_constantIbLb0EESZ_EEDaSU_SV_EUlSU_E_NS1_11comp_targetILNS1_3genE10ELNS1_11target_archE1201ELNS1_3gpuE5ELNS1_3repE0EEENS1_30default_config_static_selectorELNS0_4arch9wavefront6targetE0EEEvT1_
; %bb.0:
	.section	.rodata,"a",@progbits
	.p2align	6, 0x0
	.amdhsa_kernel _ZN7rocprim17ROCPRIM_400000_NS6detail17trampoline_kernelINS0_14default_configENS1_27scan_by_key_config_selectorIssEEZZNS1_16scan_by_key_implILNS1_25lookback_scan_determinismE0ELb0ES3_N6thrust23THRUST_200600_302600_NS6detail15normal_iteratorINS9_10device_ptrIsEEEESE_SE_sNS9_4plusIvEENS9_8equal_toIsEEsEE10hipError_tPvRmT2_T3_T4_T5_mT6_T7_P12ihipStream_tbENKUlT_T0_E_clISt17integral_constantIbLb0EESZ_EEDaSU_SV_EUlSU_E_NS1_11comp_targetILNS1_3genE10ELNS1_11target_archE1201ELNS1_3gpuE5ELNS1_3repE0EEENS1_30default_config_static_selectorELNS0_4arch9wavefront6targetE0EEEvT1_
		.amdhsa_group_segment_fixed_size 0
		.amdhsa_private_segment_fixed_size 0
		.amdhsa_kernarg_size 112
		.amdhsa_user_sgpr_count 6
		.amdhsa_user_sgpr_private_segment_buffer 1
		.amdhsa_user_sgpr_dispatch_ptr 0
		.amdhsa_user_sgpr_queue_ptr 0
		.amdhsa_user_sgpr_kernarg_segment_ptr 1
		.amdhsa_user_sgpr_dispatch_id 0
		.amdhsa_user_sgpr_flat_scratch_init 0
		.amdhsa_user_sgpr_private_segment_size 0
		.amdhsa_wavefront_size32 1
		.amdhsa_uses_dynamic_stack 0
		.amdhsa_system_sgpr_private_segment_wavefront_offset 0
		.amdhsa_system_sgpr_workgroup_id_x 1
		.amdhsa_system_sgpr_workgroup_id_y 0
		.amdhsa_system_sgpr_workgroup_id_z 0
		.amdhsa_system_sgpr_workgroup_info 0
		.amdhsa_system_vgpr_workitem_id 0
		.amdhsa_next_free_vgpr 1
		.amdhsa_next_free_sgpr 1
		.amdhsa_reserve_vcc 0
		.amdhsa_reserve_flat_scratch 0
		.amdhsa_float_round_mode_32 0
		.amdhsa_float_round_mode_16_64 0
		.amdhsa_float_denorm_mode_32 3
		.amdhsa_float_denorm_mode_16_64 3
		.amdhsa_dx10_clamp 1
		.amdhsa_ieee_mode 1
		.amdhsa_fp16_overflow 0
		.amdhsa_workgroup_processor_mode 1
		.amdhsa_memory_ordered 1
		.amdhsa_forward_progress 1
		.amdhsa_shared_vgpr_count 0
		.amdhsa_exception_fp_ieee_invalid_op 0
		.amdhsa_exception_fp_denorm_src 0
		.amdhsa_exception_fp_ieee_div_zero 0
		.amdhsa_exception_fp_ieee_overflow 0
		.amdhsa_exception_fp_ieee_underflow 0
		.amdhsa_exception_fp_ieee_inexact 0
		.amdhsa_exception_int_div_zero 0
	.end_amdhsa_kernel
	.section	.text._ZN7rocprim17ROCPRIM_400000_NS6detail17trampoline_kernelINS0_14default_configENS1_27scan_by_key_config_selectorIssEEZZNS1_16scan_by_key_implILNS1_25lookback_scan_determinismE0ELb0ES3_N6thrust23THRUST_200600_302600_NS6detail15normal_iteratorINS9_10device_ptrIsEEEESE_SE_sNS9_4plusIvEENS9_8equal_toIsEEsEE10hipError_tPvRmT2_T3_T4_T5_mT6_T7_P12ihipStream_tbENKUlT_T0_E_clISt17integral_constantIbLb0EESZ_EEDaSU_SV_EUlSU_E_NS1_11comp_targetILNS1_3genE10ELNS1_11target_archE1201ELNS1_3gpuE5ELNS1_3repE0EEENS1_30default_config_static_selectorELNS0_4arch9wavefront6targetE0EEEvT1_,"axG",@progbits,_ZN7rocprim17ROCPRIM_400000_NS6detail17trampoline_kernelINS0_14default_configENS1_27scan_by_key_config_selectorIssEEZZNS1_16scan_by_key_implILNS1_25lookback_scan_determinismE0ELb0ES3_N6thrust23THRUST_200600_302600_NS6detail15normal_iteratorINS9_10device_ptrIsEEEESE_SE_sNS9_4plusIvEENS9_8equal_toIsEEsEE10hipError_tPvRmT2_T3_T4_T5_mT6_T7_P12ihipStream_tbENKUlT_T0_E_clISt17integral_constantIbLb0EESZ_EEDaSU_SV_EUlSU_E_NS1_11comp_targetILNS1_3genE10ELNS1_11target_archE1201ELNS1_3gpuE5ELNS1_3repE0EEENS1_30default_config_static_selectorELNS0_4arch9wavefront6targetE0EEEvT1_,comdat
.Lfunc_end318:
	.size	_ZN7rocprim17ROCPRIM_400000_NS6detail17trampoline_kernelINS0_14default_configENS1_27scan_by_key_config_selectorIssEEZZNS1_16scan_by_key_implILNS1_25lookback_scan_determinismE0ELb0ES3_N6thrust23THRUST_200600_302600_NS6detail15normal_iteratorINS9_10device_ptrIsEEEESE_SE_sNS9_4plusIvEENS9_8equal_toIsEEsEE10hipError_tPvRmT2_T3_T4_T5_mT6_T7_P12ihipStream_tbENKUlT_T0_E_clISt17integral_constantIbLb0EESZ_EEDaSU_SV_EUlSU_E_NS1_11comp_targetILNS1_3genE10ELNS1_11target_archE1201ELNS1_3gpuE5ELNS1_3repE0EEENS1_30default_config_static_selectorELNS0_4arch9wavefront6targetE0EEEvT1_, .Lfunc_end318-_ZN7rocprim17ROCPRIM_400000_NS6detail17trampoline_kernelINS0_14default_configENS1_27scan_by_key_config_selectorIssEEZZNS1_16scan_by_key_implILNS1_25lookback_scan_determinismE0ELb0ES3_N6thrust23THRUST_200600_302600_NS6detail15normal_iteratorINS9_10device_ptrIsEEEESE_SE_sNS9_4plusIvEENS9_8equal_toIsEEsEE10hipError_tPvRmT2_T3_T4_T5_mT6_T7_P12ihipStream_tbENKUlT_T0_E_clISt17integral_constantIbLb0EESZ_EEDaSU_SV_EUlSU_E_NS1_11comp_targetILNS1_3genE10ELNS1_11target_archE1201ELNS1_3gpuE5ELNS1_3repE0EEENS1_30default_config_static_selectorELNS0_4arch9wavefront6targetE0EEEvT1_
                                        ; -- End function
	.set _ZN7rocprim17ROCPRIM_400000_NS6detail17trampoline_kernelINS0_14default_configENS1_27scan_by_key_config_selectorIssEEZZNS1_16scan_by_key_implILNS1_25lookback_scan_determinismE0ELb0ES3_N6thrust23THRUST_200600_302600_NS6detail15normal_iteratorINS9_10device_ptrIsEEEESE_SE_sNS9_4plusIvEENS9_8equal_toIsEEsEE10hipError_tPvRmT2_T3_T4_T5_mT6_T7_P12ihipStream_tbENKUlT_T0_E_clISt17integral_constantIbLb0EESZ_EEDaSU_SV_EUlSU_E_NS1_11comp_targetILNS1_3genE10ELNS1_11target_archE1201ELNS1_3gpuE5ELNS1_3repE0EEENS1_30default_config_static_selectorELNS0_4arch9wavefront6targetE0EEEvT1_.num_vgpr, 0
	.set _ZN7rocprim17ROCPRIM_400000_NS6detail17trampoline_kernelINS0_14default_configENS1_27scan_by_key_config_selectorIssEEZZNS1_16scan_by_key_implILNS1_25lookback_scan_determinismE0ELb0ES3_N6thrust23THRUST_200600_302600_NS6detail15normal_iteratorINS9_10device_ptrIsEEEESE_SE_sNS9_4plusIvEENS9_8equal_toIsEEsEE10hipError_tPvRmT2_T3_T4_T5_mT6_T7_P12ihipStream_tbENKUlT_T0_E_clISt17integral_constantIbLb0EESZ_EEDaSU_SV_EUlSU_E_NS1_11comp_targetILNS1_3genE10ELNS1_11target_archE1201ELNS1_3gpuE5ELNS1_3repE0EEENS1_30default_config_static_selectorELNS0_4arch9wavefront6targetE0EEEvT1_.num_agpr, 0
	.set _ZN7rocprim17ROCPRIM_400000_NS6detail17trampoline_kernelINS0_14default_configENS1_27scan_by_key_config_selectorIssEEZZNS1_16scan_by_key_implILNS1_25lookback_scan_determinismE0ELb0ES3_N6thrust23THRUST_200600_302600_NS6detail15normal_iteratorINS9_10device_ptrIsEEEESE_SE_sNS9_4plusIvEENS9_8equal_toIsEEsEE10hipError_tPvRmT2_T3_T4_T5_mT6_T7_P12ihipStream_tbENKUlT_T0_E_clISt17integral_constantIbLb0EESZ_EEDaSU_SV_EUlSU_E_NS1_11comp_targetILNS1_3genE10ELNS1_11target_archE1201ELNS1_3gpuE5ELNS1_3repE0EEENS1_30default_config_static_selectorELNS0_4arch9wavefront6targetE0EEEvT1_.numbered_sgpr, 0
	.set _ZN7rocprim17ROCPRIM_400000_NS6detail17trampoline_kernelINS0_14default_configENS1_27scan_by_key_config_selectorIssEEZZNS1_16scan_by_key_implILNS1_25lookback_scan_determinismE0ELb0ES3_N6thrust23THRUST_200600_302600_NS6detail15normal_iteratorINS9_10device_ptrIsEEEESE_SE_sNS9_4plusIvEENS9_8equal_toIsEEsEE10hipError_tPvRmT2_T3_T4_T5_mT6_T7_P12ihipStream_tbENKUlT_T0_E_clISt17integral_constantIbLb0EESZ_EEDaSU_SV_EUlSU_E_NS1_11comp_targetILNS1_3genE10ELNS1_11target_archE1201ELNS1_3gpuE5ELNS1_3repE0EEENS1_30default_config_static_selectorELNS0_4arch9wavefront6targetE0EEEvT1_.num_named_barrier, 0
	.set _ZN7rocprim17ROCPRIM_400000_NS6detail17trampoline_kernelINS0_14default_configENS1_27scan_by_key_config_selectorIssEEZZNS1_16scan_by_key_implILNS1_25lookback_scan_determinismE0ELb0ES3_N6thrust23THRUST_200600_302600_NS6detail15normal_iteratorINS9_10device_ptrIsEEEESE_SE_sNS9_4plusIvEENS9_8equal_toIsEEsEE10hipError_tPvRmT2_T3_T4_T5_mT6_T7_P12ihipStream_tbENKUlT_T0_E_clISt17integral_constantIbLb0EESZ_EEDaSU_SV_EUlSU_E_NS1_11comp_targetILNS1_3genE10ELNS1_11target_archE1201ELNS1_3gpuE5ELNS1_3repE0EEENS1_30default_config_static_selectorELNS0_4arch9wavefront6targetE0EEEvT1_.private_seg_size, 0
	.set _ZN7rocprim17ROCPRIM_400000_NS6detail17trampoline_kernelINS0_14default_configENS1_27scan_by_key_config_selectorIssEEZZNS1_16scan_by_key_implILNS1_25lookback_scan_determinismE0ELb0ES3_N6thrust23THRUST_200600_302600_NS6detail15normal_iteratorINS9_10device_ptrIsEEEESE_SE_sNS9_4plusIvEENS9_8equal_toIsEEsEE10hipError_tPvRmT2_T3_T4_T5_mT6_T7_P12ihipStream_tbENKUlT_T0_E_clISt17integral_constantIbLb0EESZ_EEDaSU_SV_EUlSU_E_NS1_11comp_targetILNS1_3genE10ELNS1_11target_archE1201ELNS1_3gpuE5ELNS1_3repE0EEENS1_30default_config_static_selectorELNS0_4arch9wavefront6targetE0EEEvT1_.uses_vcc, 0
	.set _ZN7rocprim17ROCPRIM_400000_NS6detail17trampoline_kernelINS0_14default_configENS1_27scan_by_key_config_selectorIssEEZZNS1_16scan_by_key_implILNS1_25lookback_scan_determinismE0ELb0ES3_N6thrust23THRUST_200600_302600_NS6detail15normal_iteratorINS9_10device_ptrIsEEEESE_SE_sNS9_4plusIvEENS9_8equal_toIsEEsEE10hipError_tPvRmT2_T3_T4_T5_mT6_T7_P12ihipStream_tbENKUlT_T0_E_clISt17integral_constantIbLb0EESZ_EEDaSU_SV_EUlSU_E_NS1_11comp_targetILNS1_3genE10ELNS1_11target_archE1201ELNS1_3gpuE5ELNS1_3repE0EEENS1_30default_config_static_selectorELNS0_4arch9wavefront6targetE0EEEvT1_.uses_flat_scratch, 0
	.set _ZN7rocprim17ROCPRIM_400000_NS6detail17trampoline_kernelINS0_14default_configENS1_27scan_by_key_config_selectorIssEEZZNS1_16scan_by_key_implILNS1_25lookback_scan_determinismE0ELb0ES3_N6thrust23THRUST_200600_302600_NS6detail15normal_iteratorINS9_10device_ptrIsEEEESE_SE_sNS9_4plusIvEENS9_8equal_toIsEEsEE10hipError_tPvRmT2_T3_T4_T5_mT6_T7_P12ihipStream_tbENKUlT_T0_E_clISt17integral_constantIbLb0EESZ_EEDaSU_SV_EUlSU_E_NS1_11comp_targetILNS1_3genE10ELNS1_11target_archE1201ELNS1_3gpuE5ELNS1_3repE0EEENS1_30default_config_static_selectorELNS0_4arch9wavefront6targetE0EEEvT1_.has_dyn_sized_stack, 0
	.set _ZN7rocprim17ROCPRIM_400000_NS6detail17trampoline_kernelINS0_14default_configENS1_27scan_by_key_config_selectorIssEEZZNS1_16scan_by_key_implILNS1_25lookback_scan_determinismE0ELb0ES3_N6thrust23THRUST_200600_302600_NS6detail15normal_iteratorINS9_10device_ptrIsEEEESE_SE_sNS9_4plusIvEENS9_8equal_toIsEEsEE10hipError_tPvRmT2_T3_T4_T5_mT6_T7_P12ihipStream_tbENKUlT_T0_E_clISt17integral_constantIbLb0EESZ_EEDaSU_SV_EUlSU_E_NS1_11comp_targetILNS1_3genE10ELNS1_11target_archE1201ELNS1_3gpuE5ELNS1_3repE0EEENS1_30default_config_static_selectorELNS0_4arch9wavefront6targetE0EEEvT1_.has_recursion, 0
	.set _ZN7rocprim17ROCPRIM_400000_NS6detail17trampoline_kernelINS0_14default_configENS1_27scan_by_key_config_selectorIssEEZZNS1_16scan_by_key_implILNS1_25lookback_scan_determinismE0ELb0ES3_N6thrust23THRUST_200600_302600_NS6detail15normal_iteratorINS9_10device_ptrIsEEEESE_SE_sNS9_4plusIvEENS9_8equal_toIsEEsEE10hipError_tPvRmT2_T3_T4_T5_mT6_T7_P12ihipStream_tbENKUlT_T0_E_clISt17integral_constantIbLb0EESZ_EEDaSU_SV_EUlSU_E_NS1_11comp_targetILNS1_3genE10ELNS1_11target_archE1201ELNS1_3gpuE5ELNS1_3repE0EEENS1_30default_config_static_selectorELNS0_4arch9wavefront6targetE0EEEvT1_.has_indirect_call, 0
	.section	.AMDGPU.csdata,"",@progbits
; Kernel info:
; codeLenInByte = 0
; TotalNumSgprs: 0
; NumVgprs: 0
; ScratchSize: 0
; MemoryBound: 0
; FloatMode: 240
; IeeeMode: 1
; LDSByteSize: 0 bytes/workgroup (compile time only)
; SGPRBlocks: 0
; VGPRBlocks: 0
; NumSGPRsForWavesPerEU: 1
; NumVGPRsForWavesPerEU: 1
; Occupancy: 16
; WaveLimiterHint : 0
; COMPUTE_PGM_RSRC2:SCRATCH_EN: 0
; COMPUTE_PGM_RSRC2:USER_SGPR: 6
; COMPUTE_PGM_RSRC2:TRAP_HANDLER: 0
; COMPUTE_PGM_RSRC2:TGID_X_EN: 1
; COMPUTE_PGM_RSRC2:TGID_Y_EN: 0
; COMPUTE_PGM_RSRC2:TGID_Z_EN: 0
; COMPUTE_PGM_RSRC2:TIDIG_COMP_CNT: 0
	.section	.text._ZN7rocprim17ROCPRIM_400000_NS6detail17trampoline_kernelINS0_14default_configENS1_27scan_by_key_config_selectorIssEEZZNS1_16scan_by_key_implILNS1_25lookback_scan_determinismE0ELb0ES3_N6thrust23THRUST_200600_302600_NS6detail15normal_iteratorINS9_10device_ptrIsEEEESE_SE_sNS9_4plusIvEENS9_8equal_toIsEEsEE10hipError_tPvRmT2_T3_T4_T5_mT6_T7_P12ihipStream_tbENKUlT_T0_E_clISt17integral_constantIbLb0EESZ_EEDaSU_SV_EUlSU_E_NS1_11comp_targetILNS1_3genE5ELNS1_11target_archE942ELNS1_3gpuE9ELNS1_3repE0EEENS1_30default_config_static_selectorELNS0_4arch9wavefront6targetE0EEEvT1_,"axG",@progbits,_ZN7rocprim17ROCPRIM_400000_NS6detail17trampoline_kernelINS0_14default_configENS1_27scan_by_key_config_selectorIssEEZZNS1_16scan_by_key_implILNS1_25lookback_scan_determinismE0ELb0ES3_N6thrust23THRUST_200600_302600_NS6detail15normal_iteratorINS9_10device_ptrIsEEEESE_SE_sNS9_4plusIvEENS9_8equal_toIsEEsEE10hipError_tPvRmT2_T3_T4_T5_mT6_T7_P12ihipStream_tbENKUlT_T0_E_clISt17integral_constantIbLb0EESZ_EEDaSU_SV_EUlSU_E_NS1_11comp_targetILNS1_3genE5ELNS1_11target_archE942ELNS1_3gpuE9ELNS1_3repE0EEENS1_30default_config_static_selectorELNS0_4arch9wavefront6targetE0EEEvT1_,comdat
	.protected	_ZN7rocprim17ROCPRIM_400000_NS6detail17trampoline_kernelINS0_14default_configENS1_27scan_by_key_config_selectorIssEEZZNS1_16scan_by_key_implILNS1_25lookback_scan_determinismE0ELb0ES3_N6thrust23THRUST_200600_302600_NS6detail15normal_iteratorINS9_10device_ptrIsEEEESE_SE_sNS9_4plusIvEENS9_8equal_toIsEEsEE10hipError_tPvRmT2_T3_T4_T5_mT6_T7_P12ihipStream_tbENKUlT_T0_E_clISt17integral_constantIbLb0EESZ_EEDaSU_SV_EUlSU_E_NS1_11comp_targetILNS1_3genE5ELNS1_11target_archE942ELNS1_3gpuE9ELNS1_3repE0EEENS1_30default_config_static_selectorELNS0_4arch9wavefront6targetE0EEEvT1_ ; -- Begin function _ZN7rocprim17ROCPRIM_400000_NS6detail17trampoline_kernelINS0_14default_configENS1_27scan_by_key_config_selectorIssEEZZNS1_16scan_by_key_implILNS1_25lookback_scan_determinismE0ELb0ES3_N6thrust23THRUST_200600_302600_NS6detail15normal_iteratorINS9_10device_ptrIsEEEESE_SE_sNS9_4plusIvEENS9_8equal_toIsEEsEE10hipError_tPvRmT2_T3_T4_T5_mT6_T7_P12ihipStream_tbENKUlT_T0_E_clISt17integral_constantIbLb0EESZ_EEDaSU_SV_EUlSU_E_NS1_11comp_targetILNS1_3genE5ELNS1_11target_archE942ELNS1_3gpuE9ELNS1_3repE0EEENS1_30default_config_static_selectorELNS0_4arch9wavefront6targetE0EEEvT1_
	.globl	_ZN7rocprim17ROCPRIM_400000_NS6detail17trampoline_kernelINS0_14default_configENS1_27scan_by_key_config_selectorIssEEZZNS1_16scan_by_key_implILNS1_25lookback_scan_determinismE0ELb0ES3_N6thrust23THRUST_200600_302600_NS6detail15normal_iteratorINS9_10device_ptrIsEEEESE_SE_sNS9_4plusIvEENS9_8equal_toIsEEsEE10hipError_tPvRmT2_T3_T4_T5_mT6_T7_P12ihipStream_tbENKUlT_T0_E_clISt17integral_constantIbLb0EESZ_EEDaSU_SV_EUlSU_E_NS1_11comp_targetILNS1_3genE5ELNS1_11target_archE942ELNS1_3gpuE9ELNS1_3repE0EEENS1_30default_config_static_selectorELNS0_4arch9wavefront6targetE0EEEvT1_
	.p2align	8
	.type	_ZN7rocprim17ROCPRIM_400000_NS6detail17trampoline_kernelINS0_14default_configENS1_27scan_by_key_config_selectorIssEEZZNS1_16scan_by_key_implILNS1_25lookback_scan_determinismE0ELb0ES3_N6thrust23THRUST_200600_302600_NS6detail15normal_iteratorINS9_10device_ptrIsEEEESE_SE_sNS9_4plusIvEENS9_8equal_toIsEEsEE10hipError_tPvRmT2_T3_T4_T5_mT6_T7_P12ihipStream_tbENKUlT_T0_E_clISt17integral_constantIbLb0EESZ_EEDaSU_SV_EUlSU_E_NS1_11comp_targetILNS1_3genE5ELNS1_11target_archE942ELNS1_3gpuE9ELNS1_3repE0EEENS1_30default_config_static_selectorELNS0_4arch9wavefront6targetE0EEEvT1_,@function
_ZN7rocprim17ROCPRIM_400000_NS6detail17trampoline_kernelINS0_14default_configENS1_27scan_by_key_config_selectorIssEEZZNS1_16scan_by_key_implILNS1_25lookback_scan_determinismE0ELb0ES3_N6thrust23THRUST_200600_302600_NS6detail15normal_iteratorINS9_10device_ptrIsEEEESE_SE_sNS9_4plusIvEENS9_8equal_toIsEEsEE10hipError_tPvRmT2_T3_T4_T5_mT6_T7_P12ihipStream_tbENKUlT_T0_E_clISt17integral_constantIbLb0EESZ_EEDaSU_SV_EUlSU_E_NS1_11comp_targetILNS1_3genE5ELNS1_11target_archE942ELNS1_3gpuE9ELNS1_3repE0EEENS1_30default_config_static_selectorELNS0_4arch9wavefront6targetE0EEEvT1_: ; @_ZN7rocprim17ROCPRIM_400000_NS6detail17trampoline_kernelINS0_14default_configENS1_27scan_by_key_config_selectorIssEEZZNS1_16scan_by_key_implILNS1_25lookback_scan_determinismE0ELb0ES3_N6thrust23THRUST_200600_302600_NS6detail15normal_iteratorINS9_10device_ptrIsEEEESE_SE_sNS9_4plusIvEENS9_8equal_toIsEEsEE10hipError_tPvRmT2_T3_T4_T5_mT6_T7_P12ihipStream_tbENKUlT_T0_E_clISt17integral_constantIbLb0EESZ_EEDaSU_SV_EUlSU_E_NS1_11comp_targetILNS1_3genE5ELNS1_11target_archE942ELNS1_3gpuE9ELNS1_3repE0EEENS1_30default_config_static_selectorELNS0_4arch9wavefront6targetE0EEEvT1_
; %bb.0:
	.section	.rodata,"a",@progbits
	.p2align	6, 0x0
	.amdhsa_kernel _ZN7rocprim17ROCPRIM_400000_NS6detail17trampoline_kernelINS0_14default_configENS1_27scan_by_key_config_selectorIssEEZZNS1_16scan_by_key_implILNS1_25lookback_scan_determinismE0ELb0ES3_N6thrust23THRUST_200600_302600_NS6detail15normal_iteratorINS9_10device_ptrIsEEEESE_SE_sNS9_4plusIvEENS9_8equal_toIsEEsEE10hipError_tPvRmT2_T3_T4_T5_mT6_T7_P12ihipStream_tbENKUlT_T0_E_clISt17integral_constantIbLb0EESZ_EEDaSU_SV_EUlSU_E_NS1_11comp_targetILNS1_3genE5ELNS1_11target_archE942ELNS1_3gpuE9ELNS1_3repE0EEENS1_30default_config_static_selectorELNS0_4arch9wavefront6targetE0EEEvT1_
		.amdhsa_group_segment_fixed_size 0
		.amdhsa_private_segment_fixed_size 0
		.amdhsa_kernarg_size 112
		.amdhsa_user_sgpr_count 6
		.amdhsa_user_sgpr_private_segment_buffer 1
		.amdhsa_user_sgpr_dispatch_ptr 0
		.amdhsa_user_sgpr_queue_ptr 0
		.amdhsa_user_sgpr_kernarg_segment_ptr 1
		.amdhsa_user_sgpr_dispatch_id 0
		.amdhsa_user_sgpr_flat_scratch_init 0
		.amdhsa_user_sgpr_private_segment_size 0
		.amdhsa_wavefront_size32 1
		.amdhsa_uses_dynamic_stack 0
		.amdhsa_system_sgpr_private_segment_wavefront_offset 0
		.amdhsa_system_sgpr_workgroup_id_x 1
		.amdhsa_system_sgpr_workgroup_id_y 0
		.amdhsa_system_sgpr_workgroup_id_z 0
		.amdhsa_system_sgpr_workgroup_info 0
		.amdhsa_system_vgpr_workitem_id 0
		.amdhsa_next_free_vgpr 1
		.amdhsa_next_free_sgpr 1
		.amdhsa_reserve_vcc 0
		.amdhsa_reserve_flat_scratch 0
		.amdhsa_float_round_mode_32 0
		.amdhsa_float_round_mode_16_64 0
		.amdhsa_float_denorm_mode_32 3
		.amdhsa_float_denorm_mode_16_64 3
		.amdhsa_dx10_clamp 1
		.amdhsa_ieee_mode 1
		.amdhsa_fp16_overflow 0
		.amdhsa_workgroup_processor_mode 1
		.amdhsa_memory_ordered 1
		.amdhsa_forward_progress 1
		.amdhsa_shared_vgpr_count 0
		.amdhsa_exception_fp_ieee_invalid_op 0
		.amdhsa_exception_fp_denorm_src 0
		.amdhsa_exception_fp_ieee_div_zero 0
		.amdhsa_exception_fp_ieee_overflow 0
		.amdhsa_exception_fp_ieee_underflow 0
		.amdhsa_exception_fp_ieee_inexact 0
		.amdhsa_exception_int_div_zero 0
	.end_amdhsa_kernel
	.section	.text._ZN7rocprim17ROCPRIM_400000_NS6detail17trampoline_kernelINS0_14default_configENS1_27scan_by_key_config_selectorIssEEZZNS1_16scan_by_key_implILNS1_25lookback_scan_determinismE0ELb0ES3_N6thrust23THRUST_200600_302600_NS6detail15normal_iteratorINS9_10device_ptrIsEEEESE_SE_sNS9_4plusIvEENS9_8equal_toIsEEsEE10hipError_tPvRmT2_T3_T4_T5_mT6_T7_P12ihipStream_tbENKUlT_T0_E_clISt17integral_constantIbLb0EESZ_EEDaSU_SV_EUlSU_E_NS1_11comp_targetILNS1_3genE5ELNS1_11target_archE942ELNS1_3gpuE9ELNS1_3repE0EEENS1_30default_config_static_selectorELNS0_4arch9wavefront6targetE0EEEvT1_,"axG",@progbits,_ZN7rocprim17ROCPRIM_400000_NS6detail17trampoline_kernelINS0_14default_configENS1_27scan_by_key_config_selectorIssEEZZNS1_16scan_by_key_implILNS1_25lookback_scan_determinismE0ELb0ES3_N6thrust23THRUST_200600_302600_NS6detail15normal_iteratorINS9_10device_ptrIsEEEESE_SE_sNS9_4plusIvEENS9_8equal_toIsEEsEE10hipError_tPvRmT2_T3_T4_T5_mT6_T7_P12ihipStream_tbENKUlT_T0_E_clISt17integral_constantIbLb0EESZ_EEDaSU_SV_EUlSU_E_NS1_11comp_targetILNS1_3genE5ELNS1_11target_archE942ELNS1_3gpuE9ELNS1_3repE0EEENS1_30default_config_static_selectorELNS0_4arch9wavefront6targetE0EEEvT1_,comdat
.Lfunc_end319:
	.size	_ZN7rocprim17ROCPRIM_400000_NS6detail17trampoline_kernelINS0_14default_configENS1_27scan_by_key_config_selectorIssEEZZNS1_16scan_by_key_implILNS1_25lookback_scan_determinismE0ELb0ES3_N6thrust23THRUST_200600_302600_NS6detail15normal_iteratorINS9_10device_ptrIsEEEESE_SE_sNS9_4plusIvEENS9_8equal_toIsEEsEE10hipError_tPvRmT2_T3_T4_T5_mT6_T7_P12ihipStream_tbENKUlT_T0_E_clISt17integral_constantIbLb0EESZ_EEDaSU_SV_EUlSU_E_NS1_11comp_targetILNS1_3genE5ELNS1_11target_archE942ELNS1_3gpuE9ELNS1_3repE0EEENS1_30default_config_static_selectorELNS0_4arch9wavefront6targetE0EEEvT1_, .Lfunc_end319-_ZN7rocprim17ROCPRIM_400000_NS6detail17trampoline_kernelINS0_14default_configENS1_27scan_by_key_config_selectorIssEEZZNS1_16scan_by_key_implILNS1_25lookback_scan_determinismE0ELb0ES3_N6thrust23THRUST_200600_302600_NS6detail15normal_iteratorINS9_10device_ptrIsEEEESE_SE_sNS9_4plusIvEENS9_8equal_toIsEEsEE10hipError_tPvRmT2_T3_T4_T5_mT6_T7_P12ihipStream_tbENKUlT_T0_E_clISt17integral_constantIbLb0EESZ_EEDaSU_SV_EUlSU_E_NS1_11comp_targetILNS1_3genE5ELNS1_11target_archE942ELNS1_3gpuE9ELNS1_3repE0EEENS1_30default_config_static_selectorELNS0_4arch9wavefront6targetE0EEEvT1_
                                        ; -- End function
	.set _ZN7rocprim17ROCPRIM_400000_NS6detail17trampoline_kernelINS0_14default_configENS1_27scan_by_key_config_selectorIssEEZZNS1_16scan_by_key_implILNS1_25lookback_scan_determinismE0ELb0ES3_N6thrust23THRUST_200600_302600_NS6detail15normal_iteratorINS9_10device_ptrIsEEEESE_SE_sNS9_4plusIvEENS9_8equal_toIsEEsEE10hipError_tPvRmT2_T3_T4_T5_mT6_T7_P12ihipStream_tbENKUlT_T0_E_clISt17integral_constantIbLb0EESZ_EEDaSU_SV_EUlSU_E_NS1_11comp_targetILNS1_3genE5ELNS1_11target_archE942ELNS1_3gpuE9ELNS1_3repE0EEENS1_30default_config_static_selectorELNS0_4arch9wavefront6targetE0EEEvT1_.num_vgpr, 0
	.set _ZN7rocprim17ROCPRIM_400000_NS6detail17trampoline_kernelINS0_14default_configENS1_27scan_by_key_config_selectorIssEEZZNS1_16scan_by_key_implILNS1_25lookback_scan_determinismE0ELb0ES3_N6thrust23THRUST_200600_302600_NS6detail15normal_iteratorINS9_10device_ptrIsEEEESE_SE_sNS9_4plusIvEENS9_8equal_toIsEEsEE10hipError_tPvRmT2_T3_T4_T5_mT6_T7_P12ihipStream_tbENKUlT_T0_E_clISt17integral_constantIbLb0EESZ_EEDaSU_SV_EUlSU_E_NS1_11comp_targetILNS1_3genE5ELNS1_11target_archE942ELNS1_3gpuE9ELNS1_3repE0EEENS1_30default_config_static_selectorELNS0_4arch9wavefront6targetE0EEEvT1_.num_agpr, 0
	.set _ZN7rocprim17ROCPRIM_400000_NS6detail17trampoline_kernelINS0_14default_configENS1_27scan_by_key_config_selectorIssEEZZNS1_16scan_by_key_implILNS1_25lookback_scan_determinismE0ELb0ES3_N6thrust23THRUST_200600_302600_NS6detail15normal_iteratorINS9_10device_ptrIsEEEESE_SE_sNS9_4plusIvEENS9_8equal_toIsEEsEE10hipError_tPvRmT2_T3_T4_T5_mT6_T7_P12ihipStream_tbENKUlT_T0_E_clISt17integral_constantIbLb0EESZ_EEDaSU_SV_EUlSU_E_NS1_11comp_targetILNS1_3genE5ELNS1_11target_archE942ELNS1_3gpuE9ELNS1_3repE0EEENS1_30default_config_static_selectorELNS0_4arch9wavefront6targetE0EEEvT1_.numbered_sgpr, 0
	.set _ZN7rocprim17ROCPRIM_400000_NS6detail17trampoline_kernelINS0_14default_configENS1_27scan_by_key_config_selectorIssEEZZNS1_16scan_by_key_implILNS1_25lookback_scan_determinismE0ELb0ES3_N6thrust23THRUST_200600_302600_NS6detail15normal_iteratorINS9_10device_ptrIsEEEESE_SE_sNS9_4plusIvEENS9_8equal_toIsEEsEE10hipError_tPvRmT2_T3_T4_T5_mT6_T7_P12ihipStream_tbENKUlT_T0_E_clISt17integral_constantIbLb0EESZ_EEDaSU_SV_EUlSU_E_NS1_11comp_targetILNS1_3genE5ELNS1_11target_archE942ELNS1_3gpuE9ELNS1_3repE0EEENS1_30default_config_static_selectorELNS0_4arch9wavefront6targetE0EEEvT1_.num_named_barrier, 0
	.set _ZN7rocprim17ROCPRIM_400000_NS6detail17trampoline_kernelINS0_14default_configENS1_27scan_by_key_config_selectorIssEEZZNS1_16scan_by_key_implILNS1_25lookback_scan_determinismE0ELb0ES3_N6thrust23THRUST_200600_302600_NS6detail15normal_iteratorINS9_10device_ptrIsEEEESE_SE_sNS9_4plusIvEENS9_8equal_toIsEEsEE10hipError_tPvRmT2_T3_T4_T5_mT6_T7_P12ihipStream_tbENKUlT_T0_E_clISt17integral_constantIbLb0EESZ_EEDaSU_SV_EUlSU_E_NS1_11comp_targetILNS1_3genE5ELNS1_11target_archE942ELNS1_3gpuE9ELNS1_3repE0EEENS1_30default_config_static_selectorELNS0_4arch9wavefront6targetE0EEEvT1_.private_seg_size, 0
	.set _ZN7rocprim17ROCPRIM_400000_NS6detail17trampoline_kernelINS0_14default_configENS1_27scan_by_key_config_selectorIssEEZZNS1_16scan_by_key_implILNS1_25lookback_scan_determinismE0ELb0ES3_N6thrust23THRUST_200600_302600_NS6detail15normal_iteratorINS9_10device_ptrIsEEEESE_SE_sNS9_4plusIvEENS9_8equal_toIsEEsEE10hipError_tPvRmT2_T3_T4_T5_mT6_T7_P12ihipStream_tbENKUlT_T0_E_clISt17integral_constantIbLb0EESZ_EEDaSU_SV_EUlSU_E_NS1_11comp_targetILNS1_3genE5ELNS1_11target_archE942ELNS1_3gpuE9ELNS1_3repE0EEENS1_30default_config_static_selectorELNS0_4arch9wavefront6targetE0EEEvT1_.uses_vcc, 0
	.set _ZN7rocprim17ROCPRIM_400000_NS6detail17trampoline_kernelINS0_14default_configENS1_27scan_by_key_config_selectorIssEEZZNS1_16scan_by_key_implILNS1_25lookback_scan_determinismE0ELb0ES3_N6thrust23THRUST_200600_302600_NS6detail15normal_iteratorINS9_10device_ptrIsEEEESE_SE_sNS9_4plusIvEENS9_8equal_toIsEEsEE10hipError_tPvRmT2_T3_T4_T5_mT6_T7_P12ihipStream_tbENKUlT_T0_E_clISt17integral_constantIbLb0EESZ_EEDaSU_SV_EUlSU_E_NS1_11comp_targetILNS1_3genE5ELNS1_11target_archE942ELNS1_3gpuE9ELNS1_3repE0EEENS1_30default_config_static_selectorELNS0_4arch9wavefront6targetE0EEEvT1_.uses_flat_scratch, 0
	.set _ZN7rocprim17ROCPRIM_400000_NS6detail17trampoline_kernelINS0_14default_configENS1_27scan_by_key_config_selectorIssEEZZNS1_16scan_by_key_implILNS1_25lookback_scan_determinismE0ELb0ES3_N6thrust23THRUST_200600_302600_NS6detail15normal_iteratorINS9_10device_ptrIsEEEESE_SE_sNS9_4plusIvEENS9_8equal_toIsEEsEE10hipError_tPvRmT2_T3_T4_T5_mT6_T7_P12ihipStream_tbENKUlT_T0_E_clISt17integral_constantIbLb0EESZ_EEDaSU_SV_EUlSU_E_NS1_11comp_targetILNS1_3genE5ELNS1_11target_archE942ELNS1_3gpuE9ELNS1_3repE0EEENS1_30default_config_static_selectorELNS0_4arch9wavefront6targetE0EEEvT1_.has_dyn_sized_stack, 0
	.set _ZN7rocprim17ROCPRIM_400000_NS6detail17trampoline_kernelINS0_14default_configENS1_27scan_by_key_config_selectorIssEEZZNS1_16scan_by_key_implILNS1_25lookback_scan_determinismE0ELb0ES3_N6thrust23THRUST_200600_302600_NS6detail15normal_iteratorINS9_10device_ptrIsEEEESE_SE_sNS9_4plusIvEENS9_8equal_toIsEEsEE10hipError_tPvRmT2_T3_T4_T5_mT6_T7_P12ihipStream_tbENKUlT_T0_E_clISt17integral_constantIbLb0EESZ_EEDaSU_SV_EUlSU_E_NS1_11comp_targetILNS1_3genE5ELNS1_11target_archE942ELNS1_3gpuE9ELNS1_3repE0EEENS1_30default_config_static_selectorELNS0_4arch9wavefront6targetE0EEEvT1_.has_recursion, 0
	.set _ZN7rocprim17ROCPRIM_400000_NS6detail17trampoline_kernelINS0_14default_configENS1_27scan_by_key_config_selectorIssEEZZNS1_16scan_by_key_implILNS1_25lookback_scan_determinismE0ELb0ES3_N6thrust23THRUST_200600_302600_NS6detail15normal_iteratorINS9_10device_ptrIsEEEESE_SE_sNS9_4plusIvEENS9_8equal_toIsEEsEE10hipError_tPvRmT2_T3_T4_T5_mT6_T7_P12ihipStream_tbENKUlT_T0_E_clISt17integral_constantIbLb0EESZ_EEDaSU_SV_EUlSU_E_NS1_11comp_targetILNS1_3genE5ELNS1_11target_archE942ELNS1_3gpuE9ELNS1_3repE0EEENS1_30default_config_static_selectorELNS0_4arch9wavefront6targetE0EEEvT1_.has_indirect_call, 0
	.section	.AMDGPU.csdata,"",@progbits
; Kernel info:
; codeLenInByte = 0
; TotalNumSgprs: 0
; NumVgprs: 0
; ScratchSize: 0
; MemoryBound: 0
; FloatMode: 240
; IeeeMode: 1
; LDSByteSize: 0 bytes/workgroup (compile time only)
; SGPRBlocks: 0
; VGPRBlocks: 0
; NumSGPRsForWavesPerEU: 1
; NumVGPRsForWavesPerEU: 1
; Occupancy: 16
; WaveLimiterHint : 0
; COMPUTE_PGM_RSRC2:SCRATCH_EN: 0
; COMPUTE_PGM_RSRC2:USER_SGPR: 6
; COMPUTE_PGM_RSRC2:TRAP_HANDLER: 0
; COMPUTE_PGM_RSRC2:TGID_X_EN: 1
; COMPUTE_PGM_RSRC2:TGID_Y_EN: 0
; COMPUTE_PGM_RSRC2:TGID_Z_EN: 0
; COMPUTE_PGM_RSRC2:TIDIG_COMP_CNT: 0
	.section	.text._ZN7rocprim17ROCPRIM_400000_NS6detail17trampoline_kernelINS0_14default_configENS1_27scan_by_key_config_selectorIssEEZZNS1_16scan_by_key_implILNS1_25lookback_scan_determinismE0ELb0ES3_N6thrust23THRUST_200600_302600_NS6detail15normal_iteratorINS9_10device_ptrIsEEEESE_SE_sNS9_4plusIvEENS9_8equal_toIsEEsEE10hipError_tPvRmT2_T3_T4_T5_mT6_T7_P12ihipStream_tbENKUlT_T0_E_clISt17integral_constantIbLb0EESZ_EEDaSU_SV_EUlSU_E_NS1_11comp_targetILNS1_3genE4ELNS1_11target_archE910ELNS1_3gpuE8ELNS1_3repE0EEENS1_30default_config_static_selectorELNS0_4arch9wavefront6targetE0EEEvT1_,"axG",@progbits,_ZN7rocprim17ROCPRIM_400000_NS6detail17trampoline_kernelINS0_14default_configENS1_27scan_by_key_config_selectorIssEEZZNS1_16scan_by_key_implILNS1_25lookback_scan_determinismE0ELb0ES3_N6thrust23THRUST_200600_302600_NS6detail15normal_iteratorINS9_10device_ptrIsEEEESE_SE_sNS9_4plusIvEENS9_8equal_toIsEEsEE10hipError_tPvRmT2_T3_T4_T5_mT6_T7_P12ihipStream_tbENKUlT_T0_E_clISt17integral_constantIbLb0EESZ_EEDaSU_SV_EUlSU_E_NS1_11comp_targetILNS1_3genE4ELNS1_11target_archE910ELNS1_3gpuE8ELNS1_3repE0EEENS1_30default_config_static_selectorELNS0_4arch9wavefront6targetE0EEEvT1_,comdat
	.protected	_ZN7rocprim17ROCPRIM_400000_NS6detail17trampoline_kernelINS0_14default_configENS1_27scan_by_key_config_selectorIssEEZZNS1_16scan_by_key_implILNS1_25lookback_scan_determinismE0ELb0ES3_N6thrust23THRUST_200600_302600_NS6detail15normal_iteratorINS9_10device_ptrIsEEEESE_SE_sNS9_4plusIvEENS9_8equal_toIsEEsEE10hipError_tPvRmT2_T3_T4_T5_mT6_T7_P12ihipStream_tbENKUlT_T0_E_clISt17integral_constantIbLb0EESZ_EEDaSU_SV_EUlSU_E_NS1_11comp_targetILNS1_3genE4ELNS1_11target_archE910ELNS1_3gpuE8ELNS1_3repE0EEENS1_30default_config_static_selectorELNS0_4arch9wavefront6targetE0EEEvT1_ ; -- Begin function _ZN7rocprim17ROCPRIM_400000_NS6detail17trampoline_kernelINS0_14default_configENS1_27scan_by_key_config_selectorIssEEZZNS1_16scan_by_key_implILNS1_25lookback_scan_determinismE0ELb0ES3_N6thrust23THRUST_200600_302600_NS6detail15normal_iteratorINS9_10device_ptrIsEEEESE_SE_sNS9_4plusIvEENS9_8equal_toIsEEsEE10hipError_tPvRmT2_T3_T4_T5_mT6_T7_P12ihipStream_tbENKUlT_T0_E_clISt17integral_constantIbLb0EESZ_EEDaSU_SV_EUlSU_E_NS1_11comp_targetILNS1_3genE4ELNS1_11target_archE910ELNS1_3gpuE8ELNS1_3repE0EEENS1_30default_config_static_selectorELNS0_4arch9wavefront6targetE0EEEvT1_
	.globl	_ZN7rocprim17ROCPRIM_400000_NS6detail17trampoline_kernelINS0_14default_configENS1_27scan_by_key_config_selectorIssEEZZNS1_16scan_by_key_implILNS1_25lookback_scan_determinismE0ELb0ES3_N6thrust23THRUST_200600_302600_NS6detail15normal_iteratorINS9_10device_ptrIsEEEESE_SE_sNS9_4plusIvEENS9_8equal_toIsEEsEE10hipError_tPvRmT2_T3_T4_T5_mT6_T7_P12ihipStream_tbENKUlT_T0_E_clISt17integral_constantIbLb0EESZ_EEDaSU_SV_EUlSU_E_NS1_11comp_targetILNS1_3genE4ELNS1_11target_archE910ELNS1_3gpuE8ELNS1_3repE0EEENS1_30default_config_static_selectorELNS0_4arch9wavefront6targetE0EEEvT1_
	.p2align	8
	.type	_ZN7rocprim17ROCPRIM_400000_NS6detail17trampoline_kernelINS0_14default_configENS1_27scan_by_key_config_selectorIssEEZZNS1_16scan_by_key_implILNS1_25lookback_scan_determinismE0ELb0ES3_N6thrust23THRUST_200600_302600_NS6detail15normal_iteratorINS9_10device_ptrIsEEEESE_SE_sNS9_4plusIvEENS9_8equal_toIsEEsEE10hipError_tPvRmT2_T3_T4_T5_mT6_T7_P12ihipStream_tbENKUlT_T0_E_clISt17integral_constantIbLb0EESZ_EEDaSU_SV_EUlSU_E_NS1_11comp_targetILNS1_3genE4ELNS1_11target_archE910ELNS1_3gpuE8ELNS1_3repE0EEENS1_30default_config_static_selectorELNS0_4arch9wavefront6targetE0EEEvT1_,@function
_ZN7rocprim17ROCPRIM_400000_NS6detail17trampoline_kernelINS0_14default_configENS1_27scan_by_key_config_selectorIssEEZZNS1_16scan_by_key_implILNS1_25lookback_scan_determinismE0ELb0ES3_N6thrust23THRUST_200600_302600_NS6detail15normal_iteratorINS9_10device_ptrIsEEEESE_SE_sNS9_4plusIvEENS9_8equal_toIsEEsEE10hipError_tPvRmT2_T3_T4_T5_mT6_T7_P12ihipStream_tbENKUlT_T0_E_clISt17integral_constantIbLb0EESZ_EEDaSU_SV_EUlSU_E_NS1_11comp_targetILNS1_3genE4ELNS1_11target_archE910ELNS1_3gpuE8ELNS1_3repE0EEENS1_30default_config_static_selectorELNS0_4arch9wavefront6targetE0EEEvT1_: ; @_ZN7rocprim17ROCPRIM_400000_NS6detail17trampoline_kernelINS0_14default_configENS1_27scan_by_key_config_selectorIssEEZZNS1_16scan_by_key_implILNS1_25lookback_scan_determinismE0ELb0ES3_N6thrust23THRUST_200600_302600_NS6detail15normal_iteratorINS9_10device_ptrIsEEEESE_SE_sNS9_4plusIvEENS9_8equal_toIsEEsEE10hipError_tPvRmT2_T3_T4_T5_mT6_T7_P12ihipStream_tbENKUlT_T0_E_clISt17integral_constantIbLb0EESZ_EEDaSU_SV_EUlSU_E_NS1_11comp_targetILNS1_3genE4ELNS1_11target_archE910ELNS1_3gpuE8ELNS1_3repE0EEENS1_30default_config_static_selectorELNS0_4arch9wavefront6targetE0EEEvT1_
; %bb.0:
	.section	.rodata,"a",@progbits
	.p2align	6, 0x0
	.amdhsa_kernel _ZN7rocprim17ROCPRIM_400000_NS6detail17trampoline_kernelINS0_14default_configENS1_27scan_by_key_config_selectorIssEEZZNS1_16scan_by_key_implILNS1_25lookback_scan_determinismE0ELb0ES3_N6thrust23THRUST_200600_302600_NS6detail15normal_iteratorINS9_10device_ptrIsEEEESE_SE_sNS9_4plusIvEENS9_8equal_toIsEEsEE10hipError_tPvRmT2_T3_T4_T5_mT6_T7_P12ihipStream_tbENKUlT_T0_E_clISt17integral_constantIbLb0EESZ_EEDaSU_SV_EUlSU_E_NS1_11comp_targetILNS1_3genE4ELNS1_11target_archE910ELNS1_3gpuE8ELNS1_3repE0EEENS1_30default_config_static_selectorELNS0_4arch9wavefront6targetE0EEEvT1_
		.amdhsa_group_segment_fixed_size 0
		.amdhsa_private_segment_fixed_size 0
		.amdhsa_kernarg_size 112
		.amdhsa_user_sgpr_count 6
		.amdhsa_user_sgpr_private_segment_buffer 1
		.amdhsa_user_sgpr_dispatch_ptr 0
		.amdhsa_user_sgpr_queue_ptr 0
		.amdhsa_user_sgpr_kernarg_segment_ptr 1
		.amdhsa_user_sgpr_dispatch_id 0
		.amdhsa_user_sgpr_flat_scratch_init 0
		.amdhsa_user_sgpr_private_segment_size 0
		.amdhsa_wavefront_size32 1
		.amdhsa_uses_dynamic_stack 0
		.amdhsa_system_sgpr_private_segment_wavefront_offset 0
		.amdhsa_system_sgpr_workgroup_id_x 1
		.amdhsa_system_sgpr_workgroup_id_y 0
		.amdhsa_system_sgpr_workgroup_id_z 0
		.amdhsa_system_sgpr_workgroup_info 0
		.amdhsa_system_vgpr_workitem_id 0
		.amdhsa_next_free_vgpr 1
		.amdhsa_next_free_sgpr 1
		.amdhsa_reserve_vcc 0
		.amdhsa_reserve_flat_scratch 0
		.amdhsa_float_round_mode_32 0
		.amdhsa_float_round_mode_16_64 0
		.amdhsa_float_denorm_mode_32 3
		.amdhsa_float_denorm_mode_16_64 3
		.amdhsa_dx10_clamp 1
		.amdhsa_ieee_mode 1
		.amdhsa_fp16_overflow 0
		.amdhsa_workgroup_processor_mode 1
		.amdhsa_memory_ordered 1
		.amdhsa_forward_progress 1
		.amdhsa_shared_vgpr_count 0
		.amdhsa_exception_fp_ieee_invalid_op 0
		.amdhsa_exception_fp_denorm_src 0
		.amdhsa_exception_fp_ieee_div_zero 0
		.amdhsa_exception_fp_ieee_overflow 0
		.amdhsa_exception_fp_ieee_underflow 0
		.amdhsa_exception_fp_ieee_inexact 0
		.amdhsa_exception_int_div_zero 0
	.end_amdhsa_kernel
	.section	.text._ZN7rocprim17ROCPRIM_400000_NS6detail17trampoline_kernelINS0_14default_configENS1_27scan_by_key_config_selectorIssEEZZNS1_16scan_by_key_implILNS1_25lookback_scan_determinismE0ELb0ES3_N6thrust23THRUST_200600_302600_NS6detail15normal_iteratorINS9_10device_ptrIsEEEESE_SE_sNS9_4plusIvEENS9_8equal_toIsEEsEE10hipError_tPvRmT2_T3_T4_T5_mT6_T7_P12ihipStream_tbENKUlT_T0_E_clISt17integral_constantIbLb0EESZ_EEDaSU_SV_EUlSU_E_NS1_11comp_targetILNS1_3genE4ELNS1_11target_archE910ELNS1_3gpuE8ELNS1_3repE0EEENS1_30default_config_static_selectorELNS0_4arch9wavefront6targetE0EEEvT1_,"axG",@progbits,_ZN7rocprim17ROCPRIM_400000_NS6detail17trampoline_kernelINS0_14default_configENS1_27scan_by_key_config_selectorIssEEZZNS1_16scan_by_key_implILNS1_25lookback_scan_determinismE0ELb0ES3_N6thrust23THRUST_200600_302600_NS6detail15normal_iteratorINS9_10device_ptrIsEEEESE_SE_sNS9_4plusIvEENS9_8equal_toIsEEsEE10hipError_tPvRmT2_T3_T4_T5_mT6_T7_P12ihipStream_tbENKUlT_T0_E_clISt17integral_constantIbLb0EESZ_EEDaSU_SV_EUlSU_E_NS1_11comp_targetILNS1_3genE4ELNS1_11target_archE910ELNS1_3gpuE8ELNS1_3repE0EEENS1_30default_config_static_selectorELNS0_4arch9wavefront6targetE0EEEvT1_,comdat
.Lfunc_end320:
	.size	_ZN7rocprim17ROCPRIM_400000_NS6detail17trampoline_kernelINS0_14default_configENS1_27scan_by_key_config_selectorIssEEZZNS1_16scan_by_key_implILNS1_25lookback_scan_determinismE0ELb0ES3_N6thrust23THRUST_200600_302600_NS6detail15normal_iteratorINS9_10device_ptrIsEEEESE_SE_sNS9_4plusIvEENS9_8equal_toIsEEsEE10hipError_tPvRmT2_T3_T4_T5_mT6_T7_P12ihipStream_tbENKUlT_T0_E_clISt17integral_constantIbLb0EESZ_EEDaSU_SV_EUlSU_E_NS1_11comp_targetILNS1_3genE4ELNS1_11target_archE910ELNS1_3gpuE8ELNS1_3repE0EEENS1_30default_config_static_selectorELNS0_4arch9wavefront6targetE0EEEvT1_, .Lfunc_end320-_ZN7rocprim17ROCPRIM_400000_NS6detail17trampoline_kernelINS0_14default_configENS1_27scan_by_key_config_selectorIssEEZZNS1_16scan_by_key_implILNS1_25lookback_scan_determinismE0ELb0ES3_N6thrust23THRUST_200600_302600_NS6detail15normal_iteratorINS9_10device_ptrIsEEEESE_SE_sNS9_4plusIvEENS9_8equal_toIsEEsEE10hipError_tPvRmT2_T3_T4_T5_mT6_T7_P12ihipStream_tbENKUlT_T0_E_clISt17integral_constantIbLb0EESZ_EEDaSU_SV_EUlSU_E_NS1_11comp_targetILNS1_3genE4ELNS1_11target_archE910ELNS1_3gpuE8ELNS1_3repE0EEENS1_30default_config_static_selectorELNS0_4arch9wavefront6targetE0EEEvT1_
                                        ; -- End function
	.set _ZN7rocprim17ROCPRIM_400000_NS6detail17trampoline_kernelINS0_14default_configENS1_27scan_by_key_config_selectorIssEEZZNS1_16scan_by_key_implILNS1_25lookback_scan_determinismE0ELb0ES3_N6thrust23THRUST_200600_302600_NS6detail15normal_iteratorINS9_10device_ptrIsEEEESE_SE_sNS9_4plusIvEENS9_8equal_toIsEEsEE10hipError_tPvRmT2_T3_T4_T5_mT6_T7_P12ihipStream_tbENKUlT_T0_E_clISt17integral_constantIbLb0EESZ_EEDaSU_SV_EUlSU_E_NS1_11comp_targetILNS1_3genE4ELNS1_11target_archE910ELNS1_3gpuE8ELNS1_3repE0EEENS1_30default_config_static_selectorELNS0_4arch9wavefront6targetE0EEEvT1_.num_vgpr, 0
	.set _ZN7rocprim17ROCPRIM_400000_NS6detail17trampoline_kernelINS0_14default_configENS1_27scan_by_key_config_selectorIssEEZZNS1_16scan_by_key_implILNS1_25lookback_scan_determinismE0ELb0ES3_N6thrust23THRUST_200600_302600_NS6detail15normal_iteratorINS9_10device_ptrIsEEEESE_SE_sNS9_4plusIvEENS9_8equal_toIsEEsEE10hipError_tPvRmT2_T3_T4_T5_mT6_T7_P12ihipStream_tbENKUlT_T0_E_clISt17integral_constantIbLb0EESZ_EEDaSU_SV_EUlSU_E_NS1_11comp_targetILNS1_3genE4ELNS1_11target_archE910ELNS1_3gpuE8ELNS1_3repE0EEENS1_30default_config_static_selectorELNS0_4arch9wavefront6targetE0EEEvT1_.num_agpr, 0
	.set _ZN7rocprim17ROCPRIM_400000_NS6detail17trampoline_kernelINS0_14default_configENS1_27scan_by_key_config_selectorIssEEZZNS1_16scan_by_key_implILNS1_25lookback_scan_determinismE0ELb0ES3_N6thrust23THRUST_200600_302600_NS6detail15normal_iteratorINS9_10device_ptrIsEEEESE_SE_sNS9_4plusIvEENS9_8equal_toIsEEsEE10hipError_tPvRmT2_T3_T4_T5_mT6_T7_P12ihipStream_tbENKUlT_T0_E_clISt17integral_constantIbLb0EESZ_EEDaSU_SV_EUlSU_E_NS1_11comp_targetILNS1_3genE4ELNS1_11target_archE910ELNS1_3gpuE8ELNS1_3repE0EEENS1_30default_config_static_selectorELNS0_4arch9wavefront6targetE0EEEvT1_.numbered_sgpr, 0
	.set _ZN7rocprim17ROCPRIM_400000_NS6detail17trampoline_kernelINS0_14default_configENS1_27scan_by_key_config_selectorIssEEZZNS1_16scan_by_key_implILNS1_25lookback_scan_determinismE0ELb0ES3_N6thrust23THRUST_200600_302600_NS6detail15normal_iteratorINS9_10device_ptrIsEEEESE_SE_sNS9_4plusIvEENS9_8equal_toIsEEsEE10hipError_tPvRmT2_T3_T4_T5_mT6_T7_P12ihipStream_tbENKUlT_T0_E_clISt17integral_constantIbLb0EESZ_EEDaSU_SV_EUlSU_E_NS1_11comp_targetILNS1_3genE4ELNS1_11target_archE910ELNS1_3gpuE8ELNS1_3repE0EEENS1_30default_config_static_selectorELNS0_4arch9wavefront6targetE0EEEvT1_.num_named_barrier, 0
	.set _ZN7rocprim17ROCPRIM_400000_NS6detail17trampoline_kernelINS0_14default_configENS1_27scan_by_key_config_selectorIssEEZZNS1_16scan_by_key_implILNS1_25lookback_scan_determinismE0ELb0ES3_N6thrust23THRUST_200600_302600_NS6detail15normal_iteratorINS9_10device_ptrIsEEEESE_SE_sNS9_4plusIvEENS9_8equal_toIsEEsEE10hipError_tPvRmT2_T3_T4_T5_mT6_T7_P12ihipStream_tbENKUlT_T0_E_clISt17integral_constantIbLb0EESZ_EEDaSU_SV_EUlSU_E_NS1_11comp_targetILNS1_3genE4ELNS1_11target_archE910ELNS1_3gpuE8ELNS1_3repE0EEENS1_30default_config_static_selectorELNS0_4arch9wavefront6targetE0EEEvT1_.private_seg_size, 0
	.set _ZN7rocprim17ROCPRIM_400000_NS6detail17trampoline_kernelINS0_14default_configENS1_27scan_by_key_config_selectorIssEEZZNS1_16scan_by_key_implILNS1_25lookback_scan_determinismE0ELb0ES3_N6thrust23THRUST_200600_302600_NS6detail15normal_iteratorINS9_10device_ptrIsEEEESE_SE_sNS9_4plusIvEENS9_8equal_toIsEEsEE10hipError_tPvRmT2_T3_T4_T5_mT6_T7_P12ihipStream_tbENKUlT_T0_E_clISt17integral_constantIbLb0EESZ_EEDaSU_SV_EUlSU_E_NS1_11comp_targetILNS1_3genE4ELNS1_11target_archE910ELNS1_3gpuE8ELNS1_3repE0EEENS1_30default_config_static_selectorELNS0_4arch9wavefront6targetE0EEEvT1_.uses_vcc, 0
	.set _ZN7rocprim17ROCPRIM_400000_NS6detail17trampoline_kernelINS0_14default_configENS1_27scan_by_key_config_selectorIssEEZZNS1_16scan_by_key_implILNS1_25lookback_scan_determinismE0ELb0ES3_N6thrust23THRUST_200600_302600_NS6detail15normal_iteratorINS9_10device_ptrIsEEEESE_SE_sNS9_4plusIvEENS9_8equal_toIsEEsEE10hipError_tPvRmT2_T3_T4_T5_mT6_T7_P12ihipStream_tbENKUlT_T0_E_clISt17integral_constantIbLb0EESZ_EEDaSU_SV_EUlSU_E_NS1_11comp_targetILNS1_3genE4ELNS1_11target_archE910ELNS1_3gpuE8ELNS1_3repE0EEENS1_30default_config_static_selectorELNS0_4arch9wavefront6targetE0EEEvT1_.uses_flat_scratch, 0
	.set _ZN7rocprim17ROCPRIM_400000_NS6detail17trampoline_kernelINS0_14default_configENS1_27scan_by_key_config_selectorIssEEZZNS1_16scan_by_key_implILNS1_25lookback_scan_determinismE0ELb0ES3_N6thrust23THRUST_200600_302600_NS6detail15normal_iteratorINS9_10device_ptrIsEEEESE_SE_sNS9_4plusIvEENS9_8equal_toIsEEsEE10hipError_tPvRmT2_T3_T4_T5_mT6_T7_P12ihipStream_tbENKUlT_T0_E_clISt17integral_constantIbLb0EESZ_EEDaSU_SV_EUlSU_E_NS1_11comp_targetILNS1_3genE4ELNS1_11target_archE910ELNS1_3gpuE8ELNS1_3repE0EEENS1_30default_config_static_selectorELNS0_4arch9wavefront6targetE0EEEvT1_.has_dyn_sized_stack, 0
	.set _ZN7rocprim17ROCPRIM_400000_NS6detail17trampoline_kernelINS0_14default_configENS1_27scan_by_key_config_selectorIssEEZZNS1_16scan_by_key_implILNS1_25lookback_scan_determinismE0ELb0ES3_N6thrust23THRUST_200600_302600_NS6detail15normal_iteratorINS9_10device_ptrIsEEEESE_SE_sNS9_4plusIvEENS9_8equal_toIsEEsEE10hipError_tPvRmT2_T3_T4_T5_mT6_T7_P12ihipStream_tbENKUlT_T0_E_clISt17integral_constantIbLb0EESZ_EEDaSU_SV_EUlSU_E_NS1_11comp_targetILNS1_3genE4ELNS1_11target_archE910ELNS1_3gpuE8ELNS1_3repE0EEENS1_30default_config_static_selectorELNS0_4arch9wavefront6targetE0EEEvT1_.has_recursion, 0
	.set _ZN7rocprim17ROCPRIM_400000_NS6detail17trampoline_kernelINS0_14default_configENS1_27scan_by_key_config_selectorIssEEZZNS1_16scan_by_key_implILNS1_25lookback_scan_determinismE0ELb0ES3_N6thrust23THRUST_200600_302600_NS6detail15normal_iteratorINS9_10device_ptrIsEEEESE_SE_sNS9_4plusIvEENS9_8equal_toIsEEsEE10hipError_tPvRmT2_T3_T4_T5_mT6_T7_P12ihipStream_tbENKUlT_T0_E_clISt17integral_constantIbLb0EESZ_EEDaSU_SV_EUlSU_E_NS1_11comp_targetILNS1_3genE4ELNS1_11target_archE910ELNS1_3gpuE8ELNS1_3repE0EEENS1_30default_config_static_selectorELNS0_4arch9wavefront6targetE0EEEvT1_.has_indirect_call, 0
	.section	.AMDGPU.csdata,"",@progbits
; Kernel info:
; codeLenInByte = 0
; TotalNumSgprs: 0
; NumVgprs: 0
; ScratchSize: 0
; MemoryBound: 0
; FloatMode: 240
; IeeeMode: 1
; LDSByteSize: 0 bytes/workgroup (compile time only)
; SGPRBlocks: 0
; VGPRBlocks: 0
; NumSGPRsForWavesPerEU: 1
; NumVGPRsForWavesPerEU: 1
; Occupancy: 16
; WaveLimiterHint : 0
; COMPUTE_PGM_RSRC2:SCRATCH_EN: 0
; COMPUTE_PGM_RSRC2:USER_SGPR: 6
; COMPUTE_PGM_RSRC2:TRAP_HANDLER: 0
; COMPUTE_PGM_RSRC2:TGID_X_EN: 1
; COMPUTE_PGM_RSRC2:TGID_Y_EN: 0
; COMPUTE_PGM_RSRC2:TGID_Z_EN: 0
; COMPUTE_PGM_RSRC2:TIDIG_COMP_CNT: 0
	.section	.text._ZN7rocprim17ROCPRIM_400000_NS6detail17trampoline_kernelINS0_14default_configENS1_27scan_by_key_config_selectorIssEEZZNS1_16scan_by_key_implILNS1_25lookback_scan_determinismE0ELb0ES3_N6thrust23THRUST_200600_302600_NS6detail15normal_iteratorINS9_10device_ptrIsEEEESE_SE_sNS9_4plusIvEENS9_8equal_toIsEEsEE10hipError_tPvRmT2_T3_T4_T5_mT6_T7_P12ihipStream_tbENKUlT_T0_E_clISt17integral_constantIbLb0EESZ_EEDaSU_SV_EUlSU_E_NS1_11comp_targetILNS1_3genE3ELNS1_11target_archE908ELNS1_3gpuE7ELNS1_3repE0EEENS1_30default_config_static_selectorELNS0_4arch9wavefront6targetE0EEEvT1_,"axG",@progbits,_ZN7rocprim17ROCPRIM_400000_NS6detail17trampoline_kernelINS0_14default_configENS1_27scan_by_key_config_selectorIssEEZZNS1_16scan_by_key_implILNS1_25lookback_scan_determinismE0ELb0ES3_N6thrust23THRUST_200600_302600_NS6detail15normal_iteratorINS9_10device_ptrIsEEEESE_SE_sNS9_4plusIvEENS9_8equal_toIsEEsEE10hipError_tPvRmT2_T3_T4_T5_mT6_T7_P12ihipStream_tbENKUlT_T0_E_clISt17integral_constantIbLb0EESZ_EEDaSU_SV_EUlSU_E_NS1_11comp_targetILNS1_3genE3ELNS1_11target_archE908ELNS1_3gpuE7ELNS1_3repE0EEENS1_30default_config_static_selectorELNS0_4arch9wavefront6targetE0EEEvT1_,comdat
	.protected	_ZN7rocprim17ROCPRIM_400000_NS6detail17trampoline_kernelINS0_14default_configENS1_27scan_by_key_config_selectorIssEEZZNS1_16scan_by_key_implILNS1_25lookback_scan_determinismE0ELb0ES3_N6thrust23THRUST_200600_302600_NS6detail15normal_iteratorINS9_10device_ptrIsEEEESE_SE_sNS9_4plusIvEENS9_8equal_toIsEEsEE10hipError_tPvRmT2_T3_T4_T5_mT6_T7_P12ihipStream_tbENKUlT_T0_E_clISt17integral_constantIbLb0EESZ_EEDaSU_SV_EUlSU_E_NS1_11comp_targetILNS1_3genE3ELNS1_11target_archE908ELNS1_3gpuE7ELNS1_3repE0EEENS1_30default_config_static_selectorELNS0_4arch9wavefront6targetE0EEEvT1_ ; -- Begin function _ZN7rocprim17ROCPRIM_400000_NS6detail17trampoline_kernelINS0_14default_configENS1_27scan_by_key_config_selectorIssEEZZNS1_16scan_by_key_implILNS1_25lookback_scan_determinismE0ELb0ES3_N6thrust23THRUST_200600_302600_NS6detail15normal_iteratorINS9_10device_ptrIsEEEESE_SE_sNS9_4plusIvEENS9_8equal_toIsEEsEE10hipError_tPvRmT2_T3_T4_T5_mT6_T7_P12ihipStream_tbENKUlT_T0_E_clISt17integral_constantIbLb0EESZ_EEDaSU_SV_EUlSU_E_NS1_11comp_targetILNS1_3genE3ELNS1_11target_archE908ELNS1_3gpuE7ELNS1_3repE0EEENS1_30default_config_static_selectorELNS0_4arch9wavefront6targetE0EEEvT1_
	.globl	_ZN7rocprim17ROCPRIM_400000_NS6detail17trampoline_kernelINS0_14default_configENS1_27scan_by_key_config_selectorIssEEZZNS1_16scan_by_key_implILNS1_25lookback_scan_determinismE0ELb0ES3_N6thrust23THRUST_200600_302600_NS6detail15normal_iteratorINS9_10device_ptrIsEEEESE_SE_sNS9_4plusIvEENS9_8equal_toIsEEsEE10hipError_tPvRmT2_T3_T4_T5_mT6_T7_P12ihipStream_tbENKUlT_T0_E_clISt17integral_constantIbLb0EESZ_EEDaSU_SV_EUlSU_E_NS1_11comp_targetILNS1_3genE3ELNS1_11target_archE908ELNS1_3gpuE7ELNS1_3repE0EEENS1_30default_config_static_selectorELNS0_4arch9wavefront6targetE0EEEvT1_
	.p2align	8
	.type	_ZN7rocprim17ROCPRIM_400000_NS6detail17trampoline_kernelINS0_14default_configENS1_27scan_by_key_config_selectorIssEEZZNS1_16scan_by_key_implILNS1_25lookback_scan_determinismE0ELb0ES3_N6thrust23THRUST_200600_302600_NS6detail15normal_iteratorINS9_10device_ptrIsEEEESE_SE_sNS9_4plusIvEENS9_8equal_toIsEEsEE10hipError_tPvRmT2_T3_T4_T5_mT6_T7_P12ihipStream_tbENKUlT_T0_E_clISt17integral_constantIbLb0EESZ_EEDaSU_SV_EUlSU_E_NS1_11comp_targetILNS1_3genE3ELNS1_11target_archE908ELNS1_3gpuE7ELNS1_3repE0EEENS1_30default_config_static_selectorELNS0_4arch9wavefront6targetE0EEEvT1_,@function
_ZN7rocprim17ROCPRIM_400000_NS6detail17trampoline_kernelINS0_14default_configENS1_27scan_by_key_config_selectorIssEEZZNS1_16scan_by_key_implILNS1_25lookback_scan_determinismE0ELb0ES3_N6thrust23THRUST_200600_302600_NS6detail15normal_iteratorINS9_10device_ptrIsEEEESE_SE_sNS9_4plusIvEENS9_8equal_toIsEEsEE10hipError_tPvRmT2_T3_T4_T5_mT6_T7_P12ihipStream_tbENKUlT_T0_E_clISt17integral_constantIbLb0EESZ_EEDaSU_SV_EUlSU_E_NS1_11comp_targetILNS1_3genE3ELNS1_11target_archE908ELNS1_3gpuE7ELNS1_3repE0EEENS1_30default_config_static_selectorELNS0_4arch9wavefront6targetE0EEEvT1_: ; @_ZN7rocprim17ROCPRIM_400000_NS6detail17trampoline_kernelINS0_14default_configENS1_27scan_by_key_config_selectorIssEEZZNS1_16scan_by_key_implILNS1_25lookback_scan_determinismE0ELb0ES3_N6thrust23THRUST_200600_302600_NS6detail15normal_iteratorINS9_10device_ptrIsEEEESE_SE_sNS9_4plusIvEENS9_8equal_toIsEEsEE10hipError_tPvRmT2_T3_T4_T5_mT6_T7_P12ihipStream_tbENKUlT_T0_E_clISt17integral_constantIbLb0EESZ_EEDaSU_SV_EUlSU_E_NS1_11comp_targetILNS1_3genE3ELNS1_11target_archE908ELNS1_3gpuE7ELNS1_3repE0EEENS1_30default_config_static_selectorELNS0_4arch9wavefront6targetE0EEEvT1_
; %bb.0:
	.section	.rodata,"a",@progbits
	.p2align	6, 0x0
	.amdhsa_kernel _ZN7rocprim17ROCPRIM_400000_NS6detail17trampoline_kernelINS0_14default_configENS1_27scan_by_key_config_selectorIssEEZZNS1_16scan_by_key_implILNS1_25lookback_scan_determinismE0ELb0ES3_N6thrust23THRUST_200600_302600_NS6detail15normal_iteratorINS9_10device_ptrIsEEEESE_SE_sNS9_4plusIvEENS9_8equal_toIsEEsEE10hipError_tPvRmT2_T3_T4_T5_mT6_T7_P12ihipStream_tbENKUlT_T0_E_clISt17integral_constantIbLb0EESZ_EEDaSU_SV_EUlSU_E_NS1_11comp_targetILNS1_3genE3ELNS1_11target_archE908ELNS1_3gpuE7ELNS1_3repE0EEENS1_30default_config_static_selectorELNS0_4arch9wavefront6targetE0EEEvT1_
		.amdhsa_group_segment_fixed_size 0
		.amdhsa_private_segment_fixed_size 0
		.amdhsa_kernarg_size 112
		.amdhsa_user_sgpr_count 6
		.amdhsa_user_sgpr_private_segment_buffer 1
		.amdhsa_user_sgpr_dispatch_ptr 0
		.amdhsa_user_sgpr_queue_ptr 0
		.amdhsa_user_sgpr_kernarg_segment_ptr 1
		.amdhsa_user_sgpr_dispatch_id 0
		.amdhsa_user_sgpr_flat_scratch_init 0
		.amdhsa_user_sgpr_private_segment_size 0
		.amdhsa_wavefront_size32 1
		.amdhsa_uses_dynamic_stack 0
		.amdhsa_system_sgpr_private_segment_wavefront_offset 0
		.amdhsa_system_sgpr_workgroup_id_x 1
		.amdhsa_system_sgpr_workgroup_id_y 0
		.amdhsa_system_sgpr_workgroup_id_z 0
		.amdhsa_system_sgpr_workgroup_info 0
		.amdhsa_system_vgpr_workitem_id 0
		.amdhsa_next_free_vgpr 1
		.amdhsa_next_free_sgpr 1
		.amdhsa_reserve_vcc 0
		.amdhsa_reserve_flat_scratch 0
		.amdhsa_float_round_mode_32 0
		.amdhsa_float_round_mode_16_64 0
		.amdhsa_float_denorm_mode_32 3
		.amdhsa_float_denorm_mode_16_64 3
		.amdhsa_dx10_clamp 1
		.amdhsa_ieee_mode 1
		.amdhsa_fp16_overflow 0
		.amdhsa_workgroup_processor_mode 1
		.amdhsa_memory_ordered 1
		.amdhsa_forward_progress 1
		.amdhsa_shared_vgpr_count 0
		.amdhsa_exception_fp_ieee_invalid_op 0
		.amdhsa_exception_fp_denorm_src 0
		.amdhsa_exception_fp_ieee_div_zero 0
		.amdhsa_exception_fp_ieee_overflow 0
		.amdhsa_exception_fp_ieee_underflow 0
		.amdhsa_exception_fp_ieee_inexact 0
		.amdhsa_exception_int_div_zero 0
	.end_amdhsa_kernel
	.section	.text._ZN7rocprim17ROCPRIM_400000_NS6detail17trampoline_kernelINS0_14default_configENS1_27scan_by_key_config_selectorIssEEZZNS1_16scan_by_key_implILNS1_25lookback_scan_determinismE0ELb0ES3_N6thrust23THRUST_200600_302600_NS6detail15normal_iteratorINS9_10device_ptrIsEEEESE_SE_sNS9_4plusIvEENS9_8equal_toIsEEsEE10hipError_tPvRmT2_T3_T4_T5_mT6_T7_P12ihipStream_tbENKUlT_T0_E_clISt17integral_constantIbLb0EESZ_EEDaSU_SV_EUlSU_E_NS1_11comp_targetILNS1_3genE3ELNS1_11target_archE908ELNS1_3gpuE7ELNS1_3repE0EEENS1_30default_config_static_selectorELNS0_4arch9wavefront6targetE0EEEvT1_,"axG",@progbits,_ZN7rocprim17ROCPRIM_400000_NS6detail17trampoline_kernelINS0_14default_configENS1_27scan_by_key_config_selectorIssEEZZNS1_16scan_by_key_implILNS1_25lookback_scan_determinismE0ELb0ES3_N6thrust23THRUST_200600_302600_NS6detail15normal_iteratorINS9_10device_ptrIsEEEESE_SE_sNS9_4plusIvEENS9_8equal_toIsEEsEE10hipError_tPvRmT2_T3_T4_T5_mT6_T7_P12ihipStream_tbENKUlT_T0_E_clISt17integral_constantIbLb0EESZ_EEDaSU_SV_EUlSU_E_NS1_11comp_targetILNS1_3genE3ELNS1_11target_archE908ELNS1_3gpuE7ELNS1_3repE0EEENS1_30default_config_static_selectorELNS0_4arch9wavefront6targetE0EEEvT1_,comdat
.Lfunc_end321:
	.size	_ZN7rocprim17ROCPRIM_400000_NS6detail17trampoline_kernelINS0_14default_configENS1_27scan_by_key_config_selectorIssEEZZNS1_16scan_by_key_implILNS1_25lookback_scan_determinismE0ELb0ES3_N6thrust23THRUST_200600_302600_NS6detail15normal_iteratorINS9_10device_ptrIsEEEESE_SE_sNS9_4plusIvEENS9_8equal_toIsEEsEE10hipError_tPvRmT2_T3_T4_T5_mT6_T7_P12ihipStream_tbENKUlT_T0_E_clISt17integral_constantIbLb0EESZ_EEDaSU_SV_EUlSU_E_NS1_11comp_targetILNS1_3genE3ELNS1_11target_archE908ELNS1_3gpuE7ELNS1_3repE0EEENS1_30default_config_static_selectorELNS0_4arch9wavefront6targetE0EEEvT1_, .Lfunc_end321-_ZN7rocprim17ROCPRIM_400000_NS6detail17trampoline_kernelINS0_14default_configENS1_27scan_by_key_config_selectorIssEEZZNS1_16scan_by_key_implILNS1_25lookback_scan_determinismE0ELb0ES3_N6thrust23THRUST_200600_302600_NS6detail15normal_iteratorINS9_10device_ptrIsEEEESE_SE_sNS9_4plusIvEENS9_8equal_toIsEEsEE10hipError_tPvRmT2_T3_T4_T5_mT6_T7_P12ihipStream_tbENKUlT_T0_E_clISt17integral_constantIbLb0EESZ_EEDaSU_SV_EUlSU_E_NS1_11comp_targetILNS1_3genE3ELNS1_11target_archE908ELNS1_3gpuE7ELNS1_3repE0EEENS1_30default_config_static_selectorELNS0_4arch9wavefront6targetE0EEEvT1_
                                        ; -- End function
	.set _ZN7rocprim17ROCPRIM_400000_NS6detail17trampoline_kernelINS0_14default_configENS1_27scan_by_key_config_selectorIssEEZZNS1_16scan_by_key_implILNS1_25lookback_scan_determinismE0ELb0ES3_N6thrust23THRUST_200600_302600_NS6detail15normal_iteratorINS9_10device_ptrIsEEEESE_SE_sNS9_4plusIvEENS9_8equal_toIsEEsEE10hipError_tPvRmT2_T3_T4_T5_mT6_T7_P12ihipStream_tbENKUlT_T0_E_clISt17integral_constantIbLb0EESZ_EEDaSU_SV_EUlSU_E_NS1_11comp_targetILNS1_3genE3ELNS1_11target_archE908ELNS1_3gpuE7ELNS1_3repE0EEENS1_30default_config_static_selectorELNS0_4arch9wavefront6targetE0EEEvT1_.num_vgpr, 0
	.set _ZN7rocprim17ROCPRIM_400000_NS6detail17trampoline_kernelINS0_14default_configENS1_27scan_by_key_config_selectorIssEEZZNS1_16scan_by_key_implILNS1_25lookback_scan_determinismE0ELb0ES3_N6thrust23THRUST_200600_302600_NS6detail15normal_iteratorINS9_10device_ptrIsEEEESE_SE_sNS9_4plusIvEENS9_8equal_toIsEEsEE10hipError_tPvRmT2_T3_T4_T5_mT6_T7_P12ihipStream_tbENKUlT_T0_E_clISt17integral_constantIbLb0EESZ_EEDaSU_SV_EUlSU_E_NS1_11comp_targetILNS1_3genE3ELNS1_11target_archE908ELNS1_3gpuE7ELNS1_3repE0EEENS1_30default_config_static_selectorELNS0_4arch9wavefront6targetE0EEEvT1_.num_agpr, 0
	.set _ZN7rocprim17ROCPRIM_400000_NS6detail17trampoline_kernelINS0_14default_configENS1_27scan_by_key_config_selectorIssEEZZNS1_16scan_by_key_implILNS1_25lookback_scan_determinismE0ELb0ES3_N6thrust23THRUST_200600_302600_NS6detail15normal_iteratorINS9_10device_ptrIsEEEESE_SE_sNS9_4plusIvEENS9_8equal_toIsEEsEE10hipError_tPvRmT2_T3_T4_T5_mT6_T7_P12ihipStream_tbENKUlT_T0_E_clISt17integral_constantIbLb0EESZ_EEDaSU_SV_EUlSU_E_NS1_11comp_targetILNS1_3genE3ELNS1_11target_archE908ELNS1_3gpuE7ELNS1_3repE0EEENS1_30default_config_static_selectorELNS0_4arch9wavefront6targetE0EEEvT1_.numbered_sgpr, 0
	.set _ZN7rocprim17ROCPRIM_400000_NS6detail17trampoline_kernelINS0_14default_configENS1_27scan_by_key_config_selectorIssEEZZNS1_16scan_by_key_implILNS1_25lookback_scan_determinismE0ELb0ES3_N6thrust23THRUST_200600_302600_NS6detail15normal_iteratorINS9_10device_ptrIsEEEESE_SE_sNS9_4plusIvEENS9_8equal_toIsEEsEE10hipError_tPvRmT2_T3_T4_T5_mT6_T7_P12ihipStream_tbENKUlT_T0_E_clISt17integral_constantIbLb0EESZ_EEDaSU_SV_EUlSU_E_NS1_11comp_targetILNS1_3genE3ELNS1_11target_archE908ELNS1_3gpuE7ELNS1_3repE0EEENS1_30default_config_static_selectorELNS0_4arch9wavefront6targetE0EEEvT1_.num_named_barrier, 0
	.set _ZN7rocprim17ROCPRIM_400000_NS6detail17trampoline_kernelINS0_14default_configENS1_27scan_by_key_config_selectorIssEEZZNS1_16scan_by_key_implILNS1_25lookback_scan_determinismE0ELb0ES3_N6thrust23THRUST_200600_302600_NS6detail15normal_iteratorINS9_10device_ptrIsEEEESE_SE_sNS9_4plusIvEENS9_8equal_toIsEEsEE10hipError_tPvRmT2_T3_T4_T5_mT6_T7_P12ihipStream_tbENKUlT_T0_E_clISt17integral_constantIbLb0EESZ_EEDaSU_SV_EUlSU_E_NS1_11comp_targetILNS1_3genE3ELNS1_11target_archE908ELNS1_3gpuE7ELNS1_3repE0EEENS1_30default_config_static_selectorELNS0_4arch9wavefront6targetE0EEEvT1_.private_seg_size, 0
	.set _ZN7rocprim17ROCPRIM_400000_NS6detail17trampoline_kernelINS0_14default_configENS1_27scan_by_key_config_selectorIssEEZZNS1_16scan_by_key_implILNS1_25lookback_scan_determinismE0ELb0ES3_N6thrust23THRUST_200600_302600_NS6detail15normal_iteratorINS9_10device_ptrIsEEEESE_SE_sNS9_4plusIvEENS9_8equal_toIsEEsEE10hipError_tPvRmT2_T3_T4_T5_mT6_T7_P12ihipStream_tbENKUlT_T0_E_clISt17integral_constantIbLb0EESZ_EEDaSU_SV_EUlSU_E_NS1_11comp_targetILNS1_3genE3ELNS1_11target_archE908ELNS1_3gpuE7ELNS1_3repE0EEENS1_30default_config_static_selectorELNS0_4arch9wavefront6targetE0EEEvT1_.uses_vcc, 0
	.set _ZN7rocprim17ROCPRIM_400000_NS6detail17trampoline_kernelINS0_14default_configENS1_27scan_by_key_config_selectorIssEEZZNS1_16scan_by_key_implILNS1_25lookback_scan_determinismE0ELb0ES3_N6thrust23THRUST_200600_302600_NS6detail15normal_iteratorINS9_10device_ptrIsEEEESE_SE_sNS9_4plusIvEENS9_8equal_toIsEEsEE10hipError_tPvRmT2_T3_T4_T5_mT6_T7_P12ihipStream_tbENKUlT_T0_E_clISt17integral_constantIbLb0EESZ_EEDaSU_SV_EUlSU_E_NS1_11comp_targetILNS1_3genE3ELNS1_11target_archE908ELNS1_3gpuE7ELNS1_3repE0EEENS1_30default_config_static_selectorELNS0_4arch9wavefront6targetE0EEEvT1_.uses_flat_scratch, 0
	.set _ZN7rocprim17ROCPRIM_400000_NS6detail17trampoline_kernelINS0_14default_configENS1_27scan_by_key_config_selectorIssEEZZNS1_16scan_by_key_implILNS1_25lookback_scan_determinismE0ELb0ES3_N6thrust23THRUST_200600_302600_NS6detail15normal_iteratorINS9_10device_ptrIsEEEESE_SE_sNS9_4plusIvEENS9_8equal_toIsEEsEE10hipError_tPvRmT2_T3_T4_T5_mT6_T7_P12ihipStream_tbENKUlT_T0_E_clISt17integral_constantIbLb0EESZ_EEDaSU_SV_EUlSU_E_NS1_11comp_targetILNS1_3genE3ELNS1_11target_archE908ELNS1_3gpuE7ELNS1_3repE0EEENS1_30default_config_static_selectorELNS0_4arch9wavefront6targetE0EEEvT1_.has_dyn_sized_stack, 0
	.set _ZN7rocprim17ROCPRIM_400000_NS6detail17trampoline_kernelINS0_14default_configENS1_27scan_by_key_config_selectorIssEEZZNS1_16scan_by_key_implILNS1_25lookback_scan_determinismE0ELb0ES3_N6thrust23THRUST_200600_302600_NS6detail15normal_iteratorINS9_10device_ptrIsEEEESE_SE_sNS9_4plusIvEENS9_8equal_toIsEEsEE10hipError_tPvRmT2_T3_T4_T5_mT6_T7_P12ihipStream_tbENKUlT_T0_E_clISt17integral_constantIbLb0EESZ_EEDaSU_SV_EUlSU_E_NS1_11comp_targetILNS1_3genE3ELNS1_11target_archE908ELNS1_3gpuE7ELNS1_3repE0EEENS1_30default_config_static_selectorELNS0_4arch9wavefront6targetE0EEEvT1_.has_recursion, 0
	.set _ZN7rocprim17ROCPRIM_400000_NS6detail17trampoline_kernelINS0_14default_configENS1_27scan_by_key_config_selectorIssEEZZNS1_16scan_by_key_implILNS1_25lookback_scan_determinismE0ELb0ES3_N6thrust23THRUST_200600_302600_NS6detail15normal_iteratorINS9_10device_ptrIsEEEESE_SE_sNS9_4plusIvEENS9_8equal_toIsEEsEE10hipError_tPvRmT2_T3_T4_T5_mT6_T7_P12ihipStream_tbENKUlT_T0_E_clISt17integral_constantIbLb0EESZ_EEDaSU_SV_EUlSU_E_NS1_11comp_targetILNS1_3genE3ELNS1_11target_archE908ELNS1_3gpuE7ELNS1_3repE0EEENS1_30default_config_static_selectorELNS0_4arch9wavefront6targetE0EEEvT1_.has_indirect_call, 0
	.section	.AMDGPU.csdata,"",@progbits
; Kernel info:
; codeLenInByte = 0
; TotalNumSgprs: 0
; NumVgprs: 0
; ScratchSize: 0
; MemoryBound: 0
; FloatMode: 240
; IeeeMode: 1
; LDSByteSize: 0 bytes/workgroup (compile time only)
; SGPRBlocks: 0
; VGPRBlocks: 0
; NumSGPRsForWavesPerEU: 1
; NumVGPRsForWavesPerEU: 1
; Occupancy: 16
; WaveLimiterHint : 0
; COMPUTE_PGM_RSRC2:SCRATCH_EN: 0
; COMPUTE_PGM_RSRC2:USER_SGPR: 6
; COMPUTE_PGM_RSRC2:TRAP_HANDLER: 0
; COMPUTE_PGM_RSRC2:TGID_X_EN: 1
; COMPUTE_PGM_RSRC2:TGID_Y_EN: 0
; COMPUTE_PGM_RSRC2:TGID_Z_EN: 0
; COMPUTE_PGM_RSRC2:TIDIG_COMP_CNT: 0
	.section	.text._ZN7rocprim17ROCPRIM_400000_NS6detail17trampoline_kernelINS0_14default_configENS1_27scan_by_key_config_selectorIssEEZZNS1_16scan_by_key_implILNS1_25lookback_scan_determinismE0ELb0ES3_N6thrust23THRUST_200600_302600_NS6detail15normal_iteratorINS9_10device_ptrIsEEEESE_SE_sNS9_4plusIvEENS9_8equal_toIsEEsEE10hipError_tPvRmT2_T3_T4_T5_mT6_T7_P12ihipStream_tbENKUlT_T0_E_clISt17integral_constantIbLb0EESZ_EEDaSU_SV_EUlSU_E_NS1_11comp_targetILNS1_3genE2ELNS1_11target_archE906ELNS1_3gpuE6ELNS1_3repE0EEENS1_30default_config_static_selectorELNS0_4arch9wavefront6targetE0EEEvT1_,"axG",@progbits,_ZN7rocprim17ROCPRIM_400000_NS6detail17trampoline_kernelINS0_14default_configENS1_27scan_by_key_config_selectorIssEEZZNS1_16scan_by_key_implILNS1_25lookback_scan_determinismE0ELb0ES3_N6thrust23THRUST_200600_302600_NS6detail15normal_iteratorINS9_10device_ptrIsEEEESE_SE_sNS9_4plusIvEENS9_8equal_toIsEEsEE10hipError_tPvRmT2_T3_T4_T5_mT6_T7_P12ihipStream_tbENKUlT_T0_E_clISt17integral_constantIbLb0EESZ_EEDaSU_SV_EUlSU_E_NS1_11comp_targetILNS1_3genE2ELNS1_11target_archE906ELNS1_3gpuE6ELNS1_3repE0EEENS1_30default_config_static_selectorELNS0_4arch9wavefront6targetE0EEEvT1_,comdat
	.protected	_ZN7rocprim17ROCPRIM_400000_NS6detail17trampoline_kernelINS0_14default_configENS1_27scan_by_key_config_selectorIssEEZZNS1_16scan_by_key_implILNS1_25lookback_scan_determinismE0ELb0ES3_N6thrust23THRUST_200600_302600_NS6detail15normal_iteratorINS9_10device_ptrIsEEEESE_SE_sNS9_4plusIvEENS9_8equal_toIsEEsEE10hipError_tPvRmT2_T3_T4_T5_mT6_T7_P12ihipStream_tbENKUlT_T0_E_clISt17integral_constantIbLb0EESZ_EEDaSU_SV_EUlSU_E_NS1_11comp_targetILNS1_3genE2ELNS1_11target_archE906ELNS1_3gpuE6ELNS1_3repE0EEENS1_30default_config_static_selectorELNS0_4arch9wavefront6targetE0EEEvT1_ ; -- Begin function _ZN7rocprim17ROCPRIM_400000_NS6detail17trampoline_kernelINS0_14default_configENS1_27scan_by_key_config_selectorIssEEZZNS1_16scan_by_key_implILNS1_25lookback_scan_determinismE0ELb0ES3_N6thrust23THRUST_200600_302600_NS6detail15normal_iteratorINS9_10device_ptrIsEEEESE_SE_sNS9_4plusIvEENS9_8equal_toIsEEsEE10hipError_tPvRmT2_T3_T4_T5_mT6_T7_P12ihipStream_tbENKUlT_T0_E_clISt17integral_constantIbLb0EESZ_EEDaSU_SV_EUlSU_E_NS1_11comp_targetILNS1_3genE2ELNS1_11target_archE906ELNS1_3gpuE6ELNS1_3repE0EEENS1_30default_config_static_selectorELNS0_4arch9wavefront6targetE0EEEvT1_
	.globl	_ZN7rocprim17ROCPRIM_400000_NS6detail17trampoline_kernelINS0_14default_configENS1_27scan_by_key_config_selectorIssEEZZNS1_16scan_by_key_implILNS1_25lookback_scan_determinismE0ELb0ES3_N6thrust23THRUST_200600_302600_NS6detail15normal_iteratorINS9_10device_ptrIsEEEESE_SE_sNS9_4plusIvEENS9_8equal_toIsEEsEE10hipError_tPvRmT2_T3_T4_T5_mT6_T7_P12ihipStream_tbENKUlT_T0_E_clISt17integral_constantIbLb0EESZ_EEDaSU_SV_EUlSU_E_NS1_11comp_targetILNS1_3genE2ELNS1_11target_archE906ELNS1_3gpuE6ELNS1_3repE0EEENS1_30default_config_static_selectorELNS0_4arch9wavefront6targetE0EEEvT1_
	.p2align	8
	.type	_ZN7rocprim17ROCPRIM_400000_NS6detail17trampoline_kernelINS0_14default_configENS1_27scan_by_key_config_selectorIssEEZZNS1_16scan_by_key_implILNS1_25lookback_scan_determinismE0ELb0ES3_N6thrust23THRUST_200600_302600_NS6detail15normal_iteratorINS9_10device_ptrIsEEEESE_SE_sNS9_4plusIvEENS9_8equal_toIsEEsEE10hipError_tPvRmT2_T3_T4_T5_mT6_T7_P12ihipStream_tbENKUlT_T0_E_clISt17integral_constantIbLb0EESZ_EEDaSU_SV_EUlSU_E_NS1_11comp_targetILNS1_3genE2ELNS1_11target_archE906ELNS1_3gpuE6ELNS1_3repE0EEENS1_30default_config_static_selectorELNS0_4arch9wavefront6targetE0EEEvT1_,@function
_ZN7rocprim17ROCPRIM_400000_NS6detail17trampoline_kernelINS0_14default_configENS1_27scan_by_key_config_selectorIssEEZZNS1_16scan_by_key_implILNS1_25lookback_scan_determinismE0ELb0ES3_N6thrust23THRUST_200600_302600_NS6detail15normal_iteratorINS9_10device_ptrIsEEEESE_SE_sNS9_4plusIvEENS9_8equal_toIsEEsEE10hipError_tPvRmT2_T3_T4_T5_mT6_T7_P12ihipStream_tbENKUlT_T0_E_clISt17integral_constantIbLb0EESZ_EEDaSU_SV_EUlSU_E_NS1_11comp_targetILNS1_3genE2ELNS1_11target_archE906ELNS1_3gpuE6ELNS1_3repE0EEENS1_30default_config_static_selectorELNS0_4arch9wavefront6targetE0EEEvT1_: ; @_ZN7rocprim17ROCPRIM_400000_NS6detail17trampoline_kernelINS0_14default_configENS1_27scan_by_key_config_selectorIssEEZZNS1_16scan_by_key_implILNS1_25lookback_scan_determinismE0ELb0ES3_N6thrust23THRUST_200600_302600_NS6detail15normal_iteratorINS9_10device_ptrIsEEEESE_SE_sNS9_4plusIvEENS9_8equal_toIsEEsEE10hipError_tPvRmT2_T3_T4_T5_mT6_T7_P12ihipStream_tbENKUlT_T0_E_clISt17integral_constantIbLb0EESZ_EEDaSU_SV_EUlSU_E_NS1_11comp_targetILNS1_3genE2ELNS1_11target_archE906ELNS1_3gpuE6ELNS1_3repE0EEENS1_30default_config_static_selectorELNS0_4arch9wavefront6targetE0EEEvT1_
; %bb.0:
	.section	.rodata,"a",@progbits
	.p2align	6, 0x0
	.amdhsa_kernel _ZN7rocprim17ROCPRIM_400000_NS6detail17trampoline_kernelINS0_14default_configENS1_27scan_by_key_config_selectorIssEEZZNS1_16scan_by_key_implILNS1_25lookback_scan_determinismE0ELb0ES3_N6thrust23THRUST_200600_302600_NS6detail15normal_iteratorINS9_10device_ptrIsEEEESE_SE_sNS9_4plusIvEENS9_8equal_toIsEEsEE10hipError_tPvRmT2_T3_T4_T5_mT6_T7_P12ihipStream_tbENKUlT_T0_E_clISt17integral_constantIbLb0EESZ_EEDaSU_SV_EUlSU_E_NS1_11comp_targetILNS1_3genE2ELNS1_11target_archE906ELNS1_3gpuE6ELNS1_3repE0EEENS1_30default_config_static_selectorELNS0_4arch9wavefront6targetE0EEEvT1_
		.amdhsa_group_segment_fixed_size 0
		.amdhsa_private_segment_fixed_size 0
		.amdhsa_kernarg_size 112
		.amdhsa_user_sgpr_count 6
		.amdhsa_user_sgpr_private_segment_buffer 1
		.amdhsa_user_sgpr_dispatch_ptr 0
		.amdhsa_user_sgpr_queue_ptr 0
		.amdhsa_user_sgpr_kernarg_segment_ptr 1
		.amdhsa_user_sgpr_dispatch_id 0
		.amdhsa_user_sgpr_flat_scratch_init 0
		.amdhsa_user_sgpr_private_segment_size 0
		.amdhsa_wavefront_size32 1
		.amdhsa_uses_dynamic_stack 0
		.amdhsa_system_sgpr_private_segment_wavefront_offset 0
		.amdhsa_system_sgpr_workgroup_id_x 1
		.amdhsa_system_sgpr_workgroup_id_y 0
		.amdhsa_system_sgpr_workgroup_id_z 0
		.amdhsa_system_sgpr_workgroup_info 0
		.amdhsa_system_vgpr_workitem_id 0
		.amdhsa_next_free_vgpr 1
		.amdhsa_next_free_sgpr 1
		.amdhsa_reserve_vcc 0
		.amdhsa_reserve_flat_scratch 0
		.amdhsa_float_round_mode_32 0
		.amdhsa_float_round_mode_16_64 0
		.amdhsa_float_denorm_mode_32 3
		.amdhsa_float_denorm_mode_16_64 3
		.amdhsa_dx10_clamp 1
		.amdhsa_ieee_mode 1
		.amdhsa_fp16_overflow 0
		.amdhsa_workgroup_processor_mode 1
		.amdhsa_memory_ordered 1
		.amdhsa_forward_progress 1
		.amdhsa_shared_vgpr_count 0
		.amdhsa_exception_fp_ieee_invalid_op 0
		.amdhsa_exception_fp_denorm_src 0
		.amdhsa_exception_fp_ieee_div_zero 0
		.amdhsa_exception_fp_ieee_overflow 0
		.amdhsa_exception_fp_ieee_underflow 0
		.amdhsa_exception_fp_ieee_inexact 0
		.amdhsa_exception_int_div_zero 0
	.end_amdhsa_kernel
	.section	.text._ZN7rocprim17ROCPRIM_400000_NS6detail17trampoline_kernelINS0_14default_configENS1_27scan_by_key_config_selectorIssEEZZNS1_16scan_by_key_implILNS1_25lookback_scan_determinismE0ELb0ES3_N6thrust23THRUST_200600_302600_NS6detail15normal_iteratorINS9_10device_ptrIsEEEESE_SE_sNS9_4plusIvEENS9_8equal_toIsEEsEE10hipError_tPvRmT2_T3_T4_T5_mT6_T7_P12ihipStream_tbENKUlT_T0_E_clISt17integral_constantIbLb0EESZ_EEDaSU_SV_EUlSU_E_NS1_11comp_targetILNS1_3genE2ELNS1_11target_archE906ELNS1_3gpuE6ELNS1_3repE0EEENS1_30default_config_static_selectorELNS0_4arch9wavefront6targetE0EEEvT1_,"axG",@progbits,_ZN7rocprim17ROCPRIM_400000_NS6detail17trampoline_kernelINS0_14default_configENS1_27scan_by_key_config_selectorIssEEZZNS1_16scan_by_key_implILNS1_25lookback_scan_determinismE0ELb0ES3_N6thrust23THRUST_200600_302600_NS6detail15normal_iteratorINS9_10device_ptrIsEEEESE_SE_sNS9_4plusIvEENS9_8equal_toIsEEsEE10hipError_tPvRmT2_T3_T4_T5_mT6_T7_P12ihipStream_tbENKUlT_T0_E_clISt17integral_constantIbLb0EESZ_EEDaSU_SV_EUlSU_E_NS1_11comp_targetILNS1_3genE2ELNS1_11target_archE906ELNS1_3gpuE6ELNS1_3repE0EEENS1_30default_config_static_selectorELNS0_4arch9wavefront6targetE0EEEvT1_,comdat
.Lfunc_end322:
	.size	_ZN7rocprim17ROCPRIM_400000_NS6detail17trampoline_kernelINS0_14default_configENS1_27scan_by_key_config_selectorIssEEZZNS1_16scan_by_key_implILNS1_25lookback_scan_determinismE0ELb0ES3_N6thrust23THRUST_200600_302600_NS6detail15normal_iteratorINS9_10device_ptrIsEEEESE_SE_sNS9_4plusIvEENS9_8equal_toIsEEsEE10hipError_tPvRmT2_T3_T4_T5_mT6_T7_P12ihipStream_tbENKUlT_T0_E_clISt17integral_constantIbLb0EESZ_EEDaSU_SV_EUlSU_E_NS1_11comp_targetILNS1_3genE2ELNS1_11target_archE906ELNS1_3gpuE6ELNS1_3repE0EEENS1_30default_config_static_selectorELNS0_4arch9wavefront6targetE0EEEvT1_, .Lfunc_end322-_ZN7rocprim17ROCPRIM_400000_NS6detail17trampoline_kernelINS0_14default_configENS1_27scan_by_key_config_selectorIssEEZZNS1_16scan_by_key_implILNS1_25lookback_scan_determinismE0ELb0ES3_N6thrust23THRUST_200600_302600_NS6detail15normal_iteratorINS9_10device_ptrIsEEEESE_SE_sNS9_4plusIvEENS9_8equal_toIsEEsEE10hipError_tPvRmT2_T3_T4_T5_mT6_T7_P12ihipStream_tbENKUlT_T0_E_clISt17integral_constantIbLb0EESZ_EEDaSU_SV_EUlSU_E_NS1_11comp_targetILNS1_3genE2ELNS1_11target_archE906ELNS1_3gpuE6ELNS1_3repE0EEENS1_30default_config_static_selectorELNS0_4arch9wavefront6targetE0EEEvT1_
                                        ; -- End function
	.set _ZN7rocprim17ROCPRIM_400000_NS6detail17trampoline_kernelINS0_14default_configENS1_27scan_by_key_config_selectorIssEEZZNS1_16scan_by_key_implILNS1_25lookback_scan_determinismE0ELb0ES3_N6thrust23THRUST_200600_302600_NS6detail15normal_iteratorINS9_10device_ptrIsEEEESE_SE_sNS9_4plusIvEENS9_8equal_toIsEEsEE10hipError_tPvRmT2_T3_T4_T5_mT6_T7_P12ihipStream_tbENKUlT_T0_E_clISt17integral_constantIbLb0EESZ_EEDaSU_SV_EUlSU_E_NS1_11comp_targetILNS1_3genE2ELNS1_11target_archE906ELNS1_3gpuE6ELNS1_3repE0EEENS1_30default_config_static_selectorELNS0_4arch9wavefront6targetE0EEEvT1_.num_vgpr, 0
	.set _ZN7rocprim17ROCPRIM_400000_NS6detail17trampoline_kernelINS0_14default_configENS1_27scan_by_key_config_selectorIssEEZZNS1_16scan_by_key_implILNS1_25lookback_scan_determinismE0ELb0ES3_N6thrust23THRUST_200600_302600_NS6detail15normal_iteratorINS9_10device_ptrIsEEEESE_SE_sNS9_4plusIvEENS9_8equal_toIsEEsEE10hipError_tPvRmT2_T3_T4_T5_mT6_T7_P12ihipStream_tbENKUlT_T0_E_clISt17integral_constantIbLb0EESZ_EEDaSU_SV_EUlSU_E_NS1_11comp_targetILNS1_3genE2ELNS1_11target_archE906ELNS1_3gpuE6ELNS1_3repE0EEENS1_30default_config_static_selectorELNS0_4arch9wavefront6targetE0EEEvT1_.num_agpr, 0
	.set _ZN7rocprim17ROCPRIM_400000_NS6detail17trampoline_kernelINS0_14default_configENS1_27scan_by_key_config_selectorIssEEZZNS1_16scan_by_key_implILNS1_25lookback_scan_determinismE0ELb0ES3_N6thrust23THRUST_200600_302600_NS6detail15normal_iteratorINS9_10device_ptrIsEEEESE_SE_sNS9_4plusIvEENS9_8equal_toIsEEsEE10hipError_tPvRmT2_T3_T4_T5_mT6_T7_P12ihipStream_tbENKUlT_T0_E_clISt17integral_constantIbLb0EESZ_EEDaSU_SV_EUlSU_E_NS1_11comp_targetILNS1_3genE2ELNS1_11target_archE906ELNS1_3gpuE6ELNS1_3repE0EEENS1_30default_config_static_selectorELNS0_4arch9wavefront6targetE0EEEvT1_.numbered_sgpr, 0
	.set _ZN7rocprim17ROCPRIM_400000_NS6detail17trampoline_kernelINS0_14default_configENS1_27scan_by_key_config_selectorIssEEZZNS1_16scan_by_key_implILNS1_25lookback_scan_determinismE0ELb0ES3_N6thrust23THRUST_200600_302600_NS6detail15normal_iteratorINS9_10device_ptrIsEEEESE_SE_sNS9_4plusIvEENS9_8equal_toIsEEsEE10hipError_tPvRmT2_T3_T4_T5_mT6_T7_P12ihipStream_tbENKUlT_T0_E_clISt17integral_constantIbLb0EESZ_EEDaSU_SV_EUlSU_E_NS1_11comp_targetILNS1_3genE2ELNS1_11target_archE906ELNS1_3gpuE6ELNS1_3repE0EEENS1_30default_config_static_selectorELNS0_4arch9wavefront6targetE0EEEvT1_.num_named_barrier, 0
	.set _ZN7rocprim17ROCPRIM_400000_NS6detail17trampoline_kernelINS0_14default_configENS1_27scan_by_key_config_selectorIssEEZZNS1_16scan_by_key_implILNS1_25lookback_scan_determinismE0ELb0ES3_N6thrust23THRUST_200600_302600_NS6detail15normal_iteratorINS9_10device_ptrIsEEEESE_SE_sNS9_4plusIvEENS9_8equal_toIsEEsEE10hipError_tPvRmT2_T3_T4_T5_mT6_T7_P12ihipStream_tbENKUlT_T0_E_clISt17integral_constantIbLb0EESZ_EEDaSU_SV_EUlSU_E_NS1_11comp_targetILNS1_3genE2ELNS1_11target_archE906ELNS1_3gpuE6ELNS1_3repE0EEENS1_30default_config_static_selectorELNS0_4arch9wavefront6targetE0EEEvT1_.private_seg_size, 0
	.set _ZN7rocprim17ROCPRIM_400000_NS6detail17trampoline_kernelINS0_14default_configENS1_27scan_by_key_config_selectorIssEEZZNS1_16scan_by_key_implILNS1_25lookback_scan_determinismE0ELb0ES3_N6thrust23THRUST_200600_302600_NS6detail15normal_iteratorINS9_10device_ptrIsEEEESE_SE_sNS9_4plusIvEENS9_8equal_toIsEEsEE10hipError_tPvRmT2_T3_T4_T5_mT6_T7_P12ihipStream_tbENKUlT_T0_E_clISt17integral_constantIbLb0EESZ_EEDaSU_SV_EUlSU_E_NS1_11comp_targetILNS1_3genE2ELNS1_11target_archE906ELNS1_3gpuE6ELNS1_3repE0EEENS1_30default_config_static_selectorELNS0_4arch9wavefront6targetE0EEEvT1_.uses_vcc, 0
	.set _ZN7rocprim17ROCPRIM_400000_NS6detail17trampoline_kernelINS0_14default_configENS1_27scan_by_key_config_selectorIssEEZZNS1_16scan_by_key_implILNS1_25lookback_scan_determinismE0ELb0ES3_N6thrust23THRUST_200600_302600_NS6detail15normal_iteratorINS9_10device_ptrIsEEEESE_SE_sNS9_4plusIvEENS9_8equal_toIsEEsEE10hipError_tPvRmT2_T3_T4_T5_mT6_T7_P12ihipStream_tbENKUlT_T0_E_clISt17integral_constantIbLb0EESZ_EEDaSU_SV_EUlSU_E_NS1_11comp_targetILNS1_3genE2ELNS1_11target_archE906ELNS1_3gpuE6ELNS1_3repE0EEENS1_30default_config_static_selectorELNS0_4arch9wavefront6targetE0EEEvT1_.uses_flat_scratch, 0
	.set _ZN7rocprim17ROCPRIM_400000_NS6detail17trampoline_kernelINS0_14default_configENS1_27scan_by_key_config_selectorIssEEZZNS1_16scan_by_key_implILNS1_25lookback_scan_determinismE0ELb0ES3_N6thrust23THRUST_200600_302600_NS6detail15normal_iteratorINS9_10device_ptrIsEEEESE_SE_sNS9_4plusIvEENS9_8equal_toIsEEsEE10hipError_tPvRmT2_T3_T4_T5_mT6_T7_P12ihipStream_tbENKUlT_T0_E_clISt17integral_constantIbLb0EESZ_EEDaSU_SV_EUlSU_E_NS1_11comp_targetILNS1_3genE2ELNS1_11target_archE906ELNS1_3gpuE6ELNS1_3repE0EEENS1_30default_config_static_selectorELNS0_4arch9wavefront6targetE0EEEvT1_.has_dyn_sized_stack, 0
	.set _ZN7rocprim17ROCPRIM_400000_NS6detail17trampoline_kernelINS0_14default_configENS1_27scan_by_key_config_selectorIssEEZZNS1_16scan_by_key_implILNS1_25lookback_scan_determinismE0ELb0ES3_N6thrust23THRUST_200600_302600_NS6detail15normal_iteratorINS9_10device_ptrIsEEEESE_SE_sNS9_4plusIvEENS9_8equal_toIsEEsEE10hipError_tPvRmT2_T3_T4_T5_mT6_T7_P12ihipStream_tbENKUlT_T0_E_clISt17integral_constantIbLb0EESZ_EEDaSU_SV_EUlSU_E_NS1_11comp_targetILNS1_3genE2ELNS1_11target_archE906ELNS1_3gpuE6ELNS1_3repE0EEENS1_30default_config_static_selectorELNS0_4arch9wavefront6targetE0EEEvT1_.has_recursion, 0
	.set _ZN7rocprim17ROCPRIM_400000_NS6detail17trampoline_kernelINS0_14default_configENS1_27scan_by_key_config_selectorIssEEZZNS1_16scan_by_key_implILNS1_25lookback_scan_determinismE0ELb0ES3_N6thrust23THRUST_200600_302600_NS6detail15normal_iteratorINS9_10device_ptrIsEEEESE_SE_sNS9_4plusIvEENS9_8equal_toIsEEsEE10hipError_tPvRmT2_T3_T4_T5_mT6_T7_P12ihipStream_tbENKUlT_T0_E_clISt17integral_constantIbLb0EESZ_EEDaSU_SV_EUlSU_E_NS1_11comp_targetILNS1_3genE2ELNS1_11target_archE906ELNS1_3gpuE6ELNS1_3repE0EEENS1_30default_config_static_selectorELNS0_4arch9wavefront6targetE0EEEvT1_.has_indirect_call, 0
	.section	.AMDGPU.csdata,"",@progbits
; Kernel info:
; codeLenInByte = 0
; TotalNumSgprs: 0
; NumVgprs: 0
; ScratchSize: 0
; MemoryBound: 0
; FloatMode: 240
; IeeeMode: 1
; LDSByteSize: 0 bytes/workgroup (compile time only)
; SGPRBlocks: 0
; VGPRBlocks: 0
; NumSGPRsForWavesPerEU: 1
; NumVGPRsForWavesPerEU: 1
; Occupancy: 16
; WaveLimiterHint : 0
; COMPUTE_PGM_RSRC2:SCRATCH_EN: 0
; COMPUTE_PGM_RSRC2:USER_SGPR: 6
; COMPUTE_PGM_RSRC2:TRAP_HANDLER: 0
; COMPUTE_PGM_RSRC2:TGID_X_EN: 1
; COMPUTE_PGM_RSRC2:TGID_Y_EN: 0
; COMPUTE_PGM_RSRC2:TGID_Z_EN: 0
; COMPUTE_PGM_RSRC2:TIDIG_COMP_CNT: 0
	.section	.text._ZN7rocprim17ROCPRIM_400000_NS6detail17trampoline_kernelINS0_14default_configENS1_27scan_by_key_config_selectorIssEEZZNS1_16scan_by_key_implILNS1_25lookback_scan_determinismE0ELb0ES3_N6thrust23THRUST_200600_302600_NS6detail15normal_iteratorINS9_10device_ptrIsEEEESE_SE_sNS9_4plusIvEENS9_8equal_toIsEEsEE10hipError_tPvRmT2_T3_T4_T5_mT6_T7_P12ihipStream_tbENKUlT_T0_E_clISt17integral_constantIbLb0EESZ_EEDaSU_SV_EUlSU_E_NS1_11comp_targetILNS1_3genE10ELNS1_11target_archE1200ELNS1_3gpuE4ELNS1_3repE0EEENS1_30default_config_static_selectorELNS0_4arch9wavefront6targetE0EEEvT1_,"axG",@progbits,_ZN7rocprim17ROCPRIM_400000_NS6detail17trampoline_kernelINS0_14default_configENS1_27scan_by_key_config_selectorIssEEZZNS1_16scan_by_key_implILNS1_25lookback_scan_determinismE0ELb0ES3_N6thrust23THRUST_200600_302600_NS6detail15normal_iteratorINS9_10device_ptrIsEEEESE_SE_sNS9_4plusIvEENS9_8equal_toIsEEsEE10hipError_tPvRmT2_T3_T4_T5_mT6_T7_P12ihipStream_tbENKUlT_T0_E_clISt17integral_constantIbLb0EESZ_EEDaSU_SV_EUlSU_E_NS1_11comp_targetILNS1_3genE10ELNS1_11target_archE1200ELNS1_3gpuE4ELNS1_3repE0EEENS1_30default_config_static_selectorELNS0_4arch9wavefront6targetE0EEEvT1_,comdat
	.protected	_ZN7rocprim17ROCPRIM_400000_NS6detail17trampoline_kernelINS0_14default_configENS1_27scan_by_key_config_selectorIssEEZZNS1_16scan_by_key_implILNS1_25lookback_scan_determinismE0ELb0ES3_N6thrust23THRUST_200600_302600_NS6detail15normal_iteratorINS9_10device_ptrIsEEEESE_SE_sNS9_4plusIvEENS9_8equal_toIsEEsEE10hipError_tPvRmT2_T3_T4_T5_mT6_T7_P12ihipStream_tbENKUlT_T0_E_clISt17integral_constantIbLb0EESZ_EEDaSU_SV_EUlSU_E_NS1_11comp_targetILNS1_3genE10ELNS1_11target_archE1200ELNS1_3gpuE4ELNS1_3repE0EEENS1_30default_config_static_selectorELNS0_4arch9wavefront6targetE0EEEvT1_ ; -- Begin function _ZN7rocprim17ROCPRIM_400000_NS6detail17trampoline_kernelINS0_14default_configENS1_27scan_by_key_config_selectorIssEEZZNS1_16scan_by_key_implILNS1_25lookback_scan_determinismE0ELb0ES3_N6thrust23THRUST_200600_302600_NS6detail15normal_iteratorINS9_10device_ptrIsEEEESE_SE_sNS9_4plusIvEENS9_8equal_toIsEEsEE10hipError_tPvRmT2_T3_T4_T5_mT6_T7_P12ihipStream_tbENKUlT_T0_E_clISt17integral_constantIbLb0EESZ_EEDaSU_SV_EUlSU_E_NS1_11comp_targetILNS1_3genE10ELNS1_11target_archE1200ELNS1_3gpuE4ELNS1_3repE0EEENS1_30default_config_static_selectorELNS0_4arch9wavefront6targetE0EEEvT1_
	.globl	_ZN7rocprim17ROCPRIM_400000_NS6detail17trampoline_kernelINS0_14default_configENS1_27scan_by_key_config_selectorIssEEZZNS1_16scan_by_key_implILNS1_25lookback_scan_determinismE0ELb0ES3_N6thrust23THRUST_200600_302600_NS6detail15normal_iteratorINS9_10device_ptrIsEEEESE_SE_sNS9_4plusIvEENS9_8equal_toIsEEsEE10hipError_tPvRmT2_T3_T4_T5_mT6_T7_P12ihipStream_tbENKUlT_T0_E_clISt17integral_constantIbLb0EESZ_EEDaSU_SV_EUlSU_E_NS1_11comp_targetILNS1_3genE10ELNS1_11target_archE1200ELNS1_3gpuE4ELNS1_3repE0EEENS1_30default_config_static_selectorELNS0_4arch9wavefront6targetE0EEEvT1_
	.p2align	8
	.type	_ZN7rocprim17ROCPRIM_400000_NS6detail17trampoline_kernelINS0_14default_configENS1_27scan_by_key_config_selectorIssEEZZNS1_16scan_by_key_implILNS1_25lookback_scan_determinismE0ELb0ES3_N6thrust23THRUST_200600_302600_NS6detail15normal_iteratorINS9_10device_ptrIsEEEESE_SE_sNS9_4plusIvEENS9_8equal_toIsEEsEE10hipError_tPvRmT2_T3_T4_T5_mT6_T7_P12ihipStream_tbENKUlT_T0_E_clISt17integral_constantIbLb0EESZ_EEDaSU_SV_EUlSU_E_NS1_11comp_targetILNS1_3genE10ELNS1_11target_archE1200ELNS1_3gpuE4ELNS1_3repE0EEENS1_30default_config_static_selectorELNS0_4arch9wavefront6targetE0EEEvT1_,@function
_ZN7rocprim17ROCPRIM_400000_NS6detail17trampoline_kernelINS0_14default_configENS1_27scan_by_key_config_selectorIssEEZZNS1_16scan_by_key_implILNS1_25lookback_scan_determinismE0ELb0ES3_N6thrust23THRUST_200600_302600_NS6detail15normal_iteratorINS9_10device_ptrIsEEEESE_SE_sNS9_4plusIvEENS9_8equal_toIsEEsEE10hipError_tPvRmT2_T3_T4_T5_mT6_T7_P12ihipStream_tbENKUlT_T0_E_clISt17integral_constantIbLb0EESZ_EEDaSU_SV_EUlSU_E_NS1_11comp_targetILNS1_3genE10ELNS1_11target_archE1200ELNS1_3gpuE4ELNS1_3repE0EEENS1_30default_config_static_selectorELNS0_4arch9wavefront6targetE0EEEvT1_: ; @_ZN7rocprim17ROCPRIM_400000_NS6detail17trampoline_kernelINS0_14default_configENS1_27scan_by_key_config_selectorIssEEZZNS1_16scan_by_key_implILNS1_25lookback_scan_determinismE0ELb0ES3_N6thrust23THRUST_200600_302600_NS6detail15normal_iteratorINS9_10device_ptrIsEEEESE_SE_sNS9_4plusIvEENS9_8equal_toIsEEsEE10hipError_tPvRmT2_T3_T4_T5_mT6_T7_P12ihipStream_tbENKUlT_T0_E_clISt17integral_constantIbLb0EESZ_EEDaSU_SV_EUlSU_E_NS1_11comp_targetILNS1_3genE10ELNS1_11target_archE1200ELNS1_3gpuE4ELNS1_3repE0EEENS1_30default_config_static_selectorELNS0_4arch9wavefront6targetE0EEEvT1_
; %bb.0:
	.section	.rodata,"a",@progbits
	.p2align	6, 0x0
	.amdhsa_kernel _ZN7rocprim17ROCPRIM_400000_NS6detail17trampoline_kernelINS0_14default_configENS1_27scan_by_key_config_selectorIssEEZZNS1_16scan_by_key_implILNS1_25lookback_scan_determinismE0ELb0ES3_N6thrust23THRUST_200600_302600_NS6detail15normal_iteratorINS9_10device_ptrIsEEEESE_SE_sNS9_4plusIvEENS9_8equal_toIsEEsEE10hipError_tPvRmT2_T3_T4_T5_mT6_T7_P12ihipStream_tbENKUlT_T0_E_clISt17integral_constantIbLb0EESZ_EEDaSU_SV_EUlSU_E_NS1_11comp_targetILNS1_3genE10ELNS1_11target_archE1200ELNS1_3gpuE4ELNS1_3repE0EEENS1_30default_config_static_selectorELNS0_4arch9wavefront6targetE0EEEvT1_
		.amdhsa_group_segment_fixed_size 0
		.amdhsa_private_segment_fixed_size 0
		.amdhsa_kernarg_size 112
		.amdhsa_user_sgpr_count 6
		.amdhsa_user_sgpr_private_segment_buffer 1
		.amdhsa_user_sgpr_dispatch_ptr 0
		.amdhsa_user_sgpr_queue_ptr 0
		.amdhsa_user_sgpr_kernarg_segment_ptr 1
		.amdhsa_user_sgpr_dispatch_id 0
		.amdhsa_user_sgpr_flat_scratch_init 0
		.amdhsa_user_sgpr_private_segment_size 0
		.amdhsa_wavefront_size32 1
		.amdhsa_uses_dynamic_stack 0
		.amdhsa_system_sgpr_private_segment_wavefront_offset 0
		.amdhsa_system_sgpr_workgroup_id_x 1
		.amdhsa_system_sgpr_workgroup_id_y 0
		.amdhsa_system_sgpr_workgroup_id_z 0
		.amdhsa_system_sgpr_workgroup_info 0
		.amdhsa_system_vgpr_workitem_id 0
		.amdhsa_next_free_vgpr 1
		.amdhsa_next_free_sgpr 1
		.amdhsa_reserve_vcc 0
		.amdhsa_reserve_flat_scratch 0
		.amdhsa_float_round_mode_32 0
		.amdhsa_float_round_mode_16_64 0
		.amdhsa_float_denorm_mode_32 3
		.amdhsa_float_denorm_mode_16_64 3
		.amdhsa_dx10_clamp 1
		.amdhsa_ieee_mode 1
		.amdhsa_fp16_overflow 0
		.amdhsa_workgroup_processor_mode 1
		.amdhsa_memory_ordered 1
		.amdhsa_forward_progress 1
		.amdhsa_shared_vgpr_count 0
		.amdhsa_exception_fp_ieee_invalid_op 0
		.amdhsa_exception_fp_denorm_src 0
		.amdhsa_exception_fp_ieee_div_zero 0
		.amdhsa_exception_fp_ieee_overflow 0
		.amdhsa_exception_fp_ieee_underflow 0
		.amdhsa_exception_fp_ieee_inexact 0
		.amdhsa_exception_int_div_zero 0
	.end_amdhsa_kernel
	.section	.text._ZN7rocprim17ROCPRIM_400000_NS6detail17trampoline_kernelINS0_14default_configENS1_27scan_by_key_config_selectorIssEEZZNS1_16scan_by_key_implILNS1_25lookback_scan_determinismE0ELb0ES3_N6thrust23THRUST_200600_302600_NS6detail15normal_iteratorINS9_10device_ptrIsEEEESE_SE_sNS9_4plusIvEENS9_8equal_toIsEEsEE10hipError_tPvRmT2_T3_T4_T5_mT6_T7_P12ihipStream_tbENKUlT_T0_E_clISt17integral_constantIbLb0EESZ_EEDaSU_SV_EUlSU_E_NS1_11comp_targetILNS1_3genE10ELNS1_11target_archE1200ELNS1_3gpuE4ELNS1_3repE0EEENS1_30default_config_static_selectorELNS0_4arch9wavefront6targetE0EEEvT1_,"axG",@progbits,_ZN7rocprim17ROCPRIM_400000_NS6detail17trampoline_kernelINS0_14default_configENS1_27scan_by_key_config_selectorIssEEZZNS1_16scan_by_key_implILNS1_25lookback_scan_determinismE0ELb0ES3_N6thrust23THRUST_200600_302600_NS6detail15normal_iteratorINS9_10device_ptrIsEEEESE_SE_sNS9_4plusIvEENS9_8equal_toIsEEsEE10hipError_tPvRmT2_T3_T4_T5_mT6_T7_P12ihipStream_tbENKUlT_T0_E_clISt17integral_constantIbLb0EESZ_EEDaSU_SV_EUlSU_E_NS1_11comp_targetILNS1_3genE10ELNS1_11target_archE1200ELNS1_3gpuE4ELNS1_3repE0EEENS1_30default_config_static_selectorELNS0_4arch9wavefront6targetE0EEEvT1_,comdat
.Lfunc_end323:
	.size	_ZN7rocprim17ROCPRIM_400000_NS6detail17trampoline_kernelINS0_14default_configENS1_27scan_by_key_config_selectorIssEEZZNS1_16scan_by_key_implILNS1_25lookback_scan_determinismE0ELb0ES3_N6thrust23THRUST_200600_302600_NS6detail15normal_iteratorINS9_10device_ptrIsEEEESE_SE_sNS9_4plusIvEENS9_8equal_toIsEEsEE10hipError_tPvRmT2_T3_T4_T5_mT6_T7_P12ihipStream_tbENKUlT_T0_E_clISt17integral_constantIbLb0EESZ_EEDaSU_SV_EUlSU_E_NS1_11comp_targetILNS1_3genE10ELNS1_11target_archE1200ELNS1_3gpuE4ELNS1_3repE0EEENS1_30default_config_static_selectorELNS0_4arch9wavefront6targetE0EEEvT1_, .Lfunc_end323-_ZN7rocprim17ROCPRIM_400000_NS6detail17trampoline_kernelINS0_14default_configENS1_27scan_by_key_config_selectorIssEEZZNS1_16scan_by_key_implILNS1_25lookback_scan_determinismE0ELb0ES3_N6thrust23THRUST_200600_302600_NS6detail15normal_iteratorINS9_10device_ptrIsEEEESE_SE_sNS9_4plusIvEENS9_8equal_toIsEEsEE10hipError_tPvRmT2_T3_T4_T5_mT6_T7_P12ihipStream_tbENKUlT_T0_E_clISt17integral_constantIbLb0EESZ_EEDaSU_SV_EUlSU_E_NS1_11comp_targetILNS1_3genE10ELNS1_11target_archE1200ELNS1_3gpuE4ELNS1_3repE0EEENS1_30default_config_static_selectorELNS0_4arch9wavefront6targetE0EEEvT1_
                                        ; -- End function
	.set _ZN7rocprim17ROCPRIM_400000_NS6detail17trampoline_kernelINS0_14default_configENS1_27scan_by_key_config_selectorIssEEZZNS1_16scan_by_key_implILNS1_25lookback_scan_determinismE0ELb0ES3_N6thrust23THRUST_200600_302600_NS6detail15normal_iteratorINS9_10device_ptrIsEEEESE_SE_sNS9_4plusIvEENS9_8equal_toIsEEsEE10hipError_tPvRmT2_T3_T4_T5_mT6_T7_P12ihipStream_tbENKUlT_T0_E_clISt17integral_constantIbLb0EESZ_EEDaSU_SV_EUlSU_E_NS1_11comp_targetILNS1_3genE10ELNS1_11target_archE1200ELNS1_3gpuE4ELNS1_3repE0EEENS1_30default_config_static_selectorELNS0_4arch9wavefront6targetE0EEEvT1_.num_vgpr, 0
	.set _ZN7rocprim17ROCPRIM_400000_NS6detail17trampoline_kernelINS0_14default_configENS1_27scan_by_key_config_selectorIssEEZZNS1_16scan_by_key_implILNS1_25lookback_scan_determinismE0ELb0ES3_N6thrust23THRUST_200600_302600_NS6detail15normal_iteratorINS9_10device_ptrIsEEEESE_SE_sNS9_4plusIvEENS9_8equal_toIsEEsEE10hipError_tPvRmT2_T3_T4_T5_mT6_T7_P12ihipStream_tbENKUlT_T0_E_clISt17integral_constantIbLb0EESZ_EEDaSU_SV_EUlSU_E_NS1_11comp_targetILNS1_3genE10ELNS1_11target_archE1200ELNS1_3gpuE4ELNS1_3repE0EEENS1_30default_config_static_selectorELNS0_4arch9wavefront6targetE0EEEvT1_.num_agpr, 0
	.set _ZN7rocprim17ROCPRIM_400000_NS6detail17trampoline_kernelINS0_14default_configENS1_27scan_by_key_config_selectorIssEEZZNS1_16scan_by_key_implILNS1_25lookback_scan_determinismE0ELb0ES3_N6thrust23THRUST_200600_302600_NS6detail15normal_iteratorINS9_10device_ptrIsEEEESE_SE_sNS9_4plusIvEENS9_8equal_toIsEEsEE10hipError_tPvRmT2_T3_T4_T5_mT6_T7_P12ihipStream_tbENKUlT_T0_E_clISt17integral_constantIbLb0EESZ_EEDaSU_SV_EUlSU_E_NS1_11comp_targetILNS1_3genE10ELNS1_11target_archE1200ELNS1_3gpuE4ELNS1_3repE0EEENS1_30default_config_static_selectorELNS0_4arch9wavefront6targetE0EEEvT1_.numbered_sgpr, 0
	.set _ZN7rocprim17ROCPRIM_400000_NS6detail17trampoline_kernelINS0_14default_configENS1_27scan_by_key_config_selectorIssEEZZNS1_16scan_by_key_implILNS1_25lookback_scan_determinismE0ELb0ES3_N6thrust23THRUST_200600_302600_NS6detail15normal_iteratorINS9_10device_ptrIsEEEESE_SE_sNS9_4plusIvEENS9_8equal_toIsEEsEE10hipError_tPvRmT2_T3_T4_T5_mT6_T7_P12ihipStream_tbENKUlT_T0_E_clISt17integral_constantIbLb0EESZ_EEDaSU_SV_EUlSU_E_NS1_11comp_targetILNS1_3genE10ELNS1_11target_archE1200ELNS1_3gpuE4ELNS1_3repE0EEENS1_30default_config_static_selectorELNS0_4arch9wavefront6targetE0EEEvT1_.num_named_barrier, 0
	.set _ZN7rocprim17ROCPRIM_400000_NS6detail17trampoline_kernelINS0_14default_configENS1_27scan_by_key_config_selectorIssEEZZNS1_16scan_by_key_implILNS1_25lookback_scan_determinismE0ELb0ES3_N6thrust23THRUST_200600_302600_NS6detail15normal_iteratorINS9_10device_ptrIsEEEESE_SE_sNS9_4plusIvEENS9_8equal_toIsEEsEE10hipError_tPvRmT2_T3_T4_T5_mT6_T7_P12ihipStream_tbENKUlT_T0_E_clISt17integral_constantIbLb0EESZ_EEDaSU_SV_EUlSU_E_NS1_11comp_targetILNS1_3genE10ELNS1_11target_archE1200ELNS1_3gpuE4ELNS1_3repE0EEENS1_30default_config_static_selectorELNS0_4arch9wavefront6targetE0EEEvT1_.private_seg_size, 0
	.set _ZN7rocprim17ROCPRIM_400000_NS6detail17trampoline_kernelINS0_14default_configENS1_27scan_by_key_config_selectorIssEEZZNS1_16scan_by_key_implILNS1_25lookback_scan_determinismE0ELb0ES3_N6thrust23THRUST_200600_302600_NS6detail15normal_iteratorINS9_10device_ptrIsEEEESE_SE_sNS9_4plusIvEENS9_8equal_toIsEEsEE10hipError_tPvRmT2_T3_T4_T5_mT6_T7_P12ihipStream_tbENKUlT_T0_E_clISt17integral_constantIbLb0EESZ_EEDaSU_SV_EUlSU_E_NS1_11comp_targetILNS1_3genE10ELNS1_11target_archE1200ELNS1_3gpuE4ELNS1_3repE0EEENS1_30default_config_static_selectorELNS0_4arch9wavefront6targetE0EEEvT1_.uses_vcc, 0
	.set _ZN7rocprim17ROCPRIM_400000_NS6detail17trampoline_kernelINS0_14default_configENS1_27scan_by_key_config_selectorIssEEZZNS1_16scan_by_key_implILNS1_25lookback_scan_determinismE0ELb0ES3_N6thrust23THRUST_200600_302600_NS6detail15normal_iteratorINS9_10device_ptrIsEEEESE_SE_sNS9_4plusIvEENS9_8equal_toIsEEsEE10hipError_tPvRmT2_T3_T4_T5_mT6_T7_P12ihipStream_tbENKUlT_T0_E_clISt17integral_constantIbLb0EESZ_EEDaSU_SV_EUlSU_E_NS1_11comp_targetILNS1_3genE10ELNS1_11target_archE1200ELNS1_3gpuE4ELNS1_3repE0EEENS1_30default_config_static_selectorELNS0_4arch9wavefront6targetE0EEEvT1_.uses_flat_scratch, 0
	.set _ZN7rocprim17ROCPRIM_400000_NS6detail17trampoline_kernelINS0_14default_configENS1_27scan_by_key_config_selectorIssEEZZNS1_16scan_by_key_implILNS1_25lookback_scan_determinismE0ELb0ES3_N6thrust23THRUST_200600_302600_NS6detail15normal_iteratorINS9_10device_ptrIsEEEESE_SE_sNS9_4plusIvEENS9_8equal_toIsEEsEE10hipError_tPvRmT2_T3_T4_T5_mT6_T7_P12ihipStream_tbENKUlT_T0_E_clISt17integral_constantIbLb0EESZ_EEDaSU_SV_EUlSU_E_NS1_11comp_targetILNS1_3genE10ELNS1_11target_archE1200ELNS1_3gpuE4ELNS1_3repE0EEENS1_30default_config_static_selectorELNS0_4arch9wavefront6targetE0EEEvT1_.has_dyn_sized_stack, 0
	.set _ZN7rocprim17ROCPRIM_400000_NS6detail17trampoline_kernelINS0_14default_configENS1_27scan_by_key_config_selectorIssEEZZNS1_16scan_by_key_implILNS1_25lookback_scan_determinismE0ELb0ES3_N6thrust23THRUST_200600_302600_NS6detail15normal_iteratorINS9_10device_ptrIsEEEESE_SE_sNS9_4plusIvEENS9_8equal_toIsEEsEE10hipError_tPvRmT2_T3_T4_T5_mT6_T7_P12ihipStream_tbENKUlT_T0_E_clISt17integral_constantIbLb0EESZ_EEDaSU_SV_EUlSU_E_NS1_11comp_targetILNS1_3genE10ELNS1_11target_archE1200ELNS1_3gpuE4ELNS1_3repE0EEENS1_30default_config_static_selectorELNS0_4arch9wavefront6targetE0EEEvT1_.has_recursion, 0
	.set _ZN7rocprim17ROCPRIM_400000_NS6detail17trampoline_kernelINS0_14default_configENS1_27scan_by_key_config_selectorIssEEZZNS1_16scan_by_key_implILNS1_25lookback_scan_determinismE0ELb0ES3_N6thrust23THRUST_200600_302600_NS6detail15normal_iteratorINS9_10device_ptrIsEEEESE_SE_sNS9_4plusIvEENS9_8equal_toIsEEsEE10hipError_tPvRmT2_T3_T4_T5_mT6_T7_P12ihipStream_tbENKUlT_T0_E_clISt17integral_constantIbLb0EESZ_EEDaSU_SV_EUlSU_E_NS1_11comp_targetILNS1_3genE10ELNS1_11target_archE1200ELNS1_3gpuE4ELNS1_3repE0EEENS1_30default_config_static_selectorELNS0_4arch9wavefront6targetE0EEEvT1_.has_indirect_call, 0
	.section	.AMDGPU.csdata,"",@progbits
; Kernel info:
; codeLenInByte = 0
; TotalNumSgprs: 0
; NumVgprs: 0
; ScratchSize: 0
; MemoryBound: 0
; FloatMode: 240
; IeeeMode: 1
; LDSByteSize: 0 bytes/workgroup (compile time only)
; SGPRBlocks: 0
; VGPRBlocks: 0
; NumSGPRsForWavesPerEU: 1
; NumVGPRsForWavesPerEU: 1
; Occupancy: 16
; WaveLimiterHint : 0
; COMPUTE_PGM_RSRC2:SCRATCH_EN: 0
; COMPUTE_PGM_RSRC2:USER_SGPR: 6
; COMPUTE_PGM_RSRC2:TRAP_HANDLER: 0
; COMPUTE_PGM_RSRC2:TGID_X_EN: 1
; COMPUTE_PGM_RSRC2:TGID_Y_EN: 0
; COMPUTE_PGM_RSRC2:TGID_Z_EN: 0
; COMPUTE_PGM_RSRC2:TIDIG_COMP_CNT: 0
	.section	.text._ZN7rocprim17ROCPRIM_400000_NS6detail17trampoline_kernelINS0_14default_configENS1_27scan_by_key_config_selectorIssEEZZNS1_16scan_by_key_implILNS1_25lookback_scan_determinismE0ELb0ES3_N6thrust23THRUST_200600_302600_NS6detail15normal_iteratorINS9_10device_ptrIsEEEESE_SE_sNS9_4plusIvEENS9_8equal_toIsEEsEE10hipError_tPvRmT2_T3_T4_T5_mT6_T7_P12ihipStream_tbENKUlT_T0_E_clISt17integral_constantIbLb0EESZ_EEDaSU_SV_EUlSU_E_NS1_11comp_targetILNS1_3genE9ELNS1_11target_archE1100ELNS1_3gpuE3ELNS1_3repE0EEENS1_30default_config_static_selectorELNS0_4arch9wavefront6targetE0EEEvT1_,"axG",@progbits,_ZN7rocprim17ROCPRIM_400000_NS6detail17trampoline_kernelINS0_14default_configENS1_27scan_by_key_config_selectorIssEEZZNS1_16scan_by_key_implILNS1_25lookback_scan_determinismE0ELb0ES3_N6thrust23THRUST_200600_302600_NS6detail15normal_iteratorINS9_10device_ptrIsEEEESE_SE_sNS9_4plusIvEENS9_8equal_toIsEEsEE10hipError_tPvRmT2_T3_T4_T5_mT6_T7_P12ihipStream_tbENKUlT_T0_E_clISt17integral_constantIbLb0EESZ_EEDaSU_SV_EUlSU_E_NS1_11comp_targetILNS1_3genE9ELNS1_11target_archE1100ELNS1_3gpuE3ELNS1_3repE0EEENS1_30default_config_static_selectorELNS0_4arch9wavefront6targetE0EEEvT1_,comdat
	.protected	_ZN7rocprim17ROCPRIM_400000_NS6detail17trampoline_kernelINS0_14default_configENS1_27scan_by_key_config_selectorIssEEZZNS1_16scan_by_key_implILNS1_25lookback_scan_determinismE0ELb0ES3_N6thrust23THRUST_200600_302600_NS6detail15normal_iteratorINS9_10device_ptrIsEEEESE_SE_sNS9_4plusIvEENS9_8equal_toIsEEsEE10hipError_tPvRmT2_T3_T4_T5_mT6_T7_P12ihipStream_tbENKUlT_T0_E_clISt17integral_constantIbLb0EESZ_EEDaSU_SV_EUlSU_E_NS1_11comp_targetILNS1_3genE9ELNS1_11target_archE1100ELNS1_3gpuE3ELNS1_3repE0EEENS1_30default_config_static_selectorELNS0_4arch9wavefront6targetE0EEEvT1_ ; -- Begin function _ZN7rocprim17ROCPRIM_400000_NS6detail17trampoline_kernelINS0_14default_configENS1_27scan_by_key_config_selectorIssEEZZNS1_16scan_by_key_implILNS1_25lookback_scan_determinismE0ELb0ES3_N6thrust23THRUST_200600_302600_NS6detail15normal_iteratorINS9_10device_ptrIsEEEESE_SE_sNS9_4plusIvEENS9_8equal_toIsEEsEE10hipError_tPvRmT2_T3_T4_T5_mT6_T7_P12ihipStream_tbENKUlT_T0_E_clISt17integral_constantIbLb0EESZ_EEDaSU_SV_EUlSU_E_NS1_11comp_targetILNS1_3genE9ELNS1_11target_archE1100ELNS1_3gpuE3ELNS1_3repE0EEENS1_30default_config_static_selectorELNS0_4arch9wavefront6targetE0EEEvT1_
	.globl	_ZN7rocprim17ROCPRIM_400000_NS6detail17trampoline_kernelINS0_14default_configENS1_27scan_by_key_config_selectorIssEEZZNS1_16scan_by_key_implILNS1_25lookback_scan_determinismE0ELb0ES3_N6thrust23THRUST_200600_302600_NS6detail15normal_iteratorINS9_10device_ptrIsEEEESE_SE_sNS9_4plusIvEENS9_8equal_toIsEEsEE10hipError_tPvRmT2_T3_T4_T5_mT6_T7_P12ihipStream_tbENKUlT_T0_E_clISt17integral_constantIbLb0EESZ_EEDaSU_SV_EUlSU_E_NS1_11comp_targetILNS1_3genE9ELNS1_11target_archE1100ELNS1_3gpuE3ELNS1_3repE0EEENS1_30default_config_static_selectorELNS0_4arch9wavefront6targetE0EEEvT1_
	.p2align	8
	.type	_ZN7rocprim17ROCPRIM_400000_NS6detail17trampoline_kernelINS0_14default_configENS1_27scan_by_key_config_selectorIssEEZZNS1_16scan_by_key_implILNS1_25lookback_scan_determinismE0ELb0ES3_N6thrust23THRUST_200600_302600_NS6detail15normal_iteratorINS9_10device_ptrIsEEEESE_SE_sNS9_4plusIvEENS9_8equal_toIsEEsEE10hipError_tPvRmT2_T3_T4_T5_mT6_T7_P12ihipStream_tbENKUlT_T0_E_clISt17integral_constantIbLb0EESZ_EEDaSU_SV_EUlSU_E_NS1_11comp_targetILNS1_3genE9ELNS1_11target_archE1100ELNS1_3gpuE3ELNS1_3repE0EEENS1_30default_config_static_selectorELNS0_4arch9wavefront6targetE0EEEvT1_,@function
_ZN7rocprim17ROCPRIM_400000_NS6detail17trampoline_kernelINS0_14default_configENS1_27scan_by_key_config_selectorIssEEZZNS1_16scan_by_key_implILNS1_25lookback_scan_determinismE0ELb0ES3_N6thrust23THRUST_200600_302600_NS6detail15normal_iteratorINS9_10device_ptrIsEEEESE_SE_sNS9_4plusIvEENS9_8equal_toIsEEsEE10hipError_tPvRmT2_T3_T4_T5_mT6_T7_P12ihipStream_tbENKUlT_T0_E_clISt17integral_constantIbLb0EESZ_EEDaSU_SV_EUlSU_E_NS1_11comp_targetILNS1_3genE9ELNS1_11target_archE1100ELNS1_3gpuE3ELNS1_3repE0EEENS1_30default_config_static_selectorELNS0_4arch9wavefront6targetE0EEEvT1_: ; @_ZN7rocprim17ROCPRIM_400000_NS6detail17trampoline_kernelINS0_14default_configENS1_27scan_by_key_config_selectorIssEEZZNS1_16scan_by_key_implILNS1_25lookback_scan_determinismE0ELb0ES3_N6thrust23THRUST_200600_302600_NS6detail15normal_iteratorINS9_10device_ptrIsEEEESE_SE_sNS9_4plusIvEENS9_8equal_toIsEEsEE10hipError_tPvRmT2_T3_T4_T5_mT6_T7_P12ihipStream_tbENKUlT_T0_E_clISt17integral_constantIbLb0EESZ_EEDaSU_SV_EUlSU_E_NS1_11comp_targetILNS1_3genE9ELNS1_11target_archE1100ELNS1_3gpuE3ELNS1_3repE0EEENS1_30default_config_static_selectorELNS0_4arch9wavefront6targetE0EEEvT1_
; %bb.0:
	.section	.rodata,"a",@progbits
	.p2align	6, 0x0
	.amdhsa_kernel _ZN7rocprim17ROCPRIM_400000_NS6detail17trampoline_kernelINS0_14default_configENS1_27scan_by_key_config_selectorIssEEZZNS1_16scan_by_key_implILNS1_25lookback_scan_determinismE0ELb0ES3_N6thrust23THRUST_200600_302600_NS6detail15normal_iteratorINS9_10device_ptrIsEEEESE_SE_sNS9_4plusIvEENS9_8equal_toIsEEsEE10hipError_tPvRmT2_T3_T4_T5_mT6_T7_P12ihipStream_tbENKUlT_T0_E_clISt17integral_constantIbLb0EESZ_EEDaSU_SV_EUlSU_E_NS1_11comp_targetILNS1_3genE9ELNS1_11target_archE1100ELNS1_3gpuE3ELNS1_3repE0EEENS1_30default_config_static_selectorELNS0_4arch9wavefront6targetE0EEEvT1_
		.amdhsa_group_segment_fixed_size 0
		.amdhsa_private_segment_fixed_size 0
		.amdhsa_kernarg_size 112
		.amdhsa_user_sgpr_count 6
		.amdhsa_user_sgpr_private_segment_buffer 1
		.amdhsa_user_sgpr_dispatch_ptr 0
		.amdhsa_user_sgpr_queue_ptr 0
		.amdhsa_user_sgpr_kernarg_segment_ptr 1
		.amdhsa_user_sgpr_dispatch_id 0
		.amdhsa_user_sgpr_flat_scratch_init 0
		.amdhsa_user_sgpr_private_segment_size 0
		.amdhsa_wavefront_size32 1
		.amdhsa_uses_dynamic_stack 0
		.amdhsa_system_sgpr_private_segment_wavefront_offset 0
		.amdhsa_system_sgpr_workgroup_id_x 1
		.amdhsa_system_sgpr_workgroup_id_y 0
		.amdhsa_system_sgpr_workgroup_id_z 0
		.amdhsa_system_sgpr_workgroup_info 0
		.amdhsa_system_vgpr_workitem_id 0
		.amdhsa_next_free_vgpr 1
		.amdhsa_next_free_sgpr 1
		.amdhsa_reserve_vcc 0
		.amdhsa_reserve_flat_scratch 0
		.amdhsa_float_round_mode_32 0
		.amdhsa_float_round_mode_16_64 0
		.amdhsa_float_denorm_mode_32 3
		.amdhsa_float_denorm_mode_16_64 3
		.amdhsa_dx10_clamp 1
		.amdhsa_ieee_mode 1
		.amdhsa_fp16_overflow 0
		.amdhsa_workgroup_processor_mode 1
		.amdhsa_memory_ordered 1
		.amdhsa_forward_progress 1
		.amdhsa_shared_vgpr_count 0
		.amdhsa_exception_fp_ieee_invalid_op 0
		.amdhsa_exception_fp_denorm_src 0
		.amdhsa_exception_fp_ieee_div_zero 0
		.amdhsa_exception_fp_ieee_overflow 0
		.amdhsa_exception_fp_ieee_underflow 0
		.amdhsa_exception_fp_ieee_inexact 0
		.amdhsa_exception_int_div_zero 0
	.end_amdhsa_kernel
	.section	.text._ZN7rocprim17ROCPRIM_400000_NS6detail17trampoline_kernelINS0_14default_configENS1_27scan_by_key_config_selectorIssEEZZNS1_16scan_by_key_implILNS1_25lookback_scan_determinismE0ELb0ES3_N6thrust23THRUST_200600_302600_NS6detail15normal_iteratorINS9_10device_ptrIsEEEESE_SE_sNS9_4plusIvEENS9_8equal_toIsEEsEE10hipError_tPvRmT2_T3_T4_T5_mT6_T7_P12ihipStream_tbENKUlT_T0_E_clISt17integral_constantIbLb0EESZ_EEDaSU_SV_EUlSU_E_NS1_11comp_targetILNS1_3genE9ELNS1_11target_archE1100ELNS1_3gpuE3ELNS1_3repE0EEENS1_30default_config_static_selectorELNS0_4arch9wavefront6targetE0EEEvT1_,"axG",@progbits,_ZN7rocprim17ROCPRIM_400000_NS6detail17trampoline_kernelINS0_14default_configENS1_27scan_by_key_config_selectorIssEEZZNS1_16scan_by_key_implILNS1_25lookback_scan_determinismE0ELb0ES3_N6thrust23THRUST_200600_302600_NS6detail15normal_iteratorINS9_10device_ptrIsEEEESE_SE_sNS9_4plusIvEENS9_8equal_toIsEEsEE10hipError_tPvRmT2_T3_T4_T5_mT6_T7_P12ihipStream_tbENKUlT_T0_E_clISt17integral_constantIbLb0EESZ_EEDaSU_SV_EUlSU_E_NS1_11comp_targetILNS1_3genE9ELNS1_11target_archE1100ELNS1_3gpuE3ELNS1_3repE0EEENS1_30default_config_static_selectorELNS0_4arch9wavefront6targetE0EEEvT1_,comdat
.Lfunc_end324:
	.size	_ZN7rocprim17ROCPRIM_400000_NS6detail17trampoline_kernelINS0_14default_configENS1_27scan_by_key_config_selectorIssEEZZNS1_16scan_by_key_implILNS1_25lookback_scan_determinismE0ELb0ES3_N6thrust23THRUST_200600_302600_NS6detail15normal_iteratorINS9_10device_ptrIsEEEESE_SE_sNS9_4plusIvEENS9_8equal_toIsEEsEE10hipError_tPvRmT2_T3_T4_T5_mT6_T7_P12ihipStream_tbENKUlT_T0_E_clISt17integral_constantIbLb0EESZ_EEDaSU_SV_EUlSU_E_NS1_11comp_targetILNS1_3genE9ELNS1_11target_archE1100ELNS1_3gpuE3ELNS1_3repE0EEENS1_30default_config_static_selectorELNS0_4arch9wavefront6targetE0EEEvT1_, .Lfunc_end324-_ZN7rocprim17ROCPRIM_400000_NS6detail17trampoline_kernelINS0_14default_configENS1_27scan_by_key_config_selectorIssEEZZNS1_16scan_by_key_implILNS1_25lookback_scan_determinismE0ELb0ES3_N6thrust23THRUST_200600_302600_NS6detail15normal_iteratorINS9_10device_ptrIsEEEESE_SE_sNS9_4plusIvEENS9_8equal_toIsEEsEE10hipError_tPvRmT2_T3_T4_T5_mT6_T7_P12ihipStream_tbENKUlT_T0_E_clISt17integral_constantIbLb0EESZ_EEDaSU_SV_EUlSU_E_NS1_11comp_targetILNS1_3genE9ELNS1_11target_archE1100ELNS1_3gpuE3ELNS1_3repE0EEENS1_30default_config_static_selectorELNS0_4arch9wavefront6targetE0EEEvT1_
                                        ; -- End function
	.set _ZN7rocprim17ROCPRIM_400000_NS6detail17trampoline_kernelINS0_14default_configENS1_27scan_by_key_config_selectorIssEEZZNS1_16scan_by_key_implILNS1_25lookback_scan_determinismE0ELb0ES3_N6thrust23THRUST_200600_302600_NS6detail15normal_iteratorINS9_10device_ptrIsEEEESE_SE_sNS9_4plusIvEENS9_8equal_toIsEEsEE10hipError_tPvRmT2_T3_T4_T5_mT6_T7_P12ihipStream_tbENKUlT_T0_E_clISt17integral_constantIbLb0EESZ_EEDaSU_SV_EUlSU_E_NS1_11comp_targetILNS1_3genE9ELNS1_11target_archE1100ELNS1_3gpuE3ELNS1_3repE0EEENS1_30default_config_static_selectorELNS0_4arch9wavefront6targetE0EEEvT1_.num_vgpr, 0
	.set _ZN7rocprim17ROCPRIM_400000_NS6detail17trampoline_kernelINS0_14default_configENS1_27scan_by_key_config_selectorIssEEZZNS1_16scan_by_key_implILNS1_25lookback_scan_determinismE0ELb0ES3_N6thrust23THRUST_200600_302600_NS6detail15normal_iteratorINS9_10device_ptrIsEEEESE_SE_sNS9_4plusIvEENS9_8equal_toIsEEsEE10hipError_tPvRmT2_T3_T4_T5_mT6_T7_P12ihipStream_tbENKUlT_T0_E_clISt17integral_constantIbLb0EESZ_EEDaSU_SV_EUlSU_E_NS1_11comp_targetILNS1_3genE9ELNS1_11target_archE1100ELNS1_3gpuE3ELNS1_3repE0EEENS1_30default_config_static_selectorELNS0_4arch9wavefront6targetE0EEEvT1_.num_agpr, 0
	.set _ZN7rocprim17ROCPRIM_400000_NS6detail17trampoline_kernelINS0_14default_configENS1_27scan_by_key_config_selectorIssEEZZNS1_16scan_by_key_implILNS1_25lookback_scan_determinismE0ELb0ES3_N6thrust23THRUST_200600_302600_NS6detail15normal_iteratorINS9_10device_ptrIsEEEESE_SE_sNS9_4plusIvEENS9_8equal_toIsEEsEE10hipError_tPvRmT2_T3_T4_T5_mT6_T7_P12ihipStream_tbENKUlT_T0_E_clISt17integral_constantIbLb0EESZ_EEDaSU_SV_EUlSU_E_NS1_11comp_targetILNS1_3genE9ELNS1_11target_archE1100ELNS1_3gpuE3ELNS1_3repE0EEENS1_30default_config_static_selectorELNS0_4arch9wavefront6targetE0EEEvT1_.numbered_sgpr, 0
	.set _ZN7rocprim17ROCPRIM_400000_NS6detail17trampoline_kernelINS0_14default_configENS1_27scan_by_key_config_selectorIssEEZZNS1_16scan_by_key_implILNS1_25lookback_scan_determinismE0ELb0ES3_N6thrust23THRUST_200600_302600_NS6detail15normal_iteratorINS9_10device_ptrIsEEEESE_SE_sNS9_4plusIvEENS9_8equal_toIsEEsEE10hipError_tPvRmT2_T3_T4_T5_mT6_T7_P12ihipStream_tbENKUlT_T0_E_clISt17integral_constantIbLb0EESZ_EEDaSU_SV_EUlSU_E_NS1_11comp_targetILNS1_3genE9ELNS1_11target_archE1100ELNS1_3gpuE3ELNS1_3repE0EEENS1_30default_config_static_selectorELNS0_4arch9wavefront6targetE0EEEvT1_.num_named_barrier, 0
	.set _ZN7rocprim17ROCPRIM_400000_NS6detail17trampoline_kernelINS0_14default_configENS1_27scan_by_key_config_selectorIssEEZZNS1_16scan_by_key_implILNS1_25lookback_scan_determinismE0ELb0ES3_N6thrust23THRUST_200600_302600_NS6detail15normal_iteratorINS9_10device_ptrIsEEEESE_SE_sNS9_4plusIvEENS9_8equal_toIsEEsEE10hipError_tPvRmT2_T3_T4_T5_mT6_T7_P12ihipStream_tbENKUlT_T0_E_clISt17integral_constantIbLb0EESZ_EEDaSU_SV_EUlSU_E_NS1_11comp_targetILNS1_3genE9ELNS1_11target_archE1100ELNS1_3gpuE3ELNS1_3repE0EEENS1_30default_config_static_selectorELNS0_4arch9wavefront6targetE0EEEvT1_.private_seg_size, 0
	.set _ZN7rocprim17ROCPRIM_400000_NS6detail17trampoline_kernelINS0_14default_configENS1_27scan_by_key_config_selectorIssEEZZNS1_16scan_by_key_implILNS1_25lookback_scan_determinismE0ELb0ES3_N6thrust23THRUST_200600_302600_NS6detail15normal_iteratorINS9_10device_ptrIsEEEESE_SE_sNS9_4plusIvEENS9_8equal_toIsEEsEE10hipError_tPvRmT2_T3_T4_T5_mT6_T7_P12ihipStream_tbENKUlT_T0_E_clISt17integral_constantIbLb0EESZ_EEDaSU_SV_EUlSU_E_NS1_11comp_targetILNS1_3genE9ELNS1_11target_archE1100ELNS1_3gpuE3ELNS1_3repE0EEENS1_30default_config_static_selectorELNS0_4arch9wavefront6targetE0EEEvT1_.uses_vcc, 0
	.set _ZN7rocprim17ROCPRIM_400000_NS6detail17trampoline_kernelINS0_14default_configENS1_27scan_by_key_config_selectorIssEEZZNS1_16scan_by_key_implILNS1_25lookback_scan_determinismE0ELb0ES3_N6thrust23THRUST_200600_302600_NS6detail15normal_iteratorINS9_10device_ptrIsEEEESE_SE_sNS9_4plusIvEENS9_8equal_toIsEEsEE10hipError_tPvRmT2_T3_T4_T5_mT6_T7_P12ihipStream_tbENKUlT_T0_E_clISt17integral_constantIbLb0EESZ_EEDaSU_SV_EUlSU_E_NS1_11comp_targetILNS1_3genE9ELNS1_11target_archE1100ELNS1_3gpuE3ELNS1_3repE0EEENS1_30default_config_static_selectorELNS0_4arch9wavefront6targetE0EEEvT1_.uses_flat_scratch, 0
	.set _ZN7rocprim17ROCPRIM_400000_NS6detail17trampoline_kernelINS0_14default_configENS1_27scan_by_key_config_selectorIssEEZZNS1_16scan_by_key_implILNS1_25lookback_scan_determinismE0ELb0ES3_N6thrust23THRUST_200600_302600_NS6detail15normal_iteratorINS9_10device_ptrIsEEEESE_SE_sNS9_4plusIvEENS9_8equal_toIsEEsEE10hipError_tPvRmT2_T3_T4_T5_mT6_T7_P12ihipStream_tbENKUlT_T0_E_clISt17integral_constantIbLb0EESZ_EEDaSU_SV_EUlSU_E_NS1_11comp_targetILNS1_3genE9ELNS1_11target_archE1100ELNS1_3gpuE3ELNS1_3repE0EEENS1_30default_config_static_selectorELNS0_4arch9wavefront6targetE0EEEvT1_.has_dyn_sized_stack, 0
	.set _ZN7rocprim17ROCPRIM_400000_NS6detail17trampoline_kernelINS0_14default_configENS1_27scan_by_key_config_selectorIssEEZZNS1_16scan_by_key_implILNS1_25lookback_scan_determinismE0ELb0ES3_N6thrust23THRUST_200600_302600_NS6detail15normal_iteratorINS9_10device_ptrIsEEEESE_SE_sNS9_4plusIvEENS9_8equal_toIsEEsEE10hipError_tPvRmT2_T3_T4_T5_mT6_T7_P12ihipStream_tbENKUlT_T0_E_clISt17integral_constantIbLb0EESZ_EEDaSU_SV_EUlSU_E_NS1_11comp_targetILNS1_3genE9ELNS1_11target_archE1100ELNS1_3gpuE3ELNS1_3repE0EEENS1_30default_config_static_selectorELNS0_4arch9wavefront6targetE0EEEvT1_.has_recursion, 0
	.set _ZN7rocprim17ROCPRIM_400000_NS6detail17trampoline_kernelINS0_14default_configENS1_27scan_by_key_config_selectorIssEEZZNS1_16scan_by_key_implILNS1_25lookback_scan_determinismE0ELb0ES3_N6thrust23THRUST_200600_302600_NS6detail15normal_iteratorINS9_10device_ptrIsEEEESE_SE_sNS9_4plusIvEENS9_8equal_toIsEEsEE10hipError_tPvRmT2_T3_T4_T5_mT6_T7_P12ihipStream_tbENKUlT_T0_E_clISt17integral_constantIbLb0EESZ_EEDaSU_SV_EUlSU_E_NS1_11comp_targetILNS1_3genE9ELNS1_11target_archE1100ELNS1_3gpuE3ELNS1_3repE0EEENS1_30default_config_static_selectorELNS0_4arch9wavefront6targetE0EEEvT1_.has_indirect_call, 0
	.section	.AMDGPU.csdata,"",@progbits
; Kernel info:
; codeLenInByte = 0
; TotalNumSgprs: 0
; NumVgprs: 0
; ScratchSize: 0
; MemoryBound: 0
; FloatMode: 240
; IeeeMode: 1
; LDSByteSize: 0 bytes/workgroup (compile time only)
; SGPRBlocks: 0
; VGPRBlocks: 0
; NumSGPRsForWavesPerEU: 1
; NumVGPRsForWavesPerEU: 1
; Occupancy: 16
; WaveLimiterHint : 0
; COMPUTE_PGM_RSRC2:SCRATCH_EN: 0
; COMPUTE_PGM_RSRC2:USER_SGPR: 6
; COMPUTE_PGM_RSRC2:TRAP_HANDLER: 0
; COMPUTE_PGM_RSRC2:TGID_X_EN: 1
; COMPUTE_PGM_RSRC2:TGID_Y_EN: 0
; COMPUTE_PGM_RSRC2:TGID_Z_EN: 0
; COMPUTE_PGM_RSRC2:TIDIG_COMP_CNT: 0
	.section	.text._ZN7rocprim17ROCPRIM_400000_NS6detail17trampoline_kernelINS0_14default_configENS1_27scan_by_key_config_selectorIssEEZZNS1_16scan_by_key_implILNS1_25lookback_scan_determinismE0ELb0ES3_N6thrust23THRUST_200600_302600_NS6detail15normal_iteratorINS9_10device_ptrIsEEEESE_SE_sNS9_4plusIvEENS9_8equal_toIsEEsEE10hipError_tPvRmT2_T3_T4_T5_mT6_T7_P12ihipStream_tbENKUlT_T0_E_clISt17integral_constantIbLb0EESZ_EEDaSU_SV_EUlSU_E_NS1_11comp_targetILNS1_3genE8ELNS1_11target_archE1030ELNS1_3gpuE2ELNS1_3repE0EEENS1_30default_config_static_selectorELNS0_4arch9wavefront6targetE0EEEvT1_,"axG",@progbits,_ZN7rocprim17ROCPRIM_400000_NS6detail17trampoline_kernelINS0_14default_configENS1_27scan_by_key_config_selectorIssEEZZNS1_16scan_by_key_implILNS1_25lookback_scan_determinismE0ELb0ES3_N6thrust23THRUST_200600_302600_NS6detail15normal_iteratorINS9_10device_ptrIsEEEESE_SE_sNS9_4plusIvEENS9_8equal_toIsEEsEE10hipError_tPvRmT2_T3_T4_T5_mT6_T7_P12ihipStream_tbENKUlT_T0_E_clISt17integral_constantIbLb0EESZ_EEDaSU_SV_EUlSU_E_NS1_11comp_targetILNS1_3genE8ELNS1_11target_archE1030ELNS1_3gpuE2ELNS1_3repE0EEENS1_30default_config_static_selectorELNS0_4arch9wavefront6targetE0EEEvT1_,comdat
	.protected	_ZN7rocprim17ROCPRIM_400000_NS6detail17trampoline_kernelINS0_14default_configENS1_27scan_by_key_config_selectorIssEEZZNS1_16scan_by_key_implILNS1_25lookback_scan_determinismE0ELb0ES3_N6thrust23THRUST_200600_302600_NS6detail15normal_iteratorINS9_10device_ptrIsEEEESE_SE_sNS9_4plusIvEENS9_8equal_toIsEEsEE10hipError_tPvRmT2_T3_T4_T5_mT6_T7_P12ihipStream_tbENKUlT_T0_E_clISt17integral_constantIbLb0EESZ_EEDaSU_SV_EUlSU_E_NS1_11comp_targetILNS1_3genE8ELNS1_11target_archE1030ELNS1_3gpuE2ELNS1_3repE0EEENS1_30default_config_static_selectorELNS0_4arch9wavefront6targetE0EEEvT1_ ; -- Begin function _ZN7rocprim17ROCPRIM_400000_NS6detail17trampoline_kernelINS0_14default_configENS1_27scan_by_key_config_selectorIssEEZZNS1_16scan_by_key_implILNS1_25lookback_scan_determinismE0ELb0ES3_N6thrust23THRUST_200600_302600_NS6detail15normal_iteratorINS9_10device_ptrIsEEEESE_SE_sNS9_4plusIvEENS9_8equal_toIsEEsEE10hipError_tPvRmT2_T3_T4_T5_mT6_T7_P12ihipStream_tbENKUlT_T0_E_clISt17integral_constantIbLb0EESZ_EEDaSU_SV_EUlSU_E_NS1_11comp_targetILNS1_3genE8ELNS1_11target_archE1030ELNS1_3gpuE2ELNS1_3repE0EEENS1_30default_config_static_selectorELNS0_4arch9wavefront6targetE0EEEvT1_
	.globl	_ZN7rocprim17ROCPRIM_400000_NS6detail17trampoline_kernelINS0_14default_configENS1_27scan_by_key_config_selectorIssEEZZNS1_16scan_by_key_implILNS1_25lookback_scan_determinismE0ELb0ES3_N6thrust23THRUST_200600_302600_NS6detail15normal_iteratorINS9_10device_ptrIsEEEESE_SE_sNS9_4plusIvEENS9_8equal_toIsEEsEE10hipError_tPvRmT2_T3_T4_T5_mT6_T7_P12ihipStream_tbENKUlT_T0_E_clISt17integral_constantIbLb0EESZ_EEDaSU_SV_EUlSU_E_NS1_11comp_targetILNS1_3genE8ELNS1_11target_archE1030ELNS1_3gpuE2ELNS1_3repE0EEENS1_30default_config_static_selectorELNS0_4arch9wavefront6targetE0EEEvT1_
	.p2align	8
	.type	_ZN7rocprim17ROCPRIM_400000_NS6detail17trampoline_kernelINS0_14default_configENS1_27scan_by_key_config_selectorIssEEZZNS1_16scan_by_key_implILNS1_25lookback_scan_determinismE0ELb0ES3_N6thrust23THRUST_200600_302600_NS6detail15normal_iteratorINS9_10device_ptrIsEEEESE_SE_sNS9_4plusIvEENS9_8equal_toIsEEsEE10hipError_tPvRmT2_T3_T4_T5_mT6_T7_P12ihipStream_tbENKUlT_T0_E_clISt17integral_constantIbLb0EESZ_EEDaSU_SV_EUlSU_E_NS1_11comp_targetILNS1_3genE8ELNS1_11target_archE1030ELNS1_3gpuE2ELNS1_3repE0EEENS1_30default_config_static_selectorELNS0_4arch9wavefront6targetE0EEEvT1_,@function
_ZN7rocprim17ROCPRIM_400000_NS6detail17trampoline_kernelINS0_14default_configENS1_27scan_by_key_config_selectorIssEEZZNS1_16scan_by_key_implILNS1_25lookback_scan_determinismE0ELb0ES3_N6thrust23THRUST_200600_302600_NS6detail15normal_iteratorINS9_10device_ptrIsEEEESE_SE_sNS9_4plusIvEENS9_8equal_toIsEEsEE10hipError_tPvRmT2_T3_T4_T5_mT6_T7_P12ihipStream_tbENKUlT_T0_E_clISt17integral_constantIbLb0EESZ_EEDaSU_SV_EUlSU_E_NS1_11comp_targetILNS1_3genE8ELNS1_11target_archE1030ELNS1_3gpuE2ELNS1_3repE0EEENS1_30default_config_static_selectorELNS0_4arch9wavefront6targetE0EEEvT1_: ; @_ZN7rocprim17ROCPRIM_400000_NS6detail17trampoline_kernelINS0_14default_configENS1_27scan_by_key_config_selectorIssEEZZNS1_16scan_by_key_implILNS1_25lookback_scan_determinismE0ELb0ES3_N6thrust23THRUST_200600_302600_NS6detail15normal_iteratorINS9_10device_ptrIsEEEESE_SE_sNS9_4plusIvEENS9_8equal_toIsEEsEE10hipError_tPvRmT2_T3_T4_T5_mT6_T7_P12ihipStream_tbENKUlT_T0_E_clISt17integral_constantIbLb0EESZ_EEDaSU_SV_EUlSU_E_NS1_11comp_targetILNS1_3genE8ELNS1_11target_archE1030ELNS1_3gpuE2ELNS1_3repE0EEENS1_30default_config_static_selectorELNS0_4arch9wavefront6targetE0EEEvT1_
; %bb.0:
	s_clause 0x4
	s_load_dwordx8 s[8:15], s[4:5], 0x0
	s_load_dwordx2 s[30:31], s[4:5], 0x38
	s_load_dword s2, s[4:5], 0x40
	s_load_dwordx8 s[16:23], s[4:5], 0x48
	s_load_dwordx4 s[24:27], s[4:5], 0x28
	s_mov_b32 s1, 0
	s_waitcnt lgkmcnt(0)
	s_barrier
	buffer_gl0_inv
	s_lshl_b64 s[28:29], s[10:11], 1
	s_add_u32 s4, s8, s28
	s_mul_i32 s0, s31, s2
	s_mul_hi_u32 s3, s30, s2
	s_addc_u32 s5, s9, s29
	s_add_u32 s7, s12, s28
	s_addc_u32 s8, s13, s29
	s_add_i32 s3, s3, s0
	s_cmp_lg_u64 s[20:21], 0
	s_mul_i32 s0, s6, 0x280
	s_cselect_b32 s37, -1, 0
	s_lshl_b64 s[12:13], s[0:1], 1
	s_mul_i32 s0, s30, s2
	s_add_u32 s20, s4, s12
	s_addc_u32 s21, s5, s13
	s_add_u32 s11, s7, s12
	s_addc_u32 s36, s8, s13
	;; [unrolled: 2-line block ×3, first 2 shown]
	s_add_u32 s2, s16, -1
	s_addc_u32 s3, s17, -1
	s_mul_i32 s33, s2, 0xfffffd80
	v_cmp_ge_u64_e64 s27, s[34:35], s[2:3]
	s_and_b32 vcc_lo, exec_lo, s27
	s_cbranch_vccz .LBB325_57
; %bb.1:
	v_mov_b32_e32 v1, s20
	v_mov_b32_e32 v2, s21
	s_add_i32 s38, s33, s26
	v_cmp_gt_u32_e64 s10, s38, v0
	flat_load_ushort v1, v[1:2]
	s_waitcnt vmcnt(0) lgkmcnt(0)
	v_mov_b32_e32 v2, v1
	s_and_saveexec_b32 s0, s10
	s_cbranch_execz .LBB325_3
; %bb.2:
	v_lshlrev_b32_e32 v2, 1, v0
	v_add_co_u32 v2, s1, s20, v2
	v_add_co_ci_u32_e64 v3, null, s21, 0, s1
	flat_load_ushort v2, v[2:3]
.LBB325_3:
	s_or_b32 exec_lo, exec_lo, s0
	v_or_b32_e32 v3, 64, v0
	v_cmp_gt_u32_e64 s9, s38, v3
	v_mov_b32_e32 v3, v1
	s_and_saveexec_b32 s0, s9
	s_cbranch_execz .LBB325_5
; %bb.4:
	v_lshlrev_b32_e32 v3, 1, v0
	v_add_co_u32 v3, s1, s20, v3
	v_add_co_ci_u32_e64 v4, null, s21, 0, s1
	flat_load_ushort v3, v[3:4] offset:128
.LBB325_5:
	s_or_b32 exec_lo, exec_lo, s0
	v_or_b32_e32 v4, 0x80, v0
	v_cmp_gt_u32_e64 s8, s38, v4
	v_mov_b32_e32 v4, v1
	s_and_saveexec_b32 s0, s8
	s_cbranch_execz .LBB325_7
; %bb.6:
	v_lshlrev_b32_e32 v4, 1, v0
	v_add_co_u32 v4, s1, s20, v4
	v_add_co_ci_u32_e64 v5, null, s21, 0, s1
	flat_load_ushort v4, v[4:5] offset:256
.LBB325_7:
	;; [unrolled: 12-line block ×8, first 2 shown]
	s_or_b32 exec_lo, exec_lo, s0
	v_or_b32_e32 v11, 0x240, v0
	s_mov_b32 s16, exec_lo
	v_cmp_gt_u32_e64 s0, s38, v11
	v_cmpx_le_u32_e64 s38, v11
	s_xor_b32 s16, exec_lo, s16
	s_andn2_saveexec_b32 s16, s16
	s_cbranch_execz .LBB325_21
; %bb.20:
	v_lshlrev_b32_e32 v1, 1, v0
	v_add_co_u32 v11, s17, s20, v1
	v_add_co_ci_u32_e64 v12, null, s21, 0, s17
	flat_load_ushort v1, v[11:12] offset:1152
.LBB325_21:
	s_or_b32 exec_lo, exec_lo, s16
	v_lshlrev_b32_e32 v13, 1, v0
	s_cmp_eq_u64 s[34:35], 0
	s_mov_b64 s[16:17], s[20:21]
	s_waitcnt vmcnt(0) lgkmcnt(0)
	ds_write_b16 v13, v2
	ds_write_b16 v13, v3 offset:128
	ds_write_b16 v13, v4 offset:256
	;; [unrolled: 1-line block ×8, first 2 shown]
	v_mad_u32_u24 v23, v0, 18, v13
	ds_write_b16 v13, v1 offset:1152
	s_waitcnt lgkmcnt(0)
	s_barrier
	buffer_gl0_inv
	ds_read2_b32 v[11:12], v23 offset1:1
	ds_read2_b32 v[9:10], v23 offset0:2 offset1:3
	ds_read_b32 v22, v23 offset:16
	s_cbranch_scc1 .LBB325_25
; %bb.22:
	s_andn2_b32 vcc_lo, exec_lo, s37
	s_cbranch_vccnz .LBB325_197
; %bb.23:
	s_lshl_b64 s[16:17], s[34:35], 1
	s_add_u32 s16, s22, s16
	s_addc_u32 s17, s23, s17
	s_add_u32 s16, s16, -2
	s_addc_u32 s17, s17, -1
	s_cbranch_execnz .LBB325_25
.LBB325_24:
	s_add_u32 s16, s20, -2
	s_addc_u32 s17, s21, -1
.LBB325_25:
	v_mov_b32_e32 v1, s16
	v_mov_b32_e32 v2, s17
	s_waitcnt lgkmcnt(0)
	v_lshrrev_b32_e32 v24, 16, v22
	s_mov_b32 s16, exec_lo
	flat_load_ushort v28, v[1:2]
	v_mad_i32_i24 v1, 0xffffffee, v0, v23
	ds_write_b16 v1, v24 offset:1280
	s_waitcnt vmcnt(0) lgkmcnt(0)
	s_barrier
	buffer_gl0_inv
	v_cmpx_ne_u32_e32 0, v0
; %bb.26:
	v_mul_i32_i24_e32 v1, 0xffffffee, v0
	v_add_nc_u32_e32 v1, v23, v1
	ds_read_u16 v28, v1 offset:1278
; %bb.27:
	s_or_b32 exec_lo, exec_lo, s16
	v_mov_b32_e32 v1, 0
	v_lshlrev_b32_e32 v14, 1, v0
	s_waitcnt lgkmcnt(0)
	s_barrier
	buffer_gl0_inv
	v_mov_b32_e32 v2, v1
	v_mov_b32_e32 v3, v1
	;; [unrolled: 1-line block ×4, first 2 shown]
	s_and_saveexec_b32 s16, s10
	s_cbranch_execnz .LBB325_188
; %bb.28:
	s_or_b32 exec_lo, exec_lo, s16
	s_and_saveexec_b32 s10, s9
	s_cbranch_execnz .LBB325_189
.LBB325_29:
	s_or_b32 exec_lo, exec_lo, s10
	s_and_saveexec_b32 s9, s8
	s_cbranch_execnz .LBB325_190
.LBB325_30:
	s_or_b32 exec_lo, exec_lo, s9
	s_and_saveexec_b32 s8, s7
	s_cbranch_execnz .LBB325_191
.LBB325_31:
	s_or_b32 exec_lo, exec_lo, s8
	s_and_saveexec_b32 s7, s5
	s_cbranch_execnz .LBB325_192
.LBB325_32:
	s_or_b32 exec_lo, exec_lo, s7
	s_and_saveexec_b32 s5, s4
	s_cbranch_execnz .LBB325_193
.LBB325_33:
	s_or_b32 exec_lo, exec_lo, s5
	s_and_saveexec_b32 s4, s3
	s_cbranch_execnz .LBB325_194
.LBB325_34:
	s_or_b32 exec_lo, exec_lo, s4
	s_and_saveexec_b32 s3, s2
	s_cbranch_execnz .LBB325_195
.LBB325_35:
	s_or_b32 exec_lo, exec_lo, s3
	s_and_saveexec_b32 s2, s1
	s_cbranch_execnz .LBB325_196
.LBB325_36:
	s_or_b32 exec_lo, exec_lo, s2
	s_and_saveexec_b32 s1, s0
	s_cbranch_execz .LBB325_38
.LBB325_37:
	v_add_co_u32 v6, s0, s11, v14
	v_add_co_ci_u32_e64 v7, null, s36, 0, s0
	s_waitcnt vmcnt(0) lgkmcnt(0)
	flat_load_short_d16_hi v5, v[6:7] offset:1152
.LBB325_38:
	s_or_b32 exec_lo, exec_lo, s1
	v_mul_u32_u24_e32 v29, 10, v0
	s_waitcnt vmcnt(0) lgkmcnt(0)
	ds_write_b16 v13, v1
	ds_write_b16_d16_hi v13, v1 offset:128
	ds_write_b16 v13, v2 offset:256
	ds_write_b16_d16_hi v13, v2 offset:384
	ds_write_b16 v13, v3 offset:512
	;; [unrolled: 2-line block ×4, first 2 shown]
	ds_write_b16_d16_hi v13, v5 offset:1152
	v_mov_b32_e32 v18, 0
	v_mov_b32_e32 v1, 0
	;; [unrolled: 1-line block ×3, first 2 shown]
	v_cmp_gt_u32_e32 vcc_lo, s38, v29
	v_mov_b32_e32 v26, 0
	v_mov_b32_e32 v25, 0
	;; [unrolled: 1-line block ×13, first 2 shown]
	s_mov_b32 s0, 0
	s_mov_b32 s1, 0
	s_waitcnt lgkmcnt(0)
	s_barrier
	buffer_gl0_inv
                                        ; implicit-def: $sgpr2
                                        ; implicit-def: $vgpr7
	s_and_saveexec_b32 s3, vcc_lo
	s_cbranch_execz .LBB325_56
; %bb.39:
	ds_read_u16 v18, v23
	v_cmp_eq_u16_e32 vcc_lo, v28, v11
	v_or_b32_e32 v2, 1, v29
	v_mov_b32_e32 v1, 0
	v_mov_b32_e32 v27, 0
	;; [unrolled: 1-line block ×3, first 2 shown]
	v_cndmask_b32_e64 v21, 0x10000, 0, vcc_lo
	v_mov_b32_e32 v25, 0
	v_mov_b32_e32 v8, 0
	;; [unrolled: 1-line block ×11, first 2 shown]
	s_mov_b32 s4, 0
	s_mov_b32 s1, exec_lo
                                        ; implicit-def: $sgpr2
                                        ; implicit-def: $vgpr7
	v_cmpx_gt_u32_e64 s38, v2
	s_cbranch_execz .LBB325_55
; %bb.40:
	ds_read_b128 v[1:4], v23 offset:2
	v_add_nc_u32_e32 v5, 2, v29
	v_cmp_eq_u16_sdwa s2, v11, v11 src0_sel:DWORD src1_sel:WORD_1
	v_mov_b32_e32 v27, 0
	v_mov_b32_e32 v26, 0
	;; [unrolled: 1-line block ×3, first 2 shown]
	v_cmp_gt_u32_e32 vcc_lo, s38, v5
	v_cndmask_b32_e64 v20, 0x10000, 0, s2
	v_mov_b32_e32 v8, 0
	v_mov_b32_e32 v6, 0
	;; [unrolled: 1-line block ×9, first 2 shown]
	s_mov_b32 s5, 0
                                        ; implicit-def: $sgpr2
                                        ; implicit-def: $vgpr7
	s_and_saveexec_b32 s4, vcc_lo
	s_cbranch_execz .LBB325_54
; %bb.41:
	v_add_nc_u32_e32 v5, 3, v29
	v_cmp_eq_u16_sdwa s2, v11, v12 src0_sel:WORD_1 src1_sel:DWORD
	v_mov_b32_e32 v26, 0
	v_mov_b32_e32 v25, 0
	;; [unrolled: 1-line block ×3, first 2 shown]
	v_cmp_gt_u32_e32 vcc_lo, s38, v5
	v_cndmask_b32_e64 v11, 0x10000, 0, s2
	v_mov_b32_e32 v6, 0
	v_mov_b32_e32 v5, 0
	;; [unrolled: 1-line block ×7, first 2 shown]
	s_mov_b32 s7, 0
                                        ; implicit-def: $sgpr2
                                        ; implicit-def: $vgpr7
	s_and_saveexec_b32 s5, vcc_lo
	s_cbranch_execz .LBB325_53
; %bb.42:
	v_add_nc_u32_e32 v5, 4, v29
	v_cmp_eq_u16_sdwa s2, v12, v12 src0_sel:DWORD src1_sel:WORD_1
	v_mov_b32_e32 v25, 0
	v_mov_b32_e32 v8, 0
	;; [unrolled: 1-line block ×3, first 2 shown]
	v_cmp_gt_u32_e32 vcc_lo, s38, v5
	v_cndmask_b32_e64 v17, 0x10000, 0, s2
	v_mov_b32_e32 v5, 0
	v_mov_b32_e32 v16, 0
	;; [unrolled: 1-line block ×5, first 2 shown]
	s_mov_b32 s8, 0
                                        ; implicit-def: $sgpr2
                                        ; implicit-def: $vgpr7
	s_and_saveexec_b32 s7, vcc_lo
	s_cbranch_execz .LBB325_52
; %bb.43:
	v_add_nc_u32_e32 v5, 5, v29
	v_cmp_eq_u16_sdwa s2, v12, v9 src0_sel:WORD_1 src1_sel:DWORD
	v_mov_b32_e32 v8, 0
	v_mov_b32_e32 v6, 0
	v_mov_b32_e32 v15, 0
	v_cmp_gt_u32_e32 vcc_lo, s38, v5
	v_cndmask_b32_e64 v12, 0x10000, 0, s2
	v_mov_b32_e32 v5, 0
	v_mov_b32_e32 v14, 0
	;; [unrolled: 1-line block ×3, first 2 shown]
	s_mov_b32 s9, 0
                                        ; implicit-def: $sgpr2
                                        ; implicit-def: $vgpr7
	s_and_saveexec_b32 s8, vcc_lo
	s_cbranch_execz .LBB325_51
; %bb.44:
	v_add_nc_u32_e32 v7, 6, v29
	v_cmp_eq_u16_sdwa s2, v9, v9 src0_sel:DWORD src1_sel:WORD_1
	v_mov_b32_e32 v6, 0
	v_mov_b32_e32 v5, 0
	;; [unrolled: 1-line block ×3, first 2 shown]
	v_cmp_gt_u32_e32 vcc_lo, s38, v7
	v_cndmask_b32_e64 v8, 0x10000, 0, s2
	v_mov_b32_e32 v13, 0
	s_mov_b32 s10, 0
                                        ; implicit-def: $sgpr2
                                        ; implicit-def: $vgpr7
	s_and_saveexec_b32 s9, vcc_lo
	s_cbranch_execz .LBB325_50
; %bb.45:
	v_add_nc_u32_e32 v7, 7, v29
	v_cmp_eq_u16_sdwa s2, v9, v10 src0_sel:WORD_1 src1_sel:DWORD
	v_mov_b32_e32 v5, 0
	v_mov_b32_e32 v13, 0
	s_mov_b32 s16, 0
	v_cmp_gt_u32_e32 vcc_lo, s38, v7
	v_cndmask_b32_e64 v6, 0x10000, 0, s2
                                        ; implicit-def: $sgpr2
                                        ; implicit-def: $vgpr7
	s_and_saveexec_b32 s10, vcc_lo
	s_cbranch_execz .LBB325_49
; %bb.46:
	v_add_nc_u32_e32 v7, 8, v29
	v_cmp_eq_u16_sdwa s2, v10, v10 src0_sel:DWORD src1_sel:WORD_1
	v_mov_b32_e32 v13, 0
	v_cmp_gt_u32_e32 vcc_lo, s38, v7
	v_cndmask_b32_e64 v5, 0x10000, 0, s2
                                        ; implicit-def: $sgpr2
                                        ; implicit-def: $vgpr7
	s_and_saveexec_b32 s17, vcc_lo
	s_xor_b32 s17, exec_lo, s17
	s_cbranch_execz .LBB325_48
; %bb.47:
	ds_read_u16 v7, v23 offset:18
	v_cmp_eq_u16_sdwa s2, v10, v22 src0_sel:WORD_1 src1_sel:DWORD
	v_add_nc_u32_e32 v9, 9, v29
	v_cndmask_b32_e64 v10, 0x10000, 0, s2
	v_cmp_gt_u32_e32 vcc_lo, s38, v9
	v_cmp_ne_u16_e64 s2, v22, v24
	s_waitcnt lgkmcnt(1)
	v_or_b32_sdwa v13, v10, v4 dst_sel:DWORD dst_unused:UNUSED_PAD src0_sel:DWORD src1_sel:WORD_1
	s_and_b32 s16, vcc_lo, exec_lo
.LBB325_48:
	s_or_b32 exec_lo, exec_lo, s17
	s_waitcnt lgkmcnt(0)
	v_and_or_b32 v5, 0xffff, v4, v5
	s_and_b32 s16, s16, exec_lo
.LBB325_49:
	s_or_b32 exec_lo, exec_lo, s10
	s_waitcnt lgkmcnt(0)
	v_or_b32_sdwa v6, v6, v3 dst_sel:DWORD dst_unused:UNUSED_PAD src0_sel:DWORD src1_sel:WORD_1
	v_mov_b32_e32 v14, v5
	s_and_b32 s10, s16, exec_lo
.LBB325_50:
	s_or_b32 exec_lo, exec_lo, s9
	s_waitcnt lgkmcnt(0)
	v_and_or_b32 v8, 0xffff, v3, v8
	v_mov_b32_e32 v15, v6
	s_and_b32 s9, s10, exec_lo
.LBB325_51:
	s_or_b32 exec_lo, exec_lo, s8
	s_waitcnt lgkmcnt(0)
	v_or_b32_sdwa v25, v12, v2 dst_sel:DWORD dst_unused:UNUSED_PAD src0_sel:DWORD src1_sel:WORD_1
	v_mov_b32_e32 v16, v8
	s_and_b32 s8, s9, exec_lo
.LBB325_52:
	s_or_b32 exec_lo, exec_lo, s7
	s_waitcnt lgkmcnt(0)
	v_and_or_b32 v26, 0xffff, v2, v17
	v_mov_b32_e32 v17, v25
	s_and_b32 s7, s8, exec_lo
.LBB325_53:
	s_or_b32 exec_lo, exec_lo, s5
	s_waitcnt lgkmcnt(0)
	v_or_b32_sdwa v27, v11, v1 dst_sel:DWORD dst_unused:UNUSED_PAD src0_sel:DWORD src1_sel:WORD_1
	v_mov_b32_e32 v19, v26
	s_and_b32 s5, s7, exec_lo
.LBB325_54:
	s_or_b32 exec_lo, exec_lo, s4
	s_waitcnt lgkmcnt(0)
	v_and_or_b32 v1, 0xffff, v1, v20
	v_mov_b32_e32 v20, v27
	s_and_b32 s4, s5, exec_lo
.LBB325_55:
	s_or_b32 exec_lo, exec_lo, s1
	s_waitcnt lgkmcnt(0)
	v_or_b32_e32 v18, v21, v18
	v_mov_b32_e32 v21, v1
	s_and_b32 s1, s4, exec_lo
.LBB325_56:
	s_or_b32 exec_lo, exec_lo, s3
	v_lshlrev_b32_e32 v9, 1, v0
	s_and_b32 vcc_lo, exec_lo, s0
	s_cbranch_vccnz .LBB325_58
	s_branch .LBB325_66
.LBB325_57:
                                        ; implicit-def: $sgpr2
                                        ; implicit-def: $vgpr7
                                        ; implicit-def: $vgpr18
                                        ; implicit-def: $vgpr1
                                        ; implicit-def: $vgpr27
                                        ; implicit-def: $vgpr26
                                        ; implicit-def: $vgpr25
                                        ; implicit-def: $vgpr8
                                        ; implicit-def: $vgpr6
                                        ; implicit-def: $vgpr5
                                        ; implicit-def: $vgpr21
                                        ; implicit-def: $vgpr20
                                        ; implicit-def: $vgpr19
                                        ; implicit-def: $vgpr17
                                        ; implicit-def: $vgpr16
                                        ; implicit-def: $vgpr15
                                        ; implicit-def: $vgpr14
                                        ; implicit-def: $vgpr13
	v_lshlrev_b32_e32 v9, 1, v0
	s_cbranch_execz .LBB325_66
.LBB325_58:
	v_add_co_u32 v1, s0, s20, v9
	v_add_co_ci_u32_e64 v2, null, s21, 0, s0
	v_mad_u32_u24 v6, v0, 18, v9
	s_cmp_eq_u64 s[34:35], 0
	s_clause 0x9
	flat_load_ushort v3, v[1:2]
	flat_load_ushort v4, v[1:2] offset:128
	flat_load_ushort v5, v[1:2] offset:256
	flat_load_ushort v7, v[1:2] offset:384
	flat_load_ushort v8, v[1:2] offset:512
	flat_load_ushort v10, v[1:2] offset:640
	flat_load_ushort v11, v[1:2] offset:768
	flat_load_ushort v12, v[1:2] offset:896
	flat_load_ushort v13, v[1:2] offset:1024
	flat_load_ushort v1, v[1:2] offset:1152
	s_waitcnt vmcnt(9) lgkmcnt(9)
	ds_write_b16 v9, v3
	s_waitcnt vmcnt(8) lgkmcnt(9)
	ds_write_b16 v9, v4 offset:128
	s_waitcnt vmcnt(7) lgkmcnt(9)
	ds_write_b16 v9, v5 offset:256
	s_waitcnt vmcnt(6) lgkmcnt(9)
	ds_write_b16 v9, v7 offset:384
	s_waitcnt vmcnt(5) lgkmcnt(9)
	ds_write_b16 v9, v8 offset:512
	s_waitcnt vmcnt(4) lgkmcnt(9)
	ds_write_b16 v9, v10 offset:640
	s_waitcnt vmcnt(3) lgkmcnt(9)
	ds_write_b16 v9, v11 offset:768
	s_waitcnt vmcnt(2) lgkmcnt(9)
	ds_write_b16 v9, v12 offset:896
	s_waitcnt vmcnt(1) lgkmcnt(9)
	ds_write_b16 v9, v13 offset:1024
	s_waitcnt vmcnt(0) lgkmcnt(9)
	ds_write_b16 v9, v1 offset:1152
	s_waitcnt lgkmcnt(0)
	s_barrier
	buffer_gl0_inv
	ds_read2_b32 v[3:4], v6 offset1:1
	ds_read2_b32 v[1:2], v6 offset0:2 offset1:3
	ds_read_b32 v5, v6 offset:16
	s_cbranch_scc1 .LBB325_63
; %bb.59:
	s_andn2_b32 vcc_lo, exec_lo, s37
	s_cbranch_vccnz .LBB325_198
; %bb.60:
	s_lshl_b64 s[0:1], s[34:35], 1
	s_add_u32 s0, s22, s0
	s_addc_u32 s1, s23, s1
	s_add_u32 s0, s0, -2
	s_addc_u32 s1, s1, -1
	s_cbranch_execnz .LBB325_62
.LBB325_61:
	s_add_u32 s0, s20, -2
	s_addc_u32 s1, s21, -1
.LBB325_62:
	s_mov_b64 s[20:21], s[0:1]
.LBB325_63:
	v_mov_b32_e32 v7, s20
	v_mov_b32_e32 v8, s21
	v_mad_i32_i24 v10, 0xffffffee, v0, v6
	s_mov_b32 s0, exec_lo
	flat_load_ushort v8, v[7:8]
	s_waitcnt lgkmcnt(1)
	v_lshrrev_b32_e32 v7, 16, v5
	ds_write_b16 v10, v7 offset:1280
	s_waitcnt vmcnt(0) lgkmcnt(0)
	s_barrier
	buffer_gl0_inv
	v_cmpx_ne_u32_e32 0, v0
; %bb.64:
	v_mul_i32_i24_e32 v8, 0xffffffee, v0
	v_add_nc_u32_e32 v8, v6, v8
	ds_read_u16 v8, v8 offset:1278
; %bb.65:
	s_or_b32 exec_lo, exec_lo, s0
	v_add_co_u32 v10, s0, s11, v9
	v_add_co_ci_u32_e64 v11, null, s36, 0, s0
	s_waitcnt lgkmcnt(0)
	s_barrier
	buffer_gl0_inv
	s_clause 0x9
	flat_load_ushort v12, v[10:11]
	flat_load_ushort v13, v[10:11] offset:128
	flat_load_ushort v14, v[10:11] offset:256
	;; [unrolled: 1-line block ×9, first 2 shown]
	v_cmp_eq_u16_sdwa s0, v3, v3 src0_sel:DWORD src1_sel:WORD_1
	v_cmp_eq_u16_e32 vcc_lo, v8, v3
	v_cmp_ne_u16_e64 s2, v5, v7
	s_mov_b32 s1, -1
	s_waitcnt vmcnt(9) lgkmcnt(9)
	ds_write_b16 v9, v12
	s_waitcnt vmcnt(8) lgkmcnt(9)
	ds_write_b16 v9, v13 offset:128
	s_waitcnt vmcnt(7) lgkmcnt(9)
	ds_write_b16 v9, v14 offset:256
	;; [unrolled: 2-line block ×9, first 2 shown]
	v_cndmask_b32_e64 v8, 0x10000, 0, s0
	v_cmp_eq_u16_sdwa s0, v3, v4 src0_sel:WORD_1 src1_sel:DWORD
	s_waitcnt lgkmcnt(0)
	s_barrier
	buffer_gl0_inv
	ds_read2_b32 v[10:11], v6 offset1:1
	ds_read2_b32 v[12:13], v6 offset0:2 offset1:3
	ds_read_b32 v14, v6 offset:16
	v_cndmask_b32_e64 v3, 0x10000, 0, s0
	v_cmp_eq_u16_sdwa s0, v4, v4 src0_sel:DWORD src1_sel:WORD_1
	v_cndmask_b32_e64 v6, 0x10000, 0, vcc_lo
	v_cndmask_b32_e64 v15, 0x10000, 0, s0
	v_cmp_eq_u16_sdwa s0, v4, v1 src0_sel:WORD_1 src1_sel:DWORD
	v_cndmask_b32_e64 v4, 0x10000, 0, s0
	v_cmp_eq_u16_sdwa s0, v1, v1 src0_sel:DWORD src1_sel:WORD_1
	s_waitcnt lgkmcnt(2)
	v_and_or_b32 v18, 0xffff, v10, v6
	v_cndmask_b32_e64 v16, 0x10000, 0, s0
	v_cmp_eq_u16_sdwa s0, v1, v2 src0_sel:WORD_1 src1_sel:DWORD
	v_or_b32_sdwa v1, v8, v10 dst_sel:DWORD dst_unused:UNUSED_PAD src0_sel:DWORD src1_sel:WORD_1
	v_and_or_b32 v27, 0xffff, v11, v3
	v_or_b32_sdwa v26, v15, v11 dst_sel:DWORD dst_unused:UNUSED_PAD src0_sel:DWORD src1_sel:WORD_1
	s_waitcnt lgkmcnt(1)
	v_and_or_b32 v25, 0xffff, v12, v4
	v_cndmask_b32_e64 v17, 0x10000, 0, s0
	v_cmp_eq_u16_sdwa s0, v2, v2 src0_sel:DWORD src1_sel:WORD_1
	v_or_b32_sdwa v8, v16, v12 dst_sel:DWORD dst_unused:UNUSED_PAD src0_sel:DWORD src1_sel:WORD_1
	s_waitcnt lgkmcnt(0)
	v_lshrrev_b32_e32 v7, 16, v14
	v_mov_b32_e32 v21, v1
	v_and_or_b32 v6, 0xffff, v13, v17
	v_cndmask_b32_e64 v19, 0x10000, 0, s0
	v_cmp_eq_u16_sdwa s0, v2, v5 src0_sel:WORD_1 src1_sel:DWORD
	v_mov_b32_e32 v20, v27
	v_mov_b32_e32 v17, v25
	;; [unrolled: 1-line block ×3, first 2 shown]
	v_or_b32_sdwa v5, v19, v13 dst_sel:DWORD dst_unused:UNUSED_PAD src0_sel:DWORD src1_sel:WORD_1
	v_cndmask_b32_e64 v2, 0x10000, 0, s0
	v_mov_b32_e32 v19, v26
	v_mov_b32_e32 v15, v6
	v_and_or_b32 v13, 0xffff, v14, v2
	v_mov_b32_e32 v14, v5
.LBB325_66:
	v_mov_b32_e32 v10, 0
	s_and_saveexec_b32 s0, s1
	s_cbranch_execz .LBB325_68
; %bb.67:
	v_cndmask_b32_e64 v2, 0, 0x10000, s2
	v_mov_b32_e32 v14, v5
	v_mov_b32_e32 v15, v6
	;; [unrolled: 1-line block ×4, first 2 shown]
	v_or_b32_sdwa v10, v2, v7 dst_sel:DWORD dst_unused:UNUSED_PAD src0_sel:DWORD src1_sel:WORD_0
	v_mov_b32_e32 v19, v26
	v_mov_b32_e32 v20, v27
	;; [unrolled: 1-line block ×3, first 2 shown]
.LBB325_68:
	s_or_b32 exec_lo, exec_lo, s0
	v_or3_b32 v1, v14, v13, v15
	v_cmp_gt_u32_e64 s9, 0x10000, v21
	v_cmp_gt_u32_e64 s8, 0x10000, v20
	;; [unrolled: 1-line block ×8, first 2 shown]
	v_or3_b32 v12, v1, v16, v17
	v_cmp_gt_u32_e64 s1, 0x10000, v10
	v_lshrrev_b32_e32 v11, 3, v0
	s_cmp_lg_u32 s6, 0
	v_cmp_gt_u32_e32 vcc_lo, 32, v0
	s_barrier
	buffer_gl0_inv
	s_cbranch_scc0 .LBB325_118
; %bb.69:
	v_cndmask_b32_e64 v1, 0, v18, s9
	v_or3_b32 v2, v12, v19, v20
	v_and_b32_e32 v3, 4, v11
	v_lshrrev_b32_e32 v22, 16, v18
	v_add_nc_u16 v1, v1, v21
	v_or3_b32 v2, v2, v21, v10
	v_lshl_add_u32 v3, v0, 2, v3
	v_cndmask_b32_e64 v1, 0, v1, s8
	v_and_b32_e32 v2, 0xff0000, v2
	v_add_nc_u16 v1, v1, v20
	v_cmp_eq_u32_e64 s10, 0, v2
	v_cndmask_b32_e64 v1, 0, v1, s7
	v_cndmask_b32_e64 v23, 1, v22, s10
	v_add_nc_u16 v1, v1, v19
	v_cndmask_b32_e64 v1, 0, v1, s5
	v_add_nc_u16 v1, v1, v17
	v_cndmask_b32_e64 v1, 0, v1, s4
	v_add_nc_u16 v1, v1, v16
	v_cndmask_b32_e64 v1, 0, v1, s3
	v_add_nc_u16 v1, v1, v15
	v_cndmask_b32_e64 v1, 0, v1, s2
	v_add_nc_u16 v1, v1, v14
	v_cndmask_b32_e64 v1, 0, v1, s0
	v_add_nc_u16 v1, v1, v13
	v_cndmask_b32_e64 v1, 0, v1, s1
	v_add_nc_u16 v24, v1, v10
	ds_write_b8 v3, v23 offset:2
	ds_write_b16 v3, v24
	s_waitcnt lgkmcnt(0)
	s_barrier
	buffer_gl0_inv
	s_and_saveexec_b32 s11, vcc_lo
	s_cbranch_execz .LBB325_81
; %bb.70:
	v_lshrrev_b32_e32 v1, 2, v0
	v_lshlrev_b32_e32 v2, 3, v0
	s_mov_b32 s16, exec_lo
	v_and_b32_e32 v1, 12, v1
	v_add_nc_u32_e32 v1, v1, v2
	ds_read_u8 v3, v1 offset:6
	ds_read_b32 v2, v1
	ds_read_u16 v4, v1 offset:4
	s_waitcnt lgkmcnt(2)
	v_cmp_eq_u16_e64 s10, 0, v3
	v_and_b32_e32 v6, 1, v3
	s_waitcnt lgkmcnt(1)
	v_and_b32_e32 v3, 0x10000, v2
	v_cndmask_b32_e64 v5, 0, v2, s10
	v_cmp_eq_u32_e64 s10, 1, v6
	v_mbcnt_lo_u32_b32 v6, -1, 0
	s_waitcnt lgkmcnt(0)
	v_add_nc_u16 v5, v5, v4
	v_and_b32_e32 v4, 0xff000000, v2
	v_cndmask_b32_e64 v7, v3, 0x10000, s10
	v_and_b32_e32 v8, 0xffff, v5
	v_or_b32_e32 v25, v7, v4
	v_or3_b32 v26, v4, v8, v7
	v_and_b32_e32 v7, 15, v6
	v_lshrrev_b32_e32 v8, 16, v25
	v_mov_b32_dpp v27, v26 row_shr:1 row_mask:0xf bank_mask:0xf
	v_cmpx_ne_u32_e32 0, v7
	s_cbranch_execz .LBB325_72
; %bb.71:
	v_mov_b32_e32 v8, 0xff
	v_mov_b32_e32 v26, 1
	v_and_b32_sdwa v8, v25, v8 dst_sel:DWORD dst_unused:UNUSED_PAD src0_sel:WORD_1 src1_sel:DWORD
	v_and_b32_e32 v25, 0x10000, v25
	v_and_b32_sdwa v26, v27, v26 dst_sel:DWORD dst_unused:UNUSED_PAD src0_sel:WORD_1 src1_sel:DWORD
	v_cmp_eq_u16_e64 s10, 0, v8
	v_cndmask_b32_e64 v27, 0, v27, s10
	v_cmp_ne_u32_e64 s10, 0, v25
	v_add_nc_u16 v5, v27, v5
	v_cndmask_b32_e64 v8, v26, 1, s10
	v_and_b32_e32 v26, 0xffff, v5
	v_lshlrev_b32_e32 v25, 16, v8
	v_or3_b32 v26, v25, v26, v4
.LBB325_72:
	s_or_b32 exec_lo, exec_lo, s16
	v_lshrrev_b32_e32 v25, 16, v26
	v_mov_b32_dpp v27, v26 row_shr:2 row_mask:0xf bank_mask:0xf
	s_mov_b32 s16, exec_lo
	v_cmpx_lt_u32_e32 1, v7
	s_cbranch_execz .LBB325_74
; %bb.73:
	v_mov_b32_e32 v28, 0
	v_mov_b32_e32 v8, 1
	v_and_b32_e32 v26, 0x10000, v26
	v_cmp_eq_u16_sdwa s10, v25, v28 src0_sel:BYTE_0 src1_sel:DWORD
	v_and_b32_sdwa v8, v27, v8 dst_sel:DWORD dst_unused:UNUSED_PAD src0_sel:WORD_1 src1_sel:DWORD
	v_cndmask_b32_e64 v25, 0, v27, s10
	v_cmp_ne_u32_e64 s10, 0, v26
	v_add_nc_u16 v5, v25, v5
	v_cndmask_b32_e64 v8, v8, 1, s10
	v_and_b32_e32 v26, 0xffff, v5
	v_lshlrev_b32_e32 v25, 16, v8
	v_or3_b32 v26, v25, v26, v4
	v_mov_b32_e32 v25, v8
.LBB325_74:
	s_or_b32 exec_lo, exec_lo, s16
	v_mov_b32_dpp v27, v26 row_shr:4 row_mask:0xf bank_mask:0xf
	s_mov_b32 s16, exec_lo
	v_cmpx_lt_u32_e32 3, v7
	s_cbranch_execz .LBB325_76
; %bb.75:
	v_mov_b32_e32 v26, 0
	v_mov_b32_e32 v8, 1
	v_and_b32_e32 v28, 1, v25
	v_cmp_eq_u16_sdwa s10, v25, v26 src0_sel:BYTE_0 src1_sel:DWORD
	v_and_b32_sdwa v8, v27, v8 dst_sel:DWORD dst_unused:UNUSED_PAD src0_sel:WORD_1 src1_sel:DWORD
	v_cndmask_b32_e64 v25, 0, v27, s10
	v_cmp_eq_u32_e64 s10, 1, v28
	v_add_nc_u16 v5, v25, v5
	v_cndmask_b32_e64 v8, v8, 1, s10
	v_and_b32_e32 v26, 0xffff, v5
	v_lshlrev_b32_e32 v25, 16, v8
	v_or3_b32 v26, v25, v26, v4
	v_mov_b32_e32 v25, v8
.LBB325_76:
	s_or_b32 exec_lo, exec_lo, s16
	v_mov_b32_dpp v27, v26 row_shr:8 row_mask:0xf bank_mask:0xf
	s_mov_b32 s16, exec_lo
	v_cmpx_lt_u32_e32 7, v7
	s_cbranch_execz .LBB325_78
; %bb.77:
	v_mov_b32_e32 v8, 0
	v_mov_b32_e32 v7, 1
	v_and_b32_e32 v26, 1, v25
	v_cmp_eq_u16_sdwa s10, v25, v8 src0_sel:BYTE_0 src1_sel:DWORD
	v_and_b32_sdwa v7, v27, v7 dst_sel:DWORD dst_unused:UNUSED_PAD src0_sel:WORD_1 src1_sel:DWORD
	v_cndmask_b32_e64 v25, 0, v27, s10
	v_cmp_eq_u32_e64 s10, 1, v26
	v_add_nc_u16 v5, v25, v5
	v_cndmask_b32_e64 v8, v7, 1, s10
	v_and_b32_e32 v25, 0xffff, v5
	v_lshlrev_b32_e32 v7, 16, v8
	v_or3_b32 v26, v7, v25, v4
	v_mov_b32_e32 v25, v8
.LBB325_78:
	s_or_b32 exec_lo, exec_lo, s16
	ds_swizzle_b32 v7, v26 offset:swizzle(BROADCAST,32,15)
	v_and_b32_e32 v26, 16, v6
	s_mov_b32 s16, exec_lo
	v_cmpx_ne_u32_e32 0, v26
	s_cbranch_execz .LBB325_80
; %bb.79:
	v_mov_b32_e32 v8, 0
	v_mov_b32_e32 v26, 1
	v_cmp_eq_u16_sdwa s10, v25, v8 src0_sel:BYTE_0 src1_sel:DWORD
	v_and_b32_e32 v25, 1, v25
	s_waitcnt lgkmcnt(0)
	v_cndmask_b32_e64 v8, 0, v7, s10
	v_and_b32_sdwa v7, v7, v26 dst_sel:DWORD dst_unused:UNUSED_PAD src0_sel:WORD_1 src1_sel:DWORD
	v_cmp_eq_u32_e64 s10, 1, v25
	v_add_nc_u16 v5, v8, v5
	v_cndmask_b32_e64 v8, v7, 1, s10
.LBB325_80:
	s_or_b32 exec_lo, exec_lo, s16
	s_waitcnt lgkmcnt(0)
	v_and_b32_e32 v7, 0xff, v8
	v_add_nc_u32_e32 v8, -1, v6
	v_and_b32_e32 v5, 0xffff, v5
	; wave barrier
	v_lshlrev_b32_e32 v7, 16, v7
	v_cmp_gt_i32_e64 s10, 0, v8
	v_or3_b32 v4, v7, v5, v4
	v_cndmask_b32_e64 v6, v8, v6, s10
	v_lshlrev_b32_e32 v5, 2, v6
	v_mov_b32_e32 v6, 1
	ds_bpermute_b32 v4, v5, v4
	v_and_b32_e32 v5, 0xff0000, v2
	v_cmp_eq_u32_e64 s10, 0, v5
	s_waitcnt lgkmcnt(0)
	v_cndmask_b32_e64 v5, 0, v4, s10
	v_and_b32_sdwa v4, v4, v6 dst_sel:DWORD dst_unused:UNUSED_PAD src0_sel:WORD_1 src1_sel:DWORD
	v_cmp_eq_u32_e64 s10, 0, v3
	v_add_nc_u16 v2, v5, v2
	v_cndmask_b32_e64 v3, 1, v4, s10
	v_cmp_eq_u32_e64 s10, 0, v0
	v_cndmask_b32_e64 v2, v2, v24, s10
	v_cndmask_b32_e64 v3, v3, v23, s10
	ds_write_b16 v1, v2
	ds_write_b8 v1, v3 offset:2
	; wave barrier
	ds_read_u8 v4, v1 offset:6
	ds_read_u16 v5, v1 offset:4
	s_waitcnt lgkmcnt(1)
	v_cmp_eq_u16_e64 s10, 0, v4
	v_and_b32_e32 v4, 1, v4
	v_cndmask_b32_e64 v2, 0, v2, s10
	v_cmp_eq_u32_e64 s10, 1, v4
	s_waitcnt lgkmcnt(0)
	v_add_nc_u16 v2, v2, v5
	v_cndmask_b32_e64 v3, v3, 1, s10
	ds_write_b16 v1, v2 offset:4
	ds_write_b8 v1, v3 offset:6
.LBB325_81:
	s_or_b32 exec_lo, exec_lo, s11
	v_cmp_eq_u32_e64 s10, 0, v0
	s_mov_b32 s16, exec_lo
	s_waitcnt lgkmcnt(0)
	s_barrier
	buffer_gl0_inv
	v_cmpx_ne_u32_e32 0, v0
	s_cbranch_execz .LBB325_83
; %bb.82:
	v_add_nc_u32_e32 v1, -1, v0
	v_lshrrev_b32_e32 v2, 3, v1
	v_and_b32_e32 v2, 0x1ffffffc, v2
	v_lshl_add_u32 v1, v1, 2, v2
	ds_read_u16 v24, v1
	ds_read_u8 v23, v1 offset:2
.LBB325_83:
	s_or_b32 exec_lo, exec_lo, s16
	s_and_saveexec_b32 s20, vcc_lo
	s_cbranch_execz .LBB325_123
; %bb.84:
	v_mov_b32_e32 v6, 0
	v_mbcnt_lo_u32_b32 v25, -1, 0
	s_mov_b32 s17, 0
	ds_read_b32 v1, v6 offset:256
	v_cmp_eq_u32_e64 s11, 0, v25
	s_and_saveexec_b32 s21, s11
	s_cbranch_execz .LBB325_86
; %bb.85:
	s_add_i32 s16, s6, 32
	v_mov_b32_e32 v2, 1
	s_lshl_b64 s[16:17], s[16:17], 3
	s_add_u32 s16, s24, s16
	s_addc_u32 s17, s25, s17
	s_waitcnt lgkmcnt(0)
	global_store_dwordx2 v6, v[1:2], s[16:17]
.LBB325_86:
	s_or_b32 exec_lo, exec_lo, s21
	v_xad_u32 v2, v25, -1, s6
	v_add_nc_u32_e32 v5, 32, v2
	v_lshlrev_b64 v[3:4], 3, v[5:6]
	v_add_co_u32 v7, vcc_lo, s24, v3
	v_add_co_ci_u32_e64 v8, null, s25, v4, vcc_lo
	global_load_dwordx2 v[4:5], v[7:8], off glc dlc
	s_waitcnt vmcnt(0)
	v_cmp_eq_u16_sdwa s17, v5, v6 src0_sel:BYTE_0 src1_sel:DWORD
	s_and_saveexec_b32 s16, s17
	s_cbranch_execz .LBB325_90
; %bb.87:
	v_mov_b32_e32 v3, 0
	s_mov_b32 s17, 0
.LBB325_88:                             ; =>This Inner Loop Header: Depth=1
	global_load_dwordx2 v[4:5], v[7:8], off glc dlc
	s_waitcnt vmcnt(0)
	v_cmp_ne_u16_sdwa s21, v5, v3 src0_sel:BYTE_0 src1_sel:DWORD
	s_or_b32 s17, s21, s17
	s_andn2_b32 exec_lo, exec_lo, s17
	s_cbranch_execnz .LBB325_88
; %bb.89:
	s_or_b32 exec_lo, exec_lo, s17
.LBB325_90:
	s_or_b32 exec_lo, exec_lo, s16
	v_cmp_ne_u32_e32 vcc_lo, 31, v25
	v_and_b32_e32 v33, 0xffffff, v4
	v_mov_b32_e32 v6, 2
	v_lshlrev_b32_e64 v26, v25, -1
	v_bfe_u32 v7, v4, 16, 8
	v_add_co_ci_u32_e64 v3, null, 0, v25, vcc_lo
	v_cmp_eq_u16_sdwa s16, v5, v6 src0_sel:BYTE_0 src1_sel:DWORD
	v_lshrrev_b32_e32 v6, 16, v4
	v_lshlrev_b32_e32 v8, 2, v3
	v_and_or_b32 v3, s16, v26, 0x80000000
	s_mov_b32 s16, exec_lo
	ds_bpermute_b32 v27, v8, v33
	v_ffbl_b32_e32 v3, v3
	v_cmpx_lt_u32_e64 v25, v3
	s_cbranch_execz .LBB325_92
; %bb.91:
	v_and_b32_e32 v6, 0xff0000, v4
	v_mov_b32_e32 v7, 1
	v_and_b32_e32 v28, 0x10000, v6
	v_cmp_eq_u32_e32 vcc_lo, 0, v6
	s_waitcnt lgkmcnt(0)
	v_and_b32_sdwa v7, v27, v7 dst_sel:DWORD dst_unused:UNUSED_PAD src0_sel:WORD_1 src1_sel:DWORD
	v_cndmask_b32_e32 v27, 0, v27, vcc_lo
	v_cmp_ne_u32_e32 vcc_lo, 0, v28
	v_add_nc_u16 v4, v27, v4
	v_cndmask_b32_e64 v6, v7, 1, vcc_lo
	v_lshlrev_b32_e32 v7, 16, v6
	v_or_b32_sdwa v33, v7, v4 dst_sel:DWORD dst_unused:UNUSED_PAD src0_sel:DWORD src1_sel:WORD_0
	v_mov_b32_e32 v7, v6
.LBB325_92:
	s_or_b32 exec_lo, exec_lo, s16
	v_cmp_gt_u32_e32 vcc_lo, 30, v25
	v_add_nc_u32_e32 v28, 2, v25
	s_mov_b32 s16, exec_lo
	s_waitcnt lgkmcnt(0)
	v_cndmask_b32_e64 v27, 0, 2, vcc_lo
	v_add_lshl_u32 v27, v27, v25, 2
	ds_bpermute_b32 v29, v27, v33
	v_cmpx_le_u32_e64 v28, v3
	s_cbranch_execz .LBB325_94
; %bb.93:
	v_mov_b32_e32 v6, 1
	v_and_b32_e32 v30, 1, v7
	v_cmp_eq_u16_e32 vcc_lo, 0, v7
	s_waitcnt lgkmcnt(0)
	v_and_b32_sdwa v6, v29, v6 dst_sel:DWORD dst_unused:UNUSED_PAD src0_sel:WORD_1 src1_sel:DWORD
	v_cndmask_b32_e32 v7, 0, v29, vcc_lo
	v_cmp_eq_u32_e32 vcc_lo, 1, v30
	v_add_nc_u16 v4, v7, v4
	v_cndmask_b32_e64 v6, v6, 1, vcc_lo
	v_lshlrev_b32_e32 v7, 16, v6
	v_or_b32_sdwa v33, v7, v4 dst_sel:DWORD dst_unused:UNUSED_PAD src0_sel:DWORD src1_sel:WORD_0
	v_mov_b32_e32 v7, v6
.LBB325_94:
	s_or_b32 exec_lo, exec_lo, s16
	v_cmp_gt_u32_e32 vcc_lo, 28, v25
	v_add_nc_u32_e32 v30, 4, v25
	s_mov_b32 s16, exec_lo
	s_waitcnt lgkmcnt(0)
	v_cndmask_b32_e64 v29, 0, 4, vcc_lo
	v_add_lshl_u32 v29, v29, v25, 2
	ds_bpermute_b32 v31, v29, v33
	v_cmpx_le_u32_e64 v30, v3
	s_cbranch_execz .LBB325_96
; %bb.95:
	v_mov_b32_e32 v6, 1
	v_and_b32_e32 v32, 1, v7
	v_cmp_eq_u16_e32 vcc_lo, 0, v7
	s_waitcnt lgkmcnt(0)
	v_and_b32_sdwa v6, v31, v6 dst_sel:DWORD dst_unused:UNUSED_PAD src0_sel:WORD_1 src1_sel:DWORD
	v_cndmask_b32_e32 v7, 0, v31, vcc_lo
	v_cmp_eq_u32_e32 vcc_lo, 1, v32
	v_add_nc_u16 v4, v7, v4
	v_cndmask_b32_e64 v6, v6, 1, vcc_lo
	v_lshlrev_b32_e32 v7, 16, v6
	v_or_b32_sdwa v33, v7, v4 dst_sel:DWORD dst_unused:UNUSED_PAD src0_sel:DWORD src1_sel:WORD_0
	v_mov_b32_e32 v7, v6
.LBB325_96:
	;; [unrolled: 24-line block ×3, first 2 shown]
	s_or_b32 exec_lo, exec_lo, s16
	v_lshl_or_b32 v35, v25, 2, 64
	v_add_nc_u32_e32 v36, 16, v25
	s_mov_b32 s16, exec_lo
	ds_bpermute_b32 v33, v35, v33
	v_cmpx_le_u32_e64 v36, v3
	s_cbranch_execz .LBB325_100
; %bb.99:
	v_mov_b32_e32 v3, 1
	v_cmp_eq_u16_e32 vcc_lo, 0, v7
	v_and_b32_e32 v7, 1, v7
	s_waitcnt lgkmcnt(0)
	v_and_b32_sdwa v3, v33, v3 dst_sel:DWORD dst_unused:UNUSED_PAD src0_sel:WORD_1 src1_sel:DWORD
	v_cndmask_b32_e32 v6, 0, v33, vcc_lo
	v_cmp_eq_u32_e32 vcc_lo, 1, v7
	v_add_nc_u16 v4, v6, v4
	v_cndmask_b32_e64 v6, v3, 1, vcc_lo
.LBB325_100:
	s_or_b32 exec_lo, exec_lo, s16
	v_mov_b32_e32 v3, 0
	v_mov_b32_e32 v37, 2
	;; [unrolled: 1-line block ×3, first 2 shown]
	s_branch .LBB325_103
.LBB325_101:                            ;   in Loop: Header=BB325_103 Depth=1
	s_or_b32 exec_lo, exec_lo, s16
	v_cmp_eq_u16_sdwa vcc_lo, v33, v3 src0_sel:BYTE_0 src1_sel:DWORD
	v_and_b32_e32 v6, 1, v33
	v_and_b32_e32 v7, 1, v7
	v_subrev_nc_u32_e32 v2, 32, v2
	s_mov_b32 s16, 0
	v_cndmask_b32_e32 v4, 0, v4, vcc_lo
	v_cmp_eq_u32_e32 vcc_lo, 1, v6
	v_add_nc_u16 v4, v4, v34
	v_cndmask_b32_e64 v6, v7, 1, vcc_lo
.LBB325_102:                            ;   in Loop: Header=BB325_103 Depth=1
	s_and_b32 vcc_lo, exec_lo, s16
	s_cbranch_vccnz .LBB325_119
.LBB325_103:                            ; =>This Loop Header: Depth=1
                                        ;     Child Loop BB325_106 Depth 2
	v_cmp_ne_u16_sdwa s16, v5, v37 src0_sel:BYTE_0 src1_sel:DWORD
	s_waitcnt lgkmcnt(0)
	v_mov_b32_e32 v33, v6
	v_mov_b32_e32 v34, v4
                                        ; implicit-def: $vgpr6
                                        ; implicit-def: $vgpr4
	s_cmp_lg_u32 s16, exec_lo
	s_mov_b32 s16, -1
	s_cbranch_scc1 .LBB325_102
; %bb.104:                              ;   in Loop: Header=BB325_103 Depth=1
	v_lshlrev_b64 v[4:5], 3, v[2:3]
	v_add_co_u32 v6, vcc_lo, s24, v4
	v_add_co_ci_u32_e64 v7, null, s25, v5, vcc_lo
	global_load_dwordx2 v[4:5], v[6:7], off glc dlc
	s_waitcnt vmcnt(0)
	v_cmp_eq_u16_sdwa s17, v5, v3 src0_sel:BYTE_0 src1_sel:DWORD
	s_and_saveexec_b32 s16, s17
	s_cbranch_execz .LBB325_108
; %bb.105:                              ;   in Loop: Header=BB325_103 Depth=1
	s_mov_b32 s17, 0
.LBB325_106:                            ;   Parent Loop BB325_103 Depth=1
                                        ; =>  This Inner Loop Header: Depth=2
	global_load_dwordx2 v[4:5], v[6:7], off glc dlc
	s_waitcnt vmcnt(0)
	v_cmp_ne_u16_sdwa s21, v5, v3 src0_sel:BYTE_0 src1_sel:DWORD
	s_or_b32 s17, s21, s17
	s_andn2_b32 exec_lo, exec_lo, s17
	s_cbranch_execnz .LBB325_106
; %bb.107:                              ;   in Loop: Header=BB325_103 Depth=1
	s_or_b32 exec_lo, exec_lo, s17
.LBB325_108:                            ;   in Loop: Header=BB325_103 Depth=1
	s_or_b32 exec_lo, exec_lo, s16
	v_and_b32_e32 v40, 0xffffff, v4
	v_cmp_eq_u16_sdwa s16, v5, v37 src0_sel:BYTE_0 src1_sel:DWORD
	v_lshrrev_b32_e32 v7, 16, v4
	v_bfe_u32 v39, v4, 16, 8
	ds_bpermute_b32 v41, v8, v40
	v_and_or_b32 v6, s16, v26, 0x80000000
	s_mov_b32 s16, exec_lo
	v_ffbl_b32_e32 v6, v6
	v_cmpx_lt_u32_e64 v25, v6
	s_cbranch_execz .LBB325_110
; %bb.109:                              ;   in Loop: Header=BB325_103 Depth=1
	v_and_b32_e32 v7, 0xff0000, v4
	s_waitcnt lgkmcnt(0)
	v_and_b32_sdwa v40, v41, v38 dst_sel:DWORD dst_unused:UNUSED_PAD src0_sel:WORD_1 src1_sel:DWORD
	v_and_b32_e32 v39, 0x10000, v7
	v_cmp_eq_u32_e32 vcc_lo, 0, v7
	v_cndmask_b32_e32 v41, 0, v41, vcc_lo
	v_cmp_ne_u32_e32 vcc_lo, 0, v39
	v_add_nc_u16 v4, v41, v4
	v_cndmask_b32_e64 v7, v40, 1, vcc_lo
	v_lshlrev_b32_e32 v39, 16, v7
	v_or_b32_sdwa v40, v39, v4 dst_sel:DWORD dst_unused:UNUSED_PAD src0_sel:DWORD src1_sel:WORD_0
	v_mov_b32_e32 v39, v7
.LBB325_110:                            ;   in Loop: Header=BB325_103 Depth=1
	s_or_b32 exec_lo, exec_lo, s16
	s_waitcnt lgkmcnt(0)
	ds_bpermute_b32 v41, v27, v40
	s_mov_b32 s16, exec_lo
	v_cmpx_le_u32_e64 v28, v6
	s_cbranch_execz .LBB325_112
; %bb.111:                              ;   in Loop: Header=BB325_103 Depth=1
	v_and_b32_e32 v7, 1, v39
	v_cmp_eq_u16_e32 vcc_lo, 0, v39
	s_waitcnt lgkmcnt(0)
	v_and_b32_sdwa v40, v41, v38 dst_sel:DWORD dst_unused:UNUSED_PAD src0_sel:WORD_1 src1_sel:DWORD
	v_cndmask_b32_e32 v39, 0, v41, vcc_lo
	v_cmp_eq_u32_e32 vcc_lo, 1, v7
	v_add_nc_u16 v4, v39, v4
	v_cndmask_b32_e64 v7, v40, 1, vcc_lo
	v_lshlrev_b32_e32 v39, 16, v7
	v_or_b32_sdwa v40, v39, v4 dst_sel:DWORD dst_unused:UNUSED_PAD src0_sel:DWORD src1_sel:WORD_0
	v_mov_b32_e32 v39, v7
.LBB325_112:                            ;   in Loop: Header=BB325_103 Depth=1
	s_or_b32 exec_lo, exec_lo, s16
	s_waitcnt lgkmcnt(0)
	ds_bpermute_b32 v41, v29, v40
	s_mov_b32 s16, exec_lo
	v_cmpx_le_u32_e64 v30, v6
	s_cbranch_execz .LBB325_114
; %bb.113:                              ;   in Loop: Header=BB325_103 Depth=1
	v_and_b32_e32 v7, 1, v39
	v_cmp_eq_u16_e32 vcc_lo, 0, v39
	s_waitcnt lgkmcnt(0)
	v_and_b32_sdwa v40, v41, v38 dst_sel:DWORD dst_unused:UNUSED_PAD src0_sel:WORD_1 src1_sel:DWORD
	v_cndmask_b32_e32 v39, 0, v41, vcc_lo
	v_cmp_eq_u32_e32 vcc_lo, 1, v7
	v_add_nc_u16 v4, v39, v4
	v_cndmask_b32_e64 v7, v40, 1, vcc_lo
	v_lshlrev_b32_e32 v39, 16, v7
	v_or_b32_sdwa v40, v39, v4 dst_sel:DWORD dst_unused:UNUSED_PAD src0_sel:DWORD src1_sel:WORD_0
	v_mov_b32_e32 v39, v7
.LBB325_114:                            ;   in Loop: Header=BB325_103 Depth=1
	;; [unrolled: 19-line block ×3, first 2 shown]
	s_or_b32 exec_lo, exec_lo, s16
	ds_bpermute_b32 v40, v35, v40
	s_mov_b32 s16, exec_lo
	v_cmpx_le_u32_e64 v36, v6
	s_cbranch_execz .LBB325_101
; %bb.117:                              ;   in Loop: Header=BB325_103 Depth=1
	v_cmp_eq_u16_e32 vcc_lo, 0, v39
	v_and_b32_e32 v7, 1, v39
	s_waitcnt lgkmcnt(0)
	v_lshrrev_b32_e32 v39, 16, v40
	v_cndmask_b32_e32 v6, 0, v40, vcc_lo
	v_cmp_eq_u32_e32 vcc_lo, 1, v7
	v_add_nc_u16 v4, v6, v4
	v_cndmask_b32_e64 v7, v39, 1, vcc_lo
	s_branch .LBB325_101
.LBB325_118:
                                        ; implicit-def: $vgpr25
                                        ; implicit-def: $vgpr3
                                        ; implicit-def: $vgpr4
                                        ; implicit-def: $vgpr5
                                        ; implicit-def: $vgpr6
                                        ; implicit-def: $vgpr7
                                        ; implicit-def: $vgpr8
                                        ; implicit-def: $vgpr22
                                        ; implicit-def: $vgpr23
                                        ; implicit-def: $vgpr24
	s_cbranch_execnz .LBB325_124
	s_branch .LBB325_143
.LBB325_119:
	s_and_saveexec_b32 s16, s11
	s_cbranch_execz .LBB325_121
; %bb.120:
	v_and_b32_e32 v2, 0xff0000, v1
	v_mov_b32_e32 v3, 1
	v_and_b32_e32 v4, 0x10000, v1
	s_mov_b32 s23, 0
	s_add_i32 s22, s6, 32
	v_cmp_eq_u32_e32 vcc_lo, 0, v2
	v_and_b32_sdwa v3, v33, v3 dst_sel:WORD_1 dst_unused:UNUSED_PAD src0_sel:DWORD src1_sel:DWORD
	s_lshl_b64 s[22:23], s[22:23], 3
	s_add_u32 s22, s24, s22
	v_cndmask_b32_e32 v2, 0, v34, vcc_lo
	v_cmp_eq_u32_e32 vcc_lo, 0, v4
	s_addc_u32 s23, s25, s23
	v_add_nc_u16 v1, v2, v1
	v_cndmask_b32_e32 v2, 0x10000, v3, vcc_lo
	v_mov_b32_e32 v3, 0
	v_or_b32_sdwa v1, v2, v1 dst_sel:DWORD dst_unused:UNUSED_PAD src0_sel:DWORD src1_sel:WORD_0
	v_mov_b32_e32 v2, 2
	global_store_dwordx2 v3, v[1:2], s[22:23]
.LBB325_121:
	s_or_b32 exec_lo, exec_lo, s16
	s_and_b32 exec_lo, exec_lo, s10
	s_cbranch_execz .LBB325_123
; %bb.122:
	v_mov_b32_e32 v1, 0
	ds_write_b16 v1, v34
	ds_write_b8 v1, v33 offset:2
.LBB325_123:
	s_or_b32 exec_lo, exec_lo, s20
	v_mov_b32_e32 v1, 0
	v_and_b32_e32 v3, 0x10000, v18
	v_cmp_gt_u32_e32 vcc_lo, 0x10000, v18
	s_waitcnt lgkmcnt(0)
	s_waitcnt_vscnt null, 0x0
	s_barrier
	buffer_gl0_inv
	ds_read_b32 v2, v1
	v_cndmask_b32_e32 v4, 0, v24, vcc_lo
	v_cmp_ne_u32_e32 vcc_lo, 0, v3
	v_cndmask_b32_e64 v4, v4, 0, s10
	v_cndmask_b32_e64 v3, v23, 1, vcc_lo
	v_add_nc_u16 v4, v4, v18
	v_cndmask_b32_e64 v3, v3, v22, s10
	v_cmp_eq_u16_sdwa vcc_lo, v3, v1 src0_sel:BYTE_0 src1_sel:DWORD
	s_waitcnt lgkmcnt(0)
	v_cndmask_b32_e32 v1, 0, v2, vcc_lo
	v_add_nc_u16 v1, v4, v1
	v_cndmask_b32_e64 v2, 0, v1, s9
	v_and_b32_e32 v25, 0xffff, v1
	v_add_nc_u16 v3, v2, v21
	v_cndmask_b32_e64 v2, 0, v3, s8
	v_add_nc_u16 v4, v2, v20
	v_cndmask_b32_e64 v2, 0, v4, s7
	;; [unrolled: 2-line block ×8, first 2 shown]
	v_add_nc_u16 v24, v2, v10
	s_branch .LBB325_143
.LBB325_124:
	s_cmp_lg_u64 s[30:31], 0
	v_cmp_eq_u32_e32 vcc_lo, 0, v0
	s_cselect_b32 s1, -1, 0
	s_cmp_lg_u64 s[18:19], 0
	v_cmp_ne_u32_e64 s0, 0, v0
	s_cselect_b32 s2, -1, 0
	s_and_b32 s1, s1, s2
	s_and_b32 s1, vcc_lo, s1
	s_and_saveexec_b32 s2, s1
	s_cbranch_execz .LBB325_126
; %bb.125:
	v_mov_b32_e32 v1, 0
	v_mov_b32_e32 v3, 1
	v_cmp_gt_u32_e64 s1, 0x10000, v18
	v_and_b32_e32 v4, 0x10000, v18
	s_clause 0x1
	global_load_ushort v2, v1, s[18:19]
	global_load_ubyte v1, v1, s[18:19] offset:2
	s_waitcnt vmcnt(1)
	v_cndmask_b32_e64 v2, 0, v2, s1
	s_waitcnt vmcnt(0)
	v_and_b32_sdwa v1, v1, v3 dst_sel:WORD_1 dst_unused:UNUSED_PAD src0_sel:DWORD src1_sel:DWORD
	v_cmp_eq_u32_e64 s1, 0, v4
	v_add_nc_u16 v2, v2, v18
	v_cndmask_b32_e64 v1, 0x10000, v1, s1
	v_or_b32_sdwa v18, v1, v2 dst_sel:DWORD dst_unused:UNUSED_PAD src0_sel:DWORD src1_sel:WORD_0
.LBB325_126:
	s_or_b32 exec_lo, exec_lo, s2
	v_cmp_gt_u32_e64 s1, 0x10000, v21
	v_cmp_gt_u32_e64 s2, 0x10000, v20
	;; [unrolled: 1-line block ×5, first 2 shown]
	v_cndmask_b32_e64 v1, 0, v18, s1
	v_cmp_gt_u32_e64 s6, 0x10000, v15
	v_cmp_gt_u32_e64 s7, 0x10000, v14
	;; [unrolled: 1-line block ×4, first 2 shown]
	v_add_nc_u16 v3, v1, v21
	v_and_b32_e32 v11, 4, v11
	s_mov_b32 s11, exec_lo
	v_cndmask_b32_e64 v1, 0, v3, s2
	v_lshl_add_u32 v11, v0, 2, v11
	v_add_nc_u16 v4, v1, v20
	v_cndmask_b32_e64 v1, 0, v4, s3
	v_add_nc_u16 v5, v1, v19
	v_cndmask_b32_e64 v1, 0, v5, s4
	;; [unrolled: 2-line block ×5, first 2 shown]
	v_add_nc_u16 v22, v1, v14
	v_or3_b32 v1, v12, v19, v20
	v_cndmask_b32_e64 v2, 0, v22, s8
	v_or3_b32 v1, v1, v21, v10
	v_add_nc_u16 v23, v2, v13
	v_and_b32_e32 v1, 0xff0000, v1
	v_lshrrev_b32_e32 v2, 16, v18
	v_cndmask_b32_e64 v12, 0, v23, s9
	v_cmp_eq_u32_e64 s10, 0, v1
	v_add_nc_u16 v24, v12, v10
	v_cndmask_b32_e64 v1, 1, v2, s10
	ds_write_b8 v11, v1 offset:2
	ds_write_b16 v11, v24
	s_waitcnt lgkmcnt(0)
	s_barrier
	buffer_gl0_inv
	v_cmpx_gt_u32_e32 32, v0
	s_cbranch_execz .LBB325_138
; %bb.127:
	v_lshrrev_b32_e32 v2, 2, v0
	v_lshlrev_b32_e32 v11, 3, v0
	s_mov_b32 s16, exec_lo
	v_and_b32_e32 v2, 12, v2
	v_add_nc_u32_e32 v2, v2, v11
	ds_read_u8 v12, v2 offset:6
	ds_read_b32 v11, v2
	ds_read_u16 v25, v2 offset:4
	s_waitcnt lgkmcnt(2)
	v_cmp_eq_u16_e64 s10, 0, v12
	v_and_b32_e32 v27, 1, v12
	s_waitcnt lgkmcnt(1)
	v_and_b32_e32 v12, 0x10000, v11
	v_cndmask_b32_e64 v26, 0, v11, s10
	v_cmp_eq_u32_e64 s10, 1, v27
	v_mbcnt_lo_u32_b32 v27, -1, 0
	s_waitcnt lgkmcnt(0)
	v_add_nc_u16 v26, v26, v25
	v_and_b32_e32 v25, 0xff000000, v11
	v_cndmask_b32_e64 v28, v12, 0x10000, s10
	v_and_b32_e32 v29, 0xffff, v26
	v_or_b32_e32 v30, v28, v25
	v_or3_b32 v31, v25, v29, v28
	v_and_b32_e32 v28, 15, v27
	v_lshrrev_b32_e32 v29, 16, v30
	v_mov_b32_dpp v32, v31 row_shr:1 row_mask:0xf bank_mask:0xf
	v_cmpx_ne_u32_e32 0, v28
	s_cbranch_execz .LBB325_129
; %bb.128:
	v_mov_b32_e32 v29, 0xff
	v_mov_b32_e32 v31, 1
	v_and_b32_sdwa v29, v30, v29 dst_sel:DWORD dst_unused:UNUSED_PAD src0_sel:WORD_1 src1_sel:DWORD
	v_and_b32_e32 v30, 0x10000, v30
	v_and_b32_sdwa v31, v32, v31 dst_sel:DWORD dst_unused:UNUSED_PAD src0_sel:WORD_1 src1_sel:DWORD
	v_cmp_eq_u16_e64 s10, 0, v29
	v_cndmask_b32_e64 v32, 0, v32, s10
	v_cmp_ne_u32_e64 s10, 0, v30
	v_add_nc_u16 v26, v32, v26
	v_cndmask_b32_e64 v29, v31, 1, s10
	v_and_b32_e32 v31, 0xffff, v26
	v_lshlrev_b32_e32 v30, 16, v29
	v_or3_b32 v31, v30, v31, v25
.LBB325_129:
	s_or_b32 exec_lo, exec_lo, s16
	v_lshrrev_b32_e32 v30, 16, v31
	v_mov_b32_dpp v32, v31 row_shr:2 row_mask:0xf bank_mask:0xf
	s_mov_b32 s16, exec_lo
	v_cmpx_lt_u32_e32 1, v28
	s_cbranch_execz .LBB325_131
; %bb.130:
	v_mov_b32_e32 v33, 0
	v_mov_b32_e32 v29, 1
	v_and_b32_e32 v31, 0x10000, v31
	v_cmp_eq_u16_sdwa s10, v30, v33 src0_sel:BYTE_0 src1_sel:DWORD
	v_and_b32_sdwa v29, v32, v29 dst_sel:DWORD dst_unused:UNUSED_PAD src0_sel:WORD_1 src1_sel:DWORD
	v_cndmask_b32_e64 v30, 0, v32, s10
	v_cmp_ne_u32_e64 s10, 0, v31
	v_add_nc_u16 v26, v30, v26
	v_cndmask_b32_e64 v29, v29, 1, s10
	v_and_b32_e32 v31, 0xffff, v26
	v_lshlrev_b32_e32 v30, 16, v29
	v_or3_b32 v31, v30, v31, v25
	v_mov_b32_e32 v30, v29
.LBB325_131:
	s_or_b32 exec_lo, exec_lo, s16
	v_mov_b32_dpp v32, v31 row_shr:4 row_mask:0xf bank_mask:0xf
	s_mov_b32 s16, exec_lo
	v_cmpx_lt_u32_e32 3, v28
	s_cbranch_execz .LBB325_133
; %bb.132:
	v_mov_b32_e32 v31, 0
	v_mov_b32_e32 v29, 1
	v_and_b32_e32 v33, 1, v30
	v_cmp_eq_u16_sdwa s10, v30, v31 src0_sel:BYTE_0 src1_sel:DWORD
	v_and_b32_sdwa v29, v32, v29 dst_sel:DWORD dst_unused:UNUSED_PAD src0_sel:WORD_1 src1_sel:DWORD
	v_cndmask_b32_e64 v30, 0, v32, s10
	v_cmp_eq_u32_e64 s10, 1, v33
	v_add_nc_u16 v26, v30, v26
	v_cndmask_b32_e64 v29, v29, 1, s10
	v_and_b32_e32 v31, 0xffff, v26
	v_lshlrev_b32_e32 v30, 16, v29
	v_or3_b32 v31, v30, v31, v25
	v_mov_b32_e32 v30, v29
.LBB325_133:
	s_or_b32 exec_lo, exec_lo, s16
	v_mov_b32_dpp v32, v31 row_shr:8 row_mask:0xf bank_mask:0xf
	s_mov_b32 s16, exec_lo
	v_cmpx_lt_u32_e32 7, v28
	s_cbranch_execz .LBB325_135
; %bb.134:
	v_mov_b32_e32 v29, 0
	v_mov_b32_e32 v28, 1
	v_and_b32_e32 v31, 1, v30
	v_cmp_eq_u16_sdwa s10, v30, v29 src0_sel:BYTE_0 src1_sel:DWORD
	v_and_b32_sdwa v28, v32, v28 dst_sel:DWORD dst_unused:UNUSED_PAD src0_sel:WORD_1 src1_sel:DWORD
	v_cndmask_b32_e64 v30, 0, v32, s10
	v_cmp_eq_u32_e64 s10, 1, v31
	v_add_nc_u16 v26, v30, v26
	v_cndmask_b32_e64 v29, v28, 1, s10
	v_and_b32_e32 v30, 0xffff, v26
	v_lshlrev_b32_e32 v28, 16, v29
	v_or3_b32 v31, v28, v30, v25
	v_mov_b32_e32 v30, v29
.LBB325_135:
	s_or_b32 exec_lo, exec_lo, s16
	ds_swizzle_b32 v28, v31 offset:swizzle(BROADCAST,32,15)
	v_and_b32_e32 v31, 16, v27
	s_mov_b32 s16, exec_lo
	v_cmpx_ne_u32_e32 0, v31
	s_cbranch_execz .LBB325_137
; %bb.136:
	v_mov_b32_e32 v29, 0
	v_mov_b32_e32 v31, 1
	v_cmp_eq_u16_sdwa s10, v30, v29 src0_sel:BYTE_0 src1_sel:DWORD
	v_and_b32_e32 v30, 1, v30
	s_waitcnt lgkmcnt(0)
	v_cndmask_b32_e64 v29, 0, v28, s10
	v_and_b32_sdwa v28, v28, v31 dst_sel:DWORD dst_unused:UNUSED_PAD src0_sel:WORD_1 src1_sel:DWORD
	v_cmp_eq_u32_e64 s10, 1, v30
	v_add_nc_u16 v26, v29, v26
	v_cndmask_b32_e64 v29, v28, 1, s10
.LBB325_137:
	s_or_b32 exec_lo, exec_lo, s16
	s_waitcnt lgkmcnt(0)
	v_and_b32_e32 v28, 0xff, v29
	v_add_nc_u32_e32 v29, -1, v27
	v_and_b32_e32 v26, 0xffff, v26
	; wave barrier
	v_lshlrev_b32_e32 v28, 16, v28
	v_cmp_gt_i32_e64 s10, 0, v29
	v_or3_b32 v25, v28, v26, v25
	v_cndmask_b32_e64 v27, v29, v27, s10
	v_lshlrev_b32_e32 v26, 2, v27
	v_mov_b32_e32 v27, 1
	ds_bpermute_b32 v25, v26, v25
	v_and_b32_e32 v26, 0xff0000, v11
	v_cmp_eq_u32_e64 s10, 0, v26
	s_waitcnt lgkmcnt(0)
	v_cndmask_b32_e64 v26, 0, v25, s10
	v_and_b32_sdwa v25, v25, v27 dst_sel:DWORD dst_unused:UNUSED_PAD src0_sel:WORD_1 src1_sel:DWORD
	v_cmp_eq_u32_e64 s10, 0, v12
	v_add_nc_u16 v11, v26, v11
	v_cndmask_b32_e64 v12, 1, v25, s10
	v_cndmask_b32_e32 v11, v11, v24, vcc_lo
	v_cndmask_b32_e32 v1, v12, v1, vcc_lo
	ds_write_b16 v2, v11
	ds_write_b8 v2, v1 offset:2
	; wave barrier
	ds_read_u8 v12, v2 offset:6
	ds_read_u16 v25, v2 offset:4
	s_waitcnt lgkmcnt(1)
	v_cmp_eq_u16_e64 s10, 0, v12
	v_and_b32_e32 v12, 1, v12
	v_cndmask_b32_e64 v11, 0, v11, s10
	v_cmp_eq_u32_e64 s10, 1, v12
	s_waitcnt lgkmcnt(0)
	v_add_nc_u16 v11, v11, v25
	v_cndmask_b32_e64 v1, v1, 1, s10
	ds_write_b16 v2, v11 offset:4
	ds_write_b8 v2, v1 offset:6
.LBB325_138:
	s_or_b32 exec_lo, exec_lo, s11
	s_waitcnt lgkmcnt(0)
	s_barrier
	buffer_gl0_inv
	s_and_saveexec_b32 s10, s0
	s_cbranch_execz .LBB325_140
; %bb.139:
	v_add_nc_u32_e32 v1, -1, v0
	v_cmp_gt_u32_e64 s0, 0x10000, v18
	v_lshrrev_b32_e32 v2, 3, v1
	v_and_b32_e32 v2, 0x1ffffffc, v2
	v_lshl_add_u32 v1, v1, 2, v2
	ds_read_u16 v1, v1
	;;#ASMSTART
	;;#ASMEND
	s_waitcnt lgkmcnt(0)
	v_cndmask_b32_e64 v1, 0, v1, s0
	v_add_nc_u32_e32 v18, v1, v18
	v_cndmask_b32_e64 v1, 0, v18, s1
	v_add_nc_u16 v3, v1, v21
	v_cndmask_b32_e64 v1, 0, v3, s2
	v_add_nc_u16 v4, v1, v20
	;; [unrolled: 2-line block ×9, first 2 shown]
.LBB325_140:
	s_or_b32 exec_lo, exec_lo, s10
	s_and_saveexec_b32 s0, vcc_lo
	s_cbranch_execz .LBB325_142
; %bb.141:
	v_mov_b32_e32 v10, 0
	ds_read_u8 v1, v10 offset:258
	ds_read_u16 v2, v10 offset:256
	s_waitcnt lgkmcnt(1)
	v_lshlrev_b32_e32 v1, 16, v1
	s_waitcnt lgkmcnt(0)
	v_or_b32_e32 v1, v1, v2
	v_mov_b32_e32 v2, 2
	global_store_dwordx2 v10, v[1:2], s[24:25] offset:256
.LBB325_142:
	s_or_b32 exec_lo, exec_lo, s0
	v_mov_b32_e32 v25, v18
.LBB325_143:
	s_add_u32 s0, s14, s28
	v_mov_b32_e32 v1, 0
	s_addc_u32 s1, s15, s29
	s_add_u32 s0, s0, s12
	s_addc_u32 s1, s1, s13
	s_and_b32 vcc_lo, exec_lo, s27
	s_cbranch_vccz .LBB325_183
; %bb.144:
	v_mul_u32_u24_e32 v2, 10, v0
	v_mov_b32_e32 v10, 0
	v_mov_b32_e32 v11, 0
	;; [unrolled: 1-line block ×4, first 2 shown]
	s_add_i32 s33, s33, s26
	s_mov_b32 s2, exec_lo
	v_cmpx_gt_u32_e64 s33, v2
	s_cbranch_execz .LBB325_164
; %bb.145:
	v_or_b32_e32 v13, 1, v2
	v_and_b32_e32 v1, 0xffff, v25
	v_mov_b32_e32 v10, 0
	v_mov_b32_e32 v11, 0
	;; [unrolled: 1-line block ×3, first 2 shown]
	v_cmp_gt_u32_e32 vcc_lo, s33, v13
	v_mov_b32_e32 v13, 0
	s_and_saveexec_b32 s3, vcc_lo
	s_cbranch_execz .LBB325_163
; %bb.146:
	v_perm_b32 v1, v3, v1, 0x5040100
	v_add_nc_u32_e32 v14, 2, v2
	v_mov_b32_e32 v13, 0
	v_mov_b32_e32 v12, 0
	;; [unrolled: 1-line block ×4, first 2 shown]
	s_mov_b32 s4, exec_lo
	v_cmpx_gt_u32_e64 s33, v14
	s_cbranch_execz .LBB325_162
; %bb.147:
	v_add_nc_u32_e32 v14, 3, v2
	v_bfi_b32 v10, 0xffff, v4, 0
	v_mov_b32_e32 v13, 0
	v_mov_b32_e32 v12, 0
	;; [unrolled: 1-line block ×3, first 2 shown]
	s_mov_b32 s5, exec_lo
	v_cmpx_gt_u32_e64 s33, v14
	s_cbranch_execz .LBB325_161
; %bb.148:
	v_add_nc_u32_e32 v14, 4, v2
	v_perm_b32 v10, v5, v10, 0x5040100
	v_mov_b32_e32 v13, 0
	v_mov_b32_e32 v12, 0
	;; [unrolled: 1-line block ×3, first 2 shown]
	s_mov_b32 s6, exec_lo
	v_cmpx_gt_u32_e64 s33, v14
	s_cbranch_execz .LBB325_160
; %bb.149:
	v_add_nc_u32_e32 v14, 5, v2
	v_bfi_b32 v11, 0xffff, v6, 0
	v_mov_b32_e32 v13, 0
	v_mov_b32_e32 v12, 0
	s_mov_b32 s7, exec_lo
	v_cmpx_gt_u32_e64 s33, v14
	s_cbranch_execz .LBB325_159
; %bb.150:
	v_add_nc_u32_e32 v14, 6, v2
	v_perm_b32 v11, v7, v11, 0x5040100
	v_mov_b32_e32 v13, 0
	v_mov_b32_e32 v12, 0
	s_mov_b32 s8, exec_lo
	v_cmpx_gt_u32_e64 s33, v14
	s_cbranch_execz .LBB325_158
; %bb.151:
	v_add_nc_u32_e32 v14, 7, v2
	v_bfi_b32 v12, 0xffff, v8, 0
	v_mov_b32_e32 v13, 0
	s_mov_b32 s9, exec_lo
	v_cmpx_gt_u32_e64 s33, v14
	s_cbranch_execz .LBB325_157
; %bb.152:
	v_add_nc_u32_e32 v14, 8, v2
	v_perm_b32 v12, v22, v12, 0x5040100
	v_mov_b32_e32 v13, 0
	s_mov_b32 s10, exec_lo
	v_cmpx_gt_u32_e64 s33, v14
	s_cbranch_execz .LBB325_156
; %bb.153:
	v_add_nc_u32_e32 v14, 9, v2
	v_bfi_b32 v13, 0xffff, v23, 0
	s_mov_b32 s11, exec_lo
	v_cmpx_gt_u32_e64 s33, v14
; %bb.154:
	v_perm_b32 v13, v24, v13, 0x5040100
; %bb.155:
	s_or_b32 exec_lo, exec_lo, s11
.LBB325_156:
	s_or_b32 exec_lo, exec_lo, s10
.LBB325_157:
	s_or_b32 exec_lo, exec_lo, s9
.LBB325_158:
	s_or_b32 exec_lo, exec_lo, s8
.LBB325_159:
	s_or_b32 exec_lo, exec_lo, s7
.LBB325_160:
	s_or_b32 exec_lo, exec_lo, s6
.LBB325_161:
	s_or_b32 exec_lo, exec_lo, s5
.LBB325_162:
	s_or_b32 exec_lo, exec_lo, s4
.LBB325_163:
	s_or_b32 exec_lo, exec_lo, s3
.LBB325_164:
	s_or_b32 exec_lo, exec_lo, s2
	v_lshlrev_b32_e32 v18, 1, v2
	s_waitcnt_vscnt null, 0x0
	s_barrier
	buffer_gl0_inv
	ds_write2_b32 v18, v1, v10 offset1:1
	ds_write2_b32 v18, v11, v12 offset0:2 offset1:3
	v_mad_i32_i24 v1, 0xffffffee, v0, v18
	ds_write_b32 v18, v13 offset:16
	s_waitcnt lgkmcnt(0)
	s_barrier
	buffer_gl0_inv
	ds_read_u16 v19, v1 offset:128
	ds_read_u16 v17, v1 offset:256
	;; [unrolled: 1-line block ×9, first 2 shown]
	v_add_co_u32 v1, s2, s0, v9
	v_add_co_ci_u32_e64 v2, null, s1, 0, s2
	s_mov_b32 s2, exec_lo
	v_cmpx_gt_u32_e64 s33, v0
	s_cbranch_execz .LBB325_166
; %bb.165:
	v_mul_i32_i24_e32 v20, 0xffffffee, v0
	v_add_nc_u32_e32 v18, v18, v20
	ds_read_u16 v18, v18
	s_waitcnt lgkmcnt(0)
	flat_store_short v[1:2], v18
.LBB325_166:
	s_or_b32 exec_lo, exec_lo, s2
	v_or_b32_e32 v18, 64, v0
	s_mov_b32 s2, exec_lo
	v_cmpx_gt_u32_e64 s33, v18
	s_cbranch_execz .LBB325_168
; %bb.167:
	s_waitcnt lgkmcnt(8)
	flat_store_short v[1:2], v19 offset:128
.LBB325_168:
	s_or_b32 exec_lo, exec_lo, s2
	v_or_b32_e32 v18, 0x80, v0
	s_mov_b32 s2, exec_lo
	v_cmpx_gt_u32_e64 s33, v18
	s_cbranch_execz .LBB325_170
; %bb.169:
	s_waitcnt lgkmcnt(7)
	flat_store_short v[1:2], v17 offset:256
.LBB325_170:
	s_or_b32 exec_lo, exec_lo, s2
	s_waitcnt lgkmcnt(7)
	v_or_b32_e32 v17, 0xc0, v0
	s_mov_b32 s2, exec_lo
	v_cmpx_gt_u32_e64 s33, v17
	s_cbranch_execz .LBB325_172
; %bb.171:
	s_waitcnt lgkmcnt(6)
	flat_store_short v[1:2], v16 offset:384
.LBB325_172:
	s_or_b32 exec_lo, exec_lo, s2
	s_waitcnt lgkmcnt(6)
	v_or_b32_e32 v16, 0x100, v0
	s_mov_b32 s2, exec_lo
	v_cmpx_gt_u32_e64 s33, v16
	s_cbranch_execz .LBB325_174
; %bb.173:
	s_waitcnt lgkmcnt(5)
	flat_store_short v[1:2], v15 offset:512
.LBB325_174:
	s_or_b32 exec_lo, exec_lo, s2
	s_waitcnt lgkmcnt(5)
	v_or_b32_e32 v15, 0x140, v0
	s_mov_b32 s2, exec_lo
	v_cmpx_gt_u32_e64 s33, v15
	s_cbranch_execz .LBB325_176
; %bb.175:
	s_waitcnt lgkmcnt(4)
	flat_store_short v[1:2], v14 offset:640
.LBB325_176:
	s_or_b32 exec_lo, exec_lo, s2
	s_waitcnt lgkmcnt(4)
	v_or_b32_e32 v14, 0x180, v0
	s_mov_b32 s2, exec_lo
	v_cmpx_gt_u32_e64 s33, v14
	s_cbranch_execz .LBB325_178
; %bb.177:
	s_waitcnt lgkmcnt(3)
	flat_store_short v[1:2], v13 offset:768
.LBB325_178:
	s_or_b32 exec_lo, exec_lo, s2
	s_waitcnt lgkmcnt(3)
	v_or_b32_e32 v13, 0x1c0, v0
	s_mov_b32 s2, exec_lo
	v_cmpx_gt_u32_e64 s33, v13
	s_cbranch_execz .LBB325_180
; %bb.179:
	s_waitcnt lgkmcnt(2)
	flat_store_short v[1:2], v12 offset:896
.LBB325_180:
	s_or_b32 exec_lo, exec_lo, s2
	s_waitcnt lgkmcnt(2)
	v_or_b32_e32 v12, 0x200, v0
	s_mov_b32 s2, exec_lo
	v_cmpx_gt_u32_e64 s33, v12
	s_cbranch_execz .LBB325_182
; %bb.181:
	s_waitcnt lgkmcnt(1)
	flat_store_short v[1:2], v11 offset:1024
.LBB325_182:
	s_or_b32 exec_lo, exec_lo, s2
	v_or_b32_e32 v1, 0x240, v0
	v_cmp_gt_u32_e64 s2, s33, v1
	s_branch .LBB325_185
.LBB325_183:
	s_mov_b32 s2, 0
                                        ; implicit-def: $vgpr10
	s_cbranch_execz .LBB325_185
; %bb.184:
	v_mul_u32_u24_e32 v1, 20, v0
	v_perm_b32 v2, v5, v4, 0x5040100
	v_perm_b32 v3, v3, v25, 0x5040100
	;; [unrolled: 1-line block ×3, first 2 shown]
	v_mul_i32_i24_e32 v6, 0xffffffee, v0
	v_perm_b32 v4, v22, v8, 0x5040100
	s_waitcnt lgkmcnt(0)
	s_waitcnt_vscnt null, 0x0
	s_barrier
	v_perm_b32 v7, v24, v23, 0x5040100
	buffer_gl0_inv
	ds_write2_b32 v1, v3, v2 offset1:1
	ds_write2_b32 v1, v5, v4 offset0:2 offset1:3
	v_mad_u32_u24 v2, v0, 20, v6
	s_or_b32 s2, s2, exec_lo
	ds_write_b32 v1, v7 offset:16
	s_waitcnt lgkmcnt(0)
	s_barrier
	buffer_gl0_inv
	ds_read_u16 v3, v2
	ds_read_u16 v4, v2 offset:128
	ds_read_u16 v5, v2 offset:256
	;; [unrolled: 1-line block ×9, first 2 shown]
	v_add_co_u32 v1, s3, s0, v9
	v_add_co_ci_u32_e64 v2, null, s1, 0, s3
	s_waitcnt lgkmcnt(9)
	flat_store_short v[1:2], v3
	s_waitcnt lgkmcnt(9)
	flat_store_short v[1:2], v4 offset:128
	s_waitcnt lgkmcnt(9)
	flat_store_short v[1:2], v5 offset:256
	;; [unrolled: 2-line block ×8, first 2 shown]
.LBB325_185:
	s_and_saveexec_b32 s3, s2
	s_cbranch_execnz .LBB325_187
; %bb.186:
	s_endpgm
.LBB325_187:
	v_lshlrev_b32_e32 v0, 1, v0
	v_add_co_u32 v0, s0, s0, v0
	v_add_co_ci_u32_e64 v1, null, s1, 0, s0
	s_waitcnt lgkmcnt(0)
	flat_store_short v[0:1], v10 offset:1152
	s_endpgm
.LBB325_188:
	v_add_co_u32 v3, s10, s11, v14
	v_add_co_ci_u32_e64 v4, null, s36, 0, s10
	v_mov_b32_e32 v2, v1
	v_mov_b32_e32 v5, v1
	;; [unrolled: 1-line block ×3, first 2 shown]
	flat_load_short_d16 v2, v[3:4]
	v_mov_b32_e32 v3, v1
	v_mov_b32_e32 v4, v1
	s_waitcnt vmcnt(0) lgkmcnt(0)
	v_mov_b32_e32 v1, v2
	v_mov_b32_e32 v2, v3
	;; [unrolled: 1-line block ×8, first 2 shown]
	s_or_b32 exec_lo, exec_lo, s16
	s_and_saveexec_b32 s10, s9
	s_cbranch_execz .LBB325_29
.LBB325_189:
	v_add_co_u32 v6, s9, s11, v14
	v_add_co_ci_u32_e64 v7, null, s36, 0, s9
	flat_load_short_d16_hi v1, v[6:7] offset:128
	s_or_b32 exec_lo, exec_lo, s10
	s_and_saveexec_b32 s9, s8
	s_cbranch_execz .LBB325_30
.LBB325_190:
	v_add_co_u32 v6, s8, s11, v14
	v_add_co_ci_u32_e64 v7, null, s36, 0, s8
	flat_load_short_d16 v2, v[6:7] offset:256
	s_or_b32 exec_lo, exec_lo, s9
	s_and_saveexec_b32 s8, s7
	s_cbranch_execz .LBB325_31
.LBB325_191:
	v_add_co_u32 v6, s7, s11, v14
	v_add_co_ci_u32_e64 v7, null, s36, 0, s7
	s_waitcnt vmcnt(0) lgkmcnt(0)
	flat_load_short_d16_hi v2, v[6:7] offset:384
	s_or_b32 exec_lo, exec_lo, s8
	s_and_saveexec_b32 s7, s5
	s_cbranch_execz .LBB325_32
.LBB325_192:
	v_add_co_u32 v6, s5, s11, v14
	v_add_co_ci_u32_e64 v7, null, s36, 0, s5
	flat_load_short_d16 v3, v[6:7] offset:512
	s_or_b32 exec_lo, exec_lo, s7
	s_and_saveexec_b32 s5, s4
	s_cbranch_execz .LBB325_33
.LBB325_193:
	v_add_co_u32 v6, s4, s11, v14
	v_add_co_ci_u32_e64 v7, null, s36, 0, s4
	s_waitcnt vmcnt(0) lgkmcnt(0)
	flat_load_short_d16_hi v3, v[6:7] offset:640
	s_or_b32 exec_lo, exec_lo, s5
	s_and_saveexec_b32 s4, s3
	s_cbranch_execz .LBB325_34
.LBB325_194:
	v_add_co_u32 v6, s3, s11, v14
	v_add_co_ci_u32_e64 v7, null, s36, 0, s3
	flat_load_short_d16 v4, v[6:7] offset:768
	s_or_b32 exec_lo, exec_lo, s4
	s_and_saveexec_b32 s3, s2
	s_cbranch_execz .LBB325_35
.LBB325_195:
	v_add_co_u32 v6, s2, s11, v14
	v_add_co_ci_u32_e64 v7, null, s36, 0, s2
	s_waitcnt vmcnt(0) lgkmcnt(0)
	flat_load_short_d16_hi v4, v[6:7] offset:896
	s_or_b32 exec_lo, exec_lo, s3
	s_and_saveexec_b32 s2, s1
	s_cbranch_execz .LBB325_36
.LBB325_196:
	v_add_co_u32 v6, s1, s11, v14
	v_add_co_ci_u32_e64 v7, null, s36, 0, s1
	flat_load_short_d16 v5, v[6:7] offset:1024
	s_or_b32 exec_lo, exec_lo, s2
	s_and_saveexec_b32 s1, s0
	s_cbranch_execnz .LBB325_37
	s_branch .LBB325_38
.LBB325_197:
                                        ; implicit-def: $sgpr16_sgpr17
	s_branch .LBB325_24
.LBB325_198:
                                        ; implicit-def: $sgpr0_sgpr1
	s_branch .LBB325_61
	.section	.rodata,"a",@progbits
	.p2align	6, 0x0
	.amdhsa_kernel _ZN7rocprim17ROCPRIM_400000_NS6detail17trampoline_kernelINS0_14default_configENS1_27scan_by_key_config_selectorIssEEZZNS1_16scan_by_key_implILNS1_25lookback_scan_determinismE0ELb0ES3_N6thrust23THRUST_200600_302600_NS6detail15normal_iteratorINS9_10device_ptrIsEEEESE_SE_sNS9_4plusIvEENS9_8equal_toIsEEsEE10hipError_tPvRmT2_T3_T4_T5_mT6_T7_P12ihipStream_tbENKUlT_T0_E_clISt17integral_constantIbLb0EESZ_EEDaSU_SV_EUlSU_E_NS1_11comp_targetILNS1_3genE8ELNS1_11target_archE1030ELNS1_3gpuE2ELNS1_3repE0EEENS1_30default_config_static_selectorELNS0_4arch9wavefront6targetE0EEEvT1_
		.amdhsa_group_segment_fixed_size 1536
		.amdhsa_private_segment_fixed_size 0
		.amdhsa_kernarg_size 112
		.amdhsa_user_sgpr_count 6
		.amdhsa_user_sgpr_private_segment_buffer 1
		.amdhsa_user_sgpr_dispatch_ptr 0
		.amdhsa_user_sgpr_queue_ptr 0
		.amdhsa_user_sgpr_kernarg_segment_ptr 1
		.amdhsa_user_sgpr_dispatch_id 0
		.amdhsa_user_sgpr_flat_scratch_init 0
		.amdhsa_user_sgpr_private_segment_size 0
		.amdhsa_wavefront_size32 1
		.amdhsa_uses_dynamic_stack 0
		.amdhsa_system_sgpr_private_segment_wavefront_offset 0
		.amdhsa_system_sgpr_workgroup_id_x 1
		.amdhsa_system_sgpr_workgroup_id_y 0
		.amdhsa_system_sgpr_workgroup_id_z 0
		.amdhsa_system_sgpr_workgroup_info 0
		.amdhsa_system_vgpr_workitem_id 0
		.amdhsa_next_free_vgpr 42
		.amdhsa_next_free_sgpr 39
		.amdhsa_reserve_vcc 1
		.amdhsa_reserve_flat_scratch 1
		.amdhsa_float_round_mode_32 0
		.amdhsa_float_round_mode_16_64 0
		.amdhsa_float_denorm_mode_32 3
		.amdhsa_float_denorm_mode_16_64 3
		.amdhsa_dx10_clamp 1
		.amdhsa_ieee_mode 1
		.amdhsa_fp16_overflow 0
		.amdhsa_workgroup_processor_mode 1
		.amdhsa_memory_ordered 1
		.amdhsa_forward_progress 1
		.amdhsa_shared_vgpr_count 0
		.amdhsa_exception_fp_ieee_invalid_op 0
		.amdhsa_exception_fp_denorm_src 0
		.amdhsa_exception_fp_ieee_div_zero 0
		.amdhsa_exception_fp_ieee_overflow 0
		.amdhsa_exception_fp_ieee_underflow 0
		.amdhsa_exception_fp_ieee_inexact 0
		.amdhsa_exception_int_div_zero 0
	.end_amdhsa_kernel
	.section	.text._ZN7rocprim17ROCPRIM_400000_NS6detail17trampoline_kernelINS0_14default_configENS1_27scan_by_key_config_selectorIssEEZZNS1_16scan_by_key_implILNS1_25lookback_scan_determinismE0ELb0ES3_N6thrust23THRUST_200600_302600_NS6detail15normal_iteratorINS9_10device_ptrIsEEEESE_SE_sNS9_4plusIvEENS9_8equal_toIsEEsEE10hipError_tPvRmT2_T3_T4_T5_mT6_T7_P12ihipStream_tbENKUlT_T0_E_clISt17integral_constantIbLb0EESZ_EEDaSU_SV_EUlSU_E_NS1_11comp_targetILNS1_3genE8ELNS1_11target_archE1030ELNS1_3gpuE2ELNS1_3repE0EEENS1_30default_config_static_selectorELNS0_4arch9wavefront6targetE0EEEvT1_,"axG",@progbits,_ZN7rocprim17ROCPRIM_400000_NS6detail17trampoline_kernelINS0_14default_configENS1_27scan_by_key_config_selectorIssEEZZNS1_16scan_by_key_implILNS1_25lookback_scan_determinismE0ELb0ES3_N6thrust23THRUST_200600_302600_NS6detail15normal_iteratorINS9_10device_ptrIsEEEESE_SE_sNS9_4plusIvEENS9_8equal_toIsEEsEE10hipError_tPvRmT2_T3_T4_T5_mT6_T7_P12ihipStream_tbENKUlT_T0_E_clISt17integral_constantIbLb0EESZ_EEDaSU_SV_EUlSU_E_NS1_11comp_targetILNS1_3genE8ELNS1_11target_archE1030ELNS1_3gpuE2ELNS1_3repE0EEENS1_30default_config_static_selectorELNS0_4arch9wavefront6targetE0EEEvT1_,comdat
.Lfunc_end325:
	.size	_ZN7rocprim17ROCPRIM_400000_NS6detail17trampoline_kernelINS0_14default_configENS1_27scan_by_key_config_selectorIssEEZZNS1_16scan_by_key_implILNS1_25lookback_scan_determinismE0ELb0ES3_N6thrust23THRUST_200600_302600_NS6detail15normal_iteratorINS9_10device_ptrIsEEEESE_SE_sNS9_4plusIvEENS9_8equal_toIsEEsEE10hipError_tPvRmT2_T3_T4_T5_mT6_T7_P12ihipStream_tbENKUlT_T0_E_clISt17integral_constantIbLb0EESZ_EEDaSU_SV_EUlSU_E_NS1_11comp_targetILNS1_3genE8ELNS1_11target_archE1030ELNS1_3gpuE2ELNS1_3repE0EEENS1_30default_config_static_selectorELNS0_4arch9wavefront6targetE0EEEvT1_, .Lfunc_end325-_ZN7rocprim17ROCPRIM_400000_NS6detail17trampoline_kernelINS0_14default_configENS1_27scan_by_key_config_selectorIssEEZZNS1_16scan_by_key_implILNS1_25lookback_scan_determinismE0ELb0ES3_N6thrust23THRUST_200600_302600_NS6detail15normal_iteratorINS9_10device_ptrIsEEEESE_SE_sNS9_4plusIvEENS9_8equal_toIsEEsEE10hipError_tPvRmT2_T3_T4_T5_mT6_T7_P12ihipStream_tbENKUlT_T0_E_clISt17integral_constantIbLb0EESZ_EEDaSU_SV_EUlSU_E_NS1_11comp_targetILNS1_3genE8ELNS1_11target_archE1030ELNS1_3gpuE2ELNS1_3repE0EEENS1_30default_config_static_selectorELNS0_4arch9wavefront6targetE0EEEvT1_
                                        ; -- End function
	.set _ZN7rocprim17ROCPRIM_400000_NS6detail17trampoline_kernelINS0_14default_configENS1_27scan_by_key_config_selectorIssEEZZNS1_16scan_by_key_implILNS1_25lookback_scan_determinismE0ELb0ES3_N6thrust23THRUST_200600_302600_NS6detail15normal_iteratorINS9_10device_ptrIsEEEESE_SE_sNS9_4plusIvEENS9_8equal_toIsEEsEE10hipError_tPvRmT2_T3_T4_T5_mT6_T7_P12ihipStream_tbENKUlT_T0_E_clISt17integral_constantIbLb0EESZ_EEDaSU_SV_EUlSU_E_NS1_11comp_targetILNS1_3genE8ELNS1_11target_archE1030ELNS1_3gpuE2ELNS1_3repE0EEENS1_30default_config_static_selectorELNS0_4arch9wavefront6targetE0EEEvT1_.num_vgpr, 42
	.set _ZN7rocprim17ROCPRIM_400000_NS6detail17trampoline_kernelINS0_14default_configENS1_27scan_by_key_config_selectorIssEEZZNS1_16scan_by_key_implILNS1_25lookback_scan_determinismE0ELb0ES3_N6thrust23THRUST_200600_302600_NS6detail15normal_iteratorINS9_10device_ptrIsEEEESE_SE_sNS9_4plusIvEENS9_8equal_toIsEEsEE10hipError_tPvRmT2_T3_T4_T5_mT6_T7_P12ihipStream_tbENKUlT_T0_E_clISt17integral_constantIbLb0EESZ_EEDaSU_SV_EUlSU_E_NS1_11comp_targetILNS1_3genE8ELNS1_11target_archE1030ELNS1_3gpuE2ELNS1_3repE0EEENS1_30default_config_static_selectorELNS0_4arch9wavefront6targetE0EEEvT1_.num_agpr, 0
	.set _ZN7rocprim17ROCPRIM_400000_NS6detail17trampoline_kernelINS0_14default_configENS1_27scan_by_key_config_selectorIssEEZZNS1_16scan_by_key_implILNS1_25lookback_scan_determinismE0ELb0ES3_N6thrust23THRUST_200600_302600_NS6detail15normal_iteratorINS9_10device_ptrIsEEEESE_SE_sNS9_4plusIvEENS9_8equal_toIsEEsEE10hipError_tPvRmT2_T3_T4_T5_mT6_T7_P12ihipStream_tbENKUlT_T0_E_clISt17integral_constantIbLb0EESZ_EEDaSU_SV_EUlSU_E_NS1_11comp_targetILNS1_3genE8ELNS1_11target_archE1030ELNS1_3gpuE2ELNS1_3repE0EEENS1_30default_config_static_selectorELNS0_4arch9wavefront6targetE0EEEvT1_.numbered_sgpr, 39
	.set _ZN7rocprim17ROCPRIM_400000_NS6detail17trampoline_kernelINS0_14default_configENS1_27scan_by_key_config_selectorIssEEZZNS1_16scan_by_key_implILNS1_25lookback_scan_determinismE0ELb0ES3_N6thrust23THRUST_200600_302600_NS6detail15normal_iteratorINS9_10device_ptrIsEEEESE_SE_sNS9_4plusIvEENS9_8equal_toIsEEsEE10hipError_tPvRmT2_T3_T4_T5_mT6_T7_P12ihipStream_tbENKUlT_T0_E_clISt17integral_constantIbLb0EESZ_EEDaSU_SV_EUlSU_E_NS1_11comp_targetILNS1_3genE8ELNS1_11target_archE1030ELNS1_3gpuE2ELNS1_3repE0EEENS1_30default_config_static_selectorELNS0_4arch9wavefront6targetE0EEEvT1_.num_named_barrier, 0
	.set _ZN7rocprim17ROCPRIM_400000_NS6detail17trampoline_kernelINS0_14default_configENS1_27scan_by_key_config_selectorIssEEZZNS1_16scan_by_key_implILNS1_25lookback_scan_determinismE0ELb0ES3_N6thrust23THRUST_200600_302600_NS6detail15normal_iteratorINS9_10device_ptrIsEEEESE_SE_sNS9_4plusIvEENS9_8equal_toIsEEsEE10hipError_tPvRmT2_T3_T4_T5_mT6_T7_P12ihipStream_tbENKUlT_T0_E_clISt17integral_constantIbLb0EESZ_EEDaSU_SV_EUlSU_E_NS1_11comp_targetILNS1_3genE8ELNS1_11target_archE1030ELNS1_3gpuE2ELNS1_3repE0EEENS1_30default_config_static_selectorELNS0_4arch9wavefront6targetE0EEEvT1_.private_seg_size, 0
	.set _ZN7rocprim17ROCPRIM_400000_NS6detail17trampoline_kernelINS0_14default_configENS1_27scan_by_key_config_selectorIssEEZZNS1_16scan_by_key_implILNS1_25lookback_scan_determinismE0ELb0ES3_N6thrust23THRUST_200600_302600_NS6detail15normal_iteratorINS9_10device_ptrIsEEEESE_SE_sNS9_4plusIvEENS9_8equal_toIsEEsEE10hipError_tPvRmT2_T3_T4_T5_mT6_T7_P12ihipStream_tbENKUlT_T0_E_clISt17integral_constantIbLb0EESZ_EEDaSU_SV_EUlSU_E_NS1_11comp_targetILNS1_3genE8ELNS1_11target_archE1030ELNS1_3gpuE2ELNS1_3repE0EEENS1_30default_config_static_selectorELNS0_4arch9wavefront6targetE0EEEvT1_.uses_vcc, 1
	.set _ZN7rocprim17ROCPRIM_400000_NS6detail17trampoline_kernelINS0_14default_configENS1_27scan_by_key_config_selectorIssEEZZNS1_16scan_by_key_implILNS1_25lookback_scan_determinismE0ELb0ES3_N6thrust23THRUST_200600_302600_NS6detail15normal_iteratorINS9_10device_ptrIsEEEESE_SE_sNS9_4plusIvEENS9_8equal_toIsEEsEE10hipError_tPvRmT2_T3_T4_T5_mT6_T7_P12ihipStream_tbENKUlT_T0_E_clISt17integral_constantIbLb0EESZ_EEDaSU_SV_EUlSU_E_NS1_11comp_targetILNS1_3genE8ELNS1_11target_archE1030ELNS1_3gpuE2ELNS1_3repE0EEENS1_30default_config_static_selectorELNS0_4arch9wavefront6targetE0EEEvT1_.uses_flat_scratch, 1
	.set _ZN7rocprim17ROCPRIM_400000_NS6detail17trampoline_kernelINS0_14default_configENS1_27scan_by_key_config_selectorIssEEZZNS1_16scan_by_key_implILNS1_25lookback_scan_determinismE0ELb0ES3_N6thrust23THRUST_200600_302600_NS6detail15normal_iteratorINS9_10device_ptrIsEEEESE_SE_sNS9_4plusIvEENS9_8equal_toIsEEsEE10hipError_tPvRmT2_T3_T4_T5_mT6_T7_P12ihipStream_tbENKUlT_T0_E_clISt17integral_constantIbLb0EESZ_EEDaSU_SV_EUlSU_E_NS1_11comp_targetILNS1_3genE8ELNS1_11target_archE1030ELNS1_3gpuE2ELNS1_3repE0EEENS1_30default_config_static_selectorELNS0_4arch9wavefront6targetE0EEEvT1_.has_dyn_sized_stack, 0
	.set _ZN7rocprim17ROCPRIM_400000_NS6detail17trampoline_kernelINS0_14default_configENS1_27scan_by_key_config_selectorIssEEZZNS1_16scan_by_key_implILNS1_25lookback_scan_determinismE0ELb0ES3_N6thrust23THRUST_200600_302600_NS6detail15normal_iteratorINS9_10device_ptrIsEEEESE_SE_sNS9_4plusIvEENS9_8equal_toIsEEsEE10hipError_tPvRmT2_T3_T4_T5_mT6_T7_P12ihipStream_tbENKUlT_T0_E_clISt17integral_constantIbLb0EESZ_EEDaSU_SV_EUlSU_E_NS1_11comp_targetILNS1_3genE8ELNS1_11target_archE1030ELNS1_3gpuE2ELNS1_3repE0EEENS1_30default_config_static_selectorELNS0_4arch9wavefront6targetE0EEEvT1_.has_recursion, 0
	.set _ZN7rocprim17ROCPRIM_400000_NS6detail17trampoline_kernelINS0_14default_configENS1_27scan_by_key_config_selectorIssEEZZNS1_16scan_by_key_implILNS1_25lookback_scan_determinismE0ELb0ES3_N6thrust23THRUST_200600_302600_NS6detail15normal_iteratorINS9_10device_ptrIsEEEESE_SE_sNS9_4plusIvEENS9_8equal_toIsEEsEE10hipError_tPvRmT2_T3_T4_T5_mT6_T7_P12ihipStream_tbENKUlT_T0_E_clISt17integral_constantIbLb0EESZ_EEDaSU_SV_EUlSU_E_NS1_11comp_targetILNS1_3genE8ELNS1_11target_archE1030ELNS1_3gpuE2ELNS1_3repE0EEENS1_30default_config_static_selectorELNS0_4arch9wavefront6targetE0EEEvT1_.has_indirect_call, 0
	.section	.AMDGPU.csdata,"",@progbits
; Kernel info:
; codeLenInByte = 10336
; TotalNumSgprs: 41
; NumVgprs: 42
; ScratchSize: 0
; MemoryBound: 0
; FloatMode: 240
; IeeeMode: 1
; LDSByteSize: 1536 bytes/workgroup (compile time only)
; SGPRBlocks: 0
; VGPRBlocks: 5
; NumSGPRsForWavesPerEU: 41
; NumVGPRsForWavesPerEU: 42
; Occupancy: 16
; WaveLimiterHint : 1
; COMPUTE_PGM_RSRC2:SCRATCH_EN: 0
; COMPUTE_PGM_RSRC2:USER_SGPR: 6
; COMPUTE_PGM_RSRC2:TRAP_HANDLER: 0
; COMPUTE_PGM_RSRC2:TGID_X_EN: 1
; COMPUTE_PGM_RSRC2:TGID_Y_EN: 0
; COMPUTE_PGM_RSRC2:TGID_Z_EN: 0
; COMPUTE_PGM_RSRC2:TIDIG_COMP_CNT: 0
	.section	.text._ZN7rocprim17ROCPRIM_400000_NS6detail17trampoline_kernelINS0_14default_configENS1_27scan_by_key_config_selectorIssEEZZNS1_16scan_by_key_implILNS1_25lookback_scan_determinismE0ELb0ES3_N6thrust23THRUST_200600_302600_NS6detail15normal_iteratorINS9_10device_ptrIsEEEESE_SE_sNS9_4plusIvEENS9_8equal_toIsEEsEE10hipError_tPvRmT2_T3_T4_T5_mT6_T7_P12ihipStream_tbENKUlT_T0_E_clISt17integral_constantIbLb1EESZ_EEDaSU_SV_EUlSU_E_NS1_11comp_targetILNS1_3genE0ELNS1_11target_archE4294967295ELNS1_3gpuE0ELNS1_3repE0EEENS1_30default_config_static_selectorELNS0_4arch9wavefront6targetE0EEEvT1_,"axG",@progbits,_ZN7rocprim17ROCPRIM_400000_NS6detail17trampoline_kernelINS0_14default_configENS1_27scan_by_key_config_selectorIssEEZZNS1_16scan_by_key_implILNS1_25lookback_scan_determinismE0ELb0ES3_N6thrust23THRUST_200600_302600_NS6detail15normal_iteratorINS9_10device_ptrIsEEEESE_SE_sNS9_4plusIvEENS9_8equal_toIsEEsEE10hipError_tPvRmT2_T3_T4_T5_mT6_T7_P12ihipStream_tbENKUlT_T0_E_clISt17integral_constantIbLb1EESZ_EEDaSU_SV_EUlSU_E_NS1_11comp_targetILNS1_3genE0ELNS1_11target_archE4294967295ELNS1_3gpuE0ELNS1_3repE0EEENS1_30default_config_static_selectorELNS0_4arch9wavefront6targetE0EEEvT1_,comdat
	.protected	_ZN7rocprim17ROCPRIM_400000_NS6detail17trampoline_kernelINS0_14default_configENS1_27scan_by_key_config_selectorIssEEZZNS1_16scan_by_key_implILNS1_25lookback_scan_determinismE0ELb0ES3_N6thrust23THRUST_200600_302600_NS6detail15normal_iteratorINS9_10device_ptrIsEEEESE_SE_sNS9_4plusIvEENS9_8equal_toIsEEsEE10hipError_tPvRmT2_T3_T4_T5_mT6_T7_P12ihipStream_tbENKUlT_T0_E_clISt17integral_constantIbLb1EESZ_EEDaSU_SV_EUlSU_E_NS1_11comp_targetILNS1_3genE0ELNS1_11target_archE4294967295ELNS1_3gpuE0ELNS1_3repE0EEENS1_30default_config_static_selectorELNS0_4arch9wavefront6targetE0EEEvT1_ ; -- Begin function _ZN7rocprim17ROCPRIM_400000_NS6detail17trampoline_kernelINS0_14default_configENS1_27scan_by_key_config_selectorIssEEZZNS1_16scan_by_key_implILNS1_25lookback_scan_determinismE0ELb0ES3_N6thrust23THRUST_200600_302600_NS6detail15normal_iteratorINS9_10device_ptrIsEEEESE_SE_sNS9_4plusIvEENS9_8equal_toIsEEsEE10hipError_tPvRmT2_T3_T4_T5_mT6_T7_P12ihipStream_tbENKUlT_T0_E_clISt17integral_constantIbLb1EESZ_EEDaSU_SV_EUlSU_E_NS1_11comp_targetILNS1_3genE0ELNS1_11target_archE4294967295ELNS1_3gpuE0ELNS1_3repE0EEENS1_30default_config_static_selectorELNS0_4arch9wavefront6targetE0EEEvT1_
	.globl	_ZN7rocprim17ROCPRIM_400000_NS6detail17trampoline_kernelINS0_14default_configENS1_27scan_by_key_config_selectorIssEEZZNS1_16scan_by_key_implILNS1_25lookback_scan_determinismE0ELb0ES3_N6thrust23THRUST_200600_302600_NS6detail15normal_iteratorINS9_10device_ptrIsEEEESE_SE_sNS9_4plusIvEENS9_8equal_toIsEEsEE10hipError_tPvRmT2_T3_T4_T5_mT6_T7_P12ihipStream_tbENKUlT_T0_E_clISt17integral_constantIbLb1EESZ_EEDaSU_SV_EUlSU_E_NS1_11comp_targetILNS1_3genE0ELNS1_11target_archE4294967295ELNS1_3gpuE0ELNS1_3repE0EEENS1_30default_config_static_selectorELNS0_4arch9wavefront6targetE0EEEvT1_
	.p2align	8
	.type	_ZN7rocprim17ROCPRIM_400000_NS6detail17trampoline_kernelINS0_14default_configENS1_27scan_by_key_config_selectorIssEEZZNS1_16scan_by_key_implILNS1_25lookback_scan_determinismE0ELb0ES3_N6thrust23THRUST_200600_302600_NS6detail15normal_iteratorINS9_10device_ptrIsEEEESE_SE_sNS9_4plusIvEENS9_8equal_toIsEEsEE10hipError_tPvRmT2_T3_T4_T5_mT6_T7_P12ihipStream_tbENKUlT_T0_E_clISt17integral_constantIbLb1EESZ_EEDaSU_SV_EUlSU_E_NS1_11comp_targetILNS1_3genE0ELNS1_11target_archE4294967295ELNS1_3gpuE0ELNS1_3repE0EEENS1_30default_config_static_selectorELNS0_4arch9wavefront6targetE0EEEvT1_,@function
_ZN7rocprim17ROCPRIM_400000_NS6detail17trampoline_kernelINS0_14default_configENS1_27scan_by_key_config_selectorIssEEZZNS1_16scan_by_key_implILNS1_25lookback_scan_determinismE0ELb0ES3_N6thrust23THRUST_200600_302600_NS6detail15normal_iteratorINS9_10device_ptrIsEEEESE_SE_sNS9_4plusIvEENS9_8equal_toIsEEsEE10hipError_tPvRmT2_T3_T4_T5_mT6_T7_P12ihipStream_tbENKUlT_T0_E_clISt17integral_constantIbLb1EESZ_EEDaSU_SV_EUlSU_E_NS1_11comp_targetILNS1_3genE0ELNS1_11target_archE4294967295ELNS1_3gpuE0ELNS1_3repE0EEENS1_30default_config_static_selectorELNS0_4arch9wavefront6targetE0EEEvT1_: ; @_ZN7rocprim17ROCPRIM_400000_NS6detail17trampoline_kernelINS0_14default_configENS1_27scan_by_key_config_selectorIssEEZZNS1_16scan_by_key_implILNS1_25lookback_scan_determinismE0ELb0ES3_N6thrust23THRUST_200600_302600_NS6detail15normal_iteratorINS9_10device_ptrIsEEEESE_SE_sNS9_4plusIvEENS9_8equal_toIsEEsEE10hipError_tPvRmT2_T3_T4_T5_mT6_T7_P12ihipStream_tbENKUlT_T0_E_clISt17integral_constantIbLb1EESZ_EEDaSU_SV_EUlSU_E_NS1_11comp_targetILNS1_3genE0ELNS1_11target_archE4294967295ELNS1_3gpuE0ELNS1_3repE0EEENS1_30default_config_static_selectorELNS0_4arch9wavefront6targetE0EEEvT1_
; %bb.0:
	.section	.rodata,"a",@progbits
	.p2align	6, 0x0
	.amdhsa_kernel _ZN7rocprim17ROCPRIM_400000_NS6detail17trampoline_kernelINS0_14default_configENS1_27scan_by_key_config_selectorIssEEZZNS1_16scan_by_key_implILNS1_25lookback_scan_determinismE0ELb0ES3_N6thrust23THRUST_200600_302600_NS6detail15normal_iteratorINS9_10device_ptrIsEEEESE_SE_sNS9_4plusIvEENS9_8equal_toIsEEsEE10hipError_tPvRmT2_T3_T4_T5_mT6_T7_P12ihipStream_tbENKUlT_T0_E_clISt17integral_constantIbLb1EESZ_EEDaSU_SV_EUlSU_E_NS1_11comp_targetILNS1_3genE0ELNS1_11target_archE4294967295ELNS1_3gpuE0ELNS1_3repE0EEENS1_30default_config_static_selectorELNS0_4arch9wavefront6targetE0EEEvT1_
		.amdhsa_group_segment_fixed_size 0
		.amdhsa_private_segment_fixed_size 0
		.amdhsa_kernarg_size 112
		.amdhsa_user_sgpr_count 6
		.amdhsa_user_sgpr_private_segment_buffer 1
		.amdhsa_user_sgpr_dispatch_ptr 0
		.amdhsa_user_sgpr_queue_ptr 0
		.amdhsa_user_sgpr_kernarg_segment_ptr 1
		.amdhsa_user_sgpr_dispatch_id 0
		.amdhsa_user_sgpr_flat_scratch_init 0
		.amdhsa_user_sgpr_private_segment_size 0
		.amdhsa_wavefront_size32 1
		.amdhsa_uses_dynamic_stack 0
		.amdhsa_system_sgpr_private_segment_wavefront_offset 0
		.amdhsa_system_sgpr_workgroup_id_x 1
		.amdhsa_system_sgpr_workgroup_id_y 0
		.amdhsa_system_sgpr_workgroup_id_z 0
		.amdhsa_system_sgpr_workgroup_info 0
		.amdhsa_system_vgpr_workitem_id 0
		.amdhsa_next_free_vgpr 1
		.amdhsa_next_free_sgpr 1
		.amdhsa_reserve_vcc 0
		.amdhsa_reserve_flat_scratch 0
		.amdhsa_float_round_mode_32 0
		.amdhsa_float_round_mode_16_64 0
		.amdhsa_float_denorm_mode_32 3
		.amdhsa_float_denorm_mode_16_64 3
		.amdhsa_dx10_clamp 1
		.amdhsa_ieee_mode 1
		.amdhsa_fp16_overflow 0
		.amdhsa_workgroup_processor_mode 1
		.amdhsa_memory_ordered 1
		.amdhsa_forward_progress 1
		.amdhsa_shared_vgpr_count 0
		.amdhsa_exception_fp_ieee_invalid_op 0
		.amdhsa_exception_fp_denorm_src 0
		.amdhsa_exception_fp_ieee_div_zero 0
		.amdhsa_exception_fp_ieee_overflow 0
		.amdhsa_exception_fp_ieee_underflow 0
		.amdhsa_exception_fp_ieee_inexact 0
		.amdhsa_exception_int_div_zero 0
	.end_amdhsa_kernel
	.section	.text._ZN7rocprim17ROCPRIM_400000_NS6detail17trampoline_kernelINS0_14default_configENS1_27scan_by_key_config_selectorIssEEZZNS1_16scan_by_key_implILNS1_25lookback_scan_determinismE0ELb0ES3_N6thrust23THRUST_200600_302600_NS6detail15normal_iteratorINS9_10device_ptrIsEEEESE_SE_sNS9_4plusIvEENS9_8equal_toIsEEsEE10hipError_tPvRmT2_T3_T4_T5_mT6_T7_P12ihipStream_tbENKUlT_T0_E_clISt17integral_constantIbLb1EESZ_EEDaSU_SV_EUlSU_E_NS1_11comp_targetILNS1_3genE0ELNS1_11target_archE4294967295ELNS1_3gpuE0ELNS1_3repE0EEENS1_30default_config_static_selectorELNS0_4arch9wavefront6targetE0EEEvT1_,"axG",@progbits,_ZN7rocprim17ROCPRIM_400000_NS6detail17trampoline_kernelINS0_14default_configENS1_27scan_by_key_config_selectorIssEEZZNS1_16scan_by_key_implILNS1_25lookback_scan_determinismE0ELb0ES3_N6thrust23THRUST_200600_302600_NS6detail15normal_iteratorINS9_10device_ptrIsEEEESE_SE_sNS9_4plusIvEENS9_8equal_toIsEEsEE10hipError_tPvRmT2_T3_T4_T5_mT6_T7_P12ihipStream_tbENKUlT_T0_E_clISt17integral_constantIbLb1EESZ_EEDaSU_SV_EUlSU_E_NS1_11comp_targetILNS1_3genE0ELNS1_11target_archE4294967295ELNS1_3gpuE0ELNS1_3repE0EEENS1_30default_config_static_selectorELNS0_4arch9wavefront6targetE0EEEvT1_,comdat
.Lfunc_end326:
	.size	_ZN7rocprim17ROCPRIM_400000_NS6detail17trampoline_kernelINS0_14default_configENS1_27scan_by_key_config_selectorIssEEZZNS1_16scan_by_key_implILNS1_25lookback_scan_determinismE0ELb0ES3_N6thrust23THRUST_200600_302600_NS6detail15normal_iteratorINS9_10device_ptrIsEEEESE_SE_sNS9_4plusIvEENS9_8equal_toIsEEsEE10hipError_tPvRmT2_T3_T4_T5_mT6_T7_P12ihipStream_tbENKUlT_T0_E_clISt17integral_constantIbLb1EESZ_EEDaSU_SV_EUlSU_E_NS1_11comp_targetILNS1_3genE0ELNS1_11target_archE4294967295ELNS1_3gpuE0ELNS1_3repE0EEENS1_30default_config_static_selectorELNS0_4arch9wavefront6targetE0EEEvT1_, .Lfunc_end326-_ZN7rocprim17ROCPRIM_400000_NS6detail17trampoline_kernelINS0_14default_configENS1_27scan_by_key_config_selectorIssEEZZNS1_16scan_by_key_implILNS1_25lookback_scan_determinismE0ELb0ES3_N6thrust23THRUST_200600_302600_NS6detail15normal_iteratorINS9_10device_ptrIsEEEESE_SE_sNS9_4plusIvEENS9_8equal_toIsEEsEE10hipError_tPvRmT2_T3_T4_T5_mT6_T7_P12ihipStream_tbENKUlT_T0_E_clISt17integral_constantIbLb1EESZ_EEDaSU_SV_EUlSU_E_NS1_11comp_targetILNS1_3genE0ELNS1_11target_archE4294967295ELNS1_3gpuE0ELNS1_3repE0EEENS1_30default_config_static_selectorELNS0_4arch9wavefront6targetE0EEEvT1_
                                        ; -- End function
	.set _ZN7rocprim17ROCPRIM_400000_NS6detail17trampoline_kernelINS0_14default_configENS1_27scan_by_key_config_selectorIssEEZZNS1_16scan_by_key_implILNS1_25lookback_scan_determinismE0ELb0ES3_N6thrust23THRUST_200600_302600_NS6detail15normal_iteratorINS9_10device_ptrIsEEEESE_SE_sNS9_4plusIvEENS9_8equal_toIsEEsEE10hipError_tPvRmT2_T3_T4_T5_mT6_T7_P12ihipStream_tbENKUlT_T0_E_clISt17integral_constantIbLb1EESZ_EEDaSU_SV_EUlSU_E_NS1_11comp_targetILNS1_3genE0ELNS1_11target_archE4294967295ELNS1_3gpuE0ELNS1_3repE0EEENS1_30default_config_static_selectorELNS0_4arch9wavefront6targetE0EEEvT1_.num_vgpr, 0
	.set _ZN7rocprim17ROCPRIM_400000_NS6detail17trampoline_kernelINS0_14default_configENS1_27scan_by_key_config_selectorIssEEZZNS1_16scan_by_key_implILNS1_25lookback_scan_determinismE0ELb0ES3_N6thrust23THRUST_200600_302600_NS6detail15normal_iteratorINS9_10device_ptrIsEEEESE_SE_sNS9_4plusIvEENS9_8equal_toIsEEsEE10hipError_tPvRmT2_T3_T4_T5_mT6_T7_P12ihipStream_tbENKUlT_T0_E_clISt17integral_constantIbLb1EESZ_EEDaSU_SV_EUlSU_E_NS1_11comp_targetILNS1_3genE0ELNS1_11target_archE4294967295ELNS1_3gpuE0ELNS1_3repE0EEENS1_30default_config_static_selectorELNS0_4arch9wavefront6targetE0EEEvT1_.num_agpr, 0
	.set _ZN7rocprim17ROCPRIM_400000_NS6detail17trampoline_kernelINS0_14default_configENS1_27scan_by_key_config_selectorIssEEZZNS1_16scan_by_key_implILNS1_25lookback_scan_determinismE0ELb0ES3_N6thrust23THRUST_200600_302600_NS6detail15normal_iteratorINS9_10device_ptrIsEEEESE_SE_sNS9_4plusIvEENS9_8equal_toIsEEsEE10hipError_tPvRmT2_T3_T4_T5_mT6_T7_P12ihipStream_tbENKUlT_T0_E_clISt17integral_constantIbLb1EESZ_EEDaSU_SV_EUlSU_E_NS1_11comp_targetILNS1_3genE0ELNS1_11target_archE4294967295ELNS1_3gpuE0ELNS1_3repE0EEENS1_30default_config_static_selectorELNS0_4arch9wavefront6targetE0EEEvT1_.numbered_sgpr, 0
	.set _ZN7rocprim17ROCPRIM_400000_NS6detail17trampoline_kernelINS0_14default_configENS1_27scan_by_key_config_selectorIssEEZZNS1_16scan_by_key_implILNS1_25lookback_scan_determinismE0ELb0ES3_N6thrust23THRUST_200600_302600_NS6detail15normal_iteratorINS9_10device_ptrIsEEEESE_SE_sNS9_4plusIvEENS9_8equal_toIsEEsEE10hipError_tPvRmT2_T3_T4_T5_mT6_T7_P12ihipStream_tbENKUlT_T0_E_clISt17integral_constantIbLb1EESZ_EEDaSU_SV_EUlSU_E_NS1_11comp_targetILNS1_3genE0ELNS1_11target_archE4294967295ELNS1_3gpuE0ELNS1_3repE0EEENS1_30default_config_static_selectorELNS0_4arch9wavefront6targetE0EEEvT1_.num_named_barrier, 0
	.set _ZN7rocprim17ROCPRIM_400000_NS6detail17trampoline_kernelINS0_14default_configENS1_27scan_by_key_config_selectorIssEEZZNS1_16scan_by_key_implILNS1_25lookback_scan_determinismE0ELb0ES3_N6thrust23THRUST_200600_302600_NS6detail15normal_iteratorINS9_10device_ptrIsEEEESE_SE_sNS9_4plusIvEENS9_8equal_toIsEEsEE10hipError_tPvRmT2_T3_T4_T5_mT6_T7_P12ihipStream_tbENKUlT_T0_E_clISt17integral_constantIbLb1EESZ_EEDaSU_SV_EUlSU_E_NS1_11comp_targetILNS1_3genE0ELNS1_11target_archE4294967295ELNS1_3gpuE0ELNS1_3repE0EEENS1_30default_config_static_selectorELNS0_4arch9wavefront6targetE0EEEvT1_.private_seg_size, 0
	.set _ZN7rocprim17ROCPRIM_400000_NS6detail17trampoline_kernelINS0_14default_configENS1_27scan_by_key_config_selectorIssEEZZNS1_16scan_by_key_implILNS1_25lookback_scan_determinismE0ELb0ES3_N6thrust23THRUST_200600_302600_NS6detail15normal_iteratorINS9_10device_ptrIsEEEESE_SE_sNS9_4plusIvEENS9_8equal_toIsEEsEE10hipError_tPvRmT2_T3_T4_T5_mT6_T7_P12ihipStream_tbENKUlT_T0_E_clISt17integral_constantIbLb1EESZ_EEDaSU_SV_EUlSU_E_NS1_11comp_targetILNS1_3genE0ELNS1_11target_archE4294967295ELNS1_3gpuE0ELNS1_3repE0EEENS1_30default_config_static_selectorELNS0_4arch9wavefront6targetE0EEEvT1_.uses_vcc, 0
	.set _ZN7rocprim17ROCPRIM_400000_NS6detail17trampoline_kernelINS0_14default_configENS1_27scan_by_key_config_selectorIssEEZZNS1_16scan_by_key_implILNS1_25lookback_scan_determinismE0ELb0ES3_N6thrust23THRUST_200600_302600_NS6detail15normal_iteratorINS9_10device_ptrIsEEEESE_SE_sNS9_4plusIvEENS9_8equal_toIsEEsEE10hipError_tPvRmT2_T3_T4_T5_mT6_T7_P12ihipStream_tbENKUlT_T0_E_clISt17integral_constantIbLb1EESZ_EEDaSU_SV_EUlSU_E_NS1_11comp_targetILNS1_3genE0ELNS1_11target_archE4294967295ELNS1_3gpuE0ELNS1_3repE0EEENS1_30default_config_static_selectorELNS0_4arch9wavefront6targetE0EEEvT1_.uses_flat_scratch, 0
	.set _ZN7rocprim17ROCPRIM_400000_NS6detail17trampoline_kernelINS0_14default_configENS1_27scan_by_key_config_selectorIssEEZZNS1_16scan_by_key_implILNS1_25lookback_scan_determinismE0ELb0ES3_N6thrust23THRUST_200600_302600_NS6detail15normal_iteratorINS9_10device_ptrIsEEEESE_SE_sNS9_4plusIvEENS9_8equal_toIsEEsEE10hipError_tPvRmT2_T3_T4_T5_mT6_T7_P12ihipStream_tbENKUlT_T0_E_clISt17integral_constantIbLb1EESZ_EEDaSU_SV_EUlSU_E_NS1_11comp_targetILNS1_3genE0ELNS1_11target_archE4294967295ELNS1_3gpuE0ELNS1_3repE0EEENS1_30default_config_static_selectorELNS0_4arch9wavefront6targetE0EEEvT1_.has_dyn_sized_stack, 0
	.set _ZN7rocprim17ROCPRIM_400000_NS6detail17trampoline_kernelINS0_14default_configENS1_27scan_by_key_config_selectorIssEEZZNS1_16scan_by_key_implILNS1_25lookback_scan_determinismE0ELb0ES3_N6thrust23THRUST_200600_302600_NS6detail15normal_iteratorINS9_10device_ptrIsEEEESE_SE_sNS9_4plusIvEENS9_8equal_toIsEEsEE10hipError_tPvRmT2_T3_T4_T5_mT6_T7_P12ihipStream_tbENKUlT_T0_E_clISt17integral_constantIbLb1EESZ_EEDaSU_SV_EUlSU_E_NS1_11comp_targetILNS1_3genE0ELNS1_11target_archE4294967295ELNS1_3gpuE0ELNS1_3repE0EEENS1_30default_config_static_selectorELNS0_4arch9wavefront6targetE0EEEvT1_.has_recursion, 0
	.set _ZN7rocprim17ROCPRIM_400000_NS6detail17trampoline_kernelINS0_14default_configENS1_27scan_by_key_config_selectorIssEEZZNS1_16scan_by_key_implILNS1_25lookback_scan_determinismE0ELb0ES3_N6thrust23THRUST_200600_302600_NS6detail15normal_iteratorINS9_10device_ptrIsEEEESE_SE_sNS9_4plusIvEENS9_8equal_toIsEEsEE10hipError_tPvRmT2_T3_T4_T5_mT6_T7_P12ihipStream_tbENKUlT_T0_E_clISt17integral_constantIbLb1EESZ_EEDaSU_SV_EUlSU_E_NS1_11comp_targetILNS1_3genE0ELNS1_11target_archE4294967295ELNS1_3gpuE0ELNS1_3repE0EEENS1_30default_config_static_selectorELNS0_4arch9wavefront6targetE0EEEvT1_.has_indirect_call, 0
	.section	.AMDGPU.csdata,"",@progbits
; Kernel info:
; codeLenInByte = 0
; TotalNumSgprs: 0
; NumVgprs: 0
; ScratchSize: 0
; MemoryBound: 0
; FloatMode: 240
; IeeeMode: 1
; LDSByteSize: 0 bytes/workgroup (compile time only)
; SGPRBlocks: 0
; VGPRBlocks: 0
; NumSGPRsForWavesPerEU: 1
; NumVGPRsForWavesPerEU: 1
; Occupancy: 16
; WaveLimiterHint : 0
; COMPUTE_PGM_RSRC2:SCRATCH_EN: 0
; COMPUTE_PGM_RSRC2:USER_SGPR: 6
; COMPUTE_PGM_RSRC2:TRAP_HANDLER: 0
; COMPUTE_PGM_RSRC2:TGID_X_EN: 1
; COMPUTE_PGM_RSRC2:TGID_Y_EN: 0
; COMPUTE_PGM_RSRC2:TGID_Z_EN: 0
; COMPUTE_PGM_RSRC2:TIDIG_COMP_CNT: 0
	.section	.text._ZN7rocprim17ROCPRIM_400000_NS6detail17trampoline_kernelINS0_14default_configENS1_27scan_by_key_config_selectorIssEEZZNS1_16scan_by_key_implILNS1_25lookback_scan_determinismE0ELb0ES3_N6thrust23THRUST_200600_302600_NS6detail15normal_iteratorINS9_10device_ptrIsEEEESE_SE_sNS9_4plusIvEENS9_8equal_toIsEEsEE10hipError_tPvRmT2_T3_T4_T5_mT6_T7_P12ihipStream_tbENKUlT_T0_E_clISt17integral_constantIbLb1EESZ_EEDaSU_SV_EUlSU_E_NS1_11comp_targetILNS1_3genE10ELNS1_11target_archE1201ELNS1_3gpuE5ELNS1_3repE0EEENS1_30default_config_static_selectorELNS0_4arch9wavefront6targetE0EEEvT1_,"axG",@progbits,_ZN7rocprim17ROCPRIM_400000_NS6detail17trampoline_kernelINS0_14default_configENS1_27scan_by_key_config_selectorIssEEZZNS1_16scan_by_key_implILNS1_25lookback_scan_determinismE0ELb0ES3_N6thrust23THRUST_200600_302600_NS6detail15normal_iteratorINS9_10device_ptrIsEEEESE_SE_sNS9_4plusIvEENS9_8equal_toIsEEsEE10hipError_tPvRmT2_T3_T4_T5_mT6_T7_P12ihipStream_tbENKUlT_T0_E_clISt17integral_constantIbLb1EESZ_EEDaSU_SV_EUlSU_E_NS1_11comp_targetILNS1_3genE10ELNS1_11target_archE1201ELNS1_3gpuE5ELNS1_3repE0EEENS1_30default_config_static_selectorELNS0_4arch9wavefront6targetE0EEEvT1_,comdat
	.protected	_ZN7rocprim17ROCPRIM_400000_NS6detail17trampoline_kernelINS0_14default_configENS1_27scan_by_key_config_selectorIssEEZZNS1_16scan_by_key_implILNS1_25lookback_scan_determinismE0ELb0ES3_N6thrust23THRUST_200600_302600_NS6detail15normal_iteratorINS9_10device_ptrIsEEEESE_SE_sNS9_4plusIvEENS9_8equal_toIsEEsEE10hipError_tPvRmT2_T3_T4_T5_mT6_T7_P12ihipStream_tbENKUlT_T0_E_clISt17integral_constantIbLb1EESZ_EEDaSU_SV_EUlSU_E_NS1_11comp_targetILNS1_3genE10ELNS1_11target_archE1201ELNS1_3gpuE5ELNS1_3repE0EEENS1_30default_config_static_selectorELNS0_4arch9wavefront6targetE0EEEvT1_ ; -- Begin function _ZN7rocprim17ROCPRIM_400000_NS6detail17trampoline_kernelINS0_14default_configENS1_27scan_by_key_config_selectorIssEEZZNS1_16scan_by_key_implILNS1_25lookback_scan_determinismE0ELb0ES3_N6thrust23THRUST_200600_302600_NS6detail15normal_iteratorINS9_10device_ptrIsEEEESE_SE_sNS9_4plusIvEENS9_8equal_toIsEEsEE10hipError_tPvRmT2_T3_T4_T5_mT6_T7_P12ihipStream_tbENKUlT_T0_E_clISt17integral_constantIbLb1EESZ_EEDaSU_SV_EUlSU_E_NS1_11comp_targetILNS1_3genE10ELNS1_11target_archE1201ELNS1_3gpuE5ELNS1_3repE0EEENS1_30default_config_static_selectorELNS0_4arch9wavefront6targetE0EEEvT1_
	.globl	_ZN7rocprim17ROCPRIM_400000_NS6detail17trampoline_kernelINS0_14default_configENS1_27scan_by_key_config_selectorIssEEZZNS1_16scan_by_key_implILNS1_25lookback_scan_determinismE0ELb0ES3_N6thrust23THRUST_200600_302600_NS6detail15normal_iteratorINS9_10device_ptrIsEEEESE_SE_sNS9_4plusIvEENS9_8equal_toIsEEsEE10hipError_tPvRmT2_T3_T4_T5_mT6_T7_P12ihipStream_tbENKUlT_T0_E_clISt17integral_constantIbLb1EESZ_EEDaSU_SV_EUlSU_E_NS1_11comp_targetILNS1_3genE10ELNS1_11target_archE1201ELNS1_3gpuE5ELNS1_3repE0EEENS1_30default_config_static_selectorELNS0_4arch9wavefront6targetE0EEEvT1_
	.p2align	8
	.type	_ZN7rocprim17ROCPRIM_400000_NS6detail17trampoline_kernelINS0_14default_configENS1_27scan_by_key_config_selectorIssEEZZNS1_16scan_by_key_implILNS1_25lookback_scan_determinismE0ELb0ES3_N6thrust23THRUST_200600_302600_NS6detail15normal_iteratorINS9_10device_ptrIsEEEESE_SE_sNS9_4plusIvEENS9_8equal_toIsEEsEE10hipError_tPvRmT2_T3_T4_T5_mT6_T7_P12ihipStream_tbENKUlT_T0_E_clISt17integral_constantIbLb1EESZ_EEDaSU_SV_EUlSU_E_NS1_11comp_targetILNS1_3genE10ELNS1_11target_archE1201ELNS1_3gpuE5ELNS1_3repE0EEENS1_30default_config_static_selectorELNS0_4arch9wavefront6targetE0EEEvT1_,@function
_ZN7rocprim17ROCPRIM_400000_NS6detail17trampoline_kernelINS0_14default_configENS1_27scan_by_key_config_selectorIssEEZZNS1_16scan_by_key_implILNS1_25lookback_scan_determinismE0ELb0ES3_N6thrust23THRUST_200600_302600_NS6detail15normal_iteratorINS9_10device_ptrIsEEEESE_SE_sNS9_4plusIvEENS9_8equal_toIsEEsEE10hipError_tPvRmT2_T3_T4_T5_mT6_T7_P12ihipStream_tbENKUlT_T0_E_clISt17integral_constantIbLb1EESZ_EEDaSU_SV_EUlSU_E_NS1_11comp_targetILNS1_3genE10ELNS1_11target_archE1201ELNS1_3gpuE5ELNS1_3repE0EEENS1_30default_config_static_selectorELNS0_4arch9wavefront6targetE0EEEvT1_: ; @_ZN7rocprim17ROCPRIM_400000_NS6detail17trampoline_kernelINS0_14default_configENS1_27scan_by_key_config_selectorIssEEZZNS1_16scan_by_key_implILNS1_25lookback_scan_determinismE0ELb0ES3_N6thrust23THRUST_200600_302600_NS6detail15normal_iteratorINS9_10device_ptrIsEEEESE_SE_sNS9_4plusIvEENS9_8equal_toIsEEsEE10hipError_tPvRmT2_T3_T4_T5_mT6_T7_P12ihipStream_tbENKUlT_T0_E_clISt17integral_constantIbLb1EESZ_EEDaSU_SV_EUlSU_E_NS1_11comp_targetILNS1_3genE10ELNS1_11target_archE1201ELNS1_3gpuE5ELNS1_3repE0EEENS1_30default_config_static_selectorELNS0_4arch9wavefront6targetE0EEEvT1_
; %bb.0:
	.section	.rodata,"a",@progbits
	.p2align	6, 0x0
	.amdhsa_kernel _ZN7rocprim17ROCPRIM_400000_NS6detail17trampoline_kernelINS0_14default_configENS1_27scan_by_key_config_selectorIssEEZZNS1_16scan_by_key_implILNS1_25lookback_scan_determinismE0ELb0ES3_N6thrust23THRUST_200600_302600_NS6detail15normal_iteratorINS9_10device_ptrIsEEEESE_SE_sNS9_4plusIvEENS9_8equal_toIsEEsEE10hipError_tPvRmT2_T3_T4_T5_mT6_T7_P12ihipStream_tbENKUlT_T0_E_clISt17integral_constantIbLb1EESZ_EEDaSU_SV_EUlSU_E_NS1_11comp_targetILNS1_3genE10ELNS1_11target_archE1201ELNS1_3gpuE5ELNS1_3repE0EEENS1_30default_config_static_selectorELNS0_4arch9wavefront6targetE0EEEvT1_
		.amdhsa_group_segment_fixed_size 0
		.amdhsa_private_segment_fixed_size 0
		.amdhsa_kernarg_size 112
		.amdhsa_user_sgpr_count 6
		.amdhsa_user_sgpr_private_segment_buffer 1
		.amdhsa_user_sgpr_dispatch_ptr 0
		.amdhsa_user_sgpr_queue_ptr 0
		.amdhsa_user_sgpr_kernarg_segment_ptr 1
		.amdhsa_user_sgpr_dispatch_id 0
		.amdhsa_user_sgpr_flat_scratch_init 0
		.amdhsa_user_sgpr_private_segment_size 0
		.amdhsa_wavefront_size32 1
		.amdhsa_uses_dynamic_stack 0
		.amdhsa_system_sgpr_private_segment_wavefront_offset 0
		.amdhsa_system_sgpr_workgroup_id_x 1
		.amdhsa_system_sgpr_workgroup_id_y 0
		.amdhsa_system_sgpr_workgroup_id_z 0
		.amdhsa_system_sgpr_workgroup_info 0
		.amdhsa_system_vgpr_workitem_id 0
		.amdhsa_next_free_vgpr 1
		.amdhsa_next_free_sgpr 1
		.amdhsa_reserve_vcc 0
		.amdhsa_reserve_flat_scratch 0
		.amdhsa_float_round_mode_32 0
		.amdhsa_float_round_mode_16_64 0
		.amdhsa_float_denorm_mode_32 3
		.amdhsa_float_denorm_mode_16_64 3
		.amdhsa_dx10_clamp 1
		.amdhsa_ieee_mode 1
		.amdhsa_fp16_overflow 0
		.amdhsa_workgroup_processor_mode 1
		.amdhsa_memory_ordered 1
		.amdhsa_forward_progress 1
		.amdhsa_shared_vgpr_count 0
		.amdhsa_exception_fp_ieee_invalid_op 0
		.amdhsa_exception_fp_denorm_src 0
		.amdhsa_exception_fp_ieee_div_zero 0
		.amdhsa_exception_fp_ieee_overflow 0
		.amdhsa_exception_fp_ieee_underflow 0
		.amdhsa_exception_fp_ieee_inexact 0
		.amdhsa_exception_int_div_zero 0
	.end_amdhsa_kernel
	.section	.text._ZN7rocprim17ROCPRIM_400000_NS6detail17trampoline_kernelINS0_14default_configENS1_27scan_by_key_config_selectorIssEEZZNS1_16scan_by_key_implILNS1_25lookback_scan_determinismE0ELb0ES3_N6thrust23THRUST_200600_302600_NS6detail15normal_iteratorINS9_10device_ptrIsEEEESE_SE_sNS9_4plusIvEENS9_8equal_toIsEEsEE10hipError_tPvRmT2_T3_T4_T5_mT6_T7_P12ihipStream_tbENKUlT_T0_E_clISt17integral_constantIbLb1EESZ_EEDaSU_SV_EUlSU_E_NS1_11comp_targetILNS1_3genE10ELNS1_11target_archE1201ELNS1_3gpuE5ELNS1_3repE0EEENS1_30default_config_static_selectorELNS0_4arch9wavefront6targetE0EEEvT1_,"axG",@progbits,_ZN7rocprim17ROCPRIM_400000_NS6detail17trampoline_kernelINS0_14default_configENS1_27scan_by_key_config_selectorIssEEZZNS1_16scan_by_key_implILNS1_25lookback_scan_determinismE0ELb0ES3_N6thrust23THRUST_200600_302600_NS6detail15normal_iteratorINS9_10device_ptrIsEEEESE_SE_sNS9_4plusIvEENS9_8equal_toIsEEsEE10hipError_tPvRmT2_T3_T4_T5_mT6_T7_P12ihipStream_tbENKUlT_T0_E_clISt17integral_constantIbLb1EESZ_EEDaSU_SV_EUlSU_E_NS1_11comp_targetILNS1_3genE10ELNS1_11target_archE1201ELNS1_3gpuE5ELNS1_3repE0EEENS1_30default_config_static_selectorELNS0_4arch9wavefront6targetE0EEEvT1_,comdat
.Lfunc_end327:
	.size	_ZN7rocprim17ROCPRIM_400000_NS6detail17trampoline_kernelINS0_14default_configENS1_27scan_by_key_config_selectorIssEEZZNS1_16scan_by_key_implILNS1_25lookback_scan_determinismE0ELb0ES3_N6thrust23THRUST_200600_302600_NS6detail15normal_iteratorINS9_10device_ptrIsEEEESE_SE_sNS9_4plusIvEENS9_8equal_toIsEEsEE10hipError_tPvRmT2_T3_T4_T5_mT6_T7_P12ihipStream_tbENKUlT_T0_E_clISt17integral_constantIbLb1EESZ_EEDaSU_SV_EUlSU_E_NS1_11comp_targetILNS1_3genE10ELNS1_11target_archE1201ELNS1_3gpuE5ELNS1_3repE0EEENS1_30default_config_static_selectorELNS0_4arch9wavefront6targetE0EEEvT1_, .Lfunc_end327-_ZN7rocprim17ROCPRIM_400000_NS6detail17trampoline_kernelINS0_14default_configENS1_27scan_by_key_config_selectorIssEEZZNS1_16scan_by_key_implILNS1_25lookback_scan_determinismE0ELb0ES3_N6thrust23THRUST_200600_302600_NS6detail15normal_iteratorINS9_10device_ptrIsEEEESE_SE_sNS9_4plusIvEENS9_8equal_toIsEEsEE10hipError_tPvRmT2_T3_T4_T5_mT6_T7_P12ihipStream_tbENKUlT_T0_E_clISt17integral_constantIbLb1EESZ_EEDaSU_SV_EUlSU_E_NS1_11comp_targetILNS1_3genE10ELNS1_11target_archE1201ELNS1_3gpuE5ELNS1_3repE0EEENS1_30default_config_static_selectorELNS0_4arch9wavefront6targetE0EEEvT1_
                                        ; -- End function
	.set _ZN7rocprim17ROCPRIM_400000_NS6detail17trampoline_kernelINS0_14default_configENS1_27scan_by_key_config_selectorIssEEZZNS1_16scan_by_key_implILNS1_25lookback_scan_determinismE0ELb0ES3_N6thrust23THRUST_200600_302600_NS6detail15normal_iteratorINS9_10device_ptrIsEEEESE_SE_sNS9_4plusIvEENS9_8equal_toIsEEsEE10hipError_tPvRmT2_T3_T4_T5_mT6_T7_P12ihipStream_tbENKUlT_T0_E_clISt17integral_constantIbLb1EESZ_EEDaSU_SV_EUlSU_E_NS1_11comp_targetILNS1_3genE10ELNS1_11target_archE1201ELNS1_3gpuE5ELNS1_3repE0EEENS1_30default_config_static_selectorELNS0_4arch9wavefront6targetE0EEEvT1_.num_vgpr, 0
	.set _ZN7rocprim17ROCPRIM_400000_NS6detail17trampoline_kernelINS0_14default_configENS1_27scan_by_key_config_selectorIssEEZZNS1_16scan_by_key_implILNS1_25lookback_scan_determinismE0ELb0ES3_N6thrust23THRUST_200600_302600_NS6detail15normal_iteratorINS9_10device_ptrIsEEEESE_SE_sNS9_4plusIvEENS9_8equal_toIsEEsEE10hipError_tPvRmT2_T3_T4_T5_mT6_T7_P12ihipStream_tbENKUlT_T0_E_clISt17integral_constantIbLb1EESZ_EEDaSU_SV_EUlSU_E_NS1_11comp_targetILNS1_3genE10ELNS1_11target_archE1201ELNS1_3gpuE5ELNS1_3repE0EEENS1_30default_config_static_selectorELNS0_4arch9wavefront6targetE0EEEvT1_.num_agpr, 0
	.set _ZN7rocprim17ROCPRIM_400000_NS6detail17trampoline_kernelINS0_14default_configENS1_27scan_by_key_config_selectorIssEEZZNS1_16scan_by_key_implILNS1_25lookback_scan_determinismE0ELb0ES3_N6thrust23THRUST_200600_302600_NS6detail15normal_iteratorINS9_10device_ptrIsEEEESE_SE_sNS9_4plusIvEENS9_8equal_toIsEEsEE10hipError_tPvRmT2_T3_T4_T5_mT6_T7_P12ihipStream_tbENKUlT_T0_E_clISt17integral_constantIbLb1EESZ_EEDaSU_SV_EUlSU_E_NS1_11comp_targetILNS1_3genE10ELNS1_11target_archE1201ELNS1_3gpuE5ELNS1_3repE0EEENS1_30default_config_static_selectorELNS0_4arch9wavefront6targetE0EEEvT1_.numbered_sgpr, 0
	.set _ZN7rocprim17ROCPRIM_400000_NS6detail17trampoline_kernelINS0_14default_configENS1_27scan_by_key_config_selectorIssEEZZNS1_16scan_by_key_implILNS1_25lookback_scan_determinismE0ELb0ES3_N6thrust23THRUST_200600_302600_NS6detail15normal_iteratorINS9_10device_ptrIsEEEESE_SE_sNS9_4plusIvEENS9_8equal_toIsEEsEE10hipError_tPvRmT2_T3_T4_T5_mT6_T7_P12ihipStream_tbENKUlT_T0_E_clISt17integral_constantIbLb1EESZ_EEDaSU_SV_EUlSU_E_NS1_11comp_targetILNS1_3genE10ELNS1_11target_archE1201ELNS1_3gpuE5ELNS1_3repE0EEENS1_30default_config_static_selectorELNS0_4arch9wavefront6targetE0EEEvT1_.num_named_barrier, 0
	.set _ZN7rocprim17ROCPRIM_400000_NS6detail17trampoline_kernelINS0_14default_configENS1_27scan_by_key_config_selectorIssEEZZNS1_16scan_by_key_implILNS1_25lookback_scan_determinismE0ELb0ES3_N6thrust23THRUST_200600_302600_NS6detail15normal_iteratorINS9_10device_ptrIsEEEESE_SE_sNS9_4plusIvEENS9_8equal_toIsEEsEE10hipError_tPvRmT2_T3_T4_T5_mT6_T7_P12ihipStream_tbENKUlT_T0_E_clISt17integral_constantIbLb1EESZ_EEDaSU_SV_EUlSU_E_NS1_11comp_targetILNS1_3genE10ELNS1_11target_archE1201ELNS1_3gpuE5ELNS1_3repE0EEENS1_30default_config_static_selectorELNS0_4arch9wavefront6targetE0EEEvT1_.private_seg_size, 0
	.set _ZN7rocprim17ROCPRIM_400000_NS6detail17trampoline_kernelINS0_14default_configENS1_27scan_by_key_config_selectorIssEEZZNS1_16scan_by_key_implILNS1_25lookback_scan_determinismE0ELb0ES3_N6thrust23THRUST_200600_302600_NS6detail15normal_iteratorINS9_10device_ptrIsEEEESE_SE_sNS9_4plusIvEENS9_8equal_toIsEEsEE10hipError_tPvRmT2_T3_T4_T5_mT6_T7_P12ihipStream_tbENKUlT_T0_E_clISt17integral_constantIbLb1EESZ_EEDaSU_SV_EUlSU_E_NS1_11comp_targetILNS1_3genE10ELNS1_11target_archE1201ELNS1_3gpuE5ELNS1_3repE0EEENS1_30default_config_static_selectorELNS0_4arch9wavefront6targetE0EEEvT1_.uses_vcc, 0
	.set _ZN7rocprim17ROCPRIM_400000_NS6detail17trampoline_kernelINS0_14default_configENS1_27scan_by_key_config_selectorIssEEZZNS1_16scan_by_key_implILNS1_25lookback_scan_determinismE0ELb0ES3_N6thrust23THRUST_200600_302600_NS6detail15normal_iteratorINS9_10device_ptrIsEEEESE_SE_sNS9_4plusIvEENS9_8equal_toIsEEsEE10hipError_tPvRmT2_T3_T4_T5_mT6_T7_P12ihipStream_tbENKUlT_T0_E_clISt17integral_constantIbLb1EESZ_EEDaSU_SV_EUlSU_E_NS1_11comp_targetILNS1_3genE10ELNS1_11target_archE1201ELNS1_3gpuE5ELNS1_3repE0EEENS1_30default_config_static_selectorELNS0_4arch9wavefront6targetE0EEEvT1_.uses_flat_scratch, 0
	.set _ZN7rocprim17ROCPRIM_400000_NS6detail17trampoline_kernelINS0_14default_configENS1_27scan_by_key_config_selectorIssEEZZNS1_16scan_by_key_implILNS1_25lookback_scan_determinismE0ELb0ES3_N6thrust23THRUST_200600_302600_NS6detail15normal_iteratorINS9_10device_ptrIsEEEESE_SE_sNS9_4plusIvEENS9_8equal_toIsEEsEE10hipError_tPvRmT2_T3_T4_T5_mT6_T7_P12ihipStream_tbENKUlT_T0_E_clISt17integral_constantIbLb1EESZ_EEDaSU_SV_EUlSU_E_NS1_11comp_targetILNS1_3genE10ELNS1_11target_archE1201ELNS1_3gpuE5ELNS1_3repE0EEENS1_30default_config_static_selectorELNS0_4arch9wavefront6targetE0EEEvT1_.has_dyn_sized_stack, 0
	.set _ZN7rocprim17ROCPRIM_400000_NS6detail17trampoline_kernelINS0_14default_configENS1_27scan_by_key_config_selectorIssEEZZNS1_16scan_by_key_implILNS1_25lookback_scan_determinismE0ELb0ES3_N6thrust23THRUST_200600_302600_NS6detail15normal_iteratorINS9_10device_ptrIsEEEESE_SE_sNS9_4plusIvEENS9_8equal_toIsEEsEE10hipError_tPvRmT2_T3_T4_T5_mT6_T7_P12ihipStream_tbENKUlT_T0_E_clISt17integral_constantIbLb1EESZ_EEDaSU_SV_EUlSU_E_NS1_11comp_targetILNS1_3genE10ELNS1_11target_archE1201ELNS1_3gpuE5ELNS1_3repE0EEENS1_30default_config_static_selectorELNS0_4arch9wavefront6targetE0EEEvT1_.has_recursion, 0
	.set _ZN7rocprim17ROCPRIM_400000_NS6detail17trampoline_kernelINS0_14default_configENS1_27scan_by_key_config_selectorIssEEZZNS1_16scan_by_key_implILNS1_25lookback_scan_determinismE0ELb0ES3_N6thrust23THRUST_200600_302600_NS6detail15normal_iteratorINS9_10device_ptrIsEEEESE_SE_sNS9_4plusIvEENS9_8equal_toIsEEsEE10hipError_tPvRmT2_T3_T4_T5_mT6_T7_P12ihipStream_tbENKUlT_T0_E_clISt17integral_constantIbLb1EESZ_EEDaSU_SV_EUlSU_E_NS1_11comp_targetILNS1_3genE10ELNS1_11target_archE1201ELNS1_3gpuE5ELNS1_3repE0EEENS1_30default_config_static_selectorELNS0_4arch9wavefront6targetE0EEEvT1_.has_indirect_call, 0
	.section	.AMDGPU.csdata,"",@progbits
; Kernel info:
; codeLenInByte = 0
; TotalNumSgprs: 0
; NumVgprs: 0
; ScratchSize: 0
; MemoryBound: 0
; FloatMode: 240
; IeeeMode: 1
; LDSByteSize: 0 bytes/workgroup (compile time only)
; SGPRBlocks: 0
; VGPRBlocks: 0
; NumSGPRsForWavesPerEU: 1
; NumVGPRsForWavesPerEU: 1
; Occupancy: 16
; WaveLimiterHint : 0
; COMPUTE_PGM_RSRC2:SCRATCH_EN: 0
; COMPUTE_PGM_RSRC2:USER_SGPR: 6
; COMPUTE_PGM_RSRC2:TRAP_HANDLER: 0
; COMPUTE_PGM_RSRC2:TGID_X_EN: 1
; COMPUTE_PGM_RSRC2:TGID_Y_EN: 0
; COMPUTE_PGM_RSRC2:TGID_Z_EN: 0
; COMPUTE_PGM_RSRC2:TIDIG_COMP_CNT: 0
	.section	.text._ZN7rocprim17ROCPRIM_400000_NS6detail17trampoline_kernelINS0_14default_configENS1_27scan_by_key_config_selectorIssEEZZNS1_16scan_by_key_implILNS1_25lookback_scan_determinismE0ELb0ES3_N6thrust23THRUST_200600_302600_NS6detail15normal_iteratorINS9_10device_ptrIsEEEESE_SE_sNS9_4plusIvEENS9_8equal_toIsEEsEE10hipError_tPvRmT2_T3_T4_T5_mT6_T7_P12ihipStream_tbENKUlT_T0_E_clISt17integral_constantIbLb1EESZ_EEDaSU_SV_EUlSU_E_NS1_11comp_targetILNS1_3genE5ELNS1_11target_archE942ELNS1_3gpuE9ELNS1_3repE0EEENS1_30default_config_static_selectorELNS0_4arch9wavefront6targetE0EEEvT1_,"axG",@progbits,_ZN7rocprim17ROCPRIM_400000_NS6detail17trampoline_kernelINS0_14default_configENS1_27scan_by_key_config_selectorIssEEZZNS1_16scan_by_key_implILNS1_25lookback_scan_determinismE0ELb0ES3_N6thrust23THRUST_200600_302600_NS6detail15normal_iteratorINS9_10device_ptrIsEEEESE_SE_sNS9_4plusIvEENS9_8equal_toIsEEsEE10hipError_tPvRmT2_T3_T4_T5_mT6_T7_P12ihipStream_tbENKUlT_T0_E_clISt17integral_constantIbLb1EESZ_EEDaSU_SV_EUlSU_E_NS1_11comp_targetILNS1_3genE5ELNS1_11target_archE942ELNS1_3gpuE9ELNS1_3repE0EEENS1_30default_config_static_selectorELNS0_4arch9wavefront6targetE0EEEvT1_,comdat
	.protected	_ZN7rocprim17ROCPRIM_400000_NS6detail17trampoline_kernelINS0_14default_configENS1_27scan_by_key_config_selectorIssEEZZNS1_16scan_by_key_implILNS1_25lookback_scan_determinismE0ELb0ES3_N6thrust23THRUST_200600_302600_NS6detail15normal_iteratorINS9_10device_ptrIsEEEESE_SE_sNS9_4plusIvEENS9_8equal_toIsEEsEE10hipError_tPvRmT2_T3_T4_T5_mT6_T7_P12ihipStream_tbENKUlT_T0_E_clISt17integral_constantIbLb1EESZ_EEDaSU_SV_EUlSU_E_NS1_11comp_targetILNS1_3genE5ELNS1_11target_archE942ELNS1_3gpuE9ELNS1_3repE0EEENS1_30default_config_static_selectorELNS0_4arch9wavefront6targetE0EEEvT1_ ; -- Begin function _ZN7rocprim17ROCPRIM_400000_NS6detail17trampoline_kernelINS0_14default_configENS1_27scan_by_key_config_selectorIssEEZZNS1_16scan_by_key_implILNS1_25lookback_scan_determinismE0ELb0ES3_N6thrust23THRUST_200600_302600_NS6detail15normal_iteratorINS9_10device_ptrIsEEEESE_SE_sNS9_4plusIvEENS9_8equal_toIsEEsEE10hipError_tPvRmT2_T3_T4_T5_mT6_T7_P12ihipStream_tbENKUlT_T0_E_clISt17integral_constantIbLb1EESZ_EEDaSU_SV_EUlSU_E_NS1_11comp_targetILNS1_3genE5ELNS1_11target_archE942ELNS1_3gpuE9ELNS1_3repE0EEENS1_30default_config_static_selectorELNS0_4arch9wavefront6targetE0EEEvT1_
	.globl	_ZN7rocprim17ROCPRIM_400000_NS6detail17trampoline_kernelINS0_14default_configENS1_27scan_by_key_config_selectorIssEEZZNS1_16scan_by_key_implILNS1_25lookback_scan_determinismE0ELb0ES3_N6thrust23THRUST_200600_302600_NS6detail15normal_iteratorINS9_10device_ptrIsEEEESE_SE_sNS9_4plusIvEENS9_8equal_toIsEEsEE10hipError_tPvRmT2_T3_T4_T5_mT6_T7_P12ihipStream_tbENKUlT_T0_E_clISt17integral_constantIbLb1EESZ_EEDaSU_SV_EUlSU_E_NS1_11comp_targetILNS1_3genE5ELNS1_11target_archE942ELNS1_3gpuE9ELNS1_3repE0EEENS1_30default_config_static_selectorELNS0_4arch9wavefront6targetE0EEEvT1_
	.p2align	8
	.type	_ZN7rocprim17ROCPRIM_400000_NS6detail17trampoline_kernelINS0_14default_configENS1_27scan_by_key_config_selectorIssEEZZNS1_16scan_by_key_implILNS1_25lookback_scan_determinismE0ELb0ES3_N6thrust23THRUST_200600_302600_NS6detail15normal_iteratorINS9_10device_ptrIsEEEESE_SE_sNS9_4plusIvEENS9_8equal_toIsEEsEE10hipError_tPvRmT2_T3_T4_T5_mT6_T7_P12ihipStream_tbENKUlT_T0_E_clISt17integral_constantIbLb1EESZ_EEDaSU_SV_EUlSU_E_NS1_11comp_targetILNS1_3genE5ELNS1_11target_archE942ELNS1_3gpuE9ELNS1_3repE0EEENS1_30default_config_static_selectorELNS0_4arch9wavefront6targetE0EEEvT1_,@function
_ZN7rocprim17ROCPRIM_400000_NS6detail17trampoline_kernelINS0_14default_configENS1_27scan_by_key_config_selectorIssEEZZNS1_16scan_by_key_implILNS1_25lookback_scan_determinismE0ELb0ES3_N6thrust23THRUST_200600_302600_NS6detail15normal_iteratorINS9_10device_ptrIsEEEESE_SE_sNS9_4plusIvEENS9_8equal_toIsEEsEE10hipError_tPvRmT2_T3_T4_T5_mT6_T7_P12ihipStream_tbENKUlT_T0_E_clISt17integral_constantIbLb1EESZ_EEDaSU_SV_EUlSU_E_NS1_11comp_targetILNS1_3genE5ELNS1_11target_archE942ELNS1_3gpuE9ELNS1_3repE0EEENS1_30default_config_static_selectorELNS0_4arch9wavefront6targetE0EEEvT1_: ; @_ZN7rocprim17ROCPRIM_400000_NS6detail17trampoline_kernelINS0_14default_configENS1_27scan_by_key_config_selectorIssEEZZNS1_16scan_by_key_implILNS1_25lookback_scan_determinismE0ELb0ES3_N6thrust23THRUST_200600_302600_NS6detail15normal_iteratorINS9_10device_ptrIsEEEESE_SE_sNS9_4plusIvEENS9_8equal_toIsEEsEE10hipError_tPvRmT2_T3_T4_T5_mT6_T7_P12ihipStream_tbENKUlT_T0_E_clISt17integral_constantIbLb1EESZ_EEDaSU_SV_EUlSU_E_NS1_11comp_targetILNS1_3genE5ELNS1_11target_archE942ELNS1_3gpuE9ELNS1_3repE0EEENS1_30default_config_static_selectorELNS0_4arch9wavefront6targetE0EEEvT1_
; %bb.0:
	.section	.rodata,"a",@progbits
	.p2align	6, 0x0
	.amdhsa_kernel _ZN7rocprim17ROCPRIM_400000_NS6detail17trampoline_kernelINS0_14default_configENS1_27scan_by_key_config_selectorIssEEZZNS1_16scan_by_key_implILNS1_25lookback_scan_determinismE0ELb0ES3_N6thrust23THRUST_200600_302600_NS6detail15normal_iteratorINS9_10device_ptrIsEEEESE_SE_sNS9_4plusIvEENS9_8equal_toIsEEsEE10hipError_tPvRmT2_T3_T4_T5_mT6_T7_P12ihipStream_tbENKUlT_T0_E_clISt17integral_constantIbLb1EESZ_EEDaSU_SV_EUlSU_E_NS1_11comp_targetILNS1_3genE5ELNS1_11target_archE942ELNS1_3gpuE9ELNS1_3repE0EEENS1_30default_config_static_selectorELNS0_4arch9wavefront6targetE0EEEvT1_
		.amdhsa_group_segment_fixed_size 0
		.amdhsa_private_segment_fixed_size 0
		.amdhsa_kernarg_size 112
		.amdhsa_user_sgpr_count 6
		.amdhsa_user_sgpr_private_segment_buffer 1
		.amdhsa_user_sgpr_dispatch_ptr 0
		.amdhsa_user_sgpr_queue_ptr 0
		.amdhsa_user_sgpr_kernarg_segment_ptr 1
		.amdhsa_user_sgpr_dispatch_id 0
		.amdhsa_user_sgpr_flat_scratch_init 0
		.amdhsa_user_sgpr_private_segment_size 0
		.amdhsa_wavefront_size32 1
		.amdhsa_uses_dynamic_stack 0
		.amdhsa_system_sgpr_private_segment_wavefront_offset 0
		.amdhsa_system_sgpr_workgroup_id_x 1
		.amdhsa_system_sgpr_workgroup_id_y 0
		.amdhsa_system_sgpr_workgroup_id_z 0
		.amdhsa_system_sgpr_workgroup_info 0
		.amdhsa_system_vgpr_workitem_id 0
		.amdhsa_next_free_vgpr 1
		.amdhsa_next_free_sgpr 1
		.amdhsa_reserve_vcc 0
		.amdhsa_reserve_flat_scratch 0
		.amdhsa_float_round_mode_32 0
		.amdhsa_float_round_mode_16_64 0
		.amdhsa_float_denorm_mode_32 3
		.amdhsa_float_denorm_mode_16_64 3
		.amdhsa_dx10_clamp 1
		.amdhsa_ieee_mode 1
		.amdhsa_fp16_overflow 0
		.amdhsa_workgroup_processor_mode 1
		.amdhsa_memory_ordered 1
		.amdhsa_forward_progress 1
		.amdhsa_shared_vgpr_count 0
		.amdhsa_exception_fp_ieee_invalid_op 0
		.amdhsa_exception_fp_denorm_src 0
		.amdhsa_exception_fp_ieee_div_zero 0
		.amdhsa_exception_fp_ieee_overflow 0
		.amdhsa_exception_fp_ieee_underflow 0
		.amdhsa_exception_fp_ieee_inexact 0
		.amdhsa_exception_int_div_zero 0
	.end_amdhsa_kernel
	.section	.text._ZN7rocprim17ROCPRIM_400000_NS6detail17trampoline_kernelINS0_14default_configENS1_27scan_by_key_config_selectorIssEEZZNS1_16scan_by_key_implILNS1_25lookback_scan_determinismE0ELb0ES3_N6thrust23THRUST_200600_302600_NS6detail15normal_iteratorINS9_10device_ptrIsEEEESE_SE_sNS9_4plusIvEENS9_8equal_toIsEEsEE10hipError_tPvRmT2_T3_T4_T5_mT6_T7_P12ihipStream_tbENKUlT_T0_E_clISt17integral_constantIbLb1EESZ_EEDaSU_SV_EUlSU_E_NS1_11comp_targetILNS1_3genE5ELNS1_11target_archE942ELNS1_3gpuE9ELNS1_3repE0EEENS1_30default_config_static_selectorELNS0_4arch9wavefront6targetE0EEEvT1_,"axG",@progbits,_ZN7rocprim17ROCPRIM_400000_NS6detail17trampoline_kernelINS0_14default_configENS1_27scan_by_key_config_selectorIssEEZZNS1_16scan_by_key_implILNS1_25lookback_scan_determinismE0ELb0ES3_N6thrust23THRUST_200600_302600_NS6detail15normal_iteratorINS9_10device_ptrIsEEEESE_SE_sNS9_4plusIvEENS9_8equal_toIsEEsEE10hipError_tPvRmT2_T3_T4_T5_mT6_T7_P12ihipStream_tbENKUlT_T0_E_clISt17integral_constantIbLb1EESZ_EEDaSU_SV_EUlSU_E_NS1_11comp_targetILNS1_3genE5ELNS1_11target_archE942ELNS1_3gpuE9ELNS1_3repE0EEENS1_30default_config_static_selectorELNS0_4arch9wavefront6targetE0EEEvT1_,comdat
.Lfunc_end328:
	.size	_ZN7rocprim17ROCPRIM_400000_NS6detail17trampoline_kernelINS0_14default_configENS1_27scan_by_key_config_selectorIssEEZZNS1_16scan_by_key_implILNS1_25lookback_scan_determinismE0ELb0ES3_N6thrust23THRUST_200600_302600_NS6detail15normal_iteratorINS9_10device_ptrIsEEEESE_SE_sNS9_4plusIvEENS9_8equal_toIsEEsEE10hipError_tPvRmT2_T3_T4_T5_mT6_T7_P12ihipStream_tbENKUlT_T0_E_clISt17integral_constantIbLb1EESZ_EEDaSU_SV_EUlSU_E_NS1_11comp_targetILNS1_3genE5ELNS1_11target_archE942ELNS1_3gpuE9ELNS1_3repE0EEENS1_30default_config_static_selectorELNS0_4arch9wavefront6targetE0EEEvT1_, .Lfunc_end328-_ZN7rocprim17ROCPRIM_400000_NS6detail17trampoline_kernelINS0_14default_configENS1_27scan_by_key_config_selectorIssEEZZNS1_16scan_by_key_implILNS1_25lookback_scan_determinismE0ELb0ES3_N6thrust23THRUST_200600_302600_NS6detail15normal_iteratorINS9_10device_ptrIsEEEESE_SE_sNS9_4plusIvEENS9_8equal_toIsEEsEE10hipError_tPvRmT2_T3_T4_T5_mT6_T7_P12ihipStream_tbENKUlT_T0_E_clISt17integral_constantIbLb1EESZ_EEDaSU_SV_EUlSU_E_NS1_11comp_targetILNS1_3genE5ELNS1_11target_archE942ELNS1_3gpuE9ELNS1_3repE0EEENS1_30default_config_static_selectorELNS0_4arch9wavefront6targetE0EEEvT1_
                                        ; -- End function
	.set _ZN7rocprim17ROCPRIM_400000_NS6detail17trampoline_kernelINS0_14default_configENS1_27scan_by_key_config_selectorIssEEZZNS1_16scan_by_key_implILNS1_25lookback_scan_determinismE0ELb0ES3_N6thrust23THRUST_200600_302600_NS6detail15normal_iteratorINS9_10device_ptrIsEEEESE_SE_sNS9_4plusIvEENS9_8equal_toIsEEsEE10hipError_tPvRmT2_T3_T4_T5_mT6_T7_P12ihipStream_tbENKUlT_T0_E_clISt17integral_constantIbLb1EESZ_EEDaSU_SV_EUlSU_E_NS1_11comp_targetILNS1_3genE5ELNS1_11target_archE942ELNS1_3gpuE9ELNS1_3repE0EEENS1_30default_config_static_selectorELNS0_4arch9wavefront6targetE0EEEvT1_.num_vgpr, 0
	.set _ZN7rocprim17ROCPRIM_400000_NS6detail17trampoline_kernelINS0_14default_configENS1_27scan_by_key_config_selectorIssEEZZNS1_16scan_by_key_implILNS1_25lookback_scan_determinismE0ELb0ES3_N6thrust23THRUST_200600_302600_NS6detail15normal_iteratorINS9_10device_ptrIsEEEESE_SE_sNS9_4plusIvEENS9_8equal_toIsEEsEE10hipError_tPvRmT2_T3_T4_T5_mT6_T7_P12ihipStream_tbENKUlT_T0_E_clISt17integral_constantIbLb1EESZ_EEDaSU_SV_EUlSU_E_NS1_11comp_targetILNS1_3genE5ELNS1_11target_archE942ELNS1_3gpuE9ELNS1_3repE0EEENS1_30default_config_static_selectorELNS0_4arch9wavefront6targetE0EEEvT1_.num_agpr, 0
	.set _ZN7rocprim17ROCPRIM_400000_NS6detail17trampoline_kernelINS0_14default_configENS1_27scan_by_key_config_selectorIssEEZZNS1_16scan_by_key_implILNS1_25lookback_scan_determinismE0ELb0ES3_N6thrust23THRUST_200600_302600_NS6detail15normal_iteratorINS9_10device_ptrIsEEEESE_SE_sNS9_4plusIvEENS9_8equal_toIsEEsEE10hipError_tPvRmT2_T3_T4_T5_mT6_T7_P12ihipStream_tbENKUlT_T0_E_clISt17integral_constantIbLb1EESZ_EEDaSU_SV_EUlSU_E_NS1_11comp_targetILNS1_3genE5ELNS1_11target_archE942ELNS1_3gpuE9ELNS1_3repE0EEENS1_30default_config_static_selectorELNS0_4arch9wavefront6targetE0EEEvT1_.numbered_sgpr, 0
	.set _ZN7rocprim17ROCPRIM_400000_NS6detail17trampoline_kernelINS0_14default_configENS1_27scan_by_key_config_selectorIssEEZZNS1_16scan_by_key_implILNS1_25lookback_scan_determinismE0ELb0ES3_N6thrust23THRUST_200600_302600_NS6detail15normal_iteratorINS9_10device_ptrIsEEEESE_SE_sNS9_4plusIvEENS9_8equal_toIsEEsEE10hipError_tPvRmT2_T3_T4_T5_mT6_T7_P12ihipStream_tbENKUlT_T0_E_clISt17integral_constantIbLb1EESZ_EEDaSU_SV_EUlSU_E_NS1_11comp_targetILNS1_3genE5ELNS1_11target_archE942ELNS1_3gpuE9ELNS1_3repE0EEENS1_30default_config_static_selectorELNS0_4arch9wavefront6targetE0EEEvT1_.num_named_barrier, 0
	.set _ZN7rocprim17ROCPRIM_400000_NS6detail17trampoline_kernelINS0_14default_configENS1_27scan_by_key_config_selectorIssEEZZNS1_16scan_by_key_implILNS1_25lookback_scan_determinismE0ELb0ES3_N6thrust23THRUST_200600_302600_NS6detail15normal_iteratorINS9_10device_ptrIsEEEESE_SE_sNS9_4plusIvEENS9_8equal_toIsEEsEE10hipError_tPvRmT2_T3_T4_T5_mT6_T7_P12ihipStream_tbENKUlT_T0_E_clISt17integral_constantIbLb1EESZ_EEDaSU_SV_EUlSU_E_NS1_11comp_targetILNS1_3genE5ELNS1_11target_archE942ELNS1_3gpuE9ELNS1_3repE0EEENS1_30default_config_static_selectorELNS0_4arch9wavefront6targetE0EEEvT1_.private_seg_size, 0
	.set _ZN7rocprim17ROCPRIM_400000_NS6detail17trampoline_kernelINS0_14default_configENS1_27scan_by_key_config_selectorIssEEZZNS1_16scan_by_key_implILNS1_25lookback_scan_determinismE0ELb0ES3_N6thrust23THRUST_200600_302600_NS6detail15normal_iteratorINS9_10device_ptrIsEEEESE_SE_sNS9_4plusIvEENS9_8equal_toIsEEsEE10hipError_tPvRmT2_T3_T4_T5_mT6_T7_P12ihipStream_tbENKUlT_T0_E_clISt17integral_constantIbLb1EESZ_EEDaSU_SV_EUlSU_E_NS1_11comp_targetILNS1_3genE5ELNS1_11target_archE942ELNS1_3gpuE9ELNS1_3repE0EEENS1_30default_config_static_selectorELNS0_4arch9wavefront6targetE0EEEvT1_.uses_vcc, 0
	.set _ZN7rocprim17ROCPRIM_400000_NS6detail17trampoline_kernelINS0_14default_configENS1_27scan_by_key_config_selectorIssEEZZNS1_16scan_by_key_implILNS1_25lookback_scan_determinismE0ELb0ES3_N6thrust23THRUST_200600_302600_NS6detail15normal_iteratorINS9_10device_ptrIsEEEESE_SE_sNS9_4plusIvEENS9_8equal_toIsEEsEE10hipError_tPvRmT2_T3_T4_T5_mT6_T7_P12ihipStream_tbENKUlT_T0_E_clISt17integral_constantIbLb1EESZ_EEDaSU_SV_EUlSU_E_NS1_11comp_targetILNS1_3genE5ELNS1_11target_archE942ELNS1_3gpuE9ELNS1_3repE0EEENS1_30default_config_static_selectorELNS0_4arch9wavefront6targetE0EEEvT1_.uses_flat_scratch, 0
	.set _ZN7rocprim17ROCPRIM_400000_NS6detail17trampoline_kernelINS0_14default_configENS1_27scan_by_key_config_selectorIssEEZZNS1_16scan_by_key_implILNS1_25lookback_scan_determinismE0ELb0ES3_N6thrust23THRUST_200600_302600_NS6detail15normal_iteratorINS9_10device_ptrIsEEEESE_SE_sNS9_4plusIvEENS9_8equal_toIsEEsEE10hipError_tPvRmT2_T3_T4_T5_mT6_T7_P12ihipStream_tbENKUlT_T0_E_clISt17integral_constantIbLb1EESZ_EEDaSU_SV_EUlSU_E_NS1_11comp_targetILNS1_3genE5ELNS1_11target_archE942ELNS1_3gpuE9ELNS1_3repE0EEENS1_30default_config_static_selectorELNS0_4arch9wavefront6targetE0EEEvT1_.has_dyn_sized_stack, 0
	.set _ZN7rocprim17ROCPRIM_400000_NS6detail17trampoline_kernelINS0_14default_configENS1_27scan_by_key_config_selectorIssEEZZNS1_16scan_by_key_implILNS1_25lookback_scan_determinismE0ELb0ES3_N6thrust23THRUST_200600_302600_NS6detail15normal_iteratorINS9_10device_ptrIsEEEESE_SE_sNS9_4plusIvEENS9_8equal_toIsEEsEE10hipError_tPvRmT2_T3_T4_T5_mT6_T7_P12ihipStream_tbENKUlT_T0_E_clISt17integral_constantIbLb1EESZ_EEDaSU_SV_EUlSU_E_NS1_11comp_targetILNS1_3genE5ELNS1_11target_archE942ELNS1_3gpuE9ELNS1_3repE0EEENS1_30default_config_static_selectorELNS0_4arch9wavefront6targetE0EEEvT1_.has_recursion, 0
	.set _ZN7rocprim17ROCPRIM_400000_NS6detail17trampoline_kernelINS0_14default_configENS1_27scan_by_key_config_selectorIssEEZZNS1_16scan_by_key_implILNS1_25lookback_scan_determinismE0ELb0ES3_N6thrust23THRUST_200600_302600_NS6detail15normal_iteratorINS9_10device_ptrIsEEEESE_SE_sNS9_4plusIvEENS9_8equal_toIsEEsEE10hipError_tPvRmT2_T3_T4_T5_mT6_T7_P12ihipStream_tbENKUlT_T0_E_clISt17integral_constantIbLb1EESZ_EEDaSU_SV_EUlSU_E_NS1_11comp_targetILNS1_3genE5ELNS1_11target_archE942ELNS1_3gpuE9ELNS1_3repE0EEENS1_30default_config_static_selectorELNS0_4arch9wavefront6targetE0EEEvT1_.has_indirect_call, 0
	.section	.AMDGPU.csdata,"",@progbits
; Kernel info:
; codeLenInByte = 0
; TotalNumSgprs: 0
; NumVgprs: 0
; ScratchSize: 0
; MemoryBound: 0
; FloatMode: 240
; IeeeMode: 1
; LDSByteSize: 0 bytes/workgroup (compile time only)
; SGPRBlocks: 0
; VGPRBlocks: 0
; NumSGPRsForWavesPerEU: 1
; NumVGPRsForWavesPerEU: 1
; Occupancy: 16
; WaveLimiterHint : 0
; COMPUTE_PGM_RSRC2:SCRATCH_EN: 0
; COMPUTE_PGM_RSRC2:USER_SGPR: 6
; COMPUTE_PGM_RSRC2:TRAP_HANDLER: 0
; COMPUTE_PGM_RSRC2:TGID_X_EN: 1
; COMPUTE_PGM_RSRC2:TGID_Y_EN: 0
; COMPUTE_PGM_RSRC2:TGID_Z_EN: 0
; COMPUTE_PGM_RSRC2:TIDIG_COMP_CNT: 0
	.section	.text._ZN7rocprim17ROCPRIM_400000_NS6detail17trampoline_kernelINS0_14default_configENS1_27scan_by_key_config_selectorIssEEZZNS1_16scan_by_key_implILNS1_25lookback_scan_determinismE0ELb0ES3_N6thrust23THRUST_200600_302600_NS6detail15normal_iteratorINS9_10device_ptrIsEEEESE_SE_sNS9_4plusIvEENS9_8equal_toIsEEsEE10hipError_tPvRmT2_T3_T4_T5_mT6_T7_P12ihipStream_tbENKUlT_T0_E_clISt17integral_constantIbLb1EESZ_EEDaSU_SV_EUlSU_E_NS1_11comp_targetILNS1_3genE4ELNS1_11target_archE910ELNS1_3gpuE8ELNS1_3repE0EEENS1_30default_config_static_selectorELNS0_4arch9wavefront6targetE0EEEvT1_,"axG",@progbits,_ZN7rocprim17ROCPRIM_400000_NS6detail17trampoline_kernelINS0_14default_configENS1_27scan_by_key_config_selectorIssEEZZNS1_16scan_by_key_implILNS1_25lookback_scan_determinismE0ELb0ES3_N6thrust23THRUST_200600_302600_NS6detail15normal_iteratorINS9_10device_ptrIsEEEESE_SE_sNS9_4plusIvEENS9_8equal_toIsEEsEE10hipError_tPvRmT2_T3_T4_T5_mT6_T7_P12ihipStream_tbENKUlT_T0_E_clISt17integral_constantIbLb1EESZ_EEDaSU_SV_EUlSU_E_NS1_11comp_targetILNS1_3genE4ELNS1_11target_archE910ELNS1_3gpuE8ELNS1_3repE0EEENS1_30default_config_static_selectorELNS0_4arch9wavefront6targetE0EEEvT1_,comdat
	.protected	_ZN7rocprim17ROCPRIM_400000_NS6detail17trampoline_kernelINS0_14default_configENS1_27scan_by_key_config_selectorIssEEZZNS1_16scan_by_key_implILNS1_25lookback_scan_determinismE0ELb0ES3_N6thrust23THRUST_200600_302600_NS6detail15normal_iteratorINS9_10device_ptrIsEEEESE_SE_sNS9_4plusIvEENS9_8equal_toIsEEsEE10hipError_tPvRmT2_T3_T4_T5_mT6_T7_P12ihipStream_tbENKUlT_T0_E_clISt17integral_constantIbLb1EESZ_EEDaSU_SV_EUlSU_E_NS1_11comp_targetILNS1_3genE4ELNS1_11target_archE910ELNS1_3gpuE8ELNS1_3repE0EEENS1_30default_config_static_selectorELNS0_4arch9wavefront6targetE0EEEvT1_ ; -- Begin function _ZN7rocprim17ROCPRIM_400000_NS6detail17trampoline_kernelINS0_14default_configENS1_27scan_by_key_config_selectorIssEEZZNS1_16scan_by_key_implILNS1_25lookback_scan_determinismE0ELb0ES3_N6thrust23THRUST_200600_302600_NS6detail15normal_iteratorINS9_10device_ptrIsEEEESE_SE_sNS9_4plusIvEENS9_8equal_toIsEEsEE10hipError_tPvRmT2_T3_T4_T5_mT6_T7_P12ihipStream_tbENKUlT_T0_E_clISt17integral_constantIbLb1EESZ_EEDaSU_SV_EUlSU_E_NS1_11comp_targetILNS1_3genE4ELNS1_11target_archE910ELNS1_3gpuE8ELNS1_3repE0EEENS1_30default_config_static_selectorELNS0_4arch9wavefront6targetE0EEEvT1_
	.globl	_ZN7rocprim17ROCPRIM_400000_NS6detail17trampoline_kernelINS0_14default_configENS1_27scan_by_key_config_selectorIssEEZZNS1_16scan_by_key_implILNS1_25lookback_scan_determinismE0ELb0ES3_N6thrust23THRUST_200600_302600_NS6detail15normal_iteratorINS9_10device_ptrIsEEEESE_SE_sNS9_4plusIvEENS9_8equal_toIsEEsEE10hipError_tPvRmT2_T3_T4_T5_mT6_T7_P12ihipStream_tbENKUlT_T0_E_clISt17integral_constantIbLb1EESZ_EEDaSU_SV_EUlSU_E_NS1_11comp_targetILNS1_3genE4ELNS1_11target_archE910ELNS1_3gpuE8ELNS1_3repE0EEENS1_30default_config_static_selectorELNS0_4arch9wavefront6targetE0EEEvT1_
	.p2align	8
	.type	_ZN7rocprim17ROCPRIM_400000_NS6detail17trampoline_kernelINS0_14default_configENS1_27scan_by_key_config_selectorIssEEZZNS1_16scan_by_key_implILNS1_25lookback_scan_determinismE0ELb0ES3_N6thrust23THRUST_200600_302600_NS6detail15normal_iteratorINS9_10device_ptrIsEEEESE_SE_sNS9_4plusIvEENS9_8equal_toIsEEsEE10hipError_tPvRmT2_T3_T4_T5_mT6_T7_P12ihipStream_tbENKUlT_T0_E_clISt17integral_constantIbLb1EESZ_EEDaSU_SV_EUlSU_E_NS1_11comp_targetILNS1_3genE4ELNS1_11target_archE910ELNS1_3gpuE8ELNS1_3repE0EEENS1_30default_config_static_selectorELNS0_4arch9wavefront6targetE0EEEvT1_,@function
_ZN7rocprim17ROCPRIM_400000_NS6detail17trampoline_kernelINS0_14default_configENS1_27scan_by_key_config_selectorIssEEZZNS1_16scan_by_key_implILNS1_25lookback_scan_determinismE0ELb0ES3_N6thrust23THRUST_200600_302600_NS6detail15normal_iteratorINS9_10device_ptrIsEEEESE_SE_sNS9_4plusIvEENS9_8equal_toIsEEsEE10hipError_tPvRmT2_T3_T4_T5_mT6_T7_P12ihipStream_tbENKUlT_T0_E_clISt17integral_constantIbLb1EESZ_EEDaSU_SV_EUlSU_E_NS1_11comp_targetILNS1_3genE4ELNS1_11target_archE910ELNS1_3gpuE8ELNS1_3repE0EEENS1_30default_config_static_selectorELNS0_4arch9wavefront6targetE0EEEvT1_: ; @_ZN7rocprim17ROCPRIM_400000_NS6detail17trampoline_kernelINS0_14default_configENS1_27scan_by_key_config_selectorIssEEZZNS1_16scan_by_key_implILNS1_25lookback_scan_determinismE0ELb0ES3_N6thrust23THRUST_200600_302600_NS6detail15normal_iteratorINS9_10device_ptrIsEEEESE_SE_sNS9_4plusIvEENS9_8equal_toIsEEsEE10hipError_tPvRmT2_T3_T4_T5_mT6_T7_P12ihipStream_tbENKUlT_T0_E_clISt17integral_constantIbLb1EESZ_EEDaSU_SV_EUlSU_E_NS1_11comp_targetILNS1_3genE4ELNS1_11target_archE910ELNS1_3gpuE8ELNS1_3repE0EEENS1_30default_config_static_selectorELNS0_4arch9wavefront6targetE0EEEvT1_
; %bb.0:
	.section	.rodata,"a",@progbits
	.p2align	6, 0x0
	.amdhsa_kernel _ZN7rocprim17ROCPRIM_400000_NS6detail17trampoline_kernelINS0_14default_configENS1_27scan_by_key_config_selectorIssEEZZNS1_16scan_by_key_implILNS1_25lookback_scan_determinismE0ELb0ES3_N6thrust23THRUST_200600_302600_NS6detail15normal_iteratorINS9_10device_ptrIsEEEESE_SE_sNS9_4plusIvEENS9_8equal_toIsEEsEE10hipError_tPvRmT2_T3_T4_T5_mT6_T7_P12ihipStream_tbENKUlT_T0_E_clISt17integral_constantIbLb1EESZ_EEDaSU_SV_EUlSU_E_NS1_11comp_targetILNS1_3genE4ELNS1_11target_archE910ELNS1_3gpuE8ELNS1_3repE0EEENS1_30default_config_static_selectorELNS0_4arch9wavefront6targetE0EEEvT1_
		.amdhsa_group_segment_fixed_size 0
		.amdhsa_private_segment_fixed_size 0
		.amdhsa_kernarg_size 112
		.amdhsa_user_sgpr_count 6
		.amdhsa_user_sgpr_private_segment_buffer 1
		.amdhsa_user_sgpr_dispatch_ptr 0
		.amdhsa_user_sgpr_queue_ptr 0
		.amdhsa_user_sgpr_kernarg_segment_ptr 1
		.amdhsa_user_sgpr_dispatch_id 0
		.amdhsa_user_sgpr_flat_scratch_init 0
		.amdhsa_user_sgpr_private_segment_size 0
		.amdhsa_wavefront_size32 1
		.amdhsa_uses_dynamic_stack 0
		.amdhsa_system_sgpr_private_segment_wavefront_offset 0
		.amdhsa_system_sgpr_workgroup_id_x 1
		.amdhsa_system_sgpr_workgroup_id_y 0
		.amdhsa_system_sgpr_workgroup_id_z 0
		.amdhsa_system_sgpr_workgroup_info 0
		.amdhsa_system_vgpr_workitem_id 0
		.amdhsa_next_free_vgpr 1
		.amdhsa_next_free_sgpr 1
		.amdhsa_reserve_vcc 0
		.amdhsa_reserve_flat_scratch 0
		.amdhsa_float_round_mode_32 0
		.amdhsa_float_round_mode_16_64 0
		.amdhsa_float_denorm_mode_32 3
		.amdhsa_float_denorm_mode_16_64 3
		.amdhsa_dx10_clamp 1
		.amdhsa_ieee_mode 1
		.amdhsa_fp16_overflow 0
		.amdhsa_workgroup_processor_mode 1
		.amdhsa_memory_ordered 1
		.amdhsa_forward_progress 1
		.amdhsa_shared_vgpr_count 0
		.amdhsa_exception_fp_ieee_invalid_op 0
		.amdhsa_exception_fp_denorm_src 0
		.amdhsa_exception_fp_ieee_div_zero 0
		.amdhsa_exception_fp_ieee_overflow 0
		.amdhsa_exception_fp_ieee_underflow 0
		.amdhsa_exception_fp_ieee_inexact 0
		.amdhsa_exception_int_div_zero 0
	.end_amdhsa_kernel
	.section	.text._ZN7rocprim17ROCPRIM_400000_NS6detail17trampoline_kernelINS0_14default_configENS1_27scan_by_key_config_selectorIssEEZZNS1_16scan_by_key_implILNS1_25lookback_scan_determinismE0ELb0ES3_N6thrust23THRUST_200600_302600_NS6detail15normal_iteratorINS9_10device_ptrIsEEEESE_SE_sNS9_4plusIvEENS9_8equal_toIsEEsEE10hipError_tPvRmT2_T3_T4_T5_mT6_T7_P12ihipStream_tbENKUlT_T0_E_clISt17integral_constantIbLb1EESZ_EEDaSU_SV_EUlSU_E_NS1_11comp_targetILNS1_3genE4ELNS1_11target_archE910ELNS1_3gpuE8ELNS1_3repE0EEENS1_30default_config_static_selectorELNS0_4arch9wavefront6targetE0EEEvT1_,"axG",@progbits,_ZN7rocprim17ROCPRIM_400000_NS6detail17trampoline_kernelINS0_14default_configENS1_27scan_by_key_config_selectorIssEEZZNS1_16scan_by_key_implILNS1_25lookback_scan_determinismE0ELb0ES3_N6thrust23THRUST_200600_302600_NS6detail15normal_iteratorINS9_10device_ptrIsEEEESE_SE_sNS9_4plusIvEENS9_8equal_toIsEEsEE10hipError_tPvRmT2_T3_T4_T5_mT6_T7_P12ihipStream_tbENKUlT_T0_E_clISt17integral_constantIbLb1EESZ_EEDaSU_SV_EUlSU_E_NS1_11comp_targetILNS1_3genE4ELNS1_11target_archE910ELNS1_3gpuE8ELNS1_3repE0EEENS1_30default_config_static_selectorELNS0_4arch9wavefront6targetE0EEEvT1_,comdat
.Lfunc_end329:
	.size	_ZN7rocprim17ROCPRIM_400000_NS6detail17trampoline_kernelINS0_14default_configENS1_27scan_by_key_config_selectorIssEEZZNS1_16scan_by_key_implILNS1_25lookback_scan_determinismE0ELb0ES3_N6thrust23THRUST_200600_302600_NS6detail15normal_iteratorINS9_10device_ptrIsEEEESE_SE_sNS9_4plusIvEENS9_8equal_toIsEEsEE10hipError_tPvRmT2_T3_T4_T5_mT6_T7_P12ihipStream_tbENKUlT_T0_E_clISt17integral_constantIbLb1EESZ_EEDaSU_SV_EUlSU_E_NS1_11comp_targetILNS1_3genE4ELNS1_11target_archE910ELNS1_3gpuE8ELNS1_3repE0EEENS1_30default_config_static_selectorELNS0_4arch9wavefront6targetE0EEEvT1_, .Lfunc_end329-_ZN7rocprim17ROCPRIM_400000_NS6detail17trampoline_kernelINS0_14default_configENS1_27scan_by_key_config_selectorIssEEZZNS1_16scan_by_key_implILNS1_25lookback_scan_determinismE0ELb0ES3_N6thrust23THRUST_200600_302600_NS6detail15normal_iteratorINS9_10device_ptrIsEEEESE_SE_sNS9_4plusIvEENS9_8equal_toIsEEsEE10hipError_tPvRmT2_T3_T4_T5_mT6_T7_P12ihipStream_tbENKUlT_T0_E_clISt17integral_constantIbLb1EESZ_EEDaSU_SV_EUlSU_E_NS1_11comp_targetILNS1_3genE4ELNS1_11target_archE910ELNS1_3gpuE8ELNS1_3repE0EEENS1_30default_config_static_selectorELNS0_4arch9wavefront6targetE0EEEvT1_
                                        ; -- End function
	.set _ZN7rocprim17ROCPRIM_400000_NS6detail17trampoline_kernelINS0_14default_configENS1_27scan_by_key_config_selectorIssEEZZNS1_16scan_by_key_implILNS1_25lookback_scan_determinismE0ELb0ES3_N6thrust23THRUST_200600_302600_NS6detail15normal_iteratorINS9_10device_ptrIsEEEESE_SE_sNS9_4plusIvEENS9_8equal_toIsEEsEE10hipError_tPvRmT2_T3_T4_T5_mT6_T7_P12ihipStream_tbENKUlT_T0_E_clISt17integral_constantIbLb1EESZ_EEDaSU_SV_EUlSU_E_NS1_11comp_targetILNS1_3genE4ELNS1_11target_archE910ELNS1_3gpuE8ELNS1_3repE0EEENS1_30default_config_static_selectorELNS0_4arch9wavefront6targetE0EEEvT1_.num_vgpr, 0
	.set _ZN7rocprim17ROCPRIM_400000_NS6detail17trampoline_kernelINS0_14default_configENS1_27scan_by_key_config_selectorIssEEZZNS1_16scan_by_key_implILNS1_25lookback_scan_determinismE0ELb0ES3_N6thrust23THRUST_200600_302600_NS6detail15normal_iteratorINS9_10device_ptrIsEEEESE_SE_sNS9_4plusIvEENS9_8equal_toIsEEsEE10hipError_tPvRmT2_T3_T4_T5_mT6_T7_P12ihipStream_tbENKUlT_T0_E_clISt17integral_constantIbLb1EESZ_EEDaSU_SV_EUlSU_E_NS1_11comp_targetILNS1_3genE4ELNS1_11target_archE910ELNS1_3gpuE8ELNS1_3repE0EEENS1_30default_config_static_selectorELNS0_4arch9wavefront6targetE0EEEvT1_.num_agpr, 0
	.set _ZN7rocprim17ROCPRIM_400000_NS6detail17trampoline_kernelINS0_14default_configENS1_27scan_by_key_config_selectorIssEEZZNS1_16scan_by_key_implILNS1_25lookback_scan_determinismE0ELb0ES3_N6thrust23THRUST_200600_302600_NS6detail15normal_iteratorINS9_10device_ptrIsEEEESE_SE_sNS9_4plusIvEENS9_8equal_toIsEEsEE10hipError_tPvRmT2_T3_T4_T5_mT6_T7_P12ihipStream_tbENKUlT_T0_E_clISt17integral_constantIbLb1EESZ_EEDaSU_SV_EUlSU_E_NS1_11comp_targetILNS1_3genE4ELNS1_11target_archE910ELNS1_3gpuE8ELNS1_3repE0EEENS1_30default_config_static_selectorELNS0_4arch9wavefront6targetE0EEEvT1_.numbered_sgpr, 0
	.set _ZN7rocprim17ROCPRIM_400000_NS6detail17trampoline_kernelINS0_14default_configENS1_27scan_by_key_config_selectorIssEEZZNS1_16scan_by_key_implILNS1_25lookback_scan_determinismE0ELb0ES3_N6thrust23THRUST_200600_302600_NS6detail15normal_iteratorINS9_10device_ptrIsEEEESE_SE_sNS9_4plusIvEENS9_8equal_toIsEEsEE10hipError_tPvRmT2_T3_T4_T5_mT6_T7_P12ihipStream_tbENKUlT_T0_E_clISt17integral_constantIbLb1EESZ_EEDaSU_SV_EUlSU_E_NS1_11comp_targetILNS1_3genE4ELNS1_11target_archE910ELNS1_3gpuE8ELNS1_3repE0EEENS1_30default_config_static_selectorELNS0_4arch9wavefront6targetE0EEEvT1_.num_named_barrier, 0
	.set _ZN7rocprim17ROCPRIM_400000_NS6detail17trampoline_kernelINS0_14default_configENS1_27scan_by_key_config_selectorIssEEZZNS1_16scan_by_key_implILNS1_25lookback_scan_determinismE0ELb0ES3_N6thrust23THRUST_200600_302600_NS6detail15normal_iteratorINS9_10device_ptrIsEEEESE_SE_sNS9_4plusIvEENS9_8equal_toIsEEsEE10hipError_tPvRmT2_T3_T4_T5_mT6_T7_P12ihipStream_tbENKUlT_T0_E_clISt17integral_constantIbLb1EESZ_EEDaSU_SV_EUlSU_E_NS1_11comp_targetILNS1_3genE4ELNS1_11target_archE910ELNS1_3gpuE8ELNS1_3repE0EEENS1_30default_config_static_selectorELNS0_4arch9wavefront6targetE0EEEvT1_.private_seg_size, 0
	.set _ZN7rocprim17ROCPRIM_400000_NS6detail17trampoline_kernelINS0_14default_configENS1_27scan_by_key_config_selectorIssEEZZNS1_16scan_by_key_implILNS1_25lookback_scan_determinismE0ELb0ES3_N6thrust23THRUST_200600_302600_NS6detail15normal_iteratorINS9_10device_ptrIsEEEESE_SE_sNS9_4plusIvEENS9_8equal_toIsEEsEE10hipError_tPvRmT2_T3_T4_T5_mT6_T7_P12ihipStream_tbENKUlT_T0_E_clISt17integral_constantIbLb1EESZ_EEDaSU_SV_EUlSU_E_NS1_11comp_targetILNS1_3genE4ELNS1_11target_archE910ELNS1_3gpuE8ELNS1_3repE0EEENS1_30default_config_static_selectorELNS0_4arch9wavefront6targetE0EEEvT1_.uses_vcc, 0
	.set _ZN7rocprim17ROCPRIM_400000_NS6detail17trampoline_kernelINS0_14default_configENS1_27scan_by_key_config_selectorIssEEZZNS1_16scan_by_key_implILNS1_25lookback_scan_determinismE0ELb0ES3_N6thrust23THRUST_200600_302600_NS6detail15normal_iteratorINS9_10device_ptrIsEEEESE_SE_sNS9_4plusIvEENS9_8equal_toIsEEsEE10hipError_tPvRmT2_T3_T4_T5_mT6_T7_P12ihipStream_tbENKUlT_T0_E_clISt17integral_constantIbLb1EESZ_EEDaSU_SV_EUlSU_E_NS1_11comp_targetILNS1_3genE4ELNS1_11target_archE910ELNS1_3gpuE8ELNS1_3repE0EEENS1_30default_config_static_selectorELNS0_4arch9wavefront6targetE0EEEvT1_.uses_flat_scratch, 0
	.set _ZN7rocprim17ROCPRIM_400000_NS6detail17trampoline_kernelINS0_14default_configENS1_27scan_by_key_config_selectorIssEEZZNS1_16scan_by_key_implILNS1_25lookback_scan_determinismE0ELb0ES3_N6thrust23THRUST_200600_302600_NS6detail15normal_iteratorINS9_10device_ptrIsEEEESE_SE_sNS9_4plusIvEENS9_8equal_toIsEEsEE10hipError_tPvRmT2_T3_T4_T5_mT6_T7_P12ihipStream_tbENKUlT_T0_E_clISt17integral_constantIbLb1EESZ_EEDaSU_SV_EUlSU_E_NS1_11comp_targetILNS1_3genE4ELNS1_11target_archE910ELNS1_3gpuE8ELNS1_3repE0EEENS1_30default_config_static_selectorELNS0_4arch9wavefront6targetE0EEEvT1_.has_dyn_sized_stack, 0
	.set _ZN7rocprim17ROCPRIM_400000_NS6detail17trampoline_kernelINS0_14default_configENS1_27scan_by_key_config_selectorIssEEZZNS1_16scan_by_key_implILNS1_25lookback_scan_determinismE0ELb0ES3_N6thrust23THRUST_200600_302600_NS6detail15normal_iteratorINS9_10device_ptrIsEEEESE_SE_sNS9_4plusIvEENS9_8equal_toIsEEsEE10hipError_tPvRmT2_T3_T4_T5_mT6_T7_P12ihipStream_tbENKUlT_T0_E_clISt17integral_constantIbLb1EESZ_EEDaSU_SV_EUlSU_E_NS1_11comp_targetILNS1_3genE4ELNS1_11target_archE910ELNS1_3gpuE8ELNS1_3repE0EEENS1_30default_config_static_selectorELNS0_4arch9wavefront6targetE0EEEvT1_.has_recursion, 0
	.set _ZN7rocprim17ROCPRIM_400000_NS6detail17trampoline_kernelINS0_14default_configENS1_27scan_by_key_config_selectorIssEEZZNS1_16scan_by_key_implILNS1_25lookback_scan_determinismE0ELb0ES3_N6thrust23THRUST_200600_302600_NS6detail15normal_iteratorINS9_10device_ptrIsEEEESE_SE_sNS9_4plusIvEENS9_8equal_toIsEEsEE10hipError_tPvRmT2_T3_T4_T5_mT6_T7_P12ihipStream_tbENKUlT_T0_E_clISt17integral_constantIbLb1EESZ_EEDaSU_SV_EUlSU_E_NS1_11comp_targetILNS1_3genE4ELNS1_11target_archE910ELNS1_3gpuE8ELNS1_3repE0EEENS1_30default_config_static_selectorELNS0_4arch9wavefront6targetE0EEEvT1_.has_indirect_call, 0
	.section	.AMDGPU.csdata,"",@progbits
; Kernel info:
; codeLenInByte = 0
; TotalNumSgprs: 0
; NumVgprs: 0
; ScratchSize: 0
; MemoryBound: 0
; FloatMode: 240
; IeeeMode: 1
; LDSByteSize: 0 bytes/workgroup (compile time only)
; SGPRBlocks: 0
; VGPRBlocks: 0
; NumSGPRsForWavesPerEU: 1
; NumVGPRsForWavesPerEU: 1
; Occupancy: 16
; WaveLimiterHint : 0
; COMPUTE_PGM_RSRC2:SCRATCH_EN: 0
; COMPUTE_PGM_RSRC2:USER_SGPR: 6
; COMPUTE_PGM_RSRC2:TRAP_HANDLER: 0
; COMPUTE_PGM_RSRC2:TGID_X_EN: 1
; COMPUTE_PGM_RSRC2:TGID_Y_EN: 0
; COMPUTE_PGM_RSRC2:TGID_Z_EN: 0
; COMPUTE_PGM_RSRC2:TIDIG_COMP_CNT: 0
	.section	.text._ZN7rocprim17ROCPRIM_400000_NS6detail17trampoline_kernelINS0_14default_configENS1_27scan_by_key_config_selectorIssEEZZNS1_16scan_by_key_implILNS1_25lookback_scan_determinismE0ELb0ES3_N6thrust23THRUST_200600_302600_NS6detail15normal_iteratorINS9_10device_ptrIsEEEESE_SE_sNS9_4plusIvEENS9_8equal_toIsEEsEE10hipError_tPvRmT2_T3_T4_T5_mT6_T7_P12ihipStream_tbENKUlT_T0_E_clISt17integral_constantIbLb1EESZ_EEDaSU_SV_EUlSU_E_NS1_11comp_targetILNS1_3genE3ELNS1_11target_archE908ELNS1_3gpuE7ELNS1_3repE0EEENS1_30default_config_static_selectorELNS0_4arch9wavefront6targetE0EEEvT1_,"axG",@progbits,_ZN7rocprim17ROCPRIM_400000_NS6detail17trampoline_kernelINS0_14default_configENS1_27scan_by_key_config_selectorIssEEZZNS1_16scan_by_key_implILNS1_25lookback_scan_determinismE0ELb0ES3_N6thrust23THRUST_200600_302600_NS6detail15normal_iteratorINS9_10device_ptrIsEEEESE_SE_sNS9_4plusIvEENS9_8equal_toIsEEsEE10hipError_tPvRmT2_T3_T4_T5_mT6_T7_P12ihipStream_tbENKUlT_T0_E_clISt17integral_constantIbLb1EESZ_EEDaSU_SV_EUlSU_E_NS1_11comp_targetILNS1_3genE3ELNS1_11target_archE908ELNS1_3gpuE7ELNS1_3repE0EEENS1_30default_config_static_selectorELNS0_4arch9wavefront6targetE0EEEvT1_,comdat
	.protected	_ZN7rocprim17ROCPRIM_400000_NS6detail17trampoline_kernelINS0_14default_configENS1_27scan_by_key_config_selectorIssEEZZNS1_16scan_by_key_implILNS1_25lookback_scan_determinismE0ELb0ES3_N6thrust23THRUST_200600_302600_NS6detail15normal_iteratorINS9_10device_ptrIsEEEESE_SE_sNS9_4plusIvEENS9_8equal_toIsEEsEE10hipError_tPvRmT2_T3_T4_T5_mT6_T7_P12ihipStream_tbENKUlT_T0_E_clISt17integral_constantIbLb1EESZ_EEDaSU_SV_EUlSU_E_NS1_11comp_targetILNS1_3genE3ELNS1_11target_archE908ELNS1_3gpuE7ELNS1_3repE0EEENS1_30default_config_static_selectorELNS0_4arch9wavefront6targetE0EEEvT1_ ; -- Begin function _ZN7rocprim17ROCPRIM_400000_NS6detail17trampoline_kernelINS0_14default_configENS1_27scan_by_key_config_selectorIssEEZZNS1_16scan_by_key_implILNS1_25lookback_scan_determinismE0ELb0ES3_N6thrust23THRUST_200600_302600_NS6detail15normal_iteratorINS9_10device_ptrIsEEEESE_SE_sNS9_4plusIvEENS9_8equal_toIsEEsEE10hipError_tPvRmT2_T3_T4_T5_mT6_T7_P12ihipStream_tbENKUlT_T0_E_clISt17integral_constantIbLb1EESZ_EEDaSU_SV_EUlSU_E_NS1_11comp_targetILNS1_3genE3ELNS1_11target_archE908ELNS1_3gpuE7ELNS1_3repE0EEENS1_30default_config_static_selectorELNS0_4arch9wavefront6targetE0EEEvT1_
	.globl	_ZN7rocprim17ROCPRIM_400000_NS6detail17trampoline_kernelINS0_14default_configENS1_27scan_by_key_config_selectorIssEEZZNS1_16scan_by_key_implILNS1_25lookback_scan_determinismE0ELb0ES3_N6thrust23THRUST_200600_302600_NS6detail15normal_iteratorINS9_10device_ptrIsEEEESE_SE_sNS9_4plusIvEENS9_8equal_toIsEEsEE10hipError_tPvRmT2_T3_T4_T5_mT6_T7_P12ihipStream_tbENKUlT_T0_E_clISt17integral_constantIbLb1EESZ_EEDaSU_SV_EUlSU_E_NS1_11comp_targetILNS1_3genE3ELNS1_11target_archE908ELNS1_3gpuE7ELNS1_3repE0EEENS1_30default_config_static_selectorELNS0_4arch9wavefront6targetE0EEEvT1_
	.p2align	8
	.type	_ZN7rocprim17ROCPRIM_400000_NS6detail17trampoline_kernelINS0_14default_configENS1_27scan_by_key_config_selectorIssEEZZNS1_16scan_by_key_implILNS1_25lookback_scan_determinismE0ELb0ES3_N6thrust23THRUST_200600_302600_NS6detail15normal_iteratorINS9_10device_ptrIsEEEESE_SE_sNS9_4plusIvEENS9_8equal_toIsEEsEE10hipError_tPvRmT2_T3_T4_T5_mT6_T7_P12ihipStream_tbENKUlT_T0_E_clISt17integral_constantIbLb1EESZ_EEDaSU_SV_EUlSU_E_NS1_11comp_targetILNS1_3genE3ELNS1_11target_archE908ELNS1_3gpuE7ELNS1_3repE0EEENS1_30default_config_static_selectorELNS0_4arch9wavefront6targetE0EEEvT1_,@function
_ZN7rocprim17ROCPRIM_400000_NS6detail17trampoline_kernelINS0_14default_configENS1_27scan_by_key_config_selectorIssEEZZNS1_16scan_by_key_implILNS1_25lookback_scan_determinismE0ELb0ES3_N6thrust23THRUST_200600_302600_NS6detail15normal_iteratorINS9_10device_ptrIsEEEESE_SE_sNS9_4plusIvEENS9_8equal_toIsEEsEE10hipError_tPvRmT2_T3_T4_T5_mT6_T7_P12ihipStream_tbENKUlT_T0_E_clISt17integral_constantIbLb1EESZ_EEDaSU_SV_EUlSU_E_NS1_11comp_targetILNS1_3genE3ELNS1_11target_archE908ELNS1_3gpuE7ELNS1_3repE0EEENS1_30default_config_static_selectorELNS0_4arch9wavefront6targetE0EEEvT1_: ; @_ZN7rocprim17ROCPRIM_400000_NS6detail17trampoline_kernelINS0_14default_configENS1_27scan_by_key_config_selectorIssEEZZNS1_16scan_by_key_implILNS1_25lookback_scan_determinismE0ELb0ES3_N6thrust23THRUST_200600_302600_NS6detail15normal_iteratorINS9_10device_ptrIsEEEESE_SE_sNS9_4plusIvEENS9_8equal_toIsEEsEE10hipError_tPvRmT2_T3_T4_T5_mT6_T7_P12ihipStream_tbENKUlT_T0_E_clISt17integral_constantIbLb1EESZ_EEDaSU_SV_EUlSU_E_NS1_11comp_targetILNS1_3genE3ELNS1_11target_archE908ELNS1_3gpuE7ELNS1_3repE0EEENS1_30default_config_static_selectorELNS0_4arch9wavefront6targetE0EEEvT1_
; %bb.0:
	.section	.rodata,"a",@progbits
	.p2align	6, 0x0
	.amdhsa_kernel _ZN7rocprim17ROCPRIM_400000_NS6detail17trampoline_kernelINS0_14default_configENS1_27scan_by_key_config_selectorIssEEZZNS1_16scan_by_key_implILNS1_25lookback_scan_determinismE0ELb0ES3_N6thrust23THRUST_200600_302600_NS6detail15normal_iteratorINS9_10device_ptrIsEEEESE_SE_sNS9_4plusIvEENS9_8equal_toIsEEsEE10hipError_tPvRmT2_T3_T4_T5_mT6_T7_P12ihipStream_tbENKUlT_T0_E_clISt17integral_constantIbLb1EESZ_EEDaSU_SV_EUlSU_E_NS1_11comp_targetILNS1_3genE3ELNS1_11target_archE908ELNS1_3gpuE7ELNS1_3repE0EEENS1_30default_config_static_selectorELNS0_4arch9wavefront6targetE0EEEvT1_
		.amdhsa_group_segment_fixed_size 0
		.amdhsa_private_segment_fixed_size 0
		.amdhsa_kernarg_size 112
		.amdhsa_user_sgpr_count 6
		.amdhsa_user_sgpr_private_segment_buffer 1
		.amdhsa_user_sgpr_dispatch_ptr 0
		.amdhsa_user_sgpr_queue_ptr 0
		.amdhsa_user_sgpr_kernarg_segment_ptr 1
		.amdhsa_user_sgpr_dispatch_id 0
		.amdhsa_user_sgpr_flat_scratch_init 0
		.amdhsa_user_sgpr_private_segment_size 0
		.amdhsa_wavefront_size32 1
		.amdhsa_uses_dynamic_stack 0
		.amdhsa_system_sgpr_private_segment_wavefront_offset 0
		.amdhsa_system_sgpr_workgroup_id_x 1
		.amdhsa_system_sgpr_workgroup_id_y 0
		.amdhsa_system_sgpr_workgroup_id_z 0
		.amdhsa_system_sgpr_workgroup_info 0
		.amdhsa_system_vgpr_workitem_id 0
		.amdhsa_next_free_vgpr 1
		.amdhsa_next_free_sgpr 1
		.amdhsa_reserve_vcc 0
		.amdhsa_reserve_flat_scratch 0
		.amdhsa_float_round_mode_32 0
		.amdhsa_float_round_mode_16_64 0
		.amdhsa_float_denorm_mode_32 3
		.amdhsa_float_denorm_mode_16_64 3
		.amdhsa_dx10_clamp 1
		.amdhsa_ieee_mode 1
		.amdhsa_fp16_overflow 0
		.amdhsa_workgroup_processor_mode 1
		.amdhsa_memory_ordered 1
		.amdhsa_forward_progress 1
		.amdhsa_shared_vgpr_count 0
		.amdhsa_exception_fp_ieee_invalid_op 0
		.amdhsa_exception_fp_denorm_src 0
		.amdhsa_exception_fp_ieee_div_zero 0
		.amdhsa_exception_fp_ieee_overflow 0
		.amdhsa_exception_fp_ieee_underflow 0
		.amdhsa_exception_fp_ieee_inexact 0
		.amdhsa_exception_int_div_zero 0
	.end_amdhsa_kernel
	.section	.text._ZN7rocprim17ROCPRIM_400000_NS6detail17trampoline_kernelINS0_14default_configENS1_27scan_by_key_config_selectorIssEEZZNS1_16scan_by_key_implILNS1_25lookback_scan_determinismE0ELb0ES3_N6thrust23THRUST_200600_302600_NS6detail15normal_iteratorINS9_10device_ptrIsEEEESE_SE_sNS9_4plusIvEENS9_8equal_toIsEEsEE10hipError_tPvRmT2_T3_T4_T5_mT6_T7_P12ihipStream_tbENKUlT_T0_E_clISt17integral_constantIbLb1EESZ_EEDaSU_SV_EUlSU_E_NS1_11comp_targetILNS1_3genE3ELNS1_11target_archE908ELNS1_3gpuE7ELNS1_3repE0EEENS1_30default_config_static_selectorELNS0_4arch9wavefront6targetE0EEEvT1_,"axG",@progbits,_ZN7rocprim17ROCPRIM_400000_NS6detail17trampoline_kernelINS0_14default_configENS1_27scan_by_key_config_selectorIssEEZZNS1_16scan_by_key_implILNS1_25lookback_scan_determinismE0ELb0ES3_N6thrust23THRUST_200600_302600_NS6detail15normal_iteratorINS9_10device_ptrIsEEEESE_SE_sNS9_4plusIvEENS9_8equal_toIsEEsEE10hipError_tPvRmT2_T3_T4_T5_mT6_T7_P12ihipStream_tbENKUlT_T0_E_clISt17integral_constantIbLb1EESZ_EEDaSU_SV_EUlSU_E_NS1_11comp_targetILNS1_3genE3ELNS1_11target_archE908ELNS1_3gpuE7ELNS1_3repE0EEENS1_30default_config_static_selectorELNS0_4arch9wavefront6targetE0EEEvT1_,comdat
.Lfunc_end330:
	.size	_ZN7rocprim17ROCPRIM_400000_NS6detail17trampoline_kernelINS0_14default_configENS1_27scan_by_key_config_selectorIssEEZZNS1_16scan_by_key_implILNS1_25lookback_scan_determinismE0ELb0ES3_N6thrust23THRUST_200600_302600_NS6detail15normal_iteratorINS9_10device_ptrIsEEEESE_SE_sNS9_4plusIvEENS9_8equal_toIsEEsEE10hipError_tPvRmT2_T3_T4_T5_mT6_T7_P12ihipStream_tbENKUlT_T0_E_clISt17integral_constantIbLb1EESZ_EEDaSU_SV_EUlSU_E_NS1_11comp_targetILNS1_3genE3ELNS1_11target_archE908ELNS1_3gpuE7ELNS1_3repE0EEENS1_30default_config_static_selectorELNS0_4arch9wavefront6targetE0EEEvT1_, .Lfunc_end330-_ZN7rocprim17ROCPRIM_400000_NS6detail17trampoline_kernelINS0_14default_configENS1_27scan_by_key_config_selectorIssEEZZNS1_16scan_by_key_implILNS1_25lookback_scan_determinismE0ELb0ES3_N6thrust23THRUST_200600_302600_NS6detail15normal_iteratorINS9_10device_ptrIsEEEESE_SE_sNS9_4plusIvEENS9_8equal_toIsEEsEE10hipError_tPvRmT2_T3_T4_T5_mT6_T7_P12ihipStream_tbENKUlT_T0_E_clISt17integral_constantIbLb1EESZ_EEDaSU_SV_EUlSU_E_NS1_11comp_targetILNS1_3genE3ELNS1_11target_archE908ELNS1_3gpuE7ELNS1_3repE0EEENS1_30default_config_static_selectorELNS0_4arch9wavefront6targetE0EEEvT1_
                                        ; -- End function
	.set _ZN7rocprim17ROCPRIM_400000_NS6detail17trampoline_kernelINS0_14default_configENS1_27scan_by_key_config_selectorIssEEZZNS1_16scan_by_key_implILNS1_25lookback_scan_determinismE0ELb0ES3_N6thrust23THRUST_200600_302600_NS6detail15normal_iteratorINS9_10device_ptrIsEEEESE_SE_sNS9_4plusIvEENS9_8equal_toIsEEsEE10hipError_tPvRmT2_T3_T4_T5_mT6_T7_P12ihipStream_tbENKUlT_T0_E_clISt17integral_constantIbLb1EESZ_EEDaSU_SV_EUlSU_E_NS1_11comp_targetILNS1_3genE3ELNS1_11target_archE908ELNS1_3gpuE7ELNS1_3repE0EEENS1_30default_config_static_selectorELNS0_4arch9wavefront6targetE0EEEvT1_.num_vgpr, 0
	.set _ZN7rocprim17ROCPRIM_400000_NS6detail17trampoline_kernelINS0_14default_configENS1_27scan_by_key_config_selectorIssEEZZNS1_16scan_by_key_implILNS1_25lookback_scan_determinismE0ELb0ES3_N6thrust23THRUST_200600_302600_NS6detail15normal_iteratorINS9_10device_ptrIsEEEESE_SE_sNS9_4plusIvEENS9_8equal_toIsEEsEE10hipError_tPvRmT2_T3_T4_T5_mT6_T7_P12ihipStream_tbENKUlT_T0_E_clISt17integral_constantIbLb1EESZ_EEDaSU_SV_EUlSU_E_NS1_11comp_targetILNS1_3genE3ELNS1_11target_archE908ELNS1_3gpuE7ELNS1_3repE0EEENS1_30default_config_static_selectorELNS0_4arch9wavefront6targetE0EEEvT1_.num_agpr, 0
	.set _ZN7rocprim17ROCPRIM_400000_NS6detail17trampoline_kernelINS0_14default_configENS1_27scan_by_key_config_selectorIssEEZZNS1_16scan_by_key_implILNS1_25lookback_scan_determinismE0ELb0ES3_N6thrust23THRUST_200600_302600_NS6detail15normal_iteratorINS9_10device_ptrIsEEEESE_SE_sNS9_4plusIvEENS9_8equal_toIsEEsEE10hipError_tPvRmT2_T3_T4_T5_mT6_T7_P12ihipStream_tbENKUlT_T0_E_clISt17integral_constantIbLb1EESZ_EEDaSU_SV_EUlSU_E_NS1_11comp_targetILNS1_3genE3ELNS1_11target_archE908ELNS1_3gpuE7ELNS1_3repE0EEENS1_30default_config_static_selectorELNS0_4arch9wavefront6targetE0EEEvT1_.numbered_sgpr, 0
	.set _ZN7rocprim17ROCPRIM_400000_NS6detail17trampoline_kernelINS0_14default_configENS1_27scan_by_key_config_selectorIssEEZZNS1_16scan_by_key_implILNS1_25lookback_scan_determinismE0ELb0ES3_N6thrust23THRUST_200600_302600_NS6detail15normal_iteratorINS9_10device_ptrIsEEEESE_SE_sNS9_4plusIvEENS9_8equal_toIsEEsEE10hipError_tPvRmT2_T3_T4_T5_mT6_T7_P12ihipStream_tbENKUlT_T0_E_clISt17integral_constantIbLb1EESZ_EEDaSU_SV_EUlSU_E_NS1_11comp_targetILNS1_3genE3ELNS1_11target_archE908ELNS1_3gpuE7ELNS1_3repE0EEENS1_30default_config_static_selectorELNS0_4arch9wavefront6targetE0EEEvT1_.num_named_barrier, 0
	.set _ZN7rocprim17ROCPRIM_400000_NS6detail17trampoline_kernelINS0_14default_configENS1_27scan_by_key_config_selectorIssEEZZNS1_16scan_by_key_implILNS1_25lookback_scan_determinismE0ELb0ES3_N6thrust23THRUST_200600_302600_NS6detail15normal_iteratorINS9_10device_ptrIsEEEESE_SE_sNS9_4plusIvEENS9_8equal_toIsEEsEE10hipError_tPvRmT2_T3_T4_T5_mT6_T7_P12ihipStream_tbENKUlT_T0_E_clISt17integral_constantIbLb1EESZ_EEDaSU_SV_EUlSU_E_NS1_11comp_targetILNS1_3genE3ELNS1_11target_archE908ELNS1_3gpuE7ELNS1_3repE0EEENS1_30default_config_static_selectorELNS0_4arch9wavefront6targetE0EEEvT1_.private_seg_size, 0
	.set _ZN7rocprim17ROCPRIM_400000_NS6detail17trampoline_kernelINS0_14default_configENS1_27scan_by_key_config_selectorIssEEZZNS1_16scan_by_key_implILNS1_25lookback_scan_determinismE0ELb0ES3_N6thrust23THRUST_200600_302600_NS6detail15normal_iteratorINS9_10device_ptrIsEEEESE_SE_sNS9_4plusIvEENS9_8equal_toIsEEsEE10hipError_tPvRmT2_T3_T4_T5_mT6_T7_P12ihipStream_tbENKUlT_T0_E_clISt17integral_constantIbLb1EESZ_EEDaSU_SV_EUlSU_E_NS1_11comp_targetILNS1_3genE3ELNS1_11target_archE908ELNS1_3gpuE7ELNS1_3repE0EEENS1_30default_config_static_selectorELNS0_4arch9wavefront6targetE0EEEvT1_.uses_vcc, 0
	.set _ZN7rocprim17ROCPRIM_400000_NS6detail17trampoline_kernelINS0_14default_configENS1_27scan_by_key_config_selectorIssEEZZNS1_16scan_by_key_implILNS1_25lookback_scan_determinismE0ELb0ES3_N6thrust23THRUST_200600_302600_NS6detail15normal_iteratorINS9_10device_ptrIsEEEESE_SE_sNS9_4plusIvEENS9_8equal_toIsEEsEE10hipError_tPvRmT2_T3_T4_T5_mT6_T7_P12ihipStream_tbENKUlT_T0_E_clISt17integral_constantIbLb1EESZ_EEDaSU_SV_EUlSU_E_NS1_11comp_targetILNS1_3genE3ELNS1_11target_archE908ELNS1_3gpuE7ELNS1_3repE0EEENS1_30default_config_static_selectorELNS0_4arch9wavefront6targetE0EEEvT1_.uses_flat_scratch, 0
	.set _ZN7rocprim17ROCPRIM_400000_NS6detail17trampoline_kernelINS0_14default_configENS1_27scan_by_key_config_selectorIssEEZZNS1_16scan_by_key_implILNS1_25lookback_scan_determinismE0ELb0ES3_N6thrust23THRUST_200600_302600_NS6detail15normal_iteratorINS9_10device_ptrIsEEEESE_SE_sNS9_4plusIvEENS9_8equal_toIsEEsEE10hipError_tPvRmT2_T3_T4_T5_mT6_T7_P12ihipStream_tbENKUlT_T0_E_clISt17integral_constantIbLb1EESZ_EEDaSU_SV_EUlSU_E_NS1_11comp_targetILNS1_3genE3ELNS1_11target_archE908ELNS1_3gpuE7ELNS1_3repE0EEENS1_30default_config_static_selectorELNS0_4arch9wavefront6targetE0EEEvT1_.has_dyn_sized_stack, 0
	.set _ZN7rocprim17ROCPRIM_400000_NS6detail17trampoline_kernelINS0_14default_configENS1_27scan_by_key_config_selectorIssEEZZNS1_16scan_by_key_implILNS1_25lookback_scan_determinismE0ELb0ES3_N6thrust23THRUST_200600_302600_NS6detail15normal_iteratorINS9_10device_ptrIsEEEESE_SE_sNS9_4plusIvEENS9_8equal_toIsEEsEE10hipError_tPvRmT2_T3_T4_T5_mT6_T7_P12ihipStream_tbENKUlT_T0_E_clISt17integral_constantIbLb1EESZ_EEDaSU_SV_EUlSU_E_NS1_11comp_targetILNS1_3genE3ELNS1_11target_archE908ELNS1_3gpuE7ELNS1_3repE0EEENS1_30default_config_static_selectorELNS0_4arch9wavefront6targetE0EEEvT1_.has_recursion, 0
	.set _ZN7rocprim17ROCPRIM_400000_NS6detail17trampoline_kernelINS0_14default_configENS1_27scan_by_key_config_selectorIssEEZZNS1_16scan_by_key_implILNS1_25lookback_scan_determinismE0ELb0ES3_N6thrust23THRUST_200600_302600_NS6detail15normal_iteratorINS9_10device_ptrIsEEEESE_SE_sNS9_4plusIvEENS9_8equal_toIsEEsEE10hipError_tPvRmT2_T3_T4_T5_mT6_T7_P12ihipStream_tbENKUlT_T0_E_clISt17integral_constantIbLb1EESZ_EEDaSU_SV_EUlSU_E_NS1_11comp_targetILNS1_3genE3ELNS1_11target_archE908ELNS1_3gpuE7ELNS1_3repE0EEENS1_30default_config_static_selectorELNS0_4arch9wavefront6targetE0EEEvT1_.has_indirect_call, 0
	.section	.AMDGPU.csdata,"",@progbits
; Kernel info:
; codeLenInByte = 0
; TotalNumSgprs: 0
; NumVgprs: 0
; ScratchSize: 0
; MemoryBound: 0
; FloatMode: 240
; IeeeMode: 1
; LDSByteSize: 0 bytes/workgroup (compile time only)
; SGPRBlocks: 0
; VGPRBlocks: 0
; NumSGPRsForWavesPerEU: 1
; NumVGPRsForWavesPerEU: 1
; Occupancy: 16
; WaveLimiterHint : 0
; COMPUTE_PGM_RSRC2:SCRATCH_EN: 0
; COMPUTE_PGM_RSRC2:USER_SGPR: 6
; COMPUTE_PGM_RSRC2:TRAP_HANDLER: 0
; COMPUTE_PGM_RSRC2:TGID_X_EN: 1
; COMPUTE_PGM_RSRC2:TGID_Y_EN: 0
; COMPUTE_PGM_RSRC2:TGID_Z_EN: 0
; COMPUTE_PGM_RSRC2:TIDIG_COMP_CNT: 0
	.section	.text._ZN7rocprim17ROCPRIM_400000_NS6detail17trampoline_kernelINS0_14default_configENS1_27scan_by_key_config_selectorIssEEZZNS1_16scan_by_key_implILNS1_25lookback_scan_determinismE0ELb0ES3_N6thrust23THRUST_200600_302600_NS6detail15normal_iteratorINS9_10device_ptrIsEEEESE_SE_sNS9_4plusIvEENS9_8equal_toIsEEsEE10hipError_tPvRmT2_T3_T4_T5_mT6_T7_P12ihipStream_tbENKUlT_T0_E_clISt17integral_constantIbLb1EESZ_EEDaSU_SV_EUlSU_E_NS1_11comp_targetILNS1_3genE2ELNS1_11target_archE906ELNS1_3gpuE6ELNS1_3repE0EEENS1_30default_config_static_selectorELNS0_4arch9wavefront6targetE0EEEvT1_,"axG",@progbits,_ZN7rocprim17ROCPRIM_400000_NS6detail17trampoline_kernelINS0_14default_configENS1_27scan_by_key_config_selectorIssEEZZNS1_16scan_by_key_implILNS1_25lookback_scan_determinismE0ELb0ES3_N6thrust23THRUST_200600_302600_NS6detail15normal_iteratorINS9_10device_ptrIsEEEESE_SE_sNS9_4plusIvEENS9_8equal_toIsEEsEE10hipError_tPvRmT2_T3_T4_T5_mT6_T7_P12ihipStream_tbENKUlT_T0_E_clISt17integral_constantIbLb1EESZ_EEDaSU_SV_EUlSU_E_NS1_11comp_targetILNS1_3genE2ELNS1_11target_archE906ELNS1_3gpuE6ELNS1_3repE0EEENS1_30default_config_static_selectorELNS0_4arch9wavefront6targetE0EEEvT1_,comdat
	.protected	_ZN7rocprim17ROCPRIM_400000_NS6detail17trampoline_kernelINS0_14default_configENS1_27scan_by_key_config_selectorIssEEZZNS1_16scan_by_key_implILNS1_25lookback_scan_determinismE0ELb0ES3_N6thrust23THRUST_200600_302600_NS6detail15normal_iteratorINS9_10device_ptrIsEEEESE_SE_sNS9_4plusIvEENS9_8equal_toIsEEsEE10hipError_tPvRmT2_T3_T4_T5_mT6_T7_P12ihipStream_tbENKUlT_T0_E_clISt17integral_constantIbLb1EESZ_EEDaSU_SV_EUlSU_E_NS1_11comp_targetILNS1_3genE2ELNS1_11target_archE906ELNS1_3gpuE6ELNS1_3repE0EEENS1_30default_config_static_selectorELNS0_4arch9wavefront6targetE0EEEvT1_ ; -- Begin function _ZN7rocprim17ROCPRIM_400000_NS6detail17trampoline_kernelINS0_14default_configENS1_27scan_by_key_config_selectorIssEEZZNS1_16scan_by_key_implILNS1_25lookback_scan_determinismE0ELb0ES3_N6thrust23THRUST_200600_302600_NS6detail15normal_iteratorINS9_10device_ptrIsEEEESE_SE_sNS9_4plusIvEENS9_8equal_toIsEEsEE10hipError_tPvRmT2_T3_T4_T5_mT6_T7_P12ihipStream_tbENKUlT_T0_E_clISt17integral_constantIbLb1EESZ_EEDaSU_SV_EUlSU_E_NS1_11comp_targetILNS1_3genE2ELNS1_11target_archE906ELNS1_3gpuE6ELNS1_3repE0EEENS1_30default_config_static_selectorELNS0_4arch9wavefront6targetE0EEEvT1_
	.globl	_ZN7rocprim17ROCPRIM_400000_NS6detail17trampoline_kernelINS0_14default_configENS1_27scan_by_key_config_selectorIssEEZZNS1_16scan_by_key_implILNS1_25lookback_scan_determinismE0ELb0ES3_N6thrust23THRUST_200600_302600_NS6detail15normal_iteratorINS9_10device_ptrIsEEEESE_SE_sNS9_4plusIvEENS9_8equal_toIsEEsEE10hipError_tPvRmT2_T3_T4_T5_mT6_T7_P12ihipStream_tbENKUlT_T0_E_clISt17integral_constantIbLb1EESZ_EEDaSU_SV_EUlSU_E_NS1_11comp_targetILNS1_3genE2ELNS1_11target_archE906ELNS1_3gpuE6ELNS1_3repE0EEENS1_30default_config_static_selectorELNS0_4arch9wavefront6targetE0EEEvT1_
	.p2align	8
	.type	_ZN7rocprim17ROCPRIM_400000_NS6detail17trampoline_kernelINS0_14default_configENS1_27scan_by_key_config_selectorIssEEZZNS1_16scan_by_key_implILNS1_25lookback_scan_determinismE0ELb0ES3_N6thrust23THRUST_200600_302600_NS6detail15normal_iteratorINS9_10device_ptrIsEEEESE_SE_sNS9_4plusIvEENS9_8equal_toIsEEsEE10hipError_tPvRmT2_T3_T4_T5_mT6_T7_P12ihipStream_tbENKUlT_T0_E_clISt17integral_constantIbLb1EESZ_EEDaSU_SV_EUlSU_E_NS1_11comp_targetILNS1_3genE2ELNS1_11target_archE906ELNS1_3gpuE6ELNS1_3repE0EEENS1_30default_config_static_selectorELNS0_4arch9wavefront6targetE0EEEvT1_,@function
_ZN7rocprim17ROCPRIM_400000_NS6detail17trampoline_kernelINS0_14default_configENS1_27scan_by_key_config_selectorIssEEZZNS1_16scan_by_key_implILNS1_25lookback_scan_determinismE0ELb0ES3_N6thrust23THRUST_200600_302600_NS6detail15normal_iteratorINS9_10device_ptrIsEEEESE_SE_sNS9_4plusIvEENS9_8equal_toIsEEsEE10hipError_tPvRmT2_T3_T4_T5_mT6_T7_P12ihipStream_tbENKUlT_T0_E_clISt17integral_constantIbLb1EESZ_EEDaSU_SV_EUlSU_E_NS1_11comp_targetILNS1_3genE2ELNS1_11target_archE906ELNS1_3gpuE6ELNS1_3repE0EEENS1_30default_config_static_selectorELNS0_4arch9wavefront6targetE0EEEvT1_: ; @_ZN7rocprim17ROCPRIM_400000_NS6detail17trampoline_kernelINS0_14default_configENS1_27scan_by_key_config_selectorIssEEZZNS1_16scan_by_key_implILNS1_25lookback_scan_determinismE0ELb0ES3_N6thrust23THRUST_200600_302600_NS6detail15normal_iteratorINS9_10device_ptrIsEEEESE_SE_sNS9_4plusIvEENS9_8equal_toIsEEsEE10hipError_tPvRmT2_T3_T4_T5_mT6_T7_P12ihipStream_tbENKUlT_T0_E_clISt17integral_constantIbLb1EESZ_EEDaSU_SV_EUlSU_E_NS1_11comp_targetILNS1_3genE2ELNS1_11target_archE906ELNS1_3gpuE6ELNS1_3repE0EEENS1_30default_config_static_selectorELNS0_4arch9wavefront6targetE0EEEvT1_
; %bb.0:
	.section	.rodata,"a",@progbits
	.p2align	6, 0x0
	.amdhsa_kernel _ZN7rocprim17ROCPRIM_400000_NS6detail17trampoline_kernelINS0_14default_configENS1_27scan_by_key_config_selectorIssEEZZNS1_16scan_by_key_implILNS1_25lookback_scan_determinismE0ELb0ES3_N6thrust23THRUST_200600_302600_NS6detail15normal_iteratorINS9_10device_ptrIsEEEESE_SE_sNS9_4plusIvEENS9_8equal_toIsEEsEE10hipError_tPvRmT2_T3_T4_T5_mT6_T7_P12ihipStream_tbENKUlT_T0_E_clISt17integral_constantIbLb1EESZ_EEDaSU_SV_EUlSU_E_NS1_11comp_targetILNS1_3genE2ELNS1_11target_archE906ELNS1_3gpuE6ELNS1_3repE0EEENS1_30default_config_static_selectorELNS0_4arch9wavefront6targetE0EEEvT1_
		.amdhsa_group_segment_fixed_size 0
		.amdhsa_private_segment_fixed_size 0
		.amdhsa_kernarg_size 112
		.amdhsa_user_sgpr_count 6
		.amdhsa_user_sgpr_private_segment_buffer 1
		.amdhsa_user_sgpr_dispatch_ptr 0
		.amdhsa_user_sgpr_queue_ptr 0
		.amdhsa_user_sgpr_kernarg_segment_ptr 1
		.amdhsa_user_sgpr_dispatch_id 0
		.amdhsa_user_sgpr_flat_scratch_init 0
		.amdhsa_user_sgpr_private_segment_size 0
		.amdhsa_wavefront_size32 1
		.amdhsa_uses_dynamic_stack 0
		.amdhsa_system_sgpr_private_segment_wavefront_offset 0
		.amdhsa_system_sgpr_workgroup_id_x 1
		.amdhsa_system_sgpr_workgroup_id_y 0
		.amdhsa_system_sgpr_workgroup_id_z 0
		.amdhsa_system_sgpr_workgroup_info 0
		.amdhsa_system_vgpr_workitem_id 0
		.amdhsa_next_free_vgpr 1
		.amdhsa_next_free_sgpr 1
		.amdhsa_reserve_vcc 0
		.amdhsa_reserve_flat_scratch 0
		.amdhsa_float_round_mode_32 0
		.amdhsa_float_round_mode_16_64 0
		.amdhsa_float_denorm_mode_32 3
		.amdhsa_float_denorm_mode_16_64 3
		.amdhsa_dx10_clamp 1
		.amdhsa_ieee_mode 1
		.amdhsa_fp16_overflow 0
		.amdhsa_workgroup_processor_mode 1
		.amdhsa_memory_ordered 1
		.amdhsa_forward_progress 1
		.amdhsa_shared_vgpr_count 0
		.amdhsa_exception_fp_ieee_invalid_op 0
		.amdhsa_exception_fp_denorm_src 0
		.amdhsa_exception_fp_ieee_div_zero 0
		.amdhsa_exception_fp_ieee_overflow 0
		.amdhsa_exception_fp_ieee_underflow 0
		.amdhsa_exception_fp_ieee_inexact 0
		.amdhsa_exception_int_div_zero 0
	.end_amdhsa_kernel
	.section	.text._ZN7rocprim17ROCPRIM_400000_NS6detail17trampoline_kernelINS0_14default_configENS1_27scan_by_key_config_selectorIssEEZZNS1_16scan_by_key_implILNS1_25lookback_scan_determinismE0ELb0ES3_N6thrust23THRUST_200600_302600_NS6detail15normal_iteratorINS9_10device_ptrIsEEEESE_SE_sNS9_4plusIvEENS9_8equal_toIsEEsEE10hipError_tPvRmT2_T3_T4_T5_mT6_T7_P12ihipStream_tbENKUlT_T0_E_clISt17integral_constantIbLb1EESZ_EEDaSU_SV_EUlSU_E_NS1_11comp_targetILNS1_3genE2ELNS1_11target_archE906ELNS1_3gpuE6ELNS1_3repE0EEENS1_30default_config_static_selectorELNS0_4arch9wavefront6targetE0EEEvT1_,"axG",@progbits,_ZN7rocprim17ROCPRIM_400000_NS6detail17trampoline_kernelINS0_14default_configENS1_27scan_by_key_config_selectorIssEEZZNS1_16scan_by_key_implILNS1_25lookback_scan_determinismE0ELb0ES3_N6thrust23THRUST_200600_302600_NS6detail15normal_iteratorINS9_10device_ptrIsEEEESE_SE_sNS9_4plusIvEENS9_8equal_toIsEEsEE10hipError_tPvRmT2_T3_T4_T5_mT6_T7_P12ihipStream_tbENKUlT_T0_E_clISt17integral_constantIbLb1EESZ_EEDaSU_SV_EUlSU_E_NS1_11comp_targetILNS1_3genE2ELNS1_11target_archE906ELNS1_3gpuE6ELNS1_3repE0EEENS1_30default_config_static_selectorELNS0_4arch9wavefront6targetE0EEEvT1_,comdat
.Lfunc_end331:
	.size	_ZN7rocprim17ROCPRIM_400000_NS6detail17trampoline_kernelINS0_14default_configENS1_27scan_by_key_config_selectorIssEEZZNS1_16scan_by_key_implILNS1_25lookback_scan_determinismE0ELb0ES3_N6thrust23THRUST_200600_302600_NS6detail15normal_iteratorINS9_10device_ptrIsEEEESE_SE_sNS9_4plusIvEENS9_8equal_toIsEEsEE10hipError_tPvRmT2_T3_T4_T5_mT6_T7_P12ihipStream_tbENKUlT_T0_E_clISt17integral_constantIbLb1EESZ_EEDaSU_SV_EUlSU_E_NS1_11comp_targetILNS1_3genE2ELNS1_11target_archE906ELNS1_3gpuE6ELNS1_3repE0EEENS1_30default_config_static_selectorELNS0_4arch9wavefront6targetE0EEEvT1_, .Lfunc_end331-_ZN7rocprim17ROCPRIM_400000_NS6detail17trampoline_kernelINS0_14default_configENS1_27scan_by_key_config_selectorIssEEZZNS1_16scan_by_key_implILNS1_25lookback_scan_determinismE0ELb0ES3_N6thrust23THRUST_200600_302600_NS6detail15normal_iteratorINS9_10device_ptrIsEEEESE_SE_sNS9_4plusIvEENS9_8equal_toIsEEsEE10hipError_tPvRmT2_T3_T4_T5_mT6_T7_P12ihipStream_tbENKUlT_T0_E_clISt17integral_constantIbLb1EESZ_EEDaSU_SV_EUlSU_E_NS1_11comp_targetILNS1_3genE2ELNS1_11target_archE906ELNS1_3gpuE6ELNS1_3repE0EEENS1_30default_config_static_selectorELNS0_4arch9wavefront6targetE0EEEvT1_
                                        ; -- End function
	.set _ZN7rocprim17ROCPRIM_400000_NS6detail17trampoline_kernelINS0_14default_configENS1_27scan_by_key_config_selectorIssEEZZNS1_16scan_by_key_implILNS1_25lookback_scan_determinismE0ELb0ES3_N6thrust23THRUST_200600_302600_NS6detail15normal_iteratorINS9_10device_ptrIsEEEESE_SE_sNS9_4plusIvEENS9_8equal_toIsEEsEE10hipError_tPvRmT2_T3_T4_T5_mT6_T7_P12ihipStream_tbENKUlT_T0_E_clISt17integral_constantIbLb1EESZ_EEDaSU_SV_EUlSU_E_NS1_11comp_targetILNS1_3genE2ELNS1_11target_archE906ELNS1_3gpuE6ELNS1_3repE0EEENS1_30default_config_static_selectorELNS0_4arch9wavefront6targetE0EEEvT1_.num_vgpr, 0
	.set _ZN7rocprim17ROCPRIM_400000_NS6detail17trampoline_kernelINS0_14default_configENS1_27scan_by_key_config_selectorIssEEZZNS1_16scan_by_key_implILNS1_25lookback_scan_determinismE0ELb0ES3_N6thrust23THRUST_200600_302600_NS6detail15normal_iteratorINS9_10device_ptrIsEEEESE_SE_sNS9_4plusIvEENS9_8equal_toIsEEsEE10hipError_tPvRmT2_T3_T4_T5_mT6_T7_P12ihipStream_tbENKUlT_T0_E_clISt17integral_constantIbLb1EESZ_EEDaSU_SV_EUlSU_E_NS1_11comp_targetILNS1_3genE2ELNS1_11target_archE906ELNS1_3gpuE6ELNS1_3repE0EEENS1_30default_config_static_selectorELNS0_4arch9wavefront6targetE0EEEvT1_.num_agpr, 0
	.set _ZN7rocprim17ROCPRIM_400000_NS6detail17trampoline_kernelINS0_14default_configENS1_27scan_by_key_config_selectorIssEEZZNS1_16scan_by_key_implILNS1_25lookback_scan_determinismE0ELb0ES3_N6thrust23THRUST_200600_302600_NS6detail15normal_iteratorINS9_10device_ptrIsEEEESE_SE_sNS9_4plusIvEENS9_8equal_toIsEEsEE10hipError_tPvRmT2_T3_T4_T5_mT6_T7_P12ihipStream_tbENKUlT_T0_E_clISt17integral_constantIbLb1EESZ_EEDaSU_SV_EUlSU_E_NS1_11comp_targetILNS1_3genE2ELNS1_11target_archE906ELNS1_3gpuE6ELNS1_3repE0EEENS1_30default_config_static_selectorELNS0_4arch9wavefront6targetE0EEEvT1_.numbered_sgpr, 0
	.set _ZN7rocprim17ROCPRIM_400000_NS6detail17trampoline_kernelINS0_14default_configENS1_27scan_by_key_config_selectorIssEEZZNS1_16scan_by_key_implILNS1_25lookback_scan_determinismE0ELb0ES3_N6thrust23THRUST_200600_302600_NS6detail15normal_iteratorINS9_10device_ptrIsEEEESE_SE_sNS9_4plusIvEENS9_8equal_toIsEEsEE10hipError_tPvRmT2_T3_T4_T5_mT6_T7_P12ihipStream_tbENKUlT_T0_E_clISt17integral_constantIbLb1EESZ_EEDaSU_SV_EUlSU_E_NS1_11comp_targetILNS1_3genE2ELNS1_11target_archE906ELNS1_3gpuE6ELNS1_3repE0EEENS1_30default_config_static_selectorELNS0_4arch9wavefront6targetE0EEEvT1_.num_named_barrier, 0
	.set _ZN7rocprim17ROCPRIM_400000_NS6detail17trampoline_kernelINS0_14default_configENS1_27scan_by_key_config_selectorIssEEZZNS1_16scan_by_key_implILNS1_25lookback_scan_determinismE0ELb0ES3_N6thrust23THRUST_200600_302600_NS6detail15normal_iteratorINS9_10device_ptrIsEEEESE_SE_sNS9_4plusIvEENS9_8equal_toIsEEsEE10hipError_tPvRmT2_T3_T4_T5_mT6_T7_P12ihipStream_tbENKUlT_T0_E_clISt17integral_constantIbLb1EESZ_EEDaSU_SV_EUlSU_E_NS1_11comp_targetILNS1_3genE2ELNS1_11target_archE906ELNS1_3gpuE6ELNS1_3repE0EEENS1_30default_config_static_selectorELNS0_4arch9wavefront6targetE0EEEvT1_.private_seg_size, 0
	.set _ZN7rocprim17ROCPRIM_400000_NS6detail17trampoline_kernelINS0_14default_configENS1_27scan_by_key_config_selectorIssEEZZNS1_16scan_by_key_implILNS1_25lookback_scan_determinismE0ELb0ES3_N6thrust23THRUST_200600_302600_NS6detail15normal_iteratorINS9_10device_ptrIsEEEESE_SE_sNS9_4plusIvEENS9_8equal_toIsEEsEE10hipError_tPvRmT2_T3_T4_T5_mT6_T7_P12ihipStream_tbENKUlT_T0_E_clISt17integral_constantIbLb1EESZ_EEDaSU_SV_EUlSU_E_NS1_11comp_targetILNS1_3genE2ELNS1_11target_archE906ELNS1_3gpuE6ELNS1_3repE0EEENS1_30default_config_static_selectorELNS0_4arch9wavefront6targetE0EEEvT1_.uses_vcc, 0
	.set _ZN7rocprim17ROCPRIM_400000_NS6detail17trampoline_kernelINS0_14default_configENS1_27scan_by_key_config_selectorIssEEZZNS1_16scan_by_key_implILNS1_25lookback_scan_determinismE0ELb0ES3_N6thrust23THRUST_200600_302600_NS6detail15normal_iteratorINS9_10device_ptrIsEEEESE_SE_sNS9_4plusIvEENS9_8equal_toIsEEsEE10hipError_tPvRmT2_T3_T4_T5_mT6_T7_P12ihipStream_tbENKUlT_T0_E_clISt17integral_constantIbLb1EESZ_EEDaSU_SV_EUlSU_E_NS1_11comp_targetILNS1_3genE2ELNS1_11target_archE906ELNS1_3gpuE6ELNS1_3repE0EEENS1_30default_config_static_selectorELNS0_4arch9wavefront6targetE0EEEvT1_.uses_flat_scratch, 0
	.set _ZN7rocprim17ROCPRIM_400000_NS6detail17trampoline_kernelINS0_14default_configENS1_27scan_by_key_config_selectorIssEEZZNS1_16scan_by_key_implILNS1_25lookback_scan_determinismE0ELb0ES3_N6thrust23THRUST_200600_302600_NS6detail15normal_iteratorINS9_10device_ptrIsEEEESE_SE_sNS9_4plusIvEENS9_8equal_toIsEEsEE10hipError_tPvRmT2_T3_T4_T5_mT6_T7_P12ihipStream_tbENKUlT_T0_E_clISt17integral_constantIbLb1EESZ_EEDaSU_SV_EUlSU_E_NS1_11comp_targetILNS1_3genE2ELNS1_11target_archE906ELNS1_3gpuE6ELNS1_3repE0EEENS1_30default_config_static_selectorELNS0_4arch9wavefront6targetE0EEEvT1_.has_dyn_sized_stack, 0
	.set _ZN7rocprim17ROCPRIM_400000_NS6detail17trampoline_kernelINS0_14default_configENS1_27scan_by_key_config_selectorIssEEZZNS1_16scan_by_key_implILNS1_25lookback_scan_determinismE0ELb0ES3_N6thrust23THRUST_200600_302600_NS6detail15normal_iteratorINS9_10device_ptrIsEEEESE_SE_sNS9_4plusIvEENS9_8equal_toIsEEsEE10hipError_tPvRmT2_T3_T4_T5_mT6_T7_P12ihipStream_tbENKUlT_T0_E_clISt17integral_constantIbLb1EESZ_EEDaSU_SV_EUlSU_E_NS1_11comp_targetILNS1_3genE2ELNS1_11target_archE906ELNS1_3gpuE6ELNS1_3repE0EEENS1_30default_config_static_selectorELNS0_4arch9wavefront6targetE0EEEvT1_.has_recursion, 0
	.set _ZN7rocprim17ROCPRIM_400000_NS6detail17trampoline_kernelINS0_14default_configENS1_27scan_by_key_config_selectorIssEEZZNS1_16scan_by_key_implILNS1_25lookback_scan_determinismE0ELb0ES3_N6thrust23THRUST_200600_302600_NS6detail15normal_iteratorINS9_10device_ptrIsEEEESE_SE_sNS9_4plusIvEENS9_8equal_toIsEEsEE10hipError_tPvRmT2_T3_T4_T5_mT6_T7_P12ihipStream_tbENKUlT_T0_E_clISt17integral_constantIbLb1EESZ_EEDaSU_SV_EUlSU_E_NS1_11comp_targetILNS1_3genE2ELNS1_11target_archE906ELNS1_3gpuE6ELNS1_3repE0EEENS1_30default_config_static_selectorELNS0_4arch9wavefront6targetE0EEEvT1_.has_indirect_call, 0
	.section	.AMDGPU.csdata,"",@progbits
; Kernel info:
; codeLenInByte = 0
; TotalNumSgprs: 0
; NumVgprs: 0
; ScratchSize: 0
; MemoryBound: 0
; FloatMode: 240
; IeeeMode: 1
; LDSByteSize: 0 bytes/workgroup (compile time only)
; SGPRBlocks: 0
; VGPRBlocks: 0
; NumSGPRsForWavesPerEU: 1
; NumVGPRsForWavesPerEU: 1
; Occupancy: 16
; WaveLimiterHint : 0
; COMPUTE_PGM_RSRC2:SCRATCH_EN: 0
; COMPUTE_PGM_RSRC2:USER_SGPR: 6
; COMPUTE_PGM_RSRC2:TRAP_HANDLER: 0
; COMPUTE_PGM_RSRC2:TGID_X_EN: 1
; COMPUTE_PGM_RSRC2:TGID_Y_EN: 0
; COMPUTE_PGM_RSRC2:TGID_Z_EN: 0
; COMPUTE_PGM_RSRC2:TIDIG_COMP_CNT: 0
	.section	.text._ZN7rocprim17ROCPRIM_400000_NS6detail17trampoline_kernelINS0_14default_configENS1_27scan_by_key_config_selectorIssEEZZNS1_16scan_by_key_implILNS1_25lookback_scan_determinismE0ELb0ES3_N6thrust23THRUST_200600_302600_NS6detail15normal_iteratorINS9_10device_ptrIsEEEESE_SE_sNS9_4plusIvEENS9_8equal_toIsEEsEE10hipError_tPvRmT2_T3_T4_T5_mT6_T7_P12ihipStream_tbENKUlT_T0_E_clISt17integral_constantIbLb1EESZ_EEDaSU_SV_EUlSU_E_NS1_11comp_targetILNS1_3genE10ELNS1_11target_archE1200ELNS1_3gpuE4ELNS1_3repE0EEENS1_30default_config_static_selectorELNS0_4arch9wavefront6targetE0EEEvT1_,"axG",@progbits,_ZN7rocprim17ROCPRIM_400000_NS6detail17trampoline_kernelINS0_14default_configENS1_27scan_by_key_config_selectorIssEEZZNS1_16scan_by_key_implILNS1_25lookback_scan_determinismE0ELb0ES3_N6thrust23THRUST_200600_302600_NS6detail15normal_iteratorINS9_10device_ptrIsEEEESE_SE_sNS9_4plusIvEENS9_8equal_toIsEEsEE10hipError_tPvRmT2_T3_T4_T5_mT6_T7_P12ihipStream_tbENKUlT_T0_E_clISt17integral_constantIbLb1EESZ_EEDaSU_SV_EUlSU_E_NS1_11comp_targetILNS1_3genE10ELNS1_11target_archE1200ELNS1_3gpuE4ELNS1_3repE0EEENS1_30default_config_static_selectorELNS0_4arch9wavefront6targetE0EEEvT1_,comdat
	.protected	_ZN7rocprim17ROCPRIM_400000_NS6detail17trampoline_kernelINS0_14default_configENS1_27scan_by_key_config_selectorIssEEZZNS1_16scan_by_key_implILNS1_25lookback_scan_determinismE0ELb0ES3_N6thrust23THRUST_200600_302600_NS6detail15normal_iteratorINS9_10device_ptrIsEEEESE_SE_sNS9_4plusIvEENS9_8equal_toIsEEsEE10hipError_tPvRmT2_T3_T4_T5_mT6_T7_P12ihipStream_tbENKUlT_T0_E_clISt17integral_constantIbLb1EESZ_EEDaSU_SV_EUlSU_E_NS1_11comp_targetILNS1_3genE10ELNS1_11target_archE1200ELNS1_3gpuE4ELNS1_3repE0EEENS1_30default_config_static_selectorELNS0_4arch9wavefront6targetE0EEEvT1_ ; -- Begin function _ZN7rocprim17ROCPRIM_400000_NS6detail17trampoline_kernelINS0_14default_configENS1_27scan_by_key_config_selectorIssEEZZNS1_16scan_by_key_implILNS1_25lookback_scan_determinismE0ELb0ES3_N6thrust23THRUST_200600_302600_NS6detail15normal_iteratorINS9_10device_ptrIsEEEESE_SE_sNS9_4plusIvEENS9_8equal_toIsEEsEE10hipError_tPvRmT2_T3_T4_T5_mT6_T7_P12ihipStream_tbENKUlT_T0_E_clISt17integral_constantIbLb1EESZ_EEDaSU_SV_EUlSU_E_NS1_11comp_targetILNS1_3genE10ELNS1_11target_archE1200ELNS1_3gpuE4ELNS1_3repE0EEENS1_30default_config_static_selectorELNS0_4arch9wavefront6targetE0EEEvT1_
	.globl	_ZN7rocprim17ROCPRIM_400000_NS6detail17trampoline_kernelINS0_14default_configENS1_27scan_by_key_config_selectorIssEEZZNS1_16scan_by_key_implILNS1_25lookback_scan_determinismE0ELb0ES3_N6thrust23THRUST_200600_302600_NS6detail15normal_iteratorINS9_10device_ptrIsEEEESE_SE_sNS9_4plusIvEENS9_8equal_toIsEEsEE10hipError_tPvRmT2_T3_T4_T5_mT6_T7_P12ihipStream_tbENKUlT_T0_E_clISt17integral_constantIbLb1EESZ_EEDaSU_SV_EUlSU_E_NS1_11comp_targetILNS1_3genE10ELNS1_11target_archE1200ELNS1_3gpuE4ELNS1_3repE0EEENS1_30default_config_static_selectorELNS0_4arch9wavefront6targetE0EEEvT1_
	.p2align	8
	.type	_ZN7rocprim17ROCPRIM_400000_NS6detail17trampoline_kernelINS0_14default_configENS1_27scan_by_key_config_selectorIssEEZZNS1_16scan_by_key_implILNS1_25lookback_scan_determinismE0ELb0ES3_N6thrust23THRUST_200600_302600_NS6detail15normal_iteratorINS9_10device_ptrIsEEEESE_SE_sNS9_4plusIvEENS9_8equal_toIsEEsEE10hipError_tPvRmT2_T3_T4_T5_mT6_T7_P12ihipStream_tbENKUlT_T0_E_clISt17integral_constantIbLb1EESZ_EEDaSU_SV_EUlSU_E_NS1_11comp_targetILNS1_3genE10ELNS1_11target_archE1200ELNS1_3gpuE4ELNS1_3repE0EEENS1_30default_config_static_selectorELNS0_4arch9wavefront6targetE0EEEvT1_,@function
_ZN7rocprim17ROCPRIM_400000_NS6detail17trampoline_kernelINS0_14default_configENS1_27scan_by_key_config_selectorIssEEZZNS1_16scan_by_key_implILNS1_25lookback_scan_determinismE0ELb0ES3_N6thrust23THRUST_200600_302600_NS6detail15normal_iteratorINS9_10device_ptrIsEEEESE_SE_sNS9_4plusIvEENS9_8equal_toIsEEsEE10hipError_tPvRmT2_T3_T4_T5_mT6_T7_P12ihipStream_tbENKUlT_T0_E_clISt17integral_constantIbLb1EESZ_EEDaSU_SV_EUlSU_E_NS1_11comp_targetILNS1_3genE10ELNS1_11target_archE1200ELNS1_3gpuE4ELNS1_3repE0EEENS1_30default_config_static_selectorELNS0_4arch9wavefront6targetE0EEEvT1_: ; @_ZN7rocprim17ROCPRIM_400000_NS6detail17trampoline_kernelINS0_14default_configENS1_27scan_by_key_config_selectorIssEEZZNS1_16scan_by_key_implILNS1_25lookback_scan_determinismE0ELb0ES3_N6thrust23THRUST_200600_302600_NS6detail15normal_iteratorINS9_10device_ptrIsEEEESE_SE_sNS9_4plusIvEENS9_8equal_toIsEEsEE10hipError_tPvRmT2_T3_T4_T5_mT6_T7_P12ihipStream_tbENKUlT_T0_E_clISt17integral_constantIbLb1EESZ_EEDaSU_SV_EUlSU_E_NS1_11comp_targetILNS1_3genE10ELNS1_11target_archE1200ELNS1_3gpuE4ELNS1_3repE0EEENS1_30default_config_static_selectorELNS0_4arch9wavefront6targetE0EEEvT1_
; %bb.0:
	.section	.rodata,"a",@progbits
	.p2align	6, 0x0
	.amdhsa_kernel _ZN7rocprim17ROCPRIM_400000_NS6detail17trampoline_kernelINS0_14default_configENS1_27scan_by_key_config_selectorIssEEZZNS1_16scan_by_key_implILNS1_25lookback_scan_determinismE0ELb0ES3_N6thrust23THRUST_200600_302600_NS6detail15normal_iteratorINS9_10device_ptrIsEEEESE_SE_sNS9_4plusIvEENS9_8equal_toIsEEsEE10hipError_tPvRmT2_T3_T4_T5_mT6_T7_P12ihipStream_tbENKUlT_T0_E_clISt17integral_constantIbLb1EESZ_EEDaSU_SV_EUlSU_E_NS1_11comp_targetILNS1_3genE10ELNS1_11target_archE1200ELNS1_3gpuE4ELNS1_3repE0EEENS1_30default_config_static_selectorELNS0_4arch9wavefront6targetE0EEEvT1_
		.amdhsa_group_segment_fixed_size 0
		.amdhsa_private_segment_fixed_size 0
		.amdhsa_kernarg_size 112
		.amdhsa_user_sgpr_count 6
		.amdhsa_user_sgpr_private_segment_buffer 1
		.amdhsa_user_sgpr_dispatch_ptr 0
		.amdhsa_user_sgpr_queue_ptr 0
		.amdhsa_user_sgpr_kernarg_segment_ptr 1
		.amdhsa_user_sgpr_dispatch_id 0
		.amdhsa_user_sgpr_flat_scratch_init 0
		.amdhsa_user_sgpr_private_segment_size 0
		.amdhsa_wavefront_size32 1
		.amdhsa_uses_dynamic_stack 0
		.amdhsa_system_sgpr_private_segment_wavefront_offset 0
		.amdhsa_system_sgpr_workgroup_id_x 1
		.amdhsa_system_sgpr_workgroup_id_y 0
		.amdhsa_system_sgpr_workgroup_id_z 0
		.amdhsa_system_sgpr_workgroup_info 0
		.amdhsa_system_vgpr_workitem_id 0
		.amdhsa_next_free_vgpr 1
		.amdhsa_next_free_sgpr 1
		.amdhsa_reserve_vcc 0
		.amdhsa_reserve_flat_scratch 0
		.amdhsa_float_round_mode_32 0
		.amdhsa_float_round_mode_16_64 0
		.amdhsa_float_denorm_mode_32 3
		.amdhsa_float_denorm_mode_16_64 3
		.amdhsa_dx10_clamp 1
		.amdhsa_ieee_mode 1
		.amdhsa_fp16_overflow 0
		.amdhsa_workgroup_processor_mode 1
		.amdhsa_memory_ordered 1
		.amdhsa_forward_progress 1
		.amdhsa_shared_vgpr_count 0
		.amdhsa_exception_fp_ieee_invalid_op 0
		.amdhsa_exception_fp_denorm_src 0
		.amdhsa_exception_fp_ieee_div_zero 0
		.amdhsa_exception_fp_ieee_overflow 0
		.amdhsa_exception_fp_ieee_underflow 0
		.amdhsa_exception_fp_ieee_inexact 0
		.amdhsa_exception_int_div_zero 0
	.end_amdhsa_kernel
	.section	.text._ZN7rocprim17ROCPRIM_400000_NS6detail17trampoline_kernelINS0_14default_configENS1_27scan_by_key_config_selectorIssEEZZNS1_16scan_by_key_implILNS1_25lookback_scan_determinismE0ELb0ES3_N6thrust23THRUST_200600_302600_NS6detail15normal_iteratorINS9_10device_ptrIsEEEESE_SE_sNS9_4plusIvEENS9_8equal_toIsEEsEE10hipError_tPvRmT2_T3_T4_T5_mT6_T7_P12ihipStream_tbENKUlT_T0_E_clISt17integral_constantIbLb1EESZ_EEDaSU_SV_EUlSU_E_NS1_11comp_targetILNS1_3genE10ELNS1_11target_archE1200ELNS1_3gpuE4ELNS1_3repE0EEENS1_30default_config_static_selectorELNS0_4arch9wavefront6targetE0EEEvT1_,"axG",@progbits,_ZN7rocprim17ROCPRIM_400000_NS6detail17trampoline_kernelINS0_14default_configENS1_27scan_by_key_config_selectorIssEEZZNS1_16scan_by_key_implILNS1_25lookback_scan_determinismE0ELb0ES3_N6thrust23THRUST_200600_302600_NS6detail15normal_iteratorINS9_10device_ptrIsEEEESE_SE_sNS9_4plusIvEENS9_8equal_toIsEEsEE10hipError_tPvRmT2_T3_T4_T5_mT6_T7_P12ihipStream_tbENKUlT_T0_E_clISt17integral_constantIbLb1EESZ_EEDaSU_SV_EUlSU_E_NS1_11comp_targetILNS1_3genE10ELNS1_11target_archE1200ELNS1_3gpuE4ELNS1_3repE0EEENS1_30default_config_static_selectorELNS0_4arch9wavefront6targetE0EEEvT1_,comdat
.Lfunc_end332:
	.size	_ZN7rocprim17ROCPRIM_400000_NS6detail17trampoline_kernelINS0_14default_configENS1_27scan_by_key_config_selectorIssEEZZNS1_16scan_by_key_implILNS1_25lookback_scan_determinismE0ELb0ES3_N6thrust23THRUST_200600_302600_NS6detail15normal_iteratorINS9_10device_ptrIsEEEESE_SE_sNS9_4plusIvEENS9_8equal_toIsEEsEE10hipError_tPvRmT2_T3_T4_T5_mT6_T7_P12ihipStream_tbENKUlT_T0_E_clISt17integral_constantIbLb1EESZ_EEDaSU_SV_EUlSU_E_NS1_11comp_targetILNS1_3genE10ELNS1_11target_archE1200ELNS1_3gpuE4ELNS1_3repE0EEENS1_30default_config_static_selectorELNS0_4arch9wavefront6targetE0EEEvT1_, .Lfunc_end332-_ZN7rocprim17ROCPRIM_400000_NS6detail17trampoline_kernelINS0_14default_configENS1_27scan_by_key_config_selectorIssEEZZNS1_16scan_by_key_implILNS1_25lookback_scan_determinismE0ELb0ES3_N6thrust23THRUST_200600_302600_NS6detail15normal_iteratorINS9_10device_ptrIsEEEESE_SE_sNS9_4plusIvEENS9_8equal_toIsEEsEE10hipError_tPvRmT2_T3_T4_T5_mT6_T7_P12ihipStream_tbENKUlT_T0_E_clISt17integral_constantIbLb1EESZ_EEDaSU_SV_EUlSU_E_NS1_11comp_targetILNS1_3genE10ELNS1_11target_archE1200ELNS1_3gpuE4ELNS1_3repE0EEENS1_30default_config_static_selectorELNS0_4arch9wavefront6targetE0EEEvT1_
                                        ; -- End function
	.set _ZN7rocprim17ROCPRIM_400000_NS6detail17trampoline_kernelINS0_14default_configENS1_27scan_by_key_config_selectorIssEEZZNS1_16scan_by_key_implILNS1_25lookback_scan_determinismE0ELb0ES3_N6thrust23THRUST_200600_302600_NS6detail15normal_iteratorINS9_10device_ptrIsEEEESE_SE_sNS9_4plusIvEENS9_8equal_toIsEEsEE10hipError_tPvRmT2_T3_T4_T5_mT6_T7_P12ihipStream_tbENKUlT_T0_E_clISt17integral_constantIbLb1EESZ_EEDaSU_SV_EUlSU_E_NS1_11comp_targetILNS1_3genE10ELNS1_11target_archE1200ELNS1_3gpuE4ELNS1_3repE0EEENS1_30default_config_static_selectorELNS0_4arch9wavefront6targetE0EEEvT1_.num_vgpr, 0
	.set _ZN7rocprim17ROCPRIM_400000_NS6detail17trampoline_kernelINS0_14default_configENS1_27scan_by_key_config_selectorIssEEZZNS1_16scan_by_key_implILNS1_25lookback_scan_determinismE0ELb0ES3_N6thrust23THRUST_200600_302600_NS6detail15normal_iteratorINS9_10device_ptrIsEEEESE_SE_sNS9_4plusIvEENS9_8equal_toIsEEsEE10hipError_tPvRmT2_T3_T4_T5_mT6_T7_P12ihipStream_tbENKUlT_T0_E_clISt17integral_constantIbLb1EESZ_EEDaSU_SV_EUlSU_E_NS1_11comp_targetILNS1_3genE10ELNS1_11target_archE1200ELNS1_3gpuE4ELNS1_3repE0EEENS1_30default_config_static_selectorELNS0_4arch9wavefront6targetE0EEEvT1_.num_agpr, 0
	.set _ZN7rocprim17ROCPRIM_400000_NS6detail17trampoline_kernelINS0_14default_configENS1_27scan_by_key_config_selectorIssEEZZNS1_16scan_by_key_implILNS1_25lookback_scan_determinismE0ELb0ES3_N6thrust23THRUST_200600_302600_NS6detail15normal_iteratorINS9_10device_ptrIsEEEESE_SE_sNS9_4plusIvEENS9_8equal_toIsEEsEE10hipError_tPvRmT2_T3_T4_T5_mT6_T7_P12ihipStream_tbENKUlT_T0_E_clISt17integral_constantIbLb1EESZ_EEDaSU_SV_EUlSU_E_NS1_11comp_targetILNS1_3genE10ELNS1_11target_archE1200ELNS1_3gpuE4ELNS1_3repE0EEENS1_30default_config_static_selectorELNS0_4arch9wavefront6targetE0EEEvT1_.numbered_sgpr, 0
	.set _ZN7rocprim17ROCPRIM_400000_NS6detail17trampoline_kernelINS0_14default_configENS1_27scan_by_key_config_selectorIssEEZZNS1_16scan_by_key_implILNS1_25lookback_scan_determinismE0ELb0ES3_N6thrust23THRUST_200600_302600_NS6detail15normal_iteratorINS9_10device_ptrIsEEEESE_SE_sNS9_4plusIvEENS9_8equal_toIsEEsEE10hipError_tPvRmT2_T3_T4_T5_mT6_T7_P12ihipStream_tbENKUlT_T0_E_clISt17integral_constantIbLb1EESZ_EEDaSU_SV_EUlSU_E_NS1_11comp_targetILNS1_3genE10ELNS1_11target_archE1200ELNS1_3gpuE4ELNS1_3repE0EEENS1_30default_config_static_selectorELNS0_4arch9wavefront6targetE0EEEvT1_.num_named_barrier, 0
	.set _ZN7rocprim17ROCPRIM_400000_NS6detail17trampoline_kernelINS0_14default_configENS1_27scan_by_key_config_selectorIssEEZZNS1_16scan_by_key_implILNS1_25lookback_scan_determinismE0ELb0ES3_N6thrust23THRUST_200600_302600_NS6detail15normal_iteratorINS9_10device_ptrIsEEEESE_SE_sNS9_4plusIvEENS9_8equal_toIsEEsEE10hipError_tPvRmT2_T3_T4_T5_mT6_T7_P12ihipStream_tbENKUlT_T0_E_clISt17integral_constantIbLb1EESZ_EEDaSU_SV_EUlSU_E_NS1_11comp_targetILNS1_3genE10ELNS1_11target_archE1200ELNS1_3gpuE4ELNS1_3repE0EEENS1_30default_config_static_selectorELNS0_4arch9wavefront6targetE0EEEvT1_.private_seg_size, 0
	.set _ZN7rocprim17ROCPRIM_400000_NS6detail17trampoline_kernelINS0_14default_configENS1_27scan_by_key_config_selectorIssEEZZNS1_16scan_by_key_implILNS1_25lookback_scan_determinismE0ELb0ES3_N6thrust23THRUST_200600_302600_NS6detail15normal_iteratorINS9_10device_ptrIsEEEESE_SE_sNS9_4plusIvEENS9_8equal_toIsEEsEE10hipError_tPvRmT2_T3_T4_T5_mT6_T7_P12ihipStream_tbENKUlT_T0_E_clISt17integral_constantIbLb1EESZ_EEDaSU_SV_EUlSU_E_NS1_11comp_targetILNS1_3genE10ELNS1_11target_archE1200ELNS1_3gpuE4ELNS1_3repE0EEENS1_30default_config_static_selectorELNS0_4arch9wavefront6targetE0EEEvT1_.uses_vcc, 0
	.set _ZN7rocprim17ROCPRIM_400000_NS6detail17trampoline_kernelINS0_14default_configENS1_27scan_by_key_config_selectorIssEEZZNS1_16scan_by_key_implILNS1_25lookback_scan_determinismE0ELb0ES3_N6thrust23THRUST_200600_302600_NS6detail15normal_iteratorINS9_10device_ptrIsEEEESE_SE_sNS9_4plusIvEENS9_8equal_toIsEEsEE10hipError_tPvRmT2_T3_T4_T5_mT6_T7_P12ihipStream_tbENKUlT_T0_E_clISt17integral_constantIbLb1EESZ_EEDaSU_SV_EUlSU_E_NS1_11comp_targetILNS1_3genE10ELNS1_11target_archE1200ELNS1_3gpuE4ELNS1_3repE0EEENS1_30default_config_static_selectorELNS0_4arch9wavefront6targetE0EEEvT1_.uses_flat_scratch, 0
	.set _ZN7rocprim17ROCPRIM_400000_NS6detail17trampoline_kernelINS0_14default_configENS1_27scan_by_key_config_selectorIssEEZZNS1_16scan_by_key_implILNS1_25lookback_scan_determinismE0ELb0ES3_N6thrust23THRUST_200600_302600_NS6detail15normal_iteratorINS9_10device_ptrIsEEEESE_SE_sNS9_4plusIvEENS9_8equal_toIsEEsEE10hipError_tPvRmT2_T3_T4_T5_mT6_T7_P12ihipStream_tbENKUlT_T0_E_clISt17integral_constantIbLb1EESZ_EEDaSU_SV_EUlSU_E_NS1_11comp_targetILNS1_3genE10ELNS1_11target_archE1200ELNS1_3gpuE4ELNS1_3repE0EEENS1_30default_config_static_selectorELNS0_4arch9wavefront6targetE0EEEvT1_.has_dyn_sized_stack, 0
	.set _ZN7rocprim17ROCPRIM_400000_NS6detail17trampoline_kernelINS0_14default_configENS1_27scan_by_key_config_selectorIssEEZZNS1_16scan_by_key_implILNS1_25lookback_scan_determinismE0ELb0ES3_N6thrust23THRUST_200600_302600_NS6detail15normal_iteratorINS9_10device_ptrIsEEEESE_SE_sNS9_4plusIvEENS9_8equal_toIsEEsEE10hipError_tPvRmT2_T3_T4_T5_mT6_T7_P12ihipStream_tbENKUlT_T0_E_clISt17integral_constantIbLb1EESZ_EEDaSU_SV_EUlSU_E_NS1_11comp_targetILNS1_3genE10ELNS1_11target_archE1200ELNS1_3gpuE4ELNS1_3repE0EEENS1_30default_config_static_selectorELNS0_4arch9wavefront6targetE0EEEvT1_.has_recursion, 0
	.set _ZN7rocprim17ROCPRIM_400000_NS6detail17trampoline_kernelINS0_14default_configENS1_27scan_by_key_config_selectorIssEEZZNS1_16scan_by_key_implILNS1_25lookback_scan_determinismE0ELb0ES3_N6thrust23THRUST_200600_302600_NS6detail15normal_iteratorINS9_10device_ptrIsEEEESE_SE_sNS9_4plusIvEENS9_8equal_toIsEEsEE10hipError_tPvRmT2_T3_T4_T5_mT6_T7_P12ihipStream_tbENKUlT_T0_E_clISt17integral_constantIbLb1EESZ_EEDaSU_SV_EUlSU_E_NS1_11comp_targetILNS1_3genE10ELNS1_11target_archE1200ELNS1_3gpuE4ELNS1_3repE0EEENS1_30default_config_static_selectorELNS0_4arch9wavefront6targetE0EEEvT1_.has_indirect_call, 0
	.section	.AMDGPU.csdata,"",@progbits
; Kernel info:
; codeLenInByte = 0
; TotalNumSgprs: 0
; NumVgprs: 0
; ScratchSize: 0
; MemoryBound: 0
; FloatMode: 240
; IeeeMode: 1
; LDSByteSize: 0 bytes/workgroup (compile time only)
; SGPRBlocks: 0
; VGPRBlocks: 0
; NumSGPRsForWavesPerEU: 1
; NumVGPRsForWavesPerEU: 1
; Occupancy: 16
; WaveLimiterHint : 0
; COMPUTE_PGM_RSRC2:SCRATCH_EN: 0
; COMPUTE_PGM_RSRC2:USER_SGPR: 6
; COMPUTE_PGM_RSRC2:TRAP_HANDLER: 0
; COMPUTE_PGM_RSRC2:TGID_X_EN: 1
; COMPUTE_PGM_RSRC2:TGID_Y_EN: 0
; COMPUTE_PGM_RSRC2:TGID_Z_EN: 0
; COMPUTE_PGM_RSRC2:TIDIG_COMP_CNT: 0
	.section	.text._ZN7rocprim17ROCPRIM_400000_NS6detail17trampoline_kernelINS0_14default_configENS1_27scan_by_key_config_selectorIssEEZZNS1_16scan_by_key_implILNS1_25lookback_scan_determinismE0ELb0ES3_N6thrust23THRUST_200600_302600_NS6detail15normal_iteratorINS9_10device_ptrIsEEEESE_SE_sNS9_4plusIvEENS9_8equal_toIsEEsEE10hipError_tPvRmT2_T3_T4_T5_mT6_T7_P12ihipStream_tbENKUlT_T0_E_clISt17integral_constantIbLb1EESZ_EEDaSU_SV_EUlSU_E_NS1_11comp_targetILNS1_3genE9ELNS1_11target_archE1100ELNS1_3gpuE3ELNS1_3repE0EEENS1_30default_config_static_selectorELNS0_4arch9wavefront6targetE0EEEvT1_,"axG",@progbits,_ZN7rocprim17ROCPRIM_400000_NS6detail17trampoline_kernelINS0_14default_configENS1_27scan_by_key_config_selectorIssEEZZNS1_16scan_by_key_implILNS1_25lookback_scan_determinismE0ELb0ES3_N6thrust23THRUST_200600_302600_NS6detail15normal_iteratorINS9_10device_ptrIsEEEESE_SE_sNS9_4plusIvEENS9_8equal_toIsEEsEE10hipError_tPvRmT2_T3_T4_T5_mT6_T7_P12ihipStream_tbENKUlT_T0_E_clISt17integral_constantIbLb1EESZ_EEDaSU_SV_EUlSU_E_NS1_11comp_targetILNS1_3genE9ELNS1_11target_archE1100ELNS1_3gpuE3ELNS1_3repE0EEENS1_30default_config_static_selectorELNS0_4arch9wavefront6targetE0EEEvT1_,comdat
	.protected	_ZN7rocprim17ROCPRIM_400000_NS6detail17trampoline_kernelINS0_14default_configENS1_27scan_by_key_config_selectorIssEEZZNS1_16scan_by_key_implILNS1_25lookback_scan_determinismE0ELb0ES3_N6thrust23THRUST_200600_302600_NS6detail15normal_iteratorINS9_10device_ptrIsEEEESE_SE_sNS9_4plusIvEENS9_8equal_toIsEEsEE10hipError_tPvRmT2_T3_T4_T5_mT6_T7_P12ihipStream_tbENKUlT_T0_E_clISt17integral_constantIbLb1EESZ_EEDaSU_SV_EUlSU_E_NS1_11comp_targetILNS1_3genE9ELNS1_11target_archE1100ELNS1_3gpuE3ELNS1_3repE0EEENS1_30default_config_static_selectorELNS0_4arch9wavefront6targetE0EEEvT1_ ; -- Begin function _ZN7rocprim17ROCPRIM_400000_NS6detail17trampoline_kernelINS0_14default_configENS1_27scan_by_key_config_selectorIssEEZZNS1_16scan_by_key_implILNS1_25lookback_scan_determinismE0ELb0ES3_N6thrust23THRUST_200600_302600_NS6detail15normal_iteratorINS9_10device_ptrIsEEEESE_SE_sNS9_4plusIvEENS9_8equal_toIsEEsEE10hipError_tPvRmT2_T3_T4_T5_mT6_T7_P12ihipStream_tbENKUlT_T0_E_clISt17integral_constantIbLb1EESZ_EEDaSU_SV_EUlSU_E_NS1_11comp_targetILNS1_3genE9ELNS1_11target_archE1100ELNS1_3gpuE3ELNS1_3repE0EEENS1_30default_config_static_selectorELNS0_4arch9wavefront6targetE0EEEvT1_
	.globl	_ZN7rocprim17ROCPRIM_400000_NS6detail17trampoline_kernelINS0_14default_configENS1_27scan_by_key_config_selectorIssEEZZNS1_16scan_by_key_implILNS1_25lookback_scan_determinismE0ELb0ES3_N6thrust23THRUST_200600_302600_NS6detail15normal_iteratorINS9_10device_ptrIsEEEESE_SE_sNS9_4plusIvEENS9_8equal_toIsEEsEE10hipError_tPvRmT2_T3_T4_T5_mT6_T7_P12ihipStream_tbENKUlT_T0_E_clISt17integral_constantIbLb1EESZ_EEDaSU_SV_EUlSU_E_NS1_11comp_targetILNS1_3genE9ELNS1_11target_archE1100ELNS1_3gpuE3ELNS1_3repE0EEENS1_30default_config_static_selectorELNS0_4arch9wavefront6targetE0EEEvT1_
	.p2align	8
	.type	_ZN7rocprim17ROCPRIM_400000_NS6detail17trampoline_kernelINS0_14default_configENS1_27scan_by_key_config_selectorIssEEZZNS1_16scan_by_key_implILNS1_25lookback_scan_determinismE0ELb0ES3_N6thrust23THRUST_200600_302600_NS6detail15normal_iteratorINS9_10device_ptrIsEEEESE_SE_sNS9_4plusIvEENS9_8equal_toIsEEsEE10hipError_tPvRmT2_T3_T4_T5_mT6_T7_P12ihipStream_tbENKUlT_T0_E_clISt17integral_constantIbLb1EESZ_EEDaSU_SV_EUlSU_E_NS1_11comp_targetILNS1_3genE9ELNS1_11target_archE1100ELNS1_3gpuE3ELNS1_3repE0EEENS1_30default_config_static_selectorELNS0_4arch9wavefront6targetE0EEEvT1_,@function
_ZN7rocprim17ROCPRIM_400000_NS6detail17trampoline_kernelINS0_14default_configENS1_27scan_by_key_config_selectorIssEEZZNS1_16scan_by_key_implILNS1_25lookback_scan_determinismE0ELb0ES3_N6thrust23THRUST_200600_302600_NS6detail15normal_iteratorINS9_10device_ptrIsEEEESE_SE_sNS9_4plusIvEENS9_8equal_toIsEEsEE10hipError_tPvRmT2_T3_T4_T5_mT6_T7_P12ihipStream_tbENKUlT_T0_E_clISt17integral_constantIbLb1EESZ_EEDaSU_SV_EUlSU_E_NS1_11comp_targetILNS1_3genE9ELNS1_11target_archE1100ELNS1_3gpuE3ELNS1_3repE0EEENS1_30default_config_static_selectorELNS0_4arch9wavefront6targetE0EEEvT1_: ; @_ZN7rocprim17ROCPRIM_400000_NS6detail17trampoline_kernelINS0_14default_configENS1_27scan_by_key_config_selectorIssEEZZNS1_16scan_by_key_implILNS1_25lookback_scan_determinismE0ELb0ES3_N6thrust23THRUST_200600_302600_NS6detail15normal_iteratorINS9_10device_ptrIsEEEESE_SE_sNS9_4plusIvEENS9_8equal_toIsEEsEE10hipError_tPvRmT2_T3_T4_T5_mT6_T7_P12ihipStream_tbENKUlT_T0_E_clISt17integral_constantIbLb1EESZ_EEDaSU_SV_EUlSU_E_NS1_11comp_targetILNS1_3genE9ELNS1_11target_archE1100ELNS1_3gpuE3ELNS1_3repE0EEENS1_30default_config_static_selectorELNS0_4arch9wavefront6targetE0EEEvT1_
; %bb.0:
	.section	.rodata,"a",@progbits
	.p2align	6, 0x0
	.amdhsa_kernel _ZN7rocprim17ROCPRIM_400000_NS6detail17trampoline_kernelINS0_14default_configENS1_27scan_by_key_config_selectorIssEEZZNS1_16scan_by_key_implILNS1_25lookback_scan_determinismE0ELb0ES3_N6thrust23THRUST_200600_302600_NS6detail15normal_iteratorINS9_10device_ptrIsEEEESE_SE_sNS9_4plusIvEENS9_8equal_toIsEEsEE10hipError_tPvRmT2_T3_T4_T5_mT6_T7_P12ihipStream_tbENKUlT_T0_E_clISt17integral_constantIbLb1EESZ_EEDaSU_SV_EUlSU_E_NS1_11comp_targetILNS1_3genE9ELNS1_11target_archE1100ELNS1_3gpuE3ELNS1_3repE0EEENS1_30default_config_static_selectorELNS0_4arch9wavefront6targetE0EEEvT1_
		.amdhsa_group_segment_fixed_size 0
		.amdhsa_private_segment_fixed_size 0
		.amdhsa_kernarg_size 112
		.amdhsa_user_sgpr_count 6
		.amdhsa_user_sgpr_private_segment_buffer 1
		.amdhsa_user_sgpr_dispatch_ptr 0
		.amdhsa_user_sgpr_queue_ptr 0
		.amdhsa_user_sgpr_kernarg_segment_ptr 1
		.amdhsa_user_sgpr_dispatch_id 0
		.amdhsa_user_sgpr_flat_scratch_init 0
		.amdhsa_user_sgpr_private_segment_size 0
		.amdhsa_wavefront_size32 1
		.amdhsa_uses_dynamic_stack 0
		.amdhsa_system_sgpr_private_segment_wavefront_offset 0
		.amdhsa_system_sgpr_workgroup_id_x 1
		.amdhsa_system_sgpr_workgroup_id_y 0
		.amdhsa_system_sgpr_workgroup_id_z 0
		.amdhsa_system_sgpr_workgroup_info 0
		.amdhsa_system_vgpr_workitem_id 0
		.amdhsa_next_free_vgpr 1
		.amdhsa_next_free_sgpr 1
		.amdhsa_reserve_vcc 0
		.amdhsa_reserve_flat_scratch 0
		.amdhsa_float_round_mode_32 0
		.amdhsa_float_round_mode_16_64 0
		.amdhsa_float_denorm_mode_32 3
		.amdhsa_float_denorm_mode_16_64 3
		.amdhsa_dx10_clamp 1
		.amdhsa_ieee_mode 1
		.amdhsa_fp16_overflow 0
		.amdhsa_workgroup_processor_mode 1
		.amdhsa_memory_ordered 1
		.amdhsa_forward_progress 1
		.amdhsa_shared_vgpr_count 0
		.amdhsa_exception_fp_ieee_invalid_op 0
		.amdhsa_exception_fp_denorm_src 0
		.amdhsa_exception_fp_ieee_div_zero 0
		.amdhsa_exception_fp_ieee_overflow 0
		.amdhsa_exception_fp_ieee_underflow 0
		.amdhsa_exception_fp_ieee_inexact 0
		.amdhsa_exception_int_div_zero 0
	.end_amdhsa_kernel
	.section	.text._ZN7rocprim17ROCPRIM_400000_NS6detail17trampoline_kernelINS0_14default_configENS1_27scan_by_key_config_selectorIssEEZZNS1_16scan_by_key_implILNS1_25lookback_scan_determinismE0ELb0ES3_N6thrust23THRUST_200600_302600_NS6detail15normal_iteratorINS9_10device_ptrIsEEEESE_SE_sNS9_4plusIvEENS9_8equal_toIsEEsEE10hipError_tPvRmT2_T3_T4_T5_mT6_T7_P12ihipStream_tbENKUlT_T0_E_clISt17integral_constantIbLb1EESZ_EEDaSU_SV_EUlSU_E_NS1_11comp_targetILNS1_3genE9ELNS1_11target_archE1100ELNS1_3gpuE3ELNS1_3repE0EEENS1_30default_config_static_selectorELNS0_4arch9wavefront6targetE0EEEvT1_,"axG",@progbits,_ZN7rocprim17ROCPRIM_400000_NS6detail17trampoline_kernelINS0_14default_configENS1_27scan_by_key_config_selectorIssEEZZNS1_16scan_by_key_implILNS1_25lookback_scan_determinismE0ELb0ES3_N6thrust23THRUST_200600_302600_NS6detail15normal_iteratorINS9_10device_ptrIsEEEESE_SE_sNS9_4plusIvEENS9_8equal_toIsEEsEE10hipError_tPvRmT2_T3_T4_T5_mT6_T7_P12ihipStream_tbENKUlT_T0_E_clISt17integral_constantIbLb1EESZ_EEDaSU_SV_EUlSU_E_NS1_11comp_targetILNS1_3genE9ELNS1_11target_archE1100ELNS1_3gpuE3ELNS1_3repE0EEENS1_30default_config_static_selectorELNS0_4arch9wavefront6targetE0EEEvT1_,comdat
.Lfunc_end333:
	.size	_ZN7rocprim17ROCPRIM_400000_NS6detail17trampoline_kernelINS0_14default_configENS1_27scan_by_key_config_selectorIssEEZZNS1_16scan_by_key_implILNS1_25lookback_scan_determinismE0ELb0ES3_N6thrust23THRUST_200600_302600_NS6detail15normal_iteratorINS9_10device_ptrIsEEEESE_SE_sNS9_4plusIvEENS9_8equal_toIsEEsEE10hipError_tPvRmT2_T3_T4_T5_mT6_T7_P12ihipStream_tbENKUlT_T0_E_clISt17integral_constantIbLb1EESZ_EEDaSU_SV_EUlSU_E_NS1_11comp_targetILNS1_3genE9ELNS1_11target_archE1100ELNS1_3gpuE3ELNS1_3repE0EEENS1_30default_config_static_selectorELNS0_4arch9wavefront6targetE0EEEvT1_, .Lfunc_end333-_ZN7rocprim17ROCPRIM_400000_NS6detail17trampoline_kernelINS0_14default_configENS1_27scan_by_key_config_selectorIssEEZZNS1_16scan_by_key_implILNS1_25lookback_scan_determinismE0ELb0ES3_N6thrust23THRUST_200600_302600_NS6detail15normal_iteratorINS9_10device_ptrIsEEEESE_SE_sNS9_4plusIvEENS9_8equal_toIsEEsEE10hipError_tPvRmT2_T3_T4_T5_mT6_T7_P12ihipStream_tbENKUlT_T0_E_clISt17integral_constantIbLb1EESZ_EEDaSU_SV_EUlSU_E_NS1_11comp_targetILNS1_3genE9ELNS1_11target_archE1100ELNS1_3gpuE3ELNS1_3repE0EEENS1_30default_config_static_selectorELNS0_4arch9wavefront6targetE0EEEvT1_
                                        ; -- End function
	.set _ZN7rocprim17ROCPRIM_400000_NS6detail17trampoline_kernelINS0_14default_configENS1_27scan_by_key_config_selectorIssEEZZNS1_16scan_by_key_implILNS1_25lookback_scan_determinismE0ELb0ES3_N6thrust23THRUST_200600_302600_NS6detail15normal_iteratorINS9_10device_ptrIsEEEESE_SE_sNS9_4plusIvEENS9_8equal_toIsEEsEE10hipError_tPvRmT2_T3_T4_T5_mT6_T7_P12ihipStream_tbENKUlT_T0_E_clISt17integral_constantIbLb1EESZ_EEDaSU_SV_EUlSU_E_NS1_11comp_targetILNS1_3genE9ELNS1_11target_archE1100ELNS1_3gpuE3ELNS1_3repE0EEENS1_30default_config_static_selectorELNS0_4arch9wavefront6targetE0EEEvT1_.num_vgpr, 0
	.set _ZN7rocprim17ROCPRIM_400000_NS6detail17trampoline_kernelINS0_14default_configENS1_27scan_by_key_config_selectorIssEEZZNS1_16scan_by_key_implILNS1_25lookback_scan_determinismE0ELb0ES3_N6thrust23THRUST_200600_302600_NS6detail15normal_iteratorINS9_10device_ptrIsEEEESE_SE_sNS9_4plusIvEENS9_8equal_toIsEEsEE10hipError_tPvRmT2_T3_T4_T5_mT6_T7_P12ihipStream_tbENKUlT_T0_E_clISt17integral_constantIbLb1EESZ_EEDaSU_SV_EUlSU_E_NS1_11comp_targetILNS1_3genE9ELNS1_11target_archE1100ELNS1_3gpuE3ELNS1_3repE0EEENS1_30default_config_static_selectorELNS0_4arch9wavefront6targetE0EEEvT1_.num_agpr, 0
	.set _ZN7rocprim17ROCPRIM_400000_NS6detail17trampoline_kernelINS0_14default_configENS1_27scan_by_key_config_selectorIssEEZZNS1_16scan_by_key_implILNS1_25lookback_scan_determinismE0ELb0ES3_N6thrust23THRUST_200600_302600_NS6detail15normal_iteratorINS9_10device_ptrIsEEEESE_SE_sNS9_4plusIvEENS9_8equal_toIsEEsEE10hipError_tPvRmT2_T3_T4_T5_mT6_T7_P12ihipStream_tbENKUlT_T0_E_clISt17integral_constantIbLb1EESZ_EEDaSU_SV_EUlSU_E_NS1_11comp_targetILNS1_3genE9ELNS1_11target_archE1100ELNS1_3gpuE3ELNS1_3repE0EEENS1_30default_config_static_selectorELNS0_4arch9wavefront6targetE0EEEvT1_.numbered_sgpr, 0
	.set _ZN7rocprim17ROCPRIM_400000_NS6detail17trampoline_kernelINS0_14default_configENS1_27scan_by_key_config_selectorIssEEZZNS1_16scan_by_key_implILNS1_25lookback_scan_determinismE0ELb0ES3_N6thrust23THRUST_200600_302600_NS6detail15normal_iteratorINS9_10device_ptrIsEEEESE_SE_sNS9_4plusIvEENS9_8equal_toIsEEsEE10hipError_tPvRmT2_T3_T4_T5_mT6_T7_P12ihipStream_tbENKUlT_T0_E_clISt17integral_constantIbLb1EESZ_EEDaSU_SV_EUlSU_E_NS1_11comp_targetILNS1_3genE9ELNS1_11target_archE1100ELNS1_3gpuE3ELNS1_3repE0EEENS1_30default_config_static_selectorELNS0_4arch9wavefront6targetE0EEEvT1_.num_named_barrier, 0
	.set _ZN7rocprim17ROCPRIM_400000_NS6detail17trampoline_kernelINS0_14default_configENS1_27scan_by_key_config_selectorIssEEZZNS1_16scan_by_key_implILNS1_25lookback_scan_determinismE0ELb0ES3_N6thrust23THRUST_200600_302600_NS6detail15normal_iteratorINS9_10device_ptrIsEEEESE_SE_sNS9_4plusIvEENS9_8equal_toIsEEsEE10hipError_tPvRmT2_T3_T4_T5_mT6_T7_P12ihipStream_tbENKUlT_T0_E_clISt17integral_constantIbLb1EESZ_EEDaSU_SV_EUlSU_E_NS1_11comp_targetILNS1_3genE9ELNS1_11target_archE1100ELNS1_3gpuE3ELNS1_3repE0EEENS1_30default_config_static_selectorELNS0_4arch9wavefront6targetE0EEEvT1_.private_seg_size, 0
	.set _ZN7rocprim17ROCPRIM_400000_NS6detail17trampoline_kernelINS0_14default_configENS1_27scan_by_key_config_selectorIssEEZZNS1_16scan_by_key_implILNS1_25lookback_scan_determinismE0ELb0ES3_N6thrust23THRUST_200600_302600_NS6detail15normal_iteratorINS9_10device_ptrIsEEEESE_SE_sNS9_4plusIvEENS9_8equal_toIsEEsEE10hipError_tPvRmT2_T3_T4_T5_mT6_T7_P12ihipStream_tbENKUlT_T0_E_clISt17integral_constantIbLb1EESZ_EEDaSU_SV_EUlSU_E_NS1_11comp_targetILNS1_3genE9ELNS1_11target_archE1100ELNS1_3gpuE3ELNS1_3repE0EEENS1_30default_config_static_selectorELNS0_4arch9wavefront6targetE0EEEvT1_.uses_vcc, 0
	.set _ZN7rocprim17ROCPRIM_400000_NS6detail17trampoline_kernelINS0_14default_configENS1_27scan_by_key_config_selectorIssEEZZNS1_16scan_by_key_implILNS1_25lookback_scan_determinismE0ELb0ES3_N6thrust23THRUST_200600_302600_NS6detail15normal_iteratorINS9_10device_ptrIsEEEESE_SE_sNS9_4plusIvEENS9_8equal_toIsEEsEE10hipError_tPvRmT2_T3_T4_T5_mT6_T7_P12ihipStream_tbENKUlT_T0_E_clISt17integral_constantIbLb1EESZ_EEDaSU_SV_EUlSU_E_NS1_11comp_targetILNS1_3genE9ELNS1_11target_archE1100ELNS1_3gpuE3ELNS1_3repE0EEENS1_30default_config_static_selectorELNS0_4arch9wavefront6targetE0EEEvT1_.uses_flat_scratch, 0
	.set _ZN7rocprim17ROCPRIM_400000_NS6detail17trampoline_kernelINS0_14default_configENS1_27scan_by_key_config_selectorIssEEZZNS1_16scan_by_key_implILNS1_25lookback_scan_determinismE0ELb0ES3_N6thrust23THRUST_200600_302600_NS6detail15normal_iteratorINS9_10device_ptrIsEEEESE_SE_sNS9_4plusIvEENS9_8equal_toIsEEsEE10hipError_tPvRmT2_T3_T4_T5_mT6_T7_P12ihipStream_tbENKUlT_T0_E_clISt17integral_constantIbLb1EESZ_EEDaSU_SV_EUlSU_E_NS1_11comp_targetILNS1_3genE9ELNS1_11target_archE1100ELNS1_3gpuE3ELNS1_3repE0EEENS1_30default_config_static_selectorELNS0_4arch9wavefront6targetE0EEEvT1_.has_dyn_sized_stack, 0
	.set _ZN7rocprim17ROCPRIM_400000_NS6detail17trampoline_kernelINS0_14default_configENS1_27scan_by_key_config_selectorIssEEZZNS1_16scan_by_key_implILNS1_25lookback_scan_determinismE0ELb0ES3_N6thrust23THRUST_200600_302600_NS6detail15normal_iteratorINS9_10device_ptrIsEEEESE_SE_sNS9_4plusIvEENS9_8equal_toIsEEsEE10hipError_tPvRmT2_T3_T4_T5_mT6_T7_P12ihipStream_tbENKUlT_T0_E_clISt17integral_constantIbLb1EESZ_EEDaSU_SV_EUlSU_E_NS1_11comp_targetILNS1_3genE9ELNS1_11target_archE1100ELNS1_3gpuE3ELNS1_3repE0EEENS1_30default_config_static_selectorELNS0_4arch9wavefront6targetE0EEEvT1_.has_recursion, 0
	.set _ZN7rocprim17ROCPRIM_400000_NS6detail17trampoline_kernelINS0_14default_configENS1_27scan_by_key_config_selectorIssEEZZNS1_16scan_by_key_implILNS1_25lookback_scan_determinismE0ELb0ES3_N6thrust23THRUST_200600_302600_NS6detail15normal_iteratorINS9_10device_ptrIsEEEESE_SE_sNS9_4plusIvEENS9_8equal_toIsEEsEE10hipError_tPvRmT2_T3_T4_T5_mT6_T7_P12ihipStream_tbENKUlT_T0_E_clISt17integral_constantIbLb1EESZ_EEDaSU_SV_EUlSU_E_NS1_11comp_targetILNS1_3genE9ELNS1_11target_archE1100ELNS1_3gpuE3ELNS1_3repE0EEENS1_30default_config_static_selectorELNS0_4arch9wavefront6targetE0EEEvT1_.has_indirect_call, 0
	.section	.AMDGPU.csdata,"",@progbits
; Kernel info:
; codeLenInByte = 0
; TotalNumSgprs: 0
; NumVgprs: 0
; ScratchSize: 0
; MemoryBound: 0
; FloatMode: 240
; IeeeMode: 1
; LDSByteSize: 0 bytes/workgroup (compile time only)
; SGPRBlocks: 0
; VGPRBlocks: 0
; NumSGPRsForWavesPerEU: 1
; NumVGPRsForWavesPerEU: 1
; Occupancy: 16
; WaveLimiterHint : 0
; COMPUTE_PGM_RSRC2:SCRATCH_EN: 0
; COMPUTE_PGM_RSRC2:USER_SGPR: 6
; COMPUTE_PGM_RSRC2:TRAP_HANDLER: 0
; COMPUTE_PGM_RSRC2:TGID_X_EN: 1
; COMPUTE_PGM_RSRC2:TGID_Y_EN: 0
; COMPUTE_PGM_RSRC2:TGID_Z_EN: 0
; COMPUTE_PGM_RSRC2:TIDIG_COMP_CNT: 0
	.section	.text._ZN7rocprim17ROCPRIM_400000_NS6detail17trampoline_kernelINS0_14default_configENS1_27scan_by_key_config_selectorIssEEZZNS1_16scan_by_key_implILNS1_25lookback_scan_determinismE0ELb0ES3_N6thrust23THRUST_200600_302600_NS6detail15normal_iteratorINS9_10device_ptrIsEEEESE_SE_sNS9_4plusIvEENS9_8equal_toIsEEsEE10hipError_tPvRmT2_T3_T4_T5_mT6_T7_P12ihipStream_tbENKUlT_T0_E_clISt17integral_constantIbLb1EESZ_EEDaSU_SV_EUlSU_E_NS1_11comp_targetILNS1_3genE8ELNS1_11target_archE1030ELNS1_3gpuE2ELNS1_3repE0EEENS1_30default_config_static_selectorELNS0_4arch9wavefront6targetE0EEEvT1_,"axG",@progbits,_ZN7rocprim17ROCPRIM_400000_NS6detail17trampoline_kernelINS0_14default_configENS1_27scan_by_key_config_selectorIssEEZZNS1_16scan_by_key_implILNS1_25lookback_scan_determinismE0ELb0ES3_N6thrust23THRUST_200600_302600_NS6detail15normal_iteratorINS9_10device_ptrIsEEEESE_SE_sNS9_4plusIvEENS9_8equal_toIsEEsEE10hipError_tPvRmT2_T3_T4_T5_mT6_T7_P12ihipStream_tbENKUlT_T0_E_clISt17integral_constantIbLb1EESZ_EEDaSU_SV_EUlSU_E_NS1_11comp_targetILNS1_3genE8ELNS1_11target_archE1030ELNS1_3gpuE2ELNS1_3repE0EEENS1_30default_config_static_selectorELNS0_4arch9wavefront6targetE0EEEvT1_,comdat
	.protected	_ZN7rocprim17ROCPRIM_400000_NS6detail17trampoline_kernelINS0_14default_configENS1_27scan_by_key_config_selectorIssEEZZNS1_16scan_by_key_implILNS1_25lookback_scan_determinismE0ELb0ES3_N6thrust23THRUST_200600_302600_NS6detail15normal_iteratorINS9_10device_ptrIsEEEESE_SE_sNS9_4plusIvEENS9_8equal_toIsEEsEE10hipError_tPvRmT2_T3_T4_T5_mT6_T7_P12ihipStream_tbENKUlT_T0_E_clISt17integral_constantIbLb1EESZ_EEDaSU_SV_EUlSU_E_NS1_11comp_targetILNS1_3genE8ELNS1_11target_archE1030ELNS1_3gpuE2ELNS1_3repE0EEENS1_30default_config_static_selectorELNS0_4arch9wavefront6targetE0EEEvT1_ ; -- Begin function _ZN7rocprim17ROCPRIM_400000_NS6detail17trampoline_kernelINS0_14default_configENS1_27scan_by_key_config_selectorIssEEZZNS1_16scan_by_key_implILNS1_25lookback_scan_determinismE0ELb0ES3_N6thrust23THRUST_200600_302600_NS6detail15normal_iteratorINS9_10device_ptrIsEEEESE_SE_sNS9_4plusIvEENS9_8equal_toIsEEsEE10hipError_tPvRmT2_T3_T4_T5_mT6_T7_P12ihipStream_tbENKUlT_T0_E_clISt17integral_constantIbLb1EESZ_EEDaSU_SV_EUlSU_E_NS1_11comp_targetILNS1_3genE8ELNS1_11target_archE1030ELNS1_3gpuE2ELNS1_3repE0EEENS1_30default_config_static_selectorELNS0_4arch9wavefront6targetE0EEEvT1_
	.globl	_ZN7rocprim17ROCPRIM_400000_NS6detail17trampoline_kernelINS0_14default_configENS1_27scan_by_key_config_selectorIssEEZZNS1_16scan_by_key_implILNS1_25lookback_scan_determinismE0ELb0ES3_N6thrust23THRUST_200600_302600_NS6detail15normal_iteratorINS9_10device_ptrIsEEEESE_SE_sNS9_4plusIvEENS9_8equal_toIsEEsEE10hipError_tPvRmT2_T3_T4_T5_mT6_T7_P12ihipStream_tbENKUlT_T0_E_clISt17integral_constantIbLb1EESZ_EEDaSU_SV_EUlSU_E_NS1_11comp_targetILNS1_3genE8ELNS1_11target_archE1030ELNS1_3gpuE2ELNS1_3repE0EEENS1_30default_config_static_selectorELNS0_4arch9wavefront6targetE0EEEvT1_
	.p2align	8
	.type	_ZN7rocprim17ROCPRIM_400000_NS6detail17trampoline_kernelINS0_14default_configENS1_27scan_by_key_config_selectorIssEEZZNS1_16scan_by_key_implILNS1_25lookback_scan_determinismE0ELb0ES3_N6thrust23THRUST_200600_302600_NS6detail15normal_iteratorINS9_10device_ptrIsEEEESE_SE_sNS9_4plusIvEENS9_8equal_toIsEEsEE10hipError_tPvRmT2_T3_T4_T5_mT6_T7_P12ihipStream_tbENKUlT_T0_E_clISt17integral_constantIbLb1EESZ_EEDaSU_SV_EUlSU_E_NS1_11comp_targetILNS1_3genE8ELNS1_11target_archE1030ELNS1_3gpuE2ELNS1_3repE0EEENS1_30default_config_static_selectorELNS0_4arch9wavefront6targetE0EEEvT1_,@function
_ZN7rocprim17ROCPRIM_400000_NS6detail17trampoline_kernelINS0_14default_configENS1_27scan_by_key_config_selectorIssEEZZNS1_16scan_by_key_implILNS1_25lookback_scan_determinismE0ELb0ES3_N6thrust23THRUST_200600_302600_NS6detail15normal_iteratorINS9_10device_ptrIsEEEESE_SE_sNS9_4plusIvEENS9_8equal_toIsEEsEE10hipError_tPvRmT2_T3_T4_T5_mT6_T7_P12ihipStream_tbENKUlT_T0_E_clISt17integral_constantIbLb1EESZ_EEDaSU_SV_EUlSU_E_NS1_11comp_targetILNS1_3genE8ELNS1_11target_archE1030ELNS1_3gpuE2ELNS1_3repE0EEENS1_30default_config_static_selectorELNS0_4arch9wavefront6targetE0EEEvT1_: ; @_ZN7rocprim17ROCPRIM_400000_NS6detail17trampoline_kernelINS0_14default_configENS1_27scan_by_key_config_selectorIssEEZZNS1_16scan_by_key_implILNS1_25lookback_scan_determinismE0ELb0ES3_N6thrust23THRUST_200600_302600_NS6detail15normal_iteratorINS9_10device_ptrIsEEEESE_SE_sNS9_4plusIvEENS9_8equal_toIsEEsEE10hipError_tPvRmT2_T3_T4_T5_mT6_T7_P12ihipStream_tbENKUlT_T0_E_clISt17integral_constantIbLb1EESZ_EEDaSU_SV_EUlSU_E_NS1_11comp_targetILNS1_3genE8ELNS1_11target_archE1030ELNS1_3gpuE2ELNS1_3repE0EEENS1_30default_config_static_selectorELNS0_4arch9wavefront6targetE0EEEvT1_
; %bb.0:
	s_endpgm
	.section	.rodata,"a",@progbits
	.p2align	6, 0x0
	.amdhsa_kernel _ZN7rocprim17ROCPRIM_400000_NS6detail17trampoline_kernelINS0_14default_configENS1_27scan_by_key_config_selectorIssEEZZNS1_16scan_by_key_implILNS1_25lookback_scan_determinismE0ELb0ES3_N6thrust23THRUST_200600_302600_NS6detail15normal_iteratorINS9_10device_ptrIsEEEESE_SE_sNS9_4plusIvEENS9_8equal_toIsEEsEE10hipError_tPvRmT2_T3_T4_T5_mT6_T7_P12ihipStream_tbENKUlT_T0_E_clISt17integral_constantIbLb1EESZ_EEDaSU_SV_EUlSU_E_NS1_11comp_targetILNS1_3genE8ELNS1_11target_archE1030ELNS1_3gpuE2ELNS1_3repE0EEENS1_30default_config_static_selectorELNS0_4arch9wavefront6targetE0EEEvT1_
		.amdhsa_group_segment_fixed_size 0
		.amdhsa_private_segment_fixed_size 0
		.amdhsa_kernarg_size 112
		.amdhsa_user_sgpr_count 6
		.amdhsa_user_sgpr_private_segment_buffer 1
		.amdhsa_user_sgpr_dispatch_ptr 0
		.amdhsa_user_sgpr_queue_ptr 0
		.amdhsa_user_sgpr_kernarg_segment_ptr 1
		.amdhsa_user_sgpr_dispatch_id 0
		.amdhsa_user_sgpr_flat_scratch_init 0
		.amdhsa_user_sgpr_private_segment_size 0
		.amdhsa_wavefront_size32 1
		.amdhsa_uses_dynamic_stack 0
		.amdhsa_system_sgpr_private_segment_wavefront_offset 0
		.amdhsa_system_sgpr_workgroup_id_x 1
		.amdhsa_system_sgpr_workgroup_id_y 0
		.amdhsa_system_sgpr_workgroup_id_z 0
		.amdhsa_system_sgpr_workgroup_info 0
		.amdhsa_system_vgpr_workitem_id 0
		.amdhsa_next_free_vgpr 1
		.amdhsa_next_free_sgpr 1
		.amdhsa_reserve_vcc 0
		.amdhsa_reserve_flat_scratch 0
		.amdhsa_float_round_mode_32 0
		.amdhsa_float_round_mode_16_64 0
		.amdhsa_float_denorm_mode_32 3
		.amdhsa_float_denorm_mode_16_64 3
		.amdhsa_dx10_clamp 1
		.amdhsa_ieee_mode 1
		.amdhsa_fp16_overflow 0
		.amdhsa_workgroup_processor_mode 1
		.amdhsa_memory_ordered 1
		.amdhsa_forward_progress 1
		.amdhsa_shared_vgpr_count 0
		.amdhsa_exception_fp_ieee_invalid_op 0
		.amdhsa_exception_fp_denorm_src 0
		.amdhsa_exception_fp_ieee_div_zero 0
		.amdhsa_exception_fp_ieee_overflow 0
		.amdhsa_exception_fp_ieee_underflow 0
		.amdhsa_exception_fp_ieee_inexact 0
		.amdhsa_exception_int_div_zero 0
	.end_amdhsa_kernel
	.section	.text._ZN7rocprim17ROCPRIM_400000_NS6detail17trampoline_kernelINS0_14default_configENS1_27scan_by_key_config_selectorIssEEZZNS1_16scan_by_key_implILNS1_25lookback_scan_determinismE0ELb0ES3_N6thrust23THRUST_200600_302600_NS6detail15normal_iteratorINS9_10device_ptrIsEEEESE_SE_sNS9_4plusIvEENS9_8equal_toIsEEsEE10hipError_tPvRmT2_T3_T4_T5_mT6_T7_P12ihipStream_tbENKUlT_T0_E_clISt17integral_constantIbLb1EESZ_EEDaSU_SV_EUlSU_E_NS1_11comp_targetILNS1_3genE8ELNS1_11target_archE1030ELNS1_3gpuE2ELNS1_3repE0EEENS1_30default_config_static_selectorELNS0_4arch9wavefront6targetE0EEEvT1_,"axG",@progbits,_ZN7rocprim17ROCPRIM_400000_NS6detail17trampoline_kernelINS0_14default_configENS1_27scan_by_key_config_selectorIssEEZZNS1_16scan_by_key_implILNS1_25lookback_scan_determinismE0ELb0ES3_N6thrust23THRUST_200600_302600_NS6detail15normal_iteratorINS9_10device_ptrIsEEEESE_SE_sNS9_4plusIvEENS9_8equal_toIsEEsEE10hipError_tPvRmT2_T3_T4_T5_mT6_T7_P12ihipStream_tbENKUlT_T0_E_clISt17integral_constantIbLb1EESZ_EEDaSU_SV_EUlSU_E_NS1_11comp_targetILNS1_3genE8ELNS1_11target_archE1030ELNS1_3gpuE2ELNS1_3repE0EEENS1_30default_config_static_selectorELNS0_4arch9wavefront6targetE0EEEvT1_,comdat
.Lfunc_end334:
	.size	_ZN7rocprim17ROCPRIM_400000_NS6detail17trampoline_kernelINS0_14default_configENS1_27scan_by_key_config_selectorIssEEZZNS1_16scan_by_key_implILNS1_25lookback_scan_determinismE0ELb0ES3_N6thrust23THRUST_200600_302600_NS6detail15normal_iteratorINS9_10device_ptrIsEEEESE_SE_sNS9_4plusIvEENS9_8equal_toIsEEsEE10hipError_tPvRmT2_T3_T4_T5_mT6_T7_P12ihipStream_tbENKUlT_T0_E_clISt17integral_constantIbLb1EESZ_EEDaSU_SV_EUlSU_E_NS1_11comp_targetILNS1_3genE8ELNS1_11target_archE1030ELNS1_3gpuE2ELNS1_3repE0EEENS1_30default_config_static_selectorELNS0_4arch9wavefront6targetE0EEEvT1_, .Lfunc_end334-_ZN7rocprim17ROCPRIM_400000_NS6detail17trampoline_kernelINS0_14default_configENS1_27scan_by_key_config_selectorIssEEZZNS1_16scan_by_key_implILNS1_25lookback_scan_determinismE0ELb0ES3_N6thrust23THRUST_200600_302600_NS6detail15normal_iteratorINS9_10device_ptrIsEEEESE_SE_sNS9_4plusIvEENS9_8equal_toIsEEsEE10hipError_tPvRmT2_T3_T4_T5_mT6_T7_P12ihipStream_tbENKUlT_T0_E_clISt17integral_constantIbLb1EESZ_EEDaSU_SV_EUlSU_E_NS1_11comp_targetILNS1_3genE8ELNS1_11target_archE1030ELNS1_3gpuE2ELNS1_3repE0EEENS1_30default_config_static_selectorELNS0_4arch9wavefront6targetE0EEEvT1_
                                        ; -- End function
	.set _ZN7rocprim17ROCPRIM_400000_NS6detail17trampoline_kernelINS0_14default_configENS1_27scan_by_key_config_selectorIssEEZZNS1_16scan_by_key_implILNS1_25lookback_scan_determinismE0ELb0ES3_N6thrust23THRUST_200600_302600_NS6detail15normal_iteratorINS9_10device_ptrIsEEEESE_SE_sNS9_4plusIvEENS9_8equal_toIsEEsEE10hipError_tPvRmT2_T3_T4_T5_mT6_T7_P12ihipStream_tbENKUlT_T0_E_clISt17integral_constantIbLb1EESZ_EEDaSU_SV_EUlSU_E_NS1_11comp_targetILNS1_3genE8ELNS1_11target_archE1030ELNS1_3gpuE2ELNS1_3repE0EEENS1_30default_config_static_selectorELNS0_4arch9wavefront6targetE0EEEvT1_.num_vgpr, 0
	.set _ZN7rocprim17ROCPRIM_400000_NS6detail17trampoline_kernelINS0_14default_configENS1_27scan_by_key_config_selectorIssEEZZNS1_16scan_by_key_implILNS1_25lookback_scan_determinismE0ELb0ES3_N6thrust23THRUST_200600_302600_NS6detail15normal_iteratorINS9_10device_ptrIsEEEESE_SE_sNS9_4plusIvEENS9_8equal_toIsEEsEE10hipError_tPvRmT2_T3_T4_T5_mT6_T7_P12ihipStream_tbENKUlT_T0_E_clISt17integral_constantIbLb1EESZ_EEDaSU_SV_EUlSU_E_NS1_11comp_targetILNS1_3genE8ELNS1_11target_archE1030ELNS1_3gpuE2ELNS1_3repE0EEENS1_30default_config_static_selectorELNS0_4arch9wavefront6targetE0EEEvT1_.num_agpr, 0
	.set _ZN7rocprim17ROCPRIM_400000_NS6detail17trampoline_kernelINS0_14default_configENS1_27scan_by_key_config_selectorIssEEZZNS1_16scan_by_key_implILNS1_25lookback_scan_determinismE0ELb0ES3_N6thrust23THRUST_200600_302600_NS6detail15normal_iteratorINS9_10device_ptrIsEEEESE_SE_sNS9_4plusIvEENS9_8equal_toIsEEsEE10hipError_tPvRmT2_T3_T4_T5_mT6_T7_P12ihipStream_tbENKUlT_T0_E_clISt17integral_constantIbLb1EESZ_EEDaSU_SV_EUlSU_E_NS1_11comp_targetILNS1_3genE8ELNS1_11target_archE1030ELNS1_3gpuE2ELNS1_3repE0EEENS1_30default_config_static_selectorELNS0_4arch9wavefront6targetE0EEEvT1_.numbered_sgpr, 0
	.set _ZN7rocprim17ROCPRIM_400000_NS6detail17trampoline_kernelINS0_14default_configENS1_27scan_by_key_config_selectorIssEEZZNS1_16scan_by_key_implILNS1_25lookback_scan_determinismE0ELb0ES3_N6thrust23THRUST_200600_302600_NS6detail15normal_iteratorINS9_10device_ptrIsEEEESE_SE_sNS9_4plusIvEENS9_8equal_toIsEEsEE10hipError_tPvRmT2_T3_T4_T5_mT6_T7_P12ihipStream_tbENKUlT_T0_E_clISt17integral_constantIbLb1EESZ_EEDaSU_SV_EUlSU_E_NS1_11comp_targetILNS1_3genE8ELNS1_11target_archE1030ELNS1_3gpuE2ELNS1_3repE0EEENS1_30default_config_static_selectorELNS0_4arch9wavefront6targetE0EEEvT1_.num_named_barrier, 0
	.set _ZN7rocprim17ROCPRIM_400000_NS6detail17trampoline_kernelINS0_14default_configENS1_27scan_by_key_config_selectorIssEEZZNS1_16scan_by_key_implILNS1_25lookback_scan_determinismE0ELb0ES3_N6thrust23THRUST_200600_302600_NS6detail15normal_iteratorINS9_10device_ptrIsEEEESE_SE_sNS9_4plusIvEENS9_8equal_toIsEEsEE10hipError_tPvRmT2_T3_T4_T5_mT6_T7_P12ihipStream_tbENKUlT_T0_E_clISt17integral_constantIbLb1EESZ_EEDaSU_SV_EUlSU_E_NS1_11comp_targetILNS1_3genE8ELNS1_11target_archE1030ELNS1_3gpuE2ELNS1_3repE0EEENS1_30default_config_static_selectorELNS0_4arch9wavefront6targetE0EEEvT1_.private_seg_size, 0
	.set _ZN7rocprim17ROCPRIM_400000_NS6detail17trampoline_kernelINS0_14default_configENS1_27scan_by_key_config_selectorIssEEZZNS1_16scan_by_key_implILNS1_25lookback_scan_determinismE0ELb0ES3_N6thrust23THRUST_200600_302600_NS6detail15normal_iteratorINS9_10device_ptrIsEEEESE_SE_sNS9_4plusIvEENS9_8equal_toIsEEsEE10hipError_tPvRmT2_T3_T4_T5_mT6_T7_P12ihipStream_tbENKUlT_T0_E_clISt17integral_constantIbLb1EESZ_EEDaSU_SV_EUlSU_E_NS1_11comp_targetILNS1_3genE8ELNS1_11target_archE1030ELNS1_3gpuE2ELNS1_3repE0EEENS1_30default_config_static_selectorELNS0_4arch9wavefront6targetE0EEEvT1_.uses_vcc, 0
	.set _ZN7rocprim17ROCPRIM_400000_NS6detail17trampoline_kernelINS0_14default_configENS1_27scan_by_key_config_selectorIssEEZZNS1_16scan_by_key_implILNS1_25lookback_scan_determinismE0ELb0ES3_N6thrust23THRUST_200600_302600_NS6detail15normal_iteratorINS9_10device_ptrIsEEEESE_SE_sNS9_4plusIvEENS9_8equal_toIsEEsEE10hipError_tPvRmT2_T3_T4_T5_mT6_T7_P12ihipStream_tbENKUlT_T0_E_clISt17integral_constantIbLb1EESZ_EEDaSU_SV_EUlSU_E_NS1_11comp_targetILNS1_3genE8ELNS1_11target_archE1030ELNS1_3gpuE2ELNS1_3repE0EEENS1_30default_config_static_selectorELNS0_4arch9wavefront6targetE0EEEvT1_.uses_flat_scratch, 0
	.set _ZN7rocprim17ROCPRIM_400000_NS6detail17trampoline_kernelINS0_14default_configENS1_27scan_by_key_config_selectorIssEEZZNS1_16scan_by_key_implILNS1_25lookback_scan_determinismE0ELb0ES3_N6thrust23THRUST_200600_302600_NS6detail15normal_iteratorINS9_10device_ptrIsEEEESE_SE_sNS9_4plusIvEENS9_8equal_toIsEEsEE10hipError_tPvRmT2_T3_T4_T5_mT6_T7_P12ihipStream_tbENKUlT_T0_E_clISt17integral_constantIbLb1EESZ_EEDaSU_SV_EUlSU_E_NS1_11comp_targetILNS1_3genE8ELNS1_11target_archE1030ELNS1_3gpuE2ELNS1_3repE0EEENS1_30default_config_static_selectorELNS0_4arch9wavefront6targetE0EEEvT1_.has_dyn_sized_stack, 0
	.set _ZN7rocprim17ROCPRIM_400000_NS6detail17trampoline_kernelINS0_14default_configENS1_27scan_by_key_config_selectorIssEEZZNS1_16scan_by_key_implILNS1_25lookback_scan_determinismE0ELb0ES3_N6thrust23THRUST_200600_302600_NS6detail15normal_iteratorINS9_10device_ptrIsEEEESE_SE_sNS9_4plusIvEENS9_8equal_toIsEEsEE10hipError_tPvRmT2_T3_T4_T5_mT6_T7_P12ihipStream_tbENKUlT_T0_E_clISt17integral_constantIbLb1EESZ_EEDaSU_SV_EUlSU_E_NS1_11comp_targetILNS1_3genE8ELNS1_11target_archE1030ELNS1_3gpuE2ELNS1_3repE0EEENS1_30default_config_static_selectorELNS0_4arch9wavefront6targetE0EEEvT1_.has_recursion, 0
	.set _ZN7rocprim17ROCPRIM_400000_NS6detail17trampoline_kernelINS0_14default_configENS1_27scan_by_key_config_selectorIssEEZZNS1_16scan_by_key_implILNS1_25lookback_scan_determinismE0ELb0ES3_N6thrust23THRUST_200600_302600_NS6detail15normal_iteratorINS9_10device_ptrIsEEEESE_SE_sNS9_4plusIvEENS9_8equal_toIsEEsEE10hipError_tPvRmT2_T3_T4_T5_mT6_T7_P12ihipStream_tbENKUlT_T0_E_clISt17integral_constantIbLb1EESZ_EEDaSU_SV_EUlSU_E_NS1_11comp_targetILNS1_3genE8ELNS1_11target_archE1030ELNS1_3gpuE2ELNS1_3repE0EEENS1_30default_config_static_selectorELNS0_4arch9wavefront6targetE0EEEvT1_.has_indirect_call, 0
	.section	.AMDGPU.csdata,"",@progbits
; Kernel info:
; codeLenInByte = 4
; TotalNumSgprs: 0
; NumVgprs: 0
; ScratchSize: 0
; MemoryBound: 0
; FloatMode: 240
; IeeeMode: 1
; LDSByteSize: 0 bytes/workgroup (compile time only)
; SGPRBlocks: 0
; VGPRBlocks: 0
; NumSGPRsForWavesPerEU: 1
; NumVGPRsForWavesPerEU: 1
; Occupancy: 16
; WaveLimiterHint : 0
; COMPUTE_PGM_RSRC2:SCRATCH_EN: 0
; COMPUTE_PGM_RSRC2:USER_SGPR: 6
; COMPUTE_PGM_RSRC2:TRAP_HANDLER: 0
; COMPUTE_PGM_RSRC2:TGID_X_EN: 1
; COMPUTE_PGM_RSRC2:TGID_Y_EN: 0
; COMPUTE_PGM_RSRC2:TGID_Z_EN: 0
; COMPUTE_PGM_RSRC2:TIDIG_COMP_CNT: 0
	.section	.text._ZN7rocprim17ROCPRIM_400000_NS6detail17trampoline_kernelINS0_14default_configENS1_27scan_by_key_config_selectorIssEEZZNS1_16scan_by_key_implILNS1_25lookback_scan_determinismE0ELb0ES3_N6thrust23THRUST_200600_302600_NS6detail15normal_iteratorINS9_10device_ptrIsEEEESE_SE_sNS9_4plusIvEENS9_8equal_toIsEEsEE10hipError_tPvRmT2_T3_T4_T5_mT6_T7_P12ihipStream_tbENKUlT_T0_E_clISt17integral_constantIbLb1EESY_IbLb0EEEEDaSU_SV_EUlSU_E_NS1_11comp_targetILNS1_3genE0ELNS1_11target_archE4294967295ELNS1_3gpuE0ELNS1_3repE0EEENS1_30default_config_static_selectorELNS0_4arch9wavefront6targetE0EEEvT1_,"axG",@progbits,_ZN7rocprim17ROCPRIM_400000_NS6detail17trampoline_kernelINS0_14default_configENS1_27scan_by_key_config_selectorIssEEZZNS1_16scan_by_key_implILNS1_25lookback_scan_determinismE0ELb0ES3_N6thrust23THRUST_200600_302600_NS6detail15normal_iteratorINS9_10device_ptrIsEEEESE_SE_sNS9_4plusIvEENS9_8equal_toIsEEsEE10hipError_tPvRmT2_T3_T4_T5_mT6_T7_P12ihipStream_tbENKUlT_T0_E_clISt17integral_constantIbLb1EESY_IbLb0EEEEDaSU_SV_EUlSU_E_NS1_11comp_targetILNS1_3genE0ELNS1_11target_archE4294967295ELNS1_3gpuE0ELNS1_3repE0EEENS1_30default_config_static_selectorELNS0_4arch9wavefront6targetE0EEEvT1_,comdat
	.protected	_ZN7rocprim17ROCPRIM_400000_NS6detail17trampoline_kernelINS0_14default_configENS1_27scan_by_key_config_selectorIssEEZZNS1_16scan_by_key_implILNS1_25lookback_scan_determinismE0ELb0ES3_N6thrust23THRUST_200600_302600_NS6detail15normal_iteratorINS9_10device_ptrIsEEEESE_SE_sNS9_4plusIvEENS9_8equal_toIsEEsEE10hipError_tPvRmT2_T3_T4_T5_mT6_T7_P12ihipStream_tbENKUlT_T0_E_clISt17integral_constantIbLb1EESY_IbLb0EEEEDaSU_SV_EUlSU_E_NS1_11comp_targetILNS1_3genE0ELNS1_11target_archE4294967295ELNS1_3gpuE0ELNS1_3repE0EEENS1_30default_config_static_selectorELNS0_4arch9wavefront6targetE0EEEvT1_ ; -- Begin function _ZN7rocprim17ROCPRIM_400000_NS6detail17trampoline_kernelINS0_14default_configENS1_27scan_by_key_config_selectorIssEEZZNS1_16scan_by_key_implILNS1_25lookback_scan_determinismE0ELb0ES3_N6thrust23THRUST_200600_302600_NS6detail15normal_iteratorINS9_10device_ptrIsEEEESE_SE_sNS9_4plusIvEENS9_8equal_toIsEEsEE10hipError_tPvRmT2_T3_T4_T5_mT6_T7_P12ihipStream_tbENKUlT_T0_E_clISt17integral_constantIbLb1EESY_IbLb0EEEEDaSU_SV_EUlSU_E_NS1_11comp_targetILNS1_3genE0ELNS1_11target_archE4294967295ELNS1_3gpuE0ELNS1_3repE0EEENS1_30default_config_static_selectorELNS0_4arch9wavefront6targetE0EEEvT1_
	.globl	_ZN7rocprim17ROCPRIM_400000_NS6detail17trampoline_kernelINS0_14default_configENS1_27scan_by_key_config_selectorIssEEZZNS1_16scan_by_key_implILNS1_25lookback_scan_determinismE0ELb0ES3_N6thrust23THRUST_200600_302600_NS6detail15normal_iteratorINS9_10device_ptrIsEEEESE_SE_sNS9_4plusIvEENS9_8equal_toIsEEsEE10hipError_tPvRmT2_T3_T4_T5_mT6_T7_P12ihipStream_tbENKUlT_T0_E_clISt17integral_constantIbLb1EESY_IbLb0EEEEDaSU_SV_EUlSU_E_NS1_11comp_targetILNS1_3genE0ELNS1_11target_archE4294967295ELNS1_3gpuE0ELNS1_3repE0EEENS1_30default_config_static_selectorELNS0_4arch9wavefront6targetE0EEEvT1_
	.p2align	8
	.type	_ZN7rocprim17ROCPRIM_400000_NS6detail17trampoline_kernelINS0_14default_configENS1_27scan_by_key_config_selectorIssEEZZNS1_16scan_by_key_implILNS1_25lookback_scan_determinismE0ELb0ES3_N6thrust23THRUST_200600_302600_NS6detail15normal_iteratorINS9_10device_ptrIsEEEESE_SE_sNS9_4plusIvEENS9_8equal_toIsEEsEE10hipError_tPvRmT2_T3_T4_T5_mT6_T7_P12ihipStream_tbENKUlT_T0_E_clISt17integral_constantIbLb1EESY_IbLb0EEEEDaSU_SV_EUlSU_E_NS1_11comp_targetILNS1_3genE0ELNS1_11target_archE4294967295ELNS1_3gpuE0ELNS1_3repE0EEENS1_30default_config_static_selectorELNS0_4arch9wavefront6targetE0EEEvT1_,@function
_ZN7rocprim17ROCPRIM_400000_NS6detail17trampoline_kernelINS0_14default_configENS1_27scan_by_key_config_selectorIssEEZZNS1_16scan_by_key_implILNS1_25lookback_scan_determinismE0ELb0ES3_N6thrust23THRUST_200600_302600_NS6detail15normal_iteratorINS9_10device_ptrIsEEEESE_SE_sNS9_4plusIvEENS9_8equal_toIsEEsEE10hipError_tPvRmT2_T3_T4_T5_mT6_T7_P12ihipStream_tbENKUlT_T0_E_clISt17integral_constantIbLb1EESY_IbLb0EEEEDaSU_SV_EUlSU_E_NS1_11comp_targetILNS1_3genE0ELNS1_11target_archE4294967295ELNS1_3gpuE0ELNS1_3repE0EEENS1_30default_config_static_selectorELNS0_4arch9wavefront6targetE0EEEvT1_: ; @_ZN7rocprim17ROCPRIM_400000_NS6detail17trampoline_kernelINS0_14default_configENS1_27scan_by_key_config_selectorIssEEZZNS1_16scan_by_key_implILNS1_25lookback_scan_determinismE0ELb0ES3_N6thrust23THRUST_200600_302600_NS6detail15normal_iteratorINS9_10device_ptrIsEEEESE_SE_sNS9_4plusIvEENS9_8equal_toIsEEsEE10hipError_tPvRmT2_T3_T4_T5_mT6_T7_P12ihipStream_tbENKUlT_T0_E_clISt17integral_constantIbLb1EESY_IbLb0EEEEDaSU_SV_EUlSU_E_NS1_11comp_targetILNS1_3genE0ELNS1_11target_archE4294967295ELNS1_3gpuE0ELNS1_3repE0EEENS1_30default_config_static_selectorELNS0_4arch9wavefront6targetE0EEEvT1_
; %bb.0:
	.section	.rodata,"a",@progbits
	.p2align	6, 0x0
	.amdhsa_kernel _ZN7rocprim17ROCPRIM_400000_NS6detail17trampoline_kernelINS0_14default_configENS1_27scan_by_key_config_selectorIssEEZZNS1_16scan_by_key_implILNS1_25lookback_scan_determinismE0ELb0ES3_N6thrust23THRUST_200600_302600_NS6detail15normal_iteratorINS9_10device_ptrIsEEEESE_SE_sNS9_4plusIvEENS9_8equal_toIsEEsEE10hipError_tPvRmT2_T3_T4_T5_mT6_T7_P12ihipStream_tbENKUlT_T0_E_clISt17integral_constantIbLb1EESY_IbLb0EEEEDaSU_SV_EUlSU_E_NS1_11comp_targetILNS1_3genE0ELNS1_11target_archE4294967295ELNS1_3gpuE0ELNS1_3repE0EEENS1_30default_config_static_selectorELNS0_4arch9wavefront6targetE0EEEvT1_
		.amdhsa_group_segment_fixed_size 0
		.amdhsa_private_segment_fixed_size 0
		.amdhsa_kernarg_size 112
		.amdhsa_user_sgpr_count 6
		.amdhsa_user_sgpr_private_segment_buffer 1
		.amdhsa_user_sgpr_dispatch_ptr 0
		.amdhsa_user_sgpr_queue_ptr 0
		.amdhsa_user_sgpr_kernarg_segment_ptr 1
		.amdhsa_user_sgpr_dispatch_id 0
		.amdhsa_user_sgpr_flat_scratch_init 0
		.amdhsa_user_sgpr_private_segment_size 0
		.amdhsa_wavefront_size32 1
		.amdhsa_uses_dynamic_stack 0
		.amdhsa_system_sgpr_private_segment_wavefront_offset 0
		.amdhsa_system_sgpr_workgroup_id_x 1
		.amdhsa_system_sgpr_workgroup_id_y 0
		.amdhsa_system_sgpr_workgroup_id_z 0
		.amdhsa_system_sgpr_workgroup_info 0
		.amdhsa_system_vgpr_workitem_id 0
		.amdhsa_next_free_vgpr 1
		.amdhsa_next_free_sgpr 1
		.amdhsa_reserve_vcc 0
		.amdhsa_reserve_flat_scratch 0
		.amdhsa_float_round_mode_32 0
		.amdhsa_float_round_mode_16_64 0
		.amdhsa_float_denorm_mode_32 3
		.amdhsa_float_denorm_mode_16_64 3
		.amdhsa_dx10_clamp 1
		.amdhsa_ieee_mode 1
		.amdhsa_fp16_overflow 0
		.amdhsa_workgroup_processor_mode 1
		.amdhsa_memory_ordered 1
		.amdhsa_forward_progress 1
		.amdhsa_shared_vgpr_count 0
		.amdhsa_exception_fp_ieee_invalid_op 0
		.amdhsa_exception_fp_denorm_src 0
		.amdhsa_exception_fp_ieee_div_zero 0
		.amdhsa_exception_fp_ieee_overflow 0
		.amdhsa_exception_fp_ieee_underflow 0
		.amdhsa_exception_fp_ieee_inexact 0
		.amdhsa_exception_int_div_zero 0
	.end_amdhsa_kernel
	.section	.text._ZN7rocprim17ROCPRIM_400000_NS6detail17trampoline_kernelINS0_14default_configENS1_27scan_by_key_config_selectorIssEEZZNS1_16scan_by_key_implILNS1_25lookback_scan_determinismE0ELb0ES3_N6thrust23THRUST_200600_302600_NS6detail15normal_iteratorINS9_10device_ptrIsEEEESE_SE_sNS9_4plusIvEENS9_8equal_toIsEEsEE10hipError_tPvRmT2_T3_T4_T5_mT6_T7_P12ihipStream_tbENKUlT_T0_E_clISt17integral_constantIbLb1EESY_IbLb0EEEEDaSU_SV_EUlSU_E_NS1_11comp_targetILNS1_3genE0ELNS1_11target_archE4294967295ELNS1_3gpuE0ELNS1_3repE0EEENS1_30default_config_static_selectorELNS0_4arch9wavefront6targetE0EEEvT1_,"axG",@progbits,_ZN7rocprim17ROCPRIM_400000_NS6detail17trampoline_kernelINS0_14default_configENS1_27scan_by_key_config_selectorIssEEZZNS1_16scan_by_key_implILNS1_25lookback_scan_determinismE0ELb0ES3_N6thrust23THRUST_200600_302600_NS6detail15normal_iteratorINS9_10device_ptrIsEEEESE_SE_sNS9_4plusIvEENS9_8equal_toIsEEsEE10hipError_tPvRmT2_T3_T4_T5_mT6_T7_P12ihipStream_tbENKUlT_T0_E_clISt17integral_constantIbLb1EESY_IbLb0EEEEDaSU_SV_EUlSU_E_NS1_11comp_targetILNS1_3genE0ELNS1_11target_archE4294967295ELNS1_3gpuE0ELNS1_3repE0EEENS1_30default_config_static_selectorELNS0_4arch9wavefront6targetE0EEEvT1_,comdat
.Lfunc_end335:
	.size	_ZN7rocprim17ROCPRIM_400000_NS6detail17trampoline_kernelINS0_14default_configENS1_27scan_by_key_config_selectorIssEEZZNS1_16scan_by_key_implILNS1_25lookback_scan_determinismE0ELb0ES3_N6thrust23THRUST_200600_302600_NS6detail15normal_iteratorINS9_10device_ptrIsEEEESE_SE_sNS9_4plusIvEENS9_8equal_toIsEEsEE10hipError_tPvRmT2_T3_T4_T5_mT6_T7_P12ihipStream_tbENKUlT_T0_E_clISt17integral_constantIbLb1EESY_IbLb0EEEEDaSU_SV_EUlSU_E_NS1_11comp_targetILNS1_3genE0ELNS1_11target_archE4294967295ELNS1_3gpuE0ELNS1_3repE0EEENS1_30default_config_static_selectorELNS0_4arch9wavefront6targetE0EEEvT1_, .Lfunc_end335-_ZN7rocprim17ROCPRIM_400000_NS6detail17trampoline_kernelINS0_14default_configENS1_27scan_by_key_config_selectorIssEEZZNS1_16scan_by_key_implILNS1_25lookback_scan_determinismE0ELb0ES3_N6thrust23THRUST_200600_302600_NS6detail15normal_iteratorINS9_10device_ptrIsEEEESE_SE_sNS9_4plusIvEENS9_8equal_toIsEEsEE10hipError_tPvRmT2_T3_T4_T5_mT6_T7_P12ihipStream_tbENKUlT_T0_E_clISt17integral_constantIbLb1EESY_IbLb0EEEEDaSU_SV_EUlSU_E_NS1_11comp_targetILNS1_3genE0ELNS1_11target_archE4294967295ELNS1_3gpuE0ELNS1_3repE0EEENS1_30default_config_static_selectorELNS0_4arch9wavefront6targetE0EEEvT1_
                                        ; -- End function
	.set _ZN7rocprim17ROCPRIM_400000_NS6detail17trampoline_kernelINS0_14default_configENS1_27scan_by_key_config_selectorIssEEZZNS1_16scan_by_key_implILNS1_25lookback_scan_determinismE0ELb0ES3_N6thrust23THRUST_200600_302600_NS6detail15normal_iteratorINS9_10device_ptrIsEEEESE_SE_sNS9_4plusIvEENS9_8equal_toIsEEsEE10hipError_tPvRmT2_T3_T4_T5_mT6_T7_P12ihipStream_tbENKUlT_T0_E_clISt17integral_constantIbLb1EESY_IbLb0EEEEDaSU_SV_EUlSU_E_NS1_11comp_targetILNS1_3genE0ELNS1_11target_archE4294967295ELNS1_3gpuE0ELNS1_3repE0EEENS1_30default_config_static_selectorELNS0_4arch9wavefront6targetE0EEEvT1_.num_vgpr, 0
	.set _ZN7rocprim17ROCPRIM_400000_NS6detail17trampoline_kernelINS0_14default_configENS1_27scan_by_key_config_selectorIssEEZZNS1_16scan_by_key_implILNS1_25lookback_scan_determinismE0ELb0ES3_N6thrust23THRUST_200600_302600_NS6detail15normal_iteratorINS9_10device_ptrIsEEEESE_SE_sNS9_4plusIvEENS9_8equal_toIsEEsEE10hipError_tPvRmT2_T3_T4_T5_mT6_T7_P12ihipStream_tbENKUlT_T0_E_clISt17integral_constantIbLb1EESY_IbLb0EEEEDaSU_SV_EUlSU_E_NS1_11comp_targetILNS1_3genE0ELNS1_11target_archE4294967295ELNS1_3gpuE0ELNS1_3repE0EEENS1_30default_config_static_selectorELNS0_4arch9wavefront6targetE0EEEvT1_.num_agpr, 0
	.set _ZN7rocprim17ROCPRIM_400000_NS6detail17trampoline_kernelINS0_14default_configENS1_27scan_by_key_config_selectorIssEEZZNS1_16scan_by_key_implILNS1_25lookback_scan_determinismE0ELb0ES3_N6thrust23THRUST_200600_302600_NS6detail15normal_iteratorINS9_10device_ptrIsEEEESE_SE_sNS9_4plusIvEENS9_8equal_toIsEEsEE10hipError_tPvRmT2_T3_T4_T5_mT6_T7_P12ihipStream_tbENKUlT_T0_E_clISt17integral_constantIbLb1EESY_IbLb0EEEEDaSU_SV_EUlSU_E_NS1_11comp_targetILNS1_3genE0ELNS1_11target_archE4294967295ELNS1_3gpuE0ELNS1_3repE0EEENS1_30default_config_static_selectorELNS0_4arch9wavefront6targetE0EEEvT1_.numbered_sgpr, 0
	.set _ZN7rocprim17ROCPRIM_400000_NS6detail17trampoline_kernelINS0_14default_configENS1_27scan_by_key_config_selectorIssEEZZNS1_16scan_by_key_implILNS1_25lookback_scan_determinismE0ELb0ES3_N6thrust23THRUST_200600_302600_NS6detail15normal_iteratorINS9_10device_ptrIsEEEESE_SE_sNS9_4plusIvEENS9_8equal_toIsEEsEE10hipError_tPvRmT2_T3_T4_T5_mT6_T7_P12ihipStream_tbENKUlT_T0_E_clISt17integral_constantIbLb1EESY_IbLb0EEEEDaSU_SV_EUlSU_E_NS1_11comp_targetILNS1_3genE0ELNS1_11target_archE4294967295ELNS1_3gpuE0ELNS1_3repE0EEENS1_30default_config_static_selectorELNS0_4arch9wavefront6targetE0EEEvT1_.num_named_barrier, 0
	.set _ZN7rocprim17ROCPRIM_400000_NS6detail17trampoline_kernelINS0_14default_configENS1_27scan_by_key_config_selectorIssEEZZNS1_16scan_by_key_implILNS1_25lookback_scan_determinismE0ELb0ES3_N6thrust23THRUST_200600_302600_NS6detail15normal_iteratorINS9_10device_ptrIsEEEESE_SE_sNS9_4plusIvEENS9_8equal_toIsEEsEE10hipError_tPvRmT2_T3_T4_T5_mT6_T7_P12ihipStream_tbENKUlT_T0_E_clISt17integral_constantIbLb1EESY_IbLb0EEEEDaSU_SV_EUlSU_E_NS1_11comp_targetILNS1_3genE0ELNS1_11target_archE4294967295ELNS1_3gpuE0ELNS1_3repE0EEENS1_30default_config_static_selectorELNS0_4arch9wavefront6targetE0EEEvT1_.private_seg_size, 0
	.set _ZN7rocprim17ROCPRIM_400000_NS6detail17trampoline_kernelINS0_14default_configENS1_27scan_by_key_config_selectorIssEEZZNS1_16scan_by_key_implILNS1_25lookback_scan_determinismE0ELb0ES3_N6thrust23THRUST_200600_302600_NS6detail15normal_iteratorINS9_10device_ptrIsEEEESE_SE_sNS9_4plusIvEENS9_8equal_toIsEEsEE10hipError_tPvRmT2_T3_T4_T5_mT6_T7_P12ihipStream_tbENKUlT_T0_E_clISt17integral_constantIbLb1EESY_IbLb0EEEEDaSU_SV_EUlSU_E_NS1_11comp_targetILNS1_3genE0ELNS1_11target_archE4294967295ELNS1_3gpuE0ELNS1_3repE0EEENS1_30default_config_static_selectorELNS0_4arch9wavefront6targetE0EEEvT1_.uses_vcc, 0
	.set _ZN7rocprim17ROCPRIM_400000_NS6detail17trampoline_kernelINS0_14default_configENS1_27scan_by_key_config_selectorIssEEZZNS1_16scan_by_key_implILNS1_25lookback_scan_determinismE0ELb0ES3_N6thrust23THRUST_200600_302600_NS6detail15normal_iteratorINS9_10device_ptrIsEEEESE_SE_sNS9_4plusIvEENS9_8equal_toIsEEsEE10hipError_tPvRmT2_T3_T4_T5_mT6_T7_P12ihipStream_tbENKUlT_T0_E_clISt17integral_constantIbLb1EESY_IbLb0EEEEDaSU_SV_EUlSU_E_NS1_11comp_targetILNS1_3genE0ELNS1_11target_archE4294967295ELNS1_3gpuE0ELNS1_3repE0EEENS1_30default_config_static_selectorELNS0_4arch9wavefront6targetE0EEEvT1_.uses_flat_scratch, 0
	.set _ZN7rocprim17ROCPRIM_400000_NS6detail17trampoline_kernelINS0_14default_configENS1_27scan_by_key_config_selectorIssEEZZNS1_16scan_by_key_implILNS1_25lookback_scan_determinismE0ELb0ES3_N6thrust23THRUST_200600_302600_NS6detail15normal_iteratorINS9_10device_ptrIsEEEESE_SE_sNS9_4plusIvEENS9_8equal_toIsEEsEE10hipError_tPvRmT2_T3_T4_T5_mT6_T7_P12ihipStream_tbENKUlT_T0_E_clISt17integral_constantIbLb1EESY_IbLb0EEEEDaSU_SV_EUlSU_E_NS1_11comp_targetILNS1_3genE0ELNS1_11target_archE4294967295ELNS1_3gpuE0ELNS1_3repE0EEENS1_30default_config_static_selectorELNS0_4arch9wavefront6targetE0EEEvT1_.has_dyn_sized_stack, 0
	.set _ZN7rocprim17ROCPRIM_400000_NS6detail17trampoline_kernelINS0_14default_configENS1_27scan_by_key_config_selectorIssEEZZNS1_16scan_by_key_implILNS1_25lookback_scan_determinismE0ELb0ES3_N6thrust23THRUST_200600_302600_NS6detail15normal_iteratorINS9_10device_ptrIsEEEESE_SE_sNS9_4plusIvEENS9_8equal_toIsEEsEE10hipError_tPvRmT2_T3_T4_T5_mT6_T7_P12ihipStream_tbENKUlT_T0_E_clISt17integral_constantIbLb1EESY_IbLb0EEEEDaSU_SV_EUlSU_E_NS1_11comp_targetILNS1_3genE0ELNS1_11target_archE4294967295ELNS1_3gpuE0ELNS1_3repE0EEENS1_30default_config_static_selectorELNS0_4arch9wavefront6targetE0EEEvT1_.has_recursion, 0
	.set _ZN7rocprim17ROCPRIM_400000_NS6detail17trampoline_kernelINS0_14default_configENS1_27scan_by_key_config_selectorIssEEZZNS1_16scan_by_key_implILNS1_25lookback_scan_determinismE0ELb0ES3_N6thrust23THRUST_200600_302600_NS6detail15normal_iteratorINS9_10device_ptrIsEEEESE_SE_sNS9_4plusIvEENS9_8equal_toIsEEsEE10hipError_tPvRmT2_T3_T4_T5_mT6_T7_P12ihipStream_tbENKUlT_T0_E_clISt17integral_constantIbLb1EESY_IbLb0EEEEDaSU_SV_EUlSU_E_NS1_11comp_targetILNS1_3genE0ELNS1_11target_archE4294967295ELNS1_3gpuE0ELNS1_3repE0EEENS1_30default_config_static_selectorELNS0_4arch9wavefront6targetE0EEEvT1_.has_indirect_call, 0
	.section	.AMDGPU.csdata,"",@progbits
; Kernel info:
; codeLenInByte = 0
; TotalNumSgprs: 0
; NumVgprs: 0
; ScratchSize: 0
; MemoryBound: 0
; FloatMode: 240
; IeeeMode: 1
; LDSByteSize: 0 bytes/workgroup (compile time only)
; SGPRBlocks: 0
; VGPRBlocks: 0
; NumSGPRsForWavesPerEU: 1
; NumVGPRsForWavesPerEU: 1
; Occupancy: 16
; WaveLimiterHint : 0
; COMPUTE_PGM_RSRC2:SCRATCH_EN: 0
; COMPUTE_PGM_RSRC2:USER_SGPR: 6
; COMPUTE_PGM_RSRC2:TRAP_HANDLER: 0
; COMPUTE_PGM_RSRC2:TGID_X_EN: 1
; COMPUTE_PGM_RSRC2:TGID_Y_EN: 0
; COMPUTE_PGM_RSRC2:TGID_Z_EN: 0
; COMPUTE_PGM_RSRC2:TIDIG_COMP_CNT: 0
	.section	.text._ZN7rocprim17ROCPRIM_400000_NS6detail17trampoline_kernelINS0_14default_configENS1_27scan_by_key_config_selectorIssEEZZNS1_16scan_by_key_implILNS1_25lookback_scan_determinismE0ELb0ES3_N6thrust23THRUST_200600_302600_NS6detail15normal_iteratorINS9_10device_ptrIsEEEESE_SE_sNS9_4plusIvEENS9_8equal_toIsEEsEE10hipError_tPvRmT2_T3_T4_T5_mT6_T7_P12ihipStream_tbENKUlT_T0_E_clISt17integral_constantIbLb1EESY_IbLb0EEEEDaSU_SV_EUlSU_E_NS1_11comp_targetILNS1_3genE10ELNS1_11target_archE1201ELNS1_3gpuE5ELNS1_3repE0EEENS1_30default_config_static_selectorELNS0_4arch9wavefront6targetE0EEEvT1_,"axG",@progbits,_ZN7rocprim17ROCPRIM_400000_NS6detail17trampoline_kernelINS0_14default_configENS1_27scan_by_key_config_selectorIssEEZZNS1_16scan_by_key_implILNS1_25lookback_scan_determinismE0ELb0ES3_N6thrust23THRUST_200600_302600_NS6detail15normal_iteratorINS9_10device_ptrIsEEEESE_SE_sNS9_4plusIvEENS9_8equal_toIsEEsEE10hipError_tPvRmT2_T3_T4_T5_mT6_T7_P12ihipStream_tbENKUlT_T0_E_clISt17integral_constantIbLb1EESY_IbLb0EEEEDaSU_SV_EUlSU_E_NS1_11comp_targetILNS1_3genE10ELNS1_11target_archE1201ELNS1_3gpuE5ELNS1_3repE0EEENS1_30default_config_static_selectorELNS0_4arch9wavefront6targetE0EEEvT1_,comdat
	.protected	_ZN7rocprim17ROCPRIM_400000_NS6detail17trampoline_kernelINS0_14default_configENS1_27scan_by_key_config_selectorIssEEZZNS1_16scan_by_key_implILNS1_25lookback_scan_determinismE0ELb0ES3_N6thrust23THRUST_200600_302600_NS6detail15normal_iteratorINS9_10device_ptrIsEEEESE_SE_sNS9_4plusIvEENS9_8equal_toIsEEsEE10hipError_tPvRmT2_T3_T4_T5_mT6_T7_P12ihipStream_tbENKUlT_T0_E_clISt17integral_constantIbLb1EESY_IbLb0EEEEDaSU_SV_EUlSU_E_NS1_11comp_targetILNS1_3genE10ELNS1_11target_archE1201ELNS1_3gpuE5ELNS1_3repE0EEENS1_30default_config_static_selectorELNS0_4arch9wavefront6targetE0EEEvT1_ ; -- Begin function _ZN7rocprim17ROCPRIM_400000_NS6detail17trampoline_kernelINS0_14default_configENS1_27scan_by_key_config_selectorIssEEZZNS1_16scan_by_key_implILNS1_25lookback_scan_determinismE0ELb0ES3_N6thrust23THRUST_200600_302600_NS6detail15normal_iteratorINS9_10device_ptrIsEEEESE_SE_sNS9_4plusIvEENS9_8equal_toIsEEsEE10hipError_tPvRmT2_T3_T4_T5_mT6_T7_P12ihipStream_tbENKUlT_T0_E_clISt17integral_constantIbLb1EESY_IbLb0EEEEDaSU_SV_EUlSU_E_NS1_11comp_targetILNS1_3genE10ELNS1_11target_archE1201ELNS1_3gpuE5ELNS1_3repE0EEENS1_30default_config_static_selectorELNS0_4arch9wavefront6targetE0EEEvT1_
	.globl	_ZN7rocprim17ROCPRIM_400000_NS6detail17trampoline_kernelINS0_14default_configENS1_27scan_by_key_config_selectorIssEEZZNS1_16scan_by_key_implILNS1_25lookback_scan_determinismE0ELb0ES3_N6thrust23THRUST_200600_302600_NS6detail15normal_iteratorINS9_10device_ptrIsEEEESE_SE_sNS9_4plusIvEENS9_8equal_toIsEEsEE10hipError_tPvRmT2_T3_T4_T5_mT6_T7_P12ihipStream_tbENKUlT_T0_E_clISt17integral_constantIbLb1EESY_IbLb0EEEEDaSU_SV_EUlSU_E_NS1_11comp_targetILNS1_3genE10ELNS1_11target_archE1201ELNS1_3gpuE5ELNS1_3repE0EEENS1_30default_config_static_selectorELNS0_4arch9wavefront6targetE0EEEvT1_
	.p2align	8
	.type	_ZN7rocprim17ROCPRIM_400000_NS6detail17trampoline_kernelINS0_14default_configENS1_27scan_by_key_config_selectorIssEEZZNS1_16scan_by_key_implILNS1_25lookback_scan_determinismE0ELb0ES3_N6thrust23THRUST_200600_302600_NS6detail15normal_iteratorINS9_10device_ptrIsEEEESE_SE_sNS9_4plusIvEENS9_8equal_toIsEEsEE10hipError_tPvRmT2_T3_T4_T5_mT6_T7_P12ihipStream_tbENKUlT_T0_E_clISt17integral_constantIbLb1EESY_IbLb0EEEEDaSU_SV_EUlSU_E_NS1_11comp_targetILNS1_3genE10ELNS1_11target_archE1201ELNS1_3gpuE5ELNS1_3repE0EEENS1_30default_config_static_selectorELNS0_4arch9wavefront6targetE0EEEvT1_,@function
_ZN7rocprim17ROCPRIM_400000_NS6detail17trampoline_kernelINS0_14default_configENS1_27scan_by_key_config_selectorIssEEZZNS1_16scan_by_key_implILNS1_25lookback_scan_determinismE0ELb0ES3_N6thrust23THRUST_200600_302600_NS6detail15normal_iteratorINS9_10device_ptrIsEEEESE_SE_sNS9_4plusIvEENS9_8equal_toIsEEsEE10hipError_tPvRmT2_T3_T4_T5_mT6_T7_P12ihipStream_tbENKUlT_T0_E_clISt17integral_constantIbLb1EESY_IbLb0EEEEDaSU_SV_EUlSU_E_NS1_11comp_targetILNS1_3genE10ELNS1_11target_archE1201ELNS1_3gpuE5ELNS1_3repE0EEENS1_30default_config_static_selectorELNS0_4arch9wavefront6targetE0EEEvT1_: ; @_ZN7rocprim17ROCPRIM_400000_NS6detail17trampoline_kernelINS0_14default_configENS1_27scan_by_key_config_selectorIssEEZZNS1_16scan_by_key_implILNS1_25lookback_scan_determinismE0ELb0ES3_N6thrust23THRUST_200600_302600_NS6detail15normal_iteratorINS9_10device_ptrIsEEEESE_SE_sNS9_4plusIvEENS9_8equal_toIsEEsEE10hipError_tPvRmT2_T3_T4_T5_mT6_T7_P12ihipStream_tbENKUlT_T0_E_clISt17integral_constantIbLb1EESY_IbLb0EEEEDaSU_SV_EUlSU_E_NS1_11comp_targetILNS1_3genE10ELNS1_11target_archE1201ELNS1_3gpuE5ELNS1_3repE0EEENS1_30default_config_static_selectorELNS0_4arch9wavefront6targetE0EEEvT1_
; %bb.0:
	.section	.rodata,"a",@progbits
	.p2align	6, 0x0
	.amdhsa_kernel _ZN7rocprim17ROCPRIM_400000_NS6detail17trampoline_kernelINS0_14default_configENS1_27scan_by_key_config_selectorIssEEZZNS1_16scan_by_key_implILNS1_25lookback_scan_determinismE0ELb0ES3_N6thrust23THRUST_200600_302600_NS6detail15normal_iteratorINS9_10device_ptrIsEEEESE_SE_sNS9_4plusIvEENS9_8equal_toIsEEsEE10hipError_tPvRmT2_T3_T4_T5_mT6_T7_P12ihipStream_tbENKUlT_T0_E_clISt17integral_constantIbLb1EESY_IbLb0EEEEDaSU_SV_EUlSU_E_NS1_11comp_targetILNS1_3genE10ELNS1_11target_archE1201ELNS1_3gpuE5ELNS1_3repE0EEENS1_30default_config_static_selectorELNS0_4arch9wavefront6targetE0EEEvT1_
		.amdhsa_group_segment_fixed_size 0
		.amdhsa_private_segment_fixed_size 0
		.amdhsa_kernarg_size 112
		.amdhsa_user_sgpr_count 6
		.amdhsa_user_sgpr_private_segment_buffer 1
		.amdhsa_user_sgpr_dispatch_ptr 0
		.amdhsa_user_sgpr_queue_ptr 0
		.amdhsa_user_sgpr_kernarg_segment_ptr 1
		.amdhsa_user_sgpr_dispatch_id 0
		.amdhsa_user_sgpr_flat_scratch_init 0
		.amdhsa_user_sgpr_private_segment_size 0
		.amdhsa_wavefront_size32 1
		.amdhsa_uses_dynamic_stack 0
		.amdhsa_system_sgpr_private_segment_wavefront_offset 0
		.amdhsa_system_sgpr_workgroup_id_x 1
		.amdhsa_system_sgpr_workgroup_id_y 0
		.amdhsa_system_sgpr_workgroup_id_z 0
		.amdhsa_system_sgpr_workgroup_info 0
		.amdhsa_system_vgpr_workitem_id 0
		.amdhsa_next_free_vgpr 1
		.amdhsa_next_free_sgpr 1
		.amdhsa_reserve_vcc 0
		.amdhsa_reserve_flat_scratch 0
		.amdhsa_float_round_mode_32 0
		.amdhsa_float_round_mode_16_64 0
		.amdhsa_float_denorm_mode_32 3
		.amdhsa_float_denorm_mode_16_64 3
		.amdhsa_dx10_clamp 1
		.amdhsa_ieee_mode 1
		.amdhsa_fp16_overflow 0
		.amdhsa_workgroup_processor_mode 1
		.amdhsa_memory_ordered 1
		.amdhsa_forward_progress 1
		.amdhsa_shared_vgpr_count 0
		.amdhsa_exception_fp_ieee_invalid_op 0
		.amdhsa_exception_fp_denorm_src 0
		.amdhsa_exception_fp_ieee_div_zero 0
		.amdhsa_exception_fp_ieee_overflow 0
		.amdhsa_exception_fp_ieee_underflow 0
		.amdhsa_exception_fp_ieee_inexact 0
		.amdhsa_exception_int_div_zero 0
	.end_amdhsa_kernel
	.section	.text._ZN7rocprim17ROCPRIM_400000_NS6detail17trampoline_kernelINS0_14default_configENS1_27scan_by_key_config_selectorIssEEZZNS1_16scan_by_key_implILNS1_25lookback_scan_determinismE0ELb0ES3_N6thrust23THRUST_200600_302600_NS6detail15normal_iteratorINS9_10device_ptrIsEEEESE_SE_sNS9_4plusIvEENS9_8equal_toIsEEsEE10hipError_tPvRmT2_T3_T4_T5_mT6_T7_P12ihipStream_tbENKUlT_T0_E_clISt17integral_constantIbLb1EESY_IbLb0EEEEDaSU_SV_EUlSU_E_NS1_11comp_targetILNS1_3genE10ELNS1_11target_archE1201ELNS1_3gpuE5ELNS1_3repE0EEENS1_30default_config_static_selectorELNS0_4arch9wavefront6targetE0EEEvT1_,"axG",@progbits,_ZN7rocprim17ROCPRIM_400000_NS6detail17trampoline_kernelINS0_14default_configENS1_27scan_by_key_config_selectorIssEEZZNS1_16scan_by_key_implILNS1_25lookback_scan_determinismE0ELb0ES3_N6thrust23THRUST_200600_302600_NS6detail15normal_iteratorINS9_10device_ptrIsEEEESE_SE_sNS9_4plusIvEENS9_8equal_toIsEEsEE10hipError_tPvRmT2_T3_T4_T5_mT6_T7_P12ihipStream_tbENKUlT_T0_E_clISt17integral_constantIbLb1EESY_IbLb0EEEEDaSU_SV_EUlSU_E_NS1_11comp_targetILNS1_3genE10ELNS1_11target_archE1201ELNS1_3gpuE5ELNS1_3repE0EEENS1_30default_config_static_selectorELNS0_4arch9wavefront6targetE0EEEvT1_,comdat
.Lfunc_end336:
	.size	_ZN7rocprim17ROCPRIM_400000_NS6detail17trampoline_kernelINS0_14default_configENS1_27scan_by_key_config_selectorIssEEZZNS1_16scan_by_key_implILNS1_25lookback_scan_determinismE0ELb0ES3_N6thrust23THRUST_200600_302600_NS6detail15normal_iteratorINS9_10device_ptrIsEEEESE_SE_sNS9_4plusIvEENS9_8equal_toIsEEsEE10hipError_tPvRmT2_T3_T4_T5_mT6_T7_P12ihipStream_tbENKUlT_T0_E_clISt17integral_constantIbLb1EESY_IbLb0EEEEDaSU_SV_EUlSU_E_NS1_11comp_targetILNS1_3genE10ELNS1_11target_archE1201ELNS1_3gpuE5ELNS1_3repE0EEENS1_30default_config_static_selectorELNS0_4arch9wavefront6targetE0EEEvT1_, .Lfunc_end336-_ZN7rocprim17ROCPRIM_400000_NS6detail17trampoline_kernelINS0_14default_configENS1_27scan_by_key_config_selectorIssEEZZNS1_16scan_by_key_implILNS1_25lookback_scan_determinismE0ELb0ES3_N6thrust23THRUST_200600_302600_NS6detail15normal_iteratorINS9_10device_ptrIsEEEESE_SE_sNS9_4plusIvEENS9_8equal_toIsEEsEE10hipError_tPvRmT2_T3_T4_T5_mT6_T7_P12ihipStream_tbENKUlT_T0_E_clISt17integral_constantIbLb1EESY_IbLb0EEEEDaSU_SV_EUlSU_E_NS1_11comp_targetILNS1_3genE10ELNS1_11target_archE1201ELNS1_3gpuE5ELNS1_3repE0EEENS1_30default_config_static_selectorELNS0_4arch9wavefront6targetE0EEEvT1_
                                        ; -- End function
	.set _ZN7rocprim17ROCPRIM_400000_NS6detail17trampoline_kernelINS0_14default_configENS1_27scan_by_key_config_selectorIssEEZZNS1_16scan_by_key_implILNS1_25lookback_scan_determinismE0ELb0ES3_N6thrust23THRUST_200600_302600_NS6detail15normal_iteratorINS9_10device_ptrIsEEEESE_SE_sNS9_4plusIvEENS9_8equal_toIsEEsEE10hipError_tPvRmT2_T3_T4_T5_mT6_T7_P12ihipStream_tbENKUlT_T0_E_clISt17integral_constantIbLb1EESY_IbLb0EEEEDaSU_SV_EUlSU_E_NS1_11comp_targetILNS1_3genE10ELNS1_11target_archE1201ELNS1_3gpuE5ELNS1_3repE0EEENS1_30default_config_static_selectorELNS0_4arch9wavefront6targetE0EEEvT1_.num_vgpr, 0
	.set _ZN7rocprim17ROCPRIM_400000_NS6detail17trampoline_kernelINS0_14default_configENS1_27scan_by_key_config_selectorIssEEZZNS1_16scan_by_key_implILNS1_25lookback_scan_determinismE0ELb0ES3_N6thrust23THRUST_200600_302600_NS6detail15normal_iteratorINS9_10device_ptrIsEEEESE_SE_sNS9_4plusIvEENS9_8equal_toIsEEsEE10hipError_tPvRmT2_T3_T4_T5_mT6_T7_P12ihipStream_tbENKUlT_T0_E_clISt17integral_constantIbLb1EESY_IbLb0EEEEDaSU_SV_EUlSU_E_NS1_11comp_targetILNS1_3genE10ELNS1_11target_archE1201ELNS1_3gpuE5ELNS1_3repE0EEENS1_30default_config_static_selectorELNS0_4arch9wavefront6targetE0EEEvT1_.num_agpr, 0
	.set _ZN7rocprim17ROCPRIM_400000_NS6detail17trampoline_kernelINS0_14default_configENS1_27scan_by_key_config_selectorIssEEZZNS1_16scan_by_key_implILNS1_25lookback_scan_determinismE0ELb0ES3_N6thrust23THRUST_200600_302600_NS6detail15normal_iteratorINS9_10device_ptrIsEEEESE_SE_sNS9_4plusIvEENS9_8equal_toIsEEsEE10hipError_tPvRmT2_T3_T4_T5_mT6_T7_P12ihipStream_tbENKUlT_T0_E_clISt17integral_constantIbLb1EESY_IbLb0EEEEDaSU_SV_EUlSU_E_NS1_11comp_targetILNS1_3genE10ELNS1_11target_archE1201ELNS1_3gpuE5ELNS1_3repE0EEENS1_30default_config_static_selectorELNS0_4arch9wavefront6targetE0EEEvT1_.numbered_sgpr, 0
	.set _ZN7rocprim17ROCPRIM_400000_NS6detail17trampoline_kernelINS0_14default_configENS1_27scan_by_key_config_selectorIssEEZZNS1_16scan_by_key_implILNS1_25lookback_scan_determinismE0ELb0ES3_N6thrust23THRUST_200600_302600_NS6detail15normal_iteratorINS9_10device_ptrIsEEEESE_SE_sNS9_4plusIvEENS9_8equal_toIsEEsEE10hipError_tPvRmT2_T3_T4_T5_mT6_T7_P12ihipStream_tbENKUlT_T0_E_clISt17integral_constantIbLb1EESY_IbLb0EEEEDaSU_SV_EUlSU_E_NS1_11comp_targetILNS1_3genE10ELNS1_11target_archE1201ELNS1_3gpuE5ELNS1_3repE0EEENS1_30default_config_static_selectorELNS0_4arch9wavefront6targetE0EEEvT1_.num_named_barrier, 0
	.set _ZN7rocprim17ROCPRIM_400000_NS6detail17trampoline_kernelINS0_14default_configENS1_27scan_by_key_config_selectorIssEEZZNS1_16scan_by_key_implILNS1_25lookback_scan_determinismE0ELb0ES3_N6thrust23THRUST_200600_302600_NS6detail15normal_iteratorINS9_10device_ptrIsEEEESE_SE_sNS9_4plusIvEENS9_8equal_toIsEEsEE10hipError_tPvRmT2_T3_T4_T5_mT6_T7_P12ihipStream_tbENKUlT_T0_E_clISt17integral_constantIbLb1EESY_IbLb0EEEEDaSU_SV_EUlSU_E_NS1_11comp_targetILNS1_3genE10ELNS1_11target_archE1201ELNS1_3gpuE5ELNS1_3repE0EEENS1_30default_config_static_selectorELNS0_4arch9wavefront6targetE0EEEvT1_.private_seg_size, 0
	.set _ZN7rocprim17ROCPRIM_400000_NS6detail17trampoline_kernelINS0_14default_configENS1_27scan_by_key_config_selectorIssEEZZNS1_16scan_by_key_implILNS1_25lookback_scan_determinismE0ELb0ES3_N6thrust23THRUST_200600_302600_NS6detail15normal_iteratorINS9_10device_ptrIsEEEESE_SE_sNS9_4plusIvEENS9_8equal_toIsEEsEE10hipError_tPvRmT2_T3_T4_T5_mT6_T7_P12ihipStream_tbENKUlT_T0_E_clISt17integral_constantIbLb1EESY_IbLb0EEEEDaSU_SV_EUlSU_E_NS1_11comp_targetILNS1_3genE10ELNS1_11target_archE1201ELNS1_3gpuE5ELNS1_3repE0EEENS1_30default_config_static_selectorELNS0_4arch9wavefront6targetE0EEEvT1_.uses_vcc, 0
	.set _ZN7rocprim17ROCPRIM_400000_NS6detail17trampoline_kernelINS0_14default_configENS1_27scan_by_key_config_selectorIssEEZZNS1_16scan_by_key_implILNS1_25lookback_scan_determinismE0ELb0ES3_N6thrust23THRUST_200600_302600_NS6detail15normal_iteratorINS9_10device_ptrIsEEEESE_SE_sNS9_4plusIvEENS9_8equal_toIsEEsEE10hipError_tPvRmT2_T3_T4_T5_mT6_T7_P12ihipStream_tbENKUlT_T0_E_clISt17integral_constantIbLb1EESY_IbLb0EEEEDaSU_SV_EUlSU_E_NS1_11comp_targetILNS1_3genE10ELNS1_11target_archE1201ELNS1_3gpuE5ELNS1_3repE0EEENS1_30default_config_static_selectorELNS0_4arch9wavefront6targetE0EEEvT1_.uses_flat_scratch, 0
	.set _ZN7rocprim17ROCPRIM_400000_NS6detail17trampoline_kernelINS0_14default_configENS1_27scan_by_key_config_selectorIssEEZZNS1_16scan_by_key_implILNS1_25lookback_scan_determinismE0ELb0ES3_N6thrust23THRUST_200600_302600_NS6detail15normal_iteratorINS9_10device_ptrIsEEEESE_SE_sNS9_4plusIvEENS9_8equal_toIsEEsEE10hipError_tPvRmT2_T3_T4_T5_mT6_T7_P12ihipStream_tbENKUlT_T0_E_clISt17integral_constantIbLb1EESY_IbLb0EEEEDaSU_SV_EUlSU_E_NS1_11comp_targetILNS1_3genE10ELNS1_11target_archE1201ELNS1_3gpuE5ELNS1_3repE0EEENS1_30default_config_static_selectorELNS0_4arch9wavefront6targetE0EEEvT1_.has_dyn_sized_stack, 0
	.set _ZN7rocprim17ROCPRIM_400000_NS6detail17trampoline_kernelINS0_14default_configENS1_27scan_by_key_config_selectorIssEEZZNS1_16scan_by_key_implILNS1_25lookback_scan_determinismE0ELb0ES3_N6thrust23THRUST_200600_302600_NS6detail15normal_iteratorINS9_10device_ptrIsEEEESE_SE_sNS9_4plusIvEENS9_8equal_toIsEEsEE10hipError_tPvRmT2_T3_T4_T5_mT6_T7_P12ihipStream_tbENKUlT_T0_E_clISt17integral_constantIbLb1EESY_IbLb0EEEEDaSU_SV_EUlSU_E_NS1_11comp_targetILNS1_3genE10ELNS1_11target_archE1201ELNS1_3gpuE5ELNS1_3repE0EEENS1_30default_config_static_selectorELNS0_4arch9wavefront6targetE0EEEvT1_.has_recursion, 0
	.set _ZN7rocprim17ROCPRIM_400000_NS6detail17trampoline_kernelINS0_14default_configENS1_27scan_by_key_config_selectorIssEEZZNS1_16scan_by_key_implILNS1_25lookback_scan_determinismE0ELb0ES3_N6thrust23THRUST_200600_302600_NS6detail15normal_iteratorINS9_10device_ptrIsEEEESE_SE_sNS9_4plusIvEENS9_8equal_toIsEEsEE10hipError_tPvRmT2_T3_T4_T5_mT6_T7_P12ihipStream_tbENKUlT_T0_E_clISt17integral_constantIbLb1EESY_IbLb0EEEEDaSU_SV_EUlSU_E_NS1_11comp_targetILNS1_3genE10ELNS1_11target_archE1201ELNS1_3gpuE5ELNS1_3repE0EEENS1_30default_config_static_selectorELNS0_4arch9wavefront6targetE0EEEvT1_.has_indirect_call, 0
	.section	.AMDGPU.csdata,"",@progbits
; Kernel info:
; codeLenInByte = 0
; TotalNumSgprs: 0
; NumVgprs: 0
; ScratchSize: 0
; MemoryBound: 0
; FloatMode: 240
; IeeeMode: 1
; LDSByteSize: 0 bytes/workgroup (compile time only)
; SGPRBlocks: 0
; VGPRBlocks: 0
; NumSGPRsForWavesPerEU: 1
; NumVGPRsForWavesPerEU: 1
; Occupancy: 16
; WaveLimiterHint : 0
; COMPUTE_PGM_RSRC2:SCRATCH_EN: 0
; COMPUTE_PGM_RSRC2:USER_SGPR: 6
; COMPUTE_PGM_RSRC2:TRAP_HANDLER: 0
; COMPUTE_PGM_RSRC2:TGID_X_EN: 1
; COMPUTE_PGM_RSRC2:TGID_Y_EN: 0
; COMPUTE_PGM_RSRC2:TGID_Z_EN: 0
; COMPUTE_PGM_RSRC2:TIDIG_COMP_CNT: 0
	.section	.text._ZN7rocprim17ROCPRIM_400000_NS6detail17trampoline_kernelINS0_14default_configENS1_27scan_by_key_config_selectorIssEEZZNS1_16scan_by_key_implILNS1_25lookback_scan_determinismE0ELb0ES3_N6thrust23THRUST_200600_302600_NS6detail15normal_iteratorINS9_10device_ptrIsEEEESE_SE_sNS9_4plusIvEENS9_8equal_toIsEEsEE10hipError_tPvRmT2_T3_T4_T5_mT6_T7_P12ihipStream_tbENKUlT_T0_E_clISt17integral_constantIbLb1EESY_IbLb0EEEEDaSU_SV_EUlSU_E_NS1_11comp_targetILNS1_3genE5ELNS1_11target_archE942ELNS1_3gpuE9ELNS1_3repE0EEENS1_30default_config_static_selectorELNS0_4arch9wavefront6targetE0EEEvT1_,"axG",@progbits,_ZN7rocprim17ROCPRIM_400000_NS6detail17trampoline_kernelINS0_14default_configENS1_27scan_by_key_config_selectorIssEEZZNS1_16scan_by_key_implILNS1_25lookback_scan_determinismE0ELb0ES3_N6thrust23THRUST_200600_302600_NS6detail15normal_iteratorINS9_10device_ptrIsEEEESE_SE_sNS9_4plusIvEENS9_8equal_toIsEEsEE10hipError_tPvRmT2_T3_T4_T5_mT6_T7_P12ihipStream_tbENKUlT_T0_E_clISt17integral_constantIbLb1EESY_IbLb0EEEEDaSU_SV_EUlSU_E_NS1_11comp_targetILNS1_3genE5ELNS1_11target_archE942ELNS1_3gpuE9ELNS1_3repE0EEENS1_30default_config_static_selectorELNS0_4arch9wavefront6targetE0EEEvT1_,comdat
	.protected	_ZN7rocprim17ROCPRIM_400000_NS6detail17trampoline_kernelINS0_14default_configENS1_27scan_by_key_config_selectorIssEEZZNS1_16scan_by_key_implILNS1_25lookback_scan_determinismE0ELb0ES3_N6thrust23THRUST_200600_302600_NS6detail15normal_iteratorINS9_10device_ptrIsEEEESE_SE_sNS9_4plusIvEENS9_8equal_toIsEEsEE10hipError_tPvRmT2_T3_T4_T5_mT6_T7_P12ihipStream_tbENKUlT_T0_E_clISt17integral_constantIbLb1EESY_IbLb0EEEEDaSU_SV_EUlSU_E_NS1_11comp_targetILNS1_3genE5ELNS1_11target_archE942ELNS1_3gpuE9ELNS1_3repE0EEENS1_30default_config_static_selectorELNS0_4arch9wavefront6targetE0EEEvT1_ ; -- Begin function _ZN7rocprim17ROCPRIM_400000_NS6detail17trampoline_kernelINS0_14default_configENS1_27scan_by_key_config_selectorIssEEZZNS1_16scan_by_key_implILNS1_25lookback_scan_determinismE0ELb0ES3_N6thrust23THRUST_200600_302600_NS6detail15normal_iteratorINS9_10device_ptrIsEEEESE_SE_sNS9_4plusIvEENS9_8equal_toIsEEsEE10hipError_tPvRmT2_T3_T4_T5_mT6_T7_P12ihipStream_tbENKUlT_T0_E_clISt17integral_constantIbLb1EESY_IbLb0EEEEDaSU_SV_EUlSU_E_NS1_11comp_targetILNS1_3genE5ELNS1_11target_archE942ELNS1_3gpuE9ELNS1_3repE0EEENS1_30default_config_static_selectorELNS0_4arch9wavefront6targetE0EEEvT1_
	.globl	_ZN7rocprim17ROCPRIM_400000_NS6detail17trampoline_kernelINS0_14default_configENS1_27scan_by_key_config_selectorIssEEZZNS1_16scan_by_key_implILNS1_25lookback_scan_determinismE0ELb0ES3_N6thrust23THRUST_200600_302600_NS6detail15normal_iteratorINS9_10device_ptrIsEEEESE_SE_sNS9_4plusIvEENS9_8equal_toIsEEsEE10hipError_tPvRmT2_T3_T4_T5_mT6_T7_P12ihipStream_tbENKUlT_T0_E_clISt17integral_constantIbLb1EESY_IbLb0EEEEDaSU_SV_EUlSU_E_NS1_11comp_targetILNS1_3genE5ELNS1_11target_archE942ELNS1_3gpuE9ELNS1_3repE0EEENS1_30default_config_static_selectorELNS0_4arch9wavefront6targetE0EEEvT1_
	.p2align	8
	.type	_ZN7rocprim17ROCPRIM_400000_NS6detail17trampoline_kernelINS0_14default_configENS1_27scan_by_key_config_selectorIssEEZZNS1_16scan_by_key_implILNS1_25lookback_scan_determinismE0ELb0ES3_N6thrust23THRUST_200600_302600_NS6detail15normal_iteratorINS9_10device_ptrIsEEEESE_SE_sNS9_4plusIvEENS9_8equal_toIsEEsEE10hipError_tPvRmT2_T3_T4_T5_mT6_T7_P12ihipStream_tbENKUlT_T0_E_clISt17integral_constantIbLb1EESY_IbLb0EEEEDaSU_SV_EUlSU_E_NS1_11comp_targetILNS1_3genE5ELNS1_11target_archE942ELNS1_3gpuE9ELNS1_3repE0EEENS1_30default_config_static_selectorELNS0_4arch9wavefront6targetE0EEEvT1_,@function
_ZN7rocprim17ROCPRIM_400000_NS6detail17trampoline_kernelINS0_14default_configENS1_27scan_by_key_config_selectorIssEEZZNS1_16scan_by_key_implILNS1_25lookback_scan_determinismE0ELb0ES3_N6thrust23THRUST_200600_302600_NS6detail15normal_iteratorINS9_10device_ptrIsEEEESE_SE_sNS9_4plusIvEENS9_8equal_toIsEEsEE10hipError_tPvRmT2_T3_T4_T5_mT6_T7_P12ihipStream_tbENKUlT_T0_E_clISt17integral_constantIbLb1EESY_IbLb0EEEEDaSU_SV_EUlSU_E_NS1_11comp_targetILNS1_3genE5ELNS1_11target_archE942ELNS1_3gpuE9ELNS1_3repE0EEENS1_30default_config_static_selectorELNS0_4arch9wavefront6targetE0EEEvT1_: ; @_ZN7rocprim17ROCPRIM_400000_NS6detail17trampoline_kernelINS0_14default_configENS1_27scan_by_key_config_selectorIssEEZZNS1_16scan_by_key_implILNS1_25lookback_scan_determinismE0ELb0ES3_N6thrust23THRUST_200600_302600_NS6detail15normal_iteratorINS9_10device_ptrIsEEEESE_SE_sNS9_4plusIvEENS9_8equal_toIsEEsEE10hipError_tPvRmT2_T3_T4_T5_mT6_T7_P12ihipStream_tbENKUlT_T0_E_clISt17integral_constantIbLb1EESY_IbLb0EEEEDaSU_SV_EUlSU_E_NS1_11comp_targetILNS1_3genE5ELNS1_11target_archE942ELNS1_3gpuE9ELNS1_3repE0EEENS1_30default_config_static_selectorELNS0_4arch9wavefront6targetE0EEEvT1_
; %bb.0:
	.section	.rodata,"a",@progbits
	.p2align	6, 0x0
	.amdhsa_kernel _ZN7rocprim17ROCPRIM_400000_NS6detail17trampoline_kernelINS0_14default_configENS1_27scan_by_key_config_selectorIssEEZZNS1_16scan_by_key_implILNS1_25lookback_scan_determinismE0ELb0ES3_N6thrust23THRUST_200600_302600_NS6detail15normal_iteratorINS9_10device_ptrIsEEEESE_SE_sNS9_4plusIvEENS9_8equal_toIsEEsEE10hipError_tPvRmT2_T3_T4_T5_mT6_T7_P12ihipStream_tbENKUlT_T0_E_clISt17integral_constantIbLb1EESY_IbLb0EEEEDaSU_SV_EUlSU_E_NS1_11comp_targetILNS1_3genE5ELNS1_11target_archE942ELNS1_3gpuE9ELNS1_3repE0EEENS1_30default_config_static_selectorELNS0_4arch9wavefront6targetE0EEEvT1_
		.amdhsa_group_segment_fixed_size 0
		.amdhsa_private_segment_fixed_size 0
		.amdhsa_kernarg_size 112
		.amdhsa_user_sgpr_count 6
		.amdhsa_user_sgpr_private_segment_buffer 1
		.amdhsa_user_sgpr_dispatch_ptr 0
		.amdhsa_user_sgpr_queue_ptr 0
		.amdhsa_user_sgpr_kernarg_segment_ptr 1
		.amdhsa_user_sgpr_dispatch_id 0
		.amdhsa_user_sgpr_flat_scratch_init 0
		.amdhsa_user_sgpr_private_segment_size 0
		.amdhsa_wavefront_size32 1
		.amdhsa_uses_dynamic_stack 0
		.amdhsa_system_sgpr_private_segment_wavefront_offset 0
		.amdhsa_system_sgpr_workgroup_id_x 1
		.amdhsa_system_sgpr_workgroup_id_y 0
		.amdhsa_system_sgpr_workgroup_id_z 0
		.amdhsa_system_sgpr_workgroup_info 0
		.amdhsa_system_vgpr_workitem_id 0
		.amdhsa_next_free_vgpr 1
		.amdhsa_next_free_sgpr 1
		.amdhsa_reserve_vcc 0
		.amdhsa_reserve_flat_scratch 0
		.amdhsa_float_round_mode_32 0
		.amdhsa_float_round_mode_16_64 0
		.amdhsa_float_denorm_mode_32 3
		.amdhsa_float_denorm_mode_16_64 3
		.amdhsa_dx10_clamp 1
		.amdhsa_ieee_mode 1
		.amdhsa_fp16_overflow 0
		.amdhsa_workgroup_processor_mode 1
		.amdhsa_memory_ordered 1
		.amdhsa_forward_progress 1
		.amdhsa_shared_vgpr_count 0
		.amdhsa_exception_fp_ieee_invalid_op 0
		.amdhsa_exception_fp_denorm_src 0
		.amdhsa_exception_fp_ieee_div_zero 0
		.amdhsa_exception_fp_ieee_overflow 0
		.amdhsa_exception_fp_ieee_underflow 0
		.amdhsa_exception_fp_ieee_inexact 0
		.amdhsa_exception_int_div_zero 0
	.end_amdhsa_kernel
	.section	.text._ZN7rocprim17ROCPRIM_400000_NS6detail17trampoline_kernelINS0_14default_configENS1_27scan_by_key_config_selectorIssEEZZNS1_16scan_by_key_implILNS1_25lookback_scan_determinismE0ELb0ES3_N6thrust23THRUST_200600_302600_NS6detail15normal_iteratorINS9_10device_ptrIsEEEESE_SE_sNS9_4plusIvEENS9_8equal_toIsEEsEE10hipError_tPvRmT2_T3_T4_T5_mT6_T7_P12ihipStream_tbENKUlT_T0_E_clISt17integral_constantIbLb1EESY_IbLb0EEEEDaSU_SV_EUlSU_E_NS1_11comp_targetILNS1_3genE5ELNS1_11target_archE942ELNS1_3gpuE9ELNS1_3repE0EEENS1_30default_config_static_selectorELNS0_4arch9wavefront6targetE0EEEvT1_,"axG",@progbits,_ZN7rocprim17ROCPRIM_400000_NS6detail17trampoline_kernelINS0_14default_configENS1_27scan_by_key_config_selectorIssEEZZNS1_16scan_by_key_implILNS1_25lookback_scan_determinismE0ELb0ES3_N6thrust23THRUST_200600_302600_NS6detail15normal_iteratorINS9_10device_ptrIsEEEESE_SE_sNS9_4plusIvEENS9_8equal_toIsEEsEE10hipError_tPvRmT2_T3_T4_T5_mT6_T7_P12ihipStream_tbENKUlT_T0_E_clISt17integral_constantIbLb1EESY_IbLb0EEEEDaSU_SV_EUlSU_E_NS1_11comp_targetILNS1_3genE5ELNS1_11target_archE942ELNS1_3gpuE9ELNS1_3repE0EEENS1_30default_config_static_selectorELNS0_4arch9wavefront6targetE0EEEvT1_,comdat
.Lfunc_end337:
	.size	_ZN7rocprim17ROCPRIM_400000_NS6detail17trampoline_kernelINS0_14default_configENS1_27scan_by_key_config_selectorIssEEZZNS1_16scan_by_key_implILNS1_25lookback_scan_determinismE0ELb0ES3_N6thrust23THRUST_200600_302600_NS6detail15normal_iteratorINS9_10device_ptrIsEEEESE_SE_sNS9_4plusIvEENS9_8equal_toIsEEsEE10hipError_tPvRmT2_T3_T4_T5_mT6_T7_P12ihipStream_tbENKUlT_T0_E_clISt17integral_constantIbLb1EESY_IbLb0EEEEDaSU_SV_EUlSU_E_NS1_11comp_targetILNS1_3genE5ELNS1_11target_archE942ELNS1_3gpuE9ELNS1_3repE0EEENS1_30default_config_static_selectorELNS0_4arch9wavefront6targetE0EEEvT1_, .Lfunc_end337-_ZN7rocprim17ROCPRIM_400000_NS6detail17trampoline_kernelINS0_14default_configENS1_27scan_by_key_config_selectorIssEEZZNS1_16scan_by_key_implILNS1_25lookback_scan_determinismE0ELb0ES3_N6thrust23THRUST_200600_302600_NS6detail15normal_iteratorINS9_10device_ptrIsEEEESE_SE_sNS9_4plusIvEENS9_8equal_toIsEEsEE10hipError_tPvRmT2_T3_T4_T5_mT6_T7_P12ihipStream_tbENKUlT_T0_E_clISt17integral_constantIbLb1EESY_IbLb0EEEEDaSU_SV_EUlSU_E_NS1_11comp_targetILNS1_3genE5ELNS1_11target_archE942ELNS1_3gpuE9ELNS1_3repE0EEENS1_30default_config_static_selectorELNS0_4arch9wavefront6targetE0EEEvT1_
                                        ; -- End function
	.set _ZN7rocprim17ROCPRIM_400000_NS6detail17trampoline_kernelINS0_14default_configENS1_27scan_by_key_config_selectorIssEEZZNS1_16scan_by_key_implILNS1_25lookback_scan_determinismE0ELb0ES3_N6thrust23THRUST_200600_302600_NS6detail15normal_iteratorINS9_10device_ptrIsEEEESE_SE_sNS9_4plusIvEENS9_8equal_toIsEEsEE10hipError_tPvRmT2_T3_T4_T5_mT6_T7_P12ihipStream_tbENKUlT_T0_E_clISt17integral_constantIbLb1EESY_IbLb0EEEEDaSU_SV_EUlSU_E_NS1_11comp_targetILNS1_3genE5ELNS1_11target_archE942ELNS1_3gpuE9ELNS1_3repE0EEENS1_30default_config_static_selectorELNS0_4arch9wavefront6targetE0EEEvT1_.num_vgpr, 0
	.set _ZN7rocprim17ROCPRIM_400000_NS6detail17trampoline_kernelINS0_14default_configENS1_27scan_by_key_config_selectorIssEEZZNS1_16scan_by_key_implILNS1_25lookback_scan_determinismE0ELb0ES3_N6thrust23THRUST_200600_302600_NS6detail15normal_iteratorINS9_10device_ptrIsEEEESE_SE_sNS9_4plusIvEENS9_8equal_toIsEEsEE10hipError_tPvRmT2_T3_T4_T5_mT6_T7_P12ihipStream_tbENKUlT_T0_E_clISt17integral_constantIbLb1EESY_IbLb0EEEEDaSU_SV_EUlSU_E_NS1_11comp_targetILNS1_3genE5ELNS1_11target_archE942ELNS1_3gpuE9ELNS1_3repE0EEENS1_30default_config_static_selectorELNS0_4arch9wavefront6targetE0EEEvT1_.num_agpr, 0
	.set _ZN7rocprim17ROCPRIM_400000_NS6detail17trampoline_kernelINS0_14default_configENS1_27scan_by_key_config_selectorIssEEZZNS1_16scan_by_key_implILNS1_25lookback_scan_determinismE0ELb0ES3_N6thrust23THRUST_200600_302600_NS6detail15normal_iteratorINS9_10device_ptrIsEEEESE_SE_sNS9_4plusIvEENS9_8equal_toIsEEsEE10hipError_tPvRmT2_T3_T4_T5_mT6_T7_P12ihipStream_tbENKUlT_T0_E_clISt17integral_constantIbLb1EESY_IbLb0EEEEDaSU_SV_EUlSU_E_NS1_11comp_targetILNS1_3genE5ELNS1_11target_archE942ELNS1_3gpuE9ELNS1_3repE0EEENS1_30default_config_static_selectorELNS0_4arch9wavefront6targetE0EEEvT1_.numbered_sgpr, 0
	.set _ZN7rocprim17ROCPRIM_400000_NS6detail17trampoline_kernelINS0_14default_configENS1_27scan_by_key_config_selectorIssEEZZNS1_16scan_by_key_implILNS1_25lookback_scan_determinismE0ELb0ES3_N6thrust23THRUST_200600_302600_NS6detail15normal_iteratorINS9_10device_ptrIsEEEESE_SE_sNS9_4plusIvEENS9_8equal_toIsEEsEE10hipError_tPvRmT2_T3_T4_T5_mT6_T7_P12ihipStream_tbENKUlT_T0_E_clISt17integral_constantIbLb1EESY_IbLb0EEEEDaSU_SV_EUlSU_E_NS1_11comp_targetILNS1_3genE5ELNS1_11target_archE942ELNS1_3gpuE9ELNS1_3repE0EEENS1_30default_config_static_selectorELNS0_4arch9wavefront6targetE0EEEvT1_.num_named_barrier, 0
	.set _ZN7rocprim17ROCPRIM_400000_NS6detail17trampoline_kernelINS0_14default_configENS1_27scan_by_key_config_selectorIssEEZZNS1_16scan_by_key_implILNS1_25lookback_scan_determinismE0ELb0ES3_N6thrust23THRUST_200600_302600_NS6detail15normal_iteratorINS9_10device_ptrIsEEEESE_SE_sNS9_4plusIvEENS9_8equal_toIsEEsEE10hipError_tPvRmT2_T3_T4_T5_mT6_T7_P12ihipStream_tbENKUlT_T0_E_clISt17integral_constantIbLb1EESY_IbLb0EEEEDaSU_SV_EUlSU_E_NS1_11comp_targetILNS1_3genE5ELNS1_11target_archE942ELNS1_3gpuE9ELNS1_3repE0EEENS1_30default_config_static_selectorELNS0_4arch9wavefront6targetE0EEEvT1_.private_seg_size, 0
	.set _ZN7rocprim17ROCPRIM_400000_NS6detail17trampoline_kernelINS0_14default_configENS1_27scan_by_key_config_selectorIssEEZZNS1_16scan_by_key_implILNS1_25lookback_scan_determinismE0ELb0ES3_N6thrust23THRUST_200600_302600_NS6detail15normal_iteratorINS9_10device_ptrIsEEEESE_SE_sNS9_4plusIvEENS9_8equal_toIsEEsEE10hipError_tPvRmT2_T3_T4_T5_mT6_T7_P12ihipStream_tbENKUlT_T0_E_clISt17integral_constantIbLb1EESY_IbLb0EEEEDaSU_SV_EUlSU_E_NS1_11comp_targetILNS1_3genE5ELNS1_11target_archE942ELNS1_3gpuE9ELNS1_3repE0EEENS1_30default_config_static_selectorELNS0_4arch9wavefront6targetE0EEEvT1_.uses_vcc, 0
	.set _ZN7rocprim17ROCPRIM_400000_NS6detail17trampoline_kernelINS0_14default_configENS1_27scan_by_key_config_selectorIssEEZZNS1_16scan_by_key_implILNS1_25lookback_scan_determinismE0ELb0ES3_N6thrust23THRUST_200600_302600_NS6detail15normal_iteratorINS9_10device_ptrIsEEEESE_SE_sNS9_4plusIvEENS9_8equal_toIsEEsEE10hipError_tPvRmT2_T3_T4_T5_mT6_T7_P12ihipStream_tbENKUlT_T0_E_clISt17integral_constantIbLb1EESY_IbLb0EEEEDaSU_SV_EUlSU_E_NS1_11comp_targetILNS1_3genE5ELNS1_11target_archE942ELNS1_3gpuE9ELNS1_3repE0EEENS1_30default_config_static_selectorELNS0_4arch9wavefront6targetE0EEEvT1_.uses_flat_scratch, 0
	.set _ZN7rocprim17ROCPRIM_400000_NS6detail17trampoline_kernelINS0_14default_configENS1_27scan_by_key_config_selectorIssEEZZNS1_16scan_by_key_implILNS1_25lookback_scan_determinismE0ELb0ES3_N6thrust23THRUST_200600_302600_NS6detail15normal_iteratorINS9_10device_ptrIsEEEESE_SE_sNS9_4plusIvEENS9_8equal_toIsEEsEE10hipError_tPvRmT2_T3_T4_T5_mT6_T7_P12ihipStream_tbENKUlT_T0_E_clISt17integral_constantIbLb1EESY_IbLb0EEEEDaSU_SV_EUlSU_E_NS1_11comp_targetILNS1_3genE5ELNS1_11target_archE942ELNS1_3gpuE9ELNS1_3repE0EEENS1_30default_config_static_selectorELNS0_4arch9wavefront6targetE0EEEvT1_.has_dyn_sized_stack, 0
	.set _ZN7rocprim17ROCPRIM_400000_NS6detail17trampoline_kernelINS0_14default_configENS1_27scan_by_key_config_selectorIssEEZZNS1_16scan_by_key_implILNS1_25lookback_scan_determinismE0ELb0ES3_N6thrust23THRUST_200600_302600_NS6detail15normal_iteratorINS9_10device_ptrIsEEEESE_SE_sNS9_4plusIvEENS9_8equal_toIsEEsEE10hipError_tPvRmT2_T3_T4_T5_mT6_T7_P12ihipStream_tbENKUlT_T0_E_clISt17integral_constantIbLb1EESY_IbLb0EEEEDaSU_SV_EUlSU_E_NS1_11comp_targetILNS1_3genE5ELNS1_11target_archE942ELNS1_3gpuE9ELNS1_3repE0EEENS1_30default_config_static_selectorELNS0_4arch9wavefront6targetE0EEEvT1_.has_recursion, 0
	.set _ZN7rocprim17ROCPRIM_400000_NS6detail17trampoline_kernelINS0_14default_configENS1_27scan_by_key_config_selectorIssEEZZNS1_16scan_by_key_implILNS1_25lookback_scan_determinismE0ELb0ES3_N6thrust23THRUST_200600_302600_NS6detail15normal_iteratorINS9_10device_ptrIsEEEESE_SE_sNS9_4plusIvEENS9_8equal_toIsEEsEE10hipError_tPvRmT2_T3_T4_T5_mT6_T7_P12ihipStream_tbENKUlT_T0_E_clISt17integral_constantIbLb1EESY_IbLb0EEEEDaSU_SV_EUlSU_E_NS1_11comp_targetILNS1_3genE5ELNS1_11target_archE942ELNS1_3gpuE9ELNS1_3repE0EEENS1_30default_config_static_selectorELNS0_4arch9wavefront6targetE0EEEvT1_.has_indirect_call, 0
	.section	.AMDGPU.csdata,"",@progbits
; Kernel info:
; codeLenInByte = 0
; TotalNumSgprs: 0
; NumVgprs: 0
; ScratchSize: 0
; MemoryBound: 0
; FloatMode: 240
; IeeeMode: 1
; LDSByteSize: 0 bytes/workgroup (compile time only)
; SGPRBlocks: 0
; VGPRBlocks: 0
; NumSGPRsForWavesPerEU: 1
; NumVGPRsForWavesPerEU: 1
; Occupancy: 16
; WaveLimiterHint : 0
; COMPUTE_PGM_RSRC2:SCRATCH_EN: 0
; COMPUTE_PGM_RSRC2:USER_SGPR: 6
; COMPUTE_PGM_RSRC2:TRAP_HANDLER: 0
; COMPUTE_PGM_RSRC2:TGID_X_EN: 1
; COMPUTE_PGM_RSRC2:TGID_Y_EN: 0
; COMPUTE_PGM_RSRC2:TGID_Z_EN: 0
; COMPUTE_PGM_RSRC2:TIDIG_COMP_CNT: 0
	.section	.text._ZN7rocprim17ROCPRIM_400000_NS6detail17trampoline_kernelINS0_14default_configENS1_27scan_by_key_config_selectorIssEEZZNS1_16scan_by_key_implILNS1_25lookback_scan_determinismE0ELb0ES3_N6thrust23THRUST_200600_302600_NS6detail15normal_iteratorINS9_10device_ptrIsEEEESE_SE_sNS9_4plusIvEENS9_8equal_toIsEEsEE10hipError_tPvRmT2_T3_T4_T5_mT6_T7_P12ihipStream_tbENKUlT_T0_E_clISt17integral_constantIbLb1EESY_IbLb0EEEEDaSU_SV_EUlSU_E_NS1_11comp_targetILNS1_3genE4ELNS1_11target_archE910ELNS1_3gpuE8ELNS1_3repE0EEENS1_30default_config_static_selectorELNS0_4arch9wavefront6targetE0EEEvT1_,"axG",@progbits,_ZN7rocprim17ROCPRIM_400000_NS6detail17trampoline_kernelINS0_14default_configENS1_27scan_by_key_config_selectorIssEEZZNS1_16scan_by_key_implILNS1_25lookback_scan_determinismE0ELb0ES3_N6thrust23THRUST_200600_302600_NS6detail15normal_iteratorINS9_10device_ptrIsEEEESE_SE_sNS9_4plusIvEENS9_8equal_toIsEEsEE10hipError_tPvRmT2_T3_T4_T5_mT6_T7_P12ihipStream_tbENKUlT_T0_E_clISt17integral_constantIbLb1EESY_IbLb0EEEEDaSU_SV_EUlSU_E_NS1_11comp_targetILNS1_3genE4ELNS1_11target_archE910ELNS1_3gpuE8ELNS1_3repE0EEENS1_30default_config_static_selectorELNS0_4arch9wavefront6targetE0EEEvT1_,comdat
	.protected	_ZN7rocprim17ROCPRIM_400000_NS6detail17trampoline_kernelINS0_14default_configENS1_27scan_by_key_config_selectorIssEEZZNS1_16scan_by_key_implILNS1_25lookback_scan_determinismE0ELb0ES3_N6thrust23THRUST_200600_302600_NS6detail15normal_iteratorINS9_10device_ptrIsEEEESE_SE_sNS9_4plusIvEENS9_8equal_toIsEEsEE10hipError_tPvRmT2_T3_T4_T5_mT6_T7_P12ihipStream_tbENKUlT_T0_E_clISt17integral_constantIbLb1EESY_IbLb0EEEEDaSU_SV_EUlSU_E_NS1_11comp_targetILNS1_3genE4ELNS1_11target_archE910ELNS1_3gpuE8ELNS1_3repE0EEENS1_30default_config_static_selectorELNS0_4arch9wavefront6targetE0EEEvT1_ ; -- Begin function _ZN7rocprim17ROCPRIM_400000_NS6detail17trampoline_kernelINS0_14default_configENS1_27scan_by_key_config_selectorIssEEZZNS1_16scan_by_key_implILNS1_25lookback_scan_determinismE0ELb0ES3_N6thrust23THRUST_200600_302600_NS6detail15normal_iteratorINS9_10device_ptrIsEEEESE_SE_sNS9_4plusIvEENS9_8equal_toIsEEsEE10hipError_tPvRmT2_T3_T4_T5_mT6_T7_P12ihipStream_tbENKUlT_T0_E_clISt17integral_constantIbLb1EESY_IbLb0EEEEDaSU_SV_EUlSU_E_NS1_11comp_targetILNS1_3genE4ELNS1_11target_archE910ELNS1_3gpuE8ELNS1_3repE0EEENS1_30default_config_static_selectorELNS0_4arch9wavefront6targetE0EEEvT1_
	.globl	_ZN7rocprim17ROCPRIM_400000_NS6detail17trampoline_kernelINS0_14default_configENS1_27scan_by_key_config_selectorIssEEZZNS1_16scan_by_key_implILNS1_25lookback_scan_determinismE0ELb0ES3_N6thrust23THRUST_200600_302600_NS6detail15normal_iteratorINS9_10device_ptrIsEEEESE_SE_sNS9_4plusIvEENS9_8equal_toIsEEsEE10hipError_tPvRmT2_T3_T4_T5_mT6_T7_P12ihipStream_tbENKUlT_T0_E_clISt17integral_constantIbLb1EESY_IbLb0EEEEDaSU_SV_EUlSU_E_NS1_11comp_targetILNS1_3genE4ELNS1_11target_archE910ELNS1_3gpuE8ELNS1_3repE0EEENS1_30default_config_static_selectorELNS0_4arch9wavefront6targetE0EEEvT1_
	.p2align	8
	.type	_ZN7rocprim17ROCPRIM_400000_NS6detail17trampoline_kernelINS0_14default_configENS1_27scan_by_key_config_selectorIssEEZZNS1_16scan_by_key_implILNS1_25lookback_scan_determinismE0ELb0ES3_N6thrust23THRUST_200600_302600_NS6detail15normal_iteratorINS9_10device_ptrIsEEEESE_SE_sNS9_4plusIvEENS9_8equal_toIsEEsEE10hipError_tPvRmT2_T3_T4_T5_mT6_T7_P12ihipStream_tbENKUlT_T0_E_clISt17integral_constantIbLb1EESY_IbLb0EEEEDaSU_SV_EUlSU_E_NS1_11comp_targetILNS1_3genE4ELNS1_11target_archE910ELNS1_3gpuE8ELNS1_3repE0EEENS1_30default_config_static_selectorELNS0_4arch9wavefront6targetE0EEEvT1_,@function
_ZN7rocprim17ROCPRIM_400000_NS6detail17trampoline_kernelINS0_14default_configENS1_27scan_by_key_config_selectorIssEEZZNS1_16scan_by_key_implILNS1_25lookback_scan_determinismE0ELb0ES3_N6thrust23THRUST_200600_302600_NS6detail15normal_iteratorINS9_10device_ptrIsEEEESE_SE_sNS9_4plusIvEENS9_8equal_toIsEEsEE10hipError_tPvRmT2_T3_T4_T5_mT6_T7_P12ihipStream_tbENKUlT_T0_E_clISt17integral_constantIbLb1EESY_IbLb0EEEEDaSU_SV_EUlSU_E_NS1_11comp_targetILNS1_3genE4ELNS1_11target_archE910ELNS1_3gpuE8ELNS1_3repE0EEENS1_30default_config_static_selectorELNS0_4arch9wavefront6targetE0EEEvT1_: ; @_ZN7rocprim17ROCPRIM_400000_NS6detail17trampoline_kernelINS0_14default_configENS1_27scan_by_key_config_selectorIssEEZZNS1_16scan_by_key_implILNS1_25lookback_scan_determinismE0ELb0ES3_N6thrust23THRUST_200600_302600_NS6detail15normal_iteratorINS9_10device_ptrIsEEEESE_SE_sNS9_4plusIvEENS9_8equal_toIsEEsEE10hipError_tPvRmT2_T3_T4_T5_mT6_T7_P12ihipStream_tbENKUlT_T0_E_clISt17integral_constantIbLb1EESY_IbLb0EEEEDaSU_SV_EUlSU_E_NS1_11comp_targetILNS1_3genE4ELNS1_11target_archE910ELNS1_3gpuE8ELNS1_3repE0EEENS1_30default_config_static_selectorELNS0_4arch9wavefront6targetE0EEEvT1_
; %bb.0:
	.section	.rodata,"a",@progbits
	.p2align	6, 0x0
	.amdhsa_kernel _ZN7rocprim17ROCPRIM_400000_NS6detail17trampoline_kernelINS0_14default_configENS1_27scan_by_key_config_selectorIssEEZZNS1_16scan_by_key_implILNS1_25lookback_scan_determinismE0ELb0ES3_N6thrust23THRUST_200600_302600_NS6detail15normal_iteratorINS9_10device_ptrIsEEEESE_SE_sNS9_4plusIvEENS9_8equal_toIsEEsEE10hipError_tPvRmT2_T3_T4_T5_mT6_T7_P12ihipStream_tbENKUlT_T0_E_clISt17integral_constantIbLb1EESY_IbLb0EEEEDaSU_SV_EUlSU_E_NS1_11comp_targetILNS1_3genE4ELNS1_11target_archE910ELNS1_3gpuE8ELNS1_3repE0EEENS1_30default_config_static_selectorELNS0_4arch9wavefront6targetE0EEEvT1_
		.amdhsa_group_segment_fixed_size 0
		.amdhsa_private_segment_fixed_size 0
		.amdhsa_kernarg_size 112
		.amdhsa_user_sgpr_count 6
		.amdhsa_user_sgpr_private_segment_buffer 1
		.amdhsa_user_sgpr_dispatch_ptr 0
		.amdhsa_user_sgpr_queue_ptr 0
		.amdhsa_user_sgpr_kernarg_segment_ptr 1
		.amdhsa_user_sgpr_dispatch_id 0
		.amdhsa_user_sgpr_flat_scratch_init 0
		.amdhsa_user_sgpr_private_segment_size 0
		.amdhsa_wavefront_size32 1
		.amdhsa_uses_dynamic_stack 0
		.amdhsa_system_sgpr_private_segment_wavefront_offset 0
		.amdhsa_system_sgpr_workgroup_id_x 1
		.amdhsa_system_sgpr_workgroup_id_y 0
		.amdhsa_system_sgpr_workgroup_id_z 0
		.amdhsa_system_sgpr_workgroup_info 0
		.amdhsa_system_vgpr_workitem_id 0
		.amdhsa_next_free_vgpr 1
		.amdhsa_next_free_sgpr 1
		.amdhsa_reserve_vcc 0
		.amdhsa_reserve_flat_scratch 0
		.amdhsa_float_round_mode_32 0
		.amdhsa_float_round_mode_16_64 0
		.amdhsa_float_denorm_mode_32 3
		.amdhsa_float_denorm_mode_16_64 3
		.amdhsa_dx10_clamp 1
		.amdhsa_ieee_mode 1
		.amdhsa_fp16_overflow 0
		.amdhsa_workgroup_processor_mode 1
		.amdhsa_memory_ordered 1
		.amdhsa_forward_progress 1
		.amdhsa_shared_vgpr_count 0
		.amdhsa_exception_fp_ieee_invalid_op 0
		.amdhsa_exception_fp_denorm_src 0
		.amdhsa_exception_fp_ieee_div_zero 0
		.amdhsa_exception_fp_ieee_overflow 0
		.amdhsa_exception_fp_ieee_underflow 0
		.amdhsa_exception_fp_ieee_inexact 0
		.amdhsa_exception_int_div_zero 0
	.end_amdhsa_kernel
	.section	.text._ZN7rocprim17ROCPRIM_400000_NS6detail17trampoline_kernelINS0_14default_configENS1_27scan_by_key_config_selectorIssEEZZNS1_16scan_by_key_implILNS1_25lookback_scan_determinismE0ELb0ES3_N6thrust23THRUST_200600_302600_NS6detail15normal_iteratorINS9_10device_ptrIsEEEESE_SE_sNS9_4plusIvEENS9_8equal_toIsEEsEE10hipError_tPvRmT2_T3_T4_T5_mT6_T7_P12ihipStream_tbENKUlT_T0_E_clISt17integral_constantIbLb1EESY_IbLb0EEEEDaSU_SV_EUlSU_E_NS1_11comp_targetILNS1_3genE4ELNS1_11target_archE910ELNS1_3gpuE8ELNS1_3repE0EEENS1_30default_config_static_selectorELNS0_4arch9wavefront6targetE0EEEvT1_,"axG",@progbits,_ZN7rocprim17ROCPRIM_400000_NS6detail17trampoline_kernelINS0_14default_configENS1_27scan_by_key_config_selectorIssEEZZNS1_16scan_by_key_implILNS1_25lookback_scan_determinismE0ELb0ES3_N6thrust23THRUST_200600_302600_NS6detail15normal_iteratorINS9_10device_ptrIsEEEESE_SE_sNS9_4plusIvEENS9_8equal_toIsEEsEE10hipError_tPvRmT2_T3_T4_T5_mT6_T7_P12ihipStream_tbENKUlT_T0_E_clISt17integral_constantIbLb1EESY_IbLb0EEEEDaSU_SV_EUlSU_E_NS1_11comp_targetILNS1_3genE4ELNS1_11target_archE910ELNS1_3gpuE8ELNS1_3repE0EEENS1_30default_config_static_selectorELNS0_4arch9wavefront6targetE0EEEvT1_,comdat
.Lfunc_end338:
	.size	_ZN7rocprim17ROCPRIM_400000_NS6detail17trampoline_kernelINS0_14default_configENS1_27scan_by_key_config_selectorIssEEZZNS1_16scan_by_key_implILNS1_25lookback_scan_determinismE0ELb0ES3_N6thrust23THRUST_200600_302600_NS6detail15normal_iteratorINS9_10device_ptrIsEEEESE_SE_sNS9_4plusIvEENS9_8equal_toIsEEsEE10hipError_tPvRmT2_T3_T4_T5_mT6_T7_P12ihipStream_tbENKUlT_T0_E_clISt17integral_constantIbLb1EESY_IbLb0EEEEDaSU_SV_EUlSU_E_NS1_11comp_targetILNS1_3genE4ELNS1_11target_archE910ELNS1_3gpuE8ELNS1_3repE0EEENS1_30default_config_static_selectorELNS0_4arch9wavefront6targetE0EEEvT1_, .Lfunc_end338-_ZN7rocprim17ROCPRIM_400000_NS6detail17trampoline_kernelINS0_14default_configENS1_27scan_by_key_config_selectorIssEEZZNS1_16scan_by_key_implILNS1_25lookback_scan_determinismE0ELb0ES3_N6thrust23THRUST_200600_302600_NS6detail15normal_iteratorINS9_10device_ptrIsEEEESE_SE_sNS9_4plusIvEENS9_8equal_toIsEEsEE10hipError_tPvRmT2_T3_T4_T5_mT6_T7_P12ihipStream_tbENKUlT_T0_E_clISt17integral_constantIbLb1EESY_IbLb0EEEEDaSU_SV_EUlSU_E_NS1_11comp_targetILNS1_3genE4ELNS1_11target_archE910ELNS1_3gpuE8ELNS1_3repE0EEENS1_30default_config_static_selectorELNS0_4arch9wavefront6targetE0EEEvT1_
                                        ; -- End function
	.set _ZN7rocprim17ROCPRIM_400000_NS6detail17trampoline_kernelINS0_14default_configENS1_27scan_by_key_config_selectorIssEEZZNS1_16scan_by_key_implILNS1_25lookback_scan_determinismE0ELb0ES3_N6thrust23THRUST_200600_302600_NS6detail15normal_iteratorINS9_10device_ptrIsEEEESE_SE_sNS9_4plusIvEENS9_8equal_toIsEEsEE10hipError_tPvRmT2_T3_T4_T5_mT6_T7_P12ihipStream_tbENKUlT_T0_E_clISt17integral_constantIbLb1EESY_IbLb0EEEEDaSU_SV_EUlSU_E_NS1_11comp_targetILNS1_3genE4ELNS1_11target_archE910ELNS1_3gpuE8ELNS1_3repE0EEENS1_30default_config_static_selectorELNS0_4arch9wavefront6targetE0EEEvT1_.num_vgpr, 0
	.set _ZN7rocprim17ROCPRIM_400000_NS6detail17trampoline_kernelINS0_14default_configENS1_27scan_by_key_config_selectorIssEEZZNS1_16scan_by_key_implILNS1_25lookback_scan_determinismE0ELb0ES3_N6thrust23THRUST_200600_302600_NS6detail15normal_iteratorINS9_10device_ptrIsEEEESE_SE_sNS9_4plusIvEENS9_8equal_toIsEEsEE10hipError_tPvRmT2_T3_T4_T5_mT6_T7_P12ihipStream_tbENKUlT_T0_E_clISt17integral_constantIbLb1EESY_IbLb0EEEEDaSU_SV_EUlSU_E_NS1_11comp_targetILNS1_3genE4ELNS1_11target_archE910ELNS1_3gpuE8ELNS1_3repE0EEENS1_30default_config_static_selectorELNS0_4arch9wavefront6targetE0EEEvT1_.num_agpr, 0
	.set _ZN7rocprim17ROCPRIM_400000_NS6detail17trampoline_kernelINS0_14default_configENS1_27scan_by_key_config_selectorIssEEZZNS1_16scan_by_key_implILNS1_25lookback_scan_determinismE0ELb0ES3_N6thrust23THRUST_200600_302600_NS6detail15normal_iteratorINS9_10device_ptrIsEEEESE_SE_sNS9_4plusIvEENS9_8equal_toIsEEsEE10hipError_tPvRmT2_T3_T4_T5_mT6_T7_P12ihipStream_tbENKUlT_T0_E_clISt17integral_constantIbLb1EESY_IbLb0EEEEDaSU_SV_EUlSU_E_NS1_11comp_targetILNS1_3genE4ELNS1_11target_archE910ELNS1_3gpuE8ELNS1_3repE0EEENS1_30default_config_static_selectorELNS0_4arch9wavefront6targetE0EEEvT1_.numbered_sgpr, 0
	.set _ZN7rocprim17ROCPRIM_400000_NS6detail17trampoline_kernelINS0_14default_configENS1_27scan_by_key_config_selectorIssEEZZNS1_16scan_by_key_implILNS1_25lookback_scan_determinismE0ELb0ES3_N6thrust23THRUST_200600_302600_NS6detail15normal_iteratorINS9_10device_ptrIsEEEESE_SE_sNS9_4plusIvEENS9_8equal_toIsEEsEE10hipError_tPvRmT2_T3_T4_T5_mT6_T7_P12ihipStream_tbENKUlT_T0_E_clISt17integral_constantIbLb1EESY_IbLb0EEEEDaSU_SV_EUlSU_E_NS1_11comp_targetILNS1_3genE4ELNS1_11target_archE910ELNS1_3gpuE8ELNS1_3repE0EEENS1_30default_config_static_selectorELNS0_4arch9wavefront6targetE0EEEvT1_.num_named_barrier, 0
	.set _ZN7rocprim17ROCPRIM_400000_NS6detail17trampoline_kernelINS0_14default_configENS1_27scan_by_key_config_selectorIssEEZZNS1_16scan_by_key_implILNS1_25lookback_scan_determinismE0ELb0ES3_N6thrust23THRUST_200600_302600_NS6detail15normal_iteratorINS9_10device_ptrIsEEEESE_SE_sNS9_4plusIvEENS9_8equal_toIsEEsEE10hipError_tPvRmT2_T3_T4_T5_mT6_T7_P12ihipStream_tbENKUlT_T0_E_clISt17integral_constantIbLb1EESY_IbLb0EEEEDaSU_SV_EUlSU_E_NS1_11comp_targetILNS1_3genE4ELNS1_11target_archE910ELNS1_3gpuE8ELNS1_3repE0EEENS1_30default_config_static_selectorELNS0_4arch9wavefront6targetE0EEEvT1_.private_seg_size, 0
	.set _ZN7rocprim17ROCPRIM_400000_NS6detail17trampoline_kernelINS0_14default_configENS1_27scan_by_key_config_selectorIssEEZZNS1_16scan_by_key_implILNS1_25lookback_scan_determinismE0ELb0ES3_N6thrust23THRUST_200600_302600_NS6detail15normal_iteratorINS9_10device_ptrIsEEEESE_SE_sNS9_4plusIvEENS9_8equal_toIsEEsEE10hipError_tPvRmT2_T3_T4_T5_mT6_T7_P12ihipStream_tbENKUlT_T0_E_clISt17integral_constantIbLb1EESY_IbLb0EEEEDaSU_SV_EUlSU_E_NS1_11comp_targetILNS1_3genE4ELNS1_11target_archE910ELNS1_3gpuE8ELNS1_3repE0EEENS1_30default_config_static_selectorELNS0_4arch9wavefront6targetE0EEEvT1_.uses_vcc, 0
	.set _ZN7rocprim17ROCPRIM_400000_NS6detail17trampoline_kernelINS0_14default_configENS1_27scan_by_key_config_selectorIssEEZZNS1_16scan_by_key_implILNS1_25lookback_scan_determinismE0ELb0ES3_N6thrust23THRUST_200600_302600_NS6detail15normal_iteratorINS9_10device_ptrIsEEEESE_SE_sNS9_4plusIvEENS9_8equal_toIsEEsEE10hipError_tPvRmT2_T3_T4_T5_mT6_T7_P12ihipStream_tbENKUlT_T0_E_clISt17integral_constantIbLb1EESY_IbLb0EEEEDaSU_SV_EUlSU_E_NS1_11comp_targetILNS1_3genE4ELNS1_11target_archE910ELNS1_3gpuE8ELNS1_3repE0EEENS1_30default_config_static_selectorELNS0_4arch9wavefront6targetE0EEEvT1_.uses_flat_scratch, 0
	.set _ZN7rocprim17ROCPRIM_400000_NS6detail17trampoline_kernelINS0_14default_configENS1_27scan_by_key_config_selectorIssEEZZNS1_16scan_by_key_implILNS1_25lookback_scan_determinismE0ELb0ES3_N6thrust23THRUST_200600_302600_NS6detail15normal_iteratorINS9_10device_ptrIsEEEESE_SE_sNS9_4plusIvEENS9_8equal_toIsEEsEE10hipError_tPvRmT2_T3_T4_T5_mT6_T7_P12ihipStream_tbENKUlT_T0_E_clISt17integral_constantIbLb1EESY_IbLb0EEEEDaSU_SV_EUlSU_E_NS1_11comp_targetILNS1_3genE4ELNS1_11target_archE910ELNS1_3gpuE8ELNS1_3repE0EEENS1_30default_config_static_selectorELNS0_4arch9wavefront6targetE0EEEvT1_.has_dyn_sized_stack, 0
	.set _ZN7rocprim17ROCPRIM_400000_NS6detail17trampoline_kernelINS0_14default_configENS1_27scan_by_key_config_selectorIssEEZZNS1_16scan_by_key_implILNS1_25lookback_scan_determinismE0ELb0ES3_N6thrust23THRUST_200600_302600_NS6detail15normal_iteratorINS9_10device_ptrIsEEEESE_SE_sNS9_4plusIvEENS9_8equal_toIsEEsEE10hipError_tPvRmT2_T3_T4_T5_mT6_T7_P12ihipStream_tbENKUlT_T0_E_clISt17integral_constantIbLb1EESY_IbLb0EEEEDaSU_SV_EUlSU_E_NS1_11comp_targetILNS1_3genE4ELNS1_11target_archE910ELNS1_3gpuE8ELNS1_3repE0EEENS1_30default_config_static_selectorELNS0_4arch9wavefront6targetE0EEEvT1_.has_recursion, 0
	.set _ZN7rocprim17ROCPRIM_400000_NS6detail17trampoline_kernelINS0_14default_configENS1_27scan_by_key_config_selectorIssEEZZNS1_16scan_by_key_implILNS1_25lookback_scan_determinismE0ELb0ES3_N6thrust23THRUST_200600_302600_NS6detail15normal_iteratorINS9_10device_ptrIsEEEESE_SE_sNS9_4plusIvEENS9_8equal_toIsEEsEE10hipError_tPvRmT2_T3_T4_T5_mT6_T7_P12ihipStream_tbENKUlT_T0_E_clISt17integral_constantIbLb1EESY_IbLb0EEEEDaSU_SV_EUlSU_E_NS1_11comp_targetILNS1_3genE4ELNS1_11target_archE910ELNS1_3gpuE8ELNS1_3repE0EEENS1_30default_config_static_selectorELNS0_4arch9wavefront6targetE0EEEvT1_.has_indirect_call, 0
	.section	.AMDGPU.csdata,"",@progbits
; Kernel info:
; codeLenInByte = 0
; TotalNumSgprs: 0
; NumVgprs: 0
; ScratchSize: 0
; MemoryBound: 0
; FloatMode: 240
; IeeeMode: 1
; LDSByteSize: 0 bytes/workgroup (compile time only)
; SGPRBlocks: 0
; VGPRBlocks: 0
; NumSGPRsForWavesPerEU: 1
; NumVGPRsForWavesPerEU: 1
; Occupancy: 16
; WaveLimiterHint : 0
; COMPUTE_PGM_RSRC2:SCRATCH_EN: 0
; COMPUTE_PGM_RSRC2:USER_SGPR: 6
; COMPUTE_PGM_RSRC2:TRAP_HANDLER: 0
; COMPUTE_PGM_RSRC2:TGID_X_EN: 1
; COMPUTE_PGM_RSRC2:TGID_Y_EN: 0
; COMPUTE_PGM_RSRC2:TGID_Z_EN: 0
; COMPUTE_PGM_RSRC2:TIDIG_COMP_CNT: 0
	.section	.text._ZN7rocprim17ROCPRIM_400000_NS6detail17trampoline_kernelINS0_14default_configENS1_27scan_by_key_config_selectorIssEEZZNS1_16scan_by_key_implILNS1_25lookback_scan_determinismE0ELb0ES3_N6thrust23THRUST_200600_302600_NS6detail15normal_iteratorINS9_10device_ptrIsEEEESE_SE_sNS9_4plusIvEENS9_8equal_toIsEEsEE10hipError_tPvRmT2_T3_T4_T5_mT6_T7_P12ihipStream_tbENKUlT_T0_E_clISt17integral_constantIbLb1EESY_IbLb0EEEEDaSU_SV_EUlSU_E_NS1_11comp_targetILNS1_3genE3ELNS1_11target_archE908ELNS1_3gpuE7ELNS1_3repE0EEENS1_30default_config_static_selectorELNS0_4arch9wavefront6targetE0EEEvT1_,"axG",@progbits,_ZN7rocprim17ROCPRIM_400000_NS6detail17trampoline_kernelINS0_14default_configENS1_27scan_by_key_config_selectorIssEEZZNS1_16scan_by_key_implILNS1_25lookback_scan_determinismE0ELb0ES3_N6thrust23THRUST_200600_302600_NS6detail15normal_iteratorINS9_10device_ptrIsEEEESE_SE_sNS9_4plusIvEENS9_8equal_toIsEEsEE10hipError_tPvRmT2_T3_T4_T5_mT6_T7_P12ihipStream_tbENKUlT_T0_E_clISt17integral_constantIbLb1EESY_IbLb0EEEEDaSU_SV_EUlSU_E_NS1_11comp_targetILNS1_3genE3ELNS1_11target_archE908ELNS1_3gpuE7ELNS1_3repE0EEENS1_30default_config_static_selectorELNS0_4arch9wavefront6targetE0EEEvT1_,comdat
	.protected	_ZN7rocprim17ROCPRIM_400000_NS6detail17trampoline_kernelINS0_14default_configENS1_27scan_by_key_config_selectorIssEEZZNS1_16scan_by_key_implILNS1_25lookback_scan_determinismE0ELb0ES3_N6thrust23THRUST_200600_302600_NS6detail15normal_iteratorINS9_10device_ptrIsEEEESE_SE_sNS9_4plusIvEENS9_8equal_toIsEEsEE10hipError_tPvRmT2_T3_T4_T5_mT6_T7_P12ihipStream_tbENKUlT_T0_E_clISt17integral_constantIbLb1EESY_IbLb0EEEEDaSU_SV_EUlSU_E_NS1_11comp_targetILNS1_3genE3ELNS1_11target_archE908ELNS1_3gpuE7ELNS1_3repE0EEENS1_30default_config_static_selectorELNS0_4arch9wavefront6targetE0EEEvT1_ ; -- Begin function _ZN7rocprim17ROCPRIM_400000_NS6detail17trampoline_kernelINS0_14default_configENS1_27scan_by_key_config_selectorIssEEZZNS1_16scan_by_key_implILNS1_25lookback_scan_determinismE0ELb0ES3_N6thrust23THRUST_200600_302600_NS6detail15normal_iteratorINS9_10device_ptrIsEEEESE_SE_sNS9_4plusIvEENS9_8equal_toIsEEsEE10hipError_tPvRmT2_T3_T4_T5_mT6_T7_P12ihipStream_tbENKUlT_T0_E_clISt17integral_constantIbLb1EESY_IbLb0EEEEDaSU_SV_EUlSU_E_NS1_11comp_targetILNS1_3genE3ELNS1_11target_archE908ELNS1_3gpuE7ELNS1_3repE0EEENS1_30default_config_static_selectorELNS0_4arch9wavefront6targetE0EEEvT1_
	.globl	_ZN7rocprim17ROCPRIM_400000_NS6detail17trampoline_kernelINS0_14default_configENS1_27scan_by_key_config_selectorIssEEZZNS1_16scan_by_key_implILNS1_25lookback_scan_determinismE0ELb0ES3_N6thrust23THRUST_200600_302600_NS6detail15normal_iteratorINS9_10device_ptrIsEEEESE_SE_sNS9_4plusIvEENS9_8equal_toIsEEsEE10hipError_tPvRmT2_T3_T4_T5_mT6_T7_P12ihipStream_tbENKUlT_T0_E_clISt17integral_constantIbLb1EESY_IbLb0EEEEDaSU_SV_EUlSU_E_NS1_11comp_targetILNS1_3genE3ELNS1_11target_archE908ELNS1_3gpuE7ELNS1_3repE0EEENS1_30default_config_static_selectorELNS0_4arch9wavefront6targetE0EEEvT1_
	.p2align	8
	.type	_ZN7rocprim17ROCPRIM_400000_NS6detail17trampoline_kernelINS0_14default_configENS1_27scan_by_key_config_selectorIssEEZZNS1_16scan_by_key_implILNS1_25lookback_scan_determinismE0ELb0ES3_N6thrust23THRUST_200600_302600_NS6detail15normal_iteratorINS9_10device_ptrIsEEEESE_SE_sNS9_4plusIvEENS9_8equal_toIsEEsEE10hipError_tPvRmT2_T3_T4_T5_mT6_T7_P12ihipStream_tbENKUlT_T0_E_clISt17integral_constantIbLb1EESY_IbLb0EEEEDaSU_SV_EUlSU_E_NS1_11comp_targetILNS1_3genE3ELNS1_11target_archE908ELNS1_3gpuE7ELNS1_3repE0EEENS1_30default_config_static_selectorELNS0_4arch9wavefront6targetE0EEEvT1_,@function
_ZN7rocprim17ROCPRIM_400000_NS6detail17trampoline_kernelINS0_14default_configENS1_27scan_by_key_config_selectorIssEEZZNS1_16scan_by_key_implILNS1_25lookback_scan_determinismE0ELb0ES3_N6thrust23THRUST_200600_302600_NS6detail15normal_iteratorINS9_10device_ptrIsEEEESE_SE_sNS9_4plusIvEENS9_8equal_toIsEEsEE10hipError_tPvRmT2_T3_T4_T5_mT6_T7_P12ihipStream_tbENKUlT_T0_E_clISt17integral_constantIbLb1EESY_IbLb0EEEEDaSU_SV_EUlSU_E_NS1_11comp_targetILNS1_3genE3ELNS1_11target_archE908ELNS1_3gpuE7ELNS1_3repE0EEENS1_30default_config_static_selectorELNS0_4arch9wavefront6targetE0EEEvT1_: ; @_ZN7rocprim17ROCPRIM_400000_NS6detail17trampoline_kernelINS0_14default_configENS1_27scan_by_key_config_selectorIssEEZZNS1_16scan_by_key_implILNS1_25lookback_scan_determinismE0ELb0ES3_N6thrust23THRUST_200600_302600_NS6detail15normal_iteratorINS9_10device_ptrIsEEEESE_SE_sNS9_4plusIvEENS9_8equal_toIsEEsEE10hipError_tPvRmT2_T3_T4_T5_mT6_T7_P12ihipStream_tbENKUlT_T0_E_clISt17integral_constantIbLb1EESY_IbLb0EEEEDaSU_SV_EUlSU_E_NS1_11comp_targetILNS1_3genE3ELNS1_11target_archE908ELNS1_3gpuE7ELNS1_3repE0EEENS1_30default_config_static_selectorELNS0_4arch9wavefront6targetE0EEEvT1_
; %bb.0:
	.section	.rodata,"a",@progbits
	.p2align	6, 0x0
	.amdhsa_kernel _ZN7rocprim17ROCPRIM_400000_NS6detail17trampoline_kernelINS0_14default_configENS1_27scan_by_key_config_selectorIssEEZZNS1_16scan_by_key_implILNS1_25lookback_scan_determinismE0ELb0ES3_N6thrust23THRUST_200600_302600_NS6detail15normal_iteratorINS9_10device_ptrIsEEEESE_SE_sNS9_4plusIvEENS9_8equal_toIsEEsEE10hipError_tPvRmT2_T3_T4_T5_mT6_T7_P12ihipStream_tbENKUlT_T0_E_clISt17integral_constantIbLb1EESY_IbLb0EEEEDaSU_SV_EUlSU_E_NS1_11comp_targetILNS1_3genE3ELNS1_11target_archE908ELNS1_3gpuE7ELNS1_3repE0EEENS1_30default_config_static_selectorELNS0_4arch9wavefront6targetE0EEEvT1_
		.amdhsa_group_segment_fixed_size 0
		.amdhsa_private_segment_fixed_size 0
		.amdhsa_kernarg_size 112
		.amdhsa_user_sgpr_count 6
		.amdhsa_user_sgpr_private_segment_buffer 1
		.amdhsa_user_sgpr_dispatch_ptr 0
		.amdhsa_user_sgpr_queue_ptr 0
		.amdhsa_user_sgpr_kernarg_segment_ptr 1
		.amdhsa_user_sgpr_dispatch_id 0
		.amdhsa_user_sgpr_flat_scratch_init 0
		.amdhsa_user_sgpr_private_segment_size 0
		.amdhsa_wavefront_size32 1
		.amdhsa_uses_dynamic_stack 0
		.amdhsa_system_sgpr_private_segment_wavefront_offset 0
		.amdhsa_system_sgpr_workgroup_id_x 1
		.amdhsa_system_sgpr_workgroup_id_y 0
		.amdhsa_system_sgpr_workgroup_id_z 0
		.amdhsa_system_sgpr_workgroup_info 0
		.amdhsa_system_vgpr_workitem_id 0
		.amdhsa_next_free_vgpr 1
		.amdhsa_next_free_sgpr 1
		.amdhsa_reserve_vcc 0
		.amdhsa_reserve_flat_scratch 0
		.amdhsa_float_round_mode_32 0
		.amdhsa_float_round_mode_16_64 0
		.amdhsa_float_denorm_mode_32 3
		.amdhsa_float_denorm_mode_16_64 3
		.amdhsa_dx10_clamp 1
		.amdhsa_ieee_mode 1
		.amdhsa_fp16_overflow 0
		.amdhsa_workgroup_processor_mode 1
		.amdhsa_memory_ordered 1
		.amdhsa_forward_progress 1
		.amdhsa_shared_vgpr_count 0
		.amdhsa_exception_fp_ieee_invalid_op 0
		.amdhsa_exception_fp_denorm_src 0
		.amdhsa_exception_fp_ieee_div_zero 0
		.amdhsa_exception_fp_ieee_overflow 0
		.amdhsa_exception_fp_ieee_underflow 0
		.amdhsa_exception_fp_ieee_inexact 0
		.amdhsa_exception_int_div_zero 0
	.end_amdhsa_kernel
	.section	.text._ZN7rocprim17ROCPRIM_400000_NS6detail17trampoline_kernelINS0_14default_configENS1_27scan_by_key_config_selectorIssEEZZNS1_16scan_by_key_implILNS1_25lookback_scan_determinismE0ELb0ES3_N6thrust23THRUST_200600_302600_NS6detail15normal_iteratorINS9_10device_ptrIsEEEESE_SE_sNS9_4plusIvEENS9_8equal_toIsEEsEE10hipError_tPvRmT2_T3_T4_T5_mT6_T7_P12ihipStream_tbENKUlT_T0_E_clISt17integral_constantIbLb1EESY_IbLb0EEEEDaSU_SV_EUlSU_E_NS1_11comp_targetILNS1_3genE3ELNS1_11target_archE908ELNS1_3gpuE7ELNS1_3repE0EEENS1_30default_config_static_selectorELNS0_4arch9wavefront6targetE0EEEvT1_,"axG",@progbits,_ZN7rocprim17ROCPRIM_400000_NS6detail17trampoline_kernelINS0_14default_configENS1_27scan_by_key_config_selectorIssEEZZNS1_16scan_by_key_implILNS1_25lookback_scan_determinismE0ELb0ES3_N6thrust23THRUST_200600_302600_NS6detail15normal_iteratorINS9_10device_ptrIsEEEESE_SE_sNS9_4plusIvEENS9_8equal_toIsEEsEE10hipError_tPvRmT2_T3_T4_T5_mT6_T7_P12ihipStream_tbENKUlT_T0_E_clISt17integral_constantIbLb1EESY_IbLb0EEEEDaSU_SV_EUlSU_E_NS1_11comp_targetILNS1_3genE3ELNS1_11target_archE908ELNS1_3gpuE7ELNS1_3repE0EEENS1_30default_config_static_selectorELNS0_4arch9wavefront6targetE0EEEvT1_,comdat
.Lfunc_end339:
	.size	_ZN7rocprim17ROCPRIM_400000_NS6detail17trampoline_kernelINS0_14default_configENS1_27scan_by_key_config_selectorIssEEZZNS1_16scan_by_key_implILNS1_25lookback_scan_determinismE0ELb0ES3_N6thrust23THRUST_200600_302600_NS6detail15normal_iteratorINS9_10device_ptrIsEEEESE_SE_sNS9_4plusIvEENS9_8equal_toIsEEsEE10hipError_tPvRmT2_T3_T4_T5_mT6_T7_P12ihipStream_tbENKUlT_T0_E_clISt17integral_constantIbLb1EESY_IbLb0EEEEDaSU_SV_EUlSU_E_NS1_11comp_targetILNS1_3genE3ELNS1_11target_archE908ELNS1_3gpuE7ELNS1_3repE0EEENS1_30default_config_static_selectorELNS0_4arch9wavefront6targetE0EEEvT1_, .Lfunc_end339-_ZN7rocprim17ROCPRIM_400000_NS6detail17trampoline_kernelINS0_14default_configENS1_27scan_by_key_config_selectorIssEEZZNS1_16scan_by_key_implILNS1_25lookback_scan_determinismE0ELb0ES3_N6thrust23THRUST_200600_302600_NS6detail15normal_iteratorINS9_10device_ptrIsEEEESE_SE_sNS9_4plusIvEENS9_8equal_toIsEEsEE10hipError_tPvRmT2_T3_T4_T5_mT6_T7_P12ihipStream_tbENKUlT_T0_E_clISt17integral_constantIbLb1EESY_IbLb0EEEEDaSU_SV_EUlSU_E_NS1_11comp_targetILNS1_3genE3ELNS1_11target_archE908ELNS1_3gpuE7ELNS1_3repE0EEENS1_30default_config_static_selectorELNS0_4arch9wavefront6targetE0EEEvT1_
                                        ; -- End function
	.set _ZN7rocprim17ROCPRIM_400000_NS6detail17trampoline_kernelINS0_14default_configENS1_27scan_by_key_config_selectorIssEEZZNS1_16scan_by_key_implILNS1_25lookback_scan_determinismE0ELb0ES3_N6thrust23THRUST_200600_302600_NS6detail15normal_iteratorINS9_10device_ptrIsEEEESE_SE_sNS9_4plusIvEENS9_8equal_toIsEEsEE10hipError_tPvRmT2_T3_T4_T5_mT6_T7_P12ihipStream_tbENKUlT_T0_E_clISt17integral_constantIbLb1EESY_IbLb0EEEEDaSU_SV_EUlSU_E_NS1_11comp_targetILNS1_3genE3ELNS1_11target_archE908ELNS1_3gpuE7ELNS1_3repE0EEENS1_30default_config_static_selectorELNS0_4arch9wavefront6targetE0EEEvT1_.num_vgpr, 0
	.set _ZN7rocprim17ROCPRIM_400000_NS6detail17trampoline_kernelINS0_14default_configENS1_27scan_by_key_config_selectorIssEEZZNS1_16scan_by_key_implILNS1_25lookback_scan_determinismE0ELb0ES3_N6thrust23THRUST_200600_302600_NS6detail15normal_iteratorINS9_10device_ptrIsEEEESE_SE_sNS9_4plusIvEENS9_8equal_toIsEEsEE10hipError_tPvRmT2_T3_T4_T5_mT6_T7_P12ihipStream_tbENKUlT_T0_E_clISt17integral_constantIbLb1EESY_IbLb0EEEEDaSU_SV_EUlSU_E_NS1_11comp_targetILNS1_3genE3ELNS1_11target_archE908ELNS1_3gpuE7ELNS1_3repE0EEENS1_30default_config_static_selectorELNS0_4arch9wavefront6targetE0EEEvT1_.num_agpr, 0
	.set _ZN7rocprim17ROCPRIM_400000_NS6detail17trampoline_kernelINS0_14default_configENS1_27scan_by_key_config_selectorIssEEZZNS1_16scan_by_key_implILNS1_25lookback_scan_determinismE0ELb0ES3_N6thrust23THRUST_200600_302600_NS6detail15normal_iteratorINS9_10device_ptrIsEEEESE_SE_sNS9_4plusIvEENS9_8equal_toIsEEsEE10hipError_tPvRmT2_T3_T4_T5_mT6_T7_P12ihipStream_tbENKUlT_T0_E_clISt17integral_constantIbLb1EESY_IbLb0EEEEDaSU_SV_EUlSU_E_NS1_11comp_targetILNS1_3genE3ELNS1_11target_archE908ELNS1_3gpuE7ELNS1_3repE0EEENS1_30default_config_static_selectorELNS0_4arch9wavefront6targetE0EEEvT1_.numbered_sgpr, 0
	.set _ZN7rocprim17ROCPRIM_400000_NS6detail17trampoline_kernelINS0_14default_configENS1_27scan_by_key_config_selectorIssEEZZNS1_16scan_by_key_implILNS1_25lookback_scan_determinismE0ELb0ES3_N6thrust23THRUST_200600_302600_NS6detail15normal_iteratorINS9_10device_ptrIsEEEESE_SE_sNS9_4plusIvEENS9_8equal_toIsEEsEE10hipError_tPvRmT2_T3_T4_T5_mT6_T7_P12ihipStream_tbENKUlT_T0_E_clISt17integral_constantIbLb1EESY_IbLb0EEEEDaSU_SV_EUlSU_E_NS1_11comp_targetILNS1_3genE3ELNS1_11target_archE908ELNS1_3gpuE7ELNS1_3repE0EEENS1_30default_config_static_selectorELNS0_4arch9wavefront6targetE0EEEvT1_.num_named_barrier, 0
	.set _ZN7rocprim17ROCPRIM_400000_NS6detail17trampoline_kernelINS0_14default_configENS1_27scan_by_key_config_selectorIssEEZZNS1_16scan_by_key_implILNS1_25lookback_scan_determinismE0ELb0ES3_N6thrust23THRUST_200600_302600_NS6detail15normal_iteratorINS9_10device_ptrIsEEEESE_SE_sNS9_4plusIvEENS9_8equal_toIsEEsEE10hipError_tPvRmT2_T3_T4_T5_mT6_T7_P12ihipStream_tbENKUlT_T0_E_clISt17integral_constantIbLb1EESY_IbLb0EEEEDaSU_SV_EUlSU_E_NS1_11comp_targetILNS1_3genE3ELNS1_11target_archE908ELNS1_3gpuE7ELNS1_3repE0EEENS1_30default_config_static_selectorELNS0_4arch9wavefront6targetE0EEEvT1_.private_seg_size, 0
	.set _ZN7rocprim17ROCPRIM_400000_NS6detail17trampoline_kernelINS0_14default_configENS1_27scan_by_key_config_selectorIssEEZZNS1_16scan_by_key_implILNS1_25lookback_scan_determinismE0ELb0ES3_N6thrust23THRUST_200600_302600_NS6detail15normal_iteratorINS9_10device_ptrIsEEEESE_SE_sNS9_4plusIvEENS9_8equal_toIsEEsEE10hipError_tPvRmT2_T3_T4_T5_mT6_T7_P12ihipStream_tbENKUlT_T0_E_clISt17integral_constantIbLb1EESY_IbLb0EEEEDaSU_SV_EUlSU_E_NS1_11comp_targetILNS1_3genE3ELNS1_11target_archE908ELNS1_3gpuE7ELNS1_3repE0EEENS1_30default_config_static_selectorELNS0_4arch9wavefront6targetE0EEEvT1_.uses_vcc, 0
	.set _ZN7rocprim17ROCPRIM_400000_NS6detail17trampoline_kernelINS0_14default_configENS1_27scan_by_key_config_selectorIssEEZZNS1_16scan_by_key_implILNS1_25lookback_scan_determinismE0ELb0ES3_N6thrust23THRUST_200600_302600_NS6detail15normal_iteratorINS9_10device_ptrIsEEEESE_SE_sNS9_4plusIvEENS9_8equal_toIsEEsEE10hipError_tPvRmT2_T3_T4_T5_mT6_T7_P12ihipStream_tbENKUlT_T0_E_clISt17integral_constantIbLb1EESY_IbLb0EEEEDaSU_SV_EUlSU_E_NS1_11comp_targetILNS1_3genE3ELNS1_11target_archE908ELNS1_3gpuE7ELNS1_3repE0EEENS1_30default_config_static_selectorELNS0_4arch9wavefront6targetE0EEEvT1_.uses_flat_scratch, 0
	.set _ZN7rocprim17ROCPRIM_400000_NS6detail17trampoline_kernelINS0_14default_configENS1_27scan_by_key_config_selectorIssEEZZNS1_16scan_by_key_implILNS1_25lookback_scan_determinismE0ELb0ES3_N6thrust23THRUST_200600_302600_NS6detail15normal_iteratorINS9_10device_ptrIsEEEESE_SE_sNS9_4plusIvEENS9_8equal_toIsEEsEE10hipError_tPvRmT2_T3_T4_T5_mT6_T7_P12ihipStream_tbENKUlT_T0_E_clISt17integral_constantIbLb1EESY_IbLb0EEEEDaSU_SV_EUlSU_E_NS1_11comp_targetILNS1_3genE3ELNS1_11target_archE908ELNS1_3gpuE7ELNS1_3repE0EEENS1_30default_config_static_selectorELNS0_4arch9wavefront6targetE0EEEvT1_.has_dyn_sized_stack, 0
	.set _ZN7rocprim17ROCPRIM_400000_NS6detail17trampoline_kernelINS0_14default_configENS1_27scan_by_key_config_selectorIssEEZZNS1_16scan_by_key_implILNS1_25lookback_scan_determinismE0ELb0ES3_N6thrust23THRUST_200600_302600_NS6detail15normal_iteratorINS9_10device_ptrIsEEEESE_SE_sNS9_4plusIvEENS9_8equal_toIsEEsEE10hipError_tPvRmT2_T3_T4_T5_mT6_T7_P12ihipStream_tbENKUlT_T0_E_clISt17integral_constantIbLb1EESY_IbLb0EEEEDaSU_SV_EUlSU_E_NS1_11comp_targetILNS1_3genE3ELNS1_11target_archE908ELNS1_3gpuE7ELNS1_3repE0EEENS1_30default_config_static_selectorELNS0_4arch9wavefront6targetE0EEEvT1_.has_recursion, 0
	.set _ZN7rocprim17ROCPRIM_400000_NS6detail17trampoline_kernelINS0_14default_configENS1_27scan_by_key_config_selectorIssEEZZNS1_16scan_by_key_implILNS1_25lookback_scan_determinismE0ELb0ES3_N6thrust23THRUST_200600_302600_NS6detail15normal_iteratorINS9_10device_ptrIsEEEESE_SE_sNS9_4plusIvEENS9_8equal_toIsEEsEE10hipError_tPvRmT2_T3_T4_T5_mT6_T7_P12ihipStream_tbENKUlT_T0_E_clISt17integral_constantIbLb1EESY_IbLb0EEEEDaSU_SV_EUlSU_E_NS1_11comp_targetILNS1_3genE3ELNS1_11target_archE908ELNS1_3gpuE7ELNS1_3repE0EEENS1_30default_config_static_selectorELNS0_4arch9wavefront6targetE0EEEvT1_.has_indirect_call, 0
	.section	.AMDGPU.csdata,"",@progbits
; Kernel info:
; codeLenInByte = 0
; TotalNumSgprs: 0
; NumVgprs: 0
; ScratchSize: 0
; MemoryBound: 0
; FloatMode: 240
; IeeeMode: 1
; LDSByteSize: 0 bytes/workgroup (compile time only)
; SGPRBlocks: 0
; VGPRBlocks: 0
; NumSGPRsForWavesPerEU: 1
; NumVGPRsForWavesPerEU: 1
; Occupancy: 16
; WaveLimiterHint : 0
; COMPUTE_PGM_RSRC2:SCRATCH_EN: 0
; COMPUTE_PGM_RSRC2:USER_SGPR: 6
; COMPUTE_PGM_RSRC2:TRAP_HANDLER: 0
; COMPUTE_PGM_RSRC2:TGID_X_EN: 1
; COMPUTE_PGM_RSRC2:TGID_Y_EN: 0
; COMPUTE_PGM_RSRC2:TGID_Z_EN: 0
; COMPUTE_PGM_RSRC2:TIDIG_COMP_CNT: 0
	.section	.text._ZN7rocprim17ROCPRIM_400000_NS6detail17trampoline_kernelINS0_14default_configENS1_27scan_by_key_config_selectorIssEEZZNS1_16scan_by_key_implILNS1_25lookback_scan_determinismE0ELb0ES3_N6thrust23THRUST_200600_302600_NS6detail15normal_iteratorINS9_10device_ptrIsEEEESE_SE_sNS9_4plusIvEENS9_8equal_toIsEEsEE10hipError_tPvRmT2_T3_T4_T5_mT6_T7_P12ihipStream_tbENKUlT_T0_E_clISt17integral_constantIbLb1EESY_IbLb0EEEEDaSU_SV_EUlSU_E_NS1_11comp_targetILNS1_3genE2ELNS1_11target_archE906ELNS1_3gpuE6ELNS1_3repE0EEENS1_30default_config_static_selectorELNS0_4arch9wavefront6targetE0EEEvT1_,"axG",@progbits,_ZN7rocprim17ROCPRIM_400000_NS6detail17trampoline_kernelINS0_14default_configENS1_27scan_by_key_config_selectorIssEEZZNS1_16scan_by_key_implILNS1_25lookback_scan_determinismE0ELb0ES3_N6thrust23THRUST_200600_302600_NS6detail15normal_iteratorINS9_10device_ptrIsEEEESE_SE_sNS9_4plusIvEENS9_8equal_toIsEEsEE10hipError_tPvRmT2_T3_T4_T5_mT6_T7_P12ihipStream_tbENKUlT_T0_E_clISt17integral_constantIbLb1EESY_IbLb0EEEEDaSU_SV_EUlSU_E_NS1_11comp_targetILNS1_3genE2ELNS1_11target_archE906ELNS1_3gpuE6ELNS1_3repE0EEENS1_30default_config_static_selectorELNS0_4arch9wavefront6targetE0EEEvT1_,comdat
	.protected	_ZN7rocprim17ROCPRIM_400000_NS6detail17trampoline_kernelINS0_14default_configENS1_27scan_by_key_config_selectorIssEEZZNS1_16scan_by_key_implILNS1_25lookback_scan_determinismE0ELb0ES3_N6thrust23THRUST_200600_302600_NS6detail15normal_iteratorINS9_10device_ptrIsEEEESE_SE_sNS9_4plusIvEENS9_8equal_toIsEEsEE10hipError_tPvRmT2_T3_T4_T5_mT6_T7_P12ihipStream_tbENKUlT_T0_E_clISt17integral_constantIbLb1EESY_IbLb0EEEEDaSU_SV_EUlSU_E_NS1_11comp_targetILNS1_3genE2ELNS1_11target_archE906ELNS1_3gpuE6ELNS1_3repE0EEENS1_30default_config_static_selectorELNS0_4arch9wavefront6targetE0EEEvT1_ ; -- Begin function _ZN7rocprim17ROCPRIM_400000_NS6detail17trampoline_kernelINS0_14default_configENS1_27scan_by_key_config_selectorIssEEZZNS1_16scan_by_key_implILNS1_25lookback_scan_determinismE0ELb0ES3_N6thrust23THRUST_200600_302600_NS6detail15normal_iteratorINS9_10device_ptrIsEEEESE_SE_sNS9_4plusIvEENS9_8equal_toIsEEsEE10hipError_tPvRmT2_T3_T4_T5_mT6_T7_P12ihipStream_tbENKUlT_T0_E_clISt17integral_constantIbLb1EESY_IbLb0EEEEDaSU_SV_EUlSU_E_NS1_11comp_targetILNS1_3genE2ELNS1_11target_archE906ELNS1_3gpuE6ELNS1_3repE0EEENS1_30default_config_static_selectorELNS0_4arch9wavefront6targetE0EEEvT1_
	.globl	_ZN7rocprim17ROCPRIM_400000_NS6detail17trampoline_kernelINS0_14default_configENS1_27scan_by_key_config_selectorIssEEZZNS1_16scan_by_key_implILNS1_25lookback_scan_determinismE0ELb0ES3_N6thrust23THRUST_200600_302600_NS6detail15normal_iteratorINS9_10device_ptrIsEEEESE_SE_sNS9_4plusIvEENS9_8equal_toIsEEsEE10hipError_tPvRmT2_T3_T4_T5_mT6_T7_P12ihipStream_tbENKUlT_T0_E_clISt17integral_constantIbLb1EESY_IbLb0EEEEDaSU_SV_EUlSU_E_NS1_11comp_targetILNS1_3genE2ELNS1_11target_archE906ELNS1_3gpuE6ELNS1_3repE0EEENS1_30default_config_static_selectorELNS0_4arch9wavefront6targetE0EEEvT1_
	.p2align	8
	.type	_ZN7rocprim17ROCPRIM_400000_NS6detail17trampoline_kernelINS0_14default_configENS1_27scan_by_key_config_selectorIssEEZZNS1_16scan_by_key_implILNS1_25lookback_scan_determinismE0ELb0ES3_N6thrust23THRUST_200600_302600_NS6detail15normal_iteratorINS9_10device_ptrIsEEEESE_SE_sNS9_4plusIvEENS9_8equal_toIsEEsEE10hipError_tPvRmT2_T3_T4_T5_mT6_T7_P12ihipStream_tbENKUlT_T0_E_clISt17integral_constantIbLb1EESY_IbLb0EEEEDaSU_SV_EUlSU_E_NS1_11comp_targetILNS1_3genE2ELNS1_11target_archE906ELNS1_3gpuE6ELNS1_3repE0EEENS1_30default_config_static_selectorELNS0_4arch9wavefront6targetE0EEEvT1_,@function
_ZN7rocprim17ROCPRIM_400000_NS6detail17trampoline_kernelINS0_14default_configENS1_27scan_by_key_config_selectorIssEEZZNS1_16scan_by_key_implILNS1_25lookback_scan_determinismE0ELb0ES3_N6thrust23THRUST_200600_302600_NS6detail15normal_iteratorINS9_10device_ptrIsEEEESE_SE_sNS9_4plusIvEENS9_8equal_toIsEEsEE10hipError_tPvRmT2_T3_T4_T5_mT6_T7_P12ihipStream_tbENKUlT_T0_E_clISt17integral_constantIbLb1EESY_IbLb0EEEEDaSU_SV_EUlSU_E_NS1_11comp_targetILNS1_3genE2ELNS1_11target_archE906ELNS1_3gpuE6ELNS1_3repE0EEENS1_30default_config_static_selectorELNS0_4arch9wavefront6targetE0EEEvT1_: ; @_ZN7rocprim17ROCPRIM_400000_NS6detail17trampoline_kernelINS0_14default_configENS1_27scan_by_key_config_selectorIssEEZZNS1_16scan_by_key_implILNS1_25lookback_scan_determinismE0ELb0ES3_N6thrust23THRUST_200600_302600_NS6detail15normal_iteratorINS9_10device_ptrIsEEEESE_SE_sNS9_4plusIvEENS9_8equal_toIsEEsEE10hipError_tPvRmT2_T3_T4_T5_mT6_T7_P12ihipStream_tbENKUlT_T0_E_clISt17integral_constantIbLb1EESY_IbLb0EEEEDaSU_SV_EUlSU_E_NS1_11comp_targetILNS1_3genE2ELNS1_11target_archE906ELNS1_3gpuE6ELNS1_3repE0EEENS1_30default_config_static_selectorELNS0_4arch9wavefront6targetE0EEEvT1_
; %bb.0:
	.section	.rodata,"a",@progbits
	.p2align	6, 0x0
	.amdhsa_kernel _ZN7rocprim17ROCPRIM_400000_NS6detail17trampoline_kernelINS0_14default_configENS1_27scan_by_key_config_selectorIssEEZZNS1_16scan_by_key_implILNS1_25lookback_scan_determinismE0ELb0ES3_N6thrust23THRUST_200600_302600_NS6detail15normal_iteratorINS9_10device_ptrIsEEEESE_SE_sNS9_4plusIvEENS9_8equal_toIsEEsEE10hipError_tPvRmT2_T3_T4_T5_mT6_T7_P12ihipStream_tbENKUlT_T0_E_clISt17integral_constantIbLb1EESY_IbLb0EEEEDaSU_SV_EUlSU_E_NS1_11comp_targetILNS1_3genE2ELNS1_11target_archE906ELNS1_3gpuE6ELNS1_3repE0EEENS1_30default_config_static_selectorELNS0_4arch9wavefront6targetE0EEEvT1_
		.amdhsa_group_segment_fixed_size 0
		.amdhsa_private_segment_fixed_size 0
		.amdhsa_kernarg_size 112
		.amdhsa_user_sgpr_count 6
		.amdhsa_user_sgpr_private_segment_buffer 1
		.amdhsa_user_sgpr_dispatch_ptr 0
		.amdhsa_user_sgpr_queue_ptr 0
		.amdhsa_user_sgpr_kernarg_segment_ptr 1
		.amdhsa_user_sgpr_dispatch_id 0
		.amdhsa_user_sgpr_flat_scratch_init 0
		.amdhsa_user_sgpr_private_segment_size 0
		.amdhsa_wavefront_size32 1
		.amdhsa_uses_dynamic_stack 0
		.amdhsa_system_sgpr_private_segment_wavefront_offset 0
		.amdhsa_system_sgpr_workgroup_id_x 1
		.amdhsa_system_sgpr_workgroup_id_y 0
		.amdhsa_system_sgpr_workgroup_id_z 0
		.amdhsa_system_sgpr_workgroup_info 0
		.amdhsa_system_vgpr_workitem_id 0
		.amdhsa_next_free_vgpr 1
		.amdhsa_next_free_sgpr 1
		.amdhsa_reserve_vcc 0
		.amdhsa_reserve_flat_scratch 0
		.amdhsa_float_round_mode_32 0
		.amdhsa_float_round_mode_16_64 0
		.amdhsa_float_denorm_mode_32 3
		.amdhsa_float_denorm_mode_16_64 3
		.amdhsa_dx10_clamp 1
		.amdhsa_ieee_mode 1
		.amdhsa_fp16_overflow 0
		.amdhsa_workgroup_processor_mode 1
		.amdhsa_memory_ordered 1
		.amdhsa_forward_progress 1
		.amdhsa_shared_vgpr_count 0
		.amdhsa_exception_fp_ieee_invalid_op 0
		.amdhsa_exception_fp_denorm_src 0
		.amdhsa_exception_fp_ieee_div_zero 0
		.amdhsa_exception_fp_ieee_overflow 0
		.amdhsa_exception_fp_ieee_underflow 0
		.amdhsa_exception_fp_ieee_inexact 0
		.amdhsa_exception_int_div_zero 0
	.end_amdhsa_kernel
	.section	.text._ZN7rocprim17ROCPRIM_400000_NS6detail17trampoline_kernelINS0_14default_configENS1_27scan_by_key_config_selectorIssEEZZNS1_16scan_by_key_implILNS1_25lookback_scan_determinismE0ELb0ES3_N6thrust23THRUST_200600_302600_NS6detail15normal_iteratorINS9_10device_ptrIsEEEESE_SE_sNS9_4plusIvEENS9_8equal_toIsEEsEE10hipError_tPvRmT2_T3_T4_T5_mT6_T7_P12ihipStream_tbENKUlT_T0_E_clISt17integral_constantIbLb1EESY_IbLb0EEEEDaSU_SV_EUlSU_E_NS1_11comp_targetILNS1_3genE2ELNS1_11target_archE906ELNS1_3gpuE6ELNS1_3repE0EEENS1_30default_config_static_selectorELNS0_4arch9wavefront6targetE0EEEvT1_,"axG",@progbits,_ZN7rocprim17ROCPRIM_400000_NS6detail17trampoline_kernelINS0_14default_configENS1_27scan_by_key_config_selectorIssEEZZNS1_16scan_by_key_implILNS1_25lookback_scan_determinismE0ELb0ES3_N6thrust23THRUST_200600_302600_NS6detail15normal_iteratorINS9_10device_ptrIsEEEESE_SE_sNS9_4plusIvEENS9_8equal_toIsEEsEE10hipError_tPvRmT2_T3_T4_T5_mT6_T7_P12ihipStream_tbENKUlT_T0_E_clISt17integral_constantIbLb1EESY_IbLb0EEEEDaSU_SV_EUlSU_E_NS1_11comp_targetILNS1_3genE2ELNS1_11target_archE906ELNS1_3gpuE6ELNS1_3repE0EEENS1_30default_config_static_selectorELNS0_4arch9wavefront6targetE0EEEvT1_,comdat
.Lfunc_end340:
	.size	_ZN7rocprim17ROCPRIM_400000_NS6detail17trampoline_kernelINS0_14default_configENS1_27scan_by_key_config_selectorIssEEZZNS1_16scan_by_key_implILNS1_25lookback_scan_determinismE0ELb0ES3_N6thrust23THRUST_200600_302600_NS6detail15normal_iteratorINS9_10device_ptrIsEEEESE_SE_sNS9_4plusIvEENS9_8equal_toIsEEsEE10hipError_tPvRmT2_T3_T4_T5_mT6_T7_P12ihipStream_tbENKUlT_T0_E_clISt17integral_constantIbLb1EESY_IbLb0EEEEDaSU_SV_EUlSU_E_NS1_11comp_targetILNS1_3genE2ELNS1_11target_archE906ELNS1_3gpuE6ELNS1_3repE0EEENS1_30default_config_static_selectorELNS0_4arch9wavefront6targetE0EEEvT1_, .Lfunc_end340-_ZN7rocprim17ROCPRIM_400000_NS6detail17trampoline_kernelINS0_14default_configENS1_27scan_by_key_config_selectorIssEEZZNS1_16scan_by_key_implILNS1_25lookback_scan_determinismE0ELb0ES3_N6thrust23THRUST_200600_302600_NS6detail15normal_iteratorINS9_10device_ptrIsEEEESE_SE_sNS9_4plusIvEENS9_8equal_toIsEEsEE10hipError_tPvRmT2_T3_T4_T5_mT6_T7_P12ihipStream_tbENKUlT_T0_E_clISt17integral_constantIbLb1EESY_IbLb0EEEEDaSU_SV_EUlSU_E_NS1_11comp_targetILNS1_3genE2ELNS1_11target_archE906ELNS1_3gpuE6ELNS1_3repE0EEENS1_30default_config_static_selectorELNS0_4arch9wavefront6targetE0EEEvT1_
                                        ; -- End function
	.set _ZN7rocprim17ROCPRIM_400000_NS6detail17trampoline_kernelINS0_14default_configENS1_27scan_by_key_config_selectorIssEEZZNS1_16scan_by_key_implILNS1_25lookback_scan_determinismE0ELb0ES3_N6thrust23THRUST_200600_302600_NS6detail15normal_iteratorINS9_10device_ptrIsEEEESE_SE_sNS9_4plusIvEENS9_8equal_toIsEEsEE10hipError_tPvRmT2_T3_T4_T5_mT6_T7_P12ihipStream_tbENKUlT_T0_E_clISt17integral_constantIbLb1EESY_IbLb0EEEEDaSU_SV_EUlSU_E_NS1_11comp_targetILNS1_3genE2ELNS1_11target_archE906ELNS1_3gpuE6ELNS1_3repE0EEENS1_30default_config_static_selectorELNS0_4arch9wavefront6targetE0EEEvT1_.num_vgpr, 0
	.set _ZN7rocprim17ROCPRIM_400000_NS6detail17trampoline_kernelINS0_14default_configENS1_27scan_by_key_config_selectorIssEEZZNS1_16scan_by_key_implILNS1_25lookback_scan_determinismE0ELb0ES3_N6thrust23THRUST_200600_302600_NS6detail15normal_iteratorINS9_10device_ptrIsEEEESE_SE_sNS9_4plusIvEENS9_8equal_toIsEEsEE10hipError_tPvRmT2_T3_T4_T5_mT6_T7_P12ihipStream_tbENKUlT_T0_E_clISt17integral_constantIbLb1EESY_IbLb0EEEEDaSU_SV_EUlSU_E_NS1_11comp_targetILNS1_3genE2ELNS1_11target_archE906ELNS1_3gpuE6ELNS1_3repE0EEENS1_30default_config_static_selectorELNS0_4arch9wavefront6targetE0EEEvT1_.num_agpr, 0
	.set _ZN7rocprim17ROCPRIM_400000_NS6detail17trampoline_kernelINS0_14default_configENS1_27scan_by_key_config_selectorIssEEZZNS1_16scan_by_key_implILNS1_25lookback_scan_determinismE0ELb0ES3_N6thrust23THRUST_200600_302600_NS6detail15normal_iteratorINS9_10device_ptrIsEEEESE_SE_sNS9_4plusIvEENS9_8equal_toIsEEsEE10hipError_tPvRmT2_T3_T4_T5_mT6_T7_P12ihipStream_tbENKUlT_T0_E_clISt17integral_constantIbLb1EESY_IbLb0EEEEDaSU_SV_EUlSU_E_NS1_11comp_targetILNS1_3genE2ELNS1_11target_archE906ELNS1_3gpuE6ELNS1_3repE0EEENS1_30default_config_static_selectorELNS0_4arch9wavefront6targetE0EEEvT1_.numbered_sgpr, 0
	.set _ZN7rocprim17ROCPRIM_400000_NS6detail17trampoline_kernelINS0_14default_configENS1_27scan_by_key_config_selectorIssEEZZNS1_16scan_by_key_implILNS1_25lookback_scan_determinismE0ELb0ES3_N6thrust23THRUST_200600_302600_NS6detail15normal_iteratorINS9_10device_ptrIsEEEESE_SE_sNS9_4plusIvEENS9_8equal_toIsEEsEE10hipError_tPvRmT2_T3_T4_T5_mT6_T7_P12ihipStream_tbENKUlT_T0_E_clISt17integral_constantIbLb1EESY_IbLb0EEEEDaSU_SV_EUlSU_E_NS1_11comp_targetILNS1_3genE2ELNS1_11target_archE906ELNS1_3gpuE6ELNS1_3repE0EEENS1_30default_config_static_selectorELNS0_4arch9wavefront6targetE0EEEvT1_.num_named_barrier, 0
	.set _ZN7rocprim17ROCPRIM_400000_NS6detail17trampoline_kernelINS0_14default_configENS1_27scan_by_key_config_selectorIssEEZZNS1_16scan_by_key_implILNS1_25lookback_scan_determinismE0ELb0ES3_N6thrust23THRUST_200600_302600_NS6detail15normal_iteratorINS9_10device_ptrIsEEEESE_SE_sNS9_4plusIvEENS9_8equal_toIsEEsEE10hipError_tPvRmT2_T3_T4_T5_mT6_T7_P12ihipStream_tbENKUlT_T0_E_clISt17integral_constantIbLb1EESY_IbLb0EEEEDaSU_SV_EUlSU_E_NS1_11comp_targetILNS1_3genE2ELNS1_11target_archE906ELNS1_3gpuE6ELNS1_3repE0EEENS1_30default_config_static_selectorELNS0_4arch9wavefront6targetE0EEEvT1_.private_seg_size, 0
	.set _ZN7rocprim17ROCPRIM_400000_NS6detail17trampoline_kernelINS0_14default_configENS1_27scan_by_key_config_selectorIssEEZZNS1_16scan_by_key_implILNS1_25lookback_scan_determinismE0ELb0ES3_N6thrust23THRUST_200600_302600_NS6detail15normal_iteratorINS9_10device_ptrIsEEEESE_SE_sNS9_4plusIvEENS9_8equal_toIsEEsEE10hipError_tPvRmT2_T3_T4_T5_mT6_T7_P12ihipStream_tbENKUlT_T0_E_clISt17integral_constantIbLb1EESY_IbLb0EEEEDaSU_SV_EUlSU_E_NS1_11comp_targetILNS1_3genE2ELNS1_11target_archE906ELNS1_3gpuE6ELNS1_3repE0EEENS1_30default_config_static_selectorELNS0_4arch9wavefront6targetE0EEEvT1_.uses_vcc, 0
	.set _ZN7rocprim17ROCPRIM_400000_NS6detail17trampoline_kernelINS0_14default_configENS1_27scan_by_key_config_selectorIssEEZZNS1_16scan_by_key_implILNS1_25lookback_scan_determinismE0ELb0ES3_N6thrust23THRUST_200600_302600_NS6detail15normal_iteratorINS9_10device_ptrIsEEEESE_SE_sNS9_4plusIvEENS9_8equal_toIsEEsEE10hipError_tPvRmT2_T3_T4_T5_mT6_T7_P12ihipStream_tbENKUlT_T0_E_clISt17integral_constantIbLb1EESY_IbLb0EEEEDaSU_SV_EUlSU_E_NS1_11comp_targetILNS1_3genE2ELNS1_11target_archE906ELNS1_3gpuE6ELNS1_3repE0EEENS1_30default_config_static_selectorELNS0_4arch9wavefront6targetE0EEEvT1_.uses_flat_scratch, 0
	.set _ZN7rocprim17ROCPRIM_400000_NS6detail17trampoline_kernelINS0_14default_configENS1_27scan_by_key_config_selectorIssEEZZNS1_16scan_by_key_implILNS1_25lookback_scan_determinismE0ELb0ES3_N6thrust23THRUST_200600_302600_NS6detail15normal_iteratorINS9_10device_ptrIsEEEESE_SE_sNS9_4plusIvEENS9_8equal_toIsEEsEE10hipError_tPvRmT2_T3_T4_T5_mT6_T7_P12ihipStream_tbENKUlT_T0_E_clISt17integral_constantIbLb1EESY_IbLb0EEEEDaSU_SV_EUlSU_E_NS1_11comp_targetILNS1_3genE2ELNS1_11target_archE906ELNS1_3gpuE6ELNS1_3repE0EEENS1_30default_config_static_selectorELNS0_4arch9wavefront6targetE0EEEvT1_.has_dyn_sized_stack, 0
	.set _ZN7rocprim17ROCPRIM_400000_NS6detail17trampoline_kernelINS0_14default_configENS1_27scan_by_key_config_selectorIssEEZZNS1_16scan_by_key_implILNS1_25lookback_scan_determinismE0ELb0ES3_N6thrust23THRUST_200600_302600_NS6detail15normal_iteratorINS9_10device_ptrIsEEEESE_SE_sNS9_4plusIvEENS9_8equal_toIsEEsEE10hipError_tPvRmT2_T3_T4_T5_mT6_T7_P12ihipStream_tbENKUlT_T0_E_clISt17integral_constantIbLb1EESY_IbLb0EEEEDaSU_SV_EUlSU_E_NS1_11comp_targetILNS1_3genE2ELNS1_11target_archE906ELNS1_3gpuE6ELNS1_3repE0EEENS1_30default_config_static_selectorELNS0_4arch9wavefront6targetE0EEEvT1_.has_recursion, 0
	.set _ZN7rocprim17ROCPRIM_400000_NS6detail17trampoline_kernelINS0_14default_configENS1_27scan_by_key_config_selectorIssEEZZNS1_16scan_by_key_implILNS1_25lookback_scan_determinismE0ELb0ES3_N6thrust23THRUST_200600_302600_NS6detail15normal_iteratorINS9_10device_ptrIsEEEESE_SE_sNS9_4plusIvEENS9_8equal_toIsEEsEE10hipError_tPvRmT2_T3_T4_T5_mT6_T7_P12ihipStream_tbENKUlT_T0_E_clISt17integral_constantIbLb1EESY_IbLb0EEEEDaSU_SV_EUlSU_E_NS1_11comp_targetILNS1_3genE2ELNS1_11target_archE906ELNS1_3gpuE6ELNS1_3repE0EEENS1_30default_config_static_selectorELNS0_4arch9wavefront6targetE0EEEvT1_.has_indirect_call, 0
	.section	.AMDGPU.csdata,"",@progbits
; Kernel info:
; codeLenInByte = 0
; TotalNumSgprs: 0
; NumVgprs: 0
; ScratchSize: 0
; MemoryBound: 0
; FloatMode: 240
; IeeeMode: 1
; LDSByteSize: 0 bytes/workgroup (compile time only)
; SGPRBlocks: 0
; VGPRBlocks: 0
; NumSGPRsForWavesPerEU: 1
; NumVGPRsForWavesPerEU: 1
; Occupancy: 16
; WaveLimiterHint : 0
; COMPUTE_PGM_RSRC2:SCRATCH_EN: 0
; COMPUTE_PGM_RSRC2:USER_SGPR: 6
; COMPUTE_PGM_RSRC2:TRAP_HANDLER: 0
; COMPUTE_PGM_RSRC2:TGID_X_EN: 1
; COMPUTE_PGM_RSRC2:TGID_Y_EN: 0
; COMPUTE_PGM_RSRC2:TGID_Z_EN: 0
; COMPUTE_PGM_RSRC2:TIDIG_COMP_CNT: 0
	.section	.text._ZN7rocprim17ROCPRIM_400000_NS6detail17trampoline_kernelINS0_14default_configENS1_27scan_by_key_config_selectorIssEEZZNS1_16scan_by_key_implILNS1_25lookback_scan_determinismE0ELb0ES3_N6thrust23THRUST_200600_302600_NS6detail15normal_iteratorINS9_10device_ptrIsEEEESE_SE_sNS9_4plusIvEENS9_8equal_toIsEEsEE10hipError_tPvRmT2_T3_T4_T5_mT6_T7_P12ihipStream_tbENKUlT_T0_E_clISt17integral_constantIbLb1EESY_IbLb0EEEEDaSU_SV_EUlSU_E_NS1_11comp_targetILNS1_3genE10ELNS1_11target_archE1200ELNS1_3gpuE4ELNS1_3repE0EEENS1_30default_config_static_selectorELNS0_4arch9wavefront6targetE0EEEvT1_,"axG",@progbits,_ZN7rocprim17ROCPRIM_400000_NS6detail17trampoline_kernelINS0_14default_configENS1_27scan_by_key_config_selectorIssEEZZNS1_16scan_by_key_implILNS1_25lookback_scan_determinismE0ELb0ES3_N6thrust23THRUST_200600_302600_NS6detail15normal_iteratorINS9_10device_ptrIsEEEESE_SE_sNS9_4plusIvEENS9_8equal_toIsEEsEE10hipError_tPvRmT2_T3_T4_T5_mT6_T7_P12ihipStream_tbENKUlT_T0_E_clISt17integral_constantIbLb1EESY_IbLb0EEEEDaSU_SV_EUlSU_E_NS1_11comp_targetILNS1_3genE10ELNS1_11target_archE1200ELNS1_3gpuE4ELNS1_3repE0EEENS1_30default_config_static_selectorELNS0_4arch9wavefront6targetE0EEEvT1_,comdat
	.protected	_ZN7rocprim17ROCPRIM_400000_NS6detail17trampoline_kernelINS0_14default_configENS1_27scan_by_key_config_selectorIssEEZZNS1_16scan_by_key_implILNS1_25lookback_scan_determinismE0ELb0ES3_N6thrust23THRUST_200600_302600_NS6detail15normal_iteratorINS9_10device_ptrIsEEEESE_SE_sNS9_4plusIvEENS9_8equal_toIsEEsEE10hipError_tPvRmT2_T3_T4_T5_mT6_T7_P12ihipStream_tbENKUlT_T0_E_clISt17integral_constantIbLb1EESY_IbLb0EEEEDaSU_SV_EUlSU_E_NS1_11comp_targetILNS1_3genE10ELNS1_11target_archE1200ELNS1_3gpuE4ELNS1_3repE0EEENS1_30default_config_static_selectorELNS0_4arch9wavefront6targetE0EEEvT1_ ; -- Begin function _ZN7rocprim17ROCPRIM_400000_NS6detail17trampoline_kernelINS0_14default_configENS1_27scan_by_key_config_selectorIssEEZZNS1_16scan_by_key_implILNS1_25lookback_scan_determinismE0ELb0ES3_N6thrust23THRUST_200600_302600_NS6detail15normal_iteratorINS9_10device_ptrIsEEEESE_SE_sNS9_4plusIvEENS9_8equal_toIsEEsEE10hipError_tPvRmT2_T3_T4_T5_mT6_T7_P12ihipStream_tbENKUlT_T0_E_clISt17integral_constantIbLb1EESY_IbLb0EEEEDaSU_SV_EUlSU_E_NS1_11comp_targetILNS1_3genE10ELNS1_11target_archE1200ELNS1_3gpuE4ELNS1_3repE0EEENS1_30default_config_static_selectorELNS0_4arch9wavefront6targetE0EEEvT1_
	.globl	_ZN7rocprim17ROCPRIM_400000_NS6detail17trampoline_kernelINS0_14default_configENS1_27scan_by_key_config_selectorIssEEZZNS1_16scan_by_key_implILNS1_25lookback_scan_determinismE0ELb0ES3_N6thrust23THRUST_200600_302600_NS6detail15normal_iteratorINS9_10device_ptrIsEEEESE_SE_sNS9_4plusIvEENS9_8equal_toIsEEsEE10hipError_tPvRmT2_T3_T4_T5_mT6_T7_P12ihipStream_tbENKUlT_T0_E_clISt17integral_constantIbLb1EESY_IbLb0EEEEDaSU_SV_EUlSU_E_NS1_11comp_targetILNS1_3genE10ELNS1_11target_archE1200ELNS1_3gpuE4ELNS1_3repE0EEENS1_30default_config_static_selectorELNS0_4arch9wavefront6targetE0EEEvT1_
	.p2align	8
	.type	_ZN7rocprim17ROCPRIM_400000_NS6detail17trampoline_kernelINS0_14default_configENS1_27scan_by_key_config_selectorIssEEZZNS1_16scan_by_key_implILNS1_25lookback_scan_determinismE0ELb0ES3_N6thrust23THRUST_200600_302600_NS6detail15normal_iteratorINS9_10device_ptrIsEEEESE_SE_sNS9_4plusIvEENS9_8equal_toIsEEsEE10hipError_tPvRmT2_T3_T4_T5_mT6_T7_P12ihipStream_tbENKUlT_T0_E_clISt17integral_constantIbLb1EESY_IbLb0EEEEDaSU_SV_EUlSU_E_NS1_11comp_targetILNS1_3genE10ELNS1_11target_archE1200ELNS1_3gpuE4ELNS1_3repE0EEENS1_30default_config_static_selectorELNS0_4arch9wavefront6targetE0EEEvT1_,@function
_ZN7rocprim17ROCPRIM_400000_NS6detail17trampoline_kernelINS0_14default_configENS1_27scan_by_key_config_selectorIssEEZZNS1_16scan_by_key_implILNS1_25lookback_scan_determinismE0ELb0ES3_N6thrust23THRUST_200600_302600_NS6detail15normal_iteratorINS9_10device_ptrIsEEEESE_SE_sNS9_4plusIvEENS9_8equal_toIsEEsEE10hipError_tPvRmT2_T3_T4_T5_mT6_T7_P12ihipStream_tbENKUlT_T0_E_clISt17integral_constantIbLb1EESY_IbLb0EEEEDaSU_SV_EUlSU_E_NS1_11comp_targetILNS1_3genE10ELNS1_11target_archE1200ELNS1_3gpuE4ELNS1_3repE0EEENS1_30default_config_static_selectorELNS0_4arch9wavefront6targetE0EEEvT1_: ; @_ZN7rocprim17ROCPRIM_400000_NS6detail17trampoline_kernelINS0_14default_configENS1_27scan_by_key_config_selectorIssEEZZNS1_16scan_by_key_implILNS1_25lookback_scan_determinismE0ELb0ES3_N6thrust23THRUST_200600_302600_NS6detail15normal_iteratorINS9_10device_ptrIsEEEESE_SE_sNS9_4plusIvEENS9_8equal_toIsEEsEE10hipError_tPvRmT2_T3_T4_T5_mT6_T7_P12ihipStream_tbENKUlT_T0_E_clISt17integral_constantIbLb1EESY_IbLb0EEEEDaSU_SV_EUlSU_E_NS1_11comp_targetILNS1_3genE10ELNS1_11target_archE1200ELNS1_3gpuE4ELNS1_3repE0EEENS1_30default_config_static_selectorELNS0_4arch9wavefront6targetE0EEEvT1_
; %bb.0:
	.section	.rodata,"a",@progbits
	.p2align	6, 0x0
	.amdhsa_kernel _ZN7rocprim17ROCPRIM_400000_NS6detail17trampoline_kernelINS0_14default_configENS1_27scan_by_key_config_selectorIssEEZZNS1_16scan_by_key_implILNS1_25lookback_scan_determinismE0ELb0ES3_N6thrust23THRUST_200600_302600_NS6detail15normal_iteratorINS9_10device_ptrIsEEEESE_SE_sNS9_4plusIvEENS9_8equal_toIsEEsEE10hipError_tPvRmT2_T3_T4_T5_mT6_T7_P12ihipStream_tbENKUlT_T0_E_clISt17integral_constantIbLb1EESY_IbLb0EEEEDaSU_SV_EUlSU_E_NS1_11comp_targetILNS1_3genE10ELNS1_11target_archE1200ELNS1_3gpuE4ELNS1_3repE0EEENS1_30default_config_static_selectorELNS0_4arch9wavefront6targetE0EEEvT1_
		.amdhsa_group_segment_fixed_size 0
		.amdhsa_private_segment_fixed_size 0
		.amdhsa_kernarg_size 112
		.amdhsa_user_sgpr_count 6
		.amdhsa_user_sgpr_private_segment_buffer 1
		.amdhsa_user_sgpr_dispatch_ptr 0
		.amdhsa_user_sgpr_queue_ptr 0
		.amdhsa_user_sgpr_kernarg_segment_ptr 1
		.amdhsa_user_sgpr_dispatch_id 0
		.amdhsa_user_sgpr_flat_scratch_init 0
		.amdhsa_user_sgpr_private_segment_size 0
		.amdhsa_wavefront_size32 1
		.amdhsa_uses_dynamic_stack 0
		.amdhsa_system_sgpr_private_segment_wavefront_offset 0
		.amdhsa_system_sgpr_workgroup_id_x 1
		.amdhsa_system_sgpr_workgroup_id_y 0
		.amdhsa_system_sgpr_workgroup_id_z 0
		.amdhsa_system_sgpr_workgroup_info 0
		.amdhsa_system_vgpr_workitem_id 0
		.amdhsa_next_free_vgpr 1
		.amdhsa_next_free_sgpr 1
		.amdhsa_reserve_vcc 0
		.amdhsa_reserve_flat_scratch 0
		.amdhsa_float_round_mode_32 0
		.amdhsa_float_round_mode_16_64 0
		.amdhsa_float_denorm_mode_32 3
		.amdhsa_float_denorm_mode_16_64 3
		.amdhsa_dx10_clamp 1
		.amdhsa_ieee_mode 1
		.amdhsa_fp16_overflow 0
		.amdhsa_workgroup_processor_mode 1
		.amdhsa_memory_ordered 1
		.amdhsa_forward_progress 1
		.amdhsa_shared_vgpr_count 0
		.amdhsa_exception_fp_ieee_invalid_op 0
		.amdhsa_exception_fp_denorm_src 0
		.amdhsa_exception_fp_ieee_div_zero 0
		.amdhsa_exception_fp_ieee_overflow 0
		.amdhsa_exception_fp_ieee_underflow 0
		.amdhsa_exception_fp_ieee_inexact 0
		.amdhsa_exception_int_div_zero 0
	.end_amdhsa_kernel
	.section	.text._ZN7rocprim17ROCPRIM_400000_NS6detail17trampoline_kernelINS0_14default_configENS1_27scan_by_key_config_selectorIssEEZZNS1_16scan_by_key_implILNS1_25lookback_scan_determinismE0ELb0ES3_N6thrust23THRUST_200600_302600_NS6detail15normal_iteratorINS9_10device_ptrIsEEEESE_SE_sNS9_4plusIvEENS9_8equal_toIsEEsEE10hipError_tPvRmT2_T3_T4_T5_mT6_T7_P12ihipStream_tbENKUlT_T0_E_clISt17integral_constantIbLb1EESY_IbLb0EEEEDaSU_SV_EUlSU_E_NS1_11comp_targetILNS1_3genE10ELNS1_11target_archE1200ELNS1_3gpuE4ELNS1_3repE0EEENS1_30default_config_static_selectorELNS0_4arch9wavefront6targetE0EEEvT1_,"axG",@progbits,_ZN7rocprim17ROCPRIM_400000_NS6detail17trampoline_kernelINS0_14default_configENS1_27scan_by_key_config_selectorIssEEZZNS1_16scan_by_key_implILNS1_25lookback_scan_determinismE0ELb0ES3_N6thrust23THRUST_200600_302600_NS6detail15normal_iteratorINS9_10device_ptrIsEEEESE_SE_sNS9_4plusIvEENS9_8equal_toIsEEsEE10hipError_tPvRmT2_T3_T4_T5_mT6_T7_P12ihipStream_tbENKUlT_T0_E_clISt17integral_constantIbLb1EESY_IbLb0EEEEDaSU_SV_EUlSU_E_NS1_11comp_targetILNS1_3genE10ELNS1_11target_archE1200ELNS1_3gpuE4ELNS1_3repE0EEENS1_30default_config_static_selectorELNS0_4arch9wavefront6targetE0EEEvT1_,comdat
.Lfunc_end341:
	.size	_ZN7rocprim17ROCPRIM_400000_NS6detail17trampoline_kernelINS0_14default_configENS1_27scan_by_key_config_selectorIssEEZZNS1_16scan_by_key_implILNS1_25lookback_scan_determinismE0ELb0ES3_N6thrust23THRUST_200600_302600_NS6detail15normal_iteratorINS9_10device_ptrIsEEEESE_SE_sNS9_4plusIvEENS9_8equal_toIsEEsEE10hipError_tPvRmT2_T3_T4_T5_mT6_T7_P12ihipStream_tbENKUlT_T0_E_clISt17integral_constantIbLb1EESY_IbLb0EEEEDaSU_SV_EUlSU_E_NS1_11comp_targetILNS1_3genE10ELNS1_11target_archE1200ELNS1_3gpuE4ELNS1_3repE0EEENS1_30default_config_static_selectorELNS0_4arch9wavefront6targetE0EEEvT1_, .Lfunc_end341-_ZN7rocprim17ROCPRIM_400000_NS6detail17trampoline_kernelINS0_14default_configENS1_27scan_by_key_config_selectorIssEEZZNS1_16scan_by_key_implILNS1_25lookback_scan_determinismE0ELb0ES3_N6thrust23THRUST_200600_302600_NS6detail15normal_iteratorINS9_10device_ptrIsEEEESE_SE_sNS9_4plusIvEENS9_8equal_toIsEEsEE10hipError_tPvRmT2_T3_T4_T5_mT6_T7_P12ihipStream_tbENKUlT_T0_E_clISt17integral_constantIbLb1EESY_IbLb0EEEEDaSU_SV_EUlSU_E_NS1_11comp_targetILNS1_3genE10ELNS1_11target_archE1200ELNS1_3gpuE4ELNS1_3repE0EEENS1_30default_config_static_selectorELNS0_4arch9wavefront6targetE0EEEvT1_
                                        ; -- End function
	.set _ZN7rocprim17ROCPRIM_400000_NS6detail17trampoline_kernelINS0_14default_configENS1_27scan_by_key_config_selectorIssEEZZNS1_16scan_by_key_implILNS1_25lookback_scan_determinismE0ELb0ES3_N6thrust23THRUST_200600_302600_NS6detail15normal_iteratorINS9_10device_ptrIsEEEESE_SE_sNS9_4plusIvEENS9_8equal_toIsEEsEE10hipError_tPvRmT2_T3_T4_T5_mT6_T7_P12ihipStream_tbENKUlT_T0_E_clISt17integral_constantIbLb1EESY_IbLb0EEEEDaSU_SV_EUlSU_E_NS1_11comp_targetILNS1_3genE10ELNS1_11target_archE1200ELNS1_3gpuE4ELNS1_3repE0EEENS1_30default_config_static_selectorELNS0_4arch9wavefront6targetE0EEEvT1_.num_vgpr, 0
	.set _ZN7rocprim17ROCPRIM_400000_NS6detail17trampoline_kernelINS0_14default_configENS1_27scan_by_key_config_selectorIssEEZZNS1_16scan_by_key_implILNS1_25lookback_scan_determinismE0ELb0ES3_N6thrust23THRUST_200600_302600_NS6detail15normal_iteratorINS9_10device_ptrIsEEEESE_SE_sNS9_4plusIvEENS9_8equal_toIsEEsEE10hipError_tPvRmT2_T3_T4_T5_mT6_T7_P12ihipStream_tbENKUlT_T0_E_clISt17integral_constantIbLb1EESY_IbLb0EEEEDaSU_SV_EUlSU_E_NS1_11comp_targetILNS1_3genE10ELNS1_11target_archE1200ELNS1_3gpuE4ELNS1_3repE0EEENS1_30default_config_static_selectorELNS0_4arch9wavefront6targetE0EEEvT1_.num_agpr, 0
	.set _ZN7rocprim17ROCPRIM_400000_NS6detail17trampoline_kernelINS0_14default_configENS1_27scan_by_key_config_selectorIssEEZZNS1_16scan_by_key_implILNS1_25lookback_scan_determinismE0ELb0ES3_N6thrust23THRUST_200600_302600_NS6detail15normal_iteratorINS9_10device_ptrIsEEEESE_SE_sNS9_4plusIvEENS9_8equal_toIsEEsEE10hipError_tPvRmT2_T3_T4_T5_mT6_T7_P12ihipStream_tbENKUlT_T0_E_clISt17integral_constantIbLb1EESY_IbLb0EEEEDaSU_SV_EUlSU_E_NS1_11comp_targetILNS1_3genE10ELNS1_11target_archE1200ELNS1_3gpuE4ELNS1_3repE0EEENS1_30default_config_static_selectorELNS0_4arch9wavefront6targetE0EEEvT1_.numbered_sgpr, 0
	.set _ZN7rocprim17ROCPRIM_400000_NS6detail17trampoline_kernelINS0_14default_configENS1_27scan_by_key_config_selectorIssEEZZNS1_16scan_by_key_implILNS1_25lookback_scan_determinismE0ELb0ES3_N6thrust23THRUST_200600_302600_NS6detail15normal_iteratorINS9_10device_ptrIsEEEESE_SE_sNS9_4plusIvEENS9_8equal_toIsEEsEE10hipError_tPvRmT2_T3_T4_T5_mT6_T7_P12ihipStream_tbENKUlT_T0_E_clISt17integral_constantIbLb1EESY_IbLb0EEEEDaSU_SV_EUlSU_E_NS1_11comp_targetILNS1_3genE10ELNS1_11target_archE1200ELNS1_3gpuE4ELNS1_3repE0EEENS1_30default_config_static_selectorELNS0_4arch9wavefront6targetE0EEEvT1_.num_named_barrier, 0
	.set _ZN7rocprim17ROCPRIM_400000_NS6detail17trampoline_kernelINS0_14default_configENS1_27scan_by_key_config_selectorIssEEZZNS1_16scan_by_key_implILNS1_25lookback_scan_determinismE0ELb0ES3_N6thrust23THRUST_200600_302600_NS6detail15normal_iteratorINS9_10device_ptrIsEEEESE_SE_sNS9_4plusIvEENS9_8equal_toIsEEsEE10hipError_tPvRmT2_T3_T4_T5_mT6_T7_P12ihipStream_tbENKUlT_T0_E_clISt17integral_constantIbLb1EESY_IbLb0EEEEDaSU_SV_EUlSU_E_NS1_11comp_targetILNS1_3genE10ELNS1_11target_archE1200ELNS1_3gpuE4ELNS1_3repE0EEENS1_30default_config_static_selectorELNS0_4arch9wavefront6targetE0EEEvT1_.private_seg_size, 0
	.set _ZN7rocprim17ROCPRIM_400000_NS6detail17trampoline_kernelINS0_14default_configENS1_27scan_by_key_config_selectorIssEEZZNS1_16scan_by_key_implILNS1_25lookback_scan_determinismE0ELb0ES3_N6thrust23THRUST_200600_302600_NS6detail15normal_iteratorINS9_10device_ptrIsEEEESE_SE_sNS9_4plusIvEENS9_8equal_toIsEEsEE10hipError_tPvRmT2_T3_T4_T5_mT6_T7_P12ihipStream_tbENKUlT_T0_E_clISt17integral_constantIbLb1EESY_IbLb0EEEEDaSU_SV_EUlSU_E_NS1_11comp_targetILNS1_3genE10ELNS1_11target_archE1200ELNS1_3gpuE4ELNS1_3repE0EEENS1_30default_config_static_selectorELNS0_4arch9wavefront6targetE0EEEvT1_.uses_vcc, 0
	.set _ZN7rocprim17ROCPRIM_400000_NS6detail17trampoline_kernelINS0_14default_configENS1_27scan_by_key_config_selectorIssEEZZNS1_16scan_by_key_implILNS1_25lookback_scan_determinismE0ELb0ES3_N6thrust23THRUST_200600_302600_NS6detail15normal_iteratorINS9_10device_ptrIsEEEESE_SE_sNS9_4plusIvEENS9_8equal_toIsEEsEE10hipError_tPvRmT2_T3_T4_T5_mT6_T7_P12ihipStream_tbENKUlT_T0_E_clISt17integral_constantIbLb1EESY_IbLb0EEEEDaSU_SV_EUlSU_E_NS1_11comp_targetILNS1_3genE10ELNS1_11target_archE1200ELNS1_3gpuE4ELNS1_3repE0EEENS1_30default_config_static_selectorELNS0_4arch9wavefront6targetE0EEEvT1_.uses_flat_scratch, 0
	.set _ZN7rocprim17ROCPRIM_400000_NS6detail17trampoline_kernelINS0_14default_configENS1_27scan_by_key_config_selectorIssEEZZNS1_16scan_by_key_implILNS1_25lookback_scan_determinismE0ELb0ES3_N6thrust23THRUST_200600_302600_NS6detail15normal_iteratorINS9_10device_ptrIsEEEESE_SE_sNS9_4plusIvEENS9_8equal_toIsEEsEE10hipError_tPvRmT2_T3_T4_T5_mT6_T7_P12ihipStream_tbENKUlT_T0_E_clISt17integral_constantIbLb1EESY_IbLb0EEEEDaSU_SV_EUlSU_E_NS1_11comp_targetILNS1_3genE10ELNS1_11target_archE1200ELNS1_3gpuE4ELNS1_3repE0EEENS1_30default_config_static_selectorELNS0_4arch9wavefront6targetE0EEEvT1_.has_dyn_sized_stack, 0
	.set _ZN7rocprim17ROCPRIM_400000_NS6detail17trampoline_kernelINS0_14default_configENS1_27scan_by_key_config_selectorIssEEZZNS1_16scan_by_key_implILNS1_25lookback_scan_determinismE0ELb0ES3_N6thrust23THRUST_200600_302600_NS6detail15normal_iteratorINS9_10device_ptrIsEEEESE_SE_sNS9_4plusIvEENS9_8equal_toIsEEsEE10hipError_tPvRmT2_T3_T4_T5_mT6_T7_P12ihipStream_tbENKUlT_T0_E_clISt17integral_constantIbLb1EESY_IbLb0EEEEDaSU_SV_EUlSU_E_NS1_11comp_targetILNS1_3genE10ELNS1_11target_archE1200ELNS1_3gpuE4ELNS1_3repE0EEENS1_30default_config_static_selectorELNS0_4arch9wavefront6targetE0EEEvT1_.has_recursion, 0
	.set _ZN7rocprim17ROCPRIM_400000_NS6detail17trampoline_kernelINS0_14default_configENS1_27scan_by_key_config_selectorIssEEZZNS1_16scan_by_key_implILNS1_25lookback_scan_determinismE0ELb0ES3_N6thrust23THRUST_200600_302600_NS6detail15normal_iteratorINS9_10device_ptrIsEEEESE_SE_sNS9_4plusIvEENS9_8equal_toIsEEsEE10hipError_tPvRmT2_T3_T4_T5_mT6_T7_P12ihipStream_tbENKUlT_T0_E_clISt17integral_constantIbLb1EESY_IbLb0EEEEDaSU_SV_EUlSU_E_NS1_11comp_targetILNS1_3genE10ELNS1_11target_archE1200ELNS1_3gpuE4ELNS1_3repE0EEENS1_30default_config_static_selectorELNS0_4arch9wavefront6targetE0EEEvT1_.has_indirect_call, 0
	.section	.AMDGPU.csdata,"",@progbits
; Kernel info:
; codeLenInByte = 0
; TotalNumSgprs: 0
; NumVgprs: 0
; ScratchSize: 0
; MemoryBound: 0
; FloatMode: 240
; IeeeMode: 1
; LDSByteSize: 0 bytes/workgroup (compile time only)
; SGPRBlocks: 0
; VGPRBlocks: 0
; NumSGPRsForWavesPerEU: 1
; NumVGPRsForWavesPerEU: 1
; Occupancy: 16
; WaveLimiterHint : 0
; COMPUTE_PGM_RSRC2:SCRATCH_EN: 0
; COMPUTE_PGM_RSRC2:USER_SGPR: 6
; COMPUTE_PGM_RSRC2:TRAP_HANDLER: 0
; COMPUTE_PGM_RSRC2:TGID_X_EN: 1
; COMPUTE_PGM_RSRC2:TGID_Y_EN: 0
; COMPUTE_PGM_RSRC2:TGID_Z_EN: 0
; COMPUTE_PGM_RSRC2:TIDIG_COMP_CNT: 0
	.section	.text._ZN7rocprim17ROCPRIM_400000_NS6detail17trampoline_kernelINS0_14default_configENS1_27scan_by_key_config_selectorIssEEZZNS1_16scan_by_key_implILNS1_25lookback_scan_determinismE0ELb0ES3_N6thrust23THRUST_200600_302600_NS6detail15normal_iteratorINS9_10device_ptrIsEEEESE_SE_sNS9_4plusIvEENS9_8equal_toIsEEsEE10hipError_tPvRmT2_T3_T4_T5_mT6_T7_P12ihipStream_tbENKUlT_T0_E_clISt17integral_constantIbLb1EESY_IbLb0EEEEDaSU_SV_EUlSU_E_NS1_11comp_targetILNS1_3genE9ELNS1_11target_archE1100ELNS1_3gpuE3ELNS1_3repE0EEENS1_30default_config_static_selectorELNS0_4arch9wavefront6targetE0EEEvT1_,"axG",@progbits,_ZN7rocprim17ROCPRIM_400000_NS6detail17trampoline_kernelINS0_14default_configENS1_27scan_by_key_config_selectorIssEEZZNS1_16scan_by_key_implILNS1_25lookback_scan_determinismE0ELb0ES3_N6thrust23THRUST_200600_302600_NS6detail15normal_iteratorINS9_10device_ptrIsEEEESE_SE_sNS9_4plusIvEENS9_8equal_toIsEEsEE10hipError_tPvRmT2_T3_T4_T5_mT6_T7_P12ihipStream_tbENKUlT_T0_E_clISt17integral_constantIbLb1EESY_IbLb0EEEEDaSU_SV_EUlSU_E_NS1_11comp_targetILNS1_3genE9ELNS1_11target_archE1100ELNS1_3gpuE3ELNS1_3repE0EEENS1_30default_config_static_selectorELNS0_4arch9wavefront6targetE0EEEvT1_,comdat
	.protected	_ZN7rocprim17ROCPRIM_400000_NS6detail17trampoline_kernelINS0_14default_configENS1_27scan_by_key_config_selectorIssEEZZNS1_16scan_by_key_implILNS1_25lookback_scan_determinismE0ELb0ES3_N6thrust23THRUST_200600_302600_NS6detail15normal_iteratorINS9_10device_ptrIsEEEESE_SE_sNS9_4plusIvEENS9_8equal_toIsEEsEE10hipError_tPvRmT2_T3_T4_T5_mT6_T7_P12ihipStream_tbENKUlT_T0_E_clISt17integral_constantIbLb1EESY_IbLb0EEEEDaSU_SV_EUlSU_E_NS1_11comp_targetILNS1_3genE9ELNS1_11target_archE1100ELNS1_3gpuE3ELNS1_3repE0EEENS1_30default_config_static_selectorELNS0_4arch9wavefront6targetE0EEEvT1_ ; -- Begin function _ZN7rocprim17ROCPRIM_400000_NS6detail17trampoline_kernelINS0_14default_configENS1_27scan_by_key_config_selectorIssEEZZNS1_16scan_by_key_implILNS1_25lookback_scan_determinismE0ELb0ES3_N6thrust23THRUST_200600_302600_NS6detail15normal_iteratorINS9_10device_ptrIsEEEESE_SE_sNS9_4plusIvEENS9_8equal_toIsEEsEE10hipError_tPvRmT2_T3_T4_T5_mT6_T7_P12ihipStream_tbENKUlT_T0_E_clISt17integral_constantIbLb1EESY_IbLb0EEEEDaSU_SV_EUlSU_E_NS1_11comp_targetILNS1_3genE9ELNS1_11target_archE1100ELNS1_3gpuE3ELNS1_3repE0EEENS1_30default_config_static_selectorELNS0_4arch9wavefront6targetE0EEEvT1_
	.globl	_ZN7rocprim17ROCPRIM_400000_NS6detail17trampoline_kernelINS0_14default_configENS1_27scan_by_key_config_selectorIssEEZZNS1_16scan_by_key_implILNS1_25lookback_scan_determinismE0ELb0ES3_N6thrust23THRUST_200600_302600_NS6detail15normal_iteratorINS9_10device_ptrIsEEEESE_SE_sNS9_4plusIvEENS9_8equal_toIsEEsEE10hipError_tPvRmT2_T3_T4_T5_mT6_T7_P12ihipStream_tbENKUlT_T0_E_clISt17integral_constantIbLb1EESY_IbLb0EEEEDaSU_SV_EUlSU_E_NS1_11comp_targetILNS1_3genE9ELNS1_11target_archE1100ELNS1_3gpuE3ELNS1_3repE0EEENS1_30default_config_static_selectorELNS0_4arch9wavefront6targetE0EEEvT1_
	.p2align	8
	.type	_ZN7rocprim17ROCPRIM_400000_NS6detail17trampoline_kernelINS0_14default_configENS1_27scan_by_key_config_selectorIssEEZZNS1_16scan_by_key_implILNS1_25lookback_scan_determinismE0ELb0ES3_N6thrust23THRUST_200600_302600_NS6detail15normal_iteratorINS9_10device_ptrIsEEEESE_SE_sNS9_4plusIvEENS9_8equal_toIsEEsEE10hipError_tPvRmT2_T3_T4_T5_mT6_T7_P12ihipStream_tbENKUlT_T0_E_clISt17integral_constantIbLb1EESY_IbLb0EEEEDaSU_SV_EUlSU_E_NS1_11comp_targetILNS1_3genE9ELNS1_11target_archE1100ELNS1_3gpuE3ELNS1_3repE0EEENS1_30default_config_static_selectorELNS0_4arch9wavefront6targetE0EEEvT1_,@function
_ZN7rocprim17ROCPRIM_400000_NS6detail17trampoline_kernelINS0_14default_configENS1_27scan_by_key_config_selectorIssEEZZNS1_16scan_by_key_implILNS1_25lookback_scan_determinismE0ELb0ES3_N6thrust23THRUST_200600_302600_NS6detail15normal_iteratorINS9_10device_ptrIsEEEESE_SE_sNS9_4plusIvEENS9_8equal_toIsEEsEE10hipError_tPvRmT2_T3_T4_T5_mT6_T7_P12ihipStream_tbENKUlT_T0_E_clISt17integral_constantIbLb1EESY_IbLb0EEEEDaSU_SV_EUlSU_E_NS1_11comp_targetILNS1_3genE9ELNS1_11target_archE1100ELNS1_3gpuE3ELNS1_3repE0EEENS1_30default_config_static_selectorELNS0_4arch9wavefront6targetE0EEEvT1_: ; @_ZN7rocprim17ROCPRIM_400000_NS6detail17trampoline_kernelINS0_14default_configENS1_27scan_by_key_config_selectorIssEEZZNS1_16scan_by_key_implILNS1_25lookback_scan_determinismE0ELb0ES3_N6thrust23THRUST_200600_302600_NS6detail15normal_iteratorINS9_10device_ptrIsEEEESE_SE_sNS9_4plusIvEENS9_8equal_toIsEEsEE10hipError_tPvRmT2_T3_T4_T5_mT6_T7_P12ihipStream_tbENKUlT_T0_E_clISt17integral_constantIbLb1EESY_IbLb0EEEEDaSU_SV_EUlSU_E_NS1_11comp_targetILNS1_3genE9ELNS1_11target_archE1100ELNS1_3gpuE3ELNS1_3repE0EEENS1_30default_config_static_selectorELNS0_4arch9wavefront6targetE0EEEvT1_
; %bb.0:
	.section	.rodata,"a",@progbits
	.p2align	6, 0x0
	.amdhsa_kernel _ZN7rocprim17ROCPRIM_400000_NS6detail17trampoline_kernelINS0_14default_configENS1_27scan_by_key_config_selectorIssEEZZNS1_16scan_by_key_implILNS1_25lookback_scan_determinismE0ELb0ES3_N6thrust23THRUST_200600_302600_NS6detail15normal_iteratorINS9_10device_ptrIsEEEESE_SE_sNS9_4plusIvEENS9_8equal_toIsEEsEE10hipError_tPvRmT2_T3_T4_T5_mT6_T7_P12ihipStream_tbENKUlT_T0_E_clISt17integral_constantIbLb1EESY_IbLb0EEEEDaSU_SV_EUlSU_E_NS1_11comp_targetILNS1_3genE9ELNS1_11target_archE1100ELNS1_3gpuE3ELNS1_3repE0EEENS1_30default_config_static_selectorELNS0_4arch9wavefront6targetE0EEEvT1_
		.amdhsa_group_segment_fixed_size 0
		.amdhsa_private_segment_fixed_size 0
		.amdhsa_kernarg_size 112
		.amdhsa_user_sgpr_count 6
		.amdhsa_user_sgpr_private_segment_buffer 1
		.amdhsa_user_sgpr_dispatch_ptr 0
		.amdhsa_user_sgpr_queue_ptr 0
		.amdhsa_user_sgpr_kernarg_segment_ptr 1
		.amdhsa_user_sgpr_dispatch_id 0
		.amdhsa_user_sgpr_flat_scratch_init 0
		.amdhsa_user_sgpr_private_segment_size 0
		.amdhsa_wavefront_size32 1
		.amdhsa_uses_dynamic_stack 0
		.amdhsa_system_sgpr_private_segment_wavefront_offset 0
		.amdhsa_system_sgpr_workgroup_id_x 1
		.amdhsa_system_sgpr_workgroup_id_y 0
		.amdhsa_system_sgpr_workgroup_id_z 0
		.amdhsa_system_sgpr_workgroup_info 0
		.amdhsa_system_vgpr_workitem_id 0
		.amdhsa_next_free_vgpr 1
		.amdhsa_next_free_sgpr 1
		.amdhsa_reserve_vcc 0
		.amdhsa_reserve_flat_scratch 0
		.amdhsa_float_round_mode_32 0
		.amdhsa_float_round_mode_16_64 0
		.amdhsa_float_denorm_mode_32 3
		.amdhsa_float_denorm_mode_16_64 3
		.amdhsa_dx10_clamp 1
		.amdhsa_ieee_mode 1
		.amdhsa_fp16_overflow 0
		.amdhsa_workgroup_processor_mode 1
		.amdhsa_memory_ordered 1
		.amdhsa_forward_progress 1
		.amdhsa_shared_vgpr_count 0
		.amdhsa_exception_fp_ieee_invalid_op 0
		.amdhsa_exception_fp_denorm_src 0
		.amdhsa_exception_fp_ieee_div_zero 0
		.amdhsa_exception_fp_ieee_overflow 0
		.amdhsa_exception_fp_ieee_underflow 0
		.amdhsa_exception_fp_ieee_inexact 0
		.amdhsa_exception_int_div_zero 0
	.end_amdhsa_kernel
	.section	.text._ZN7rocprim17ROCPRIM_400000_NS6detail17trampoline_kernelINS0_14default_configENS1_27scan_by_key_config_selectorIssEEZZNS1_16scan_by_key_implILNS1_25lookback_scan_determinismE0ELb0ES3_N6thrust23THRUST_200600_302600_NS6detail15normal_iteratorINS9_10device_ptrIsEEEESE_SE_sNS9_4plusIvEENS9_8equal_toIsEEsEE10hipError_tPvRmT2_T3_T4_T5_mT6_T7_P12ihipStream_tbENKUlT_T0_E_clISt17integral_constantIbLb1EESY_IbLb0EEEEDaSU_SV_EUlSU_E_NS1_11comp_targetILNS1_3genE9ELNS1_11target_archE1100ELNS1_3gpuE3ELNS1_3repE0EEENS1_30default_config_static_selectorELNS0_4arch9wavefront6targetE0EEEvT1_,"axG",@progbits,_ZN7rocprim17ROCPRIM_400000_NS6detail17trampoline_kernelINS0_14default_configENS1_27scan_by_key_config_selectorIssEEZZNS1_16scan_by_key_implILNS1_25lookback_scan_determinismE0ELb0ES3_N6thrust23THRUST_200600_302600_NS6detail15normal_iteratorINS9_10device_ptrIsEEEESE_SE_sNS9_4plusIvEENS9_8equal_toIsEEsEE10hipError_tPvRmT2_T3_T4_T5_mT6_T7_P12ihipStream_tbENKUlT_T0_E_clISt17integral_constantIbLb1EESY_IbLb0EEEEDaSU_SV_EUlSU_E_NS1_11comp_targetILNS1_3genE9ELNS1_11target_archE1100ELNS1_3gpuE3ELNS1_3repE0EEENS1_30default_config_static_selectorELNS0_4arch9wavefront6targetE0EEEvT1_,comdat
.Lfunc_end342:
	.size	_ZN7rocprim17ROCPRIM_400000_NS6detail17trampoline_kernelINS0_14default_configENS1_27scan_by_key_config_selectorIssEEZZNS1_16scan_by_key_implILNS1_25lookback_scan_determinismE0ELb0ES3_N6thrust23THRUST_200600_302600_NS6detail15normal_iteratorINS9_10device_ptrIsEEEESE_SE_sNS9_4plusIvEENS9_8equal_toIsEEsEE10hipError_tPvRmT2_T3_T4_T5_mT6_T7_P12ihipStream_tbENKUlT_T0_E_clISt17integral_constantIbLb1EESY_IbLb0EEEEDaSU_SV_EUlSU_E_NS1_11comp_targetILNS1_3genE9ELNS1_11target_archE1100ELNS1_3gpuE3ELNS1_3repE0EEENS1_30default_config_static_selectorELNS0_4arch9wavefront6targetE0EEEvT1_, .Lfunc_end342-_ZN7rocprim17ROCPRIM_400000_NS6detail17trampoline_kernelINS0_14default_configENS1_27scan_by_key_config_selectorIssEEZZNS1_16scan_by_key_implILNS1_25lookback_scan_determinismE0ELb0ES3_N6thrust23THRUST_200600_302600_NS6detail15normal_iteratorINS9_10device_ptrIsEEEESE_SE_sNS9_4plusIvEENS9_8equal_toIsEEsEE10hipError_tPvRmT2_T3_T4_T5_mT6_T7_P12ihipStream_tbENKUlT_T0_E_clISt17integral_constantIbLb1EESY_IbLb0EEEEDaSU_SV_EUlSU_E_NS1_11comp_targetILNS1_3genE9ELNS1_11target_archE1100ELNS1_3gpuE3ELNS1_3repE0EEENS1_30default_config_static_selectorELNS0_4arch9wavefront6targetE0EEEvT1_
                                        ; -- End function
	.set _ZN7rocprim17ROCPRIM_400000_NS6detail17trampoline_kernelINS0_14default_configENS1_27scan_by_key_config_selectorIssEEZZNS1_16scan_by_key_implILNS1_25lookback_scan_determinismE0ELb0ES3_N6thrust23THRUST_200600_302600_NS6detail15normal_iteratorINS9_10device_ptrIsEEEESE_SE_sNS9_4plusIvEENS9_8equal_toIsEEsEE10hipError_tPvRmT2_T3_T4_T5_mT6_T7_P12ihipStream_tbENKUlT_T0_E_clISt17integral_constantIbLb1EESY_IbLb0EEEEDaSU_SV_EUlSU_E_NS1_11comp_targetILNS1_3genE9ELNS1_11target_archE1100ELNS1_3gpuE3ELNS1_3repE0EEENS1_30default_config_static_selectorELNS0_4arch9wavefront6targetE0EEEvT1_.num_vgpr, 0
	.set _ZN7rocprim17ROCPRIM_400000_NS6detail17trampoline_kernelINS0_14default_configENS1_27scan_by_key_config_selectorIssEEZZNS1_16scan_by_key_implILNS1_25lookback_scan_determinismE0ELb0ES3_N6thrust23THRUST_200600_302600_NS6detail15normal_iteratorINS9_10device_ptrIsEEEESE_SE_sNS9_4plusIvEENS9_8equal_toIsEEsEE10hipError_tPvRmT2_T3_T4_T5_mT6_T7_P12ihipStream_tbENKUlT_T0_E_clISt17integral_constantIbLb1EESY_IbLb0EEEEDaSU_SV_EUlSU_E_NS1_11comp_targetILNS1_3genE9ELNS1_11target_archE1100ELNS1_3gpuE3ELNS1_3repE0EEENS1_30default_config_static_selectorELNS0_4arch9wavefront6targetE0EEEvT1_.num_agpr, 0
	.set _ZN7rocprim17ROCPRIM_400000_NS6detail17trampoline_kernelINS0_14default_configENS1_27scan_by_key_config_selectorIssEEZZNS1_16scan_by_key_implILNS1_25lookback_scan_determinismE0ELb0ES3_N6thrust23THRUST_200600_302600_NS6detail15normal_iteratorINS9_10device_ptrIsEEEESE_SE_sNS9_4plusIvEENS9_8equal_toIsEEsEE10hipError_tPvRmT2_T3_T4_T5_mT6_T7_P12ihipStream_tbENKUlT_T0_E_clISt17integral_constantIbLb1EESY_IbLb0EEEEDaSU_SV_EUlSU_E_NS1_11comp_targetILNS1_3genE9ELNS1_11target_archE1100ELNS1_3gpuE3ELNS1_3repE0EEENS1_30default_config_static_selectorELNS0_4arch9wavefront6targetE0EEEvT1_.numbered_sgpr, 0
	.set _ZN7rocprim17ROCPRIM_400000_NS6detail17trampoline_kernelINS0_14default_configENS1_27scan_by_key_config_selectorIssEEZZNS1_16scan_by_key_implILNS1_25lookback_scan_determinismE0ELb0ES3_N6thrust23THRUST_200600_302600_NS6detail15normal_iteratorINS9_10device_ptrIsEEEESE_SE_sNS9_4plusIvEENS9_8equal_toIsEEsEE10hipError_tPvRmT2_T3_T4_T5_mT6_T7_P12ihipStream_tbENKUlT_T0_E_clISt17integral_constantIbLb1EESY_IbLb0EEEEDaSU_SV_EUlSU_E_NS1_11comp_targetILNS1_3genE9ELNS1_11target_archE1100ELNS1_3gpuE3ELNS1_3repE0EEENS1_30default_config_static_selectorELNS0_4arch9wavefront6targetE0EEEvT1_.num_named_barrier, 0
	.set _ZN7rocprim17ROCPRIM_400000_NS6detail17trampoline_kernelINS0_14default_configENS1_27scan_by_key_config_selectorIssEEZZNS1_16scan_by_key_implILNS1_25lookback_scan_determinismE0ELb0ES3_N6thrust23THRUST_200600_302600_NS6detail15normal_iteratorINS9_10device_ptrIsEEEESE_SE_sNS9_4plusIvEENS9_8equal_toIsEEsEE10hipError_tPvRmT2_T3_T4_T5_mT6_T7_P12ihipStream_tbENKUlT_T0_E_clISt17integral_constantIbLb1EESY_IbLb0EEEEDaSU_SV_EUlSU_E_NS1_11comp_targetILNS1_3genE9ELNS1_11target_archE1100ELNS1_3gpuE3ELNS1_3repE0EEENS1_30default_config_static_selectorELNS0_4arch9wavefront6targetE0EEEvT1_.private_seg_size, 0
	.set _ZN7rocprim17ROCPRIM_400000_NS6detail17trampoline_kernelINS0_14default_configENS1_27scan_by_key_config_selectorIssEEZZNS1_16scan_by_key_implILNS1_25lookback_scan_determinismE0ELb0ES3_N6thrust23THRUST_200600_302600_NS6detail15normal_iteratorINS9_10device_ptrIsEEEESE_SE_sNS9_4plusIvEENS9_8equal_toIsEEsEE10hipError_tPvRmT2_T3_T4_T5_mT6_T7_P12ihipStream_tbENKUlT_T0_E_clISt17integral_constantIbLb1EESY_IbLb0EEEEDaSU_SV_EUlSU_E_NS1_11comp_targetILNS1_3genE9ELNS1_11target_archE1100ELNS1_3gpuE3ELNS1_3repE0EEENS1_30default_config_static_selectorELNS0_4arch9wavefront6targetE0EEEvT1_.uses_vcc, 0
	.set _ZN7rocprim17ROCPRIM_400000_NS6detail17trampoline_kernelINS0_14default_configENS1_27scan_by_key_config_selectorIssEEZZNS1_16scan_by_key_implILNS1_25lookback_scan_determinismE0ELb0ES3_N6thrust23THRUST_200600_302600_NS6detail15normal_iteratorINS9_10device_ptrIsEEEESE_SE_sNS9_4plusIvEENS9_8equal_toIsEEsEE10hipError_tPvRmT2_T3_T4_T5_mT6_T7_P12ihipStream_tbENKUlT_T0_E_clISt17integral_constantIbLb1EESY_IbLb0EEEEDaSU_SV_EUlSU_E_NS1_11comp_targetILNS1_3genE9ELNS1_11target_archE1100ELNS1_3gpuE3ELNS1_3repE0EEENS1_30default_config_static_selectorELNS0_4arch9wavefront6targetE0EEEvT1_.uses_flat_scratch, 0
	.set _ZN7rocprim17ROCPRIM_400000_NS6detail17trampoline_kernelINS0_14default_configENS1_27scan_by_key_config_selectorIssEEZZNS1_16scan_by_key_implILNS1_25lookback_scan_determinismE0ELb0ES3_N6thrust23THRUST_200600_302600_NS6detail15normal_iteratorINS9_10device_ptrIsEEEESE_SE_sNS9_4plusIvEENS9_8equal_toIsEEsEE10hipError_tPvRmT2_T3_T4_T5_mT6_T7_P12ihipStream_tbENKUlT_T0_E_clISt17integral_constantIbLb1EESY_IbLb0EEEEDaSU_SV_EUlSU_E_NS1_11comp_targetILNS1_3genE9ELNS1_11target_archE1100ELNS1_3gpuE3ELNS1_3repE0EEENS1_30default_config_static_selectorELNS0_4arch9wavefront6targetE0EEEvT1_.has_dyn_sized_stack, 0
	.set _ZN7rocprim17ROCPRIM_400000_NS6detail17trampoline_kernelINS0_14default_configENS1_27scan_by_key_config_selectorIssEEZZNS1_16scan_by_key_implILNS1_25lookback_scan_determinismE0ELb0ES3_N6thrust23THRUST_200600_302600_NS6detail15normal_iteratorINS9_10device_ptrIsEEEESE_SE_sNS9_4plusIvEENS9_8equal_toIsEEsEE10hipError_tPvRmT2_T3_T4_T5_mT6_T7_P12ihipStream_tbENKUlT_T0_E_clISt17integral_constantIbLb1EESY_IbLb0EEEEDaSU_SV_EUlSU_E_NS1_11comp_targetILNS1_3genE9ELNS1_11target_archE1100ELNS1_3gpuE3ELNS1_3repE0EEENS1_30default_config_static_selectorELNS0_4arch9wavefront6targetE0EEEvT1_.has_recursion, 0
	.set _ZN7rocprim17ROCPRIM_400000_NS6detail17trampoline_kernelINS0_14default_configENS1_27scan_by_key_config_selectorIssEEZZNS1_16scan_by_key_implILNS1_25lookback_scan_determinismE0ELb0ES3_N6thrust23THRUST_200600_302600_NS6detail15normal_iteratorINS9_10device_ptrIsEEEESE_SE_sNS9_4plusIvEENS9_8equal_toIsEEsEE10hipError_tPvRmT2_T3_T4_T5_mT6_T7_P12ihipStream_tbENKUlT_T0_E_clISt17integral_constantIbLb1EESY_IbLb0EEEEDaSU_SV_EUlSU_E_NS1_11comp_targetILNS1_3genE9ELNS1_11target_archE1100ELNS1_3gpuE3ELNS1_3repE0EEENS1_30default_config_static_selectorELNS0_4arch9wavefront6targetE0EEEvT1_.has_indirect_call, 0
	.section	.AMDGPU.csdata,"",@progbits
; Kernel info:
; codeLenInByte = 0
; TotalNumSgprs: 0
; NumVgprs: 0
; ScratchSize: 0
; MemoryBound: 0
; FloatMode: 240
; IeeeMode: 1
; LDSByteSize: 0 bytes/workgroup (compile time only)
; SGPRBlocks: 0
; VGPRBlocks: 0
; NumSGPRsForWavesPerEU: 1
; NumVGPRsForWavesPerEU: 1
; Occupancy: 16
; WaveLimiterHint : 0
; COMPUTE_PGM_RSRC2:SCRATCH_EN: 0
; COMPUTE_PGM_RSRC2:USER_SGPR: 6
; COMPUTE_PGM_RSRC2:TRAP_HANDLER: 0
; COMPUTE_PGM_RSRC2:TGID_X_EN: 1
; COMPUTE_PGM_RSRC2:TGID_Y_EN: 0
; COMPUTE_PGM_RSRC2:TGID_Z_EN: 0
; COMPUTE_PGM_RSRC2:TIDIG_COMP_CNT: 0
	.section	.text._ZN7rocprim17ROCPRIM_400000_NS6detail17trampoline_kernelINS0_14default_configENS1_27scan_by_key_config_selectorIssEEZZNS1_16scan_by_key_implILNS1_25lookback_scan_determinismE0ELb0ES3_N6thrust23THRUST_200600_302600_NS6detail15normal_iteratorINS9_10device_ptrIsEEEESE_SE_sNS9_4plusIvEENS9_8equal_toIsEEsEE10hipError_tPvRmT2_T3_T4_T5_mT6_T7_P12ihipStream_tbENKUlT_T0_E_clISt17integral_constantIbLb1EESY_IbLb0EEEEDaSU_SV_EUlSU_E_NS1_11comp_targetILNS1_3genE8ELNS1_11target_archE1030ELNS1_3gpuE2ELNS1_3repE0EEENS1_30default_config_static_selectorELNS0_4arch9wavefront6targetE0EEEvT1_,"axG",@progbits,_ZN7rocprim17ROCPRIM_400000_NS6detail17trampoline_kernelINS0_14default_configENS1_27scan_by_key_config_selectorIssEEZZNS1_16scan_by_key_implILNS1_25lookback_scan_determinismE0ELb0ES3_N6thrust23THRUST_200600_302600_NS6detail15normal_iteratorINS9_10device_ptrIsEEEESE_SE_sNS9_4plusIvEENS9_8equal_toIsEEsEE10hipError_tPvRmT2_T3_T4_T5_mT6_T7_P12ihipStream_tbENKUlT_T0_E_clISt17integral_constantIbLb1EESY_IbLb0EEEEDaSU_SV_EUlSU_E_NS1_11comp_targetILNS1_3genE8ELNS1_11target_archE1030ELNS1_3gpuE2ELNS1_3repE0EEENS1_30default_config_static_selectorELNS0_4arch9wavefront6targetE0EEEvT1_,comdat
	.protected	_ZN7rocprim17ROCPRIM_400000_NS6detail17trampoline_kernelINS0_14default_configENS1_27scan_by_key_config_selectorIssEEZZNS1_16scan_by_key_implILNS1_25lookback_scan_determinismE0ELb0ES3_N6thrust23THRUST_200600_302600_NS6detail15normal_iteratorINS9_10device_ptrIsEEEESE_SE_sNS9_4plusIvEENS9_8equal_toIsEEsEE10hipError_tPvRmT2_T3_T4_T5_mT6_T7_P12ihipStream_tbENKUlT_T0_E_clISt17integral_constantIbLb1EESY_IbLb0EEEEDaSU_SV_EUlSU_E_NS1_11comp_targetILNS1_3genE8ELNS1_11target_archE1030ELNS1_3gpuE2ELNS1_3repE0EEENS1_30default_config_static_selectorELNS0_4arch9wavefront6targetE0EEEvT1_ ; -- Begin function _ZN7rocprim17ROCPRIM_400000_NS6detail17trampoline_kernelINS0_14default_configENS1_27scan_by_key_config_selectorIssEEZZNS1_16scan_by_key_implILNS1_25lookback_scan_determinismE0ELb0ES3_N6thrust23THRUST_200600_302600_NS6detail15normal_iteratorINS9_10device_ptrIsEEEESE_SE_sNS9_4plusIvEENS9_8equal_toIsEEsEE10hipError_tPvRmT2_T3_T4_T5_mT6_T7_P12ihipStream_tbENKUlT_T0_E_clISt17integral_constantIbLb1EESY_IbLb0EEEEDaSU_SV_EUlSU_E_NS1_11comp_targetILNS1_3genE8ELNS1_11target_archE1030ELNS1_3gpuE2ELNS1_3repE0EEENS1_30default_config_static_selectorELNS0_4arch9wavefront6targetE0EEEvT1_
	.globl	_ZN7rocprim17ROCPRIM_400000_NS6detail17trampoline_kernelINS0_14default_configENS1_27scan_by_key_config_selectorIssEEZZNS1_16scan_by_key_implILNS1_25lookback_scan_determinismE0ELb0ES3_N6thrust23THRUST_200600_302600_NS6detail15normal_iteratorINS9_10device_ptrIsEEEESE_SE_sNS9_4plusIvEENS9_8equal_toIsEEsEE10hipError_tPvRmT2_T3_T4_T5_mT6_T7_P12ihipStream_tbENKUlT_T0_E_clISt17integral_constantIbLb1EESY_IbLb0EEEEDaSU_SV_EUlSU_E_NS1_11comp_targetILNS1_3genE8ELNS1_11target_archE1030ELNS1_3gpuE2ELNS1_3repE0EEENS1_30default_config_static_selectorELNS0_4arch9wavefront6targetE0EEEvT1_
	.p2align	8
	.type	_ZN7rocprim17ROCPRIM_400000_NS6detail17trampoline_kernelINS0_14default_configENS1_27scan_by_key_config_selectorIssEEZZNS1_16scan_by_key_implILNS1_25lookback_scan_determinismE0ELb0ES3_N6thrust23THRUST_200600_302600_NS6detail15normal_iteratorINS9_10device_ptrIsEEEESE_SE_sNS9_4plusIvEENS9_8equal_toIsEEsEE10hipError_tPvRmT2_T3_T4_T5_mT6_T7_P12ihipStream_tbENKUlT_T0_E_clISt17integral_constantIbLb1EESY_IbLb0EEEEDaSU_SV_EUlSU_E_NS1_11comp_targetILNS1_3genE8ELNS1_11target_archE1030ELNS1_3gpuE2ELNS1_3repE0EEENS1_30default_config_static_selectorELNS0_4arch9wavefront6targetE0EEEvT1_,@function
_ZN7rocprim17ROCPRIM_400000_NS6detail17trampoline_kernelINS0_14default_configENS1_27scan_by_key_config_selectorIssEEZZNS1_16scan_by_key_implILNS1_25lookback_scan_determinismE0ELb0ES3_N6thrust23THRUST_200600_302600_NS6detail15normal_iteratorINS9_10device_ptrIsEEEESE_SE_sNS9_4plusIvEENS9_8equal_toIsEEsEE10hipError_tPvRmT2_T3_T4_T5_mT6_T7_P12ihipStream_tbENKUlT_T0_E_clISt17integral_constantIbLb1EESY_IbLb0EEEEDaSU_SV_EUlSU_E_NS1_11comp_targetILNS1_3genE8ELNS1_11target_archE1030ELNS1_3gpuE2ELNS1_3repE0EEENS1_30default_config_static_selectorELNS0_4arch9wavefront6targetE0EEEvT1_: ; @_ZN7rocprim17ROCPRIM_400000_NS6detail17trampoline_kernelINS0_14default_configENS1_27scan_by_key_config_selectorIssEEZZNS1_16scan_by_key_implILNS1_25lookback_scan_determinismE0ELb0ES3_N6thrust23THRUST_200600_302600_NS6detail15normal_iteratorINS9_10device_ptrIsEEEESE_SE_sNS9_4plusIvEENS9_8equal_toIsEEsEE10hipError_tPvRmT2_T3_T4_T5_mT6_T7_P12ihipStream_tbENKUlT_T0_E_clISt17integral_constantIbLb1EESY_IbLb0EEEEDaSU_SV_EUlSU_E_NS1_11comp_targetILNS1_3genE8ELNS1_11target_archE1030ELNS1_3gpuE2ELNS1_3repE0EEENS1_30default_config_static_selectorELNS0_4arch9wavefront6targetE0EEEvT1_
; %bb.0:
	s_endpgm
	.section	.rodata,"a",@progbits
	.p2align	6, 0x0
	.amdhsa_kernel _ZN7rocprim17ROCPRIM_400000_NS6detail17trampoline_kernelINS0_14default_configENS1_27scan_by_key_config_selectorIssEEZZNS1_16scan_by_key_implILNS1_25lookback_scan_determinismE0ELb0ES3_N6thrust23THRUST_200600_302600_NS6detail15normal_iteratorINS9_10device_ptrIsEEEESE_SE_sNS9_4plusIvEENS9_8equal_toIsEEsEE10hipError_tPvRmT2_T3_T4_T5_mT6_T7_P12ihipStream_tbENKUlT_T0_E_clISt17integral_constantIbLb1EESY_IbLb0EEEEDaSU_SV_EUlSU_E_NS1_11comp_targetILNS1_3genE8ELNS1_11target_archE1030ELNS1_3gpuE2ELNS1_3repE0EEENS1_30default_config_static_selectorELNS0_4arch9wavefront6targetE0EEEvT1_
		.amdhsa_group_segment_fixed_size 0
		.amdhsa_private_segment_fixed_size 0
		.amdhsa_kernarg_size 112
		.amdhsa_user_sgpr_count 6
		.amdhsa_user_sgpr_private_segment_buffer 1
		.amdhsa_user_sgpr_dispatch_ptr 0
		.amdhsa_user_sgpr_queue_ptr 0
		.amdhsa_user_sgpr_kernarg_segment_ptr 1
		.amdhsa_user_sgpr_dispatch_id 0
		.amdhsa_user_sgpr_flat_scratch_init 0
		.amdhsa_user_sgpr_private_segment_size 0
		.amdhsa_wavefront_size32 1
		.amdhsa_uses_dynamic_stack 0
		.amdhsa_system_sgpr_private_segment_wavefront_offset 0
		.amdhsa_system_sgpr_workgroup_id_x 1
		.amdhsa_system_sgpr_workgroup_id_y 0
		.amdhsa_system_sgpr_workgroup_id_z 0
		.amdhsa_system_sgpr_workgroup_info 0
		.amdhsa_system_vgpr_workitem_id 0
		.amdhsa_next_free_vgpr 1
		.amdhsa_next_free_sgpr 1
		.amdhsa_reserve_vcc 0
		.amdhsa_reserve_flat_scratch 0
		.amdhsa_float_round_mode_32 0
		.amdhsa_float_round_mode_16_64 0
		.amdhsa_float_denorm_mode_32 3
		.amdhsa_float_denorm_mode_16_64 3
		.amdhsa_dx10_clamp 1
		.amdhsa_ieee_mode 1
		.amdhsa_fp16_overflow 0
		.amdhsa_workgroup_processor_mode 1
		.amdhsa_memory_ordered 1
		.amdhsa_forward_progress 1
		.amdhsa_shared_vgpr_count 0
		.amdhsa_exception_fp_ieee_invalid_op 0
		.amdhsa_exception_fp_denorm_src 0
		.amdhsa_exception_fp_ieee_div_zero 0
		.amdhsa_exception_fp_ieee_overflow 0
		.amdhsa_exception_fp_ieee_underflow 0
		.amdhsa_exception_fp_ieee_inexact 0
		.amdhsa_exception_int_div_zero 0
	.end_amdhsa_kernel
	.section	.text._ZN7rocprim17ROCPRIM_400000_NS6detail17trampoline_kernelINS0_14default_configENS1_27scan_by_key_config_selectorIssEEZZNS1_16scan_by_key_implILNS1_25lookback_scan_determinismE0ELb0ES3_N6thrust23THRUST_200600_302600_NS6detail15normal_iteratorINS9_10device_ptrIsEEEESE_SE_sNS9_4plusIvEENS9_8equal_toIsEEsEE10hipError_tPvRmT2_T3_T4_T5_mT6_T7_P12ihipStream_tbENKUlT_T0_E_clISt17integral_constantIbLb1EESY_IbLb0EEEEDaSU_SV_EUlSU_E_NS1_11comp_targetILNS1_3genE8ELNS1_11target_archE1030ELNS1_3gpuE2ELNS1_3repE0EEENS1_30default_config_static_selectorELNS0_4arch9wavefront6targetE0EEEvT1_,"axG",@progbits,_ZN7rocprim17ROCPRIM_400000_NS6detail17trampoline_kernelINS0_14default_configENS1_27scan_by_key_config_selectorIssEEZZNS1_16scan_by_key_implILNS1_25lookback_scan_determinismE0ELb0ES3_N6thrust23THRUST_200600_302600_NS6detail15normal_iteratorINS9_10device_ptrIsEEEESE_SE_sNS9_4plusIvEENS9_8equal_toIsEEsEE10hipError_tPvRmT2_T3_T4_T5_mT6_T7_P12ihipStream_tbENKUlT_T0_E_clISt17integral_constantIbLb1EESY_IbLb0EEEEDaSU_SV_EUlSU_E_NS1_11comp_targetILNS1_3genE8ELNS1_11target_archE1030ELNS1_3gpuE2ELNS1_3repE0EEENS1_30default_config_static_selectorELNS0_4arch9wavefront6targetE0EEEvT1_,comdat
.Lfunc_end343:
	.size	_ZN7rocprim17ROCPRIM_400000_NS6detail17trampoline_kernelINS0_14default_configENS1_27scan_by_key_config_selectorIssEEZZNS1_16scan_by_key_implILNS1_25lookback_scan_determinismE0ELb0ES3_N6thrust23THRUST_200600_302600_NS6detail15normal_iteratorINS9_10device_ptrIsEEEESE_SE_sNS9_4plusIvEENS9_8equal_toIsEEsEE10hipError_tPvRmT2_T3_T4_T5_mT6_T7_P12ihipStream_tbENKUlT_T0_E_clISt17integral_constantIbLb1EESY_IbLb0EEEEDaSU_SV_EUlSU_E_NS1_11comp_targetILNS1_3genE8ELNS1_11target_archE1030ELNS1_3gpuE2ELNS1_3repE0EEENS1_30default_config_static_selectorELNS0_4arch9wavefront6targetE0EEEvT1_, .Lfunc_end343-_ZN7rocprim17ROCPRIM_400000_NS6detail17trampoline_kernelINS0_14default_configENS1_27scan_by_key_config_selectorIssEEZZNS1_16scan_by_key_implILNS1_25lookback_scan_determinismE0ELb0ES3_N6thrust23THRUST_200600_302600_NS6detail15normal_iteratorINS9_10device_ptrIsEEEESE_SE_sNS9_4plusIvEENS9_8equal_toIsEEsEE10hipError_tPvRmT2_T3_T4_T5_mT6_T7_P12ihipStream_tbENKUlT_T0_E_clISt17integral_constantIbLb1EESY_IbLb0EEEEDaSU_SV_EUlSU_E_NS1_11comp_targetILNS1_3genE8ELNS1_11target_archE1030ELNS1_3gpuE2ELNS1_3repE0EEENS1_30default_config_static_selectorELNS0_4arch9wavefront6targetE0EEEvT1_
                                        ; -- End function
	.set _ZN7rocprim17ROCPRIM_400000_NS6detail17trampoline_kernelINS0_14default_configENS1_27scan_by_key_config_selectorIssEEZZNS1_16scan_by_key_implILNS1_25lookback_scan_determinismE0ELb0ES3_N6thrust23THRUST_200600_302600_NS6detail15normal_iteratorINS9_10device_ptrIsEEEESE_SE_sNS9_4plusIvEENS9_8equal_toIsEEsEE10hipError_tPvRmT2_T3_T4_T5_mT6_T7_P12ihipStream_tbENKUlT_T0_E_clISt17integral_constantIbLb1EESY_IbLb0EEEEDaSU_SV_EUlSU_E_NS1_11comp_targetILNS1_3genE8ELNS1_11target_archE1030ELNS1_3gpuE2ELNS1_3repE0EEENS1_30default_config_static_selectorELNS0_4arch9wavefront6targetE0EEEvT1_.num_vgpr, 0
	.set _ZN7rocprim17ROCPRIM_400000_NS6detail17trampoline_kernelINS0_14default_configENS1_27scan_by_key_config_selectorIssEEZZNS1_16scan_by_key_implILNS1_25lookback_scan_determinismE0ELb0ES3_N6thrust23THRUST_200600_302600_NS6detail15normal_iteratorINS9_10device_ptrIsEEEESE_SE_sNS9_4plusIvEENS9_8equal_toIsEEsEE10hipError_tPvRmT2_T3_T4_T5_mT6_T7_P12ihipStream_tbENKUlT_T0_E_clISt17integral_constantIbLb1EESY_IbLb0EEEEDaSU_SV_EUlSU_E_NS1_11comp_targetILNS1_3genE8ELNS1_11target_archE1030ELNS1_3gpuE2ELNS1_3repE0EEENS1_30default_config_static_selectorELNS0_4arch9wavefront6targetE0EEEvT1_.num_agpr, 0
	.set _ZN7rocprim17ROCPRIM_400000_NS6detail17trampoline_kernelINS0_14default_configENS1_27scan_by_key_config_selectorIssEEZZNS1_16scan_by_key_implILNS1_25lookback_scan_determinismE0ELb0ES3_N6thrust23THRUST_200600_302600_NS6detail15normal_iteratorINS9_10device_ptrIsEEEESE_SE_sNS9_4plusIvEENS9_8equal_toIsEEsEE10hipError_tPvRmT2_T3_T4_T5_mT6_T7_P12ihipStream_tbENKUlT_T0_E_clISt17integral_constantIbLb1EESY_IbLb0EEEEDaSU_SV_EUlSU_E_NS1_11comp_targetILNS1_3genE8ELNS1_11target_archE1030ELNS1_3gpuE2ELNS1_3repE0EEENS1_30default_config_static_selectorELNS0_4arch9wavefront6targetE0EEEvT1_.numbered_sgpr, 0
	.set _ZN7rocprim17ROCPRIM_400000_NS6detail17trampoline_kernelINS0_14default_configENS1_27scan_by_key_config_selectorIssEEZZNS1_16scan_by_key_implILNS1_25lookback_scan_determinismE0ELb0ES3_N6thrust23THRUST_200600_302600_NS6detail15normal_iteratorINS9_10device_ptrIsEEEESE_SE_sNS9_4plusIvEENS9_8equal_toIsEEsEE10hipError_tPvRmT2_T3_T4_T5_mT6_T7_P12ihipStream_tbENKUlT_T0_E_clISt17integral_constantIbLb1EESY_IbLb0EEEEDaSU_SV_EUlSU_E_NS1_11comp_targetILNS1_3genE8ELNS1_11target_archE1030ELNS1_3gpuE2ELNS1_3repE0EEENS1_30default_config_static_selectorELNS0_4arch9wavefront6targetE0EEEvT1_.num_named_barrier, 0
	.set _ZN7rocprim17ROCPRIM_400000_NS6detail17trampoline_kernelINS0_14default_configENS1_27scan_by_key_config_selectorIssEEZZNS1_16scan_by_key_implILNS1_25lookback_scan_determinismE0ELb0ES3_N6thrust23THRUST_200600_302600_NS6detail15normal_iteratorINS9_10device_ptrIsEEEESE_SE_sNS9_4plusIvEENS9_8equal_toIsEEsEE10hipError_tPvRmT2_T3_T4_T5_mT6_T7_P12ihipStream_tbENKUlT_T0_E_clISt17integral_constantIbLb1EESY_IbLb0EEEEDaSU_SV_EUlSU_E_NS1_11comp_targetILNS1_3genE8ELNS1_11target_archE1030ELNS1_3gpuE2ELNS1_3repE0EEENS1_30default_config_static_selectorELNS0_4arch9wavefront6targetE0EEEvT1_.private_seg_size, 0
	.set _ZN7rocprim17ROCPRIM_400000_NS6detail17trampoline_kernelINS0_14default_configENS1_27scan_by_key_config_selectorIssEEZZNS1_16scan_by_key_implILNS1_25lookback_scan_determinismE0ELb0ES3_N6thrust23THRUST_200600_302600_NS6detail15normal_iteratorINS9_10device_ptrIsEEEESE_SE_sNS9_4plusIvEENS9_8equal_toIsEEsEE10hipError_tPvRmT2_T3_T4_T5_mT6_T7_P12ihipStream_tbENKUlT_T0_E_clISt17integral_constantIbLb1EESY_IbLb0EEEEDaSU_SV_EUlSU_E_NS1_11comp_targetILNS1_3genE8ELNS1_11target_archE1030ELNS1_3gpuE2ELNS1_3repE0EEENS1_30default_config_static_selectorELNS0_4arch9wavefront6targetE0EEEvT1_.uses_vcc, 0
	.set _ZN7rocprim17ROCPRIM_400000_NS6detail17trampoline_kernelINS0_14default_configENS1_27scan_by_key_config_selectorIssEEZZNS1_16scan_by_key_implILNS1_25lookback_scan_determinismE0ELb0ES3_N6thrust23THRUST_200600_302600_NS6detail15normal_iteratorINS9_10device_ptrIsEEEESE_SE_sNS9_4plusIvEENS9_8equal_toIsEEsEE10hipError_tPvRmT2_T3_T4_T5_mT6_T7_P12ihipStream_tbENKUlT_T0_E_clISt17integral_constantIbLb1EESY_IbLb0EEEEDaSU_SV_EUlSU_E_NS1_11comp_targetILNS1_3genE8ELNS1_11target_archE1030ELNS1_3gpuE2ELNS1_3repE0EEENS1_30default_config_static_selectorELNS0_4arch9wavefront6targetE0EEEvT1_.uses_flat_scratch, 0
	.set _ZN7rocprim17ROCPRIM_400000_NS6detail17trampoline_kernelINS0_14default_configENS1_27scan_by_key_config_selectorIssEEZZNS1_16scan_by_key_implILNS1_25lookback_scan_determinismE0ELb0ES3_N6thrust23THRUST_200600_302600_NS6detail15normal_iteratorINS9_10device_ptrIsEEEESE_SE_sNS9_4plusIvEENS9_8equal_toIsEEsEE10hipError_tPvRmT2_T3_T4_T5_mT6_T7_P12ihipStream_tbENKUlT_T0_E_clISt17integral_constantIbLb1EESY_IbLb0EEEEDaSU_SV_EUlSU_E_NS1_11comp_targetILNS1_3genE8ELNS1_11target_archE1030ELNS1_3gpuE2ELNS1_3repE0EEENS1_30default_config_static_selectorELNS0_4arch9wavefront6targetE0EEEvT1_.has_dyn_sized_stack, 0
	.set _ZN7rocprim17ROCPRIM_400000_NS6detail17trampoline_kernelINS0_14default_configENS1_27scan_by_key_config_selectorIssEEZZNS1_16scan_by_key_implILNS1_25lookback_scan_determinismE0ELb0ES3_N6thrust23THRUST_200600_302600_NS6detail15normal_iteratorINS9_10device_ptrIsEEEESE_SE_sNS9_4plusIvEENS9_8equal_toIsEEsEE10hipError_tPvRmT2_T3_T4_T5_mT6_T7_P12ihipStream_tbENKUlT_T0_E_clISt17integral_constantIbLb1EESY_IbLb0EEEEDaSU_SV_EUlSU_E_NS1_11comp_targetILNS1_3genE8ELNS1_11target_archE1030ELNS1_3gpuE2ELNS1_3repE0EEENS1_30default_config_static_selectorELNS0_4arch9wavefront6targetE0EEEvT1_.has_recursion, 0
	.set _ZN7rocprim17ROCPRIM_400000_NS6detail17trampoline_kernelINS0_14default_configENS1_27scan_by_key_config_selectorIssEEZZNS1_16scan_by_key_implILNS1_25lookback_scan_determinismE0ELb0ES3_N6thrust23THRUST_200600_302600_NS6detail15normal_iteratorINS9_10device_ptrIsEEEESE_SE_sNS9_4plusIvEENS9_8equal_toIsEEsEE10hipError_tPvRmT2_T3_T4_T5_mT6_T7_P12ihipStream_tbENKUlT_T0_E_clISt17integral_constantIbLb1EESY_IbLb0EEEEDaSU_SV_EUlSU_E_NS1_11comp_targetILNS1_3genE8ELNS1_11target_archE1030ELNS1_3gpuE2ELNS1_3repE0EEENS1_30default_config_static_selectorELNS0_4arch9wavefront6targetE0EEEvT1_.has_indirect_call, 0
	.section	.AMDGPU.csdata,"",@progbits
; Kernel info:
; codeLenInByte = 4
; TotalNumSgprs: 0
; NumVgprs: 0
; ScratchSize: 0
; MemoryBound: 0
; FloatMode: 240
; IeeeMode: 1
; LDSByteSize: 0 bytes/workgroup (compile time only)
; SGPRBlocks: 0
; VGPRBlocks: 0
; NumSGPRsForWavesPerEU: 1
; NumVGPRsForWavesPerEU: 1
; Occupancy: 16
; WaveLimiterHint : 0
; COMPUTE_PGM_RSRC2:SCRATCH_EN: 0
; COMPUTE_PGM_RSRC2:USER_SGPR: 6
; COMPUTE_PGM_RSRC2:TRAP_HANDLER: 0
; COMPUTE_PGM_RSRC2:TGID_X_EN: 1
; COMPUTE_PGM_RSRC2:TGID_Y_EN: 0
; COMPUTE_PGM_RSRC2:TGID_Z_EN: 0
; COMPUTE_PGM_RSRC2:TIDIG_COMP_CNT: 0
	.section	.text._ZN7rocprim17ROCPRIM_400000_NS6detail17trampoline_kernelINS0_14default_configENS1_27scan_by_key_config_selectorIssEEZZNS1_16scan_by_key_implILNS1_25lookback_scan_determinismE0ELb0ES3_N6thrust23THRUST_200600_302600_NS6detail15normal_iteratorINS9_10device_ptrIsEEEESE_SE_sNS9_4plusIvEENS9_8equal_toIsEEsEE10hipError_tPvRmT2_T3_T4_T5_mT6_T7_P12ihipStream_tbENKUlT_T0_E_clISt17integral_constantIbLb0EESY_IbLb1EEEEDaSU_SV_EUlSU_E_NS1_11comp_targetILNS1_3genE0ELNS1_11target_archE4294967295ELNS1_3gpuE0ELNS1_3repE0EEENS1_30default_config_static_selectorELNS0_4arch9wavefront6targetE0EEEvT1_,"axG",@progbits,_ZN7rocprim17ROCPRIM_400000_NS6detail17trampoline_kernelINS0_14default_configENS1_27scan_by_key_config_selectorIssEEZZNS1_16scan_by_key_implILNS1_25lookback_scan_determinismE0ELb0ES3_N6thrust23THRUST_200600_302600_NS6detail15normal_iteratorINS9_10device_ptrIsEEEESE_SE_sNS9_4plusIvEENS9_8equal_toIsEEsEE10hipError_tPvRmT2_T3_T4_T5_mT6_T7_P12ihipStream_tbENKUlT_T0_E_clISt17integral_constantIbLb0EESY_IbLb1EEEEDaSU_SV_EUlSU_E_NS1_11comp_targetILNS1_3genE0ELNS1_11target_archE4294967295ELNS1_3gpuE0ELNS1_3repE0EEENS1_30default_config_static_selectorELNS0_4arch9wavefront6targetE0EEEvT1_,comdat
	.protected	_ZN7rocprim17ROCPRIM_400000_NS6detail17trampoline_kernelINS0_14default_configENS1_27scan_by_key_config_selectorIssEEZZNS1_16scan_by_key_implILNS1_25lookback_scan_determinismE0ELb0ES3_N6thrust23THRUST_200600_302600_NS6detail15normal_iteratorINS9_10device_ptrIsEEEESE_SE_sNS9_4plusIvEENS9_8equal_toIsEEsEE10hipError_tPvRmT2_T3_T4_T5_mT6_T7_P12ihipStream_tbENKUlT_T0_E_clISt17integral_constantIbLb0EESY_IbLb1EEEEDaSU_SV_EUlSU_E_NS1_11comp_targetILNS1_3genE0ELNS1_11target_archE4294967295ELNS1_3gpuE0ELNS1_3repE0EEENS1_30default_config_static_selectorELNS0_4arch9wavefront6targetE0EEEvT1_ ; -- Begin function _ZN7rocprim17ROCPRIM_400000_NS6detail17trampoline_kernelINS0_14default_configENS1_27scan_by_key_config_selectorIssEEZZNS1_16scan_by_key_implILNS1_25lookback_scan_determinismE0ELb0ES3_N6thrust23THRUST_200600_302600_NS6detail15normal_iteratorINS9_10device_ptrIsEEEESE_SE_sNS9_4plusIvEENS9_8equal_toIsEEsEE10hipError_tPvRmT2_T3_T4_T5_mT6_T7_P12ihipStream_tbENKUlT_T0_E_clISt17integral_constantIbLb0EESY_IbLb1EEEEDaSU_SV_EUlSU_E_NS1_11comp_targetILNS1_3genE0ELNS1_11target_archE4294967295ELNS1_3gpuE0ELNS1_3repE0EEENS1_30default_config_static_selectorELNS0_4arch9wavefront6targetE0EEEvT1_
	.globl	_ZN7rocprim17ROCPRIM_400000_NS6detail17trampoline_kernelINS0_14default_configENS1_27scan_by_key_config_selectorIssEEZZNS1_16scan_by_key_implILNS1_25lookback_scan_determinismE0ELb0ES3_N6thrust23THRUST_200600_302600_NS6detail15normal_iteratorINS9_10device_ptrIsEEEESE_SE_sNS9_4plusIvEENS9_8equal_toIsEEsEE10hipError_tPvRmT2_T3_T4_T5_mT6_T7_P12ihipStream_tbENKUlT_T0_E_clISt17integral_constantIbLb0EESY_IbLb1EEEEDaSU_SV_EUlSU_E_NS1_11comp_targetILNS1_3genE0ELNS1_11target_archE4294967295ELNS1_3gpuE0ELNS1_3repE0EEENS1_30default_config_static_selectorELNS0_4arch9wavefront6targetE0EEEvT1_
	.p2align	8
	.type	_ZN7rocprim17ROCPRIM_400000_NS6detail17trampoline_kernelINS0_14default_configENS1_27scan_by_key_config_selectorIssEEZZNS1_16scan_by_key_implILNS1_25lookback_scan_determinismE0ELb0ES3_N6thrust23THRUST_200600_302600_NS6detail15normal_iteratorINS9_10device_ptrIsEEEESE_SE_sNS9_4plusIvEENS9_8equal_toIsEEsEE10hipError_tPvRmT2_T3_T4_T5_mT6_T7_P12ihipStream_tbENKUlT_T0_E_clISt17integral_constantIbLb0EESY_IbLb1EEEEDaSU_SV_EUlSU_E_NS1_11comp_targetILNS1_3genE0ELNS1_11target_archE4294967295ELNS1_3gpuE0ELNS1_3repE0EEENS1_30default_config_static_selectorELNS0_4arch9wavefront6targetE0EEEvT1_,@function
_ZN7rocprim17ROCPRIM_400000_NS6detail17trampoline_kernelINS0_14default_configENS1_27scan_by_key_config_selectorIssEEZZNS1_16scan_by_key_implILNS1_25lookback_scan_determinismE0ELb0ES3_N6thrust23THRUST_200600_302600_NS6detail15normal_iteratorINS9_10device_ptrIsEEEESE_SE_sNS9_4plusIvEENS9_8equal_toIsEEsEE10hipError_tPvRmT2_T3_T4_T5_mT6_T7_P12ihipStream_tbENKUlT_T0_E_clISt17integral_constantIbLb0EESY_IbLb1EEEEDaSU_SV_EUlSU_E_NS1_11comp_targetILNS1_3genE0ELNS1_11target_archE4294967295ELNS1_3gpuE0ELNS1_3repE0EEENS1_30default_config_static_selectorELNS0_4arch9wavefront6targetE0EEEvT1_: ; @_ZN7rocprim17ROCPRIM_400000_NS6detail17trampoline_kernelINS0_14default_configENS1_27scan_by_key_config_selectorIssEEZZNS1_16scan_by_key_implILNS1_25lookback_scan_determinismE0ELb0ES3_N6thrust23THRUST_200600_302600_NS6detail15normal_iteratorINS9_10device_ptrIsEEEESE_SE_sNS9_4plusIvEENS9_8equal_toIsEEsEE10hipError_tPvRmT2_T3_T4_T5_mT6_T7_P12ihipStream_tbENKUlT_T0_E_clISt17integral_constantIbLb0EESY_IbLb1EEEEDaSU_SV_EUlSU_E_NS1_11comp_targetILNS1_3genE0ELNS1_11target_archE4294967295ELNS1_3gpuE0ELNS1_3repE0EEENS1_30default_config_static_selectorELNS0_4arch9wavefront6targetE0EEEvT1_
; %bb.0:
	.section	.rodata,"a",@progbits
	.p2align	6, 0x0
	.amdhsa_kernel _ZN7rocprim17ROCPRIM_400000_NS6detail17trampoline_kernelINS0_14default_configENS1_27scan_by_key_config_selectorIssEEZZNS1_16scan_by_key_implILNS1_25lookback_scan_determinismE0ELb0ES3_N6thrust23THRUST_200600_302600_NS6detail15normal_iteratorINS9_10device_ptrIsEEEESE_SE_sNS9_4plusIvEENS9_8equal_toIsEEsEE10hipError_tPvRmT2_T3_T4_T5_mT6_T7_P12ihipStream_tbENKUlT_T0_E_clISt17integral_constantIbLb0EESY_IbLb1EEEEDaSU_SV_EUlSU_E_NS1_11comp_targetILNS1_3genE0ELNS1_11target_archE4294967295ELNS1_3gpuE0ELNS1_3repE0EEENS1_30default_config_static_selectorELNS0_4arch9wavefront6targetE0EEEvT1_
		.amdhsa_group_segment_fixed_size 0
		.amdhsa_private_segment_fixed_size 0
		.amdhsa_kernarg_size 112
		.amdhsa_user_sgpr_count 6
		.amdhsa_user_sgpr_private_segment_buffer 1
		.amdhsa_user_sgpr_dispatch_ptr 0
		.amdhsa_user_sgpr_queue_ptr 0
		.amdhsa_user_sgpr_kernarg_segment_ptr 1
		.amdhsa_user_sgpr_dispatch_id 0
		.amdhsa_user_sgpr_flat_scratch_init 0
		.amdhsa_user_sgpr_private_segment_size 0
		.amdhsa_wavefront_size32 1
		.amdhsa_uses_dynamic_stack 0
		.amdhsa_system_sgpr_private_segment_wavefront_offset 0
		.amdhsa_system_sgpr_workgroup_id_x 1
		.amdhsa_system_sgpr_workgroup_id_y 0
		.amdhsa_system_sgpr_workgroup_id_z 0
		.amdhsa_system_sgpr_workgroup_info 0
		.amdhsa_system_vgpr_workitem_id 0
		.amdhsa_next_free_vgpr 1
		.amdhsa_next_free_sgpr 1
		.amdhsa_reserve_vcc 0
		.amdhsa_reserve_flat_scratch 0
		.amdhsa_float_round_mode_32 0
		.amdhsa_float_round_mode_16_64 0
		.amdhsa_float_denorm_mode_32 3
		.amdhsa_float_denorm_mode_16_64 3
		.amdhsa_dx10_clamp 1
		.amdhsa_ieee_mode 1
		.amdhsa_fp16_overflow 0
		.amdhsa_workgroup_processor_mode 1
		.amdhsa_memory_ordered 1
		.amdhsa_forward_progress 1
		.amdhsa_shared_vgpr_count 0
		.amdhsa_exception_fp_ieee_invalid_op 0
		.amdhsa_exception_fp_denorm_src 0
		.amdhsa_exception_fp_ieee_div_zero 0
		.amdhsa_exception_fp_ieee_overflow 0
		.amdhsa_exception_fp_ieee_underflow 0
		.amdhsa_exception_fp_ieee_inexact 0
		.amdhsa_exception_int_div_zero 0
	.end_amdhsa_kernel
	.section	.text._ZN7rocprim17ROCPRIM_400000_NS6detail17trampoline_kernelINS0_14default_configENS1_27scan_by_key_config_selectorIssEEZZNS1_16scan_by_key_implILNS1_25lookback_scan_determinismE0ELb0ES3_N6thrust23THRUST_200600_302600_NS6detail15normal_iteratorINS9_10device_ptrIsEEEESE_SE_sNS9_4plusIvEENS9_8equal_toIsEEsEE10hipError_tPvRmT2_T3_T4_T5_mT6_T7_P12ihipStream_tbENKUlT_T0_E_clISt17integral_constantIbLb0EESY_IbLb1EEEEDaSU_SV_EUlSU_E_NS1_11comp_targetILNS1_3genE0ELNS1_11target_archE4294967295ELNS1_3gpuE0ELNS1_3repE0EEENS1_30default_config_static_selectorELNS0_4arch9wavefront6targetE0EEEvT1_,"axG",@progbits,_ZN7rocprim17ROCPRIM_400000_NS6detail17trampoline_kernelINS0_14default_configENS1_27scan_by_key_config_selectorIssEEZZNS1_16scan_by_key_implILNS1_25lookback_scan_determinismE0ELb0ES3_N6thrust23THRUST_200600_302600_NS6detail15normal_iteratorINS9_10device_ptrIsEEEESE_SE_sNS9_4plusIvEENS9_8equal_toIsEEsEE10hipError_tPvRmT2_T3_T4_T5_mT6_T7_P12ihipStream_tbENKUlT_T0_E_clISt17integral_constantIbLb0EESY_IbLb1EEEEDaSU_SV_EUlSU_E_NS1_11comp_targetILNS1_3genE0ELNS1_11target_archE4294967295ELNS1_3gpuE0ELNS1_3repE0EEENS1_30default_config_static_selectorELNS0_4arch9wavefront6targetE0EEEvT1_,comdat
.Lfunc_end344:
	.size	_ZN7rocprim17ROCPRIM_400000_NS6detail17trampoline_kernelINS0_14default_configENS1_27scan_by_key_config_selectorIssEEZZNS1_16scan_by_key_implILNS1_25lookback_scan_determinismE0ELb0ES3_N6thrust23THRUST_200600_302600_NS6detail15normal_iteratorINS9_10device_ptrIsEEEESE_SE_sNS9_4plusIvEENS9_8equal_toIsEEsEE10hipError_tPvRmT2_T3_T4_T5_mT6_T7_P12ihipStream_tbENKUlT_T0_E_clISt17integral_constantIbLb0EESY_IbLb1EEEEDaSU_SV_EUlSU_E_NS1_11comp_targetILNS1_3genE0ELNS1_11target_archE4294967295ELNS1_3gpuE0ELNS1_3repE0EEENS1_30default_config_static_selectorELNS0_4arch9wavefront6targetE0EEEvT1_, .Lfunc_end344-_ZN7rocprim17ROCPRIM_400000_NS6detail17trampoline_kernelINS0_14default_configENS1_27scan_by_key_config_selectorIssEEZZNS1_16scan_by_key_implILNS1_25lookback_scan_determinismE0ELb0ES3_N6thrust23THRUST_200600_302600_NS6detail15normal_iteratorINS9_10device_ptrIsEEEESE_SE_sNS9_4plusIvEENS9_8equal_toIsEEsEE10hipError_tPvRmT2_T3_T4_T5_mT6_T7_P12ihipStream_tbENKUlT_T0_E_clISt17integral_constantIbLb0EESY_IbLb1EEEEDaSU_SV_EUlSU_E_NS1_11comp_targetILNS1_3genE0ELNS1_11target_archE4294967295ELNS1_3gpuE0ELNS1_3repE0EEENS1_30default_config_static_selectorELNS0_4arch9wavefront6targetE0EEEvT1_
                                        ; -- End function
	.set _ZN7rocprim17ROCPRIM_400000_NS6detail17trampoline_kernelINS0_14default_configENS1_27scan_by_key_config_selectorIssEEZZNS1_16scan_by_key_implILNS1_25lookback_scan_determinismE0ELb0ES3_N6thrust23THRUST_200600_302600_NS6detail15normal_iteratorINS9_10device_ptrIsEEEESE_SE_sNS9_4plusIvEENS9_8equal_toIsEEsEE10hipError_tPvRmT2_T3_T4_T5_mT6_T7_P12ihipStream_tbENKUlT_T0_E_clISt17integral_constantIbLb0EESY_IbLb1EEEEDaSU_SV_EUlSU_E_NS1_11comp_targetILNS1_3genE0ELNS1_11target_archE4294967295ELNS1_3gpuE0ELNS1_3repE0EEENS1_30default_config_static_selectorELNS0_4arch9wavefront6targetE0EEEvT1_.num_vgpr, 0
	.set _ZN7rocprim17ROCPRIM_400000_NS6detail17trampoline_kernelINS0_14default_configENS1_27scan_by_key_config_selectorIssEEZZNS1_16scan_by_key_implILNS1_25lookback_scan_determinismE0ELb0ES3_N6thrust23THRUST_200600_302600_NS6detail15normal_iteratorINS9_10device_ptrIsEEEESE_SE_sNS9_4plusIvEENS9_8equal_toIsEEsEE10hipError_tPvRmT2_T3_T4_T5_mT6_T7_P12ihipStream_tbENKUlT_T0_E_clISt17integral_constantIbLb0EESY_IbLb1EEEEDaSU_SV_EUlSU_E_NS1_11comp_targetILNS1_3genE0ELNS1_11target_archE4294967295ELNS1_3gpuE0ELNS1_3repE0EEENS1_30default_config_static_selectorELNS0_4arch9wavefront6targetE0EEEvT1_.num_agpr, 0
	.set _ZN7rocprim17ROCPRIM_400000_NS6detail17trampoline_kernelINS0_14default_configENS1_27scan_by_key_config_selectorIssEEZZNS1_16scan_by_key_implILNS1_25lookback_scan_determinismE0ELb0ES3_N6thrust23THRUST_200600_302600_NS6detail15normal_iteratorINS9_10device_ptrIsEEEESE_SE_sNS9_4plusIvEENS9_8equal_toIsEEsEE10hipError_tPvRmT2_T3_T4_T5_mT6_T7_P12ihipStream_tbENKUlT_T0_E_clISt17integral_constantIbLb0EESY_IbLb1EEEEDaSU_SV_EUlSU_E_NS1_11comp_targetILNS1_3genE0ELNS1_11target_archE4294967295ELNS1_3gpuE0ELNS1_3repE0EEENS1_30default_config_static_selectorELNS0_4arch9wavefront6targetE0EEEvT1_.numbered_sgpr, 0
	.set _ZN7rocprim17ROCPRIM_400000_NS6detail17trampoline_kernelINS0_14default_configENS1_27scan_by_key_config_selectorIssEEZZNS1_16scan_by_key_implILNS1_25lookback_scan_determinismE0ELb0ES3_N6thrust23THRUST_200600_302600_NS6detail15normal_iteratorINS9_10device_ptrIsEEEESE_SE_sNS9_4plusIvEENS9_8equal_toIsEEsEE10hipError_tPvRmT2_T3_T4_T5_mT6_T7_P12ihipStream_tbENKUlT_T0_E_clISt17integral_constantIbLb0EESY_IbLb1EEEEDaSU_SV_EUlSU_E_NS1_11comp_targetILNS1_3genE0ELNS1_11target_archE4294967295ELNS1_3gpuE0ELNS1_3repE0EEENS1_30default_config_static_selectorELNS0_4arch9wavefront6targetE0EEEvT1_.num_named_barrier, 0
	.set _ZN7rocprim17ROCPRIM_400000_NS6detail17trampoline_kernelINS0_14default_configENS1_27scan_by_key_config_selectorIssEEZZNS1_16scan_by_key_implILNS1_25lookback_scan_determinismE0ELb0ES3_N6thrust23THRUST_200600_302600_NS6detail15normal_iteratorINS9_10device_ptrIsEEEESE_SE_sNS9_4plusIvEENS9_8equal_toIsEEsEE10hipError_tPvRmT2_T3_T4_T5_mT6_T7_P12ihipStream_tbENKUlT_T0_E_clISt17integral_constantIbLb0EESY_IbLb1EEEEDaSU_SV_EUlSU_E_NS1_11comp_targetILNS1_3genE0ELNS1_11target_archE4294967295ELNS1_3gpuE0ELNS1_3repE0EEENS1_30default_config_static_selectorELNS0_4arch9wavefront6targetE0EEEvT1_.private_seg_size, 0
	.set _ZN7rocprim17ROCPRIM_400000_NS6detail17trampoline_kernelINS0_14default_configENS1_27scan_by_key_config_selectorIssEEZZNS1_16scan_by_key_implILNS1_25lookback_scan_determinismE0ELb0ES3_N6thrust23THRUST_200600_302600_NS6detail15normal_iteratorINS9_10device_ptrIsEEEESE_SE_sNS9_4plusIvEENS9_8equal_toIsEEsEE10hipError_tPvRmT2_T3_T4_T5_mT6_T7_P12ihipStream_tbENKUlT_T0_E_clISt17integral_constantIbLb0EESY_IbLb1EEEEDaSU_SV_EUlSU_E_NS1_11comp_targetILNS1_3genE0ELNS1_11target_archE4294967295ELNS1_3gpuE0ELNS1_3repE0EEENS1_30default_config_static_selectorELNS0_4arch9wavefront6targetE0EEEvT1_.uses_vcc, 0
	.set _ZN7rocprim17ROCPRIM_400000_NS6detail17trampoline_kernelINS0_14default_configENS1_27scan_by_key_config_selectorIssEEZZNS1_16scan_by_key_implILNS1_25lookback_scan_determinismE0ELb0ES3_N6thrust23THRUST_200600_302600_NS6detail15normal_iteratorINS9_10device_ptrIsEEEESE_SE_sNS9_4plusIvEENS9_8equal_toIsEEsEE10hipError_tPvRmT2_T3_T4_T5_mT6_T7_P12ihipStream_tbENKUlT_T0_E_clISt17integral_constantIbLb0EESY_IbLb1EEEEDaSU_SV_EUlSU_E_NS1_11comp_targetILNS1_3genE0ELNS1_11target_archE4294967295ELNS1_3gpuE0ELNS1_3repE0EEENS1_30default_config_static_selectorELNS0_4arch9wavefront6targetE0EEEvT1_.uses_flat_scratch, 0
	.set _ZN7rocprim17ROCPRIM_400000_NS6detail17trampoline_kernelINS0_14default_configENS1_27scan_by_key_config_selectorIssEEZZNS1_16scan_by_key_implILNS1_25lookback_scan_determinismE0ELb0ES3_N6thrust23THRUST_200600_302600_NS6detail15normal_iteratorINS9_10device_ptrIsEEEESE_SE_sNS9_4plusIvEENS9_8equal_toIsEEsEE10hipError_tPvRmT2_T3_T4_T5_mT6_T7_P12ihipStream_tbENKUlT_T0_E_clISt17integral_constantIbLb0EESY_IbLb1EEEEDaSU_SV_EUlSU_E_NS1_11comp_targetILNS1_3genE0ELNS1_11target_archE4294967295ELNS1_3gpuE0ELNS1_3repE0EEENS1_30default_config_static_selectorELNS0_4arch9wavefront6targetE0EEEvT1_.has_dyn_sized_stack, 0
	.set _ZN7rocprim17ROCPRIM_400000_NS6detail17trampoline_kernelINS0_14default_configENS1_27scan_by_key_config_selectorIssEEZZNS1_16scan_by_key_implILNS1_25lookback_scan_determinismE0ELb0ES3_N6thrust23THRUST_200600_302600_NS6detail15normal_iteratorINS9_10device_ptrIsEEEESE_SE_sNS9_4plusIvEENS9_8equal_toIsEEsEE10hipError_tPvRmT2_T3_T4_T5_mT6_T7_P12ihipStream_tbENKUlT_T0_E_clISt17integral_constantIbLb0EESY_IbLb1EEEEDaSU_SV_EUlSU_E_NS1_11comp_targetILNS1_3genE0ELNS1_11target_archE4294967295ELNS1_3gpuE0ELNS1_3repE0EEENS1_30default_config_static_selectorELNS0_4arch9wavefront6targetE0EEEvT1_.has_recursion, 0
	.set _ZN7rocprim17ROCPRIM_400000_NS6detail17trampoline_kernelINS0_14default_configENS1_27scan_by_key_config_selectorIssEEZZNS1_16scan_by_key_implILNS1_25lookback_scan_determinismE0ELb0ES3_N6thrust23THRUST_200600_302600_NS6detail15normal_iteratorINS9_10device_ptrIsEEEESE_SE_sNS9_4plusIvEENS9_8equal_toIsEEsEE10hipError_tPvRmT2_T3_T4_T5_mT6_T7_P12ihipStream_tbENKUlT_T0_E_clISt17integral_constantIbLb0EESY_IbLb1EEEEDaSU_SV_EUlSU_E_NS1_11comp_targetILNS1_3genE0ELNS1_11target_archE4294967295ELNS1_3gpuE0ELNS1_3repE0EEENS1_30default_config_static_selectorELNS0_4arch9wavefront6targetE0EEEvT1_.has_indirect_call, 0
	.section	.AMDGPU.csdata,"",@progbits
; Kernel info:
; codeLenInByte = 0
; TotalNumSgprs: 0
; NumVgprs: 0
; ScratchSize: 0
; MemoryBound: 0
; FloatMode: 240
; IeeeMode: 1
; LDSByteSize: 0 bytes/workgroup (compile time only)
; SGPRBlocks: 0
; VGPRBlocks: 0
; NumSGPRsForWavesPerEU: 1
; NumVGPRsForWavesPerEU: 1
; Occupancy: 16
; WaveLimiterHint : 0
; COMPUTE_PGM_RSRC2:SCRATCH_EN: 0
; COMPUTE_PGM_RSRC2:USER_SGPR: 6
; COMPUTE_PGM_RSRC2:TRAP_HANDLER: 0
; COMPUTE_PGM_RSRC2:TGID_X_EN: 1
; COMPUTE_PGM_RSRC2:TGID_Y_EN: 0
; COMPUTE_PGM_RSRC2:TGID_Z_EN: 0
; COMPUTE_PGM_RSRC2:TIDIG_COMP_CNT: 0
	.section	.text._ZN7rocprim17ROCPRIM_400000_NS6detail17trampoline_kernelINS0_14default_configENS1_27scan_by_key_config_selectorIssEEZZNS1_16scan_by_key_implILNS1_25lookback_scan_determinismE0ELb0ES3_N6thrust23THRUST_200600_302600_NS6detail15normal_iteratorINS9_10device_ptrIsEEEESE_SE_sNS9_4plusIvEENS9_8equal_toIsEEsEE10hipError_tPvRmT2_T3_T4_T5_mT6_T7_P12ihipStream_tbENKUlT_T0_E_clISt17integral_constantIbLb0EESY_IbLb1EEEEDaSU_SV_EUlSU_E_NS1_11comp_targetILNS1_3genE10ELNS1_11target_archE1201ELNS1_3gpuE5ELNS1_3repE0EEENS1_30default_config_static_selectorELNS0_4arch9wavefront6targetE0EEEvT1_,"axG",@progbits,_ZN7rocprim17ROCPRIM_400000_NS6detail17trampoline_kernelINS0_14default_configENS1_27scan_by_key_config_selectorIssEEZZNS1_16scan_by_key_implILNS1_25lookback_scan_determinismE0ELb0ES3_N6thrust23THRUST_200600_302600_NS6detail15normal_iteratorINS9_10device_ptrIsEEEESE_SE_sNS9_4plusIvEENS9_8equal_toIsEEsEE10hipError_tPvRmT2_T3_T4_T5_mT6_T7_P12ihipStream_tbENKUlT_T0_E_clISt17integral_constantIbLb0EESY_IbLb1EEEEDaSU_SV_EUlSU_E_NS1_11comp_targetILNS1_3genE10ELNS1_11target_archE1201ELNS1_3gpuE5ELNS1_3repE0EEENS1_30default_config_static_selectorELNS0_4arch9wavefront6targetE0EEEvT1_,comdat
	.protected	_ZN7rocprim17ROCPRIM_400000_NS6detail17trampoline_kernelINS0_14default_configENS1_27scan_by_key_config_selectorIssEEZZNS1_16scan_by_key_implILNS1_25lookback_scan_determinismE0ELb0ES3_N6thrust23THRUST_200600_302600_NS6detail15normal_iteratorINS9_10device_ptrIsEEEESE_SE_sNS9_4plusIvEENS9_8equal_toIsEEsEE10hipError_tPvRmT2_T3_T4_T5_mT6_T7_P12ihipStream_tbENKUlT_T0_E_clISt17integral_constantIbLb0EESY_IbLb1EEEEDaSU_SV_EUlSU_E_NS1_11comp_targetILNS1_3genE10ELNS1_11target_archE1201ELNS1_3gpuE5ELNS1_3repE0EEENS1_30default_config_static_selectorELNS0_4arch9wavefront6targetE0EEEvT1_ ; -- Begin function _ZN7rocprim17ROCPRIM_400000_NS6detail17trampoline_kernelINS0_14default_configENS1_27scan_by_key_config_selectorIssEEZZNS1_16scan_by_key_implILNS1_25lookback_scan_determinismE0ELb0ES3_N6thrust23THRUST_200600_302600_NS6detail15normal_iteratorINS9_10device_ptrIsEEEESE_SE_sNS9_4plusIvEENS9_8equal_toIsEEsEE10hipError_tPvRmT2_T3_T4_T5_mT6_T7_P12ihipStream_tbENKUlT_T0_E_clISt17integral_constantIbLb0EESY_IbLb1EEEEDaSU_SV_EUlSU_E_NS1_11comp_targetILNS1_3genE10ELNS1_11target_archE1201ELNS1_3gpuE5ELNS1_3repE0EEENS1_30default_config_static_selectorELNS0_4arch9wavefront6targetE0EEEvT1_
	.globl	_ZN7rocprim17ROCPRIM_400000_NS6detail17trampoline_kernelINS0_14default_configENS1_27scan_by_key_config_selectorIssEEZZNS1_16scan_by_key_implILNS1_25lookback_scan_determinismE0ELb0ES3_N6thrust23THRUST_200600_302600_NS6detail15normal_iteratorINS9_10device_ptrIsEEEESE_SE_sNS9_4plusIvEENS9_8equal_toIsEEsEE10hipError_tPvRmT2_T3_T4_T5_mT6_T7_P12ihipStream_tbENKUlT_T0_E_clISt17integral_constantIbLb0EESY_IbLb1EEEEDaSU_SV_EUlSU_E_NS1_11comp_targetILNS1_3genE10ELNS1_11target_archE1201ELNS1_3gpuE5ELNS1_3repE0EEENS1_30default_config_static_selectorELNS0_4arch9wavefront6targetE0EEEvT1_
	.p2align	8
	.type	_ZN7rocprim17ROCPRIM_400000_NS6detail17trampoline_kernelINS0_14default_configENS1_27scan_by_key_config_selectorIssEEZZNS1_16scan_by_key_implILNS1_25lookback_scan_determinismE0ELb0ES3_N6thrust23THRUST_200600_302600_NS6detail15normal_iteratorINS9_10device_ptrIsEEEESE_SE_sNS9_4plusIvEENS9_8equal_toIsEEsEE10hipError_tPvRmT2_T3_T4_T5_mT6_T7_P12ihipStream_tbENKUlT_T0_E_clISt17integral_constantIbLb0EESY_IbLb1EEEEDaSU_SV_EUlSU_E_NS1_11comp_targetILNS1_3genE10ELNS1_11target_archE1201ELNS1_3gpuE5ELNS1_3repE0EEENS1_30default_config_static_selectorELNS0_4arch9wavefront6targetE0EEEvT1_,@function
_ZN7rocprim17ROCPRIM_400000_NS6detail17trampoline_kernelINS0_14default_configENS1_27scan_by_key_config_selectorIssEEZZNS1_16scan_by_key_implILNS1_25lookback_scan_determinismE0ELb0ES3_N6thrust23THRUST_200600_302600_NS6detail15normal_iteratorINS9_10device_ptrIsEEEESE_SE_sNS9_4plusIvEENS9_8equal_toIsEEsEE10hipError_tPvRmT2_T3_T4_T5_mT6_T7_P12ihipStream_tbENKUlT_T0_E_clISt17integral_constantIbLb0EESY_IbLb1EEEEDaSU_SV_EUlSU_E_NS1_11comp_targetILNS1_3genE10ELNS1_11target_archE1201ELNS1_3gpuE5ELNS1_3repE0EEENS1_30default_config_static_selectorELNS0_4arch9wavefront6targetE0EEEvT1_: ; @_ZN7rocprim17ROCPRIM_400000_NS6detail17trampoline_kernelINS0_14default_configENS1_27scan_by_key_config_selectorIssEEZZNS1_16scan_by_key_implILNS1_25lookback_scan_determinismE0ELb0ES3_N6thrust23THRUST_200600_302600_NS6detail15normal_iteratorINS9_10device_ptrIsEEEESE_SE_sNS9_4plusIvEENS9_8equal_toIsEEsEE10hipError_tPvRmT2_T3_T4_T5_mT6_T7_P12ihipStream_tbENKUlT_T0_E_clISt17integral_constantIbLb0EESY_IbLb1EEEEDaSU_SV_EUlSU_E_NS1_11comp_targetILNS1_3genE10ELNS1_11target_archE1201ELNS1_3gpuE5ELNS1_3repE0EEENS1_30default_config_static_selectorELNS0_4arch9wavefront6targetE0EEEvT1_
; %bb.0:
	.section	.rodata,"a",@progbits
	.p2align	6, 0x0
	.amdhsa_kernel _ZN7rocprim17ROCPRIM_400000_NS6detail17trampoline_kernelINS0_14default_configENS1_27scan_by_key_config_selectorIssEEZZNS1_16scan_by_key_implILNS1_25lookback_scan_determinismE0ELb0ES3_N6thrust23THRUST_200600_302600_NS6detail15normal_iteratorINS9_10device_ptrIsEEEESE_SE_sNS9_4plusIvEENS9_8equal_toIsEEsEE10hipError_tPvRmT2_T3_T4_T5_mT6_T7_P12ihipStream_tbENKUlT_T0_E_clISt17integral_constantIbLb0EESY_IbLb1EEEEDaSU_SV_EUlSU_E_NS1_11comp_targetILNS1_3genE10ELNS1_11target_archE1201ELNS1_3gpuE5ELNS1_3repE0EEENS1_30default_config_static_selectorELNS0_4arch9wavefront6targetE0EEEvT1_
		.amdhsa_group_segment_fixed_size 0
		.amdhsa_private_segment_fixed_size 0
		.amdhsa_kernarg_size 112
		.amdhsa_user_sgpr_count 6
		.amdhsa_user_sgpr_private_segment_buffer 1
		.amdhsa_user_sgpr_dispatch_ptr 0
		.amdhsa_user_sgpr_queue_ptr 0
		.amdhsa_user_sgpr_kernarg_segment_ptr 1
		.amdhsa_user_sgpr_dispatch_id 0
		.amdhsa_user_sgpr_flat_scratch_init 0
		.amdhsa_user_sgpr_private_segment_size 0
		.amdhsa_wavefront_size32 1
		.amdhsa_uses_dynamic_stack 0
		.amdhsa_system_sgpr_private_segment_wavefront_offset 0
		.amdhsa_system_sgpr_workgroup_id_x 1
		.amdhsa_system_sgpr_workgroup_id_y 0
		.amdhsa_system_sgpr_workgroup_id_z 0
		.amdhsa_system_sgpr_workgroup_info 0
		.amdhsa_system_vgpr_workitem_id 0
		.amdhsa_next_free_vgpr 1
		.amdhsa_next_free_sgpr 1
		.amdhsa_reserve_vcc 0
		.amdhsa_reserve_flat_scratch 0
		.amdhsa_float_round_mode_32 0
		.amdhsa_float_round_mode_16_64 0
		.amdhsa_float_denorm_mode_32 3
		.amdhsa_float_denorm_mode_16_64 3
		.amdhsa_dx10_clamp 1
		.amdhsa_ieee_mode 1
		.amdhsa_fp16_overflow 0
		.amdhsa_workgroup_processor_mode 1
		.amdhsa_memory_ordered 1
		.amdhsa_forward_progress 1
		.amdhsa_shared_vgpr_count 0
		.amdhsa_exception_fp_ieee_invalid_op 0
		.amdhsa_exception_fp_denorm_src 0
		.amdhsa_exception_fp_ieee_div_zero 0
		.amdhsa_exception_fp_ieee_overflow 0
		.amdhsa_exception_fp_ieee_underflow 0
		.amdhsa_exception_fp_ieee_inexact 0
		.amdhsa_exception_int_div_zero 0
	.end_amdhsa_kernel
	.section	.text._ZN7rocprim17ROCPRIM_400000_NS6detail17trampoline_kernelINS0_14default_configENS1_27scan_by_key_config_selectorIssEEZZNS1_16scan_by_key_implILNS1_25lookback_scan_determinismE0ELb0ES3_N6thrust23THRUST_200600_302600_NS6detail15normal_iteratorINS9_10device_ptrIsEEEESE_SE_sNS9_4plusIvEENS9_8equal_toIsEEsEE10hipError_tPvRmT2_T3_T4_T5_mT6_T7_P12ihipStream_tbENKUlT_T0_E_clISt17integral_constantIbLb0EESY_IbLb1EEEEDaSU_SV_EUlSU_E_NS1_11comp_targetILNS1_3genE10ELNS1_11target_archE1201ELNS1_3gpuE5ELNS1_3repE0EEENS1_30default_config_static_selectorELNS0_4arch9wavefront6targetE0EEEvT1_,"axG",@progbits,_ZN7rocprim17ROCPRIM_400000_NS6detail17trampoline_kernelINS0_14default_configENS1_27scan_by_key_config_selectorIssEEZZNS1_16scan_by_key_implILNS1_25lookback_scan_determinismE0ELb0ES3_N6thrust23THRUST_200600_302600_NS6detail15normal_iteratorINS9_10device_ptrIsEEEESE_SE_sNS9_4plusIvEENS9_8equal_toIsEEsEE10hipError_tPvRmT2_T3_T4_T5_mT6_T7_P12ihipStream_tbENKUlT_T0_E_clISt17integral_constantIbLb0EESY_IbLb1EEEEDaSU_SV_EUlSU_E_NS1_11comp_targetILNS1_3genE10ELNS1_11target_archE1201ELNS1_3gpuE5ELNS1_3repE0EEENS1_30default_config_static_selectorELNS0_4arch9wavefront6targetE0EEEvT1_,comdat
.Lfunc_end345:
	.size	_ZN7rocprim17ROCPRIM_400000_NS6detail17trampoline_kernelINS0_14default_configENS1_27scan_by_key_config_selectorIssEEZZNS1_16scan_by_key_implILNS1_25lookback_scan_determinismE0ELb0ES3_N6thrust23THRUST_200600_302600_NS6detail15normal_iteratorINS9_10device_ptrIsEEEESE_SE_sNS9_4plusIvEENS9_8equal_toIsEEsEE10hipError_tPvRmT2_T3_T4_T5_mT6_T7_P12ihipStream_tbENKUlT_T0_E_clISt17integral_constantIbLb0EESY_IbLb1EEEEDaSU_SV_EUlSU_E_NS1_11comp_targetILNS1_3genE10ELNS1_11target_archE1201ELNS1_3gpuE5ELNS1_3repE0EEENS1_30default_config_static_selectorELNS0_4arch9wavefront6targetE0EEEvT1_, .Lfunc_end345-_ZN7rocprim17ROCPRIM_400000_NS6detail17trampoline_kernelINS0_14default_configENS1_27scan_by_key_config_selectorIssEEZZNS1_16scan_by_key_implILNS1_25lookback_scan_determinismE0ELb0ES3_N6thrust23THRUST_200600_302600_NS6detail15normal_iteratorINS9_10device_ptrIsEEEESE_SE_sNS9_4plusIvEENS9_8equal_toIsEEsEE10hipError_tPvRmT2_T3_T4_T5_mT6_T7_P12ihipStream_tbENKUlT_T0_E_clISt17integral_constantIbLb0EESY_IbLb1EEEEDaSU_SV_EUlSU_E_NS1_11comp_targetILNS1_3genE10ELNS1_11target_archE1201ELNS1_3gpuE5ELNS1_3repE0EEENS1_30default_config_static_selectorELNS0_4arch9wavefront6targetE0EEEvT1_
                                        ; -- End function
	.set _ZN7rocprim17ROCPRIM_400000_NS6detail17trampoline_kernelINS0_14default_configENS1_27scan_by_key_config_selectorIssEEZZNS1_16scan_by_key_implILNS1_25lookback_scan_determinismE0ELb0ES3_N6thrust23THRUST_200600_302600_NS6detail15normal_iteratorINS9_10device_ptrIsEEEESE_SE_sNS9_4plusIvEENS9_8equal_toIsEEsEE10hipError_tPvRmT2_T3_T4_T5_mT6_T7_P12ihipStream_tbENKUlT_T0_E_clISt17integral_constantIbLb0EESY_IbLb1EEEEDaSU_SV_EUlSU_E_NS1_11comp_targetILNS1_3genE10ELNS1_11target_archE1201ELNS1_3gpuE5ELNS1_3repE0EEENS1_30default_config_static_selectorELNS0_4arch9wavefront6targetE0EEEvT1_.num_vgpr, 0
	.set _ZN7rocprim17ROCPRIM_400000_NS6detail17trampoline_kernelINS0_14default_configENS1_27scan_by_key_config_selectorIssEEZZNS1_16scan_by_key_implILNS1_25lookback_scan_determinismE0ELb0ES3_N6thrust23THRUST_200600_302600_NS6detail15normal_iteratorINS9_10device_ptrIsEEEESE_SE_sNS9_4plusIvEENS9_8equal_toIsEEsEE10hipError_tPvRmT2_T3_T4_T5_mT6_T7_P12ihipStream_tbENKUlT_T0_E_clISt17integral_constantIbLb0EESY_IbLb1EEEEDaSU_SV_EUlSU_E_NS1_11comp_targetILNS1_3genE10ELNS1_11target_archE1201ELNS1_3gpuE5ELNS1_3repE0EEENS1_30default_config_static_selectorELNS0_4arch9wavefront6targetE0EEEvT1_.num_agpr, 0
	.set _ZN7rocprim17ROCPRIM_400000_NS6detail17trampoline_kernelINS0_14default_configENS1_27scan_by_key_config_selectorIssEEZZNS1_16scan_by_key_implILNS1_25lookback_scan_determinismE0ELb0ES3_N6thrust23THRUST_200600_302600_NS6detail15normal_iteratorINS9_10device_ptrIsEEEESE_SE_sNS9_4plusIvEENS9_8equal_toIsEEsEE10hipError_tPvRmT2_T3_T4_T5_mT6_T7_P12ihipStream_tbENKUlT_T0_E_clISt17integral_constantIbLb0EESY_IbLb1EEEEDaSU_SV_EUlSU_E_NS1_11comp_targetILNS1_3genE10ELNS1_11target_archE1201ELNS1_3gpuE5ELNS1_3repE0EEENS1_30default_config_static_selectorELNS0_4arch9wavefront6targetE0EEEvT1_.numbered_sgpr, 0
	.set _ZN7rocprim17ROCPRIM_400000_NS6detail17trampoline_kernelINS0_14default_configENS1_27scan_by_key_config_selectorIssEEZZNS1_16scan_by_key_implILNS1_25lookback_scan_determinismE0ELb0ES3_N6thrust23THRUST_200600_302600_NS6detail15normal_iteratorINS9_10device_ptrIsEEEESE_SE_sNS9_4plusIvEENS9_8equal_toIsEEsEE10hipError_tPvRmT2_T3_T4_T5_mT6_T7_P12ihipStream_tbENKUlT_T0_E_clISt17integral_constantIbLb0EESY_IbLb1EEEEDaSU_SV_EUlSU_E_NS1_11comp_targetILNS1_3genE10ELNS1_11target_archE1201ELNS1_3gpuE5ELNS1_3repE0EEENS1_30default_config_static_selectorELNS0_4arch9wavefront6targetE0EEEvT1_.num_named_barrier, 0
	.set _ZN7rocprim17ROCPRIM_400000_NS6detail17trampoline_kernelINS0_14default_configENS1_27scan_by_key_config_selectorIssEEZZNS1_16scan_by_key_implILNS1_25lookback_scan_determinismE0ELb0ES3_N6thrust23THRUST_200600_302600_NS6detail15normal_iteratorINS9_10device_ptrIsEEEESE_SE_sNS9_4plusIvEENS9_8equal_toIsEEsEE10hipError_tPvRmT2_T3_T4_T5_mT6_T7_P12ihipStream_tbENKUlT_T0_E_clISt17integral_constantIbLb0EESY_IbLb1EEEEDaSU_SV_EUlSU_E_NS1_11comp_targetILNS1_3genE10ELNS1_11target_archE1201ELNS1_3gpuE5ELNS1_3repE0EEENS1_30default_config_static_selectorELNS0_4arch9wavefront6targetE0EEEvT1_.private_seg_size, 0
	.set _ZN7rocprim17ROCPRIM_400000_NS6detail17trampoline_kernelINS0_14default_configENS1_27scan_by_key_config_selectorIssEEZZNS1_16scan_by_key_implILNS1_25lookback_scan_determinismE0ELb0ES3_N6thrust23THRUST_200600_302600_NS6detail15normal_iteratorINS9_10device_ptrIsEEEESE_SE_sNS9_4plusIvEENS9_8equal_toIsEEsEE10hipError_tPvRmT2_T3_T4_T5_mT6_T7_P12ihipStream_tbENKUlT_T0_E_clISt17integral_constantIbLb0EESY_IbLb1EEEEDaSU_SV_EUlSU_E_NS1_11comp_targetILNS1_3genE10ELNS1_11target_archE1201ELNS1_3gpuE5ELNS1_3repE0EEENS1_30default_config_static_selectorELNS0_4arch9wavefront6targetE0EEEvT1_.uses_vcc, 0
	.set _ZN7rocprim17ROCPRIM_400000_NS6detail17trampoline_kernelINS0_14default_configENS1_27scan_by_key_config_selectorIssEEZZNS1_16scan_by_key_implILNS1_25lookback_scan_determinismE0ELb0ES3_N6thrust23THRUST_200600_302600_NS6detail15normal_iteratorINS9_10device_ptrIsEEEESE_SE_sNS9_4plusIvEENS9_8equal_toIsEEsEE10hipError_tPvRmT2_T3_T4_T5_mT6_T7_P12ihipStream_tbENKUlT_T0_E_clISt17integral_constantIbLb0EESY_IbLb1EEEEDaSU_SV_EUlSU_E_NS1_11comp_targetILNS1_3genE10ELNS1_11target_archE1201ELNS1_3gpuE5ELNS1_3repE0EEENS1_30default_config_static_selectorELNS0_4arch9wavefront6targetE0EEEvT1_.uses_flat_scratch, 0
	.set _ZN7rocprim17ROCPRIM_400000_NS6detail17trampoline_kernelINS0_14default_configENS1_27scan_by_key_config_selectorIssEEZZNS1_16scan_by_key_implILNS1_25lookback_scan_determinismE0ELb0ES3_N6thrust23THRUST_200600_302600_NS6detail15normal_iteratorINS9_10device_ptrIsEEEESE_SE_sNS9_4plusIvEENS9_8equal_toIsEEsEE10hipError_tPvRmT2_T3_T4_T5_mT6_T7_P12ihipStream_tbENKUlT_T0_E_clISt17integral_constantIbLb0EESY_IbLb1EEEEDaSU_SV_EUlSU_E_NS1_11comp_targetILNS1_3genE10ELNS1_11target_archE1201ELNS1_3gpuE5ELNS1_3repE0EEENS1_30default_config_static_selectorELNS0_4arch9wavefront6targetE0EEEvT1_.has_dyn_sized_stack, 0
	.set _ZN7rocprim17ROCPRIM_400000_NS6detail17trampoline_kernelINS0_14default_configENS1_27scan_by_key_config_selectorIssEEZZNS1_16scan_by_key_implILNS1_25lookback_scan_determinismE0ELb0ES3_N6thrust23THRUST_200600_302600_NS6detail15normal_iteratorINS9_10device_ptrIsEEEESE_SE_sNS9_4plusIvEENS9_8equal_toIsEEsEE10hipError_tPvRmT2_T3_T4_T5_mT6_T7_P12ihipStream_tbENKUlT_T0_E_clISt17integral_constantIbLb0EESY_IbLb1EEEEDaSU_SV_EUlSU_E_NS1_11comp_targetILNS1_3genE10ELNS1_11target_archE1201ELNS1_3gpuE5ELNS1_3repE0EEENS1_30default_config_static_selectorELNS0_4arch9wavefront6targetE0EEEvT1_.has_recursion, 0
	.set _ZN7rocprim17ROCPRIM_400000_NS6detail17trampoline_kernelINS0_14default_configENS1_27scan_by_key_config_selectorIssEEZZNS1_16scan_by_key_implILNS1_25lookback_scan_determinismE0ELb0ES3_N6thrust23THRUST_200600_302600_NS6detail15normal_iteratorINS9_10device_ptrIsEEEESE_SE_sNS9_4plusIvEENS9_8equal_toIsEEsEE10hipError_tPvRmT2_T3_T4_T5_mT6_T7_P12ihipStream_tbENKUlT_T0_E_clISt17integral_constantIbLb0EESY_IbLb1EEEEDaSU_SV_EUlSU_E_NS1_11comp_targetILNS1_3genE10ELNS1_11target_archE1201ELNS1_3gpuE5ELNS1_3repE0EEENS1_30default_config_static_selectorELNS0_4arch9wavefront6targetE0EEEvT1_.has_indirect_call, 0
	.section	.AMDGPU.csdata,"",@progbits
; Kernel info:
; codeLenInByte = 0
; TotalNumSgprs: 0
; NumVgprs: 0
; ScratchSize: 0
; MemoryBound: 0
; FloatMode: 240
; IeeeMode: 1
; LDSByteSize: 0 bytes/workgroup (compile time only)
; SGPRBlocks: 0
; VGPRBlocks: 0
; NumSGPRsForWavesPerEU: 1
; NumVGPRsForWavesPerEU: 1
; Occupancy: 16
; WaveLimiterHint : 0
; COMPUTE_PGM_RSRC2:SCRATCH_EN: 0
; COMPUTE_PGM_RSRC2:USER_SGPR: 6
; COMPUTE_PGM_RSRC2:TRAP_HANDLER: 0
; COMPUTE_PGM_RSRC2:TGID_X_EN: 1
; COMPUTE_PGM_RSRC2:TGID_Y_EN: 0
; COMPUTE_PGM_RSRC2:TGID_Z_EN: 0
; COMPUTE_PGM_RSRC2:TIDIG_COMP_CNT: 0
	.section	.text._ZN7rocprim17ROCPRIM_400000_NS6detail17trampoline_kernelINS0_14default_configENS1_27scan_by_key_config_selectorIssEEZZNS1_16scan_by_key_implILNS1_25lookback_scan_determinismE0ELb0ES3_N6thrust23THRUST_200600_302600_NS6detail15normal_iteratorINS9_10device_ptrIsEEEESE_SE_sNS9_4plusIvEENS9_8equal_toIsEEsEE10hipError_tPvRmT2_T3_T4_T5_mT6_T7_P12ihipStream_tbENKUlT_T0_E_clISt17integral_constantIbLb0EESY_IbLb1EEEEDaSU_SV_EUlSU_E_NS1_11comp_targetILNS1_3genE5ELNS1_11target_archE942ELNS1_3gpuE9ELNS1_3repE0EEENS1_30default_config_static_selectorELNS0_4arch9wavefront6targetE0EEEvT1_,"axG",@progbits,_ZN7rocprim17ROCPRIM_400000_NS6detail17trampoline_kernelINS0_14default_configENS1_27scan_by_key_config_selectorIssEEZZNS1_16scan_by_key_implILNS1_25lookback_scan_determinismE0ELb0ES3_N6thrust23THRUST_200600_302600_NS6detail15normal_iteratorINS9_10device_ptrIsEEEESE_SE_sNS9_4plusIvEENS9_8equal_toIsEEsEE10hipError_tPvRmT2_T3_T4_T5_mT6_T7_P12ihipStream_tbENKUlT_T0_E_clISt17integral_constantIbLb0EESY_IbLb1EEEEDaSU_SV_EUlSU_E_NS1_11comp_targetILNS1_3genE5ELNS1_11target_archE942ELNS1_3gpuE9ELNS1_3repE0EEENS1_30default_config_static_selectorELNS0_4arch9wavefront6targetE0EEEvT1_,comdat
	.protected	_ZN7rocprim17ROCPRIM_400000_NS6detail17trampoline_kernelINS0_14default_configENS1_27scan_by_key_config_selectorIssEEZZNS1_16scan_by_key_implILNS1_25lookback_scan_determinismE0ELb0ES3_N6thrust23THRUST_200600_302600_NS6detail15normal_iteratorINS9_10device_ptrIsEEEESE_SE_sNS9_4plusIvEENS9_8equal_toIsEEsEE10hipError_tPvRmT2_T3_T4_T5_mT6_T7_P12ihipStream_tbENKUlT_T0_E_clISt17integral_constantIbLb0EESY_IbLb1EEEEDaSU_SV_EUlSU_E_NS1_11comp_targetILNS1_3genE5ELNS1_11target_archE942ELNS1_3gpuE9ELNS1_3repE0EEENS1_30default_config_static_selectorELNS0_4arch9wavefront6targetE0EEEvT1_ ; -- Begin function _ZN7rocprim17ROCPRIM_400000_NS6detail17trampoline_kernelINS0_14default_configENS1_27scan_by_key_config_selectorIssEEZZNS1_16scan_by_key_implILNS1_25lookback_scan_determinismE0ELb0ES3_N6thrust23THRUST_200600_302600_NS6detail15normal_iteratorINS9_10device_ptrIsEEEESE_SE_sNS9_4plusIvEENS9_8equal_toIsEEsEE10hipError_tPvRmT2_T3_T4_T5_mT6_T7_P12ihipStream_tbENKUlT_T0_E_clISt17integral_constantIbLb0EESY_IbLb1EEEEDaSU_SV_EUlSU_E_NS1_11comp_targetILNS1_3genE5ELNS1_11target_archE942ELNS1_3gpuE9ELNS1_3repE0EEENS1_30default_config_static_selectorELNS0_4arch9wavefront6targetE0EEEvT1_
	.globl	_ZN7rocprim17ROCPRIM_400000_NS6detail17trampoline_kernelINS0_14default_configENS1_27scan_by_key_config_selectorIssEEZZNS1_16scan_by_key_implILNS1_25lookback_scan_determinismE0ELb0ES3_N6thrust23THRUST_200600_302600_NS6detail15normal_iteratorINS9_10device_ptrIsEEEESE_SE_sNS9_4plusIvEENS9_8equal_toIsEEsEE10hipError_tPvRmT2_T3_T4_T5_mT6_T7_P12ihipStream_tbENKUlT_T0_E_clISt17integral_constantIbLb0EESY_IbLb1EEEEDaSU_SV_EUlSU_E_NS1_11comp_targetILNS1_3genE5ELNS1_11target_archE942ELNS1_3gpuE9ELNS1_3repE0EEENS1_30default_config_static_selectorELNS0_4arch9wavefront6targetE0EEEvT1_
	.p2align	8
	.type	_ZN7rocprim17ROCPRIM_400000_NS6detail17trampoline_kernelINS0_14default_configENS1_27scan_by_key_config_selectorIssEEZZNS1_16scan_by_key_implILNS1_25lookback_scan_determinismE0ELb0ES3_N6thrust23THRUST_200600_302600_NS6detail15normal_iteratorINS9_10device_ptrIsEEEESE_SE_sNS9_4plusIvEENS9_8equal_toIsEEsEE10hipError_tPvRmT2_T3_T4_T5_mT6_T7_P12ihipStream_tbENKUlT_T0_E_clISt17integral_constantIbLb0EESY_IbLb1EEEEDaSU_SV_EUlSU_E_NS1_11comp_targetILNS1_3genE5ELNS1_11target_archE942ELNS1_3gpuE9ELNS1_3repE0EEENS1_30default_config_static_selectorELNS0_4arch9wavefront6targetE0EEEvT1_,@function
_ZN7rocprim17ROCPRIM_400000_NS6detail17trampoline_kernelINS0_14default_configENS1_27scan_by_key_config_selectorIssEEZZNS1_16scan_by_key_implILNS1_25lookback_scan_determinismE0ELb0ES3_N6thrust23THRUST_200600_302600_NS6detail15normal_iteratorINS9_10device_ptrIsEEEESE_SE_sNS9_4plusIvEENS9_8equal_toIsEEsEE10hipError_tPvRmT2_T3_T4_T5_mT6_T7_P12ihipStream_tbENKUlT_T0_E_clISt17integral_constantIbLb0EESY_IbLb1EEEEDaSU_SV_EUlSU_E_NS1_11comp_targetILNS1_3genE5ELNS1_11target_archE942ELNS1_3gpuE9ELNS1_3repE0EEENS1_30default_config_static_selectorELNS0_4arch9wavefront6targetE0EEEvT1_: ; @_ZN7rocprim17ROCPRIM_400000_NS6detail17trampoline_kernelINS0_14default_configENS1_27scan_by_key_config_selectorIssEEZZNS1_16scan_by_key_implILNS1_25lookback_scan_determinismE0ELb0ES3_N6thrust23THRUST_200600_302600_NS6detail15normal_iteratorINS9_10device_ptrIsEEEESE_SE_sNS9_4plusIvEENS9_8equal_toIsEEsEE10hipError_tPvRmT2_T3_T4_T5_mT6_T7_P12ihipStream_tbENKUlT_T0_E_clISt17integral_constantIbLb0EESY_IbLb1EEEEDaSU_SV_EUlSU_E_NS1_11comp_targetILNS1_3genE5ELNS1_11target_archE942ELNS1_3gpuE9ELNS1_3repE0EEENS1_30default_config_static_selectorELNS0_4arch9wavefront6targetE0EEEvT1_
; %bb.0:
	.section	.rodata,"a",@progbits
	.p2align	6, 0x0
	.amdhsa_kernel _ZN7rocprim17ROCPRIM_400000_NS6detail17trampoline_kernelINS0_14default_configENS1_27scan_by_key_config_selectorIssEEZZNS1_16scan_by_key_implILNS1_25lookback_scan_determinismE0ELb0ES3_N6thrust23THRUST_200600_302600_NS6detail15normal_iteratorINS9_10device_ptrIsEEEESE_SE_sNS9_4plusIvEENS9_8equal_toIsEEsEE10hipError_tPvRmT2_T3_T4_T5_mT6_T7_P12ihipStream_tbENKUlT_T0_E_clISt17integral_constantIbLb0EESY_IbLb1EEEEDaSU_SV_EUlSU_E_NS1_11comp_targetILNS1_3genE5ELNS1_11target_archE942ELNS1_3gpuE9ELNS1_3repE0EEENS1_30default_config_static_selectorELNS0_4arch9wavefront6targetE0EEEvT1_
		.amdhsa_group_segment_fixed_size 0
		.amdhsa_private_segment_fixed_size 0
		.amdhsa_kernarg_size 112
		.amdhsa_user_sgpr_count 6
		.amdhsa_user_sgpr_private_segment_buffer 1
		.amdhsa_user_sgpr_dispatch_ptr 0
		.amdhsa_user_sgpr_queue_ptr 0
		.amdhsa_user_sgpr_kernarg_segment_ptr 1
		.amdhsa_user_sgpr_dispatch_id 0
		.amdhsa_user_sgpr_flat_scratch_init 0
		.amdhsa_user_sgpr_private_segment_size 0
		.amdhsa_wavefront_size32 1
		.amdhsa_uses_dynamic_stack 0
		.amdhsa_system_sgpr_private_segment_wavefront_offset 0
		.amdhsa_system_sgpr_workgroup_id_x 1
		.amdhsa_system_sgpr_workgroup_id_y 0
		.amdhsa_system_sgpr_workgroup_id_z 0
		.amdhsa_system_sgpr_workgroup_info 0
		.amdhsa_system_vgpr_workitem_id 0
		.amdhsa_next_free_vgpr 1
		.amdhsa_next_free_sgpr 1
		.amdhsa_reserve_vcc 0
		.amdhsa_reserve_flat_scratch 0
		.amdhsa_float_round_mode_32 0
		.amdhsa_float_round_mode_16_64 0
		.amdhsa_float_denorm_mode_32 3
		.amdhsa_float_denorm_mode_16_64 3
		.amdhsa_dx10_clamp 1
		.amdhsa_ieee_mode 1
		.amdhsa_fp16_overflow 0
		.amdhsa_workgroup_processor_mode 1
		.amdhsa_memory_ordered 1
		.amdhsa_forward_progress 1
		.amdhsa_shared_vgpr_count 0
		.amdhsa_exception_fp_ieee_invalid_op 0
		.amdhsa_exception_fp_denorm_src 0
		.amdhsa_exception_fp_ieee_div_zero 0
		.amdhsa_exception_fp_ieee_overflow 0
		.amdhsa_exception_fp_ieee_underflow 0
		.amdhsa_exception_fp_ieee_inexact 0
		.amdhsa_exception_int_div_zero 0
	.end_amdhsa_kernel
	.section	.text._ZN7rocprim17ROCPRIM_400000_NS6detail17trampoline_kernelINS0_14default_configENS1_27scan_by_key_config_selectorIssEEZZNS1_16scan_by_key_implILNS1_25lookback_scan_determinismE0ELb0ES3_N6thrust23THRUST_200600_302600_NS6detail15normal_iteratorINS9_10device_ptrIsEEEESE_SE_sNS9_4plusIvEENS9_8equal_toIsEEsEE10hipError_tPvRmT2_T3_T4_T5_mT6_T7_P12ihipStream_tbENKUlT_T0_E_clISt17integral_constantIbLb0EESY_IbLb1EEEEDaSU_SV_EUlSU_E_NS1_11comp_targetILNS1_3genE5ELNS1_11target_archE942ELNS1_3gpuE9ELNS1_3repE0EEENS1_30default_config_static_selectorELNS0_4arch9wavefront6targetE0EEEvT1_,"axG",@progbits,_ZN7rocprim17ROCPRIM_400000_NS6detail17trampoline_kernelINS0_14default_configENS1_27scan_by_key_config_selectorIssEEZZNS1_16scan_by_key_implILNS1_25lookback_scan_determinismE0ELb0ES3_N6thrust23THRUST_200600_302600_NS6detail15normal_iteratorINS9_10device_ptrIsEEEESE_SE_sNS9_4plusIvEENS9_8equal_toIsEEsEE10hipError_tPvRmT2_T3_T4_T5_mT6_T7_P12ihipStream_tbENKUlT_T0_E_clISt17integral_constantIbLb0EESY_IbLb1EEEEDaSU_SV_EUlSU_E_NS1_11comp_targetILNS1_3genE5ELNS1_11target_archE942ELNS1_3gpuE9ELNS1_3repE0EEENS1_30default_config_static_selectorELNS0_4arch9wavefront6targetE0EEEvT1_,comdat
.Lfunc_end346:
	.size	_ZN7rocprim17ROCPRIM_400000_NS6detail17trampoline_kernelINS0_14default_configENS1_27scan_by_key_config_selectorIssEEZZNS1_16scan_by_key_implILNS1_25lookback_scan_determinismE0ELb0ES3_N6thrust23THRUST_200600_302600_NS6detail15normal_iteratorINS9_10device_ptrIsEEEESE_SE_sNS9_4plusIvEENS9_8equal_toIsEEsEE10hipError_tPvRmT2_T3_T4_T5_mT6_T7_P12ihipStream_tbENKUlT_T0_E_clISt17integral_constantIbLb0EESY_IbLb1EEEEDaSU_SV_EUlSU_E_NS1_11comp_targetILNS1_3genE5ELNS1_11target_archE942ELNS1_3gpuE9ELNS1_3repE0EEENS1_30default_config_static_selectorELNS0_4arch9wavefront6targetE0EEEvT1_, .Lfunc_end346-_ZN7rocprim17ROCPRIM_400000_NS6detail17trampoline_kernelINS0_14default_configENS1_27scan_by_key_config_selectorIssEEZZNS1_16scan_by_key_implILNS1_25lookback_scan_determinismE0ELb0ES3_N6thrust23THRUST_200600_302600_NS6detail15normal_iteratorINS9_10device_ptrIsEEEESE_SE_sNS9_4plusIvEENS9_8equal_toIsEEsEE10hipError_tPvRmT2_T3_T4_T5_mT6_T7_P12ihipStream_tbENKUlT_T0_E_clISt17integral_constantIbLb0EESY_IbLb1EEEEDaSU_SV_EUlSU_E_NS1_11comp_targetILNS1_3genE5ELNS1_11target_archE942ELNS1_3gpuE9ELNS1_3repE0EEENS1_30default_config_static_selectorELNS0_4arch9wavefront6targetE0EEEvT1_
                                        ; -- End function
	.set _ZN7rocprim17ROCPRIM_400000_NS6detail17trampoline_kernelINS0_14default_configENS1_27scan_by_key_config_selectorIssEEZZNS1_16scan_by_key_implILNS1_25lookback_scan_determinismE0ELb0ES3_N6thrust23THRUST_200600_302600_NS6detail15normal_iteratorINS9_10device_ptrIsEEEESE_SE_sNS9_4plusIvEENS9_8equal_toIsEEsEE10hipError_tPvRmT2_T3_T4_T5_mT6_T7_P12ihipStream_tbENKUlT_T0_E_clISt17integral_constantIbLb0EESY_IbLb1EEEEDaSU_SV_EUlSU_E_NS1_11comp_targetILNS1_3genE5ELNS1_11target_archE942ELNS1_3gpuE9ELNS1_3repE0EEENS1_30default_config_static_selectorELNS0_4arch9wavefront6targetE0EEEvT1_.num_vgpr, 0
	.set _ZN7rocprim17ROCPRIM_400000_NS6detail17trampoline_kernelINS0_14default_configENS1_27scan_by_key_config_selectorIssEEZZNS1_16scan_by_key_implILNS1_25lookback_scan_determinismE0ELb0ES3_N6thrust23THRUST_200600_302600_NS6detail15normal_iteratorINS9_10device_ptrIsEEEESE_SE_sNS9_4plusIvEENS9_8equal_toIsEEsEE10hipError_tPvRmT2_T3_T4_T5_mT6_T7_P12ihipStream_tbENKUlT_T0_E_clISt17integral_constantIbLb0EESY_IbLb1EEEEDaSU_SV_EUlSU_E_NS1_11comp_targetILNS1_3genE5ELNS1_11target_archE942ELNS1_3gpuE9ELNS1_3repE0EEENS1_30default_config_static_selectorELNS0_4arch9wavefront6targetE0EEEvT1_.num_agpr, 0
	.set _ZN7rocprim17ROCPRIM_400000_NS6detail17trampoline_kernelINS0_14default_configENS1_27scan_by_key_config_selectorIssEEZZNS1_16scan_by_key_implILNS1_25lookback_scan_determinismE0ELb0ES3_N6thrust23THRUST_200600_302600_NS6detail15normal_iteratorINS9_10device_ptrIsEEEESE_SE_sNS9_4plusIvEENS9_8equal_toIsEEsEE10hipError_tPvRmT2_T3_T4_T5_mT6_T7_P12ihipStream_tbENKUlT_T0_E_clISt17integral_constantIbLb0EESY_IbLb1EEEEDaSU_SV_EUlSU_E_NS1_11comp_targetILNS1_3genE5ELNS1_11target_archE942ELNS1_3gpuE9ELNS1_3repE0EEENS1_30default_config_static_selectorELNS0_4arch9wavefront6targetE0EEEvT1_.numbered_sgpr, 0
	.set _ZN7rocprim17ROCPRIM_400000_NS6detail17trampoline_kernelINS0_14default_configENS1_27scan_by_key_config_selectorIssEEZZNS1_16scan_by_key_implILNS1_25lookback_scan_determinismE0ELb0ES3_N6thrust23THRUST_200600_302600_NS6detail15normal_iteratorINS9_10device_ptrIsEEEESE_SE_sNS9_4plusIvEENS9_8equal_toIsEEsEE10hipError_tPvRmT2_T3_T4_T5_mT6_T7_P12ihipStream_tbENKUlT_T0_E_clISt17integral_constantIbLb0EESY_IbLb1EEEEDaSU_SV_EUlSU_E_NS1_11comp_targetILNS1_3genE5ELNS1_11target_archE942ELNS1_3gpuE9ELNS1_3repE0EEENS1_30default_config_static_selectorELNS0_4arch9wavefront6targetE0EEEvT1_.num_named_barrier, 0
	.set _ZN7rocprim17ROCPRIM_400000_NS6detail17trampoline_kernelINS0_14default_configENS1_27scan_by_key_config_selectorIssEEZZNS1_16scan_by_key_implILNS1_25lookback_scan_determinismE0ELb0ES3_N6thrust23THRUST_200600_302600_NS6detail15normal_iteratorINS9_10device_ptrIsEEEESE_SE_sNS9_4plusIvEENS9_8equal_toIsEEsEE10hipError_tPvRmT2_T3_T4_T5_mT6_T7_P12ihipStream_tbENKUlT_T0_E_clISt17integral_constantIbLb0EESY_IbLb1EEEEDaSU_SV_EUlSU_E_NS1_11comp_targetILNS1_3genE5ELNS1_11target_archE942ELNS1_3gpuE9ELNS1_3repE0EEENS1_30default_config_static_selectorELNS0_4arch9wavefront6targetE0EEEvT1_.private_seg_size, 0
	.set _ZN7rocprim17ROCPRIM_400000_NS6detail17trampoline_kernelINS0_14default_configENS1_27scan_by_key_config_selectorIssEEZZNS1_16scan_by_key_implILNS1_25lookback_scan_determinismE0ELb0ES3_N6thrust23THRUST_200600_302600_NS6detail15normal_iteratorINS9_10device_ptrIsEEEESE_SE_sNS9_4plusIvEENS9_8equal_toIsEEsEE10hipError_tPvRmT2_T3_T4_T5_mT6_T7_P12ihipStream_tbENKUlT_T0_E_clISt17integral_constantIbLb0EESY_IbLb1EEEEDaSU_SV_EUlSU_E_NS1_11comp_targetILNS1_3genE5ELNS1_11target_archE942ELNS1_3gpuE9ELNS1_3repE0EEENS1_30default_config_static_selectorELNS0_4arch9wavefront6targetE0EEEvT1_.uses_vcc, 0
	.set _ZN7rocprim17ROCPRIM_400000_NS6detail17trampoline_kernelINS0_14default_configENS1_27scan_by_key_config_selectorIssEEZZNS1_16scan_by_key_implILNS1_25lookback_scan_determinismE0ELb0ES3_N6thrust23THRUST_200600_302600_NS6detail15normal_iteratorINS9_10device_ptrIsEEEESE_SE_sNS9_4plusIvEENS9_8equal_toIsEEsEE10hipError_tPvRmT2_T3_T4_T5_mT6_T7_P12ihipStream_tbENKUlT_T0_E_clISt17integral_constantIbLb0EESY_IbLb1EEEEDaSU_SV_EUlSU_E_NS1_11comp_targetILNS1_3genE5ELNS1_11target_archE942ELNS1_3gpuE9ELNS1_3repE0EEENS1_30default_config_static_selectorELNS0_4arch9wavefront6targetE0EEEvT1_.uses_flat_scratch, 0
	.set _ZN7rocprim17ROCPRIM_400000_NS6detail17trampoline_kernelINS0_14default_configENS1_27scan_by_key_config_selectorIssEEZZNS1_16scan_by_key_implILNS1_25lookback_scan_determinismE0ELb0ES3_N6thrust23THRUST_200600_302600_NS6detail15normal_iteratorINS9_10device_ptrIsEEEESE_SE_sNS9_4plusIvEENS9_8equal_toIsEEsEE10hipError_tPvRmT2_T3_T4_T5_mT6_T7_P12ihipStream_tbENKUlT_T0_E_clISt17integral_constantIbLb0EESY_IbLb1EEEEDaSU_SV_EUlSU_E_NS1_11comp_targetILNS1_3genE5ELNS1_11target_archE942ELNS1_3gpuE9ELNS1_3repE0EEENS1_30default_config_static_selectorELNS0_4arch9wavefront6targetE0EEEvT1_.has_dyn_sized_stack, 0
	.set _ZN7rocprim17ROCPRIM_400000_NS6detail17trampoline_kernelINS0_14default_configENS1_27scan_by_key_config_selectorIssEEZZNS1_16scan_by_key_implILNS1_25lookback_scan_determinismE0ELb0ES3_N6thrust23THRUST_200600_302600_NS6detail15normal_iteratorINS9_10device_ptrIsEEEESE_SE_sNS9_4plusIvEENS9_8equal_toIsEEsEE10hipError_tPvRmT2_T3_T4_T5_mT6_T7_P12ihipStream_tbENKUlT_T0_E_clISt17integral_constantIbLb0EESY_IbLb1EEEEDaSU_SV_EUlSU_E_NS1_11comp_targetILNS1_3genE5ELNS1_11target_archE942ELNS1_3gpuE9ELNS1_3repE0EEENS1_30default_config_static_selectorELNS0_4arch9wavefront6targetE0EEEvT1_.has_recursion, 0
	.set _ZN7rocprim17ROCPRIM_400000_NS6detail17trampoline_kernelINS0_14default_configENS1_27scan_by_key_config_selectorIssEEZZNS1_16scan_by_key_implILNS1_25lookback_scan_determinismE0ELb0ES3_N6thrust23THRUST_200600_302600_NS6detail15normal_iteratorINS9_10device_ptrIsEEEESE_SE_sNS9_4plusIvEENS9_8equal_toIsEEsEE10hipError_tPvRmT2_T3_T4_T5_mT6_T7_P12ihipStream_tbENKUlT_T0_E_clISt17integral_constantIbLb0EESY_IbLb1EEEEDaSU_SV_EUlSU_E_NS1_11comp_targetILNS1_3genE5ELNS1_11target_archE942ELNS1_3gpuE9ELNS1_3repE0EEENS1_30default_config_static_selectorELNS0_4arch9wavefront6targetE0EEEvT1_.has_indirect_call, 0
	.section	.AMDGPU.csdata,"",@progbits
; Kernel info:
; codeLenInByte = 0
; TotalNumSgprs: 0
; NumVgprs: 0
; ScratchSize: 0
; MemoryBound: 0
; FloatMode: 240
; IeeeMode: 1
; LDSByteSize: 0 bytes/workgroup (compile time only)
; SGPRBlocks: 0
; VGPRBlocks: 0
; NumSGPRsForWavesPerEU: 1
; NumVGPRsForWavesPerEU: 1
; Occupancy: 16
; WaveLimiterHint : 0
; COMPUTE_PGM_RSRC2:SCRATCH_EN: 0
; COMPUTE_PGM_RSRC2:USER_SGPR: 6
; COMPUTE_PGM_RSRC2:TRAP_HANDLER: 0
; COMPUTE_PGM_RSRC2:TGID_X_EN: 1
; COMPUTE_PGM_RSRC2:TGID_Y_EN: 0
; COMPUTE_PGM_RSRC2:TGID_Z_EN: 0
; COMPUTE_PGM_RSRC2:TIDIG_COMP_CNT: 0
	.section	.text._ZN7rocprim17ROCPRIM_400000_NS6detail17trampoline_kernelINS0_14default_configENS1_27scan_by_key_config_selectorIssEEZZNS1_16scan_by_key_implILNS1_25lookback_scan_determinismE0ELb0ES3_N6thrust23THRUST_200600_302600_NS6detail15normal_iteratorINS9_10device_ptrIsEEEESE_SE_sNS9_4plusIvEENS9_8equal_toIsEEsEE10hipError_tPvRmT2_T3_T4_T5_mT6_T7_P12ihipStream_tbENKUlT_T0_E_clISt17integral_constantIbLb0EESY_IbLb1EEEEDaSU_SV_EUlSU_E_NS1_11comp_targetILNS1_3genE4ELNS1_11target_archE910ELNS1_3gpuE8ELNS1_3repE0EEENS1_30default_config_static_selectorELNS0_4arch9wavefront6targetE0EEEvT1_,"axG",@progbits,_ZN7rocprim17ROCPRIM_400000_NS6detail17trampoline_kernelINS0_14default_configENS1_27scan_by_key_config_selectorIssEEZZNS1_16scan_by_key_implILNS1_25lookback_scan_determinismE0ELb0ES3_N6thrust23THRUST_200600_302600_NS6detail15normal_iteratorINS9_10device_ptrIsEEEESE_SE_sNS9_4plusIvEENS9_8equal_toIsEEsEE10hipError_tPvRmT2_T3_T4_T5_mT6_T7_P12ihipStream_tbENKUlT_T0_E_clISt17integral_constantIbLb0EESY_IbLb1EEEEDaSU_SV_EUlSU_E_NS1_11comp_targetILNS1_3genE4ELNS1_11target_archE910ELNS1_3gpuE8ELNS1_3repE0EEENS1_30default_config_static_selectorELNS0_4arch9wavefront6targetE0EEEvT1_,comdat
	.protected	_ZN7rocprim17ROCPRIM_400000_NS6detail17trampoline_kernelINS0_14default_configENS1_27scan_by_key_config_selectorIssEEZZNS1_16scan_by_key_implILNS1_25lookback_scan_determinismE0ELb0ES3_N6thrust23THRUST_200600_302600_NS6detail15normal_iteratorINS9_10device_ptrIsEEEESE_SE_sNS9_4plusIvEENS9_8equal_toIsEEsEE10hipError_tPvRmT2_T3_T4_T5_mT6_T7_P12ihipStream_tbENKUlT_T0_E_clISt17integral_constantIbLb0EESY_IbLb1EEEEDaSU_SV_EUlSU_E_NS1_11comp_targetILNS1_3genE4ELNS1_11target_archE910ELNS1_3gpuE8ELNS1_3repE0EEENS1_30default_config_static_selectorELNS0_4arch9wavefront6targetE0EEEvT1_ ; -- Begin function _ZN7rocprim17ROCPRIM_400000_NS6detail17trampoline_kernelINS0_14default_configENS1_27scan_by_key_config_selectorIssEEZZNS1_16scan_by_key_implILNS1_25lookback_scan_determinismE0ELb0ES3_N6thrust23THRUST_200600_302600_NS6detail15normal_iteratorINS9_10device_ptrIsEEEESE_SE_sNS9_4plusIvEENS9_8equal_toIsEEsEE10hipError_tPvRmT2_T3_T4_T5_mT6_T7_P12ihipStream_tbENKUlT_T0_E_clISt17integral_constantIbLb0EESY_IbLb1EEEEDaSU_SV_EUlSU_E_NS1_11comp_targetILNS1_3genE4ELNS1_11target_archE910ELNS1_3gpuE8ELNS1_3repE0EEENS1_30default_config_static_selectorELNS0_4arch9wavefront6targetE0EEEvT1_
	.globl	_ZN7rocprim17ROCPRIM_400000_NS6detail17trampoline_kernelINS0_14default_configENS1_27scan_by_key_config_selectorIssEEZZNS1_16scan_by_key_implILNS1_25lookback_scan_determinismE0ELb0ES3_N6thrust23THRUST_200600_302600_NS6detail15normal_iteratorINS9_10device_ptrIsEEEESE_SE_sNS9_4plusIvEENS9_8equal_toIsEEsEE10hipError_tPvRmT2_T3_T4_T5_mT6_T7_P12ihipStream_tbENKUlT_T0_E_clISt17integral_constantIbLb0EESY_IbLb1EEEEDaSU_SV_EUlSU_E_NS1_11comp_targetILNS1_3genE4ELNS1_11target_archE910ELNS1_3gpuE8ELNS1_3repE0EEENS1_30default_config_static_selectorELNS0_4arch9wavefront6targetE0EEEvT1_
	.p2align	8
	.type	_ZN7rocprim17ROCPRIM_400000_NS6detail17trampoline_kernelINS0_14default_configENS1_27scan_by_key_config_selectorIssEEZZNS1_16scan_by_key_implILNS1_25lookback_scan_determinismE0ELb0ES3_N6thrust23THRUST_200600_302600_NS6detail15normal_iteratorINS9_10device_ptrIsEEEESE_SE_sNS9_4plusIvEENS9_8equal_toIsEEsEE10hipError_tPvRmT2_T3_T4_T5_mT6_T7_P12ihipStream_tbENKUlT_T0_E_clISt17integral_constantIbLb0EESY_IbLb1EEEEDaSU_SV_EUlSU_E_NS1_11comp_targetILNS1_3genE4ELNS1_11target_archE910ELNS1_3gpuE8ELNS1_3repE0EEENS1_30default_config_static_selectorELNS0_4arch9wavefront6targetE0EEEvT1_,@function
_ZN7rocprim17ROCPRIM_400000_NS6detail17trampoline_kernelINS0_14default_configENS1_27scan_by_key_config_selectorIssEEZZNS1_16scan_by_key_implILNS1_25lookback_scan_determinismE0ELb0ES3_N6thrust23THRUST_200600_302600_NS6detail15normal_iteratorINS9_10device_ptrIsEEEESE_SE_sNS9_4plusIvEENS9_8equal_toIsEEsEE10hipError_tPvRmT2_T3_T4_T5_mT6_T7_P12ihipStream_tbENKUlT_T0_E_clISt17integral_constantIbLb0EESY_IbLb1EEEEDaSU_SV_EUlSU_E_NS1_11comp_targetILNS1_3genE4ELNS1_11target_archE910ELNS1_3gpuE8ELNS1_3repE0EEENS1_30default_config_static_selectorELNS0_4arch9wavefront6targetE0EEEvT1_: ; @_ZN7rocprim17ROCPRIM_400000_NS6detail17trampoline_kernelINS0_14default_configENS1_27scan_by_key_config_selectorIssEEZZNS1_16scan_by_key_implILNS1_25lookback_scan_determinismE0ELb0ES3_N6thrust23THRUST_200600_302600_NS6detail15normal_iteratorINS9_10device_ptrIsEEEESE_SE_sNS9_4plusIvEENS9_8equal_toIsEEsEE10hipError_tPvRmT2_T3_T4_T5_mT6_T7_P12ihipStream_tbENKUlT_T0_E_clISt17integral_constantIbLb0EESY_IbLb1EEEEDaSU_SV_EUlSU_E_NS1_11comp_targetILNS1_3genE4ELNS1_11target_archE910ELNS1_3gpuE8ELNS1_3repE0EEENS1_30default_config_static_selectorELNS0_4arch9wavefront6targetE0EEEvT1_
; %bb.0:
	.section	.rodata,"a",@progbits
	.p2align	6, 0x0
	.amdhsa_kernel _ZN7rocprim17ROCPRIM_400000_NS6detail17trampoline_kernelINS0_14default_configENS1_27scan_by_key_config_selectorIssEEZZNS1_16scan_by_key_implILNS1_25lookback_scan_determinismE0ELb0ES3_N6thrust23THRUST_200600_302600_NS6detail15normal_iteratorINS9_10device_ptrIsEEEESE_SE_sNS9_4plusIvEENS9_8equal_toIsEEsEE10hipError_tPvRmT2_T3_T4_T5_mT6_T7_P12ihipStream_tbENKUlT_T0_E_clISt17integral_constantIbLb0EESY_IbLb1EEEEDaSU_SV_EUlSU_E_NS1_11comp_targetILNS1_3genE4ELNS1_11target_archE910ELNS1_3gpuE8ELNS1_3repE0EEENS1_30default_config_static_selectorELNS0_4arch9wavefront6targetE0EEEvT1_
		.amdhsa_group_segment_fixed_size 0
		.amdhsa_private_segment_fixed_size 0
		.amdhsa_kernarg_size 112
		.amdhsa_user_sgpr_count 6
		.amdhsa_user_sgpr_private_segment_buffer 1
		.amdhsa_user_sgpr_dispatch_ptr 0
		.amdhsa_user_sgpr_queue_ptr 0
		.amdhsa_user_sgpr_kernarg_segment_ptr 1
		.amdhsa_user_sgpr_dispatch_id 0
		.amdhsa_user_sgpr_flat_scratch_init 0
		.amdhsa_user_sgpr_private_segment_size 0
		.amdhsa_wavefront_size32 1
		.amdhsa_uses_dynamic_stack 0
		.amdhsa_system_sgpr_private_segment_wavefront_offset 0
		.amdhsa_system_sgpr_workgroup_id_x 1
		.amdhsa_system_sgpr_workgroup_id_y 0
		.amdhsa_system_sgpr_workgroup_id_z 0
		.amdhsa_system_sgpr_workgroup_info 0
		.amdhsa_system_vgpr_workitem_id 0
		.amdhsa_next_free_vgpr 1
		.amdhsa_next_free_sgpr 1
		.amdhsa_reserve_vcc 0
		.amdhsa_reserve_flat_scratch 0
		.amdhsa_float_round_mode_32 0
		.amdhsa_float_round_mode_16_64 0
		.amdhsa_float_denorm_mode_32 3
		.amdhsa_float_denorm_mode_16_64 3
		.amdhsa_dx10_clamp 1
		.amdhsa_ieee_mode 1
		.amdhsa_fp16_overflow 0
		.amdhsa_workgroup_processor_mode 1
		.amdhsa_memory_ordered 1
		.amdhsa_forward_progress 1
		.amdhsa_shared_vgpr_count 0
		.amdhsa_exception_fp_ieee_invalid_op 0
		.amdhsa_exception_fp_denorm_src 0
		.amdhsa_exception_fp_ieee_div_zero 0
		.amdhsa_exception_fp_ieee_overflow 0
		.amdhsa_exception_fp_ieee_underflow 0
		.amdhsa_exception_fp_ieee_inexact 0
		.amdhsa_exception_int_div_zero 0
	.end_amdhsa_kernel
	.section	.text._ZN7rocprim17ROCPRIM_400000_NS6detail17trampoline_kernelINS0_14default_configENS1_27scan_by_key_config_selectorIssEEZZNS1_16scan_by_key_implILNS1_25lookback_scan_determinismE0ELb0ES3_N6thrust23THRUST_200600_302600_NS6detail15normal_iteratorINS9_10device_ptrIsEEEESE_SE_sNS9_4plusIvEENS9_8equal_toIsEEsEE10hipError_tPvRmT2_T3_T4_T5_mT6_T7_P12ihipStream_tbENKUlT_T0_E_clISt17integral_constantIbLb0EESY_IbLb1EEEEDaSU_SV_EUlSU_E_NS1_11comp_targetILNS1_3genE4ELNS1_11target_archE910ELNS1_3gpuE8ELNS1_3repE0EEENS1_30default_config_static_selectorELNS0_4arch9wavefront6targetE0EEEvT1_,"axG",@progbits,_ZN7rocprim17ROCPRIM_400000_NS6detail17trampoline_kernelINS0_14default_configENS1_27scan_by_key_config_selectorIssEEZZNS1_16scan_by_key_implILNS1_25lookback_scan_determinismE0ELb0ES3_N6thrust23THRUST_200600_302600_NS6detail15normal_iteratorINS9_10device_ptrIsEEEESE_SE_sNS9_4plusIvEENS9_8equal_toIsEEsEE10hipError_tPvRmT2_T3_T4_T5_mT6_T7_P12ihipStream_tbENKUlT_T0_E_clISt17integral_constantIbLb0EESY_IbLb1EEEEDaSU_SV_EUlSU_E_NS1_11comp_targetILNS1_3genE4ELNS1_11target_archE910ELNS1_3gpuE8ELNS1_3repE0EEENS1_30default_config_static_selectorELNS0_4arch9wavefront6targetE0EEEvT1_,comdat
.Lfunc_end347:
	.size	_ZN7rocprim17ROCPRIM_400000_NS6detail17trampoline_kernelINS0_14default_configENS1_27scan_by_key_config_selectorIssEEZZNS1_16scan_by_key_implILNS1_25lookback_scan_determinismE0ELb0ES3_N6thrust23THRUST_200600_302600_NS6detail15normal_iteratorINS9_10device_ptrIsEEEESE_SE_sNS9_4plusIvEENS9_8equal_toIsEEsEE10hipError_tPvRmT2_T3_T4_T5_mT6_T7_P12ihipStream_tbENKUlT_T0_E_clISt17integral_constantIbLb0EESY_IbLb1EEEEDaSU_SV_EUlSU_E_NS1_11comp_targetILNS1_3genE4ELNS1_11target_archE910ELNS1_3gpuE8ELNS1_3repE0EEENS1_30default_config_static_selectorELNS0_4arch9wavefront6targetE0EEEvT1_, .Lfunc_end347-_ZN7rocprim17ROCPRIM_400000_NS6detail17trampoline_kernelINS0_14default_configENS1_27scan_by_key_config_selectorIssEEZZNS1_16scan_by_key_implILNS1_25lookback_scan_determinismE0ELb0ES3_N6thrust23THRUST_200600_302600_NS6detail15normal_iteratorINS9_10device_ptrIsEEEESE_SE_sNS9_4plusIvEENS9_8equal_toIsEEsEE10hipError_tPvRmT2_T3_T4_T5_mT6_T7_P12ihipStream_tbENKUlT_T0_E_clISt17integral_constantIbLb0EESY_IbLb1EEEEDaSU_SV_EUlSU_E_NS1_11comp_targetILNS1_3genE4ELNS1_11target_archE910ELNS1_3gpuE8ELNS1_3repE0EEENS1_30default_config_static_selectorELNS0_4arch9wavefront6targetE0EEEvT1_
                                        ; -- End function
	.set _ZN7rocprim17ROCPRIM_400000_NS6detail17trampoline_kernelINS0_14default_configENS1_27scan_by_key_config_selectorIssEEZZNS1_16scan_by_key_implILNS1_25lookback_scan_determinismE0ELb0ES3_N6thrust23THRUST_200600_302600_NS6detail15normal_iteratorINS9_10device_ptrIsEEEESE_SE_sNS9_4plusIvEENS9_8equal_toIsEEsEE10hipError_tPvRmT2_T3_T4_T5_mT6_T7_P12ihipStream_tbENKUlT_T0_E_clISt17integral_constantIbLb0EESY_IbLb1EEEEDaSU_SV_EUlSU_E_NS1_11comp_targetILNS1_3genE4ELNS1_11target_archE910ELNS1_3gpuE8ELNS1_3repE0EEENS1_30default_config_static_selectorELNS0_4arch9wavefront6targetE0EEEvT1_.num_vgpr, 0
	.set _ZN7rocprim17ROCPRIM_400000_NS6detail17trampoline_kernelINS0_14default_configENS1_27scan_by_key_config_selectorIssEEZZNS1_16scan_by_key_implILNS1_25lookback_scan_determinismE0ELb0ES3_N6thrust23THRUST_200600_302600_NS6detail15normal_iteratorINS9_10device_ptrIsEEEESE_SE_sNS9_4plusIvEENS9_8equal_toIsEEsEE10hipError_tPvRmT2_T3_T4_T5_mT6_T7_P12ihipStream_tbENKUlT_T0_E_clISt17integral_constantIbLb0EESY_IbLb1EEEEDaSU_SV_EUlSU_E_NS1_11comp_targetILNS1_3genE4ELNS1_11target_archE910ELNS1_3gpuE8ELNS1_3repE0EEENS1_30default_config_static_selectorELNS0_4arch9wavefront6targetE0EEEvT1_.num_agpr, 0
	.set _ZN7rocprim17ROCPRIM_400000_NS6detail17trampoline_kernelINS0_14default_configENS1_27scan_by_key_config_selectorIssEEZZNS1_16scan_by_key_implILNS1_25lookback_scan_determinismE0ELb0ES3_N6thrust23THRUST_200600_302600_NS6detail15normal_iteratorINS9_10device_ptrIsEEEESE_SE_sNS9_4plusIvEENS9_8equal_toIsEEsEE10hipError_tPvRmT2_T3_T4_T5_mT6_T7_P12ihipStream_tbENKUlT_T0_E_clISt17integral_constantIbLb0EESY_IbLb1EEEEDaSU_SV_EUlSU_E_NS1_11comp_targetILNS1_3genE4ELNS1_11target_archE910ELNS1_3gpuE8ELNS1_3repE0EEENS1_30default_config_static_selectorELNS0_4arch9wavefront6targetE0EEEvT1_.numbered_sgpr, 0
	.set _ZN7rocprim17ROCPRIM_400000_NS6detail17trampoline_kernelINS0_14default_configENS1_27scan_by_key_config_selectorIssEEZZNS1_16scan_by_key_implILNS1_25lookback_scan_determinismE0ELb0ES3_N6thrust23THRUST_200600_302600_NS6detail15normal_iteratorINS9_10device_ptrIsEEEESE_SE_sNS9_4plusIvEENS9_8equal_toIsEEsEE10hipError_tPvRmT2_T3_T4_T5_mT6_T7_P12ihipStream_tbENKUlT_T0_E_clISt17integral_constantIbLb0EESY_IbLb1EEEEDaSU_SV_EUlSU_E_NS1_11comp_targetILNS1_3genE4ELNS1_11target_archE910ELNS1_3gpuE8ELNS1_3repE0EEENS1_30default_config_static_selectorELNS0_4arch9wavefront6targetE0EEEvT1_.num_named_barrier, 0
	.set _ZN7rocprim17ROCPRIM_400000_NS6detail17trampoline_kernelINS0_14default_configENS1_27scan_by_key_config_selectorIssEEZZNS1_16scan_by_key_implILNS1_25lookback_scan_determinismE0ELb0ES3_N6thrust23THRUST_200600_302600_NS6detail15normal_iteratorINS9_10device_ptrIsEEEESE_SE_sNS9_4plusIvEENS9_8equal_toIsEEsEE10hipError_tPvRmT2_T3_T4_T5_mT6_T7_P12ihipStream_tbENKUlT_T0_E_clISt17integral_constantIbLb0EESY_IbLb1EEEEDaSU_SV_EUlSU_E_NS1_11comp_targetILNS1_3genE4ELNS1_11target_archE910ELNS1_3gpuE8ELNS1_3repE0EEENS1_30default_config_static_selectorELNS0_4arch9wavefront6targetE0EEEvT1_.private_seg_size, 0
	.set _ZN7rocprim17ROCPRIM_400000_NS6detail17trampoline_kernelINS0_14default_configENS1_27scan_by_key_config_selectorIssEEZZNS1_16scan_by_key_implILNS1_25lookback_scan_determinismE0ELb0ES3_N6thrust23THRUST_200600_302600_NS6detail15normal_iteratorINS9_10device_ptrIsEEEESE_SE_sNS9_4plusIvEENS9_8equal_toIsEEsEE10hipError_tPvRmT2_T3_T4_T5_mT6_T7_P12ihipStream_tbENKUlT_T0_E_clISt17integral_constantIbLb0EESY_IbLb1EEEEDaSU_SV_EUlSU_E_NS1_11comp_targetILNS1_3genE4ELNS1_11target_archE910ELNS1_3gpuE8ELNS1_3repE0EEENS1_30default_config_static_selectorELNS0_4arch9wavefront6targetE0EEEvT1_.uses_vcc, 0
	.set _ZN7rocprim17ROCPRIM_400000_NS6detail17trampoline_kernelINS0_14default_configENS1_27scan_by_key_config_selectorIssEEZZNS1_16scan_by_key_implILNS1_25lookback_scan_determinismE0ELb0ES3_N6thrust23THRUST_200600_302600_NS6detail15normal_iteratorINS9_10device_ptrIsEEEESE_SE_sNS9_4plusIvEENS9_8equal_toIsEEsEE10hipError_tPvRmT2_T3_T4_T5_mT6_T7_P12ihipStream_tbENKUlT_T0_E_clISt17integral_constantIbLb0EESY_IbLb1EEEEDaSU_SV_EUlSU_E_NS1_11comp_targetILNS1_3genE4ELNS1_11target_archE910ELNS1_3gpuE8ELNS1_3repE0EEENS1_30default_config_static_selectorELNS0_4arch9wavefront6targetE0EEEvT1_.uses_flat_scratch, 0
	.set _ZN7rocprim17ROCPRIM_400000_NS6detail17trampoline_kernelINS0_14default_configENS1_27scan_by_key_config_selectorIssEEZZNS1_16scan_by_key_implILNS1_25lookback_scan_determinismE0ELb0ES3_N6thrust23THRUST_200600_302600_NS6detail15normal_iteratorINS9_10device_ptrIsEEEESE_SE_sNS9_4plusIvEENS9_8equal_toIsEEsEE10hipError_tPvRmT2_T3_T4_T5_mT6_T7_P12ihipStream_tbENKUlT_T0_E_clISt17integral_constantIbLb0EESY_IbLb1EEEEDaSU_SV_EUlSU_E_NS1_11comp_targetILNS1_3genE4ELNS1_11target_archE910ELNS1_3gpuE8ELNS1_3repE0EEENS1_30default_config_static_selectorELNS0_4arch9wavefront6targetE0EEEvT1_.has_dyn_sized_stack, 0
	.set _ZN7rocprim17ROCPRIM_400000_NS6detail17trampoline_kernelINS0_14default_configENS1_27scan_by_key_config_selectorIssEEZZNS1_16scan_by_key_implILNS1_25lookback_scan_determinismE0ELb0ES3_N6thrust23THRUST_200600_302600_NS6detail15normal_iteratorINS9_10device_ptrIsEEEESE_SE_sNS9_4plusIvEENS9_8equal_toIsEEsEE10hipError_tPvRmT2_T3_T4_T5_mT6_T7_P12ihipStream_tbENKUlT_T0_E_clISt17integral_constantIbLb0EESY_IbLb1EEEEDaSU_SV_EUlSU_E_NS1_11comp_targetILNS1_3genE4ELNS1_11target_archE910ELNS1_3gpuE8ELNS1_3repE0EEENS1_30default_config_static_selectorELNS0_4arch9wavefront6targetE0EEEvT1_.has_recursion, 0
	.set _ZN7rocprim17ROCPRIM_400000_NS6detail17trampoline_kernelINS0_14default_configENS1_27scan_by_key_config_selectorIssEEZZNS1_16scan_by_key_implILNS1_25lookback_scan_determinismE0ELb0ES3_N6thrust23THRUST_200600_302600_NS6detail15normal_iteratorINS9_10device_ptrIsEEEESE_SE_sNS9_4plusIvEENS9_8equal_toIsEEsEE10hipError_tPvRmT2_T3_T4_T5_mT6_T7_P12ihipStream_tbENKUlT_T0_E_clISt17integral_constantIbLb0EESY_IbLb1EEEEDaSU_SV_EUlSU_E_NS1_11comp_targetILNS1_3genE4ELNS1_11target_archE910ELNS1_3gpuE8ELNS1_3repE0EEENS1_30default_config_static_selectorELNS0_4arch9wavefront6targetE0EEEvT1_.has_indirect_call, 0
	.section	.AMDGPU.csdata,"",@progbits
; Kernel info:
; codeLenInByte = 0
; TotalNumSgprs: 0
; NumVgprs: 0
; ScratchSize: 0
; MemoryBound: 0
; FloatMode: 240
; IeeeMode: 1
; LDSByteSize: 0 bytes/workgroup (compile time only)
; SGPRBlocks: 0
; VGPRBlocks: 0
; NumSGPRsForWavesPerEU: 1
; NumVGPRsForWavesPerEU: 1
; Occupancy: 16
; WaveLimiterHint : 0
; COMPUTE_PGM_RSRC2:SCRATCH_EN: 0
; COMPUTE_PGM_RSRC2:USER_SGPR: 6
; COMPUTE_PGM_RSRC2:TRAP_HANDLER: 0
; COMPUTE_PGM_RSRC2:TGID_X_EN: 1
; COMPUTE_PGM_RSRC2:TGID_Y_EN: 0
; COMPUTE_PGM_RSRC2:TGID_Z_EN: 0
; COMPUTE_PGM_RSRC2:TIDIG_COMP_CNT: 0
	.section	.text._ZN7rocprim17ROCPRIM_400000_NS6detail17trampoline_kernelINS0_14default_configENS1_27scan_by_key_config_selectorIssEEZZNS1_16scan_by_key_implILNS1_25lookback_scan_determinismE0ELb0ES3_N6thrust23THRUST_200600_302600_NS6detail15normal_iteratorINS9_10device_ptrIsEEEESE_SE_sNS9_4plusIvEENS9_8equal_toIsEEsEE10hipError_tPvRmT2_T3_T4_T5_mT6_T7_P12ihipStream_tbENKUlT_T0_E_clISt17integral_constantIbLb0EESY_IbLb1EEEEDaSU_SV_EUlSU_E_NS1_11comp_targetILNS1_3genE3ELNS1_11target_archE908ELNS1_3gpuE7ELNS1_3repE0EEENS1_30default_config_static_selectorELNS0_4arch9wavefront6targetE0EEEvT1_,"axG",@progbits,_ZN7rocprim17ROCPRIM_400000_NS6detail17trampoline_kernelINS0_14default_configENS1_27scan_by_key_config_selectorIssEEZZNS1_16scan_by_key_implILNS1_25lookback_scan_determinismE0ELb0ES3_N6thrust23THRUST_200600_302600_NS6detail15normal_iteratorINS9_10device_ptrIsEEEESE_SE_sNS9_4plusIvEENS9_8equal_toIsEEsEE10hipError_tPvRmT2_T3_T4_T5_mT6_T7_P12ihipStream_tbENKUlT_T0_E_clISt17integral_constantIbLb0EESY_IbLb1EEEEDaSU_SV_EUlSU_E_NS1_11comp_targetILNS1_3genE3ELNS1_11target_archE908ELNS1_3gpuE7ELNS1_3repE0EEENS1_30default_config_static_selectorELNS0_4arch9wavefront6targetE0EEEvT1_,comdat
	.protected	_ZN7rocprim17ROCPRIM_400000_NS6detail17trampoline_kernelINS0_14default_configENS1_27scan_by_key_config_selectorIssEEZZNS1_16scan_by_key_implILNS1_25lookback_scan_determinismE0ELb0ES3_N6thrust23THRUST_200600_302600_NS6detail15normal_iteratorINS9_10device_ptrIsEEEESE_SE_sNS9_4plusIvEENS9_8equal_toIsEEsEE10hipError_tPvRmT2_T3_T4_T5_mT6_T7_P12ihipStream_tbENKUlT_T0_E_clISt17integral_constantIbLb0EESY_IbLb1EEEEDaSU_SV_EUlSU_E_NS1_11comp_targetILNS1_3genE3ELNS1_11target_archE908ELNS1_3gpuE7ELNS1_3repE0EEENS1_30default_config_static_selectorELNS0_4arch9wavefront6targetE0EEEvT1_ ; -- Begin function _ZN7rocprim17ROCPRIM_400000_NS6detail17trampoline_kernelINS0_14default_configENS1_27scan_by_key_config_selectorIssEEZZNS1_16scan_by_key_implILNS1_25lookback_scan_determinismE0ELb0ES3_N6thrust23THRUST_200600_302600_NS6detail15normal_iteratorINS9_10device_ptrIsEEEESE_SE_sNS9_4plusIvEENS9_8equal_toIsEEsEE10hipError_tPvRmT2_T3_T4_T5_mT6_T7_P12ihipStream_tbENKUlT_T0_E_clISt17integral_constantIbLb0EESY_IbLb1EEEEDaSU_SV_EUlSU_E_NS1_11comp_targetILNS1_3genE3ELNS1_11target_archE908ELNS1_3gpuE7ELNS1_3repE0EEENS1_30default_config_static_selectorELNS0_4arch9wavefront6targetE0EEEvT1_
	.globl	_ZN7rocprim17ROCPRIM_400000_NS6detail17trampoline_kernelINS0_14default_configENS1_27scan_by_key_config_selectorIssEEZZNS1_16scan_by_key_implILNS1_25lookback_scan_determinismE0ELb0ES3_N6thrust23THRUST_200600_302600_NS6detail15normal_iteratorINS9_10device_ptrIsEEEESE_SE_sNS9_4plusIvEENS9_8equal_toIsEEsEE10hipError_tPvRmT2_T3_T4_T5_mT6_T7_P12ihipStream_tbENKUlT_T0_E_clISt17integral_constantIbLb0EESY_IbLb1EEEEDaSU_SV_EUlSU_E_NS1_11comp_targetILNS1_3genE3ELNS1_11target_archE908ELNS1_3gpuE7ELNS1_3repE0EEENS1_30default_config_static_selectorELNS0_4arch9wavefront6targetE0EEEvT1_
	.p2align	8
	.type	_ZN7rocprim17ROCPRIM_400000_NS6detail17trampoline_kernelINS0_14default_configENS1_27scan_by_key_config_selectorIssEEZZNS1_16scan_by_key_implILNS1_25lookback_scan_determinismE0ELb0ES3_N6thrust23THRUST_200600_302600_NS6detail15normal_iteratorINS9_10device_ptrIsEEEESE_SE_sNS9_4plusIvEENS9_8equal_toIsEEsEE10hipError_tPvRmT2_T3_T4_T5_mT6_T7_P12ihipStream_tbENKUlT_T0_E_clISt17integral_constantIbLb0EESY_IbLb1EEEEDaSU_SV_EUlSU_E_NS1_11comp_targetILNS1_3genE3ELNS1_11target_archE908ELNS1_3gpuE7ELNS1_3repE0EEENS1_30default_config_static_selectorELNS0_4arch9wavefront6targetE0EEEvT1_,@function
_ZN7rocprim17ROCPRIM_400000_NS6detail17trampoline_kernelINS0_14default_configENS1_27scan_by_key_config_selectorIssEEZZNS1_16scan_by_key_implILNS1_25lookback_scan_determinismE0ELb0ES3_N6thrust23THRUST_200600_302600_NS6detail15normal_iteratorINS9_10device_ptrIsEEEESE_SE_sNS9_4plusIvEENS9_8equal_toIsEEsEE10hipError_tPvRmT2_T3_T4_T5_mT6_T7_P12ihipStream_tbENKUlT_T0_E_clISt17integral_constantIbLb0EESY_IbLb1EEEEDaSU_SV_EUlSU_E_NS1_11comp_targetILNS1_3genE3ELNS1_11target_archE908ELNS1_3gpuE7ELNS1_3repE0EEENS1_30default_config_static_selectorELNS0_4arch9wavefront6targetE0EEEvT1_: ; @_ZN7rocprim17ROCPRIM_400000_NS6detail17trampoline_kernelINS0_14default_configENS1_27scan_by_key_config_selectorIssEEZZNS1_16scan_by_key_implILNS1_25lookback_scan_determinismE0ELb0ES3_N6thrust23THRUST_200600_302600_NS6detail15normal_iteratorINS9_10device_ptrIsEEEESE_SE_sNS9_4plusIvEENS9_8equal_toIsEEsEE10hipError_tPvRmT2_T3_T4_T5_mT6_T7_P12ihipStream_tbENKUlT_T0_E_clISt17integral_constantIbLb0EESY_IbLb1EEEEDaSU_SV_EUlSU_E_NS1_11comp_targetILNS1_3genE3ELNS1_11target_archE908ELNS1_3gpuE7ELNS1_3repE0EEENS1_30default_config_static_selectorELNS0_4arch9wavefront6targetE0EEEvT1_
; %bb.0:
	.section	.rodata,"a",@progbits
	.p2align	6, 0x0
	.amdhsa_kernel _ZN7rocprim17ROCPRIM_400000_NS6detail17trampoline_kernelINS0_14default_configENS1_27scan_by_key_config_selectorIssEEZZNS1_16scan_by_key_implILNS1_25lookback_scan_determinismE0ELb0ES3_N6thrust23THRUST_200600_302600_NS6detail15normal_iteratorINS9_10device_ptrIsEEEESE_SE_sNS9_4plusIvEENS9_8equal_toIsEEsEE10hipError_tPvRmT2_T3_T4_T5_mT6_T7_P12ihipStream_tbENKUlT_T0_E_clISt17integral_constantIbLb0EESY_IbLb1EEEEDaSU_SV_EUlSU_E_NS1_11comp_targetILNS1_3genE3ELNS1_11target_archE908ELNS1_3gpuE7ELNS1_3repE0EEENS1_30default_config_static_selectorELNS0_4arch9wavefront6targetE0EEEvT1_
		.amdhsa_group_segment_fixed_size 0
		.amdhsa_private_segment_fixed_size 0
		.amdhsa_kernarg_size 112
		.amdhsa_user_sgpr_count 6
		.amdhsa_user_sgpr_private_segment_buffer 1
		.amdhsa_user_sgpr_dispatch_ptr 0
		.amdhsa_user_sgpr_queue_ptr 0
		.amdhsa_user_sgpr_kernarg_segment_ptr 1
		.amdhsa_user_sgpr_dispatch_id 0
		.amdhsa_user_sgpr_flat_scratch_init 0
		.amdhsa_user_sgpr_private_segment_size 0
		.amdhsa_wavefront_size32 1
		.amdhsa_uses_dynamic_stack 0
		.amdhsa_system_sgpr_private_segment_wavefront_offset 0
		.amdhsa_system_sgpr_workgroup_id_x 1
		.amdhsa_system_sgpr_workgroup_id_y 0
		.amdhsa_system_sgpr_workgroup_id_z 0
		.amdhsa_system_sgpr_workgroup_info 0
		.amdhsa_system_vgpr_workitem_id 0
		.amdhsa_next_free_vgpr 1
		.amdhsa_next_free_sgpr 1
		.amdhsa_reserve_vcc 0
		.amdhsa_reserve_flat_scratch 0
		.amdhsa_float_round_mode_32 0
		.amdhsa_float_round_mode_16_64 0
		.amdhsa_float_denorm_mode_32 3
		.amdhsa_float_denorm_mode_16_64 3
		.amdhsa_dx10_clamp 1
		.amdhsa_ieee_mode 1
		.amdhsa_fp16_overflow 0
		.amdhsa_workgroup_processor_mode 1
		.amdhsa_memory_ordered 1
		.amdhsa_forward_progress 1
		.amdhsa_shared_vgpr_count 0
		.amdhsa_exception_fp_ieee_invalid_op 0
		.amdhsa_exception_fp_denorm_src 0
		.amdhsa_exception_fp_ieee_div_zero 0
		.amdhsa_exception_fp_ieee_overflow 0
		.amdhsa_exception_fp_ieee_underflow 0
		.amdhsa_exception_fp_ieee_inexact 0
		.amdhsa_exception_int_div_zero 0
	.end_amdhsa_kernel
	.section	.text._ZN7rocprim17ROCPRIM_400000_NS6detail17trampoline_kernelINS0_14default_configENS1_27scan_by_key_config_selectorIssEEZZNS1_16scan_by_key_implILNS1_25lookback_scan_determinismE0ELb0ES3_N6thrust23THRUST_200600_302600_NS6detail15normal_iteratorINS9_10device_ptrIsEEEESE_SE_sNS9_4plusIvEENS9_8equal_toIsEEsEE10hipError_tPvRmT2_T3_T4_T5_mT6_T7_P12ihipStream_tbENKUlT_T0_E_clISt17integral_constantIbLb0EESY_IbLb1EEEEDaSU_SV_EUlSU_E_NS1_11comp_targetILNS1_3genE3ELNS1_11target_archE908ELNS1_3gpuE7ELNS1_3repE0EEENS1_30default_config_static_selectorELNS0_4arch9wavefront6targetE0EEEvT1_,"axG",@progbits,_ZN7rocprim17ROCPRIM_400000_NS6detail17trampoline_kernelINS0_14default_configENS1_27scan_by_key_config_selectorIssEEZZNS1_16scan_by_key_implILNS1_25lookback_scan_determinismE0ELb0ES3_N6thrust23THRUST_200600_302600_NS6detail15normal_iteratorINS9_10device_ptrIsEEEESE_SE_sNS9_4plusIvEENS9_8equal_toIsEEsEE10hipError_tPvRmT2_T3_T4_T5_mT6_T7_P12ihipStream_tbENKUlT_T0_E_clISt17integral_constantIbLb0EESY_IbLb1EEEEDaSU_SV_EUlSU_E_NS1_11comp_targetILNS1_3genE3ELNS1_11target_archE908ELNS1_3gpuE7ELNS1_3repE0EEENS1_30default_config_static_selectorELNS0_4arch9wavefront6targetE0EEEvT1_,comdat
.Lfunc_end348:
	.size	_ZN7rocprim17ROCPRIM_400000_NS6detail17trampoline_kernelINS0_14default_configENS1_27scan_by_key_config_selectorIssEEZZNS1_16scan_by_key_implILNS1_25lookback_scan_determinismE0ELb0ES3_N6thrust23THRUST_200600_302600_NS6detail15normal_iteratorINS9_10device_ptrIsEEEESE_SE_sNS9_4plusIvEENS9_8equal_toIsEEsEE10hipError_tPvRmT2_T3_T4_T5_mT6_T7_P12ihipStream_tbENKUlT_T0_E_clISt17integral_constantIbLb0EESY_IbLb1EEEEDaSU_SV_EUlSU_E_NS1_11comp_targetILNS1_3genE3ELNS1_11target_archE908ELNS1_3gpuE7ELNS1_3repE0EEENS1_30default_config_static_selectorELNS0_4arch9wavefront6targetE0EEEvT1_, .Lfunc_end348-_ZN7rocprim17ROCPRIM_400000_NS6detail17trampoline_kernelINS0_14default_configENS1_27scan_by_key_config_selectorIssEEZZNS1_16scan_by_key_implILNS1_25lookback_scan_determinismE0ELb0ES3_N6thrust23THRUST_200600_302600_NS6detail15normal_iteratorINS9_10device_ptrIsEEEESE_SE_sNS9_4plusIvEENS9_8equal_toIsEEsEE10hipError_tPvRmT2_T3_T4_T5_mT6_T7_P12ihipStream_tbENKUlT_T0_E_clISt17integral_constantIbLb0EESY_IbLb1EEEEDaSU_SV_EUlSU_E_NS1_11comp_targetILNS1_3genE3ELNS1_11target_archE908ELNS1_3gpuE7ELNS1_3repE0EEENS1_30default_config_static_selectorELNS0_4arch9wavefront6targetE0EEEvT1_
                                        ; -- End function
	.set _ZN7rocprim17ROCPRIM_400000_NS6detail17trampoline_kernelINS0_14default_configENS1_27scan_by_key_config_selectorIssEEZZNS1_16scan_by_key_implILNS1_25lookback_scan_determinismE0ELb0ES3_N6thrust23THRUST_200600_302600_NS6detail15normal_iteratorINS9_10device_ptrIsEEEESE_SE_sNS9_4plusIvEENS9_8equal_toIsEEsEE10hipError_tPvRmT2_T3_T4_T5_mT6_T7_P12ihipStream_tbENKUlT_T0_E_clISt17integral_constantIbLb0EESY_IbLb1EEEEDaSU_SV_EUlSU_E_NS1_11comp_targetILNS1_3genE3ELNS1_11target_archE908ELNS1_3gpuE7ELNS1_3repE0EEENS1_30default_config_static_selectorELNS0_4arch9wavefront6targetE0EEEvT1_.num_vgpr, 0
	.set _ZN7rocprim17ROCPRIM_400000_NS6detail17trampoline_kernelINS0_14default_configENS1_27scan_by_key_config_selectorIssEEZZNS1_16scan_by_key_implILNS1_25lookback_scan_determinismE0ELb0ES3_N6thrust23THRUST_200600_302600_NS6detail15normal_iteratorINS9_10device_ptrIsEEEESE_SE_sNS9_4plusIvEENS9_8equal_toIsEEsEE10hipError_tPvRmT2_T3_T4_T5_mT6_T7_P12ihipStream_tbENKUlT_T0_E_clISt17integral_constantIbLb0EESY_IbLb1EEEEDaSU_SV_EUlSU_E_NS1_11comp_targetILNS1_3genE3ELNS1_11target_archE908ELNS1_3gpuE7ELNS1_3repE0EEENS1_30default_config_static_selectorELNS0_4arch9wavefront6targetE0EEEvT1_.num_agpr, 0
	.set _ZN7rocprim17ROCPRIM_400000_NS6detail17trampoline_kernelINS0_14default_configENS1_27scan_by_key_config_selectorIssEEZZNS1_16scan_by_key_implILNS1_25lookback_scan_determinismE0ELb0ES3_N6thrust23THRUST_200600_302600_NS6detail15normal_iteratorINS9_10device_ptrIsEEEESE_SE_sNS9_4plusIvEENS9_8equal_toIsEEsEE10hipError_tPvRmT2_T3_T4_T5_mT6_T7_P12ihipStream_tbENKUlT_T0_E_clISt17integral_constantIbLb0EESY_IbLb1EEEEDaSU_SV_EUlSU_E_NS1_11comp_targetILNS1_3genE3ELNS1_11target_archE908ELNS1_3gpuE7ELNS1_3repE0EEENS1_30default_config_static_selectorELNS0_4arch9wavefront6targetE0EEEvT1_.numbered_sgpr, 0
	.set _ZN7rocprim17ROCPRIM_400000_NS6detail17trampoline_kernelINS0_14default_configENS1_27scan_by_key_config_selectorIssEEZZNS1_16scan_by_key_implILNS1_25lookback_scan_determinismE0ELb0ES3_N6thrust23THRUST_200600_302600_NS6detail15normal_iteratorINS9_10device_ptrIsEEEESE_SE_sNS9_4plusIvEENS9_8equal_toIsEEsEE10hipError_tPvRmT2_T3_T4_T5_mT6_T7_P12ihipStream_tbENKUlT_T0_E_clISt17integral_constantIbLb0EESY_IbLb1EEEEDaSU_SV_EUlSU_E_NS1_11comp_targetILNS1_3genE3ELNS1_11target_archE908ELNS1_3gpuE7ELNS1_3repE0EEENS1_30default_config_static_selectorELNS0_4arch9wavefront6targetE0EEEvT1_.num_named_barrier, 0
	.set _ZN7rocprim17ROCPRIM_400000_NS6detail17trampoline_kernelINS0_14default_configENS1_27scan_by_key_config_selectorIssEEZZNS1_16scan_by_key_implILNS1_25lookback_scan_determinismE0ELb0ES3_N6thrust23THRUST_200600_302600_NS6detail15normal_iteratorINS9_10device_ptrIsEEEESE_SE_sNS9_4plusIvEENS9_8equal_toIsEEsEE10hipError_tPvRmT2_T3_T4_T5_mT6_T7_P12ihipStream_tbENKUlT_T0_E_clISt17integral_constantIbLb0EESY_IbLb1EEEEDaSU_SV_EUlSU_E_NS1_11comp_targetILNS1_3genE3ELNS1_11target_archE908ELNS1_3gpuE7ELNS1_3repE0EEENS1_30default_config_static_selectorELNS0_4arch9wavefront6targetE0EEEvT1_.private_seg_size, 0
	.set _ZN7rocprim17ROCPRIM_400000_NS6detail17trampoline_kernelINS0_14default_configENS1_27scan_by_key_config_selectorIssEEZZNS1_16scan_by_key_implILNS1_25lookback_scan_determinismE0ELb0ES3_N6thrust23THRUST_200600_302600_NS6detail15normal_iteratorINS9_10device_ptrIsEEEESE_SE_sNS9_4plusIvEENS9_8equal_toIsEEsEE10hipError_tPvRmT2_T3_T4_T5_mT6_T7_P12ihipStream_tbENKUlT_T0_E_clISt17integral_constantIbLb0EESY_IbLb1EEEEDaSU_SV_EUlSU_E_NS1_11comp_targetILNS1_3genE3ELNS1_11target_archE908ELNS1_3gpuE7ELNS1_3repE0EEENS1_30default_config_static_selectorELNS0_4arch9wavefront6targetE0EEEvT1_.uses_vcc, 0
	.set _ZN7rocprim17ROCPRIM_400000_NS6detail17trampoline_kernelINS0_14default_configENS1_27scan_by_key_config_selectorIssEEZZNS1_16scan_by_key_implILNS1_25lookback_scan_determinismE0ELb0ES3_N6thrust23THRUST_200600_302600_NS6detail15normal_iteratorINS9_10device_ptrIsEEEESE_SE_sNS9_4plusIvEENS9_8equal_toIsEEsEE10hipError_tPvRmT2_T3_T4_T5_mT6_T7_P12ihipStream_tbENKUlT_T0_E_clISt17integral_constantIbLb0EESY_IbLb1EEEEDaSU_SV_EUlSU_E_NS1_11comp_targetILNS1_3genE3ELNS1_11target_archE908ELNS1_3gpuE7ELNS1_3repE0EEENS1_30default_config_static_selectorELNS0_4arch9wavefront6targetE0EEEvT1_.uses_flat_scratch, 0
	.set _ZN7rocprim17ROCPRIM_400000_NS6detail17trampoline_kernelINS0_14default_configENS1_27scan_by_key_config_selectorIssEEZZNS1_16scan_by_key_implILNS1_25lookback_scan_determinismE0ELb0ES3_N6thrust23THRUST_200600_302600_NS6detail15normal_iteratorINS9_10device_ptrIsEEEESE_SE_sNS9_4plusIvEENS9_8equal_toIsEEsEE10hipError_tPvRmT2_T3_T4_T5_mT6_T7_P12ihipStream_tbENKUlT_T0_E_clISt17integral_constantIbLb0EESY_IbLb1EEEEDaSU_SV_EUlSU_E_NS1_11comp_targetILNS1_3genE3ELNS1_11target_archE908ELNS1_3gpuE7ELNS1_3repE0EEENS1_30default_config_static_selectorELNS0_4arch9wavefront6targetE0EEEvT1_.has_dyn_sized_stack, 0
	.set _ZN7rocprim17ROCPRIM_400000_NS6detail17trampoline_kernelINS0_14default_configENS1_27scan_by_key_config_selectorIssEEZZNS1_16scan_by_key_implILNS1_25lookback_scan_determinismE0ELb0ES3_N6thrust23THRUST_200600_302600_NS6detail15normal_iteratorINS9_10device_ptrIsEEEESE_SE_sNS9_4plusIvEENS9_8equal_toIsEEsEE10hipError_tPvRmT2_T3_T4_T5_mT6_T7_P12ihipStream_tbENKUlT_T0_E_clISt17integral_constantIbLb0EESY_IbLb1EEEEDaSU_SV_EUlSU_E_NS1_11comp_targetILNS1_3genE3ELNS1_11target_archE908ELNS1_3gpuE7ELNS1_3repE0EEENS1_30default_config_static_selectorELNS0_4arch9wavefront6targetE0EEEvT1_.has_recursion, 0
	.set _ZN7rocprim17ROCPRIM_400000_NS6detail17trampoline_kernelINS0_14default_configENS1_27scan_by_key_config_selectorIssEEZZNS1_16scan_by_key_implILNS1_25lookback_scan_determinismE0ELb0ES3_N6thrust23THRUST_200600_302600_NS6detail15normal_iteratorINS9_10device_ptrIsEEEESE_SE_sNS9_4plusIvEENS9_8equal_toIsEEsEE10hipError_tPvRmT2_T3_T4_T5_mT6_T7_P12ihipStream_tbENKUlT_T0_E_clISt17integral_constantIbLb0EESY_IbLb1EEEEDaSU_SV_EUlSU_E_NS1_11comp_targetILNS1_3genE3ELNS1_11target_archE908ELNS1_3gpuE7ELNS1_3repE0EEENS1_30default_config_static_selectorELNS0_4arch9wavefront6targetE0EEEvT1_.has_indirect_call, 0
	.section	.AMDGPU.csdata,"",@progbits
; Kernel info:
; codeLenInByte = 0
; TotalNumSgprs: 0
; NumVgprs: 0
; ScratchSize: 0
; MemoryBound: 0
; FloatMode: 240
; IeeeMode: 1
; LDSByteSize: 0 bytes/workgroup (compile time only)
; SGPRBlocks: 0
; VGPRBlocks: 0
; NumSGPRsForWavesPerEU: 1
; NumVGPRsForWavesPerEU: 1
; Occupancy: 16
; WaveLimiterHint : 0
; COMPUTE_PGM_RSRC2:SCRATCH_EN: 0
; COMPUTE_PGM_RSRC2:USER_SGPR: 6
; COMPUTE_PGM_RSRC2:TRAP_HANDLER: 0
; COMPUTE_PGM_RSRC2:TGID_X_EN: 1
; COMPUTE_PGM_RSRC2:TGID_Y_EN: 0
; COMPUTE_PGM_RSRC2:TGID_Z_EN: 0
; COMPUTE_PGM_RSRC2:TIDIG_COMP_CNT: 0
	.section	.text._ZN7rocprim17ROCPRIM_400000_NS6detail17trampoline_kernelINS0_14default_configENS1_27scan_by_key_config_selectorIssEEZZNS1_16scan_by_key_implILNS1_25lookback_scan_determinismE0ELb0ES3_N6thrust23THRUST_200600_302600_NS6detail15normal_iteratorINS9_10device_ptrIsEEEESE_SE_sNS9_4plusIvEENS9_8equal_toIsEEsEE10hipError_tPvRmT2_T3_T4_T5_mT6_T7_P12ihipStream_tbENKUlT_T0_E_clISt17integral_constantIbLb0EESY_IbLb1EEEEDaSU_SV_EUlSU_E_NS1_11comp_targetILNS1_3genE2ELNS1_11target_archE906ELNS1_3gpuE6ELNS1_3repE0EEENS1_30default_config_static_selectorELNS0_4arch9wavefront6targetE0EEEvT1_,"axG",@progbits,_ZN7rocprim17ROCPRIM_400000_NS6detail17trampoline_kernelINS0_14default_configENS1_27scan_by_key_config_selectorIssEEZZNS1_16scan_by_key_implILNS1_25lookback_scan_determinismE0ELb0ES3_N6thrust23THRUST_200600_302600_NS6detail15normal_iteratorINS9_10device_ptrIsEEEESE_SE_sNS9_4plusIvEENS9_8equal_toIsEEsEE10hipError_tPvRmT2_T3_T4_T5_mT6_T7_P12ihipStream_tbENKUlT_T0_E_clISt17integral_constantIbLb0EESY_IbLb1EEEEDaSU_SV_EUlSU_E_NS1_11comp_targetILNS1_3genE2ELNS1_11target_archE906ELNS1_3gpuE6ELNS1_3repE0EEENS1_30default_config_static_selectorELNS0_4arch9wavefront6targetE0EEEvT1_,comdat
	.protected	_ZN7rocprim17ROCPRIM_400000_NS6detail17trampoline_kernelINS0_14default_configENS1_27scan_by_key_config_selectorIssEEZZNS1_16scan_by_key_implILNS1_25lookback_scan_determinismE0ELb0ES3_N6thrust23THRUST_200600_302600_NS6detail15normal_iteratorINS9_10device_ptrIsEEEESE_SE_sNS9_4plusIvEENS9_8equal_toIsEEsEE10hipError_tPvRmT2_T3_T4_T5_mT6_T7_P12ihipStream_tbENKUlT_T0_E_clISt17integral_constantIbLb0EESY_IbLb1EEEEDaSU_SV_EUlSU_E_NS1_11comp_targetILNS1_3genE2ELNS1_11target_archE906ELNS1_3gpuE6ELNS1_3repE0EEENS1_30default_config_static_selectorELNS0_4arch9wavefront6targetE0EEEvT1_ ; -- Begin function _ZN7rocprim17ROCPRIM_400000_NS6detail17trampoline_kernelINS0_14default_configENS1_27scan_by_key_config_selectorIssEEZZNS1_16scan_by_key_implILNS1_25lookback_scan_determinismE0ELb0ES3_N6thrust23THRUST_200600_302600_NS6detail15normal_iteratorINS9_10device_ptrIsEEEESE_SE_sNS9_4plusIvEENS9_8equal_toIsEEsEE10hipError_tPvRmT2_T3_T4_T5_mT6_T7_P12ihipStream_tbENKUlT_T0_E_clISt17integral_constantIbLb0EESY_IbLb1EEEEDaSU_SV_EUlSU_E_NS1_11comp_targetILNS1_3genE2ELNS1_11target_archE906ELNS1_3gpuE6ELNS1_3repE0EEENS1_30default_config_static_selectorELNS0_4arch9wavefront6targetE0EEEvT1_
	.globl	_ZN7rocprim17ROCPRIM_400000_NS6detail17trampoline_kernelINS0_14default_configENS1_27scan_by_key_config_selectorIssEEZZNS1_16scan_by_key_implILNS1_25lookback_scan_determinismE0ELb0ES3_N6thrust23THRUST_200600_302600_NS6detail15normal_iteratorINS9_10device_ptrIsEEEESE_SE_sNS9_4plusIvEENS9_8equal_toIsEEsEE10hipError_tPvRmT2_T3_T4_T5_mT6_T7_P12ihipStream_tbENKUlT_T0_E_clISt17integral_constantIbLb0EESY_IbLb1EEEEDaSU_SV_EUlSU_E_NS1_11comp_targetILNS1_3genE2ELNS1_11target_archE906ELNS1_3gpuE6ELNS1_3repE0EEENS1_30default_config_static_selectorELNS0_4arch9wavefront6targetE0EEEvT1_
	.p2align	8
	.type	_ZN7rocprim17ROCPRIM_400000_NS6detail17trampoline_kernelINS0_14default_configENS1_27scan_by_key_config_selectorIssEEZZNS1_16scan_by_key_implILNS1_25lookback_scan_determinismE0ELb0ES3_N6thrust23THRUST_200600_302600_NS6detail15normal_iteratorINS9_10device_ptrIsEEEESE_SE_sNS9_4plusIvEENS9_8equal_toIsEEsEE10hipError_tPvRmT2_T3_T4_T5_mT6_T7_P12ihipStream_tbENKUlT_T0_E_clISt17integral_constantIbLb0EESY_IbLb1EEEEDaSU_SV_EUlSU_E_NS1_11comp_targetILNS1_3genE2ELNS1_11target_archE906ELNS1_3gpuE6ELNS1_3repE0EEENS1_30default_config_static_selectorELNS0_4arch9wavefront6targetE0EEEvT1_,@function
_ZN7rocprim17ROCPRIM_400000_NS6detail17trampoline_kernelINS0_14default_configENS1_27scan_by_key_config_selectorIssEEZZNS1_16scan_by_key_implILNS1_25lookback_scan_determinismE0ELb0ES3_N6thrust23THRUST_200600_302600_NS6detail15normal_iteratorINS9_10device_ptrIsEEEESE_SE_sNS9_4plusIvEENS9_8equal_toIsEEsEE10hipError_tPvRmT2_T3_T4_T5_mT6_T7_P12ihipStream_tbENKUlT_T0_E_clISt17integral_constantIbLb0EESY_IbLb1EEEEDaSU_SV_EUlSU_E_NS1_11comp_targetILNS1_3genE2ELNS1_11target_archE906ELNS1_3gpuE6ELNS1_3repE0EEENS1_30default_config_static_selectorELNS0_4arch9wavefront6targetE0EEEvT1_: ; @_ZN7rocprim17ROCPRIM_400000_NS6detail17trampoline_kernelINS0_14default_configENS1_27scan_by_key_config_selectorIssEEZZNS1_16scan_by_key_implILNS1_25lookback_scan_determinismE0ELb0ES3_N6thrust23THRUST_200600_302600_NS6detail15normal_iteratorINS9_10device_ptrIsEEEESE_SE_sNS9_4plusIvEENS9_8equal_toIsEEsEE10hipError_tPvRmT2_T3_T4_T5_mT6_T7_P12ihipStream_tbENKUlT_T0_E_clISt17integral_constantIbLb0EESY_IbLb1EEEEDaSU_SV_EUlSU_E_NS1_11comp_targetILNS1_3genE2ELNS1_11target_archE906ELNS1_3gpuE6ELNS1_3repE0EEENS1_30default_config_static_selectorELNS0_4arch9wavefront6targetE0EEEvT1_
; %bb.0:
	.section	.rodata,"a",@progbits
	.p2align	6, 0x0
	.amdhsa_kernel _ZN7rocprim17ROCPRIM_400000_NS6detail17trampoline_kernelINS0_14default_configENS1_27scan_by_key_config_selectorIssEEZZNS1_16scan_by_key_implILNS1_25lookback_scan_determinismE0ELb0ES3_N6thrust23THRUST_200600_302600_NS6detail15normal_iteratorINS9_10device_ptrIsEEEESE_SE_sNS9_4plusIvEENS9_8equal_toIsEEsEE10hipError_tPvRmT2_T3_T4_T5_mT6_T7_P12ihipStream_tbENKUlT_T0_E_clISt17integral_constantIbLb0EESY_IbLb1EEEEDaSU_SV_EUlSU_E_NS1_11comp_targetILNS1_3genE2ELNS1_11target_archE906ELNS1_3gpuE6ELNS1_3repE0EEENS1_30default_config_static_selectorELNS0_4arch9wavefront6targetE0EEEvT1_
		.amdhsa_group_segment_fixed_size 0
		.amdhsa_private_segment_fixed_size 0
		.amdhsa_kernarg_size 112
		.amdhsa_user_sgpr_count 6
		.amdhsa_user_sgpr_private_segment_buffer 1
		.amdhsa_user_sgpr_dispatch_ptr 0
		.amdhsa_user_sgpr_queue_ptr 0
		.amdhsa_user_sgpr_kernarg_segment_ptr 1
		.amdhsa_user_sgpr_dispatch_id 0
		.amdhsa_user_sgpr_flat_scratch_init 0
		.amdhsa_user_sgpr_private_segment_size 0
		.amdhsa_wavefront_size32 1
		.amdhsa_uses_dynamic_stack 0
		.amdhsa_system_sgpr_private_segment_wavefront_offset 0
		.amdhsa_system_sgpr_workgroup_id_x 1
		.amdhsa_system_sgpr_workgroup_id_y 0
		.amdhsa_system_sgpr_workgroup_id_z 0
		.amdhsa_system_sgpr_workgroup_info 0
		.amdhsa_system_vgpr_workitem_id 0
		.amdhsa_next_free_vgpr 1
		.amdhsa_next_free_sgpr 1
		.amdhsa_reserve_vcc 0
		.amdhsa_reserve_flat_scratch 0
		.amdhsa_float_round_mode_32 0
		.amdhsa_float_round_mode_16_64 0
		.amdhsa_float_denorm_mode_32 3
		.amdhsa_float_denorm_mode_16_64 3
		.amdhsa_dx10_clamp 1
		.amdhsa_ieee_mode 1
		.amdhsa_fp16_overflow 0
		.amdhsa_workgroup_processor_mode 1
		.amdhsa_memory_ordered 1
		.amdhsa_forward_progress 1
		.amdhsa_shared_vgpr_count 0
		.amdhsa_exception_fp_ieee_invalid_op 0
		.amdhsa_exception_fp_denorm_src 0
		.amdhsa_exception_fp_ieee_div_zero 0
		.amdhsa_exception_fp_ieee_overflow 0
		.amdhsa_exception_fp_ieee_underflow 0
		.amdhsa_exception_fp_ieee_inexact 0
		.amdhsa_exception_int_div_zero 0
	.end_amdhsa_kernel
	.section	.text._ZN7rocprim17ROCPRIM_400000_NS6detail17trampoline_kernelINS0_14default_configENS1_27scan_by_key_config_selectorIssEEZZNS1_16scan_by_key_implILNS1_25lookback_scan_determinismE0ELb0ES3_N6thrust23THRUST_200600_302600_NS6detail15normal_iteratorINS9_10device_ptrIsEEEESE_SE_sNS9_4plusIvEENS9_8equal_toIsEEsEE10hipError_tPvRmT2_T3_T4_T5_mT6_T7_P12ihipStream_tbENKUlT_T0_E_clISt17integral_constantIbLb0EESY_IbLb1EEEEDaSU_SV_EUlSU_E_NS1_11comp_targetILNS1_3genE2ELNS1_11target_archE906ELNS1_3gpuE6ELNS1_3repE0EEENS1_30default_config_static_selectorELNS0_4arch9wavefront6targetE0EEEvT1_,"axG",@progbits,_ZN7rocprim17ROCPRIM_400000_NS6detail17trampoline_kernelINS0_14default_configENS1_27scan_by_key_config_selectorIssEEZZNS1_16scan_by_key_implILNS1_25lookback_scan_determinismE0ELb0ES3_N6thrust23THRUST_200600_302600_NS6detail15normal_iteratorINS9_10device_ptrIsEEEESE_SE_sNS9_4plusIvEENS9_8equal_toIsEEsEE10hipError_tPvRmT2_T3_T4_T5_mT6_T7_P12ihipStream_tbENKUlT_T0_E_clISt17integral_constantIbLb0EESY_IbLb1EEEEDaSU_SV_EUlSU_E_NS1_11comp_targetILNS1_3genE2ELNS1_11target_archE906ELNS1_3gpuE6ELNS1_3repE0EEENS1_30default_config_static_selectorELNS0_4arch9wavefront6targetE0EEEvT1_,comdat
.Lfunc_end349:
	.size	_ZN7rocprim17ROCPRIM_400000_NS6detail17trampoline_kernelINS0_14default_configENS1_27scan_by_key_config_selectorIssEEZZNS1_16scan_by_key_implILNS1_25lookback_scan_determinismE0ELb0ES3_N6thrust23THRUST_200600_302600_NS6detail15normal_iteratorINS9_10device_ptrIsEEEESE_SE_sNS9_4plusIvEENS9_8equal_toIsEEsEE10hipError_tPvRmT2_T3_T4_T5_mT6_T7_P12ihipStream_tbENKUlT_T0_E_clISt17integral_constantIbLb0EESY_IbLb1EEEEDaSU_SV_EUlSU_E_NS1_11comp_targetILNS1_3genE2ELNS1_11target_archE906ELNS1_3gpuE6ELNS1_3repE0EEENS1_30default_config_static_selectorELNS0_4arch9wavefront6targetE0EEEvT1_, .Lfunc_end349-_ZN7rocprim17ROCPRIM_400000_NS6detail17trampoline_kernelINS0_14default_configENS1_27scan_by_key_config_selectorIssEEZZNS1_16scan_by_key_implILNS1_25lookback_scan_determinismE0ELb0ES3_N6thrust23THRUST_200600_302600_NS6detail15normal_iteratorINS9_10device_ptrIsEEEESE_SE_sNS9_4plusIvEENS9_8equal_toIsEEsEE10hipError_tPvRmT2_T3_T4_T5_mT6_T7_P12ihipStream_tbENKUlT_T0_E_clISt17integral_constantIbLb0EESY_IbLb1EEEEDaSU_SV_EUlSU_E_NS1_11comp_targetILNS1_3genE2ELNS1_11target_archE906ELNS1_3gpuE6ELNS1_3repE0EEENS1_30default_config_static_selectorELNS0_4arch9wavefront6targetE0EEEvT1_
                                        ; -- End function
	.set _ZN7rocprim17ROCPRIM_400000_NS6detail17trampoline_kernelINS0_14default_configENS1_27scan_by_key_config_selectorIssEEZZNS1_16scan_by_key_implILNS1_25lookback_scan_determinismE0ELb0ES3_N6thrust23THRUST_200600_302600_NS6detail15normal_iteratorINS9_10device_ptrIsEEEESE_SE_sNS9_4plusIvEENS9_8equal_toIsEEsEE10hipError_tPvRmT2_T3_T4_T5_mT6_T7_P12ihipStream_tbENKUlT_T0_E_clISt17integral_constantIbLb0EESY_IbLb1EEEEDaSU_SV_EUlSU_E_NS1_11comp_targetILNS1_3genE2ELNS1_11target_archE906ELNS1_3gpuE6ELNS1_3repE0EEENS1_30default_config_static_selectorELNS0_4arch9wavefront6targetE0EEEvT1_.num_vgpr, 0
	.set _ZN7rocprim17ROCPRIM_400000_NS6detail17trampoline_kernelINS0_14default_configENS1_27scan_by_key_config_selectorIssEEZZNS1_16scan_by_key_implILNS1_25lookback_scan_determinismE0ELb0ES3_N6thrust23THRUST_200600_302600_NS6detail15normal_iteratorINS9_10device_ptrIsEEEESE_SE_sNS9_4plusIvEENS9_8equal_toIsEEsEE10hipError_tPvRmT2_T3_T4_T5_mT6_T7_P12ihipStream_tbENKUlT_T0_E_clISt17integral_constantIbLb0EESY_IbLb1EEEEDaSU_SV_EUlSU_E_NS1_11comp_targetILNS1_3genE2ELNS1_11target_archE906ELNS1_3gpuE6ELNS1_3repE0EEENS1_30default_config_static_selectorELNS0_4arch9wavefront6targetE0EEEvT1_.num_agpr, 0
	.set _ZN7rocprim17ROCPRIM_400000_NS6detail17trampoline_kernelINS0_14default_configENS1_27scan_by_key_config_selectorIssEEZZNS1_16scan_by_key_implILNS1_25lookback_scan_determinismE0ELb0ES3_N6thrust23THRUST_200600_302600_NS6detail15normal_iteratorINS9_10device_ptrIsEEEESE_SE_sNS9_4plusIvEENS9_8equal_toIsEEsEE10hipError_tPvRmT2_T3_T4_T5_mT6_T7_P12ihipStream_tbENKUlT_T0_E_clISt17integral_constantIbLb0EESY_IbLb1EEEEDaSU_SV_EUlSU_E_NS1_11comp_targetILNS1_3genE2ELNS1_11target_archE906ELNS1_3gpuE6ELNS1_3repE0EEENS1_30default_config_static_selectorELNS0_4arch9wavefront6targetE0EEEvT1_.numbered_sgpr, 0
	.set _ZN7rocprim17ROCPRIM_400000_NS6detail17trampoline_kernelINS0_14default_configENS1_27scan_by_key_config_selectorIssEEZZNS1_16scan_by_key_implILNS1_25lookback_scan_determinismE0ELb0ES3_N6thrust23THRUST_200600_302600_NS6detail15normal_iteratorINS9_10device_ptrIsEEEESE_SE_sNS9_4plusIvEENS9_8equal_toIsEEsEE10hipError_tPvRmT2_T3_T4_T5_mT6_T7_P12ihipStream_tbENKUlT_T0_E_clISt17integral_constantIbLb0EESY_IbLb1EEEEDaSU_SV_EUlSU_E_NS1_11comp_targetILNS1_3genE2ELNS1_11target_archE906ELNS1_3gpuE6ELNS1_3repE0EEENS1_30default_config_static_selectorELNS0_4arch9wavefront6targetE0EEEvT1_.num_named_barrier, 0
	.set _ZN7rocprim17ROCPRIM_400000_NS6detail17trampoline_kernelINS0_14default_configENS1_27scan_by_key_config_selectorIssEEZZNS1_16scan_by_key_implILNS1_25lookback_scan_determinismE0ELb0ES3_N6thrust23THRUST_200600_302600_NS6detail15normal_iteratorINS9_10device_ptrIsEEEESE_SE_sNS9_4plusIvEENS9_8equal_toIsEEsEE10hipError_tPvRmT2_T3_T4_T5_mT6_T7_P12ihipStream_tbENKUlT_T0_E_clISt17integral_constantIbLb0EESY_IbLb1EEEEDaSU_SV_EUlSU_E_NS1_11comp_targetILNS1_3genE2ELNS1_11target_archE906ELNS1_3gpuE6ELNS1_3repE0EEENS1_30default_config_static_selectorELNS0_4arch9wavefront6targetE0EEEvT1_.private_seg_size, 0
	.set _ZN7rocprim17ROCPRIM_400000_NS6detail17trampoline_kernelINS0_14default_configENS1_27scan_by_key_config_selectorIssEEZZNS1_16scan_by_key_implILNS1_25lookback_scan_determinismE0ELb0ES3_N6thrust23THRUST_200600_302600_NS6detail15normal_iteratorINS9_10device_ptrIsEEEESE_SE_sNS9_4plusIvEENS9_8equal_toIsEEsEE10hipError_tPvRmT2_T3_T4_T5_mT6_T7_P12ihipStream_tbENKUlT_T0_E_clISt17integral_constantIbLb0EESY_IbLb1EEEEDaSU_SV_EUlSU_E_NS1_11comp_targetILNS1_3genE2ELNS1_11target_archE906ELNS1_3gpuE6ELNS1_3repE0EEENS1_30default_config_static_selectorELNS0_4arch9wavefront6targetE0EEEvT1_.uses_vcc, 0
	.set _ZN7rocprim17ROCPRIM_400000_NS6detail17trampoline_kernelINS0_14default_configENS1_27scan_by_key_config_selectorIssEEZZNS1_16scan_by_key_implILNS1_25lookback_scan_determinismE0ELb0ES3_N6thrust23THRUST_200600_302600_NS6detail15normal_iteratorINS9_10device_ptrIsEEEESE_SE_sNS9_4plusIvEENS9_8equal_toIsEEsEE10hipError_tPvRmT2_T3_T4_T5_mT6_T7_P12ihipStream_tbENKUlT_T0_E_clISt17integral_constantIbLb0EESY_IbLb1EEEEDaSU_SV_EUlSU_E_NS1_11comp_targetILNS1_3genE2ELNS1_11target_archE906ELNS1_3gpuE6ELNS1_3repE0EEENS1_30default_config_static_selectorELNS0_4arch9wavefront6targetE0EEEvT1_.uses_flat_scratch, 0
	.set _ZN7rocprim17ROCPRIM_400000_NS6detail17trampoline_kernelINS0_14default_configENS1_27scan_by_key_config_selectorIssEEZZNS1_16scan_by_key_implILNS1_25lookback_scan_determinismE0ELb0ES3_N6thrust23THRUST_200600_302600_NS6detail15normal_iteratorINS9_10device_ptrIsEEEESE_SE_sNS9_4plusIvEENS9_8equal_toIsEEsEE10hipError_tPvRmT2_T3_T4_T5_mT6_T7_P12ihipStream_tbENKUlT_T0_E_clISt17integral_constantIbLb0EESY_IbLb1EEEEDaSU_SV_EUlSU_E_NS1_11comp_targetILNS1_3genE2ELNS1_11target_archE906ELNS1_3gpuE6ELNS1_3repE0EEENS1_30default_config_static_selectorELNS0_4arch9wavefront6targetE0EEEvT1_.has_dyn_sized_stack, 0
	.set _ZN7rocprim17ROCPRIM_400000_NS6detail17trampoline_kernelINS0_14default_configENS1_27scan_by_key_config_selectorIssEEZZNS1_16scan_by_key_implILNS1_25lookback_scan_determinismE0ELb0ES3_N6thrust23THRUST_200600_302600_NS6detail15normal_iteratorINS9_10device_ptrIsEEEESE_SE_sNS9_4plusIvEENS9_8equal_toIsEEsEE10hipError_tPvRmT2_T3_T4_T5_mT6_T7_P12ihipStream_tbENKUlT_T0_E_clISt17integral_constantIbLb0EESY_IbLb1EEEEDaSU_SV_EUlSU_E_NS1_11comp_targetILNS1_3genE2ELNS1_11target_archE906ELNS1_3gpuE6ELNS1_3repE0EEENS1_30default_config_static_selectorELNS0_4arch9wavefront6targetE0EEEvT1_.has_recursion, 0
	.set _ZN7rocprim17ROCPRIM_400000_NS6detail17trampoline_kernelINS0_14default_configENS1_27scan_by_key_config_selectorIssEEZZNS1_16scan_by_key_implILNS1_25lookback_scan_determinismE0ELb0ES3_N6thrust23THRUST_200600_302600_NS6detail15normal_iteratorINS9_10device_ptrIsEEEESE_SE_sNS9_4plusIvEENS9_8equal_toIsEEsEE10hipError_tPvRmT2_T3_T4_T5_mT6_T7_P12ihipStream_tbENKUlT_T0_E_clISt17integral_constantIbLb0EESY_IbLb1EEEEDaSU_SV_EUlSU_E_NS1_11comp_targetILNS1_3genE2ELNS1_11target_archE906ELNS1_3gpuE6ELNS1_3repE0EEENS1_30default_config_static_selectorELNS0_4arch9wavefront6targetE0EEEvT1_.has_indirect_call, 0
	.section	.AMDGPU.csdata,"",@progbits
; Kernel info:
; codeLenInByte = 0
; TotalNumSgprs: 0
; NumVgprs: 0
; ScratchSize: 0
; MemoryBound: 0
; FloatMode: 240
; IeeeMode: 1
; LDSByteSize: 0 bytes/workgroup (compile time only)
; SGPRBlocks: 0
; VGPRBlocks: 0
; NumSGPRsForWavesPerEU: 1
; NumVGPRsForWavesPerEU: 1
; Occupancy: 16
; WaveLimiterHint : 0
; COMPUTE_PGM_RSRC2:SCRATCH_EN: 0
; COMPUTE_PGM_RSRC2:USER_SGPR: 6
; COMPUTE_PGM_RSRC2:TRAP_HANDLER: 0
; COMPUTE_PGM_RSRC2:TGID_X_EN: 1
; COMPUTE_PGM_RSRC2:TGID_Y_EN: 0
; COMPUTE_PGM_RSRC2:TGID_Z_EN: 0
; COMPUTE_PGM_RSRC2:TIDIG_COMP_CNT: 0
	.section	.text._ZN7rocprim17ROCPRIM_400000_NS6detail17trampoline_kernelINS0_14default_configENS1_27scan_by_key_config_selectorIssEEZZNS1_16scan_by_key_implILNS1_25lookback_scan_determinismE0ELb0ES3_N6thrust23THRUST_200600_302600_NS6detail15normal_iteratorINS9_10device_ptrIsEEEESE_SE_sNS9_4plusIvEENS9_8equal_toIsEEsEE10hipError_tPvRmT2_T3_T4_T5_mT6_T7_P12ihipStream_tbENKUlT_T0_E_clISt17integral_constantIbLb0EESY_IbLb1EEEEDaSU_SV_EUlSU_E_NS1_11comp_targetILNS1_3genE10ELNS1_11target_archE1200ELNS1_3gpuE4ELNS1_3repE0EEENS1_30default_config_static_selectorELNS0_4arch9wavefront6targetE0EEEvT1_,"axG",@progbits,_ZN7rocprim17ROCPRIM_400000_NS6detail17trampoline_kernelINS0_14default_configENS1_27scan_by_key_config_selectorIssEEZZNS1_16scan_by_key_implILNS1_25lookback_scan_determinismE0ELb0ES3_N6thrust23THRUST_200600_302600_NS6detail15normal_iteratorINS9_10device_ptrIsEEEESE_SE_sNS9_4plusIvEENS9_8equal_toIsEEsEE10hipError_tPvRmT2_T3_T4_T5_mT6_T7_P12ihipStream_tbENKUlT_T0_E_clISt17integral_constantIbLb0EESY_IbLb1EEEEDaSU_SV_EUlSU_E_NS1_11comp_targetILNS1_3genE10ELNS1_11target_archE1200ELNS1_3gpuE4ELNS1_3repE0EEENS1_30default_config_static_selectorELNS0_4arch9wavefront6targetE0EEEvT1_,comdat
	.protected	_ZN7rocprim17ROCPRIM_400000_NS6detail17trampoline_kernelINS0_14default_configENS1_27scan_by_key_config_selectorIssEEZZNS1_16scan_by_key_implILNS1_25lookback_scan_determinismE0ELb0ES3_N6thrust23THRUST_200600_302600_NS6detail15normal_iteratorINS9_10device_ptrIsEEEESE_SE_sNS9_4plusIvEENS9_8equal_toIsEEsEE10hipError_tPvRmT2_T3_T4_T5_mT6_T7_P12ihipStream_tbENKUlT_T0_E_clISt17integral_constantIbLb0EESY_IbLb1EEEEDaSU_SV_EUlSU_E_NS1_11comp_targetILNS1_3genE10ELNS1_11target_archE1200ELNS1_3gpuE4ELNS1_3repE0EEENS1_30default_config_static_selectorELNS0_4arch9wavefront6targetE0EEEvT1_ ; -- Begin function _ZN7rocprim17ROCPRIM_400000_NS6detail17trampoline_kernelINS0_14default_configENS1_27scan_by_key_config_selectorIssEEZZNS1_16scan_by_key_implILNS1_25lookback_scan_determinismE0ELb0ES3_N6thrust23THRUST_200600_302600_NS6detail15normal_iteratorINS9_10device_ptrIsEEEESE_SE_sNS9_4plusIvEENS9_8equal_toIsEEsEE10hipError_tPvRmT2_T3_T4_T5_mT6_T7_P12ihipStream_tbENKUlT_T0_E_clISt17integral_constantIbLb0EESY_IbLb1EEEEDaSU_SV_EUlSU_E_NS1_11comp_targetILNS1_3genE10ELNS1_11target_archE1200ELNS1_3gpuE4ELNS1_3repE0EEENS1_30default_config_static_selectorELNS0_4arch9wavefront6targetE0EEEvT1_
	.globl	_ZN7rocprim17ROCPRIM_400000_NS6detail17trampoline_kernelINS0_14default_configENS1_27scan_by_key_config_selectorIssEEZZNS1_16scan_by_key_implILNS1_25lookback_scan_determinismE0ELb0ES3_N6thrust23THRUST_200600_302600_NS6detail15normal_iteratorINS9_10device_ptrIsEEEESE_SE_sNS9_4plusIvEENS9_8equal_toIsEEsEE10hipError_tPvRmT2_T3_T4_T5_mT6_T7_P12ihipStream_tbENKUlT_T0_E_clISt17integral_constantIbLb0EESY_IbLb1EEEEDaSU_SV_EUlSU_E_NS1_11comp_targetILNS1_3genE10ELNS1_11target_archE1200ELNS1_3gpuE4ELNS1_3repE0EEENS1_30default_config_static_selectorELNS0_4arch9wavefront6targetE0EEEvT1_
	.p2align	8
	.type	_ZN7rocprim17ROCPRIM_400000_NS6detail17trampoline_kernelINS0_14default_configENS1_27scan_by_key_config_selectorIssEEZZNS1_16scan_by_key_implILNS1_25lookback_scan_determinismE0ELb0ES3_N6thrust23THRUST_200600_302600_NS6detail15normal_iteratorINS9_10device_ptrIsEEEESE_SE_sNS9_4plusIvEENS9_8equal_toIsEEsEE10hipError_tPvRmT2_T3_T4_T5_mT6_T7_P12ihipStream_tbENKUlT_T0_E_clISt17integral_constantIbLb0EESY_IbLb1EEEEDaSU_SV_EUlSU_E_NS1_11comp_targetILNS1_3genE10ELNS1_11target_archE1200ELNS1_3gpuE4ELNS1_3repE0EEENS1_30default_config_static_selectorELNS0_4arch9wavefront6targetE0EEEvT1_,@function
_ZN7rocprim17ROCPRIM_400000_NS6detail17trampoline_kernelINS0_14default_configENS1_27scan_by_key_config_selectorIssEEZZNS1_16scan_by_key_implILNS1_25lookback_scan_determinismE0ELb0ES3_N6thrust23THRUST_200600_302600_NS6detail15normal_iteratorINS9_10device_ptrIsEEEESE_SE_sNS9_4plusIvEENS9_8equal_toIsEEsEE10hipError_tPvRmT2_T3_T4_T5_mT6_T7_P12ihipStream_tbENKUlT_T0_E_clISt17integral_constantIbLb0EESY_IbLb1EEEEDaSU_SV_EUlSU_E_NS1_11comp_targetILNS1_3genE10ELNS1_11target_archE1200ELNS1_3gpuE4ELNS1_3repE0EEENS1_30default_config_static_selectorELNS0_4arch9wavefront6targetE0EEEvT1_: ; @_ZN7rocprim17ROCPRIM_400000_NS6detail17trampoline_kernelINS0_14default_configENS1_27scan_by_key_config_selectorIssEEZZNS1_16scan_by_key_implILNS1_25lookback_scan_determinismE0ELb0ES3_N6thrust23THRUST_200600_302600_NS6detail15normal_iteratorINS9_10device_ptrIsEEEESE_SE_sNS9_4plusIvEENS9_8equal_toIsEEsEE10hipError_tPvRmT2_T3_T4_T5_mT6_T7_P12ihipStream_tbENKUlT_T0_E_clISt17integral_constantIbLb0EESY_IbLb1EEEEDaSU_SV_EUlSU_E_NS1_11comp_targetILNS1_3genE10ELNS1_11target_archE1200ELNS1_3gpuE4ELNS1_3repE0EEENS1_30default_config_static_selectorELNS0_4arch9wavefront6targetE0EEEvT1_
; %bb.0:
	.section	.rodata,"a",@progbits
	.p2align	6, 0x0
	.amdhsa_kernel _ZN7rocprim17ROCPRIM_400000_NS6detail17trampoline_kernelINS0_14default_configENS1_27scan_by_key_config_selectorIssEEZZNS1_16scan_by_key_implILNS1_25lookback_scan_determinismE0ELb0ES3_N6thrust23THRUST_200600_302600_NS6detail15normal_iteratorINS9_10device_ptrIsEEEESE_SE_sNS9_4plusIvEENS9_8equal_toIsEEsEE10hipError_tPvRmT2_T3_T4_T5_mT6_T7_P12ihipStream_tbENKUlT_T0_E_clISt17integral_constantIbLb0EESY_IbLb1EEEEDaSU_SV_EUlSU_E_NS1_11comp_targetILNS1_3genE10ELNS1_11target_archE1200ELNS1_3gpuE4ELNS1_3repE0EEENS1_30default_config_static_selectorELNS0_4arch9wavefront6targetE0EEEvT1_
		.amdhsa_group_segment_fixed_size 0
		.amdhsa_private_segment_fixed_size 0
		.amdhsa_kernarg_size 112
		.amdhsa_user_sgpr_count 6
		.amdhsa_user_sgpr_private_segment_buffer 1
		.amdhsa_user_sgpr_dispatch_ptr 0
		.amdhsa_user_sgpr_queue_ptr 0
		.amdhsa_user_sgpr_kernarg_segment_ptr 1
		.amdhsa_user_sgpr_dispatch_id 0
		.amdhsa_user_sgpr_flat_scratch_init 0
		.amdhsa_user_sgpr_private_segment_size 0
		.amdhsa_wavefront_size32 1
		.amdhsa_uses_dynamic_stack 0
		.amdhsa_system_sgpr_private_segment_wavefront_offset 0
		.amdhsa_system_sgpr_workgroup_id_x 1
		.amdhsa_system_sgpr_workgroup_id_y 0
		.amdhsa_system_sgpr_workgroup_id_z 0
		.amdhsa_system_sgpr_workgroup_info 0
		.amdhsa_system_vgpr_workitem_id 0
		.amdhsa_next_free_vgpr 1
		.amdhsa_next_free_sgpr 1
		.amdhsa_reserve_vcc 0
		.amdhsa_reserve_flat_scratch 0
		.amdhsa_float_round_mode_32 0
		.amdhsa_float_round_mode_16_64 0
		.amdhsa_float_denorm_mode_32 3
		.amdhsa_float_denorm_mode_16_64 3
		.amdhsa_dx10_clamp 1
		.amdhsa_ieee_mode 1
		.amdhsa_fp16_overflow 0
		.amdhsa_workgroup_processor_mode 1
		.amdhsa_memory_ordered 1
		.amdhsa_forward_progress 1
		.amdhsa_shared_vgpr_count 0
		.amdhsa_exception_fp_ieee_invalid_op 0
		.amdhsa_exception_fp_denorm_src 0
		.amdhsa_exception_fp_ieee_div_zero 0
		.amdhsa_exception_fp_ieee_overflow 0
		.amdhsa_exception_fp_ieee_underflow 0
		.amdhsa_exception_fp_ieee_inexact 0
		.amdhsa_exception_int_div_zero 0
	.end_amdhsa_kernel
	.section	.text._ZN7rocprim17ROCPRIM_400000_NS6detail17trampoline_kernelINS0_14default_configENS1_27scan_by_key_config_selectorIssEEZZNS1_16scan_by_key_implILNS1_25lookback_scan_determinismE0ELb0ES3_N6thrust23THRUST_200600_302600_NS6detail15normal_iteratorINS9_10device_ptrIsEEEESE_SE_sNS9_4plusIvEENS9_8equal_toIsEEsEE10hipError_tPvRmT2_T3_T4_T5_mT6_T7_P12ihipStream_tbENKUlT_T0_E_clISt17integral_constantIbLb0EESY_IbLb1EEEEDaSU_SV_EUlSU_E_NS1_11comp_targetILNS1_3genE10ELNS1_11target_archE1200ELNS1_3gpuE4ELNS1_3repE0EEENS1_30default_config_static_selectorELNS0_4arch9wavefront6targetE0EEEvT1_,"axG",@progbits,_ZN7rocprim17ROCPRIM_400000_NS6detail17trampoline_kernelINS0_14default_configENS1_27scan_by_key_config_selectorIssEEZZNS1_16scan_by_key_implILNS1_25lookback_scan_determinismE0ELb0ES3_N6thrust23THRUST_200600_302600_NS6detail15normal_iteratorINS9_10device_ptrIsEEEESE_SE_sNS9_4plusIvEENS9_8equal_toIsEEsEE10hipError_tPvRmT2_T3_T4_T5_mT6_T7_P12ihipStream_tbENKUlT_T0_E_clISt17integral_constantIbLb0EESY_IbLb1EEEEDaSU_SV_EUlSU_E_NS1_11comp_targetILNS1_3genE10ELNS1_11target_archE1200ELNS1_3gpuE4ELNS1_3repE0EEENS1_30default_config_static_selectorELNS0_4arch9wavefront6targetE0EEEvT1_,comdat
.Lfunc_end350:
	.size	_ZN7rocprim17ROCPRIM_400000_NS6detail17trampoline_kernelINS0_14default_configENS1_27scan_by_key_config_selectorIssEEZZNS1_16scan_by_key_implILNS1_25lookback_scan_determinismE0ELb0ES3_N6thrust23THRUST_200600_302600_NS6detail15normal_iteratorINS9_10device_ptrIsEEEESE_SE_sNS9_4plusIvEENS9_8equal_toIsEEsEE10hipError_tPvRmT2_T3_T4_T5_mT6_T7_P12ihipStream_tbENKUlT_T0_E_clISt17integral_constantIbLb0EESY_IbLb1EEEEDaSU_SV_EUlSU_E_NS1_11comp_targetILNS1_3genE10ELNS1_11target_archE1200ELNS1_3gpuE4ELNS1_3repE0EEENS1_30default_config_static_selectorELNS0_4arch9wavefront6targetE0EEEvT1_, .Lfunc_end350-_ZN7rocprim17ROCPRIM_400000_NS6detail17trampoline_kernelINS0_14default_configENS1_27scan_by_key_config_selectorIssEEZZNS1_16scan_by_key_implILNS1_25lookback_scan_determinismE0ELb0ES3_N6thrust23THRUST_200600_302600_NS6detail15normal_iteratorINS9_10device_ptrIsEEEESE_SE_sNS9_4plusIvEENS9_8equal_toIsEEsEE10hipError_tPvRmT2_T3_T4_T5_mT6_T7_P12ihipStream_tbENKUlT_T0_E_clISt17integral_constantIbLb0EESY_IbLb1EEEEDaSU_SV_EUlSU_E_NS1_11comp_targetILNS1_3genE10ELNS1_11target_archE1200ELNS1_3gpuE4ELNS1_3repE0EEENS1_30default_config_static_selectorELNS0_4arch9wavefront6targetE0EEEvT1_
                                        ; -- End function
	.set _ZN7rocprim17ROCPRIM_400000_NS6detail17trampoline_kernelINS0_14default_configENS1_27scan_by_key_config_selectorIssEEZZNS1_16scan_by_key_implILNS1_25lookback_scan_determinismE0ELb0ES3_N6thrust23THRUST_200600_302600_NS6detail15normal_iteratorINS9_10device_ptrIsEEEESE_SE_sNS9_4plusIvEENS9_8equal_toIsEEsEE10hipError_tPvRmT2_T3_T4_T5_mT6_T7_P12ihipStream_tbENKUlT_T0_E_clISt17integral_constantIbLb0EESY_IbLb1EEEEDaSU_SV_EUlSU_E_NS1_11comp_targetILNS1_3genE10ELNS1_11target_archE1200ELNS1_3gpuE4ELNS1_3repE0EEENS1_30default_config_static_selectorELNS0_4arch9wavefront6targetE0EEEvT1_.num_vgpr, 0
	.set _ZN7rocprim17ROCPRIM_400000_NS6detail17trampoline_kernelINS0_14default_configENS1_27scan_by_key_config_selectorIssEEZZNS1_16scan_by_key_implILNS1_25lookback_scan_determinismE0ELb0ES3_N6thrust23THRUST_200600_302600_NS6detail15normal_iteratorINS9_10device_ptrIsEEEESE_SE_sNS9_4plusIvEENS9_8equal_toIsEEsEE10hipError_tPvRmT2_T3_T4_T5_mT6_T7_P12ihipStream_tbENKUlT_T0_E_clISt17integral_constantIbLb0EESY_IbLb1EEEEDaSU_SV_EUlSU_E_NS1_11comp_targetILNS1_3genE10ELNS1_11target_archE1200ELNS1_3gpuE4ELNS1_3repE0EEENS1_30default_config_static_selectorELNS0_4arch9wavefront6targetE0EEEvT1_.num_agpr, 0
	.set _ZN7rocprim17ROCPRIM_400000_NS6detail17trampoline_kernelINS0_14default_configENS1_27scan_by_key_config_selectorIssEEZZNS1_16scan_by_key_implILNS1_25lookback_scan_determinismE0ELb0ES3_N6thrust23THRUST_200600_302600_NS6detail15normal_iteratorINS9_10device_ptrIsEEEESE_SE_sNS9_4plusIvEENS9_8equal_toIsEEsEE10hipError_tPvRmT2_T3_T4_T5_mT6_T7_P12ihipStream_tbENKUlT_T0_E_clISt17integral_constantIbLb0EESY_IbLb1EEEEDaSU_SV_EUlSU_E_NS1_11comp_targetILNS1_3genE10ELNS1_11target_archE1200ELNS1_3gpuE4ELNS1_3repE0EEENS1_30default_config_static_selectorELNS0_4arch9wavefront6targetE0EEEvT1_.numbered_sgpr, 0
	.set _ZN7rocprim17ROCPRIM_400000_NS6detail17trampoline_kernelINS0_14default_configENS1_27scan_by_key_config_selectorIssEEZZNS1_16scan_by_key_implILNS1_25lookback_scan_determinismE0ELb0ES3_N6thrust23THRUST_200600_302600_NS6detail15normal_iteratorINS9_10device_ptrIsEEEESE_SE_sNS9_4plusIvEENS9_8equal_toIsEEsEE10hipError_tPvRmT2_T3_T4_T5_mT6_T7_P12ihipStream_tbENKUlT_T0_E_clISt17integral_constantIbLb0EESY_IbLb1EEEEDaSU_SV_EUlSU_E_NS1_11comp_targetILNS1_3genE10ELNS1_11target_archE1200ELNS1_3gpuE4ELNS1_3repE0EEENS1_30default_config_static_selectorELNS0_4arch9wavefront6targetE0EEEvT1_.num_named_barrier, 0
	.set _ZN7rocprim17ROCPRIM_400000_NS6detail17trampoline_kernelINS0_14default_configENS1_27scan_by_key_config_selectorIssEEZZNS1_16scan_by_key_implILNS1_25lookback_scan_determinismE0ELb0ES3_N6thrust23THRUST_200600_302600_NS6detail15normal_iteratorINS9_10device_ptrIsEEEESE_SE_sNS9_4plusIvEENS9_8equal_toIsEEsEE10hipError_tPvRmT2_T3_T4_T5_mT6_T7_P12ihipStream_tbENKUlT_T0_E_clISt17integral_constantIbLb0EESY_IbLb1EEEEDaSU_SV_EUlSU_E_NS1_11comp_targetILNS1_3genE10ELNS1_11target_archE1200ELNS1_3gpuE4ELNS1_3repE0EEENS1_30default_config_static_selectorELNS0_4arch9wavefront6targetE0EEEvT1_.private_seg_size, 0
	.set _ZN7rocprim17ROCPRIM_400000_NS6detail17trampoline_kernelINS0_14default_configENS1_27scan_by_key_config_selectorIssEEZZNS1_16scan_by_key_implILNS1_25lookback_scan_determinismE0ELb0ES3_N6thrust23THRUST_200600_302600_NS6detail15normal_iteratorINS9_10device_ptrIsEEEESE_SE_sNS9_4plusIvEENS9_8equal_toIsEEsEE10hipError_tPvRmT2_T3_T4_T5_mT6_T7_P12ihipStream_tbENKUlT_T0_E_clISt17integral_constantIbLb0EESY_IbLb1EEEEDaSU_SV_EUlSU_E_NS1_11comp_targetILNS1_3genE10ELNS1_11target_archE1200ELNS1_3gpuE4ELNS1_3repE0EEENS1_30default_config_static_selectorELNS0_4arch9wavefront6targetE0EEEvT1_.uses_vcc, 0
	.set _ZN7rocprim17ROCPRIM_400000_NS6detail17trampoline_kernelINS0_14default_configENS1_27scan_by_key_config_selectorIssEEZZNS1_16scan_by_key_implILNS1_25lookback_scan_determinismE0ELb0ES3_N6thrust23THRUST_200600_302600_NS6detail15normal_iteratorINS9_10device_ptrIsEEEESE_SE_sNS9_4plusIvEENS9_8equal_toIsEEsEE10hipError_tPvRmT2_T3_T4_T5_mT6_T7_P12ihipStream_tbENKUlT_T0_E_clISt17integral_constantIbLb0EESY_IbLb1EEEEDaSU_SV_EUlSU_E_NS1_11comp_targetILNS1_3genE10ELNS1_11target_archE1200ELNS1_3gpuE4ELNS1_3repE0EEENS1_30default_config_static_selectorELNS0_4arch9wavefront6targetE0EEEvT1_.uses_flat_scratch, 0
	.set _ZN7rocprim17ROCPRIM_400000_NS6detail17trampoline_kernelINS0_14default_configENS1_27scan_by_key_config_selectorIssEEZZNS1_16scan_by_key_implILNS1_25lookback_scan_determinismE0ELb0ES3_N6thrust23THRUST_200600_302600_NS6detail15normal_iteratorINS9_10device_ptrIsEEEESE_SE_sNS9_4plusIvEENS9_8equal_toIsEEsEE10hipError_tPvRmT2_T3_T4_T5_mT6_T7_P12ihipStream_tbENKUlT_T0_E_clISt17integral_constantIbLb0EESY_IbLb1EEEEDaSU_SV_EUlSU_E_NS1_11comp_targetILNS1_3genE10ELNS1_11target_archE1200ELNS1_3gpuE4ELNS1_3repE0EEENS1_30default_config_static_selectorELNS0_4arch9wavefront6targetE0EEEvT1_.has_dyn_sized_stack, 0
	.set _ZN7rocprim17ROCPRIM_400000_NS6detail17trampoline_kernelINS0_14default_configENS1_27scan_by_key_config_selectorIssEEZZNS1_16scan_by_key_implILNS1_25lookback_scan_determinismE0ELb0ES3_N6thrust23THRUST_200600_302600_NS6detail15normal_iteratorINS9_10device_ptrIsEEEESE_SE_sNS9_4plusIvEENS9_8equal_toIsEEsEE10hipError_tPvRmT2_T3_T4_T5_mT6_T7_P12ihipStream_tbENKUlT_T0_E_clISt17integral_constantIbLb0EESY_IbLb1EEEEDaSU_SV_EUlSU_E_NS1_11comp_targetILNS1_3genE10ELNS1_11target_archE1200ELNS1_3gpuE4ELNS1_3repE0EEENS1_30default_config_static_selectorELNS0_4arch9wavefront6targetE0EEEvT1_.has_recursion, 0
	.set _ZN7rocprim17ROCPRIM_400000_NS6detail17trampoline_kernelINS0_14default_configENS1_27scan_by_key_config_selectorIssEEZZNS1_16scan_by_key_implILNS1_25lookback_scan_determinismE0ELb0ES3_N6thrust23THRUST_200600_302600_NS6detail15normal_iteratorINS9_10device_ptrIsEEEESE_SE_sNS9_4plusIvEENS9_8equal_toIsEEsEE10hipError_tPvRmT2_T3_T4_T5_mT6_T7_P12ihipStream_tbENKUlT_T0_E_clISt17integral_constantIbLb0EESY_IbLb1EEEEDaSU_SV_EUlSU_E_NS1_11comp_targetILNS1_3genE10ELNS1_11target_archE1200ELNS1_3gpuE4ELNS1_3repE0EEENS1_30default_config_static_selectorELNS0_4arch9wavefront6targetE0EEEvT1_.has_indirect_call, 0
	.section	.AMDGPU.csdata,"",@progbits
; Kernel info:
; codeLenInByte = 0
; TotalNumSgprs: 0
; NumVgprs: 0
; ScratchSize: 0
; MemoryBound: 0
; FloatMode: 240
; IeeeMode: 1
; LDSByteSize: 0 bytes/workgroup (compile time only)
; SGPRBlocks: 0
; VGPRBlocks: 0
; NumSGPRsForWavesPerEU: 1
; NumVGPRsForWavesPerEU: 1
; Occupancy: 16
; WaveLimiterHint : 0
; COMPUTE_PGM_RSRC2:SCRATCH_EN: 0
; COMPUTE_PGM_RSRC2:USER_SGPR: 6
; COMPUTE_PGM_RSRC2:TRAP_HANDLER: 0
; COMPUTE_PGM_RSRC2:TGID_X_EN: 1
; COMPUTE_PGM_RSRC2:TGID_Y_EN: 0
; COMPUTE_PGM_RSRC2:TGID_Z_EN: 0
; COMPUTE_PGM_RSRC2:TIDIG_COMP_CNT: 0
	.section	.text._ZN7rocprim17ROCPRIM_400000_NS6detail17trampoline_kernelINS0_14default_configENS1_27scan_by_key_config_selectorIssEEZZNS1_16scan_by_key_implILNS1_25lookback_scan_determinismE0ELb0ES3_N6thrust23THRUST_200600_302600_NS6detail15normal_iteratorINS9_10device_ptrIsEEEESE_SE_sNS9_4plusIvEENS9_8equal_toIsEEsEE10hipError_tPvRmT2_T3_T4_T5_mT6_T7_P12ihipStream_tbENKUlT_T0_E_clISt17integral_constantIbLb0EESY_IbLb1EEEEDaSU_SV_EUlSU_E_NS1_11comp_targetILNS1_3genE9ELNS1_11target_archE1100ELNS1_3gpuE3ELNS1_3repE0EEENS1_30default_config_static_selectorELNS0_4arch9wavefront6targetE0EEEvT1_,"axG",@progbits,_ZN7rocprim17ROCPRIM_400000_NS6detail17trampoline_kernelINS0_14default_configENS1_27scan_by_key_config_selectorIssEEZZNS1_16scan_by_key_implILNS1_25lookback_scan_determinismE0ELb0ES3_N6thrust23THRUST_200600_302600_NS6detail15normal_iteratorINS9_10device_ptrIsEEEESE_SE_sNS9_4plusIvEENS9_8equal_toIsEEsEE10hipError_tPvRmT2_T3_T4_T5_mT6_T7_P12ihipStream_tbENKUlT_T0_E_clISt17integral_constantIbLb0EESY_IbLb1EEEEDaSU_SV_EUlSU_E_NS1_11comp_targetILNS1_3genE9ELNS1_11target_archE1100ELNS1_3gpuE3ELNS1_3repE0EEENS1_30default_config_static_selectorELNS0_4arch9wavefront6targetE0EEEvT1_,comdat
	.protected	_ZN7rocprim17ROCPRIM_400000_NS6detail17trampoline_kernelINS0_14default_configENS1_27scan_by_key_config_selectorIssEEZZNS1_16scan_by_key_implILNS1_25lookback_scan_determinismE0ELb0ES3_N6thrust23THRUST_200600_302600_NS6detail15normal_iteratorINS9_10device_ptrIsEEEESE_SE_sNS9_4plusIvEENS9_8equal_toIsEEsEE10hipError_tPvRmT2_T3_T4_T5_mT6_T7_P12ihipStream_tbENKUlT_T0_E_clISt17integral_constantIbLb0EESY_IbLb1EEEEDaSU_SV_EUlSU_E_NS1_11comp_targetILNS1_3genE9ELNS1_11target_archE1100ELNS1_3gpuE3ELNS1_3repE0EEENS1_30default_config_static_selectorELNS0_4arch9wavefront6targetE0EEEvT1_ ; -- Begin function _ZN7rocprim17ROCPRIM_400000_NS6detail17trampoline_kernelINS0_14default_configENS1_27scan_by_key_config_selectorIssEEZZNS1_16scan_by_key_implILNS1_25lookback_scan_determinismE0ELb0ES3_N6thrust23THRUST_200600_302600_NS6detail15normal_iteratorINS9_10device_ptrIsEEEESE_SE_sNS9_4plusIvEENS9_8equal_toIsEEsEE10hipError_tPvRmT2_T3_T4_T5_mT6_T7_P12ihipStream_tbENKUlT_T0_E_clISt17integral_constantIbLb0EESY_IbLb1EEEEDaSU_SV_EUlSU_E_NS1_11comp_targetILNS1_3genE9ELNS1_11target_archE1100ELNS1_3gpuE3ELNS1_3repE0EEENS1_30default_config_static_selectorELNS0_4arch9wavefront6targetE0EEEvT1_
	.globl	_ZN7rocprim17ROCPRIM_400000_NS6detail17trampoline_kernelINS0_14default_configENS1_27scan_by_key_config_selectorIssEEZZNS1_16scan_by_key_implILNS1_25lookback_scan_determinismE0ELb0ES3_N6thrust23THRUST_200600_302600_NS6detail15normal_iteratorINS9_10device_ptrIsEEEESE_SE_sNS9_4plusIvEENS9_8equal_toIsEEsEE10hipError_tPvRmT2_T3_T4_T5_mT6_T7_P12ihipStream_tbENKUlT_T0_E_clISt17integral_constantIbLb0EESY_IbLb1EEEEDaSU_SV_EUlSU_E_NS1_11comp_targetILNS1_3genE9ELNS1_11target_archE1100ELNS1_3gpuE3ELNS1_3repE0EEENS1_30default_config_static_selectorELNS0_4arch9wavefront6targetE0EEEvT1_
	.p2align	8
	.type	_ZN7rocprim17ROCPRIM_400000_NS6detail17trampoline_kernelINS0_14default_configENS1_27scan_by_key_config_selectorIssEEZZNS1_16scan_by_key_implILNS1_25lookback_scan_determinismE0ELb0ES3_N6thrust23THRUST_200600_302600_NS6detail15normal_iteratorINS9_10device_ptrIsEEEESE_SE_sNS9_4plusIvEENS9_8equal_toIsEEsEE10hipError_tPvRmT2_T3_T4_T5_mT6_T7_P12ihipStream_tbENKUlT_T0_E_clISt17integral_constantIbLb0EESY_IbLb1EEEEDaSU_SV_EUlSU_E_NS1_11comp_targetILNS1_3genE9ELNS1_11target_archE1100ELNS1_3gpuE3ELNS1_3repE0EEENS1_30default_config_static_selectorELNS0_4arch9wavefront6targetE0EEEvT1_,@function
_ZN7rocprim17ROCPRIM_400000_NS6detail17trampoline_kernelINS0_14default_configENS1_27scan_by_key_config_selectorIssEEZZNS1_16scan_by_key_implILNS1_25lookback_scan_determinismE0ELb0ES3_N6thrust23THRUST_200600_302600_NS6detail15normal_iteratorINS9_10device_ptrIsEEEESE_SE_sNS9_4plusIvEENS9_8equal_toIsEEsEE10hipError_tPvRmT2_T3_T4_T5_mT6_T7_P12ihipStream_tbENKUlT_T0_E_clISt17integral_constantIbLb0EESY_IbLb1EEEEDaSU_SV_EUlSU_E_NS1_11comp_targetILNS1_3genE9ELNS1_11target_archE1100ELNS1_3gpuE3ELNS1_3repE0EEENS1_30default_config_static_selectorELNS0_4arch9wavefront6targetE0EEEvT1_: ; @_ZN7rocprim17ROCPRIM_400000_NS6detail17trampoline_kernelINS0_14default_configENS1_27scan_by_key_config_selectorIssEEZZNS1_16scan_by_key_implILNS1_25lookback_scan_determinismE0ELb0ES3_N6thrust23THRUST_200600_302600_NS6detail15normal_iteratorINS9_10device_ptrIsEEEESE_SE_sNS9_4plusIvEENS9_8equal_toIsEEsEE10hipError_tPvRmT2_T3_T4_T5_mT6_T7_P12ihipStream_tbENKUlT_T0_E_clISt17integral_constantIbLb0EESY_IbLb1EEEEDaSU_SV_EUlSU_E_NS1_11comp_targetILNS1_3genE9ELNS1_11target_archE1100ELNS1_3gpuE3ELNS1_3repE0EEENS1_30default_config_static_selectorELNS0_4arch9wavefront6targetE0EEEvT1_
; %bb.0:
	.section	.rodata,"a",@progbits
	.p2align	6, 0x0
	.amdhsa_kernel _ZN7rocprim17ROCPRIM_400000_NS6detail17trampoline_kernelINS0_14default_configENS1_27scan_by_key_config_selectorIssEEZZNS1_16scan_by_key_implILNS1_25lookback_scan_determinismE0ELb0ES3_N6thrust23THRUST_200600_302600_NS6detail15normal_iteratorINS9_10device_ptrIsEEEESE_SE_sNS9_4plusIvEENS9_8equal_toIsEEsEE10hipError_tPvRmT2_T3_T4_T5_mT6_T7_P12ihipStream_tbENKUlT_T0_E_clISt17integral_constantIbLb0EESY_IbLb1EEEEDaSU_SV_EUlSU_E_NS1_11comp_targetILNS1_3genE9ELNS1_11target_archE1100ELNS1_3gpuE3ELNS1_3repE0EEENS1_30default_config_static_selectorELNS0_4arch9wavefront6targetE0EEEvT1_
		.amdhsa_group_segment_fixed_size 0
		.amdhsa_private_segment_fixed_size 0
		.amdhsa_kernarg_size 112
		.amdhsa_user_sgpr_count 6
		.amdhsa_user_sgpr_private_segment_buffer 1
		.amdhsa_user_sgpr_dispatch_ptr 0
		.amdhsa_user_sgpr_queue_ptr 0
		.amdhsa_user_sgpr_kernarg_segment_ptr 1
		.amdhsa_user_sgpr_dispatch_id 0
		.amdhsa_user_sgpr_flat_scratch_init 0
		.amdhsa_user_sgpr_private_segment_size 0
		.amdhsa_wavefront_size32 1
		.amdhsa_uses_dynamic_stack 0
		.amdhsa_system_sgpr_private_segment_wavefront_offset 0
		.amdhsa_system_sgpr_workgroup_id_x 1
		.amdhsa_system_sgpr_workgroup_id_y 0
		.amdhsa_system_sgpr_workgroup_id_z 0
		.amdhsa_system_sgpr_workgroup_info 0
		.amdhsa_system_vgpr_workitem_id 0
		.amdhsa_next_free_vgpr 1
		.amdhsa_next_free_sgpr 1
		.amdhsa_reserve_vcc 0
		.amdhsa_reserve_flat_scratch 0
		.amdhsa_float_round_mode_32 0
		.amdhsa_float_round_mode_16_64 0
		.amdhsa_float_denorm_mode_32 3
		.amdhsa_float_denorm_mode_16_64 3
		.amdhsa_dx10_clamp 1
		.amdhsa_ieee_mode 1
		.amdhsa_fp16_overflow 0
		.amdhsa_workgroup_processor_mode 1
		.amdhsa_memory_ordered 1
		.amdhsa_forward_progress 1
		.amdhsa_shared_vgpr_count 0
		.amdhsa_exception_fp_ieee_invalid_op 0
		.amdhsa_exception_fp_denorm_src 0
		.amdhsa_exception_fp_ieee_div_zero 0
		.amdhsa_exception_fp_ieee_overflow 0
		.amdhsa_exception_fp_ieee_underflow 0
		.amdhsa_exception_fp_ieee_inexact 0
		.amdhsa_exception_int_div_zero 0
	.end_amdhsa_kernel
	.section	.text._ZN7rocprim17ROCPRIM_400000_NS6detail17trampoline_kernelINS0_14default_configENS1_27scan_by_key_config_selectorIssEEZZNS1_16scan_by_key_implILNS1_25lookback_scan_determinismE0ELb0ES3_N6thrust23THRUST_200600_302600_NS6detail15normal_iteratorINS9_10device_ptrIsEEEESE_SE_sNS9_4plusIvEENS9_8equal_toIsEEsEE10hipError_tPvRmT2_T3_T4_T5_mT6_T7_P12ihipStream_tbENKUlT_T0_E_clISt17integral_constantIbLb0EESY_IbLb1EEEEDaSU_SV_EUlSU_E_NS1_11comp_targetILNS1_3genE9ELNS1_11target_archE1100ELNS1_3gpuE3ELNS1_3repE0EEENS1_30default_config_static_selectorELNS0_4arch9wavefront6targetE0EEEvT1_,"axG",@progbits,_ZN7rocprim17ROCPRIM_400000_NS6detail17trampoline_kernelINS0_14default_configENS1_27scan_by_key_config_selectorIssEEZZNS1_16scan_by_key_implILNS1_25lookback_scan_determinismE0ELb0ES3_N6thrust23THRUST_200600_302600_NS6detail15normal_iteratorINS9_10device_ptrIsEEEESE_SE_sNS9_4plusIvEENS9_8equal_toIsEEsEE10hipError_tPvRmT2_T3_T4_T5_mT6_T7_P12ihipStream_tbENKUlT_T0_E_clISt17integral_constantIbLb0EESY_IbLb1EEEEDaSU_SV_EUlSU_E_NS1_11comp_targetILNS1_3genE9ELNS1_11target_archE1100ELNS1_3gpuE3ELNS1_3repE0EEENS1_30default_config_static_selectorELNS0_4arch9wavefront6targetE0EEEvT1_,comdat
.Lfunc_end351:
	.size	_ZN7rocprim17ROCPRIM_400000_NS6detail17trampoline_kernelINS0_14default_configENS1_27scan_by_key_config_selectorIssEEZZNS1_16scan_by_key_implILNS1_25lookback_scan_determinismE0ELb0ES3_N6thrust23THRUST_200600_302600_NS6detail15normal_iteratorINS9_10device_ptrIsEEEESE_SE_sNS9_4plusIvEENS9_8equal_toIsEEsEE10hipError_tPvRmT2_T3_T4_T5_mT6_T7_P12ihipStream_tbENKUlT_T0_E_clISt17integral_constantIbLb0EESY_IbLb1EEEEDaSU_SV_EUlSU_E_NS1_11comp_targetILNS1_3genE9ELNS1_11target_archE1100ELNS1_3gpuE3ELNS1_3repE0EEENS1_30default_config_static_selectorELNS0_4arch9wavefront6targetE0EEEvT1_, .Lfunc_end351-_ZN7rocprim17ROCPRIM_400000_NS6detail17trampoline_kernelINS0_14default_configENS1_27scan_by_key_config_selectorIssEEZZNS1_16scan_by_key_implILNS1_25lookback_scan_determinismE0ELb0ES3_N6thrust23THRUST_200600_302600_NS6detail15normal_iteratorINS9_10device_ptrIsEEEESE_SE_sNS9_4plusIvEENS9_8equal_toIsEEsEE10hipError_tPvRmT2_T3_T4_T5_mT6_T7_P12ihipStream_tbENKUlT_T0_E_clISt17integral_constantIbLb0EESY_IbLb1EEEEDaSU_SV_EUlSU_E_NS1_11comp_targetILNS1_3genE9ELNS1_11target_archE1100ELNS1_3gpuE3ELNS1_3repE0EEENS1_30default_config_static_selectorELNS0_4arch9wavefront6targetE0EEEvT1_
                                        ; -- End function
	.set _ZN7rocprim17ROCPRIM_400000_NS6detail17trampoline_kernelINS0_14default_configENS1_27scan_by_key_config_selectorIssEEZZNS1_16scan_by_key_implILNS1_25lookback_scan_determinismE0ELb0ES3_N6thrust23THRUST_200600_302600_NS6detail15normal_iteratorINS9_10device_ptrIsEEEESE_SE_sNS9_4plusIvEENS9_8equal_toIsEEsEE10hipError_tPvRmT2_T3_T4_T5_mT6_T7_P12ihipStream_tbENKUlT_T0_E_clISt17integral_constantIbLb0EESY_IbLb1EEEEDaSU_SV_EUlSU_E_NS1_11comp_targetILNS1_3genE9ELNS1_11target_archE1100ELNS1_3gpuE3ELNS1_3repE0EEENS1_30default_config_static_selectorELNS0_4arch9wavefront6targetE0EEEvT1_.num_vgpr, 0
	.set _ZN7rocprim17ROCPRIM_400000_NS6detail17trampoline_kernelINS0_14default_configENS1_27scan_by_key_config_selectorIssEEZZNS1_16scan_by_key_implILNS1_25lookback_scan_determinismE0ELb0ES3_N6thrust23THRUST_200600_302600_NS6detail15normal_iteratorINS9_10device_ptrIsEEEESE_SE_sNS9_4plusIvEENS9_8equal_toIsEEsEE10hipError_tPvRmT2_T3_T4_T5_mT6_T7_P12ihipStream_tbENKUlT_T0_E_clISt17integral_constantIbLb0EESY_IbLb1EEEEDaSU_SV_EUlSU_E_NS1_11comp_targetILNS1_3genE9ELNS1_11target_archE1100ELNS1_3gpuE3ELNS1_3repE0EEENS1_30default_config_static_selectorELNS0_4arch9wavefront6targetE0EEEvT1_.num_agpr, 0
	.set _ZN7rocprim17ROCPRIM_400000_NS6detail17trampoline_kernelINS0_14default_configENS1_27scan_by_key_config_selectorIssEEZZNS1_16scan_by_key_implILNS1_25lookback_scan_determinismE0ELb0ES3_N6thrust23THRUST_200600_302600_NS6detail15normal_iteratorINS9_10device_ptrIsEEEESE_SE_sNS9_4plusIvEENS9_8equal_toIsEEsEE10hipError_tPvRmT2_T3_T4_T5_mT6_T7_P12ihipStream_tbENKUlT_T0_E_clISt17integral_constantIbLb0EESY_IbLb1EEEEDaSU_SV_EUlSU_E_NS1_11comp_targetILNS1_3genE9ELNS1_11target_archE1100ELNS1_3gpuE3ELNS1_3repE0EEENS1_30default_config_static_selectorELNS0_4arch9wavefront6targetE0EEEvT1_.numbered_sgpr, 0
	.set _ZN7rocprim17ROCPRIM_400000_NS6detail17trampoline_kernelINS0_14default_configENS1_27scan_by_key_config_selectorIssEEZZNS1_16scan_by_key_implILNS1_25lookback_scan_determinismE0ELb0ES3_N6thrust23THRUST_200600_302600_NS6detail15normal_iteratorINS9_10device_ptrIsEEEESE_SE_sNS9_4plusIvEENS9_8equal_toIsEEsEE10hipError_tPvRmT2_T3_T4_T5_mT6_T7_P12ihipStream_tbENKUlT_T0_E_clISt17integral_constantIbLb0EESY_IbLb1EEEEDaSU_SV_EUlSU_E_NS1_11comp_targetILNS1_3genE9ELNS1_11target_archE1100ELNS1_3gpuE3ELNS1_3repE0EEENS1_30default_config_static_selectorELNS0_4arch9wavefront6targetE0EEEvT1_.num_named_barrier, 0
	.set _ZN7rocprim17ROCPRIM_400000_NS6detail17trampoline_kernelINS0_14default_configENS1_27scan_by_key_config_selectorIssEEZZNS1_16scan_by_key_implILNS1_25lookback_scan_determinismE0ELb0ES3_N6thrust23THRUST_200600_302600_NS6detail15normal_iteratorINS9_10device_ptrIsEEEESE_SE_sNS9_4plusIvEENS9_8equal_toIsEEsEE10hipError_tPvRmT2_T3_T4_T5_mT6_T7_P12ihipStream_tbENKUlT_T0_E_clISt17integral_constantIbLb0EESY_IbLb1EEEEDaSU_SV_EUlSU_E_NS1_11comp_targetILNS1_3genE9ELNS1_11target_archE1100ELNS1_3gpuE3ELNS1_3repE0EEENS1_30default_config_static_selectorELNS0_4arch9wavefront6targetE0EEEvT1_.private_seg_size, 0
	.set _ZN7rocprim17ROCPRIM_400000_NS6detail17trampoline_kernelINS0_14default_configENS1_27scan_by_key_config_selectorIssEEZZNS1_16scan_by_key_implILNS1_25lookback_scan_determinismE0ELb0ES3_N6thrust23THRUST_200600_302600_NS6detail15normal_iteratorINS9_10device_ptrIsEEEESE_SE_sNS9_4plusIvEENS9_8equal_toIsEEsEE10hipError_tPvRmT2_T3_T4_T5_mT6_T7_P12ihipStream_tbENKUlT_T0_E_clISt17integral_constantIbLb0EESY_IbLb1EEEEDaSU_SV_EUlSU_E_NS1_11comp_targetILNS1_3genE9ELNS1_11target_archE1100ELNS1_3gpuE3ELNS1_3repE0EEENS1_30default_config_static_selectorELNS0_4arch9wavefront6targetE0EEEvT1_.uses_vcc, 0
	.set _ZN7rocprim17ROCPRIM_400000_NS6detail17trampoline_kernelINS0_14default_configENS1_27scan_by_key_config_selectorIssEEZZNS1_16scan_by_key_implILNS1_25lookback_scan_determinismE0ELb0ES3_N6thrust23THRUST_200600_302600_NS6detail15normal_iteratorINS9_10device_ptrIsEEEESE_SE_sNS9_4plusIvEENS9_8equal_toIsEEsEE10hipError_tPvRmT2_T3_T4_T5_mT6_T7_P12ihipStream_tbENKUlT_T0_E_clISt17integral_constantIbLb0EESY_IbLb1EEEEDaSU_SV_EUlSU_E_NS1_11comp_targetILNS1_3genE9ELNS1_11target_archE1100ELNS1_3gpuE3ELNS1_3repE0EEENS1_30default_config_static_selectorELNS0_4arch9wavefront6targetE0EEEvT1_.uses_flat_scratch, 0
	.set _ZN7rocprim17ROCPRIM_400000_NS6detail17trampoline_kernelINS0_14default_configENS1_27scan_by_key_config_selectorIssEEZZNS1_16scan_by_key_implILNS1_25lookback_scan_determinismE0ELb0ES3_N6thrust23THRUST_200600_302600_NS6detail15normal_iteratorINS9_10device_ptrIsEEEESE_SE_sNS9_4plusIvEENS9_8equal_toIsEEsEE10hipError_tPvRmT2_T3_T4_T5_mT6_T7_P12ihipStream_tbENKUlT_T0_E_clISt17integral_constantIbLb0EESY_IbLb1EEEEDaSU_SV_EUlSU_E_NS1_11comp_targetILNS1_3genE9ELNS1_11target_archE1100ELNS1_3gpuE3ELNS1_3repE0EEENS1_30default_config_static_selectorELNS0_4arch9wavefront6targetE0EEEvT1_.has_dyn_sized_stack, 0
	.set _ZN7rocprim17ROCPRIM_400000_NS6detail17trampoline_kernelINS0_14default_configENS1_27scan_by_key_config_selectorIssEEZZNS1_16scan_by_key_implILNS1_25lookback_scan_determinismE0ELb0ES3_N6thrust23THRUST_200600_302600_NS6detail15normal_iteratorINS9_10device_ptrIsEEEESE_SE_sNS9_4plusIvEENS9_8equal_toIsEEsEE10hipError_tPvRmT2_T3_T4_T5_mT6_T7_P12ihipStream_tbENKUlT_T0_E_clISt17integral_constantIbLb0EESY_IbLb1EEEEDaSU_SV_EUlSU_E_NS1_11comp_targetILNS1_3genE9ELNS1_11target_archE1100ELNS1_3gpuE3ELNS1_3repE0EEENS1_30default_config_static_selectorELNS0_4arch9wavefront6targetE0EEEvT1_.has_recursion, 0
	.set _ZN7rocprim17ROCPRIM_400000_NS6detail17trampoline_kernelINS0_14default_configENS1_27scan_by_key_config_selectorIssEEZZNS1_16scan_by_key_implILNS1_25lookback_scan_determinismE0ELb0ES3_N6thrust23THRUST_200600_302600_NS6detail15normal_iteratorINS9_10device_ptrIsEEEESE_SE_sNS9_4plusIvEENS9_8equal_toIsEEsEE10hipError_tPvRmT2_T3_T4_T5_mT6_T7_P12ihipStream_tbENKUlT_T0_E_clISt17integral_constantIbLb0EESY_IbLb1EEEEDaSU_SV_EUlSU_E_NS1_11comp_targetILNS1_3genE9ELNS1_11target_archE1100ELNS1_3gpuE3ELNS1_3repE0EEENS1_30default_config_static_selectorELNS0_4arch9wavefront6targetE0EEEvT1_.has_indirect_call, 0
	.section	.AMDGPU.csdata,"",@progbits
; Kernel info:
; codeLenInByte = 0
; TotalNumSgprs: 0
; NumVgprs: 0
; ScratchSize: 0
; MemoryBound: 0
; FloatMode: 240
; IeeeMode: 1
; LDSByteSize: 0 bytes/workgroup (compile time only)
; SGPRBlocks: 0
; VGPRBlocks: 0
; NumSGPRsForWavesPerEU: 1
; NumVGPRsForWavesPerEU: 1
; Occupancy: 16
; WaveLimiterHint : 0
; COMPUTE_PGM_RSRC2:SCRATCH_EN: 0
; COMPUTE_PGM_RSRC2:USER_SGPR: 6
; COMPUTE_PGM_RSRC2:TRAP_HANDLER: 0
; COMPUTE_PGM_RSRC2:TGID_X_EN: 1
; COMPUTE_PGM_RSRC2:TGID_Y_EN: 0
; COMPUTE_PGM_RSRC2:TGID_Z_EN: 0
; COMPUTE_PGM_RSRC2:TIDIG_COMP_CNT: 0
	.section	.text._ZN7rocprim17ROCPRIM_400000_NS6detail17trampoline_kernelINS0_14default_configENS1_27scan_by_key_config_selectorIssEEZZNS1_16scan_by_key_implILNS1_25lookback_scan_determinismE0ELb0ES3_N6thrust23THRUST_200600_302600_NS6detail15normal_iteratorINS9_10device_ptrIsEEEESE_SE_sNS9_4plusIvEENS9_8equal_toIsEEsEE10hipError_tPvRmT2_T3_T4_T5_mT6_T7_P12ihipStream_tbENKUlT_T0_E_clISt17integral_constantIbLb0EESY_IbLb1EEEEDaSU_SV_EUlSU_E_NS1_11comp_targetILNS1_3genE8ELNS1_11target_archE1030ELNS1_3gpuE2ELNS1_3repE0EEENS1_30default_config_static_selectorELNS0_4arch9wavefront6targetE0EEEvT1_,"axG",@progbits,_ZN7rocprim17ROCPRIM_400000_NS6detail17trampoline_kernelINS0_14default_configENS1_27scan_by_key_config_selectorIssEEZZNS1_16scan_by_key_implILNS1_25lookback_scan_determinismE0ELb0ES3_N6thrust23THRUST_200600_302600_NS6detail15normal_iteratorINS9_10device_ptrIsEEEESE_SE_sNS9_4plusIvEENS9_8equal_toIsEEsEE10hipError_tPvRmT2_T3_T4_T5_mT6_T7_P12ihipStream_tbENKUlT_T0_E_clISt17integral_constantIbLb0EESY_IbLb1EEEEDaSU_SV_EUlSU_E_NS1_11comp_targetILNS1_3genE8ELNS1_11target_archE1030ELNS1_3gpuE2ELNS1_3repE0EEENS1_30default_config_static_selectorELNS0_4arch9wavefront6targetE0EEEvT1_,comdat
	.protected	_ZN7rocprim17ROCPRIM_400000_NS6detail17trampoline_kernelINS0_14default_configENS1_27scan_by_key_config_selectorIssEEZZNS1_16scan_by_key_implILNS1_25lookback_scan_determinismE0ELb0ES3_N6thrust23THRUST_200600_302600_NS6detail15normal_iteratorINS9_10device_ptrIsEEEESE_SE_sNS9_4plusIvEENS9_8equal_toIsEEsEE10hipError_tPvRmT2_T3_T4_T5_mT6_T7_P12ihipStream_tbENKUlT_T0_E_clISt17integral_constantIbLb0EESY_IbLb1EEEEDaSU_SV_EUlSU_E_NS1_11comp_targetILNS1_3genE8ELNS1_11target_archE1030ELNS1_3gpuE2ELNS1_3repE0EEENS1_30default_config_static_selectorELNS0_4arch9wavefront6targetE0EEEvT1_ ; -- Begin function _ZN7rocprim17ROCPRIM_400000_NS6detail17trampoline_kernelINS0_14default_configENS1_27scan_by_key_config_selectorIssEEZZNS1_16scan_by_key_implILNS1_25lookback_scan_determinismE0ELb0ES3_N6thrust23THRUST_200600_302600_NS6detail15normal_iteratorINS9_10device_ptrIsEEEESE_SE_sNS9_4plusIvEENS9_8equal_toIsEEsEE10hipError_tPvRmT2_T3_T4_T5_mT6_T7_P12ihipStream_tbENKUlT_T0_E_clISt17integral_constantIbLb0EESY_IbLb1EEEEDaSU_SV_EUlSU_E_NS1_11comp_targetILNS1_3genE8ELNS1_11target_archE1030ELNS1_3gpuE2ELNS1_3repE0EEENS1_30default_config_static_selectorELNS0_4arch9wavefront6targetE0EEEvT1_
	.globl	_ZN7rocprim17ROCPRIM_400000_NS6detail17trampoline_kernelINS0_14default_configENS1_27scan_by_key_config_selectorIssEEZZNS1_16scan_by_key_implILNS1_25lookback_scan_determinismE0ELb0ES3_N6thrust23THRUST_200600_302600_NS6detail15normal_iteratorINS9_10device_ptrIsEEEESE_SE_sNS9_4plusIvEENS9_8equal_toIsEEsEE10hipError_tPvRmT2_T3_T4_T5_mT6_T7_P12ihipStream_tbENKUlT_T0_E_clISt17integral_constantIbLb0EESY_IbLb1EEEEDaSU_SV_EUlSU_E_NS1_11comp_targetILNS1_3genE8ELNS1_11target_archE1030ELNS1_3gpuE2ELNS1_3repE0EEENS1_30default_config_static_selectorELNS0_4arch9wavefront6targetE0EEEvT1_
	.p2align	8
	.type	_ZN7rocprim17ROCPRIM_400000_NS6detail17trampoline_kernelINS0_14default_configENS1_27scan_by_key_config_selectorIssEEZZNS1_16scan_by_key_implILNS1_25lookback_scan_determinismE0ELb0ES3_N6thrust23THRUST_200600_302600_NS6detail15normal_iteratorINS9_10device_ptrIsEEEESE_SE_sNS9_4plusIvEENS9_8equal_toIsEEsEE10hipError_tPvRmT2_T3_T4_T5_mT6_T7_P12ihipStream_tbENKUlT_T0_E_clISt17integral_constantIbLb0EESY_IbLb1EEEEDaSU_SV_EUlSU_E_NS1_11comp_targetILNS1_3genE8ELNS1_11target_archE1030ELNS1_3gpuE2ELNS1_3repE0EEENS1_30default_config_static_selectorELNS0_4arch9wavefront6targetE0EEEvT1_,@function
_ZN7rocprim17ROCPRIM_400000_NS6detail17trampoline_kernelINS0_14default_configENS1_27scan_by_key_config_selectorIssEEZZNS1_16scan_by_key_implILNS1_25lookback_scan_determinismE0ELb0ES3_N6thrust23THRUST_200600_302600_NS6detail15normal_iteratorINS9_10device_ptrIsEEEESE_SE_sNS9_4plusIvEENS9_8equal_toIsEEsEE10hipError_tPvRmT2_T3_T4_T5_mT6_T7_P12ihipStream_tbENKUlT_T0_E_clISt17integral_constantIbLb0EESY_IbLb1EEEEDaSU_SV_EUlSU_E_NS1_11comp_targetILNS1_3genE8ELNS1_11target_archE1030ELNS1_3gpuE2ELNS1_3repE0EEENS1_30default_config_static_selectorELNS0_4arch9wavefront6targetE0EEEvT1_: ; @_ZN7rocprim17ROCPRIM_400000_NS6detail17trampoline_kernelINS0_14default_configENS1_27scan_by_key_config_selectorIssEEZZNS1_16scan_by_key_implILNS1_25lookback_scan_determinismE0ELb0ES3_N6thrust23THRUST_200600_302600_NS6detail15normal_iteratorINS9_10device_ptrIsEEEESE_SE_sNS9_4plusIvEENS9_8equal_toIsEEsEE10hipError_tPvRmT2_T3_T4_T5_mT6_T7_P12ihipStream_tbENKUlT_T0_E_clISt17integral_constantIbLb0EESY_IbLb1EEEEDaSU_SV_EUlSU_E_NS1_11comp_targetILNS1_3genE8ELNS1_11target_archE1030ELNS1_3gpuE2ELNS1_3repE0EEENS1_30default_config_static_selectorELNS0_4arch9wavefront6targetE0EEEvT1_
; %bb.0:
	s_clause 0x1
	s_load_dwordx4 s[24:27], s[4:5], 0x28
	s_load_dwordx2 s[30:31], s[4:5], 0x38
	v_cmp_ne_u32_e64 s1, 0, v0
	v_cmp_eq_u32_e64 s0, 0, v0
	s_and_saveexec_b32 s2, s0
	s_cbranch_execz .LBB352_4
; %bb.1:
	s_mov_b32 s6, exec_lo
	s_mov_b32 s3, exec_lo
	v_mbcnt_lo_u32_b32 v1, s6, 0
                                        ; implicit-def: $vgpr2
	v_cmpx_eq_u32_e32 0, v1
	s_cbranch_execz .LBB352_3
; %bb.2:
	s_load_dwordx2 s[8:9], s[4:5], 0x68
	s_bcnt1_i32_b32 s6, s6
	v_mov_b32_e32 v2, 0
	v_mov_b32_e32 v3, s6
	s_waitcnt lgkmcnt(0)
	global_atomic_add v2, v2, v3, s[8:9] glc
.LBB352_3:
	s_or_b32 exec_lo, exec_lo, s3
	s_waitcnt vmcnt(0)
	v_readfirstlane_b32 s3, v2
	v_mov_b32_e32 v2, 0
	v_add_nc_u32_e32 v1, s3, v1
	ds_write_b32 v2, v1
.LBB352_4:
	s_or_b32 exec_lo, exec_lo, s2
	v_mov_b32_e32 v1, 0
	s_clause 0x2
	s_load_dwordx8 s[8:15], s[4:5], 0x0
	s_load_dword s6, s[4:5], 0x40
	s_load_dwordx8 s[16:23], s[4:5], 0x48
	s_waitcnt lgkmcnt(0)
	s_barrier
	buffer_gl0_inv
	ds_read_b32 v1, v1
	s_waitcnt lgkmcnt(0)
	s_barrier
	buffer_gl0_inv
	s_barrier
	buffer_gl0_inv
	s_lshl_b64 s[28:29], s[10:11], 1
	s_mul_i32 s2, s31, s6
	s_add_u32 s4, s8, s28
	s_addc_u32 s5, s9, s29
	s_mul_hi_u32 s3, s30, s6
	s_add_u32 s7, s12, s28
	v_readfirstlane_b32 s36, v1
	s_addc_u32 s8, s13, s29
	s_add_i32 s9, s3, s2
	s_cmp_lg_u64 s[20:21], 0
	s_mov_b32 s3, 0
	s_mul_i32 s2, s36, 0x280
	s_cselect_b32 s39, -1, 0
	s_lshl_b64 s[12:13], s[2:3], 1
	s_mul_i32 s2, s30, s6
	s_add_u32 s20, s4, s12
	s_addc_u32 s21, s5, s13
	s_add_u32 s37, s7, s12
	s_addc_u32 s38, s8, s13
	s_add_u32 s34, s2, s36
	s_addc_u32 s35, s9, 0
	s_add_u32 s4, s16, -1
	s_addc_u32 s5, s17, -1
	s_mul_i32 s33, s4, 0xfffffd80
	v_cmp_ge_u64_e64 s27, s[34:35], s[4:5]
	s_and_b32 vcc_lo, exec_lo, s27
	s_cbranch_vccz .LBB352_61
; %bb.5:
	v_mov_b32_e32 v1, s20
	v_mov_b32_e32 v2, s21
	s_add_i32 s40, s33, s26
	v_cmp_gt_u32_e64 s11, s40, v0
	flat_load_ushort v1, v[1:2]
	s_waitcnt vmcnt(0) lgkmcnt(0)
	v_mov_b32_e32 v2, v1
	s_and_saveexec_b32 s2, s11
	s_cbranch_execz .LBB352_7
; %bb.6:
	v_lshlrev_b32_e32 v2, 1, v0
	v_add_co_u32 v2, s3, s20, v2
	v_add_co_ci_u32_e64 v3, null, s21, 0, s3
	flat_load_ushort v2, v[2:3]
.LBB352_7:
	s_or_b32 exec_lo, exec_lo, s2
	v_or_b32_e32 v3, 64, v0
	v_cmp_gt_u32_e64 s10, s40, v3
	v_mov_b32_e32 v3, v1
	s_and_saveexec_b32 s2, s10
	s_cbranch_execz .LBB352_9
; %bb.8:
	v_lshlrev_b32_e32 v3, 1, v0
	v_add_co_u32 v3, s3, s20, v3
	v_add_co_ci_u32_e64 v4, null, s21, 0, s3
	flat_load_ushort v3, v[3:4] offset:128
.LBB352_9:
	s_or_b32 exec_lo, exec_lo, s2
	v_or_b32_e32 v4, 0x80, v0
	v_cmp_gt_u32_e64 s9, s40, v4
	v_mov_b32_e32 v4, v1
	s_and_saveexec_b32 s2, s9
	s_cbranch_execz .LBB352_11
; %bb.10:
	v_lshlrev_b32_e32 v4, 1, v0
	v_add_co_u32 v4, s3, s20, v4
	v_add_co_ci_u32_e64 v5, null, s21, 0, s3
	flat_load_ushort v4, v[4:5] offset:256
.LBB352_11:
	;; [unrolled: 12-line block ×8, first 2 shown]
	s_or_b32 exec_lo, exec_lo, s2
	v_or_b32_e32 v11, 0x240, v0
	s_mov_b32 s16, exec_lo
	v_cmp_gt_u32_e64 s2, s40, v11
	v_cmpx_le_u32_e64 s40, v11
	s_xor_b32 s16, exec_lo, s16
	s_andn2_saveexec_b32 s16, s16
	s_cbranch_execz .LBB352_25
; %bb.24:
	v_lshlrev_b32_e32 v1, 1, v0
	v_add_co_u32 v11, s17, s20, v1
	v_add_co_ci_u32_e64 v12, null, s21, 0, s17
	flat_load_ushort v1, v[11:12] offset:1152
.LBB352_25:
	s_or_b32 exec_lo, exec_lo, s16
	v_lshlrev_b32_e32 v13, 1, v0
	s_cmp_eq_u64 s[34:35], 0
	s_mov_b64 s[16:17], s[20:21]
	s_waitcnt vmcnt(0) lgkmcnt(0)
	ds_write_b16 v13, v2
	ds_write_b16 v13, v3 offset:128
	ds_write_b16 v13, v4 offset:256
	;; [unrolled: 1-line block ×8, first 2 shown]
	v_mad_u32_u24 v23, v0, 18, v13
	ds_write_b16 v13, v1 offset:1152
	s_waitcnt lgkmcnt(0)
	s_barrier
	buffer_gl0_inv
	ds_read2_b32 v[11:12], v23 offset1:1
	ds_read2_b32 v[9:10], v23 offset0:2 offset1:3
	ds_read_b32 v22, v23 offset:16
	s_cbranch_scc1 .LBB352_29
; %bb.26:
	s_andn2_b32 vcc_lo, exec_lo, s39
	s_cbranch_vccnz .LBB352_201
; %bb.27:
	s_lshl_b64 s[16:17], s[34:35], 1
	s_add_u32 s16, s22, s16
	s_addc_u32 s17, s23, s17
	s_add_u32 s16, s16, -2
	s_addc_u32 s17, s17, -1
	s_cbranch_execnz .LBB352_29
.LBB352_28:
	s_add_u32 s16, s20, -2
	s_addc_u32 s17, s21, -1
.LBB352_29:
	v_mov_b32_e32 v1, s16
	v_mov_b32_e32 v2, s17
	s_waitcnt lgkmcnt(0)
	v_lshrrev_b32_e32 v24, 16, v22
	flat_load_ushort v28, v[1:2]
	v_mad_i32_i24 v1, 0xffffffee, v0, v23
	ds_write_b16 v1, v24 offset:1280
	s_waitcnt vmcnt(0) lgkmcnt(0)
	s_barrier
	buffer_gl0_inv
	s_and_saveexec_b32 s16, s1
; %bb.30:
	v_mul_i32_i24_e32 v1, 0xffffffee, v0
	v_add_nc_u32_e32 v1, v23, v1
	ds_read_u16 v28, v1 offset:1278
; %bb.31:
	s_or_b32 exec_lo, exec_lo, s16
	v_mov_b32_e32 v1, 0
	v_lshlrev_b32_e32 v14, 1, v0
	s_waitcnt lgkmcnt(0)
	s_barrier
	buffer_gl0_inv
	v_mov_b32_e32 v2, v1
	v_mov_b32_e32 v3, v1
	;; [unrolled: 1-line block ×4, first 2 shown]
	s_and_saveexec_b32 s16, s11
	s_cbranch_execnz .LBB352_192
; %bb.32:
	s_or_b32 exec_lo, exec_lo, s16
	s_and_saveexec_b32 s11, s10
	s_cbranch_execnz .LBB352_193
.LBB352_33:
	s_or_b32 exec_lo, exec_lo, s11
	s_and_saveexec_b32 s10, s9
	s_cbranch_execnz .LBB352_194
.LBB352_34:
	s_or_b32 exec_lo, exec_lo, s10
	s_and_saveexec_b32 s9, s8
	s_cbranch_execnz .LBB352_195
.LBB352_35:
	s_or_b32 exec_lo, exec_lo, s9
	s_and_saveexec_b32 s8, s7
	s_cbranch_execnz .LBB352_196
.LBB352_36:
	s_or_b32 exec_lo, exec_lo, s8
	s_and_saveexec_b32 s7, s6
	s_cbranch_execnz .LBB352_197
.LBB352_37:
	s_or_b32 exec_lo, exec_lo, s7
	s_and_saveexec_b32 s6, s5
	s_cbranch_execnz .LBB352_198
.LBB352_38:
	s_or_b32 exec_lo, exec_lo, s6
	s_and_saveexec_b32 s5, s4
	s_cbranch_execnz .LBB352_199
.LBB352_39:
	s_or_b32 exec_lo, exec_lo, s5
	s_and_saveexec_b32 s4, s3
	s_cbranch_execnz .LBB352_200
.LBB352_40:
	s_or_b32 exec_lo, exec_lo, s4
	s_and_saveexec_b32 s3, s2
	s_cbranch_execz .LBB352_42
.LBB352_41:
	v_add_co_u32 v6, s2, s37, v14
	v_add_co_ci_u32_e64 v7, null, s38, 0, s2
	s_waitcnt vmcnt(0) lgkmcnt(0)
	flat_load_short_d16_hi v5, v[6:7] offset:1152
.LBB352_42:
	s_or_b32 exec_lo, exec_lo, s3
	v_mul_u32_u24_e32 v29, 10, v0
	s_waitcnt vmcnt(0) lgkmcnt(0)
	ds_write_b16 v13, v1
	ds_write_b16_d16_hi v13, v1 offset:128
	ds_write_b16 v13, v2 offset:256
	ds_write_b16_d16_hi v13, v2 offset:384
	ds_write_b16 v13, v3 offset:512
	;; [unrolled: 2-line block ×4, first 2 shown]
	ds_write_b16_d16_hi v13, v5 offset:1152
	v_mov_b32_e32 v18, 0
	v_mov_b32_e32 v1, 0
	;; [unrolled: 1-line block ×3, first 2 shown]
	v_cmp_gt_u32_e32 vcc_lo, s40, v29
	v_mov_b32_e32 v26, 0
	v_mov_b32_e32 v25, 0
	;; [unrolled: 1-line block ×13, first 2 shown]
	s_mov_b32 s2, 0
	s_mov_b32 s3, 0
	s_waitcnt lgkmcnt(0)
	s_barrier
	buffer_gl0_inv
                                        ; implicit-def: $sgpr4
                                        ; implicit-def: $vgpr7
	s_and_saveexec_b32 s5, vcc_lo
	s_cbranch_execz .LBB352_60
; %bb.43:
	ds_read_u16 v18, v23
	v_cmp_eq_u16_e32 vcc_lo, v28, v11
	v_or_b32_e32 v2, 1, v29
	v_mov_b32_e32 v1, 0
	v_mov_b32_e32 v27, 0
	;; [unrolled: 1-line block ×3, first 2 shown]
	v_cndmask_b32_e64 v21, 0x10000, 0, vcc_lo
	v_mov_b32_e32 v25, 0
	v_mov_b32_e32 v8, 0
	;; [unrolled: 1-line block ×11, first 2 shown]
	s_mov_b32 s6, 0
	s_mov_b32 s3, exec_lo
                                        ; implicit-def: $sgpr4
                                        ; implicit-def: $vgpr7
	v_cmpx_gt_u32_e64 s40, v2
	s_cbranch_execz .LBB352_59
; %bb.44:
	ds_read_b128 v[1:4], v23 offset:2
	v_add_nc_u32_e32 v5, 2, v29
	v_cmp_eq_u16_sdwa s4, v11, v11 src0_sel:DWORD src1_sel:WORD_1
	v_mov_b32_e32 v27, 0
	v_mov_b32_e32 v26, 0
	;; [unrolled: 1-line block ×3, first 2 shown]
	v_cmp_gt_u32_e32 vcc_lo, s40, v5
	v_cndmask_b32_e64 v20, 0x10000, 0, s4
	v_mov_b32_e32 v8, 0
	v_mov_b32_e32 v6, 0
	;; [unrolled: 1-line block ×9, first 2 shown]
	s_mov_b32 s7, 0
                                        ; implicit-def: $sgpr4
                                        ; implicit-def: $vgpr7
	s_and_saveexec_b32 s6, vcc_lo
	s_cbranch_execz .LBB352_58
; %bb.45:
	v_add_nc_u32_e32 v5, 3, v29
	v_cmp_eq_u16_sdwa s4, v11, v12 src0_sel:WORD_1 src1_sel:DWORD
	v_mov_b32_e32 v26, 0
	v_mov_b32_e32 v25, 0
	;; [unrolled: 1-line block ×3, first 2 shown]
	v_cmp_gt_u32_e32 vcc_lo, s40, v5
	v_cndmask_b32_e64 v11, 0x10000, 0, s4
	v_mov_b32_e32 v6, 0
	v_mov_b32_e32 v5, 0
	;; [unrolled: 1-line block ×7, first 2 shown]
	s_mov_b32 s8, 0
                                        ; implicit-def: $sgpr4
                                        ; implicit-def: $vgpr7
	s_and_saveexec_b32 s7, vcc_lo
	s_cbranch_execz .LBB352_57
; %bb.46:
	v_add_nc_u32_e32 v5, 4, v29
	v_cmp_eq_u16_sdwa s4, v12, v12 src0_sel:DWORD src1_sel:WORD_1
	v_mov_b32_e32 v25, 0
	v_mov_b32_e32 v8, 0
	;; [unrolled: 1-line block ×3, first 2 shown]
	v_cmp_gt_u32_e32 vcc_lo, s40, v5
	v_cndmask_b32_e64 v17, 0x10000, 0, s4
	v_mov_b32_e32 v5, 0
	v_mov_b32_e32 v16, 0
	v_mov_b32_e32 v15, 0
	v_mov_b32_e32 v14, 0
	v_mov_b32_e32 v13, 0
	s_mov_b32 s9, 0
                                        ; implicit-def: $sgpr4
                                        ; implicit-def: $vgpr7
	s_and_saveexec_b32 s8, vcc_lo
	s_cbranch_execz .LBB352_56
; %bb.47:
	v_add_nc_u32_e32 v5, 5, v29
	v_cmp_eq_u16_sdwa s4, v12, v9 src0_sel:WORD_1 src1_sel:DWORD
	v_mov_b32_e32 v8, 0
	v_mov_b32_e32 v6, 0
	;; [unrolled: 1-line block ×3, first 2 shown]
	v_cmp_gt_u32_e32 vcc_lo, s40, v5
	v_cndmask_b32_e64 v12, 0x10000, 0, s4
	v_mov_b32_e32 v5, 0
	v_mov_b32_e32 v14, 0
	;; [unrolled: 1-line block ×3, first 2 shown]
	s_mov_b32 s10, 0
                                        ; implicit-def: $sgpr4
                                        ; implicit-def: $vgpr7
	s_and_saveexec_b32 s9, vcc_lo
	s_cbranch_execz .LBB352_55
; %bb.48:
	v_add_nc_u32_e32 v7, 6, v29
	v_cmp_eq_u16_sdwa s4, v9, v9 src0_sel:DWORD src1_sel:WORD_1
	v_mov_b32_e32 v6, 0
	v_mov_b32_e32 v5, 0
	;; [unrolled: 1-line block ×3, first 2 shown]
	v_cmp_gt_u32_e32 vcc_lo, s40, v7
	v_cndmask_b32_e64 v8, 0x10000, 0, s4
	v_mov_b32_e32 v13, 0
	s_mov_b32 s11, 0
                                        ; implicit-def: $sgpr4
                                        ; implicit-def: $vgpr7
	s_and_saveexec_b32 s10, vcc_lo
	s_cbranch_execz .LBB352_54
; %bb.49:
	v_add_nc_u32_e32 v7, 7, v29
	v_cmp_eq_u16_sdwa s4, v9, v10 src0_sel:WORD_1 src1_sel:DWORD
	v_mov_b32_e32 v5, 0
	v_mov_b32_e32 v13, 0
	s_mov_b32 s16, 0
	v_cmp_gt_u32_e32 vcc_lo, s40, v7
	v_cndmask_b32_e64 v6, 0x10000, 0, s4
                                        ; implicit-def: $sgpr4
                                        ; implicit-def: $vgpr7
	s_and_saveexec_b32 s11, vcc_lo
	s_cbranch_execz .LBB352_53
; %bb.50:
	v_add_nc_u32_e32 v7, 8, v29
	v_cmp_eq_u16_sdwa s4, v10, v10 src0_sel:DWORD src1_sel:WORD_1
	v_mov_b32_e32 v13, 0
	v_cmp_gt_u32_e32 vcc_lo, s40, v7
	v_cndmask_b32_e64 v5, 0x10000, 0, s4
                                        ; implicit-def: $sgpr4
                                        ; implicit-def: $vgpr7
	s_and_saveexec_b32 s17, vcc_lo
	s_xor_b32 s17, exec_lo, s17
	s_cbranch_execz .LBB352_52
; %bb.51:
	ds_read_u16 v7, v23 offset:18
	v_cmp_eq_u16_sdwa s4, v10, v22 src0_sel:WORD_1 src1_sel:DWORD
	v_add_nc_u32_e32 v9, 9, v29
	v_cndmask_b32_e64 v10, 0x10000, 0, s4
	v_cmp_gt_u32_e32 vcc_lo, s40, v9
	v_cmp_ne_u16_e64 s4, v22, v24
	s_waitcnt lgkmcnt(1)
	v_or_b32_sdwa v13, v10, v4 dst_sel:DWORD dst_unused:UNUSED_PAD src0_sel:DWORD src1_sel:WORD_1
	s_and_b32 s16, vcc_lo, exec_lo
.LBB352_52:
	s_or_b32 exec_lo, exec_lo, s17
	s_waitcnt lgkmcnt(0)
	v_and_or_b32 v5, 0xffff, v4, v5
	s_and_b32 s16, s16, exec_lo
.LBB352_53:
	s_or_b32 exec_lo, exec_lo, s11
	s_waitcnt lgkmcnt(0)
	v_or_b32_sdwa v6, v6, v3 dst_sel:DWORD dst_unused:UNUSED_PAD src0_sel:DWORD src1_sel:WORD_1
	v_mov_b32_e32 v14, v5
	s_and_b32 s11, s16, exec_lo
.LBB352_54:
	s_or_b32 exec_lo, exec_lo, s10
	s_waitcnt lgkmcnt(0)
	v_and_or_b32 v8, 0xffff, v3, v8
	v_mov_b32_e32 v15, v6
	s_and_b32 s10, s11, exec_lo
.LBB352_55:
	s_or_b32 exec_lo, exec_lo, s9
	s_waitcnt lgkmcnt(0)
	v_or_b32_sdwa v25, v12, v2 dst_sel:DWORD dst_unused:UNUSED_PAD src0_sel:DWORD src1_sel:WORD_1
	v_mov_b32_e32 v16, v8
	s_and_b32 s9, s10, exec_lo
.LBB352_56:
	s_or_b32 exec_lo, exec_lo, s8
	s_waitcnt lgkmcnt(0)
	v_and_or_b32 v26, 0xffff, v2, v17
	v_mov_b32_e32 v17, v25
	s_and_b32 s8, s9, exec_lo
.LBB352_57:
	s_or_b32 exec_lo, exec_lo, s7
	s_waitcnt lgkmcnt(0)
	v_or_b32_sdwa v27, v11, v1 dst_sel:DWORD dst_unused:UNUSED_PAD src0_sel:DWORD src1_sel:WORD_1
	v_mov_b32_e32 v19, v26
	s_and_b32 s7, s8, exec_lo
.LBB352_58:
	s_or_b32 exec_lo, exec_lo, s6
	s_waitcnt lgkmcnt(0)
	v_and_or_b32 v1, 0xffff, v1, v20
	v_mov_b32_e32 v20, v27
	s_and_b32 s6, s7, exec_lo
.LBB352_59:
	s_or_b32 exec_lo, exec_lo, s3
	s_waitcnt lgkmcnt(0)
	v_or_b32_e32 v18, v21, v18
	v_mov_b32_e32 v21, v1
	s_and_b32 s3, s6, exec_lo
.LBB352_60:
	s_or_b32 exec_lo, exec_lo, s5
	v_lshlrev_b32_e32 v9, 1, v0
	s_and_b32 vcc_lo, exec_lo, s2
	s_cbranch_vccnz .LBB352_62
	s_branch .LBB352_70
.LBB352_61:
                                        ; implicit-def: $sgpr4
                                        ; implicit-def: $vgpr7
                                        ; implicit-def: $vgpr18
                                        ; implicit-def: $vgpr1
                                        ; implicit-def: $vgpr27
                                        ; implicit-def: $vgpr26
                                        ; implicit-def: $vgpr25
                                        ; implicit-def: $vgpr8
                                        ; implicit-def: $vgpr6
                                        ; implicit-def: $vgpr5
                                        ; implicit-def: $vgpr21
                                        ; implicit-def: $vgpr20
                                        ; implicit-def: $vgpr19
                                        ; implicit-def: $vgpr17
                                        ; implicit-def: $vgpr16
                                        ; implicit-def: $vgpr15
                                        ; implicit-def: $vgpr14
                                        ; implicit-def: $vgpr13
	v_lshlrev_b32_e32 v9, 1, v0
	s_cbranch_execz .LBB352_70
.LBB352_62:
	v_add_co_u32 v1, s2, s20, v9
	v_add_co_ci_u32_e64 v2, null, s21, 0, s2
	v_mad_u32_u24 v6, v0, 18, v9
	s_cmp_eq_u64 s[34:35], 0
	s_clause 0x9
	flat_load_ushort v3, v[1:2]
	flat_load_ushort v4, v[1:2] offset:128
	flat_load_ushort v5, v[1:2] offset:256
	;; [unrolled: 1-line block ×9, first 2 shown]
	s_waitcnt vmcnt(9) lgkmcnt(9)
	ds_write_b16 v9, v3
	s_waitcnt vmcnt(8) lgkmcnt(9)
	ds_write_b16 v9, v4 offset:128
	s_waitcnt vmcnt(7) lgkmcnt(9)
	ds_write_b16 v9, v5 offset:256
	;; [unrolled: 2-line block ×9, first 2 shown]
	s_waitcnt lgkmcnt(0)
	s_barrier
	buffer_gl0_inv
	ds_read2_b32 v[3:4], v6 offset1:1
	ds_read2_b32 v[1:2], v6 offset0:2 offset1:3
	ds_read_b32 v5, v6 offset:16
	s_cbranch_scc1 .LBB352_67
; %bb.63:
	s_andn2_b32 vcc_lo, exec_lo, s39
	s_cbranch_vccnz .LBB352_202
; %bb.64:
	s_lshl_b64 s[2:3], s[34:35], 1
	s_add_u32 s2, s22, s2
	s_addc_u32 s3, s23, s3
	s_add_u32 s2, s2, -2
	s_addc_u32 s3, s3, -1
	s_cbranch_execnz .LBB352_66
.LBB352_65:
	s_add_u32 s2, s20, -2
	s_addc_u32 s3, s21, -1
.LBB352_66:
	s_mov_b64 s[20:21], s[2:3]
.LBB352_67:
	v_mov_b32_e32 v7, s20
	v_mov_b32_e32 v8, s21
	v_mad_i32_i24 v10, 0xffffffee, v0, v6
	flat_load_ushort v8, v[7:8]
	s_waitcnt lgkmcnt(1)
	v_lshrrev_b32_e32 v7, 16, v5
	ds_write_b16 v10, v7 offset:1280
	s_waitcnt vmcnt(0) lgkmcnt(0)
	s_barrier
	buffer_gl0_inv
	s_and_saveexec_b32 s2, s1
; %bb.68:
	v_mul_i32_i24_e32 v8, 0xffffffee, v0
	v_add_nc_u32_e32 v8, v6, v8
	ds_read_u16 v8, v8 offset:1278
; %bb.69:
	s_or_b32 exec_lo, exec_lo, s2
	v_add_co_u32 v10, s2, s37, v9
	v_add_co_ci_u32_e64 v11, null, s38, 0, s2
	s_waitcnt lgkmcnt(0)
	s_barrier
	buffer_gl0_inv
	s_clause 0x9
	flat_load_ushort v12, v[10:11]
	flat_load_ushort v13, v[10:11] offset:128
	flat_load_ushort v14, v[10:11] offset:256
	;; [unrolled: 1-line block ×9, first 2 shown]
	v_cmp_eq_u16_sdwa s2, v3, v3 src0_sel:DWORD src1_sel:WORD_1
	v_cmp_eq_u16_e32 vcc_lo, v8, v3
	v_cmp_ne_u16_e64 s4, v5, v7
	s_mov_b32 s3, -1
	s_waitcnt vmcnt(9) lgkmcnt(9)
	ds_write_b16 v9, v12
	s_waitcnt vmcnt(8) lgkmcnt(9)
	ds_write_b16 v9, v13 offset:128
	s_waitcnt vmcnt(7) lgkmcnt(9)
	ds_write_b16 v9, v14 offset:256
	;; [unrolled: 2-line block ×9, first 2 shown]
	v_cndmask_b32_e64 v8, 0x10000, 0, s2
	v_cmp_eq_u16_sdwa s2, v3, v4 src0_sel:WORD_1 src1_sel:DWORD
	s_waitcnt lgkmcnt(0)
	s_barrier
	buffer_gl0_inv
	ds_read2_b32 v[10:11], v6 offset1:1
	ds_read2_b32 v[12:13], v6 offset0:2 offset1:3
	ds_read_b32 v14, v6 offset:16
	v_cndmask_b32_e64 v3, 0x10000, 0, s2
	v_cmp_eq_u16_sdwa s2, v4, v4 src0_sel:DWORD src1_sel:WORD_1
	v_cndmask_b32_e64 v6, 0x10000, 0, vcc_lo
	v_cndmask_b32_e64 v15, 0x10000, 0, s2
	v_cmp_eq_u16_sdwa s2, v4, v1 src0_sel:WORD_1 src1_sel:DWORD
	v_cndmask_b32_e64 v4, 0x10000, 0, s2
	v_cmp_eq_u16_sdwa s2, v1, v1 src0_sel:DWORD src1_sel:WORD_1
	s_waitcnt lgkmcnt(2)
	v_and_or_b32 v18, 0xffff, v10, v6
	v_cndmask_b32_e64 v16, 0x10000, 0, s2
	v_cmp_eq_u16_sdwa s2, v1, v2 src0_sel:WORD_1 src1_sel:DWORD
	v_or_b32_sdwa v1, v8, v10 dst_sel:DWORD dst_unused:UNUSED_PAD src0_sel:DWORD src1_sel:WORD_1
	v_and_or_b32 v27, 0xffff, v11, v3
	v_or_b32_sdwa v26, v15, v11 dst_sel:DWORD dst_unused:UNUSED_PAD src0_sel:DWORD src1_sel:WORD_1
	s_waitcnt lgkmcnt(1)
	v_and_or_b32 v25, 0xffff, v12, v4
	v_cndmask_b32_e64 v17, 0x10000, 0, s2
	v_cmp_eq_u16_sdwa s2, v2, v2 src0_sel:DWORD src1_sel:WORD_1
	v_or_b32_sdwa v8, v16, v12 dst_sel:DWORD dst_unused:UNUSED_PAD src0_sel:DWORD src1_sel:WORD_1
	s_waitcnt lgkmcnt(0)
	v_lshrrev_b32_e32 v7, 16, v14
	v_mov_b32_e32 v21, v1
	v_and_or_b32 v6, 0xffff, v13, v17
	v_cndmask_b32_e64 v19, 0x10000, 0, s2
	v_cmp_eq_u16_sdwa s2, v2, v5 src0_sel:WORD_1 src1_sel:DWORD
	v_mov_b32_e32 v20, v27
	v_mov_b32_e32 v17, v25
	;; [unrolled: 1-line block ×3, first 2 shown]
	v_or_b32_sdwa v5, v19, v13 dst_sel:DWORD dst_unused:UNUSED_PAD src0_sel:DWORD src1_sel:WORD_1
	v_cndmask_b32_e64 v2, 0x10000, 0, s2
	v_mov_b32_e32 v19, v26
	v_mov_b32_e32 v15, v6
	v_and_or_b32 v13, 0xffff, v14, v2
	v_mov_b32_e32 v14, v5
.LBB352_70:
	v_mov_b32_e32 v10, 0
	s_and_saveexec_b32 s2, s3
	s_cbranch_execz .LBB352_72
; %bb.71:
	v_cndmask_b32_e64 v2, 0, 0x10000, s4
	v_mov_b32_e32 v14, v5
	v_mov_b32_e32 v15, v6
	;; [unrolled: 1-line block ×4, first 2 shown]
	v_or_b32_sdwa v10, v2, v7 dst_sel:DWORD dst_unused:UNUSED_PAD src0_sel:DWORD src1_sel:WORD_0
	v_mov_b32_e32 v19, v26
	v_mov_b32_e32 v20, v27
	;; [unrolled: 1-line block ×3, first 2 shown]
.LBB352_72:
	s_or_b32 exec_lo, exec_lo, s2
	v_or3_b32 v1, v14, v13, v15
	v_cmp_gt_u32_e64 s10, 0x10000, v21
	v_cmp_gt_u32_e64 s9, 0x10000, v20
	;; [unrolled: 1-line block ×8, first 2 shown]
	v_or3_b32 v12, v1, v16, v17
	v_cmp_gt_u32_e64 s3, 0x10000, v10
	v_lshrrev_b32_e32 v11, 3, v0
	s_cmp_lg_u32 s36, 0
	v_cmp_gt_u32_e32 vcc_lo, 32, v0
	s_barrier
	buffer_gl0_inv
	s_cbranch_scc0 .LBB352_122
; %bb.73:
	v_cndmask_b32_e64 v1, 0, v18, s10
	v_or3_b32 v2, v12, v19, v20
	v_and_b32_e32 v3, 4, v11
	v_lshrrev_b32_e32 v22, 16, v18
	v_add_nc_u16 v1, v1, v21
	v_or3_b32 v2, v2, v21, v10
	v_lshl_add_u32 v3, v0, 2, v3
	v_cndmask_b32_e64 v1, 0, v1, s9
	v_and_b32_e32 v2, 0xff0000, v2
	v_add_nc_u16 v1, v1, v20
	v_cmp_eq_u32_e64 s11, 0, v2
	v_cndmask_b32_e64 v1, 0, v1, s8
	v_cndmask_b32_e64 v23, 1, v22, s11
	v_add_nc_u16 v1, v1, v19
	v_cndmask_b32_e64 v1, 0, v1, s7
	v_add_nc_u16 v1, v1, v17
	;; [unrolled: 2-line block ×7, first 2 shown]
	ds_write_b8 v3, v23 offset:2
	ds_write_b16 v3, v24
	s_waitcnt lgkmcnt(0)
	s_barrier
	buffer_gl0_inv
	s_and_saveexec_b32 s16, vcc_lo
	s_cbranch_execz .LBB352_85
; %bb.74:
	v_lshrrev_b32_e32 v1, 2, v0
	v_lshlrev_b32_e32 v2, 3, v0
	s_mov_b32 s17, exec_lo
	v_and_b32_e32 v1, 12, v1
	v_add_nc_u32_e32 v1, v1, v2
	ds_read_u8 v3, v1 offset:6
	ds_read_b32 v2, v1
	ds_read_u16 v4, v1 offset:4
	s_waitcnt lgkmcnt(2)
	v_cmp_eq_u16_e64 s11, 0, v3
	v_and_b32_e32 v6, 1, v3
	s_waitcnt lgkmcnt(1)
	v_and_b32_e32 v3, 0x10000, v2
	v_cndmask_b32_e64 v5, 0, v2, s11
	v_cmp_eq_u32_e64 s11, 1, v6
	v_mbcnt_lo_u32_b32 v6, -1, 0
	s_waitcnt lgkmcnt(0)
	v_add_nc_u16 v5, v5, v4
	v_and_b32_e32 v4, 0xff000000, v2
	v_cndmask_b32_e64 v7, v3, 0x10000, s11
	v_and_b32_e32 v8, 0xffff, v5
	v_or_b32_e32 v25, v7, v4
	v_or3_b32 v26, v4, v8, v7
	v_and_b32_e32 v7, 15, v6
	v_lshrrev_b32_e32 v8, 16, v25
	v_mov_b32_dpp v27, v26 row_shr:1 row_mask:0xf bank_mask:0xf
	v_cmpx_ne_u32_e32 0, v7
	s_cbranch_execz .LBB352_76
; %bb.75:
	v_mov_b32_e32 v8, 0xff
	v_mov_b32_e32 v26, 1
	v_and_b32_sdwa v8, v25, v8 dst_sel:DWORD dst_unused:UNUSED_PAD src0_sel:WORD_1 src1_sel:DWORD
	v_and_b32_e32 v25, 0x10000, v25
	v_and_b32_sdwa v26, v27, v26 dst_sel:DWORD dst_unused:UNUSED_PAD src0_sel:WORD_1 src1_sel:DWORD
	v_cmp_eq_u16_e64 s11, 0, v8
	v_cndmask_b32_e64 v27, 0, v27, s11
	v_cmp_ne_u32_e64 s11, 0, v25
	v_add_nc_u16 v5, v27, v5
	v_cndmask_b32_e64 v8, v26, 1, s11
	v_and_b32_e32 v26, 0xffff, v5
	v_lshlrev_b32_e32 v25, 16, v8
	v_or3_b32 v26, v25, v26, v4
.LBB352_76:
	s_or_b32 exec_lo, exec_lo, s17
	v_lshrrev_b32_e32 v25, 16, v26
	v_mov_b32_dpp v27, v26 row_shr:2 row_mask:0xf bank_mask:0xf
	s_mov_b32 s17, exec_lo
	v_cmpx_lt_u32_e32 1, v7
	s_cbranch_execz .LBB352_78
; %bb.77:
	v_mov_b32_e32 v28, 0
	v_mov_b32_e32 v8, 1
	v_and_b32_e32 v26, 0x10000, v26
	v_cmp_eq_u16_sdwa s11, v25, v28 src0_sel:BYTE_0 src1_sel:DWORD
	v_and_b32_sdwa v8, v27, v8 dst_sel:DWORD dst_unused:UNUSED_PAD src0_sel:WORD_1 src1_sel:DWORD
	v_cndmask_b32_e64 v25, 0, v27, s11
	v_cmp_ne_u32_e64 s11, 0, v26
	v_add_nc_u16 v5, v25, v5
	v_cndmask_b32_e64 v8, v8, 1, s11
	v_and_b32_e32 v26, 0xffff, v5
	v_lshlrev_b32_e32 v25, 16, v8
	v_or3_b32 v26, v25, v26, v4
	v_mov_b32_e32 v25, v8
.LBB352_78:
	s_or_b32 exec_lo, exec_lo, s17
	v_mov_b32_dpp v27, v26 row_shr:4 row_mask:0xf bank_mask:0xf
	s_mov_b32 s17, exec_lo
	v_cmpx_lt_u32_e32 3, v7
	s_cbranch_execz .LBB352_80
; %bb.79:
	v_mov_b32_e32 v26, 0
	v_mov_b32_e32 v8, 1
	v_and_b32_e32 v28, 1, v25
	v_cmp_eq_u16_sdwa s11, v25, v26 src0_sel:BYTE_0 src1_sel:DWORD
	v_and_b32_sdwa v8, v27, v8 dst_sel:DWORD dst_unused:UNUSED_PAD src0_sel:WORD_1 src1_sel:DWORD
	v_cndmask_b32_e64 v25, 0, v27, s11
	v_cmp_eq_u32_e64 s11, 1, v28
	v_add_nc_u16 v5, v25, v5
	v_cndmask_b32_e64 v8, v8, 1, s11
	v_and_b32_e32 v26, 0xffff, v5
	v_lshlrev_b32_e32 v25, 16, v8
	v_or3_b32 v26, v25, v26, v4
	v_mov_b32_e32 v25, v8
.LBB352_80:
	s_or_b32 exec_lo, exec_lo, s17
	v_mov_b32_dpp v27, v26 row_shr:8 row_mask:0xf bank_mask:0xf
	s_mov_b32 s17, exec_lo
	v_cmpx_lt_u32_e32 7, v7
	s_cbranch_execz .LBB352_82
; %bb.81:
	v_mov_b32_e32 v8, 0
	v_mov_b32_e32 v7, 1
	v_and_b32_e32 v26, 1, v25
	v_cmp_eq_u16_sdwa s11, v25, v8 src0_sel:BYTE_0 src1_sel:DWORD
	v_and_b32_sdwa v7, v27, v7 dst_sel:DWORD dst_unused:UNUSED_PAD src0_sel:WORD_1 src1_sel:DWORD
	v_cndmask_b32_e64 v25, 0, v27, s11
	v_cmp_eq_u32_e64 s11, 1, v26
	v_add_nc_u16 v5, v25, v5
	v_cndmask_b32_e64 v8, v7, 1, s11
	v_and_b32_e32 v25, 0xffff, v5
	v_lshlrev_b32_e32 v7, 16, v8
	v_or3_b32 v26, v7, v25, v4
	v_mov_b32_e32 v25, v8
.LBB352_82:
	s_or_b32 exec_lo, exec_lo, s17
	ds_swizzle_b32 v7, v26 offset:swizzle(BROADCAST,32,15)
	v_and_b32_e32 v26, 16, v6
	s_mov_b32 s17, exec_lo
	v_cmpx_ne_u32_e32 0, v26
	s_cbranch_execz .LBB352_84
; %bb.83:
	v_mov_b32_e32 v8, 0
	v_mov_b32_e32 v26, 1
	v_cmp_eq_u16_sdwa s11, v25, v8 src0_sel:BYTE_0 src1_sel:DWORD
	v_and_b32_e32 v25, 1, v25
	s_waitcnt lgkmcnt(0)
	v_cndmask_b32_e64 v8, 0, v7, s11
	v_and_b32_sdwa v7, v7, v26 dst_sel:DWORD dst_unused:UNUSED_PAD src0_sel:WORD_1 src1_sel:DWORD
	v_cmp_eq_u32_e64 s11, 1, v25
	v_add_nc_u16 v5, v8, v5
	v_cndmask_b32_e64 v8, v7, 1, s11
.LBB352_84:
	s_or_b32 exec_lo, exec_lo, s17
	s_waitcnt lgkmcnt(0)
	v_and_b32_e32 v7, 0xff, v8
	v_add_nc_u32_e32 v8, -1, v6
	v_and_b32_e32 v5, 0xffff, v5
	; wave barrier
	v_lshlrev_b32_e32 v7, 16, v7
	v_cmp_gt_i32_e64 s11, 0, v8
	v_or3_b32 v4, v7, v5, v4
	v_cndmask_b32_e64 v6, v8, v6, s11
	v_lshlrev_b32_e32 v5, 2, v6
	v_mov_b32_e32 v6, 1
	ds_bpermute_b32 v4, v5, v4
	v_and_b32_e32 v5, 0xff0000, v2
	v_cmp_eq_u32_e64 s11, 0, v5
	s_waitcnt lgkmcnt(0)
	v_cndmask_b32_e64 v5, 0, v4, s11
	v_and_b32_sdwa v4, v4, v6 dst_sel:DWORD dst_unused:UNUSED_PAD src0_sel:WORD_1 src1_sel:DWORD
	v_cmp_eq_u32_e64 s11, 0, v3
	v_add_nc_u16 v2, v5, v2
	v_cndmask_b32_e64 v3, 1, v4, s11
	v_cndmask_b32_e64 v2, v2, v24, s0
	v_cndmask_b32_e64 v3, v3, v23, s0
	ds_write_b16 v1, v2
	ds_write_b8 v1, v3 offset:2
	; wave barrier
	ds_read_u8 v4, v1 offset:6
	ds_read_u16 v5, v1 offset:4
	s_waitcnt lgkmcnt(1)
	v_cmp_eq_u16_e64 s11, 0, v4
	v_and_b32_e32 v4, 1, v4
	v_cndmask_b32_e64 v2, 0, v2, s11
	v_cmp_eq_u32_e64 s11, 1, v4
	s_waitcnt lgkmcnt(0)
	v_add_nc_u16 v2, v2, v5
	v_cndmask_b32_e64 v3, v3, 1, s11
	ds_write_b16 v1, v2 offset:4
	ds_write_b8 v1, v3 offset:6
.LBB352_85:
	s_or_b32 exec_lo, exec_lo, s16
	s_waitcnt lgkmcnt(0)
	s_barrier
	buffer_gl0_inv
	s_and_saveexec_b32 s11, s1
	s_cbranch_execz .LBB352_87
; %bb.86:
	v_add_nc_u32_e32 v1, -1, v0
	v_lshrrev_b32_e32 v2, 3, v1
	v_and_b32_e32 v2, 0x1ffffffc, v2
	v_lshl_add_u32 v1, v1, 2, v2
	ds_read_u16 v24, v1
	ds_read_u8 v23, v1 offset:2
.LBB352_87:
	s_or_b32 exec_lo, exec_lo, s11
	s_and_saveexec_b32 s20, vcc_lo
	s_cbranch_execz .LBB352_127
; %bb.88:
	v_mov_b32_e32 v6, 0
	v_mbcnt_lo_u32_b32 v25, -1, 0
	s_mov_b32 s17, 0
	ds_read_b32 v1, v6 offset:256
	v_cmp_eq_u32_e64 s11, 0, v25
	s_and_saveexec_b32 s21, s11
	s_cbranch_execz .LBB352_90
; %bb.89:
	s_add_i32 s16, s36, 32
	v_mov_b32_e32 v2, 1
	s_lshl_b64 s[16:17], s[16:17], 3
	s_add_u32 s16, s24, s16
	s_addc_u32 s17, s25, s17
	s_waitcnt lgkmcnt(0)
	global_store_dwordx2 v6, v[1:2], s[16:17]
.LBB352_90:
	s_or_b32 exec_lo, exec_lo, s21
	v_xad_u32 v2, v25, -1, s36
	v_add_nc_u32_e32 v5, 32, v2
	v_lshlrev_b64 v[3:4], 3, v[5:6]
	v_add_co_u32 v7, vcc_lo, s24, v3
	v_add_co_ci_u32_e64 v8, null, s25, v4, vcc_lo
	global_load_dwordx2 v[4:5], v[7:8], off glc dlc
	s_waitcnt vmcnt(0)
	v_cmp_eq_u16_sdwa s17, v5, v6 src0_sel:BYTE_0 src1_sel:DWORD
	s_and_saveexec_b32 s16, s17
	s_cbranch_execz .LBB352_94
; %bb.91:
	v_mov_b32_e32 v3, 0
	s_mov_b32 s17, 0
.LBB352_92:                             ; =>This Inner Loop Header: Depth=1
	global_load_dwordx2 v[4:5], v[7:8], off glc dlc
	s_waitcnt vmcnt(0)
	v_cmp_ne_u16_sdwa s21, v5, v3 src0_sel:BYTE_0 src1_sel:DWORD
	s_or_b32 s17, s21, s17
	s_andn2_b32 exec_lo, exec_lo, s17
	s_cbranch_execnz .LBB352_92
; %bb.93:
	s_or_b32 exec_lo, exec_lo, s17
.LBB352_94:
	s_or_b32 exec_lo, exec_lo, s16
	v_cmp_ne_u32_e32 vcc_lo, 31, v25
	v_and_b32_e32 v33, 0xffffff, v4
	v_mov_b32_e32 v6, 2
	v_lshlrev_b32_e64 v26, v25, -1
	v_bfe_u32 v7, v4, 16, 8
	v_add_co_ci_u32_e64 v3, null, 0, v25, vcc_lo
	v_cmp_eq_u16_sdwa s16, v5, v6 src0_sel:BYTE_0 src1_sel:DWORD
	v_lshrrev_b32_e32 v6, 16, v4
	v_lshlrev_b32_e32 v8, 2, v3
	v_and_or_b32 v3, s16, v26, 0x80000000
	s_mov_b32 s16, exec_lo
	ds_bpermute_b32 v27, v8, v33
	v_ffbl_b32_e32 v3, v3
	v_cmpx_lt_u32_e64 v25, v3
	s_cbranch_execz .LBB352_96
; %bb.95:
	v_and_b32_e32 v6, 0xff0000, v4
	v_mov_b32_e32 v7, 1
	v_and_b32_e32 v28, 0x10000, v6
	v_cmp_eq_u32_e32 vcc_lo, 0, v6
	s_waitcnt lgkmcnt(0)
	v_and_b32_sdwa v7, v27, v7 dst_sel:DWORD dst_unused:UNUSED_PAD src0_sel:WORD_1 src1_sel:DWORD
	v_cndmask_b32_e32 v27, 0, v27, vcc_lo
	v_cmp_ne_u32_e32 vcc_lo, 0, v28
	v_add_nc_u16 v4, v27, v4
	v_cndmask_b32_e64 v6, v7, 1, vcc_lo
	v_lshlrev_b32_e32 v7, 16, v6
	v_or_b32_sdwa v33, v7, v4 dst_sel:DWORD dst_unused:UNUSED_PAD src0_sel:DWORD src1_sel:WORD_0
	v_mov_b32_e32 v7, v6
.LBB352_96:
	s_or_b32 exec_lo, exec_lo, s16
	v_cmp_gt_u32_e32 vcc_lo, 30, v25
	v_add_nc_u32_e32 v28, 2, v25
	s_mov_b32 s16, exec_lo
	s_waitcnt lgkmcnt(0)
	v_cndmask_b32_e64 v27, 0, 2, vcc_lo
	v_add_lshl_u32 v27, v27, v25, 2
	ds_bpermute_b32 v29, v27, v33
	v_cmpx_le_u32_e64 v28, v3
	s_cbranch_execz .LBB352_98
; %bb.97:
	v_mov_b32_e32 v6, 1
	v_and_b32_e32 v30, 1, v7
	v_cmp_eq_u16_e32 vcc_lo, 0, v7
	s_waitcnt lgkmcnt(0)
	v_and_b32_sdwa v6, v29, v6 dst_sel:DWORD dst_unused:UNUSED_PAD src0_sel:WORD_1 src1_sel:DWORD
	v_cndmask_b32_e32 v7, 0, v29, vcc_lo
	v_cmp_eq_u32_e32 vcc_lo, 1, v30
	v_add_nc_u16 v4, v7, v4
	v_cndmask_b32_e64 v6, v6, 1, vcc_lo
	v_lshlrev_b32_e32 v7, 16, v6
	v_or_b32_sdwa v33, v7, v4 dst_sel:DWORD dst_unused:UNUSED_PAD src0_sel:DWORD src1_sel:WORD_0
	v_mov_b32_e32 v7, v6
.LBB352_98:
	s_or_b32 exec_lo, exec_lo, s16
	v_cmp_gt_u32_e32 vcc_lo, 28, v25
	v_add_nc_u32_e32 v30, 4, v25
	s_mov_b32 s16, exec_lo
	s_waitcnt lgkmcnt(0)
	v_cndmask_b32_e64 v29, 0, 4, vcc_lo
	v_add_lshl_u32 v29, v29, v25, 2
	ds_bpermute_b32 v31, v29, v33
	v_cmpx_le_u32_e64 v30, v3
	s_cbranch_execz .LBB352_100
; %bb.99:
	v_mov_b32_e32 v6, 1
	v_and_b32_e32 v32, 1, v7
	v_cmp_eq_u16_e32 vcc_lo, 0, v7
	s_waitcnt lgkmcnt(0)
	v_and_b32_sdwa v6, v31, v6 dst_sel:DWORD dst_unused:UNUSED_PAD src0_sel:WORD_1 src1_sel:DWORD
	v_cndmask_b32_e32 v7, 0, v31, vcc_lo
	v_cmp_eq_u32_e32 vcc_lo, 1, v32
	v_add_nc_u16 v4, v7, v4
	v_cndmask_b32_e64 v6, v6, 1, vcc_lo
	v_lshlrev_b32_e32 v7, 16, v6
	v_or_b32_sdwa v33, v7, v4 dst_sel:DWORD dst_unused:UNUSED_PAD src0_sel:DWORD src1_sel:WORD_0
	v_mov_b32_e32 v7, v6
.LBB352_100:
	;; [unrolled: 24-line block ×3, first 2 shown]
	s_or_b32 exec_lo, exec_lo, s16
	v_lshl_or_b32 v35, v25, 2, 64
	v_add_nc_u32_e32 v36, 16, v25
	s_mov_b32 s16, exec_lo
	ds_bpermute_b32 v33, v35, v33
	v_cmpx_le_u32_e64 v36, v3
	s_cbranch_execz .LBB352_104
; %bb.103:
	v_mov_b32_e32 v3, 1
	v_cmp_eq_u16_e32 vcc_lo, 0, v7
	v_and_b32_e32 v7, 1, v7
	s_waitcnt lgkmcnt(0)
	v_and_b32_sdwa v3, v33, v3 dst_sel:DWORD dst_unused:UNUSED_PAD src0_sel:WORD_1 src1_sel:DWORD
	v_cndmask_b32_e32 v6, 0, v33, vcc_lo
	v_cmp_eq_u32_e32 vcc_lo, 1, v7
	v_add_nc_u16 v4, v6, v4
	v_cndmask_b32_e64 v6, v3, 1, vcc_lo
.LBB352_104:
	s_or_b32 exec_lo, exec_lo, s16
	v_mov_b32_e32 v3, 0
	v_mov_b32_e32 v37, 2
	;; [unrolled: 1-line block ×3, first 2 shown]
	s_branch .LBB352_107
.LBB352_105:                            ;   in Loop: Header=BB352_107 Depth=1
	s_or_b32 exec_lo, exec_lo, s16
	v_cmp_eq_u16_sdwa vcc_lo, v33, v3 src0_sel:BYTE_0 src1_sel:DWORD
	v_and_b32_e32 v6, 1, v33
	v_and_b32_e32 v7, 1, v7
	v_subrev_nc_u32_e32 v2, 32, v2
	s_mov_b32 s16, 0
	v_cndmask_b32_e32 v4, 0, v4, vcc_lo
	v_cmp_eq_u32_e32 vcc_lo, 1, v6
	v_add_nc_u16 v4, v4, v34
	v_cndmask_b32_e64 v6, v7, 1, vcc_lo
.LBB352_106:                            ;   in Loop: Header=BB352_107 Depth=1
	s_and_b32 vcc_lo, exec_lo, s16
	s_cbranch_vccnz .LBB352_123
.LBB352_107:                            ; =>This Loop Header: Depth=1
                                        ;     Child Loop BB352_110 Depth 2
	v_cmp_ne_u16_sdwa s16, v5, v37 src0_sel:BYTE_0 src1_sel:DWORD
	s_waitcnt lgkmcnt(0)
	v_mov_b32_e32 v33, v6
	v_mov_b32_e32 v34, v4
                                        ; implicit-def: $vgpr6
                                        ; implicit-def: $vgpr4
	s_cmp_lg_u32 s16, exec_lo
	s_mov_b32 s16, -1
	s_cbranch_scc1 .LBB352_106
; %bb.108:                              ;   in Loop: Header=BB352_107 Depth=1
	v_lshlrev_b64 v[4:5], 3, v[2:3]
	v_add_co_u32 v6, vcc_lo, s24, v4
	v_add_co_ci_u32_e64 v7, null, s25, v5, vcc_lo
	global_load_dwordx2 v[4:5], v[6:7], off glc dlc
	s_waitcnt vmcnt(0)
	v_cmp_eq_u16_sdwa s17, v5, v3 src0_sel:BYTE_0 src1_sel:DWORD
	s_and_saveexec_b32 s16, s17
	s_cbranch_execz .LBB352_112
; %bb.109:                              ;   in Loop: Header=BB352_107 Depth=1
	s_mov_b32 s17, 0
.LBB352_110:                            ;   Parent Loop BB352_107 Depth=1
                                        ; =>  This Inner Loop Header: Depth=2
	global_load_dwordx2 v[4:5], v[6:7], off glc dlc
	s_waitcnt vmcnt(0)
	v_cmp_ne_u16_sdwa s21, v5, v3 src0_sel:BYTE_0 src1_sel:DWORD
	s_or_b32 s17, s21, s17
	s_andn2_b32 exec_lo, exec_lo, s17
	s_cbranch_execnz .LBB352_110
; %bb.111:                              ;   in Loop: Header=BB352_107 Depth=1
	s_or_b32 exec_lo, exec_lo, s17
.LBB352_112:                            ;   in Loop: Header=BB352_107 Depth=1
	s_or_b32 exec_lo, exec_lo, s16
	v_and_b32_e32 v40, 0xffffff, v4
	v_cmp_eq_u16_sdwa s16, v5, v37 src0_sel:BYTE_0 src1_sel:DWORD
	v_lshrrev_b32_e32 v7, 16, v4
	v_bfe_u32 v39, v4, 16, 8
	ds_bpermute_b32 v41, v8, v40
	v_and_or_b32 v6, s16, v26, 0x80000000
	s_mov_b32 s16, exec_lo
	v_ffbl_b32_e32 v6, v6
	v_cmpx_lt_u32_e64 v25, v6
	s_cbranch_execz .LBB352_114
; %bb.113:                              ;   in Loop: Header=BB352_107 Depth=1
	v_and_b32_e32 v7, 0xff0000, v4
	s_waitcnt lgkmcnt(0)
	v_and_b32_sdwa v40, v41, v38 dst_sel:DWORD dst_unused:UNUSED_PAD src0_sel:WORD_1 src1_sel:DWORD
	v_and_b32_e32 v39, 0x10000, v7
	v_cmp_eq_u32_e32 vcc_lo, 0, v7
	v_cndmask_b32_e32 v41, 0, v41, vcc_lo
	v_cmp_ne_u32_e32 vcc_lo, 0, v39
	v_add_nc_u16 v4, v41, v4
	v_cndmask_b32_e64 v7, v40, 1, vcc_lo
	v_lshlrev_b32_e32 v39, 16, v7
	v_or_b32_sdwa v40, v39, v4 dst_sel:DWORD dst_unused:UNUSED_PAD src0_sel:DWORD src1_sel:WORD_0
	v_mov_b32_e32 v39, v7
.LBB352_114:                            ;   in Loop: Header=BB352_107 Depth=1
	s_or_b32 exec_lo, exec_lo, s16
	s_waitcnt lgkmcnt(0)
	ds_bpermute_b32 v41, v27, v40
	s_mov_b32 s16, exec_lo
	v_cmpx_le_u32_e64 v28, v6
	s_cbranch_execz .LBB352_116
; %bb.115:                              ;   in Loop: Header=BB352_107 Depth=1
	v_and_b32_e32 v7, 1, v39
	v_cmp_eq_u16_e32 vcc_lo, 0, v39
	s_waitcnt lgkmcnt(0)
	v_and_b32_sdwa v40, v41, v38 dst_sel:DWORD dst_unused:UNUSED_PAD src0_sel:WORD_1 src1_sel:DWORD
	v_cndmask_b32_e32 v39, 0, v41, vcc_lo
	v_cmp_eq_u32_e32 vcc_lo, 1, v7
	v_add_nc_u16 v4, v39, v4
	v_cndmask_b32_e64 v7, v40, 1, vcc_lo
	v_lshlrev_b32_e32 v39, 16, v7
	v_or_b32_sdwa v40, v39, v4 dst_sel:DWORD dst_unused:UNUSED_PAD src0_sel:DWORD src1_sel:WORD_0
	v_mov_b32_e32 v39, v7
.LBB352_116:                            ;   in Loop: Header=BB352_107 Depth=1
	s_or_b32 exec_lo, exec_lo, s16
	s_waitcnt lgkmcnt(0)
	ds_bpermute_b32 v41, v29, v40
	s_mov_b32 s16, exec_lo
	v_cmpx_le_u32_e64 v30, v6
	s_cbranch_execz .LBB352_118
; %bb.117:                              ;   in Loop: Header=BB352_107 Depth=1
	v_and_b32_e32 v7, 1, v39
	v_cmp_eq_u16_e32 vcc_lo, 0, v39
	s_waitcnt lgkmcnt(0)
	v_and_b32_sdwa v40, v41, v38 dst_sel:DWORD dst_unused:UNUSED_PAD src0_sel:WORD_1 src1_sel:DWORD
	v_cndmask_b32_e32 v39, 0, v41, vcc_lo
	v_cmp_eq_u32_e32 vcc_lo, 1, v7
	v_add_nc_u16 v4, v39, v4
	v_cndmask_b32_e64 v7, v40, 1, vcc_lo
	v_lshlrev_b32_e32 v39, 16, v7
	v_or_b32_sdwa v40, v39, v4 dst_sel:DWORD dst_unused:UNUSED_PAD src0_sel:DWORD src1_sel:WORD_0
	v_mov_b32_e32 v39, v7
.LBB352_118:                            ;   in Loop: Header=BB352_107 Depth=1
	;; [unrolled: 19-line block ×3, first 2 shown]
	s_or_b32 exec_lo, exec_lo, s16
	ds_bpermute_b32 v40, v35, v40
	s_mov_b32 s16, exec_lo
	v_cmpx_le_u32_e64 v36, v6
	s_cbranch_execz .LBB352_105
; %bb.121:                              ;   in Loop: Header=BB352_107 Depth=1
	v_cmp_eq_u16_e32 vcc_lo, 0, v39
	v_and_b32_e32 v7, 1, v39
	s_waitcnt lgkmcnt(0)
	v_lshrrev_b32_e32 v39, 16, v40
	v_cndmask_b32_e32 v6, 0, v40, vcc_lo
	v_cmp_eq_u32_e32 vcc_lo, 1, v7
	v_add_nc_u16 v4, v6, v4
	v_cndmask_b32_e64 v7, v39, 1, vcc_lo
	s_branch .LBB352_105
.LBB352_122:
                                        ; implicit-def: $vgpr25
                                        ; implicit-def: $vgpr3
                                        ; implicit-def: $vgpr4
                                        ; implicit-def: $vgpr5
                                        ; implicit-def: $vgpr6
                                        ; implicit-def: $vgpr7
                                        ; implicit-def: $vgpr8
                                        ; implicit-def: $vgpr22
                                        ; implicit-def: $vgpr23
                                        ; implicit-def: $vgpr24
	s_cbranch_execnz .LBB352_128
	s_branch .LBB352_147
.LBB352_123:
	s_and_saveexec_b32 s16, s11
	s_cbranch_execz .LBB352_125
; %bb.124:
	v_and_b32_e32 v2, 0xff0000, v1
	v_mov_b32_e32 v3, 1
	v_and_b32_e32 v4, 0x10000, v1
	s_mov_b32 s23, 0
	s_add_i32 s22, s36, 32
	v_cmp_eq_u32_e32 vcc_lo, 0, v2
	v_and_b32_sdwa v3, v33, v3 dst_sel:WORD_1 dst_unused:UNUSED_PAD src0_sel:DWORD src1_sel:DWORD
	s_lshl_b64 s[22:23], s[22:23], 3
	s_add_u32 s22, s24, s22
	v_cndmask_b32_e32 v2, 0, v34, vcc_lo
	v_cmp_eq_u32_e32 vcc_lo, 0, v4
	s_addc_u32 s23, s25, s23
	v_add_nc_u16 v1, v2, v1
	v_cndmask_b32_e32 v2, 0x10000, v3, vcc_lo
	v_mov_b32_e32 v3, 0
	v_or_b32_sdwa v1, v2, v1 dst_sel:DWORD dst_unused:UNUSED_PAD src0_sel:DWORD src1_sel:WORD_0
	v_mov_b32_e32 v2, 2
	global_store_dwordx2 v3, v[1:2], s[22:23]
.LBB352_125:
	s_or_b32 exec_lo, exec_lo, s16
	s_and_b32 exec_lo, exec_lo, s0
	s_cbranch_execz .LBB352_127
; %bb.126:
	v_mov_b32_e32 v1, 0
	ds_write_b16 v1, v34
	ds_write_b8 v1, v33 offset:2
.LBB352_127:
	s_or_b32 exec_lo, exec_lo, s20
	v_mov_b32_e32 v1, 0
	v_and_b32_e32 v3, 0x10000, v18
	v_cmp_gt_u32_e32 vcc_lo, 0x10000, v18
	s_waitcnt lgkmcnt(0)
	s_waitcnt_vscnt null, 0x0
	s_barrier
	buffer_gl0_inv
	ds_read_b32 v2, v1
	v_cndmask_b32_e32 v4, 0, v24, vcc_lo
	v_cmp_ne_u32_e32 vcc_lo, 0, v3
	v_cndmask_b32_e64 v4, v4, 0, s0
	v_cndmask_b32_e64 v3, v23, 1, vcc_lo
	v_add_nc_u16 v4, v4, v18
	v_cndmask_b32_e64 v3, v3, v22, s0
	v_cmp_eq_u16_sdwa vcc_lo, v3, v1 src0_sel:BYTE_0 src1_sel:DWORD
	s_waitcnt lgkmcnt(0)
	v_cndmask_b32_e32 v1, 0, v2, vcc_lo
	v_add_nc_u16 v1, v4, v1
	v_cndmask_b32_e64 v2, 0, v1, s10
	v_and_b32_e32 v25, 0xffff, v1
	v_add_nc_u16 v3, v2, v21
	v_cndmask_b32_e64 v2, 0, v3, s9
	v_add_nc_u16 v4, v2, v20
	v_cndmask_b32_e64 v2, 0, v4, s8
	;; [unrolled: 2-line block ×8, first 2 shown]
	v_add_nc_u16 v24, v2, v10
	s_branch .LBB352_147
.LBB352_128:
	s_cmp_lg_u64 s[30:31], 0
	s_cselect_b32 s2, -1, 0
	s_cmp_lg_u64 s[18:19], 0
	s_cselect_b32 s3, -1, 0
	s_and_b32 s2, s2, s3
	s_and_b32 s3, s0, s2
	s_and_saveexec_b32 s2, s3
	s_cbranch_execz .LBB352_130
; %bb.129:
	v_mov_b32_e32 v1, 0
	v_mov_b32_e32 v3, 1
	v_cmp_gt_u32_e32 vcc_lo, 0x10000, v18
	v_and_b32_e32 v4, 0x10000, v18
	s_clause 0x1
	global_load_ushort v2, v1, s[18:19]
	global_load_ubyte v1, v1, s[18:19] offset:2
	s_waitcnt vmcnt(1)
	v_cndmask_b32_e32 v2, 0, v2, vcc_lo
	s_waitcnt vmcnt(0)
	v_and_b32_sdwa v1, v1, v3 dst_sel:WORD_1 dst_unused:UNUSED_PAD src0_sel:DWORD src1_sel:DWORD
	v_cmp_eq_u32_e32 vcc_lo, 0, v4
	v_add_nc_u16 v2, v2, v18
	v_cndmask_b32_e32 v1, 0x10000, v1, vcc_lo
	v_or_b32_sdwa v18, v1, v2 dst_sel:DWORD dst_unused:UNUSED_PAD src0_sel:DWORD src1_sel:WORD_0
.LBB352_130:
	s_or_b32 exec_lo, exec_lo, s2
	v_cmp_gt_u32_e32 vcc_lo, 0x10000, v21
	v_cmp_gt_u32_e64 s2, 0x10000, v20
	v_cmp_gt_u32_e64 s3, 0x10000, v19
	;; [unrolled: 1-line block ×4, first 2 shown]
	v_cndmask_b32_e32 v1, 0, v18, vcc_lo
	v_cmp_gt_u32_e64 s6, 0x10000, v15
	v_cmp_gt_u32_e64 s7, 0x10000, v14
	;; [unrolled: 1-line block ×4, first 2 shown]
	v_add_nc_u16 v3, v1, v21
	v_and_b32_e32 v11, 4, v11
	s_mov_b32 s11, exec_lo
	v_cndmask_b32_e64 v1, 0, v3, s2
	v_lshl_add_u32 v11, v0, 2, v11
	v_add_nc_u16 v4, v1, v20
	v_cndmask_b32_e64 v1, 0, v4, s3
	v_add_nc_u16 v5, v1, v19
	v_cndmask_b32_e64 v1, 0, v5, s4
	;; [unrolled: 2-line block ×5, first 2 shown]
	v_add_nc_u16 v22, v1, v14
	v_or3_b32 v1, v12, v19, v20
	v_cndmask_b32_e64 v2, 0, v22, s8
	v_or3_b32 v1, v1, v21, v10
	v_add_nc_u16 v23, v2, v13
	v_and_b32_e32 v1, 0xff0000, v1
	v_lshrrev_b32_e32 v2, 16, v18
	v_cndmask_b32_e64 v12, 0, v23, s9
	v_cmp_eq_u32_e64 s10, 0, v1
	v_add_nc_u16 v24, v12, v10
	v_cndmask_b32_e64 v1, 1, v2, s10
	ds_write_b8 v11, v1 offset:2
	ds_write_b16 v11, v24
	s_waitcnt lgkmcnt(0)
	s_barrier
	buffer_gl0_inv
	v_cmpx_gt_u32_e32 32, v0
	s_cbranch_execz .LBB352_142
; %bb.131:
	v_lshrrev_b32_e32 v2, 2, v0
	v_lshlrev_b32_e32 v11, 3, v0
	s_mov_b32 s16, exec_lo
	v_and_b32_e32 v2, 12, v2
	v_add_nc_u32_e32 v2, v2, v11
	ds_read_u8 v12, v2 offset:6
	ds_read_b32 v11, v2
	ds_read_u16 v25, v2 offset:4
	s_waitcnt lgkmcnt(2)
	v_cmp_eq_u16_e64 s10, 0, v12
	v_and_b32_e32 v27, 1, v12
	s_waitcnt lgkmcnt(1)
	v_and_b32_e32 v12, 0x10000, v11
	v_cndmask_b32_e64 v26, 0, v11, s10
	v_cmp_eq_u32_e64 s10, 1, v27
	v_mbcnt_lo_u32_b32 v27, -1, 0
	s_waitcnt lgkmcnt(0)
	v_add_nc_u16 v26, v26, v25
	v_and_b32_e32 v25, 0xff000000, v11
	v_cndmask_b32_e64 v28, v12, 0x10000, s10
	v_and_b32_e32 v29, 0xffff, v26
	v_or_b32_e32 v30, v28, v25
	v_or3_b32 v31, v25, v29, v28
	v_and_b32_e32 v28, 15, v27
	v_lshrrev_b32_e32 v29, 16, v30
	v_mov_b32_dpp v32, v31 row_shr:1 row_mask:0xf bank_mask:0xf
	v_cmpx_ne_u32_e32 0, v28
	s_cbranch_execz .LBB352_133
; %bb.132:
	v_mov_b32_e32 v29, 0xff
	v_mov_b32_e32 v31, 1
	v_and_b32_sdwa v29, v30, v29 dst_sel:DWORD dst_unused:UNUSED_PAD src0_sel:WORD_1 src1_sel:DWORD
	v_and_b32_e32 v30, 0x10000, v30
	v_and_b32_sdwa v31, v32, v31 dst_sel:DWORD dst_unused:UNUSED_PAD src0_sel:WORD_1 src1_sel:DWORD
	v_cmp_eq_u16_e64 s10, 0, v29
	v_cndmask_b32_e64 v32, 0, v32, s10
	v_cmp_ne_u32_e64 s10, 0, v30
	v_add_nc_u16 v26, v32, v26
	v_cndmask_b32_e64 v29, v31, 1, s10
	v_and_b32_e32 v31, 0xffff, v26
	v_lshlrev_b32_e32 v30, 16, v29
	v_or3_b32 v31, v30, v31, v25
.LBB352_133:
	s_or_b32 exec_lo, exec_lo, s16
	v_lshrrev_b32_e32 v30, 16, v31
	v_mov_b32_dpp v32, v31 row_shr:2 row_mask:0xf bank_mask:0xf
	s_mov_b32 s16, exec_lo
	v_cmpx_lt_u32_e32 1, v28
	s_cbranch_execz .LBB352_135
; %bb.134:
	v_mov_b32_e32 v33, 0
	v_mov_b32_e32 v29, 1
	v_and_b32_e32 v31, 0x10000, v31
	v_cmp_eq_u16_sdwa s10, v30, v33 src0_sel:BYTE_0 src1_sel:DWORD
	v_and_b32_sdwa v29, v32, v29 dst_sel:DWORD dst_unused:UNUSED_PAD src0_sel:WORD_1 src1_sel:DWORD
	v_cndmask_b32_e64 v30, 0, v32, s10
	v_cmp_ne_u32_e64 s10, 0, v31
	v_add_nc_u16 v26, v30, v26
	v_cndmask_b32_e64 v29, v29, 1, s10
	v_and_b32_e32 v31, 0xffff, v26
	v_lshlrev_b32_e32 v30, 16, v29
	v_or3_b32 v31, v30, v31, v25
	v_mov_b32_e32 v30, v29
.LBB352_135:
	s_or_b32 exec_lo, exec_lo, s16
	v_mov_b32_dpp v32, v31 row_shr:4 row_mask:0xf bank_mask:0xf
	s_mov_b32 s16, exec_lo
	v_cmpx_lt_u32_e32 3, v28
	s_cbranch_execz .LBB352_137
; %bb.136:
	v_mov_b32_e32 v31, 0
	v_mov_b32_e32 v29, 1
	v_and_b32_e32 v33, 1, v30
	v_cmp_eq_u16_sdwa s10, v30, v31 src0_sel:BYTE_0 src1_sel:DWORD
	v_and_b32_sdwa v29, v32, v29 dst_sel:DWORD dst_unused:UNUSED_PAD src0_sel:WORD_1 src1_sel:DWORD
	v_cndmask_b32_e64 v30, 0, v32, s10
	v_cmp_eq_u32_e64 s10, 1, v33
	v_add_nc_u16 v26, v30, v26
	v_cndmask_b32_e64 v29, v29, 1, s10
	v_and_b32_e32 v31, 0xffff, v26
	v_lshlrev_b32_e32 v30, 16, v29
	v_or3_b32 v31, v30, v31, v25
	v_mov_b32_e32 v30, v29
.LBB352_137:
	s_or_b32 exec_lo, exec_lo, s16
	v_mov_b32_dpp v32, v31 row_shr:8 row_mask:0xf bank_mask:0xf
	s_mov_b32 s16, exec_lo
	v_cmpx_lt_u32_e32 7, v28
	s_cbranch_execz .LBB352_139
; %bb.138:
	v_mov_b32_e32 v29, 0
	v_mov_b32_e32 v28, 1
	v_and_b32_e32 v31, 1, v30
	v_cmp_eq_u16_sdwa s10, v30, v29 src0_sel:BYTE_0 src1_sel:DWORD
	v_and_b32_sdwa v28, v32, v28 dst_sel:DWORD dst_unused:UNUSED_PAD src0_sel:WORD_1 src1_sel:DWORD
	v_cndmask_b32_e64 v30, 0, v32, s10
	v_cmp_eq_u32_e64 s10, 1, v31
	v_add_nc_u16 v26, v30, v26
	v_cndmask_b32_e64 v29, v28, 1, s10
	v_and_b32_e32 v30, 0xffff, v26
	v_lshlrev_b32_e32 v28, 16, v29
	v_or3_b32 v31, v28, v30, v25
	v_mov_b32_e32 v30, v29
.LBB352_139:
	s_or_b32 exec_lo, exec_lo, s16
	ds_swizzle_b32 v28, v31 offset:swizzle(BROADCAST,32,15)
	v_and_b32_e32 v31, 16, v27
	s_mov_b32 s16, exec_lo
	v_cmpx_ne_u32_e32 0, v31
	s_cbranch_execz .LBB352_141
; %bb.140:
	v_mov_b32_e32 v29, 0
	v_mov_b32_e32 v31, 1
	v_cmp_eq_u16_sdwa s10, v30, v29 src0_sel:BYTE_0 src1_sel:DWORD
	v_and_b32_e32 v30, 1, v30
	s_waitcnt lgkmcnt(0)
	v_cndmask_b32_e64 v29, 0, v28, s10
	v_and_b32_sdwa v28, v28, v31 dst_sel:DWORD dst_unused:UNUSED_PAD src0_sel:WORD_1 src1_sel:DWORD
	v_cmp_eq_u32_e64 s10, 1, v30
	v_add_nc_u16 v26, v29, v26
	v_cndmask_b32_e64 v29, v28, 1, s10
.LBB352_141:
	s_or_b32 exec_lo, exec_lo, s16
	s_waitcnt lgkmcnt(0)
	v_and_b32_e32 v28, 0xff, v29
	v_add_nc_u32_e32 v29, -1, v27
	v_and_b32_e32 v26, 0xffff, v26
	; wave barrier
	v_lshlrev_b32_e32 v28, 16, v28
	v_cmp_gt_i32_e64 s10, 0, v29
	v_or3_b32 v25, v28, v26, v25
	v_cndmask_b32_e64 v27, v29, v27, s10
	v_lshlrev_b32_e32 v26, 2, v27
	v_mov_b32_e32 v27, 1
	ds_bpermute_b32 v25, v26, v25
	v_and_b32_e32 v26, 0xff0000, v11
	v_cmp_eq_u32_e64 s10, 0, v26
	s_waitcnt lgkmcnt(0)
	v_cndmask_b32_e64 v26, 0, v25, s10
	v_and_b32_sdwa v25, v25, v27 dst_sel:DWORD dst_unused:UNUSED_PAD src0_sel:WORD_1 src1_sel:DWORD
	v_cmp_eq_u32_e64 s10, 0, v12
	v_add_nc_u16 v11, v26, v11
	v_cndmask_b32_e64 v12, 1, v25, s10
	v_cndmask_b32_e64 v11, v11, v24, s0
	;; [unrolled: 1-line block ×3, first 2 shown]
	ds_write_b16 v2, v11
	ds_write_b8 v2, v1 offset:2
	; wave barrier
	ds_read_u8 v12, v2 offset:6
	ds_read_u16 v25, v2 offset:4
	s_waitcnt lgkmcnt(1)
	v_cmp_eq_u16_e64 s10, 0, v12
	v_and_b32_e32 v12, 1, v12
	v_cndmask_b32_e64 v11, 0, v11, s10
	v_cmp_eq_u32_e64 s10, 1, v12
	s_waitcnt lgkmcnt(0)
	v_add_nc_u16 v11, v11, v25
	v_cndmask_b32_e64 v1, v1, 1, s10
	ds_write_b16 v2, v11 offset:4
	ds_write_b8 v2, v1 offset:6
.LBB352_142:
	s_or_b32 exec_lo, exec_lo, s11
	s_waitcnt lgkmcnt(0)
	s_barrier
	buffer_gl0_inv
	s_and_saveexec_b32 s10, s1
	s_cbranch_execz .LBB352_144
; %bb.143:
	v_add_nc_u32_e32 v1, -1, v0
	v_cmp_gt_u32_e64 s1, 0x10000, v18
	v_lshrrev_b32_e32 v2, 3, v1
	v_and_b32_e32 v2, 0x1ffffffc, v2
	v_lshl_add_u32 v1, v1, 2, v2
	ds_read_u16 v1, v1
	;;#ASMSTART
	;;#ASMEND
	s_waitcnt lgkmcnt(0)
	v_cndmask_b32_e64 v1, 0, v1, s1
	v_add_nc_u32_e32 v18, v1, v18
	v_cndmask_b32_e32 v1, 0, v18, vcc_lo
	v_add_nc_u16 v3, v1, v21
	v_cndmask_b32_e64 v1, 0, v3, s2
	v_add_nc_u16 v4, v1, v20
	v_cndmask_b32_e64 v1, 0, v4, s3
	;; [unrolled: 2-line block ×8, first 2 shown]
	v_add_nc_u16 v24, v1, v10
.LBB352_144:
	s_or_b32 exec_lo, exec_lo, s10
	s_and_saveexec_b32 s1, s0
	s_cbranch_execz .LBB352_146
; %bb.145:
	v_mov_b32_e32 v10, 0
	ds_read_u8 v1, v10 offset:258
	ds_read_u16 v2, v10 offset:256
	s_waitcnt lgkmcnt(1)
	v_lshlrev_b32_e32 v1, 16, v1
	s_waitcnt lgkmcnt(0)
	v_or_b32_e32 v1, v1, v2
	v_mov_b32_e32 v2, 2
	global_store_dwordx2 v10, v[1:2], s[24:25] offset:256
.LBB352_146:
	s_or_b32 exec_lo, exec_lo, s1
	v_mov_b32_e32 v25, v18
.LBB352_147:
	s_add_u32 s0, s14, s28
	v_mov_b32_e32 v1, 0
	s_addc_u32 s1, s15, s29
	s_add_u32 s0, s0, s12
	s_addc_u32 s1, s1, s13
	s_and_b32 vcc_lo, exec_lo, s27
	s_cbranch_vccz .LBB352_187
; %bb.148:
	v_mul_u32_u24_e32 v2, 10, v0
	v_mov_b32_e32 v10, 0
	v_mov_b32_e32 v11, 0
	;; [unrolled: 1-line block ×4, first 2 shown]
	s_add_i32 s33, s33, s26
	s_mov_b32 s2, exec_lo
	v_cmpx_gt_u32_e64 s33, v2
	s_cbranch_execz .LBB352_168
; %bb.149:
	v_or_b32_e32 v13, 1, v2
	v_and_b32_e32 v1, 0xffff, v25
	v_mov_b32_e32 v10, 0
	v_mov_b32_e32 v11, 0
	;; [unrolled: 1-line block ×3, first 2 shown]
	v_cmp_gt_u32_e32 vcc_lo, s33, v13
	v_mov_b32_e32 v13, 0
	s_and_saveexec_b32 s3, vcc_lo
	s_cbranch_execz .LBB352_167
; %bb.150:
	v_perm_b32 v1, v3, v1, 0x5040100
	v_add_nc_u32_e32 v14, 2, v2
	v_mov_b32_e32 v13, 0
	v_mov_b32_e32 v12, 0
	;; [unrolled: 1-line block ×4, first 2 shown]
	s_mov_b32 s4, exec_lo
	v_cmpx_gt_u32_e64 s33, v14
	s_cbranch_execz .LBB352_166
; %bb.151:
	v_add_nc_u32_e32 v14, 3, v2
	v_bfi_b32 v10, 0xffff, v4, 0
	v_mov_b32_e32 v13, 0
	v_mov_b32_e32 v12, 0
	;; [unrolled: 1-line block ×3, first 2 shown]
	s_mov_b32 s5, exec_lo
	v_cmpx_gt_u32_e64 s33, v14
	s_cbranch_execz .LBB352_165
; %bb.152:
	v_add_nc_u32_e32 v14, 4, v2
	v_perm_b32 v10, v5, v10, 0x5040100
	v_mov_b32_e32 v13, 0
	v_mov_b32_e32 v12, 0
	;; [unrolled: 1-line block ×3, first 2 shown]
	s_mov_b32 s6, exec_lo
	v_cmpx_gt_u32_e64 s33, v14
	s_cbranch_execz .LBB352_164
; %bb.153:
	v_add_nc_u32_e32 v14, 5, v2
	v_bfi_b32 v11, 0xffff, v6, 0
	v_mov_b32_e32 v13, 0
	v_mov_b32_e32 v12, 0
	s_mov_b32 s7, exec_lo
	v_cmpx_gt_u32_e64 s33, v14
	s_cbranch_execz .LBB352_163
; %bb.154:
	v_add_nc_u32_e32 v14, 6, v2
	v_perm_b32 v11, v7, v11, 0x5040100
	v_mov_b32_e32 v13, 0
	v_mov_b32_e32 v12, 0
	s_mov_b32 s8, exec_lo
	v_cmpx_gt_u32_e64 s33, v14
	s_cbranch_execz .LBB352_162
; %bb.155:
	v_add_nc_u32_e32 v14, 7, v2
	v_bfi_b32 v12, 0xffff, v8, 0
	v_mov_b32_e32 v13, 0
	s_mov_b32 s9, exec_lo
	v_cmpx_gt_u32_e64 s33, v14
	s_cbranch_execz .LBB352_161
; %bb.156:
	v_add_nc_u32_e32 v14, 8, v2
	v_perm_b32 v12, v22, v12, 0x5040100
	v_mov_b32_e32 v13, 0
	s_mov_b32 s10, exec_lo
	v_cmpx_gt_u32_e64 s33, v14
	s_cbranch_execz .LBB352_160
; %bb.157:
	v_add_nc_u32_e32 v14, 9, v2
	v_bfi_b32 v13, 0xffff, v23, 0
	s_mov_b32 s11, exec_lo
	v_cmpx_gt_u32_e64 s33, v14
; %bb.158:
	v_perm_b32 v13, v24, v13, 0x5040100
; %bb.159:
	s_or_b32 exec_lo, exec_lo, s11
.LBB352_160:
	s_or_b32 exec_lo, exec_lo, s10
.LBB352_161:
	s_or_b32 exec_lo, exec_lo, s9
.LBB352_162:
	s_or_b32 exec_lo, exec_lo, s8
.LBB352_163:
	s_or_b32 exec_lo, exec_lo, s7
.LBB352_164:
	s_or_b32 exec_lo, exec_lo, s6
.LBB352_165:
	s_or_b32 exec_lo, exec_lo, s5
.LBB352_166:
	s_or_b32 exec_lo, exec_lo, s4
.LBB352_167:
	s_or_b32 exec_lo, exec_lo, s3
.LBB352_168:
	s_or_b32 exec_lo, exec_lo, s2
	v_lshlrev_b32_e32 v18, 1, v2
	s_waitcnt_vscnt null, 0x0
	s_barrier
	buffer_gl0_inv
	ds_write2_b32 v18, v1, v10 offset1:1
	ds_write2_b32 v18, v11, v12 offset0:2 offset1:3
	v_mad_i32_i24 v1, 0xffffffee, v0, v18
	ds_write_b32 v18, v13 offset:16
	s_waitcnt lgkmcnt(0)
	s_barrier
	buffer_gl0_inv
	ds_read_u16 v19, v1 offset:128
	ds_read_u16 v17, v1 offset:256
	;; [unrolled: 1-line block ×9, first 2 shown]
	v_add_co_u32 v1, s2, s0, v9
	v_add_co_ci_u32_e64 v2, null, s1, 0, s2
	s_mov_b32 s2, exec_lo
	v_cmpx_gt_u32_e64 s33, v0
	s_cbranch_execz .LBB352_170
; %bb.169:
	v_mul_i32_i24_e32 v20, 0xffffffee, v0
	v_add_nc_u32_e32 v18, v18, v20
	ds_read_u16 v18, v18
	s_waitcnt lgkmcnt(0)
	flat_store_short v[1:2], v18
.LBB352_170:
	s_or_b32 exec_lo, exec_lo, s2
	v_or_b32_e32 v18, 64, v0
	s_mov_b32 s2, exec_lo
	v_cmpx_gt_u32_e64 s33, v18
	s_cbranch_execz .LBB352_172
; %bb.171:
	s_waitcnt lgkmcnt(8)
	flat_store_short v[1:2], v19 offset:128
.LBB352_172:
	s_or_b32 exec_lo, exec_lo, s2
	v_or_b32_e32 v18, 0x80, v0
	s_mov_b32 s2, exec_lo
	v_cmpx_gt_u32_e64 s33, v18
	s_cbranch_execz .LBB352_174
; %bb.173:
	s_waitcnt lgkmcnt(7)
	flat_store_short v[1:2], v17 offset:256
.LBB352_174:
	s_or_b32 exec_lo, exec_lo, s2
	s_waitcnt lgkmcnt(7)
	v_or_b32_e32 v17, 0xc0, v0
	s_mov_b32 s2, exec_lo
	v_cmpx_gt_u32_e64 s33, v17
	s_cbranch_execz .LBB352_176
; %bb.175:
	s_waitcnt lgkmcnt(6)
	flat_store_short v[1:2], v16 offset:384
.LBB352_176:
	s_or_b32 exec_lo, exec_lo, s2
	s_waitcnt lgkmcnt(6)
	;; [unrolled: 10-line block ×6, first 2 shown]
	v_or_b32_e32 v12, 0x200, v0
	s_mov_b32 s2, exec_lo
	v_cmpx_gt_u32_e64 s33, v12
	s_cbranch_execz .LBB352_186
; %bb.185:
	s_waitcnt lgkmcnt(1)
	flat_store_short v[1:2], v11 offset:1024
.LBB352_186:
	s_or_b32 exec_lo, exec_lo, s2
	v_or_b32_e32 v1, 0x240, v0
	v_cmp_gt_u32_e64 s2, s33, v1
	s_branch .LBB352_189
.LBB352_187:
	s_mov_b32 s2, 0
                                        ; implicit-def: $vgpr10
	s_cbranch_execz .LBB352_189
; %bb.188:
	v_mul_u32_u24_e32 v1, 20, v0
	v_perm_b32 v2, v5, v4, 0x5040100
	v_perm_b32 v3, v3, v25, 0x5040100
	;; [unrolled: 1-line block ×3, first 2 shown]
	v_mul_i32_i24_e32 v6, 0xffffffee, v0
	v_perm_b32 v4, v22, v8, 0x5040100
	s_waitcnt lgkmcnt(0)
	s_waitcnt_vscnt null, 0x0
	s_barrier
	v_perm_b32 v7, v24, v23, 0x5040100
	buffer_gl0_inv
	ds_write2_b32 v1, v3, v2 offset1:1
	ds_write2_b32 v1, v5, v4 offset0:2 offset1:3
	v_mad_u32_u24 v2, v0, 20, v6
	s_or_b32 s2, s2, exec_lo
	ds_write_b32 v1, v7 offset:16
	s_waitcnt lgkmcnt(0)
	s_barrier
	buffer_gl0_inv
	ds_read_u16 v3, v2
	ds_read_u16 v4, v2 offset:128
	ds_read_u16 v5, v2 offset:256
	ds_read_u16 v6, v2 offset:384
	ds_read_u16 v7, v2 offset:512
	ds_read_u16 v8, v2 offset:640
	ds_read_u16 v11, v2 offset:768
	ds_read_u16 v12, v2 offset:896
	ds_read_u16 v13, v2 offset:1024
	ds_read_u16 v10, v2 offset:1152
	v_add_co_u32 v1, s3, s0, v9
	v_add_co_ci_u32_e64 v2, null, s1, 0, s3
	s_waitcnt lgkmcnt(9)
	flat_store_short v[1:2], v3
	s_waitcnt lgkmcnt(9)
	flat_store_short v[1:2], v4 offset:128
	s_waitcnt lgkmcnt(9)
	flat_store_short v[1:2], v5 offset:256
	;; [unrolled: 2-line block ×8, first 2 shown]
.LBB352_189:
	s_and_saveexec_b32 s3, s2
	s_cbranch_execnz .LBB352_191
; %bb.190:
	s_endpgm
.LBB352_191:
	v_lshlrev_b32_e32 v0, 1, v0
	v_add_co_u32 v0, s0, s0, v0
	v_add_co_ci_u32_e64 v1, null, s1, 0, s0
	s_waitcnt lgkmcnt(0)
	flat_store_short v[0:1], v10 offset:1152
	s_endpgm
.LBB352_192:
	v_add_co_u32 v3, s11, s37, v14
	v_add_co_ci_u32_e64 v4, null, s38, 0, s11
	v_mov_b32_e32 v2, v1
	v_mov_b32_e32 v5, v1
	;; [unrolled: 1-line block ×3, first 2 shown]
	flat_load_short_d16 v2, v[3:4]
	v_mov_b32_e32 v3, v1
	v_mov_b32_e32 v4, v1
	s_waitcnt vmcnt(0) lgkmcnt(0)
	v_mov_b32_e32 v1, v2
	v_mov_b32_e32 v2, v3
	;; [unrolled: 1-line block ×8, first 2 shown]
	s_or_b32 exec_lo, exec_lo, s16
	s_and_saveexec_b32 s11, s10
	s_cbranch_execz .LBB352_33
.LBB352_193:
	v_add_co_u32 v6, s10, s37, v14
	v_add_co_ci_u32_e64 v7, null, s38, 0, s10
	flat_load_short_d16_hi v1, v[6:7] offset:128
	s_or_b32 exec_lo, exec_lo, s11
	s_and_saveexec_b32 s10, s9
	s_cbranch_execz .LBB352_34
.LBB352_194:
	v_add_co_u32 v6, s9, s37, v14
	v_add_co_ci_u32_e64 v7, null, s38, 0, s9
	flat_load_short_d16 v2, v[6:7] offset:256
	s_or_b32 exec_lo, exec_lo, s10
	s_and_saveexec_b32 s9, s8
	s_cbranch_execz .LBB352_35
.LBB352_195:
	v_add_co_u32 v6, s8, s37, v14
	v_add_co_ci_u32_e64 v7, null, s38, 0, s8
	s_waitcnt vmcnt(0) lgkmcnt(0)
	flat_load_short_d16_hi v2, v[6:7] offset:384
	s_or_b32 exec_lo, exec_lo, s9
	s_and_saveexec_b32 s8, s7
	s_cbranch_execz .LBB352_36
.LBB352_196:
	v_add_co_u32 v6, s7, s37, v14
	v_add_co_ci_u32_e64 v7, null, s38, 0, s7
	flat_load_short_d16 v3, v[6:7] offset:512
	s_or_b32 exec_lo, exec_lo, s8
	s_and_saveexec_b32 s7, s6
	s_cbranch_execz .LBB352_37
.LBB352_197:
	v_add_co_u32 v6, s6, s37, v14
	v_add_co_ci_u32_e64 v7, null, s38, 0, s6
	s_waitcnt vmcnt(0) lgkmcnt(0)
	flat_load_short_d16_hi v3, v[6:7] offset:640
	s_or_b32 exec_lo, exec_lo, s7
	s_and_saveexec_b32 s6, s5
	s_cbranch_execz .LBB352_38
.LBB352_198:
	v_add_co_u32 v6, s5, s37, v14
	v_add_co_ci_u32_e64 v7, null, s38, 0, s5
	flat_load_short_d16 v4, v[6:7] offset:768
	s_or_b32 exec_lo, exec_lo, s6
	s_and_saveexec_b32 s5, s4
	s_cbranch_execz .LBB352_39
.LBB352_199:
	v_add_co_u32 v6, s4, s37, v14
	v_add_co_ci_u32_e64 v7, null, s38, 0, s4
	s_waitcnt vmcnt(0) lgkmcnt(0)
	flat_load_short_d16_hi v4, v[6:7] offset:896
	s_or_b32 exec_lo, exec_lo, s5
	s_and_saveexec_b32 s4, s3
	s_cbranch_execz .LBB352_40
.LBB352_200:
	v_add_co_u32 v6, s3, s37, v14
	v_add_co_ci_u32_e64 v7, null, s38, 0, s3
	flat_load_short_d16 v5, v[6:7] offset:1024
	s_or_b32 exec_lo, exec_lo, s4
	s_and_saveexec_b32 s3, s2
	s_cbranch_execnz .LBB352_41
	s_branch .LBB352_42
.LBB352_201:
                                        ; implicit-def: $sgpr16_sgpr17
	s_branch .LBB352_28
.LBB352_202:
                                        ; implicit-def: $sgpr2_sgpr3
	s_branch .LBB352_65
	.section	.rodata,"a",@progbits
	.p2align	6, 0x0
	.amdhsa_kernel _ZN7rocprim17ROCPRIM_400000_NS6detail17trampoline_kernelINS0_14default_configENS1_27scan_by_key_config_selectorIssEEZZNS1_16scan_by_key_implILNS1_25lookback_scan_determinismE0ELb0ES3_N6thrust23THRUST_200600_302600_NS6detail15normal_iteratorINS9_10device_ptrIsEEEESE_SE_sNS9_4plusIvEENS9_8equal_toIsEEsEE10hipError_tPvRmT2_T3_T4_T5_mT6_T7_P12ihipStream_tbENKUlT_T0_E_clISt17integral_constantIbLb0EESY_IbLb1EEEEDaSU_SV_EUlSU_E_NS1_11comp_targetILNS1_3genE8ELNS1_11target_archE1030ELNS1_3gpuE2ELNS1_3repE0EEENS1_30default_config_static_selectorELNS0_4arch9wavefront6targetE0EEEvT1_
		.amdhsa_group_segment_fixed_size 1536
		.amdhsa_private_segment_fixed_size 0
		.amdhsa_kernarg_size 112
		.amdhsa_user_sgpr_count 6
		.amdhsa_user_sgpr_private_segment_buffer 1
		.amdhsa_user_sgpr_dispatch_ptr 0
		.amdhsa_user_sgpr_queue_ptr 0
		.amdhsa_user_sgpr_kernarg_segment_ptr 1
		.amdhsa_user_sgpr_dispatch_id 0
		.amdhsa_user_sgpr_flat_scratch_init 0
		.amdhsa_user_sgpr_private_segment_size 0
		.amdhsa_wavefront_size32 1
		.amdhsa_uses_dynamic_stack 0
		.amdhsa_system_sgpr_private_segment_wavefront_offset 0
		.amdhsa_system_sgpr_workgroup_id_x 1
		.amdhsa_system_sgpr_workgroup_id_y 0
		.amdhsa_system_sgpr_workgroup_id_z 0
		.amdhsa_system_sgpr_workgroup_info 0
		.amdhsa_system_vgpr_workitem_id 0
		.amdhsa_next_free_vgpr 42
		.amdhsa_next_free_sgpr 41
		.amdhsa_reserve_vcc 1
		.amdhsa_reserve_flat_scratch 1
		.amdhsa_float_round_mode_32 0
		.amdhsa_float_round_mode_16_64 0
		.amdhsa_float_denorm_mode_32 3
		.amdhsa_float_denorm_mode_16_64 3
		.amdhsa_dx10_clamp 1
		.amdhsa_ieee_mode 1
		.amdhsa_fp16_overflow 0
		.amdhsa_workgroup_processor_mode 1
		.amdhsa_memory_ordered 1
		.amdhsa_forward_progress 1
		.amdhsa_shared_vgpr_count 0
		.amdhsa_exception_fp_ieee_invalid_op 0
		.amdhsa_exception_fp_denorm_src 0
		.amdhsa_exception_fp_ieee_div_zero 0
		.amdhsa_exception_fp_ieee_overflow 0
		.amdhsa_exception_fp_ieee_underflow 0
		.amdhsa_exception_fp_ieee_inexact 0
		.amdhsa_exception_int_div_zero 0
	.end_amdhsa_kernel
	.section	.text._ZN7rocprim17ROCPRIM_400000_NS6detail17trampoline_kernelINS0_14default_configENS1_27scan_by_key_config_selectorIssEEZZNS1_16scan_by_key_implILNS1_25lookback_scan_determinismE0ELb0ES3_N6thrust23THRUST_200600_302600_NS6detail15normal_iteratorINS9_10device_ptrIsEEEESE_SE_sNS9_4plusIvEENS9_8equal_toIsEEsEE10hipError_tPvRmT2_T3_T4_T5_mT6_T7_P12ihipStream_tbENKUlT_T0_E_clISt17integral_constantIbLb0EESY_IbLb1EEEEDaSU_SV_EUlSU_E_NS1_11comp_targetILNS1_3genE8ELNS1_11target_archE1030ELNS1_3gpuE2ELNS1_3repE0EEENS1_30default_config_static_selectorELNS0_4arch9wavefront6targetE0EEEvT1_,"axG",@progbits,_ZN7rocprim17ROCPRIM_400000_NS6detail17trampoline_kernelINS0_14default_configENS1_27scan_by_key_config_selectorIssEEZZNS1_16scan_by_key_implILNS1_25lookback_scan_determinismE0ELb0ES3_N6thrust23THRUST_200600_302600_NS6detail15normal_iteratorINS9_10device_ptrIsEEEESE_SE_sNS9_4plusIvEENS9_8equal_toIsEEsEE10hipError_tPvRmT2_T3_T4_T5_mT6_T7_P12ihipStream_tbENKUlT_T0_E_clISt17integral_constantIbLb0EESY_IbLb1EEEEDaSU_SV_EUlSU_E_NS1_11comp_targetILNS1_3genE8ELNS1_11target_archE1030ELNS1_3gpuE2ELNS1_3repE0EEENS1_30default_config_static_selectorELNS0_4arch9wavefront6targetE0EEEvT1_,comdat
.Lfunc_end352:
	.size	_ZN7rocprim17ROCPRIM_400000_NS6detail17trampoline_kernelINS0_14default_configENS1_27scan_by_key_config_selectorIssEEZZNS1_16scan_by_key_implILNS1_25lookback_scan_determinismE0ELb0ES3_N6thrust23THRUST_200600_302600_NS6detail15normal_iteratorINS9_10device_ptrIsEEEESE_SE_sNS9_4plusIvEENS9_8equal_toIsEEsEE10hipError_tPvRmT2_T3_T4_T5_mT6_T7_P12ihipStream_tbENKUlT_T0_E_clISt17integral_constantIbLb0EESY_IbLb1EEEEDaSU_SV_EUlSU_E_NS1_11comp_targetILNS1_3genE8ELNS1_11target_archE1030ELNS1_3gpuE2ELNS1_3repE0EEENS1_30default_config_static_selectorELNS0_4arch9wavefront6targetE0EEEvT1_, .Lfunc_end352-_ZN7rocprim17ROCPRIM_400000_NS6detail17trampoline_kernelINS0_14default_configENS1_27scan_by_key_config_selectorIssEEZZNS1_16scan_by_key_implILNS1_25lookback_scan_determinismE0ELb0ES3_N6thrust23THRUST_200600_302600_NS6detail15normal_iteratorINS9_10device_ptrIsEEEESE_SE_sNS9_4plusIvEENS9_8equal_toIsEEsEE10hipError_tPvRmT2_T3_T4_T5_mT6_T7_P12ihipStream_tbENKUlT_T0_E_clISt17integral_constantIbLb0EESY_IbLb1EEEEDaSU_SV_EUlSU_E_NS1_11comp_targetILNS1_3genE8ELNS1_11target_archE1030ELNS1_3gpuE2ELNS1_3repE0EEENS1_30default_config_static_selectorELNS0_4arch9wavefront6targetE0EEEvT1_
                                        ; -- End function
	.set _ZN7rocprim17ROCPRIM_400000_NS6detail17trampoline_kernelINS0_14default_configENS1_27scan_by_key_config_selectorIssEEZZNS1_16scan_by_key_implILNS1_25lookback_scan_determinismE0ELb0ES3_N6thrust23THRUST_200600_302600_NS6detail15normal_iteratorINS9_10device_ptrIsEEEESE_SE_sNS9_4plusIvEENS9_8equal_toIsEEsEE10hipError_tPvRmT2_T3_T4_T5_mT6_T7_P12ihipStream_tbENKUlT_T0_E_clISt17integral_constantIbLb0EESY_IbLb1EEEEDaSU_SV_EUlSU_E_NS1_11comp_targetILNS1_3genE8ELNS1_11target_archE1030ELNS1_3gpuE2ELNS1_3repE0EEENS1_30default_config_static_selectorELNS0_4arch9wavefront6targetE0EEEvT1_.num_vgpr, 42
	.set _ZN7rocprim17ROCPRIM_400000_NS6detail17trampoline_kernelINS0_14default_configENS1_27scan_by_key_config_selectorIssEEZZNS1_16scan_by_key_implILNS1_25lookback_scan_determinismE0ELb0ES3_N6thrust23THRUST_200600_302600_NS6detail15normal_iteratorINS9_10device_ptrIsEEEESE_SE_sNS9_4plusIvEENS9_8equal_toIsEEsEE10hipError_tPvRmT2_T3_T4_T5_mT6_T7_P12ihipStream_tbENKUlT_T0_E_clISt17integral_constantIbLb0EESY_IbLb1EEEEDaSU_SV_EUlSU_E_NS1_11comp_targetILNS1_3genE8ELNS1_11target_archE1030ELNS1_3gpuE2ELNS1_3repE0EEENS1_30default_config_static_selectorELNS0_4arch9wavefront6targetE0EEEvT1_.num_agpr, 0
	.set _ZN7rocprim17ROCPRIM_400000_NS6detail17trampoline_kernelINS0_14default_configENS1_27scan_by_key_config_selectorIssEEZZNS1_16scan_by_key_implILNS1_25lookback_scan_determinismE0ELb0ES3_N6thrust23THRUST_200600_302600_NS6detail15normal_iteratorINS9_10device_ptrIsEEEESE_SE_sNS9_4plusIvEENS9_8equal_toIsEEsEE10hipError_tPvRmT2_T3_T4_T5_mT6_T7_P12ihipStream_tbENKUlT_T0_E_clISt17integral_constantIbLb0EESY_IbLb1EEEEDaSU_SV_EUlSU_E_NS1_11comp_targetILNS1_3genE8ELNS1_11target_archE1030ELNS1_3gpuE2ELNS1_3repE0EEENS1_30default_config_static_selectorELNS0_4arch9wavefront6targetE0EEEvT1_.numbered_sgpr, 41
	.set _ZN7rocprim17ROCPRIM_400000_NS6detail17trampoline_kernelINS0_14default_configENS1_27scan_by_key_config_selectorIssEEZZNS1_16scan_by_key_implILNS1_25lookback_scan_determinismE0ELb0ES3_N6thrust23THRUST_200600_302600_NS6detail15normal_iteratorINS9_10device_ptrIsEEEESE_SE_sNS9_4plusIvEENS9_8equal_toIsEEsEE10hipError_tPvRmT2_T3_T4_T5_mT6_T7_P12ihipStream_tbENKUlT_T0_E_clISt17integral_constantIbLb0EESY_IbLb1EEEEDaSU_SV_EUlSU_E_NS1_11comp_targetILNS1_3genE8ELNS1_11target_archE1030ELNS1_3gpuE2ELNS1_3repE0EEENS1_30default_config_static_selectorELNS0_4arch9wavefront6targetE0EEEvT1_.num_named_barrier, 0
	.set _ZN7rocprim17ROCPRIM_400000_NS6detail17trampoline_kernelINS0_14default_configENS1_27scan_by_key_config_selectorIssEEZZNS1_16scan_by_key_implILNS1_25lookback_scan_determinismE0ELb0ES3_N6thrust23THRUST_200600_302600_NS6detail15normal_iteratorINS9_10device_ptrIsEEEESE_SE_sNS9_4plusIvEENS9_8equal_toIsEEsEE10hipError_tPvRmT2_T3_T4_T5_mT6_T7_P12ihipStream_tbENKUlT_T0_E_clISt17integral_constantIbLb0EESY_IbLb1EEEEDaSU_SV_EUlSU_E_NS1_11comp_targetILNS1_3genE8ELNS1_11target_archE1030ELNS1_3gpuE2ELNS1_3repE0EEENS1_30default_config_static_selectorELNS0_4arch9wavefront6targetE0EEEvT1_.private_seg_size, 0
	.set _ZN7rocprim17ROCPRIM_400000_NS6detail17trampoline_kernelINS0_14default_configENS1_27scan_by_key_config_selectorIssEEZZNS1_16scan_by_key_implILNS1_25lookback_scan_determinismE0ELb0ES3_N6thrust23THRUST_200600_302600_NS6detail15normal_iteratorINS9_10device_ptrIsEEEESE_SE_sNS9_4plusIvEENS9_8equal_toIsEEsEE10hipError_tPvRmT2_T3_T4_T5_mT6_T7_P12ihipStream_tbENKUlT_T0_E_clISt17integral_constantIbLb0EESY_IbLb1EEEEDaSU_SV_EUlSU_E_NS1_11comp_targetILNS1_3genE8ELNS1_11target_archE1030ELNS1_3gpuE2ELNS1_3repE0EEENS1_30default_config_static_selectorELNS0_4arch9wavefront6targetE0EEEvT1_.uses_vcc, 1
	.set _ZN7rocprim17ROCPRIM_400000_NS6detail17trampoline_kernelINS0_14default_configENS1_27scan_by_key_config_selectorIssEEZZNS1_16scan_by_key_implILNS1_25lookback_scan_determinismE0ELb0ES3_N6thrust23THRUST_200600_302600_NS6detail15normal_iteratorINS9_10device_ptrIsEEEESE_SE_sNS9_4plusIvEENS9_8equal_toIsEEsEE10hipError_tPvRmT2_T3_T4_T5_mT6_T7_P12ihipStream_tbENKUlT_T0_E_clISt17integral_constantIbLb0EESY_IbLb1EEEEDaSU_SV_EUlSU_E_NS1_11comp_targetILNS1_3genE8ELNS1_11target_archE1030ELNS1_3gpuE2ELNS1_3repE0EEENS1_30default_config_static_selectorELNS0_4arch9wavefront6targetE0EEEvT1_.uses_flat_scratch, 1
	.set _ZN7rocprim17ROCPRIM_400000_NS6detail17trampoline_kernelINS0_14default_configENS1_27scan_by_key_config_selectorIssEEZZNS1_16scan_by_key_implILNS1_25lookback_scan_determinismE0ELb0ES3_N6thrust23THRUST_200600_302600_NS6detail15normal_iteratorINS9_10device_ptrIsEEEESE_SE_sNS9_4plusIvEENS9_8equal_toIsEEsEE10hipError_tPvRmT2_T3_T4_T5_mT6_T7_P12ihipStream_tbENKUlT_T0_E_clISt17integral_constantIbLb0EESY_IbLb1EEEEDaSU_SV_EUlSU_E_NS1_11comp_targetILNS1_3genE8ELNS1_11target_archE1030ELNS1_3gpuE2ELNS1_3repE0EEENS1_30default_config_static_selectorELNS0_4arch9wavefront6targetE0EEEvT1_.has_dyn_sized_stack, 0
	.set _ZN7rocprim17ROCPRIM_400000_NS6detail17trampoline_kernelINS0_14default_configENS1_27scan_by_key_config_selectorIssEEZZNS1_16scan_by_key_implILNS1_25lookback_scan_determinismE0ELb0ES3_N6thrust23THRUST_200600_302600_NS6detail15normal_iteratorINS9_10device_ptrIsEEEESE_SE_sNS9_4plusIvEENS9_8equal_toIsEEsEE10hipError_tPvRmT2_T3_T4_T5_mT6_T7_P12ihipStream_tbENKUlT_T0_E_clISt17integral_constantIbLb0EESY_IbLb1EEEEDaSU_SV_EUlSU_E_NS1_11comp_targetILNS1_3genE8ELNS1_11target_archE1030ELNS1_3gpuE2ELNS1_3repE0EEENS1_30default_config_static_selectorELNS0_4arch9wavefront6targetE0EEEvT1_.has_recursion, 0
	.set _ZN7rocprim17ROCPRIM_400000_NS6detail17trampoline_kernelINS0_14default_configENS1_27scan_by_key_config_selectorIssEEZZNS1_16scan_by_key_implILNS1_25lookback_scan_determinismE0ELb0ES3_N6thrust23THRUST_200600_302600_NS6detail15normal_iteratorINS9_10device_ptrIsEEEESE_SE_sNS9_4plusIvEENS9_8equal_toIsEEsEE10hipError_tPvRmT2_T3_T4_T5_mT6_T7_P12ihipStream_tbENKUlT_T0_E_clISt17integral_constantIbLb0EESY_IbLb1EEEEDaSU_SV_EUlSU_E_NS1_11comp_targetILNS1_3genE8ELNS1_11target_archE1030ELNS1_3gpuE2ELNS1_3repE0EEENS1_30default_config_static_selectorELNS0_4arch9wavefront6targetE0EEEvT1_.has_indirect_call, 0
	.section	.AMDGPU.csdata,"",@progbits
; Kernel info:
; codeLenInByte = 10436
; TotalNumSgprs: 43
; NumVgprs: 42
; ScratchSize: 0
; MemoryBound: 0
; FloatMode: 240
; IeeeMode: 1
; LDSByteSize: 1536 bytes/workgroup (compile time only)
; SGPRBlocks: 0
; VGPRBlocks: 5
; NumSGPRsForWavesPerEU: 43
; NumVGPRsForWavesPerEU: 42
; Occupancy: 16
; WaveLimiterHint : 1
; COMPUTE_PGM_RSRC2:SCRATCH_EN: 0
; COMPUTE_PGM_RSRC2:USER_SGPR: 6
; COMPUTE_PGM_RSRC2:TRAP_HANDLER: 0
; COMPUTE_PGM_RSRC2:TGID_X_EN: 1
; COMPUTE_PGM_RSRC2:TGID_Y_EN: 0
; COMPUTE_PGM_RSRC2:TGID_Z_EN: 0
; COMPUTE_PGM_RSRC2:TIDIG_COMP_CNT: 0
	.section	.text._ZN7rocprim17ROCPRIM_400000_NS6detail17trampoline_kernelINS0_14default_configENS1_27scan_by_key_config_selectorIxxEEZZNS1_16scan_by_key_implILNS1_25lookback_scan_determinismE0ELb1ES3_N6thrust23THRUST_200600_302600_NS6detail15normal_iteratorINS9_10device_ptrIxEEEESE_SE_xNS9_4plusIvEENS9_8equal_toIvEExEE10hipError_tPvRmT2_T3_T4_T5_mT6_T7_P12ihipStream_tbENKUlT_T0_E_clISt17integral_constantIbLb0EESZ_EEDaSU_SV_EUlSU_E_NS1_11comp_targetILNS1_3genE0ELNS1_11target_archE4294967295ELNS1_3gpuE0ELNS1_3repE0EEENS1_30default_config_static_selectorELNS0_4arch9wavefront6targetE0EEEvT1_,"axG",@progbits,_ZN7rocprim17ROCPRIM_400000_NS6detail17trampoline_kernelINS0_14default_configENS1_27scan_by_key_config_selectorIxxEEZZNS1_16scan_by_key_implILNS1_25lookback_scan_determinismE0ELb1ES3_N6thrust23THRUST_200600_302600_NS6detail15normal_iteratorINS9_10device_ptrIxEEEESE_SE_xNS9_4plusIvEENS9_8equal_toIvEExEE10hipError_tPvRmT2_T3_T4_T5_mT6_T7_P12ihipStream_tbENKUlT_T0_E_clISt17integral_constantIbLb0EESZ_EEDaSU_SV_EUlSU_E_NS1_11comp_targetILNS1_3genE0ELNS1_11target_archE4294967295ELNS1_3gpuE0ELNS1_3repE0EEENS1_30default_config_static_selectorELNS0_4arch9wavefront6targetE0EEEvT1_,comdat
	.protected	_ZN7rocprim17ROCPRIM_400000_NS6detail17trampoline_kernelINS0_14default_configENS1_27scan_by_key_config_selectorIxxEEZZNS1_16scan_by_key_implILNS1_25lookback_scan_determinismE0ELb1ES3_N6thrust23THRUST_200600_302600_NS6detail15normal_iteratorINS9_10device_ptrIxEEEESE_SE_xNS9_4plusIvEENS9_8equal_toIvEExEE10hipError_tPvRmT2_T3_T4_T5_mT6_T7_P12ihipStream_tbENKUlT_T0_E_clISt17integral_constantIbLb0EESZ_EEDaSU_SV_EUlSU_E_NS1_11comp_targetILNS1_3genE0ELNS1_11target_archE4294967295ELNS1_3gpuE0ELNS1_3repE0EEENS1_30default_config_static_selectorELNS0_4arch9wavefront6targetE0EEEvT1_ ; -- Begin function _ZN7rocprim17ROCPRIM_400000_NS6detail17trampoline_kernelINS0_14default_configENS1_27scan_by_key_config_selectorIxxEEZZNS1_16scan_by_key_implILNS1_25lookback_scan_determinismE0ELb1ES3_N6thrust23THRUST_200600_302600_NS6detail15normal_iteratorINS9_10device_ptrIxEEEESE_SE_xNS9_4plusIvEENS9_8equal_toIvEExEE10hipError_tPvRmT2_T3_T4_T5_mT6_T7_P12ihipStream_tbENKUlT_T0_E_clISt17integral_constantIbLb0EESZ_EEDaSU_SV_EUlSU_E_NS1_11comp_targetILNS1_3genE0ELNS1_11target_archE4294967295ELNS1_3gpuE0ELNS1_3repE0EEENS1_30default_config_static_selectorELNS0_4arch9wavefront6targetE0EEEvT1_
	.globl	_ZN7rocprim17ROCPRIM_400000_NS6detail17trampoline_kernelINS0_14default_configENS1_27scan_by_key_config_selectorIxxEEZZNS1_16scan_by_key_implILNS1_25lookback_scan_determinismE0ELb1ES3_N6thrust23THRUST_200600_302600_NS6detail15normal_iteratorINS9_10device_ptrIxEEEESE_SE_xNS9_4plusIvEENS9_8equal_toIvEExEE10hipError_tPvRmT2_T3_T4_T5_mT6_T7_P12ihipStream_tbENKUlT_T0_E_clISt17integral_constantIbLb0EESZ_EEDaSU_SV_EUlSU_E_NS1_11comp_targetILNS1_3genE0ELNS1_11target_archE4294967295ELNS1_3gpuE0ELNS1_3repE0EEENS1_30default_config_static_selectorELNS0_4arch9wavefront6targetE0EEEvT1_
	.p2align	8
	.type	_ZN7rocprim17ROCPRIM_400000_NS6detail17trampoline_kernelINS0_14default_configENS1_27scan_by_key_config_selectorIxxEEZZNS1_16scan_by_key_implILNS1_25lookback_scan_determinismE0ELb1ES3_N6thrust23THRUST_200600_302600_NS6detail15normal_iteratorINS9_10device_ptrIxEEEESE_SE_xNS9_4plusIvEENS9_8equal_toIvEExEE10hipError_tPvRmT2_T3_T4_T5_mT6_T7_P12ihipStream_tbENKUlT_T0_E_clISt17integral_constantIbLb0EESZ_EEDaSU_SV_EUlSU_E_NS1_11comp_targetILNS1_3genE0ELNS1_11target_archE4294967295ELNS1_3gpuE0ELNS1_3repE0EEENS1_30default_config_static_selectorELNS0_4arch9wavefront6targetE0EEEvT1_,@function
_ZN7rocprim17ROCPRIM_400000_NS6detail17trampoline_kernelINS0_14default_configENS1_27scan_by_key_config_selectorIxxEEZZNS1_16scan_by_key_implILNS1_25lookback_scan_determinismE0ELb1ES3_N6thrust23THRUST_200600_302600_NS6detail15normal_iteratorINS9_10device_ptrIxEEEESE_SE_xNS9_4plusIvEENS9_8equal_toIvEExEE10hipError_tPvRmT2_T3_T4_T5_mT6_T7_P12ihipStream_tbENKUlT_T0_E_clISt17integral_constantIbLb0EESZ_EEDaSU_SV_EUlSU_E_NS1_11comp_targetILNS1_3genE0ELNS1_11target_archE4294967295ELNS1_3gpuE0ELNS1_3repE0EEENS1_30default_config_static_selectorELNS0_4arch9wavefront6targetE0EEEvT1_: ; @_ZN7rocprim17ROCPRIM_400000_NS6detail17trampoline_kernelINS0_14default_configENS1_27scan_by_key_config_selectorIxxEEZZNS1_16scan_by_key_implILNS1_25lookback_scan_determinismE0ELb1ES3_N6thrust23THRUST_200600_302600_NS6detail15normal_iteratorINS9_10device_ptrIxEEEESE_SE_xNS9_4plusIvEENS9_8equal_toIvEExEE10hipError_tPvRmT2_T3_T4_T5_mT6_T7_P12ihipStream_tbENKUlT_T0_E_clISt17integral_constantIbLb0EESZ_EEDaSU_SV_EUlSU_E_NS1_11comp_targetILNS1_3genE0ELNS1_11target_archE4294967295ELNS1_3gpuE0ELNS1_3repE0EEENS1_30default_config_static_selectorELNS0_4arch9wavefront6targetE0EEEvT1_
; %bb.0:
	.section	.rodata,"a",@progbits
	.p2align	6, 0x0
	.amdhsa_kernel _ZN7rocprim17ROCPRIM_400000_NS6detail17trampoline_kernelINS0_14default_configENS1_27scan_by_key_config_selectorIxxEEZZNS1_16scan_by_key_implILNS1_25lookback_scan_determinismE0ELb1ES3_N6thrust23THRUST_200600_302600_NS6detail15normal_iteratorINS9_10device_ptrIxEEEESE_SE_xNS9_4plusIvEENS9_8equal_toIvEExEE10hipError_tPvRmT2_T3_T4_T5_mT6_T7_P12ihipStream_tbENKUlT_T0_E_clISt17integral_constantIbLb0EESZ_EEDaSU_SV_EUlSU_E_NS1_11comp_targetILNS1_3genE0ELNS1_11target_archE4294967295ELNS1_3gpuE0ELNS1_3repE0EEENS1_30default_config_static_selectorELNS0_4arch9wavefront6targetE0EEEvT1_
		.amdhsa_group_segment_fixed_size 0
		.amdhsa_private_segment_fixed_size 0
		.amdhsa_kernarg_size 136
		.amdhsa_user_sgpr_count 6
		.amdhsa_user_sgpr_private_segment_buffer 1
		.amdhsa_user_sgpr_dispatch_ptr 0
		.amdhsa_user_sgpr_queue_ptr 0
		.amdhsa_user_sgpr_kernarg_segment_ptr 1
		.amdhsa_user_sgpr_dispatch_id 0
		.amdhsa_user_sgpr_flat_scratch_init 0
		.amdhsa_user_sgpr_private_segment_size 0
		.amdhsa_wavefront_size32 1
		.amdhsa_uses_dynamic_stack 0
		.amdhsa_system_sgpr_private_segment_wavefront_offset 0
		.amdhsa_system_sgpr_workgroup_id_x 1
		.amdhsa_system_sgpr_workgroup_id_y 0
		.amdhsa_system_sgpr_workgroup_id_z 0
		.amdhsa_system_sgpr_workgroup_info 0
		.amdhsa_system_vgpr_workitem_id 0
		.amdhsa_next_free_vgpr 1
		.amdhsa_next_free_sgpr 1
		.amdhsa_reserve_vcc 0
		.amdhsa_reserve_flat_scratch 0
		.amdhsa_float_round_mode_32 0
		.amdhsa_float_round_mode_16_64 0
		.amdhsa_float_denorm_mode_32 3
		.amdhsa_float_denorm_mode_16_64 3
		.amdhsa_dx10_clamp 1
		.amdhsa_ieee_mode 1
		.amdhsa_fp16_overflow 0
		.amdhsa_workgroup_processor_mode 1
		.amdhsa_memory_ordered 1
		.amdhsa_forward_progress 1
		.amdhsa_shared_vgpr_count 0
		.amdhsa_exception_fp_ieee_invalid_op 0
		.amdhsa_exception_fp_denorm_src 0
		.amdhsa_exception_fp_ieee_div_zero 0
		.amdhsa_exception_fp_ieee_overflow 0
		.amdhsa_exception_fp_ieee_underflow 0
		.amdhsa_exception_fp_ieee_inexact 0
		.amdhsa_exception_int_div_zero 0
	.end_amdhsa_kernel
	.section	.text._ZN7rocprim17ROCPRIM_400000_NS6detail17trampoline_kernelINS0_14default_configENS1_27scan_by_key_config_selectorIxxEEZZNS1_16scan_by_key_implILNS1_25lookback_scan_determinismE0ELb1ES3_N6thrust23THRUST_200600_302600_NS6detail15normal_iteratorINS9_10device_ptrIxEEEESE_SE_xNS9_4plusIvEENS9_8equal_toIvEExEE10hipError_tPvRmT2_T3_T4_T5_mT6_T7_P12ihipStream_tbENKUlT_T0_E_clISt17integral_constantIbLb0EESZ_EEDaSU_SV_EUlSU_E_NS1_11comp_targetILNS1_3genE0ELNS1_11target_archE4294967295ELNS1_3gpuE0ELNS1_3repE0EEENS1_30default_config_static_selectorELNS0_4arch9wavefront6targetE0EEEvT1_,"axG",@progbits,_ZN7rocprim17ROCPRIM_400000_NS6detail17trampoline_kernelINS0_14default_configENS1_27scan_by_key_config_selectorIxxEEZZNS1_16scan_by_key_implILNS1_25lookback_scan_determinismE0ELb1ES3_N6thrust23THRUST_200600_302600_NS6detail15normal_iteratorINS9_10device_ptrIxEEEESE_SE_xNS9_4plusIvEENS9_8equal_toIvEExEE10hipError_tPvRmT2_T3_T4_T5_mT6_T7_P12ihipStream_tbENKUlT_T0_E_clISt17integral_constantIbLb0EESZ_EEDaSU_SV_EUlSU_E_NS1_11comp_targetILNS1_3genE0ELNS1_11target_archE4294967295ELNS1_3gpuE0ELNS1_3repE0EEENS1_30default_config_static_selectorELNS0_4arch9wavefront6targetE0EEEvT1_,comdat
.Lfunc_end353:
	.size	_ZN7rocprim17ROCPRIM_400000_NS6detail17trampoline_kernelINS0_14default_configENS1_27scan_by_key_config_selectorIxxEEZZNS1_16scan_by_key_implILNS1_25lookback_scan_determinismE0ELb1ES3_N6thrust23THRUST_200600_302600_NS6detail15normal_iteratorINS9_10device_ptrIxEEEESE_SE_xNS9_4plusIvEENS9_8equal_toIvEExEE10hipError_tPvRmT2_T3_T4_T5_mT6_T7_P12ihipStream_tbENKUlT_T0_E_clISt17integral_constantIbLb0EESZ_EEDaSU_SV_EUlSU_E_NS1_11comp_targetILNS1_3genE0ELNS1_11target_archE4294967295ELNS1_3gpuE0ELNS1_3repE0EEENS1_30default_config_static_selectorELNS0_4arch9wavefront6targetE0EEEvT1_, .Lfunc_end353-_ZN7rocprim17ROCPRIM_400000_NS6detail17trampoline_kernelINS0_14default_configENS1_27scan_by_key_config_selectorIxxEEZZNS1_16scan_by_key_implILNS1_25lookback_scan_determinismE0ELb1ES3_N6thrust23THRUST_200600_302600_NS6detail15normal_iteratorINS9_10device_ptrIxEEEESE_SE_xNS9_4plusIvEENS9_8equal_toIvEExEE10hipError_tPvRmT2_T3_T4_T5_mT6_T7_P12ihipStream_tbENKUlT_T0_E_clISt17integral_constantIbLb0EESZ_EEDaSU_SV_EUlSU_E_NS1_11comp_targetILNS1_3genE0ELNS1_11target_archE4294967295ELNS1_3gpuE0ELNS1_3repE0EEENS1_30default_config_static_selectorELNS0_4arch9wavefront6targetE0EEEvT1_
                                        ; -- End function
	.set _ZN7rocprim17ROCPRIM_400000_NS6detail17trampoline_kernelINS0_14default_configENS1_27scan_by_key_config_selectorIxxEEZZNS1_16scan_by_key_implILNS1_25lookback_scan_determinismE0ELb1ES3_N6thrust23THRUST_200600_302600_NS6detail15normal_iteratorINS9_10device_ptrIxEEEESE_SE_xNS9_4plusIvEENS9_8equal_toIvEExEE10hipError_tPvRmT2_T3_T4_T5_mT6_T7_P12ihipStream_tbENKUlT_T0_E_clISt17integral_constantIbLb0EESZ_EEDaSU_SV_EUlSU_E_NS1_11comp_targetILNS1_3genE0ELNS1_11target_archE4294967295ELNS1_3gpuE0ELNS1_3repE0EEENS1_30default_config_static_selectorELNS0_4arch9wavefront6targetE0EEEvT1_.num_vgpr, 0
	.set _ZN7rocprim17ROCPRIM_400000_NS6detail17trampoline_kernelINS0_14default_configENS1_27scan_by_key_config_selectorIxxEEZZNS1_16scan_by_key_implILNS1_25lookback_scan_determinismE0ELb1ES3_N6thrust23THRUST_200600_302600_NS6detail15normal_iteratorINS9_10device_ptrIxEEEESE_SE_xNS9_4plusIvEENS9_8equal_toIvEExEE10hipError_tPvRmT2_T3_T4_T5_mT6_T7_P12ihipStream_tbENKUlT_T0_E_clISt17integral_constantIbLb0EESZ_EEDaSU_SV_EUlSU_E_NS1_11comp_targetILNS1_3genE0ELNS1_11target_archE4294967295ELNS1_3gpuE0ELNS1_3repE0EEENS1_30default_config_static_selectorELNS0_4arch9wavefront6targetE0EEEvT1_.num_agpr, 0
	.set _ZN7rocprim17ROCPRIM_400000_NS6detail17trampoline_kernelINS0_14default_configENS1_27scan_by_key_config_selectorIxxEEZZNS1_16scan_by_key_implILNS1_25lookback_scan_determinismE0ELb1ES3_N6thrust23THRUST_200600_302600_NS6detail15normal_iteratorINS9_10device_ptrIxEEEESE_SE_xNS9_4plusIvEENS9_8equal_toIvEExEE10hipError_tPvRmT2_T3_T4_T5_mT6_T7_P12ihipStream_tbENKUlT_T0_E_clISt17integral_constantIbLb0EESZ_EEDaSU_SV_EUlSU_E_NS1_11comp_targetILNS1_3genE0ELNS1_11target_archE4294967295ELNS1_3gpuE0ELNS1_3repE0EEENS1_30default_config_static_selectorELNS0_4arch9wavefront6targetE0EEEvT1_.numbered_sgpr, 0
	.set _ZN7rocprim17ROCPRIM_400000_NS6detail17trampoline_kernelINS0_14default_configENS1_27scan_by_key_config_selectorIxxEEZZNS1_16scan_by_key_implILNS1_25lookback_scan_determinismE0ELb1ES3_N6thrust23THRUST_200600_302600_NS6detail15normal_iteratorINS9_10device_ptrIxEEEESE_SE_xNS9_4plusIvEENS9_8equal_toIvEExEE10hipError_tPvRmT2_T3_T4_T5_mT6_T7_P12ihipStream_tbENKUlT_T0_E_clISt17integral_constantIbLb0EESZ_EEDaSU_SV_EUlSU_E_NS1_11comp_targetILNS1_3genE0ELNS1_11target_archE4294967295ELNS1_3gpuE0ELNS1_3repE0EEENS1_30default_config_static_selectorELNS0_4arch9wavefront6targetE0EEEvT1_.num_named_barrier, 0
	.set _ZN7rocprim17ROCPRIM_400000_NS6detail17trampoline_kernelINS0_14default_configENS1_27scan_by_key_config_selectorIxxEEZZNS1_16scan_by_key_implILNS1_25lookback_scan_determinismE0ELb1ES3_N6thrust23THRUST_200600_302600_NS6detail15normal_iteratorINS9_10device_ptrIxEEEESE_SE_xNS9_4plusIvEENS9_8equal_toIvEExEE10hipError_tPvRmT2_T3_T4_T5_mT6_T7_P12ihipStream_tbENKUlT_T0_E_clISt17integral_constantIbLb0EESZ_EEDaSU_SV_EUlSU_E_NS1_11comp_targetILNS1_3genE0ELNS1_11target_archE4294967295ELNS1_3gpuE0ELNS1_3repE0EEENS1_30default_config_static_selectorELNS0_4arch9wavefront6targetE0EEEvT1_.private_seg_size, 0
	.set _ZN7rocprim17ROCPRIM_400000_NS6detail17trampoline_kernelINS0_14default_configENS1_27scan_by_key_config_selectorIxxEEZZNS1_16scan_by_key_implILNS1_25lookback_scan_determinismE0ELb1ES3_N6thrust23THRUST_200600_302600_NS6detail15normal_iteratorINS9_10device_ptrIxEEEESE_SE_xNS9_4plusIvEENS9_8equal_toIvEExEE10hipError_tPvRmT2_T3_T4_T5_mT6_T7_P12ihipStream_tbENKUlT_T0_E_clISt17integral_constantIbLb0EESZ_EEDaSU_SV_EUlSU_E_NS1_11comp_targetILNS1_3genE0ELNS1_11target_archE4294967295ELNS1_3gpuE0ELNS1_3repE0EEENS1_30default_config_static_selectorELNS0_4arch9wavefront6targetE0EEEvT1_.uses_vcc, 0
	.set _ZN7rocprim17ROCPRIM_400000_NS6detail17trampoline_kernelINS0_14default_configENS1_27scan_by_key_config_selectorIxxEEZZNS1_16scan_by_key_implILNS1_25lookback_scan_determinismE0ELb1ES3_N6thrust23THRUST_200600_302600_NS6detail15normal_iteratorINS9_10device_ptrIxEEEESE_SE_xNS9_4plusIvEENS9_8equal_toIvEExEE10hipError_tPvRmT2_T3_T4_T5_mT6_T7_P12ihipStream_tbENKUlT_T0_E_clISt17integral_constantIbLb0EESZ_EEDaSU_SV_EUlSU_E_NS1_11comp_targetILNS1_3genE0ELNS1_11target_archE4294967295ELNS1_3gpuE0ELNS1_3repE0EEENS1_30default_config_static_selectorELNS0_4arch9wavefront6targetE0EEEvT1_.uses_flat_scratch, 0
	.set _ZN7rocprim17ROCPRIM_400000_NS6detail17trampoline_kernelINS0_14default_configENS1_27scan_by_key_config_selectorIxxEEZZNS1_16scan_by_key_implILNS1_25lookback_scan_determinismE0ELb1ES3_N6thrust23THRUST_200600_302600_NS6detail15normal_iteratorINS9_10device_ptrIxEEEESE_SE_xNS9_4plusIvEENS9_8equal_toIvEExEE10hipError_tPvRmT2_T3_T4_T5_mT6_T7_P12ihipStream_tbENKUlT_T0_E_clISt17integral_constantIbLb0EESZ_EEDaSU_SV_EUlSU_E_NS1_11comp_targetILNS1_3genE0ELNS1_11target_archE4294967295ELNS1_3gpuE0ELNS1_3repE0EEENS1_30default_config_static_selectorELNS0_4arch9wavefront6targetE0EEEvT1_.has_dyn_sized_stack, 0
	.set _ZN7rocprim17ROCPRIM_400000_NS6detail17trampoline_kernelINS0_14default_configENS1_27scan_by_key_config_selectorIxxEEZZNS1_16scan_by_key_implILNS1_25lookback_scan_determinismE0ELb1ES3_N6thrust23THRUST_200600_302600_NS6detail15normal_iteratorINS9_10device_ptrIxEEEESE_SE_xNS9_4plusIvEENS9_8equal_toIvEExEE10hipError_tPvRmT2_T3_T4_T5_mT6_T7_P12ihipStream_tbENKUlT_T0_E_clISt17integral_constantIbLb0EESZ_EEDaSU_SV_EUlSU_E_NS1_11comp_targetILNS1_3genE0ELNS1_11target_archE4294967295ELNS1_3gpuE0ELNS1_3repE0EEENS1_30default_config_static_selectorELNS0_4arch9wavefront6targetE0EEEvT1_.has_recursion, 0
	.set _ZN7rocprim17ROCPRIM_400000_NS6detail17trampoline_kernelINS0_14default_configENS1_27scan_by_key_config_selectorIxxEEZZNS1_16scan_by_key_implILNS1_25lookback_scan_determinismE0ELb1ES3_N6thrust23THRUST_200600_302600_NS6detail15normal_iteratorINS9_10device_ptrIxEEEESE_SE_xNS9_4plusIvEENS9_8equal_toIvEExEE10hipError_tPvRmT2_T3_T4_T5_mT6_T7_P12ihipStream_tbENKUlT_T0_E_clISt17integral_constantIbLb0EESZ_EEDaSU_SV_EUlSU_E_NS1_11comp_targetILNS1_3genE0ELNS1_11target_archE4294967295ELNS1_3gpuE0ELNS1_3repE0EEENS1_30default_config_static_selectorELNS0_4arch9wavefront6targetE0EEEvT1_.has_indirect_call, 0
	.section	.AMDGPU.csdata,"",@progbits
; Kernel info:
; codeLenInByte = 0
; TotalNumSgprs: 0
; NumVgprs: 0
; ScratchSize: 0
; MemoryBound: 0
; FloatMode: 240
; IeeeMode: 1
; LDSByteSize: 0 bytes/workgroup (compile time only)
; SGPRBlocks: 0
; VGPRBlocks: 0
; NumSGPRsForWavesPerEU: 1
; NumVGPRsForWavesPerEU: 1
; Occupancy: 16
; WaveLimiterHint : 0
; COMPUTE_PGM_RSRC2:SCRATCH_EN: 0
; COMPUTE_PGM_RSRC2:USER_SGPR: 6
; COMPUTE_PGM_RSRC2:TRAP_HANDLER: 0
; COMPUTE_PGM_RSRC2:TGID_X_EN: 1
; COMPUTE_PGM_RSRC2:TGID_Y_EN: 0
; COMPUTE_PGM_RSRC2:TGID_Z_EN: 0
; COMPUTE_PGM_RSRC2:TIDIG_COMP_CNT: 0
	.section	.text._ZN7rocprim17ROCPRIM_400000_NS6detail17trampoline_kernelINS0_14default_configENS1_27scan_by_key_config_selectorIxxEEZZNS1_16scan_by_key_implILNS1_25lookback_scan_determinismE0ELb1ES3_N6thrust23THRUST_200600_302600_NS6detail15normal_iteratorINS9_10device_ptrIxEEEESE_SE_xNS9_4plusIvEENS9_8equal_toIvEExEE10hipError_tPvRmT2_T3_T4_T5_mT6_T7_P12ihipStream_tbENKUlT_T0_E_clISt17integral_constantIbLb0EESZ_EEDaSU_SV_EUlSU_E_NS1_11comp_targetILNS1_3genE10ELNS1_11target_archE1201ELNS1_3gpuE5ELNS1_3repE0EEENS1_30default_config_static_selectorELNS0_4arch9wavefront6targetE0EEEvT1_,"axG",@progbits,_ZN7rocprim17ROCPRIM_400000_NS6detail17trampoline_kernelINS0_14default_configENS1_27scan_by_key_config_selectorIxxEEZZNS1_16scan_by_key_implILNS1_25lookback_scan_determinismE0ELb1ES3_N6thrust23THRUST_200600_302600_NS6detail15normal_iteratorINS9_10device_ptrIxEEEESE_SE_xNS9_4plusIvEENS9_8equal_toIvEExEE10hipError_tPvRmT2_T3_T4_T5_mT6_T7_P12ihipStream_tbENKUlT_T0_E_clISt17integral_constantIbLb0EESZ_EEDaSU_SV_EUlSU_E_NS1_11comp_targetILNS1_3genE10ELNS1_11target_archE1201ELNS1_3gpuE5ELNS1_3repE0EEENS1_30default_config_static_selectorELNS0_4arch9wavefront6targetE0EEEvT1_,comdat
	.protected	_ZN7rocprim17ROCPRIM_400000_NS6detail17trampoline_kernelINS0_14default_configENS1_27scan_by_key_config_selectorIxxEEZZNS1_16scan_by_key_implILNS1_25lookback_scan_determinismE0ELb1ES3_N6thrust23THRUST_200600_302600_NS6detail15normal_iteratorINS9_10device_ptrIxEEEESE_SE_xNS9_4plusIvEENS9_8equal_toIvEExEE10hipError_tPvRmT2_T3_T4_T5_mT6_T7_P12ihipStream_tbENKUlT_T0_E_clISt17integral_constantIbLb0EESZ_EEDaSU_SV_EUlSU_E_NS1_11comp_targetILNS1_3genE10ELNS1_11target_archE1201ELNS1_3gpuE5ELNS1_3repE0EEENS1_30default_config_static_selectorELNS0_4arch9wavefront6targetE0EEEvT1_ ; -- Begin function _ZN7rocprim17ROCPRIM_400000_NS6detail17trampoline_kernelINS0_14default_configENS1_27scan_by_key_config_selectorIxxEEZZNS1_16scan_by_key_implILNS1_25lookback_scan_determinismE0ELb1ES3_N6thrust23THRUST_200600_302600_NS6detail15normal_iteratorINS9_10device_ptrIxEEEESE_SE_xNS9_4plusIvEENS9_8equal_toIvEExEE10hipError_tPvRmT2_T3_T4_T5_mT6_T7_P12ihipStream_tbENKUlT_T0_E_clISt17integral_constantIbLb0EESZ_EEDaSU_SV_EUlSU_E_NS1_11comp_targetILNS1_3genE10ELNS1_11target_archE1201ELNS1_3gpuE5ELNS1_3repE0EEENS1_30default_config_static_selectorELNS0_4arch9wavefront6targetE0EEEvT1_
	.globl	_ZN7rocprim17ROCPRIM_400000_NS6detail17trampoline_kernelINS0_14default_configENS1_27scan_by_key_config_selectorIxxEEZZNS1_16scan_by_key_implILNS1_25lookback_scan_determinismE0ELb1ES3_N6thrust23THRUST_200600_302600_NS6detail15normal_iteratorINS9_10device_ptrIxEEEESE_SE_xNS9_4plusIvEENS9_8equal_toIvEExEE10hipError_tPvRmT2_T3_T4_T5_mT6_T7_P12ihipStream_tbENKUlT_T0_E_clISt17integral_constantIbLb0EESZ_EEDaSU_SV_EUlSU_E_NS1_11comp_targetILNS1_3genE10ELNS1_11target_archE1201ELNS1_3gpuE5ELNS1_3repE0EEENS1_30default_config_static_selectorELNS0_4arch9wavefront6targetE0EEEvT1_
	.p2align	8
	.type	_ZN7rocprim17ROCPRIM_400000_NS6detail17trampoline_kernelINS0_14default_configENS1_27scan_by_key_config_selectorIxxEEZZNS1_16scan_by_key_implILNS1_25lookback_scan_determinismE0ELb1ES3_N6thrust23THRUST_200600_302600_NS6detail15normal_iteratorINS9_10device_ptrIxEEEESE_SE_xNS9_4plusIvEENS9_8equal_toIvEExEE10hipError_tPvRmT2_T3_T4_T5_mT6_T7_P12ihipStream_tbENKUlT_T0_E_clISt17integral_constantIbLb0EESZ_EEDaSU_SV_EUlSU_E_NS1_11comp_targetILNS1_3genE10ELNS1_11target_archE1201ELNS1_3gpuE5ELNS1_3repE0EEENS1_30default_config_static_selectorELNS0_4arch9wavefront6targetE0EEEvT1_,@function
_ZN7rocprim17ROCPRIM_400000_NS6detail17trampoline_kernelINS0_14default_configENS1_27scan_by_key_config_selectorIxxEEZZNS1_16scan_by_key_implILNS1_25lookback_scan_determinismE0ELb1ES3_N6thrust23THRUST_200600_302600_NS6detail15normal_iteratorINS9_10device_ptrIxEEEESE_SE_xNS9_4plusIvEENS9_8equal_toIvEExEE10hipError_tPvRmT2_T3_T4_T5_mT6_T7_P12ihipStream_tbENKUlT_T0_E_clISt17integral_constantIbLb0EESZ_EEDaSU_SV_EUlSU_E_NS1_11comp_targetILNS1_3genE10ELNS1_11target_archE1201ELNS1_3gpuE5ELNS1_3repE0EEENS1_30default_config_static_selectorELNS0_4arch9wavefront6targetE0EEEvT1_: ; @_ZN7rocprim17ROCPRIM_400000_NS6detail17trampoline_kernelINS0_14default_configENS1_27scan_by_key_config_selectorIxxEEZZNS1_16scan_by_key_implILNS1_25lookback_scan_determinismE0ELb1ES3_N6thrust23THRUST_200600_302600_NS6detail15normal_iteratorINS9_10device_ptrIxEEEESE_SE_xNS9_4plusIvEENS9_8equal_toIvEExEE10hipError_tPvRmT2_T3_T4_T5_mT6_T7_P12ihipStream_tbENKUlT_T0_E_clISt17integral_constantIbLb0EESZ_EEDaSU_SV_EUlSU_E_NS1_11comp_targetILNS1_3genE10ELNS1_11target_archE1201ELNS1_3gpuE5ELNS1_3repE0EEENS1_30default_config_static_selectorELNS0_4arch9wavefront6targetE0EEEvT1_
; %bb.0:
	.section	.rodata,"a",@progbits
	.p2align	6, 0x0
	.amdhsa_kernel _ZN7rocprim17ROCPRIM_400000_NS6detail17trampoline_kernelINS0_14default_configENS1_27scan_by_key_config_selectorIxxEEZZNS1_16scan_by_key_implILNS1_25lookback_scan_determinismE0ELb1ES3_N6thrust23THRUST_200600_302600_NS6detail15normal_iteratorINS9_10device_ptrIxEEEESE_SE_xNS9_4plusIvEENS9_8equal_toIvEExEE10hipError_tPvRmT2_T3_T4_T5_mT6_T7_P12ihipStream_tbENKUlT_T0_E_clISt17integral_constantIbLb0EESZ_EEDaSU_SV_EUlSU_E_NS1_11comp_targetILNS1_3genE10ELNS1_11target_archE1201ELNS1_3gpuE5ELNS1_3repE0EEENS1_30default_config_static_selectorELNS0_4arch9wavefront6targetE0EEEvT1_
		.amdhsa_group_segment_fixed_size 0
		.amdhsa_private_segment_fixed_size 0
		.amdhsa_kernarg_size 136
		.amdhsa_user_sgpr_count 6
		.amdhsa_user_sgpr_private_segment_buffer 1
		.amdhsa_user_sgpr_dispatch_ptr 0
		.amdhsa_user_sgpr_queue_ptr 0
		.amdhsa_user_sgpr_kernarg_segment_ptr 1
		.amdhsa_user_sgpr_dispatch_id 0
		.amdhsa_user_sgpr_flat_scratch_init 0
		.amdhsa_user_sgpr_private_segment_size 0
		.amdhsa_wavefront_size32 1
		.amdhsa_uses_dynamic_stack 0
		.amdhsa_system_sgpr_private_segment_wavefront_offset 0
		.amdhsa_system_sgpr_workgroup_id_x 1
		.amdhsa_system_sgpr_workgroup_id_y 0
		.amdhsa_system_sgpr_workgroup_id_z 0
		.amdhsa_system_sgpr_workgroup_info 0
		.amdhsa_system_vgpr_workitem_id 0
		.amdhsa_next_free_vgpr 1
		.amdhsa_next_free_sgpr 1
		.amdhsa_reserve_vcc 0
		.amdhsa_reserve_flat_scratch 0
		.amdhsa_float_round_mode_32 0
		.amdhsa_float_round_mode_16_64 0
		.amdhsa_float_denorm_mode_32 3
		.amdhsa_float_denorm_mode_16_64 3
		.amdhsa_dx10_clamp 1
		.amdhsa_ieee_mode 1
		.amdhsa_fp16_overflow 0
		.amdhsa_workgroup_processor_mode 1
		.amdhsa_memory_ordered 1
		.amdhsa_forward_progress 1
		.amdhsa_shared_vgpr_count 0
		.amdhsa_exception_fp_ieee_invalid_op 0
		.amdhsa_exception_fp_denorm_src 0
		.amdhsa_exception_fp_ieee_div_zero 0
		.amdhsa_exception_fp_ieee_overflow 0
		.amdhsa_exception_fp_ieee_underflow 0
		.amdhsa_exception_fp_ieee_inexact 0
		.amdhsa_exception_int_div_zero 0
	.end_amdhsa_kernel
	.section	.text._ZN7rocprim17ROCPRIM_400000_NS6detail17trampoline_kernelINS0_14default_configENS1_27scan_by_key_config_selectorIxxEEZZNS1_16scan_by_key_implILNS1_25lookback_scan_determinismE0ELb1ES3_N6thrust23THRUST_200600_302600_NS6detail15normal_iteratorINS9_10device_ptrIxEEEESE_SE_xNS9_4plusIvEENS9_8equal_toIvEExEE10hipError_tPvRmT2_T3_T4_T5_mT6_T7_P12ihipStream_tbENKUlT_T0_E_clISt17integral_constantIbLb0EESZ_EEDaSU_SV_EUlSU_E_NS1_11comp_targetILNS1_3genE10ELNS1_11target_archE1201ELNS1_3gpuE5ELNS1_3repE0EEENS1_30default_config_static_selectorELNS0_4arch9wavefront6targetE0EEEvT1_,"axG",@progbits,_ZN7rocprim17ROCPRIM_400000_NS6detail17trampoline_kernelINS0_14default_configENS1_27scan_by_key_config_selectorIxxEEZZNS1_16scan_by_key_implILNS1_25lookback_scan_determinismE0ELb1ES3_N6thrust23THRUST_200600_302600_NS6detail15normal_iteratorINS9_10device_ptrIxEEEESE_SE_xNS9_4plusIvEENS9_8equal_toIvEExEE10hipError_tPvRmT2_T3_T4_T5_mT6_T7_P12ihipStream_tbENKUlT_T0_E_clISt17integral_constantIbLb0EESZ_EEDaSU_SV_EUlSU_E_NS1_11comp_targetILNS1_3genE10ELNS1_11target_archE1201ELNS1_3gpuE5ELNS1_3repE0EEENS1_30default_config_static_selectorELNS0_4arch9wavefront6targetE0EEEvT1_,comdat
.Lfunc_end354:
	.size	_ZN7rocprim17ROCPRIM_400000_NS6detail17trampoline_kernelINS0_14default_configENS1_27scan_by_key_config_selectorIxxEEZZNS1_16scan_by_key_implILNS1_25lookback_scan_determinismE0ELb1ES3_N6thrust23THRUST_200600_302600_NS6detail15normal_iteratorINS9_10device_ptrIxEEEESE_SE_xNS9_4plusIvEENS9_8equal_toIvEExEE10hipError_tPvRmT2_T3_T4_T5_mT6_T7_P12ihipStream_tbENKUlT_T0_E_clISt17integral_constantIbLb0EESZ_EEDaSU_SV_EUlSU_E_NS1_11comp_targetILNS1_3genE10ELNS1_11target_archE1201ELNS1_3gpuE5ELNS1_3repE0EEENS1_30default_config_static_selectorELNS0_4arch9wavefront6targetE0EEEvT1_, .Lfunc_end354-_ZN7rocprim17ROCPRIM_400000_NS6detail17trampoline_kernelINS0_14default_configENS1_27scan_by_key_config_selectorIxxEEZZNS1_16scan_by_key_implILNS1_25lookback_scan_determinismE0ELb1ES3_N6thrust23THRUST_200600_302600_NS6detail15normal_iteratorINS9_10device_ptrIxEEEESE_SE_xNS9_4plusIvEENS9_8equal_toIvEExEE10hipError_tPvRmT2_T3_T4_T5_mT6_T7_P12ihipStream_tbENKUlT_T0_E_clISt17integral_constantIbLb0EESZ_EEDaSU_SV_EUlSU_E_NS1_11comp_targetILNS1_3genE10ELNS1_11target_archE1201ELNS1_3gpuE5ELNS1_3repE0EEENS1_30default_config_static_selectorELNS0_4arch9wavefront6targetE0EEEvT1_
                                        ; -- End function
	.set _ZN7rocprim17ROCPRIM_400000_NS6detail17trampoline_kernelINS0_14default_configENS1_27scan_by_key_config_selectorIxxEEZZNS1_16scan_by_key_implILNS1_25lookback_scan_determinismE0ELb1ES3_N6thrust23THRUST_200600_302600_NS6detail15normal_iteratorINS9_10device_ptrIxEEEESE_SE_xNS9_4plusIvEENS9_8equal_toIvEExEE10hipError_tPvRmT2_T3_T4_T5_mT6_T7_P12ihipStream_tbENKUlT_T0_E_clISt17integral_constantIbLb0EESZ_EEDaSU_SV_EUlSU_E_NS1_11comp_targetILNS1_3genE10ELNS1_11target_archE1201ELNS1_3gpuE5ELNS1_3repE0EEENS1_30default_config_static_selectorELNS0_4arch9wavefront6targetE0EEEvT1_.num_vgpr, 0
	.set _ZN7rocprim17ROCPRIM_400000_NS6detail17trampoline_kernelINS0_14default_configENS1_27scan_by_key_config_selectorIxxEEZZNS1_16scan_by_key_implILNS1_25lookback_scan_determinismE0ELb1ES3_N6thrust23THRUST_200600_302600_NS6detail15normal_iteratorINS9_10device_ptrIxEEEESE_SE_xNS9_4plusIvEENS9_8equal_toIvEExEE10hipError_tPvRmT2_T3_T4_T5_mT6_T7_P12ihipStream_tbENKUlT_T0_E_clISt17integral_constantIbLb0EESZ_EEDaSU_SV_EUlSU_E_NS1_11comp_targetILNS1_3genE10ELNS1_11target_archE1201ELNS1_3gpuE5ELNS1_3repE0EEENS1_30default_config_static_selectorELNS0_4arch9wavefront6targetE0EEEvT1_.num_agpr, 0
	.set _ZN7rocprim17ROCPRIM_400000_NS6detail17trampoline_kernelINS0_14default_configENS1_27scan_by_key_config_selectorIxxEEZZNS1_16scan_by_key_implILNS1_25lookback_scan_determinismE0ELb1ES3_N6thrust23THRUST_200600_302600_NS6detail15normal_iteratorINS9_10device_ptrIxEEEESE_SE_xNS9_4plusIvEENS9_8equal_toIvEExEE10hipError_tPvRmT2_T3_T4_T5_mT6_T7_P12ihipStream_tbENKUlT_T0_E_clISt17integral_constantIbLb0EESZ_EEDaSU_SV_EUlSU_E_NS1_11comp_targetILNS1_3genE10ELNS1_11target_archE1201ELNS1_3gpuE5ELNS1_3repE0EEENS1_30default_config_static_selectorELNS0_4arch9wavefront6targetE0EEEvT1_.numbered_sgpr, 0
	.set _ZN7rocprim17ROCPRIM_400000_NS6detail17trampoline_kernelINS0_14default_configENS1_27scan_by_key_config_selectorIxxEEZZNS1_16scan_by_key_implILNS1_25lookback_scan_determinismE0ELb1ES3_N6thrust23THRUST_200600_302600_NS6detail15normal_iteratorINS9_10device_ptrIxEEEESE_SE_xNS9_4plusIvEENS9_8equal_toIvEExEE10hipError_tPvRmT2_T3_T4_T5_mT6_T7_P12ihipStream_tbENKUlT_T0_E_clISt17integral_constantIbLb0EESZ_EEDaSU_SV_EUlSU_E_NS1_11comp_targetILNS1_3genE10ELNS1_11target_archE1201ELNS1_3gpuE5ELNS1_3repE0EEENS1_30default_config_static_selectorELNS0_4arch9wavefront6targetE0EEEvT1_.num_named_barrier, 0
	.set _ZN7rocprim17ROCPRIM_400000_NS6detail17trampoline_kernelINS0_14default_configENS1_27scan_by_key_config_selectorIxxEEZZNS1_16scan_by_key_implILNS1_25lookback_scan_determinismE0ELb1ES3_N6thrust23THRUST_200600_302600_NS6detail15normal_iteratorINS9_10device_ptrIxEEEESE_SE_xNS9_4plusIvEENS9_8equal_toIvEExEE10hipError_tPvRmT2_T3_T4_T5_mT6_T7_P12ihipStream_tbENKUlT_T0_E_clISt17integral_constantIbLb0EESZ_EEDaSU_SV_EUlSU_E_NS1_11comp_targetILNS1_3genE10ELNS1_11target_archE1201ELNS1_3gpuE5ELNS1_3repE0EEENS1_30default_config_static_selectorELNS0_4arch9wavefront6targetE0EEEvT1_.private_seg_size, 0
	.set _ZN7rocprim17ROCPRIM_400000_NS6detail17trampoline_kernelINS0_14default_configENS1_27scan_by_key_config_selectorIxxEEZZNS1_16scan_by_key_implILNS1_25lookback_scan_determinismE0ELb1ES3_N6thrust23THRUST_200600_302600_NS6detail15normal_iteratorINS9_10device_ptrIxEEEESE_SE_xNS9_4plusIvEENS9_8equal_toIvEExEE10hipError_tPvRmT2_T3_T4_T5_mT6_T7_P12ihipStream_tbENKUlT_T0_E_clISt17integral_constantIbLb0EESZ_EEDaSU_SV_EUlSU_E_NS1_11comp_targetILNS1_3genE10ELNS1_11target_archE1201ELNS1_3gpuE5ELNS1_3repE0EEENS1_30default_config_static_selectorELNS0_4arch9wavefront6targetE0EEEvT1_.uses_vcc, 0
	.set _ZN7rocprim17ROCPRIM_400000_NS6detail17trampoline_kernelINS0_14default_configENS1_27scan_by_key_config_selectorIxxEEZZNS1_16scan_by_key_implILNS1_25lookback_scan_determinismE0ELb1ES3_N6thrust23THRUST_200600_302600_NS6detail15normal_iteratorINS9_10device_ptrIxEEEESE_SE_xNS9_4plusIvEENS9_8equal_toIvEExEE10hipError_tPvRmT2_T3_T4_T5_mT6_T7_P12ihipStream_tbENKUlT_T0_E_clISt17integral_constantIbLb0EESZ_EEDaSU_SV_EUlSU_E_NS1_11comp_targetILNS1_3genE10ELNS1_11target_archE1201ELNS1_3gpuE5ELNS1_3repE0EEENS1_30default_config_static_selectorELNS0_4arch9wavefront6targetE0EEEvT1_.uses_flat_scratch, 0
	.set _ZN7rocprim17ROCPRIM_400000_NS6detail17trampoline_kernelINS0_14default_configENS1_27scan_by_key_config_selectorIxxEEZZNS1_16scan_by_key_implILNS1_25lookback_scan_determinismE0ELb1ES3_N6thrust23THRUST_200600_302600_NS6detail15normal_iteratorINS9_10device_ptrIxEEEESE_SE_xNS9_4plusIvEENS9_8equal_toIvEExEE10hipError_tPvRmT2_T3_T4_T5_mT6_T7_P12ihipStream_tbENKUlT_T0_E_clISt17integral_constantIbLb0EESZ_EEDaSU_SV_EUlSU_E_NS1_11comp_targetILNS1_3genE10ELNS1_11target_archE1201ELNS1_3gpuE5ELNS1_3repE0EEENS1_30default_config_static_selectorELNS0_4arch9wavefront6targetE0EEEvT1_.has_dyn_sized_stack, 0
	.set _ZN7rocprim17ROCPRIM_400000_NS6detail17trampoline_kernelINS0_14default_configENS1_27scan_by_key_config_selectorIxxEEZZNS1_16scan_by_key_implILNS1_25lookback_scan_determinismE0ELb1ES3_N6thrust23THRUST_200600_302600_NS6detail15normal_iteratorINS9_10device_ptrIxEEEESE_SE_xNS9_4plusIvEENS9_8equal_toIvEExEE10hipError_tPvRmT2_T3_T4_T5_mT6_T7_P12ihipStream_tbENKUlT_T0_E_clISt17integral_constantIbLb0EESZ_EEDaSU_SV_EUlSU_E_NS1_11comp_targetILNS1_3genE10ELNS1_11target_archE1201ELNS1_3gpuE5ELNS1_3repE0EEENS1_30default_config_static_selectorELNS0_4arch9wavefront6targetE0EEEvT1_.has_recursion, 0
	.set _ZN7rocprim17ROCPRIM_400000_NS6detail17trampoline_kernelINS0_14default_configENS1_27scan_by_key_config_selectorIxxEEZZNS1_16scan_by_key_implILNS1_25lookback_scan_determinismE0ELb1ES3_N6thrust23THRUST_200600_302600_NS6detail15normal_iteratorINS9_10device_ptrIxEEEESE_SE_xNS9_4plusIvEENS9_8equal_toIvEExEE10hipError_tPvRmT2_T3_T4_T5_mT6_T7_P12ihipStream_tbENKUlT_T0_E_clISt17integral_constantIbLb0EESZ_EEDaSU_SV_EUlSU_E_NS1_11comp_targetILNS1_3genE10ELNS1_11target_archE1201ELNS1_3gpuE5ELNS1_3repE0EEENS1_30default_config_static_selectorELNS0_4arch9wavefront6targetE0EEEvT1_.has_indirect_call, 0
	.section	.AMDGPU.csdata,"",@progbits
; Kernel info:
; codeLenInByte = 0
; TotalNumSgprs: 0
; NumVgprs: 0
; ScratchSize: 0
; MemoryBound: 0
; FloatMode: 240
; IeeeMode: 1
; LDSByteSize: 0 bytes/workgroup (compile time only)
; SGPRBlocks: 0
; VGPRBlocks: 0
; NumSGPRsForWavesPerEU: 1
; NumVGPRsForWavesPerEU: 1
; Occupancy: 16
; WaveLimiterHint : 0
; COMPUTE_PGM_RSRC2:SCRATCH_EN: 0
; COMPUTE_PGM_RSRC2:USER_SGPR: 6
; COMPUTE_PGM_RSRC2:TRAP_HANDLER: 0
; COMPUTE_PGM_RSRC2:TGID_X_EN: 1
; COMPUTE_PGM_RSRC2:TGID_Y_EN: 0
; COMPUTE_PGM_RSRC2:TGID_Z_EN: 0
; COMPUTE_PGM_RSRC2:TIDIG_COMP_CNT: 0
	.section	.text._ZN7rocprim17ROCPRIM_400000_NS6detail17trampoline_kernelINS0_14default_configENS1_27scan_by_key_config_selectorIxxEEZZNS1_16scan_by_key_implILNS1_25lookback_scan_determinismE0ELb1ES3_N6thrust23THRUST_200600_302600_NS6detail15normal_iteratorINS9_10device_ptrIxEEEESE_SE_xNS9_4plusIvEENS9_8equal_toIvEExEE10hipError_tPvRmT2_T3_T4_T5_mT6_T7_P12ihipStream_tbENKUlT_T0_E_clISt17integral_constantIbLb0EESZ_EEDaSU_SV_EUlSU_E_NS1_11comp_targetILNS1_3genE5ELNS1_11target_archE942ELNS1_3gpuE9ELNS1_3repE0EEENS1_30default_config_static_selectorELNS0_4arch9wavefront6targetE0EEEvT1_,"axG",@progbits,_ZN7rocprim17ROCPRIM_400000_NS6detail17trampoline_kernelINS0_14default_configENS1_27scan_by_key_config_selectorIxxEEZZNS1_16scan_by_key_implILNS1_25lookback_scan_determinismE0ELb1ES3_N6thrust23THRUST_200600_302600_NS6detail15normal_iteratorINS9_10device_ptrIxEEEESE_SE_xNS9_4plusIvEENS9_8equal_toIvEExEE10hipError_tPvRmT2_T3_T4_T5_mT6_T7_P12ihipStream_tbENKUlT_T0_E_clISt17integral_constantIbLb0EESZ_EEDaSU_SV_EUlSU_E_NS1_11comp_targetILNS1_3genE5ELNS1_11target_archE942ELNS1_3gpuE9ELNS1_3repE0EEENS1_30default_config_static_selectorELNS0_4arch9wavefront6targetE0EEEvT1_,comdat
	.protected	_ZN7rocprim17ROCPRIM_400000_NS6detail17trampoline_kernelINS0_14default_configENS1_27scan_by_key_config_selectorIxxEEZZNS1_16scan_by_key_implILNS1_25lookback_scan_determinismE0ELb1ES3_N6thrust23THRUST_200600_302600_NS6detail15normal_iteratorINS9_10device_ptrIxEEEESE_SE_xNS9_4plusIvEENS9_8equal_toIvEExEE10hipError_tPvRmT2_T3_T4_T5_mT6_T7_P12ihipStream_tbENKUlT_T0_E_clISt17integral_constantIbLb0EESZ_EEDaSU_SV_EUlSU_E_NS1_11comp_targetILNS1_3genE5ELNS1_11target_archE942ELNS1_3gpuE9ELNS1_3repE0EEENS1_30default_config_static_selectorELNS0_4arch9wavefront6targetE0EEEvT1_ ; -- Begin function _ZN7rocprim17ROCPRIM_400000_NS6detail17trampoline_kernelINS0_14default_configENS1_27scan_by_key_config_selectorIxxEEZZNS1_16scan_by_key_implILNS1_25lookback_scan_determinismE0ELb1ES3_N6thrust23THRUST_200600_302600_NS6detail15normal_iteratorINS9_10device_ptrIxEEEESE_SE_xNS9_4plusIvEENS9_8equal_toIvEExEE10hipError_tPvRmT2_T3_T4_T5_mT6_T7_P12ihipStream_tbENKUlT_T0_E_clISt17integral_constantIbLb0EESZ_EEDaSU_SV_EUlSU_E_NS1_11comp_targetILNS1_3genE5ELNS1_11target_archE942ELNS1_3gpuE9ELNS1_3repE0EEENS1_30default_config_static_selectorELNS0_4arch9wavefront6targetE0EEEvT1_
	.globl	_ZN7rocprim17ROCPRIM_400000_NS6detail17trampoline_kernelINS0_14default_configENS1_27scan_by_key_config_selectorIxxEEZZNS1_16scan_by_key_implILNS1_25lookback_scan_determinismE0ELb1ES3_N6thrust23THRUST_200600_302600_NS6detail15normal_iteratorINS9_10device_ptrIxEEEESE_SE_xNS9_4plusIvEENS9_8equal_toIvEExEE10hipError_tPvRmT2_T3_T4_T5_mT6_T7_P12ihipStream_tbENKUlT_T0_E_clISt17integral_constantIbLb0EESZ_EEDaSU_SV_EUlSU_E_NS1_11comp_targetILNS1_3genE5ELNS1_11target_archE942ELNS1_3gpuE9ELNS1_3repE0EEENS1_30default_config_static_selectorELNS0_4arch9wavefront6targetE0EEEvT1_
	.p2align	8
	.type	_ZN7rocprim17ROCPRIM_400000_NS6detail17trampoline_kernelINS0_14default_configENS1_27scan_by_key_config_selectorIxxEEZZNS1_16scan_by_key_implILNS1_25lookback_scan_determinismE0ELb1ES3_N6thrust23THRUST_200600_302600_NS6detail15normal_iteratorINS9_10device_ptrIxEEEESE_SE_xNS9_4plusIvEENS9_8equal_toIvEExEE10hipError_tPvRmT2_T3_T4_T5_mT6_T7_P12ihipStream_tbENKUlT_T0_E_clISt17integral_constantIbLb0EESZ_EEDaSU_SV_EUlSU_E_NS1_11comp_targetILNS1_3genE5ELNS1_11target_archE942ELNS1_3gpuE9ELNS1_3repE0EEENS1_30default_config_static_selectorELNS0_4arch9wavefront6targetE0EEEvT1_,@function
_ZN7rocprim17ROCPRIM_400000_NS6detail17trampoline_kernelINS0_14default_configENS1_27scan_by_key_config_selectorIxxEEZZNS1_16scan_by_key_implILNS1_25lookback_scan_determinismE0ELb1ES3_N6thrust23THRUST_200600_302600_NS6detail15normal_iteratorINS9_10device_ptrIxEEEESE_SE_xNS9_4plusIvEENS9_8equal_toIvEExEE10hipError_tPvRmT2_T3_T4_T5_mT6_T7_P12ihipStream_tbENKUlT_T0_E_clISt17integral_constantIbLb0EESZ_EEDaSU_SV_EUlSU_E_NS1_11comp_targetILNS1_3genE5ELNS1_11target_archE942ELNS1_3gpuE9ELNS1_3repE0EEENS1_30default_config_static_selectorELNS0_4arch9wavefront6targetE0EEEvT1_: ; @_ZN7rocprim17ROCPRIM_400000_NS6detail17trampoline_kernelINS0_14default_configENS1_27scan_by_key_config_selectorIxxEEZZNS1_16scan_by_key_implILNS1_25lookback_scan_determinismE0ELb1ES3_N6thrust23THRUST_200600_302600_NS6detail15normal_iteratorINS9_10device_ptrIxEEEESE_SE_xNS9_4plusIvEENS9_8equal_toIvEExEE10hipError_tPvRmT2_T3_T4_T5_mT6_T7_P12ihipStream_tbENKUlT_T0_E_clISt17integral_constantIbLb0EESZ_EEDaSU_SV_EUlSU_E_NS1_11comp_targetILNS1_3genE5ELNS1_11target_archE942ELNS1_3gpuE9ELNS1_3repE0EEENS1_30default_config_static_selectorELNS0_4arch9wavefront6targetE0EEEvT1_
; %bb.0:
	.section	.rodata,"a",@progbits
	.p2align	6, 0x0
	.amdhsa_kernel _ZN7rocprim17ROCPRIM_400000_NS6detail17trampoline_kernelINS0_14default_configENS1_27scan_by_key_config_selectorIxxEEZZNS1_16scan_by_key_implILNS1_25lookback_scan_determinismE0ELb1ES3_N6thrust23THRUST_200600_302600_NS6detail15normal_iteratorINS9_10device_ptrIxEEEESE_SE_xNS9_4plusIvEENS9_8equal_toIvEExEE10hipError_tPvRmT2_T3_T4_T5_mT6_T7_P12ihipStream_tbENKUlT_T0_E_clISt17integral_constantIbLb0EESZ_EEDaSU_SV_EUlSU_E_NS1_11comp_targetILNS1_3genE5ELNS1_11target_archE942ELNS1_3gpuE9ELNS1_3repE0EEENS1_30default_config_static_selectorELNS0_4arch9wavefront6targetE0EEEvT1_
		.amdhsa_group_segment_fixed_size 0
		.amdhsa_private_segment_fixed_size 0
		.amdhsa_kernarg_size 136
		.amdhsa_user_sgpr_count 6
		.amdhsa_user_sgpr_private_segment_buffer 1
		.amdhsa_user_sgpr_dispatch_ptr 0
		.amdhsa_user_sgpr_queue_ptr 0
		.amdhsa_user_sgpr_kernarg_segment_ptr 1
		.amdhsa_user_sgpr_dispatch_id 0
		.amdhsa_user_sgpr_flat_scratch_init 0
		.amdhsa_user_sgpr_private_segment_size 0
		.amdhsa_wavefront_size32 1
		.amdhsa_uses_dynamic_stack 0
		.amdhsa_system_sgpr_private_segment_wavefront_offset 0
		.amdhsa_system_sgpr_workgroup_id_x 1
		.amdhsa_system_sgpr_workgroup_id_y 0
		.amdhsa_system_sgpr_workgroup_id_z 0
		.amdhsa_system_sgpr_workgroup_info 0
		.amdhsa_system_vgpr_workitem_id 0
		.amdhsa_next_free_vgpr 1
		.amdhsa_next_free_sgpr 1
		.amdhsa_reserve_vcc 0
		.amdhsa_reserve_flat_scratch 0
		.amdhsa_float_round_mode_32 0
		.amdhsa_float_round_mode_16_64 0
		.amdhsa_float_denorm_mode_32 3
		.amdhsa_float_denorm_mode_16_64 3
		.amdhsa_dx10_clamp 1
		.amdhsa_ieee_mode 1
		.amdhsa_fp16_overflow 0
		.amdhsa_workgroup_processor_mode 1
		.amdhsa_memory_ordered 1
		.amdhsa_forward_progress 1
		.amdhsa_shared_vgpr_count 0
		.amdhsa_exception_fp_ieee_invalid_op 0
		.amdhsa_exception_fp_denorm_src 0
		.amdhsa_exception_fp_ieee_div_zero 0
		.amdhsa_exception_fp_ieee_overflow 0
		.amdhsa_exception_fp_ieee_underflow 0
		.amdhsa_exception_fp_ieee_inexact 0
		.amdhsa_exception_int_div_zero 0
	.end_amdhsa_kernel
	.section	.text._ZN7rocprim17ROCPRIM_400000_NS6detail17trampoline_kernelINS0_14default_configENS1_27scan_by_key_config_selectorIxxEEZZNS1_16scan_by_key_implILNS1_25lookback_scan_determinismE0ELb1ES3_N6thrust23THRUST_200600_302600_NS6detail15normal_iteratorINS9_10device_ptrIxEEEESE_SE_xNS9_4plusIvEENS9_8equal_toIvEExEE10hipError_tPvRmT2_T3_T4_T5_mT6_T7_P12ihipStream_tbENKUlT_T0_E_clISt17integral_constantIbLb0EESZ_EEDaSU_SV_EUlSU_E_NS1_11comp_targetILNS1_3genE5ELNS1_11target_archE942ELNS1_3gpuE9ELNS1_3repE0EEENS1_30default_config_static_selectorELNS0_4arch9wavefront6targetE0EEEvT1_,"axG",@progbits,_ZN7rocprim17ROCPRIM_400000_NS6detail17trampoline_kernelINS0_14default_configENS1_27scan_by_key_config_selectorIxxEEZZNS1_16scan_by_key_implILNS1_25lookback_scan_determinismE0ELb1ES3_N6thrust23THRUST_200600_302600_NS6detail15normal_iteratorINS9_10device_ptrIxEEEESE_SE_xNS9_4plusIvEENS9_8equal_toIvEExEE10hipError_tPvRmT2_T3_T4_T5_mT6_T7_P12ihipStream_tbENKUlT_T0_E_clISt17integral_constantIbLb0EESZ_EEDaSU_SV_EUlSU_E_NS1_11comp_targetILNS1_3genE5ELNS1_11target_archE942ELNS1_3gpuE9ELNS1_3repE0EEENS1_30default_config_static_selectorELNS0_4arch9wavefront6targetE0EEEvT1_,comdat
.Lfunc_end355:
	.size	_ZN7rocprim17ROCPRIM_400000_NS6detail17trampoline_kernelINS0_14default_configENS1_27scan_by_key_config_selectorIxxEEZZNS1_16scan_by_key_implILNS1_25lookback_scan_determinismE0ELb1ES3_N6thrust23THRUST_200600_302600_NS6detail15normal_iteratorINS9_10device_ptrIxEEEESE_SE_xNS9_4plusIvEENS9_8equal_toIvEExEE10hipError_tPvRmT2_T3_T4_T5_mT6_T7_P12ihipStream_tbENKUlT_T0_E_clISt17integral_constantIbLb0EESZ_EEDaSU_SV_EUlSU_E_NS1_11comp_targetILNS1_3genE5ELNS1_11target_archE942ELNS1_3gpuE9ELNS1_3repE0EEENS1_30default_config_static_selectorELNS0_4arch9wavefront6targetE0EEEvT1_, .Lfunc_end355-_ZN7rocprim17ROCPRIM_400000_NS6detail17trampoline_kernelINS0_14default_configENS1_27scan_by_key_config_selectorIxxEEZZNS1_16scan_by_key_implILNS1_25lookback_scan_determinismE0ELb1ES3_N6thrust23THRUST_200600_302600_NS6detail15normal_iteratorINS9_10device_ptrIxEEEESE_SE_xNS9_4plusIvEENS9_8equal_toIvEExEE10hipError_tPvRmT2_T3_T4_T5_mT6_T7_P12ihipStream_tbENKUlT_T0_E_clISt17integral_constantIbLb0EESZ_EEDaSU_SV_EUlSU_E_NS1_11comp_targetILNS1_3genE5ELNS1_11target_archE942ELNS1_3gpuE9ELNS1_3repE0EEENS1_30default_config_static_selectorELNS0_4arch9wavefront6targetE0EEEvT1_
                                        ; -- End function
	.set _ZN7rocprim17ROCPRIM_400000_NS6detail17trampoline_kernelINS0_14default_configENS1_27scan_by_key_config_selectorIxxEEZZNS1_16scan_by_key_implILNS1_25lookback_scan_determinismE0ELb1ES3_N6thrust23THRUST_200600_302600_NS6detail15normal_iteratorINS9_10device_ptrIxEEEESE_SE_xNS9_4plusIvEENS9_8equal_toIvEExEE10hipError_tPvRmT2_T3_T4_T5_mT6_T7_P12ihipStream_tbENKUlT_T0_E_clISt17integral_constantIbLb0EESZ_EEDaSU_SV_EUlSU_E_NS1_11comp_targetILNS1_3genE5ELNS1_11target_archE942ELNS1_3gpuE9ELNS1_3repE0EEENS1_30default_config_static_selectorELNS0_4arch9wavefront6targetE0EEEvT1_.num_vgpr, 0
	.set _ZN7rocprim17ROCPRIM_400000_NS6detail17trampoline_kernelINS0_14default_configENS1_27scan_by_key_config_selectorIxxEEZZNS1_16scan_by_key_implILNS1_25lookback_scan_determinismE0ELb1ES3_N6thrust23THRUST_200600_302600_NS6detail15normal_iteratorINS9_10device_ptrIxEEEESE_SE_xNS9_4plusIvEENS9_8equal_toIvEExEE10hipError_tPvRmT2_T3_T4_T5_mT6_T7_P12ihipStream_tbENKUlT_T0_E_clISt17integral_constantIbLb0EESZ_EEDaSU_SV_EUlSU_E_NS1_11comp_targetILNS1_3genE5ELNS1_11target_archE942ELNS1_3gpuE9ELNS1_3repE0EEENS1_30default_config_static_selectorELNS0_4arch9wavefront6targetE0EEEvT1_.num_agpr, 0
	.set _ZN7rocprim17ROCPRIM_400000_NS6detail17trampoline_kernelINS0_14default_configENS1_27scan_by_key_config_selectorIxxEEZZNS1_16scan_by_key_implILNS1_25lookback_scan_determinismE0ELb1ES3_N6thrust23THRUST_200600_302600_NS6detail15normal_iteratorINS9_10device_ptrIxEEEESE_SE_xNS9_4plusIvEENS9_8equal_toIvEExEE10hipError_tPvRmT2_T3_T4_T5_mT6_T7_P12ihipStream_tbENKUlT_T0_E_clISt17integral_constantIbLb0EESZ_EEDaSU_SV_EUlSU_E_NS1_11comp_targetILNS1_3genE5ELNS1_11target_archE942ELNS1_3gpuE9ELNS1_3repE0EEENS1_30default_config_static_selectorELNS0_4arch9wavefront6targetE0EEEvT1_.numbered_sgpr, 0
	.set _ZN7rocprim17ROCPRIM_400000_NS6detail17trampoline_kernelINS0_14default_configENS1_27scan_by_key_config_selectorIxxEEZZNS1_16scan_by_key_implILNS1_25lookback_scan_determinismE0ELb1ES3_N6thrust23THRUST_200600_302600_NS6detail15normal_iteratorINS9_10device_ptrIxEEEESE_SE_xNS9_4plusIvEENS9_8equal_toIvEExEE10hipError_tPvRmT2_T3_T4_T5_mT6_T7_P12ihipStream_tbENKUlT_T0_E_clISt17integral_constantIbLb0EESZ_EEDaSU_SV_EUlSU_E_NS1_11comp_targetILNS1_3genE5ELNS1_11target_archE942ELNS1_3gpuE9ELNS1_3repE0EEENS1_30default_config_static_selectorELNS0_4arch9wavefront6targetE0EEEvT1_.num_named_barrier, 0
	.set _ZN7rocprim17ROCPRIM_400000_NS6detail17trampoline_kernelINS0_14default_configENS1_27scan_by_key_config_selectorIxxEEZZNS1_16scan_by_key_implILNS1_25lookback_scan_determinismE0ELb1ES3_N6thrust23THRUST_200600_302600_NS6detail15normal_iteratorINS9_10device_ptrIxEEEESE_SE_xNS9_4plusIvEENS9_8equal_toIvEExEE10hipError_tPvRmT2_T3_T4_T5_mT6_T7_P12ihipStream_tbENKUlT_T0_E_clISt17integral_constantIbLb0EESZ_EEDaSU_SV_EUlSU_E_NS1_11comp_targetILNS1_3genE5ELNS1_11target_archE942ELNS1_3gpuE9ELNS1_3repE0EEENS1_30default_config_static_selectorELNS0_4arch9wavefront6targetE0EEEvT1_.private_seg_size, 0
	.set _ZN7rocprim17ROCPRIM_400000_NS6detail17trampoline_kernelINS0_14default_configENS1_27scan_by_key_config_selectorIxxEEZZNS1_16scan_by_key_implILNS1_25lookback_scan_determinismE0ELb1ES3_N6thrust23THRUST_200600_302600_NS6detail15normal_iteratorINS9_10device_ptrIxEEEESE_SE_xNS9_4plusIvEENS9_8equal_toIvEExEE10hipError_tPvRmT2_T3_T4_T5_mT6_T7_P12ihipStream_tbENKUlT_T0_E_clISt17integral_constantIbLb0EESZ_EEDaSU_SV_EUlSU_E_NS1_11comp_targetILNS1_3genE5ELNS1_11target_archE942ELNS1_3gpuE9ELNS1_3repE0EEENS1_30default_config_static_selectorELNS0_4arch9wavefront6targetE0EEEvT1_.uses_vcc, 0
	.set _ZN7rocprim17ROCPRIM_400000_NS6detail17trampoline_kernelINS0_14default_configENS1_27scan_by_key_config_selectorIxxEEZZNS1_16scan_by_key_implILNS1_25lookback_scan_determinismE0ELb1ES3_N6thrust23THRUST_200600_302600_NS6detail15normal_iteratorINS9_10device_ptrIxEEEESE_SE_xNS9_4plusIvEENS9_8equal_toIvEExEE10hipError_tPvRmT2_T3_T4_T5_mT6_T7_P12ihipStream_tbENKUlT_T0_E_clISt17integral_constantIbLb0EESZ_EEDaSU_SV_EUlSU_E_NS1_11comp_targetILNS1_3genE5ELNS1_11target_archE942ELNS1_3gpuE9ELNS1_3repE0EEENS1_30default_config_static_selectorELNS0_4arch9wavefront6targetE0EEEvT1_.uses_flat_scratch, 0
	.set _ZN7rocprim17ROCPRIM_400000_NS6detail17trampoline_kernelINS0_14default_configENS1_27scan_by_key_config_selectorIxxEEZZNS1_16scan_by_key_implILNS1_25lookback_scan_determinismE0ELb1ES3_N6thrust23THRUST_200600_302600_NS6detail15normal_iteratorINS9_10device_ptrIxEEEESE_SE_xNS9_4plusIvEENS9_8equal_toIvEExEE10hipError_tPvRmT2_T3_T4_T5_mT6_T7_P12ihipStream_tbENKUlT_T0_E_clISt17integral_constantIbLb0EESZ_EEDaSU_SV_EUlSU_E_NS1_11comp_targetILNS1_3genE5ELNS1_11target_archE942ELNS1_3gpuE9ELNS1_3repE0EEENS1_30default_config_static_selectorELNS0_4arch9wavefront6targetE0EEEvT1_.has_dyn_sized_stack, 0
	.set _ZN7rocprim17ROCPRIM_400000_NS6detail17trampoline_kernelINS0_14default_configENS1_27scan_by_key_config_selectorIxxEEZZNS1_16scan_by_key_implILNS1_25lookback_scan_determinismE0ELb1ES3_N6thrust23THRUST_200600_302600_NS6detail15normal_iteratorINS9_10device_ptrIxEEEESE_SE_xNS9_4plusIvEENS9_8equal_toIvEExEE10hipError_tPvRmT2_T3_T4_T5_mT6_T7_P12ihipStream_tbENKUlT_T0_E_clISt17integral_constantIbLb0EESZ_EEDaSU_SV_EUlSU_E_NS1_11comp_targetILNS1_3genE5ELNS1_11target_archE942ELNS1_3gpuE9ELNS1_3repE0EEENS1_30default_config_static_selectorELNS0_4arch9wavefront6targetE0EEEvT1_.has_recursion, 0
	.set _ZN7rocprim17ROCPRIM_400000_NS6detail17trampoline_kernelINS0_14default_configENS1_27scan_by_key_config_selectorIxxEEZZNS1_16scan_by_key_implILNS1_25lookback_scan_determinismE0ELb1ES3_N6thrust23THRUST_200600_302600_NS6detail15normal_iteratorINS9_10device_ptrIxEEEESE_SE_xNS9_4plusIvEENS9_8equal_toIvEExEE10hipError_tPvRmT2_T3_T4_T5_mT6_T7_P12ihipStream_tbENKUlT_T0_E_clISt17integral_constantIbLb0EESZ_EEDaSU_SV_EUlSU_E_NS1_11comp_targetILNS1_3genE5ELNS1_11target_archE942ELNS1_3gpuE9ELNS1_3repE0EEENS1_30default_config_static_selectorELNS0_4arch9wavefront6targetE0EEEvT1_.has_indirect_call, 0
	.section	.AMDGPU.csdata,"",@progbits
; Kernel info:
; codeLenInByte = 0
; TotalNumSgprs: 0
; NumVgprs: 0
; ScratchSize: 0
; MemoryBound: 0
; FloatMode: 240
; IeeeMode: 1
; LDSByteSize: 0 bytes/workgroup (compile time only)
; SGPRBlocks: 0
; VGPRBlocks: 0
; NumSGPRsForWavesPerEU: 1
; NumVGPRsForWavesPerEU: 1
; Occupancy: 16
; WaveLimiterHint : 0
; COMPUTE_PGM_RSRC2:SCRATCH_EN: 0
; COMPUTE_PGM_RSRC2:USER_SGPR: 6
; COMPUTE_PGM_RSRC2:TRAP_HANDLER: 0
; COMPUTE_PGM_RSRC2:TGID_X_EN: 1
; COMPUTE_PGM_RSRC2:TGID_Y_EN: 0
; COMPUTE_PGM_RSRC2:TGID_Z_EN: 0
; COMPUTE_PGM_RSRC2:TIDIG_COMP_CNT: 0
	.section	.text._ZN7rocprim17ROCPRIM_400000_NS6detail17trampoline_kernelINS0_14default_configENS1_27scan_by_key_config_selectorIxxEEZZNS1_16scan_by_key_implILNS1_25lookback_scan_determinismE0ELb1ES3_N6thrust23THRUST_200600_302600_NS6detail15normal_iteratorINS9_10device_ptrIxEEEESE_SE_xNS9_4plusIvEENS9_8equal_toIvEExEE10hipError_tPvRmT2_T3_T4_T5_mT6_T7_P12ihipStream_tbENKUlT_T0_E_clISt17integral_constantIbLb0EESZ_EEDaSU_SV_EUlSU_E_NS1_11comp_targetILNS1_3genE4ELNS1_11target_archE910ELNS1_3gpuE8ELNS1_3repE0EEENS1_30default_config_static_selectorELNS0_4arch9wavefront6targetE0EEEvT1_,"axG",@progbits,_ZN7rocprim17ROCPRIM_400000_NS6detail17trampoline_kernelINS0_14default_configENS1_27scan_by_key_config_selectorIxxEEZZNS1_16scan_by_key_implILNS1_25lookback_scan_determinismE0ELb1ES3_N6thrust23THRUST_200600_302600_NS6detail15normal_iteratorINS9_10device_ptrIxEEEESE_SE_xNS9_4plusIvEENS9_8equal_toIvEExEE10hipError_tPvRmT2_T3_T4_T5_mT6_T7_P12ihipStream_tbENKUlT_T0_E_clISt17integral_constantIbLb0EESZ_EEDaSU_SV_EUlSU_E_NS1_11comp_targetILNS1_3genE4ELNS1_11target_archE910ELNS1_3gpuE8ELNS1_3repE0EEENS1_30default_config_static_selectorELNS0_4arch9wavefront6targetE0EEEvT1_,comdat
	.protected	_ZN7rocprim17ROCPRIM_400000_NS6detail17trampoline_kernelINS0_14default_configENS1_27scan_by_key_config_selectorIxxEEZZNS1_16scan_by_key_implILNS1_25lookback_scan_determinismE0ELb1ES3_N6thrust23THRUST_200600_302600_NS6detail15normal_iteratorINS9_10device_ptrIxEEEESE_SE_xNS9_4plusIvEENS9_8equal_toIvEExEE10hipError_tPvRmT2_T3_T4_T5_mT6_T7_P12ihipStream_tbENKUlT_T0_E_clISt17integral_constantIbLb0EESZ_EEDaSU_SV_EUlSU_E_NS1_11comp_targetILNS1_3genE4ELNS1_11target_archE910ELNS1_3gpuE8ELNS1_3repE0EEENS1_30default_config_static_selectorELNS0_4arch9wavefront6targetE0EEEvT1_ ; -- Begin function _ZN7rocprim17ROCPRIM_400000_NS6detail17trampoline_kernelINS0_14default_configENS1_27scan_by_key_config_selectorIxxEEZZNS1_16scan_by_key_implILNS1_25lookback_scan_determinismE0ELb1ES3_N6thrust23THRUST_200600_302600_NS6detail15normal_iteratorINS9_10device_ptrIxEEEESE_SE_xNS9_4plusIvEENS9_8equal_toIvEExEE10hipError_tPvRmT2_T3_T4_T5_mT6_T7_P12ihipStream_tbENKUlT_T0_E_clISt17integral_constantIbLb0EESZ_EEDaSU_SV_EUlSU_E_NS1_11comp_targetILNS1_3genE4ELNS1_11target_archE910ELNS1_3gpuE8ELNS1_3repE0EEENS1_30default_config_static_selectorELNS0_4arch9wavefront6targetE0EEEvT1_
	.globl	_ZN7rocprim17ROCPRIM_400000_NS6detail17trampoline_kernelINS0_14default_configENS1_27scan_by_key_config_selectorIxxEEZZNS1_16scan_by_key_implILNS1_25lookback_scan_determinismE0ELb1ES3_N6thrust23THRUST_200600_302600_NS6detail15normal_iteratorINS9_10device_ptrIxEEEESE_SE_xNS9_4plusIvEENS9_8equal_toIvEExEE10hipError_tPvRmT2_T3_T4_T5_mT6_T7_P12ihipStream_tbENKUlT_T0_E_clISt17integral_constantIbLb0EESZ_EEDaSU_SV_EUlSU_E_NS1_11comp_targetILNS1_3genE4ELNS1_11target_archE910ELNS1_3gpuE8ELNS1_3repE0EEENS1_30default_config_static_selectorELNS0_4arch9wavefront6targetE0EEEvT1_
	.p2align	8
	.type	_ZN7rocprim17ROCPRIM_400000_NS6detail17trampoline_kernelINS0_14default_configENS1_27scan_by_key_config_selectorIxxEEZZNS1_16scan_by_key_implILNS1_25lookback_scan_determinismE0ELb1ES3_N6thrust23THRUST_200600_302600_NS6detail15normal_iteratorINS9_10device_ptrIxEEEESE_SE_xNS9_4plusIvEENS9_8equal_toIvEExEE10hipError_tPvRmT2_T3_T4_T5_mT6_T7_P12ihipStream_tbENKUlT_T0_E_clISt17integral_constantIbLb0EESZ_EEDaSU_SV_EUlSU_E_NS1_11comp_targetILNS1_3genE4ELNS1_11target_archE910ELNS1_3gpuE8ELNS1_3repE0EEENS1_30default_config_static_selectorELNS0_4arch9wavefront6targetE0EEEvT1_,@function
_ZN7rocprim17ROCPRIM_400000_NS6detail17trampoline_kernelINS0_14default_configENS1_27scan_by_key_config_selectorIxxEEZZNS1_16scan_by_key_implILNS1_25lookback_scan_determinismE0ELb1ES3_N6thrust23THRUST_200600_302600_NS6detail15normal_iteratorINS9_10device_ptrIxEEEESE_SE_xNS9_4plusIvEENS9_8equal_toIvEExEE10hipError_tPvRmT2_T3_T4_T5_mT6_T7_P12ihipStream_tbENKUlT_T0_E_clISt17integral_constantIbLb0EESZ_EEDaSU_SV_EUlSU_E_NS1_11comp_targetILNS1_3genE4ELNS1_11target_archE910ELNS1_3gpuE8ELNS1_3repE0EEENS1_30default_config_static_selectorELNS0_4arch9wavefront6targetE0EEEvT1_: ; @_ZN7rocprim17ROCPRIM_400000_NS6detail17trampoline_kernelINS0_14default_configENS1_27scan_by_key_config_selectorIxxEEZZNS1_16scan_by_key_implILNS1_25lookback_scan_determinismE0ELb1ES3_N6thrust23THRUST_200600_302600_NS6detail15normal_iteratorINS9_10device_ptrIxEEEESE_SE_xNS9_4plusIvEENS9_8equal_toIvEExEE10hipError_tPvRmT2_T3_T4_T5_mT6_T7_P12ihipStream_tbENKUlT_T0_E_clISt17integral_constantIbLb0EESZ_EEDaSU_SV_EUlSU_E_NS1_11comp_targetILNS1_3genE4ELNS1_11target_archE910ELNS1_3gpuE8ELNS1_3repE0EEENS1_30default_config_static_selectorELNS0_4arch9wavefront6targetE0EEEvT1_
; %bb.0:
	.section	.rodata,"a",@progbits
	.p2align	6, 0x0
	.amdhsa_kernel _ZN7rocprim17ROCPRIM_400000_NS6detail17trampoline_kernelINS0_14default_configENS1_27scan_by_key_config_selectorIxxEEZZNS1_16scan_by_key_implILNS1_25lookback_scan_determinismE0ELb1ES3_N6thrust23THRUST_200600_302600_NS6detail15normal_iteratorINS9_10device_ptrIxEEEESE_SE_xNS9_4plusIvEENS9_8equal_toIvEExEE10hipError_tPvRmT2_T3_T4_T5_mT6_T7_P12ihipStream_tbENKUlT_T0_E_clISt17integral_constantIbLb0EESZ_EEDaSU_SV_EUlSU_E_NS1_11comp_targetILNS1_3genE4ELNS1_11target_archE910ELNS1_3gpuE8ELNS1_3repE0EEENS1_30default_config_static_selectorELNS0_4arch9wavefront6targetE0EEEvT1_
		.amdhsa_group_segment_fixed_size 0
		.amdhsa_private_segment_fixed_size 0
		.amdhsa_kernarg_size 136
		.amdhsa_user_sgpr_count 6
		.amdhsa_user_sgpr_private_segment_buffer 1
		.amdhsa_user_sgpr_dispatch_ptr 0
		.amdhsa_user_sgpr_queue_ptr 0
		.amdhsa_user_sgpr_kernarg_segment_ptr 1
		.amdhsa_user_sgpr_dispatch_id 0
		.amdhsa_user_sgpr_flat_scratch_init 0
		.amdhsa_user_sgpr_private_segment_size 0
		.amdhsa_wavefront_size32 1
		.amdhsa_uses_dynamic_stack 0
		.amdhsa_system_sgpr_private_segment_wavefront_offset 0
		.amdhsa_system_sgpr_workgroup_id_x 1
		.amdhsa_system_sgpr_workgroup_id_y 0
		.amdhsa_system_sgpr_workgroup_id_z 0
		.amdhsa_system_sgpr_workgroup_info 0
		.amdhsa_system_vgpr_workitem_id 0
		.amdhsa_next_free_vgpr 1
		.amdhsa_next_free_sgpr 1
		.amdhsa_reserve_vcc 0
		.amdhsa_reserve_flat_scratch 0
		.amdhsa_float_round_mode_32 0
		.amdhsa_float_round_mode_16_64 0
		.amdhsa_float_denorm_mode_32 3
		.amdhsa_float_denorm_mode_16_64 3
		.amdhsa_dx10_clamp 1
		.amdhsa_ieee_mode 1
		.amdhsa_fp16_overflow 0
		.amdhsa_workgroup_processor_mode 1
		.amdhsa_memory_ordered 1
		.amdhsa_forward_progress 1
		.amdhsa_shared_vgpr_count 0
		.amdhsa_exception_fp_ieee_invalid_op 0
		.amdhsa_exception_fp_denorm_src 0
		.amdhsa_exception_fp_ieee_div_zero 0
		.amdhsa_exception_fp_ieee_overflow 0
		.amdhsa_exception_fp_ieee_underflow 0
		.amdhsa_exception_fp_ieee_inexact 0
		.amdhsa_exception_int_div_zero 0
	.end_amdhsa_kernel
	.section	.text._ZN7rocprim17ROCPRIM_400000_NS6detail17trampoline_kernelINS0_14default_configENS1_27scan_by_key_config_selectorIxxEEZZNS1_16scan_by_key_implILNS1_25lookback_scan_determinismE0ELb1ES3_N6thrust23THRUST_200600_302600_NS6detail15normal_iteratorINS9_10device_ptrIxEEEESE_SE_xNS9_4plusIvEENS9_8equal_toIvEExEE10hipError_tPvRmT2_T3_T4_T5_mT6_T7_P12ihipStream_tbENKUlT_T0_E_clISt17integral_constantIbLb0EESZ_EEDaSU_SV_EUlSU_E_NS1_11comp_targetILNS1_3genE4ELNS1_11target_archE910ELNS1_3gpuE8ELNS1_3repE0EEENS1_30default_config_static_selectorELNS0_4arch9wavefront6targetE0EEEvT1_,"axG",@progbits,_ZN7rocprim17ROCPRIM_400000_NS6detail17trampoline_kernelINS0_14default_configENS1_27scan_by_key_config_selectorIxxEEZZNS1_16scan_by_key_implILNS1_25lookback_scan_determinismE0ELb1ES3_N6thrust23THRUST_200600_302600_NS6detail15normal_iteratorINS9_10device_ptrIxEEEESE_SE_xNS9_4plusIvEENS9_8equal_toIvEExEE10hipError_tPvRmT2_T3_T4_T5_mT6_T7_P12ihipStream_tbENKUlT_T0_E_clISt17integral_constantIbLb0EESZ_EEDaSU_SV_EUlSU_E_NS1_11comp_targetILNS1_3genE4ELNS1_11target_archE910ELNS1_3gpuE8ELNS1_3repE0EEENS1_30default_config_static_selectorELNS0_4arch9wavefront6targetE0EEEvT1_,comdat
.Lfunc_end356:
	.size	_ZN7rocprim17ROCPRIM_400000_NS6detail17trampoline_kernelINS0_14default_configENS1_27scan_by_key_config_selectorIxxEEZZNS1_16scan_by_key_implILNS1_25lookback_scan_determinismE0ELb1ES3_N6thrust23THRUST_200600_302600_NS6detail15normal_iteratorINS9_10device_ptrIxEEEESE_SE_xNS9_4plusIvEENS9_8equal_toIvEExEE10hipError_tPvRmT2_T3_T4_T5_mT6_T7_P12ihipStream_tbENKUlT_T0_E_clISt17integral_constantIbLb0EESZ_EEDaSU_SV_EUlSU_E_NS1_11comp_targetILNS1_3genE4ELNS1_11target_archE910ELNS1_3gpuE8ELNS1_3repE0EEENS1_30default_config_static_selectorELNS0_4arch9wavefront6targetE0EEEvT1_, .Lfunc_end356-_ZN7rocprim17ROCPRIM_400000_NS6detail17trampoline_kernelINS0_14default_configENS1_27scan_by_key_config_selectorIxxEEZZNS1_16scan_by_key_implILNS1_25lookback_scan_determinismE0ELb1ES3_N6thrust23THRUST_200600_302600_NS6detail15normal_iteratorINS9_10device_ptrIxEEEESE_SE_xNS9_4plusIvEENS9_8equal_toIvEExEE10hipError_tPvRmT2_T3_T4_T5_mT6_T7_P12ihipStream_tbENKUlT_T0_E_clISt17integral_constantIbLb0EESZ_EEDaSU_SV_EUlSU_E_NS1_11comp_targetILNS1_3genE4ELNS1_11target_archE910ELNS1_3gpuE8ELNS1_3repE0EEENS1_30default_config_static_selectorELNS0_4arch9wavefront6targetE0EEEvT1_
                                        ; -- End function
	.set _ZN7rocprim17ROCPRIM_400000_NS6detail17trampoline_kernelINS0_14default_configENS1_27scan_by_key_config_selectorIxxEEZZNS1_16scan_by_key_implILNS1_25lookback_scan_determinismE0ELb1ES3_N6thrust23THRUST_200600_302600_NS6detail15normal_iteratorINS9_10device_ptrIxEEEESE_SE_xNS9_4plusIvEENS9_8equal_toIvEExEE10hipError_tPvRmT2_T3_T4_T5_mT6_T7_P12ihipStream_tbENKUlT_T0_E_clISt17integral_constantIbLb0EESZ_EEDaSU_SV_EUlSU_E_NS1_11comp_targetILNS1_3genE4ELNS1_11target_archE910ELNS1_3gpuE8ELNS1_3repE0EEENS1_30default_config_static_selectorELNS0_4arch9wavefront6targetE0EEEvT1_.num_vgpr, 0
	.set _ZN7rocprim17ROCPRIM_400000_NS6detail17trampoline_kernelINS0_14default_configENS1_27scan_by_key_config_selectorIxxEEZZNS1_16scan_by_key_implILNS1_25lookback_scan_determinismE0ELb1ES3_N6thrust23THRUST_200600_302600_NS6detail15normal_iteratorINS9_10device_ptrIxEEEESE_SE_xNS9_4plusIvEENS9_8equal_toIvEExEE10hipError_tPvRmT2_T3_T4_T5_mT6_T7_P12ihipStream_tbENKUlT_T0_E_clISt17integral_constantIbLb0EESZ_EEDaSU_SV_EUlSU_E_NS1_11comp_targetILNS1_3genE4ELNS1_11target_archE910ELNS1_3gpuE8ELNS1_3repE0EEENS1_30default_config_static_selectorELNS0_4arch9wavefront6targetE0EEEvT1_.num_agpr, 0
	.set _ZN7rocprim17ROCPRIM_400000_NS6detail17trampoline_kernelINS0_14default_configENS1_27scan_by_key_config_selectorIxxEEZZNS1_16scan_by_key_implILNS1_25lookback_scan_determinismE0ELb1ES3_N6thrust23THRUST_200600_302600_NS6detail15normal_iteratorINS9_10device_ptrIxEEEESE_SE_xNS9_4plusIvEENS9_8equal_toIvEExEE10hipError_tPvRmT2_T3_T4_T5_mT6_T7_P12ihipStream_tbENKUlT_T0_E_clISt17integral_constantIbLb0EESZ_EEDaSU_SV_EUlSU_E_NS1_11comp_targetILNS1_3genE4ELNS1_11target_archE910ELNS1_3gpuE8ELNS1_3repE0EEENS1_30default_config_static_selectorELNS0_4arch9wavefront6targetE0EEEvT1_.numbered_sgpr, 0
	.set _ZN7rocprim17ROCPRIM_400000_NS6detail17trampoline_kernelINS0_14default_configENS1_27scan_by_key_config_selectorIxxEEZZNS1_16scan_by_key_implILNS1_25lookback_scan_determinismE0ELb1ES3_N6thrust23THRUST_200600_302600_NS6detail15normal_iteratorINS9_10device_ptrIxEEEESE_SE_xNS9_4plusIvEENS9_8equal_toIvEExEE10hipError_tPvRmT2_T3_T4_T5_mT6_T7_P12ihipStream_tbENKUlT_T0_E_clISt17integral_constantIbLb0EESZ_EEDaSU_SV_EUlSU_E_NS1_11comp_targetILNS1_3genE4ELNS1_11target_archE910ELNS1_3gpuE8ELNS1_3repE0EEENS1_30default_config_static_selectorELNS0_4arch9wavefront6targetE0EEEvT1_.num_named_barrier, 0
	.set _ZN7rocprim17ROCPRIM_400000_NS6detail17trampoline_kernelINS0_14default_configENS1_27scan_by_key_config_selectorIxxEEZZNS1_16scan_by_key_implILNS1_25lookback_scan_determinismE0ELb1ES3_N6thrust23THRUST_200600_302600_NS6detail15normal_iteratorINS9_10device_ptrIxEEEESE_SE_xNS9_4plusIvEENS9_8equal_toIvEExEE10hipError_tPvRmT2_T3_T4_T5_mT6_T7_P12ihipStream_tbENKUlT_T0_E_clISt17integral_constantIbLb0EESZ_EEDaSU_SV_EUlSU_E_NS1_11comp_targetILNS1_3genE4ELNS1_11target_archE910ELNS1_3gpuE8ELNS1_3repE0EEENS1_30default_config_static_selectorELNS0_4arch9wavefront6targetE0EEEvT1_.private_seg_size, 0
	.set _ZN7rocprim17ROCPRIM_400000_NS6detail17trampoline_kernelINS0_14default_configENS1_27scan_by_key_config_selectorIxxEEZZNS1_16scan_by_key_implILNS1_25lookback_scan_determinismE0ELb1ES3_N6thrust23THRUST_200600_302600_NS6detail15normal_iteratorINS9_10device_ptrIxEEEESE_SE_xNS9_4plusIvEENS9_8equal_toIvEExEE10hipError_tPvRmT2_T3_T4_T5_mT6_T7_P12ihipStream_tbENKUlT_T0_E_clISt17integral_constantIbLb0EESZ_EEDaSU_SV_EUlSU_E_NS1_11comp_targetILNS1_3genE4ELNS1_11target_archE910ELNS1_3gpuE8ELNS1_3repE0EEENS1_30default_config_static_selectorELNS0_4arch9wavefront6targetE0EEEvT1_.uses_vcc, 0
	.set _ZN7rocprim17ROCPRIM_400000_NS6detail17trampoline_kernelINS0_14default_configENS1_27scan_by_key_config_selectorIxxEEZZNS1_16scan_by_key_implILNS1_25lookback_scan_determinismE0ELb1ES3_N6thrust23THRUST_200600_302600_NS6detail15normal_iteratorINS9_10device_ptrIxEEEESE_SE_xNS9_4plusIvEENS9_8equal_toIvEExEE10hipError_tPvRmT2_T3_T4_T5_mT6_T7_P12ihipStream_tbENKUlT_T0_E_clISt17integral_constantIbLb0EESZ_EEDaSU_SV_EUlSU_E_NS1_11comp_targetILNS1_3genE4ELNS1_11target_archE910ELNS1_3gpuE8ELNS1_3repE0EEENS1_30default_config_static_selectorELNS0_4arch9wavefront6targetE0EEEvT1_.uses_flat_scratch, 0
	.set _ZN7rocprim17ROCPRIM_400000_NS6detail17trampoline_kernelINS0_14default_configENS1_27scan_by_key_config_selectorIxxEEZZNS1_16scan_by_key_implILNS1_25lookback_scan_determinismE0ELb1ES3_N6thrust23THRUST_200600_302600_NS6detail15normal_iteratorINS9_10device_ptrIxEEEESE_SE_xNS9_4plusIvEENS9_8equal_toIvEExEE10hipError_tPvRmT2_T3_T4_T5_mT6_T7_P12ihipStream_tbENKUlT_T0_E_clISt17integral_constantIbLb0EESZ_EEDaSU_SV_EUlSU_E_NS1_11comp_targetILNS1_3genE4ELNS1_11target_archE910ELNS1_3gpuE8ELNS1_3repE0EEENS1_30default_config_static_selectorELNS0_4arch9wavefront6targetE0EEEvT1_.has_dyn_sized_stack, 0
	.set _ZN7rocprim17ROCPRIM_400000_NS6detail17trampoline_kernelINS0_14default_configENS1_27scan_by_key_config_selectorIxxEEZZNS1_16scan_by_key_implILNS1_25lookback_scan_determinismE0ELb1ES3_N6thrust23THRUST_200600_302600_NS6detail15normal_iteratorINS9_10device_ptrIxEEEESE_SE_xNS9_4plusIvEENS9_8equal_toIvEExEE10hipError_tPvRmT2_T3_T4_T5_mT6_T7_P12ihipStream_tbENKUlT_T0_E_clISt17integral_constantIbLb0EESZ_EEDaSU_SV_EUlSU_E_NS1_11comp_targetILNS1_3genE4ELNS1_11target_archE910ELNS1_3gpuE8ELNS1_3repE0EEENS1_30default_config_static_selectorELNS0_4arch9wavefront6targetE0EEEvT1_.has_recursion, 0
	.set _ZN7rocprim17ROCPRIM_400000_NS6detail17trampoline_kernelINS0_14default_configENS1_27scan_by_key_config_selectorIxxEEZZNS1_16scan_by_key_implILNS1_25lookback_scan_determinismE0ELb1ES3_N6thrust23THRUST_200600_302600_NS6detail15normal_iteratorINS9_10device_ptrIxEEEESE_SE_xNS9_4plusIvEENS9_8equal_toIvEExEE10hipError_tPvRmT2_T3_T4_T5_mT6_T7_P12ihipStream_tbENKUlT_T0_E_clISt17integral_constantIbLb0EESZ_EEDaSU_SV_EUlSU_E_NS1_11comp_targetILNS1_3genE4ELNS1_11target_archE910ELNS1_3gpuE8ELNS1_3repE0EEENS1_30default_config_static_selectorELNS0_4arch9wavefront6targetE0EEEvT1_.has_indirect_call, 0
	.section	.AMDGPU.csdata,"",@progbits
; Kernel info:
; codeLenInByte = 0
; TotalNumSgprs: 0
; NumVgprs: 0
; ScratchSize: 0
; MemoryBound: 0
; FloatMode: 240
; IeeeMode: 1
; LDSByteSize: 0 bytes/workgroup (compile time only)
; SGPRBlocks: 0
; VGPRBlocks: 0
; NumSGPRsForWavesPerEU: 1
; NumVGPRsForWavesPerEU: 1
; Occupancy: 16
; WaveLimiterHint : 0
; COMPUTE_PGM_RSRC2:SCRATCH_EN: 0
; COMPUTE_PGM_RSRC2:USER_SGPR: 6
; COMPUTE_PGM_RSRC2:TRAP_HANDLER: 0
; COMPUTE_PGM_RSRC2:TGID_X_EN: 1
; COMPUTE_PGM_RSRC2:TGID_Y_EN: 0
; COMPUTE_PGM_RSRC2:TGID_Z_EN: 0
; COMPUTE_PGM_RSRC2:TIDIG_COMP_CNT: 0
	.section	.text._ZN7rocprim17ROCPRIM_400000_NS6detail17trampoline_kernelINS0_14default_configENS1_27scan_by_key_config_selectorIxxEEZZNS1_16scan_by_key_implILNS1_25lookback_scan_determinismE0ELb1ES3_N6thrust23THRUST_200600_302600_NS6detail15normal_iteratorINS9_10device_ptrIxEEEESE_SE_xNS9_4plusIvEENS9_8equal_toIvEExEE10hipError_tPvRmT2_T3_T4_T5_mT6_T7_P12ihipStream_tbENKUlT_T0_E_clISt17integral_constantIbLb0EESZ_EEDaSU_SV_EUlSU_E_NS1_11comp_targetILNS1_3genE3ELNS1_11target_archE908ELNS1_3gpuE7ELNS1_3repE0EEENS1_30default_config_static_selectorELNS0_4arch9wavefront6targetE0EEEvT1_,"axG",@progbits,_ZN7rocprim17ROCPRIM_400000_NS6detail17trampoline_kernelINS0_14default_configENS1_27scan_by_key_config_selectorIxxEEZZNS1_16scan_by_key_implILNS1_25lookback_scan_determinismE0ELb1ES3_N6thrust23THRUST_200600_302600_NS6detail15normal_iteratorINS9_10device_ptrIxEEEESE_SE_xNS9_4plusIvEENS9_8equal_toIvEExEE10hipError_tPvRmT2_T3_T4_T5_mT6_T7_P12ihipStream_tbENKUlT_T0_E_clISt17integral_constantIbLb0EESZ_EEDaSU_SV_EUlSU_E_NS1_11comp_targetILNS1_3genE3ELNS1_11target_archE908ELNS1_3gpuE7ELNS1_3repE0EEENS1_30default_config_static_selectorELNS0_4arch9wavefront6targetE0EEEvT1_,comdat
	.protected	_ZN7rocprim17ROCPRIM_400000_NS6detail17trampoline_kernelINS0_14default_configENS1_27scan_by_key_config_selectorIxxEEZZNS1_16scan_by_key_implILNS1_25lookback_scan_determinismE0ELb1ES3_N6thrust23THRUST_200600_302600_NS6detail15normal_iteratorINS9_10device_ptrIxEEEESE_SE_xNS9_4plusIvEENS9_8equal_toIvEExEE10hipError_tPvRmT2_T3_T4_T5_mT6_T7_P12ihipStream_tbENKUlT_T0_E_clISt17integral_constantIbLb0EESZ_EEDaSU_SV_EUlSU_E_NS1_11comp_targetILNS1_3genE3ELNS1_11target_archE908ELNS1_3gpuE7ELNS1_3repE0EEENS1_30default_config_static_selectorELNS0_4arch9wavefront6targetE0EEEvT1_ ; -- Begin function _ZN7rocprim17ROCPRIM_400000_NS6detail17trampoline_kernelINS0_14default_configENS1_27scan_by_key_config_selectorIxxEEZZNS1_16scan_by_key_implILNS1_25lookback_scan_determinismE0ELb1ES3_N6thrust23THRUST_200600_302600_NS6detail15normal_iteratorINS9_10device_ptrIxEEEESE_SE_xNS9_4plusIvEENS9_8equal_toIvEExEE10hipError_tPvRmT2_T3_T4_T5_mT6_T7_P12ihipStream_tbENKUlT_T0_E_clISt17integral_constantIbLb0EESZ_EEDaSU_SV_EUlSU_E_NS1_11comp_targetILNS1_3genE3ELNS1_11target_archE908ELNS1_3gpuE7ELNS1_3repE0EEENS1_30default_config_static_selectorELNS0_4arch9wavefront6targetE0EEEvT1_
	.globl	_ZN7rocprim17ROCPRIM_400000_NS6detail17trampoline_kernelINS0_14default_configENS1_27scan_by_key_config_selectorIxxEEZZNS1_16scan_by_key_implILNS1_25lookback_scan_determinismE0ELb1ES3_N6thrust23THRUST_200600_302600_NS6detail15normal_iteratorINS9_10device_ptrIxEEEESE_SE_xNS9_4plusIvEENS9_8equal_toIvEExEE10hipError_tPvRmT2_T3_T4_T5_mT6_T7_P12ihipStream_tbENKUlT_T0_E_clISt17integral_constantIbLb0EESZ_EEDaSU_SV_EUlSU_E_NS1_11comp_targetILNS1_3genE3ELNS1_11target_archE908ELNS1_3gpuE7ELNS1_3repE0EEENS1_30default_config_static_selectorELNS0_4arch9wavefront6targetE0EEEvT1_
	.p2align	8
	.type	_ZN7rocprim17ROCPRIM_400000_NS6detail17trampoline_kernelINS0_14default_configENS1_27scan_by_key_config_selectorIxxEEZZNS1_16scan_by_key_implILNS1_25lookback_scan_determinismE0ELb1ES3_N6thrust23THRUST_200600_302600_NS6detail15normal_iteratorINS9_10device_ptrIxEEEESE_SE_xNS9_4plusIvEENS9_8equal_toIvEExEE10hipError_tPvRmT2_T3_T4_T5_mT6_T7_P12ihipStream_tbENKUlT_T0_E_clISt17integral_constantIbLb0EESZ_EEDaSU_SV_EUlSU_E_NS1_11comp_targetILNS1_3genE3ELNS1_11target_archE908ELNS1_3gpuE7ELNS1_3repE0EEENS1_30default_config_static_selectorELNS0_4arch9wavefront6targetE0EEEvT1_,@function
_ZN7rocprim17ROCPRIM_400000_NS6detail17trampoline_kernelINS0_14default_configENS1_27scan_by_key_config_selectorIxxEEZZNS1_16scan_by_key_implILNS1_25lookback_scan_determinismE0ELb1ES3_N6thrust23THRUST_200600_302600_NS6detail15normal_iteratorINS9_10device_ptrIxEEEESE_SE_xNS9_4plusIvEENS9_8equal_toIvEExEE10hipError_tPvRmT2_T3_T4_T5_mT6_T7_P12ihipStream_tbENKUlT_T0_E_clISt17integral_constantIbLb0EESZ_EEDaSU_SV_EUlSU_E_NS1_11comp_targetILNS1_3genE3ELNS1_11target_archE908ELNS1_3gpuE7ELNS1_3repE0EEENS1_30default_config_static_selectorELNS0_4arch9wavefront6targetE0EEEvT1_: ; @_ZN7rocprim17ROCPRIM_400000_NS6detail17trampoline_kernelINS0_14default_configENS1_27scan_by_key_config_selectorIxxEEZZNS1_16scan_by_key_implILNS1_25lookback_scan_determinismE0ELb1ES3_N6thrust23THRUST_200600_302600_NS6detail15normal_iteratorINS9_10device_ptrIxEEEESE_SE_xNS9_4plusIvEENS9_8equal_toIvEExEE10hipError_tPvRmT2_T3_T4_T5_mT6_T7_P12ihipStream_tbENKUlT_T0_E_clISt17integral_constantIbLb0EESZ_EEDaSU_SV_EUlSU_E_NS1_11comp_targetILNS1_3genE3ELNS1_11target_archE908ELNS1_3gpuE7ELNS1_3repE0EEENS1_30default_config_static_selectorELNS0_4arch9wavefront6targetE0EEEvT1_
; %bb.0:
	.section	.rodata,"a",@progbits
	.p2align	6, 0x0
	.amdhsa_kernel _ZN7rocprim17ROCPRIM_400000_NS6detail17trampoline_kernelINS0_14default_configENS1_27scan_by_key_config_selectorIxxEEZZNS1_16scan_by_key_implILNS1_25lookback_scan_determinismE0ELb1ES3_N6thrust23THRUST_200600_302600_NS6detail15normal_iteratorINS9_10device_ptrIxEEEESE_SE_xNS9_4plusIvEENS9_8equal_toIvEExEE10hipError_tPvRmT2_T3_T4_T5_mT6_T7_P12ihipStream_tbENKUlT_T0_E_clISt17integral_constantIbLb0EESZ_EEDaSU_SV_EUlSU_E_NS1_11comp_targetILNS1_3genE3ELNS1_11target_archE908ELNS1_3gpuE7ELNS1_3repE0EEENS1_30default_config_static_selectorELNS0_4arch9wavefront6targetE0EEEvT1_
		.amdhsa_group_segment_fixed_size 0
		.amdhsa_private_segment_fixed_size 0
		.amdhsa_kernarg_size 136
		.amdhsa_user_sgpr_count 6
		.amdhsa_user_sgpr_private_segment_buffer 1
		.amdhsa_user_sgpr_dispatch_ptr 0
		.amdhsa_user_sgpr_queue_ptr 0
		.amdhsa_user_sgpr_kernarg_segment_ptr 1
		.amdhsa_user_sgpr_dispatch_id 0
		.amdhsa_user_sgpr_flat_scratch_init 0
		.amdhsa_user_sgpr_private_segment_size 0
		.amdhsa_wavefront_size32 1
		.amdhsa_uses_dynamic_stack 0
		.amdhsa_system_sgpr_private_segment_wavefront_offset 0
		.amdhsa_system_sgpr_workgroup_id_x 1
		.amdhsa_system_sgpr_workgroup_id_y 0
		.amdhsa_system_sgpr_workgroup_id_z 0
		.amdhsa_system_sgpr_workgroup_info 0
		.amdhsa_system_vgpr_workitem_id 0
		.amdhsa_next_free_vgpr 1
		.amdhsa_next_free_sgpr 1
		.amdhsa_reserve_vcc 0
		.amdhsa_reserve_flat_scratch 0
		.amdhsa_float_round_mode_32 0
		.amdhsa_float_round_mode_16_64 0
		.amdhsa_float_denorm_mode_32 3
		.amdhsa_float_denorm_mode_16_64 3
		.amdhsa_dx10_clamp 1
		.amdhsa_ieee_mode 1
		.amdhsa_fp16_overflow 0
		.amdhsa_workgroup_processor_mode 1
		.amdhsa_memory_ordered 1
		.amdhsa_forward_progress 1
		.amdhsa_shared_vgpr_count 0
		.amdhsa_exception_fp_ieee_invalid_op 0
		.amdhsa_exception_fp_denorm_src 0
		.amdhsa_exception_fp_ieee_div_zero 0
		.amdhsa_exception_fp_ieee_overflow 0
		.amdhsa_exception_fp_ieee_underflow 0
		.amdhsa_exception_fp_ieee_inexact 0
		.amdhsa_exception_int_div_zero 0
	.end_amdhsa_kernel
	.section	.text._ZN7rocprim17ROCPRIM_400000_NS6detail17trampoline_kernelINS0_14default_configENS1_27scan_by_key_config_selectorIxxEEZZNS1_16scan_by_key_implILNS1_25lookback_scan_determinismE0ELb1ES3_N6thrust23THRUST_200600_302600_NS6detail15normal_iteratorINS9_10device_ptrIxEEEESE_SE_xNS9_4plusIvEENS9_8equal_toIvEExEE10hipError_tPvRmT2_T3_T4_T5_mT6_T7_P12ihipStream_tbENKUlT_T0_E_clISt17integral_constantIbLb0EESZ_EEDaSU_SV_EUlSU_E_NS1_11comp_targetILNS1_3genE3ELNS1_11target_archE908ELNS1_3gpuE7ELNS1_3repE0EEENS1_30default_config_static_selectorELNS0_4arch9wavefront6targetE0EEEvT1_,"axG",@progbits,_ZN7rocprim17ROCPRIM_400000_NS6detail17trampoline_kernelINS0_14default_configENS1_27scan_by_key_config_selectorIxxEEZZNS1_16scan_by_key_implILNS1_25lookback_scan_determinismE0ELb1ES3_N6thrust23THRUST_200600_302600_NS6detail15normal_iteratorINS9_10device_ptrIxEEEESE_SE_xNS9_4plusIvEENS9_8equal_toIvEExEE10hipError_tPvRmT2_T3_T4_T5_mT6_T7_P12ihipStream_tbENKUlT_T0_E_clISt17integral_constantIbLb0EESZ_EEDaSU_SV_EUlSU_E_NS1_11comp_targetILNS1_3genE3ELNS1_11target_archE908ELNS1_3gpuE7ELNS1_3repE0EEENS1_30default_config_static_selectorELNS0_4arch9wavefront6targetE0EEEvT1_,comdat
.Lfunc_end357:
	.size	_ZN7rocprim17ROCPRIM_400000_NS6detail17trampoline_kernelINS0_14default_configENS1_27scan_by_key_config_selectorIxxEEZZNS1_16scan_by_key_implILNS1_25lookback_scan_determinismE0ELb1ES3_N6thrust23THRUST_200600_302600_NS6detail15normal_iteratorINS9_10device_ptrIxEEEESE_SE_xNS9_4plusIvEENS9_8equal_toIvEExEE10hipError_tPvRmT2_T3_T4_T5_mT6_T7_P12ihipStream_tbENKUlT_T0_E_clISt17integral_constantIbLb0EESZ_EEDaSU_SV_EUlSU_E_NS1_11comp_targetILNS1_3genE3ELNS1_11target_archE908ELNS1_3gpuE7ELNS1_3repE0EEENS1_30default_config_static_selectorELNS0_4arch9wavefront6targetE0EEEvT1_, .Lfunc_end357-_ZN7rocprim17ROCPRIM_400000_NS6detail17trampoline_kernelINS0_14default_configENS1_27scan_by_key_config_selectorIxxEEZZNS1_16scan_by_key_implILNS1_25lookback_scan_determinismE0ELb1ES3_N6thrust23THRUST_200600_302600_NS6detail15normal_iteratorINS9_10device_ptrIxEEEESE_SE_xNS9_4plusIvEENS9_8equal_toIvEExEE10hipError_tPvRmT2_T3_T4_T5_mT6_T7_P12ihipStream_tbENKUlT_T0_E_clISt17integral_constantIbLb0EESZ_EEDaSU_SV_EUlSU_E_NS1_11comp_targetILNS1_3genE3ELNS1_11target_archE908ELNS1_3gpuE7ELNS1_3repE0EEENS1_30default_config_static_selectorELNS0_4arch9wavefront6targetE0EEEvT1_
                                        ; -- End function
	.set _ZN7rocprim17ROCPRIM_400000_NS6detail17trampoline_kernelINS0_14default_configENS1_27scan_by_key_config_selectorIxxEEZZNS1_16scan_by_key_implILNS1_25lookback_scan_determinismE0ELb1ES3_N6thrust23THRUST_200600_302600_NS6detail15normal_iteratorINS9_10device_ptrIxEEEESE_SE_xNS9_4plusIvEENS9_8equal_toIvEExEE10hipError_tPvRmT2_T3_T4_T5_mT6_T7_P12ihipStream_tbENKUlT_T0_E_clISt17integral_constantIbLb0EESZ_EEDaSU_SV_EUlSU_E_NS1_11comp_targetILNS1_3genE3ELNS1_11target_archE908ELNS1_3gpuE7ELNS1_3repE0EEENS1_30default_config_static_selectorELNS0_4arch9wavefront6targetE0EEEvT1_.num_vgpr, 0
	.set _ZN7rocprim17ROCPRIM_400000_NS6detail17trampoline_kernelINS0_14default_configENS1_27scan_by_key_config_selectorIxxEEZZNS1_16scan_by_key_implILNS1_25lookback_scan_determinismE0ELb1ES3_N6thrust23THRUST_200600_302600_NS6detail15normal_iteratorINS9_10device_ptrIxEEEESE_SE_xNS9_4plusIvEENS9_8equal_toIvEExEE10hipError_tPvRmT2_T3_T4_T5_mT6_T7_P12ihipStream_tbENKUlT_T0_E_clISt17integral_constantIbLb0EESZ_EEDaSU_SV_EUlSU_E_NS1_11comp_targetILNS1_3genE3ELNS1_11target_archE908ELNS1_3gpuE7ELNS1_3repE0EEENS1_30default_config_static_selectorELNS0_4arch9wavefront6targetE0EEEvT1_.num_agpr, 0
	.set _ZN7rocprim17ROCPRIM_400000_NS6detail17trampoline_kernelINS0_14default_configENS1_27scan_by_key_config_selectorIxxEEZZNS1_16scan_by_key_implILNS1_25lookback_scan_determinismE0ELb1ES3_N6thrust23THRUST_200600_302600_NS6detail15normal_iteratorINS9_10device_ptrIxEEEESE_SE_xNS9_4plusIvEENS9_8equal_toIvEExEE10hipError_tPvRmT2_T3_T4_T5_mT6_T7_P12ihipStream_tbENKUlT_T0_E_clISt17integral_constantIbLb0EESZ_EEDaSU_SV_EUlSU_E_NS1_11comp_targetILNS1_3genE3ELNS1_11target_archE908ELNS1_3gpuE7ELNS1_3repE0EEENS1_30default_config_static_selectorELNS0_4arch9wavefront6targetE0EEEvT1_.numbered_sgpr, 0
	.set _ZN7rocprim17ROCPRIM_400000_NS6detail17trampoline_kernelINS0_14default_configENS1_27scan_by_key_config_selectorIxxEEZZNS1_16scan_by_key_implILNS1_25lookback_scan_determinismE0ELb1ES3_N6thrust23THRUST_200600_302600_NS6detail15normal_iteratorINS9_10device_ptrIxEEEESE_SE_xNS9_4plusIvEENS9_8equal_toIvEExEE10hipError_tPvRmT2_T3_T4_T5_mT6_T7_P12ihipStream_tbENKUlT_T0_E_clISt17integral_constantIbLb0EESZ_EEDaSU_SV_EUlSU_E_NS1_11comp_targetILNS1_3genE3ELNS1_11target_archE908ELNS1_3gpuE7ELNS1_3repE0EEENS1_30default_config_static_selectorELNS0_4arch9wavefront6targetE0EEEvT1_.num_named_barrier, 0
	.set _ZN7rocprim17ROCPRIM_400000_NS6detail17trampoline_kernelINS0_14default_configENS1_27scan_by_key_config_selectorIxxEEZZNS1_16scan_by_key_implILNS1_25lookback_scan_determinismE0ELb1ES3_N6thrust23THRUST_200600_302600_NS6detail15normal_iteratorINS9_10device_ptrIxEEEESE_SE_xNS9_4plusIvEENS9_8equal_toIvEExEE10hipError_tPvRmT2_T3_T4_T5_mT6_T7_P12ihipStream_tbENKUlT_T0_E_clISt17integral_constantIbLb0EESZ_EEDaSU_SV_EUlSU_E_NS1_11comp_targetILNS1_3genE3ELNS1_11target_archE908ELNS1_3gpuE7ELNS1_3repE0EEENS1_30default_config_static_selectorELNS0_4arch9wavefront6targetE0EEEvT1_.private_seg_size, 0
	.set _ZN7rocprim17ROCPRIM_400000_NS6detail17trampoline_kernelINS0_14default_configENS1_27scan_by_key_config_selectorIxxEEZZNS1_16scan_by_key_implILNS1_25lookback_scan_determinismE0ELb1ES3_N6thrust23THRUST_200600_302600_NS6detail15normal_iteratorINS9_10device_ptrIxEEEESE_SE_xNS9_4plusIvEENS9_8equal_toIvEExEE10hipError_tPvRmT2_T3_T4_T5_mT6_T7_P12ihipStream_tbENKUlT_T0_E_clISt17integral_constantIbLb0EESZ_EEDaSU_SV_EUlSU_E_NS1_11comp_targetILNS1_3genE3ELNS1_11target_archE908ELNS1_3gpuE7ELNS1_3repE0EEENS1_30default_config_static_selectorELNS0_4arch9wavefront6targetE0EEEvT1_.uses_vcc, 0
	.set _ZN7rocprim17ROCPRIM_400000_NS6detail17trampoline_kernelINS0_14default_configENS1_27scan_by_key_config_selectorIxxEEZZNS1_16scan_by_key_implILNS1_25lookback_scan_determinismE0ELb1ES3_N6thrust23THRUST_200600_302600_NS6detail15normal_iteratorINS9_10device_ptrIxEEEESE_SE_xNS9_4plusIvEENS9_8equal_toIvEExEE10hipError_tPvRmT2_T3_T4_T5_mT6_T7_P12ihipStream_tbENKUlT_T0_E_clISt17integral_constantIbLb0EESZ_EEDaSU_SV_EUlSU_E_NS1_11comp_targetILNS1_3genE3ELNS1_11target_archE908ELNS1_3gpuE7ELNS1_3repE0EEENS1_30default_config_static_selectorELNS0_4arch9wavefront6targetE0EEEvT1_.uses_flat_scratch, 0
	.set _ZN7rocprim17ROCPRIM_400000_NS6detail17trampoline_kernelINS0_14default_configENS1_27scan_by_key_config_selectorIxxEEZZNS1_16scan_by_key_implILNS1_25lookback_scan_determinismE0ELb1ES3_N6thrust23THRUST_200600_302600_NS6detail15normal_iteratorINS9_10device_ptrIxEEEESE_SE_xNS9_4plusIvEENS9_8equal_toIvEExEE10hipError_tPvRmT2_T3_T4_T5_mT6_T7_P12ihipStream_tbENKUlT_T0_E_clISt17integral_constantIbLb0EESZ_EEDaSU_SV_EUlSU_E_NS1_11comp_targetILNS1_3genE3ELNS1_11target_archE908ELNS1_3gpuE7ELNS1_3repE0EEENS1_30default_config_static_selectorELNS0_4arch9wavefront6targetE0EEEvT1_.has_dyn_sized_stack, 0
	.set _ZN7rocprim17ROCPRIM_400000_NS6detail17trampoline_kernelINS0_14default_configENS1_27scan_by_key_config_selectorIxxEEZZNS1_16scan_by_key_implILNS1_25lookback_scan_determinismE0ELb1ES3_N6thrust23THRUST_200600_302600_NS6detail15normal_iteratorINS9_10device_ptrIxEEEESE_SE_xNS9_4plusIvEENS9_8equal_toIvEExEE10hipError_tPvRmT2_T3_T4_T5_mT6_T7_P12ihipStream_tbENKUlT_T0_E_clISt17integral_constantIbLb0EESZ_EEDaSU_SV_EUlSU_E_NS1_11comp_targetILNS1_3genE3ELNS1_11target_archE908ELNS1_3gpuE7ELNS1_3repE0EEENS1_30default_config_static_selectorELNS0_4arch9wavefront6targetE0EEEvT1_.has_recursion, 0
	.set _ZN7rocprim17ROCPRIM_400000_NS6detail17trampoline_kernelINS0_14default_configENS1_27scan_by_key_config_selectorIxxEEZZNS1_16scan_by_key_implILNS1_25lookback_scan_determinismE0ELb1ES3_N6thrust23THRUST_200600_302600_NS6detail15normal_iteratorINS9_10device_ptrIxEEEESE_SE_xNS9_4plusIvEENS9_8equal_toIvEExEE10hipError_tPvRmT2_T3_T4_T5_mT6_T7_P12ihipStream_tbENKUlT_T0_E_clISt17integral_constantIbLb0EESZ_EEDaSU_SV_EUlSU_E_NS1_11comp_targetILNS1_3genE3ELNS1_11target_archE908ELNS1_3gpuE7ELNS1_3repE0EEENS1_30default_config_static_selectorELNS0_4arch9wavefront6targetE0EEEvT1_.has_indirect_call, 0
	.section	.AMDGPU.csdata,"",@progbits
; Kernel info:
; codeLenInByte = 0
; TotalNumSgprs: 0
; NumVgprs: 0
; ScratchSize: 0
; MemoryBound: 0
; FloatMode: 240
; IeeeMode: 1
; LDSByteSize: 0 bytes/workgroup (compile time only)
; SGPRBlocks: 0
; VGPRBlocks: 0
; NumSGPRsForWavesPerEU: 1
; NumVGPRsForWavesPerEU: 1
; Occupancy: 16
; WaveLimiterHint : 0
; COMPUTE_PGM_RSRC2:SCRATCH_EN: 0
; COMPUTE_PGM_RSRC2:USER_SGPR: 6
; COMPUTE_PGM_RSRC2:TRAP_HANDLER: 0
; COMPUTE_PGM_RSRC2:TGID_X_EN: 1
; COMPUTE_PGM_RSRC2:TGID_Y_EN: 0
; COMPUTE_PGM_RSRC2:TGID_Z_EN: 0
; COMPUTE_PGM_RSRC2:TIDIG_COMP_CNT: 0
	.section	.text._ZN7rocprim17ROCPRIM_400000_NS6detail17trampoline_kernelINS0_14default_configENS1_27scan_by_key_config_selectorIxxEEZZNS1_16scan_by_key_implILNS1_25lookback_scan_determinismE0ELb1ES3_N6thrust23THRUST_200600_302600_NS6detail15normal_iteratorINS9_10device_ptrIxEEEESE_SE_xNS9_4plusIvEENS9_8equal_toIvEExEE10hipError_tPvRmT2_T3_T4_T5_mT6_T7_P12ihipStream_tbENKUlT_T0_E_clISt17integral_constantIbLb0EESZ_EEDaSU_SV_EUlSU_E_NS1_11comp_targetILNS1_3genE2ELNS1_11target_archE906ELNS1_3gpuE6ELNS1_3repE0EEENS1_30default_config_static_selectorELNS0_4arch9wavefront6targetE0EEEvT1_,"axG",@progbits,_ZN7rocprim17ROCPRIM_400000_NS6detail17trampoline_kernelINS0_14default_configENS1_27scan_by_key_config_selectorIxxEEZZNS1_16scan_by_key_implILNS1_25lookback_scan_determinismE0ELb1ES3_N6thrust23THRUST_200600_302600_NS6detail15normal_iteratorINS9_10device_ptrIxEEEESE_SE_xNS9_4plusIvEENS9_8equal_toIvEExEE10hipError_tPvRmT2_T3_T4_T5_mT6_T7_P12ihipStream_tbENKUlT_T0_E_clISt17integral_constantIbLb0EESZ_EEDaSU_SV_EUlSU_E_NS1_11comp_targetILNS1_3genE2ELNS1_11target_archE906ELNS1_3gpuE6ELNS1_3repE0EEENS1_30default_config_static_selectorELNS0_4arch9wavefront6targetE0EEEvT1_,comdat
	.protected	_ZN7rocprim17ROCPRIM_400000_NS6detail17trampoline_kernelINS0_14default_configENS1_27scan_by_key_config_selectorIxxEEZZNS1_16scan_by_key_implILNS1_25lookback_scan_determinismE0ELb1ES3_N6thrust23THRUST_200600_302600_NS6detail15normal_iteratorINS9_10device_ptrIxEEEESE_SE_xNS9_4plusIvEENS9_8equal_toIvEExEE10hipError_tPvRmT2_T3_T4_T5_mT6_T7_P12ihipStream_tbENKUlT_T0_E_clISt17integral_constantIbLb0EESZ_EEDaSU_SV_EUlSU_E_NS1_11comp_targetILNS1_3genE2ELNS1_11target_archE906ELNS1_3gpuE6ELNS1_3repE0EEENS1_30default_config_static_selectorELNS0_4arch9wavefront6targetE0EEEvT1_ ; -- Begin function _ZN7rocprim17ROCPRIM_400000_NS6detail17trampoline_kernelINS0_14default_configENS1_27scan_by_key_config_selectorIxxEEZZNS1_16scan_by_key_implILNS1_25lookback_scan_determinismE0ELb1ES3_N6thrust23THRUST_200600_302600_NS6detail15normal_iteratorINS9_10device_ptrIxEEEESE_SE_xNS9_4plusIvEENS9_8equal_toIvEExEE10hipError_tPvRmT2_T3_T4_T5_mT6_T7_P12ihipStream_tbENKUlT_T0_E_clISt17integral_constantIbLb0EESZ_EEDaSU_SV_EUlSU_E_NS1_11comp_targetILNS1_3genE2ELNS1_11target_archE906ELNS1_3gpuE6ELNS1_3repE0EEENS1_30default_config_static_selectorELNS0_4arch9wavefront6targetE0EEEvT1_
	.globl	_ZN7rocprim17ROCPRIM_400000_NS6detail17trampoline_kernelINS0_14default_configENS1_27scan_by_key_config_selectorIxxEEZZNS1_16scan_by_key_implILNS1_25lookback_scan_determinismE0ELb1ES3_N6thrust23THRUST_200600_302600_NS6detail15normal_iteratorINS9_10device_ptrIxEEEESE_SE_xNS9_4plusIvEENS9_8equal_toIvEExEE10hipError_tPvRmT2_T3_T4_T5_mT6_T7_P12ihipStream_tbENKUlT_T0_E_clISt17integral_constantIbLb0EESZ_EEDaSU_SV_EUlSU_E_NS1_11comp_targetILNS1_3genE2ELNS1_11target_archE906ELNS1_3gpuE6ELNS1_3repE0EEENS1_30default_config_static_selectorELNS0_4arch9wavefront6targetE0EEEvT1_
	.p2align	8
	.type	_ZN7rocprim17ROCPRIM_400000_NS6detail17trampoline_kernelINS0_14default_configENS1_27scan_by_key_config_selectorIxxEEZZNS1_16scan_by_key_implILNS1_25lookback_scan_determinismE0ELb1ES3_N6thrust23THRUST_200600_302600_NS6detail15normal_iteratorINS9_10device_ptrIxEEEESE_SE_xNS9_4plusIvEENS9_8equal_toIvEExEE10hipError_tPvRmT2_T3_T4_T5_mT6_T7_P12ihipStream_tbENKUlT_T0_E_clISt17integral_constantIbLb0EESZ_EEDaSU_SV_EUlSU_E_NS1_11comp_targetILNS1_3genE2ELNS1_11target_archE906ELNS1_3gpuE6ELNS1_3repE0EEENS1_30default_config_static_selectorELNS0_4arch9wavefront6targetE0EEEvT1_,@function
_ZN7rocprim17ROCPRIM_400000_NS6detail17trampoline_kernelINS0_14default_configENS1_27scan_by_key_config_selectorIxxEEZZNS1_16scan_by_key_implILNS1_25lookback_scan_determinismE0ELb1ES3_N6thrust23THRUST_200600_302600_NS6detail15normal_iteratorINS9_10device_ptrIxEEEESE_SE_xNS9_4plusIvEENS9_8equal_toIvEExEE10hipError_tPvRmT2_T3_T4_T5_mT6_T7_P12ihipStream_tbENKUlT_T0_E_clISt17integral_constantIbLb0EESZ_EEDaSU_SV_EUlSU_E_NS1_11comp_targetILNS1_3genE2ELNS1_11target_archE906ELNS1_3gpuE6ELNS1_3repE0EEENS1_30default_config_static_selectorELNS0_4arch9wavefront6targetE0EEEvT1_: ; @_ZN7rocprim17ROCPRIM_400000_NS6detail17trampoline_kernelINS0_14default_configENS1_27scan_by_key_config_selectorIxxEEZZNS1_16scan_by_key_implILNS1_25lookback_scan_determinismE0ELb1ES3_N6thrust23THRUST_200600_302600_NS6detail15normal_iteratorINS9_10device_ptrIxEEEESE_SE_xNS9_4plusIvEENS9_8equal_toIvEExEE10hipError_tPvRmT2_T3_T4_T5_mT6_T7_P12ihipStream_tbENKUlT_T0_E_clISt17integral_constantIbLb0EESZ_EEDaSU_SV_EUlSU_E_NS1_11comp_targetILNS1_3genE2ELNS1_11target_archE906ELNS1_3gpuE6ELNS1_3repE0EEENS1_30default_config_static_selectorELNS0_4arch9wavefront6targetE0EEEvT1_
; %bb.0:
	.section	.rodata,"a",@progbits
	.p2align	6, 0x0
	.amdhsa_kernel _ZN7rocprim17ROCPRIM_400000_NS6detail17trampoline_kernelINS0_14default_configENS1_27scan_by_key_config_selectorIxxEEZZNS1_16scan_by_key_implILNS1_25lookback_scan_determinismE0ELb1ES3_N6thrust23THRUST_200600_302600_NS6detail15normal_iteratorINS9_10device_ptrIxEEEESE_SE_xNS9_4plusIvEENS9_8equal_toIvEExEE10hipError_tPvRmT2_T3_T4_T5_mT6_T7_P12ihipStream_tbENKUlT_T0_E_clISt17integral_constantIbLb0EESZ_EEDaSU_SV_EUlSU_E_NS1_11comp_targetILNS1_3genE2ELNS1_11target_archE906ELNS1_3gpuE6ELNS1_3repE0EEENS1_30default_config_static_selectorELNS0_4arch9wavefront6targetE0EEEvT1_
		.amdhsa_group_segment_fixed_size 0
		.amdhsa_private_segment_fixed_size 0
		.amdhsa_kernarg_size 136
		.amdhsa_user_sgpr_count 6
		.amdhsa_user_sgpr_private_segment_buffer 1
		.amdhsa_user_sgpr_dispatch_ptr 0
		.amdhsa_user_sgpr_queue_ptr 0
		.amdhsa_user_sgpr_kernarg_segment_ptr 1
		.amdhsa_user_sgpr_dispatch_id 0
		.amdhsa_user_sgpr_flat_scratch_init 0
		.amdhsa_user_sgpr_private_segment_size 0
		.amdhsa_wavefront_size32 1
		.amdhsa_uses_dynamic_stack 0
		.amdhsa_system_sgpr_private_segment_wavefront_offset 0
		.amdhsa_system_sgpr_workgroup_id_x 1
		.amdhsa_system_sgpr_workgroup_id_y 0
		.amdhsa_system_sgpr_workgroup_id_z 0
		.amdhsa_system_sgpr_workgroup_info 0
		.amdhsa_system_vgpr_workitem_id 0
		.amdhsa_next_free_vgpr 1
		.amdhsa_next_free_sgpr 1
		.amdhsa_reserve_vcc 0
		.amdhsa_reserve_flat_scratch 0
		.amdhsa_float_round_mode_32 0
		.amdhsa_float_round_mode_16_64 0
		.amdhsa_float_denorm_mode_32 3
		.amdhsa_float_denorm_mode_16_64 3
		.amdhsa_dx10_clamp 1
		.amdhsa_ieee_mode 1
		.amdhsa_fp16_overflow 0
		.amdhsa_workgroup_processor_mode 1
		.amdhsa_memory_ordered 1
		.amdhsa_forward_progress 1
		.amdhsa_shared_vgpr_count 0
		.amdhsa_exception_fp_ieee_invalid_op 0
		.amdhsa_exception_fp_denorm_src 0
		.amdhsa_exception_fp_ieee_div_zero 0
		.amdhsa_exception_fp_ieee_overflow 0
		.amdhsa_exception_fp_ieee_underflow 0
		.amdhsa_exception_fp_ieee_inexact 0
		.amdhsa_exception_int_div_zero 0
	.end_amdhsa_kernel
	.section	.text._ZN7rocprim17ROCPRIM_400000_NS6detail17trampoline_kernelINS0_14default_configENS1_27scan_by_key_config_selectorIxxEEZZNS1_16scan_by_key_implILNS1_25lookback_scan_determinismE0ELb1ES3_N6thrust23THRUST_200600_302600_NS6detail15normal_iteratorINS9_10device_ptrIxEEEESE_SE_xNS9_4plusIvEENS9_8equal_toIvEExEE10hipError_tPvRmT2_T3_T4_T5_mT6_T7_P12ihipStream_tbENKUlT_T0_E_clISt17integral_constantIbLb0EESZ_EEDaSU_SV_EUlSU_E_NS1_11comp_targetILNS1_3genE2ELNS1_11target_archE906ELNS1_3gpuE6ELNS1_3repE0EEENS1_30default_config_static_selectorELNS0_4arch9wavefront6targetE0EEEvT1_,"axG",@progbits,_ZN7rocprim17ROCPRIM_400000_NS6detail17trampoline_kernelINS0_14default_configENS1_27scan_by_key_config_selectorIxxEEZZNS1_16scan_by_key_implILNS1_25lookback_scan_determinismE0ELb1ES3_N6thrust23THRUST_200600_302600_NS6detail15normal_iteratorINS9_10device_ptrIxEEEESE_SE_xNS9_4plusIvEENS9_8equal_toIvEExEE10hipError_tPvRmT2_T3_T4_T5_mT6_T7_P12ihipStream_tbENKUlT_T0_E_clISt17integral_constantIbLb0EESZ_EEDaSU_SV_EUlSU_E_NS1_11comp_targetILNS1_3genE2ELNS1_11target_archE906ELNS1_3gpuE6ELNS1_3repE0EEENS1_30default_config_static_selectorELNS0_4arch9wavefront6targetE0EEEvT1_,comdat
.Lfunc_end358:
	.size	_ZN7rocprim17ROCPRIM_400000_NS6detail17trampoline_kernelINS0_14default_configENS1_27scan_by_key_config_selectorIxxEEZZNS1_16scan_by_key_implILNS1_25lookback_scan_determinismE0ELb1ES3_N6thrust23THRUST_200600_302600_NS6detail15normal_iteratorINS9_10device_ptrIxEEEESE_SE_xNS9_4plusIvEENS9_8equal_toIvEExEE10hipError_tPvRmT2_T3_T4_T5_mT6_T7_P12ihipStream_tbENKUlT_T0_E_clISt17integral_constantIbLb0EESZ_EEDaSU_SV_EUlSU_E_NS1_11comp_targetILNS1_3genE2ELNS1_11target_archE906ELNS1_3gpuE6ELNS1_3repE0EEENS1_30default_config_static_selectorELNS0_4arch9wavefront6targetE0EEEvT1_, .Lfunc_end358-_ZN7rocprim17ROCPRIM_400000_NS6detail17trampoline_kernelINS0_14default_configENS1_27scan_by_key_config_selectorIxxEEZZNS1_16scan_by_key_implILNS1_25lookback_scan_determinismE0ELb1ES3_N6thrust23THRUST_200600_302600_NS6detail15normal_iteratorINS9_10device_ptrIxEEEESE_SE_xNS9_4plusIvEENS9_8equal_toIvEExEE10hipError_tPvRmT2_T3_T4_T5_mT6_T7_P12ihipStream_tbENKUlT_T0_E_clISt17integral_constantIbLb0EESZ_EEDaSU_SV_EUlSU_E_NS1_11comp_targetILNS1_3genE2ELNS1_11target_archE906ELNS1_3gpuE6ELNS1_3repE0EEENS1_30default_config_static_selectorELNS0_4arch9wavefront6targetE0EEEvT1_
                                        ; -- End function
	.set _ZN7rocprim17ROCPRIM_400000_NS6detail17trampoline_kernelINS0_14default_configENS1_27scan_by_key_config_selectorIxxEEZZNS1_16scan_by_key_implILNS1_25lookback_scan_determinismE0ELb1ES3_N6thrust23THRUST_200600_302600_NS6detail15normal_iteratorINS9_10device_ptrIxEEEESE_SE_xNS9_4plusIvEENS9_8equal_toIvEExEE10hipError_tPvRmT2_T3_T4_T5_mT6_T7_P12ihipStream_tbENKUlT_T0_E_clISt17integral_constantIbLb0EESZ_EEDaSU_SV_EUlSU_E_NS1_11comp_targetILNS1_3genE2ELNS1_11target_archE906ELNS1_3gpuE6ELNS1_3repE0EEENS1_30default_config_static_selectorELNS0_4arch9wavefront6targetE0EEEvT1_.num_vgpr, 0
	.set _ZN7rocprim17ROCPRIM_400000_NS6detail17trampoline_kernelINS0_14default_configENS1_27scan_by_key_config_selectorIxxEEZZNS1_16scan_by_key_implILNS1_25lookback_scan_determinismE0ELb1ES3_N6thrust23THRUST_200600_302600_NS6detail15normal_iteratorINS9_10device_ptrIxEEEESE_SE_xNS9_4plusIvEENS9_8equal_toIvEExEE10hipError_tPvRmT2_T3_T4_T5_mT6_T7_P12ihipStream_tbENKUlT_T0_E_clISt17integral_constantIbLb0EESZ_EEDaSU_SV_EUlSU_E_NS1_11comp_targetILNS1_3genE2ELNS1_11target_archE906ELNS1_3gpuE6ELNS1_3repE0EEENS1_30default_config_static_selectorELNS0_4arch9wavefront6targetE0EEEvT1_.num_agpr, 0
	.set _ZN7rocprim17ROCPRIM_400000_NS6detail17trampoline_kernelINS0_14default_configENS1_27scan_by_key_config_selectorIxxEEZZNS1_16scan_by_key_implILNS1_25lookback_scan_determinismE0ELb1ES3_N6thrust23THRUST_200600_302600_NS6detail15normal_iteratorINS9_10device_ptrIxEEEESE_SE_xNS9_4plusIvEENS9_8equal_toIvEExEE10hipError_tPvRmT2_T3_T4_T5_mT6_T7_P12ihipStream_tbENKUlT_T0_E_clISt17integral_constantIbLb0EESZ_EEDaSU_SV_EUlSU_E_NS1_11comp_targetILNS1_3genE2ELNS1_11target_archE906ELNS1_3gpuE6ELNS1_3repE0EEENS1_30default_config_static_selectorELNS0_4arch9wavefront6targetE0EEEvT1_.numbered_sgpr, 0
	.set _ZN7rocprim17ROCPRIM_400000_NS6detail17trampoline_kernelINS0_14default_configENS1_27scan_by_key_config_selectorIxxEEZZNS1_16scan_by_key_implILNS1_25lookback_scan_determinismE0ELb1ES3_N6thrust23THRUST_200600_302600_NS6detail15normal_iteratorINS9_10device_ptrIxEEEESE_SE_xNS9_4plusIvEENS9_8equal_toIvEExEE10hipError_tPvRmT2_T3_T4_T5_mT6_T7_P12ihipStream_tbENKUlT_T0_E_clISt17integral_constantIbLb0EESZ_EEDaSU_SV_EUlSU_E_NS1_11comp_targetILNS1_3genE2ELNS1_11target_archE906ELNS1_3gpuE6ELNS1_3repE0EEENS1_30default_config_static_selectorELNS0_4arch9wavefront6targetE0EEEvT1_.num_named_barrier, 0
	.set _ZN7rocprim17ROCPRIM_400000_NS6detail17trampoline_kernelINS0_14default_configENS1_27scan_by_key_config_selectorIxxEEZZNS1_16scan_by_key_implILNS1_25lookback_scan_determinismE0ELb1ES3_N6thrust23THRUST_200600_302600_NS6detail15normal_iteratorINS9_10device_ptrIxEEEESE_SE_xNS9_4plusIvEENS9_8equal_toIvEExEE10hipError_tPvRmT2_T3_T4_T5_mT6_T7_P12ihipStream_tbENKUlT_T0_E_clISt17integral_constantIbLb0EESZ_EEDaSU_SV_EUlSU_E_NS1_11comp_targetILNS1_3genE2ELNS1_11target_archE906ELNS1_3gpuE6ELNS1_3repE0EEENS1_30default_config_static_selectorELNS0_4arch9wavefront6targetE0EEEvT1_.private_seg_size, 0
	.set _ZN7rocprim17ROCPRIM_400000_NS6detail17trampoline_kernelINS0_14default_configENS1_27scan_by_key_config_selectorIxxEEZZNS1_16scan_by_key_implILNS1_25lookback_scan_determinismE0ELb1ES3_N6thrust23THRUST_200600_302600_NS6detail15normal_iteratorINS9_10device_ptrIxEEEESE_SE_xNS9_4plusIvEENS9_8equal_toIvEExEE10hipError_tPvRmT2_T3_T4_T5_mT6_T7_P12ihipStream_tbENKUlT_T0_E_clISt17integral_constantIbLb0EESZ_EEDaSU_SV_EUlSU_E_NS1_11comp_targetILNS1_3genE2ELNS1_11target_archE906ELNS1_3gpuE6ELNS1_3repE0EEENS1_30default_config_static_selectorELNS0_4arch9wavefront6targetE0EEEvT1_.uses_vcc, 0
	.set _ZN7rocprim17ROCPRIM_400000_NS6detail17trampoline_kernelINS0_14default_configENS1_27scan_by_key_config_selectorIxxEEZZNS1_16scan_by_key_implILNS1_25lookback_scan_determinismE0ELb1ES3_N6thrust23THRUST_200600_302600_NS6detail15normal_iteratorINS9_10device_ptrIxEEEESE_SE_xNS9_4plusIvEENS9_8equal_toIvEExEE10hipError_tPvRmT2_T3_T4_T5_mT6_T7_P12ihipStream_tbENKUlT_T0_E_clISt17integral_constantIbLb0EESZ_EEDaSU_SV_EUlSU_E_NS1_11comp_targetILNS1_3genE2ELNS1_11target_archE906ELNS1_3gpuE6ELNS1_3repE0EEENS1_30default_config_static_selectorELNS0_4arch9wavefront6targetE0EEEvT1_.uses_flat_scratch, 0
	.set _ZN7rocprim17ROCPRIM_400000_NS6detail17trampoline_kernelINS0_14default_configENS1_27scan_by_key_config_selectorIxxEEZZNS1_16scan_by_key_implILNS1_25lookback_scan_determinismE0ELb1ES3_N6thrust23THRUST_200600_302600_NS6detail15normal_iteratorINS9_10device_ptrIxEEEESE_SE_xNS9_4plusIvEENS9_8equal_toIvEExEE10hipError_tPvRmT2_T3_T4_T5_mT6_T7_P12ihipStream_tbENKUlT_T0_E_clISt17integral_constantIbLb0EESZ_EEDaSU_SV_EUlSU_E_NS1_11comp_targetILNS1_3genE2ELNS1_11target_archE906ELNS1_3gpuE6ELNS1_3repE0EEENS1_30default_config_static_selectorELNS0_4arch9wavefront6targetE0EEEvT1_.has_dyn_sized_stack, 0
	.set _ZN7rocprim17ROCPRIM_400000_NS6detail17trampoline_kernelINS0_14default_configENS1_27scan_by_key_config_selectorIxxEEZZNS1_16scan_by_key_implILNS1_25lookback_scan_determinismE0ELb1ES3_N6thrust23THRUST_200600_302600_NS6detail15normal_iteratorINS9_10device_ptrIxEEEESE_SE_xNS9_4plusIvEENS9_8equal_toIvEExEE10hipError_tPvRmT2_T3_T4_T5_mT6_T7_P12ihipStream_tbENKUlT_T0_E_clISt17integral_constantIbLb0EESZ_EEDaSU_SV_EUlSU_E_NS1_11comp_targetILNS1_3genE2ELNS1_11target_archE906ELNS1_3gpuE6ELNS1_3repE0EEENS1_30default_config_static_selectorELNS0_4arch9wavefront6targetE0EEEvT1_.has_recursion, 0
	.set _ZN7rocprim17ROCPRIM_400000_NS6detail17trampoline_kernelINS0_14default_configENS1_27scan_by_key_config_selectorIxxEEZZNS1_16scan_by_key_implILNS1_25lookback_scan_determinismE0ELb1ES3_N6thrust23THRUST_200600_302600_NS6detail15normal_iteratorINS9_10device_ptrIxEEEESE_SE_xNS9_4plusIvEENS9_8equal_toIvEExEE10hipError_tPvRmT2_T3_T4_T5_mT6_T7_P12ihipStream_tbENKUlT_T0_E_clISt17integral_constantIbLb0EESZ_EEDaSU_SV_EUlSU_E_NS1_11comp_targetILNS1_3genE2ELNS1_11target_archE906ELNS1_3gpuE6ELNS1_3repE0EEENS1_30default_config_static_selectorELNS0_4arch9wavefront6targetE0EEEvT1_.has_indirect_call, 0
	.section	.AMDGPU.csdata,"",@progbits
; Kernel info:
; codeLenInByte = 0
; TotalNumSgprs: 0
; NumVgprs: 0
; ScratchSize: 0
; MemoryBound: 0
; FloatMode: 240
; IeeeMode: 1
; LDSByteSize: 0 bytes/workgroup (compile time only)
; SGPRBlocks: 0
; VGPRBlocks: 0
; NumSGPRsForWavesPerEU: 1
; NumVGPRsForWavesPerEU: 1
; Occupancy: 16
; WaveLimiterHint : 0
; COMPUTE_PGM_RSRC2:SCRATCH_EN: 0
; COMPUTE_PGM_RSRC2:USER_SGPR: 6
; COMPUTE_PGM_RSRC2:TRAP_HANDLER: 0
; COMPUTE_PGM_RSRC2:TGID_X_EN: 1
; COMPUTE_PGM_RSRC2:TGID_Y_EN: 0
; COMPUTE_PGM_RSRC2:TGID_Z_EN: 0
; COMPUTE_PGM_RSRC2:TIDIG_COMP_CNT: 0
	.section	.text._ZN7rocprim17ROCPRIM_400000_NS6detail17trampoline_kernelINS0_14default_configENS1_27scan_by_key_config_selectorIxxEEZZNS1_16scan_by_key_implILNS1_25lookback_scan_determinismE0ELb1ES3_N6thrust23THRUST_200600_302600_NS6detail15normal_iteratorINS9_10device_ptrIxEEEESE_SE_xNS9_4plusIvEENS9_8equal_toIvEExEE10hipError_tPvRmT2_T3_T4_T5_mT6_T7_P12ihipStream_tbENKUlT_T0_E_clISt17integral_constantIbLb0EESZ_EEDaSU_SV_EUlSU_E_NS1_11comp_targetILNS1_3genE10ELNS1_11target_archE1200ELNS1_3gpuE4ELNS1_3repE0EEENS1_30default_config_static_selectorELNS0_4arch9wavefront6targetE0EEEvT1_,"axG",@progbits,_ZN7rocprim17ROCPRIM_400000_NS6detail17trampoline_kernelINS0_14default_configENS1_27scan_by_key_config_selectorIxxEEZZNS1_16scan_by_key_implILNS1_25lookback_scan_determinismE0ELb1ES3_N6thrust23THRUST_200600_302600_NS6detail15normal_iteratorINS9_10device_ptrIxEEEESE_SE_xNS9_4plusIvEENS9_8equal_toIvEExEE10hipError_tPvRmT2_T3_T4_T5_mT6_T7_P12ihipStream_tbENKUlT_T0_E_clISt17integral_constantIbLb0EESZ_EEDaSU_SV_EUlSU_E_NS1_11comp_targetILNS1_3genE10ELNS1_11target_archE1200ELNS1_3gpuE4ELNS1_3repE0EEENS1_30default_config_static_selectorELNS0_4arch9wavefront6targetE0EEEvT1_,comdat
	.protected	_ZN7rocprim17ROCPRIM_400000_NS6detail17trampoline_kernelINS0_14default_configENS1_27scan_by_key_config_selectorIxxEEZZNS1_16scan_by_key_implILNS1_25lookback_scan_determinismE0ELb1ES3_N6thrust23THRUST_200600_302600_NS6detail15normal_iteratorINS9_10device_ptrIxEEEESE_SE_xNS9_4plusIvEENS9_8equal_toIvEExEE10hipError_tPvRmT2_T3_T4_T5_mT6_T7_P12ihipStream_tbENKUlT_T0_E_clISt17integral_constantIbLb0EESZ_EEDaSU_SV_EUlSU_E_NS1_11comp_targetILNS1_3genE10ELNS1_11target_archE1200ELNS1_3gpuE4ELNS1_3repE0EEENS1_30default_config_static_selectorELNS0_4arch9wavefront6targetE0EEEvT1_ ; -- Begin function _ZN7rocprim17ROCPRIM_400000_NS6detail17trampoline_kernelINS0_14default_configENS1_27scan_by_key_config_selectorIxxEEZZNS1_16scan_by_key_implILNS1_25lookback_scan_determinismE0ELb1ES3_N6thrust23THRUST_200600_302600_NS6detail15normal_iteratorINS9_10device_ptrIxEEEESE_SE_xNS9_4plusIvEENS9_8equal_toIvEExEE10hipError_tPvRmT2_T3_T4_T5_mT6_T7_P12ihipStream_tbENKUlT_T0_E_clISt17integral_constantIbLb0EESZ_EEDaSU_SV_EUlSU_E_NS1_11comp_targetILNS1_3genE10ELNS1_11target_archE1200ELNS1_3gpuE4ELNS1_3repE0EEENS1_30default_config_static_selectorELNS0_4arch9wavefront6targetE0EEEvT1_
	.globl	_ZN7rocprim17ROCPRIM_400000_NS6detail17trampoline_kernelINS0_14default_configENS1_27scan_by_key_config_selectorIxxEEZZNS1_16scan_by_key_implILNS1_25lookback_scan_determinismE0ELb1ES3_N6thrust23THRUST_200600_302600_NS6detail15normal_iteratorINS9_10device_ptrIxEEEESE_SE_xNS9_4plusIvEENS9_8equal_toIvEExEE10hipError_tPvRmT2_T3_T4_T5_mT6_T7_P12ihipStream_tbENKUlT_T0_E_clISt17integral_constantIbLb0EESZ_EEDaSU_SV_EUlSU_E_NS1_11comp_targetILNS1_3genE10ELNS1_11target_archE1200ELNS1_3gpuE4ELNS1_3repE0EEENS1_30default_config_static_selectorELNS0_4arch9wavefront6targetE0EEEvT1_
	.p2align	8
	.type	_ZN7rocprim17ROCPRIM_400000_NS6detail17trampoline_kernelINS0_14default_configENS1_27scan_by_key_config_selectorIxxEEZZNS1_16scan_by_key_implILNS1_25lookback_scan_determinismE0ELb1ES3_N6thrust23THRUST_200600_302600_NS6detail15normal_iteratorINS9_10device_ptrIxEEEESE_SE_xNS9_4plusIvEENS9_8equal_toIvEExEE10hipError_tPvRmT2_T3_T4_T5_mT6_T7_P12ihipStream_tbENKUlT_T0_E_clISt17integral_constantIbLb0EESZ_EEDaSU_SV_EUlSU_E_NS1_11comp_targetILNS1_3genE10ELNS1_11target_archE1200ELNS1_3gpuE4ELNS1_3repE0EEENS1_30default_config_static_selectorELNS0_4arch9wavefront6targetE0EEEvT1_,@function
_ZN7rocprim17ROCPRIM_400000_NS6detail17trampoline_kernelINS0_14default_configENS1_27scan_by_key_config_selectorIxxEEZZNS1_16scan_by_key_implILNS1_25lookback_scan_determinismE0ELb1ES3_N6thrust23THRUST_200600_302600_NS6detail15normal_iteratorINS9_10device_ptrIxEEEESE_SE_xNS9_4plusIvEENS9_8equal_toIvEExEE10hipError_tPvRmT2_T3_T4_T5_mT6_T7_P12ihipStream_tbENKUlT_T0_E_clISt17integral_constantIbLb0EESZ_EEDaSU_SV_EUlSU_E_NS1_11comp_targetILNS1_3genE10ELNS1_11target_archE1200ELNS1_3gpuE4ELNS1_3repE0EEENS1_30default_config_static_selectorELNS0_4arch9wavefront6targetE0EEEvT1_: ; @_ZN7rocprim17ROCPRIM_400000_NS6detail17trampoline_kernelINS0_14default_configENS1_27scan_by_key_config_selectorIxxEEZZNS1_16scan_by_key_implILNS1_25lookback_scan_determinismE0ELb1ES3_N6thrust23THRUST_200600_302600_NS6detail15normal_iteratorINS9_10device_ptrIxEEEESE_SE_xNS9_4plusIvEENS9_8equal_toIvEExEE10hipError_tPvRmT2_T3_T4_T5_mT6_T7_P12ihipStream_tbENKUlT_T0_E_clISt17integral_constantIbLb0EESZ_EEDaSU_SV_EUlSU_E_NS1_11comp_targetILNS1_3genE10ELNS1_11target_archE1200ELNS1_3gpuE4ELNS1_3repE0EEENS1_30default_config_static_selectorELNS0_4arch9wavefront6targetE0EEEvT1_
; %bb.0:
	.section	.rodata,"a",@progbits
	.p2align	6, 0x0
	.amdhsa_kernel _ZN7rocprim17ROCPRIM_400000_NS6detail17trampoline_kernelINS0_14default_configENS1_27scan_by_key_config_selectorIxxEEZZNS1_16scan_by_key_implILNS1_25lookback_scan_determinismE0ELb1ES3_N6thrust23THRUST_200600_302600_NS6detail15normal_iteratorINS9_10device_ptrIxEEEESE_SE_xNS9_4plusIvEENS9_8equal_toIvEExEE10hipError_tPvRmT2_T3_T4_T5_mT6_T7_P12ihipStream_tbENKUlT_T0_E_clISt17integral_constantIbLb0EESZ_EEDaSU_SV_EUlSU_E_NS1_11comp_targetILNS1_3genE10ELNS1_11target_archE1200ELNS1_3gpuE4ELNS1_3repE0EEENS1_30default_config_static_selectorELNS0_4arch9wavefront6targetE0EEEvT1_
		.amdhsa_group_segment_fixed_size 0
		.amdhsa_private_segment_fixed_size 0
		.amdhsa_kernarg_size 136
		.amdhsa_user_sgpr_count 6
		.amdhsa_user_sgpr_private_segment_buffer 1
		.amdhsa_user_sgpr_dispatch_ptr 0
		.amdhsa_user_sgpr_queue_ptr 0
		.amdhsa_user_sgpr_kernarg_segment_ptr 1
		.amdhsa_user_sgpr_dispatch_id 0
		.amdhsa_user_sgpr_flat_scratch_init 0
		.amdhsa_user_sgpr_private_segment_size 0
		.amdhsa_wavefront_size32 1
		.amdhsa_uses_dynamic_stack 0
		.amdhsa_system_sgpr_private_segment_wavefront_offset 0
		.amdhsa_system_sgpr_workgroup_id_x 1
		.amdhsa_system_sgpr_workgroup_id_y 0
		.amdhsa_system_sgpr_workgroup_id_z 0
		.amdhsa_system_sgpr_workgroup_info 0
		.amdhsa_system_vgpr_workitem_id 0
		.amdhsa_next_free_vgpr 1
		.amdhsa_next_free_sgpr 1
		.amdhsa_reserve_vcc 0
		.amdhsa_reserve_flat_scratch 0
		.amdhsa_float_round_mode_32 0
		.amdhsa_float_round_mode_16_64 0
		.amdhsa_float_denorm_mode_32 3
		.amdhsa_float_denorm_mode_16_64 3
		.amdhsa_dx10_clamp 1
		.amdhsa_ieee_mode 1
		.amdhsa_fp16_overflow 0
		.amdhsa_workgroup_processor_mode 1
		.amdhsa_memory_ordered 1
		.amdhsa_forward_progress 1
		.amdhsa_shared_vgpr_count 0
		.amdhsa_exception_fp_ieee_invalid_op 0
		.amdhsa_exception_fp_denorm_src 0
		.amdhsa_exception_fp_ieee_div_zero 0
		.amdhsa_exception_fp_ieee_overflow 0
		.amdhsa_exception_fp_ieee_underflow 0
		.amdhsa_exception_fp_ieee_inexact 0
		.amdhsa_exception_int_div_zero 0
	.end_amdhsa_kernel
	.section	.text._ZN7rocprim17ROCPRIM_400000_NS6detail17trampoline_kernelINS0_14default_configENS1_27scan_by_key_config_selectorIxxEEZZNS1_16scan_by_key_implILNS1_25lookback_scan_determinismE0ELb1ES3_N6thrust23THRUST_200600_302600_NS6detail15normal_iteratorINS9_10device_ptrIxEEEESE_SE_xNS9_4plusIvEENS9_8equal_toIvEExEE10hipError_tPvRmT2_T3_T4_T5_mT6_T7_P12ihipStream_tbENKUlT_T0_E_clISt17integral_constantIbLb0EESZ_EEDaSU_SV_EUlSU_E_NS1_11comp_targetILNS1_3genE10ELNS1_11target_archE1200ELNS1_3gpuE4ELNS1_3repE0EEENS1_30default_config_static_selectorELNS0_4arch9wavefront6targetE0EEEvT1_,"axG",@progbits,_ZN7rocprim17ROCPRIM_400000_NS6detail17trampoline_kernelINS0_14default_configENS1_27scan_by_key_config_selectorIxxEEZZNS1_16scan_by_key_implILNS1_25lookback_scan_determinismE0ELb1ES3_N6thrust23THRUST_200600_302600_NS6detail15normal_iteratorINS9_10device_ptrIxEEEESE_SE_xNS9_4plusIvEENS9_8equal_toIvEExEE10hipError_tPvRmT2_T3_T4_T5_mT6_T7_P12ihipStream_tbENKUlT_T0_E_clISt17integral_constantIbLb0EESZ_EEDaSU_SV_EUlSU_E_NS1_11comp_targetILNS1_3genE10ELNS1_11target_archE1200ELNS1_3gpuE4ELNS1_3repE0EEENS1_30default_config_static_selectorELNS0_4arch9wavefront6targetE0EEEvT1_,comdat
.Lfunc_end359:
	.size	_ZN7rocprim17ROCPRIM_400000_NS6detail17trampoline_kernelINS0_14default_configENS1_27scan_by_key_config_selectorIxxEEZZNS1_16scan_by_key_implILNS1_25lookback_scan_determinismE0ELb1ES3_N6thrust23THRUST_200600_302600_NS6detail15normal_iteratorINS9_10device_ptrIxEEEESE_SE_xNS9_4plusIvEENS9_8equal_toIvEExEE10hipError_tPvRmT2_T3_T4_T5_mT6_T7_P12ihipStream_tbENKUlT_T0_E_clISt17integral_constantIbLb0EESZ_EEDaSU_SV_EUlSU_E_NS1_11comp_targetILNS1_3genE10ELNS1_11target_archE1200ELNS1_3gpuE4ELNS1_3repE0EEENS1_30default_config_static_selectorELNS0_4arch9wavefront6targetE0EEEvT1_, .Lfunc_end359-_ZN7rocprim17ROCPRIM_400000_NS6detail17trampoline_kernelINS0_14default_configENS1_27scan_by_key_config_selectorIxxEEZZNS1_16scan_by_key_implILNS1_25lookback_scan_determinismE0ELb1ES3_N6thrust23THRUST_200600_302600_NS6detail15normal_iteratorINS9_10device_ptrIxEEEESE_SE_xNS9_4plusIvEENS9_8equal_toIvEExEE10hipError_tPvRmT2_T3_T4_T5_mT6_T7_P12ihipStream_tbENKUlT_T0_E_clISt17integral_constantIbLb0EESZ_EEDaSU_SV_EUlSU_E_NS1_11comp_targetILNS1_3genE10ELNS1_11target_archE1200ELNS1_3gpuE4ELNS1_3repE0EEENS1_30default_config_static_selectorELNS0_4arch9wavefront6targetE0EEEvT1_
                                        ; -- End function
	.set _ZN7rocprim17ROCPRIM_400000_NS6detail17trampoline_kernelINS0_14default_configENS1_27scan_by_key_config_selectorIxxEEZZNS1_16scan_by_key_implILNS1_25lookback_scan_determinismE0ELb1ES3_N6thrust23THRUST_200600_302600_NS6detail15normal_iteratorINS9_10device_ptrIxEEEESE_SE_xNS9_4plusIvEENS9_8equal_toIvEExEE10hipError_tPvRmT2_T3_T4_T5_mT6_T7_P12ihipStream_tbENKUlT_T0_E_clISt17integral_constantIbLb0EESZ_EEDaSU_SV_EUlSU_E_NS1_11comp_targetILNS1_3genE10ELNS1_11target_archE1200ELNS1_3gpuE4ELNS1_3repE0EEENS1_30default_config_static_selectorELNS0_4arch9wavefront6targetE0EEEvT1_.num_vgpr, 0
	.set _ZN7rocprim17ROCPRIM_400000_NS6detail17trampoline_kernelINS0_14default_configENS1_27scan_by_key_config_selectorIxxEEZZNS1_16scan_by_key_implILNS1_25lookback_scan_determinismE0ELb1ES3_N6thrust23THRUST_200600_302600_NS6detail15normal_iteratorINS9_10device_ptrIxEEEESE_SE_xNS9_4plusIvEENS9_8equal_toIvEExEE10hipError_tPvRmT2_T3_T4_T5_mT6_T7_P12ihipStream_tbENKUlT_T0_E_clISt17integral_constantIbLb0EESZ_EEDaSU_SV_EUlSU_E_NS1_11comp_targetILNS1_3genE10ELNS1_11target_archE1200ELNS1_3gpuE4ELNS1_3repE0EEENS1_30default_config_static_selectorELNS0_4arch9wavefront6targetE0EEEvT1_.num_agpr, 0
	.set _ZN7rocprim17ROCPRIM_400000_NS6detail17trampoline_kernelINS0_14default_configENS1_27scan_by_key_config_selectorIxxEEZZNS1_16scan_by_key_implILNS1_25lookback_scan_determinismE0ELb1ES3_N6thrust23THRUST_200600_302600_NS6detail15normal_iteratorINS9_10device_ptrIxEEEESE_SE_xNS9_4plusIvEENS9_8equal_toIvEExEE10hipError_tPvRmT2_T3_T4_T5_mT6_T7_P12ihipStream_tbENKUlT_T0_E_clISt17integral_constantIbLb0EESZ_EEDaSU_SV_EUlSU_E_NS1_11comp_targetILNS1_3genE10ELNS1_11target_archE1200ELNS1_3gpuE4ELNS1_3repE0EEENS1_30default_config_static_selectorELNS0_4arch9wavefront6targetE0EEEvT1_.numbered_sgpr, 0
	.set _ZN7rocprim17ROCPRIM_400000_NS6detail17trampoline_kernelINS0_14default_configENS1_27scan_by_key_config_selectorIxxEEZZNS1_16scan_by_key_implILNS1_25lookback_scan_determinismE0ELb1ES3_N6thrust23THRUST_200600_302600_NS6detail15normal_iteratorINS9_10device_ptrIxEEEESE_SE_xNS9_4plusIvEENS9_8equal_toIvEExEE10hipError_tPvRmT2_T3_T4_T5_mT6_T7_P12ihipStream_tbENKUlT_T0_E_clISt17integral_constantIbLb0EESZ_EEDaSU_SV_EUlSU_E_NS1_11comp_targetILNS1_3genE10ELNS1_11target_archE1200ELNS1_3gpuE4ELNS1_3repE0EEENS1_30default_config_static_selectorELNS0_4arch9wavefront6targetE0EEEvT1_.num_named_barrier, 0
	.set _ZN7rocprim17ROCPRIM_400000_NS6detail17trampoline_kernelINS0_14default_configENS1_27scan_by_key_config_selectorIxxEEZZNS1_16scan_by_key_implILNS1_25lookback_scan_determinismE0ELb1ES3_N6thrust23THRUST_200600_302600_NS6detail15normal_iteratorINS9_10device_ptrIxEEEESE_SE_xNS9_4plusIvEENS9_8equal_toIvEExEE10hipError_tPvRmT2_T3_T4_T5_mT6_T7_P12ihipStream_tbENKUlT_T0_E_clISt17integral_constantIbLb0EESZ_EEDaSU_SV_EUlSU_E_NS1_11comp_targetILNS1_3genE10ELNS1_11target_archE1200ELNS1_3gpuE4ELNS1_3repE0EEENS1_30default_config_static_selectorELNS0_4arch9wavefront6targetE0EEEvT1_.private_seg_size, 0
	.set _ZN7rocprim17ROCPRIM_400000_NS6detail17trampoline_kernelINS0_14default_configENS1_27scan_by_key_config_selectorIxxEEZZNS1_16scan_by_key_implILNS1_25lookback_scan_determinismE0ELb1ES3_N6thrust23THRUST_200600_302600_NS6detail15normal_iteratorINS9_10device_ptrIxEEEESE_SE_xNS9_4plusIvEENS9_8equal_toIvEExEE10hipError_tPvRmT2_T3_T4_T5_mT6_T7_P12ihipStream_tbENKUlT_T0_E_clISt17integral_constantIbLb0EESZ_EEDaSU_SV_EUlSU_E_NS1_11comp_targetILNS1_3genE10ELNS1_11target_archE1200ELNS1_3gpuE4ELNS1_3repE0EEENS1_30default_config_static_selectorELNS0_4arch9wavefront6targetE0EEEvT1_.uses_vcc, 0
	.set _ZN7rocprim17ROCPRIM_400000_NS6detail17trampoline_kernelINS0_14default_configENS1_27scan_by_key_config_selectorIxxEEZZNS1_16scan_by_key_implILNS1_25lookback_scan_determinismE0ELb1ES3_N6thrust23THRUST_200600_302600_NS6detail15normal_iteratorINS9_10device_ptrIxEEEESE_SE_xNS9_4plusIvEENS9_8equal_toIvEExEE10hipError_tPvRmT2_T3_T4_T5_mT6_T7_P12ihipStream_tbENKUlT_T0_E_clISt17integral_constantIbLb0EESZ_EEDaSU_SV_EUlSU_E_NS1_11comp_targetILNS1_3genE10ELNS1_11target_archE1200ELNS1_3gpuE4ELNS1_3repE0EEENS1_30default_config_static_selectorELNS0_4arch9wavefront6targetE0EEEvT1_.uses_flat_scratch, 0
	.set _ZN7rocprim17ROCPRIM_400000_NS6detail17trampoline_kernelINS0_14default_configENS1_27scan_by_key_config_selectorIxxEEZZNS1_16scan_by_key_implILNS1_25lookback_scan_determinismE0ELb1ES3_N6thrust23THRUST_200600_302600_NS6detail15normal_iteratorINS9_10device_ptrIxEEEESE_SE_xNS9_4plusIvEENS9_8equal_toIvEExEE10hipError_tPvRmT2_T3_T4_T5_mT6_T7_P12ihipStream_tbENKUlT_T0_E_clISt17integral_constantIbLb0EESZ_EEDaSU_SV_EUlSU_E_NS1_11comp_targetILNS1_3genE10ELNS1_11target_archE1200ELNS1_3gpuE4ELNS1_3repE0EEENS1_30default_config_static_selectorELNS0_4arch9wavefront6targetE0EEEvT1_.has_dyn_sized_stack, 0
	.set _ZN7rocprim17ROCPRIM_400000_NS6detail17trampoline_kernelINS0_14default_configENS1_27scan_by_key_config_selectorIxxEEZZNS1_16scan_by_key_implILNS1_25lookback_scan_determinismE0ELb1ES3_N6thrust23THRUST_200600_302600_NS6detail15normal_iteratorINS9_10device_ptrIxEEEESE_SE_xNS9_4plusIvEENS9_8equal_toIvEExEE10hipError_tPvRmT2_T3_T4_T5_mT6_T7_P12ihipStream_tbENKUlT_T0_E_clISt17integral_constantIbLb0EESZ_EEDaSU_SV_EUlSU_E_NS1_11comp_targetILNS1_3genE10ELNS1_11target_archE1200ELNS1_3gpuE4ELNS1_3repE0EEENS1_30default_config_static_selectorELNS0_4arch9wavefront6targetE0EEEvT1_.has_recursion, 0
	.set _ZN7rocprim17ROCPRIM_400000_NS6detail17trampoline_kernelINS0_14default_configENS1_27scan_by_key_config_selectorIxxEEZZNS1_16scan_by_key_implILNS1_25lookback_scan_determinismE0ELb1ES3_N6thrust23THRUST_200600_302600_NS6detail15normal_iteratorINS9_10device_ptrIxEEEESE_SE_xNS9_4plusIvEENS9_8equal_toIvEExEE10hipError_tPvRmT2_T3_T4_T5_mT6_T7_P12ihipStream_tbENKUlT_T0_E_clISt17integral_constantIbLb0EESZ_EEDaSU_SV_EUlSU_E_NS1_11comp_targetILNS1_3genE10ELNS1_11target_archE1200ELNS1_3gpuE4ELNS1_3repE0EEENS1_30default_config_static_selectorELNS0_4arch9wavefront6targetE0EEEvT1_.has_indirect_call, 0
	.section	.AMDGPU.csdata,"",@progbits
; Kernel info:
; codeLenInByte = 0
; TotalNumSgprs: 0
; NumVgprs: 0
; ScratchSize: 0
; MemoryBound: 0
; FloatMode: 240
; IeeeMode: 1
; LDSByteSize: 0 bytes/workgroup (compile time only)
; SGPRBlocks: 0
; VGPRBlocks: 0
; NumSGPRsForWavesPerEU: 1
; NumVGPRsForWavesPerEU: 1
; Occupancy: 16
; WaveLimiterHint : 0
; COMPUTE_PGM_RSRC2:SCRATCH_EN: 0
; COMPUTE_PGM_RSRC2:USER_SGPR: 6
; COMPUTE_PGM_RSRC2:TRAP_HANDLER: 0
; COMPUTE_PGM_RSRC2:TGID_X_EN: 1
; COMPUTE_PGM_RSRC2:TGID_Y_EN: 0
; COMPUTE_PGM_RSRC2:TGID_Z_EN: 0
; COMPUTE_PGM_RSRC2:TIDIG_COMP_CNT: 0
	.section	.text._ZN7rocprim17ROCPRIM_400000_NS6detail17trampoline_kernelINS0_14default_configENS1_27scan_by_key_config_selectorIxxEEZZNS1_16scan_by_key_implILNS1_25lookback_scan_determinismE0ELb1ES3_N6thrust23THRUST_200600_302600_NS6detail15normal_iteratorINS9_10device_ptrIxEEEESE_SE_xNS9_4plusIvEENS9_8equal_toIvEExEE10hipError_tPvRmT2_T3_T4_T5_mT6_T7_P12ihipStream_tbENKUlT_T0_E_clISt17integral_constantIbLb0EESZ_EEDaSU_SV_EUlSU_E_NS1_11comp_targetILNS1_3genE9ELNS1_11target_archE1100ELNS1_3gpuE3ELNS1_3repE0EEENS1_30default_config_static_selectorELNS0_4arch9wavefront6targetE0EEEvT1_,"axG",@progbits,_ZN7rocprim17ROCPRIM_400000_NS6detail17trampoline_kernelINS0_14default_configENS1_27scan_by_key_config_selectorIxxEEZZNS1_16scan_by_key_implILNS1_25lookback_scan_determinismE0ELb1ES3_N6thrust23THRUST_200600_302600_NS6detail15normal_iteratorINS9_10device_ptrIxEEEESE_SE_xNS9_4plusIvEENS9_8equal_toIvEExEE10hipError_tPvRmT2_T3_T4_T5_mT6_T7_P12ihipStream_tbENKUlT_T0_E_clISt17integral_constantIbLb0EESZ_EEDaSU_SV_EUlSU_E_NS1_11comp_targetILNS1_3genE9ELNS1_11target_archE1100ELNS1_3gpuE3ELNS1_3repE0EEENS1_30default_config_static_selectorELNS0_4arch9wavefront6targetE0EEEvT1_,comdat
	.protected	_ZN7rocprim17ROCPRIM_400000_NS6detail17trampoline_kernelINS0_14default_configENS1_27scan_by_key_config_selectorIxxEEZZNS1_16scan_by_key_implILNS1_25lookback_scan_determinismE0ELb1ES3_N6thrust23THRUST_200600_302600_NS6detail15normal_iteratorINS9_10device_ptrIxEEEESE_SE_xNS9_4plusIvEENS9_8equal_toIvEExEE10hipError_tPvRmT2_T3_T4_T5_mT6_T7_P12ihipStream_tbENKUlT_T0_E_clISt17integral_constantIbLb0EESZ_EEDaSU_SV_EUlSU_E_NS1_11comp_targetILNS1_3genE9ELNS1_11target_archE1100ELNS1_3gpuE3ELNS1_3repE0EEENS1_30default_config_static_selectorELNS0_4arch9wavefront6targetE0EEEvT1_ ; -- Begin function _ZN7rocprim17ROCPRIM_400000_NS6detail17trampoline_kernelINS0_14default_configENS1_27scan_by_key_config_selectorIxxEEZZNS1_16scan_by_key_implILNS1_25lookback_scan_determinismE0ELb1ES3_N6thrust23THRUST_200600_302600_NS6detail15normal_iteratorINS9_10device_ptrIxEEEESE_SE_xNS9_4plusIvEENS9_8equal_toIvEExEE10hipError_tPvRmT2_T3_T4_T5_mT6_T7_P12ihipStream_tbENKUlT_T0_E_clISt17integral_constantIbLb0EESZ_EEDaSU_SV_EUlSU_E_NS1_11comp_targetILNS1_3genE9ELNS1_11target_archE1100ELNS1_3gpuE3ELNS1_3repE0EEENS1_30default_config_static_selectorELNS0_4arch9wavefront6targetE0EEEvT1_
	.globl	_ZN7rocprim17ROCPRIM_400000_NS6detail17trampoline_kernelINS0_14default_configENS1_27scan_by_key_config_selectorIxxEEZZNS1_16scan_by_key_implILNS1_25lookback_scan_determinismE0ELb1ES3_N6thrust23THRUST_200600_302600_NS6detail15normal_iteratorINS9_10device_ptrIxEEEESE_SE_xNS9_4plusIvEENS9_8equal_toIvEExEE10hipError_tPvRmT2_T3_T4_T5_mT6_T7_P12ihipStream_tbENKUlT_T0_E_clISt17integral_constantIbLb0EESZ_EEDaSU_SV_EUlSU_E_NS1_11comp_targetILNS1_3genE9ELNS1_11target_archE1100ELNS1_3gpuE3ELNS1_3repE0EEENS1_30default_config_static_selectorELNS0_4arch9wavefront6targetE0EEEvT1_
	.p2align	8
	.type	_ZN7rocprim17ROCPRIM_400000_NS6detail17trampoline_kernelINS0_14default_configENS1_27scan_by_key_config_selectorIxxEEZZNS1_16scan_by_key_implILNS1_25lookback_scan_determinismE0ELb1ES3_N6thrust23THRUST_200600_302600_NS6detail15normal_iteratorINS9_10device_ptrIxEEEESE_SE_xNS9_4plusIvEENS9_8equal_toIvEExEE10hipError_tPvRmT2_T3_T4_T5_mT6_T7_P12ihipStream_tbENKUlT_T0_E_clISt17integral_constantIbLb0EESZ_EEDaSU_SV_EUlSU_E_NS1_11comp_targetILNS1_3genE9ELNS1_11target_archE1100ELNS1_3gpuE3ELNS1_3repE0EEENS1_30default_config_static_selectorELNS0_4arch9wavefront6targetE0EEEvT1_,@function
_ZN7rocprim17ROCPRIM_400000_NS6detail17trampoline_kernelINS0_14default_configENS1_27scan_by_key_config_selectorIxxEEZZNS1_16scan_by_key_implILNS1_25lookback_scan_determinismE0ELb1ES3_N6thrust23THRUST_200600_302600_NS6detail15normal_iteratorINS9_10device_ptrIxEEEESE_SE_xNS9_4plusIvEENS9_8equal_toIvEExEE10hipError_tPvRmT2_T3_T4_T5_mT6_T7_P12ihipStream_tbENKUlT_T0_E_clISt17integral_constantIbLb0EESZ_EEDaSU_SV_EUlSU_E_NS1_11comp_targetILNS1_3genE9ELNS1_11target_archE1100ELNS1_3gpuE3ELNS1_3repE0EEENS1_30default_config_static_selectorELNS0_4arch9wavefront6targetE0EEEvT1_: ; @_ZN7rocprim17ROCPRIM_400000_NS6detail17trampoline_kernelINS0_14default_configENS1_27scan_by_key_config_selectorIxxEEZZNS1_16scan_by_key_implILNS1_25lookback_scan_determinismE0ELb1ES3_N6thrust23THRUST_200600_302600_NS6detail15normal_iteratorINS9_10device_ptrIxEEEESE_SE_xNS9_4plusIvEENS9_8equal_toIvEExEE10hipError_tPvRmT2_T3_T4_T5_mT6_T7_P12ihipStream_tbENKUlT_T0_E_clISt17integral_constantIbLb0EESZ_EEDaSU_SV_EUlSU_E_NS1_11comp_targetILNS1_3genE9ELNS1_11target_archE1100ELNS1_3gpuE3ELNS1_3repE0EEENS1_30default_config_static_selectorELNS0_4arch9wavefront6targetE0EEEvT1_
; %bb.0:
	.section	.rodata,"a",@progbits
	.p2align	6, 0x0
	.amdhsa_kernel _ZN7rocprim17ROCPRIM_400000_NS6detail17trampoline_kernelINS0_14default_configENS1_27scan_by_key_config_selectorIxxEEZZNS1_16scan_by_key_implILNS1_25lookback_scan_determinismE0ELb1ES3_N6thrust23THRUST_200600_302600_NS6detail15normal_iteratorINS9_10device_ptrIxEEEESE_SE_xNS9_4plusIvEENS9_8equal_toIvEExEE10hipError_tPvRmT2_T3_T4_T5_mT6_T7_P12ihipStream_tbENKUlT_T0_E_clISt17integral_constantIbLb0EESZ_EEDaSU_SV_EUlSU_E_NS1_11comp_targetILNS1_3genE9ELNS1_11target_archE1100ELNS1_3gpuE3ELNS1_3repE0EEENS1_30default_config_static_selectorELNS0_4arch9wavefront6targetE0EEEvT1_
		.amdhsa_group_segment_fixed_size 0
		.amdhsa_private_segment_fixed_size 0
		.amdhsa_kernarg_size 136
		.amdhsa_user_sgpr_count 6
		.amdhsa_user_sgpr_private_segment_buffer 1
		.amdhsa_user_sgpr_dispatch_ptr 0
		.amdhsa_user_sgpr_queue_ptr 0
		.amdhsa_user_sgpr_kernarg_segment_ptr 1
		.amdhsa_user_sgpr_dispatch_id 0
		.amdhsa_user_sgpr_flat_scratch_init 0
		.amdhsa_user_sgpr_private_segment_size 0
		.amdhsa_wavefront_size32 1
		.amdhsa_uses_dynamic_stack 0
		.amdhsa_system_sgpr_private_segment_wavefront_offset 0
		.amdhsa_system_sgpr_workgroup_id_x 1
		.amdhsa_system_sgpr_workgroup_id_y 0
		.amdhsa_system_sgpr_workgroup_id_z 0
		.amdhsa_system_sgpr_workgroup_info 0
		.amdhsa_system_vgpr_workitem_id 0
		.amdhsa_next_free_vgpr 1
		.amdhsa_next_free_sgpr 1
		.amdhsa_reserve_vcc 0
		.amdhsa_reserve_flat_scratch 0
		.amdhsa_float_round_mode_32 0
		.amdhsa_float_round_mode_16_64 0
		.amdhsa_float_denorm_mode_32 3
		.amdhsa_float_denorm_mode_16_64 3
		.amdhsa_dx10_clamp 1
		.amdhsa_ieee_mode 1
		.amdhsa_fp16_overflow 0
		.amdhsa_workgroup_processor_mode 1
		.amdhsa_memory_ordered 1
		.amdhsa_forward_progress 1
		.amdhsa_shared_vgpr_count 0
		.amdhsa_exception_fp_ieee_invalid_op 0
		.amdhsa_exception_fp_denorm_src 0
		.amdhsa_exception_fp_ieee_div_zero 0
		.amdhsa_exception_fp_ieee_overflow 0
		.amdhsa_exception_fp_ieee_underflow 0
		.amdhsa_exception_fp_ieee_inexact 0
		.amdhsa_exception_int_div_zero 0
	.end_amdhsa_kernel
	.section	.text._ZN7rocprim17ROCPRIM_400000_NS6detail17trampoline_kernelINS0_14default_configENS1_27scan_by_key_config_selectorIxxEEZZNS1_16scan_by_key_implILNS1_25lookback_scan_determinismE0ELb1ES3_N6thrust23THRUST_200600_302600_NS6detail15normal_iteratorINS9_10device_ptrIxEEEESE_SE_xNS9_4plusIvEENS9_8equal_toIvEExEE10hipError_tPvRmT2_T3_T4_T5_mT6_T7_P12ihipStream_tbENKUlT_T0_E_clISt17integral_constantIbLb0EESZ_EEDaSU_SV_EUlSU_E_NS1_11comp_targetILNS1_3genE9ELNS1_11target_archE1100ELNS1_3gpuE3ELNS1_3repE0EEENS1_30default_config_static_selectorELNS0_4arch9wavefront6targetE0EEEvT1_,"axG",@progbits,_ZN7rocprim17ROCPRIM_400000_NS6detail17trampoline_kernelINS0_14default_configENS1_27scan_by_key_config_selectorIxxEEZZNS1_16scan_by_key_implILNS1_25lookback_scan_determinismE0ELb1ES3_N6thrust23THRUST_200600_302600_NS6detail15normal_iteratorINS9_10device_ptrIxEEEESE_SE_xNS9_4plusIvEENS9_8equal_toIvEExEE10hipError_tPvRmT2_T3_T4_T5_mT6_T7_P12ihipStream_tbENKUlT_T0_E_clISt17integral_constantIbLb0EESZ_EEDaSU_SV_EUlSU_E_NS1_11comp_targetILNS1_3genE9ELNS1_11target_archE1100ELNS1_3gpuE3ELNS1_3repE0EEENS1_30default_config_static_selectorELNS0_4arch9wavefront6targetE0EEEvT1_,comdat
.Lfunc_end360:
	.size	_ZN7rocprim17ROCPRIM_400000_NS6detail17trampoline_kernelINS0_14default_configENS1_27scan_by_key_config_selectorIxxEEZZNS1_16scan_by_key_implILNS1_25lookback_scan_determinismE0ELb1ES3_N6thrust23THRUST_200600_302600_NS6detail15normal_iteratorINS9_10device_ptrIxEEEESE_SE_xNS9_4plusIvEENS9_8equal_toIvEExEE10hipError_tPvRmT2_T3_T4_T5_mT6_T7_P12ihipStream_tbENKUlT_T0_E_clISt17integral_constantIbLb0EESZ_EEDaSU_SV_EUlSU_E_NS1_11comp_targetILNS1_3genE9ELNS1_11target_archE1100ELNS1_3gpuE3ELNS1_3repE0EEENS1_30default_config_static_selectorELNS0_4arch9wavefront6targetE0EEEvT1_, .Lfunc_end360-_ZN7rocprim17ROCPRIM_400000_NS6detail17trampoline_kernelINS0_14default_configENS1_27scan_by_key_config_selectorIxxEEZZNS1_16scan_by_key_implILNS1_25lookback_scan_determinismE0ELb1ES3_N6thrust23THRUST_200600_302600_NS6detail15normal_iteratorINS9_10device_ptrIxEEEESE_SE_xNS9_4plusIvEENS9_8equal_toIvEExEE10hipError_tPvRmT2_T3_T4_T5_mT6_T7_P12ihipStream_tbENKUlT_T0_E_clISt17integral_constantIbLb0EESZ_EEDaSU_SV_EUlSU_E_NS1_11comp_targetILNS1_3genE9ELNS1_11target_archE1100ELNS1_3gpuE3ELNS1_3repE0EEENS1_30default_config_static_selectorELNS0_4arch9wavefront6targetE0EEEvT1_
                                        ; -- End function
	.set _ZN7rocprim17ROCPRIM_400000_NS6detail17trampoline_kernelINS0_14default_configENS1_27scan_by_key_config_selectorIxxEEZZNS1_16scan_by_key_implILNS1_25lookback_scan_determinismE0ELb1ES3_N6thrust23THRUST_200600_302600_NS6detail15normal_iteratorINS9_10device_ptrIxEEEESE_SE_xNS9_4plusIvEENS9_8equal_toIvEExEE10hipError_tPvRmT2_T3_T4_T5_mT6_T7_P12ihipStream_tbENKUlT_T0_E_clISt17integral_constantIbLb0EESZ_EEDaSU_SV_EUlSU_E_NS1_11comp_targetILNS1_3genE9ELNS1_11target_archE1100ELNS1_3gpuE3ELNS1_3repE0EEENS1_30default_config_static_selectorELNS0_4arch9wavefront6targetE0EEEvT1_.num_vgpr, 0
	.set _ZN7rocprim17ROCPRIM_400000_NS6detail17trampoline_kernelINS0_14default_configENS1_27scan_by_key_config_selectorIxxEEZZNS1_16scan_by_key_implILNS1_25lookback_scan_determinismE0ELb1ES3_N6thrust23THRUST_200600_302600_NS6detail15normal_iteratorINS9_10device_ptrIxEEEESE_SE_xNS9_4plusIvEENS9_8equal_toIvEExEE10hipError_tPvRmT2_T3_T4_T5_mT6_T7_P12ihipStream_tbENKUlT_T0_E_clISt17integral_constantIbLb0EESZ_EEDaSU_SV_EUlSU_E_NS1_11comp_targetILNS1_3genE9ELNS1_11target_archE1100ELNS1_3gpuE3ELNS1_3repE0EEENS1_30default_config_static_selectorELNS0_4arch9wavefront6targetE0EEEvT1_.num_agpr, 0
	.set _ZN7rocprim17ROCPRIM_400000_NS6detail17trampoline_kernelINS0_14default_configENS1_27scan_by_key_config_selectorIxxEEZZNS1_16scan_by_key_implILNS1_25lookback_scan_determinismE0ELb1ES3_N6thrust23THRUST_200600_302600_NS6detail15normal_iteratorINS9_10device_ptrIxEEEESE_SE_xNS9_4plusIvEENS9_8equal_toIvEExEE10hipError_tPvRmT2_T3_T4_T5_mT6_T7_P12ihipStream_tbENKUlT_T0_E_clISt17integral_constantIbLb0EESZ_EEDaSU_SV_EUlSU_E_NS1_11comp_targetILNS1_3genE9ELNS1_11target_archE1100ELNS1_3gpuE3ELNS1_3repE0EEENS1_30default_config_static_selectorELNS0_4arch9wavefront6targetE0EEEvT1_.numbered_sgpr, 0
	.set _ZN7rocprim17ROCPRIM_400000_NS6detail17trampoline_kernelINS0_14default_configENS1_27scan_by_key_config_selectorIxxEEZZNS1_16scan_by_key_implILNS1_25lookback_scan_determinismE0ELb1ES3_N6thrust23THRUST_200600_302600_NS6detail15normal_iteratorINS9_10device_ptrIxEEEESE_SE_xNS9_4plusIvEENS9_8equal_toIvEExEE10hipError_tPvRmT2_T3_T4_T5_mT6_T7_P12ihipStream_tbENKUlT_T0_E_clISt17integral_constantIbLb0EESZ_EEDaSU_SV_EUlSU_E_NS1_11comp_targetILNS1_3genE9ELNS1_11target_archE1100ELNS1_3gpuE3ELNS1_3repE0EEENS1_30default_config_static_selectorELNS0_4arch9wavefront6targetE0EEEvT1_.num_named_barrier, 0
	.set _ZN7rocprim17ROCPRIM_400000_NS6detail17trampoline_kernelINS0_14default_configENS1_27scan_by_key_config_selectorIxxEEZZNS1_16scan_by_key_implILNS1_25lookback_scan_determinismE0ELb1ES3_N6thrust23THRUST_200600_302600_NS6detail15normal_iteratorINS9_10device_ptrIxEEEESE_SE_xNS9_4plusIvEENS9_8equal_toIvEExEE10hipError_tPvRmT2_T3_T4_T5_mT6_T7_P12ihipStream_tbENKUlT_T0_E_clISt17integral_constantIbLb0EESZ_EEDaSU_SV_EUlSU_E_NS1_11comp_targetILNS1_3genE9ELNS1_11target_archE1100ELNS1_3gpuE3ELNS1_3repE0EEENS1_30default_config_static_selectorELNS0_4arch9wavefront6targetE0EEEvT1_.private_seg_size, 0
	.set _ZN7rocprim17ROCPRIM_400000_NS6detail17trampoline_kernelINS0_14default_configENS1_27scan_by_key_config_selectorIxxEEZZNS1_16scan_by_key_implILNS1_25lookback_scan_determinismE0ELb1ES3_N6thrust23THRUST_200600_302600_NS6detail15normal_iteratorINS9_10device_ptrIxEEEESE_SE_xNS9_4plusIvEENS9_8equal_toIvEExEE10hipError_tPvRmT2_T3_T4_T5_mT6_T7_P12ihipStream_tbENKUlT_T0_E_clISt17integral_constantIbLb0EESZ_EEDaSU_SV_EUlSU_E_NS1_11comp_targetILNS1_3genE9ELNS1_11target_archE1100ELNS1_3gpuE3ELNS1_3repE0EEENS1_30default_config_static_selectorELNS0_4arch9wavefront6targetE0EEEvT1_.uses_vcc, 0
	.set _ZN7rocprim17ROCPRIM_400000_NS6detail17trampoline_kernelINS0_14default_configENS1_27scan_by_key_config_selectorIxxEEZZNS1_16scan_by_key_implILNS1_25lookback_scan_determinismE0ELb1ES3_N6thrust23THRUST_200600_302600_NS6detail15normal_iteratorINS9_10device_ptrIxEEEESE_SE_xNS9_4plusIvEENS9_8equal_toIvEExEE10hipError_tPvRmT2_T3_T4_T5_mT6_T7_P12ihipStream_tbENKUlT_T0_E_clISt17integral_constantIbLb0EESZ_EEDaSU_SV_EUlSU_E_NS1_11comp_targetILNS1_3genE9ELNS1_11target_archE1100ELNS1_3gpuE3ELNS1_3repE0EEENS1_30default_config_static_selectorELNS0_4arch9wavefront6targetE0EEEvT1_.uses_flat_scratch, 0
	.set _ZN7rocprim17ROCPRIM_400000_NS6detail17trampoline_kernelINS0_14default_configENS1_27scan_by_key_config_selectorIxxEEZZNS1_16scan_by_key_implILNS1_25lookback_scan_determinismE0ELb1ES3_N6thrust23THRUST_200600_302600_NS6detail15normal_iteratorINS9_10device_ptrIxEEEESE_SE_xNS9_4plusIvEENS9_8equal_toIvEExEE10hipError_tPvRmT2_T3_T4_T5_mT6_T7_P12ihipStream_tbENKUlT_T0_E_clISt17integral_constantIbLb0EESZ_EEDaSU_SV_EUlSU_E_NS1_11comp_targetILNS1_3genE9ELNS1_11target_archE1100ELNS1_3gpuE3ELNS1_3repE0EEENS1_30default_config_static_selectorELNS0_4arch9wavefront6targetE0EEEvT1_.has_dyn_sized_stack, 0
	.set _ZN7rocprim17ROCPRIM_400000_NS6detail17trampoline_kernelINS0_14default_configENS1_27scan_by_key_config_selectorIxxEEZZNS1_16scan_by_key_implILNS1_25lookback_scan_determinismE0ELb1ES3_N6thrust23THRUST_200600_302600_NS6detail15normal_iteratorINS9_10device_ptrIxEEEESE_SE_xNS9_4plusIvEENS9_8equal_toIvEExEE10hipError_tPvRmT2_T3_T4_T5_mT6_T7_P12ihipStream_tbENKUlT_T0_E_clISt17integral_constantIbLb0EESZ_EEDaSU_SV_EUlSU_E_NS1_11comp_targetILNS1_3genE9ELNS1_11target_archE1100ELNS1_3gpuE3ELNS1_3repE0EEENS1_30default_config_static_selectorELNS0_4arch9wavefront6targetE0EEEvT1_.has_recursion, 0
	.set _ZN7rocprim17ROCPRIM_400000_NS6detail17trampoline_kernelINS0_14default_configENS1_27scan_by_key_config_selectorIxxEEZZNS1_16scan_by_key_implILNS1_25lookback_scan_determinismE0ELb1ES3_N6thrust23THRUST_200600_302600_NS6detail15normal_iteratorINS9_10device_ptrIxEEEESE_SE_xNS9_4plusIvEENS9_8equal_toIvEExEE10hipError_tPvRmT2_T3_T4_T5_mT6_T7_P12ihipStream_tbENKUlT_T0_E_clISt17integral_constantIbLb0EESZ_EEDaSU_SV_EUlSU_E_NS1_11comp_targetILNS1_3genE9ELNS1_11target_archE1100ELNS1_3gpuE3ELNS1_3repE0EEENS1_30default_config_static_selectorELNS0_4arch9wavefront6targetE0EEEvT1_.has_indirect_call, 0
	.section	.AMDGPU.csdata,"",@progbits
; Kernel info:
; codeLenInByte = 0
; TotalNumSgprs: 0
; NumVgprs: 0
; ScratchSize: 0
; MemoryBound: 0
; FloatMode: 240
; IeeeMode: 1
; LDSByteSize: 0 bytes/workgroup (compile time only)
; SGPRBlocks: 0
; VGPRBlocks: 0
; NumSGPRsForWavesPerEU: 1
; NumVGPRsForWavesPerEU: 1
; Occupancy: 16
; WaveLimiterHint : 0
; COMPUTE_PGM_RSRC2:SCRATCH_EN: 0
; COMPUTE_PGM_RSRC2:USER_SGPR: 6
; COMPUTE_PGM_RSRC2:TRAP_HANDLER: 0
; COMPUTE_PGM_RSRC2:TGID_X_EN: 1
; COMPUTE_PGM_RSRC2:TGID_Y_EN: 0
; COMPUTE_PGM_RSRC2:TGID_Z_EN: 0
; COMPUTE_PGM_RSRC2:TIDIG_COMP_CNT: 0
	.section	.text._ZN7rocprim17ROCPRIM_400000_NS6detail17trampoline_kernelINS0_14default_configENS1_27scan_by_key_config_selectorIxxEEZZNS1_16scan_by_key_implILNS1_25lookback_scan_determinismE0ELb1ES3_N6thrust23THRUST_200600_302600_NS6detail15normal_iteratorINS9_10device_ptrIxEEEESE_SE_xNS9_4plusIvEENS9_8equal_toIvEExEE10hipError_tPvRmT2_T3_T4_T5_mT6_T7_P12ihipStream_tbENKUlT_T0_E_clISt17integral_constantIbLb0EESZ_EEDaSU_SV_EUlSU_E_NS1_11comp_targetILNS1_3genE8ELNS1_11target_archE1030ELNS1_3gpuE2ELNS1_3repE0EEENS1_30default_config_static_selectorELNS0_4arch9wavefront6targetE0EEEvT1_,"axG",@progbits,_ZN7rocprim17ROCPRIM_400000_NS6detail17trampoline_kernelINS0_14default_configENS1_27scan_by_key_config_selectorIxxEEZZNS1_16scan_by_key_implILNS1_25lookback_scan_determinismE0ELb1ES3_N6thrust23THRUST_200600_302600_NS6detail15normal_iteratorINS9_10device_ptrIxEEEESE_SE_xNS9_4plusIvEENS9_8equal_toIvEExEE10hipError_tPvRmT2_T3_T4_T5_mT6_T7_P12ihipStream_tbENKUlT_T0_E_clISt17integral_constantIbLb0EESZ_EEDaSU_SV_EUlSU_E_NS1_11comp_targetILNS1_3genE8ELNS1_11target_archE1030ELNS1_3gpuE2ELNS1_3repE0EEENS1_30default_config_static_selectorELNS0_4arch9wavefront6targetE0EEEvT1_,comdat
	.protected	_ZN7rocprim17ROCPRIM_400000_NS6detail17trampoline_kernelINS0_14default_configENS1_27scan_by_key_config_selectorIxxEEZZNS1_16scan_by_key_implILNS1_25lookback_scan_determinismE0ELb1ES3_N6thrust23THRUST_200600_302600_NS6detail15normal_iteratorINS9_10device_ptrIxEEEESE_SE_xNS9_4plusIvEENS9_8equal_toIvEExEE10hipError_tPvRmT2_T3_T4_T5_mT6_T7_P12ihipStream_tbENKUlT_T0_E_clISt17integral_constantIbLb0EESZ_EEDaSU_SV_EUlSU_E_NS1_11comp_targetILNS1_3genE8ELNS1_11target_archE1030ELNS1_3gpuE2ELNS1_3repE0EEENS1_30default_config_static_selectorELNS0_4arch9wavefront6targetE0EEEvT1_ ; -- Begin function _ZN7rocprim17ROCPRIM_400000_NS6detail17trampoline_kernelINS0_14default_configENS1_27scan_by_key_config_selectorIxxEEZZNS1_16scan_by_key_implILNS1_25lookback_scan_determinismE0ELb1ES3_N6thrust23THRUST_200600_302600_NS6detail15normal_iteratorINS9_10device_ptrIxEEEESE_SE_xNS9_4plusIvEENS9_8equal_toIvEExEE10hipError_tPvRmT2_T3_T4_T5_mT6_T7_P12ihipStream_tbENKUlT_T0_E_clISt17integral_constantIbLb0EESZ_EEDaSU_SV_EUlSU_E_NS1_11comp_targetILNS1_3genE8ELNS1_11target_archE1030ELNS1_3gpuE2ELNS1_3repE0EEENS1_30default_config_static_selectorELNS0_4arch9wavefront6targetE0EEEvT1_
	.globl	_ZN7rocprim17ROCPRIM_400000_NS6detail17trampoline_kernelINS0_14default_configENS1_27scan_by_key_config_selectorIxxEEZZNS1_16scan_by_key_implILNS1_25lookback_scan_determinismE0ELb1ES3_N6thrust23THRUST_200600_302600_NS6detail15normal_iteratorINS9_10device_ptrIxEEEESE_SE_xNS9_4plusIvEENS9_8equal_toIvEExEE10hipError_tPvRmT2_T3_T4_T5_mT6_T7_P12ihipStream_tbENKUlT_T0_E_clISt17integral_constantIbLb0EESZ_EEDaSU_SV_EUlSU_E_NS1_11comp_targetILNS1_3genE8ELNS1_11target_archE1030ELNS1_3gpuE2ELNS1_3repE0EEENS1_30default_config_static_selectorELNS0_4arch9wavefront6targetE0EEEvT1_
	.p2align	8
	.type	_ZN7rocprim17ROCPRIM_400000_NS6detail17trampoline_kernelINS0_14default_configENS1_27scan_by_key_config_selectorIxxEEZZNS1_16scan_by_key_implILNS1_25lookback_scan_determinismE0ELb1ES3_N6thrust23THRUST_200600_302600_NS6detail15normal_iteratorINS9_10device_ptrIxEEEESE_SE_xNS9_4plusIvEENS9_8equal_toIvEExEE10hipError_tPvRmT2_T3_T4_T5_mT6_T7_P12ihipStream_tbENKUlT_T0_E_clISt17integral_constantIbLb0EESZ_EEDaSU_SV_EUlSU_E_NS1_11comp_targetILNS1_3genE8ELNS1_11target_archE1030ELNS1_3gpuE2ELNS1_3repE0EEENS1_30default_config_static_selectorELNS0_4arch9wavefront6targetE0EEEvT1_,@function
_ZN7rocprim17ROCPRIM_400000_NS6detail17trampoline_kernelINS0_14default_configENS1_27scan_by_key_config_selectorIxxEEZZNS1_16scan_by_key_implILNS1_25lookback_scan_determinismE0ELb1ES3_N6thrust23THRUST_200600_302600_NS6detail15normal_iteratorINS9_10device_ptrIxEEEESE_SE_xNS9_4plusIvEENS9_8equal_toIvEExEE10hipError_tPvRmT2_T3_T4_T5_mT6_T7_P12ihipStream_tbENKUlT_T0_E_clISt17integral_constantIbLb0EESZ_EEDaSU_SV_EUlSU_E_NS1_11comp_targetILNS1_3genE8ELNS1_11target_archE1030ELNS1_3gpuE2ELNS1_3repE0EEENS1_30default_config_static_selectorELNS0_4arch9wavefront6targetE0EEEvT1_: ; @_ZN7rocprim17ROCPRIM_400000_NS6detail17trampoline_kernelINS0_14default_configENS1_27scan_by_key_config_selectorIxxEEZZNS1_16scan_by_key_implILNS1_25lookback_scan_determinismE0ELb1ES3_N6thrust23THRUST_200600_302600_NS6detail15normal_iteratorINS9_10device_ptrIxEEEESE_SE_xNS9_4plusIvEENS9_8equal_toIvEExEE10hipError_tPvRmT2_T3_T4_T5_mT6_T7_P12ihipStream_tbENKUlT_T0_E_clISt17integral_constantIbLb0EESZ_EEDaSU_SV_EUlSU_E_NS1_11comp_targetILNS1_3genE8ELNS1_11target_archE1030ELNS1_3gpuE2ELNS1_3repE0EEENS1_30default_config_static_selectorELNS0_4arch9wavefront6targetE0EEEvT1_
; %bb.0:
	s_clause 0x5
	s_load_dwordx8 s[12:19], s[4:5], 0x0
	s_load_dwordx2 s[38:39], s[4:5], 0x50
	s_load_dword s2, s[4:5], 0x58
	s_load_dwordx4 s[28:31], s[4:5], 0x60
	s_load_dwordx2 s[40:41], s[4:5], 0x20
	s_load_dwordx8 s[20:27], s[4:5], 0x30
	s_mov_b32 s1, 0
	s_mul_i32 s0, s6, 0xd00
	s_waitcnt lgkmcnt(0)
	s_barrier
	buffer_gl0_inv
	s_lshl_b64 s[34:35], s[14:15], 3
	s_add_u32 s5, s12, s34
	s_addc_u32 s7, s13, s35
	s_mul_i32 s3, s39, s2
	s_mul_hi_u32 s4, s38, s2
	s_add_u32 s8, s16, s34
	s_addc_u32 s9, s17, s35
	s_lshl_b64 s[36:37], s[0:1], 3
	s_add_i32 s4, s4, s3
	s_add_u32 s14, s5, s36
	s_addc_u32 s15, s7, s37
	s_mul_i32 s0, s38, s2
	s_add_u32 s16, s8, s36
	s_addc_u32 s33, s9, s37
	s_add_u32 s2, s0, s6
	s_addc_u32 s3, s4, 0
	s_add_u32 s4, s28, -1
	s_addc_u32 s5, s29, -1
	s_mul_i32 s27, s4, 0xfffff300
	v_cmp_ge_u64_e64 s17, s[2:3], s[4:5]
	s_and_b32 vcc_lo, exec_lo, s17
	s_cbranch_vccz .LBB361_41
; %bb.1:
	v_mov_b32_e32 v1, s14
	v_mov_b32_e32 v2, s15
	s_add_i32 s43, s27, s26
	v_cmp_gt_u32_e32 vcc_lo, s43, v0
	flat_load_dwordx2 v[1:2], v[1:2]
	s_waitcnt vmcnt(0) lgkmcnt(0)
	v_mov_b32_e32 v4, v2
	v_mov_b32_e32 v3, v1
	s_and_saveexec_b32 s0, vcc_lo
	s_cbranch_execz .LBB361_3
; %bb.2:
	v_lshlrev_b32_e32 v3, 3, v0
	v_add_co_u32 v3, s1, s14, v3
	v_add_co_ci_u32_e64 v4, null, s15, 0, s1
	flat_load_dwordx2 v[3:4], v[3:4]
.LBB361_3:
	s_or_b32 exec_lo, exec_lo, s0
	v_or_b32_e32 v5, 0x100, v0
	v_cmp_gt_u32_e64 s0, s43, v5
	v_lshlrev_b32_e32 v29, 3, v5
	v_mov_b32_e32 v6, v2
	v_mov_b32_e32 v5, v1
	s_and_saveexec_b32 s1, s0
	s_cbranch_execz .LBB361_5
; %bb.4:
	v_add_co_u32 v5, s2, s14, v29
	v_add_co_ci_u32_e64 v6, null, s15, 0, s2
	flat_load_dwordx2 v[5:6], v[5:6]
.LBB361_5:
	s_or_b32 exec_lo, exec_lo, s1
	v_or_b32_e32 v7, 0x200, v0
	v_cmp_gt_u32_e64 s1, s43, v7
	v_lshlrev_b32_e32 v31, 3, v7
	v_mov_b32_e32 v8, v2
	v_mov_b32_e32 v7, v1
	s_and_saveexec_b32 s2, s1
	s_cbranch_execz .LBB361_7
; %bb.6:
	v_add_co_u32 v7, s3, s14, v31
	v_add_co_ci_u32_e64 v8, null, s15, 0, s3
	flat_load_dwordx2 v[7:8], v[7:8]
.LBB361_7:
	;; [unrolled: 13-line block ×11, first 2 shown]
	s_or_b32 exec_lo, exec_lo, s12
	v_or_b32_e32 v27, 0xc00, v0
	v_cmp_gt_u32_e64 s12, s43, v27
	v_lshlrev_b32_e32 v51, 3, v27
	s_and_saveexec_b32 s13, s12
	s_cbranch_execz .LBB361_27
; %bb.26:
	v_add_co_u32 v1, s28, s14, v51
	v_add_co_ci_u32_e64 v2, null, s15, 0, s28
	flat_load_dwordx2 v[1:2], v[1:2]
.LBB361_27:
	s_or_b32 exec_lo, exec_lo, s13
	v_lshlrev_b32_e32 v52, 3, v0
	s_mov_b32 s28, exec_lo
	s_waitcnt vmcnt(0) lgkmcnt(0)
	ds_write2st64_b64 v52, v[3:4], v[5:6] offset1:4
	ds_write2st64_b64 v52, v[7:8], v[9:10] offset0:8 offset1:12
	ds_write2st64_b64 v52, v[11:12], v[13:14] offset0:16 offset1:20
	;; [unrolled: 1-line block ×5, first 2 shown]
	v_mov_b32_e32 v3, s14
	v_mov_b32_e32 v4, s15
	ds_write_b64 v52, v[1:2] offset:24576
	s_waitcnt lgkmcnt(0)
	s_barrier
	buffer_gl0_inv
	flat_load_dwordx2 v[73:74], v[3:4]
	v_mad_u32_u24 v98, 0x60, v0, v52
	ds_read_b64 v[75:76], v98
	ds_read2_b64 v[21:24], v98 offset0:1 offset1:2
	ds_read2_b64 v[17:20], v98 offset0:3 offset1:4
	;; [unrolled: 1-line block ×6, first 2 shown]
	v_mad_i32_i24 v25, 0xffffffa0, v0, v98
	s_waitcnt lgkmcnt(6)
	ds_write_b64 v25, v[75:76] offset:28672
	s_waitcnt vmcnt(0) lgkmcnt(0)
	s_barrier
	buffer_gl0_inv
	v_cmpx_ne_u32_e32 0xff, v0
; %bb.28:
	v_mul_i32_i24_e32 v25, 0xffffffa0, v0
	v_add_nc_u32_e32 v25, v98, v25
	ds_read_b64 v[73:74], v25 offset:28680
; %bb.29:
	s_or_b32 exec_lo, exec_lo, s28
	s_waitcnt lgkmcnt(0)
	s_barrier
	buffer_gl0_inv
                                        ; implicit-def: $vgpr25_vgpr26
	s_and_saveexec_b32 s13, vcc_lo
	s_cbranch_execz .LBB361_42
; %bb.30:
	v_add_co_u32 v25, s28, s16, v52
	v_add_co_ci_u32_e64 v26, null, s33, 0, s28
	flat_load_dwordx2 v[25:26], v[25:26]
	s_or_b32 exec_lo, exec_lo, s13
                                        ; implicit-def: $vgpr27_vgpr28
	s_and_saveexec_b32 s13, s0
	s_cbranch_execnz .LBB361_43
.LBB361_31:
	s_or_b32 exec_lo, exec_lo, s13
                                        ; implicit-def: $vgpr29_vgpr30
	s_and_saveexec_b32 s0, s1
	s_cbranch_execz .LBB361_44
.LBB361_32:
	v_add_co_u32 v29, s1, s16, v31
	v_add_co_ci_u32_e64 v30, null, s33, 0, s1
	flat_load_dwordx2 v[29:30], v[29:30]
	s_or_b32 exec_lo, exec_lo, s0
                                        ; implicit-def: $vgpr31_vgpr32
	s_and_saveexec_b32 s0, s2
	s_cbranch_execnz .LBB361_45
.LBB361_33:
	s_or_b32 exec_lo, exec_lo, s0
                                        ; implicit-def: $vgpr33_vgpr34
	s_and_saveexec_b32 s0, s3
	s_cbranch_execz .LBB361_46
.LBB361_34:
	v_add_co_u32 v33, s1, s16, v35
	v_add_co_ci_u32_e64 v34, null, s33, 0, s1
	flat_load_dwordx2 v[33:34], v[33:34]
	s_or_b32 exec_lo, exec_lo, s0
                                        ; implicit-def: $vgpr35_vgpr36
	s_and_saveexec_b32 s0, s4
	s_cbranch_execnz .LBB361_47
.LBB361_35:
	s_or_b32 exec_lo, exec_lo, s0
                                        ; implicit-def: $vgpr37_vgpr38
	s_and_saveexec_b32 s0, s5
	s_cbranch_execz .LBB361_48
.LBB361_36:
	v_add_co_u32 v37, s1, s16, v39
	v_add_co_ci_u32_e64 v38, null, s33, 0, s1
	flat_load_dwordx2 v[37:38], v[37:38]
	s_or_b32 exec_lo, exec_lo, s0
                                        ; implicit-def: $vgpr39_vgpr40
	s_and_saveexec_b32 s0, s7
	s_cbranch_execnz .LBB361_49
.LBB361_37:
	s_or_b32 exec_lo, exec_lo, s0
                                        ; implicit-def: $vgpr41_vgpr42
	s_and_saveexec_b32 s0, s8
	s_cbranch_execz .LBB361_50
.LBB361_38:
	v_add_co_u32 v41, s1, s16, v43
	v_add_co_ci_u32_e64 v42, null, s33, 0, s1
	flat_load_dwordx2 v[41:42], v[41:42]
	s_or_b32 exec_lo, exec_lo, s0
                                        ; implicit-def: $vgpr43_vgpr44
	s_and_saveexec_b32 s0, s9
	s_cbranch_execnz .LBB361_51
.LBB361_39:
	s_or_b32 exec_lo, exec_lo, s0
                                        ; implicit-def: $vgpr45_vgpr46
	s_and_saveexec_b32 s0, s10
	s_cbranch_execz .LBB361_52
.LBB361_40:
	v_add_co_u32 v45, s1, s16, v47
	v_add_co_ci_u32_e64 v46, null, s33, 0, s1
	flat_load_dwordx2 v[45:46], v[45:46]
	s_or_b32 exec_lo, exec_lo, s0
                                        ; implicit-def: $vgpr47_vgpr48
	s_and_saveexec_b32 s0, s11
	s_cbranch_execz .LBB361_54
	s_branch .LBB361_53
.LBB361_41:
                                        ; implicit-def: $sgpr28
                                        ; implicit-def: $vgpr49_vgpr50
                                        ; implicit-def: $vgpr89
                                        ; implicit-def: $vgpr55_vgpr56
                                        ; implicit-def: $vgpr90
                                        ; implicit-def: $vgpr67_vgpr68
                                        ; implicit-def: $vgpr91
                                        ; implicit-def: $vgpr71_vgpr72
                                        ; implicit-def: $vgpr92
                                        ; implicit-def: $vgpr65_vgpr66
                                        ; implicit-def: $vgpr93
                                        ; implicit-def: $vgpr69_vgpr70
                                        ; implicit-def: $vgpr94
                                        ; implicit-def: $vgpr61_vgpr62
                                        ; implicit-def: $vgpr95
                                        ; implicit-def: $vgpr63_vgpr64
                                        ; implicit-def: $vgpr96
                                        ; implicit-def: $vgpr59_vgpr60
                                        ; implicit-def: $vgpr97
                                        ; implicit-def: $vgpr57_vgpr58
                                        ; implicit-def: $vgpr99
                                        ; implicit-def: $vgpr53_vgpr54
                                        ; implicit-def: $vgpr100
                                        ; implicit-def: $vgpr51_vgpr52
                                        ; implicit-def: $vgpr102
                                        ; implicit-def: $vgpr39_vgpr40
                                        ; implicit-def: $vgpr77
                                        ; implicit-def: $vgpr25_vgpr26
                                        ; implicit-def: $vgpr78
                                        ; implicit-def: $vgpr29_vgpr30
                                        ; implicit-def: $vgpr79
                                        ; implicit-def: $vgpr31_vgpr32
                                        ; implicit-def: $vgpr80
                                        ; implicit-def: $vgpr33_vgpr34
                                        ; implicit-def: $vgpr81
                                        ; implicit-def: $vgpr35_vgpr36
                                        ; implicit-def: $vgpr82
                                        ; implicit-def: $vgpr37_vgpr38
                                        ; implicit-def: $vgpr84
                                        ; implicit-def: $vgpr41_vgpr42
                                        ; implicit-def: $vgpr85
                                        ; implicit-def: $vgpr43_vgpr44
                                        ; implicit-def: $vgpr86
                                        ; implicit-def: $vgpr45_vgpr46
                                        ; implicit-def: $vgpr87
                                        ; implicit-def: $vgpr47_vgpr48
                                        ; implicit-def: $vgpr88
                                        ; implicit-def: $vgpr27_vgpr28
                                        ; implicit-def: $vgpr83
	v_lshlrev_b32_e32 v75, 3, v0
	s_cbranch_execz .LBB361_88
	s_branch .LBB361_83
.LBB361_42:
	s_or_b32 exec_lo, exec_lo, s13
                                        ; implicit-def: $vgpr27_vgpr28
	s_and_saveexec_b32 s13, s0
	s_cbranch_execz .LBB361_31
.LBB361_43:
	v_add_co_u32 v27, s0, s16, v29
	v_add_co_ci_u32_e64 v28, null, s33, 0, s0
	flat_load_dwordx2 v[27:28], v[27:28]
	s_or_b32 exec_lo, exec_lo, s13
                                        ; implicit-def: $vgpr29_vgpr30
	s_and_saveexec_b32 s0, s1
	s_cbranch_execnz .LBB361_32
.LBB361_44:
	s_or_b32 exec_lo, exec_lo, s0
                                        ; implicit-def: $vgpr31_vgpr32
	s_and_saveexec_b32 s0, s2
	s_cbranch_execz .LBB361_33
.LBB361_45:
	v_add_co_u32 v31, s1, s16, v33
	v_add_co_ci_u32_e64 v32, null, s33, 0, s1
	flat_load_dwordx2 v[31:32], v[31:32]
	s_or_b32 exec_lo, exec_lo, s0
                                        ; implicit-def: $vgpr33_vgpr34
	s_and_saveexec_b32 s0, s3
	s_cbranch_execnz .LBB361_34
.LBB361_46:
	s_or_b32 exec_lo, exec_lo, s0
                                        ; implicit-def: $vgpr35_vgpr36
	s_and_saveexec_b32 s0, s4
	s_cbranch_execz .LBB361_35
.LBB361_47:
	v_add_co_u32 v35, s1, s16, v37
	v_add_co_ci_u32_e64 v36, null, s33, 0, s1
	flat_load_dwordx2 v[35:36], v[35:36]
	s_or_b32 exec_lo, exec_lo, s0
                                        ; implicit-def: $vgpr37_vgpr38
	s_and_saveexec_b32 s0, s5
	s_cbranch_execnz .LBB361_36
.LBB361_48:
	s_or_b32 exec_lo, exec_lo, s0
                                        ; implicit-def: $vgpr39_vgpr40
	s_and_saveexec_b32 s0, s7
	s_cbranch_execz .LBB361_37
.LBB361_49:
	v_add_co_u32 v39, s1, s16, v41
	v_add_co_ci_u32_e64 v40, null, s33, 0, s1
	flat_load_dwordx2 v[39:40], v[39:40]
	s_or_b32 exec_lo, exec_lo, s0
                                        ; implicit-def: $vgpr41_vgpr42
	s_and_saveexec_b32 s0, s8
	s_cbranch_execnz .LBB361_38
.LBB361_50:
	s_or_b32 exec_lo, exec_lo, s0
                                        ; implicit-def: $vgpr43_vgpr44
	s_and_saveexec_b32 s0, s9
	s_cbranch_execz .LBB361_39
.LBB361_51:
	v_add_co_u32 v43, s1, s16, v45
	v_add_co_ci_u32_e64 v44, null, s33, 0, s1
	flat_load_dwordx2 v[43:44], v[43:44]
	s_or_b32 exec_lo, exec_lo, s0
                                        ; implicit-def: $vgpr45_vgpr46
	s_and_saveexec_b32 s0, s10
	s_cbranch_execnz .LBB361_40
.LBB361_52:
	s_or_b32 exec_lo, exec_lo, s0
                                        ; implicit-def: $vgpr47_vgpr48
	s_and_saveexec_b32 s0, s11
	s_cbranch_execz .LBB361_54
.LBB361_53:
	v_add_co_u32 v47, s1, s16, v49
	v_add_co_ci_u32_e64 v48, null, s33, 0, s1
	flat_load_dwordx2 v[47:48], v[47:48]
.LBB361_54:
	s_or_b32 exec_lo, exec_lo, s0
	v_mul_u32_u24_e32 v101, 13, v0
                                        ; implicit-def: $vgpr49_vgpr50
	s_and_saveexec_b32 s0, s12
	s_cbranch_execz .LBB361_56
; %bb.55:
	v_add_co_u32 v49, s1, s16, v51
	v_add_co_ci_u32_e64 v50, null, s33, 0, s1
	flat_load_dwordx2 v[49:50], v[49:50]
.LBB361_56:
	s_or_b32 exec_lo, exec_lo, s0
	s_waitcnt vmcnt(0) lgkmcnt(0)
	ds_write2st64_b64 v52, v[25:26], v[27:28] offset1:4
	ds_write2st64_b64 v52, v[29:30], v[31:32] offset0:8 offset1:12
	ds_write2st64_b64 v52, v[33:34], v[35:36] offset0:16 offset1:20
	;; [unrolled: 1-line block ×5, first 2 shown]
	ds_write_b64 v52, v[49:50] offset:24576
	v_mov_b32_e32 v49, 0
	v_mov_b32_e32 v55, 0
	;; [unrolled: 1-line block ×24, first 2 shown]
	v_cmp_gt_u32_e32 vcc_lo, s43, v101
	v_mov_b32_e32 v89, 0
	v_mov_b32_e32 v50, 0
	;; [unrolled: 1-line block ×48, first 2 shown]
	s_mov_b32 s13, 0
	s_mov_b32 s1, 0
	s_waitcnt lgkmcnt(0)
	s_barrier
	buffer_gl0_inv
                                        ; implicit-def: $sgpr28
	s_and_saveexec_b32 s29, vcc_lo
	s_cbranch_execz .LBB361_82
; %bb.57:
	ds_read_b64 v[25:26], v98
	v_cmp_ne_u64_e32 vcc_lo, v[75:76], v[21:22]
	v_add_nc_u32_e32 v27, 1, v101
	v_mov_b32_e32 v55, 0
	v_mov_b32_e32 v67, 0
	;; [unrolled: 1-line block ×7, first 2 shown]
	v_cmp_gt_u32_e64 s0, s43, v27
	v_mov_b32_e32 v59, 0
	v_mov_b32_e32 v57, 0
	v_mov_b32_e32 v53, 0
	v_mov_b32_e32 v51, 0
	v_mov_b32_e32 v39, 0
	v_mov_b32_e32 v29, 0
	v_mov_b32_e32 v31, 0
	v_mov_b32_e32 v33, 0
	v_mov_b32_e32 v35, 0
	s_waitcnt lgkmcnt(0)
	v_cndmask_b32_e64 v50, v26, s41, vcc_lo
	v_cndmask_b32_e64 v49, v25, s40, vcc_lo
	v_mov_b32_e32 v25, 0
	v_mov_b32_e32 v37, 0
	;; [unrolled: 1-line block ×52, first 2 shown]
                                        ; implicit-def: $sgpr28
	s_and_saveexec_b32 s42, s0
	s_cbranch_execz .LBB361_81
; %bb.58:
	ds_read2_b64 v[25:28], v98 offset0:1 offset1:2
	v_cmp_ne_u64_e64 s0, v[21:22], v[23:24]
	v_add_nc_u32_e32 v21, 2, v101
	v_mov_b32_e32 v55, 0
	v_mov_b32_e32 v67, 0
	v_mov_b32_e32 v71, 0
	v_mov_b32_e32 v65, 0
	v_mov_b32_e32 v69, 0
	v_mov_b32_e32 v61, 0
	v_mov_b32_e32 v63, 0
	v_mov_b32_e32 v59, 0
	v_mov_b32_e32 v57, 0
	v_mov_b32_e32 v53, 0
	v_mov_b32_e32 v39, 0
	v_mov_b32_e32 v29, 0
	v_mov_b32_e32 v31, 0
	v_mov_b32_e32 v33, 0
	v_mov_b32_e32 v35, 0
	v_mov_b32_e32 v37, 0
	v_mov_b32_e32 v41, 0
	s_waitcnt lgkmcnt(0)
	v_cndmask_b32_e64 v52, v26, s41, s0
	v_cndmask_b32_e64 v51, v25, s40, s0
	v_mov_b32_e32 v25, 0
	v_mov_b32_e32 v43, 0
	;; [unrolled: 1-line block ×19, first 2 shown]
	v_cmp_gt_u32_e64 s1, s43, v21
	v_mov_b32_e32 v60, 0
	v_mov_b32_e32 v97, 0
	;; [unrolled: 1-line block ×26, first 2 shown]
	s_mov_b32 s2, 0
                                        ; implicit-def: $sgpr28
	s_and_saveexec_b32 s44, s1
	s_cbranch_execz .LBB361_80
; %bb.59:
	v_cmp_ne_u64_e64 s1, v[23:24], v[17:18]
	v_add_nc_u32_e32 v21, 3, v101
	v_mov_b32_e32 v55, 0
	v_mov_b32_e32 v67, 0
	;; [unrolled: 1-line block ×19, first 2 shown]
	v_cndmask_b32_e64 v54, v28, s41, s1
	v_mov_b32_e32 v56, 0
	v_mov_b32_e32 v89, 0
	v_cmp_gt_u32_e64 s2, s43, v21
	v_cndmask_b32_e64 v53, v27, s40, s1
	v_mov_b32_e32 v90, 0
	v_mov_b32_e32 v68, 0
	;; [unrolled: 1-line block ×35, first 2 shown]
	s_mov_b32 s3, 0
                                        ; implicit-def: $sgpr28
	s_and_saveexec_b32 s45, s2
	s_cbranch_execz .LBB361_79
; %bb.60:
	ds_read2_b64 v[21:24], v98 offset0:3 offset1:4
	v_cmp_ne_u64_e64 s2, v[17:18], v[19:20]
	v_add_nc_u32_e32 v17, 4, v101
	v_mov_b32_e32 v55, 0
	v_mov_b32_e32 v67, 0
	v_mov_b32_e32 v71, 0
	v_mov_b32_e32 v65, 0
	v_mov_b32_e32 v69, 0
	v_mov_b32_e32 v61, 0
	v_mov_b32_e32 v63, 0
	v_mov_b32_e32 v59, 0
	v_mov_b32_e32 v39, 0
	v_mov_b32_e32 v25, 0
	v_mov_b32_e32 v29, 0
	v_mov_b32_e32 v31, 0
	v_mov_b32_e32 v33, 0
	v_mov_b32_e32 v35, 0
	v_mov_b32_e32 v37, 0
	v_mov_b32_e32 v41, 0
	v_mov_b32_e32 v43, 0
	v_mov_b32_e32 v56, 0
	v_mov_b32_e32 v89, 0
	v_mov_b32_e32 v90, 0
	v_mov_b32_e32 v68, 0
	v_mov_b32_e32 v91, 0
	v_mov_b32_e32 v72, 0
	v_mov_b32_e32 v92, 0
	v_mov_b32_e32 v66, 0
	v_mov_b32_e32 v93, 0
	v_mov_b32_e32 v70, 0
	v_mov_b32_e32 v94, 0
	v_mov_b32_e32 v62, 0
	v_mov_b32_e32 v95, 0
	v_mov_b32_e32 v64, 0
	v_mov_b32_e32 v96, 0
	v_cmp_gt_u32_e64 s3, s43, v17
	s_waitcnt lgkmcnt(0)
	v_cndmask_b32_e64 v58, v22, s41, s2
	v_cndmask_b32_e64 v57, v21, s40, s2
	v_mov_b32_e32 v60, 0
	v_mov_b32_e32 v40, 0
	;; [unrolled: 1-line block ×18, first 2 shown]
	s_mov_b32 s4, 0
                                        ; implicit-def: $sgpr28
	s_and_saveexec_b32 s46, s3
	s_cbranch_execz .LBB361_78
; %bb.61:
	v_cmp_ne_u64_e64 s3, v[19:20], v[13:14]
	v_add_nc_u32_e32 v17, 5, v101
	v_mov_b32_e32 v55, 0
	v_mov_b32_e32 v67, 0
	;; [unrolled: 1-line block ×15, first 2 shown]
	v_cndmask_b32_e64 v60, v24, s41, s3
	v_mov_b32_e32 v56, 0
	v_mov_b32_e32 v89, 0
	v_cmp_gt_u32_e64 s4, s43, v17
	v_cndmask_b32_e64 v59, v23, s40, s3
	v_mov_b32_e32 v90, 0
	v_mov_b32_e32 v68, 0
	;; [unrolled: 1-line block ×27, first 2 shown]
	s_mov_b32 s5, 0
                                        ; implicit-def: $sgpr28
	s_and_saveexec_b32 s47, s4
	s_cbranch_execz .LBB361_77
; %bb.62:
	ds_read2_b64 v[17:20], v98 offset0:5 offset1:6
	v_cmp_ne_u64_e64 s4, v[13:14], v[15:16]
	v_mov_b32_e32 v55, 0
	v_mov_b32_e32 v67, 0
	;; [unrolled: 1-line block ×13, first 2 shown]
	v_add_nc_u32_e32 v13, 6, v101
	v_mov_b32_e32 v56, 0
	v_mov_b32_e32 v89, 0
	;; [unrolled: 1-line block ×15, first 2 shown]
	s_waitcnt lgkmcnt(0)
	v_cndmask_b32_e64 v64, v18, s41, s4
	v_cndmask_b32_e64 v63, v17, s40, s4
	v_mov_b32_e32 v78, 0
	v_mov_b32_e32 v30, 0
	;; [unrolled: 1-line block ×10, first 2 shown]
	s_mov_b32 s7, 0
	s_mov_b32 s48, exec_lo
                                        ; implicit-def: $sgpr28
	v_cmpx_gt_u32_e64 s43, v13
	s_cbranch_execz .LBB361_76
; %bb.63:
	v_cmp_ne_u64_e64 s5, v[15:16], v[9:10]
	v_add_nc_u32_e32 v13, 7, v101
	v_mov_b32_e32 v55, 0
	v_mov_b32_e32 v67, 0
	;; [unrolled: 1-line block ×11, first 2 shown]
	v_cndmask_b32_e64 v62, v20, s41, s5
	v_mov_b32_e32 v56, 0
	v_mov_b32_e32 v89, 0
	v_cmp_gt_u32_e64 s7, s43, v13
	v_cndmask_b32_e64 v61, v19, s40, s5
	v_mov_b32_e32 v90, 0
	v_mov_b32_e32 v68, 0
	;; [unrolled: 1-line block ×19, first 2 shown]
	s_mov_b32 s8, 0
                                        ; implicit-def: $sgpr28
	s_and_saveexec_b32 s49, s7
	s_cbranch_execz .LBB361_75
; %bb.64:
	ds_read2_b64 v[13:16], v98 offset0:7 offset1:8
	v_cmp_ne_u64_e64 s7, v[9:10], v[11:12]
	v_mov_b32_e32 v55, 0
	v_mov_b32_e32 v67, 0
	;; [unrolled: 1-line block ×9, first 2 shown]
	v_add_nc_u32_e32 v9, 8, v101
	v_mov_b32_e32 v56, 0
	v_mov_b32_e32 v89, 0
	;; [unrolled: 1-line block ×15, first 2 shown]
	s_waitcnt lgkmcnt(0)
	v_cndmask_b32_e64 v70, v14, s41, s7
	v_cndmask_b32_e64 v69, v13, s40, s7
	v_mov_b32_e32 v34, 0
	v_mov_b32_e32 v80, 0
	s_mov_b32 s9, 0
	s_mov_b32 s50, exec_lo
                                        ; implicit-def: $sgpr28
	v_cmpx_gt_u32_e64 s43, v9
	s_cbranch_execz .LBB361_74
; %bb.65:
	v_cmp_ne_u64_e64 s8, v[11:12], v[5:6]
	v_mov_b32_e32 v55, 0
	v_mov_b32_e32 v67, 0
	;; [unrolled: 1-line block ×7, first 2 shown]
	v_add_nc_u32_e32 v9, 9, v101
	v_cndmask_b32_e64 v66, v16, s41, s8
	v_mov_b32_e32 v56, 0
	v_mov_b32_e32 v89, 0
	v_cndmask_b32_e64 v65, v15, s40, s8
	v_mov_b32_e32 v90, 0
	v_mov_b32_e32 v68, 0
	;; [unrolled: 1-line block ×11, first 2 shown]
	s_mov_b32 s10, 0
	s_mov_b32 s51, exec_lo
                                        ; implicit-def: $sgpr28
	v_cmpx_gt_u32_e64 s43, v9
	s_cbranch_execz .LBB361_73
; %bb.66:
	ds_read2_b64 v[9:12], v98 offset0:9 offset1:10
	v_cmp_ne_u64_e64 s9, v[5:6], v[7:8]
	v_mov_b32_e32 v55, 0
	v_mov_b32_e32 v67, 0
	;; [unrolled: 1-line block ×4, first 2 shown]
	v_add_nc_u32_e32 v5, 10, v101
	v_mov_b32_e32 v56, 0
	v_mov_b32_e32 v89, 0
	;; [unrolled: 1-line block ×7, first 2 shown]
	s_mov_b32 s11, 0
	s_mov_b32 s52, exec_lo
                                        ; implicit-def: $sgpr28
	s_waitcnt lgkmcnt(0)
	v_cndmask_b32_e64 v72, v10, s41, s9
	v_cndmask_b32_e64 v71, v9, s40, s9
	v_cmpx_gt_u32_e64 s43, v5
	s_cbranch_execz .LBB361_72
; %bb.67:
	v_cmp_ne_u64_e64 s10, v[7:8], v[1:2]
	v_mov_b32_e32 v55, 0
	v_mov_b32_e32 v39, 0
	v_add_nc_u32_e32 v5, 11, v101
	v_mov_b32_e32 v56, 0
	v_mov_b32_e32 v40, 0
	v_cndmask_b32_e64 v68, v12, s41, s10
	v_cndmask_b32_e64 v67, v11, s40, s10
	v_mov_b32_e32 v89, 0
	s_mov_b32 s12, 0
	s_mov_b32 s53, exec_lo
                                        ; implicit-def: $sgpr28
	v_cmpx_gt_u32_e64 s43, v5
	s_cbranch_execz .LBB361_71
; %bb.68:
	ds_read2_b64 v[5:8], v98 offset0:11 offset1:12
	v_cmp_ne_u64_e64 s11, v[1:2], v[3:4]
	v_add_nc_u32_e32 v1, 12, v101
	v_mov_b32_e32 v39, 0
	v_mov_b32_e32 v40, 0
                                        ; implicit-def: $sgpr28
	v_cmp_gt_u32_e64 s12, s43, v1
	s_mov_b32 s43, 0
	s_waitcnt lgkmcnt(0)
	v_cndmask_b32_e64 v56, v6, s41, s11
	v_cndmask_b32_e64 v55, v5, s40, s11
	s_and_saveexec_b32 s54, s12
	s_xor_b32 s12, exec_lo, s54
; %bb.69:
	v_cmp_ne_u64_e64 s28, v[3:4], v[73:74]
	s_mov_b32 s43, exec_lo
	v_cndmask_b32_e64 v40, v8, s41, s28
	v_cndmask_b32_e64 v39, v7, s40, s28
; %bb.70:
	s_or_b32 exec_lo, exec_lo, s12
	v_cndmask_b32_e64 v89, 0, 1, s11
	s_and_b32 s12, s43, exec_lo
.LBB361_71:
	s_or_b32 exec_lo, exec_lo, s53
	v_cndmask_b32_e64 v90, 0, 1, s10
	v_mov_b32_e32 v29, v67
	v_mov_b32_e32 v30, v68
	s_and_b32 s11, s12, exec_lo
	v_mov_b32_e32 v78, v90
.LBB361_72:
	s_or_b32 exec_lo, exec_lo, s52
	v_cndmask_b32_e64 v91, 0, 1, s9
	v_mov_b32_e32 v25, v55
	v_mov_b32_e32 v31, v71
	v_mov_b32_e32 v77, v89
	v_mov_b32_e32 v26, v56
	v_mov_b32_e32 v79, v91
	v_mov_b32_e32 v32, v72
	s_and_b32 s10, s11, exec_lo
.LBB361_73:
	s_or_b32 exec_lo, exec_lo, s51
	v_cndmask_b32_e64 v92, 0, 1, s8
	v_mov_b32_e32 v33, v65
	v_mov_b32_e32 v34, v66
	s_and_b32 s9, s10, exec_lo
	v_mov_b32_e32 v80, v92
.LBB361_74:
	s_or_b32 exec_lo, exec_lo, s50
	v_cndmask_b32_e64 v93, 0, 1, s7
	v_mov_b32_e32 v35, v69
	v_mov_b32_e32 v36, v70
	s_and_b32 s8, s9, exec_lo
	v_mov_b32_e32 v81, v93
.LBB361_75:
	s_or_b32 exec_lo, exec_lo, s49
	v_cndmask_b32_e64 v94, 0, 1, s5
	v_mov_b32_e32 v37, v61
	v_mov_b32_e32 v38, v62
	s_and_b32 s7, s8, exec_lo
	v_mov_b32_e32 v82, v94
.LBB361_76:
	s_or_b32 exec_lo, exec_lo, s48
	v_cndmask_b32_e64 v95, 0, 1, s4
	v_mov_b32_e32 v41, v63
	v_mov_b32_e32 v42, v64
	s_and_b32 s5, s7, exec_lo
	v_mov_b32_e32 v84, v95
.LBB361_77:
	s_or_b32 exec_lo, exec_lo, s47
	v_cndmask_b32_e64 v96, 0, 1, s3
	v_mov_b32_e32 v43, v59
	v_mov_b32_e32 v44, v60
	s_and_b32 s4, s5, exec_lo
	v_mov_b32_e32 v85, v96
.LBB361_78:
	s_or_b32 exec_lo, exec_lo, s46
	v_cndmask_b32_e64 v97, 0, 1, s2
	v_mov_b32_e32 v45, v57
	v_mov_b32_e32 v46, v58
	s_and_b32 s3, s4, exec_lo
	v_mov_b32_e32 v86, v97
.LBB361_79:
	s_or_b32 exec_lo, exec_lo, s45
	v_cndmask_b32_e64 v99, 0, 1, s1
	v_mov_b32_e32 v47, v53
	v_mov_b32_e32 v48, v54
	s_and_b32 s2, s3, exec_lo
	v_mov_b32_e32 v87, v99
.LBB361_80:
	s_or_b32 exec_lo, exec_lo, s44
	v_cndmask_b32_e64 v100, 0, 1, s0
	v_mov_b32_e32 v27, v51
	v_mov_b32_e32 v28, v52
	s_and_b32 s1, s2, exec_lo
	v_mov_b32_e32 v88, v100
.LBB361_81:
	s_or_b32 exec_lo, exec_lo, s42
	v_cndmask_b32_e64 v102, 0, 1, vcc_lo
	s_and_b32 s1, s1, exec_lo
	v_mov_b32_e32 v83, v102
.LBB361_82:
	s_or_b32 exec_lo, exec_lo, s29
	v_lshlrev_b32_e32 v75, 3, v0
	s_and_b32 vcc_lo, exec_lo, s13
	s_cbranch_vccz .LBB361_88
.LBB361_83:
	v_add_co_u32 v1, s0, s14, v75
	v_add_co_ci_u32_e64 v2, null, s15, 0, s0
	v_add_co_u32 v27, s0, 0x6800, s14
	v_add_co_u32 v3, vcc_lo, 0x800, v1
	v_add_co_ci_u32_e64 v4, null, 0, v2, vcc_lo
	v_add_co_u32 v5, vcc_lo, 0x1000, v1
	v_add_co_ci_u32_e64 v6, null, 0, v2, vcc_lo
	v_add_co_u32 v7, vcc_lo, 0x1800, v1
	v_add_co_ci_u32_e64 v8, null, 0, v2, vcc_lo
	v_add_co_u32 v9, vcc_lo, 0x2000, v1
	v_add_co_ci_u32_e64 v10, null, 0, v2, vcc_lo
	v_add_co_u32 v11, vcc_lo, 0x2800, v1
	v_add_co_ci_u32_e64 v12, null, 0, v2, vcc_lo
	v_add_co_u32 v13, vcc_lo, 0x3000, v1
	v_add_co_ci_u32_e64 v14, null, 0, v2, vcc_lo
	v_add_co_u32 v15, vcc_lo, 0x3800, v1
	v_add_co_ci_u32_e64 v16, null, 0, v2, vcc_lo
	v_add_co_u32 v19, vcc_lo, 0x4000, v1
	v_add_co_ci_u32_e64 v20, null, 0, v2, vcc_lo
	v_add_co_u32 v21, vcc_lo, 0x4800, v1
	v_add_co_ci_u32_e64 v22, null, 0, v2, vcc_lo
	v_add_co_u32 v23, vcc_lo, 0x5000, v1
	v_add_co_ci_u32_e64 v24, null, 0, v2, vcc_lo
	v_add_co_u32 v25, vcc_lo, 0x5800, v1
	s_clause 0x7
	flat_load_dwordx2 v[17:18], v[1:2]
	flat_load_dwordx2 v[3:4], v[3:4]
	;; [unrolled: 1-line block ×8, first 2 shown]
	v_add_co_ci_u32_e64 v26, null, 0, v2, vcc_lo
	v_add_co_u32 v1, vcc_lo, 0x6000, v1
	v_add_co_ci_u32_e64 v2, null, 0, v2, vcc_lo
	s_clause 0x4
	flat_load_dwordx2 v[19:20], v[19:20]
	flat_load_dwordx2 v[21:22], v[21:22]
	;; [unrolled: 1-line block ×5, first 2 shown]
	v_add_co_ci_u32_e64 v28, null, 0, s15, s0
	v_mad_u32_u24 v53, 0x60, v0, v75
	s_mov_b32 s0, exec_lo
	s_waitcnt vmcnt(11) lgkmcnt(11)
	ds_write2st64_b64 v75, v[17:18], v[3:4] offset1:4
	s_waitcnt vmcnt(9) lgkmcnt(10)
	ds_write2st64_b64 v75, v[5:6], v[7:8] offset0:8 offset1:12
	s_waitcnt vmcnt(7) lgkmcnt(9)
	ds_write2st64_b64 v75, v[9:10], v[11:12] offset0:16 offset1:20
	;; [unrolled: 2-line block ×5, first 2 shown]
	s_waitcnt vmcnt(0) lgkmcnt(6)
	ds_write_b64 v75, v[1:2] offset:24576
	s_waitcnt lgkmcnt(0)
	s_barrier
	buffer_gl0_inv
	flat_load_dwordx2 v[51:52], v[27:28]
	ds_read_b64 v[49:50], v53
	ds_read2_b64 v[21:24], v53 offset0:1 offset1:2
	ds_read2_b64 v[17:20], v53 offset0:3 offset1:4
	ds_read2_b64 v[13:16], v53 offset0:5 offset1:6
	ds_read2_b64 v[9:12], v53 offset0:7 offset1:8
	ds_read2_b64 v[5:8], v53 offset0:9 offset1:10
	ds_read2_b64 v[1:4], v53 offset0:11 offset1:12
	v_mad_i32_i24 v25, 0xffffffa0, v0, v53
	s_waitcnt lgkmcnt(6)
	ds_write_b64 v25, v[49:50] offset:28672
	s_waitcnt vmcnt(0) lgkmcnt(0)
	s_barrier
	buffer_gl0_inv
	v_cmpx_ne_u32_e32 0xff, v0
; %bb.84:
	v_mul_i32_i24_e32 v25, 0xffffffa0, v0
	v_add_nc_u32_e32 v25, v53, v25
	ds_read_b64 v[51:52], v25 offset:28680
; %bb.85:
	s_or_b32 exec_lo, exec_lo, s0
	v_add_co_u32 v25, s0, s16, v75
	v_add_co_ci_u32_e64 v26, null, s33, 0, s0
	s_waitcnt lgkmcnt(0)
	v_add_co_u32 v27, vcc_lo, 0x800, v25
	v_add_co_ci_u32_e64 v28, null, 0, v26, vcc_lo
	v_add_co_u32 v29, vcc_lo, 0x1000, v25
	v_add_co_ci_u32_e64 v30, null, 0, v26, vcc_lo
	v_add_co_u32 v31, vcc_lo, 0x1800, v25
	v_add_co_ci_u32_e64 v32, null, 0, v26, vcc_lo
	v_add_co_u32 v33, vcc_lo, 0x2000, v25
	v_add_co_ci_u32_e64 v34, null, 0, v26, vcc_lo
	v_add_co_u32 v35, vcc_lo, 0x2800, v25
	v_add_co_ci_u32_e64 v36, null, 0, v26, vcc_lo
	v_add_co_u32 v37, vcc_lo, 0x3000, v25
	v_add_co_ci_u32_e64 v38, null, 0, v26, vcc_lo
	v_add_co_u32 v39, vcc_lo, 0x3800, v25
	v_add_co_ci_u32_e64 v40, null, 0, v26, vcc_lo
	v_add_co_u32 v43, vcc_lo, 0x4000, v25
	v_add_co_ci_u32_e64 v44, null, 0, v26, vcc_lo
	v_add_co_u32 v45, vcc_lo, 0x4800, v25
	v_add_co_ci_u32_e64 v46, null, 0, v26, vcc_lo
	v_add_co_u32 v47, vcc_lo, 0x5000, v25
	v_add_co_ci_u32_e64 v48, null, 0, v26, vcc_lo
	v_add_co_u32 v54, vcc_lo, 0x5800, v25
	s_barrier
	buffer_gl0_inv
	s_clause 0x7
	flat_load_dwordx2 v[41:42], v[25:26]
	flat_load_dwordx2 v[27:28], v[27:28]
	;; [unrolled: 1-line block ×8, first 2 shown]
	v_add_co_ci_u32_e64 v55, null, 0, v26, vcc_lo
	v_add_co_u32 v25, vcc_lo, 0x6000, v25
	v_add_co_ci_u32_e64 v26, null, 0, v26, vcc_lo
	s_clause 0x4
	flat_load_dwordx2 v[43:44], v[43:44]
	flat_load_dwordx2 v[45:46], v[45:46]
	;; [unrolled: 1-line block ×5, first 2 shown]
	v_cmp_ne_u64_e32 vcc_lo, v[49:50], v[21:22]
	v_cmp_eq_u64_e64 s0, v[49:50], v[21:22]
	v_mov_b32_e32 v50, s41
	v_mov_b32_e32 v49, s40
	s_waitcnt vmcnt(11) lgkmcnt(11)
	ds_write2st64_b64 v75, v[41:42], v[27:28] offset1:4
	s_waitcnt vmcnt(9) lgkmcnt(10)
	ds_write2st64_b64 v75, v[29:30], v[31:32] offset0:8 offset1:12
	s_waitcnt vmcnt(7) lgkmcnt(9)
	ds_write2st64_b64 v75, v[33:34], v[35:36] offset0:16 offset1:20
	s_waitcnt vmcnt(5) lgkmcnt(8)
	ds_write2st64_b64 v75, v[37:38], v[39:40] offset0:24 offset1:28
	s_waitcnt vmcnt(3) lgkmcnt(7)
	ds_write2st64_b64 v75, v[43:44], v[45:46] offset0:32 offset1:36
	s_waitcnt vmcnt(1) lgkmcnt(6)
	ds_write2st64_b64 v75, v[47:48], v[54:55] offset0:40 offset1:44
	s_waitcnt vmcnt(0) lgkmcnt(6)
	ds_write_b64 v75, v[25:26] offset:24576
	s_waitcnt lgkmcnt(0)
	s_barrier
	buffer_gl0_inv
	ds_read2_b64 v[45:48], v53 offset0:1 offset1:2
	ds_read2_b64 v[41:44], v53 offset0:3 offset1:4
	;; [unrolled: 1-line block ×6, first 2 shown]
	s_and_saveexec_b32 s1, s0
; %bb.86:
	ds_read_b64 v[49:50], v53
; %bb.87:
	s_or_b32 exec_lo, exec_lo, s1
	v_cndmask_b32_e64 v102, 0, 1, vcc_lo
	v_cmp_ne_u64_e32 vcc_lo, v[21:22], v[23:24]
	v_cmp_ne_u64_e64 s0, v[23:24], v[17:18]
	v_cmp_ne_u64_e64 s1, v[17:18], v[19:20]
	;; [unrolled: 1-line block ×11, first 2 shown]
	s_waitcnt lgkmcnt(5)
	v_cndmask_b32_e64 v51, v45, s40, vcc_lo
	v_cndmask_b32_e64 v53, v47, s40, s0
	s_waitcnt lgkmcnt(4)
	v_cndmask_b32_e64 v57, v41, s40, s1
	v_cndmask_b32_e64 v59, v43, s40, s2
	s_waitcnt lgkmcnt(3)
	v_cndmask_b32_e64 v63, v37, s40, s3
	v_cndmask_b32_e64 v61, v39, s40, s4
	s_waitcnt lgkmcnt(2)
	v_cndmask_b32_e64 v69, v33, s40, s5
	v_cndmask_b32_e64 v65, v35, s40, s7
	s_waitcnt lgkmcnt(1)
	v_cndmask_b32_e64 v71, v29, s40, s8
	s_waitcnt lgkmcnt(0)
	v_cndmask_b32_e64 v55, v25, s40, s10
	v_cndmask_b32_e64 v67, v31, s40, s9
	v_cndmask_b32_e64 v100, 0, 1, vcc_lo
	v_cndmask_b32_e64 v99, 0, 1, s0
	v_cndmask_b32_e64 v97, 0, 1, s1
	;; [unrolled: 1-line block ×10, first 2 shown]
	v_cndmask_b32_e64 v52, v46, s41, vcc_lo
	v_cndmask_b32_e64 v54, v48, s41, s0
	v_cndmask_b32_e64 v58, v42, s41, s1
	;; [unrolled: 1-line block ×12, first 2 shown]
	v_mov_b32_e32 v25, v55
	v_mov_b32_e32 v29, v67
	;; [unrolled: 1-line block ×34, first 2 shown]
	s_mov_b32 s1, -1
.LBB361_88:
	v_mov_b32_e32 v12, 0
	s_and_saveexec_b32 s0, s1
	s_cbranch_execz .LBB361_90
; %bb.89:
	v_mov_b32_e32 v27, v51
	v_mov_b32_e32 v47, v53
	;; [unrolled: 1-line block ×11, first 2 shown]
	v_cndmask_b32_e64 v12, 0, 1, s28
	v_mov_b32_e32 v83, v102
	v_mov_b32_e32 v28, v52
	;; [unrolled: 1-line block ×23, first 2 shown]
.LBB361_90:
	s_or_b32 exec_lo, exec_lo, s0
	v_and_b32_e32 v21, 1, v86
	v_and_b32_e32 v18, 1, v82
	;; [unrolled: 1-line block ×4, first 2 shown]
	v_or_b32_e32 v13, v87, v88
	v_or_b32_e32 v15, v84, v85
	;; [unrolled: 1-line block ×4, first 2 shown]
	v_cmp_eq_u32_e64 s14, 1, v21
	v_cmp_eq_u32_e64 s13, 1, v18
	;; [unrolled: 1-line block ×3, first 2 shown]
	v_cmp_eq_u16_e64 s12, 0, v12
	v_and_b32_e32 v17, 1, v12
	v_mbcnt_lo_u32_b32 v11, -1, 0
	s_cmp_lg_u32 s6, 0
	v_cmp_eq_u32_e32 vcc_lo, 1, v20
	s_barrier
	buffer_gl0_inv
	s_cbranch_scc0 .LBB361_148
; %bb.91:
	v_mov_b32_e32 v1, 0
	v_cmp_eq_u32_e64 s16, 1, v17
	v_cmp_eq_u16_sdwa s10, v88, v1 src0_sel:BYTE_0 src1_sel:DWORD
	v_cmp_eq_u16_sdwa s9, v87, v1 src0_sel:BYTE_0 src1_sel:DWORD
	;; [unrolled: 1-line block ×5, first 2 shown]
	v_cndmask_b32_e64 v3, 0, v49, s10
	v_cndmask_b32_e64 v2, 0, v50, s10
	v_cmp_eq_u16_sdwa s4, v82, v1 src0_sel:BYTE_0 src1_sel:DWORD
	v_cmp_eq_u16_sdwa s3, v81, v1 src0_sel:BYTE_0 src1_sel:DWORD
	;; [unrolled: 1-line block ×3, first 2 shown]
	v_add_co_u32 v3, s0, v3, v27
	v_add_co_ci_u32_e64 v2, null, v2, v28, s0
	v_cmp_eq_u16_sdwa s1, v79, v1 src0_sel:BYTE_0 src1_sel:DWORD
	v_cndmask_b32_e64 v3, 0, v3, s9
	v_cmp_ne_u16_sdwa s28, v13, v1 src0_sel:BYTE_0 src1_sel:DWORD
	v_cndmask_b32_e64 v2, 0, v2, s9
	v_cmp_ne_u16_sdwa s29, v15, v1 src0_sel:BYTE_0 src1_sel:DWORD
	v_cmp_ne_u16_sdwa s33, v16, v1 src0_sel:BYTE_0 src1_sel:DWORD
	v_add_co_u32 v3, s0, v3, v47
	v_add_co_ci_u32_e64 v2, null, v2, v48, s0
	v_cmp_ne_u16_sdwa s42, v14, v1 src0_sel:BYTE_0 src1_sel:DWORD
	v_cndmask_b32_e64 v3, 0, v3, s8
	s_or_b32 s14, s28, s14
	v_cndmask_b32_e64 v2, 0, v2, s8
	s_or_b32 s28, s29, s13
	s_or_b32 s15, s33, s15
	v_add_co_u32 v3, s0, v3, v45
	v_add_co_ci_u32_e64 v2, null, v2, v46, s0
	s_or_b32 s16, s42, s16
	v_cndmask_b32_e64 v3, 0, v3, s7
	s_or_b32 s15, s16, s15
	v_cndmask_b32_e64 v2, 0, v2, s7
	s_or_b32 s15, s15, s28
	v_add_co_u32 v3, s0, v3, v43
	v_add_co_ci_u32_e64 v2, null, v2, v44, s0
	v_cndmask_b32_e64 v3, 0, v3, s5
	v_cndmask_b32_e64 v2, 0, v2, s5
	v_add_co_u32 v3, s0, v3, v41
	v_add_co_ci_u32_e64 v2, null, v2, v42, s0
	v_cndmask_b32_e64 v3, 0, v3, s4
	v_cndmask_b32_e64 v2, 0, v2, s4
	;; [unrolled: 4-line block ×5, first 2 shown]
	v_add_co_u32 v3, s0, v3, v31
	v_add_co_ci_u32_e64 v2, null, v2, v32, s0
	v_cmp_eq_u16_sdwa s0, v78, v1 src0_sel:BYTE_0 src1_sel:DWORD
	v_cndmask_b32_e64 v3, 0, v3, s0
	v_cndmask_b32_e64 v2, 0, v2, s0
	v_add_co_u32 v3, s11, v3, v29
	v_add_co_ci_u32_e64 v2, null, v2, v30, s11
	v_cmp_eq_u16_sdwa s11, v77, v1 src0_sel:BYTE_0 src1_sel:DWORD
	v_cndmask_b32_e64 v1, 0, v2, s11
	v_cndmask_b32_e64 v2, 0, v3, s11
	v_add_co_u32 v2, s13, v2, v25
	v_add_co_ci_u32_e64 v1, null, v1, v26, s13
	s_or_b32 s13, s15, s14
	v_cndmask_b32_e64 v3, 0, v2, s12
	s_or_b32 s13, s13, vcc_lo
	v_cndmask_b32_e64 v1, 0, v1, s12
	v_cndmask_b32_e64 v2, 0, 1, s13
	;; [unrolled: 1-line block ×3, first 2 shown]
	v_add_co_u32 v3, vcc_lo, v3, v39
	v_add_co_ci_u32_e64 v4, null, v1, v40, vcc_lo
	v_and_b32_e32 v1, 15, v11
	v_mov_b32_dpp v8, v2 row_shr:1 row_mask:0xf bank_mask:0xf
	v_mov_b32_dpp v6, v3 row_shr:1 row_mask:0xf bank_mask:0xf
	;; [unrolled: 1-line block ×3, first 2 shown]
	s_mov_b32 s12, exec_lo
	v_cmpx_ne_u32_e32 0, v1
	s_cbranch_execz .LBB361_93
; %bb.92:
	v_and_b32_e32 v2, 1, v8
	v_cndmask_b32_e64 v6, v6, 0, s13
	v_cndmask_b32_e64 v7, v7, 0, s13
	v_or_b32_e32 v5, v2, v5
	v_add_co_u32 v3, vcc_lo, v6, v3
	v_add_co_ci_u32_e64 v4, null, v7, v4, vcc_lo
	v_and_b32_e32 v2, 0xffff, v5
.LBB361_93:
	s_or_b32 exec_lo, exec_lo, s12
	v_mov_b32_dpp v6, v3 row_shr:2 row_mask:0xf bank_mask:0xf
	v_mov_b32_dpp v7, v4 row_shr:2 row_mask:0xf bank_mask:0xf
	v_mov_b32_dpp v8, v2 row_shr:2 row_mask:0xf bank_mask:0xf
	s_mov_b32 s14, exec_lo
	v_cmpx_lt_u32_e32 1, v1
	s_cbranch_execz .LBB361_95
; %bb.94:
	v_cmp_eq_u16_e32 vcc_lo, 0, v5
	v_and_b32_e32 v2, 1, v5
	v_and_b32_e32 v5, 1, v8
	v_cndmask_b32_e32 v7, 0, v7, vcc_lo
	v_cndmask_b32_e32 v6, 0, v6, vcc_lo
	v_cmp_eq_u32_e32 vcc_lo, 1, v2
	v_cmp_eq_u32_e64 s12, 1, v5
	v_add_co_u32 v3, s13, v6, v3
	s_or_b32 s12, vcc_lo, s12
	v_add_co_ci_u32_e64 v4, null, v7, v4, s13
	v_cndmask_b32_e64 v5, 0, 1, s12
	v_cndmask_b32_e64 v2, 0, 1, s12
.LBB361_95:
	s_or_b32 exec_lo, exec_lo, s14
	v_mov_b32_dpp v6, v3 row_shr:4 row_mask:0xf bank_mask:0xf
	v_mov_b32_dpp v7, v4 row_shr:4 row_mask:0xf bank_mask:0xf
	v_mov_b32_dpp v8, v2 row_shr:4 row_mask:0xf bank_mask:0xf
	s_mov_b32 s14, exec_lo
	v_cmpx_lt_u32_e32 3, v1
	s_cbranch_execz .LBB361_97
; %bb.96:
	v_cmp_eq_u16_e32 vcc_lo, 0, v5
	v_and_b32_e32 v2, 1, v5
	v_and_b32_e32 v5, 1, v8
	v_cndmask_b32_e32 v7, 0, v7, vcc_lo
	v_cndmask_b32_e32 v6, 0, v6, vcc_lo
	v_cmp_eq_u32_e32 vcc_lo, 1, v2
	v_cmp_eq_u32_e64 s12, 1, v5
	v_add_co_u32 v3, s13, v6, v3
	s_or_b32 s12, vcc_lo, s12
	v_add_co_ci_u32_e64 v4, null, v7, v4, s13
	v_cndmask_b32_e64 v5, 0, 1, s12
	v_cndmask_b32_e64 v2, 0, 1, s12
.LBB361_97:
	;; [unrolled: 21-line block ×3, first 2 shown]
	s_or_b32 exec_lo, exec_lo, s14
	ds_swizzle_b32 v1, v3 offset:swizzle(BROADCAST,32,15)
	ds_swizzle_b32 v6, v4 offset:swizzle(BROADCAST,32,15)
	;; [unrolled: 1-line block ×3, first 2 shown]
	v_and_b32_e32 v7, 16, v11
	s_mov_b32 s14, exec_lo
	v_cmpx_ne_u32_e32 0, v7
	s_cbranch_execz .LBB361_101
; %bb.100:
	v_cmp_eq_u16_e32 vcc_lo, 0, v5
	v_and_b32_e32 v5, 1, v5
	s_waitcnt lgkmcnt(0)
	v_and_b32_e32 v2, 1, v2
	v_cndmask_b32_e32 v6, 0, v6, vcc_lo
	v_cndmask_b32_e32 v1, 0, v1, vcc_lo
	v_cmp_eq_u32_e32 vcc_lo, 1, v5
	v_cmp_eq_u32_e64 s12, 1, v2
	v_add_co_u32 v3, s13, v1, v3
	s_or_b32 s12, vcc_lo, s12
	v_add_co_ci_u32_e64 v4, null, v6, v4, s13
	v_cndmask_b32_e64 v5, 0, 1, s12
.LBB361_101:
	s_or_b32 exec_lo, exec_lo, s14
	s_waitcnt lgkmcnt(0)
	v_lshrrev_b32_e32 v2, 5, v0
	v_or_b32_e32 v1, 31, v0
	s_mov_b32 s12, exec_lo
	v_lshlrev_b32_e32 v6, 4, v2
	v_cmpx_eq_u32_e64 v0, v1
	s_cbranch_execz .LBB361_103
; %bb.102:
	ds_write_b64 v6, v[3:4]
	ds_write_b8 v6, v5 offset:8
.LBB361_103:
	s_or_b32 exec_lo, exec_lo, s12
	s_mov_b32 s14, exec_lo
	s_waitcnt lgkmcnt(0)
	s_barrier
	buffer_gl0_inv
	v_cmpx_gt_u32_e32 8, v0
	s_cbranch_execz .LBB361_111
; %bb.104:
	v_lshlrev_b32_e32 v7, 4, v0
	v_and_b32_e32 v8, 7, v11
	s_mov_b32 s12, exec_lo
	ds_read_b64 v[1:2], v7
	ds_read_b32 v23, v7 offset:8
	s_waitcnt lgkmcnt(1)
	v_mov_b32_dpp v24, v1 row_shr:1 row_mask:0xf bank_mask:0xf
	v_mov_b32_dpp v51, v2 row_shr:1 row_mask:0xf bank_mask:0xf
	s_waitcnt lgkmcnt(0)
	v_and_b32_e32 v10, 0xffffff00, v23
	v_mov_b32_dpp v52, v23 row_shr:1 row_mask:0xf bank_mask:0xf
	v_mov_b32_e32 v22, v23
	v_mov_b32_e32 v9, v23
	v_cmpx_ne_u32_e32 0, v8
	s_cbranch_execz .LBB361_106
; %bb.105:
	v_mov_b32_e32 v9, 0
	v_cmp_eq_u16_sdwa vcc_lo, v23, v9 src0_sel:BYTE_0 src1_sel:DWORD
	v_or_b32_e32 v9, v52, v23
	v_cndmask_b32_e32 v24, 0, v24, vcc_lo
	v_cndmask_b32_e32 v23, 0, v51, vcc_lo
	v_and_b32_e32 v22, 1, v9
	v_and_b32_e32 v9, 1, v9
	v_add_co_u32 v1, vcc_lo, v24, v1
	v_add_co_ci_u32_e64 v2, null, v23, v2, vcc_lo
	v_or_b32_e32 v23, v9, v10
.LBB361_106:
	s_or_b32 exec_lo, exec_lo, s12
	v_mov_b32_dpp v24, v1 row_shr:2 row_mask:0xf bank_mask:0xf
	v_mov_b32_dpp v51, v2 row_shr:2 row_mask:0xf bank_mask:0xf
	;; [unrolled: 1-line block ×3, first 2 shown]
	s_mov_b32 s15, exec_lo
	v_cmpx_lt_u32_e32 1, v8
	s_cbranch_execz .LBB361_108
; %bb.107:
	v_mov_b32_e32 v22, 0
	v_and_b32_e32 v23, 1, v9
	v_and_b32_e32 v52, 1, v52
	v_cmp_eq_u16_sdwa vcc_lo, v9, v22 src0_sel:BYTE_0 src1_sel:DWORD
	v_cmp_eq_u32_e64 s12, 1, v23
	v_cmp_eq_u32_e64 s13, 1, v52
	v_cndmask_b32_e32 v23, 0, v24, vcc_lo
	v_cndmask_b32_e32 v9, 0, v51, vcc_lo
	s_or_b32 s12, s12, s13
	v_cndmask_b32_e64 v22, 0, 1, s12
	v_cndmask_b32_e64 v24, 0, 1, s12
	v_add_co_u32 v1, vcc_lo, v23, v1
	v_add_co_ci_u32_e64 v2, null, v9, v2, vcc_lo
	v_or_b32_e32 v23, v10, v24
	v_mov_b32_e32 v9, v22
.LBB361_108:
	s_or_b32 exec_lo, exec_lo, s15
	v_mov_b32_dpp v10, v1 row_shr:4 row_mask:0xf bank_mask:0xf
	v_mov_b32_dpp v24, v2 row_shr:4 row_mask:0xf bank_mask:0xf
	;; [unrolled: 1-line block ×3, first 2 shown]
	s_mov_b32 s15, exec_lo
	v_cmpx_lt_u32_e32 3, v8
	s_cbranch_execz .LBB361_110
; %bb.109:
	v_mov_b32_e32 v8, 0
	v_cmp_eq_u16_sdwa vcc_lo, v9, v8 src0_sel:BYTE_0 src1_sel:DWORD
	v_and_b32_e32 v8, 1, v9
	v_and_b32_e32 v9, 1, v23
	v_cndmask_b32_e32 v22, 0, v24, vcc_lo
	v_cndmask_b32_e32 v10, 0, v10, vcc_lo
	v_cmp_eq_u32_e32 vcc_lo, 1, v8
	v_cmp_eq_u32_e64 s12, 1, v9
	v_add_co_u32 v1, s13, v10, v1
	s_or_b32 s12, vcc_lo, s12
	v_add_co_ci_u32_e64 v2, null, v22, v2, s13
	v_cndmask_b32_e64 v22, 0, 1, s12
.LBB361_110:
	s_or_b32 exec_lo, exec_lo, s15
	ds_write_b64 v7, v[1:2]
	ds_write_b8 v7, v22 offset:8
.LBB361_111:
	s_or_b32 exec_lo, exec_lo, s14
	v_mov_b32_e32 v1, 0
	v_mov_b32_e32 v2, 0
	;; [unrolled: 1-line block ×3, first 2 shown]
	s_mov_b32 s13, exec_lo
	v_cmp_gt_u32_e32 vcc_lo, 32, v0
	s_waitcnt lgkmcnt(0)
	s_barrier
	buffer_gl0_inv
	v_cmpx_lt_u32_e32 31, v0
	s_cbranch_execz .LBB361_113
; %bb.112:
	v_add_nc_u32_e32 v1, -16, v6
	v_add_nc_u32_e32 v6, -8, v6
	v_cmp_eq_u16_e64 s12, 0, v5
	ds_read_b64 v[1:2], v1
	ds_read_u8 v22, v6
	s_waitcnt lgkmcnt(1)
	v_cndmask_b32_e64 v7, 0, v1, s12
	v_cndmask_b32_e64 v6, 0, v2, s12
	s_waitcnt lgkmcnt(0)
	v_or_b32_e32 v5, v22, v5
	v_add_co_u32 v3, s12, v3, v7
	v_add_co_ci_u32_e64 v4, null, v4, v6, s12
.LBB361_113:
	s_or_b32 exec_lo, exec_lo, s13
	v_sub_co_u32 v6, s12, v11, 1
	v_and_b32_e32 v5, 0xff, v5
	v_cmp_gt_i32_e64 s13, 0, v6
	v_cndmask_b32_e64 v6, v6, v11, s13
	v_lshlrev_b32_e32 v6, 2, v6
	ds_bpermute_b32 v24, v6, v3
	ds_bpermute_b32 v23, v6, v4
	;; [unrolled: 1-line block ×3, first 2 shown]
	s_and_saveexec_b32 s15, vcc_lo
	s_cbranch_execz .LBB361_153
; %bb.114:
	v_mov_b32_e32 v7, 0
	ds_read_b64 v[3:4], v7 offset:112
	ds_read_u8 v51, v7 offset:120
	s_and_saveexec_b32 s13, s12
	s_cbranch_execz .LBB361_116
; %bb.115:
	s_add_i32 s28, s6, 32
	s_mov_b32 s29, 0
	v_mov_b32_e32 v5, 1
	s_lshl_b64 s[42:43], s[28:29], 4
	v_mov_b32_e32 v6, s28
	s_add_u32 s42, s20, s42
	s_addc_u32 s43, s21, s43
	s_waitcnt lgkmcnt(1)
	global_store_dwordx2 v7, v[3:4], s[42:43]
	s_waitcnt lgkmcnt(0)
	global_store_byte v7, v51, s[42:43] offset:8
	s_waitcnt_vscnt null, 0x0
	buffer_gl1_inv
	buffer_gl0_inv
	global_store_byte v6, v5, s[24:25]
.LBB361_116:
	s_or_b32 exec_lo, exec_lo, s13
	v_xad_u32 v5, v11, -1, s6
	s_mov_b32 s14, 0
	s_mov_b32 s13, exec_lo
	v_add_nc_u32_e32 v6, 32, v5
	global_load_ubyte v52, v6, s[24:25] glc dlc
	s_waitcnt vmcnt(0)
	v_cmpx_eq_u16_e32 0, v52
	s_cbranch_execz .LBB361_120
; %bb.117:
	v_add_co_u32 v8, s16, s24, v6
	v_add_co_ci_u32_e64 v9, null, s25, 0, s16
.LBB361_118:                            ; =>This Inner Loop Header: Depth=1
	global_load_ubyte v52, v[8:9], off glc dlc
	s_waitcnt vmcnt(0)
	v_cmp_ne_u16_e32 vcc_lo, 0, v52
	s_or_b32 s14, vcc_lo, s14
	s_andn2_b32 exec_lo, exec_lo, s14
	s_cbranch_execnz .LBB361_118
; %bb.119:
	s_or_b32 exec_lo, exec_lo, s14
.LBB361_120:
	s_or_b32 exec_lo, exec_lo, s13
	v_cmp_eq_u16_e32 vcc_lo, 1, v52
	v_mov_b32_e32 v9, s20
	v_mov_b32_e32 v8, s21
	v_lshlrev_b64 v[6:7], 4, v[6:7]
	s_waitcnt lgkmcnt(0)
	s_waitcnt_vscnt null, 0x0
	buffer_gl1_inv
	buffer_gl0_inv
	v_lshlrev_b32_e64 v55, v11, -1
	v_cndmask_b32_e32 v9, s22, v9, vcc_lo
	v_cndmask_b32_e32 v8, s23, v8, vcc_lo
	s_mov_b32 s13, exec_lo
	v_add_co_u32 v6, vcc_lo, v9, v6
	v_add_co_ci_u32_e64 v7, null, v8, v7, vcc_lo
	v_cmp_ne_u32_e32 vcc_lo, 31, v11
	s_clause 0x1
	global_load_ubyte v66, v[6:7], off offset:8
	global_load_dwordx2 v[9:10], v[6:7], off
	v_add_co_ci_u32_e64 v6, null, 0, v11, vcc_lo
	v_cmp_eq_u16_e32 vcc_lo, 2, v52
	v_lshlrev_b32_e32 v54, 2, v6
	v_and_or_b32 v6, vcc_lo, v55, 0x80000000
	v_ffbl_b32_e32 v6, v6
	s_waitcnt vmcnt(1)
	v_and_b32_e32 v7, 1, v66
	s_waitcnt vmcnt(0)
	ds_bpermute_b32 v8, v54, v9
	ds_bpermute_b32 v56, v54, v10
	;; [unrolled: 1-line block ×3, first 2 shown]
	v_cmpx_lt_u32_e64 v11, v6
	s_cbranch_execz .LBB361_122
; %bb.121:
	v_mov_b32_e32 v7, 0
	v_cmp_eq_u16_sdwa vcc_lo, v66, v7 src0_sel:BYTE_0 src1_sel:DWORD
	s_waitcnt lgkmcnt(0)
	v_and_b32_e32 v7, 1, v57
	v_cndmask_b32_e32 v8, 0, v8, vcc_lo
	v_cndmask_b32_e32 v56, 0, v56, vcc_lo
	v_or_b32_e32 v66, v7, v66
	v_add_co_u32 v9, vcc_lo, v8, v9
	v_add_co_ci_u32_e64 v10, null, v56, v10, vcc_lo
	v_and_b32_e32 v7, 0xff, v66
.LBB361_122:
	s_or_b32 exec_lo, exec_lo, s13
	v_cmp_gt_u32_e32 vcc_lo, 30, v11
	s_waitcnt lgkmcnt(0)
	v_add_nc_u32_e32 v57, 2, v11
	s_mov_b32 s16, exec_lo
	v_cndmask_b32_e64 v8, 0, 2, vcc_lo
	v_add_lshl_u32 v56, v8, v11, 2
	ds_bpermute_b32 v8, v56, v9
	ds_bpermute_b32 v58, v56, v10
	ds_bpermute_b32 v59, v56, v7
	v_cmpx_le_u32_e64 v57, v6
	s_cbranch_execz .LBB361_124
; %bb.123:
	v_mov_b32_e32 v7, 0
	v_and_b32_e32 v60, 1, v66
	s_waitcnt lgkmcnt(0)
	v_and_b32_e32 v59, 1, v59
	v_cmp_eq_u16_sdwa vcc_lo, v66, v7 src0_sel:BYTE_0 src1_sel:DWORD
	v_cmp_eq_u32_e64 s13, 1, v60
	v_cmp_eq_u32_e64 s14, 1, v59
	v_cndmask_b32_e32 v8, 0, v8, vcc_lo
	v_cndmask_b32_e32 v7, 0, v58, vcc_lo
	s_or_b32 s13, s13, s14
	v_cndmask_b32_e64 v66, 0, 1, s13
	v_add_co_u32 v9, vcc_lo, v8, v9
	v_add_co_ci_u32_e64 v10, null, v7, v10, vcc_lo
	v_cndmask_b32_e64 v7, 0, 1, s13
.LBB361_124:
	s_or_b32 exec_lo, exec_lo, s16
	v_cmp_gt_u32_e32 vcc_lo, 28, v11
	s_waitcnt lgkmcnt(0)
	v_add_nc_u32_e32 v59, 4, v11
	s_mov_b32 s16, exec_lo
	v_cndmask_b32_e64 v8, 0, 4, vcc_lo
	v_add_lshl_u32 v58, v8, v11, 2
	ds_bpermute_b32 v8, v58, v9
	ds_bpermute_b32 v60, v58, v10
	ds_bpermute_b32 v61, v58, v7
	v_cmpx_le_u32_e64 v59, v6
	s_cbranch_execz .LBB361_126
; %bb.125:
	v_mov_b32_e32 v7, 0
	v_and_b32_e32 v62, 1, v66
	s_waitcnt lgkmcnt(0)
	v_and_b32_e32 v61, 1, v61
	v_cmp_eq_u16_sdwa vcc_lo, v66, v7 src0_sel:BYTE_0 src1_sel:DWORD
	v_cmp_eq_u32_e64 s13, 1, v62
	v_cmp_eq_u32_e64 s14, 1, v61
	v_cndmask_b32_e32 v8, 0, v8, vcc_lo
	v_cndmask_b32_e32 v7, 0, v60, vcc_lo
	s_or_b32 s13, s13, s14
	v_cndmask_b32_e64 v66, 0, 1, s13
	v_add_co_u32 v9, vcc_lo, v8, v9
	v_add_co_ci_u32_e64 v10, null, v7, v10, vcc_lo
	v_cndmask_b32_e64 v7, 0, 1, s13
.LBB361_126:
	;; [unrolled: 28-line block ×3, first 2 shown]
	s_or_b32 exec_lo, exec_lo, s16
	s_waitcnt lgkmcnt(0)
	v_lshl_or_b32 v63, v11, 2, 64
	v_add_nc_u32_e32 v64, 16, v11
	s_mov_b32 s16, exec_lo
	ds_bpermute_b32 v8, v63, v9
	ds_bpermute_b32 v62, v63, v10
	;; [unrolled: 1-line block ×3, first 2 shown]
	v_cmpx_le_u32_e64 v64, v6
	s_cbranch_execz .LBB361_130
; %bb.129:
	v_mov_b32_e32 v6, 0
	s_waitcnt lgkmcnt(0)
	v_and_b32_e32 v7, 1, v7
	v_cmp_eq_u16_sdwa vcc_lo, v66, v6 src0_sel:BYTE_0 src1_sel:DWORD
	v_and_b32_e32 v6, 1, v66
	v_cmp_eq_u32_e64 s13, 1, v7
	v_cndmask_b32_e32 v62, 0, v62, vcc_lo
	v_cndmask_b32_e32 v8, 0, v8, vcc_lo
	v_cmp_eq_u32_e32 vcc_lo, 1, v6
	v_add_co_u32 v9, s14, v8, v9
	s_or_b32 s13, vcc_lo, s13
	v_add_co_ci_u32_e64 v10, null, v62, v10, s14
	v_cndmask_b32_e64 v66, 0, 1, s13
.LBB361_130:
	s_or_b32 exec_lo, exec_lo, s16
	v_mov_b32_e32 v6, 0
	v_mov_b32_e32 v65, 2
	s_branch .LBB361_133
.LBB361_131:                            ;   in Loop: Header=BB361_133 Depth=1
	s_or_b32 exec_lo, exec_lo, s28
	v_cmp_eq_u16_sdwa vcc_lo, v62, v6 src0_sel:BYTE_0 src1_sel:DWORD
	v_and_b32_e32 v66, 1, v62
	v_subrev_nc_u32_e32 v5, 32, v5
	v_cndmask_b32_e32 v9, 0, v9, vcc_lo
	v_cndmask_b32_e32 v10, 0, v10, vcc_lo
	v_cmp_eq_u32_e32 vcc_lo, 1, v66
	v_add_co_u32 v9, s13, v9, v7
	v_add_co_ci_u32_e64 v10, null, v10, v8, s13
	s_or_b32 s13, vcc_lo, s16
	v_cndmask_b32_e64 v66, 0, 1, s13
	s_mov_b32 s13, 0
.LBB361_132:                            ;   in Loop: Header=BB361_133 Depth=1
	s_and_b32 vcc_lo, exec_lo, s13
	s_cbranch_vccnz .LBB361_149
.LBB361_133:                            ; =>This Loop Header: Depth=1
                                        ;     Child Loop BB361_136 Depth 2
	v_cmp_ne_u16_sdwa s13, v52, v65 src0_sel:BYTE_0 src1_sel:DWORD
	s_waitcnt lgkmcnt(0)
	v_mov_b32_e32 v7, v9
	v_mov_b32_e32 v62, v66
	;; [unrolled: 1-line block ×3, first 2 shown]
                                        ; implicit-def: $vgpr66
                                        ; implicit-def: $vgpr9_vgpr10
                                        ; implicit-def: $vgpr52
	s_cmp_lg_u32 s13, exec_lo
	s_mov_b32 s13, -1
	s_cbranch_scc1 .LBB361_132
; %bb.134:                              ;   in Loop: Header=BB361_133 Depth=1
	global_load_ubyte v52, v5, s[24:25] glc dlc
	s_mov_b32 s13, exec_lo
	s_waitcnt vmcnt(0)
	v_cmpx_eq_u16_e32 0, v52
	s_cbranch_execz .LBB361_138
; %bb.135:                              ;   in Loop: Header=BB361_133 Depth=1
	v_add_co_u32 v9, s14, s24, v5
	v_add_co_ci_u32_e64 v10, null, s25, 0, s14
	s_mov_b32 s14, 0
.LBB361_136:                            ;   Parent Loop BB361_133 Depth=1
                                        ; =>  This Inner Loop Header: Depth=2
	global_load_ubyte v52, v[9:10], off glc dlc
	s_waitcnt vmcnt(0)
	v_cmp_ne_u16_e32 vcc_lo, 0, v52
	s_or_b32 s14, vcc_lo, s14
	s_andn2_b32 exec_lo, exec_lo, s14
	s_cbranch_execnz .LBB361_136
; %bb.137:                              ;   in Loop: Header=BB361_133 Depth=1
	s_or_b32 exec_lo, exec_lo, s14
.LBB361_138:                            ;   in Loop: Header=BB361_133 Depth=1
	s_or_b32 exec_lo, exec_lo, s13
	v_cmp_eq_u16_e32 vcc_lo, 1, v52
	v_mov_b32_e32 v67, s20
	v_mov_b32_e32 v66, s21
	v_lshlrev_b64 v[9:10], 4, v[5:6]
	buffer_gl1_inv
	buffer_gl0_inv
	s_mov_b32 s13, exec_lo
	v_cndmask_b32_e32 v67, s22, v67, vcc_lo
	v_cndmask_b32_e32 v66, s23, v66, vcc_lo
	v_add_co_u32 v9, vcc_lo, v67, v9
	v_add_co_ci_u32_e64 v10, null, v66, v10, vcc_lo
	v_cmp_eq_u16_e32 vcc_lo, 2, v52
	s_clause 0x1
	global_load_ubyte v67, v[9:10], off offset:8
	global_load_dwordx2 v[9:10], v[9:10], off
	v_and_or_b32 v66, vcc_lo, v55, 0x80000000
	v_ffbl_b32_e32 v66, v66
	s_waitcnt vmcnt(1)
	v_and_b32_e32 v68, 1, v67
	s_waitcnt vmcnt(0)
	ds_bpermute_b32 v69, v54, v9
	ds_bpermute_b32 v70, v54, v10
	;; [unrolled: 1-line block ×3, first 2 shown]
	v_cmpx_lt_u32_e64 v11, v66
	s_cbranch_execz .LBB361_140
; %bb.139:                              ;   in Loop: Header=BB361_133 Depth=1
	v_cmp_eq_u16_sdwa vcc_lo, v67, v6 src0_sel:BYTE_0 src1_sel:DWORD
	s_waitcnt lgkmcnt(0)
	v_and_b32_e32 v68, 1, v71
	v_cndmask_b32_e32 v69, 0, v69, vcc_lo
	v_cndmask_b32_e32 v70, 0, v70, vcc_lo
	v_or_b32_e32 v67, v68, v67
	v_add_co_u32 v9, vcc_lo, v69, v9
	v_add_co_ci_u32_e64 v10, null, v70, v10, vcc_lo
	v_and_b32_e32 v68, 0xff, v67
.LBB361_140:                            ;   in Loop: Header=BB361_133 Depth=1
	s_or_b32 exec_lo, exec_lo, s13
	s_waitcnt lgkmcnt(2)
	ds_bpermute_b32 v69, v56, v9
	s_waitcnt lgkmcnt(2)
	ds_bpermute_b32 v70, v56, v10
	;; [unrolled: 2-line block ×3, first 2 shown]
	v_and_b32_e32 v72, 1, v67
	s_mov_b32 s14, exec_lo
	v_cmp_eq_u32_e64 s16, 1, v72
	v_cmpx_le_u32_e64 v57, v66
	s_cbranch_execz .LBB361_142
; %bb.141:                              ;   in Loop: Header=BB361_133 Depth=1
	v_cmp_eq_u16_sdwa vcc_lo, v67, v6 src0_sel:BYTE_0 src1_sel:DWORD
	s_waitcnt lgkmcnt(0)
	v_and_b32_e32 v67, 1, v71
	v_cndmask_b32_e32 v69, 0, v69, vcc_lo
	v_cndmask_b32_e32 v68, 0, v70, vcc_lo
	v_cmp_eq_u32_e32 vcc_lo, 1, v67
	v_add_co_u32 v9, s13, v69, v9
	v_add_co_ci_u32_e64 v10, null, v68, v10, s13
	s_or_b32 s13, s16, vcc_lo
	s_andn2_b32 s16, s16, exec_lo
	v_cndmask_b32_e64 v67, 0, 1, s13
	v_cndmask_b32_e64 v68, 0, 1, s13
	s_and_b32 s13, s13, exec_lo
	s_or_b32 s16, s16, s13
.LBB361_142:                            ;   in Loop: Header=BB361_133 Depth=1
	s_or_b32 exec_lo, exec_lo, s14
	s_waitcnt lgkmcnt(2)
	ds_bpermute_b32 v69, v58, v9
	s_waitcnt lgkmcnt(2)
	ds_bpermute_b32 v70, v58, v10
	;; [unrolled: 2-line block ×3, first 2 shown]
	s_mov_b32 s28, exec_lo
	v_cmpx_le_u32_e64 v59, v66
	s_cbranch_execz .LBB361_144
; %bb.143:                              ;   in Loop: Header=BB361_133 Depth=1
	v_cmp_eq_u16_sdwa vcc_lo, v67, v6 src0_sel:BYTE_0 src1_sel:DWORD
	v_and_b32_e32 v67, 1, v67
	s_waitcnt lgkmcnt(0)
	v_and_b32_e32 v68, 1, v71
	v_cndmask_b32_e32 v70, 0, v70, vcc_lo
	v_cndmask_b32_e32 v69, 0, v69, vcc_lo
	v_cmp_eq_u32_e32 vcc_lo, 1, v67
	v_cmp_eq_u32_e64 s13, 1, v68
	v_add_co_u32 v9, s14, v69, v9
	s_or_b32 s13, vcc_lo, s13
	v_add_co_ci_u32_e64 v10, null, v70, v10, s14
	v_cndmask_b32_e64 v67, 0, 1, s13
	v_cndmask_b32_e64 v68, 0, 1, s13
	s_andn2_b32 s14, s16, exec_lo
	s_and_b32 s13, s13, exec_lo
	s_or_b32 s16, s14, s13
.LBB361_144:                            ;   in Loop: Header=BB361_133 Depth=1
	s_or_b32 exec_lo, exec_lo, s28
	s_waitcnt lgkmcnt(2)
	ds_bpermute_b32 v69, v60, v9
	s_waitcnt lgkmcnt(2)
	ds_bpermute_b32 v70, v60, v10
	;; [unrolled: 2-line block ×3, first 2 shown]
	s_mov_b32 s28, exec_lo
	v_cmpx_le_u32_e64 v61, v66
	s_cbranch_execz .LBB361_146
; %bb.145:                              ;   in Loop: Header=BB361_133 Depth=1
	v_cmp_eq_u16_sdwa vcc_lo, v67, v6 src0_sel:BYTE_0 src1_sel:DWORD
	v_and_b32_e32 v67, 1, v67
	s_waitcnt lgkmcnt(0)
	v_and_b32_e32 v68, 1, v71
	v_cndmask_b32_e32 v70, 0, v70, vcc_lo
	v_cndmask_b32_e32 v69, 0, v69, vcc_lo
	v_cmp_eq_u32_e32 vcc_lo, 1, v67
	v_cmp_eq_u32_e64 s13, 1, v68
	v_add_co_u32 v9, s14, v69, v9
	s_or_b32 s13, vcc_lo, s13
	v_add_co_ci_u32_e64 v10, null, v70, v10, s14
	v_cndmask_b32_e64 v67, 0, 1, s13
	v_cndmask_b32_e64 v68, 0, 1, s13
	s_andn2_b32 s14, s16, exec_lo
	s_and_b32 s13, s13, exec_lo
	s_or_b32 s16, s14, s13
.LBB361_146:                            ;   in Loop: Header=BB361_133 Depth=1
	s_or_b32 exec_lo, exec_lo, s28
	s_waitcnt lgkmcnt(2)
	ds_bpermute_b32 v69, v63, v9
	s_waitcnt lgkmcnt(2)
	ds_bpermute_b32 v70, v63, v10
	ds_bpermute_b32 v68, v63, v68
	s_mov_b32 s28, exec_lo
	v_cmpx_le_u32_e64 v64, v66
	s_cbranch_execz .LBB361_131
; %bb.147:                              ;   in Loop: Header=BB361_133 Depth=1
	v_cmp_eq_u16_sdwa vcc_lo, v67, v6 src0_sel:BYTE_0 src1_sel:DWORD
	v_and_b32_e32 v66, 1, v67
	s_waitcnt lgkmcnt(0)
	v_and_b32_e32 v67, 1, v68
	v_cndmask_b32_e32 v69, 0, v69, vcc_lo
	v_cndmask_b32_e32 v68, 0, v70, vcc_lo
	v_cmp_eq_u32_e32 vcc_lo, 1, v66
	v_cmp_eq_u32_e64 s13, 1, v67
	v_add_co_u32 v9, s14, v69, v9
	v_add_co_ci_u32_e64 v10, null, v68, v10, s14
	s_or_b32 s13, vcc_lo, s13
	s_andn2_b32 s14, s16, exec_lo
	s_and_b32 s13, s13, exec_lo
	s_or_b32 s16, s14, s13
	s_branch .LBB361_131
.LBB361_148:
                                        ; implicit-def: $vgpr51_vgpr52
                                        ; implicit-def: $vgpr3_vgpr4
                                        ; implicit-def: $vgpr73_vgpr74
                                        ; implicit-def: $vgpr69_vgpr70
                                        ; implicit-def: $vgpr65_vgpr66
                                        ; implicit-def: $vgpr59_vgpr60
                                        ; implicit-def: $vgpr61_vgpr62
                                        ; implicit-def: $vgpr71_vgpr72
                                        ; implicit-def: $vgpr67_vgpr68
                                        ; implicit-def: $vgpr63_vgpr64
                                        ; implicit-def: $vgpr57_vgpr58
                                        ; implicit-def: $vgpr55_vgpr56
                                        ; implicit-def: $vgpr53_vgpr54
	s_cbranch_execnz .LBB361_156
	s_branch .LBB361_183
.LBB361_149:
	s_and_saveexec_b32 s13, s12
	s_cbranch_execz .LBB361_151
; %bb.150:
	v_mov_b32_e32 v5, 0
	v_or_b32_e32 v6, v51, v62
	s_mov_b32 s21, 0
	s_add_i32 s20, s6, 32
	v_mov_b32_e32 v9, 2
	v_cmp_eq_u32_sdwa vcc_lo, v51, v5 src0_sel:BYTE_0 src1_sel:DWORD
	s_lshl_b64 s[28:29], s[20:21], 4
	v_mov_b32_e32 v52, s20
	v_and_b32_e32 v6, 1, v6
	s_add_u32 s20, s22, s28
	v_cndmask_b32_e32 v51, 0, v7, vcc_lo
	v_cndmask_b32_e32 v10, 0, v8, vcc_lo
	s_addc_u32 s21, s23, s29
	v_add_co_u32 v3, vcc_lo, v51, v3
	v_add_co_ci_u32_e64 v4, null, v10, v4, vcc_lo
	global_store_byte v5, v6, s[20:21] offset:8
	global_store_dwordx2 v5, v[3:4], s[20:21]
	s_waitcnt lgkmcnt(0)
	s_waitcnt_vscnt null, 0x0
	buffer_gl1_inv
	buffer_gl0_inv
	global_store_byte v52, v9, s[24:25]
.LBB361_151:
	s_or_b32 exec_lo, exec_lo, s13
	v_cmp_eq_u32_e32 vcc_lo, 0, v0
	s_and_b32 exec_lo, exec_lo, vcc_lo
	s_cbranch_execz .LBB361_153
; %bb.152:
	v_mov_b32_e32 v3, 0
	ds_write_b64 v3, v[7:8] offset:112
	ds_write_b8 v3, v62 offset:120
.LBB361_153:
	s_or_b32 exec_lo, exec_lo, s15
	v_mov_b32_e32 v3, 0
	s_waitcnt lgkmcnt(0)
	s_waitcnt_vscnt null, 0x0
	s_barrier
	buffer_gl0_inv
	s_mov_b32 s6, 0
	ds_read_b64 v[51:52], v3 offset:112
	s_mov_b32 s13, exec_lo
	v_cmpx_ne_u32_e32 0, v0
	s_cbranch_execz .LBB361_155
; %bb.154:
	v_cndmask_b32_e64 v4, v53, v22, s12
	v_cndmask_b32_e64 v1, v24, v1, s12
	;; [unrolled: 1-line block ×3, first 2 shown]
	v_cmp_eq_u16_sdwa vcc_lo, v4, v3 src0_sel:BYTE_0 src1_sel:DWORD
	s_waitcnt lgkmcnt(0)
	v_cndmask_b32_e32 v5, 0, v51, vcc_lo
	v_cndmask_b32_e32 v4, 0, v52, vcc_lo
	v_add_co_u32 v51, vcc_lo, v1, v5
	v_add_co_ci_u32_e64 v52, null, v2, v4, vcc_lo
.LBB361_155:
	s_or_b32 exec_lo, exec_lo, s13
	v_cmp_eq_u16_sdwa vcc_lo, v83, v3 src0_sel:BYTE_0 src1_sel:DWORD
	s_waitcnt lgkmcnt(0)
	v_cndmask_b32_e32 v2, 0, v51, vcc_lo
	v_cndmask_b32_e32 v1, 0, v52, vcc_lo
	v_add_co_u32 v53, vcc_lo, v2, v49
	v_add_co_ci_u32_e64 v54, null, v1, v50, vcc_lo
	v_cndmask_b32_e64 v1, 0, v53, s10
	v_cndmask_b32_e64 v2, 0, v54, s10
	v_add_co_u32 v55, vcc_lo, v1, v27
	v_add_co_ci_u32_e64 v56, null, v2, v28, vcc_lo
	v_cndmask_b32_e64 v1, 0, v55, s9
	v_cndmask_b32_e64 v2, 0, v56, s9
	;; [unrolled: 4-line block ×11, first 2 shown]
	s_and_b32 vcc_lo, exec_lo, s6
	s_cbranch_vccz .LBB361_183
.LBB361_156:
	s_cmp_eq_u64 s[38:39], 0
	v_mov_b32_e32 v1, s40
	s_cselect_b32 s0, -1, 0
	s_cmp_eq_u64 s[30:31], 0
	v_mov_b32_e32 v2, s41
	s_cselect_b32 s1, -1, 0
	s_or_b32 s0, s0, s1
	s_and_b32 vcc_lo, exec_lo, s0
	s_cbranch_vccnz .LBB361_158
; %bb.157:
	v_mov_b32_e32 v1, 0
	global_load_dwordx2 v[1:2], v1, s[30:31]
.LBB361_158:
	v_mov_b32_e32 v3, 0
	v_cmp_eq_u32_e64 s11, 1, v21
	v_cmp_eq_u32_e64 s13, 1, v19
	;; [unrolled: 1-line block ×4, first 2 shown]
	v_cmp_eq_u16_sdwa s8, v88, v3 src0_sel:BYTE_0 src1_sel:DWORD
	v_cmp_eq_u16_sdwa s7, v87, v3 src0_sel:BYTE_0 src1_sel:DWORD
	;; [unrolled: 1-line block ×5, first 2 shown]
	v_cndmask_b32_e64 v5, 0, v49, s8
	v_cndmask_b32_e64 v4, 0, v50, s8
	v_cmp_eq_u16_sdwa s2, v82, v3 src0_sel:BYTE_0 src1_sel:DWORD
	v_cmp_eq_u16_sdwa s3, v81, v3 src0_sel:BYTE_0 src1_sel:DWORD
	;; [unrolled: 1-line block ×3, first 2 shown]
	v_add_co_u32 v5, vcc_lo, v5, v27
	v_add_co_ci_u32_e64 v4, null, v4, v28, vcc_lo
	v_cmp_ne_u16_sdwa s15, v13, v3 src0_sel:BYTE_0 src1_sel:DWORD
	v_cndmask_b32_e64 v5, 0, v5, s7
	v_cmp_ne_u16_sdwa s20, v16, v3 src0_sel:BYTE_0 src1_sel:DWORD
	v_cndmask_b32_e64 v4, 0, v4, s7
	v_cmp_ne_u16_sdwa s21, v14, v3 src0_sel:BYTE_0 src1_sel:DWORD
	v_cmp_ne_u16_sdwa s16, v15, v3 src0_sel:BYTE_0 src1_sel:DWORD
	v_add_co_u32 v5, vcc_lo, v5, v47
	v_add_co_ci_u32_e64 v4, null, v4, v48, vcc_lo
	s_or_b32 s15, s15, s11
	v_cndmask_b32_e64 v5, 0, v5, s5
	s_or_b32 s11, s20, s13
	v_cndmask_b32_e64 v4, 0, v4, s5
	s_or_b32 s13, s21, s14
	s_or_b32 s12, s16, s12
	v_add_co_u32 v5, vcc_lo, v5, v45
	v_add_co_ci_u32_e64 v4, null, v4, v46, vcc_lo
	s_or_b32 s13, s13, s11
	v_cndmask_b32_e64 v5, 0, v5, s6
	v_cmp_eq_u32_e64 s10, 1, v20
	v_cndmask_b32_e64 v4, 0, v4, s6
	s_or_b32 s12, s13, s12
	s_or_b32 s12, s12, s15
	v_add_co_u32 v5, vcc_lo, v5, v43
	v_add_co_ci_u32_e64 v4, null, v4, v44, vcc_lo
	v_cndmask_b32_e64 v5, 0, v5, s4
	v_cndmask_b32_e64 v4, 0, v4, s4
	v_add_co_u32 v5, vcc_lo, v5, v41
	v_add_co_ci_u32_e64 v4, null, v4, v42, vcc_lo
	v_cndmask_b32_e64 v5, 0, v5, s2
	v_cndmask_b32_e64 v4, 0, v4, s2
	;; [unrolled: 4-line block ×4, first 2 shown]
	v_add_co_u32 v5, vcc_lo, v5, v33
	v_add_co_ci_u32_e64 v4, null, v4, v34, vcc_lo
	v_cmp_eq_u16_sdwa vcc_lo, v79, v3 src0_sel:BYTE_0 src1_sel:DWORD
	v_cndmask_b32_e32 v5, 0, v5, vcc_lo
	v_cndmask_b32_e32 v4, 0, v4, vcc_lo
	v_add_co_u32 v5, s1, v5, v31
	v_add_co_ci_u32_e64 v4, null, v4, v32, s1
	v_cmp_eq_u16_sdwa s1, v78, v3 src0_sel:BYTE_0 src1_sel:DWORD
	v_cndmask_b32_e64 v5, 0, v5, s1
	v_cndmask_b32_e64 v4, 0, v4, s1
	v_add_co_u32 v5, s9, v5, v29
	v_add_co_ci_u32_e64 v4, null, v4, v30, s9
	v_cmp_eq_u16_sdwa s9, v77, v3 src0_sel:BYTE_0 src1_sel:DWORD
	v_cndmask_b32_e64 v3, 0, v4, s9
	v_cndmask_b32_e64 v4, 0, v5, s9
	v_add_co_u32 v4, s11, v4, v25
	v_add_co_ci_u32_e64 v3, null, v3, v26, s11
	v_cmp_eq_u16_e64 s11, 0, v12
	v_cndmask_b32_e64 v5, 0, v3, s11
	v_cndmask_b32_e64 v3, 0, v4, s11
	s_or_b32 s11, s12, s10
	s_mov_b32 s12, exec_lo
	v_cndmask_b32_e64 v6, 0, 1, s11
	v_cndmask_b32_e64 v7, 0, 1, s11
	v_add_co_u32 v3, s10, v3, v39
	v_add_co_ci_u32_e64 v4, null, v5, v40, s10
	v_and_b32_e32 v5, 15, v11
	v_mov_b32_dpp v10, v6 row_shr:1 row_mask:0xf bank_mask:0xf
	v_mov_b32_dpp v8, v3 row_shr:1 row_mask:0xf bank_mask:0xf
	v_mov_b32_dpp v9, v4 row_shr:1 row_mask:0xf bank_mask:0xf
	v_cmpx_ne_u32_e32 0, v5
	s_cbranch_execz .LBB361_160
; %bb.159:
	v_and_b32_e32 v6, 1, v10
	v_cndmask_b32_e64 v8, v8, 0, s11
	v_cndmask_b32_e64 v9, v9, 0, s11
	v_or_b32_e32 v7, v6, v7
	v_add_co_u32 v3, s10, v8, v3
	v_add_co_ci_u32_e64 v4, null, v9, v4, s10
	v_and_b32_e32 v6, 0xffff, v7
.LBB361_160:
	s_or_b32 exec_lo, exec_lo, s12
	v_mov_b32_dpp v8, v3 row_shr:2 row_mask:0xf bank_mask:0xf
	v_mov_b32_dpp v9, v4 row_shr:2 row_mask:0xf bank_mask:0xf
	v_mov_b32_dpp v10, v6 row_shr:2 row_mask:0xf bank_mask:0xf
	s_mov_b32 s13, exec_lo
	v_cmpx_lt_u32_e32 1, v5
	s_cbranch_execz .LBB361_162
; %bb.161:
	v_cmp_eq_u16_e64 s10, 0, v7
	v_and_b32_e32 v6, 1, v7
	v_and_b32_e32 v7, 1, v10
	v_cndmask_b32_e64 v9, 0, v9, s10
	v_cndmask_b32_e64 v8, 0, v8, s10
	v_cmp_eq_u32_e64 s10, 1, v6
	v_cmp_eq_u32_e64 s11, 1, v7
	v_add_co_u32 v3, s12, v8, v3
	s_or_b32 s10, s10, s11
	v_add_co_ci_u32_e64 v4, null, v9, v4, s12
	v_cndmask_b32_e64 v7, 0, 1, s10
	v_cndmask_b32_e64 v6, 0, 1, s10
.LBB361_162:
	s_or_b32 exec_lo, exec_lo, s13
	v_mov_b32_dpp v8, v3 row_shr:4 row_mask:0xf bank_mask:0xf
	v_mov_b32_dpp v9, v4 row_shr:4 row_mask:0xf bank_mask:0xf
	v_mov_b32_dpp v10, v6 row_shr:4 row_mask:0xf bank_mask:0xf
	s_mov_b32 s13, exec_lo
	v_cmpx_lt_u32_e32 3, v5
	s_cbranch_execz .LBB361_164
; %bb.163:
	v_cmp_eq_u16_e64 s10, 0, v7
	v_and_b32_e32 v6, 1, v7
	v_and_b32_e32 v7, 1, v10
	v_cndmask_b32_e64 v9, 0, v9, s10
	v_cndmask_b32_e64 v8, 0, v8, s10
	v_cmp_eq_u32_e64 s10, 1, v6
	v_cmp_eq_u32_e64 s11, 1, v7
	v_add_co_u32 v3, s12, v8, v3
	s_or_b32 s10, s10, s11
	v_add_co_ci_u32_e64 v4, null, v9, v4, s12
	v_cndmask_b32_e64 v7, 0, 1, s10
	v_cndmask_b32_e64 v6, 0, 1, s10
.LBB361_164:
	;; [unrolled: 21-line block ×3, first 2 shown]
	s_or_b32 exec_lo, exec_lo, s13
	ds_swizzle_b32 v5, v3 offset:swizzle(BROADCAST,32,15)
	ds_swizzle_b32 v8, v4 offset:swizzle(BROADCAST,32,15)
	;; [unrolled: 1-line block ×3, first 2 shown]
	v_and_b32_e32 v9, 16, v11
	s_mov_b32 s13, exec_lo
	v_cmpx_ne_u32_e32 0, v9
	s_cbranch_execz .LBB361_168
; %bb.167:
	v_cmp_eq_u16_e64 s10, 0, v7
	v_and_b32_e32 v7, 1, v7
	s_waitcnt lgkmcnt(0)
	v_and_b32_e32 v6, 1, v6
	v_cndmask_b32_e64 v8, 0, v8, s10
	v_cndmask_b32_e64 v5, 0, v5, s10
	v_cmp_eq_u32_e64 s10, 1, v7
	v_cmp_eq_u32_e64 s11, 1, v6
	v_add_co_u32 v3, s12, v5, v3
	s_or_b32 s10, s10, s11
	v_add_co_ci_u32_e64 v4, null, v8, v4, s12
	v_cndmask_b32_e64 v7, 0, 1, s10
.LBB361_168:
	s_or_b32 exec_lo, exec_lo, s13
	s_waitcnt lgkmcnt(0)
	v_lshrrev_b32_e32 v6, 5, v0
	v_or_b32_e32 v5, 31, v0
	s_mov_b32 s11, exec_lo
	v_lshlrev_b32_e32 v8, 4, v6
	v_cmpx_eq_u32_e64 v0, v5
	s_cbranch_execz .LBB361_170
; %bb.169:
	ds_write_b64 v8, v[3:4]
	ds_write_b8 v8, v7 offset:8
.LBB361_170:
	s_or_b32 exec_lo, exec_lo, s11
	s_mov_b32 s13, exec_lo
	s_waitcnt vmcnt(0) lgkmcnt(0)
	s_barrier
	buffer_gl0_inv
	v_cmpx_gt_u32_e32 8, v0
	s_cbranch_execz .LBB361_178
; %bb.171:
	v_lshlrev_b32_e32 v9, 4, v0
	v_and_b32_e32 v10, 7, v11
	s_mov_b32 s11, exec_lo
	ds_read_b64 v[5:6], v9
	ds_read_b32 v15, v9 offset:8
	s_waitcnt lgkmcnt(1)
	v_mov_b32_dpp v16, v5 row_shr:1 row_mask:0xf bank_mask:0xf
	v_mov_b32_dpp v17, v6 row_shr:1 row_mask:0xf bank_mask:0xf
	s_waitcnt lgkmcnt(0)
	v_and_b32_e32 v13, 0xffffff00, v15
	v_mov_b32_dpp v18, v15 row_shr:1 row_mask:0xf bank_mask:0xf
	v_mov_b32_e32 v14, v15
	v_mov_b32_e32 v12, v15
	v_cmpx_ne_u32_e32 0, v10
	s_cbranch_execz .LBB361_173
; %bb.172:
	v_mov_b32_e32 v12, 0
	v_cmp_eq_u16_sdwa s10, v15, v12 src0_sel:BYTE_0 src1_sel:DWORD
	v_or_b32_e32 v12, v18, v15
	v_cndmask_b32_e64 v16, 0, v16, s10
	v_cndmask_b32_e64 v15, 0, v17, s10
	v_and_b32_e32 v14, 1, v12
	v_and_b32_e32 v12, 1, v12
	v_add_co_u32 v5, s10, v16, v5
	v_add_co_ci_u32_e64 v6, null, v15, v6, s10
	v_or_b32_e32 v15, v12, v13
.LBB361_173:
	s_or_b32 exec_lo, exec_lo, s11
	v_mov_b32_dpp v16, v5 row_shr:2 row_mask:0xf bank_mask:0xf
	v_mov_b32_dpp v17, v6 row_shr:2 row_mask:0xf bank_mask:0xf
	;; [unrolled: 1-line block ×3, first 2 shown]
	s_mov_b32 s14, exec_lo
	v_cmpx_lt_u32_e32 1, v10
	s_cbranch_execz .LBB361_175
; %bb.174:
	v_mov_b32_e32 v14, 0
	v_and_b32_e32 v15, 1, v12
	v_and_b32_e32 v18, 1, v18
	v_cmp_eq_u16_sdwa s10, v12, v14 src0_sel:BYTE_0 src1_sel:DWORD
	v_cmp_eq_u32_e64 s11, 1, v15
	v_cmp_eq_u32_e64 s12, 1, v18
	v_cndmask_b32_e64 v12, 0, v17, s10
	v_cndmask_b32_e64 v15, 0, v16, s10
	s_or_b32 s10, s11, s12
	v_cndmask_b32_e64 v14, 0, 1, s10
	v_cndmask_b32_e64 v16, 0, 1, s10
	v_add_co_u32 v5, s10, v15, v5
	v_add_co_ci_u32_e64 v6, null, v12, v6, s10
	v_or_b32_e32 v15, v13, v16
	v_mov_b32_e32 v12, v14
.LBB361_175:
	s_or_b32 exec_lo, exec_lo, s14
	v_mov_b32_dpp v13, v5 row_shr:4 row_mask:0xf bank_mask:0xf
	v_mov_b32_dpp v16, v6 row_shr:4 row_mask:0xf bank_mask:0xf
	;; [unrolled: 1-line block ×3, first 2 shown]
	s_mov_b32 s14, exec_lo
	v_cmpx_lt_u32_e32 3, v10
	s_cbranch_execz .LBB361_177
; %bb.176:
	v_mov_b32_e32 v10, 0
	v_cmp_eq_u16_sdwa s10, v12, v10 src0_sel:BYTE_0 src1_sel:DWORD
	v_and_b32_e32 v10, 1, v12
	v_and_b32_e32 v12, 1, v15
	v_cndmask_b32_e64 v14, 0, v16, s10
	v_cndmask_b32_e64 v13, 0, v13, s10
	v_cmp_eq_u32_e64 s10, 1, v10
	v_cmp_eq_u32_e64 s11, 1, v12
	v_add_co_u32 v5, s12, v13, v5
	s_or_b32 s10, s10, s11
	v_add_co_ci_u32_e64 v6, null, v14, v6, s12
	v_cndmask_b32_e64 v14, 0, 1, s10
.LBB361_177:
	s_or_b32 exec_lo, exec_lo, s14
	ds_write_b64 v9, v[5:6]
	ds_write_b8 v9, v14 offset:8
.LBB361_178:
	s_or_b32 exec_lo, exec_lo, s13
	v_mov_b32_e32 v6, v2
	v_mov_b32_e32 v5, v1
	s_mov_b32 s11, exec_lo
	s_waitcnt lgkmcnt(0)
	s_barrier
	buffer_gl0_inv
	v_cmpx_lt_u32_e32 31, v0
	s_cbranch_execz .LBB361_180
; %bb.179:
	v_add_nc_u32_e32 v5, -8, v8
	ds_read_u8 v9, v5
	v_add_nc_u32_e32 v5, -16, v8
	ds_read_b64 v[5:6], v5
	s_waitcnt lgkmcnt(1)
	v_cmp_eq_u16_e64 s10, 0, v9
	v_cndmask_b32_e64 v9, 0, v1, s10
	v_cndmask_b32_e64 v8, 0, v2, s10
	s_waitcnt lgkmcnt(0)
	v_add_co_u32 v5, s10, v9, v5
	v_add_co_ci_u32_e64 v6, null, v8, v6, s10
.LBB361_180:
	s_or_b32 exec_lo, exec_lo, s11
	v_cmp_eq_u16_e64 s10, 0, v7
	v_sub_co_u32 v7, s11, v11, 1
	v_cndmask_b32_e64 v8, 0, v6, s10
	v_cndmask_b32_e64 v9, 0, v5, s10
	v_cmp_gt_i32_e64 s10, 0, v7
	v_cndmask_b32_e64 v7, v7, v11, s10
	v_add_co_u32 v3, s10, v9, v3
	v_add_co_ci_u32_e64 v4, null, v8, v4, s10
	v_lshlrev_b32_e32 v7, 2, v7
	v_cmp_eq_u32_e64 s10, 0, v0
	ds_bpermute_b32 v3, v7, v3
	ds_bpermute_b32 v4, v7, v4
	s_waitcnt lgkmcnt(1)
	v_cndmask_b32_e64 v51, v3, v5, s11
	v_mov_b32_e32 v5, 0
	s_waitcnt lgkmcnt(0)
	v_cndmask_b32_e64 v52, v4, v6, s11
	v_cndmask_b32_e64 v3, v51, v1, s10
	v_cmp_eq_u16_sdwa s11, v83, v5 src0_sel:BYTE_0 src1_sel:DWORD
	v_cndmask_b32_e64 v4, v52, v2, s10
	v_cndmask_b32_e64 v3, 0, v3, s11
	;; [unrolled: 1-line block ×3, first 2 shown]
	v_add_co_u32 v53, s11, v3, v49
	v_add_co_ci_u32_e64 v54, null, v4, v50, s11
	v_cndmask_b32_e64 v3, 0, v53, s8
	v_cndmask_b32_e64 v4, 0, v54, s8
	v_add_co_u32 v55, s8, v3, v27
	v_add_co_ci_u32_e64 v56, null, v4, v28, s8
	v_cndmask_b32_e64 v3, 0, v55, s7
	v_cndmask_b32_e64 v4, 0, v56, s7
	;; [unrolled: 4-line block ×8, first 2 shown]
	v_add_co_u32 v69, s0, v3, v33
	v_add_co_ci_u32_e64 v70, null, v4, v34, s0
	v_cndmask_b32_e32 v3, 0, v69, vcc_lo
	v_cndmask_b32_e32 v4, 0, v70, vcc_lo
	v_add_co_u32 v71, vcc_lo, v3, v31
	v_add_co_ci_u32_e64 v72, null, v4, v32, vcc_lo
	v_cndmask_b32_e64 v3, 0, v71, s1
	v_cndmask_b32_e64 v4, 0, v72, s1
	v_add_co_u32 v73, vcc_lo, v3, v29
	v_add_co_ci_u32_e64 v74, null, v4, v30, vcc_lo
	v_cndmask_b32_e64 v3, 0, v73, s9
	v_cndmask_b32_e64 v4, 0, v74, s9
	s_and_saveexec_b32 s0, s10
	s_cbranch_execz .LBB361_182
; %bb.181:
	ds_read_u8 v8, v5 offset:120
	ds_read_b64 v[6:7], v5 offset:112
	v_mov_b32_e32 v52, v2
	v_mov_b32_e32 v51, v1
	s_waitcnt lgkmcnt(1)
	v_cmp_eq_u32_sdwa vcc_lo, v8, v5 src0_sel:WORD_0 src1_sel:DWORD
	v_cndmask_b32_e32 v10, 0, v1, vcc_lo
	v_cndmask_b32_e32 v9, 0, v2, vcc_lo
	s_waitcnt lgkmcnt(0)
	v_add_co_u32 v6, vcc_lo, v10, v6
	v_add_co_ci_u32_e64 v7, null, v9, v7, vcc_lo
	v_mov_b32_e32 v9, 2
	global_store_byte v5, v8, s[22:23] offset:520
	global_store_dwordx2 v5, v[6:7], s[22:23] offset:512
	s_waitcnt_vscnt null, 0x0
	buffer_gl1_inv
	buffer_gl0_inv
	global_store_byte v5, v9, s[24:25] offset:32
.LBB361_182:
	s_or_b32 exec_lo, exec_lo, s0
.LBB361_183:
	v_add_co_u32 v25, vcc_lo, v3, v25
	s_add_u32 s0, s18, s34
	v_add_co_ci_u32_e64 v26, null, v4, v26, vcc_lo
	s_addc_u32 s1, s19, s35
	s_add_u32 s0, s0, s36
	s_addc_u32 s1, s1, s37
	s_and_b32 vcc_lo, exec_lo, s17
	s_cbranch_vccz .LBB361_227
; %bb.184:
	v_mul_u32_u24_e32 v1, 13, v0
	s_add_i32 s27, s27, s26
	s_mov_b32 s2, exec_lo
	v_cmpx_gt_u32_e64 s27, v1
	s_cbranch_execz .LBB361_202
; %bb.185:
	v_add_nc_u32_e32 v2, 1, v1
	s_mov_b32 s3, exec_lo
	v_cmpx_gt_u32_e64 s27, v2
	s_cbranch_execz .LBB361_201
; %bb.186:
	v_add_nc_u32_e32 v2, 2, v1
	;; [unrolled: 5-line block ×8, first 2 shown]
	s_mov_b32 s10, exec_lo
	v_cmpx_gt_u32_e64 s27, v2
; %bb.193:
	v_add_nc_u32_e32 v2, 9, v1
	s_mov_b32 s11, exec_lo
	v_cmpx_gt_u32_e64 s27, v2
	s_or_b32 exec_lo, exec_lo, s11
; %bb.194:
	s_or_b32 exec_lo, exec_lo, s10
.LBB361_195:
	s_or_b32 exec_lo, exec_lo, s9
.LBB361_196:
	s_or_b32 exec_lo, exec_lo, s8
.LBB361_197:
	s_or_b32 exec_lo, exec_lo, s7
.LBB361_198:
	s_or_b32 exec_lo, exec_lo, s6
.LBB361_199:
	s_or_b32 exec_lo, exec_lo, s5
.LBB361_200:
	s_or_b32 exec_lo, exec_lo, s4
.LBB361_201:
	s_or_b32 exec_lo, exec_lo, s3
.LBB361_202:
	s_or_b32 exec_lo, exec_lo, s2
	v_lshlrev_b32_e32 v29, 3, v1
	s_waitcnt_vscnt null, 0x0
	s_barrier
	buffer_gl0_inv
	v_add_co_u32 v27, s2, s0, v75
	v_mad_i32_i24 v1, 0xffffffa0, v0, v29
	ds_write2_b64 v29, v[51:52], v[53:54] offset1:1
	ds_write2_b64 v29, v[55:56], v[61:62] offset0:2 offset1:3
	ds_write2_b64 v29, v[57:58], v[59:60] offset0:4 offset1:5
	;; [unrolled: 1-line block ×5, first 2 shown]
	ds_write_b64 v29, v[25:26] offset:96
	s_waitcnt lgkmcnt(0)
	s_barrier
	buffer_gl0_inv
	ds_read2st64_b64 v[21:24], v1 offset0:4 offset1:8
	ds_read2st64_b64 v[17:20], v1 offset0:12 offset1:16
	;; [unrolled: 1-line block ×6, first 2 shown]
	v_add_co_ci_u32_e64 v28, null, s1, 0, s2
	s_mov_b32 s2, exec_lo
	v_cmpx_gt_u32_e64 s27, v0
	s_cbranch_execz .LBB361_204
; %bb.203:
	v_mul_i32_i24_e32 v30, 0xffffffa0, v0
	v_add_nc_u32_e32 v29, v29, v30
	ds_read_b64 v[29:30], v29
	s_waitcnt lgkmcnt(0)
	flat_store_dwordx2 v[27:28], v[29:30]
.LBB361_204:
	s_or_b32 exec_lo, exec_lo, s2
	v_or_b32_e32 v29, 0x100, v0
	s_mov_b32 s2, exec_lo
	v_cmpx_gt_u32_e64 s27, v29
	s_cbranch_execz .LBB361_206
; %bb.205:
	v_add_co_u32 v29, vcc_lo, 0x800, v27
	v_add_co_ci_u32_e64 v30, null, 0, v28, vcc_lo
	s_waitcnt lgkmcnt(5)
	flat_store_dwordx2 v[29:30], v[21:22]
.LBB361_206:
	s_or_b32 exec_lo, exec_lo, s2
	s_waitcnt lgkmcnt(5)
	v_or_b32_e32 v21, 0x200, v0
	s_mov_b32 s2, exec_lo
	v_cmpx_gt_u32_e64 s27, v21
	s_cbranch_execz .LBB361_208
; %bb.207:
	v_add_co_u32 v21, vcc_lo, 0x1000, v27
	v_add_co_ci_u32_e64 v22, null, 0, v28, vcc_lo
	flat_store_dwordx2 v[21:22], v[23:24]
.LBB361_208:
	s_or_b32 exec_lo, exec_lo, s2
	v_or_b32_e32 v21, 0x300, v0
	s_mov_b32 s2, exec_lo
	v_cmpx_gt_u32_e64 s27, v21
	s_cbranch_execz .LBB361_210
; %bb.209:
	v_add_co_u32 v21, vcc_lo, 0x1800, v27
	v_add_co_ci_u32_e64 v22, null, 0, v28, vcc_lo
	s_waitcnt lgkmcnt(4)
	flat_store_dwordx2 v[21:22], v[17:18]
.LBB361_210:
	s_or_b32 exec_lo, exec_lo, s2
	s_waitcnt lgkmcnt(4)
	v_or_b32_e32 v17, 0x400, v0
	s_mov_b32 s2, exec_lo
	v_cmpx_gt_u32_e64 s27, v17
	s_cbranch_execz .LBB361_212
; %bb.211:
	v_add_co_u32 v17, vcc_lo, 0x2000, v27
	v_add_co_ci_u32_e64 v18, null, 0, v28, vcc_lo
	flat_store_dwordx2 v[17:18], v[19:20]
.LBB361_212:
	;; [unrolled: 22-line block ×5, first 2 shown]
	s_or_b32 exec_lo, exec_lo, s2
	v_or_b32_e32 v5, 0xb00, v0
	s_mov_b32 s2, exec_lo
	v_cmpx_gt_u32_e64 s27, v5
	s_cbranch_execz .LBB361_226
; %bb.225:
	v_add_co_u32 v5, vcc_lo, 0x5800, v27
	v_add_co_ci_u32_e64 v6, null, 0, v28, vcc_lo
	s_waitcnt lgkmcnt(0)
	flat_store_dwordx2 v[5:6], v[1:2]
.LBB361_226:
	s_or_b32 exec_lo, exec_lo, s2
	s_waitcnt lgkmcnt(0)
	v_or_b32_e32 v1, 0xc00, v0
	v_cmp_gt_u32_e64 s2, s27, v1
	s_branch .LBB361_229
.LBB361_227:
	s_mov_b32 s2, 0
                                        ; implicit-def: $vgpr3_vgpr4
	s_cbranch_execz .LBB361_229
; %bb.228:
	v_mul_i32_i24_e32 v2, 0xffffffa0, v0
	v_mul_u32_u24_e32 v1, 0x68, v0
	s_waitcnt_vscnt null, 0x0
	s_barrier
	buffer_gl0_inv
	v_mad_u32_u24 v3, 0x68, v0, v2
	ds_write2_b64 v1, v[51:52], v[53:54] offset1:1
	ds_write2_b64 v1, v[55:56], v[61:62] offset0:2 offset1:3
	ds_write2_b64 v1, v[57:58], v[59:60] offset0:4 offset1:5
	;; [unrolled: 1-line block ×5, first 2 shown]
	ds_write_b64 v1, v[25:26] offset:96
	s_waitcnt lgkmcnt(0)
	s_barrier
	buffer_gl0_inv
	ds_read2st64_b64 v[5:8], v3 offset1:4
	ds_read2st64_b64 v[9:12], v3 offset0:8 offset1:12
	ds_read2st64_b64 v[13:16], v3 offset0:16 offset1:20
	;; [unrolled: 1-line block ×3, first 2 shown]
	v_add_co_u32 v1, s3, s0, v75
	v_add_co_ci_u32_e64 v2, null, s1, 0, s3
	ds_read2st64_b64 v[21:24], v3 offset0:32 offset1:36
	v_add_co_u32 v29, vcc_lo, 0x800, v1
	v_add_co_ci_u32_e64 v30, null, 0, v2, vcc_lo
	v_add_co_u32 v31, vcc_lo, 0x1000, v1
	v_add_co_ci_u32_e64 v32, null, 0, v2, vcc_lo
	ds_read2st64_b64 v[25:28], v3 offset0:40 offset1:44
	ds_read_b64 v[3:4], v3 offset:24576
	s_or_b32 s2, s2, exec_lo
	s_waitcnt lgkmcnt(6)
	flat_store_dwordx2 v[1:2], v[5:6]
	flat_store_dwordx2 v[29:30], v[7:8]
	s_waitcnt lgkmcnt(7)
	flat_store_dwordx2 v[31:32], v[9:10]
	v_add_co_u32 v5, vcc_lo, 0x1800, v1
	v_add_co_ci_u32_e64 v6, null, 0, v2, vcc_lo
	v_add_co_u32 v7, vcc_lo, 0x2000, v1
	v_add_co_ci_u32_e64 v8, null, 0, v2, vcc_lo
	v_add_co_u32 v9, vcc_lo, 0x2800, v1
	v_add_co_ci_u32_e64 v10, null, 0, v2, vcc_lo
	v_add_co_u32 v29, vcc_lo, 0x3000, v1
	v_add_co_ci_u32_e64 v30, null, 0, v2, vcc_lo
	v_add_co_u32 v31, vcc_lo, 0x3800, v1
	v_add_co_ci_u32_e64 v32, null, 0, v2, vcc_lo
	flat_store_dwordx2 v[5:6], v[11:12]
	s_waitcnt lgkmcnt(8)
	flat_store_dwordx2 v[7:8], v[13:14]
	flat_store_dwordx2 v[9:10], v[15:16]
	s_waitcnt lgkmcnt(9)
	flat_store_dwordx2 v[29:30], v[17:18]
	flat_store_dwordx2 v[31:32], v[19:20]
	v_add_co_u32 v5, vcc_lo, 0x4000, v1
	v_add_co_ci_u32_e64 v6, null, 0, v2, vcc_lo
	v_add_co_u32 v7, vcc_lo, 0x4800, v1
	v_add_co_ci_u32_e64 v8, null, 0, v2, vcc_lo
	v_add_co_u32 v9, vcc_lo, 0x5000, v1
	v_add_co_ci_u32_e64 v10, null, 0, v2, vcc_lo
	v_add_co_u32 v1, vcc_lo, 0x5800, v1
	v_add_co_ci_u32_e64 v2, null, 0, v2, vcc_lo
	s_waitcnt lgkmcnt(10)
	flat_store_dwordx2 v[5:6], v[21:22]
	flat_store_dwordx2 v[7:8], v[23:24]
	s_waitcnt lgkmcnt(11)
	flat_store_dwordx2 v[9:10], v[25:26]
	flat_store_dwordx2 v[1:2], v[27:28]
.LBB361_229:
	s_and_saveexec_b32 s3, s2
	s_cbranch_execz .LBB361_231
; %bb.230:
	v_lshlrev_b32_e32 v0, 3, v0
	v_add_co_u32 v0, s0, s0, v0
	v_add_co_ci_u32_e64 v1, null, s1, 0, s0
	v_add_co_u32 v0, vcc_lo, 0x6000, v0
	v_add_co_ci_u32_e64 v1, null, 0, v1, vcc_lo
	s_waitcnt lgkmcnt(12)
	flat_store_dwordx2 v[0:1], v[3:4]
	s_endpgm
.LBB361_231:
	s_endpgm
	.section	.rodata,"a",@progbits
	.p2align	6, 0x0
	.amdhsa_kernel _ZN7rocprim17ROCPRIM_400000_NS6detail17trampoline_kernelINS0_14default_configENS1_27scan_by_key_config_selectorIxxEEZZNS1_16scan_by_key_implILNS1_25lookback_scan_determinismE0ELb1ES3_N6thrust23THRUST_200600_302600_NS6detail15normal_iteratorINS9_10device_ptrIxEEEESE_SE_xNS9_4plusIvEENS9_8equal_toIvEExEE10hipError_tPvRmT2_T3_T4_T5_mT6_T7_P12ihipStream_tbENKUlT_T0_E_clISt17integral_constantIbLb0EESZ_EEDaSU_SV_EUlSU_E_NS1_11comp_targetILNS1_3genE8ELNS1_11target_archE1030ELNS1_3gpuE2ELNS1_3repE0EEENS1_30default_config_static_selectorELNS0_4arch9wavefront6targetE0EEEvT1_
		.amdhsa_group_segment_fixed_size 30720
		.amdhsa_private_segment_fixed_size 0
		.amdhsa_kernarg_size 136
		.amdhsa_user_sgpr_count 6
		.amdhsa_user_sgpr_private_segment_buffer 1
		.amdhsa_user_sgpr_dispatch_ptr 0
		.amdhsa_user_sgpr_queue_ptr 0
		.amdhsa_user_sgpr_kernarg_segment_ptr 1
		.amdhsa_user_sgpr_dispatch_id 0
		.amdhsa_user_sgpr_flat_scratch_init 0
		.amdhsa_user_sgpr_private_segment_size 0
		.amdhsa_wavefront_size32 1
		.amdhsa_uses_dynamic_stack 0
		.amdhsa_system_sgpr_private_segment_wavefront_offset 0
		.amdhsa_system_sgpr_workgroup_id_x 1
		.amdhsa_system_sgpr_workgroup_id_y 0
		.amdhsa_system_sgpr_workgroup_id_z 0
		.amdhsa_system_sgpr_workgroup_info 0
		.amdhsa_system_vgpr_workitem_id 0
		.amdhsa_next_free_vgpr 113
		.amdhsa_next_free_sgpr 55
		.amdhsa_reserve_vcc 1
		.amdhsa_reserve_flat_scratch 1
		.amdhsa_float_round_mode_32 0
		.amdhsa_float_round_mode_16_64 0
		.amdhsa_float_denorm_mode_32 3
		.amdhsa_float_denorm_mode_16_64 3
		.amdhsa_dx10_clamp 1
		.amdhsa_ieee_mode 1
		.amdhsa_fp16_overflow 0
		.amdhsa_workgroup_processor_mode 1
		.amdhsa_memory_ordered 1
		.amdhsa_forward_progress 1
		.amdhsa_shared_vgpr_count 0
		.amdhsa_exception_fp_ieee_invalid_op 0
		.amdhsa_exception_fp_denorm_src 0
		.amdhsa_exception_fp_ieee_div_zero 0
		.amdhsa_exception_fp_ieee_overflow 0
		.amdhsa_exception_fp_ieee_underflow 0
		.amdhsa_exception_fp_ieee_inexact 0
		.amdhsa_exception_int_div_zero 0
	.end_amdhsa_kernel
	.section	.text._ZN7rocprim17ROCPRIM_400000_NS6detail17trampoline_kernelINS0_14default_configENS1_27scan_by_key_config_selectorIxxEEZZNS1_16scan_by_key_implILNS1_25lookback_scan_determinismE0ELb1ES3_N6thrust23THRUST_200600_302600_NS6detail15normal_iteratorINS9_10device_ptrIxEEEESE_SE_xNS9_4plusIvEENS9_8equal_toIvEExEE10hipError_tPvRmT2_T3_T4_T5_mT6_T7_P12ihipStream_tbENKUlT_T0_E_clISt17integral_constantIbLb0EESZ_EEDaSU_SV_EUlSU_E_NS1_11comp_targetILNS1_3genE8ELNS1_11target_archE1030ELNS1_3gpuE2ELNS1_3repE0EEENS1_30default_config_static_selectorELNS0_4arch9wavefront6targetE0EEEvT1_,"axG",@progbits,_ZN7rocprim17ROCPRIM_400000_NS6detail17trampoline_kernelINS0_14default_configENS1_27scan_by_key_config_selectorIxxEEZZNS1_16scan_by_key_implILNS1_25lookback_scan_determinismE0ELb1ES3_N6thrust23THRUST_200600_302600_NS6detail15normal_iteratorINS9_10device_ptrIxEEEESE_SE_xNS9_4plusIvEENS9_8equal_toIvEExEE10hipError_tPvRmT2_T3_T4_T5_mT6_T7_P12ihipStream_tbENKUlT_T0_E_clISt17integral_constantIbLb0EESZ_EEDaSU_SV_EUlSU_E_NS1_11comp_targetILNS1_3genE8ELNS1_11target_archE1030ELNS1_3gpuE2ELNS1_3repE0EEENS1_30default_config_static_selectorELNS0_4arch9wavefront6targetE0EEEvT1_,comdat
.Lfunc_end361:
	.size	_ZN7rocprim17ROCPRIM_400000_NS6detail17trampoline_kernelINS0_14default_configENS1_27scan_by_key_config_selectorIxxEEZZNS1_16scan_by_key_implILNS1_25lookback_scan_determinismE0ELb1ES3_N6thrust23THRUST_200600_302600_NS6detail15normal_iteratorINS9_10device_ptrIxEEEESE_SE_xNS9_4plusIvEENS9_8equal_toIvEExEE10hipError_tPvRmT2_T3_T4_T5_mT6_T7_P12ihipStream_tbENKUlT_T0_E_clISt17integral_constantIbLb0EESZ_EEDaSU_SV_EUlSU_E_NS1_11comp_targetILNS1_3genE8ELNS1_11target_archE1030ELNS1_3gpuE2ELNS1_3repE0EEENS1_30default_config_static_selectorELNS0_4arch9wavefront6targetE0EEEvT1_, .Lfunc_end361-_ZN7rocprim17ROCPRIM_400000_NS6detail17trampoline_kernelINS0_14default_configENS1_27scan_by_key_config_selectorIxxEEZZNS1_16scan_by_key_implILNS1_25lookback_scan_determinismE0ELb1ES3_N6thrust23THRUST_200600_302600_NS6detail15normal_iteratorINS9_10device_ptrIxEEEESE_SE_xNS9_4plusIvEENS9_8equal_toIvEExEE10hipError_tPvRmT2_T3_T4_T5_mT6_T7_P12ihipStream_tbENKUlT_T0_E_clISt17integral_constantIbLb0EESZ_EEDaSU_SV_EUlSU_E_NS1_11comp_targetILNS1_3genE8ELNS1_11target_archE1030ELNS1_3gpuE2ELNS1_3repE0EEENS1_30default_config_static_selectorELNS0_4arch9wavefront6targetE0EEEvT1_
                                        ; -- End function
	.set _ZN7rocprim17ROCPRIM_400000_NS6detail17trampoline_kernelINS0_14default_configENS1_27scan_by_key_config_selectorIxxEEZZNS1_16scan_by_key_implILNS1_25lookback_scan_determinismE0ELb1ES3_N6thrust23THRUST_200600_302600_NS6detail15normal_iteratorINS9_10device_ptrIxEEEESE_SE_xNS9_4plusIvEENS9_8equal_toIvEExEE10hipError_tPvRmT2_T3_T4_T5_mT6_T7_P12ihipStream_tbENKUlT_T0_E_clISt17integral_constantIbLb0EESZ_EEDaSU_SV_EUlSU_E_NS1_11comp_targetILNS1_3genE8ELNS1_11target_archE1030ELNS1_3gpuE2ELNS1_3repE0EEENS1_30default_config_static_selectorELNS0_4arch9wavefront6targetE0EEEvT1_.num_vgpr, 103
	.set _ZN7rocprim17ROCPRIM_400000_NS6detail17trampoline_kernelINS0_14default_configENS1_27scan_by_key_config_selectorIxxEEZZNS1_16scan_by_key_implILNS1_25lookback_scan_determinismE0ELb1ES3_N6thrust23THRUST_200600_302600_NS6detail15normal_iteratorINS9_10device_ptrIxEEEESE_SE_xNS9_4plusIvEENS9_8equal_toIvEExEE10hipError_tPvRmT2_T3_T4_T5_mT6_T7_P12ihipStream_tbENKUlT_T0_E_clISt17integral_constantIbLb0EESZ_EEDaSU_SV_EUlSU_E_NS1_11comp_targetILNS1_3genE8ELNS1_11target_archE1030ELNS1_3gpuE2ELNS1_3repE0EEENS1_30default_config_static_selectorELNS0_4arch9wavefront6targetE0EEEvT1_.num_agpr, 0
	.set _ZN7rocprim17ROCPRIM_400000_NS6detail17trampoline_kernelINS0_14default_configENS1_27scan_by_key_config_selectorIxxEEZZNS1_16scan_by_key_implILNS1_25lookback_scan_determinismE0ELb1ES3_N6thrust23THRUST_200600_302600_NS6detail15normal_iteratorINS9_10device_ptrIxEEEESE_SE_xNS9_4plusIvEENS9_8equal_toIvEExEE10hipError_tPvRmT2_T3_T4_T5_mT6_T7_P12ihipStream_tbENKUlT_T0_E_clISt17integral_constantIbLb0EESZ_EEDaSU_SV_EUlSU_E_NS1_11comp_targetILNS1_3genE8ELNS1_11target_archE1030ELNS1_3gpuE2ELNS1_3repE0EEENS1_30default_config_static_selectorELNS0_4arch9wavefront6targetE0EEEvT1_.numbered_sgpr, 55
	.set _ZN7rocprim17ROCPRIM_400000_NS6detail17trampoline_kernelINS0_14default_configENS1_27scan_by_key_config_selectorIxxEEZZNS1_16scan_by_key_implILNS1_25lookback_scan_determinismE0ELb1ES3_N6thrust23THRUST_200600_302600_NS6detail15normal_iteratorINS9_10device_ptrIxEEEESE_SE_xNS9_4plusIvEENS9_8equal_toIvEExEE10hipError_tPvRmT2_T3_T4_T5_mT6_T7_P12ihipStream_tbENKUlT_T0_E_clISt17integral_constantIbLb0EESZ_EEDaSU_SV_EUlSU_E_NS1_11comp_targetILNS1_3genE8ELNS1_11target_archE1030ELNS1_3gpuE2ELNS1_3repE0EEENS1_30default_config_static_selectorELNS0_4arch9wavefront6targetE0EEEvT1_.num_named_barrier, 0
	.set _ZN7rocprim17ROCPRIM_400000_NS6detail17trampoline_kernelINS0_14default_configENS1_27scan_by_key_config_selectorIxxEEZZNS1_16scan_by_key_implILNS1_25lookback_scan_determinismE0ELb1ES3_N6thrust23THRUST_200600_302600_NS6detail15normal_iteratorINS9_10device_ptrIxEEEESE_SE_xNS9_4plusIvEENS9_8equal_toIvEExEE10hipError_tPvRmT2_T3_T4_T5_mT6_T7_P12ihipStream_tbENKUlT_T0_E_clISt17integral_constantIbLb0EESZ_EEDaSU_SV_EUlSU_E_NS1_11comp_targetILNS1_3genE8ELNS1_11target_archE1030ELNS1_3gpuE2ELNS1_3repE0EEENS1_30default_config_static_selectorELNS0_4arch9wavefront6targetE0EEEvT1_.private_seg_size, 0
	.set _ZN7rocprim17ROCPRIM_400000_NS6detail17trampoline_kernelINS0_14default_configENS1_27scan_by_key_config_selectorIxxEEZZNS1_16scan_by_key_implILNS1_25lookback_scan_determinismE0ELb1ES3_N6thrust23THRUST_200600_302600_NS6detail15normal_iteratorINS9_10device_ptrIxEEEESE_SE_xNS9_4plusIvEENS9_8equal_toIvEExEE10hipError_tPvRmT2_T3_T4_T5_mT6_T7_P12ihipStream_tbENKUlT_T0_E_clISt17integral_constantIbLb0EESZ_EEDaSU_SV_EUlSU_E_NS1_11comp_targetILNS1_3genE8ELNS1_11target_archE1030ELNS1_3gpuE2ELNS1_3repE0EEENS1_30default_config_static_selectorELNS0_4arch9wavefront6targetE0EEEvT1_.uses_vcc, 1
	.set _ZN7rocprim17ROCPRIM_400000_NS6detail17trampoline_kernelINS0_14default_configENS1_27scan_by_key_config_selectorIxxEEZZNS1_16scan_by_key_implILNS1_25lookback_scan_determinismE0ELb1ES3_N6thrust23THRUST_200600_302600_NS6detail15normal_iteratorINS9_10device_ptrIxEEEESE_SE_xNS9_4plusIvEENS9_8equal_toIvEExEE10hipError_tPvRmT2_T3_T4_T5_mT6_T7_P12ihipStream_tbENKUlT_T0_E_clISt17integral_constantIbLb0EESZ_EEDaSU_SV_EUlSU_E_NS1_11comp_targetILNS1_3genE8ELNS1_11target_archE1030ELNS1_3gpuE2ELNS1_3repE0EEENS1_30default_config_static_selectorELNS0_4arch9wavefront6targetE0EEEvT1_.uses_flat_scratch, 1
	.set _ZN7rocprim17ROCPRIM_400000_NS6detail17trampoline_kernelINS0_14default_configENS1_27scan_by_key_config_selectorIxxEEZZNS1_16scan_by_key_implILNS1_25lookback_scan_determinismE0ELb1ES3_N6thrust23THRUST_200600_302600_NS6detail15normal_iteratorINS9_10device_ptrIxEEEESE_SE_xNS9_4plusIvEENS9_8equal_toIvEExEE10hipError_tPvRmT2_T3_T4_T5_mT6_T7_P12ihipStream_tbENKUlT_T0_E_clISt17integral_constantIbLb0EESZ_EEDaSU_SV_EUlSU_E_NS1_11comp_targetILNS1_3genE8ELNS1_11target_archE1030ELNS1_3gpuE2ELNS1_3repE0EEENS1_30default_config_static_selectorELNS0_4arch9wavefront6targetE0EEEvT1_.has_dyn_sized_stack, 0
	.set _ZN7rocprim17ROCPRIM_400000_NS6detail17trampoline_kernelINS0_14default_configENS1_27scan_by_key_config_selectorIxxEEZZNS1_16scan_by_key_implILNS1_25lookback_scan_determinismE0ELb1ES3_N6thrust23THRUST_200600_302600_NS6detail15normal_iteratorINS9_10device_ptrIxEEEESE_SE_xNS9_4plusIvEENS9_8equal_toIvEExEE10hipError_tPvRmT2_T3_T4_T5_mT6_T7_P12ihipStream_tbENKUlT_T0_E_clISt17integral_constantIbLb0EESZ_EEDaSU_SV_EUlSU_E_NS1_11comp_targetILNS1_3genE8ELNS1_11target_archE1030ELNS1_3gpuE2ELNS1_3repE0EEENS1_30default_config_static_selectorELNS0_4arch9wavefront6targetE0EEEvT1_.has_recursion, 0
	.set _ZN7rocprim17ROCPRIM_400000_NS6detail17trampoline_kernelINS0_14default_configENS1_27scan_by_key_config_selectorIxxEEZZNS1_16scan_by_key_implILNS1_25lookback_scan_determinismE0ELb1ES3_N6thrust23THRUST_200600_302600_NS6detail15normal_iteratorINS9_10device_ptrIxEEEESE_SE_xNS9_4plusIvEENS9_8equal_toIvEExEE10hipError_tPvRmT2_T3_T4_T5_mT6_T7_P12ihipStream_tbENKUlT_T0_E_clISt17integral_constantIbLb0EESZ_EEDaSU_SV_EUlSU_E_NS1_11comp_targetILNS1_3genE8ELNS1_11target_archE1030ELNS1_3gpuE2ELNS1_3repE0EEENS1_30default_config_static_selectorELNS0_4arch9wavefront6targetE0EEEvT1_.has_indirect_call, 0
	.section	.AMDGPU.csdata,"",@progbits
; Kernel info:
; codeLenInByte = 15664
; TotalNumSgprs: 57
; NumVgprs: 103
; ScratchSize: 0
; MemoryBound: 0
; FloatMode: 240
; IeeeMode: 1
; LDSByteSize: 30720 bytes/workgroup (compile time only)
; SGPRBlocks: 0
; VGPRBlocks: 14
; NumSGPRsForWavesPerEU: 57
; NumVGPRsForWavesPerEU: 113
; Occupancy: 8
; WaveLimiterHint : 1
; COMPUTE_PGM_RSRC2:SCRATCH_EN: 0
; COMPUTE_PGM_RSRC2:USER_SGPR: 6
; COMPUTE_PGM_RSRC2:TRAP_HANDLER: 0
; COMPUTE_PGM_RSRC2:TGID_X_EN: 1
; COMPUTE_PGM_RSRC2:TGID_Y_EN: 0
; COMPUTE_PGM_RSRC2:TGID_Z_EN: 0
; COMPUTE_PGM_RSRC2:TIDIG_COMP_CNT: 0
	.section	.text._ZN7rocprim17ROCPRIM_400000_NS6detail17trampoline_kernelINS0_14default_configENS1_27scan_by_key_config_selectorIxxEEZZNS1_16scan_by_key_implILNS1_25lookback_scan_determinismE0ELb1ES3_N6thrust23THRUST_200600_302600_NS6detail15normal_iteratorINS9_10device_ptrIxEEEESE_SE_xNS9_4plusIvEENS9_8equal_toIvEExEE10hipError_tPvRmT2_T3_T4_T5_mT6_T7_P12ihipStream_tbENKUlT_T0_E_clISt17integral_constantIbLb1EESZ_EEDaSU_SV_EUlSU_E_NS1_11comp_targetILNS1_3genE0ELNS1_11target_archE4294967295ELNS1_3gpuE0ELNS1_3repE0EEENS1_30default_config_static_selectorELNS0_4arch9wavefront6targetE0EEEvT1_,"axG",@progbits,_ZN7rocprim17ROCPRIM_400000_NS6detail17trampoline_kernelINS0_14default_configENS1_27scan_by_key_config_selectorIxxEEZZNS1_16scan_by_key_implILNS1_25lookback_scan_determinismE0ELb1ES3_N6thrust23THRUST_200600_302600_NS6detail15normal_iteratorINS9_10device_ptrIxEEEESE_SE_xNS9_4plusIvEENS9_8equal_toIvEExEE10hipError_tPvRmT2_T3_T4_T5_mT6_T7_P12ihipStream_tbENKUlT_T0_E_clISt17integral_constantIbLb1EESZ_EEDaSU_SV_EUlSU_E_NS1_11comp_targetILNS1_3genE0ELNS1_11target_archE4294967295ELNS1_3gpuE0ELNS1_3repE0EEENS1_30default_config_static_selectorELNS0_4arch9wavefront6targetE0EEEvT1_,comdat
	.protected	_ZN7rocprim17ROCPRIM_400000_NS6detail17trampoline_kernelINS0_14default_configENS1_27scan_by_key_config_selectorIxxEEZZNS1_16scan_by_key_implILNS1_25lookback_scan_determinismE0ELb1ES3_N6thrust23THRUST_200600_302600_NS6detail15normal_iteratorINS9_10device_ptrIxEEEESE_SE_xNS9_4plusIvEENS9_8equal_toIvEExEE10hipError_tPvRmT2_T3_T4_T5_mT6_T7_P12ihipStream_tbENKUlT_T0_E_clISt17integral_constantIbLb1EESZ_EEDaSU_SV_EUlSU_E_NS1_11comp_targetILNS1_3genE0ELNS1_11target_archE4294967295ELNS1_3gpuE0ELNS1_3repE0EEENS1_30default_config_static_selectorELNS0_4arch9wavefront6targetE0EEEvT1_ ; -- Begin function _ZN7rocprim17ROCPRIM_400000_NS6detail17trampoline_kernelINS0_14default_configENS1_27scan_by_key_config_selectorIxxEEZZNS1_16scan_by_key_implILNS1_25lookback_scan_determinismE0ELb1ES3_N6thrust23THRUST_200600_302600_NS6detail15normal_iteratorINS9_10device_ptrIxEEEESE_SE_xNS9_4plusIvEENS9_8equal_toIvEExEE10hipError_tPvRmT2_T3_T4_T5_mT6_T7_P12ihipStream_tbENKUlT_T0_E_clISt17integral_constantIbLb1EESZ_EEDaSU_SV_EUlSU_E_NS1_11comp_targetILNS1_3genE0ELNS1_11target_archE4294967295ELNS1_3gpuE0ELNS1_3repE0EEENS1_30default_config_static_selectorELNS0_4arch9wavefront6targetE0EEEvT1_
	.globl	_ZN7rocprim17ROCPRIM_400000_NS6detail17trampoline_kernelINS0_14default_configENS1_27scan_by_key_config_selectorIxxEEZZNS1_16scan_by_key_implILNS1_25lookback_scan_determinismE0ELb1ES3_N6thrust23THRUST_200600_302600_NS6detail15normal_iteratorINS9_10device_ptrIxEEEESE_SE_xNS9_4plusIvEENS9_8equal_toIvEExEE10hipError_tPvRmT2_T3_T4_T5_mT6_T7_P12ihipStream_tbENKUlT_T0_E_clISt17integral_constantIbLb1EESZ_EEDaSU_SV_EUlSU_E_NS1_11comp_targetILNS1_3genE0ELNS1_11target_archE4294967295ELNS1_3gpuE0ELNS1_3repE0EEENS1_30default_config_static_selectorELNS0_4arch9wavefront6targetE0EEEvT1_
	.p2align	8
	.type	_ZN7rocprim17ROCPRIM_400000_NS6detail17trampoline_kernelINS0_14default_configENS1_27scan_by_key_config_selectorIxxEEZZNS1_16scan_by_key_implILNS1_25lookback_scan_determinismE0ELb1ES3_N6thrust23THRUST_200600_302600_NS6detail15normal_iteratorINS9_10device_ptrIxEEEESE_SE_xNS9_4plusIvEENS9_8equal_toIvEExEE10hipError_tPvRmT2_T3_T4_T5_mT6_T7_P12ihipStream_tbENKUlT_T0_E_clISt17integral_constantIbLb1EESZ_EEDaSU_SV_EUlSU_E_NS1_11comp_targetILNS1_3genE0ELNS1_11target_archE4294967295ELNS1_3gpuE0ELNS1_3repE0EEENS1_30default_config_static_selectorELNS0_4arch9wavefront6targetE0EEEvT1_,@function
_ZN7rocprim17ROCPRIM_400000_NS6detail17trampoline_kernelINS0_14default_configENS1_27scan_by_key_config_selectorIxxEEZZNS1_16scan_by_key_implILNS1_25lookback_scan_determinismE0ELb1ES3_N6thrust23THRUST_200600_302600_NS6detail15normal_iteratorINS9_10device_ptrIxEEEESE_SE_xNS9_4plusIvEENS9_8equal_toIvEExEE10hipError_tPvRmT2_T3_T4_T5_mT6_T7_P12ihipStream_tbENKUlT_T0_E_clISt17integral_constantIbLb1EESZ_EEDaSU_SV_EUlSU_E_NS1_11comp_targetILNS1_3genE0ELNS1_11target_archE4294967295ELNS1_3gpuE0ELNS1_3repE0EEENS1_30default_config_static_selectorELNS0_4arch9wavefront6targetE0EEEvT1_: ; @_ZN7rocprim17ROCPRIM_400000_NS6detail17trampoline_kernelINS0_14default_configENS1_27scan_by_key_config_selectorIxxEEZZNS1_16scan_by_key_implILNS1_25lookback_scan_determinismE0ELb1ES3_N6thrust23THRUST_200600_302600_NS6detail15normal_iteratorINS9_10device_ptrIxEEEESE_SE_xNS9_4plusIvEENS9_8equal_toIvEExEE10hipError_tPvRmT2_T3_T4_T5_mT6_T7_P12ihipStream_tbENKUlT_T0_E_clISt17integral_constantIbLb1EESZ_EEDaSU_SV_EUlSU_E_NS1_11comp_targetILNS1_3genE0ELNS1_11target_archE4294967295ELNS1_3gpuE0ELNS1_3repE0EEENS1_30default_config_static_selectorELNS0_4arch9wavefront6targetE0EEEvT1_
; %bb.0:
	.section	.rodata,"a",@progbits
	.p2align	6, 0x0
	.amdhsa_kernel _ZN7rocprim17ROCPRIM_400000_NS6detail17trampoline_kernelINS0_14default_configENS1_27scan_by_key_config_selectorIxxEEZZNS1_16scan_by_key_implILNS1_25lookback_scan_determinismE0ELb1ES3_N6thrust23THRUST_200600_302600_NS6detail15normal_iteratorINS9_10device_ptrIxEEEESE_SE_xNS9_4plusIvEENS9_8equal_toIvEExEE10hipError_tPvRmT2_T3_T4_T5_mT6_T7_P12ihipStream_tbENKUlT_T0_E_clISt17integral_constantIbLb1EESZ_EEDaSU_SV_EUlSU_E_NS1_11comp_targetILNS1_3genE0ELNS1_11target_archE4294967295ELNS1_3gpuE0ELNS1_3repE0EEENS1_30default_config_static_selectorELNS0_4arch9wavefront6targetE0EEEvT1_
		.amdhsa_group_segment_fixed_size 0
		.amdhsa_private_segment_fixed_size 0
		.amdhsa_kernarg_size 136
		.amdhsa_user_sgpr_count 6
		.amdhsa_user_sgpr_private_segment_buffer 1
		.amdhsa_user_sgpr_dispatch_ptr 0
		.amdhsa_user_sgpr_queue_ptr 0
		.amdhsa_user_sgpr_kernarg_segment_ptr 1
		.amdhsa_user_sgpr_dispatch_id 0
		.amdhsa_user_sgpr_flat_scratch_init 0
		.amdhsa_user_sgpr_private_segment_size 0
		.amdhsa_wavefront_size32 1
		.amdhsa_uses_dynamic_stack 0
		.amdhsa_system_sgpr_private_segment_wavefront_offset 0
		.amdhsa_system_sgpr_workgroup_id_x 1
		.amdhsa_system_sgpr_workgroup_id_y 0
		.amdhsa_system_sgpr_workgroup_id_z 0
		.amdhsa_system_sgpr_workgroup_info 0
		.amdhsa_system_vgpr_workitem_id 0
		.amdhsa_next_free_vgpr 1
		.amdhsa_next_free_sgpr 1
		.amdhsa_reserve_vcc 0
		.amdhsa_reserve_flat_scratch 0
		.amdhsa_float_round_mode_32 0
		.amdhsa_float_round_mode_16_64 0
		.amdhsa_float_denorm_mode_32 3
		.amdhsa_float_denorm_mode_16_64 3
		.amdhsa_dx10_clamp 1
		.amdhsa_ieee_mode 1
		.amdhsa_fp16_overflow 0
		.amdhsa_workgroup_processor_mode 1
		.amdhsa_memory_ordered 1
		.amdhsa_forward_progress 1
		.amdhsa_shared_vgpr_count 0
		.amdhsa_exception_fp_ieee_invalid_op 0
		.amdhsa_exception_fp_denorm_src 0
		.amdhsa_exception_fp_ieee_div_zero 0
		.amdhsa_exception_fp_ieee_overflow 0
		.amdhsa_exception_fp_ieee_underflow 0
		.amdhsa_exception_fp_ieee_inexact 0
		.amdhsa_exception_int_div_zero 0
	.end_amdhsa_kernel
	.section	.text._ZN7rocprim17ROCPRIM_400000_NS6detail17trampoline_kernelINS0_14default_configENS1_27scan_by_key_config_selectorIxxEEZZNS1_16scan_by_key_implILNS1_25lookback_scan_determinismE0ELb1ES3_N6thrust23THRUST_200600_302600_NS6detail15normal_iteratorINS9_10device_ptrIxEEEESE_SE_xNS9_4plusIvEENS9_8equal_toIvEExEE10hipError_tPvRmT2_T3_T4_T5_mT6_T7_P12ihipStream_tbENKUlT_T0_E_clISt17integral_constantIbLb1EESZ_EEDaSU_SV_EUlSU_E_NS1_11comp_targetILNS1_3genE0ELNS1_11target_archE4294967295ELNS1_3gpuE0ELNS1_3repE0EEENS1_30default_config_static_selectorELNS0_4arch9wavefront6targetE0EEEvT1_,"axG",@progbits,_ZN7rocprim17ROCPRIM_400000_NS6detail17trampoline_kernelINS0_14default_configENS1_27scan_by_key_config_selectorIxxEEZZNS1_16scan_by_key_implILNS1_25lookback_scan_determinismE0ELb1ES3_N6thrust23THRUST_200600_302600_NS6detail15normal_iteratorINS9_10device_ptrIxEEEESE_SE_xNS9_4plusIvEENS9_8equal_toIvEExEE10hipError_tPvRmT2_T3_T4_T5_mT6_T7_P12ihipStream_tbENKUlT_T0_E_clISt17integral_constantIbLb1EESZ_EEDaSU_SV_EUlSU_E_NS1_11comp_targetILNS1_3genE0ELNS1_11target_archE4294967295ELNS1_3gpuE0ELNS1_3repE0EEENS1_30default_config_static_selectorELNS0_4arch9wavefront6targetE0EEEvT1_,comdat
.Lfunc_end362:
	.size	_ZN7rocprim17ROCPRIM_400000_NS6detail17trampoline_kernelINS0_14default_configENS1_27scan_by_key_config_selectorIxxEEZZNS1_16scan_by_key_implILNS1_25lookback_scan_determinismE0ELb1ES3_N6thrust23THRUST_200600_302600_NS6detail15normal_iteratorINS9_10device_ptrIxEEEESE_SE_xNS9_4plusIvEENS9_8equal_toIvEExEE10hipError_tPvRmT2_T3_T4_T5_mT6_T7_P12ihipStream_tbENKUlT_T0_E_clISt17integral_constantIbLb1EESZ_EEDaSU_SV_EUlSU_E_NS1_11comp_targetILNS1_3genE0ELNS1_11target_archE4294967295ELNS1_3gpuE0ELNS1_3repE0EEENS1_30default_config_static_selectorELNS0_4arch9wavefront6targetE0EEEvT1_, .Lfunc_end362-_ZN7rocprim17ROCPRIM_400000_NS6detail17trampoline_kernelINS0_14default_configENS1_27scan_by_key_config_selectorIxxEEZZNS1_16scan_by_key_implILNS1_25lookback_scan_determinismE0ELb1ES3_N6thrust23THRUST_200600_302600_NS6detail15normal_iteratorINS9_10device_ptrIxEEEESE_SE_xNS9_4plusIvEENS9_8equal_toIvEExEE10hipError_tPvRmT2_T3_T4_T5_mT6_T7_P12ihipStream_tbENKUlT_T0_E_clISt17integral_constantIbLb1EESZ_EEDaSU_SV_EUlSU_E_NS1_11comp_targetILNS1_3genE0ELNS1_11target_archE4294967295ELNS1_3gpuE0ELNS1_3repE0EEENS1_30default_config_static_selectorELNS0_4arch9wavefront6targetE0EEEvT1_
                                        ; -- End function
	.set _ZN7rocprim17ROCPRIM_400000_NS6detail17trampoline_kernelINS0_14default_configENS1_27scan_by_key_config_selectorIxxEEZZNS1_16scan_by_key_implILNS1_25lookback_scan_determinismE0ELb1ES3_N6thrust23THRUST_200600_302600_NS6detail15normal_iteratorINS9_10device_ptrIxEEEESE_SE_xNS9_4plusIvEENS9_8equal_toIvEExEE10hipError_tPvRmT2_T3_T4_T5_mT6_T7_P12ihipStream_tbENKUlT_T0_E_clISt17integral_constantIbLb1EESZ_EEDaSU_SV_EUlSU_E_NS1_11comp_targetILNS1_3genE0ELNS1_11target_archE4294967295ELNS1_3gpuE0ELNS1_3repE0EEENS1_30default_config_static_selectorELNS0_4arch9wavefront6targetE0EEEvT1_.num_vgpr, 0
	.set _ZN7rocprim17ROCPRIM_400000_NS6detail17trampoline_kernelINS0_14default_configENS1_27scan_by_key_config_selectorIxxEEZZNS1_16scan_by_key_implILNS1_25lookback_scan_determinismE0ELb1ES3_N6thrust23THRUST_200600_302600_NS6detail15normal_iteratorINS9_10device_ptrIxEEEESE_SE_xNS9_4plusIvEENS9_8equal_toIvEExEE10hipError_tPvRmT2_T3_T4_T5_mT6_T7_P12ihipStream_tbENKUlT_T0_E_clISt17integral_constantIbLb1EESZ_EEDaSU_SV_EUlSU_E_NS1_11comp_targetILNS1_3genE0ELNS1_11target_archE4294967295ELNS1_3gpuE0ELNS1_3repE0EEENS1_30default_config_static_selectorELNS0_4arch9wavefront6targetE0EEEvT1_.num_agpr, 0
	.set _ZN7rocprim17ROCPRIM_400000_NS6detail17trampoline_kernelINS0_14default_configENS1_27scan_by_key_config_selectorIxxEEZZNS1_16scan_by_key_implILNS1_25lookback_scan_determinismE0ELb1ES3_N6thrust23THRUST_200600_302600_NS6detail15normal_iteratorINS9_10device_ptrIxEEEESE_SE_xNS9_4plusIvEENS9_8equal_toIvEExEE10hipError_tPvRmT2_T3_T4_T5_mT6_T7_P12ihipStream_tbENKUlT_T0_E_clISt17integral_constantIbLb1EESZ_EEDaSU_SV_EUlSU_E_NS1_11comp_targetILNS1_3genE0ELNS1_11target_archE4294967295ELNS1_3gpuE0ELNS1_3repE0EEENS1_30default_config_static_selectorELNS0_4arch9wavefront6targetE0EEEvT1_.numbered_sgpr, 0
	.set _ZN7rocprim17ROCPRIM_400000_NS6detail17trampoline_kernelINS0_14default_configENS1_27scan_by_key_config_selectorIxxEEZZNS1_16scan_by_key_implILNS1_25lookback_scan_determinismE0ELb1ES3_N6thrust23THRUST_200600_302600_NS6detail15normal_iteratorINS9_10device_ptrIxEEEESE_SE_xNS9_4plusIvEENS9_8equal_toIvEExEE10hipError_tPvRmT2_T3_T4_T5_mT6_T7_P12ihipStream_tbENKUlT_T0_E_clISt17integral_constantIbLb1EESZ_EEDaSU_SV_EUlSU_E_NS1_11comp_targetILNS1_3genE0ELNS1_11target_archE4294967295ELNS1_3gpuE0ELNS1_3repE0EEENS1_30default_config_static_selectorELNS0_4arch9wavefront6targetE0EEEvT1_.num_named_barrier, 0
	.set _ZN7rocprim17ROCPRIM_400000_NS6detail17trampoline_kernelINS0_14default_configENS1_27scan_by_key_config_selectorIxxEEZZNS1_16scan_by_key_implILNS1_25lookback_scan_determinismE0ELb1ES3_N6thrust23THRUST_200600_302600_NS6detail15normal_iteratorINS9_10device_ptrIxEEEESE_SE_xNS9_4plusIvEENS9_8equal_toIvEExEE10hipError_tPvRmT2_T3_T4_T5_mT6_T7_P12ihipStream_tbENKUlT_T0_E_clISt17integral_constantIbLb1EESZ_EEDaSU_SV_EUlSU_E_NS1_11comp_targetILNS1_3genE0ELNS1_11target_archE4294967295ELNS1_3gpuE0ELNS1_3repE0EEENS1_30default_config_static_selectorELNS0_4arch9wavefront6targetE0EEEvT1_.private_seg_size, 0
	.set _ZN7rocprim17ROCPRIM_400000_NS6detail17trampoline_kernelINS0_14default_configENS1_27scan_by_key_config_selectorIxxEEZZNS1_16scan_by_key_implILNS1_25lookback_scan_determinismE0ELb1ES3_N6thrust23THRUST_200600_302600_NS6detail15normal_iteratorINS9_10device_ptrIxEEEESE_SE_xNS9_4plusIvEENS9_8equal_toIvEExEE10hipError_tPvRmT2_T3_T4_T5_mT6_T7_P12ihipStream_tbENKUlT_T0_E_clISt17integral_constantIbLb1EESZ_EEDaSU_SV_EUlSU_E_NS1_11comp_targetILNS1_3genE0ELNS1_11target_archE4294967295ELNS1_3gpuE0ELNS1_3repE0EEENS1_30default_config_static_selectorELNS0_4arch9wavefront6targetE0EEEvT1_.uses_vcc, 0
	.set _ZN7rocprim17ROCPRIM_400000_NS6detail17trampoline_kernelINS0_14default_configENS1_27scan_by_key_config_selectorIxxEEZZNS1_16scan_by_key_implILNS1_25lookback_scan_determinismE0ELb1ES3_N6thrust23THRUST_200600_302600_NS6detail15normal_iteratorINS9_10device_ptrIxEEEESE_SE_xNS9_4plusIvEENS9_8equal_toIvEExEE10hipError_tPvRmT2_T3_T4_T5_mT6_T7_P12ihipStream_tbENKUlT_T0_E_clISt17integral_constantIbLb1EESZ_EEDaSU_SV_EUlSU_E_NS1_11comp_targetILNS1_3genE0ELNS1_11target_archE4294967295ELNS1_3gpuE0ELNS1_3repE0EEENS1_30default_config_static_selectorELNS0_4arch9wavefront6targetE0EEEvT1_.uses_flat_scratch, 0
	.set _ZN7rocprim17ROCPRIM_400000_NS6detail17trampoline_kernelINS0_14default_configENS1_27scan_by_key_config_selectorIxxEEZZNS1_16scan_by_key_implILNS1_25lookback_scan_determinismE0ELb1ES3_N6thrust23THRUST_200600_302600_NS6detail15normal_iteratorINS9_10device_ptrIxEEEESE_SE_xNS9_4plusIvEENS9_8equal_toIvEExEE10hipError_tPvRmT2_T3_T4_T5_mT6_T7_P12ihipStream_tbENKUlT_T0_E_clISt17integral_constantIbLb1EESZ_EEDaSU_SV_EUlSU_E_NS1_11comp_targetILNS1_3genE0ELNS1_11target_archE4294967295ELNS1_3gpuE0ELNS1_3repE0EEENS1_30default_config_static_selectorELNS0_4arch9wavefront6targetE0EEEvT1_.has_dyn_sized_stack, 0
	.set _ZN7rocprim17ROCPRIM_400000_NS6detail17trampoline_kernelINS0_14default_configENS1_27scan_by_key_config_selectorIxxEEZZNS1_16scan_by_key_implILNS1_25lookback_scan_determinismE0ELb1ES3_N6thrust23THRUST_200600_302600_NS6detail15normal_iteratorINS9_10device_ptrIxEEEESE_SE_xNS9_4plusIvEENS9_8equal_toIvEExEE10hipError_tPvRmT2_T3_T4_T5_mT6_T7_P12ihipStream_tbENKUlT_T0_E_clISt17integral_constantIbLb1EESZ_EEDaSU_SV_EUlSU_E_NS1_11comp_targetILNS1_3genE0ELNS1_11target_archE4294967295ELNS1_3gpuE0ELNS1_3repE0EEENS1_30default_config_static_selectorELNS0_4arch9wavefront6targetE0EEEvT1_.has_recursion, 0
	.set _ZN7rocprim17ROCPRIM_400000_NS6detail17trampoline_kernelINS0_14default_configENS1_27scan_by_key_config_selectorIxxEEZZNS1_16scan_by_key_implILNS1_25lookback_scan_determinismE0ELb1ES3_N6thrust23THRUST_200600_302600_NS6detail15normal_iteratorINS9_10device_ptrIxEEEESE_SE_xNS9_4plusIvEENS9_8equal_toIvEExEE10hipError_tPvRmT2_T3_T4_T5_mT6_T7_P12ihipStream_tbENKUlT_T0_E_clISt17integral_constantIbLb1EESZ_EEDaSU_SV_EUlSU_E_NS1_11comp_targetILNS1_3genE0ELNS1_11target_archE4294967295ELNS1_3gpuE0ELNS1_3repE0EEENS1_30default_config_static_selectorELNS0_4arch9wavefront6targetE0EEEvT1_.has_indirect_call, 0
	.section	.AMDGPU.csdata,"",@progbits
; Kernel info:
; codeLenInByte = 0
; TotalNumSgprs: 0
; NumVgprs: 0
; ScratchSize: 0
; MemoryBound: 0
; FloatMode: 240
; IeeeMode: 1
; LDSByteSize: 0 bytes/workgroup (compile time only)
; SGPRBlocks: 0
; VGPRBlocks: 0
; NumSGPRsForWavesPerEU: 1
; NumVGPRsForWavesPerEU: 1
; Occupancy: 16
; WaveLimiterHint : 0
; COMPUTE_PGM_RSRC2:SCRATCH_EN: 0
; COMPUTE_PGM_RSRC2:USER_SGPR: 6
; COMPUTE_PGM_RSRC2:TRAP_HANDLER: 0
; COMPUTE_PGM_RSRC2:TGID_X_EN: 1
; COMPUTE_PGM_RSRC2:TGID_Y_EN: 0
; COMPUTE_PGM_RSRC2:TGID_Z_EN: 0
; COMPUTE_PGM_RSRC2:TIDIG_COMP_CNT: 0
	.section	.text._ZN7rocprim17ROCPRIM_400000_NS6detail17trampoline_kernelINS0_14default_configENS1_27scan_by_key_config_selectorIxxEEZZNS1_16scan_by_key_implILNS1_25lookback_scan_determinismE0ELb1ES3_N6thrust23THRUST_200600_302600_NS6detail15normal_iteratorINS9_10device_ptrIxEEEESE_SE_xNS9_4plusIvEENS9_8equal_toIvEExEE10hipError_tPvRmT2_T3_T4_T5_mT6_T7_P12ihipStream_tbENKUlT_T0_E_clISt17integral_constantIbLb1EESZ_EEDaSU_SV_EUlSU_E_NS1_11comp_targetILNS1_3genE10ELNS1_11target_archE1201ELNS1_3gpuE5ELNS1_3repE0EEENS1_30default_config_static_selectorELNS0_4arch9wavefront6targetE0EEEvT1_,"axG",@progbits,_ZN7rocprim17ROCPRIM_400000_NS6detail17trampoline_kernelINS0_14default_configENS1_27scan_by_key_config_selectorIxxEEZZNS1_16scan_by_key_implILNS1_25lookback_scan_determinismE0ELb1ES3_N6thrust23THRUST_200600_302600_NS6detail15normal_iteratorINS9_10device_ptrIxEEEESE_SE_xNS9_4plusIvEENS9_8equal_toIvEExEE10hipError_tPvRmT2_T3_T4_T5_mT6_T7_P12ihipStream_tbENKUlT_T0_E_clISt17integral_constantIbLb1EESZ_EEDaSU_SV_EUlSU_E_NS1_11comp_targetILNS1_3genE10ELNS1_11target_archE1201ELNS1_3gpuE5ELNS1_3repE0EEENS1_30default_config_static_selectorELNS0_4arch9wavefront6targetE0EEEvT1_,comdat
	.protected	_ZN7rocprim17ROCPRIM_400000_NS6detail17trampoline_kernelINS0_14default_configENS1_27scan_by_key_config_selectorIxxEEZZNS1_16scan_by_key_implILNS1_25lookback_scan_determinismE0ELb1ES3_N6thrust23THRUST_200600_302600_NS6detail15normal_iteratorINS9_10device_ptrIxEEEESE_SE_xNS9_4plusIvEENS9_8equal_toIvEExEE10hipError_tPvRmT2_T3_T4_T5_mT6_T7_P12ihipStream_tbENKUlT_T0_E_clISt17integral_constantIbLb1EESZ_EEDaSU_SV_EUlSU_E_NS1_11comp_targetILNS1_3genE10ELNS1_11target_archE1201ELNS1_3gpuE5ELNS1_3repE0EEENS1_30default_config_static_selectorELNS0_4arch9wavefront6targetE0EEEvT1_ ; -- Begin function _ZN7rocprim17ROCPRIM_400000_NS6detail17trampoline_kernelINS0_14default_configENS1_27scan_by_key_config_selectorIxxEEZZNS1_16scan_by_key_implILNS1_25lookback_scan_determinismE0ELb1ES3_N6thrust23THRUST_200600_302600_NS6detail15normal_iteratorINS9_10device_ptrIxEEEESE_SE_xNS9_4plusIvEENS9_8equal_toIvEExEE10hipError_tPvRmT2_T3_T4_T5_mT6_T7_P12ihipStream_tbENKUlT_T0_E_clISt17integral_constantIbLb1EESZ_EEDaSU_SV_EUlSU_E_NS1_11comp_targetILNS1_3genE10ELNS1_11target_archE1201ELNS1_3gpuE5ELNS1_3repE0EEENS1_30default_config_static_selectorELNS0_4arch9wavefront6targetE0EEEvT1_
	.globl	_ZN7rocprim17ROCPRIM_400000_NS6detail17trampoline_kernelINS0_14default_configENS1_27scan_by_key_config_selectorIxxEEZZNS1_16scan_by_key_implILNS1_25lookback_scan_determinismE0ELb1ES3_N6thrust23THRUST_200600_302600_NS6detail15normal_iteratorINS9_10device_ptrIxEEEESE_SE_xNS9_4plusIvEENS9_8equal_toIvEExEE10hipError_tPvRmT2_T3_T4_T5_mT6_T7_P12ihipStream_tbENKUlT_T0_E_clISt17integral_constantIbLb1EESZ_EEDaSU_SV_EUlSU_E_NS1_11comp_targetILNS1_3genE10ELNS1_11target_archE1201ELNS1_3gpuE5ELNS1_3repE0EEENS1_30default_config_static_selectorELNS0_4arch9wavefront6targetE0EEEvT1_
	.p2align	8
	.type	_ZN7rocprim17ROCPRIM_400000_NS6detail17trampoline_kernelINS0_14default_configENS1_27scan_by_key_config_selectorIxxEEZZNS1_16scan_by_key_implILNS1_25lookback_scan_determinismE0ELb1ES3_N6thrust23THRUST_200600_302600_NS6detail15normal_iteratorINS9_10device_ptrIxEEEESE_SE_xNS9_4plusIvEENS9_8equal_toIvEExEE10hipError_tPvRmT2_T3_T4_T5_mT6_T7_P12ihipStream_tbENKUlT_T0_E_clISt17integral_constantIbLb1EESZ_EEDaSU_SV_EUlSU_E_NS1_11comp_targetILNS1_3genE10ELNS1_11target_archE1201ELNS1_3gpuE5ELNS1_3repE0EEENS1_30default_config_static_selectorELNS0_4arch9wavefront6targetE0EEEvT1_,@function
_ZN7rocprim17ROCPRIM_400000_NS6detail17trampoline_kernelINS0_14default_configENS1_27scan_by_key_config_selectorIxxEEZZNS1_16scan_by_key_implILNS1_25lookback_scan_determinismE0ELb1ES3_N6thrust23THRUST_200600_302600_NS6detail15normal_iteratorINS9_10device_ptrIxEEEESE_SE_xNS9_4plusIvEENS9_8equal_toIvEExEE10hipError_tPvRmT2_T3_T4_T5_mT6_T7_P12ihipStream_tbENKUlT_T0_E_clISt17integral_constantIbLb1EESZ_EEDaSU_SV_EUlSU_E_NS1_11comp_targetILNS1_3genE10ELNS1_11target_archE1201ELNS1_3gpuE5ELNS1_3repE0EEENS1_30default_config_static_selectorELNS0_4arch9wavefront6targetE0EEEvT1_: ; @_ZN7rocprim17ROCPRIM_400000_NS6detail17trampoline_kernelINS0_14default_configENS1_27scan_by_key_config_selectorIxxEEZZNS1_16scan_by_key_implILNS1_25lookback_scan_determinismE0ELb1ES3_N6thrust23THRUST_200600_302600_NS6detail15normal_iteratorINS9_10device_ptrIxEEEESE_SE_xNS9_4plusIvEENS9_8equal_toIvEExEE10hipError_tPvRmT2_T3_T4_T5_mT6_T7_P12ihipStream_tbENKUlT_T0_E_clISt17integral_constantIbLb1EESZ_EEDaSU_SV_EUlSU_E_NS1_11comp_targetILNS1_3genE10ELNS1_11target_archE1201ELNS1_3gpuE5ELNS1_3repE0EEENS1_30default_config_static_selectorELNS0_4arch9wavefront6targetE0EEEvT1_
; %bb.0:
	.section	.rodata,"a",@progbits
	.p2align	6, 0x0
	.amdhsa_kernel _ZN7rocprim17ROCPRIM_400000_NS6detail17trampoline_kernelINS0_14default_configENS1_27scan_by_key_config_selectorIxxEEZZNS1_16scan_by_key_implILNS1_25lookback_scan_determinismE0ELb1ES3_N6thrust23THRUST_200600_302600_NS6detail15normal_iteratorINS9_10device_ptrIxEEEESE_SE_xNS9_4plusIvEENS9_8equal_toIvEExEE10hipError_tPvRmT2_T3_T4_T5_mT6_T7_P12ihipStream_tbENKUlT_T0_E_clISt17integral_constantIbLb1EESZ_EEDaSU_SV_EUlSU_E_NS1_11comp_targetILNS1_3genE10ELNS1_11target_archE1201ELNS1_3gpuE5ELNS1_3repE0EEENS1_30default_config_static_selectorELNS0_4arch9wavefront6targetE0EEEvT1_
		.amdhsa_group_segment_fixed_size 0
		.amdhsa_private_segment_fixed_size 0
		.amdhsa_kernarg_size 136
		.amdhsa_user_sgpr_count 6
		.amdhsa_user_sgpr_private_segment_buffer 1
		.amdhsa_user_sgpr_dispatch_ptr 0
		.amdhsa_user_sgpr_queue_ptr 0
		.amdhsa_user_sgpr_kernarg_segment_ptr 1
		.amdhsa_user_sgpr_dispatch_id 0
		.amdhsa_user_sgpr_flat_scratch_init 0
		.amdhsa_user_sgpr_private_segment_size 0
		.amdhsa_wavefront_size32 1
		.amdhsa_uses_dynamic_stack 0
		.amdhsa_system_sgpr_private_segment_wavefront_offset 0
		.amdhsa_system_sgpr_workgroup_id_x 1
		.amdhsa_system_sgpr_workgroup_id_y 0
		.amdhsa_system_sgpr_workgroup_id_z 0
		.amdhsa_system_sgpr_workgroup_info 0
		.amdhsa_system_vgpr_workitem_id 0
		.amdhsa_next_free_vgpr 1
		.amdhsa_next_free_sgpr 1
		.amdhsa_reserve_vcc 0
		.amdhsa_reserve_flat_scratch 0
		.amdhsa_float_round_mode_32 0
		.amdhsa_float_round_mode_16_64 0
		.amdhsa_float_denorm_mode_32 3
		.amdhsa_float_denorm_mode_16_64 3
		.amdhsa_dx10_clamp 1
		.amdhsa_ieee_mode 1
		.amdhsa_fp16_overflow 0
		.amdhsa_workgroup_processor_mode 1
		.amdhsa_memory_ordered 1
		.amdhsa_forward_progress 1
		.amdhsa_shared_vgpr_count 0
		.amdhsa_exception_fp_ieee_invalid_op 0
		.amdhsa_exception_fp_denorm_src 0
		.amdhsa_exception_fp_ieee_div_zero 0
		.amdhsa_exception_fp_ieee_overflow 0
		.amdhsa_exception_fp_ieee_underflow 0
		.amdhsa_exception_fp_ieee_inexact 0
		.amdhsa_exception_int_div_zero 0
	.end_amdhsa_kernel
	.section	.text._ZN7rocprim17ROCPRIM_400000_NS6detail17trampoline_kernelINS0_14default_configENS1_27scan_by_key_config_selectorIxxEEZZNS1_16scan_by_key_implILNS1_25lookback_scan_determinismE0ELb1ES3_N6thrust23THRUST_200600_302600_NS6detail15normal_iteratorINS9_10device_ptrIxEEEESE_SE_xNS9_4plusIvEENS9_8equal_toIvEExEE10hipError_tPvRmT2_T3_T4_T5_mT6_T7_P12ihipStream_tbENKUlT_T0_E_clISt17integral_constantIbLb1EESZ_EEDaSU_SV_EUlSU_E_NS1_11comp_targetILNS1_3genE10ELNS1_11target_archE1201ELNS1_3gpuE5ELNS1_3repE0EEENS1_30default_config_static_selectorELNS0_4arch9wavefront6targetE0EEEvT1_,"axG",@progbits,_ZN7rocprim17ROCPRIM_400000_NS6detail17trampoline_kernelINS0_14default_configENS1_27scan_by_key_config_selectorIxxEEZZNS1_16scan_by_key_implILNS1_25lookback_scan_determinismE0ELb1ES3_N6thrust23THRUST_200600_302600_NS6detail15normal_iteratorINS9_10device_ptrIxEEEESE_SE_xNS9_4plusIvEENS9_8equal_toIvEExEE10hipError_tPvRmT2_T3_T4_T5_mT6_T7_P12ihipStream_tbENKUlT_T0_E_clISt17integral_constantIbLb1EESZ_EEDaSU_SV_EUlSU_E_NS1_11comp_targetILNS1_3genE10ELNS1_11target_archE1201ELNS1_3gpuE5ELNS1_3repE0EEENS1_30default_config_static_selectorELNS0_4arch9wavefront6targetE0EEEvT1_,comdat
.Lfunc_end363:
	.size	_ZN7rocprim17ROCPRIM_400000_NS6detail17trampoline_kernelINS0_14default_configENS1_27scan_by_key_config_selectorIxxEEZZNS1_16scan_by_key_implILNS1_25lookback_scan_determinismE0ELb1ES3_N6thrust23THRUST_200600_302600_NS6detail15normal_iteratorINS9_10device_ptrIxEEEESE_SE_xNS9_4plusIvEENS9_8equal_toIvEExEE10hipError_tPvRmT2_T3_T4_T5_mT6_T7_P12ihipStream_tbENKUlT_T0_E_clISt17integral_constantIbLb1EESZ_EEDaSU_SV_EUlSU_E_NS1_11comp_targetILNS1_3genE10ELNS1_11target_archE1201ELNS1_3gpuE5ELNS1_3repE0EEENS1_30default_config_static_selectorELNS0_4arch9wavefront6targetE0EEEvT1_, .Lfunc_end363-_ZN7rocprim17ROCPRIM_400000_NS6detail17trampoline_kernelINS0_14default_configENS1_27scan_by_key_config_selectorIxxEEZZNS1_16scan_by_key_implILNS1_25lookback_scan_determinismE0ELb1ES3_N6thrust23THRUST_200600_302600_NS6detail15normal_iteratorINS9_10device_ptrIxEEEESE_SE_xNS9_4plusIvEENS9_8equal_toIvEExEE10hipError_tPvRmT2_T3_T4_T5_mT6_T7_P12ihipStream_tbENKUlT_T0_E_clISt17integral_constantIbLb1EESZ_EEDaSU_SV_EUlSU_E_NS1_11comp_targetILNS1_3genE10ELNS1_11target_archE1201ELNS1_3gpuE5ELNS1_3repE0EEENS1_30default_config_static_selectorELNS0_4arch9wavefront6targetE0EEEvT1_
                                        ; -- End function
	.set _ZN7rocprim17ROCPRIM_400000_NS6detail17trampoline_kernelINS0_14default_configENS1_27scan_by_key_config_selectorIxxEEZZNS1_16scan_by_key_implILNS1_25lookback_scan_determinismE0ELb1ES3_N6thrust23THRUST_200600_302600_NS6detail15normal_iteratorINS9_10device_ptrIxEEEESE_SE_xNS9_4plusIvEENS9_8equal_toIvEExEE10hipError_tPvRmT2_T3_T4_T5_mT6_T7_P12ihipStream_tbENKUlT_T0_E_clISt17integral_constantIbLb1EESZ_EEDaSU_SV_EUlSU_E_NS1_11comp_targetILNS1_3genE10ELNS1_11target_archE1201ELNS1_3gpuE5ELNS1_3repE0EEENS1_30default_config_static_selectorELNS0_4arch9wavefront6targetE0EEEvT1_.num_vgpr, 0
	.set _ZN7rocprim17ROCPRIM_400000_NS6detail17trampoline_kernelINS0_14default_configENS1_27scan_by_key_config_selectorIxxEEZZNS1_16scan_by_key_implILNS1_25lookback_scan_determinismE0ELb1ES3_N6thrust23THRUST_200600_302600_NS6detail15normal_iteratorINS9_10device_ptrIxEEEESE_SE_xNS9_4plusIvEENS9_8equal_toIvEExEE10hipError_tPvRmT2_T3_T4_T5_mT6_T7_P12ihipStream_tbENKUlT_T0_E_clISt17integral_constantIbLb1EESZ_EEDaSU_SV_EUlSU_E_NS1_11comp_targetILNS1_3genE10ELNS1_11target_archE1201ELNS1_3gpuE5ELNS1_3repE0EEENS1_30default_config_static_selectorELNS0_4arch9wavefront6targetE0EEEvT1_.num_agpr, 0
	.set _ZN7rocprim17ROCPRIM_400000_NS6detail17trampoline_kernelINS0_14default_configENS1_27scan_by_key_config_selectorIxxEEZZNS1_16scan_by_key_implILNS1_25lookback_scan_determinismE0ELb1ES3_N6thrust23THRUST_200600_302600_NS6detail15normal_iteratorINS9_10device_ptrIxEEEESE_SE_xNS9_4plusIvEENS9_8equal_toIvEExEE10hipError_tPvRmT2_T3_T4_T5_mT6_T7_P12ihipStream_tbENKUlT_T0_E_clISt17integral_constantIbLb1EESZ_EEDaSU_SV_EUlSU_E_NS1_11comp_targetILNS1_3genE10ELNS1_11target_archE1201ELNS1_3gpuE5ELNS1_3repE0EEENS1_30default_config_static_selectorELNS0_4arch9wavefront6targetE0EEEvT1_.numbered_sgpr, 0
	.set _ZN7rocprim17ROCPRIM_400000_NS6detail17trampoline_kernelINS0_14default_configENS1_27scan_by_key_config_selectorIxxEEZZNS1_16scan_by_key_implILNS1_25lookback_scan_determinismE0ELb1ES3_N6thrust23THRUST_200600_302600_NS6detail15normal_iteratorINS9_10device_ptrIxEEEESE_SE_xNS9_4plusIvEENS9_8equal_toIvEExEE10hipError_tPvRmT2_T3_T4_T5_mT6_T7_P12ihipStream_tbENKUlT_T0_E_clISt17integral_constantIbLb1EESZ_EEDaSU_SV_EUlSU_E_NS1_11comp_targetILNS1_3genE10ELNS1_11target_archE1201ELNS1_3gpuE5ELNS1_3repE0EEENS1_30default_config_static_selectorELNS0_4arch9wavefront6targetE0EEEvT1_.num_named_barrier, 0
	.set _ZN7rocprim17ROCPRIM_400000_NS6detail17trampoline_kernelINS0_14default_configENS1_27scan_by_key_config_selectorIxxEEZZNS1_16scan_by_key_implILNS1_25lookback_scan_determinismE0ELb1ES3_N6thrust23THRUST_200600_302600_NS6detail15normal_iteratorINS9_10device_ptrIxEEEESE_SE_xNS9_4plusIvEENS9_8equal_toIvEExEE10hipError_tPvRmT2_T3_T4_T5_mT6_T7_P12ihipStream_tbENKUlT_T0_E_clISt17integral_constantIbLb1EESZ_EEDaSU_SV_EUlSU_E_NS1_11comp_targetILNS1_3genE10ELNS1_11target_archE1201ELNS1_3gpuE5ELNS1_3repE0EEENS1_30default_config_static_selectorELNS0_4arch9wavefront6targetE0EEEvT1_.private_seg_size, 0
	.set _ZN7rocprim17ROCPRIM_400000_NS6detail17trampoline_kernelINS0_14default_configENS1_27scan_by_key_config_selectorIxxEEZZNS1_16scan_by_key_implILNS1_25lookback_scan_determinismE0ELb1ES3_N6thrust23THRUST_200600_302600_NS6detail15normal_iteratorINS9_10device_ptrIxEEEESE_SE_xNS9_4plusIvEENS9_8equal_toIvEExEE10hipError_tPvRmT2_T3_T4_T5_mT6_T7_P12ihipStream_tbENKUlT_T0_E_clISt17integral_constantIbLb1EESZ_EEDaSU_SV_EUlSU_E_NS1_11comp_targetILNS1_3genE10ELNS1_11target_archE1201ELNS1_3gpuE5ELNS1_3repE0EEENS1_30default_config_static_selectorELNS0_4arch9wavefront6targetE0EEEvT1_.uses_vcc, 0
	.set _ZN7rocprim17ROCPRIM_400000_NS6detail17trampoline_kernelINS0_14default_configENS1_27scan_by_key_config_selectorIxxEEZZNS1_16scan_by_key_implILNS1_25lookback_scan_determinismE0ELb1ES3_N6thrust23THRUST_200600_302600_NS6detail15normal_iteratorINS9_10device_ptrIxEEEESE_SE_xNS9_4plusIvEENS9_8equal_toIvEExEE10hipError_tPvRmT2_T3_T4_T5_mT6_T7_P12ihipStream_tbENKUlT_T0_E_clISt17integral_constantIbLb1EESZ_EEDaSU_SV_EUlSU_E_NS1_11comp_targetILNS1_3genE10ELNS1_11target_archE1201ELNS1_3gpuE5ELNS1_3repE0EEENS1_30default_config_static_selectorELNS0_4arch9wavefront6targetE0EEEvT1_.uses_flat_scratch, 0
	.set _ZN7rocprim17ROCPRIM_400000_NS6detail17trampoline_kernelINS0_14default_configENS1_27scan_by_key_config_selectorIxxEEZZNS1_16scan_by_key_implILNS1_25lookback_scan_determinismE0ELb1ES3_N6thrust23THRUST_200600_302600_NS6detail15normal_iteratorINS9_10device_ptrIxEEEESE_SE_xNS9_4plusIvEENS9_8equal_toIvEExEE10hipError_tPvRmT2_T3_T4_T5_mT6_T7_P12ihipStream_tbENKUlT_T0_E_clISt17integral_constantIbLb1EESZ_EEDaSU_SV_EUlSU_E_NS1_11comp_targetILNS1_3genE10ELNS1_11target_archE1201ELNS1_3gpuE5ELNS1_3repE0EEENS1_30default_config_static_selectorELNS0_4arch9wavefront6targetE0EEEvT1_.has_dyn_sized_stack, 0
	.set _ZN7rocprim17ROCPRIM_400000_NS6detail17trampoline_kernelINS0_14default_configENS1_27scan_by_key_config_selectorIxxEEZZNS1_16scan_by_key_implILNS1_25lookback_scan_determinismE0ELb1ES3_N6thrust23THRUST_200600_302600_NS6detail15normal_iteratorINS9_10device_ptrIxEEEESE_SE_xNS9_4plusIvEENS9_8equal_toIvEExEE10hipError_tPvRmT2_T3_T4_T5_mT6_T7_P12ihipStream_tbENKUlT_T0_E_clISt17integral_constantIbLb1EESZ_EEDaSU_SV_EUlSU_E_NS1_11comp_targetILNS1_3genE10ELNS1_11target_archE1201ELNS1_3gpuE5ELNS1_3repE0EEENS1_30default_config_static_selectorELNS0_4arch9wavefront6targetE0EEEvT1_.has_recursion, 0
	.set _ZN7rocprim17ROCPRIM_400000_NS6detail17trampoline_kernelINS0_14default_configENS1_27scan_by_key_config_selectorIxxEEZZNS1_16scan_by_key_implILNS1_25lookback_scan_determinismE0ELb1ES3_N6thrust23THRUST_200600_302600_NS6detail15normal_iteratorINS9_10device_ptrIxEEEESE_SE_xNS9_4plusIvEENS9_8equal_toIvEExEE10hipError_tPvRmT2_T3_T4_T5_mT6_T7_P12ihipStream_tbENKUlT_T0_E_clISt17integral_constantIbLb1EESZ_EEDaSU_SV_EUlSU_E_NS1_11comp_targetILNS1_3genE10ELNS1_11target_archE1201ELNS1_3gpuE5ELNS1_3repE0EEENS1_30default_config_static_selectorELNS0_4arch9wavefront6targetE0EEEvT1_.has_indirect_call, 0
	.section	.AMDGPU.csdata,"",@progbits
; Kernel info:
; codeLenInByte = 0
; TotalNumSgprs: 0
; NumVgprs: 0
; ScratchSize: 0
; MemoryBound: 0
; FloatMode: 240
; IeeeMode: 1
; LDSByteSize: 0 bytes/workgroup (compile time only)
; SGPRBlocks: 0
; VGPRBlocks: 0
; NumSGPRsForWavesPerEU: 1
; NumVGPRsForWavesPerEU: 1
; Occupancy: 16
; WaveLimiterHint : 0
; COMPUTE_PGM_RSRC2:SCRATCH_EN: 0
; COMPUTE_PGM_RSRC2:USER_SGPR: 6
; COMPUTE_PGM_RSRC2:TRAP_HANDLER: 0
; COMPUTE_PGM_RSRC2:TGID_X_EN: 1
; COMPUTE_PGM_RSRC2:TGID_Y_EN: 0
; COMPUTE_PGM_RSRC2:TGID_Z_EN: 0
; COMPUTE_PGM_RSRC2:TIDIG_COMP_CNT: 0
	.section	.text._ZN7rocprim17ROCPRIM_400000_NS6detail17trampoline_kernelINS0_14default_configENS1_27scan_by_key_config_selectorIxxEEZZNS1_16scan_by_key_implILNS1_25lookback_scan_determinismE0ELb1ES3_N6thrust23THRUST_200600_302600_NS6detail15normal_iteratorINS9_10device_ptrIxEEEESE_SE_xNS9_4plusIvEENS9_8equal_toIvEExEE10hipError_tPvRmT2_T3_T4_T5_mT6_T7_P12ihipStream_tbENKUlT_T0_E_clISt17integral_constantIbLb1EESZ_EEDaSU_SV_EUlSU_E_NS1_11comp_targetILNS1_3genE5ELNS1_11target_archE942ELNS1_3gpuE9ELNS1_3repE0EEENS1_30default_config_static_selectorELNS0_4arch9wavefront6targetE0EEEvT1_,"axG",@progbits,_ZN7rocprim17ROCPRIM_400000_NS6detail17trampoline_kernelINS0_14default_configENS1_27scan_by_key_config_selectorIxxEEZZNS1_16scan_by_key_implILNS1_25lookback_scan_determinismE0ELb1ES3_N6thrust23THRUST_200600_302600_NS6detail15normal_iteratorINS9_10device_ptrIxEEEESE_SE_xNS9_4plusIvEENS9_8equal_toIvEExEE10hipError_tPvRmT2_T3_T4_T5_mT6_T7_P12ihipStream_tbENKUlT_T0_E_clISt17integral_constantIbLb1EESZ_EEDaSU_SV_EUlSU_E_NS1_11comp_targetILNS1_3genE5ELNS1_11target_archE942ELNS1_3gpuE9ELNS1_3repE0EEENS1_30default_config_static_selectorELNS0_4arch9wavefront6targetE0EEEvT1_,comdat
	.protected	_ZN7rocprim17ROCPRIM_400000_NS6detail17trampoline_kernelINS0_14default_configENS1_27scan_by_key_config_selectorIxxEEZZNS1_16scan_by_key_implILNS1_25lookback_scan_determinismE0ELb1ES3_N6thrust23THRUST_200600_302600_NS6detail15normal_iteratorINS9_10device_ptrIxEEEESE_SE_xNS9_4plusIvEENS9_8equal_toIvEExEE10hipError_tPvRmT2_T3_T4_T5_mT6_T7_P12ihipStream_tbENKUlT_T0_E_clISt17integral_constantIbLb1EESZ_EEDaSU_SV_EUlSU_E_NS1_11comp_targetILNS1_3genE5ELNS1_11target_archE942ELNS1_3gpuE9ELNS1_3repE0EEENS1_30default_config_static_selectorELNS0_4arch9wavefront6targetE0EEEvT1_ ; -- Begin function _ZN7rocprim17ROCPRIM_400000_NS6detail17trampoline_kernelINS0_14default_configENS1_27scan_by_key_config_selectorIxxEEZZNS1_16scan_by_key_implILNS1_25lookback_scan_determinismE0ELb1ES3_N6thrust23THRUST_200600_302600_NS6detail15normal_iteratorINS9_10device_ptrIxEEEESE_SE_xNS9_4plusIvEENS9_8equal_toIvEExEE10hipError_tPvRmT2_T3_T4_T5_mT6_T7_P12ihipStream_tbENKUlT_T0_E_clISt17integral_constantIbLb1EESZ_EEDaSU_SV_EUlSU_E_NS1_11comp_targetILNS1_3genE5ELNS1_11target_archE942ELNS1_3gpuE9ELNS1_3repE0EEENS1_30default_config_static_selectorELNS0_4arch9wavefront6targetE0EEEvT1_
	.globl	_ZN7rocprim17ROCPRIM_400000_NS6detail17trampoline_kernelINS0_14default_configENS1_27scan_by_key_config_selectorIxxEEZZNS1_16scan_by_key_implILNS1_25lookback_scan_determinismE0ELb1ES3_N6thrust23THRUST_200600_302600_NS6detail15normal_iteratorINS9_10device_ptrIxEEEESE_SE_xNS9_4plusIvEENS9_8equal_toIvEExEE10hipError_tPvRmT2_T3_T4_T5_mT6_T7_P12ihipStream_tbENKUlT_T0_E_clISt17integral_constantIbLb1EESZ_EEDaSU_SV_EUlSU_E_NS1_11comp_targetILNS1_3genE5ELNS1_11target_archE942ELNS1_3gpuE9ELNS1_3repE0EEENS1_30default_config_static_selectorELNS0_4arch9wavefront6targetE0EEEvT1_
	.p2align	8
	.type	_ZN7rocprim17ROCPRIM_400000_NS6detail17trampoline_kernelINS0_14default_configENS1_27scan_by_key_config_selectorIxxEEZZNS1_16scan_by_key_implILNS1_25lookback_scan_determinismE0ELb1ES3_N6thrust23THRUST_200600_302600_NS6detail15normal_iteratorINS9_10device_ptrIxEEEESE_SE_xNS9_4plusIvEENS9_8equal_toIvEExEE10hipError_tPvRmT2_T3_T4_T5_mT6_T7_P12ihipStream_tbENKUlT_T0_E_clISt17integral_constantIbLb1EESZ_EEDaSU_SV_EUlSU_E_NS1_11comp_targetILNS1_3genE5ELNS1_11target_archE942ELNS1_3gpuE9ELNS1_3repE0EEENS1_30default_config_static_selectorELNS0_4arch9wavefront6targetE0EEEvT1_,@function
_ZN7rocprim17ROCPRIM_400000_NS6detail17trampoline_kernelINS0_14default_configENS1_27scan_by_key_config_selectorIxxEEZZNS1_16scan_by_key_implILNS1_25lookback_scan_determinismE0ELb1ES3_N6thrust23THRUST_200600_302600_NS6detail15normal_iteratorINS9_10device_ptrIxEEEESE_SE_xNS9_4plusIvEENS9_8equal_toIvEExEE10hipError_tPvRmT2_T3_T4_T5_mT6_T7_P12ihipStream_tbENKUlT_T0_E_clISt17integral_constantIbLb1EESZ_EEDaSU_SV_EUlSU_E_NS1_11comp_targetILNS1_3genE5ELNS1_11target_archE942ELNS1_3gpuE9ELNS1_3repE0EEENS1_30default_config_static_selectorELNS0_4arch9wavefront6targetE0EEEvT1_: ; @_ZN7rocprim17ROCPRIM_400000_NS6detail17trampoline_kernelINS0_14default_configENS1_27scan_by_key_config_selectorIxxEEZZNS1_16scan_by_key_implILNS1_25lookback_scan_determinismE0ELb1ES3_N6thrust23THRUST_200600_302600_NS6detail15normal_iteratorINS9_10device_ptrIxEEEESE_SE_xNS9_4plusIvEENS9_8equal_toIvEExEE10hipError_tPvRmT2_T3_T4_T5_mT6_T7_P12ihipStream_tbENKUlT_T0_E_clISt17integral_constantIbLb1EESZ_EEDaSU_SV_EUlSU_E_NS1_11comp_targetILNS1_3genE5ELNS1_11target_archE942ELNS1_3gpuE9ELNS1_3repE0EEENS1_30default_config_static_selectorELNS0_4arch9wavefront6targetE0EEEvT1_
; %bb.0:
	.section	.rodata,"a",@progbits
	.p2align	6, 0x0
	.amdhsa_kernel _ZN7rocprim17ROCPRIM_400000_NS6detail17trampoline_kernelINS0_14default_configENS1_27scan_by_key_config_selectorIxxEEZZNS1_16scan_by_key_implILNS1_25lookback_scan_determinismE0ELb1ES3_N6thrust23THRUST_200600_302600_NS6detail15normal_iteratorINS9_10device_ptrIxEEEESE_SE_xNS9_4plusIvEENS9_8equal_toIvEExEE10hipError_tPvRmT2_T3_T4_T5_mT6_T7_P12ihipStream_tbENKUlT_T0_E_clISt17integral_constantIbLb1EESZ_EEDaSU_SV_EUlSU_E_NS1_11comp_targetILNS1_3genE5ELNS1_11target_archE942ELNS1_3gpuE9ELNS1_3repE0EEENS1_30default_config_static_selectorELNS0_4arch9wavefront6targetE0EEEvT1_
		.amdhsa_group_segment_fixed_size 0
		.amdhsa_private_segment_fixed_size 0
		.amdhsa_kernarg_size 136
		.amdhsa_user_sgpr_count 6
		.amdhsa_user_sgpr_private_segment_buffer 1
		.amdhsa_user_sgpr_dispatch_ptr 0
		.amdhsa_user_sgpr_queue_ptr 0
		.amdhsa_user_sgpr_kernarg_segment_ptr 1
		.amdhsa_user_sgpr_dispatch_id 0
		.amdhsa_user_sgpr_flat_scratch_init 0
		.amdhsa_user_sgpr_private_segment_size 0
		.amdhsa_wavefront_size32 1
		.amdhsa_uses_dynamic_stack 0
		.amdhsa_system_sgpr_private_segment_wavefront_offset 0
		.amdhsa_system_sgpr_workgroup_id_x 1
		.amdhsa_system_sgpr_workgroup_id_y 0
		.amdhsa_system_sgpr_workgroup_id_z 0
		.amdhsa_system_sgpr_workgroup_info 0
		.amdhsa_system_vgpr_workitem_id 0
		.amdhsa_next_free_vgpr 1
		.amdhsa_next_free_sgpr 1
		.amdhsa_reserve_vcc 0
		.amdhsa_reserve_flat_scratch 0
		.amdhsa_float_round_mode_32 0
		.amdhsa_float_round_mode_16_64 0
		.amdhsa_float_denorm_mode_32 3
		.amdhsa_float_denorm_mode_16_64 3
		.amdhsa_dx10_clamp 1
		.amdhsa_ieee_mode 1
		.amdhsa_fp16_overflow 0
		.amdhsa_workgroup_processor_mode 1
		.amdhsa_memory_ordered 1
		.amdhsa_forward_progress 1
		.amdhsa_shared_vgpr_count 0
		.amdhsa_exception_fp_ieee_invalid_op 0
		.amdhsa_exception_fp_denorm_src 0
		.amdhsa_exception_fp_ieee_div_zero 0
		.amdhsa_exception_fp_ieee_overflow 0
		.amdhsa_exception_fp_ieee_underflow 0
		.amdhsa_exception_fp_ieee_inexact 0
		.amdhsa_exception_int_div_zero 0
	.end_amdhsa_kernel
	.section	.text._ZN7rocprim17ROCPRIM_400000_NS6detail17trampoline_kernelINS0_14default_configENS1_27scan_by_key_config_selectorIxxEEZZNS1_16scan_by_key_implILNS1_25lookback_scan_determinismE0ELb1ES3_N6thrust23THRUST_200600_302600_NS6detail15normal_iteratorINS9_10device_ptrIxEEEESE_SE_xNS9_4plusIvEENS9_8equal_toIvEExEE10hipError_tPvRmT2_T3_T4_T5_mT6_T7_P12ihipStream_tbENKUlT_T0_E_clISt17integral_constantIbLb1EESZ_EEDaSU_SV_EUlSU_E_NS1_11comp_targetILNS1_3genE5ELNS1_11target_archE942ELNS1_3gpuE9ELNS1_3repE0EEENS1_30default_config_static_selectorELNS0_4arch9wavefront6targetE0EEEvT1_,"axG",@progbits,_ZN7rocprim17ROCPRIM_400000_NS6detail17trampoline_kernelINS0_14default_configENS1_27scan_by_key_config_selectorIxxEEZZNS1_16scan_by_key_implILNS1_25lookback_scan_determinismE0ELb1ES3_N6thrust23THRUST_200600_302600_NS6detail15normal_iteratorINS9_10device_ptrIxEEEESE_SE_xNS9_4plusIvEENS9_8equal_toIvEExEE10hipError_tPvRmT2_T3_T4_T5_mT6_T7_P12ihipStream_tbENKUlT_T0_E_clISt17integral_constantIbLb1EESZ_EEDaSU_SV_EUlSU_E_NS1_11comp_targetILNS1_3genE5ELNS1_11target_archE942ELNS1_3gpuE9ELNS1_3repE0EEENS1_30default_config_static_selectorELNS0_4arch9wavefront6targetE0EEEvT1_,comdat
.Lfunc_end364:
	.size	_ZN7rocprim17ROCPRIM_400000_NS6detail17trampoline_kernelINS0_14default_configENS1_27scan_by_key_config_selectorIxxEEZZNS1_16scan_by_key_implILNS1_25lookback_scan_determinismE0ELb1ES3_N6thrust23THRUST_200600_302600_NS6detail15normal_iteratorINS9_10device_ptrIxEEEESE_SE_xNS9_4plusIvEENS9_8equal_toIvEExEE10hipError_tPvRmT2_T3_T4_T5_mT6_T7_P12ihipStream_tbENKUlT_T0_E_clISt17integral_constantIbLb1EESZ_EEDaSU_SV_EUlSU_E_NS1_11comp_targetILNS1_3genE5ELNS1_11target_archE942ELNS1_3gpuE9ELNS1_3repE0EEENS1_30default_config_static_selectorELNS0_4arch9wavefront6targetE0EEEvT1_, .Lfunc_end364-_ZN7rocprim17ROCPRIM_400000_NS6detail17trampoline_kernelINS0_14default_configENS1_27scan_by_key_config_selectorIxxEEZZNS1_16scan_by_key_implILNS1_25lookback_scan_determinismE0ELb1ES3_N6thrust23THRUST_200600_302600_NS6detail15normal_iteratorINS9_10device_ptrIxEEEESE_SE_xNS9_4plusIvEENS9_8equal_toIvEExEE10hipError_tPvRmT2_T3_T4_T5_mT6_T7_P12ihipStream_tbENKUlT_T0_E_clISt17integral_constantIbLb1EESZ_EEDaSU_SV_EUlSU_E_NS1_11comp_targetILNS1_3genE5ELNS1_11target_archE942ELNS1_3gpuE9ELNS1_3repE0EEENS1_30default_config_static_selectorELNS0_4arch9wavefront6targetE0EEEvT1_
                                        ; -- End function
	.set _ZN7rocprim17ROCPRIM_400000_NS6detail17trampoline_kernelINS0_14default_configENS1_27scan_by_key_config_selectorIxxEEZZNS1_16scan_by_key_implILNS1_25lookback_scan_determinismE0ELb1ES3_N6thrust23THRUST_200600_302600_NS6detail15normal_iteratorINS9_10device_ptrIxEEEESE_SE_xNS9_4plusIvEENS9_8equal_toIvEExEE10hipError_tPvRmT2_T3_T4_T5_mT6_T7_P12ihipStream_tbENKUlT_T0_E_clISt17integral_constantIbLb1EESZ_EEDaSU_SV_EUlSU_E_NS1_11comp_targetILNS1_3genE5ELNS1_11target_archE942ELNS1_3gpuE9ELNS1_3repE0EEENS1_30default_config_static_selectorELNS0_4arch9wavefront6targetE0EEEvT1_.num_vgpr, 0
	.set _ZN7rocprim17ROCPRIM_400000_NS6detail17trampoline_kernelINS0_14default_configENS1_27scan_by_key_config_selectorIxxEEZZNS1_16scan_by_key_implILNS1_25lookback_scan_determinismE0ELb1ES3_N6thrust23THRUST_200600_302600_NS6detail15normal_iteratorINS9_10device_ptrIxEEEESE_SE_xNS9_4plusIvEENS9_8equal_toIvEExEE10hipError_tPvRmT2_T3_T4_T5_mT6_T7_P12ihipStream_tbENKUlT_T0_E_clISt17integral_constantIbLb1EESZ_EEDaSU_SV_EUlSU_E_NS1_11comp_targetILNS1_3genE5ELNS1_11target_archE942ELNS1_3gpuE9ELNS1_3repE0EEENS1_30default_config_static_selectorELNS0_4arch9wavefront6targetE0EEEvT1_.num_agpr, 0
	.set _ZN7rocprim17ROCPRIM_400000_NS6detail17trampoline_kernelINS0_14default_configENS1_27scan_by_key_config_selectorIxxEEZZNS1_16scan_by_key_implILNS1_25lookback_scan_determinismE0ELb1ES3_N6thrust23THRUST_200600_302600_NS6detail15normal_iteratorINS9_10device_ptrIxEEEESE_SE_xNS9_4plusIvEENS9_8equal_toIvEExEE10hipError_tPvRmT2_T3_T4_T5_mT6_T7_P12ihipStream_tbENKUlT_T0_E_clISt17integral_constantIbLb1EESZ_EEDaSU_SV_EUlSU_E_NS1_11comp_targetILNS1_3genE5ELNS1_11target_archE942ELNS1_3gpuE9ELNS1_3repE0EEENS1_30default_config_static_selectorELNS0_4arch9wavefront6targetE0EEEvT1_.numbered_sgpr, 0
	.set _ZN7rocprim17ROCPRIM_400000_NS6detail17trampoline_kernelINS0_14default_configENS1_27scan_by_key_config_selectorIxxEEZZNS1_16scan_by_key_implILNS1_25lookback_scan_determinismE0ELb1ES3_N6thrust23THRUST_200600_302600_NS6detail15normal_iteratorINS9_10device_ptrIxEEEESE_SE_xNS9_4plusIvEENS9_8equal_toIvEExEE10hipError_tPvRmT2_T3_T4_T5_mT6_T7_P12ihipStream_tbENKUlT_T0_E_clISt17integral_constantIbLb1EESZ_EEDaSU_SV_EUlSU_E_NS1_11comp_targetILNS1_3genE5ELNS1_11target_archE942ELNS1_3gpuE9ELNS1_3repE0EEENS1_30default_config_static_selectorELNS0_4arch9wavefront6targetE0EEEvT1_.num_named_barrier, 0
	.set _ZN7rocprim17ROCPRIM_400000_NS6detail17trampoline_kernelINS0_14default_configENS1_27scan_by_key_config_selectorIxxEEZZNS1_16scan_by_key_implILNS1_25lookback_scan_determinismE0ELb1ES3_N6thrust23THRUST_200600_302600_NS6detail15normal_iteratorINS9_10device_ptrIxEEEESE_SE_xNS9_4plusIvEENS9_8equal_toIvEExEE10hipError_tPvRmT2_T3_T4_T5_mT6_T7_P12ihipStream_tbENKUlT_T0_E_clISt17integral_constantIbLb1EESZ_EEDaSU_SV_EUlSU_E_NS1_11comp_targetILNS1_3genE5ELNS1_11target_archE942ELNS1_3gpuE9ELNS1_3repE0EEENS1_30default_config_static_selectorELNS0_4arch9wavefront6targetE0EEEvT1_.private_seg_size, 0
	.set _ZN7rocprim17ROCPRIM_400000_NS6detail17trampoline_kernelINS0_14default_configENS1_27scan_by_key_config_selectorIxxEEZZNS1_16scan_by_key_implILNS1_25lookback_scan_determinismE0ELb1ES3_N6thrust23THRUST_200600_302600_NS6detail15normal_iteratorINS9_10device_ptrIxEEEESE_SE_xNS9_4plusIvEENS9_8equal_toIvEExEE10hipError_tPvRmT2_T3_T4_T5_mT6_T7_P12ihipStream_tbENKUlT_T0_E_clISt17integral_constantIbLb1EESZ_EEDaSU_SV_EUlSU_E_NS1_11comp_targetILNS1_3genE5ELNS1_11target_archE942ELNS1_3gpuE9ELNS1_3repE0EEENS1_30default_config_static_selectorELNS0_4arch9wavefront6targetE0EEEvT1_.uses_vcc, 0
	.set _ZN7rocprim17ROCPRIM_400000_NS6detail17trampoline_kernelINS0_14default_configENS1_27scan_by_key_config_selectorIxxEEZZNS1_16scan_by_key_implILNS1_25lookback_scan_determinismE0ELb1ES3_N6thrust23THRUST_200600_302600_NS6detail15normal_iteratorINS9_10device_ptrIxEEEESE_SE_xNS9_4plusIvEENS9_8equal_toIvEExEE10hipError_tPvRmT2_T3_T4_T5_mT6_T7_P12ihipStream_tbENKUlT_T0_E_clISt17integral_constantIbLb1EESZ_EEDaSU_SV_EUlSU_E_NS1_11comp_targetILNS1_3genE5ELNS1_11target_archE942ELNS1_3gpuE9ELNS1_3repE0EEENS1_30default_config_static_selectorELNS0_4arch9wavefront6targetE0EEEvT1_.uses_flat_scratch, 0
	.set _ZN7rocprim17ROCPRIM_400000_NS6detail17trampoline_kernelINS0_14default_configENS1_27scan_by_key_config_selectorIxxEEZZNS1_16scan_by_key_implILNS1_25lookback_scan_determinismE0ELb1ES3_N6thrust23THRUST_200600_302600_NS6detail15normal_iteratorINS9_10device_ptrIxEEEESE_SE_xNS9_4plusIvEENS9_8equal_toIvEExEE10hipError_tPvRmT2_T3_T4_T5_mT6_T7_P12ihipStream_tbENKUlT_T0_E_clISt17integral_constantIbLb1EESZ_EEDaSU_SV_EUlSU_E_NS1_11comp_targetILNS1_3genE5ELNS1_11target_archE942ELNS1_3gpuE9ELNS1_3repE0EEENS1_30default_config_static_selectorELNS0_4arch9wavefront6targetE0EEEvT1_.has_dyn_sized_stack, 0
	.set _ZN7rocprim17ROCPRIM_400000_NS6detail17trampoline_kernelINS0_14default_configENS1_27scan_by_key_config_selectorIxxEEZZNS1_16scan_by_key_implILNS1_25lookback_scan_determinismE0ELb1ES3_N6thrust23THRUST_200600_302600_NS6detail15normal_iteratorINS9_10device_ptrIxEEEESE_SE_xNS9_4plusIvEENS9_8equal_toIvEExEE10hipError_tPvRmT2_T3_T4_T5_mT6_T7_P12ihipStream_tbENKUlT_T0_E_clISt17integral_constantIbLb1EESZ_EEDaSU_SV_EUlSU_E_NS1_11comp_targetILNS1_3genE5ELNS1_11target_archE942ELNS1_3gpuE9ELNS1_3repE0EEENS1_30default_config_static_selectorELNS0_4arch9wavefront6targetE0EEEvT1_.has_recursion, 0
	.set _ZN7rocprim17ROCPRIM_400000_NS6detail17trampoline_kernelINS0_14default_configENS1_27scan_by_key_config_selectorIxxEEZZNS1_16scan_by_key_implILNS1_25lookback_scan_determinismE0ELb1ES3_N6thrust23THRUST_200600_302600_NS6detail15normal_iteratorINS9_10device_ptrIxEEEESE_SE_xNS9_4plusIvEENS9_8equal_toIvEExEE10hipError_tPvRmT2_T3_T4_T5_mT6_T7_P12ihipStream_tbENKUlT_T0_E_clISt17integral_constantIbLb1EESZ_EEDaSU_SV_EUlSU_E_NS1_11comp_targetILNS1_3genE5ELNS1_11target_archE942ELNS1_3gpuE9ELNS1_3repE0EEENS1_30default_config_static_selectorELNS0_4arch9wavefront6targetE0EEEvT1_.has_indirect_call, 0
	.section	.AMDGPU.csdata,"",@progbits
; Kernel info:
; codeLenInByte = 0
; TotalNumSgprs: 0
; NumVgprs: 0
; ScratchSize: 0
; MemoryBound: 0
; FloatMode: 240
; IeeeMode: 1
; LDSByteSize: 0 bytes/workgroup (compile time only)
; SGPRBlocks: 0
; VGPRBlocks: 0
; NumSGPRsForWavesPerEU: 1
; NumVGPRsForWavesPerEU: 1
; Occupancy: 16
; WaveLimiterHint : 0
; COMPUTE_PGM_RSRC2:SCRATCH_EN: 0
; COMPUTE_PGM_RSRC2:USER_SGPR: 6
; COMPUTE_PGM_RSRC2:TRAP_HANDLER: 0
; COMPUTE_PGM_RSRC2:TGID_X_EN: 1
; COMPUTE_PGM_RSRC2:TGID_Y_EN: 0
; COMPUTE_PGM_RSRC2:TGID_Z_EN: 0
; COMPUTE_PGM_RSRC2:TIDIG_COMP_CNT: 0
	.section	.text._ZN7rocprim17ROCPRIM_400000_NS6detail17trampoline_kernelINS0_14default_configENS1_27scan_by_key_config_selectorIxxEEZZNS1_16scan_by_key_implILNS1_25lookback_scan_determinismE0ELb1ES3_N6thrust23THRUST_200600_302600_NS6detail15normal_iteratorINS9_10device_ptrIxEEEESE_SE_xNS9_4plusIvEENS9_8equal_toIvEExEE10hipError_tPvRmT2_T3_T4_T5_mT6_T7_P12ihipStream_tbENKUlT_T0_E_clISt17integral_constantIbLb1EESZ_EEDaSU_SV_EUlSU_E_NS1_11comp_targetILNS1_3genE4ELNS1_11target_archE910ELNS1_3gpuE8ELNS1_3repE0EEENS1_30default_config_static_selectorELNS0_4arch9wavefront6targetE0EEEvT1_,"axG",@progbits,_ZN7rocprim17ROCPRIM_400000_NS6detail17trampoline_kernelINS0_14default_configENS1_27scan_by_key_config_selectorIxxEEZZNS1_16scan_by_key_implILNS1_25lookback_scan_determinismE0ELb1ES3_N6thrust23THRUST_200600_302600_NS6detail15normal_iteratorINS9_10device_ptrIxEEEESE_SE_xNS9_4plusIvEENS9_8equal_toIvEExEE10hipError_tPvRmT2_T3_T4_T5_mT6_T7_P12ihipStream_tbENKUlT_T0_E_clISt17integral_constantIbLb1EESZ_EEDaSU_SV_EUlSU_E_NS1_11comp_targetILNS1_3genE4ELNS1_11target_archE910ELNS1_3gpuE8ELNS1_3repE0EEENS1_30default_config_static_selectorELNS0_4arch9wavefront6targetE0EEEvT1_,comdat
	.protected	_ZN7rocprim17ROCPRIM_400000_NS6detail17trampoline_kernelINS0_14default_configENS1_27scan_by_key_config_selectorIxxEEZZNS1_16scan_by_key_implILNS1_25lookback_scan_determinismE0ELb1ES3_N6thrust23THRUST_200600_302600_NS6detail15normal_iteratorINS9_10device_ptrIxEEEESE_SE_xNS9_4plusIvEENS9_8equal_toIvEExEE10hipError_tPvRmT2_T3_T4_T5_mT6_T7_P12ihipStream_tbENKUlT_T0_E_clISt17integral_constantIbLb1EESZ_EEDaSU_SV_EUlSU_E_NS1_11comp_targetILNS1_3genE4ELNS1_11target_archE910ELNS1_3gpuE8ELNS1_3repE0EEENS1_30default_config_static_selectorELNS0_4arch9wavefront6targetE0EEEvT1_ ; -- Begin function _ZN7rocprim17ROCPRIM_400000_NS6detail17trampoline_kernelINS0_14default_configENS1_27scan_by_key_config_selectorIxxEEZZNS1_16scan_by_key_implILNS1_25lookback_scan_determinismE0ELb1ES3_N6thrust23THRUST_200600_302600_NS6detail15normal_iteratorINS9_10device_ptrIxEEEESE_SE_xNS9_4plusIvEENS9_8equal_toIvEExEE10hipError_tPvRmT2_T3_T4_T5_mT6_T7_P12ihipStream_tbENKUlT_T0_E_clISt17integral_constantIbLb1EESZ_EEDaSU_SV_EUlSU_E_NS1_11comp_targetILNS1_3genE4ELNS1_11target_archE910ELNS1_3gpuE8ELNS1_3repE0EEENS1_30default_config_static_selectorELNS0_4arch9wavefront6targetE0EEEvT1_
	.globl	_ZN7rocprim17ROCPRIM_400000_NS6detail17trampoline_kernelINS0_14default_configENS1_27scan_by_key_config_selectorIxxEEZZNS1_16scan_by_key_implILNS1_25lookback_scan_determinismE0ELb1ES3_N6thrust23THRUST_200600_302600_NS6detail15normal_iteratorINS9_10device_ptrIxEEEESE_SE_xNS9_4plusIvEENS9_8equal_toIvEExEE10hipError_tPvRmT2_T3_T4_T5_mT6_T7_P12ihipStream_tbENKUlT_T0_E_clISt17integral_constantIbLb1EESZ_EEDaSU_SV_EUlSU_E_NS1_11comp_targetILNS1_3genE4ELNS1_11target_archE910ELNS1_3gpuE8ELNS1_3repE0EEENS1_30default_config_static_selectorELNS0_4arch9wavefront6targetE0EEEvT1_
	.p2align	8
	.type	_ZN7rocprim17ROCPRIM_400000_NS6detail17trampoline_kernelINS0_14default_configENS1_27scan_by_key_config_selectorIxxEEZZNS1_16scan_by_key_implILNS1_25lookback_scan_determinismE0ELb1ES3_N6thrust23THRUST_200600_302600_NS6detail15normal_iteratorINS9_10device_ptrIxEEEESE_SE_xNS9_4plusIvEENS9_8equal_toIvEExEE10hipError_tPvRmT2_T3_T4_T5_mT6_T7_P12ihipStream_tbENKUlT_T0_E_clISt17integral_constantIbLb1EESZ_EEDaSU_SV_EUlSU_E_NS1_11comp_targetILNS1_3genE4ELNS1_11target_archE910ELNS1_3gpuE8ELNS1_3repE0EEENS1_30default_config_static_selectorELNS0_4arch9wavefront6targetE0EEEvT1_,@function
_ZN7rocprim17ROCPRIM_400000_NS6detail17trampoline_kernelINS0_14default_configENS1_27scan_by_key_config_selectorIxxEEZZNS1_16scan_by_key_implILNS1_25lookback_scan_determinismE0ELb1ES3_N6thrust23THRUST_200600_302600_NS6detail15normal_iteratorINS9_10device_ptrIxEEEESE_SE_xNS9_4plusIvEENS9_8equal_toIvEExEE10hipError_tPvRmT2_T3_T4_T5_mT6_T7_P12ihipStream_tbENKUlT_T0_E_clISt17integral_constantIbLb1EESZ_EEDaSU_SV_EUlSU_E_NS1_11comp_targetILNS1_3genE4ELNS1_11target_archE910ELNS1_3gpuE8ELNS1_3repE0EEENS1_30default_config_static_selectorELNS0_4arch9wavefront6targetE0EEEvT1_: ; @_ZN7rocprim17ROCPRIM_400000_NS6detail17trampoline_kernelINS0_14default_configENS1_27scan_by_key_config_selectorIxxEEZZNS1_16scan_by_key_implILNS1_25lookback_scan_determinismE0ELb1ES3_N6thrust23THRUST_200600_302600_NS6detail15normal_iteratorINS9_10device_ptrIxEEEESE_SE_xNS9_4plusIvEENS9_8equal_toIvEExEE10hipError_tPvRmT2_T3_T4_T5_mT6_T7_P12ihipStream_tbENKUlT_T0_E_clISt17integral_constantIbLb1EESZ_EEDaSU_SV_EUlSU_E_NS1_11comp_targetILNS1_3genE4ELNS1_11target_archE910ELNS1_3gpuE8ELNS1_3repE0EEENS1_30default_config_static_selectorELNS0_4arch9wavefront6targetE0EEEvT1_
; %bb.0:
	.section	.rodata,"a",@progbits
	.p2align	6, 0x0
	.amdhsa_kernel _ZN7rocprim17ROCPRIM_400000_NS6detail17trampoline_kernelINS0_14default_configENS1_27scan_by_key_config_selectorIxxEEZZNS1_16scan_by_key_implILNS1_25lookback_scan_determinismE0ELb1ES3_N6thrust23THRUST_200600_302600_NS6detail15normal_iteratorINS9_10device_ptrIxEEEESE_SE_xNS9_4plusIvEENS9_8equal_toIvEExEE10hipError_tPvRmT2_T3_T4_T5_mT6_T7_P12ihipStream_tbENKUlT_T0_E_clISt17integral_constantIbLb1EESZ_EEDaSU_SV_EUlSU_E_NS1_11comp_targetILNS1_3genE4ELNS1_11target_archE910ELNS1_3gpuE8ELNS1_3repE0EEENS1_30default_config_static_selectorELNS0_4arch9wavefront6targetE0EEEvT1_
		.amdhsa_group_segment_fixed_size 0
		.amdhsa_private_segment_fixed_size 0
		.amdhsa_kernarg_size 136
		.amdhsa_user_sgpr_count 6
		.amdhsa_user_sgpr_private_segment_buffer 1
		.amdhsa_user_sgpr_dispatch_ptr 0
		.amdhsa_user_sgpr_queue_ptr 0
		.amdhsa_user_sgpr_kernarg_segment_ptr 1
		.amdhsa_user_sgpr_dispatch_id 0
		.amdhsa_user_sgpr_flat_scratch_init 0
		.amdhsa_user_sgpr_private_segment_size 0
		.amdhsa_wavefront_size32 1
		.amdhsa_uses_dynamic_stack 0
		.amdhsa_system_sgpr_private_segment_wavefront_offset 0
		.amdhsa_system_sgpr_workgroup_id_x 1
		.amdhsa_system_sgpr_workgroup_id_y 0
		.amdhsa_system_sgpr_workgroup_id_z 0
		.amdhsa_system_sgpr_workgroup_info 0
		.amdhsa_system_vgpr_workitem_id 0
		.amdhsa_next_free_vgpr 1
		.amdhsa_next_free_sgpr 1
		.amdhsa_reserve_vcc 0
		.amdhsa_reserve_flat_scratch 0
		.amdhsa_float_round_mode_32 0
		.amdhsa_float_round_mode_16_64 0
		.amdhsa_float_denorm_mode_32 3
		.amdhsa_float_denorm_mode_16_64 3
		.amdhsa_dx10_clamp 1
		.amdhsa_ieee_mode 1
		.amdhsa_fp16_overflow 0
		.amdhsa_workgroup_processor_mode 1
		.amdhsa_memory_ordered 1
		.amdhsa_forward_progress 1
		.amdhsa_shared_vgpr_count 0
		.amdhsa_exception_fp_ieee_invalid_op 0
		.amdhsa_exception_fp_denorm_src 0
		.amdhsa_exception_fp_ieee_div_zero 0
		.amdhsa_exception_fp_ieee_overflow 0
		.amdhsa_exception_fp_ieee_underflow 0
		.amdhsa_exception_fp_ieee_inexact 0
		.amdhsa_exception_int_div_zero 0
	.end_amdhsa_kernel
	.section	.text._ZN7rocprim17ROCPRIM_400000_NS6detail17trampoline_kernelINS0_14default_configENS1_27scan_by_key_config_selectorIxxEEZZNS1_16scan_by_key_implILNS1_25lookback_scan_determinismE0ELb1ES3_N6thrust23THRUST_200600_302600_NS6detail15normal_iteratorINS9_10device_ptrIxEEEESE_SE_xNS9_4plusIvEENS9_8equal_toIvEExEE10hipError_tPvRmT2_T3_T4_T5_mT6_T7_P12ihipStream_tbENKUlT_T0_E_clISt17integral_constantIbLb1EESZ_EEDaSU_SV_EUlSU_E_NS1_11comp_targetILNS1_3genE4ELNS1_11target_archE910ELNS1_3gpuE8ELNS1_3repE0EEENS1_30default_config_static_selectorELNS0_4arch9wavefront6targetE0EEEvT1_,"axG",@progbits,_ZN7rocprim17ROCPRIM_400000_NS6detail17trampoline_kernelINS0_14default_configENS1_27scan_by_key_config_selectorIxxEEZZNS1_16scan_by_key_implILNS1_25lookback_scan_determinismE0ELb1ES3_N6thrust23THRUST_200600_302600_NS6detail15normal_iteratorINS9_10device_ptrIxEEEESE_SE_xNS9_4plusIvEENS9_8equal_toIvEExEE10hipError_tPvRmT2_T3_T4_T5_mT6_T7_P12ihipStream_tbENKUlT_T0_E_clISt17integral_constantIbLb1EESZ_EEDaSU_SV_EUlSU_E_NS1_11comp_targetILNS1_3genE4ELNS1_11target_archE910ELNS1_3gpuE8ELNS1_3repE0EEENS1_30default_config_static_selectorELNS0_4arch9wavefront6targetE0EEEvT1_,comdat
.Lfunc_end365:
	.size	_ZN7rocprim17ROCPRIM_400000_NS6detail17trampoline_kernelINS0_14default_configENS1_27scan_by_key_config_selectorIxxEEZZNS1_16scan_by_key_implILNS1_25lookback_scan_determinismE0ELb1ES3_N6thrust23THRUST_200600_302600_NS6detail15normal_iteratorINS9_10device_ptrIxEEEESE_SE_xNS9_4plusIvEENS9_8equal_toIvEExEE10hipError_tPvRmT2_T3_T4_T5_mT6_T7_P12ihipStream_tbENKUlT_T0_E_clISt17integral_constantIbLb1EESZ_EEDaSU_SV_EUlSU_E_NS1_11comp_targetILNS1_3genE4ELNS1_11target_archE910ELNS1_3gpuE8ELNS1_3repE0EEENS1_30default_config_static_selectorELNS0_4arch9wavefront6targetE0EEEvT1_, .Lfunc_end365-_ZN7rocprim17ROCPRIM_400000_NS6detail17trampoline_kernelINS0_14default_configENS1_27scan_by_key_config_selectorIxxEEZZNS1_16scan_by_key_implILNS1_25lookback_scan_determinismE0ELb1ES3_N6thrust23THRUST_200600_302600_NS6detail15normal_iteratorINS9_10device_ptrIxEEEESE_SE_xNS9_4plusIvEENS9_8equal_toIvEExEE10hipError_tPvRmT2_T3_T4_T5_mT6_T7_P12ihipStream_tbENKUlT_T0_E_clISt17integral_constantIbLb1EESZ_EEDaSU_SV_EUlSU_E_NS1_11comp_targetILNS1_3genE4ELNS1_11target_archE910ELNS1_3gpuE8ELNS1_3repE0EEENS1_30default_config_static_selectorELNS0_4arch9wavefront6targetE0EEEvT1_
                                        ; -- End function
	.set _ZN7rocprim17ROCPRIM_400000_NS6detail17trampoline_kernelINS0_14default_configENS1_27scan_by_key_config_selectorIxxEEZZNS1_16scan_by_key_implILNS1_25lookback_scan_determinismE0ELb1ES3_N6thrust23THRUST_200600_302600_NS6detail15normal_iteratorINS9_10device_ptrIxEEEESE_SE_xNS9_4plusIvEENS9_8equal_toIvEExEE10hipError_tPvRmT2_T3_T4_T5_mT6_T7_P12ihipStream_tbENKUlT_T0_E_clISt17integral_constantIbLb1EESZ_EEDaSU_SV_EUlSU_E_NS1_11comp_targetILNS1_3genE4ELNS1_11target_archE910ELNS1_3gpuE8ELNS1_3repE0EEENS1_30default_config_static_selectorELNS0_4arch9wavefront6targetE0EEEvT1_.num_vgpr, 0
	.set _ZN7rocprim17ROCPRIM_400000_NS6detail17trampoline_kernelINS0_14default_configENS1_27scan_by_key_config_selectorIxxEEZZNS1_16scan_by_key_implILNS1_25lookback_scan_determinismE0ELb1ES3_N6thrust23THRUST_200600_302600_NS6detail15normal_iteratorINS9_10device_ptrIxEEEESE_SE_xNS9_4plusIvEENS9_8equal_toIvEExEE10hipError_tPvRmT2_T3_T4_T5_mT6_T7_P12ihipStream_tbENKUlT_T0_E_clISt17integral_constantIbLb1EESZ_EEDaSU_SV_EUlSU_E_NS1_11comp_targetILNS1_3genE4ELNS1_11target_archE910ELNS1_3gpuE8ELNS1_3repE0EEENS1_30default_config_static_selectorELNS0_4arch9wavefront6targetE0EEEvT1_.num_agpr, 0
	.set _ZN7rocprim17ROCPRIM_400000_NS6detail17trampoline_kernelINS0_14default_configENS1_27scan_by_key_config_selectorIxxEEZZNS1_16scan_by_key_implILNS1_25lookback_scan_determinismE0ELb1ES3_N6thrust23THRUST_200600_302600_NS6detail15normal_iteratorINS9_10device_ptrIxEEEESE_SE_xNS9_4plusIvEENS9_8equal_toIvEExEE10hipError_tPvRmT2_T3_T4_T5_mT6_T7_P12ihipStream_tbENKUlT_T0_E_clISt17integral_constantIbLb1EESZ_EEDaSU_SV_EUlSU_E_NS1_11comp_targetILNS1_3genE4ELNS1_11target_archE910ELNS1_3gpuE8ELNS1_3repE0EEENS1_30default_config_static_selectorELNS0_4arch9wavefront6targetE0EEEvT1_.numbered_sgpr, 0
	.set _ZN7rocprim17ROCPRIM_400000_NS6detail17trampoline_kernelINS0_14default_configENS1_27scan_by_key_config_selectorIxxEEZZNS1_16scan_by_key_implILNS1_25lookback_scan_determinismE0ELb1ES3_N6thrust23THRUST_200600_302600_NS6detail15normal_iteratorINS9_10device_ptrIxEEEESE_SE_xNS9_4plusIvEENS9_8equal_toIvEExEE10hipError_tPvRmT2_T3_T4_T5_mT6_T7_P12ihipStream_tbENKUlT_T0_E_clISt17integral_constantIbLb1EESZ_EEDaSU_SV_EUlSU_E_NS1_11comp_targetILNS1_3genE4ELNS1_11target_archE910ELNS1_3gpuE8ELNS1_3repE0EEENS1_30default_config_static_selectorELNS0_4arch9wavefront6targetE0EEEvT1_.num_named_barrier, 0
	.set _ZN7rocprim17ROCPRIM_400000_NS6detail17trampoline_kernelINS0_14default_configENS1_27scan_by_key_config_selectorIxxEEZZNS1_16scan_by_key_implILNS1_25lookback_scan_determinismE0ELb1ES3_N6thrust23THRUST_200600_302600_NS6detail15normal_iteratorINS9_10device_ptrIxEEEESE_SE_xNS9_4plusIvEENS9_8equal_toIvEExEE10hipError_tPvRmT2_T3_T4_T5_mT6_T7_P12ihipStream_tbENKUlT_T0_E_clISt17integral_constantIbLb1EESZ_EEDaSU_SV_EUlSU_E_NS1_11comp_targetILNS1_3genE4ELNS1_11target_archE910ELNS1_3gpuE8ELNS1_3repE0EEENS1_30default_config_static_selectorELNS0_4arch9wavefront6targetE0EEEvT1_.private_seg_size, 0
	.set _ZN7rocprim17ROCPRIM_400000_NS6detail17trampoline_kernelINS0_14default_configENS1_27scan_by_key_config_selectorIxxEEZZNS1_16scan_by_key_implILNS1_25lookback_scan_determinismE0ELb1ES3_N6thrust23THRUST_200600_302600_NS6detail15normal_iteratorINS9_10device_ptrIxEEEESE_SE_xNS9_4plusIvEENS9_8equal_toIvEExEE10hipError_tPvRmT2_T3_T4_T5_mT6_T7_P12ihipStream_tbENKUlT_T0_E_clISt17integral_constantIbLb1EESZ_EEDaSU_SV_EUlSU_E_NS1_11comp_targetILNS1_3genE4ELNS1_11target_archE910ELNS1_3gpuE8ELNS1_3repE0EEENS1_30default_config_static_selectorELNS0_4arch9wavefront6targetE0EEEvT1_.uses_vcc, 0
	.set _ZN7rocprim17ROCPRIM_400000_NS6detail17trampoline_kernelINS0_14default_configENS1_27scan_by_key_config_selectorIxxEEZZNS1_16scan_by_key_implILNS1_25lookback_scan_determinismE0ELb1ES3_N6thrust23THRUST_200600_302600_NS6detail15normal_iteratorINS9_10device_ptrIxEEEESE_SE_xNS9_4plusIvEENS9_8equal_toIvEExEE10hipError_tPvRmT2_T3_T4_T5_mT6_T7_P12ihipStream_tbENKUlT_T0_E_clISt17integral_constantIbLb1EESZ_EEDaSU_SV_EUlSU_E_NS1_11comp_targetILNS1_3genE4ELNS1_11target_archE910ELNS1_3gpuE8ELNS1_3repE0EEENS1_30default_config_static_selectorELNS0_4arch9wavefront6targetE0EEEvT1_.uses_flat_scratch, 0
	.set _ZN7rocprim17ROCPRIM_400000_NS6detail17trampoline_kernelINS0_14default_configENS1_27scan_by_key_config_selectorIxxEEZZNS1_16scan_by_key_implILNS1_25lookback_scan_determinismE0ELb1ES3_N6thrust23THRUST_200600_302600_NS6detail15normal_iteratorINS9_10device_ptrIxEEEESE_SE_xNS9_4plusIvEENS9_8equal_toIvEExEE10hipError_tPvRmT2_T3_T4_T5_mT6_T7_P12ihipStream_tbENKUlT_T0_E_clISt17integral_constantIbLb1EESZ_EEDaSU_SV_EUlSU_E_NS1_11comp_targetILNS1_3genE4ELNS1_11target_archE910ELNS1_3gpuE8ELNS1_3repE0EEENS1_30default_config_static_selectorELNS0_4arch9wavefront6targetE0EEEvT1_.has_dyn_sized_stack, 0
	.set _ZN7rocprim17ROCPRIM_400000_NS6detail17trampoline_kernelINS0_14default_configENS1_27scan_by_key_config_selectorIxxEEZZNS1_16scan_by_key_implILNS1_25lookback_scan_determinismE0ELb1ES3_N6thrust23THRUST_200600_302600_NS6detail15normal_iteratorINS9_10device_ptrIxEEEESE_SE_xNS9_4plusIvEENS9_8equal_toIvEExEE10hipError_tPvRmT2_T3_T4_T5_mT6_T7_P12ihipStream_tbENKUlT_T0_E_clISt17integral_constantIbLb1EESZ_EEDaSU_SV_EUlSU_E_NS1_11comp_targetILNS1_3genE4ELNS1_11target_archE910ELNS1_3gpuE8ELNS1_3repE0EEENS1_30default_config_static_selectorELNS0_4arch9wavefront6targetE0EEEvT1_.has_recursion, 0
	.set _ZN7rocprim17ROCPRIM_400000_NS6detail17trampoline_kernelINS0_14default_configENS1_27scan_by_key_config_selectorIxxEEZZNS1_16scan_by_key_implILNS1_25lookback_scan_determinismE0ELb1ES3_N6thrust23THRUST_200600_302600_NS6detail15normal_iteratorINS9_10device_ptrIxEEEESE_SE_xNS9_4plusIvEENS9_8equal_toIvEExEE10hipError_tPvRmT2_T3_T4_T5_mT6_T7_P12ihipStream_tbENKUlT_T0_E_clISt17integral_constantIbLb1EESZ_EEDaSU_SV_EUlSU_E_NS1_11comp_targetILNS1_3genE4ELNS1_11target_archE910ELNS1_3gpuE8ELNS1_3repE0EEENS1_30default_config_static_selectorELNS0_4arch9wavefront6targetE0EEEvT1_.has_indirect_call, 0
	.section	.AMDGPU.csdata,"",@progbits
; Kernel info:
; codeLenInByte = 0
; TotalNumSgprs: 0
; NumVgprs: 0
; ScratchSize: 0
; MemoryBound: 0
; FloatMode: 240
; IeeeMode: 1
; LDSByteSize: 0 bytes/workgroup (compile time only)
; SGPRBlocks: 0
; VGPRBlocks: 0
; NumSGPRsForWavesPerEU: 1
; NumVGPRsForWavesPerEU: 1
; Occupancy: 16
; WaveLimiterHint : 0
; COMPUTE_PGM_RSRC2:SCRATCH_EN: 0
; COMPUTE_PGM_RSRC2:USER_SGPR: 6
; COMPUTE_PGM_RSRC2:TRAP_HANDLER: 0
; COMPUTE_PGM_RSRC2:TGID_X_EN: 1
; COMPUTE_PGM_RSRC2:TGID_Y_EN: 0
; COMPUTE_PGM_RSRC2:TGID_Z_EN: 0
; COMPUTE_PGM_RSRC2:TIDIG_COMP_CNT: 0
	.section	.text._ZN7rocprim17ROCPRIM_400000_NS6detail17trampoline_kernelINS0_14default_configENS1_27scan_by_key_config_selectorIxxEEZZNS1_16scan_by_key_implILNS1_25lookback_scan_determinismE0ELb1ES3_N6thrust23THRUST_200600_302600_NS6detail15normal_iteratorINS9_10device_ptrIxEEEESE_SE_xNS9_4plusIvEENS9_8equal_toIvEExEE10hipError_tPvRmT2_T3_T4_T5_mT6_T7_P12ihipStream_tbENKUlT_T0_E_clISt17integral_constantIbLb1EESZ_EEDaSU_SV_EUlSU_E_NS1_11comp_targetILNS1_3genE3ELNS1_11target_archE908ELNS1_3gpuE7ELNS1_3repE0EEENS1_30default_config_static_selectorELNS0_4arch9wavefront6targetE0EEEvT1_,"axG",@progbits,_ZN7rocprim17ROCPRIM_400000_NS6detail17trampoline_kernelINS0_14default_configENS1_27scan_by_key_config_selectorIxxEEZZNS1_16scan_by_key_implILNS1_25lookback_scan_determinismE0ELb1ES3_N6thrust23THRUST_200600_302600_NS6detail15normal_iteratorINS9_10device_ptrIxEEEESE_SE_xNS9_4plusIvEENS9_8equal_toIvEExEE10hipError_tPvRmT2_T3_T4_T5_mT6_T7_P12ihipStream_tbENKUlT_T0_E_clISt17integral_constantIbLb1EESZ_EEDaSU_SV_EUlSU_E_NS1_11comp_targetILNS1_3genE3ELNS1_11target_archE908ELNS1_3gpuE7ELNS1_3repE0EEENS1_30default_config_static_selectorELNS0_4arch9wavefront6targetE0EEEvT1_,comdat
	.protected	_ZN7rocprim17ROCPRIM_400000_NS6detail17trampoline_kernelINS0_14default_configENS1_27scan_by_key_config_selectorIxxEEZZNS1_16scan_by_key_implILNS1_25lookback_scan_determinismE0ELb1ES3_N6thrust23THRUST_200600_302600_NS6detail15normal_iteratorINS9_10device_ptrIxEEEESE_SE_xNS9_4plusIvEENS9_8equal_toIvEExEE10hipError_tPvRmT2_T3_T4_T5_mT6_T7_P12ihipStream_tbENKUlT_T0_E_clISt17integral_constantIbLb1EESZ_EEDaSU_SV_EUlSU_E_NS1_11comp_targetILNS1_3genE3ELNS1_11target_archE908ELNS1_3gpuE7ELNS1_3repE0EEENS1_30default_config_static_selectorELNS0_4arch9wavefront6targetE0EEEvT1_ ; -- Begin function _ZN7rocprim17ROCPRIM_400000_NS6detail17trampoline_kernelINS0_14default_configENS1_27scan_by_key_config_selectorIxxEEZZNS1_16scan_by_key_implILNS1_25lookback_scan_determinismE0ELb1ES3_N6thrust23THRUST_200600_302600_NS6detail15normal_iteratorINS9_10device_ptrIxEEEESE_SE_xNS9_4plusIvEENS9_8equal_toIvEExEE10hipError_tPvRmT2_T3_T4_T5_mT6_T7_P12ihipStream_tbENKUlT_T0_E_clISt17integral_constantIbLb1EESZ_EEDaSU_SV_EUlSU_E_NS1_11comp_targetILNS1_3genE3ELNS1_11target_archE908ELNS1_3gpuE7ELNS1_3repE0EEENS1_30default_config_static_selectorELNS0_4arch9wavefront6targetE0EEEvT1_
	.globl	_ZN7rocprim17ROCPRIM_400000_NS6detail17trampoline_kernelINS0_14default_configENS1_27scan_by_key_config_selectorIxxEEZZNS1_16scan_by_key_implILNS1_25lookback_scan_determinismE0ELb1ES3_N6thrust23THRUST_200600_302600_NS6detail15normal_iteratorINS9_10device_ptrIxEEEESE_SE_xNS9_4plusIvEENS9_8equal_toIvEExEE10hipError_tPvRmT2_T3_T4_T5_mT6_T7_P12ihipStream_tbENKUlT_T0_E_clISt17integral_constantIbLb1EESZ_EEDaSU_SV_EUlSU_E_NS1_11comp_targetILNS1_3genE3ELNS1_11target_archE908ELNS1_3gpuE7ELNS1_3repE0EEENS1_30default_config_static_selectorELNS0_4arch9wavefront6targetE0EEEvT1_
	.p2align	8
	.type	_ZN7rocprim17ROCPRIM_400000_NS6detail17trampoline_kernelINS0_14default_configENS1_27scan_by_key_config_selectorIxxEEZZNS1_16scan_by_key_implILNS1_25lookback_scan_determinismE0ELb1ES3_N6thrust23THRUST_200600_302600_NS6detail15normal_iteratorINS9_10device_ptrIxEEEESE_SE_xNS9_4plusIvEENS9_8equal_toIvEExEE10hipError_tPvRmT2_T3_T4_T5_mT6_T7_P12ihipStream_tbENKUlT_T0_E_clISt17integral_constantIbLb1EESZ_EEDaSU_SV_EUlSU_E_NS1_11comp_targetILNS1_3genE3ELNS1_11target_archE908ELNS1_3gpuE7ELNS1_3repE0EEENS1_30default_config_static_selectorELNS0_4arch9wavefront6targetE0EEEvT1_,@function
_ZN7rocprim17ROCPRIM_400000_NS6detail17trampoline_kernelINS0_14default_configENS1_27scan_by_key_config_selectorIxxEEZZNS1_16scan_by_key_implILNS1_25lookback_scan_determinismE0ELb1ES3_N6thrust23THRUST_200600_302600_NS6detail15normal_iteratorINS9_10device_ptrIxEEEESE_SE_xNS9_4plusIvEENS9_8equal_toIvEExEE10hipError_tPvRmT2_T3_T4_T5_mT6_T7_P12ihipStream_tbENKUlT_T0_E_clISt17integral_constantIbLb1EESZ_EEDaSU_SV_EUlSU_E_NS1_11comp_targetILNS1_3genE3ELNS1_11target_archE908ELNS1_3gpuE7ELNS1_3repE0EEENS1_30default_config_static_selectorELNS0_4arch9wavefront6targetE0EEEvT1_: ; @_ZN7rocprim17ROCPRIM_400000_NS6detail17trampoline_kernelINS0_14default_configENS1_27scan_by_key_config_selectorIxxEEZZNS1_16scan_by_key_implILNS1_25lookback_scan_determinismE0ELb1ES3_N6thrust23THRUST_200600_302600_NS6detail15normal_iteratorINS9_10device_ptrIxEEEESE_SE_xNS9_4plusIvEENS9_8equal_toIvEExEE10hipError_tPvRmT2_T3_T4_T5_mT6_T7_P12ihipStream_tbENKUlT_T0_E_clISt17integral_constantIbLb1EESZ_EEDaSU_SV_EUlSU_E_NS1_11comp_targetILNS1_3genE3ELNS1_11target_archE908ELNS1_3gpuE7ELNS1_3repE0EEENS1_30default_config_static_selectorELNS0_4arch9wavefront6targetE0EEEvT1_
; %bb.0:
	.section	.rodata,"a",@progbits
	.p2align	6, 0x0
	.amdhsa_kernel _ZN7rocprim17ROCPRIM_400000_NS6detail17trampoline_kernelINS0_14default_configENS1_27scan_by_key_config_selectorIxxEEZZNS1_16scan_by_key_implILNS1_25lookback_scan_determinismE0ELb1ES3_N6thrust23THRUST_200600_302600_NS6detail15normal_iteratorINS9_10device_ptrIxEEEESE_SE_xNS9_4plusIvEENS9_8equal_toIvEExEE10hipError_tPvRmT2_T3_T4_T5_mT6_T7_P12ihipStream_tbENKUlT_T0_E_clISt17integral_constantIbLb1EESZ_EEDaSU_SV_EUlSU_E_NS1_11comp_targetILNS1_3genE3ELNS1_11target_archE908ELNS1_3gpuE7ELNS1_3repE0EEENS1_30default_config_static_selectorELNS0_4arch9wavefront6targetE0EEEvT1_
		.amdhsa_group_segment_fixed_size 0
		.amdhsa_private_segment_fixed_size 0
		.amdhsa_kernarg_size 136
		.amdhsa_user_sgpr_count 6
		.amdhsa_user_sgpr_private_segment_buffer 1
		.amdhsa_user_sgpr_dispatch_ptr 0
		.amdhsa_user_sgpr_queue_ptr 0
		.amdhsa_user_sgpr_kernarg_segment_ptr 1
		.amdhsa_user_sgpr_dispatch_id 0
		.amdhsa_user_sgpr_flat_scratch_init 0
		.amdhsa_user_sgpr_private_segment_size 0
		.amdhsa_wavefront_size32 1
		.amdhsa_uses_dynamic_stack 0
		.amdhsa_system_sgpr_private_segment_wavefront_offset 0
		.amdhsa_system_sgpr_workgroup_id_x 1
		.amdhsa_system_sgpr_workgroup_id_y 0
		.amdhsa_system_sgpr_workgroup_id_z 0
		.amdhsa_system_sgpr_workgroup_info 0
		.amdhsa_system_vgpr_workitem_id 0
		.amdhsa_next_free_vgpr 1
		.amdhsa_next_free_sgpr 1
		.amdhsa_reserve_vcc 0
		.amdhsa_reserve_flat_scratch 0
		.amdhsa_float_round_mode_32 0
		.amdhsa_float_round_mode_16_64 0
		.amdhsa_float_denorm_mode_32 3
		.amdhsa_float_denorm_mode_16_64 3
		.amdhsa_dx10_clamp 1
		.amdhsa_ieee_mode 1
		.amdhsa_fp16_overflow 0
		.amdhsa_workgroup_processor_mode 1
		.amdhsa_memory_ordered 1
		.amdhsa_forward_progress 1
		.amdhsa_shared_vgpr_count 0
		.amdhsa_exception_fp_ieee_invalid_op 0
		.amdhsa_exception_fp_denorm_src 0
		.amdhsa_exception_fp_ieee_div_zero 0
		.amdhsa_exception_fp_ieee_overflow 0
		.amdhsa_exception_fp_ieee_underflow 0
		.amdhsa_exception_fp_ieee_inexact 0
		.amdhsa_exception_int_div_zero 0
	.end_amdhsa_kernel
	.section	.text._ZN7rocprim17ROCPRIM_400000_NS6detail17trampoline_kernelINS0_14default_configENS1_27scan_by_key_config_selectorIxxEEZZNS1_16scan_by_key_implILNS1_25lookback_scan_determinismE0ELb1ES3_N6thrust23THRUST_200600_302600_NS6detail15normal_iteratorINS9_10device_ptrIxEEEESE_SE_xNS9_4plusIvEENS9_8equal_toIvEExEE10hipError_tPvRmT2_T3_T4_T5_mT6_T7_P12ihipStream_tbENKUlT_T0_E_clISt17integral_constantIbLb1EESZ_EEDaSU_SV_EUlSU_E_NS1_11comp_targetILNS1_3genE3ELNS1_11target_archE908ELNS1_3gpuE7ELNS1_3repE0EEENS1_30default_config_static_selectorELNS0_4arch9wavefront6targetE0EEEvT1_,"axG",@progbits,_ZN7rocprim17ROCPRIM_400000_NS6detail17trampoline_kernelINS0_14default_configENS1_27scan_by_key_config_selectorIxxEEZZNS1_16scan_by_key_implILNS1_25lookback_scan_determinismE0ELb1ES3_N6thrust23THRUST_200600_302600_NS6detail15normal_iteratorINS9_10device_ptrIxEEEESE_SE_xNS9_4plusIvEENS9_8equal_toIvEExEE10hipError_tPvRmT2_T3_T4_T5_mT6_T7_P12ihipStream_tbENKUlT_T0_E_clISt17integral_constantIbLb1EESZ_EEDaSU_SV_EUlSU_E_NS1_11comp_targetILNS1_3genE3ELNS1_11target_archE908ELNS1_3gpuE7ELNS1_3repE0EEENS1_30default_config_static_selectorELNS0_4arch9wavefront6targetE0EEEvT1_,comdat
.Lfunc_end366:
	.size	_ZN7rocprim17ROCPRIM_400000_NS6detail17trampoline_kernelINS0_14default_configENS1_27scan_by_key_config_selectorIxxEEZZNS1_16scan_by_key_implILNS1_25lookback_scan_determinismE0ELb1ES3_N6thrust23THRUST_200600_302600_NS6detail15normal_iteratorINS9_10device_ptrIxEEEESE_SE_xNS9_4plusIvEENS9_8equal_toIvEExEE10hipError_tPvRmT2_T3_T4_T5_mT6_T7_P12ihipStream_tbENKUlT_T0_E_clISt17integral_constantIbLb1EESZ_EEDaSU_SV_EUlSU_E_NS1_11comp_targetILNS1_3genE3ELNS1_11target_archE908ELNS1_3gpuE7ELNS1_3repE0EEENS1_30default_config_static_selectorELNS0_4arch9wavefront6targetE0EEEvT1_, .Lfunc_end366-_ZN7rocprim17ROCPRIM_400000_NS6detail17trampoline_kernelINS0_14default_configENS1_27scan_by_key_config_selectorIxxEEZZNS1_16scan_by_key_implILNS1_25lookback_scan_determinismE0ELb1ES3_N6thrust23THRUST_200600_302600_NS6detail15normal_iteratorINS9_10device_ptrIxEEEESE_SE_xNS9_4plusIvEENS9_8equal_toIvEExEE10hipError_tPvRmT2_T3_T4_T5_mT6_T7_P12ihipStream_tbENKUlT_T0_E_clISt17integral_constantIbLb1EESZ_EEDaSU_SV_EUlSU_E_NS1_11comp_targetILNS1_3genE3ELNS1_11target_archE908ELNS1_3gpuE7ELNS1_3repE0EEENS1_30default_config_static_selectorELNS0_4arch9wavefront6targetE0EEEvT1_
                                        ; -- End function
	.set _ZN7rocprim17ROCPRIM_400000_NS6detail17trampoline_kernelINS0_14default_configENS1_27scan_by_key_config_selectorIxxEEZZNS1_16scan_by_key_implILNS1_25lookback_scan_determinismE0ELb1ES3_N6thrust23THRUST_200600_302600_NS6detail15normal_iteratorINS9_10device_ptrIxEEEESE_SE_xNS9_4plusIvEENS9_8equal_toIvEExEE10hipError_tPvRmT2_T3_T4_T5_mT6_T7_P12ihipStream_tbENKUlT_T0_E_clISt17integral_constantIbLb1EESZ_EEDaSU_SV_EUlSU_E_NS1_11comp_targetILNS1_3genE3ELNS1_11target_archE908ELNS1_3gpuE7ELNS1_3repE0EEENS1_30default_config_static_selectorELNS0_4arch9wavefront6targetE0EEEvT1_.num_vgpr, 0
	.set _ZN7rocprim17ROCPRIM_400000_NS6detail17trampoline_kernelINS0_14default_configENS1_27scan_by_key_config_selectorIxxEEZZNS1_16scan_by_key_implILNS1_25lookback_scan_determinismE0ELb1ES3_N6thrust23THRUST_200600_302600_NS6detail15normal_iteratorINS9_10device_ptrIxEEEESE_SE_xNS9_4plusIvEENS9_8equal_toIvEExEE10hipError_tPvRmT2_T3_T4_T5_mT6_T7_P12ihipStream_tbENKUlT_T0_E_clISt17integral_constantIbLb1EESZ_EEDaSU_SV_EUlSU_E_NS1_11comp_targetILNS1_3genE3ELNS1_11target_archE908ELNS1_3gpuE7ELNS1_3repE0EEENS1_30default_config_static_selectorELNS0_4arch9wavefront6targetE0EEEvT1_.num_agpr, 0
	.set _ZN7rocprim17ROCPRIM_400000_NS6detail17trampoline_kernelINS0_14default_configENS1_27scan_by_key_config_selectorIxxEEZZNS1_16scan_by_key_implILNS1_25lookback_scan_determinismE0ELb1ES3_N6thrust23THRUST_200600_302600_NS6detail15normal_iteratorINS9_10device_ptrIxEEEESE_SE_xNS9_4plusIvEENS9_8equal_toIvEExEE10hipError_tPvRmT2_T3_T4_T5_mT6_T7_P12ihipStream_tbENKUlT_T0_E_clISt17integral_constantIbLb1EESZ_EEDaSU_SV_EUlSU_E_NS1_11comp_targetILNS1_3genE3ELNS1_11target_archE908ELNS1_3gpuE7ELNS1_3repE0EEENS1_30default_config_static_selectorELNS0_4arch9wavefront6targetE0EEEvT1_.numbered_sgpr, 0
	.set _ZN7rocprim17ROCPRIM_400000_NS6detail17trampoline_kernelINS0_14default_configENS1_27scan_by_key_config_selectorIxxEEZZNS1_16scan_by_key_implILNS1_25lookback_scan_determinismE0ELb1ES3_N6thrust23THRUST_200600_302600_NS6detail15normal_iteratorINS9_10device_ptrIxEEEESE_SE_xNS9_4plusIvEENS9_8equal_toIvEExEE10hipError_tPvRmT2_T3_T4_T5_mT6_T7_P12ihipStream_tbENKUlT_T0_E_clISt17integral_constantIbLb1EESZ_EEDaSU_SV_EUlSU_E_NS1_11comp_targetILNS1_3genE3ELNS1_11target_archE908ELNS1_3gpuE7ELNS1_3repE0EEENS1_30default_config_static_selectorELNS0_4arch9wavefront6targetE0EEEvT1_.num_named_barrier, 0
	.set _ZN7rocprim17ROCPRIM_400000_NS6detail17trampoline_kernelINS0_14default_configENS1_27scan_by_key_config_selectorIxxEEZZNS1_16scan_by_key_implILNS1_25lookback_scan_determinismE0ELb1ES3_N6thrust23THRUST_200600_302600_NS6detail15normal_iteratorINS9_10device_ptrIxEEEESE_SE_xNS9_4plusIvEENS9_8equal_toIvEExEE10hipError_tPvRmT2_T3_T4_T5_mT6_T7_P12ihipStream_tbENKUlT_T0_E_clISt17integral_constantIbLb1EESZ_EEDaSU_SV_EUlSU_E_NS1_11comp_targetILNS1_3genE3ELNS1_11target_archE908ELNS1_3gpuE7ELNS1_3repE0EEENS1_30default_config_static_selectorELNS0_4arch9wavefront6targetE0EEEvT1_.private_seg_size, 0
	.set _ZN7rocprim17ROCPRIM_400000_NS6detail17trampoline_kernelINS0_14default_configENS1_27scan_by_key_config_selectorIxxEEZZNS1_16scan_by_key_implILNS1_25lookback_scan_determinismE0ELb1ES3_N6thrust23THRUST_200600_302600_NS6detail15normal_iteratorINS9_10device_ptrIxEEEESE_SE_xNS9_4plusIvEENS9_8equal_toIvEExEE10hipError_tPvRmT2_T3_T4_T5_mT6_T7_P12ihipStream_tbENKUlT_T0_E_clISt17integral_constantIbLb1EESZ_EEDaSU_SV_EUlSU_E_NS1_11comp_targetILNS1_3genE3ELNS1_11target_archE908ELNS1_3gpuE7ELNS1_3repE0EEENS1_30default_config_static_selectorELNS0_4arch9wavefront6targetE0EEEvT1_.uses_vcc, 0
	.set _ZN7rocprim17ROCPRIM_400000_NS6detail17trampoline_kernelINS0_14default_configENS1_27scan_by_key_config_selectorIxxEEZZNS1_16scan_by_key_implILNS1_25lookback_scan_determinismE0ELb1ES3_N6thrust23THRUST_200600_302600_NS6detail15normal_iteratorINS9_10device_ptrIxEEEESE_SE_xNS9_4plusIvEENS9_8equal_toIvEExEE10hipError_tPvRmT2_T3_T4_T5_mT6_T7_P12ihipStream_tbENKUlT_T0_E_clISt17integral_constantIbLb1EESZ_EEDaSU_SV_EUlSU_E_NS1_11comp_targetILNS1_3genE3ELNS1_11target_archE908ELNS1_3gpuE7ELNS1_3repE0EEENS1_30default_config_static_selectorELNS0_4arch9wavefront6targetE0EEEvT1_.uses_flat_scratch, 0
	.set _ZN7rocprim17ROCPRIM_400000_NS6detail17trampoline_kernelINS0_14default_configENS1_27scan_by_key_config_selectorIxxEEZZNS1_16scan_by_key_implILNS1_25lookback_scan_determinismE0ELb1ES3_N6thrust23THRUST_200600_302600_NS6detail15normal_iteratorINS9_10device_ptrIxEEEESE_SE_xNS9_4plusIvEENS9_8equal_toIvEExEE10hipError_tPvRmT2_T3_T4_T5_mT6_T7_P12ihipStream_tbENKUlT_T0_E_clISt17integral_constantIbLb1EESZ_EEDaSU_SV_EUlSU_E_NS1_11comp_targetILNS1_3genE3ELNS1_11target_archE908ELNS1_3gpuE7ELNS1_3repE0EEENS1_30default_config_static_selectorELNS0_4arch9wavefront6targetE0EEEvT1_.has_dyn_sized_stack, 0
	.set _ZN7rocprim17ROCPRIM_400000_NS6detail17trampoline_kernelINS0_14default_configENS1_27scan_by_key_config_selectorIxxEEZZNS1_16scan_by_key_implILNS1_25lookback_scan_determinismE0ELb1ES3_N6thrust23THRUST_200600_302600_NS6detail15normal_iteratorINS9_10device_ptrIxEEEESE_SE_xNS9_4plusIvEENS9_8equal_toIvEExEE10hipError_tPvRmT2_T3_T4_T5_mT6_T7_P12ihipStream_tbENKUlT_T0_E_clISt17integral_constantIbLb1EESZ_EEDaSU_SV_EUlSU_E_NS1_11comp_targetILNS1_3genE3ELNS1_11target_archE908ELNS1_3gpuE7ELNS1_3repE0EEENS1_30default_config_static_selectorELNS0_4arch9wavefront6targetE0EEEvT1_.has_recursion, 0
	.set _ZN7rocprim17ROCPRIM_400000_NS6detail17trampoline_kernelINS0_14default_configENS1_27scan_by_key_config_selectorIxxEEZZNS1_16scan_by_key_implILNS1_25lookback_scan_determinismE0ELb1ES3_N6thrust23THRUST_200600_302600_NS6detail15normal_iteratorINS9_10device_ptrIxEEEESE_SE_xNS9_4plusIvEENS9_8equal_toIvEExEE10hipError_tPvRmT2_T3_T4_T5_mT6_T7_P12ihipStream_tbENKUlT_T0_E_clISt17integral_constantIbLb1EESZ_EEDaSU_SV_EUlSU_E_NS1_11comp_targetILNS1_3genE3ELNS1_11target_archE908ELNS1_3gpuE7ELNS1_3repE0EEENS1_30default_config_static_selectorELNS0_4arch9wavefront6targetE0EEEvT1_.has_indirect_call, 0
	.section	.AMDGPU.csdata,"",@progbits
; Kernel info:
; codeLenInByte = 0
; TotalNumSgprs: 0
; NumVgprs: 0
; ScratchSize: 0
; MemoryBound: 0
; FloatMode: 240
; IeeeMode: 1
; LDSByteSize: 0 bytes/workgroup (compile time only)
; SGPRBlocks: 0
; VGPRBlocks: 0
; NumSGPRsForWavesPerEU: 1
; NumVGPRsForWavesPerEU: 1
; Occupancy: 16
; WaveLimiterHint : 0
; COMPUTE_PGM_RSRC2:SCRATCH_EN: 0
; COMPUTE_PGM_RSRC2:USER_SGPR: 6
; COMPUTE_PGM_RSRC2:TRAP_HANDLER: 0
; COMPUTE_PGM_RSRC2:TGID_X_EN: 1
; COMPUTE_PGM_RSRC2:TGID_Y_EN: 0
; COMPUTE_PGM_RSRC2:TGID_Z_EN: 0
; COMPUTE_PGM_RSRC2:TIDIG_COMP_CNT: 0
	.section	.text._ZN7rocprim17ROCPRIM_400000_NS6detail17trampoline_kernelINS0_14default_configENS1_27scan_by_key_config_selectorIxxEEZZNS1_16scan_by_key_implILNS1_25lookback_scan_determinismE0ELb1ES3_N6thrust23THRUST_200600_302600_NS6detail15normal_iteratorINS9_10device_ptrIxEEEESE_SE_xNS9_4plusIvEENS9_8equal_toIvEExEE10hipError_tPvRmT2_T3_T4_T5_mT6_T7_P12ihipStream_tbENKUlT_T0_E_clISt17integral_constantIbLb1EESZ_EEDaSU_SV_EUlSU_E_NS1_11comp_targetILNS1_3genE2ELNS1_11target_archE906ELNS1_3gpuE6ELNS1_3repE0EEENS1_30default_config_static_selectorELNS0_4arch9wavefront6targetE0EEEvT1_,"axG",@progbits,_ZN7rocprim17ROCPRIM_400000_NS6detail17trampoline_kernelINS0_14default_configENS1_27scan_by_key_config_selectorIxxEEZZNS1_16scan_by_key_implILNS1_25lookback_scan_determinismE0ELb1ES3_N6thrust23THRUST_200600_302600_NS6detail15normal_iteratorINS9_10device_ptrIxEEEESE_SE_xNS9_4plusIvEENS9_8equal_toIvEExEE10hipError_tPvRmT2_T3_T4_T5_mT6_T7_P12ihipStream_tbENKUlT_T0_E_clISt17integral_constantIbLb1EESZ_EEDaSU_SV_EUlSU_E_NS1_11comp_targetILNS1_3genE2ELNS1_11target_archE906ELNS1_3gpuE6ELNS1_3repE0EEENS1_30default_config_static_selectorELNS0_4arch9wavefront6targetE0EEEvT1_,comdat
	.protected	_ZN7rocprim17ROCPRIM_400000_NS6detail17trampoline_kernelINS0_14default_configENS1_27scan_by_key_config_selectorIxxEEZZNS1_16scan_by_key_implILNS1_25lookback_scan_determinismE0ELb1ES3_N6thrust23THRUST_200600_302600_NS6detail15normal_iteratorINS9_10device_ptrIxEEEESE_SE_xNS9_4plusIvEENS9_8equal_toIvEExEE10hipError_tPvRmT2_T3_T4_T5_mT6_T7_P12ihipStream_tbENKUlT_T0_E_clISt17integral_constantIbLb1EESZ_EEDaSU_SV_EUlSU_E_NS1_11comp_targetILNS1_3genE2ELNS1_11target_archE906ELNS1_3gpuE6ELNS1_3repE0EEENS1_30default_config_static_selectorELNS0_4arch9wavefront6targetE0EEEvT1_ ; -- Begin function _ZN7rocprim17ROCPRIM_400000_NS6detail17trampoline_kernelINS0_14default_configENS1_27scan_by_key_config_selectorIxxEEZZNS1_16scan_by_key_implILNS1_25lookback_scan_determinismE0ELb1ES3_N6thrust23THRUST_200600_302600_NS6detail15normal_iteratorINS9_10device_ptrIxEEEESE_SE_xNS9_4plusIvEENS9_8equal_toIvEExEE10hipError_tPvRmT2_T3_T4_T5_mT6_T7_P12ihipStream_tbENKUlT_T0_E_clISt17integral_constantIbLb1EESZ_EEDaSU_SV_EUlSU_E_NS1_11comp_targetILNS1_3genE2ELNS1_11target_archE906ELNS1_3gpuE6ELNS1_3repE0EEENS1_30default_config_static_selectorELNS0_4arch9wavefront6targetE0EEEvT1_
	.globl	_ZN7rocprim17ROCPRIM_400000_NS6detail17trampoline_kernelINS0_14default_configENS1_27scan_by_key_config_selectorIxxEEZZNS1_16scan_by_key_implILNS1_25lookback_scan_determinismE0ELb1ES3_N6thrust23THRUST_200600_302600_NS6detail15normal_iteratorINS9_10device_ptrIxEEEESE_SE_xNS9_4plusIvEENS9_8equal_toIvEExEE10hipError_tPvRmT2_T3_T4_T5_mT6_T7_P12ihipStream_tbENKUlT_T0_E_clISt17integral_constantIbLb1EESZ_EEDaSU_SV_EUlSU_E_NS1_11comp_targetILNS1_3genE2ELNS1_11target_archE906ELNS1_3gpuE6ELNS1_3repE0EEENS1_30default_config_static_selectorELNS0_4arch9wavefront6targetE0EEEvT1_
	.p2align	8
	.type	_ZN7rocprim17ROCPRIM_400000_NS6detail17trampoline_kernelINS0_14default_configENS1_27scan_by_key_config_selectorIxxEEZZNS1_16scan_by_key_implILNS1_25lookback_scan_determinismE0ELb1ES3_N6thrust23THRUST_200600_302600_NS6detail15normal_iteratorINS9_10device_ptrIxEEEESE_SE_xNS9_4plusIvEENS9_8equal_toIvEExEE10hipError_tPvRmT2_T3_T4_T5_mT6_T7_P12ihipStream_tbENKUlT_T0_E_clISt17integral_constantIbLb1EESZ_EEDaSU_SV_EUlSU_E_NS1_11comp_targetILNS1_3genE2ELNS1_11target_archE906ELNS1_3gpuE6ELNS1_3repE0EEENS1_30default_config_static_selectorELNS0_4arch9wavefront6targetE0EEEvT1_,@function
_ZN7rocprim17ROCPRIM_400000_NS6detail17trampoline_kernelINS0_14default_configENS1_27scan_by_key_config_selectorIxxEEZZNS1_16scan_by_key_implILNS1_25lookback_scan_determinismE0ELb1ES3_N6thrust23THRUST_200600_302600_NS6detail15normal_iteratorINS9_10device_ptrIxEEEESE_SE_xNS9_4plusIvEENS9_8equal_toIvEExEE10hipError_tPvRmT2_T3_T4_T5_mT6_T7_P12ihipStream_tbENKUlT_T0_E_clISt17integral_constantIbLb1EESZ_EEDaSU_SV_EUlSU_E_NS1_11comp_targetILNS1_3genE2ELNS1_11target_archE906ELNS1_3gpuE6ELNS1_3repE0EEENS1_30default_config_static_selectorELNS0_4arch9wavefront6targetE0EEEvT1_: ; @_ZN7rocprim17ROCPRIM_400000_NS6detail17trampoline_kernelINS0_14default_configENS1_27scan_by_key_config_selectorIxxEEZZNS1_16scan_by_key_implILNS1_25lookback_scan_determinismE0ELb1ES3_N6thrust23THRUST_200600_302600_NS6detail15normal_iteratorINS9_10device_ptrIxEEEESE_SE_xNS9_4plusIvEENS9_8equal_toIvEExEE10hipError_tPvRmT2_T3_T4_T5_mT6_T7_P12ihipStream_tbENKUlT_T0_E_clISt17integral_constantIbLb1EESZ_EEDaSU_SV_EUlSU_E_NS1_11comp_targetILNS1_3genE2ELNS1_11target_archE906ELNS1_3gpuE6ELNS1_3repE0EEENS1_30default_config_static_selectorELNS0_4arch9wavefront6targetE0EEEvT1_
; %bb.0:
	.section	.rodata,"a",@progbits
	.p2align	6, 0x0
	.amdhsa_kernel _ZN7rocprim17ROCPRIM_400000_NS6detail17trampoline_kernelINS0_14default_configENS1_27scan_by_key_config_selectorIxxEEZZNS1_16scan_by_key_implILNS1_25lookback_scan_determinismE0ELb1ES3_N6thrust23THRUST_200600_302600_NS6detail15normal_iteratorINS9_10device_ptrIxEEEESE_SE_xNS9_4plusIvEENS9_8equal_toIvEExEE10hipError_tPvRmT2_T3_T4_T5_mT6_T7_P12ihipStream_tbENKUlT_T0_E_clISt17integral_constantIbLb1EESZ_EEDaSU_SV_EUlSU_E_NS1_11comp_targetILNS1_3genE2ELNS1_11target_archE906ELNS1_3gpuE6ELNS1_3repE0EEENS1_30default_config_static_selectorELNS0_4arch9wavefront6targetE0EEEvT1_
		.amdhsa_group_segment_fixed_size 0
		.amdhsa_private_segment_fixed_size 0
		.amdhsa_kernarg_size 136
		.amdhsa_user_sgpr_count 6
		.amdhsa_user_sgpr_private_segment_buffer 1
		.amdhsa_user_sgpr_dispatch_ptr 0
		.amdhsa_user_sgpr_queue_ptr 0
		.amdhsa_user_sgpr_kernarg_segment_ptr 1
		.amdhsa_user_sgpr_dispatch_id 0
		.amdhsa_user_sgpr_flat_scratch_init 0
		.amdhsa_user_sgpr_private_segment_size 0
		.amdhsa_wavefront_size32 1
		.amdhsa_uses_dynamic_stack 0
		.amdhsa_system_sgpr_private_segment_wavefront_offset 0
		.amdhsa_system_sgpr_workgroup_id_x 1
		.amdhsa_system_sgpr_workgroup_id_y 0
		.amdhsa_system_sgpr_workgroup_id_z 0
		.amdhsa_system_sgpr_workgroup_info 0
		.amdhsa_system_vgpr_workitem_id 0
		.amdhsa_next_free_vgpr 1
		.amdhsa_next_free_sgpr 1
		.amdhsa_reserve_vcc 0
		.amdhsa_reserve_flat_scratch 0
		.amdhsa_float_round_mode_32 0
		.amdhsa_float_round_mode_16_64 0
		.amdhsa_float_denorm_mode_32 3
		.amdhsa_float_denorm_mode_16_64 3
		.amdhsa_dx10_clamp 1
		.amdhsa_ieee_mode 1
		.amdhsa_fp16_overflow 0
		.amdhsa_workgroup_processor_mode 1
		.amdhsa_memory_ordered 1
		.amdhsa_forward_progress 1
		.amdhsa_shared_vgpr_count 0
		.amdhsa_exception_fp_ieee_invalid_op 0
		.amdhsa_exception_fp_denorm_src 0
		.amdhsa_exception_fp_ieee_div_zero 0
		.amdhsa_exception_fp_ieee_overflow 0
		.amdhsa_exception_fp_ieee_underflow 0
		.amdhsa_exception_fp_ieee_inexact 0
		.amdhsa_exception_int_div_zero 0
	.end_amdhsa_kernel
	.section	.text._ZN7rocprim17ROCPRIM_400000_NS6detail17trampoline_kernelINS0_14default_configENS1_27scan_by_key_config_selectorIxxEEZZNS1_16scan_by_key_implILNS1_25lookback_scan_determinismE0ELb1ES3_N6thrust23THRUST_200600_302600_NS6detail15normal_iteratorINS9_10device_ptrIxEEEESE_SE_xNS9_4plusIvEENS9_8equal_toIvEExEE10hipError_tPvRmT2_T3_T4_T5_mT6_T7_P12ihipStream_tbENKUlT_T0_E_clISt17integral_constantIbLb1EESZ_EEDaSU_SV_EUlSU_E_NS1_11comp_targetILNS1_3genE2ELNS1_11target_archE906ELNS1_3gpuE6ELNS1_3repE0EEENS1_30default_config_static_selectorELNS0_4arch9wavefront6targetE0EEEvT1_,"axG",@progbits,_ZN7rocprim17ROCPRIM_400000_NS6detail17trampoline_kernelINS0_14default_configENS1_27scan_by_key_config_selectorIxxEEZZNS1_16scan_by_key_implILNS1_25lookback_scan_determinismE0ELb1ES3_N6thrust23THRUST_200600_302600_NS6detail15normal_iteratorINS9_10device_ptrIxEEEESE_SE_xNS9_4plusIvEENS9_8equal_toIvEExEE10hipError_tPvRmT2_T3_T4_T5_mT6_T7_P12ihipStream_tbENKUlT_T0_E_clISt17integral_constantIbLb1EESZ_EEDaSU_SV_EUlSU_E_NS1_11comp_targetILNS1_3genE2ELNS1_11target_archE906ELNS1_3gpuE6ELNS1_3repE0EEENS1_30default_config_static_selectorELNS0_4arch9wavefront6targetE0EEEvT1_,comdat
.Lfunc_end367:
	.size	_ZN7rocprim17ROCPRIM_400000_NS6detail17trampoline_kernelINS0_14default_configENS1_27scan_by_key_config_selectorIxxEEZZNS1_16scan_by_key_implILNS1_25lookback_scan_determinismE0ELb1ES3_N6thrust23THRUST_200600_302600_NS6detail15normal_iteratorINS9_10device_ptrIxEEEESE_SE_xNS9_4plusIvEENS9_8equal_toIvEExEE10hipError_tPvRmT2_T3_T4_T5_mT6_T7_P12ihipStream_tbENKUlT_T0_E_clISt17integral_constantIbLb1EESZ_EEDaSU_SV_EUlSU_E_NS1_11comp_targetILNS1_3genE2ELNS1_11target_archE906ELNS1_3gpuE6ELNS1_3repE0EEENS1_30default_config_static_selectorELNS0_4arch9wavefront6targetE0EEEvT1_, .Lfunc_end367-_ZN7rocprim17ROCPRIM_400000_NS6detail17trampoline_kernelINS0_14default_configENS1_27scan_by_key_config_selectorIxxEEZZNS1_16scan_by_key_implILNS1_25lookback_scan_determinismE0ELb1ES3_N6thrust23THRUST_200600_302600_NS6detail15normal_iteratorINS9_10device_ptrIxEEEESE_SE_xNS9_4plusIvEENS9_8equal_toIvEExEE10hipError_tPvRmT2_T3_T4_T5_mT6_T7_P12ihipStream_tbENKUlT_T0_E_clISt17integral_constantIbLb1EESZ_EEDaSU_SV_EUlSU_E_NS1_11comp_targetILNS1_3genE2ELNS1_11target_archE906ELNS1_3gpuE6ELNS1_3repE0EEENS1_30default_config_static_selectorELNS0_4arch9wavefront6targetE0EEEvT1_
                                        ; -- End function
	.set _ZN7rocprim17ROCPRIM_400000_NS6detail17trampoline_kernelINS0_14default_configENS1_27scan_by_key_config_selectorIxxEEZZNS1_16scan_by_key_implILNS1_25lookback_scan_determinismE0ELb1ES3_N6thrust23THRUST_200600_302600_NS6detail15normal_iteratorINS9_10device_ptrIxEEEESE_SE_xNS9_4plusIvEENS9_8equal_toIvEExEE10hipError_tPvRmT2_T3_T4_T5_mT6_T7_P12ihipStream_tbENKUlT_T0_E_clISt17integral_constantIbLb1EESZ_EEDaSU_SV_EUlSU_E_NS1_11comp_targetILNS1_3genE2ELNS1_11target_archE906ELNS1_3gpuE6ELNS1_3repE0EEENS1_30default_config_static_selectorELNS0_4arch9wavefront6targetE0EEEvT1_.num_vgpr, 0
	.set _ZN7rocprim17ROCPRIM_400000_NS6detail17trampoline_kernelINS0_14default_configENS1_27scan_by_key_config_selectorIxxEEZZNS1_16scan_by_key_implILNS1_25lookback_scan_determinismE0ELb1ES3_N6thrust23THRUST_200600_302600_NS6detail15normal_iteratorINS9_10device_ptrIxEEEESE_SE_xNS9_4plusIvEENS9_8equal_toIvEExEE10hipError_tPvRmT2_T3_T4_T5_mT6_T7_P12ihipStream_tbENKUlT_T0_E_clISt17integral_constantIbLb1EESZ_EEDaSU_SV_EUlSU_E_NS1_11comp_targetILNS1_3genE2ELNS1_11target_archE906ELNS1_3gpuE6ELNS1_3repE0EEENS1_30default_config_static_selectorELNS0_4arch9wavefront6targetE0EEEvT1_.num_agpr, 0
	.set _ZN7rocprim17ROCPRIM_400000_NS6detail17trampoline_kernelINS0_14default_configENS1_27scan_by_key_config_selectorIxxEEZZNS1_16scan_by_key_implILNS1_25lookback_scan_determinismE0ELb1ES3_N6thrust23THRUST_200600_302600_NS6detail15normal_iteratorINS9_10device_ptrIxEEEESE_SE_xNS9_4plusIvEENS9_8equal_toIvEExEE10hipError_tPvRmT2_T3_T4_T5_mT6_T7_P12ihipStream_tbENKUlT_T0_E_clISt17integral_constantIbLb1EESZ_EEDaSU_SV_EUlSU_E_NS1_11comp_targetILNS1_3genE2ELNS1_11target_archE906ELNS1_3gpuE6ELNS1_3repE0EEENS1_30default_config_static_selectorELNS0_4arch9wavefront6targetE0EEEvT1_.numbered_sgpr, 0
	.set _ZN7rocprim17ROCPRIM_400000_NS6detail17trampoline_kernelINS0_14default_configENS1_27scan_by_key_config_selectorIxxEEZZNS1_16scan_by_key_implILNS1_25lookback_scan_determinismE0ELb1ES3_N6thrust23THRUST_200600_302600_NS6detail15normal_iteratorINS9_10device_ptrIxEEEESE_SE_xNS9_4plusIvEENS9_8equal_toIvEExEE10hipError_tPvRmT2_T3_T4_T5_mT6_T7_P12ihipStream_tbENKUlT_T0_E_clISt17integral_constantIbLb1EESZ_EEDaSU_SV_EUlSU_E_NS1_11comp_targetILNS1_3genE2ELNS1_11target_archE906ELNS1_3gpuE6ELNS1_3repE0EEENS1_30default_config_static_selectorELNS0_4arch9wavefront6targetE0EEEvT1_.num_named_barrier, 0
	.set _ZN7rocprim17ROCPRIM_400000_NS6detail17trampoline_kernelINS0_14default_configENS1_27scan_by_key_config_selectorIxxEEZZNS1_16scan_by_key_implILNS1_25lookback_scan_determinismE0ELb1ES3_N6thrust23THRUST_200600_302600_NS6detail15normal_iteratorINS9_10device_ptrIxEEEESE_SE_xNS9_4plusIvEENS9_8equal_toIvEExEE10hipError_tPvRmT2_T3_T4_T5_mT6_T7_P12ihipStream_tbENKUlT_T0_E_clISt17integral_constantIbLb1EESZ_EEDaSU_SV_EUlSU_E_NS1_11comp_targetILNS1_3genE2ELNS1_11target_archE906ELNS1_3gpuE6ELNS1_3repE0EEENS1_30default_config_static_selectorELNS0_4arch9wavefront6targetE0EEEvT1_.private_seg_size, 0
	.set _ZN7rocprim17ROCPRIM_400000_NS6detail17trampoline_kernelINS0_14default_configENS1_27scan_by_key_config_selectorIxxEEZZNS1_16scan_by_key_implILNS1_25lookback_scan_determinismE0ELb1ES3_N6thrust23THRUST_200600_302600_NS6detail15normal_iteratorINS9_10device_ptrIxEEEESE_SE_xNS9_4plusIvEENS9_8equal_toIvEExEE10hipError_tPvRmT2_T3_T4_T5_mT6_T7_P12ihipStream_tbENKUlT_T0_E_clISt17integral_constantIbLb1EESZ_EEDaSU_SV_EUlSU_E_NS1_11comp_targetILNS1_3genE2ELNS1_11target_archE906ELNS1_3gpuE6ELNS1_3repE0EEENS1_30default_config_static_selectorELNS0_4arch9wavefront6targetE0EEEvT1_.uses_vcc, 0
	.set _ZN7rocprim17ROCPRIM_400000_NS6detail17trampoline_kernelINS0_14default_configENS1_27scan_by_key_config_selectorIxxEEZZNS1_16scan_by_key_implILNS1_25lookback_scan_determinismE0ELb1ES3_N6thrust23THRUST_200600_302600_NS6detail15normal_iteratorINS9_10device_ptrIxEEEESE_SE_xNS9_4plusIvEENS9_8equal_toIvEExEE10hipError_tPvRmT2_T3_T4_T5_mT6_T7_P12ihipStream_tbENKUlT_T0_E_clISt17integral_constantIbLb1EESZ_EEDaSU_SV_EUlSU_E_NS1_11comp_targetILNS1_3genE2ELNS1_11target_archE906ELNS1_3gpuE6ELNS1_3repE0EEENS1_30default_config_static_selectorELNS0_4arch9wavefront6targetE0EEEvT1_.uses_flat_scratch, 0
	.set _ZN7rocprim17ROCPRIM_400000_NS6detail17trampoline_kernelINS0_14default_configENS1_27scan_by_key_config_selectorIxxEEZZNS1_16scan_by_key_implILNS1_25lookback_scan_determinismE0ELb1ES3_N6thrust23THRUST_200600_302600_NS6detail15normal_iteratorINS9_10device_ptrIxEEEESE_SE_xNS9_4plusIvEENS9_8equal_toIvEExEE10hipError_tPvRmT2_T3_T4_T5_mT6_T7_P12ihipStream_tbENKUlT_T0_E_clISt17integral_constantIbLb1EESZ_EEDaSU_SV_EUlSU_E_NS1_11comp_targetILNS1_3genE2ELNS1_11target_archE906ELNS1_3gpuE6ELNS1_3repE0EEENS1_30default_config_static_selectorELNS0_4arch9wavefront6targetE0EEEvT1_.has_dyn_sized_stack, 0
	.set _ZN7rocprim17ROCPRIM_400000_NS6detail17trampoline_kernelINS0_14default_configENS1_27scan_by_key_config_selectorIxxEEZZNS1_16scan_by_key_implILNS1_25lookback_scan_determinismE0ELb1ES3_N6thrust23THRUST_200600_302600_NS6detail15normal_iteratorINS9_10device_ptrIxEEEESE_SE_xNS9_4plusIvEENS9_8equal_toIvEExEE10hipError_tPvRmT2_T3_T4_T5_mT6_T7_P12ihipStream_tbENKUlT_T0_E_clISt17integral_constantIbLb1EESZ_EEDaSU_SV_EUlSU_E_NS1_11comp_targetILNS1_3genE2ELNS1_11target_archE906ELNS1_3gpuE6ELNS1_3repE0EEENS1_30default_config_static_selectorELNS0_4arch9wavefront6targetE0EEEvT1_.has_recursion, 0
	.set _ZN7rocprim17ROCPRIM_400000_NS6detail17trampoline_kernelINS0_14default_configENS1_27scan_by_key_config_selectorIxxEEZZNS1_16scan_by_key_implILNS1_25lookback_scan_determinismE0ELb1ES3_N6thrust23THRUST_200600_302600_NS6detail15normal_iteratorINS9_10device_ptrIxEEEESE_SE_xNS9_4plusIvEENS9_8equal_toIvEExEE10hipError_tPvRmT2_T3_T4_T5_mT6_T7_P12ihipStream_tbENKUlT_T0_E_clISt17integral_constantIbLb1EESZ_EEDaSU_SV_EUlSU_E_NS1_11comp_targetILNS1_3genE2ELNS1_11target_archE906ELNS1_3gpuE6ELNS1_3repE0EEENS1_30default_config_static_selectorELNS0_4arch9wavefront6targetE0EEEvT1_.has_indirect_call, 0
	.section	.AMDGPU.csdata,"",@progbits
; Kernel info:
; codeLenInByte = 0
; TotalNumSgprs: 0
; NumVgprs: 0
; ScratchSize: 0
; MemoryBound: 0
; FloatMode: 240
; IeeeMode: 1
; LDSByteSize: 0 bytes/workgroup (compile time only)
; SGPRBlocks: 0
; VGPRBlocks: 0
; NumSGPRsForWavesPerEU: 1
; NumVGPRsForWavesPerEU: 1
; Occupancy: 16
; WaveLimiterHint : 0
; COMPUTE_PGM_RSRC2:SCRATCH_EN: 0
; COMPUTE_PGM_RSRC2:USER_SGPR: 6
; COMPUTE_PGM_RSRC2:TRAP_HANDLER: 0
; COMPUTE_PGM_RSRC2:TGID_X_EN: 1
; COMPUTE_PGM_RSRC2:TGID_Y_EN: 0
; COMPUTE_PGM_RSRC2:TGID_Z_EN: 0
; COMPUTE_PGM_RSRC2:TIDIG_COMP_CNT: 0
	.section	.text._ZN7rocprim17ROCPRIM_400000_NS6detail17trampoline_kernelINS0_14default_configENS1_27scan_by_key_config_selectorIxxEEZZNS1_16scan_by_key_implILNS1_25lookback_scan_determinismE0ELb1ES3_N6thrust23THRUST_200600_302600_NS6detail15normal_iteratorINS9_10device_ptrIxEEEESE_SE_xNS9_4plusIvEENS9_8equal_toIvEExEE10hipError_tPvRmT2_T3_T4_T5_mT6_T7_P12ihipStream_tbENKUlT_T0_E_clISt17integral_constantIbLb1EESZ_EEDaSU_SV_EUlSU_E_NS1_11comp_targetILNS1_3genE10ELNS1_11target_archE1200ELNS1_3gpuE4ELNS1_3repE0EEENS1_30default_config_static_selectorELNS0_4arch9wavefront6targetE0EEEvT1_,"axG",@progbits,_ZN7rocprim17ROCPRIM_400000_NS6detail17trampoline_kernelINS0_14default_configENS1_27scan_by_key_config_selectorIxxEEZZNS1_16scan_by_key_implILNS1_25lookback_scan_determinismE0ELb1ES3_N6thrust23THRUST_200600_302600_NS6detail15normal_iteratorINS9_10device_ptrIxEEEESE_SE_xNS9_4plusIvEENS9_8equal_toIvEExEE10hipError_tPvRmT2_T3_T4_T5_mT6_T7_P12ihipStream_tbENKUlT_T0_E_clISt17integral_constantIbLb1EESZ_EEDaSU_SV_EUlSU_E_NS1_11comp_targetILNS1_3genE10ELNS1_11target_archE1200ELNS1_3gpuE4ELNS1_3repE0EEENS1_30default_config_static_selectorELNS0_4arch9wavefront6targetE0EEEvT1_,comdat
	.protected	_ZN7rocprim17ROCPRIM_400000_NS6detail17trampoline_kernelINS0_14default_configENS1_27scan_by_key_config_selectorIxxEEZZNS1_16scan_by_key_implILNS1_25lookback_scan_determinismE0ELb1ES3_N6thrust23THRUST_200600_302600_NS6detail15normal_iteratorINS9_10device_ptrIxEEEESE_SE_xNS9_4plusIvEENS9_8equal_toIvEExEE10hipError_tPvRmT2_T3_T4_T5_mT6_T7_P12ihipStream_tbENKUlT_T0_E_clISt17integral_constantIbLb1EESZ_EEDaSU_SV_EUlSU_E_NS1_11comp_targetILNS1_3genE10ELNS1_11target_archE1200ELNS1_3gpuE4ELNS1_3repE0EEENS1_30default_config_static_selectorELNS0_4arch9wavefront6targetE0EEEvT1_ ; -- Begin function _ZN7rocprim17ROCPRIM_400000_NS6detail17trampoline_kernelINS0_14default_configENS1_27scan_by_key_config_selectorIxxEEZZNS1_16scan_by_key_implILNS1_25lookback_scan_determinismE0ELb1ES3_N6thrust23THRUST_200600_302600_NS6detail15normal_iteratorINS9_10device_ptrIxEEEESE_SE_xNS9_4plusIvEENS9_8equal_toIvEExEE10hipError_tPvRmT2_T3_T4_T5_mT6_T7_P12ihipStream_tbENKUlT_T0_E_clISt17integral_constantIbLb1EESZ_EEDaSU_SV_EUlSU_E_NS1_11comp_targetILNS1_3genE10ELNS1_11target_archE1200ELNS1_3gpuE4ELNS1_3repE0EEENS1_30default_config_static_selectorELNS0_4arch9wavefront6targetE0EEEvT1_
	.globl	_ZN7rocprim17ROCPRIM_400000_NS6detail17trampoline_kernelINS0_14default_configENS1_27scan_by_key_config_selectorIxxEEZZNS1_16scan_by_key_implILNS1_25lookback_scan_determinismE0ELb1ES3_N6thrust23THRUST_200600_302600_NS6detail15normal_iteratorINS9_10device_ptrIxEEEESE_SE_xNS9_4plusIvEENS9_8equal_toIvEExEE10hipError_tPvRmT2_T3_T4_T5_mT6_T7_P12ihipStream_tbENKUlT_T0_E_clISt17integral_constantIbLb1EESZ_EEDaSU_SV_EUlSU_E_NS1_11comp_targetILNS1_3genE10ELNS1_11target_archE1200ELNS1_3gpuE4ELNS1_3repE0EEENS1_30default_config_static_selectorELNS0_4arch9wavefront6targetE0EEEvT1_
	.p2align	8
	.type	_ZN7rocprim17ROCPRIM_400000_NS6detail17trampoline_kernelINS0_14default_configENS1_27scan_by_key_config_selectorIxxEEZZNS1_16scan_by_key_implILNS1_25lookback_scan_determinismE0ELb1ES3_N6thrust23THRUST_200600_302600_NS6detail15normal_iteratorINS9_10device_ptrIxEEEESE_SE_xNS9_4plusIvEENS9_8equal_toIvEExEE10hipError_tPvRmT2_T3_T4_T5_mT6_T7_P12ihipStream_tbENKUlT_T0_E_clISt17integral_constantIbLb1EESZ_EEDaSU_SV_EUlSU_E_NS1_11comp_targetILNS1_3genE10ELNS1_11target_archE1200ELNS1_3gpuE4ELNS1_3repE0EEENS1_30default_config_static_selectorELNS0_4arch9wavefront6targetE0EEEvT1_,@function
_ZN7rocprim17ROCPRIM_400000_NS6detail17trampoline_kernelINS0_14default_configENS1_27scan_by_key_config_selectorIxxEEZZNS1_16scan_by_key_implILNS1_25lookback_scan_determinismE0ELb1ES3_N6thrust23THRUST_200600_302600_NS6detail15normal_iteratorINS9_10device_ptrIxEEEESE_SE_xNS9_4plusIvEENS9_8equal_toIvEExEE10hipError_tPvRmT2_T3_T4_T5_mT6_T7_P12ihipStream_tbENKUlT_T0_E_clISt17integral_constantIbLb1EESZ_EEDaSU_SV_EUlSU_E_NS1_11comp_targetILNS1_3genE10ELNS1_11target_archE1200ELNS1_3gpuE4ELNS1_3repE0EEENS1_30default_config_static_selectorELNS0_4arch9wavefront6targetE0EEEvT1_: ; @_ZN7rocprim17ROCPRIM_400000_NS6detail17trampoline_kernelINS0_14default_configENS1_27scan_by_key_config_selectorIxxEEZZNS1_16scan_by_key_implILNS1_25lookback_scan_determinismE0ELb1ES3_N6thrust23THRUST_200600_302600_NS6detail15normal_iteratorINS9_10device_ptrIxEEEESE_SE_xNS9_4plusIvEENS9_8equal_toIvEExEE10hipError_tPvRmT2_T3_T4_T5_mT6_T7_P12ihipStream_tbENKUlT_T0_E_clISt17integral_constantIbLb1EESZ_EEDaSU_SV_EUlSU_E_NS1_11comp_targetILNS1_3genE10ELNS1_11target_archE1200ELNS1_3gpuE4ELNS1_3repE0EEENS1_30default_config_static_selectorELNS0_4arch9wavefront6targetE0EEEvT1_
; %bb.0:
	.section	.rodata,"a",@progbits
	.p2align	6, 0x0
	.amdhsa_kernel _ZN7rocprim17ROCPRIM_400000_NS6detail17trampoline_kernelINS0_14default_configENS1_27scan_by_key_config_selectorIxxEEZZNS1_16scan_by_key_implILNS1_25lookback_scan_determinismE0ELb1ES3_N6thrust23THRUST_200600_302600_NS6detail15normal_iteratorINS9_10device_ptrIxEEEESE_SE_xNS9_4plusIvEENS9_8equal_toIvEExEE10hipError_tPvRmT2_T3_T4_T5_mT6_T7_P12ihipStream_tbENKUlT_T0_E_clISt17integral_constantIbLb1EESZ_EEDaSU_SV_EUlSU_E_NS1_11comp_targetILNS1_3genE10ELNS1_11target_archE1200ELNS1_3gpuE4ELNS1_3repE0EEENS1_30default_config_static_selectorELNS0_4arch9wavefront6targetE0EEEvT1_
		.amdhsa_group_segment_fixed_size 0
		.amdhsa_private_segment_fixed_size 0
		.amdhsa_kernarg_size 136
		.amdhsa_user_sgpr_count 6
		.amdhsa_user_sgpr_private_segment_buffer 1
		.amdhsa_user_sgpr_dispatch_ptr 0
		.amdhsa_user_sgpr_queue_ptr 0
		.amdhsa_user_sgpr_kernarg_segment_ptr 1
		.amdhsa_user_sgpr_dispatch_id 0
		.amdhsa_user_sgpr_flat_scratch_init 0
		.amdhsa_user_sgpr_private_segment_size 0
		.amdhsa_wavefront_size32 1
		.amdhsa_uses_dynamic_stack 0
		.amdhsa_system_sgpr_private_segment_wavefront_offset 0
		.amdhsa_system_sgpr_workgroup_id_x 1
		.amdhsa_system_sgpr_workgroup_id_y 0
		.amdhsa_system_sgpr_workgroup_id_z 0
		.amdhsa_system_sgpr_workgroup_info 0
		.amdhsa_system_vgpr_workitem_id 0
		.amdhsa_next_free_vgpr 1
		.amdhsa_next_free_sgpr 1
		.amdhsa_reserve_vcc 0
		.amdhsa_reserve_flat_scratch 0
		.amdhsa_float_round_mode_32 0
		.amdhsa_float_round_mode_16_64 0
		.amdhsa_float_denorm_mode_32 3
		.amdhsa_float_denorm_mode_16_64 3
		.amdhsa_dx10_clamp 1
		.amdhsa_ieee_mode 1
		.amdhsa_fp16_overflow 0
		.amdhsa_workgroup_processor_mode 1
		.amdhsa_memory_ordered 1
		.amdhsa_forward_progress 1
		.amdhsa_shared_vgpr_count 0
		.amdhsa_exception_fp_ieee_invalid_op 0
		.amdhsa_exception_fp_denorm_src 0
		.amdhsa_exception_fp_ieee_div_zero 0
		.amdhsa_exception_fp_ieee_overflow 0
		.amdhsa_exception_fp_ieee_underflow 0
		.amdhsa_exception_fp_ieee_inexact 0
		.amdhsa_exception_int_div_zero 0
	.end_amdhsa_kernel
	.section	.text._ZN7rocprim17ROCPRIM_400000_NS6detail17trampoline_kernelINS0_14default_configENS1_27scan_by_key_config_selectorIxxEEZZNS1_16scan_by_key_implILNS1_25lookback_scan_determinismE0ELb1ES3_N6thrust23THRUST_200600_302600_NS6detail15normal_iteratorINS9_10device_ptrIxEEEESE_SE_xNS9_4plusIvEENS9_8equal_toIvEExEE10hipError_tPvRmT2_T3_T4_T5_mT6_T7_P12ihipStream_tbENKUlT_T0_E_clISt17integral_constantIbLb1EESZ_EEDaSU_SV_EUlSU_E_NS1_11comp_targetILNS1_3genE10ELNS1_11target_archE1200ELNS1_3gpuE4ELNS1_3repE0EEENS1_30default_config_static_selectorELNS0_4arch9wavefront6targetE0EEEvT1_,"axG",@progbits,_ZN7rocprim17ROCPRIM_400000_NS6detail17trampoline_kernelINS0_14default_configENS1_27scan_by_key_config_selectorIxxEEZZNS1_16scan_by_key_implILNS1_25lookback_scan_determinismE0ELb1ES3_N6thrust23THRUST_200600_302600_NS6detail15normal_iteratorINS9_10device_ptrIxEEEESE_SE_xNS9_4plusIvEENS9_8equal_toIvEExEE10hipError_tPvRmT2_T3_T4_T5_mT6_T7_P12ihipStream_tbENKUlT_T0_E_clISt17integral_constantIbLb1EESZ_EEDaSU_SV_EUlSU_E_NS1_11comp_targetILNS1_3genE10ELNS1_11target_archE1200ELNS1_3gpuE4ELNS1_3repE0EEENS1_30default_config_static_selectorELNS0_4arch9wavefront6targetE0EEEvT1_,comdat
.Lfunc_end368:
	.size	_ZN7rocprim17ROCPRIM_400000_NS6detail17trampoline_kernelINS0_14default_configENS1_27scan_by_key_config_selectorIxxEEZZNS1_16scan_by_key_implILNS1_25lookback_scan_determinismE0ELb1ES3_N6thrust23THRUST_200600_302600_NS6detail15normal_iteratorINS9_10device_ptrIxEEEESE_SE_xNS9_4plusIvEENS9_8equal_toIvEExEE10hipError_tPvRmT2_T3_T4_T5_mT6_T7_P12ihipStream_tbENKUlT_T0_E_clISt17integral_constantIbLb1EESZ_EEDaSU_SV_EUlSU_E_NS1_11comp_targetILNS1_3genE10ELNS1_11target_archE1200ELNS1_3gpuE4ELNS1_3repE0EEENS1_30default_config_static_selectorELNS0_4arch9wavefront6targetE0EEEvT1_, .Lfunc_end368-_ZN7rocprim17ROCPRIM_400000_NS6detail17trampoline_kernelINS0_14default_configENS1_27scan_by_key_config_selectorIxxEEZZNS1_16scan_by_key_implILNS1_25lookback_scan_determinismE0ELb1ES3_N6thrust23THRUST_200600_302600_NS6detail15normal_iteratorINS9_10device_ptrIxEEEESE_SE_xNS9_4plusIvEENS9_8equal_toIvEExEE10hipError_tPvRmT2_T3_T4_T5_mT6_T7_P12ihipStream_tbENKUlT_T0_E_clISt17integral_constantIbLb1EESZ_EEDaSU_SV_EUlSU_E_NS1_11comp_targetILNS1_3genE10ELNS1_11target_archE1200ELNS1_3gpuE4ELNS1_3repE0EEENS1_30default_config_static_selectorELNS0_4arch9wavefront6targetE0EEEvT1_
                                        ; -- End function
	.set _ZN7rocprim17ROCPRIM_400000_NS6detail17trampoline_kernelINS0_14default_configENS1_27scan_by_key_config_selectorIxxEEZZNS1_16scan_by_key_implILNS1_25lookback_scan_determinismE0ELb1ES3_N6thrust23THRUST_200600_302600_NS6detail15normal_iteratorINS9_10device_ptrIxEEEESE_SE_xNS9_4plusIvEENS9_8equal_toIvEExEE10hipError_tPvRmT2_T3_T4_T5_mT6_T7_P12ihipStream_tbENKUlT_T0_E_clISt17integral_constantIbLb1EESZ_EEDaSU_SV_EUlSU_E_NS1_11comp_targetILNS1_3genE10ELNS1_11target_archE1200ELNS1_3gpuE4ELNS1_3repE0EEENS1_30default_config_static_selectorELNS0_4arch9wavefront6targetE0EEEvT1_.num_vgpr, 0
	.set _ZN7rocprim17ROCPRIM_400000_NS6detail17trampoline_kernelINS0_14default_configENS1_27scan_by_key_config_selectorIxxEEZZNS1_16scan_by_key_implILNS1_25lookback_scan_determinismE0ELb1ES3_N6thrust23THRUST_200600_302600_NS6detail15normal_iteratorINS9_10device_ptrIxEEEESE_SE_xNS9_4plusIvEENS9_8equal_toIvEExEE10hipError_tPvRmT2_T3_T4_T5_mT6_T7_P12ihipStream_tbENKUlT_T0_E_clISt17integral_constantIbLb1EESZ_EEDaSU_SV_EUlSU_E_NS1_11comp_targetILNS1_3genE10ELNS1_11target_archE1200ELNS1_3gpuE4ELNS1_3repE0EEENS1_30default_config_static_selectorELNS0_4arch9wavefront6targetE0EEEvT1_.num_agpr, 0
	.set _ZN7rocprim17ROCPRIM_400000_NS6detail17trampoline_kernelINS0_14default_configENS1_27scan_by_key_config_selectorIxxEEZZNS1_16scan_by_key_implILNS1_25lookback_scan_determinismE0ELb1ES3_N6thrust23THRUST_200600_302600_NS6detail15normal_iteratorINS9_10device_ptrIxEEEESE_SE_xNS9_4plusIvEENS9_8equal_toIvEExEE10hipError_tPvRmT2_T3_T4_T5_mT6_T7_P12ihipStream_tbENKUlT_T0_E_clISt17integral_constantIbLb1EESZ_EEDaSU_SV_EUlSU_E_NS1_11comp_targetILNS1_3genE10ELNS1_11target_archE1200ELNS1_3gpuE4ELNS1_3repE0EEENS1_30default_config_static_selectorELNS0_4arch9wavefront6targetE0EEEvT1_.numbered_sgpr, 0
	.set _ZN7rocprim17ROCPRIM_400000_NS6detail17trampoline_kernelINS0_14default_configENS1_27scan_by_key_config_selectorIxxEEZZNS1_16scan_by_key_implILNS1_25lookback_scan_determinismE0ELb1ES3_N6thrust23THRUST_200600_302600_NS6detail15normal_iteratorINS9_10device_ptrIxEEEESE_SE_xNS9_4plusIvEENS9_8equal_toIvEExEE10hipError_tPvRmT2_T3_T4_T5_mT6_T7_P12ihipStream_tbENKUlT_T0_E_clISt17integral_constantIbLb1EESZ_EEDaSU_SV_EUlSU_E_NS1_11comp_targetILNS1_3genE10ELNS1_11target_archE1200ELNS1_3gpuE4ELNS1_3repE0EEENS1_30default_config_static_selectorELNS0_4arch9wavefront6targetE0EEEvT1_.num_named_barrier, 0
	.set _ZN7rocprim17ROCPRIM_400000_NS6detail17trampoline_kernelINS0_14default_configENS1_27scan_by_key_config_selectorIxxEEZZNS1_16scan_by_key_implILNS1_25lookback_scan_determinismE0ELb1ES3_N6thrust23THRUST_200600_302600_NS6detail15normal_iteratorINS9_10device_ptrIxEEEESE_SE_xNS9_4plusIvEENS9_8equal_toIvEExEE10hipError_tPvRmT2_T3_T4_T5_mT6_T7_P12ihipStream_tbENKUlT_T0_E_clISt17integral_constantIbLb1EESZ_EEDaSU_SV_EUlSU_E_NS1_11comp_targetILNS1_3genE10ELNS1_11target_archE1200ELNS1_3gpuE4ELNS1_3repE0EEENS1_30default_config_static_selectorELNS0_4arch9wavefront6targetE0EEEvT1_.private_seg_size, 0
	.set _ZN7rocprim17ROCPRIM_400000_NS6detail17trampoline_kernelINS0_14default_configENS1_27scan_by_key_config_selectorIxxEEZZNS1_16scan_by_key_implILNS1_25lookback_scan_determinismE0ELb1ES3_N6thrust23THRUST_200600_302600_NS6detail15normal_iteratorINS9_10device_ptrIxEEEESE_SE_xNS9_4plusIvEENS9_8equal_toIvEExEE10hipError_tPvRmT2_T3_T4_T5_mT6_T7_P12ihipStream_tbENKUlT_T0_E_clISt17integral_constantIbLb1EESZ_EEDaSU_SV_EUlSU_E_NS1_11comp_targetILNS1_3genE10ELNS1_11target_archE1200ELNS1_3gpuE4ELNS1_3repE0EEENS1_30default_config_static_selectorELNS0_4arch9wavefront6targetE0EEEvT1_.uses_vcc, 0
	.set _ZN7rocprim17ROCPRIM_400000_NS6detail17trampoline_kernelINS0_14default_configENS1_27scan_by_key_config_selectorIxxEEZZNS1_16scan_by_key_implILNS1_25lookback_scan_determinismE0ELb1ES3_N6thrust23THRUST_200600_302600_NS6detail15normal_iteratorINS9_10device_ptrIxEEEESE_SE_xNS9_4plusIvEENS9_8equal_toIvEExEE10hipError_tPvRmT2_T3_T4_T5_mT6_T7_P12ihipStream_tbENKUlT_T0_E_clISt17integral_constantIbLb1EESZ_EEDaSU_SV_EUlSU_E_NS1_11comp_targetILNS1_3genE10ELNS1_11target_archE1200ELNS1_3gpuE4ELNS1_3repE0EEENS1_30default_config_static_selectorELNS0_4arch9wavefront6targetE0EEEvT1_.uses_flat_scratch, 0
	.set _ZN7rocprim17ROCPRIM_400000_NS6detail17trampoline_kernelINS0_14default_configENS1_27scan_by_key_config_selectorIxxEEZZNS1_16scan_by_key_implILNS1_25lookback_scan_determinismE0ELb1ES3_N6thrust23THRUST_200600_302600_NS6detail15normal_iteratorINS9_10device_ptrIxEEEESE_SE_xNS9_4plusIvEENS9_8equal_toIvEExEE10hipError_tPvRmT2_T3_T4_T5_mT6_T7_P12ihipStream_tbENKUlT_T0_E_clISt17integral_constantIbLb1EESZ_EEDaSU_SV_EUlSU_E_NS1_11comp_targetILNS1_3genE10ELNS1_11target_archE1200ELNS1_3gpuE4ELNS1_3repE0EEENS1_30default_config_static_selectorELNS0_4arch9wavefront6targetE0EEEvT1_.has_dyn_sized_stack, 0
	.set _ZN7rocprim17ROCPRIM_400000_NS6detail17trampoline_kernelINS0_14default_configENS1_27scan_by_key_config_selectorIxxEEZZNS1_16scan_by_key_implILNS1_25lookback_scan_determinismE0ELb1ES3_N6thrust23THRUST_200600_302600_NS6detail15normal_iteratorINS9_10device_ptrIxEEEESE_SE_xNS9_4plusIvEENS9_8equal_toIvEExEE10hipError_tPvRmT2_T3_T4_T5_mT6_T7_P12ihipStream_tbENKUlT_T0_E_clISt17integral_constantIbLb1EESZ_EEDaSU_SV_EUlSU_E_NS1_11comp_targetILNS1_3genE10ELNS1_11target_archE1200ELNS1_3gpuE4ELNS1_3repE0EEENS1_30default_config_static_selectorELNS0_4arch9wavefront6targetE0EEEvT1_.has_recursion, 0
	.set _ZN7rocprim17ROCPRIM_400000_NS6detail17trampoline_kernelINS0_14default_configENS1_27scan_by_key_config_selectorIxxEEZZNS1_16scan_by_key_implILNS1_25lookback_scan_determinismE0ELb1ES3_N6thrust23THRUST_200600_302600_NS6detail15normal_iteratorINS9_10device_ptrIxEEEESE_SE_xNS9_4plusIvEENS9_8equal_toIvEExEE10hipError_tPvRmT2_T3_T4_T5_mT6_T7_P12ihipStream_tbENKUlT_T0_E_clISt17integral_constantIbLb1EESZ_EEDaSU_SV_EUlSU_E_NS1_11comp_targetILNS1_3genE10ELNS1_11target_archE1200ELNS1_3gpuE4ELNS1_3repE0EEENS1_30default_config_static_selectorELNS0_4arch9wavefront6targetE0EEEvT1_.has_indirect_call, 0
	.section	.AMDGPU.csdata,"",@progbits
; Kernel info:
; codeLenInByte = 0
; TotalNumSgprs: 0
; NumVgprs: 0
; ScratchSize: 0
; MemoryBound: 0
; FloatMode: 240
; IeeeMode: 1
; LDSByteSize: 0 bytes/workgroup (compile time only)
; SGPRBlocks: 0
; VGPRBlocks: 0
; NumSGPRsForWavesPerEU: 1
; NumVGPRsForWavesPerEU: 1
; Occupancy: 16
; WaveLimiterHint : 0
; COMPUTE_PGM_RSRC2:SCRATCH_EN: 0
; COMPUTE_PGM_RSRC2:USER_SGPR: 6
; COMPUTE_PGM_RSRC2:TRAP_HANDLER: 0
; COMPUTE_PGM_RSRC2:TGID_X_EN: 1
; COMPUTE_PGM_RSRC2:TGID_Y_EN: 0
; COMPUTE_PGM_RSRC2:TGID_Z_EN: 0
; COMPUTE_PGM_RSRC2:TIDIG_COMP_CNT: 0
	.section	.text._ZN7rocprim17ROCPRIM_400000_NS6detail17trampoline_kernelINS0_14default_configENS1_27scan_by_key_config_selectorIxxEEZZNS1_16scan_by_key_implILNS1_25lookback_scan_determinismE0ELb1ES3_N6thrust23THRUST_200600_302600_NS6detail15normal_iteratorINS9_10device_ptrIxEEEESE_SE_xNS9_4plusIvEENS9_8equal_toIvEExEE10hipError_tPvRmT2_T3_T4_T5_mT6_T7_P12ihipStream_tbENKUlT_T0_E_clISt17integral_constantIbLb1EESZ_EEDaSU_SV_EUlSU_E_NS1_11comp_targetILNS1_3genE9ELNS1_11target_archE1100ELNS1_3gpuE3ELNS1_3repE0EEENS1_30default_config_static_selectorELNS0_4arch9wavefront6targetE0EEEvT1_,"axG",@progbits,_ZN7rocprim17ROCPRIM_400000_NS6detail17trampoline_kernelINS0_14default_configENS1_27scan_by_key_config_selectorIxxEEZZNS1_16scan_by_key_implILNS1_25lookback_scan_determinismE0ELb1ES3_N6thrust23THRUST_200600_302600_NS6detail15normal_iteratorINS9_10device_ptrIxEEEESE_SE_xNS9_4plusIvEENS9_8equal_toIvEExEE10hipError_tPvRmT2_T3_T4_T5_mT6_T7_P12ihipStream_tbENKUlT_T0_E_clISt17integral_constantIbLb1EESZ_EEDaSU_SV_EUlSU_E_NS1_11comp_targetILNS1_3genE9ELNS1_11target_archE1100ELNS1_3gpuE3ELNS1_3repE0EEENS1_30default_config_static_selectorELNS0_4arch9wavefront6targetE0EEEvT1_,comdat
	.protected	_ZN7rocprim17ROCPRIM_400000_NS6detail17trampoline_kernelINS0_14default_configENS1_27scan_by_key_config_selectorIxxEEZZNS1_16scan_by_key_implILNS1_25lookback_scan_determinismE0ELb1ES3_N6thrust23THRUST_200600_302600_NS6detail15normal_iteratorINS9_10device_ptrIxEEEESE_SE_xNS9_4plusIvEENS9_8equal_toIvEExEE10hipError_tPvRmT2_T3_T4_T5_mT6_T7_P12ihipStream_tbENKUlT_T0_E_clISt17integral_constantIbLb1EESZ_EEDaSU_SV_EUlSU_E_NS1_11comp_targetILNS1_3genE9ELNS1_11target_archE1100ELNS1_3gpuE3ELNS1_3repE0EEENS1_30default_config_static_selectorELNS0_4arch9wavefront6targetE0EEEvT1_ ; -- Begin function _ZN7rocprim17ROCPRIM_400000_NS6detail17trampoline_kernelINS0_14default_configENS1_27scan_by_key_config_selectorIxxEEZZNS1_16scan_by_key_implILNS1_25lookback_scan_determinismE0ELb1ES3_N6thrust23THRUST_200600_302600_NS6detail15normal_iteratorINS9_10device_ptrIxEEEESE_SE_xNS9_4plusIvEENS9_8equal_toIvEExEE10hipError_tPvRmT2_T3_T4_T5_mT6_T7_P12ihipStream_tbENKUlT_T0_E_clISt17integral_constantIbLb1EESZ_EEDaSU_SV_EUlSU_E_NS1_11comp_targetILNS1_3genE9ELNS1_11target_archE1100ELNS1_3gpuE3ELNS1_3repE0EEENS1_30default_config_static_selectorELNS0_4arch9wavefront6targetE0EEEvT1_
	.globl	_ZN7rocprim17ROCPRIM_400000_NS6detail17trampoline_kernelINS0_14default_configENS1_27scan_by_key_config_selectorIxxEEZZNS1_16scan_by_key_implILNS1_25lookback_scan_determinismE0ELb1ES3_N6thrust23THRUST_200600_302600_NS6detail15normal_iteratorINS9_10device_ptrIxEEEESE_SE_xNS9_4plusIvEENS9_8equal_toIvEExEE10hipError_tPvRmT2_T3_T4_T5_mT6_T7_P12ihipStream_tbENKUlT_T0_E_clISt17integral_constantIbLb1EESZ_EEDaSU_SV_EUlSU_E_NS1_11comp_targetILNS1_3genE9ELNS1_11target_archE1100ELNS1_3gpuE3ELNS1_3repE0EEENS1_30default_config_static_selectorELNS0_4arch9wavefront6targetE0EEEvT1_
	.p2align	8
	.type	_ZN7rocprim17ROCPRIM_400000_NS6detail17trampoline_kernelINS0_14default_configENS1_27scan_by_key_config_selectorIxxEEZZNS1_16scan_by_key_implILNS1_25lookback_scan_determinismE0ELb1ES3_N6thrust23THRUST_200600_302600_NS6detail15normal_iteratorINS9_10device_ptrIxEEEESE_SE_xNS9_4plusIvEENS9_8equal_toIvEExEE10hipError_tPvRmT2_T3_T4_T5_mT6_T7_P12ihipStream_tbENKUlT_T0_E_clISt17integral_constantIbLb1EESZ_EEDaSU_SV_EUlSU_E_NS1_11comp_targetILNS1_3genE9ELNS1_11target_archE1100ELNS1_3gpuE3ELNS1_3repE0EEENS1_30default_config_static_selectorELNS0_4arch9wavefront6targetE0EEEvT1_,@function
_ZN7rocprim17ROCPRIM_400000_NS6detail17trampoline_kernelINS0_14default_configENS1_27scan_by_key_config_selectorIxxEEZZNS1_16scan_by_key_implILNS1_25lookback_scan_determinismE0ELb1ES3_N6thrust23THRUST_200600_302600_NS6detail15normal_iteratorINS9_10device_ptrIxEEEESE_SE_xNS9_4plusIvEENS9_8equal_toIvEExEE10hipError_tPvRmT2_T3_T4_T5_mT6_T7_P12ihipStream_tbENKUlT_T0_E_clISt17integral_constantIbLb1EESZ_EEDaSU_SV_EUlSU_E_NS1_11comp_targetILNS1_3genE9ELNS1_11target_archE1100ELNS1_3gpuE3ELNS1_3repE0EEENS1_30default_config_static_selectorELNS0_4arch9wavefront6targetE0EEEvT1_: ; @_ZN7rocprim17ROCPRIM_400000_NS6detail17trampoline_kernelINS0_14default_configENS1_27scan_by_key_config_selectorIxxEEZZNS1_16scan_by_key_implILNS1_25lookback_scan_determinismE0ELb1ES3_N6thrust23THRUST_200600_302600_NS6detail15normal_iteratorINS9_10device_ptrIxEEEESE_SE_xNS9_4plusIvEENS9_8equal_toIvEExEE10hipError_tPvRmT2_T3_T4_T5_mT6_T7_P12ihipStream_tbENKUlT_T0_E_clISt17integral_constantIbLb1EESZ_EEDaSU_SV_EUlSU_E_NS1_11comp_targetILNS1_3genE9ELNS1_11target_archE1100ELNS1_3gpuE3ELNS1_3repE0EEENS1_30default_config_static_selectorELNS0_4arch9wavefront6targetE0EEEvT1_
; %bb.0:
	.section	.rodata,"a",@progbits
	.p2align	6, 0x0
	.amdhsa_kernel _ZN7rocprim17ROCPRIM_400000_NS6detail17trampoline_kernelINS0_14default_configENS1_27scan_by_key_config_selectorIxxEEZZNS1_16scan_by_key_implILNS1_25lookback_scan_determinismE0ELb1ES3_N6thrust23THRUST_200600_302600_NS6detail15normal_iteratorINS9_10device_ptrIxEEEESE_SE_xNS9_4plusIvEENS9_8equal_toIvEExEE10hipError_tPvRmT2_T3_T4_T5_mT6_T7_P12ihipStream_tbENKUlT_T0_E_clISt17integral_constantIbLb1EESZ_EEDaSU_SV_EUlSU_E_NS1_11comp_targetILNS1_3genE9ELNS1_11target_archE1100ELNS1_3gpuE3ELNS1_3repE0EEENS1_30default_config_static_selectorELNS0_4arch9wavefront6targetE0EEEvT1_
		.amdhsa_group_segment_fixed_size 0
		.amdhsa_private_segment_fixed_size 0
		.amdhsa_kernarg_size 136
		.amdhsa_user_sgpr_count 6
		.amdhsa_user_sgpr_private_segment_buffer 1
		.amdhsa_user_sgpr_dispatch_ptr 0
		.amdhsa_user_sgpr_queue_ptr 0
		.amdhsa_user_sgpr_kernarg_segment_ptr 1
		.amdhsa_user_sgpr_dispatch_id 0
		.amdhsa_user_sgpr_flat_scratch_init 0
		.amdhsa_user_sgpr_private_segment_size 0
		.amdhsa_wavefront_size32 1
		.amdhsa_uses_dynamic_stack 0
		.amdhsa_system_sgpr_private_segment_wavefront_offset 0
		.amdhsa_system_sgpr_workgroup_id_x 1
		.amdhsa_system_sgpr_workgroup_id_y 0
		.amdhsa_system_sgpr_workgroup_id_z 0
		.amdhsa_system_sgpr_workgroup_info 0
		.amdhsa_system_vgpr_workitem_id 0
		.amdhsa_next_free_vgpr 1
		.amdhsa_next_free_sgpr 1
		.amdhsa_reserve_vcc 0
		.amdhsa_reserve_flat_scratch 0
		.amdhsa_float_round_mode_32 0
		.amdhsa_float_round_mode_16_64 0
		.amdhsa_float_denorm_mode_32 3
		.amdhsa_float_denorm_mode_16_64 3
		.amdhsa_dx10_clamp 1
		.amdhsa_ieee_mode 1
		.amdhsa_fp16_overflow 0
		.amdhsa_workgroup_processor_mode 1
		.amdhsa_memory_ordered 1
		.amdhsa_forward_progress 1
		.amdhsa_shared_vgpr_count 0
		.amdhsa_exception_fp_ieee_invalid_op 0
		.amdhsa_exception_fp_denorm_src 0
		.amdhsa_exception_fp_ieee_div_zero 0
		.amdhsa_exception_fp_ieee_overflow 0
		.amdhsa_exception_fp_ieee_underflow 0
		.amdhsa_exception_fp_ieee_inexact 0
		.amdhsa_exception_int_div_zero 0
	.end_amdhsa_kernel
	.section	.text._ZN7rocprim17ROCPRIM_400000_NS6detail17trampoline_kernelINS0_14default_configENS1_27scan_by_key_config_selectorIxxEEZZNS1_16scan_by_key_implILNS1_25lookback_scan_determinismE0ELb1ES3_N6thrust23THRUST_200600_302600_NS6detail15normal_iteratorINS9_10device_ptrIxEEEESE_SE_xNS9_4plusIvEENS9_8equal_toIvEExEE10hipError_tPvRmT2_T3_T4_T5_mT6_T7_P12ihipStream_tbENKUlT_T0_E_clISt17integral_constantIbLb1EESZ_EEDaSU_SV_EUlSU_E_NS1_11comp_targetILNS1_3genE9ELNS1_11target_archE1100ELNS1_3gpuE3ELNS1_3repE0EEENS1_30default_config_static_selectorELNS0_4arch9wavefront6targetE0EEEvT1_,"axG",@progbits,_ZN7rocprim17ROCPRIM_400000_NS6detail17trampoline_kernelINS0_14default_configENS1_27scan_by_key_config_selectorIxxEEZZNS1_16scan_by_key_implILNS1_25lookback_scan_determinismE0ELb1ES3_N6thrust23THRUST_200600_302600_NS6detail15normal_iteratorINS9_10device_ptrIxEEEESE_SE_xNS9_4plusIvEENS9_8equal_toIvEExEE10hipError_tPvRmT2_T3_T4_T5_mT6_T7_P12ihipStream_tbENKUlT_T0_E_clISt17integral_constantIbLb1EESZ_EEDaSU_SV_EUlSU_E_NS1_11comp_targetILNS1_3genE9ELNS1_11target_archE1100ELNS1_3gpuE3ELNS1_3repE0EEENS1_30default_config_static_selectorELNS0_4arch9wavefront6targetE0EEEvT1_,comdat
.Lfunc_end369:
	.size	_ZN7rocprim17ROCPRIM_400000_NS6detail17trampoline_kernelINS0_14default_configENS1_27scan_by_key_config_selectorIxxEEZZNS1_16scan_by_key_implILNS1_25lookback_scan_determinismE0ELb1ES3_N6thrust23THRUST_200600_302600_NS6detail15normal_iteratorINS9_10device_ptrIxEEEESE_SE_xNS9_4plusIvEENS9_8equal_toIvEExEE10hipError_tPvRmT2_T3_T4_T5_mT6_T7_P12ihipStream_tbENKUlT_T0_E_clISt17integral_constantIbLb1EESZ_EEDaSU_SV_EUlSU_E_NS1_11comp_targetILNS1_3genE9ELNS1_11target_archE1100ELNS1_3gpuE3ELNS1_3repE0EEENS1_30default_config_static_selectorELNS0_4arch9wavefront6targetE0EEEvT1_, .Lfunc_end369-_ZN7rocprim17ROCPRIM_400000_NS6detail17trampoline_kernelINS0_14default_configENS1_27scan_by_key_config_selectorIxxEEZZNS1_16scan_by_key_implILNS1_25lookback_scan_determinismE0ELb1ES3_N6thrust23THRUST_200600_302600_NS6detail15normal_iteratorINS9_10device_ptrIxEEEESE_SE_xNS9_4plusIvEENS9_8equal_toIvEExEE10hipError_tPvRmT2_T3_T4_T5_mT6_T7_P12ihipStream_tbENKUlT_T0_E_clISt17integral_constantIbLb1EESZ_EEDaSU_SV_EUlSU_E_NS1_11comp_targetILNS1_3genE9ELNS1_11target_archE1100ELNS1_3gpuE3ELNS1_3repE0EEENS1_30default_config_static_selectorELNS0_4arch9wavefront6targetE0EEEvT1_
                                        ; -- End function
	.set _ZN7rocprim17ROCPRIM_400000_NS6detail17trampoline_kernelINS0_14default_configENS1_27scan_by_key_config_selectorIxxEEZZNS1_16scan_by_key_implILNS1_25lookback_scan_determinismE0ELb1ES3_N6thrust23THRUST_200600_302600_NS6detail15normal_iteratorINS9_10device_ptrIxEEEESE_SE_xNS9_4plusIvEENS9_8equal_toIvEExEE10hipError_tPvRmT2_T3_T4_T5_mT6_T7_P12ihipStream_tbENKUlT_T0_E_clISt17integral_constantIbLb1EESZ_EEDaSU_SV_EUlSU_E_NS1_11comp_targetILNS1_3genE9ELNS1_11target_archE1100ELNS1_3gpuE3ELNS1_3repE0EEENS1_30default_config_static_selectorELNS0_4arch9wavefront6targetE0EEEvT1_.num_vgpr, 0
	.set _ZN7rocprim17ROCPRIM_400000_NS6detail17trampoline_kernelINS0_14default_configENS1_27scan_by_key_config_selectorIxxEEZZNS1_16scan_by_key_implILNS1_25lookback_scan_determinismE0ELb1ES3_N6thrust23THRUST_200600_302600_NS6detail15normal_iteratorINS9_10device_ptrIxEEEESE_SE_xNS9_4plusIvEENS9_8equal_toIvEExEE10hipError_tPvRmT2_T3_T4_T5_mT6_T7_P12ihipStream_tbENKUlT_T0_E_clISt17integral_constantIbLb1EESZ_EEDaSU_SV_EUlSU_E_NS1_11comp_targetILNS1_3genE9ELNS1_11target_archE1100ELNS1_3gpuE3ELNS1_3repE0EEENS1_30default_config_static_selectorELNS0_4arch9wavefront6targetE0EEEvT1_.num_agpr, 0
	.set _ZN7rocprim17ROCPRIM_400000_NS6detail17trampoline_kernelINS0_14default_configENS1_27scan_by_key_config_selectorIxxEEZZNS1_16scan_by_key_implILNS1_25lookback_scan_determinismE0ELb1ES3_N6thrust23THRUST_200600_302600_NS6detail15normal_iteratorINS9_10device_ptrIxEEEESE_SE_xNS9_4plusIvEENS9_8equal_toIvEExEE10hipError_tPvRmT2_T3_T4_T5_mT6_T7_P12ihipStream_tbENKUlT_T0_E_clISt17integral_constantIbLb1EESZ_EEDaSU_SV_EUlSU_E_NS1_11comp_targetILNS1_3genE9ELNS1_11target_archE1100ELNS1_3gpuE3ELNS1_3repE0EEENS1_30default_config_static_selectorELNS0_4arch9wavefront6targetE0EEEvT1_.numbered_sgpr, 0
	.set _ZN7rocprim17ROCPRIM_400000_NS6detail17trampoline_kernelINS0_14default_configENS1_27scan_by_key_config_selectorIxxEEZZNS1_16scan_by_key_implILNS1_25lookback_scan_determinismE0ELb1ES3_N6thrust23THRUST_200600_302600_NS6detail15normal_iteratorINS9_10device_ptrIxEEEESE_SE_xNS9_4plusIvEENS9_8equal_toIvEExEE10hipError_tPvRmT2_T3_T4_T5_mT6_T7_P12ihipStream_tbENKUlT_T0_E_clISt17integral_constantIbLb1EESZ_EEDaSU_SV_EUlSU_E_NS1_11comp_targetILNS1_3genE9ELNS1_11target_archE1100ELNS1_3gpuE3ELNS1_3repE0EEENS1_30default_config_static_selectorELNS0_4arch9wavefront6targetE0EEEvT1_.num_named_barrier, 0
	.set _ZN7rocprim17ROCPRIM_400000_NS6detail17trampoline_kernelINS0_14default_configENS1_27scan_by_key_config_selectorIxxEEZZNS1_16scan_by_key_implILNS1_25lookback_scan_determinismE0ELb1ES3_N6thrust23THRUST_200600_302600_NS6detail15normal_iteratorINS9_10device_ptrIxEEEESE_SE_xNS9_4plusIvEENS9_8equal_toIvEExEE10hipError_tPvRmT2_T3_T4_T5_mT6_T7_P12ihipStream_tbENKUlT_T0_E_clISt17integral_constantIbLb1EESZ_EEDaSU_SV_EUlSU_E_NS1_11comp_targetILNS1_3genE9ELNS1_11target_archE1100ELNS1_3gpuE3ELNS1_3repE0EEENS1_30default_config_static_selectorELNS0_4arch9wavefront6targetE0EEEvT1_.private_seg_size, 0
	.set _ZN7rocprim17ROCPRIM_400000_NS6detail17trampoline_kernelINS0_14default_configENS1_27scan_by_key_config_selectorIxxEEZZNS1_16scan_by_key_implILNS1_25lookback_scan_determinismE0ELb1ES3_N6thrust23THRUST_200600_302600_NS6detail15normal_iteratorINS9_10device_ptrIxEEEESE_SE_xNS9_4plusIvEENS9_8equal_toIvEExEE10hipError_tPvRmT2_T3_T4_T5_mT6_T7_P12ihipStream_tbENKUlT_T0_E_clISt17integral_constantIbLb1EESZ_EEDaSU_SV_EUlSU_E_NS1_11comp_targetILNS1_3genE9ELNS1_11target_archE1100ELNS1_3gpuE3ELNS1_3repE0EEENS1_30default_config_static_selectorELNS0_4arch9wavefront6targetE0EEEvT1_.uses_vcc, 0
	.set _ZN7rocprim17ROCPRIM_400000_NS6detail17trampoline_kernelINS0_14default_configENS1_27scan_by_key_config_selectorIxxEEZZNS1_16scan_by_key_implILNS1_25lookback_scan_determinismE0ELb1ES3_N6thrust23THRUST_200600_302600_NS6detail15normal_iteratorINS9_10device_ptrIxEEEESE_SE_xNS9_4plusIvEENS9_8equal_toIvEExEE10hipError_tPvRmT2_T3_T4_T5_mT6_T7_P12ihipStream_tbENKUlT_T0_E_clISt17integral_constantIbLb1EESZ_EEDaSU_SV_EUlSU_E_NS1_11comp_targetILNS1_3genE9ELNS1_11target_archE1100ELNS1_3gpuE3ELNS1_3repE0EEENS1_30default_config_static_selectorELNS0_4arch9wavefront6targetE0EEEvT1_.uses_flat_scratch, 0
	.set _ZN7rocprim17ROCPRIM_400000_NS6detail17trampoline_kernelINS0_14default_configENS1_27scan_by_key_config_selectorIxxEEZZNS1_16scan_by_key_implILNS1_25lookback_scan_determinismE0ELb1ES3_N6thrust23THRUST_200600_302600_NS6detail15normal_iteratorINS9_10device_ptrIxEEEESE_SE_xNS9_4plusIvEENS9_8equal_toIvEExEE10hipError_tPvRmT2_T3_T4_T5_mT6_T7_P12ihipStream_tbENKUlT_T0_E_clISt17integral_constantIbLb1EESZ_EEDaSU_SV_EUlSU_E_NS1_11comp_targetILNS1_3genE9ELNS1_11target_archE1100ELNS1_3gpuE3ELNS1_3repE0EEENS1_30default_config_static_selectorELNS0_4arch9wavefront6targetE0EEEvT1_.has_dyn_sized_stack, 0
	.set _ZN7rocprim17ROCPRIM_400000_NS6detail17trampoline_kernelINS0_14default_configENS1_27scan_by_key_config_selectorIxxEEZZNS1_16scan_by_key_implILNS1_25lookback_scan_determinismE0ELb1ES3_N6thrust23THRUST_200600_302600_NS6detail15normal_iteratorINS9_10device_ptrIxEEEESE_SE_xNS9_4plusIvEENS9_8equal_toIvEExEE10hipError_tPvRmT2_T3_T4_T5_mT6_T7_P12ihipStream_tbENKUlT_T0_E_clISt17integral_constantIbLb1EESZ_EEDaSU_SV_EUlSU_E_NS1_11comp_targetILNS1_3genE9ELNS1_11target_archE1100ELNS1_3gpuE3ELNS1_3repE0EEENS1_30default_config_static_selectorELNS0_4arch9wavefront6targetE0EEEvT1_.has_recursion, 0
	.set _ZN7rocprim17ROCPRIM_400000_NS6detail17trampoline_kernelINS0_14default_configENS1_27scan_by_key_config_selectorIxxEEZZNS1_16scan_by_key_implILNS1_25lookback_scan_determinismE0ELb1ES3_N6thrust23THRUST_200600_302600_NS6detail15normal_iteratorINS9_10device_ptrIxEEEESE_SE_xNS9_4plusIvEENS9_8equal_toIvEExEE10hipError_tPvRmT2_T3_T4_T5_mT6_T7_P12ihipStream_tbENKUlT_T0_E_clISt17integral_constantIbLb1EESZ_EEDaSU_SV_EUlSU_E_NS1_11comp_targetILNS1_3genE9ELNS1_11target_archE1100ELNS1_3gpuE3ELNS1_3repE0EEENS1_30default_config_static_selectorELNS0_4arch9wavefront6targetE0EEEvT1_.has_indirect_call, 0
	.section	.AMDGPU.csdata,"",@progbits
; Kernel info:
; codeLenInByte = 0
; TotalNumSgprs: 0
; NumVgprs: 0
; ScratchSize: 0
; MemoryBound: 0
; FloatMode: 240
; IeeeMode: 1
; LDSByteSize: 0 bytes/workgroup (compile time only)
; SGPRBlocks: 0
; VGPRBlocks: 0
; NumSGPRsForWavesPerEU: 1
; NumVGPRsForWavesPerEU: 1
; Occupancy: 16
; WaveLimiterHint : 0
; COMPUTE_PGM_RSRC2:SCRATCH_EN: 0
; COMPUTE_PGM_RSRC2:USER_SGPR: 6
; COMPUTE_PGM_RSRC2:TRAP_HANDLER: 0
; COMPUTE_PGM_RSRC2:TGID_X_EN: 1
; COMPUTE_PGM_RSRC2:TGID_Y_EN: 0
; COMPUTE_PGM_RSRC2:TGID_Z_EN: 0
; COMPUTE_PGM_RSRC2:TIDIG_COMP_CNT: 0
	.section	.text._ZN7rocprim17ROCPRIM_400000_NS6detail17trampoline_kernelINS0_14default_configENS1_27scan_by_key_config_selectorIxxEEZZNS1_16scan_by_key_implILNS1_25lookback_scan_determinismE0ELb1ES3_N6thrust23THRUST_200600_302600_NS6detail15normal_iteratorINS9_10device_ptrIxEEEESE_SE_xNS9_4plusIvEENS9_8equal_toIvEExEE10hipError_tPvRmT2_T3_T4_T5_mT6_T7_P12ihipStream_tbENKUlT_T0_E_clISt17integral_constantIbLb1EESZ_EEDaSU_SV_EUlSU_E_NS1_11comp_targetILNS1_3genE8ELNS1_11target_archE1030ELNS1_3gpuE2ELNS1_3repE0EEENS1_30default_config_static_selectorELNS0_4arch9wavefront6targetE0EEEvT1_,"axG",@progbits,_ZN7rocprim17ROCPRIM_400000_NS6detail17trampoline_kernelINS0_14default_configENS1_27scan_by_key_config_selectorIxxEEZZNS1_16scan_by_key_implILNS1_25lookback_scan_determinismE0ELb1ES3_N6thrust23THRUST_200600_302600_NS6detail15normal_iteratorINS9_10device_ptrIxEEEESE_SE_xNS9_4plusIvEENS9_8equal_toIvEExEE10hipError_tPvRmT2_T3_T4_T5_mT6_T7_P12ihipStream_tbENKUlT_T0_E_clISt17integral_constantIbLb1EESZ_EEDaSU_SV_EUlSU_E_NS1_11comp_targetILNS1_3genE8ELNS1_11target_archE1030ELNS1_3gpuE2ELNS1_3repE0EEENS1_30default_config_static_selectorELNS0_4arch9wavefront6targetE0EEEvT1_,comdat
	.protected	_ZN7rocprim17ROCPRIM_400000_NS6detail17trampoline_kernelINS0_14default_configENS1_27scan_by_key_config_selectorIxxEEZZNS1_16scan_by_key_implILNS1_25lookback_scan_determinismE0ELb1ES3_N6thrust23THRUST_200600_302600_NS6detail15normal_iteratorINS9_10device_ptrIxEEEESE_SE_xNS9_4plusIvEENS9_8equal_toIvEExEE10hipError_tPvRmT2_T3_T4_T5_mT6_T7_P12ihipStream_tbENKUlT_T0_E_clISt17integral_constantIbLb1EESZ_EEDaSU_SV_EUlSU_E_NS1_11comp_targetILNS1_3genE8ELNS1_11target_archE1030ELNS1_3gpuE2ELNS1_3repE0EEENS1_30default_config_static_selectorELNS0_4arch9wavefront6targetE0EEEvT1_ ; -- Begin function _ZN7rocprim17ROCPRIM_400000_NS6detail17trampoline_kernelINS0_14default_configENS1_27scan_by_key_config_selectorIxxEEZZNS1_16scan_by_key_implILNS1_25lookback_scan_determinismE0ELb1ES3_N6thrust23THRUST_200600_302600_NS6detail15normal_iteratorINS9_10device_ptrIxEEEESE_SE_xNS9_4plusIvEENS9_8equal_toIvEExEE10hipError_tPvRmT2_T3_T4_T5_mT6_T7_P12ihipStream_tbENKUlT_T0_E_clISt17integral_constantIbLb1EESZ_EEDaSU_SV_EUlSU_E_NS1_11comp_targetILNS1_3genE8ELNS1_11target_archE1030ELNS1_3gpuE2ELNS1_3repE0EEENS1_30default_config_static_selectorELNS0_4arch9wavefront6targetE0EEEvT1_
	.globl	_ZN7rocprim17ROCPRIM_400000_NS6detail17trampoline_kernelINS0_14default_configENS1_27scan_by_key_config_selectorIxxEEZZNS1_16scan_by_key_implILNS1_25lookback_scan_determinismE0ELb1ES3_N6thrust23THRUST_200600_302600_NS6detail15normal_iteratorINS9_10device_ptrIxEEEESE_SE_xNS9_4plusIvEENS9_8equal_toIvEExEE10hipError_tPvRmT2_T3_T4_T5_mT6_T7_P12ihipStream_tbENKUlT_T0_E_clISt17integral_constantIbLb1EESZ_EEDaSU_SV_EUlSU_E_NS1_11comp_targetILNS1_3genE8ELNS1_11target_archE1030ELNS1_3gpuE2ELNS1_3repE0EEENS1_30default_config_static_selectorELNS0_4arch9wavefront6targetE0EEEvT1_
	.p2align	8
	.type	_ZN7rocprim17ROCPRIM_400000_NS6detail17trampoline_kernelINS0_14default_configENS1_27scan_by_key_config_selectorIxxEEZZNS1_16scan_by_key_implILNS1_25lookback_scan_determinismE0ELb1ES3_N6thrust23THRUST_200600_302600_NS6detail15normal_iteratorINS9_10device_ptrIxEEEESE_SE_xNS9_4plusIvEENS9_8equal_toIvEExEE10hipError_tPvRmT2_T3_T4_T5_mT6_T7_P12ihipStream_tbENKUlT_T0_E_clISt17integral_constantIbLb1EESZ_EEDaSU_SV_EUlSU_E_NS1_11comp_targetILNS1_3genE8ELNS1_11target_archE1030ELNS1_3gpuE2ELNS1_3repE0EEENS1_30default_config_static_selectorELNS0_4arch9wavefront6targetE0EEEvT1_,@function
_ZN7rocprim17ROCPRIM_400000_NS6detail17trampoline_kernelINS0_14default_configENS1_27scan_by_key_config_selectorIxxEEZZNS1_16scan_by_key_implILNS1_25lookback_scan_determinismE0ELb1ES3_N6thrust23THRUST_200600_302600_NS6detail15normal_iteratorINS9_10device_ptrIxEEEESE_SE_xNS9_4plusIvEENS9_8equal_toIvEExEE10hipError_tPvRmT2_T3_T4_T5_mT6_T7_P12ihipStream_tbENKUlT_T0_E_clISt17integral_constantIbLb1EESZ_EEDaSU_SV_EUlSU_E_NS1_11comp_targetILNS1_3genE8ELNS1_11target_archE1030ELNS1_3gpuE2ELNS1_3repE0EEENS1_30default_config_static_selectorELNS0_4arch9wavefront6targetE0EEEvT1_: ; @_ZN7rocprim17ROCPRIM_400000_NS6detail17trampoline_kernelINS0_14default_configENS1_27scan_by_key_config_selectorIxxEEZZNS1_16scan_by_key_implILNS1_25lookback_scan_determinismE0ELb1ES3_N6thrust23THRUST_200600_302600_NS6detail15normal_iteratorINS9_10device_ptrIxEEEESE_SE_xNS9_4plusIvEENS9_8equal_toIvEExEE10hipError_tPvRmT2_T3_T4_T5_mT6_T7_P12ihipStream_tbENKUlT_T0_E_clISt17integral_constantIbLb1EESZ_EEDaSU_SV_EUlSU_E_NS1_11comp_targetILNS1_3genE8ELNS1_11target_archE1030ELNS1_3gpuE2ELNS1_3repE0EEENS1_30default_config_static_selectorELNS0_4arch9wavefront6targetE0EEEvT1_
; %bb.0:
	s_endpgm
	.section	.rodata,"a",@progbits
	.p2align	6, 0x0
	.amdhsa_kernel _ZN7rocprim17ROCPRIM_400000_NS6detail17trampoline_kernelINS0_14default_configENS1_27scan_by_key_config_selectorIxxEEZZNS1_16scan_by_key_implILNS1_25lookback_scan_determinismE0ELb1ES3_N6thrust23THRUST_200600_302600_NS6detail15normal_iteratorINS9_10device_ptrIxEEEESE_SE_xNS9_4plusIvEENS9_8equal_toIvEExEE10hipError_tPvRmT2_T3_T4_T5_mT6_T7_P12ihipStream_tbENKUlT_T0_E_clISt17integral_constantIbLb1EESZ_EEDaSU_SV_EUlSU_E_NS1_11comp_targetILNS1_3genE8ELNS1_11target_archE1030ELNS1_3gpuE2ELNS1_3repE0EEENS1_30default_config_static_selectorELNS0_4arch9wavefront6targetE0EEEvT1_
		.amdhsa_group_segment_fixed_size 0
		.amdhsa_private_segment_fixed_size 0
		.amdhsa_kernarg_size 136
		.amdhsa_user_sgpr_count 6
		.amdhsa_user_sgpr_private_segment_buffer 1
		.amdhsa_user_sgpr_dispatch_ptr 0
		.amdhsa_user_sgpr_queue_ptr 0
		.amdhsa_user_sgpr_kernarg_segment_ptr 1
		.amdhsa_user_sgpr_dispatch_id 0
		.amdhsa_user_sgpr_flat_scratch_init 0
		.amdhsa_user_sgpr_private_segment_size 0
		.amdhsa_wavefront_size32 1
		.amdhsa_uses_dynamic_stack 0
		.amdhsa_system_sgpr_private_segment_wavefront_offset 0
		.amdhsa_system_sgpr_workgroup_id_x 1
		.amdhsa_system_sgpr_workgroup_id_y 0
		.amdhsa_system_sgpr_workgroup_id_z 0
		.amdhsa_system_sgpr_workgroup_info 0
		.amdhsa_system_vgpr_workitem_id 0
		.amdhsa_next_free_vgpr 1
		.amdhsa_next_free_sgpr 1
		.amdhsa_reserve_vcc 0
		.amdhsa_reserve_flat_scratch 0
		.amdhsa_float_round_mode_32 0
		.amdhsa_float_round_mode_16_64 0
		.amdhsa_float_denorm_mode_32 3
		.amdhsa_float_denorm_mode_16_64 3
		.amdhsa_dx10_clamp 1
		.amdhsa_ieee_mode 1
		.amdhsa_fp16_overflow 0
		.amdhsa_workgroup_processor_mode 1
		.amdhsa_memory_ordered 1
		.amdhsa_forward_progress 1
		.amdhsa_shared_vgpr_count 0
		.amdhsa_exception_fp_ieee_invalid_op 0
		.amdhsa_exception_fp_denorm_src 0
		.amdhsa_exception_fp_ieee_div_zero 0
		.amdhsa_exception_fp_ieee_overflow 0
		.amdhsa_exception_fp_ieee_underflow 0
		.amdhsa_exception_fp_ieee_inexact 0
		.amdhsa_exception_int_div_zero 0
	.end_amdhsa_kernel
	.section	.text._ZN7rocprim17ROCPRIM_400000_NS6detail17trampoline_kernelINS0_14default_configENS1_27scan_by_key_config_selectorIxxEEZZNS1_16scan_by_key_implILNS1_25lookback_scan_determinismE0ELb1ES3_N6thrust23THRUST_200600_302600_NS6detail15normal_iteratorINS9_10device_ptrIxEEEESE_SE_xNS9_4plusIvEENS9_8equal_toIvEExEE10hipError_tPvRmT2_T3_T4_T5_mT6_T7_P12ihipStream_tbENKUlT_T0_E_clISt17integral_constantIbLb1EESZ_EEDaSU_SV_EUlSU_E_NS1_11comp_targetILNS1_3genE8ELNS1_11target_archE1030ELNS1_3gpuE2ELNS1_3repE0EEENS1_30default_config_static_selectorELNS0_4arch9wavefront6targetE0EEEvT1_,"axG",@progbits,_ZN7rocprim17ROCPRIM_400000_NS6detail17trampoline_kernelINS0_14default_configENS1_27scan_by_key_config_selectorIxxEEZZNS1_16scan_by_key_implILNS1_25lookback_scan_determinismE0ELb1ES3_N6thrust23THRUST_200600_302600_NS6detail15normal_iteratorINS9_10device_ptrIxEEEESE_SE_xNS9_4plusIvEENS9_8equal_toIvEExEE10hipError_tPvRmT2_T3_T4_T5_mT6_T7_P12ihipStream_tbENKUlT_T0_E_clISt17integral_constantIbLb1EESZ_EEDaSU_SV_EUlSU_E_NS1_11comp_targetILNS1_3genE8ELNS1_11target_archE1030ELNS1_3gpuE2ELNS1_3repE0EEENS1_30default_config_static_selectorELNS0_4arch9wavefront6targetE0EEEvT1_,comdat
.Lfunc_end370:
	.size	_ZN7rocprim17ROCPRIM_400000_NS6detail17trampoline_kernelINS0_14default_configENS1_27scan_by_key_config_selectorIxxEEZZNS1_16scan_by_key_implILNS1_25lookback_scan_determinismE0ELb1ES3_N6thrust23THRUST_200600_302600_NS6detail15normal_iteratorINS9_10device_ptrIxEEEESE_SE_xNS9_4plusIvEENS9_8equal_toIvEExEE10hipError_tPvRmT2_T3_T4_T5_mT6_T7_P12ihipStream_tbENKUlT_T0_E_clISt17integral_constantIbLb1EESZ_EEDaSU_SV_EUlSU_E_NS1_11comp_targetILNS1_3genE8ELNS1_11target_archE1030ELNS1_3gpuE2ELNS1_3repE0EEENS1_30default_config_static_selectorELNS0_4arch9wavefront6targetE0EEEvT1_, .Lfunc_end370-_ZN7rocprim17ROCPRIM_400000_NS6detail17trampoline_kernelINS0_14default_configENS1_27scan_by_key_config_selectorIxxEEZZNS1_16scan_by_key_implILNS1_25lookback_scan_determinismE0ELb1ES3_N6thrust23THRUST_200600_302600_NS6detail15normal_iteratorINS9_10device_ptrIxEEEESE_SE_xNS9_4plusIvEENS9_8equal_toIvEExEE10hipError_tPvRmT2_T3_T4_T5_mT6_T7_P12ihipStream_tbENKUlT_T0_E_clISt17integral_constantIbLb1EESZ_EEDaSU_SV_EUlSU_E_NS1_11comp_targetILNS1_3genE8ELNS1_11target_archE1030ELNS1_3gpuE2ELNS1_3repE0EEENS1_30default_config_static_selectorELNS0_4arch9wavefront6targetE0EEEvT1_
                                        ; -- End function
	.set _ZN7rocprim17ROCPRIM_400000_NS6detail17trampoline_kernelINS0_14default_configENS1_27scan_by_key_config_selectorIxxEEZZNS1_16scan_by_key_implILNS1_25lookback_scan_determinismE0ELb1ES3_N6thrust23THRUST_200600_302600_NS6detail15normal_iteratorINS9_10device_ptrIxEEEESE_SE_xNS9_4plusIvEENS9_8equal_toIvEExEE10hipError_tPvRmT2_T3_T4_T5_mT6_T7_P12ihipStream_tbENKUlT_T0_E_clISt17integral_constantIbLb1EESZ_EEDaSU_SV_EUlSU_E_NS1_11comp_targetILNS1_3genE8ELNS1_11target_archE1030ELNS1_3gpuE2ELNS1_3repE0EEENS1_30default_config_static_selectorELNS0_4arch9wavefront6targetE0EEEvT1_.num_vgpr, 0
	.set _ZN7rocprim17ROCPRIM_400000_NS6detail17trampoline_kernelINS0_14default_configENS1_27scan_by_key_config_selectorIxxEEZZNS1_16scan_by_key_implILNS1_25lookback_scan_determinismE0ELb1ES3_N6thrust23THRUST_200600_302600_NS6detail15normal_iteratorINS9_10device_ptrIxEEEESE_SE_xNS9_4plusIvEENS9_8equal_toIvEExEE10hipError_tPvRmT2_T3_T4_T5_mT6_T7_P12ihipStream_tbENKUlT_T0_E_clISt17integral_constantIbLb1EESZ_EEDaSU_SV_EUlSU_E_NS1_11comp_targetILNS1_3genE8ELNS1_11target_archE1030ELNS1_3gpuE2ELNS1_3repE0EEENS1_30default_config_static_selectorELNS0_4arch9wavefront6targetE0EEEvT1_.num_agpr, 0
	.set _ZN7rocprim17ROCPRIM_400000_NS6detail17trampoline_kernelINS0_14default_configENS1_27scan_by_key_config_selectorIxxEEZZNS1_16scan_by_key_implILNS1_25lookback_scan_determinismE0ELb1ES3_N6thrust23THRUST_200600_302600_NS6detail15normal_iteratorINS9_10device_ptrIxEEEESE_SE_xNS9_4plusIvEENS9_8equal_toIvEExEE10hipError_tPvRmT2_T3_T4_T5_mT6_T7_P12ihipStream_tbENKUlT_T0_E_clISt17integral_constantIbLb1EESZ_EEDaSU_SV_EUlSU_E_NS1_11comp_targetILNS1_3genE8ELNS1_11target_archE1030ELNS1_3gpuE2ELNS1_3repE0EEENS1_30default_config_static_selectorELNS0_4arch9wavefront6targetE0EEEvT1_.numbered_sgpr, 0
	.set _ZN7rocprim17ROCPRIM_400000_NS6detail17trampoline_kernelINS0_14default_configENS1_27scan_by_key_config_selectorIxxEEZZNS1_16scan_by_key_implILNS1_25lookback_scan_determinismE0ELb1ES3_N6thrust23THRUST_200600_302600_NS6detail15normal_iteratorINS9_10device_ptrIxEEEESE_SE_xNS9_4plusIvEENS9_8equal_toIvEExEE10hipError_tPvRmT2_T3_T4_T5_mT6_T7_P12ihipStream_tbENKUlT_T0_E_clISt17integral_constantIbLb1EESZ_EEDaSU_SV_EUlSU_E_NS1_11comp_targetILNS1_3genE8ELNS1_11target_archE1030ELNS1_3gpuE2ELNS1_3repE0EEENS1_30default_config_static_selectorELNS0_4arch9wavefront6targetE0EEEvT1_.num_named_barrier, 0
	.set _ZN7rocprim17ROCPRIM_400000_NS6detail17trampoline_kernelINS0_14default_configENS1_27scan_by_key_config_selectorIxxEEZZNS1_16scan_by_key_implILNS1_25lookback_scan_determinismE0ELb1ES3_N6thrust23THRUST_200600_302600_NS6detail15normal_iteratorINS9_10device_ptrIxEEEESE_SE_xNS9_4plusIvEENS9_8equal_toIvEExEE10hipError_tPvRmT2_T3_T4_T5_mT6_T7_P12ihipStream_tbENKUlT_T0_E_clISt17integral_constantIbLb1EESZ_EEDaSU_SV_EUlSU_E_NS1_11comp_targetILNS1_3genE8ELNS1_11target_archE1030ELNS1_3gpuE2ELNS1_3repE0EEENS1_30default_config_static_selectorELNS0_4arch9wavefront6targetE0EEEvT1_.private_seg_size, 0
	.set _ZN7rocprim17ROCPRIM_400000_NS6detail17trampoline_kernelINS0_14default_configENS1_27scan_by_key_config_selectorIxxEEZZNS1_16scan_by_key_implILNS1_25lookback_scan_determinismE0ELb1ES3_N6thrust23THRUST_200600_302600_NS6detail15normal_iteratorINS9_10device_ptrIxEEEESE_SE_xNS9_4plusIvEENS9_8equal_toIvEExEE10hipError_tPvRmT2_T3_T4_T5_mT6_T7_P12ihipStream_tbENKUlT_T0_E_clISt17integral_constantIbLb1EESZ_EEDaSU_SV_EUlSU_E_NS1_11comp_targetILNS1_3genE8ELNS1_11target_archE1030ELNS1_3gpuE2ELNS1_3repE0EEENS1_30default_config_static_selectorELNS0_4arch9wavefront6targetE0EEEvT1_.uses_vcc, 0
	.set _ZN7rocprim17ROCPRIM_400000_NS6detail17trampoline_kernelINS0_14default_configENS1_27scan_by_key_config_selectorIxxEEZZNS1_16scan_by_key_implILNS1_25lookback_scan_determinismE0ELb1ES3_N6thrust23THRUST_200600_302600_NS6detail15normal_iteratorINS9_10device_ptrIxEEEESE_SE_xNS9_4plusIvEENS9_8equal_toIvEExEE10hipError_tPvRmT2_T3_T4_T5_mT6_T7_P12ihipStream_tbENKUlT_T0_E_clISt17integral_constantIbLb1EESZ_EEDaSU_SV_EUlSU_E_NS1_11comp_targetILNS1_3genE8ELNS1_11target_archE1030ELNS1_3gpuE2ELNS1_3repE0EEENS1_30default_config_static_selectorELNS0_4arch9wavefront6targetE0EEEvT1_.uses_flat_scratch, 0
	.set _ZN7rocprim17ROCPRIM_400000_NS6detail17trampoline_kernelINS0_14default_configENS1_27scan_by_key_config_selectorIxxEEZZNS1_16scan_by_key_implILNS1_25lookback_scan_determinismE0ELb1ES3_N6thrust23THRUST_200600_302600_NS6detail15normal_iteratorINS9_10device_ptrIxEEEESE_SE_xNS9_4plusIvEENS9_8equal_toIvEExEE10hipError_tPvRmT2_T3_T4_T5_mT6_T7_P12ihipStream_tbENKUlT_T0_E_clISt17integral_constantIbLb1EESZ_EEDaSU_SV_EUlSU_E_NS1_11comp_targetILNS1_3genE8ELNS1_11target_archE1030ELNS1_3gpuE2ELNS1_3repE0EEENS1_30default_config_static_selectorELNS0_4arch9wavefront6targetE0EEEvT1_.has_dyn_sized_stack, 0
	.set _ZN7rocprim17ROCPRIM_400000_NS6detail17trampoline_kernelINS0_14default_configENS1_27scan_by_key_config_selectorIxxEEZZNS1_16scan_by_key_implILNS1_25lookback_scan_determinismE0ELb1ES3_N6thrust23THRUST_200600_302600_NS6detail15normal_iteratorINS9_10device_ptrIxEEEESE_SE_xNS9_4plusIvEENS9_8equal_toIvEExEE10hipError_tPvRmT2_T3_T4_T5_mT6_T7_P12ihipStream_tbENKUlT_T0_E_clISt17integral_constantIbLb1EESZ_EEDaSU_SV_EUlSU_E_NS1_11comp_targetILNS1_3genE8ELNS1_11target_archE1030ELNS1_3gpuE2ELNS1_3repE0EEENS1_30default_config_static_selectorELNS0_4arch9wavefront6targetE0EEEvT1_.has_recursion, 0
	.set _ZN7rocprim17ROCPRIM_400000_NS6detail17trampoline_kernelINS0_14default_configENS1_27scan_by_key_config_selectorIxxEEZZNS1_16scan_by_key_implILNS1_25lookback_scan_determinismE0ELb1ES3_N6thrust23THRUST_200600_302600_NS6detail15normal_iteratorINS9_10device_ptrIxEEEESE_SE_xNS9_4plusIvEENS9_8equal_toIvEExEE10hipError_tPvRmT2_T3_T4_T5_mT6_T7_P12ihipStream_tbENKUlT_T0_E_clISt17integral_constantIbLb1EESZ_EEDaSU_SV_EUlSU_E_NS1_11comp_targetILNS1_3genE8ELNS1_11target_archE1030ELNS1_3gpuE2ELNS1_3repE0EEENS1_30default_config_static_selectorELNS0_4arch9wavefront6targetE0EEEvT1_.has_indirect_call, 0
	.section	.AMDGPU.csdata,"",@progbits
; Kernel info:
; codeLenInByte = 4
; TotalNumSgprs: 0
; NumVgprs: 0
; ScratchSize: 0
; MemoryBound: 0
; FloatMode: 240
; IeeeMode: 1
; LDSByteSize: 0 bytes/workgroup (compile time only)
; SGPRBlocks: 0
; VGPRBlocks: 0
; NumSGPRsForWavesPerEU: 1
; NumVGPRsForWavesPerEU: 1
; Occupancy: 16
; WaveLimiterHint : 0
; COMPUTE_PGM_RSRC2:SCRATCH_EN: 0
; COMPUTE_PGM_RSRC2:USER_SGPR: 6
; COMPUTE_PGM_RSRC2:TRAP_HANDLER: 0
; COMPUTE_PGM_RSRC2:TGID_X_EN: 1
; COMPUTE_PGM_RSRC2:TGID_Y_EN: 0
; COMPUTE_PGM_RSRC2:TGID_Z_EN: 0
; COMPUTE_PGM_RSRC2:TIDIG_COMP_CNT: 0
	.section	.text._ZN7rocprim17ROCPRIM_400000_NS6detail17trampoline_kernelINS0_14default_configENS1_27scan_by_key_config_selectorIxxEEZZNS1_16scan_by_key_implILNS1_25lookback_scan_determinismE0ELb1ES3_N6thrust23THRUST_200600_302600_NS6detail15normal_iteratorINS9_10device_ptrIxEEEESE_SE_xNS9_4plusIvEENS9_8equal_toIvEExEE10hipError_tPvRmT2_T3_T4_T5_mT6_T7_P12ihipStream_tbENKUlT_T0_E_clISt17integral_constantIbLb1EESY_IbLb0EEEEDaSU_SV_EUlSU_E_NS1_11comp_targetILNS1_3genE0ELNS1_11target_archE4294967295ELNS1_3gpuE0ELNS1_3repE0EEENS1_30default_config_static_selectorELNS0_4arch9wavefront6targetE0EEEvT1_,"axG",@progbits,_ZN7rocprim17ROCPRIM_400000_NS6detail17trampoline_kernelINS0_14default_configENS1_27scan_by_key_config_selectorIxxEEZZNS1_16scan_by_key_implILNS1_25lookback_scan_determinismE0ELb1ES3_N6thrust23THRUST_200600_302600_NS6detail15normal_iteratorINS9_10device_ptrIxEEEESE_SE_xNS9_4plusIvEENS9_8equal_toIvEExEE10hipError_tPvRmT2_T3_T4_T5_mT6_T7_P12ihipStream_tbENKUlT_T0_E_clISt17integral_constantIbLb1EESY_IbLb0EEEEDaSU_SV_EUlSU_E_NS1_11comp_targetILNS1_3genE0ELNS1_11target_archE4294967295ELNS1_3gpuE0ELNS1_3repE0EEENS1_30default_config_static_selectorELNS0_4arch9wavefront6targetE0EEEvT1_,comdat
	.protected	_ZN7rocprim17ROCPRIM_400000_NS6detail17trampoline_kernelINS0_14default_configENS1_27scan_by_key_config_selectorIxxEEZZNS1_16scan_by_key_implILNS1_25lookback_scan_determinismE0ELb1ES3_N6thrust23THRUST_200600_302600_NS6detail15normal_iteratorINS9_10device_ptrIxEEEESE_SE_xNS9_4plusIvEENS9_8equal_toIvEExEE10hipError_tPvRmT2_T3_T4_T5_mT6_T7_P12ihipStream_tbENKUlT_T0_E_clISt17integral_constantIbLb1EESY_IbLb0EEEEDaSU_SV_EUlSU_E_NS1_11comp_targetILNS1_3genE0ELNS1_11target_archE4294967295ELNS1_3gpuE0ELNS1_3repE0EEENS1_30default_config_static_selectorELNS0_4arch9wavefront6targetE0EEEvT1_ ; -- Begin function _ZN7rocprim17ROCPRIM_400000_NS6detail17trampoline_kernelINS0_14default_configENS1_27scan_by_key_config_selectorIxxEEZZNS1_16scan_by_key_implILNS1_25lookback_scan_determinismE0ELb1ES3_N6thrust23THRUST_200600_302600_NS6detail15normal_iteratorINS9_10device_ptrIxEEEESE_SE_xNS9_4plusIvEENS9_8equal_toIvEExEE10hipError_tPvRmT2_T3_T4_T5_mT6_T7_P12ihipStream_tbENKUlT_T0_E_clISt17integral_constantIbLb1EESY_IbLb0EEEEDaSU_SV_EUlSU_E_NS1_11comp_targetILNS1_3genE0ELNS1_11target_archE4294967295ELNS1_3gpuE0ELNS1_3repE0EEENS1_30default_config_static_selectorELNS0_4arch9wavefront6targetE0EEEvT1_
	.globl	_ZN7rocprim17ROCPRIM_400000_NS6detail17trampoline_kernelINS0_14default_configENS1_27scan_by_key_config_selectorIxxEEZZNS1_16scan_by_key_implILNS1_25lookback_scan_determinismE0ELb1ES3_N6thrust23THRUST_200600_302600_NS6detail15normal_iteratorINS9_10device_ptrIxEEEESE_SE_xNS9_4plusIvEENS9_8equal_toIvEExEE10hipError_tPvRmT2_T3_T4_T5_mT6_T7_P12ihipStream_tbENKUlT_T0_E_clISt17integral_constantIbLb1EESY_IbLb0EEEEDaSU_SV_EUlSU_E_NS1_11comp_targetILNS1_3genE0ELNS1_11target_archE4294967295ELNS1_3gpuE0ELNS1_3repE0EEENS1_30default_config_static_selectorELNS0_4arch9wavefront6targetE0EEEvT1_
	.p2align	8
	.type	_ZN7rocprim17ROCPRIM_400000_NS6detail17trampoline_kernelINS0_14default_configENS1_27scan_by_key_config_selectorIxxEEZZNS1_16scan_by_key_implILNS1_25lookback_scan_determinismE0ELb1ES3_N6thrust23THRUST_200600_302600_NS6detail15normal_iteratorINS9_10device_ptrIxEEEESE_SE_xNS9_4plusIvEENS9_8equal_toIvEExEE10hipError_tPvRmT2_T3_T4_T5_mT6_T7_P12ihipStream_tbENKUlT_T0_E_clISt17integral_constantIbLb1EESY_IbLb0EEEEDaSU_SV_EUlSU_E_NS1_11comp_targetILNS1_3genE0ELNS1_11target_archE4294967295ELNS1_3gpuE0ELNS1_3repE0EEENS1_30default_config_static_selectorELNS0_4arch9wavefront6targetE0EEEvT1_,@function
_ZN7rocprim17ROCPRIM_400000_NS6detail17trampoline_kernelINS0_14default_configENS1_27scan_by_key_config_selectorIxxEEZZNS1_16scan_by_key_implILNS1_25lookback_scan_determinismE0ELb1ES3_N6thrust23THRUST_200600_302600_NS6detail15normal_iteratorINS9_10device_ptrIxEEEESE_SE_xNS9_4plusIvEENS9_8equal_toIvEExEE10hipError_tPvRmT2_T3_T4_T5_mT6_T7_P12ihipStream_tbENKUlT_T0_E_clISt17integral_constantIbLb1EESY_IbLb0EEEEDaSU_SV_EUlSU_E_NS1_11comp_targetILNS1_3genE0ELNS1_11target_archE4294967295ELNS1_3gpuE0ELNS1_3repE0EEENS1_30default_config_static_selectorELNS0_4arch9wavefront6targetE0EEEvT1_: ; @_ZN7rocprim17ROCPRIM_400000_NS6detail17trampoline_kernelINS0_14default_configENS1_27scan_by_key_config_selectorIxxEEZZNS1_16scan_by_key_implILNS1_25lookback_scan_determinismE0ELb1ES3_N6thrust23THRUST_200600_302600_NS6detail15normal_iteratorINS9_10device_ptrIxEEEESE_SE_xNS9_4plusIvEENS9_8equal_toIvEExEE10hipError_tPvRmT2_T3_T4_T5_mT6_T7_P12ihipStream_tbENKUlT_T0_E_clISt17integral_constantIbLb1EESY_IbLb0EEEEDaSU_SV_EUlSU_E_NS1_11comp_targetILNS1_3genE0ELNS1_11target_archE4294967295ELNS1_3gpuE0ELNS1_3repE0EEENS1_30default_config_static_selectorELNS0_4arch9wavefront6targetE0EEEvT1_
; %bb.0:
	.section	.rodata,"a",@progbits
	.p2align	6, 0x0
	.amdhsa_kernel _ZN7rocprim17ROCPRIM_400000_NS6detail17trampoline_kernelINS0_14default_configENS1_27scan_by_key_config_selectorIxxEEZZNS1_16scan_by_key_implILNS1_25lookback_scan_determinismE0ELb1ES3_N6thrust23THRUST_200600_302600_NS6detail15normal_iteratorINS9_10device_ptrIxEEEESE_SE_xNS9_4plusIvEENS9_8equal_toIvEExEE10hipError_tPvRmT2_T3_T4_T5_mT6_T7_P12ihipStream_tbENKUlT_T0_E_clISt17integral_constantIbLb1EESY_IbLb0EEEEDaSU_SV_EUlSU_E_NS1_11comp_targetILNS1_3genE0ELNS1_11target_archE4294967295ELNS1_3gpuE0ELNS1_3repE0EEENS1_30default_config_static_selectorELNS0_4arch9wavefront6targetE0EEEvT1_
		.amdhsa_group_segment_fixed_size 0
		.amdhsa_private_segment_fixed_size 0
		.amdhsa_kernarg_size 136
		.amdhsa_user_sgpr_count 6
		.amdhsa_user_sgpr_private_segment_buffer 1
		.amdhsa_user_sgpr_dispatch_ptr 0
		.amdhsa_user_sgpr_queue_ptr 0
		.amdhsa_user_sgpr_kernarg_segment_ptr 1
		.amdhsa_user_sgpr_dispatch_id 0
		.amdhsa_user_sgpr_flat_scratch_init 0
		.amdhsa_user_sgpr_private_segment_size 0
		.amdhsa_wavefront_size32 1
		.amdhsa_uses_dynamic_stack 0
		.amdhsa_system_sgpr_private_segment_wavefront_offset 0
		.amdhsa_system_sgpr_workgroup_id_x 1
		.amdhsa_system_sgpr_workgroup_id_y 0
		.amdhsa_system_sgpr_workgroup_id_z 0
		.amdhsa_system_sgpr_workgroup_info 0
		.amdhsa_system_vgpr_workitem_id 0
		.amdhsa_next_free_vgpr 1
		.amdhsa_next_free_sgpr 1
		.amdhsa_reserve_vcc 0
		.amdhsa_reserve_flat_scratch 0
		.amdhsa_float_round_mode_32 0
		.amdhsa_float_round_mode_16_64 0
		.amdhsa_float_denorm_mode_32 3
		.amdhsa_float_denorm_mode_16_64 3
		.amdhsa_dx10_clamp 1
		.amdhsa_ieee_mode 1
		.amdhsa_fp16_overflow 0
		.amdhsa_workgroup_processor_mode 1
		.amdhsa_memory_ordered 1
		.amdhsa_forward_progress 1
		.amdhsa_shared_vgpr_count 0
		.amdhsa_exception_fp_ieee_invalid_op 0
		.amdhsa_exception_fp_denorm_src 0
		.amdhsa_exception_fp_ieee_div_zero 0
		.amdhsa_exception_fp_ieee_overflow 0
		.amdhsa_exception_fp_ieee_underflow 0
		.amdhsa_exception_fp_ieee_inexact 0
		.amdhsa_exception_int_div_zero 0
	.end_amdhsa_kernel
	.section	.text._ZN7rocprim17ROCPRIM_400000_NS6detail17trampoline_kernelINS0_14default_configENS1_27scan_by_key_config_selectorIxxEEZZNS1_16scan_by_key_implILNS1_25lookback_scan_determinismE0ELb1ES3_N6thrust23THRUST_200600_302600_NS6detail15normal_iteratorINS9_10device_ptrIxEEEESE_SE_xNS9_4plusIvEENS9_8equal_toIvEExEE10hipError_tPvRmT2_T3_T4_T5_mT6_T7_P12ihipStream_tbENKUlT_T0_E_clISt17integral_constantIbLb1EESY_IbLb0EEEEDaSU_SV_EUlSU_E_NS1_11comp_targetILNS1_3genE0ELNS1_11target_archE4294967295ELNS1_3gpuE0ELNS1_3repE0EEENS1_30default_config_static_selectorELNS0_4arch9wavefront6targetE0EEEvT1_,"axG",@progbits,_ZN7rocprim17ROCPRIM_400000_NS6detail17trampoline_kernelINS0_14default_configENS1_27scan_by_key_config_selectorIxxEEZZNS1_16scan_by_key_implILNS1_25lookback_scan_determinismE0ELb1ES3_N6thrust23THRUST_200600_302600_NS6detail15normal_iteratorINS9_10device_ptrIxEEEESE_SE_xNS9_4plusIvEENS9_8equal_toIvEExEE10hipError_tPvRmT2_T3_T4_T5_mT6_T7_P12ihipStream_tbENKUlT_T0_E_clISt17integral_constantIbLb1EESY_IbLb0EEEEDaSU_SV_EUlSU_E_NS1_11comp_targetILNS1_3genE0ELNS1_11target_archE4294967295ELNS1_3gpuE0ELNS1_3repE0EEENS1_30default_config_static_selectorELNS0_4arch9wavefront6targetE0EEEvT1_,comdat
.Lfunc_end371:
	.size	_ZN7rocprim17ROCPRIM_400000_NS6detail17trampoline_kernelINS0_14default_configENS1_27scan_by_key_config_selectorIxxEEZZNS1_16scan_by_key_implILNS1_25lookback_scan_determinismE0ELb1ES3_N6thrust23THRUST_200600_302600_NS6detail15normal_iteratorINS9_10device_ptrIxEEEESE_SE_xNS9_4plusIvEENS9_8equal_toIvEExEE10hipError_tPvRmT2_T3_T4_T5_mT6_T7_P12ihipStream_tbENKUlT_T0_E_clISt17integral_constantIbLb1EESY_IbLb0EEEEDaSU_SV_EUlSU_E_NS1_11comp_targetILNS1_3genE0ELNS1_11target_archE4294967295ELNS1_3gpuE0ELNS1_3repE0EEENS1_30default_config_static_selectorELNS0_4arch9wavefront6targetE0EEEvT1_, .Lfunc_end371-_ZN7rocprim17ROCPRIM_400000_NS6detail17trampoline_kernelINS0_14default_configENS1_27scan_by_key_config_selectorIxxEEZZNS1_16scan_by_key_implILNS1_25lookback_scan_determinismE0ELb1ES3_N6thrust23THRUST_200600_302600_NS6detail15normal_iteratorINS9_10device_ptrIxEEEESE_SE_xNS9_4plusIvEENS9_8equal_toIvEExEE10hipError_tPvRmT2_T3_T4_T5_mT6_T7_P12ihipStream_tbENKUlT_T0_E_clISt17integral_constantIbLb1EESY_IbLb0EEEEDaSU_SV_EUlSU_E_NS1_11comp_targetILNS1_3genE0ELNS1_11target_archE4294967295ELNS1_3gpuE0ELNS1_3repE0EEENS1_30default_config_static_selectorELNS0_4arch9wavefront6targetE0EEEvT1_
                                        ; -- End function
	.set _ZN7rocprim17ROCPRIM_400000_NS6detail17trampoline_kernelINS0_14default_configENS1_27scan_by_key_config_selectorIxxEEZZNS1_16scan_by_key_implILNS1_25lookback_scan_determinismE0ELb1ES3_N6thrust23THRUST_200600_302600_NS6detail15normal_iteratorINS9_10device_ptrIxEEEESE_SE_xNS9_4plusIvEENS9_8equal_toIvEExEE10hipError_tPvRmT2_T3_T4_T5_mT6_T7_P12ihipStream_tbENKUlT_T0_E_clISt17integral_constantIbLb1EESY_IbLb0EEEEDaSU_SV_EUlSU_E_NS1_11comp_targetILNS1_3genE0ELNS1_11target_archE4294967295ELNS1_3gpuE0ELNS1_3repE0EEENS1_30default_config_static_selectorELNS0_4arch9wavefront6targetE0EEEvT1_.num_vgpr, 0
	.set _ZN7rocprim17ROCPRIM_400000_NS6detail17trampoline_kernelINS0_14default_configENS1_27scan_by_key_config_selectorIxxEEZZNS1_16scan_by_key_implILNS1_25lookback_scan_determinismE0ELb1ES3_N6thrust23THRUST_200600_302600_NS6detail15normal_iteratorINS9_10device_ptrIxEEEESE_SE_xNS9_4plusIvEENS9_8equal_toIvEExEE10hipError_tPvRmT2_T3_T4_T5_mT6_T7_P12ihipStream_tbENKUlT_T0_E_clISt17integral_constantIbLb1EESY_IbLb0EEEEDaSU_SV_EUlSU_E_NS1_11comp_targetILNS1_3genE0ELNS1_11target_archE4294967295ELNS1_3gpuE0ELNS1_3repE0EEENS1_30default_config_static_selectorELNS0_4arch9wavefront6targetE0EEEvT1_.num_agpr, 0
	.set _ZN7rocprim17ROCPRIM_400000_NS6detail17trampoline_kernelINS0_14default_configENS1_27scan_by_key_config_selectorIxxEEZZNS1_16scan_by_key_implILNS1_25lookback_scan_determinismE0ELb1ES3_N6thrust23THRUST_200600_302600_NS6detail15normal_iteratorINS9_10device_ptrIxEEEESE_SE_xNS9_4plusIvEENS9_8equal_toIvEExEE10hipError_tPvRmT2_T3_T4_T5_mT6_T7_P12ihipStream_tbENKUlT_T0_E_clISt17integral_constantIbLb1EESY_IbLb0EEEEDaSU_SV_EUlSU_E_NS1_11comp_targetILNS1_3genE0ELNS1_11target_archE4294967295ELNS1_3gpuE0ELNS1_3repE0EEENS1_30default_config_static_selectorELNS0_4arch9wavefront6targetE0EEEvT1_.numbered_sgpr, 0
	.set _ZN7rocprim17ROCPRIM_400000_NS6detail17trampoline_kernelINS0_14default_configENS1_27scan_by_key_config_selectorIxxEEZZNS1_16scan_by_key_implILNS1_25lookback_scan_determinismE0ELb1ES3_N6thrust23THRUST_200600_302600_NS6detail15normal_iteratorINS9_10device_ptrIxEEEESE_SE_xNS9_4plusIvEENS9_8equal_toIvEExEE10hipError_tPvRmT2_T3_T4_T5_mT6_T7_P12ihipStream_tbENKUlT_T0_E_clISt17integral_constantIbLb1EESY_IbLb0EEEEDaSU_SV_EUlSU_E_NS1_11comp_targetILNS1_3genE0ELNS1_11target_archE4294967295ELNS1_3gpuE0ELNS1_3repE0EEENS1_30default_config_static_selectorELNS0_4arch9wavefront6targetE0EEEvT1_.num_named_barrier, 0
	.set _ZN7rocprim17ROCPRIM_400000_NS6detail17trampoline_kernelINS0_14default_configENS1_27scan_by_key_config_selectorIxxEEZZNS1_16scan_by_key_implILNS1_25lookback_scan_determinismE0ELb1ES3_N6thrust23THRUST_200600_302600_NS6detail15normal_iteratorINS9_10device_ptrIxEEEESE_SE_xNS9_4plusIvEENS9_8equal_toIvEExEE10hipError_tPvRmT2_T3_T4_T5_mT6_T7_P12ihipStream_tbENKUlT_T0_E_clISt17integral_constantIbLb1EESY_IbLb0EEEEDaSU_SV_EUlSU_E_NS1_11comp_targetILNS1_3genE0ELNS1_11target_archE4294967295ELNS1_3gpuE0ELNS1_3repE0EEENS1_30default_config_static_selectorELNS0_4arch9wavefront6targetE0EEEvT1_.private_seg_size, 0
	.set _ZN7rocprim17ROCPRIM_400000_NS6detail17trampoline_kernelINS0_14default_configENS1_27scan_by_key_config_selectorIxxEEZZNS1_16scan_by_key_implILNS1_25lookback_scan_determinismE0ELb1ES3_N6thrust23THRUST_200600_302600_NS6detail15normal_iteratorINS9_10device_ptrIxEEEESE_SE_xNS9_4plusIvEENS9_8equal_toIvEExEE10hipError_tPvRmT2_T3_T4_T5_mT6_T7_P12ihipStream_tbENKUlT_T0_E_clISt17integral_constantIbLb1EESY_IbLb0EEEEDaSU_SV_EUlSU_E_NS1_11comp_targetILNS1_3genE0ELNS1_11target_archE4294967295ELNS1_3gpuE0ELNS1_3repE0EEENS1_30default_config_static_selectorELNS0_4arch9wavefront6targetE0EEEvT1_.uses_vcc, 0
	.set _ZN7rocprim17ROCPRIM_400000_NS6detail17trampoline_kernelINS0_14default_configENS1_27scan_by_key_config_selectorIxxEEZZNS1_16scan_by_key_implILNS1_25lookback_scan_determinismE0ELb1ES3_N6thrust23THRUST_200600_302600_NS6detail15normal_iteratorINS9_10device_ptrIxEEEESE_SE_xNS9_4plusIvEENS9_8equal_toIvEExEE10hipError_tPvRmT2_T3_T4_T5_mT6_T7_P12ihipStream_tbENKUlT_T0_E_clISt17integral_constantIbLb1EESY_IbLb0EEEEDaSU_SV_EUlSU_E_NS1_11comp_targetILNS1_3genE0ELNS1_11target_archE4294967295ELNS1_3gpuE0ELNS1_3repE0EEENS1_30default_config_static_selectorELNS0_4arch9wavefront6targetE0EEEvT1_.uses_flat_scratch, 0
	.set _ZN7rocprim17ROCPRIM_400000_NS6detail17trampoline_kernelINS0_14default_configENS1_27scan_by_key_config_selectorIxxEEZZNS1_16scan_by_key_implILNS1_25lookback_scan_determinismE0ELb1ES3_N6thrust23THRUST_200600_302600_NS6detail15normal_iteratorINS9_10device_ptrIxEEEESE_SE_xNS9_4plusIvEENS9_8equal_toIvEExEE10hipError_tPvRmT2_T3_T4_T5_mT6_T7_P12ihipStream_tbENKUlT_T0_E_clISt17integral_constantIbLb1EESY_IbLb0EEEEDaSU_SV_EUlSU_E_NS1_11comp_targetILNS1_3genE0ELNS1_11target_archE4294967295ELNS1_3gpuE0ELNS1_3repE0EEENS1_30default_config_static_selectorELNS0_4arch9wavefront6targetE0EEEvT1_.has_dyn_sized_stack, 0
	.set _ZN7rocprim17ROCPRIM_400000_NS6detail17trampoline_kernelINS0_14default_configENS1_27scan_by_key_config_selectorIxxEEZZNS1_16scan_by_key_implILNS1_25lookback_scan_determinismE0ELb1ES3_N6thrust23THRUST_200600_302600_NS6detail15normal_iteratorINS9_10device_ptrIxEEEESE_SE_xNS9_4plusIvEENS9_8equal_toIvEExEE10hipError_tPvRmT2_T3_T4_T5_mT6_T7_P12ihipStream_tbENKUlT_T0_E_clISt17integral_constantIbLb1EESY_IbLb0EEEEDaSU_SV_EUlSU_E_NS1_11comp_targetILNS1_3genE0ELNS1_11target_archE4294967295ELNS1_3gpuE0ELNS1_3repE0EEENS1_30default_config_static_selectorELNS0_4arch9wavefront6targetE0EEEvT1_.has_recursion, 0
	.set _ZN7rocprim17ROCPRIM_400000_NS6detail17trampoline_kernelINS0_14default_configENS1_27scan_by_key_config_selectorIxxEEZZNS1_16scan_by_key_implILNS1_25lookback_scan_determinismE0ELb1ES3_N6thrust23THRUST_200600_302600_NS6detail15normal_iteratorINS9_10device_ptrIxEEEESE_SE_xNS9_4plusIvEENS9_8equal_toIvEExEE10hipError_tPvRmT2_T3_T4_T5_mT6_T7_P12ihipStream_tbENKUlT_T0_E_clISt17integral_constantIbLb1EESY_IbLb0EEEEDaSU_SV_EUlSU_E_NS1_11comp_targetILNS1_3genE0ELNS1_11target_archE4294967295ELNS1_3gpuE0ELNS1_3repE0EEENS1_30default_config_static_selectorELNS0_4arch9wavefront6targetE0EEEvT1_.has_indirect_call, 0
	.section	.AMDGPU.csdata,"",@progbits
; Kernel info:
; codeLenInByte = 0
; TotalNumSgprs: 0
; NumVgprs: 0
; ScratchSize: 0
; MemoryBound: 0
; FloatMode: 240
; IeeeMode: 1
; LDSByteSize: 0 bytes/workgroup (compile time only)
; SGPRBlocks: 0
; VGPRBlocks: 0
; NumSGPRsForWavesPerEU: 1
; NumVGPRsForWavesPerEU: 1
; Occupancy: 16
; WaveLimiterHint : 0
; COMPUTE_PGM_RSRC2:SCRATCH_EN: 0
; COMPUTE_PGM_RSRC2:USER_SGPR: 6
; COMPUTE_PGM_RSRC2:TRAP_HANDLER: 0
; COMPUTE_PGM_RSRC2:TGID_X_EN: 1
; COMPUTE_PGM_RSRC2:TGID_Y_EN: 0
; COMPUTE_PGM_RSRC2:TGID_Z_EN: 0
; COMPUTE_PGM_RSRC2:TIDIG_COMP_CNT: 0
	.section	.text._ZN7rocprim17ROCPRIM_400000_NS6detail17trampoline_kernelINS0_14default_configENS1_27scan_by_key_config_selectorIxxEEZZNS1_16scan_by_key_implILNS1_25lookback_scan_determinismE0ELb1ES3_N6thrust23THRUST_200600_302600_NS6detail15normal_iteratorINS9_10device_ptrIxEEEESE_SE_xNS9_4plusIvEENS9_8equal_toIvEExEE10hipError_tPvRmT2_T3_T4_T5_mT6_T7_P12ihipStream_tbENKUlT_T0_E_clISt17integral_constantIbLb1EESY_IbLb0EEEEDaSU_SV_EUlSU_E_NS1_11comp_targetILNS1_3genE10ELNS1_11target_archE1201ELNS1_3gpuE5ELNS1_3repE0EEENS1_30default_config_static_selectorELNS0_4arch9wavefront6targetE0EEEvT1_,"axG",@progbits,_ZN7rocprim17ROCPRIM_400000_NS6detail17trampoline_kernelINS0_14default_configENS1_27scan_by_key_config_selectorIxxEEZZNS1_16scan_by_key_implILNS1_25lookback_scan_determinismE0ELb1ES3_N6thrust23THRUST_200600_302600_NS6detail15normal_iteratorINS9_10device_ptrIxEEEESE_SE_xNS9_4plusIvEENS9_8equal_toIvEExEE10hipError_tPvRmT2_T3_T4_T5_mT6_T7_P12ihipStream_tbENKUlT_T0_E_clISt17integral_constantIbLb1EESY_IbLb0EEEEDaSU_SV_EUlSU_E_NS1_11comp_targetILNS1_3genE10ELNS1_11target_archE1201ELNS1_3gpuE5ELNS1_3repE0EEENS1_30default_config_static_selectorELNS0_4arch9wavefront6targetE0EEEvT1_,comdat
	.protected	_ZN7rocprim17ROCPRIM_400000_NS6detail17trampoline_kernelINS0_14default_configENS1_27scan_by_key_config_selectorIxxEEZZNS1_16scan_by_key_implILNS1_25lookback_scan_determinismE0ELb1ES3_N6thrust23THRUST_200600_302600_NS6detail15normal_iteratorINS9_10device_ptrIxEEEESE_SE_xNS9_4plusIvEENS9_8equal_toIvEExEE10hipError_tPvRmT2_T3_T4_T5_mT6_T7_P12ihipStream_tbENKUlT_T0_E_clISt17integral_constantIbLb1EESY_IbLb0EEEEDaSU_SV_EUlSU_E_NS1_11comp_targetILNS1_3genE10ELNS1_11target_archE1201ELNS1_3gpuE5ELNS1_3repE0EEENS1_30default_config_static_selectorELNS0_4arch9wavefront6targetE0EEEvT1_ ; -- Begin function _ZN7rocprim17ROCPRIM_400000_NS6detail17trampoline_kernelINS0_14default_configENS1_27scan_by_key_config_selectorIxxEEZZNS1_16scan_by_key_implILNS1_25lookback_scan_determinismE0ELb1ES3_N6thrust23THRUST_200600_302600_NS6detail15normal_iteratorINS9_10device_ptrIxEEEESE_SE_xNS9_4plusIvEENS9_8equal_toIvEExEE10hipError_tPvRmT2_T3_T4_T5_mT6_T7_P12ihipStream_tbENKUlT_T0_E_clISt17integral_constantIbLb1EESY_IbLb0EEEEDaSU_SV_EUlSU_E_NS1_11comp_targetILNS1_3genE10ELNS1_11target_archE1201ELNS1_3gpuE5ELNS1_3repE0EEENS1_30default_config_static_selectorELNS0_4arch9wavefront6targetE0EEEvT1_
	.globl	_ZN7rocprim17ROCPRIM_400000_NS6detail17trampoline_kernelINS0_14default_configENS1_27scan_by_key_config_selectorIxxEEZZNS1_16scan_by_key_implILNS1_25lookback_scan_determinismE0ELb1ES3_N6thrust23THRUST_200600_302600_NS6detail15normal_iteratorINS9_10device_ptrIxEEEESE_SE_xNS9_4plusIvEENS9_8equal_toIvEExEE10hipError_tPvRmT2_T3_T4_T5_mT6_T7_P12ihipStream_tbENKUlT_T0_E_clISt17integral_constantIbLb1EESY_IbLb0EEEEDaSU_SV_EUlSU_E_NS1_11comp_targetILNS1_3genE10ELNS1_11target_archE1201ELNS1_3gpuE5ELNS1_3repE0EEENS1_30default_config_static_selectorELNS0_4arch9wavefront6targetE0EEEvT1_
	.p2align	8
	.type	_ZN7rocprim17ROCPRIM_400000_NS6detail17trampoline_kernelINS0_14default_configENS1_27scan_by_key_config_selectorIxxEEZZNS1_16scan_by_key_implILNS1_25lookback_scan_determinismE0ELb1ES3_N6thrust23THRUST_200600_302600_NS6detail15normal_iteratorINS9_10device_ptrIxEEEESE_SE_xNS9_4plusIvEENS9_8equal_toIvEExEE10hipError_tPvRmT2_T3_T4_T5_mT6_T7_P12ihipStream_tbENKUlT_T0_E_clISt17integral_constantIbLb1EESY_IbLb0EEEEDaSU_SV_EUlSU_E_NS1_11comp_targetILNS1_3genE10ELNS1_11target_archE1201ELNS1_3gpuE5ELNS1_3repE0EEENS1_30default_config_static_selectorELNS0_4arch9wavefront6targetE0EEEvT1_,@function
_ZN7rocprim17ROCPRIM_400000_NS6detail17trampoline_kernelINS0_14default_configENS1_27scan_by_key_config_selectorIxxEEZZNS1_16scan_by_key_implILNS1_25lookback_scan_determinismE0ELb1ES3_N6thrust23THRUST_200600_302600_NS6detail15normal_iteratorINS9_10device_ptrIxEEEESE_SE_xNS9_4plusIvEENS9_8equal_toIvEExEE10hipError_tPvRmT2_T3_T4_T5_mT6_T7_P12ihipStream_tbENKUlT_T0_E_clISt17integral_constantIbLb1EESY_IbLb0EEEEDaSU_SV_EUlSU_E_NS1_11comp_targetILNS1_3genE10ELNS1_11target_archE1201ELNS1_3gpuE5ELNS1_3repE0EEENS1_30default_config_static_selectorELNS0_4arch9wavefront6targetE0EEEvT1_: ; @_ZN7rocprim17ROCPRIM_400000_NS6detail17trampoline_kernelINS0_14default_configENS1_27scan_by_key_config_selectorIxxEEZZNS1_16scan_by_key_implILNS1_25lookback_scan_determinismE0ELb1ES3_N6thrust23THRUST_200600_302600_NS6detail15normal_iteratorINS9_10device_ptrIxEEEESE_SE_xNS9_4plusIvEENS9_8equal_toIvEExEE10hipError_tPvRmT2_T3_T4_T5_mT6_T7_P12ihipStream_tbENKUlT_T0_E_clISt17integral_constantIbLb1EESY_IbLb0EEEEDaSU_SV_EUlSU_E_NS1_11comp_targetILNS1_3genE10ELNS1_11target_archE1201ELNS1_3gpuE5ELNS1_3repE0EEENS1_30default_config_static_selectorELNS0_4arch9wavefront6targetE0EEEvT1_
; %bb.0:
	.section	.rodata,"a",@progbits
	.p2align	6, 0x0
	.amdhsa_kernel _ZN7rocprim17ROCPRIM_400000_NS6detail17trampoline_kernelINS0_14default_configENS1_27scan_by_key_config_selectorIxxEEZZNS1_16scan_by_key_implILNS1_25lookback_scan_determinismE0ELb1ES3_N6thrust23THRUST_200600_302600_NS6detail15normal_iteratorINS9_10device_ptrIxEEEESE_SE_xNS9_4plusIvEENS9_8equal_toIvEExEE10hipError_tPvRmT2_T3_T4_T5_mT6_T7_P12ihipStream_tbENKUlT_T0_E_clISt17integral_constantIbLb1EESY_IbLb0EEEEDaSU_SV_EUlSU_E_NS1_11comp_targetILNS1_3genE10ELNS1_11target_archE1201ELNS1_3gpuE5ELNS1_3repE0EEENS1_30default_config_static_selectorELNS0_4arch9wavefront6targetE0EEEvT1_
		.amdhsa_group_segment_fixed_size 0
		.amdhsa_private_segment_fixed_size 0
		.amdhsa_kernarg_size 136
		.amdhsa_user_sgpr_count 6
		.amdhsa_user_sgpr_private_segment_buffer 1
		.amdhsa_user_sgpr_dispatch_ptr 0
		.amdhsa_user_sgpr_queue_ptr 0
		.amdhsa_user_sgpr_kernarg_segment_ptr 1
		.amdhsa_user_sgpr_dispatch_id 0
		.amdhsa_user_sgpr_flat_scratch_init 0
		.amdhsa_user_sgpr_private_segment_size 0
		.amdhsa_wavefront_size32 1
		.amdhsa_uses_dynamic_stack 0
		.amdhsa_system_sgpr_private_segment_wavefront_offset 0
		.amdhsa_system_sgpr_workgroup_id_x 1
		.amdhsa_system_sgpr_workgroup_id_y 0
		.amdhsa_system_sgpr_workgroup_id_z 0
		.amdhsa_system_sgpr_workgroup_info 0
		.amdhsa_system_vgpr_workitem_id 0
		.amdhsa_next_free_vgpr 1
		.amdhsa_next_free_sgpr 1
		.amdhsa_reserve_vcc 0
		.amdhsa_reserve_flat_scratch 0
		.amdhsa_float_round_mode_32 0
		.amdhsa_float_round_mode_16_64 0
		.amdhsa_float_denorm_mode_32 3
		.amdhsa_float_denorm_mode_16_64 3
		.amdhsa_dx10_clamp 1
		.amdhsa_ieee_mode 1
		.amdhsa_fp16_overflow 0
		.amdhsa_workgroup_processor_mode 1
		.amdhsa_memory_ordered 1
		.amdhsa_forward_progress 1
		.amdhsa_shared_vgpr_count 0
		.amdhsa_exception_fp_ieee_invalid_op 0
		.amdhsa_exception_fp_denorm_src 0
		.amdhsa_exception_fp_ieee_div_zero 0
		.amdhsa_exception_fp_ieee_overflow 0
		.amdhsa_exception_fp_ieee_underflow 0
		.amdhsa_exception_fp_ieee_inexact 0
		.amdhsa_exception_int_div_zero 0
	.end_amdhsa_kernel
	.section	.text._ZN7rocprim17ROCPRIM_400000_NS6detail17trampoline_kernelINS0_14default_configENS1_27scan_by_key_config_selectorIxxEEZZNS1_16scan_by_key_implILNS1_25lookback_scan_determinismE0ELb1ES3_N6thrust23THRUST_200600_302600_NS6detail15normal_iteratorINS9_10device_ptrIxEEEESE_SE_xNS9_4plusIvEENS9_8equal_toIvEExEE10hipError_tPvRmT2_T3_T4_T5_mT6_T7_P12ihipStream_tbENKUlT_T0_E_clISt17integral_constantIbLb1EESY_IbLb0EEEEDaSU_SV_EUlSU_E_NS1_11comp_targetILNS1_3genE10ELNS1_11target_archE1201ELNS1_3gpuE5ELNS1_3repE0EEENS1_30default_config_static_selectorELNS0_4arch9wavefront6targetE0EEEvT1_,"axG",@progbits,_ZN7rocprim17ROCPRIM_400000_NS6detail17trampoline_kernelINS0_14default_configENS1_27scan_by_key_config_selectorIxxEEZZNS1_16scan_by_key_implILNS1_25lookback_scan_determinismE0ELb1ES3_N6thrust23THRUST_200600_302600_NS6detail15normal_iteratorINS9_10device_ptrIxEEEESE_SE_xNS9_4plusIvEENS9_8equal_toIvEExEE10hipError_tPvRmT2_T3_T4_T5_mT6_T7_P12ihipStream_tbENKUlT_T0_E_clISt17integral_constantIbLb1EESY_IbLb0EEEEDaSU_SV_EUlSU_E_NS1_11comp_targetILNS1_3genE10ELNS1_11target_archE1201ELNS1_3gpuE5ELNS1_3repE0EEENS1_30default_config_static_selectorELNS0_4arch9wavefront6targetE0EEEvT1_,comdat
.Lfunc_end372:
	.size	_ZN7rocprim17ROCPRIM_400000_NS6detail17trampoline_kernelINS0_14default_configENS1_27scan_by_key_config_selectorIxxEEZZNS1_16scan_by_key_implILNS1_25lookback_scan_determinismE0ELb1ES3_N6thrust23THRUST_200600_302600_NS6detail15normal_iteratorINS9_10device_ptrIxEEEESE_SE_xNS9_4plusIvEENS9_8equal_toIvEExEE10hipError_tPvRmT2_T3_T4_T5_mT6_T7_P12ihipStream_tbENKUlT_T0_E_clISt17integral_constantIbLb1EESY_IbLb0EEEEDaSU_SV_EUlSU_E_NS1_11comp_targetILNS1_3genE10ELNS1_11target_archE1201ELNS1_3gpuE5ELNS1_3repE0EEENS1_30default_config_static_selectorELNS0_4arch9wavefront6targetE0EEEvT1_, .Lfunc_end372-_ZN7rocprim17ROCPRIM_400000_NS6detail17trampoline_kernelINS0_14default_configENS1_27scan_by_key_config_selectorIxxEEZZNS1_16scan_by_key_implILNS1_25lookback_scan_determinismE0ELb1ES3_N6thrust23THRUST_200600_302600_NS6detail15normal_iteratorINS9_10device_ptrIxEEEESE_SE_xNS9_4plusIvEENS9_8equal_toIvEExEE10hipError_tPvRmT2_T3_T4_T5_mT6_T7_P12ihipStream_tbENKUlT_T0_E_clISt17integral_constantIbLb1EESY_IbLb0EEEEDaSU_SV_EUlSU_E_NS1_11comp_targetILNS1_3genE10ELNS1_11target_archE1201ELNS1_3gpuE5ELNS1_3repE0EEENS1_30default_config_static_selectorELNS0_4arch9wavefront6targetE0EEEvT1_
                                        ; -- End function
	.set _ZN7rocprim17ROCPRIM_400000_NS6detail17trampoline_kernelINS0_14default_configENS1_27scan_by_key_config_selectorIxxEEZZNS1_16scan_by_key_implILNS1_25lookback_scan_determinismE0ELb1ES3_N6thrust23THRUST_200600_302600_NS6detail15normal_iteratorINS9_10device_ptrIxEEEESE_SE_xNS9_4plusIvEENS9_8equal_toIvEExEE10hipError_tPvRmT2_T3_T4_T5_mT6_T7_P12ihipStream_tbENKUlT_T0_E_clISt17integral_constantIbLb1EESY_IbLb0EEEEDaSU_SV_EUlSU_E_NS1_11comp_targetILNS1_3genE10ELNS1_11target_archE1201ELNS1_3gpuE5ELNS1_3repE0EEENS1_30default_config_static_selectorELNS0_4arch9wavefront6targetE0EEEvT1_.num_vgpr, 0
	.set _ZN7rocprim17ROCPRIM_400000_NS6detail17trampoline_kernelINS0_14default_configENS1_27scan_by_key_config_selectorIxxEEZZNS1_16scan_by_key_implILNS1_25lookback_scan_determinismE0ELb1ES3_N6thrust23THRUST_200600_302600_NS6detail15normal_iteratorINS9_10device_ptrIxEEEESE_SE_xNS9_4plusIvEENS9_8equal_toIvEExEE10hipError_tPvRmT2_T3_T4_T5_mT6_T7_P12ihipStream_tbENKUlT_T0_E_clISt17integral_constantIbLb1EESY_IbLb0EEEEDaSU_SV_EUlSU_E_NS1_11comp_targetILNS1_3genE10ELNS1_11target_archE1201ELNS1_3gpuE5ELNS1_3repE0EEENS1_30default_config_static_selectorELNS0_4arch9wavefront6targetE0EEEvT1_.num_agpr, 0
	.set _ZN7rocprim17ROCPRIM_400000_NS6detail17trampoline_kernelINS0_14default_configENS1_27scan_by_key_config_selectorIxxEEZZNS1_16scan_by_key_implILNS1_25lookback_scan_determinismE0ELb1ES3_N6thrust23THRUST_200600_302600_NS6detail15normal_iteratorINS9_10device_ptrIxEEEESE_SE_xNS9_4plusIvEENS9_8equal_toIvEExEE10hipError_tPvRmT2_T3_T4_T5_mT6_T7_P12ihipStream_tbENKUlT_T0_E_clISt17integral_constantIbLb1EESY_IbLb0EEEEDaSU_SV_EUlSU_E_NS1_11comp_targetILNS1_3genE10ELNS1_11target_archE1201ELNS1_3gpuE5ELNS1_3repE0EEENS1_30default_config_static_selectorELNS0_4arch9wavefront6targetE0EEEvT1_.numbered_sgpr, 0
	.set _ZN7rocprim17ROCPRIM_400000_NS6detail17trampoline_kernelINS0_14default_configENS1_27scan_by_key_config_selectorIxxEEZZNS1_16scan_by_key_implILNS1_25lookback_scan_determinismE0ELb1ES3_N6thrust23THRUST_200600_302600_NS6detail15normal_iteratorINS9_10device_ptrIxEEEESE_SE_xNS9_4plusIvEENS9_8equal_toIvEExEE10hipError_tPvRmT2_T3_T4_T5_mT6_T7_P12ihipStream_tbENKUlT_T0_E_clISt17integral_constantIbLb1EESY_IbLb0EEEEDaSU_SV_EUlSU_E_NS1_11comp_targetILNS1_3genE10ELNS1_11target_archE1201ELNS1_3gpuE5ELNS1_3repE0EEENS1_30default_config_static_selectorELNS0_4arch9wavefront6targetE0EEEvT1_.num_named_barrier, 0
	.set _ZN7rocprim17ROCPRIM_400000_NS6detail17trampoline_kernelINS0_14default_configENS1_27scan_by_key_config_selectorIxxEEZZNS1_16scan_by_key_implILNS1_25lookback_scan_determinismE0ELb1ES3_N6thrust23THRUST_200600_302600_NS6detail15normal_iteratorINS9_10device_ptrIxEEEESE_SE_xNS9_4plusIvEENS9_8equal_toIvEExEE10hipError_tPvRmT2_T3_T4_T5_mT6_T7_P12ihipStream_tbENKUlT_T0_E_clISt17integral_constantIbLb1EESY_IbLb0EEEEDaSU_SV_EUlSU_E_NS1_11comp_targetILNS1_3genE10ELNS1_11target_archE1201ELNS1_3gpuE5ELNS1_3repE0EEENS1_30default_config_static_selectorELNS0_4arch9wavefront6targetE0EEEvT1_.private_seg_size, 0
	.set _ZN7rocprim17ROCPRIM_400000_NS6detail17trampoline_kernelINS0_14default_configENS1_27scan_by_key_config_selectorIxxEEZZNS1_16scan_by_key_implILNS1_25lookback_scan_determinismE0ELb1ES3_N6thrust23THRUST_200600_302600_NS6detail15normal_iteratorINS9_10device_ptrIxEEEESE_SE_xNS9_4plusIvEENS9_8equal_toIvEExEE10hipError_tPvRmT2_T3_T4_T5_mT6_T7_P12ihipStream_tbENKUlT_T0_E_clISt17integral_constantIbLb1EESY_IbLb0EEEEDaSU_SV_EUlSU_E_NS1_11comp_targetILNS1_3genE10ELNS1_11target_archE1201ELNS1_3gpuE5ELNS1_3repE0EEENS1_30default_config_static_selectorELNS0_4arch9wavefront6targetE0EEEvT1_.uses_vcc, 0
	.set _ZN7rocprim17ROCPRIM_400000_NS6detail17trampoline_kernelINS0_14default_configENS1_27scan_by_key_config_selectorIxxEEZZNS1_16scan_by_key_implILNS1_25lookback_scan_determinismE0ELb1ES3_N6thrust23THRUST_200600_302600_NS6detail15normal_iteratorINS9_10device_ptrIxEEEESE_SE_xNS9_4plusIvEENS9_8equal_toIvEExEE10hipError_tPvRmT2_T3_T4_T5_mT6_T7_P12ihipStream_tbENKUlT_T0_E_clISt17integral_constantIbLb1EESY_IbLb0EEEEDaSU_SV_EUlSU_E_NS1_11comp_targetILNS1_3genE10ELNS1_11target_archE1201ELNS1_3gpuE5ELNS1_3repE0EEENS1_30default_config_static_selectorELNS0_4arch9wavefront6targetE0EEEvT1_.uses_flat_scratch, 0
	.set _ZN7rocprim17ROCPRIM_400000_NS6detail17trampoline_kernelINS0_14default_configENS1_27scan_by_key_config_selectorIxxEEZZNS1_16scan_by_key_implILNS1_25lookback_scan_determinismE0ELb1ES3_N6thrust23THRUST_200600_302600_NS6detail15normal_iteratorINS9_10device_ptrIxEEEESE_SE_xNS9_4plusIvEENS9_8equal_toIvEExEE10hipError_tPvRmT2_T3_T4_T5_mT6_T7_P12ihipStream_tbENKUlT_T0_E_clISt17integral_constantIbLb1EESY_IbLb0EEEEDaSU_SV_EUlSU_E_NS1_11comp_targetILNS1_3genE10ELNS1_11target_archE1201ELNS1_3gpuE5ELNS1_3repE0EEENS1_30default_config_static_selectorELNS0_4arch9wavefront6targetE0EEEvT1_.has_dyn_sized_stack, 0
	.set _ZN7rocprim17ROCPRIM_400000_NS6detail17trampoline_kernelINS0_14default_configENS1_27scan_by_key_config_selectorIxxEEZZNS1_16scan_by_key_implILNS1_25lookback_scan_determinismE0ELb1ES3_N6thrust23THRUST_200600_302600_NS6detail15normal_iteratorINS9_10device_ptrIxEEEESE_SE_xNS9_4plusIvEENS9_8equal_toIvEExEE10hipError_tPvRmT2_T3_T4_T5_mT6_T7_P12ihipStream_tbENKUlT_T0_E_clISt17integral_constantIbLb1EESY_IbLb0EEEEDaSU_SV_EUlSU_E_NS1_11comp_targetILNS1_3genE10ELNS1_11target_archE1201ELNS1_3gpuE5ELNS1_3repE0EEENS1_30default_config_static_selectorELNS0_4arch9wavefront6targetE0EEEvT1_.has_recursion, 0
	.set _ZN7rocprim17ROCPRIM_400000_NS6detail17trampoline_kernelINS0_14default_configENS1_27scan_by_key_config_selectorIxxEEZZNS1_16scan_by_key_implILNS1_25lookback_scan_determinismE0ELb1ES3_N6thrust23THRUST_200600_302600_NS6detail15normal_iteratorINS9_10device_ptrIxEEEESE_SE_xNS9_4plusIvEENS9_8equal_toIvEExEE10hipError_tPvRmT2_T3_T4_T5_mT6_T7_P12ihipStream_tbENKUlT_T0_E_clISt17integral_constantIbLb1EESY_IbLb0EEEEDaSU_SV_EUlSU_E_NS1_11comp_targetILNS1_3genE10ELNS1_11target_archE1201ELNS1_3gpuE5ELNS1_3repE0EEENS1_30default_config_static_selectorELNS0_4arch9wavefront6targetE0EEEvT1_.has_indirect_call, 0
	.section	.AMDGPU.csdata,"",@progbits
; Kernel info:
; codeLenInByte = 0
; TotalNumSgprs: 0
; NumVgprs: 0
; ScratchSize: 0
; MemoryBound: 0
; FloatMode: 240
; IeeeMode: 1
; LDSByteSize: 0 bytes/workgroup (compile time only)
; SGPRBlocks: 0
; VGPRBlocks: 0
; NumSGPRsForWavesPerEU: 1
; NumVGPRsForWavesPerEU: 1
; Occupancy: 16
; WaveLimiterHint : 0
; COMPUTE_PGM_RSRC2:SCRATCH_EN: 0
; COMPUTE_PGM_RSRC2:USER_SGPR: 6
; COMPUTE_PGM_RSRC2:TRAP_HANDLER: 0
; COMPUTE_PGM_RSRC2:TGID_X_EN: 1
; COMPUTE_PGM_RSRC2:TGID_Y_EN: 0
; COMPUTE_PGM_RSRC2:TGID_Z_EN: 0
; COMPUTE_PGM_RSRC2:TIDIG_COMP_CNT: 0
	.section	.text._ZN7rocprim17ROCPRIM_400000_NS6detail17trampoline_kernelINS0_14default_configENS1_27scan_by_key_config_selectorIxxEEZZNS1_16scan_by_key_implILNS1_25lookback_scan_determinismE0ELb1ES3_N6thrust23THRUST_200600_302600_NS6detail15normal_iteratorINS9_10device_ptrIxEEEESE_SE_xNS9_4plusIvEENS9_8equal_toIvEExEE10hipError_tPvRmT2_T3_T4_T5_mT6_T7_P12ihipStream_tbENKUlT_T0_E_clISt17integral_constantIbLb1EESY_IbLb0EEEEDaSU_SV_EUlSU_E_NS1_11comp_targetILNS1_3genE5ELNS1_11target_archE942ELNS1_3gpuE9ELNS1_3repE0EEENS1_30default_config_static_selectorELNS0_4arch9wavefront6targetE0EEEvT1_,"axG",@progbits,_ZN7rocprim17ROCPRIM_400000_NS6detail17trampoline_kernelINS0_14default_configENS1_27scan_by_key_config_selectorIxxEEZZNS1_16scan_by_key_implILNS1_25lookback_scan_determinismE0ELb1ES3_N6thrust23THRUST_200600_302600_NS6detail15normal_iteratorINS9_10device_ptrIxEEEESE_SE_xNS9_4plusIvEENS9_8equal_toIvEExEE10hipError_tPvRmT2_T3_T4_T5_mT6_T7_P12ihipStream_tbENKUlT_T0_E_clISt17integral_constantIbLb1EESY_IbLb0EEEEDaSU_SV_EUlSU_E_NS1_11comp_targetILNS1_3genE5ELNS1_11target_archE942ELNS1_3gpuE9ELNS1_3repE0EEENS1_30default_config_static_selectorELNS0_4arch9wavefront6targetE0EEEvT1_,comdat
	.protected	_ZN7rocprim17ROCPRIM_400000_NS6detail17trampoline_kernelINS0_14default_configENS1_27scan_by_key_config_selectorIxxEEZZNS1_16scan_by_key_implILNS1_25lookback_scan_determinismE0ELb1ES3_N6thrust23THRUST_200600_302600_NS6detail15normal_iteratorINS9_10device_ptrIxEEEESE_SE_xNS9_4plusIvEENS9_8equal_toIvEExEE10hipError_tPvRmT2_T3_T4_T5_mT6_T7_P12ihipStream_tbENKUlT_T0_E_clISt17integral_constantIbLb1EESY_IbLb0EEEEDaSU_SV_EUlSU_E_NS1_11comp_targetILNS1_3genE5ELNS1_11target_archE942ELNS1_3gpuE9ELNS1_3repE0EEENS1_30default_config_static_selectorELNS0_4arch9wavefront6targetE0EEEvT1_ ; -- Begin function _ZN7rocprim17ROCPRIM_400000_NS6detail17trampoline_kernelINS0_14default_configENS1_27scan_by_key_config_selectorIxxEEZZNS1_16scan_by_key_implILNS1_25lookback_scan_determinismE0ELb1ES3_N6thrust23THRUST_200600_302600_NS6detail15normal_iteratorINS9_10device_ptrIxEEEESE_SE_xNS9_4plusIvEENS9_8equal_toIvEExEE10hipError_tPvRmT2_T3_T4_T5_mT6_T7_P12ihipStream_tbENKUlT_T0_E_clISt17integral_constantIbLb1EESY_IbLb0EEEEDaSU_SV_EUlSU_E_NS1_11comp_targetILNS1_3genE5ELNS1_11target_archE942ELNS1_3gpuE9ELNS1_3repE0EEENS1_30default_config_static_selectorELNS0_4arch9wavefront6targetE0EEEvT1_
	.globl	_ZN7rocprim17ROCPRIM_400000_NS6detail17trampoline_kernelINS0_14default_configENS1_27scan_by_key_config_selectorIxxEEZZNS1_16scan_by_key_implILNS1_25lookback_scan_determinismE0ELb1ES3_N6thrust23THRUST_200600_302600_NS6detail15normal_iteratorINS9_10device_ptrIxEEEESE_SE_xNS9_4plusIvEENS9_8equal_toIvEExEE10hipError_tPvRmT2_T3_T4_T5_mT6_T7_P12ihipStream_tbENKUlT_T0_E_clISt17integral_constantIbLb1EESY_IbLb0EEEEDaSU_SV_EUlSU_E_NS1_11comp_targetILNS1_3genE5ELNS1_11target_archE942ELNS1_3gpuE9ELNS1_3repE0EEENS1_30default_config_static_selectorELNS0_4arch9wavefront6targetE0EEEvT1_
	.p2align	8
	.type	_ZN7rocprim17ROCPRIM_400000_NS6detail17trampoline_kernelINS0_14default_configENS1_27scan_by_key_config_selectorIxxEEZZNS1_16scan_by_key_implILNS1_25lookback_scan_determinismE0ELb1ES3_N6thrust23THRUST_200600_302600_NS6detail15normal_iteratorINS9_10device_ptrIxEEEESE_SE_xNS9_4plusIvEENS9_8equal_toIvEExEE10hipError_tPvRmT2_T3_T4_T5_mT6_T7_P12ihipStream_tbENKUlT_T0_E_clISt17integral_constantIbLb1EESY_IbLb0EEEEDaSU_SV_EUlSU_E_NS1_11comp_targetILNS1_3genE5ELNS1_11target_archE942ELNS1_3gpuE9ELNS1_3repE0EEENS1_30default_config_static_selectorELNS0_4arch9wavefront6targetE0EEEvT1_,@function
_ZN7rocprim17ROCPRIM_400000_NS6detail17trampoline_kernelINS0_14default_configENS1_27scan_by_key_config_selectorIxxEEZZNS1_16scan_by_key_implILNS1_25lookback_scan_determinismE0ELb1ES3_N6thrust23THRUST_200600_302600_NS6detail15normal_iteratorINS9_10device_ptrIxEEEESE_SE_xNS9_4plusIvEENS9_8equal_toIvEExEE10hipError_tPvRmT2_T3_T4_T5_mT6_T7_P12ihipStream_tbENKUlT_T0_E_clISt17integral_constantIbLb1EESY_IbLb0EEEEDaSU_SV_EUlSU_E_NS1_11comp_targetILNS1_3genE5ELNS1_11target_archE942ELNS1_3gpuE9ELNS1_3repE0EEENS1_30default_config_static_selectorELNS0_4arch9wavefront6targetE0EEEvT1_: ; @_ZN7rocprim17ROCPRIM_400000_NS6detail17trampoline_kernelINS0_14default_configENS1_27scan_by_key_config_selectorIxxEEZZNS1_16scan_by_key_implILNS1_25lookback_scan_determinismE0ELb1ES3_N6thrust23THRUST_200600_302600_NS6detail15normal_iteratorINS9_10device_ptrIxEEEESE_SE_xNS9_4plusIvEENS9_8equal_toIvEExEE10hipError_tPvRmT2_T3_T4_T5_mT6_T7_P12ihipStream_tbENKUlT_T0_E_clISt17integral_constantIbLb1EESY_IbLb0EEEEDaSU_SV_EUlSU_E_NS1_11comp_targetILNS1_3genE5ELNS1_11target_archE942ELNS1_3gpuE9ELNS1_3repE0EEENS1_30default_config_static_selectorELNS0_4arch9wavefront6targetE0EEEvT1_
; %bb.0:
	.section	.rodata,"a",@progbits
	.p2align	6, 0x0
	.amdhsa_kernel _ZN7rocprim17ROCPRIM_400000_NS6detail17trampoline_kernelINS0_14default_configENS1_27scan_by_key_config_selectorIxxEEZZNS1_16scan_by_key_implILNS1_25lookback_scan_determinismE0ELb1ES3_N6thrust23THRUST_200600_302600_NS6detail15normal_iteratorINS9_10device_ptrIxEEEESE_SE_xNS9_4plusIvEENS9_8equal_toIvEExEE10hipError_tPvRmT2_T3_T4_T5_mT6_T7_P12ihipStream_tbENKUlT_T0_E_clISt17integral_constantIbLb1EESY_IbLb0EEEEDaSU_SV_EUlSU_E_NS1_11comp_targetILNS1_3genE5ELNS1_11target_archE942ELNS1_3gpuE9ELNS1_3repE0EEENS1_30default_config_static_selectorELNS0_4arch9wavefront6targetE0EEEvT1_
		.amdhsa_group_segment_fixed_size 0
		.amdhsa_private_segment_fixed_size 0
		.amdhsa_kernarg_size 136
		.amdhsa_user_sgpr_count 6
		.amdhsa_user_sgpr_private_segment_buffer 1
		.amdhsa_user_sgpr_dispatch_ptr 0
		.amdhsa_user_sgpr_queue_ptr 0
		.amdhsa_user_sgpr_kernarg_segment_ptr 1
		.amdhsa_user_sgpr_dispatch_id 0
		.amdhsa_user_sgpr_flat_scratch_init 0
		.amdhsa_user_sgpr_private_segment_size 0
		.amdhsa_wavefront_size32 1
		.amdhsa_uses_dynamic_stack 0
		.amdhsa_system_sgpr_private_segment_wavefront_offset 0
		.amdhsa_system_sgpr_workgroup_id_x 1
		.amdhsa_system_sgpr_workgroup_id_y 0
		.amdhsa_system_sgpr_workgroup_id_z 0
		.amdhsa_system_sgpr_workgroup_info 0
		.amdhsa_system_vgpr_workitem_id 0
		.amdhsa_next_free_vgpr 1
		.amdhsa_next_free_sgpr 1
		.amdhsa_reserve_vcc 0
		.amdhsa_reserve_flat_scratch 0
		.amdhsa_float_round_mode_32 0
		.amdhsa_float_round_mode_16_64 0
		.amdhsa_float_denorm_mode_32 3
		.amdhsa_float_denorm_mode_16_64 3
		.amdhsa_dx10_clamp 1
		.amdhsa_ieee_mode 1
		.amdhsa_fp16_overflow 0
		.amdhsa_workgroup_processor_mode 1
		.amdhsa_memory_ordered 1
		.amdhsa_forward_progress 1
		.amdhsa_shared_vgpr_count 0
		.amdhsa_exception_fp_ieee_invalid_op 0
		.amdhsa_exception_fp_denorm_src 0
		.amdhsa_exception_fp_ieee_div_zero 0
		.amdhsa_exception_fp_ieee_overflow 0
		.amdhsa_exception_fp_ieee_underflow 0
		.amdhsa_exception_fp_ieee_inexact 0
		.amdhsa_exception_int_div_zero 0
	.end_amdhsa_kernel
	.section	.text._ZN7rocprim17ROCPRIM_400000_NS6detail17trampoline_kernelINS0_14default_configENS1_27scan_by_key_config_selectorIxxEEZZNS1_16scan_by_key_implILNS1_25lookback_scan_determinismE0ELb1ES3_N6thrust23THRUST_200600_302600_NS6detail15normal_iteratorINS9_10device_ptrIxEEEESE_SE_xNS9_4plusIvEENS9_8equal_toIvEExEE10hipError_tPvRmT2_T3_T4_T5_mT6_T7_P12ihipStream_tbENKUlT_T0_E_clISt17integral_constantIbLb1EESY_IbLb0EEEEDaSU_SV_EUlSU_E_NS1_11comp_targetILNS1_3genE5ELNS1_11target_archE942ELNS1_3gpuE9ELNS1_3repE0EEENS1_30default_config_static_selectorELNS0_4arch9wavefront6targetE0EEEvT1_,"axG",@progbits,_ZN7rocprim17ROCPRIM_400000_NS6detail17trampoline_kernelINS0_14default_configENS1_27scan_by_key_config_selectorIxxEEZZNS1_16scan_by_key_implILNS1_25lookback_scan_determinismE0ELb1ES3_N6thrust23THRUST_200600_302600_NS6detail15normal_iteratorINS9_10device_ptrIxEEEESE_SE_xNS9_4plusIvEENS9_8equal_toIvEExEE10hipError_tPvRmT2_T3_T4_T5_mT6_T7_P12ihipStream_tbENKUlT_T0_E_clISt17integral_constantIbLb1EESY_IbLb0EEEEDaSU_SV_EUlSU_E_NS1_11comp_targetILNS1_3genE5ELNS1_11target_archE942ELNS1_3gpuE9ELNS1_3repE0EEENS1_30default_config_static_selectorELNS0_4arch9wavefront6targetE0EEEvT1_,comdat
.Lfunc_end373:
	.size	_ZN7rocprim17ROCPRIM_400000_NS6detail17trampoline_kernelINS0_14default_configENS1_27scan_by_key_config_selectorIxxEEZZNS1_16scan_by_key_implILNS1_25lookback_scan_determinismE0ELb1ES3_N6thrust23THRUST_200600_302600_NS6detail15normal_iteratorINS9_10device_ptrIxEEEESE_SE_xNS9_4plusIvEENS9_8equal_toIvEExEE10hipError_tPvRmT2_T3_T4_T5_mT6_T7_P12ihipStream_tbENKUlT_T0_E_clISt17integral_constantIbLb1EESY_IbLb0EEEEDaSU_SV_EUlSU_E_NS1_11comp_targetILNS1_3genE5ELNS1_11target_archE942ELNS1_3gpuE9ELNS1_3repE0EEENS1_30default_config_static_selectorELNS0_4arch9wavefront6targetE0EEEvT1_, .Lfunc_end373-_ZN7rocprim17ROCPRIM_400000_NS6detail17trampoline_kernelINS0_14default_configENS1_27scan_by_key_config_selectorIxxEEZZNS1_16scan_by_key_implILNS1_25lookback_scan_determinismE0ELb1ES3_N6thrust23THRUST_200600_302600_NS6detail15normal_iteratorINS9_10device_ptrIxEEEESE_SE_xNS9_4plusIvEENS9_8equal_toIvEExEE10hipError_tPvRmT2_T3_T4_T5_mT6_T7_P12ihipStream_tbENKUlT_T0_E_clISt17integral_constantIbLb1EESY_IbLb0EEEEDaSU_SV_EUlSU_E_NS1_11comp_targetILNS1_3genE5ELNS1_11target_archE942ELNS1_3gpuE9ELNS1_3repE0EEENS1_30default_config_static_selectorELNS0_4arch9wavefront6targetE0EEEvT1_
                                        ; -- End function
	.set _ZN7rocprim17ROCPRIM_400000_NS6detail17trampoline_kernelINS0_14default_configENS1_27scan_by_key_config_selectorIxxEEZZNS1_16scan_by_key_implILNS1_25lookback_scan_determinismE0ELb1ES3_N6thrust23THRUST_200600_302600_NS6detail15normal_iteratorINS9_10device_ptrIxEEEESE_SE_xNS9_4plusIvEENS9_8equal_toIvEExEE10hipError_tPvRmT2_T3_T4_T5_mT6_T7_P12ihipStream_tbENKUlT_T0_E_clISt17integral_constantIbLb1EESY_IbLb0EEEEDaSU_SV_EUlSU_E_NS1_11comp_targetILNS1_3genE5ELNS1_11target_archE942ELNS1_3gpuE9ELNS1_3repE0EEENS1_30default_config_static_selectorELNS0_4arch9wavefront6targetE0EEEvT1_.num_vgpr, 0
	.set _ZN7rocprim17ROCPRIM_400000_NS6detail17trampoline_kernelINS0_14default_configENS1_27scan_by_key_config_selectorIxxEEZZNS1_16scan_by_key_implILNS1_25lookback_scan_determinismE0ELb1ES3_N6thrust23THRUST_200600_302600_NS6detail15normal_iteratorINS9_10device_ptrIxEEEESE_SE_xNS9_4plusIvEENS9_8equal_toIvEExEE10hipError_tPvRmT2_T3_T4_T5_mT6_T7_P12ihipStream_tbENKUlT_T0_E_clISt17integral_constantIbLb1EESY_IbLb0EEEEDaSU_SV_EUlSU_E_NS1_11comp_targetILNS1_3genE5ELNS1_11target_archE942ELNS1_3gpuE9ELNS1_3repE0EEENS1_30default_config_static_selectorELNS0_4arch9wavefront6targetE0EEEvT1_.num_agpr, 0
	.set _ZN7rocprim17ROCPRIM_400000_NS6detail17trampoline_kernelINS0_14default_configENS1_27scan_by_key_config_selectorIxxEEZZNS1_16scan_by_key_implILNS1_25lookback_scan_determinismE0ELb1ES3_N6thrust23THRUST_200600_302600_NS6detail15normal_iteratorINS9_10device_ptrIxEEEESE_SE_xNS9_4plusIvEENS9_8equal_toIvEExEE10hipError_tPvRmT2_T3_T4_T5_mT6_T7_P12ihipStream_tbENKUlT_T0_E_clISt17integral_constantIbLb1EESY_IbLb0EEEEDaSU_SV_EUlSU_E_NS1_11comp_targetILNS1_3genE5ELNS1_11target_archE942ELNS1_3gpuE9ELNS1_3repE0EEENS1_30default_config_static_selectorELNS0_4arch9wavefront6targetE0EEEvT1_.numbered_sgpr, 0
	.set _ZN7rocprim17ROCPRIM_400000_NS6detail17trampoline_kernelINS0_14default_configENS1_27scan_by_key_config_selectorIxxEEZZNS1_16scan_by_key_implILNS1_25lookback_scan_determinismE0ELb1ES3_N6thrust23THRUST_200600_302600_NS6detail15normal_iteratorINS9_10device_ptrIxEEEESE_SE_xNS9_4plusIvEENS9_8equal_toIvEExEE10hipError_tPvRmT2_T3_T4_T5_mT6_T7_P12ihipStream_tbENKUlT_T0_E_clISt17integral_constantIbLb1EESY_IbLb0EEEEDaSU_SV_EUlSU_E_NS1_11comp_targetILNS1_3genE5ELNS1_11target_archE942ELNS1_3gpuE9ELNS1_3repE0EEENS1_30default_config_static_selectorELNS0_4arch9wavefront6targetE0EEEvT1_.num_named_barrier, 0
	.set _ZN7rocprim17ROCPRIM_400000_NS6detail17trampoline_kernelINS0_14default_configENS1_27scan_by_key_config_selectorIxxEEZZNS1_16scan_by_key_implILNS1_25lookback_scan_determinismE0ELb1ES3_N6thrust23THRUST_200600_302600_NS6detail15normal_iteratorINS9_10device_ptrIxEEEESE_SE_xNS9_4plusIvEENS9_8equal_toIvEExEE10hipError_tPvRmT2_T3_T4_T5_mT6_T7_P12ihipStream_tbENKUlT_T0_E_clISt17integral_constantIbLb1EESY_IbLb0EEEEDaSU_SV_EUlSU_E_NS1_11comp_targetILNS1_3genE5ELNS1_11target_archE942ELNS1_3gpuE9ELNS1_3repE0EEENS1_30default_config_static_selectorELNS0_4arch9wavefront6targetE0EEEvT1_.private_seg_size, 0
	.set _ZN7rocprim17ROCPRIM_400000_NS6detail17trampoline_kernelINS0_14default_configENS1_27scan_by_key_config_selectorIxxEEZZNS1_16scan_by_key_implILNS1_25lookback_scan_determinismE0ELb1ES3_N6thrust23THRUST_200600_302600_NS6detail15normal_iteratorINS9_10device_ptrIxEEEESE_SE_xNS9_4plusIvEENS9_8equal_toIvEExEE10hipError_tPvRmT2_T3_T4_T5_mT6_T7_P12ihipStream_tbENKUlT_T0_E_clISt17integral_constantIbLb1EESY_IbLb0EEEEDaSU_SV_EUlSU_E_NS1_11comp_targetILNS1_3genE5ELNS1_11target_archE942ELNS1_3gpuE9ELNS1_3repE0EEENS1_30default_config_static_selectorELNS0_4arch9wavefront6targetE0EEEvT1_.uses_vcc, 0
	.set _ZN7rocprim17ROCPRIM_400000_NS6detail17trampoline_kernelINS0_14default_configENS1_27scan_by_key_config_selectorIxxEEZZNS1_16scan_by_key_implILNS1_25lookback_scan_determinismE0ELb1ES3_N6thrust23THRUST_200600_302600_NS6detail15normal_iteratorINS9_10device_ptrIxEEEESE_SE_xNS9_4plusIvEENS9_8equal_toIvEExEE10hipError_tPvRmT2_T3_T4_T5_mT6_T7_P12ihipStream_tbENKUlT_T0_E_clISt17integral_constantIbLb1EESY_IbLb0EEEEDaSU_SV_EUlSU_E_NS1_11comp_targetILNS1_3genE5ELNS1_11target_archE942ELNS1_3gpuE9ELNS1_3repE0EEENS1_30default_config_static_selectorELNS0_4arch9wavefront6targetE0EEEvT1_.uses_flat_scratch, 0
	.set _ZN7rocprim17ROCPRIM_400000_NS6detail17trampoline_kernelINS0_14default_configENS1_27scan_by_key_config_selectorIxxEEZZNS1_16scan_by_key_implILNS1_25lookback_scan_determinismE0ELb1ES3_N6thrust23THRUST_200600_302600_NS6detail15normal_iteratorINS9_10device_ptrIxEEEESE_SE_xNS9_4plusIvEENS9_8equal_toIvEExEE10hipError_tPvRmT2_T3_T4_T5_mT6_T7_P12ihipStream_tbENKUlT_T0_E_clISt17integral_constantIbLb1EESY_IbLb0EEEEDaSU_SV_EUlSU_E_NS1_11comp_targetILNS1_3genE5ELNS1_11target_archE942ELNS1_3gpuE9ELNS1_3repE0EEENS1_30default_config_static_selectorELNS0_4arch9wavefront6targetE0EEEvT1_.has_dyn_sized_stack, 0
	.set _ZN7rocprim17ROCPRIM_400000_NS6detail17trampoline_kernelINS0_14default_configENS1_27scan_by_key_config_selectorIxxEEZZNS1_16scan_by_key_implILNS1_25lookback_scan_determinismE0ELb1ES3_N6thrust23THRUST_200600_302600_NS6detail15normal_iteratorINS9_10device_ptrIxEEEESE_SE_xNS9_4plusIvEENS9_8equal_toIvEExEE10hipError_tPvRmT2_T3_T4_T5_mT6_T7_P12ihipStream_tbENKUlT_T0_E_clISt17integral_constantIbLb1EESY_IbLb0EEEEDaSU_SV_EUlSU_E_NS1_11comp_targetILNS1_3genE5ELNS1_11target_archE942ELNS1_3gpuE9ELNS1_3repE0EEENS1_30default_config_static_selectorELNS0_4arch9wavefront6targetE0EEEvT1_.has_recursion, 0
	.set _ZN7rocprim17ROCPRIM_400000_NS6detail17trampoline_kernelINS0_14default_configENS1_27scan_by_key_config_selectorIxxEEZZNS1_16scan_by_key_implILNS1_25lookback_scan_determinismE0ELb1ES3_N6thrust23THRUST_200600_302600_NS6detail15normal_iteratorINS9_10device_ptrIxEEEESE_SE_xNS9_4plusIvEENS9_8equal_toIvEExEE10hipError_tPvRmT2_T3_T4_T5_mT6_T7_P12ihipStream_tbENKUlT_T0_E_clISt17integral_constantIbLb1EESY_IbLb0EEEEDaSU_SV_EUlSU_E_NS1_11comp_targetILNS1_3genE5ELNS1_11target_archE942ELNS1_3gpuE9ELNS1_3repE0EEENS1_30default_config_static_selectorELNS0_4arch9wavefront6targetE0EEEvT1_.has_indirect_call, 0
	.section	.AMDGPU.csdata,"",@progbits
; Kernel info:
; codeLenInByte = 0
; TotalNumSgprs: 0
; NumVgprs: 0
; ScratchSize: 0
; MemoryBound: 0
; FloatMode: 240
; IeeeMode: 1
; LDSByteSize: 0 bytes/workgroup (compile time only)
; SGPRBlocks: 0
; VGPRBlocks: 0
; NumSGPRsForWavesPerEU: 1
; NumVGPRsForWavesPerEU: 1
; Occupancy: 16
; WaveLimiterHint : 0
; COMPUTE_PGM_RSRC2:SCRATCH_EN: 0
; COMPUTE_PGM_RSRC2:USER_SGPR: 6
; COMPUTE_PGM_RSRC2:TRAP_HANDLER: 0
; COMPUTE_PGM_RSRC2:TGID_X_EN: 1
; COMPUTE_PGM_RSRC2:TGID_Y_EN: 0
; COMPUTE_PGM_RSRC2:TGID_Z_EN: 0
; COMPUTE_PGM_RSRC2:TIDIG_COMP_CNT: 0
	.section	.text._ZN7rocprim17ROCPRIM_400000_NS6detail17trampoline_kernelINS0_14default_configENS1_27scan_by_key_config_selectorIxxEEZZNS1_16scan_by_key_implILNS1_25lookback_scan_determinismE0ELb1ES3_N6thrust23THRUST_200600_302600_NS6detail15normal_iteratorINS9_10device_ptrIxEEEESE_SE_xNS9_4plusIvEENS9_8equal_toIvEExEE10hipError_tPvRmT2_T3_T4_T5_mT6_T7_P12ihipStream_tbENKUlT_T0_E_clISt17integral_constantIbLb1EESY_IbLb0EEEEDaSU_SV_EUlSU_E_NS1_11comp_targetILNS1_3genE4ELNS1_11target_archE910ELNS1_3gpuE8ELNS1_3repE0EEENS1_30default_config_static_selectorELNS0_4arch9wavefront6targetE0EEEvT1_,"axG",@progbits,_ZN7rocprim17ROCPRIM_400000_NS6detail17trampoline_kernelINS0_14default_configENS1_27scan_by_key_config_selectorIxxEEZZNS1_16scan_by_key_implILNS1_25lookback_scan_determinismE0ELb1ES3_N6thrust23THRUST_200600_302600_NS6detail15normal_iteratorINS9_10device_ptrIxEEEESE_SE_xNS9_4plusIvEENS9_8equal_toIvEExEE10hipError_tPvRmT2_T3_T4_T5_mT6_T7_P12ihipStream_tbENKUlT_T0_E_clISt17integral_constantIbLb1EESY_IbLb0EEEEDaSU_SV_EUlSU_E_NS1_11comp_targetILNS1_3genE4ELNS1_11target_archE910ELNS1_3gpuE8ELNS1_3repE0EEENS1_30default_config_static_selectorELNS0_4arch9wavefront6targetE0EEEvT1_,comdat
	.protected	_ZN7rocprim17ROCPRIM_400000_NS6detail17trampoline_kernelINS0_14default_configENS1_27scan_by_key_config_selectorIxxEEZZNS1_16scan_by_key_implILNS1_25lookback_scan_determinismE0ELb1ES3_N6thrust23THRUST_200600_302600_NS6detail15normal_iteratorINS9_10device_ptrIxEEEESE_SE_xNS9_4plusIvEENS9_8equal_toIvEExEE10hipError_tPvRmT2_T3_T4_T5_mT6_T7_P12ihipStream_tbENKUlT_T0_E_clISt17integral_constantIbLb1EESY_IbLb0EEEEDaSU_SV_EUlSU_E_NS1_11comp_targetILNS1_3genE4ELNS1_11target_archE910ELNS1_3gpuE8ELNS1_3repE0EEENS1_30default_config_static_selectorELNS0_4arch9wavefront6targetE0EEEvT1_ ; -- Begin function _ZN7rocprim17ROCPRIM_400000_NS6detail17trampoline_kernelINS0_14default_configENS1_27scan_by_key_config_selectorIxxEEZZNS1_16scan_by_key_implILNS1_25lookback_scan_determinismE0ELb1ES3_N6thrust23THRUST_200600_302600_NS6detail15normal_iteratorINS9_10device_ptrIxEEEESE_SE_xNS9_4plusIvEENS9_8equal_toIvEExEE10hipError_tPvRmT2_T3_T4_T5_mT6_T7_P12ihipStream_tbENKUlT_T0_E_clISt17integral_constantIbLb1EESY_IbLb0EEEEDaSU_SV_EUlSU_E_NS1_11comp_targetILNS1_3genE4ELNS1_11target_archE910ELNS1_3gpuE8ELNS1_3repE0EEENS1_30default_config_static_selectorELNS0_4arch9wavefront6targetE0EEEvT1_
	.globl	_ZN7rocprim17ROCPRIM_400000_NS6detail17trampoline_kernelINS0_14default_configENS1_27scan_by_key_config_selectorIxxEEZZNS1_16scan_by_key_implILNS1_25lookback_scan_determinismE0ELb1ES3_N6thrust23THRUST_200600_302600_NS6detail15normal_iteratorINS9_10device_ptrIxEEEESE_SE_xNS9_4plusIvEENS9_8equal_toIvEExEE10hipError_tPvRmT2_T3_T4_T5_mT6_T7_P12ihipStream_tbENKUlT_T0_E_clISt17integral_constantIbLb1EESY_IbLb0EEEEDaSU_SV_EUlSU_E_NS1_11comp_targetILNS1_3genE4ELNS1_11target_archE910ELNS1_3gpuE8ELNS1_3repE0EEENS1_30default_config_static_selectorELNS0_4arch9wavefront6targetE0EEEvT1_
	.p2align	8
	.type	_ZN7rocprim17ROCPRIM_400000_NS6detail17trampoline_kernelINS0_14default_configENS1_27scan_by_key_config_selectorIxxEEZZNS1_16scan_by_key_implILNS1_25lookback_scan_determinismE0ELb1ES3_N6thrust23THRUST_200600_302600_NS6detail15normal_iteratorINS9_10device_ptrIxEEEESE_SE_xNS9_4plusIvEENS9_8equal_toIvEExEE10hipError_tPvRmT2_T3_T4_T5_mT6_T7_P12ihipStream_tbENKUlT_T0_E_clISt17integral_constantIbLb1EESY_IbLb0EEEEDaSU_SV_EUlSU_E_NS1_11comp_targetILNS1_3genE4ELNS1_11target_archE910ELNS1_3gpuE8ELNS1_3repE0EEENS1_30default_config_static_selectorELNS0_4arch9wavefront6targetE0EEEvT1_,@function
_ZN7rocprim17ROCPRIM_400000_NS6detail17trampoline_kernelINS0_14default_configENS1_27scan_by_key_config_selectorIxxEEZZNS1_16scan_by_key_implILNS1_25lookback_scan_determinismE0ELb1ES3_N6thrust23THRUST_200600_302600_NS6detail15normal_iteratorINS9_10device_ptrIxEEEESE_SE_xNS9_4plusIvEENS9_8equal_toIvEExEE10hipError_tPvRmT2_T3_T4_T5_mT6_T7_P12ihipStream_tbENKUlT_T0_E_clISt17integral_constantIbLb1EESY_IbLb0EEEEDaSU_SV_EUlSU_E_NS1_11comp_targetILNS1_3genE4ELNS1_11target_archE910ELNS1_3gpuE8ELNS1_3repE0EEENS1_30default_config_static_selectorELNS0_4arch9wavefront6targetE0EEEvT1_: ; @_ZN7rocprim17ROCPRIM_400000_NS6detail17trampoline_kernelINS0_14default_configENS1_27scan_by_key_config_selectorIxxEEZZNS1_16scan_by_key_implILNS1_25lookback_scan_determinismE0ELb1ES3_N6thrust23THRUST_200600_302600_NS6detail15normal_iteratorINS9_10device_ptrIxEEEESE_SE_xNS9_4plusIvEENS9_8equal_toIvEExEE10hipError_tPvRmT2_T3_T4_T5_mT6_T7_P12ihipStream_tbENKUlT_T0_E_clISt17integral_constantIbLb1EESY_IbLb0EEEEDaSU_SV_EUlSU_E_NS1_11comp_targetILNS1_3genE4ELNS1_11target_archE910ELNS1_3gpuE8ELNS1_3repE0EEENS1_30default_config_static_selectorELNS0_4arch9wavefront6targetE0EEEvT1_
; %bb.0:
	.section	.rodata,"a",@progbits
	.p2align	6, 0x0
	.amdhsa_kernel _ZN7rocprim17ROCPRIM_400000_NS6detail17trampoline_kernelINS0_14default_configENS1_27scan_by_key_config_selectorIxxEEZZNS1_16scan_by_key_implILNS1_25lookback_scan_determinismE0ELb1ES3_N6thrust23THRUST_200600_302600_NS6detail15normal_iteratorINS9_10device_ptrIxEEEESE_SE_xNS9_4plusIvEENS9_8equal_toIvEExEE10hipError_tPvRmT2_T3_T4_T5_mT6_T7_P12ihipStream_tbENKUlT_T0_E_clISt17integral_constantIbLb1EESY_IbLb0EEEEDaSU_SV_EUlSU_E_NS1_11comp_targetILNS1_3genE4ELNS1_11target_archE910ELNS1_3gpuE8ELNS1_3repE0EEENS1_30default_config_static_selectorELNS0_4arch9wavefront6targetE0EEEvT1_
		.amdhsa_group_segment_fixed_size 0
		.amdhsa_private_segment_fixed_size 0
		.amdhsa_kernarg_size 136
		.amdhsa_user_sgpr_count 6
		.amdhsa_user_sgpr_private_segment_buffer 1
		.amdhsa_user_sgpr_dispatch_ptr 0
		.amdhsa_user_sgpr_queue_ptr 0
		.amdhsa_user_sgpr_kernarg_segment_ptr 1
		.amdhsa_user_sgpr_dispatch_id 0
		.amdhsa_user_sgpr_flat_scratch_init 0
		.amdhsa_user_sgpr_private_segment_size 0
		.amdhsa_wavefront_size32 1
		.amdhsa_uses_dynamic_stack 0
		.amdhsa_system_sgpr_private_segment_wavefront_offset 0
		.amdhsa_system_sgpr_workgroup_id_x 1
		.amdhsa_system_sgpr_workgroup_id_y 0
		.amdhsa_system_sgpr_workgroup_id_z 0
		.amdhsa_system_sgpr_workgroup_info 0
		.amdhsa_system_vgpr_workitem_id 0
		.amdhsa_next_free_vgpr 1
		.amdhsa_next_free_sgpr 1
		.amdhsa_reserve_vcc 0
		.amdhsa_reserve_flat_scratch 0
		.amdhsa_float_round_mode_32 0
		.amdhsa_float_round_mode_16_64 0
		.amdhsa_float_denorm_mode_32 3
		.amdhsa_float_denorm_mode_16_64 3
		.amdhsa_dx10_clamp 1
		.amdhsa_ieee_mode 1
		.amdhsa_fp16_overflow 0
		.amdhsa_workgroup_processor_mode 1
		.amdhsa_memory_ordered 1
		.amdhsa_forward_progress 1
		.amdhsa_shared_vgpr_count 0
		.amdhsa_exception_fp_ieee_invalid_op 0
		.amdhsa_exception_fp_denorm_src 0
		.amdhsa_exception_fp_ieee_div_zero 0
		.amdhsa_exception_fp_ieee_overflow 0
		.amdhsa_exception_fp_ieee_underflow 0
		.amdhsa_exception_fp_ieee_inexact 0
		.amdhsa_exception_int_div_zero 0
	.end_amdhsa_kernel
	.section	.text._ZN7rocprim17ROCPRIM_400000_NS6detail17trampoline_kernelINS0_14default_configENS1_27scan_by_key_config_selectorIxxEEZZNS1_16scan_by_key_implILNS1_25lookback_scan_determinismE0ELb1ES3_N6thrust23THRUST_200600_302600_NS6detail15normal_iteratorINS9_10device_ptrIxEEEESE_SE_xNS9_4plusIvEENS9_8equal_toIvEExEE10hipError_tPvRmT2_T3_T4_T5_mT6_T7_P12ihipStream_tbENKUlT_T0_E_clISt17integral_constantIbLb1EESY_IbLb0EEEEDaSU_SV_EUlSU_E_NS1_11comp_targetILNS1_3genE4ELNS1_11target_archE910ELNS1_3gpuE8ELNS1_3repE0EEENS1_30default_config_static_selectorELNS0_4arch9wavefront6targetE0EEEvT1_,"axG",@progbits,_ZN7rocprim17ROCPRIM_400000_NS6detail17trampoline_kernelINS0_14default_configENS1_27scan_by_key_config_selectorIxxEEZZNS1_16scan_by_key_implILNS1_25lookback_scan_determinismE0ELb1ES3_N6thrust23THRUST_200600_302600_NS6detail15normal_iteratorINS9_10device_ptrIxEEEESE_SE_xNS9_4plusIvEENS9_8equal_toIvEExEE10hipError_tPvRmT2_T3_T4_T5_mT6_T7_P12ihipStream_tbENKUlT_T0_E_clISt17integral_constantIbLb1EESY_IbLb0EEEEDaSU_SV_EUlSU_E_NS1_11comp_targetILNS1_3genE4ELNS1_11target_archE910ELNS1_3gpuE8ELNS1_3repE0EEENS1_30default_config_static_selectorELNS0_4arch9wavefront6targetE0EEEvT1_,comdat
.Lfunc_end374:
	.size	_ZN7rocprim17ROCPRIM_400000_NS6detail17trampoline_kernelINS0_14default_configENS1_27scan_by_key_config_selectorIxxEEZZNS1_16scan_by_key_implILNS1_25lookback_scan_determinismE0ELb1ES3_N6thrust23THRUST_200600_302600_NS6detail15normal_iteratorINS9_10device_ptrIxEEEESE_SE_xNS9_4plusIvEENS9_8equal_toIvEExEE10hipError_tPvRmT2_T3_T4_T5_mT6_T7_P12ihipStream_tbENKUlT_T0_E_clISt17integral_constantIbLb1EESY_IbLb0EEEEDaSU_SV_EUlSU_E_NS1_11comp_targetILNS1_3genE4ELNS1_11target_archE910ELNS1_3gpuE8ELNS1_3repE0EEENS1_30default_config_static_selectorELNS0_4arch9wavefront6targetE0EEEvT1_, .Lfunc_end374-_ZN7rocprim17ROCPRIM_400000_NS6detail17trampoline_kernelINS0_14default_configENS1_27scan_by_key_config_selectorIxxEEZZNS1_16scan_by_key_implILNS1_25lookback_scan_determinismE0ELb1ES3_N6thrust23THRUST_200600_302600_NS6detail15normal_iteratorINS9_10device_ptrIxEEEESE_SE_xNS9_4plusIvEENS9_8equal_toIvEExEE10hipError_tPvRmT2_T3_T4_T5_mT6_T7_P12ihipStream_tbENKUlT_T0_E_clISt17integral_constantIbLb1EESY_IbLb0EEEEDaSU_SV_EUlSU_E_NS1_11comp_targetILNS1_3genE4ELNS1_11target_archE910ELNS1_3gpuE8ELNS1_3repE0EEENS1_30default_config_static_selectorELNS0_4arch9wavefront6targetE0EEEvT1_
                                        ; -- End function
	.set _ZN7rocprim17ROCPRIM_400000_NS6detail17trampoline_kernelINS0_14default_configENS1_27scan_by_key_config_selectorIxxEEZZNS1_16scan_by_key_implILNS1_25lookback_scan_determinismE0ELb1ES3_N6thrust23THRUST_200600_302600_NS6detail15normal_iteratorINS9_10device_ptrIxEEEESE_SE_xNS9_4plusIvEENS9_8equal_toIvEExEE10hipError_tPvRmT2_T3_T4_T5_mT6_T7_P12ihipStream_tbENKUlT_T0_E_clISt17integral_constantIbLb1EESY_IbLb0EEEEDaSU_SV_EUlSU_E_NS1_11comp_targetILNS1_3genE4ELNS1_11target_archE910ELNS1_3gpuE8ELNS1_3repE0EEENS1_30default_config_static_selectorELNS0_4arch9wavefront6targetE0EEEvT1_.num_vgpr, 0
	.set _ZN7rocprim17ROCPRIM_400000_NS6detail17trampoline_kernelINS0_14default_configENS1_27scan_by_key_config_selectorIxxEEZZNS1_16scan_by_key_implILNS1_25lookback_scan_determinismE0ELb1ES3_N6thrust23THRUST_200600_302600_NS6detail15normal_iteratorINS9_10device_ptrIxEEEESE_SE_xNS9_4plusIvEENS9_8equal_toIvEExEE10hipError_tPvRmT2_T3_T4_T5_mT6_T7_P12ihipStream_tbENKUlT_T0_E_clISt17integral_constantIbLb1EESY_IbLb0EEEEDaSU_SV_EUlSU_E_NS1_11comp_targetILNS1_3genE4ELNS1_11target_archE910ELNS1_3gpuE8ELNS1_3repE0EEENS1_30default_config_static_selectorELNS0_4arch9wavefront6targetE0EEEvT1_.num_agpr, 0
	.set _ZN7rocprim17ROCPRIM_400000_NS6detail17trampoline_kernelINS0_14default_configENS1_27scan_by_key_config_selectorIxxEEZZNS1_16scan_by_key_implILNS1_25lookback_scan_determinismE0ELb1ES3_N6thrust23THRUST_200600_302600_NS6detail15normal_iteratorINS9_10device_ptrIxEEEESE_SE_xNS9_4plusIvEENS9_8equal_toIvEExEE10hipError_tPvRmT2_T3_T4_T5_mT6_T7_P12ihipStream_tbENKUlT_T0_E_clISt17integral_constantIbLb1EESY_IbLb0EEEEDaSU_SV_EUlSU_E_NS1_11comp_targetILNS1_3genE4ELNS1_11target_archE910ELNS1_3gpuE8ELNS1_3repE0EEENS1_30default_config_static_selectorELNS0_4arch9wavefront6targetE0EEEvT1_.numbered_sgpr, 0
	.set _ZN7rocprim17ROCPRIM_400000_NS6detail17trampoline_kernelINS0_14default_configENS1_27scan_by_key_config_selectorIxxEEZZNS1_16scan_by_key_implILNS1_25lookback_scan_determinismE0ELb1ES3_N6thrust23THRUST_200600_302600_NS6detail15normal_iteratorINS9_10device_ptrIxEEEESE_SE_xNS9_4plusIvEENS9_8equal_toIvEExEE10hipError_tPvRmT2_T3_T4_T5_mT6_T7_P12ihipStream_tbENKUlT_T0_E_clISt17integral_constantIbLb1EESY_IbLb0EEEEDaSU_SV_EUlSU_E_NS1_11comp_targetILNS1_3genE4ELNS1_11target_archE910ELNS1_3gpuE8ELNS1_3repE0EEENS1_30default_config_static_selectorELNS0_4arch9wavefront6targetE0EEEvT1_.num_named_barrier, 0
	.set _ZN7rocprim17ROCPRIM_400000_NS6detail17trampoline_kernelINS0_14default_configENS1_27scan_by_key_config_selectorIxxEEZZNS1_16scan_by_key_implILNS1_25lookback_scan_determinismE0ELb1ES3_N6thrust23THRUST_200600_302600_NS6detail15normal_iteratorINS9_10device_ptrIxEEEESE_SE_xNS9_4plusIvEENS9_8equal_toIvEExEE10hipError_tPvRmT2_T3_T4_T5_mT6_T7_P12ihipStream_tbENKUlT_T0_E_clISt17integral_constantIbLb1EESY_IbLb0EEEEDaSU_SV_EUlSU_E_NS1_11comp_targetILNS1_3genE4ELNS1_11target_archE910ELNS1_3gpuE8ELNS1_3repE0EEENS1_30default_config_static_selectorELNS0_4arch9wavefront6targetE0EEEvT1_.private_seg_size, 0
	.set _ZN7rocprim17ROCPRIM_400000_NS6detail17trampoline_kernelINS0_14default_configENS1_27scan_by_key_config_selectorIxxEEZZNS1_16scan_by_key_implILNS1_25lookback_scan_determinismE0ELb1ES3_N6thrust23THRUST_200600_302600_NS6detail15normal_iteratorINS9_10device_ptrIxEEEESE_SE_xNS9_4plusIvEENS9_8equal_toIvEExEE10hipError_tPvRmT2_T3_T4_T5_mT6_T7_P12ihipStream_tbENKUlT_T0_E_clISt17integral_constantIbLb1EESY_IbLb0EEEEDaSU_SV_EUlSU_E_NS1_11comp_targetILNS1_3genE4ELNS1_11target_archE910ELNS1_3gpuE8ELNS1_3repE0EEENS1_30default_config_static_selectorELNS0_4arch9wavefront6targetE0EEEvT1_.uses_vcc, 0
	.set _ZN7rocprim17ROCPRIM_400000_NS6detail17trampoline_kernelINS0_14default_configENS1_27scan_by_key_config_selectorIxxEEZZNS1_16scan_by_key_implILNS1_25lookback_scan_determinismE0ELb1ES3_N6thrust23THRUST_200600_302600_NS6detail15normal_iteratorINS9_10device_ptrIxEEEESE_SE_xNS9_4plusIvEENS9_8equal_toIvEExEE10hipError_tPvRmT2_T3_T4_T5_mT6_T7_P12ihipStream_tbENKUlT_T0_E_clISt17integral_constantIbLb1EESY_IbLb0EEEEDaSU_SV_EUlSU_E_NS1_11comp_targetILNS1_3genE4ELNS1_11target_archE910ELNS1_3gpuE8ELNS1_3repE0EEENS1_30default_config_static_selectorELNS0_4arch9wavefront6targetE0EEEvT1_.uses_flat_scratch, 0
	.set _ZN7rocprim17ROCPRIM_400000_NS6detail17trampoline_kernelINS0_14default_configENS1_27scan_by_key_config_selectorIxxEEZZNS1_16scan_by_key_implILNS1_25lookback_scan_determinismE0ELb1ES3_N6thrust23THRUST_200600_302600_NS6detail15normal_iteratorINS9_10device_ptrIxEEEESE_SE_xNS9_4plusIvEENS9_8equal_toIvEExEE10hipError_tPvRmT2_T3_T4_T5_mT6_T7_P12ihipStream_tbENKUlT_T0_E_clISt17integral_constantIbLb1EESY_IbLb0EEEEDaSU_SV_EUlSU_E_NS1_11comp_targetILNS1_3genE4ELNS1_11target_archE910ELNS1_3gpuE8ELNS1_3repE0EEENS1_30default_config_static_selectorELNS0_4arch9wavefront6targetE0EEEvT1_.has_dyn_sized_stack, 0
	.set _ZN7rocprim17ROCPRIM_400000_NS6detail17trampoline_kernelINS0_14default_configENS1_27scan_by_key_config_selectorIxxEEZZNS1_16scan_by_key_implILNS1_25lookback_scan_determinismE0ELb1ES3_N6thrust23THRUST_200600_302600_NS6detail15normal_iteratorINS9_10device_ptrIxEEEESE_SE_xNS9_4plusIvEENS9_8equal_toIvEExEE10hipError_tPvRmT2_T3_T4_T5_mT6_T7_P12ihipStream_tbENKUlT_T0_E_clISt17integral_constantIbLb1EESY_IbLb0EEEEDaSU_SV_EUlSU_E_NS1_11comp_targetILNS1_3genE4ELNS1_11target_archE910ELNS1_3gpuE8ELNS1_3repE0EEENS1_30default_config_static_selectorELNS0_4arch9wavefront6targetE0EEEvT1_.has_recursion, 0
	.set _ZN7rocprim17ROCPRIM_400000_NS6detail17trampoline_kernelINS0_14default_configENS1_27scan_by_key_config_selectorIxxEEZZNS1_16scan_by_key_implILNS1_25lookback_scan_determinismE0ELb1ES3_N6thrust23THRUST_200600_302600_NS6detail15normal_iteratorINS9_10device_ptrIxEEEESE_SE_xNS9_4plusIvEENS9_8equal_toIvEExEE10hipError_tPvRmT2_T3_T4_T5_mT6_T7_P12ihipStream_tbENKUlT_T0_E_clISt17integral_constantIbLb1EESY_IbLb0EEEEDaSU_SV_EUlSU_E_NS1_11comp_targetILNS1_3genE4ELNS1_11target_archE910ELNS1_3gpuE8ELNS1_3repE0EEENS1_30default_config_static_selectorELNS0_4arch9wavefront6targetE0EEEvT1_.has_indirect_call, 0
	.section	.AMDGPU.csdata,"",@progbits
; Kernel info:
; codeLenInByte = 0
; TotalNumSgprs: 0
; NumVgprs: 0
; ScratchSize: 0
; MemoryBound: 0
; FloatMode: 240
; IeeeMode: 1
; LDSByteSize: 0 bytes/workgroup (compile time only)
; SGPRBlocks: 0
; VGPRBlocks: 0
; NumSGPRsForWavesPerEU: 1
; NumVGPRsForWavesPerEU: 1
; Occupancy: 16
; WaveLimiterHint : 0
; COMPUTE_PGM_RSRC2:SCRATCH_EN: 0
; COMPUTE_PGM_RSRC2:USER_SGPR: 6
; COMPUTE_PGM_RSRC2:TRAP_HANDLER: 0
; COMPUTE_PGM_RSRC2:TGID_X_EN: 1
; COMPUTE_PGM_RSRC2:TGID_Y_EN: 0
; COMPUTE_PGM_RSRC2:TGID_Z_EN: 0
; COMPUTE_PGM_RSRC2:TIDIG_COMP_CNT: 0
	.section	.text._ZN7rocprim17ROCPRIM_400000_NS6detail17trampoline_kernelINS0_14default_configENS1_27scan_by_key_config_selectorIxxEEZZNS1_16scan_by_key_implILNS1_25lookback_scan_determinismE0ELb1ES3_N6thrust23THRUST_200600_302600_NS6detail15normal_iteratorINS9_10device_ptrIxEEEESE_SE_xNS9_4plusIvEENS9_8equal_toIvEExEE10hipError_tPvRmT2_T3_T4_T5_mT6_T7_P12ihipStream_tbENKUlT_T0_E_clISt17integral_constantIbLb1EESY_IbLb0EEEEDaSU_SV_EUlSU_E_NS1_11comp_targetILNS1_3genE3ELNS1_11target_archE908ELNS1_3gpuE7ELNS1_3repE0EEENS1_30default_config_static_selectorELNS0_4arch9wavefront6targetE0EEEvT1_,"axG",@progbits,_ZN7rocprim17ROCPRIM_400000_NS6detail17trampoline_kernelINS0_14default_configENS1_27scan_by_key_config_selectorIxxEEZZNS1_16scan_by_key_implILNS1_25lookback_scan_determinismE0ELb1ES3_N6thrust23THRUST_200600_302600_NS6detail15normal_iteratorINS9_10device_ptrIxEEEESE_SE_xNS9_4plusIvEENS9_8equal_toIvEExEE10hipError_tPvRmT2_T3_T4_T5_mT6_T7_P12ihipStream_tbENKUlT_T0_E_clISt17integral_constantIbLb1EESY_IbLb0EEEEDaSU_SV_EUlSU_E_NS1_11comp_targetILNS1_3genE3ELNS1_11target_archE908ELNS1_3gpuE7ELNS1_3repE0EEENS1_30default_config_static_selectorELNS0_4arch9wavefront6targetE0EEEvT1_,comdat
	.protected	_ZN7rocprim17ROCPRIM_400000_NS6detail17trampoline_kernelINS0_14default_configENS1_27scan_by_key_config_selectorIxxEEZZNS1_16scan_by_key_implILNS1_25lookback_scan_determinismE0ELb1ES3_N6thrust23THRUST_200600_302600_NS6detail15normal_iteratorINS9_10device_ptrIxEEEESE_SE_xNS9_4plusIvEENS9_8equal_toIvEExEE10hipError_tPvRmT2_T3_T4_T5_mT6_T7_P12ihipStream_tbENKUlT_T0_E_clISt17integral_constantIbLb1EESY_IbLb0EEEEDaSU_SV_EUlSU_E_NS1_11comp_targetILNS1_3genE3ELNS1_11target_archE908ELNS1_3gpuE7ELNS1_3repE0EEENS1_30default_config_static_selectorELNS0_4arch9wavefront6targetE0EEEvT1_ ; -- Begin function _ZN7rocprim17ROCPRIM_400000_NS6detail17trampoline_kernelINS0_14default_configENS1_27scan_by_key_config_selectorIxxEEZZNS1_16scan_by_key_implILNS1_25lookback_scan_determinismE0ELb1ES3_N6thrust23THRUST_200600_302600_NS6detail15normal_iteratorINS9_10device_ptrIxEEEESE_SE_xNS9_4plusIvEENS9_8equal_toIvEExEE10hipError_tPvRmT2_T3_T4_T5_mT6_T7_P12ihipStream_tbENKUlT_T0_E_clISt17integral_constantIbLb1EESY_IbLb0EEEEDaSU_SV_EUlSU_E_NS1_11comp_targetILNS1_3genE3ELNS1_11target_archE908ELNS1_3gpuE7ELNS1_3repE0EEENS1_30default_config_static_selectorELNS0_4arch9wavefront6targetE0EEEvT1_
	.globl	_ZN7rocprim17ROCPRIM_400000_NS6detail17trampoline_kernelINS0_14default_configENS1_27scan_by_key_config_selectorIxxEEZZNS1_16scan_by_key_implILNS1_25lookback_scan_determinismE0ELb1ES3_N6thrust23THRUST_200600_302600_NS6detail15normal_iteratorINS9_10device_ptrIxEEEESE_SE_xNS9_4plusIvEENS9_8equal_toIvEExEE10hipError_tPvRmT2_T3_T4_T5_mT6_T7_P12ihipStream_tbENKUlT_T0_E_clISt17integral_constantIbLb1EESY_IbLb0EEEEDaSU_SV_EUlSU_E_NS1_11comp_targetILNS1_3genE3ELNS1_11target_archE908ELNS1_3gpuE7ELNS1_3repE0EEENS1_30default_config_static_selectorELNS0_4arch9wavefront6targetE0EEEvT1_
	.p2align	8
	.type	_ZN7rocprim17ROCPRIM_400000_NS6detail17trampoline_kernelINS0_14default_configENS1_27scan_by_key_config_selectorIxxEEZZNS1_16scan_by_key_implILNS1_25lookback_scan_determinismE0ELb1ES3_N6thrust23THRUST_200600_302600_NS6detail15normal_iteratorINS9_10device_ptrIxEEEESE_SE_xNS9_4plusIvEENS9_8equal_toIvEExEE10hipError_tPvRmT2_T3_T4_T5_mT6_T7_P12ihipStream_tbENKUlT_T0_E_clISt17integral_constantIbLb1EESY_IbLb0EEEEDaSU_SV_EUlSU_E_NS1_11comp_targetILNS1_3genE3ELNS1_11target_archE908ELNS1_3gpuE7ELNS1_3repE0EEENS1_30default_config_static_selectorELNS0_4arch9wavefront6targetE0EEEvT1_,@function
_ZN7rocprim17ROCPRIM_400000_NS6detail17trampoline_kernelINS0_14default_configENS1_27scan_by_key_config_selectorIxxEEZZNS1_16scan_by_key_implILNS1_25lookback_scan_determinismE0ELb1ES3_N6thrust23THRUST_200600_302600_NS6detail15normal_iteratorINS9_10device_ptrIxEEEESE_SE_xNS9_4plusIvEENS9_8equal_toIvEExEE10hipError_tPvRmT2_T3_T4_T5_mT6_T7_P12ihipStream_tbENKUlT_T0_E_clISt17integral_constantIbLb1EESY_IbLb0EEEEDaSU_SV_EUlSU_E_NS1_11comp_targetILNS1_3genE3ELNS1_11target_archE908ELNS1_3gpuE7ELNS1_3repE0EEENS1_30default_config_static_selectorELNS0_4arch9wavefront6targetE0EEEvT1_: ; @_ZN7rocprim17ROCPRIM_400000_NS6detail17trampoline_kernelINS0_14default_configENS1_27scan_by_key_config_selectorIxxEEZZNS1_16scan_by_key_implILNS1_25lookback_scan_determinismE0ELb1ES3_N6thrust23THRUST_200600_302600_NS6detail15normal_iteratorINS9_10device_ptrIxEEEESE_SE_xNS9_4plusIvEENS9_8equal_toIvEExEE10hipError_tPvRmT2_T3_T4_T5_mT6_T7_P12ihipStream_tbENKUlT_T0_E_clISt17integral_constantIbLb1EESY_IbLb0EEEEDaSU_SV_EUlSU_E_NS1_11comp_targetILNS1_3genE3ELNS1_11target_archE908ELNS1_3gpuE7ELNS1_3repE0EEENS1_30default_config_static_selectorELNS0_4arch9wavefront6targetE0EEEvT1_
; %bb.0:
	.section	.rodata,"a",@progbits
	.p2align	6, 0x0
	.amdhsa_kernel _ZN7rocprim17ROCPRIM_400000_NS6detail17trampoline_kernelINS0_14default_configENS1_27scan_by_key_config_selectorIxxEEZZNS1_16scan_by_key_implILNS1_25lookback_scan_determinismE0ELb1ES3_N6thrust23THRUST_200600_302600_NS6detail15normal_iteratorINS9_10device_ptrIxEEEESE_SE_xNS9_4plusIvEENS9_8equal_toIvEExEE10hipError_tPvRmT2_T3_T4_T5_mT6_T7_P12ihipStream_tbENKUlT_T0_E_clISt17integral_constantIbLb1EESY_IbLb0EEEEDaSU_SV_EUlSU_E_NS1_11comp_targetILNS1_3genE3ELNS1_11target_archE908ELNS1_3gpuE7ELNS1_3repE0EEENS1_30default_config_static_selectorELNS0_4arch9wavefront6targetE0EEEvT1_
		.amdhsa_group_segment_fixed_size 0
		.amdhsa_private_segment_fixed_size 0
		.amdhsa_kernarg_size 136
		.amdhsa_user_sgpr_count 6
		.amdhsa_user_sgpr_private_segment_buffer 1
		.amdhsa_user_sgpr_dispatch_ptr 0
		.amdhsa_user_sgpr_queue_ptr 0
		.amdhsa_user_sgpr_kernarg_segment_ptr 1
		.amdhsa_user_sgpr_dispatch_id 0
		.amdhsa_user_sgpr_flat_scratch_init 0
		.amdhsa_user_sgpr_private_segment_size 0
		.amdhsa_wavefront_size32 1
		.amdhsa_uses_dynamic_stack 0
		.amdhsa_system_sgpr_private_segment_wavefront_offset 0
		.amdhsa_system_sgpr_workgroup_id_x 1
		.amdhsa_system_sgpr_workgroup_id_y 0
		.amdhsa_system_sgpr_workgroup_id_z 0
		.amdhsa_system_sgpr_workgroup_info 0
		.amdhsa_system_vgpr_workitem_id 0
		.amdhsa_next_free_vgpr 1
		.amdhsa_next_free_sgpr 1
		.amdhsa_reserve_vcc 0
		.amdhsa_reserve_flat_scratch 0
		.amdhsa_float_round_mode_32 0
		.amdhsa_float_round_mode_16_64 0
		.amdhsa_float_denorm_mode_32 3
		.amdhsa_float_denorm_mode_16_64 3
		.amdhsa_dx10_clamp 1
		.amdhsa_ieee_mode 1
		.amdhsa_fp16_overflow 0
		.amdhsa_workgroup_processor_mode 1
		.amdhsa_memory_ordered 1
		.amdhsa_forward_progress 1
		.amdhsa_shared_vgpr_count 0
		.amdhsa_exception_fp_ieee_invalid_op 0
		.amdhsa_exception_fp_denorm_src 0
		.amdhsa_exception_fp_ieee_div_zero 0
		.amdhsa_exception_fp_ieee_overflow 0
		.amdhsa_exception_fp_ieee_underflow 0
		.amdhsa_exception_fp_ieee_inexact 0
		.amdhsa_exception_int_div_zero 0
	.end_amdhsa_kernel
	.section	.text._ZN7rocprim17ROCPRIM_400000_NS6detail17trampoline_kernelINS0_14default_configENS1_27scan_by_key_config_selectorIxxEEZZNS1_16scan_by_key_implILNS1_25lookback_scan_determinismE0ELb1ES3_N6thrust23THRUST_200600_302600_NS6detail15normal_iteratorINS9_10device_ptrIxEEEESE_SE_xNS9_4plusIvEENS9_8equal_toIvEExEE10hipError_tPvRmT2_T3_T4_T5_mT6_T7_P12ihipStream_tbENKUlT_T0_E_clISt17integral_constantIbLb1EESY_IbLb0EEEEDaSU_SV_EUlSU_E_NS1_11comp_targetILNS1_3genE3ELNS1_11target_archE908ELNS1_3gpuE7ELNS1_3repE0EEENS1_30default_config_static_selectorELNS0_4arch9wavefront6targetE0EEEvT1_,"axG",@progbits,_ZN7rocprim17ROCPRIM_400000_NS6detail17trampoline_kernelINS0_14default_configENS1_27scan_by_key_config_selectorIxxEEZZNS1_16scan_by_key_implILNS1_25lookback_scan_determinismE0ELb1ES3_N6thrust23THRUST_200600_302600_NS6detail15normal_iteratorINS9_10device_ptrIxEEEESE_SE_xNS9_4plusIvEENS9_8equal_toIvEExEE10hipError_tPvRmT2_T3_T4_T5_mT6_T7_P12ihipStream_tbENKUlT_T0_E_clISt17integral_constantIbLb1EESY_IbLb0EEEEDaSU_SV_EUlSU_E_NS1_11comp_targetILNS1_3genE3ELNS1_11target_archE908ELNS1_3gpuE7ELNS1_3repE0EEENS1_30default_config_static_selectorELNS0_4arch9wavefront6targetE0EEEvT1_,comdat
.Lfunc_end375:
	.size	_ZN7rocprim17ROCPRIM_400000_NS6detail17trampoline_kernelINS0_14default_configENS1_27scan_by_key_config_selectorIxxEEZZNS1_16scan_by_key_implILNS1_25lookback_scan_determinismE0ELb1ES3_N6thrust23THRUST_200600_302600_NS6detail15normal_iteratorINS9_10device_ptrIxEEEESE_SE_xNS9_4plusIvEENS9_8equal_toIvEExEE10hipError_tPvRmT2_T3_T4_T5_mT6_T7_P12ihipStream_tbENKUlT_T0_E_clISt17integral_constantIbLb1EESY_IbLb0EEEEDaSU_SV_EUlSU_E_NS1_11comp_targetILNS1_3genE3ELNS1_11target_archE908ELNS1_3gpuE7ELNS1_3repE0EEENS1_30default_config_static_selectorELNS0_4arch9wavefront6targetE0EEEvT1_, .Lfunc_end375-_ZN7rocprim17ROCPRIM_400000_NS6detail17trampoline_kernelINS0_14default_configENS1_27scan_by_key_config_selectorIxxEEZZNS1_16scan_by_key_implILNS1_25lookback_scan_determinismE0ELb1ES3_N6thrust23THRUST_200600_302600_NS6detail15normal_iteratorINS9_10device_ptrIxEEEESE_SE_xNS9_4plusIvEENS9_8equal_toIvEExEE10hipError_tPvRmT2_T3_T4_T5_mT6_T7_P12ihipStream_tbENKUlT_T0_E_clISt17integral_constantIbLb1EESY_IbLb0EEEEDaSU_SV_EUlSU_E_NS1_11comp_targetILNS1_3genE3ELNS1_11target_archE908ELNS1_3gpuE7ELNS1_3repE0EEENS1_30default_config_static_selectorELNS0_4arch9wavefront6targetE0EEEvT1_
                                        ; -- End function
	.set _ZN7rocprim17ROCPRIM_400000_NS6detail17trampoline_kernelINS0_14default_configENS1_27scan_by_key_config_selectorIxxEEZZNS1_16scan_by_key_implILNS1_25lookback_scan_determinismE0ELb1ES3_N6thrust23THRUST_200600_302600_NS6detail15normal_iteratorINS9_10device_ptrIxEEEESE_SE_xNS9_4plusIvEENS9_8equal_toIvEExEE10hipError_tPvRmT2_T3_T4_T5_mT6_T7_P12ihipStream_tbENKUlT_T0_E_clISt17integral_constantIbLb1EESY_IbLb0EEEEDaSU_SV_EUlSU_E_NS1_11comp_targetILNS1_3genE3ELNS1_11target_archE908ELNS1_3gpuE7ELNS1_3repE0EEENS1_30default_config_static_selectorELNS0_4arch9wavefront6targetE0EEEvT1_.num_vgpr, 0
	.set _ZN7rocprim17ROCPRIM_400000_NS6detail17trampoline_kernelINS0_14default_configENS1_27scan_by_key_config_selectorIxxEEZZNS1_16scan_by_key_implILNS1_25lookback_scan_determinismE0ELb1ES3_N6thrust23THRUST_200600_302600_NS6detail15normal_iteratorINS9_10device_ptrIxEEEESE_SE_xNS9_4plusIvEENS9_8equal_toIvEExEE10hipError_tPvRmT2_T3_T4_T5_mT6_T7_P12ihipStream_tbENKUlT_T0_E_clISt17integral_constantIbLb1EESY_IbLb0EEEEDaSU_SV_EUlSU_E_NS1_11comp_targetILNS1_3genE3ELNS1_11target_archE908ELNS1_3gpuE7ELNS1_3repE0EEENS1_30default_config_static_selectorELNS0_4arch9wavefront6targetE0EEEvT1_.num_agpr, 0
	.set _ZN7rocprim17ROCPRIM_400000_NS6detail17trampoline_kernelINS0_14default_configENS1_27scan_by_key_config_selectorIxxEEZZNS1_16scan_by_key_implILNS1_25lookback_scan_determinismE0ELb1ES3_N6thrust23THRUST_200600_302600_NS6detail15normal_iteratorINS9_10device_ptrIxEEEESE_SE_xNS9_4plusIvEENS9_8equal_toIvEExEE10hipError_tPvRmT2_T3_T4_T5_mT6_T7_P12ihipStream_tbENKUlT_T0_E_clISt17integral_constantIbLb1EESY_IbLb0EEEEDaSU_SV_EUlSU_E_NS1_11comp_targetILNS1_3genE3ELNS1_11target_archE908ELNS1_3gpuE7ELNS1_3repE0EEENS1_30default_config_static_selectorELNS0_4arch9wavefront6targetE0EEEvT1_.numbered_sgpr, 0
	.set _ZN7rocprim17ROCPRIM_400000_NS6detail17trampoline_kernelINS0_14default_configENS1_27scan_by_key_config_selectorIxxEEZZNS1_16scan_by_key_implILNS1_25lookback_scan_determinismE0ELb1ES3_N6thrust23THRUST_200600_302600_NS6detail15normal_iteratorINS9_10device_ptrIxEEEESE_SE_xNS9_4plusIvEENS9_8equal_toIvEExEE10hipError_tPvRmT2_T3_T4_T5_mT6_T7_P12ihipStream_tbENKUlT_T0_E_clISt17integral_constantIbLb1EESY_IbLb0EEEEDaSU_SV_EUlSU_E_NS1_11comp_targetILNS1_3genE3ELNS1_11target_archE908ELNS1_3gpuE7ELNS1_3repE0EEENS1_30default_config_static_selectorELNS0_4arch9wavefront6targetE0EEEvT1_.num_named_barrier, 0
	.set _ZN7rocprim17ROCPRIM_400000_NS6detail17trampoline_kernelINS0_14default_configENS1_27scan_by_key_config_selectorIxxEEZZNS1_16scan_by_key_implILNS1_25lookback_scan_determinismE0ELb1ES3_N6thrust23THRUST_200600_302600_NS6detail15normal_iteratorINS9_10device_ptrIxEEEESE_SE_xNS9_4plusIvEENS9_8equal_toIvEExEE10hipError_tPvRmT2_T3_T4_T5_mT6_T7_P12ihipStream_tbENKUlT_T0_E_clISt17integral_constantIbLb1EESY_IbLb0EEEEDaSU_SV_EUlSU_E_NS1_11comp_targetILNS1_3genE3ELNS1_11target_archE908ELNS1_3gpuE7ELNS1_3repE0EEENS1_30default_config_static_selectorELNS0_4arch9wavefront6targetE0EEEvT1_.private_seg_size, 0
	.set _ZN7rocprim17ROCPRIM_400000_NS6detail17trampoline_kernelINS0_14default_configENS1_27scan_by_key_config_selectorIxxEEZZNS1_16scan_by_key_implILNS1_25lookback_scan_determinismE0ELb1ES3_N6thrust23THRUST_200600_302600_NS6detail15normal_iteratorINS9_10device_ptrIxEEEESE_SE_xNS9_4plusIvEENS9_8equal_toIvEExEE10hipError_tPvRmT2_T3_T4_T5_mT6_T7_P12ihipStream_tbENKUlT_T0_E_clISt17integral_constantIbLb1EESY_IbLb0EEEEDaSU_SV_EUlSU_E_NS1_11comp_targetILNS1_3genE3ELNS1_11target_archE908ELNS1_3gpuE7ELNS1_3repE0EEENS1_30default_config_static_selectorELNS0_4arch9wavefront6targetE0EEEvT1_.uses_vcc, 0
	.set _ZN7rocprim17ROCPRIM_400000_NS6detail17trampoline_kernelINS0_14default_configENS1_27scan_by_key_config_selectorIxxEEZZNS1_16scan_by_key_implILNS1_25lookback_scan_determinismE0ELb1ES3_N6thrust23THRUST_200600_302600_NS6detail15normal_iteratorINS9_10device_ptrIxEEEESE_SE_xNS9_4plusIvEENS9_8equal_toIvEExEE10hipError_tPvRmT2_T3_T4_T5_mT6_T7_P12ihipStream_tbENKUlT_T0_E_clISt17integral_constantIbLb1EESY_IbLb0EEEEDaSU_SV_EUlSU_E_NS1_11comp_targetILNS1_3genE3ELNS1_11target_archE908ELNS1_3gpuE7ELNS1_3repE0EEENS1_30default_config_static_selectorELNS0_4arch9wavefront6targetE0EEEvT1_.uses_flat_scratch, 0
	.set _ZN7rocprim17ROCPRIM_400000_NS6detail17trampoline_kernelINS0_14default_configENS1_27scan_by_key_config_selectorIxxEEZZNS1_16scan_by_key_implILNS1_25lookback_scan_determinismE0ELb1ES3_N6thrust23THRUST_200600_302600_NS6detail15normal_iteratorINS9_10device_ptrIxEEEESE_SE_xNS9_4plusIvEENS9_8equal_toIvEExEE10hipError_tPvRmT2_T3_T4_T5_mT6_T7_P12ihipStream_tbENKUlT_T0_E_clISt17integral_constantIbLb1EESY_IbLb0EEEEDaSU_SV_EUlSU_E_NS1_11comp_targetILNS1_3genE3ELNS1_11target_archE908ELNS1_3gpuE7ELNS1_3repE0EEENS1_30default_config_static_selectorELNS0_4arch9wavefront6targetE0EEEvT1_.has_dyn_sized_stack, 0
	.set _ZN7rocprim17ROCPRIM_400000_NS6detail17trampoline_kernelINS0_14default_configENS1_27scan_by_key_config_selectorIxxEEZZNS1_16scan_by_key_implILNS1_25lookback_scan_determinismE0ELb1ES3_N6thrust23THRUST_200600_302600_NS6detail15normal_iteratorINS9_10device_ptrIxEEEESE_SE_xNS9_4plusIvEENS9_8equal_toIvEExEE10hipError_tPvRmT2_T3_T4_T5_mT6_T7_P12ihipStream_tbENKUlT_T0_E_clISt17integral_constantIbLb1EESY_IbLb0EEEEDaSU_SV_EUlSU_E_NS1_11comp_targetILNS1_3genE3ELNS1_11target_archE908ELNS1_3gpuE7ELNS1_3repE0EEENS1_30default_config_static_selectorELNS0_4arch9wavefront6targetE0EEEvT1_.has_recursion, 0
	.set _ZN7rocprim17ROCPRIM_400000_NS6detail17trampoline_kernelINS0_14default_configENS1_27scan_by_key_config_selectorIxxEEZZNS1_16scan_by_key_implILNS1_25lookback_scan_determinismE0ELb1ES3_N6thrust23THRUST_200600_302600_NS6detail15normal_iteratorINS9_10device_ptrIxEEEESE_SE_xNS9_4plusIvEENS9_8equal_toIvEExEE10hipError_tPvRmT2_T3_T4_T5_mT6_T7_P12ihipStream_tbENKUlT_T0_E_clISt17integral_constantIbLb1EESY_IbLb0EEEEDaSU_SV_EUlSU_E_NS1_11comp_targetILNS1_3genE3ELNS1_11target_archE908ELNS1_3gpuE7ELNS1_3repE0EEENS1_30default_config_static_selectorELNS0_4arch9wavefront6targetE0EEEvT1_.has_indirect_call, 0
	.section	.AMDGPU.csdata,"",@progbits
; Kernel info:
; codeLenInByte = 0
; TotalNumSgprs: 0
; NumVgprs: 0
; ScratchSize: 0
; MemoryBound: 0
; FloatMode: 240
; IeeeMode: 1
; LDSByteSize: 0 bytes/workgroup (compile time only)
; SGPRBlocks: 0
; VGPRBlocks: 0
; NumSGPRsForWavesPerEU: 1
; NumVGPRsForWavesPerEU: 1
; Occupancy: 16
; WaveLimiterHint : 0
; COMPUTE_PGM_RSRC2:SCRATCH_EN: 0
; COMPUTE_PGM_RSRC2:USER_SGPR: 6
; COMPUTE_PGM_RSRC2:TRAP_HANDLER: 0
; COMPUTE_PGM_RSRC2:TGID_X_EN: 1
; COMPUTE_PGM_RSRC2:TGID_Y_EN: 0
; COMPUTE_PGM_RSRC2:TGID_Z_EN: 0
; COMPUTE_PGM_RSRC2:TIDIG_COMP_CNT: 0
	.section	.text._ZN7rocprim17ROCPRIM_400000_NS6detail17trampoline_kernelINS0_14default_configENS1_27scan_by_key_config_selectorIxxEEZZNS1_16scan_by_key_implILNS1_25lookback_scan_determinismE0ELb1ES3_N6thrust23THRUST_200600_302600_NS6detail15normal_iteratorINS9_10device_ptrIxEEEESE_SE_xNS9_4plusIvEENS9_8equal_toIvEExEE10hipError_tPvRmT2_T3_T4_T5_mT6_T7_P12ihipStream_tbENKUlT_T0_E_clISt17integral_constantIbLb1EESY_IbLb0EEEEDaSU_SV_EUlSU_E_NS1_11comp_targetILNS1_3genE2ELNS1_11target_archE906ELNS1_3gpuE6ELNS1_3repE0EEENS1_30default_config_static_selectorELNS0_4arch9wavefront6targetE0EEEvT1_,"axG",@progbits,_ZN7rocprim17ROCPRIM_400000_NS6detail17trampoline_kernelINS0_14default_configENS1_27scan_by_key_config_selectorIxxEEZZNS1_16scan_by_key_implILNS1_25lookback_scan_determinismE0ELb1ES3_N6thrust23THRUST_200600_302600_NS6detail15normal_iteratorINS9_10device_ptrIxEEEESE_SE_xNS9_4plusIvEENS9_8equal_toIvEExEE10hipError_tPvRmT2_T3_T4_T5_mT6_T7_P12ihipStream_tbENKUlT_T0_E_clISt17integral_constantIbLb1EESY_IbLb0EEEEDaSU_SV_EUlSU_E_NS1_11comp_targetILNS1_3genE2ELNS1_11target_archE906ELNS1_3gpuE6ELNS1_3repE0EEENS1_30default_config_static_selectorELNS0_4arch9wavefront6targetE0EEEvT1_,comdat
	.protected	_ZN7rocprim17ROCPRIM_400000_NS6detail17trampoline_kernelINS0_14default_configENS1_27scan_by_key_config_selectorIxxEEZZNS1_16scan_by_key_implILNS1_25lookback_scan_determinismE0ELb1ES3_N6thrust23THRUST_200600_302600_NS6detail15normal_iteratorINS9_10device_ptrIxEEEESE_SE_xNS9_4plusIvEENS9_8equal_toIvEExEE10hipError_tPvRmT2_T3_T4_T5_mT6_T7_P12ihipStream_tbENKUlT_T0_E_clISt17integral_constantIbLb1EESY_IbLb0EEEEDaSU_SV_EUlSU_E_NS1_11comp_targetILNS1_3genE2ELNS1_11target_archE906ELNS1_3gpuE6ELNS1_3repE0EEENS1_30default_config_static_selectorELNS0_4arch9wavefront6targetE0EEEvT1_ ; -- Begin function _ZN7rocprim17ROCPRIM_400000_NS6detail17trampoline_kernelINS0_14default_configENS1_27scan_by_key_config_selectorIxxEEZZNS1_16scan_by_key_implILNS1_25lookback_scan_determinismE0ELb1ES3_N6thrust23THRUST_200600_302600_NS6detail15normal_iteratorINS9_10device_ptrIxEEEESE_SE_xNS9_4plusIvEENS9_8equal_toIvEExEE10hipError_tPvRmT2_T3_T4_T5_mT6_T7_P12ihipStream_tbENKUlT_T0_E_clISt17integral_constantIbLb1EESY_IbLb0EEEEDaSU_SV_EUlSU_E_NS1_11comp_targetILNS1_3genE2ELNS1_11target_archE906ELNS1_3gpuE6ELNS1_3repE0EEENS1_30default_config_static_selectorELNS0_4arch9wavefront6targetE0EEEvT1_
	.globl	_ZN7rocprim17ROCPRIM_400000_NS6detail17trampoline_kernelINS0_14default_configENS1_27scan_by_key_config_selectorIxxEEZZNS1_16scan_by_key_implILNS1_25lookback_scan_determinismE0ELb1ES3_N6thrust23THRUST_200600_302600_NS6detail15normal_iteratorINS9_10device_ptrIxEEEESE_SE_xNS9_4plusIvEENS9_8equal_toIvEExEE10hipError_tPvRmT2_T3_T4_T5_mT6_T7_P12ihipStream_tbENKUlT_T0_E_clISt17integral_constantIbLb1EESY_IbLb0EEEEDaSU_SV_EUlSU_E_NS1_11comp_targetILNS1_3genE2ELNS1_11target_archE906ELNS1_3gpuE6ELNS1_3repE0EEENS1_30default_config_static_selectorELNS0_4arch9wavefront6targetE0EEEvT1_
	.p2align	8
	.type	_ZN7rocprim17ROCPRIM_400000_NS6detail17trampoline_kernelINS0_14default_configENS1_27scan_by_key_config_selectorIxxEEZZNS1_16scan_by_key_implILNS1_25lookback_scan_determinismE0ELb1ES3_N6thrust23THRUST_200600_302600_NS6detail15normal_iteratorINS9_10device_ptrIxEEEESE_SE_xNS9_4plusIvEENS9_8equal_toIvEExEE10hipError_tPvRmT2_T3_T4_T5_mT6_T7_P12ihipStream_tbENKUlT_T0_E_clISt17integral_constantIbLb1EESY_IbLb0EEEEDaSU_SV_EUlSU_E_NS1_11comp_targetILNS1_3genE2ELNS1_11target_archE906ELNS1_3gpuE6ELNS1_3repE0EEENS1_30default_config_static_selectorELNS0_4arch9wavefront6targetE0EEEvT1_,@function
_ZN7rocprim17ROCPRIM_400000_NS6detail17trampoline_kernelINS0_14default_configENS1_27scan_by_key_config_selectorIxxEEZZNS1_16scan_by_key_implILNS1_25lookback_scan_determinismE0ELb1ES3_N6thrust23THRUST_200600_302600_NS6detail15normal_iteratorINS9_10device_ptrIxEEEESE_SE_xNS9_4plusIvEENS9_8equal_toIvEExEE10hipError_tPvRmT2_T3_T4_T5_mT6_T7_P12ihipStream_tbENKUlT_T0_E_clISt17integral_constantIbLb1EESY_IbLb0EEEEDaSU_SV_EUlSU_E_NS1_11comp_targetILNS1_3genE2ELNS1_11target_archE906ELNS1_3gpuE6ELNS1_3repE0EEENS1_30default_config_static_selectorELNS0_4arch9wavefront6targetE0EEEvT1_: ; @_ZN7rocprim17ROCPRIM_400000_NS6detail17trampoline_kernelINS0_14default_configENS1_27scan_by_key_config_selectorIxxEEZZNS1_16scan_by_key_implILNS1_25lookback_scan_determinismE0ELb1ES3_N6thrust23THRUST_200600_302600_NS6detail15normal_iteratorINS9_10device_ptrIxEEEESE_SE_xNS9_4plusIvEENS9_8equal_toIvEExEE10hipError_tPvRmT2_T3_T4_T5_mT6_T7_P12ihipStream_tbENKUlT_T0_E_clISt17integral_constantIbLb1EESY_IbLb0EEEEDaSU_SV_EUlSU_E_NS1_11comp_targetILNS1_3genE2ELNS1_11target_archE906ELNS1_3gpuE6ELNS1_3repE0EEENS1_30default_config_static_selectorELNS0_4arch9wavefront6targetE0EEEvT1_
; %bb.0:
	.section	.rodata,"a",@progbits
	.p2align	6, 0x0
	.amdhsa_kernel _ZN7rocprim17ROCPRIM_400000_NS6detail17trampoline_kernelINS0_14default_configENS1_27scan_by_key_config_selectorIxxEEZZNS1_16scan_by_key_implILNS1_25lookback_scan_determinismE0ELb1ES3_N6thrust23THRUST_200600_302600_NS6detail15normal_iteratorINS9_10device_ptrIxEEEESE_SE_xNS9_4plusIvEENS9_8equal_toIvEExEE10hipError_tPvRmT2_T3_T4_T5_mT6_T7_P12ihipStream_tbENKUlT_T0_E_clISt17integral_constantIbLb1EESY_IbLb0EEEEDaSU_SV_EUlSU_E_NS1_11comp_targetILNS1_3genE2ELNS1_11target_archE906ELNS1_3gpuE6ELNS1_3repE0EEENS1_30default_config_static_selectorELNS0_4arch9wavefront6targetE0EEEvT1_
		.amdhsa_group_segment_fixed_size 0
		.amdhsa_private_segment_fixed_size 0
		.amdhsa_kernarg_size 136
		.amdhsa_user_sgpr_count 6
		.amdhsa_user_sgpr_private_segment_buffer 1
		.amdhsa_user_sgpr_dispatch_ptr 0
		.amdhsa_user_sgpr_queue_ptr 0
		.amdhsa_user_sgpr_kernarg_segment_ptr 1
		.amdhsa_user_sgpr_dispatch_id 0
		.amdhsa_user_sgpr_flat_scratch_init 0
		.amdhsa_user_sgpr_private_segment_size 0
		.amdhsa_wavefront_size32 1
		.amdhsa_uses_dynamic_stack 0
		.amdhsa_system_sgpr_private_segment_wavefront_offset 0
		.amdhsa_system_sgpr_workgroup_id_x 1
		.amdhsa_system_sgpr_workgroup_id_y 0
		.amdhsa_system_sgpr_workgroup_id_z 0
		.amdhsa_system_sgpr_workgroup_info 0
		.amdhsa_system_vgpr_workitem_id 0
		.amdhsa_next_free_vgpr 1
		.amdhsa_next_free_sgpr 1
		.amdhsa_reserve_vcc 0
		.amdhsa_reserve_flat_scratch 0
		.amdhsa_float_round_mode_32 0
		.amdhsa_float_round_mode_16_64 0
		.amdhsa_float_denorm_mode_32 3
		.amdhsa_float_denorm_mode_16_64 3
		.amdhsa_dx10_clamp 1
		.amdhsa_ieee_mode 1
		.amdhsa_fp16_overflow 0
		.amdhsa_workgroup_processor_mode 1
		.amdhsa_memory_ordered 1
		.amdhsa_forward_progress 1
		.amdhsa_shared_vgpr_count 0
		.amdhsa_exception_fp_ieee_invalid_op 0
		.amdhsa_exception_fp_denorm_src 0
		.amdhsa_exception_fp_ieee_div_zero 0
		.amdhsa_exception_fp_ieee_overflow 0
		.amdhsa_exception_fp_ieee_underflow 0
		.amdhsa_exception_fp_ieee_inexact 0
		.amdhsa_exception_int_div_zero 0
	.end_amdhsa_kernel
	.section	.text._ZN7rocprim17ROCPRIM_400000_NS6detail17trampoline_kernelINS0_14default_configENS1_27scan_by_key_config_selectorIxxEEZZNS1_16scan_by_key_implILNS1_25lookback_scan_determinismE0ELb1ES3_N6thrust23THRUST_200600_302600_NS6detail15normal_iteratorINS9_10device_ptrIxEEEESE_SE_xNS9_4plusIvEENS9_8equal_toIvEExEE10hipError_tPvRmT2_T3_T4_T5_mT6_T7_P12ihipStream_tbENKUlT_T0_E_clISt17integral_constantIbLb1EESY_IbLb0EEEEDaSU_SV_EUlSU_E_NS1_11comp_targetILNS1_3genE2ELNS1_11target_archE906ELNS1_3gpuE6ELNS1_3repE0EEENS1_30default_config_static_selectorELNS0_4arch9wavefront6targetE0EEEvT1_,"axG",@progbits,_ZN7rocprim17ROCPRIM_400000_NS6detail17trampoline_kernelINS0_14default_configENS1_27scan_by_key_config_selectorIxxEEZZNS1_16scan_by_key_implILNS1_25lookback_scan_determinismE0ELb1ES3_N6thrust23THRUST_200600_302600_NS6detail15normal_iteratorINS9_10device_ptrIxEEEESE_SE_xNS9_4plusIvEENS9_8equal_toIvEExEE10hipError_tPvRmT2_T3_T4_T5_mT6_T7_P12ihipStream_tbENKUlT_T0_E_clISt17integral_constantIbLb1EESY_IbLb0EEEEDaSU_SV_EUlSU_E_NS1_11comp_targetILNS1_3genE2ELNS1_11target_archE906ELNS1_3gpuE6ELNS1_3repE0EEENS1_30default_config_static_selectorELNS0_4arch9wavefront6targetE0EEEvT1_,comdat
.Lfunc_end376:
	.size	_ZN7rocprim17ROCPRIM_400000_NS6detail17trampoline_kernelINS0_14default_configENS1_27scan_by_key_config_selectorIxxEEZZNS1_16scan_by_key_implILNS1_25lookback_scan_determinismE0ELb1ES3_N6thrust23THRUST_200600_302600_NS6detail15normal_iteratorINS9_10device_ptrIxEEEESE_SE_xNS9_4plusIvEENS9_8equal_toIvEExEE10hipError_tPvRmT2_T3_T4_T5_mT6_T7_P12ihipStream_tbENKUlT_T0_E_clISt17integral_constantIbLb1EESY_IbLb0EEEEDaSU_SV_EUlSU_E_NS1_11comp_targetILNS1_3genE2ELNS1_11target_archE906ELNS1_3gpuE6ELNS1_3repE0EEENS1_30default_config_static_selectorELNS0_4arch9wavefront6targetE0EEEvT1_, .Lfunc_end376-_ZN7rocprim17ROCPRIM_400000_NS6detail17trampoline_kernelINS0_14default_configENS1_27scan_by_key_config_selectorIxxEEZZNS1_16scan_by_key_implILNS1_25lookback_scan_determinismE0ELb1ES3_N6thrust23THRUST_200600_302600_NS6detail15normal_iteratorINS9_10device_ptrIxEEEESE_SE_xNS9_4plusIvEENS9_8equal_toIvEExEE10hipError_tPvRmT2_T3_T4_T5_mT6_T7_P12ihipStream_tbENKUlT_T0_E_clISt17integral_constantIbLb1EESY_IbLb0EEEEDaSU_SV_EUlSU_E_NS1_11comp_targetILNS1_3genE2ELNS1_11target_archE906ELNS1_3gpuE6ELNS1_3repE0EEENS1_30default_config_static_selectorELNS0_4arch9wavefront6targetE0EEEvT1_
                                        ; -- End function
	.set _ZN7rocprim17ROCPRIM_400000_NS6detail17trampoline_kernelINS0_14default_configENS1_27scan_by_key_config_selectorIxxEEZZNS1_16scan_by_key_implILNS1_25lookback_scan_determinismE0ELb1ES3_N6thrust23THRUST_200600_302600_NS6detail15normal_iteratorINS9_10device_ptrIxEEEESE_SE_xNS9_4plusIvEENS9_8equal_toIvEExEE10hipError_tPvRmT2_T3_T4_T5_mT6_T7_P12ihipStream_tbENKUlT_T0_E_clISt17integral_constantIbLb1EESY_IbLb0EEEEDaSU_SV_EUlSU_E_NS1_11comp_targetILNS1_3genE2ELNS1_11target_archE906ELNS1_3gpuE6ELNS1_3repE0EEENS1_30default_config_static_selectorELNS0_4arch9wavefront6targetE0EEEvT1_.num_vgpr, 0
	.set _ZN7rocprim17ROCPRIM_400000_NS6detail17trampoline_kernelINS0_14default_configENS1_27scan_by_key_config_selectorIxxEEZZNS1_16scan_by_key_implILNS1_25lookback_scan_determinismE0ELb1ES3_N6thrust23THRUST_200600_302600_NS6detail15normal_iteratorINS9_10device_ptrIxEEEESE_SE_xNS9_4plusIvEENS9_8equal_toIvEExEE10hipError_tPvRmT2_T3_T4_T5_mT6_T7_P12ihipStream_tbENKUlT_T0_E_clISt17integral_constantIbLb1EESY_IbLb0EEEEDaSU_SV_EUlSU_E_NS1_11comp_targetILNS1_3genE2ELNS1_11target_archE906ELNS1_3gpuE6ELNS1_3repE0EEENS1_30default_config_static_selectorELNS0_4arch9wavefront6targetE0EEEvT1_.num_agpr, 0
	.set _ZN7rocprim17ROCPRIM_400000_NS6detail17trampoline_kernelINS0_14default_configENS1_27scan_by_key_config_selectorIxxEEZZNS1_16scan_by_key_implILNS1_25lookback_scan_determinismE0ELb1ES3_N6thrust23THRUST_200600_302600_NS6detail15normal_iteratorINS9_10device_ptrIxEEEESE_SE_xNS9_4plusIvEENS9_8equal_toIvEExEE10hipError_tPvRmT2_T3_T4_T5_mT6_T7_P12ihipStream_tbENKUlT_T0_E_clISt17integral_constantIbLb1EESY_IbLb0EEEEDaSU_SV_EUlSU_E_NS1_11comp_targetILNS1_3genE2ELNS1_11target_archE906ELNS1_3gpuE6ELNS1_3repE0EEENS1_30default_config_static_selectorELNS0_4arch9wavefront6targetE0EEEvT1_.numbered_sgpr, 0
	.set _ZN7rocprim17ROCPRIM_400000_NS6detail17trampoline_kernelINS0_14default_configENS1_27scan_by_key_config_selectorIxxEEZZNS1_16scan_by_key_implILNS1_25lookback_scan_determinismE0ELb1ES3_N6thrust23THRUST_200600_302600_NS6detail15normal_iteratorINS9_10device_ptrIxEEEESE_SE_xNS9_4plusIvEENS9_8equal_toIvEExEE10hipError_tPvRmT2_T3_T4_T5_mT6_T7_P12ihipStream_tbENKUlT_T0_E_clISt17integral_constantIbLb1EESY_IbLb0EEEEDaSU_SV_EUlSU_E_NS1_11comp_targetILNS1_3genE2ELNS1_11target_archE906ELNS1_3gpuE6ELNS1_3repE0EEENS1_30default_config_static_selectorELNS0_4arch9wavefront6targetE0EEEvT1_.num_named_barrier, 0
	.set _ZN7rocprim17ROCPRIM_400000_NS6detail17trampoline_kernelINS0_14default_configENS1_27scan_by_key_config_selectorIxxEEZZNS1_16scan_by_key_implILNS1_25lookback_scan_determinismE0ELb1ES3_N6thrust23THRUST_200600_302600_NS6detail15normal_iteratorINS9_10device_ptrIxEEEESE_SE_xNS9_4plusIvEENS9_8equal_toIvEExEE10hipError_tPvRmT2_T3_T4_T5_mT6_T7_P12ihipStream_tbENKUlT_T0_E_clISt17integral_constantIbLb1EESY_IbLb0EEEEDaSU_SV_EUlSU_E_NS1_11comp_targetILNS1_3genE2ELNS1_11target_archE906ELNS1_3gpuE6ELNS1_3repE0EEENS1_30default_config_static_selectorELNS0_4arch9wavefront6targetE0EEEvT1_.private_seg_size, 0
	.set _ZN7rocprim17ROCPRIM_400000_NS6detail17trampoline_kernelINS0_14default_configENS1_27scan_by_key_config_selectorIxxEEZZNS1_16scan_by_key_implILNS1_25lookback_scan_determinismE0ELb1ES3_N6thrust23THRUST_200600_302600_NS6detail15normal_iteratorINS9_10device_ptrIxEEEESE_SE_xNS9_4plusIvEENS9_8equal_toIvEExEE10hipError_tPvRmT2_T3_T4_T5_mT6_T7_P12ihipStream_tbENKUlT_T0_E_clISt17integral_constantIbLb1EESY_IbLb0EEEEDaSU_SV_EUlSU_E_NS1_11comp_targetILNS1_3genE2ELNS1_11target_archE906ELNS1_3gpuE6ELNS1_3repE0EEENS1_30default_config_static_selectorELNS0_4arch9wavefront6targetE0EEEvT1_.uses_vcc, 0
	.set _ZN7rocprim17ROCPRIM_400000_NS6detail17trampoline_kernelINS0_14default_configENS1_27scan_by_key_config_selectorIxxEEZZNS1_16scan_by_key_implILNS1_25lookback_scan_determinismE0ELb1ES3_N6thrust23THRUST_200600_302600_NS6detail15normal_iteratorINS9_10device_ptrIxEEEESE_SE_xNS9_4plusIvEENS9_8equal_toIvEExEE10hipError_tPvRmT2_T3_T4_T5_mT6_T7_P12ihipStream_tbENKUlT_T0_E_clISt17integral_constantIbLb1EESY_IbLb0EEEEDaSU_SV_EUlSU_E_NS1_11comp_targetILNS1_3genE2ELNS1_11target_archE906ELNS1_3gpuE6ELNS1_3repE0EEENS1_30default_config_static_selectorELNS0_4arch9wavefront6targetE0EEEvT1_.uses_flat_scratch, 0
	.set _ZN7rocprim17ROCPRIM_400000_NS6detail17trampoline_kernelINS0_14default_configENS1_27scan_by_key_config_selectorIxxEEZZNS1_16scan_by_key_implILNS1_25lookback_scan_determinismE0ELb1ES3_N6thrust23THRUST_200600_302600_NS6detail15normal_iteratorINS9_10device_ptrIxEEEESE_SE_xNS9_4plusIvEENS9_8equal_toIvEExEE10hipError_tPvRmT2_T3_T4_T5_mT6_T7_P12ihipStream_tbENKUlT_T0_E_clISt17integral_constantIbLb1EESY_IbLb0EEEEDaSU_SV_EUlSU_E_NS1_11comp_targetILNS1_3genE2ELNS1_11target_archE906ELNS1_3gpuE6ELNS1_3repE0EEENS1_30default_config_static_selectorELNS0_4arch9wavefront6targetE0EEEvT1_.has_dyn_sized_stack, 0
	.set _ZN7rocprim17ROCPRIM_400000_NS6detail17trampoline_kernelINS0_14default_configENS1_27scan_by_key_config_selectorIxxEEZZNS1_16scan_by_key_implILNS1_25lookback_scan_determinismE0ELb1ES3_N6thrust23THRUST_200600_302600_NS6detail15normal_iteratorINS9_10device_ptrIxEEEESE_SE_xNS9_4plusIvEENS9_8equal_toIvEExEE10hipError_tPvRmT2_T3_T4_T5_mT6_T7_P12ihipStream_tbENKUlT_T0_E_clISt17integral_constantIbLb1EESY_IbLb0EEEEDaSU_SV_EUlSU_E_NS1_11comp_targetILNS1_3genE2ELNS1_11target_archE906ELNS1_3gpuE6ELNS1_3repE0EEENS1_30default_config_static_selectorELNS0_4arch9wavefront6targetE0EEEvT1_.has_recursion, 0
	.set _ZN7rocprim17ROCPRIM_400000_NS6detail17trampoline_kernelINS0_14default_configENS1_27scan_by_key_config_selectorIxxEEZZNS1_16scan_by_key_implILNS1_25lookback_scan_determinismE0ELb1ES3_N6thrust23THRUST_200600_302600_NS6detail15normal_iteratorINS9_10device_ptrIxEEEESE_SE_xNS9_4plusIvEENS9_8equal_toIvEExEE10hipError_tPvRmT2_T3_T4_T5_mT6_T7_P12ihipStream_tbENKUlT_T0_E_clISt17integral_constantIbLb1EESY_IbLb0EEEEDaSU_SV_EUlSU_E_NS1_11comp_targetILNS1_3genE2ELNS1_11target_archE906ELNS1_3gpuE6ELNS1_3repE0EEENS1_30default_config_static_selectorELNS0_4arch9wavefront6targetE0EEEvT1_.has_indirect_call, 0
	.section	.AMDGPU.csdata,"",@progbits
; Kernel info:
; codeLenInByte = 0
; TotalNumSgprs: 0
; NumVgprs: 0
; ScratchSize: 0
; MemoryBound: 0
; FloatMode: 240
; IeeeMode: 1
; LDSByteSize: 0 bytes/workgroup (compile time only)
; SGPRBlocks: 0
; VGPRBlocks: 0
; NumSGPRsForWavesPerEU: 1
; NumVGPRsForWavesPerEU: 1
; Occupancy: 16
; WaveLimiterHint : 0
; COMPUTE_PGM_RSRC2:SCRATCH_EN: 0
; COMPUTE_PGM_RSRC2:USER_SGPR: 6
; COMPUTE_PGM_RSRC2:TRAP_HANDLER: 0
; COMPUTE_PGM_RSRC2:TGID_X_EN: 1
; COMPUTE_PGM_RSRC2:TGID_Y_EN: 0
; COMPUTE_PGM_RSRC2:TGID_Z_EN: 0
; COMPUTE_PGM_RSRC2:TIDIG_COMP_CNT: 0
	.section	.text._ZN7rocprim17ROCPRIM_400000_NS6detail17trampoline_kernelINS0_14default_configENS1_27scan_by_key_config_selectorIxxEEZZNS1_16scan_by_key_implILNS1_25lookback_scan_determinismE0ELb1ES3_N6thrust23THRUST_200600_302600_NS6detail15normal_iteratorINS9_10device_ptrIxEEEESE_SE_xNS9_4plusIvEENS9_8equal_toIvEExEE10hipError_tPvRmT2_T3_T4_T5_mT6_T7_P12ihipStream_tbENKUlT_T0_E_clISt17integral_constantIbLb1EESY_IbLb0EEEEDaSU_SV_EUlSU_E_NS1_11comp_targetILNS1_3genE10ELNS1_11target_archE1200ELNS1_3gpuE4ELNS1_3repE0EEENS1_30default_config_static_selectorELNS0_4arch9wavefront6targetE0EEEvT1_,"axG",@progbits,_ZN7rocprim17ROCPRIM_400000_NS6detail17trampoline_kernelINS0_14default_configENS1_27scan_by_key_config_selectorIxxEEZZNS1_16scan_by_key_implILNS1_25lookback_scan_determinismE0ELb1ES3_N6thrust23THRUST_200600_302600_NS6detail15normal_iteratorINS9_10device_ptrIxEEEESE_SE_xNS9_4plusIvEENS9_8equal_toIvEExEE10hipError_tPvRmT2_T3_T4_T5_mT6_T7_P12ihipStream_tbENKUlT_T0_E_clISt17integral_constantIbLb1EESY_IbLb0EEEEDaSU_SV_EUlSU_E_NS1_11comp_targetILNS1_3genE10ELNS1_11target_archE1200ELNS1_3gpuE4ELNS1_3repE0EEENS1_30default_config_static_selectorELNS0_4arch9wavefront6targetE0EEEvT1_,comdat
	.protected	_ZN7rocprim17ROCPRIM_400000_NS6detail17trampoline_kernelINS0_14default_configENS1_27scan_by_key_config_selectorIxxEEZZNS1_16scan_by_key_implILNS1_25lookback_scan_determinismE0ELb1ES3_N6thrust23THRUST_200600_302600_NS6detail15normal_iteratorINS9_10device_ptrIxEEEESE_SE_xNS9_4plusIvEENS9_8equal_toIvEExEE10hipError_tPvRmT2_T3_T4_T5_mT6_T7_P12ihipStream_tbENKUlT_T0_E_clISt17integral_constantIbLb1EESY_IbLb0EEEEDaSU_SV_EUlSU_E_NS1_11comp_targetILNS1_3genE10ELNS1_11target_archE1200ELNS1_3gpuE4ELNS1_3repE0EEENS1_30default_config_static_selectorELNS0_4arch9wavefront6targetE0EEEvT1_ ; -- Begin function _ZN7rocprim17ROCPRIM_400000_NS6detail17trampoline_kernelINS0_14default_configENS1_27scan_by_key_config_selectorIxxEEZZNS1_16scan_by_key_implILNS1_25lookback_scan_determinismE0ELb1ES3_N6thrust23THRUST_200600_302600_NS6detail15normal_iteratorINS9_10device_ptrIxEEEESE_SE_xNS9_4plusIvEENS9_8equal_toIvEExEE10hipError_tPvRmT2_T3_T4_T5_mT6_T7_P12ihipStream_tbENKUlT_T0_E_clISt17integral_constantIbLb1EESY_IbLb0EEEEDaSU_SV_EUlSU_E_NS1_11comp_targetILNS1_3genE10ELNS1_11target_archE1200ELNS1_3gpuE4ELNS1_3repE0EEENS1_30default_config_static_selectorELNS0_4arch9wavefront6targetE0EEEvT1_
	.globl	_ZN7rocprim17ROCPRIM_400000_NS6detail17trampoline_kernelINS0_14default_configENS1_27scan_by_key_config_selectorIxxEEZZNS1_16scan_by_key_implILNS1_25lookback_scan_determinismE0ELb1ES3_N6thrust23THRUST_200600_302600_NS6detail15normal_iteratorINS9_10device_ptrIxEEEESE_SE_xNS9_4plusIvEENS9_8equal_toIvEExEE10hipError_tPvRmT2_T3_T4_T5_mT6_T7_P12ihipStream_tbENKUlT_T0_E_clISt17integral_constantIbLb1EESY_IbLb0EEEEDaSU_SV_EUlSU_E_NS1_11comp_targetILNS1_3genE10ELNS1_11target_archE1200ELNS1_3gpuE4ELNS1_3repE0EEENS1_30default_config_static_selectorELNS0_4arch9wavefront6targetE0EEEvT1_
	.p2align	8
	.type	_ZN7rocprim17ROCPRIM_400000_NS6detail17trampoline_kernelINS0_14default_configENS1_27scan_by_key_config_selectorIxxEEZZNS1_16scan_by_key_implILNS1_25lookback_scan_determinismE0ELb1ES3_N6thrust23THRUST_200600_302600_NS6detail15normal_iteratorINS9_10device_ptrIxEEEESE_SE_xNS9_4plusIvEENS9_8equal_toIvEExEE10hipError_tPvRmT2_T3_T4_T5_mT6_T7_P12ihipStream_tbENKUlT_T0_E_clISt17integral_constantIbLb1EESY_IbLb0EEEEDaSU_SV_EUlSU_E_NS1_11comp_targetILNS1_3genE10ELNS1_11target_archE1200ELNS1_3gpuE4ELNS1_3repE0EEENS1_30default_config_static_selectorELNS0_4arch9wavefront6targetE0EEEvT1_,@function
_ZN7rocprim17ROCPRIM_400000_NS6detail17trampoline_kernelINS0_14default_configENS1_27scan_by_key_config_selectorIxxEEZZNS1_16scan_by_key_implILNS1_25lookback_scan_determinismE0ELb1ES3_N6thrust23THRUST_200600_302600_NS6detail15normal_iteratorINS9_10device_ptrIxEEEESE_SE_xNS9_4plusIvEENS9_8equal_toIvEExEE10hipError_tPvRmT2_T3_T4_T5_mT6_T7_P12ihipStream_tbENKUlT_T0_E_clISt17integral_constantIbLb1EESY_IbLb0EEEEDaSU_SV_EUlSU_E_NS1_11comp_targetILNS1_3genE10ELNS1_11target_archE1200ELNS1_3gpuE4ELNS1_3repE0EEENS1_30default_config_static_selectorELNS0_4arch9wavefront6targetE0EEEvT1_: ; @_ZN7rocprim17ROCPRIM_400000_NS6detail17trampoline_kernelINS0_14default_configENS1_27scan_by_key_config_selectorIxxEEZZNS1_16scan_by_key_implILNS1_25lookback_scan_determinismE0ELb1ES3_N6thrust23THRUST_200600_302600_NS6detail15normal_iteratorINS9_10device_ptrIxEEEESE_SE_xNS9_4plusIvEENS9_8equal_toIvEExEE10hipError_tPvRmT2_T3_T4_T5_mT6_T7_P12ihipStream_tbENKUlT_T0_E_clISt17integral_constantIbLb1EESY_IbLb0EEEEDaSU_SV_EUlSU_E_NS1_11comp_targetILNS1_3genE10ELNS1_11target_archE1200ELNS1_3gpuE4ELNS1_3repE0EEENS1_30default_config_static_selectorELNS0_4arch9wavefront6targetE0EEEvT1_
; %bb.0:
	.section	.rodata,"a",@progbits
	.p2align	6, 0x0
	.amdhsa_kernel _ZN7rocprim17ROCPRIM_400000_NS6detail17trampoline_kernelINS0_14default_configENS1_27scan_by_key_config_selectorIxxEEZZNS1_16scan_by_key_implILNS1_25lookback_scan_determinismE0ELb1ES3_N6thrust23THRUST_200600_302600_NS6detail15normal_iteratorINS9_10device_ptrIxEEEESE_SE_xNS9_4plusIvEENS9_8equal_toIvEExEE10hipError_tPvRmT2_T3_T4_T5_mT6_T7_P12ihipStream_tbENKUlT_T0_E_clISt17integral_constantIbLb1EESY_IbLb0EEEEDaSU_SV_EUlSU_E_NS1_11comp_targetILNS1_3genE10ELNS1_11target_archE1200ELNS1_3gpuE4ELNS1_3repE0EEENS1_30default_config_static_selectorELNS0_4arch9wavefront6targetE0EEEvT1_
		.amdhsa_group_segment_fixed_size 0
		.amdhsa_private_segment_fixed_size 0
		.amdhsa_kernarg_size 136
		.amdhsa_user_sgpr_count 6
		.amdhsa_user_sgpr_private_segment_buffer 1
		.amdhsa_user_sgpr_dispatch_ptr 0
		.amdhsa_user_sgpr_queue_ptr 0
		.amdhsa_user_sgpr_kernarg_segment_ptr 1
		.amdhsa_user_sgpr_dispatch_id 0
		.amdhsa_user_sgpr_flat_scratch_init 0
		.amdhsa_user_sgpr_private_segment_size 0
		.amdhsa_wavefront_size32 1
		.amdhsa_uses_dynamic_stack 0
		.amdhsa_system_sgpr_private_segment_wavefront_offset 0
		.amdhsa_system_sgpr_workgroup_id_x 1
		.amdhsa_system_sgpr_workgroup_id_y 0
		.amdhsa_system_sgpr_workgroup_id_z 0
		.amdhsa_system_sgpr_workgroup_info 0
		.amdhsa_system_vgpr_workitem_id 0
		.amdhsa_next_free_vgpr 1
		.amdhsa_next_free_sgpr 1
		.amdhsa_reserve_vcc 0
		.amdhsa_reserve_flat_scratch 0
		.amdhsa_float_round_mode_32 0
		.amdhsa_float_round_mode_16_64 0
		.amdhsa_float_denorm_mode_32 3
		.amdhsa_float_denorm_mode_16_64 3
		.amdhsa_dx10_clamp 1
		.amdhsa_ieee_mode 1
		.amdhsa_fp16_overflow 0
		.amdhsa_workgroup_processor_mode 1
		.amdhsa_memory_ordered 1
		.amdhsa_forward_progress 1
		.amdhsa_shared_vgpr_count 0
		.amdhsa_exception_fp_ieee_invalid_op 0
		.amdhsa_exception_fp_denorm_src 0
		.amdhsa_exception_fp_ieee_div_zero 0
		.amdhsa_exception_fp_ieee_overflow 0
		.amdhsa_exception_fp_ieee_underflow 0
		.amdhsa_exception_fp_ieee_inexact 0
		.amdhsa_exception_int_div_zero 0
	.end_amdhsa_kernel
	.section	.text._ZN7rocprim17ROCPRIM_400000_NS6detail17trampoline_kernelINS0_14default_configENS1_27scan_by_key_config_selectorIxxEEZZNS1_16scan_by_key_implILNS1_25lookback_scan_determinismE0ELb1ES3_N6thrust23THRUST_200600_302600_NS6detail15normal_iteratorINS9_10device_ptrIxEEEESE_SE_xNS9_4plusIvEENS9_8equal_toIvEExEE10hipError_tPvRmT2_T3_T4_T5_mT6_T7_P12ihipStream_tbENKUlT_T0_E_clISt17integral_constantIbLb1EESY_IbLb0EEEEDaSU_SV_EUlSU_E_NS1_11comp_targetILNS1_3genE10ELNS1_11target_archE1200ELNS1_3gpuE4ELNS1_3repE0EEENS1_30default_config_static_selectorELNS0_4arch9wavefront6targetE0EEEvT1_,"axG",@progbits,_ZN7rocprim17ROCPRIM_400000_NS6detail17trampoline_kernelINS0_14default_configENS1_27scan_by_key_config_selectorIxxEEZZNS1_16scan_by_key_implILNS1_25lookback_scan_determinismE0ELb1ES3_N6thrust23THRUST_200600_302600_NS6detail15normal_iteratorINS9_10device_ptrIxEEEESE_SE_xNS9_4plusIvEENS9_8equal_toIvEExEE10hipError_tPvRmT2_T3_T4_T5_mT6_T7_P12ihipStream_tbENKUlT_T0_E_clISt17integral_constantIbLb1EESY_IbLb0EEEEDaSU_SV_EUlSU_E_NS1_11comp_targetILNS1_3genE10ELNS1_11target_archE1200ELNS1_3gpuE4ELNS1_3repE0EEENS1_30default_config_static_selectorELNS0_4arch9wavefront6targetE0EEEvT1_,comdat
.Lfunc_end377:
	.size	_ZN7rocprim17ROCPRIM_400000_NS6detail17trampoline_kernelINS0_14default_configENS1_27scan_by_key_config_selectorIxxEEZZNS1_16scan_by_key_implILNS1_25lookback_scan_determinismE0ELb1ES3_N6thrust23THRUST_200600_302600_NS6detail15normal_iteratorINS9_10device_ptrIxEEEESE_SE_xNS9_4plusIvEENS9_8equal_toIvEExEE10hipError_tPvRmT2_T3_T4_T5_mT6_T7_P12ihipStream_tbENKUlT_T0_E_clISt17integral_constantIbLb1EESY_IbLb0EEEEDaSU_SV_EUlSU_E_NS1_11comp_targetILNS1_3genE10ELNS1_11target_archE1200ELNS1_3gpuE4ELNS1_3repE0EEENS1_30default_config_static_selectorELNS0_4arch9wavefront6targetE0EEEvT1_, .Lfunc_end377-_ZN7rocprim17ROCPRIM_400000_NS6detail17trampoline_kernelINS0_14default_configENS1_27scan_by_key_config_selectorIxxEEZZNS1_16scan_by_key_implILNS1_25lookback_scan_determinismE0ELb1ES3_N6thrust23THRUST_200600_302600_NS6detail15normal_iteratorINS9_10device_ptrIxEEEESE_SE_xNS9_4plusIvEENS9_8equal_toIvEExEE10hipError_tPvRmT2_T3_T4_T5_mT6_T7_P12ihipStream_tbENKUlT_T0_E_clISt17integral_constantIbLb1EESY_IbLb0EEEEDaSU_SV_EUlSU_E_NS1_11comp_targetILNS1_3genE10ELNS1_11target_archE1200ELNS1_3gpuE4ELNS1_3repE0EEENS1_30default_config_static_selectorELNS0_4arch9wavefront6targetE0EEEvT1_
                                        ; -- End function
	.set _ZN7rocprim17ROCPRIM_400000_NS6detail17trampoline_kernelINS0_14default_configENS1_27scan_by_key_config_selectorIxxEEZZNS1_16scan_by_key_implILNS1_25lookback_scan_determinismE0ELb1ES3_N6thrust23THRUST_200600_302600_NS6detail15normal_iteratorINS9_10device_ptrIxEEEESE_SE_xNS9_4plusIvEENS9_8equal_toIvEExEE10hipError_tPvRmT2_T3_T4_T5_mT6_T7_P12ihipStream_tbENKUlT_T0_E_clISt17integral_constantIbLb1EESY_IbLb0EEEEDaSU_SV_EUlSU_E_NS1_11comp_targetILNS1_3genE10ELNS1_11target_archE1200ELNS1_3gpuE4ELNS1_3repE0EEENS1_30default_config_static_selectorELNS0_4arch9wavefront6targetE0EEEvT1_.num_vgpr, 0
	.set _ZN7rocprim17ROCPRIM_400000_NS6detail17trampoline_kernelINS0_14default_configENS1_27scan_by_key_config_selectorIxxEEZZNS1_16scan_by_key_implILNS1_25lookback_scan_determinismE0ELb1ES3_N6thrust23THRUST_200600_302600_NS6detail15normal_iteratorINS9_10device_ptrIxEEEESE_SE_xNS9_4plusIvEENS9_8equal_toIvEExEE10hipError_tPvRmT2_T3_T4_T5_mT6_T7_P12ihipStream_tbENKUlT_T0_E_clISt17integral_constantIbLb1EESY_IbLb0EEEEDaSU_SV_EUlSU_E_NS1_11comp_targetILNS1_3genE10ELNS1_11target_archE1200ELNS1_3gpuE4ELNS1_3repE0EEENS1_30default_config_static_selectorELNS0_4arch9wavefront6targetE0EEEvT1_.num_agpr, 0
	.set _ZN7rocprim17ROCPRIM_400000_NS6detail17trampoline_kernelINS0_14default_configENS1_27scan_by_key_config_selectorIxxEEZZNS1_16scan_by_key_implILNS1_25lookback_scan_determinismE0ELb1ES3_N6thrust23THRUST_200600_302600_NS6detail15normal_iteratorINS9_10device_ptrIxEEEESE_SE_xNS9_4plusIvEENS9_8equal_toIvEExEE10hipError_tPvRmT2_T3_T4_T5_mT6_T7_P12ihipStream_tbENKUlT_T0_E_clISt17integral_constantIbLb1EESY_IbLb0EEEEDaSU_SV_EUlSU_E_NS1_11comp_targetILNS1_3genE10ELNS1_11target_archE1200ELNS1_3gpuE4ELNS1_3repE0EEENS1_30default_config_static_selectorELNS0_4arch9wavefront6targetE0EEEvT1_.numbered_sgpr, 0
	.set _ZN7rocprim17ROCPRIM_400000_NS6detail17trampoline_kernelINS0_14default_configENS1_27scan_by_key_config_selectorIxxEEZZNS1_16scan_by_key_implILNS1_25lookback_scan_determinismE0ELb1ES3_N6thrust23THRUST_200600_302600_NS6detail15normal_iteratorINS9_10device_ptrIxEEEESE_SE_xNS9_4plusIvEENS9_8equal_toIvEExEE10hipError_tPvRmT2_T3_T4_T5_mT6_T7_P12ihipStream_tbENKUlT_T0_E_clISt17integral_constantIbLb1EESY_IbLb0EEEEDaSU_SV_EUlSU_E_NS1_11comp_targetILNS1_3genE10ELNS1_11target_archE1200ELNS1_3gpuE4ELNS1_3repE0EEENS1_30default_config_static_selectorELNS0_4arch9wavefront6targetE0EEEvT1_.num_named_barrier, 0
	.set _ZN7rocprim17ROCPRIM_400000_NS6detail17trampoline_kernelINS0_14default_configENS1_27scan_by_key_config_selectorIxxEEZZNS1_16scan_by_key_implILNS1_25lookback_scan_determinismE0ELb1ES3_N6thrust23THRUST_200600_302600_NS6detail15normal_iteratorINS9_10device_ptrIxEEEESE_SE_xNS9_4plusIvEENS9_8equal_toIvEExEE10hipError_tPvRmT2_T3_T4_T5_mT6_T7_P12ihipStream_tbENKUlT_T0_E_clISt17integral_constantIbLb1EESY_IbLb0EEEEDaSU_SV_EUlSU_E_NS1_11comp_targetILNS1_3genE10ELNS1_11target_archE1200ELNS1_3gpuE4ELNS1_3repE0EEENS1_30default_config_static_selectorELNS0_4arch9wavefront6targetE0EEEvT1_.private_seg_size, 0
	.set _ZN7rocprim17ROCPRIM_400000_NS6detail17trampoline_kernelINS0_14default_configENS1_27scan_by_key_config_selectorIxxEEZZNS1_16scan_by_key_implILNS1_25lookback_scan_determinismE0ELb1ES3_N6thrust23THRUST_200600_302600_NS6detail15normal_iteratorINS9_10device_ptrIxEEEESE_SE_xNS9_4plusIvEENS9_8equal_toIvEExEE10hipError_tPvRmT2_T3_T4_T5_mT6_T7_P12ihipStream_tbENKUlT_T0_E_clISt17integral_constantIbLb1EESY_IbLb0EEEEDaSU_SV_EUlSU_E_NS1_11comp_targetILNS1_3genE10ELNS1_11target_archE1200ELNS1_3gpuE4ELNS1_3repE0EEENS1_30default_config_static_selectorELNS0_4arch9wavefront6targetE0EEEvT1_.uses_vcc, 0
	.set _ZN7rocprim17ROCPRIM_400000_NS6detail17trampoline_kernelINS0_14default_configENS1_27scan_by_key_config_selectorIxxEEZZNS1_16scan_by_key_implILNS1_25lookback_scan_determinismE0ELb1ES3_N6thrust23THRUST_200600_302600_NS6detail15normal_iteratorINS9_10device_ptrIxEEEESE_SE_xNS9_4plusIvEENS9_8equal_toIvEExEE10hipError_tPvRmT2_T3_T4_T5_mT6_T7_P12ihipStream_tbENKUlT_T0_E_clISt17integral_constantIbLb1EESY_IbLb0EEEEDaSU_SV_EUlSU_E_NS1_11comp_targetILNS1_3genE10ELNS1_11target_archE1200ELNS1_3gpuE4ELNS1_3repE0EEENS1_30default_config_static_selectorELNS0_4arch9wavefront6targetE0EEEvT1_.uses_flat_scratch, 0
	.set _ZN7rocprim17ROCPRIM_400000_NS6detail17trampoline_kernelINS0_14default_configENS1_27scan_by_key_config_selectorIxxEEZZNS1_16scan_by_key_implILNS1_25lookback_scan_determinismE0ELb1ES3_N6thrust23THRUST_200600_302600_NS6detail15normal_iteratorINS9_10device_ptrIxEEEESE_SE_xNS9_4plusIvEENS9_8equal_toIvEExEE10hipError_tPvRmT2_T3_T4_T5_mT6_T7_P12ihipStream_tbENKUlT_T0_E_clISt17integral_constantIbLb1EESY_IbLb0EEEEDaSU_SV_EUlSU_E_NS1_11comp_targetILNS1_3genE10ELNS1_11target_archE1200ELNS1_3gpuE4ELNS1_3repE0EEENS1_30default_config_static_selectorELNS0_4arch9wavefront6targetE0EEEvT1_.has_dyn_sized_stack, 0
	.set _ZN7rocprim17ROCPRIM_400000_NS6detail17trampoline_kernelINS0_14default_configENS1_27scan_by_key_config_selectorIxxEEZZNS1_16scan_by_key_implILNS1_25lookback_scan_determinismE0ELb1ES3_N6thrust23THRUST_200600_302600_NS6detail15normal_iteratorINS9_10device_ptrIxEEEESE_SE_xNS9_4plusIvEENS9_8equal_toIvEExEE10hipError_tPvRmT2_T3_T4_T5_mT6_T7_P12ihipStream_tbENKUlT_T0_E_clISt17integral_constantIbLb1EESY_IbLb0EEEEDaSU_SV_EUlSU_E_NS1_11comp_targetILNS1_3genE10ELNS1_11target_archE1200ELNS1_3gpuE4ELNS1_3repE0EEENS1_30default_config_static_selectorELNS0_4arch9wavefront6targetE0EEEvT1_.has_recursion, 0
	.set _ZN7rocprim17ROCPRIM_400000_NS6detail17trampoline_kernelINS0_14default_configENS1_27scan_by_key_config_selectorIxxEEZZNS1_16scan_by_key_implILNS1_25lookback_scan_determinismE0ELb1ES3_N6thrust23THRUST_200600_302600_NS6detail15normal_iteratorINS9_10device_ptrIxEEEESE_SE_xNS9_4plusIvEENS9_8equal_toIvEExEE10hipError_tPvRmT2_T3_T4_T5_mT6_T7_P12ihipStream_tbENKUlT_T0_E_clISt17integral_constantIbLb1EESY_IbLb0EEEEDaSU_SV_EUlSU_E_NS1_11comp_targetILNS1_3genE10ELNS1_11target_archE1200ELNS1_3gpuE4ELNS1_3repE0EEENS1_30default_config_static_selectorELNS0_4arch9wavefront6targetE0EEEvT1_.has_indirect_call, 0
	.section	.AMDGPU.csdata,"",@progbits
; Kernel info:
; codeLenInByte = 0
; TotalNumSgprs: 0
; NumVgprs: 0
; ScratchSize: 0
; MemoryBound: 0
; FloatMode: 240
; IeeeMode: 1
; LDSByteSize: 0 bytes/workgroup (compile time only)
; SGPRBlocks: 0
; VGPRBlocks: 0
; NumSGPRsForWavesPerEU: 1
; NumVGPRsForWavesPerEU: 1
; Occupancy: 16
; WaveLimiterHint : 0
; COMPUTE_PGM_RSRC2:SCRATCH_EN: 0
; COMPUTE_PGM_RSRC2:USER_SGPR: 6
; COMPUTE_PGM_RSRC2:TRAP_HANDLER: 0
; COMPUTE_PGM_RSRC2:TGID_X_EN: 1
; COMPUTE_PGM_RSRC2:TGID_Y_EN: 0
; COMPUTE_PGM_RSRC2:TGID_Z_EN: 0
; COMPUTE_PGM_RSRC2:TIDIG_COMP_CNT: 0
	.section	.text._ZN7rocprim17ROCPRIM_400000_NS6detail17trampoline_kernelINS0_14default_configENS1_27scan_by_key_config_selectorIxxEEZZNS1_16scan_by_key_implILNS1_25lookback_scan_determinismE0ELb1ES3_N6thrust23THRUST_200600_302600_NS6detail15normal_iteratorINS9_10device_ptrIxEEEESE_SE_xNS9_4plusIvEENS9_8equal_toIvEExEE10hipError_tPvRmT2_T3_T4_T5_mT6_T7_P12ihipStream_tbENKUlT_T0_E_clISt17integral_constantIbLb1EESY_IbLb0EEEEDaSU_SV_EUlSU_E_NS1_11comp_targetILNS1_3genE9ELNS1_11target_archE1100ELNS1_3gpuE3ELNS1_3repE0EEENS1_30default_config_static_selectorELNS0_4arch9wavefront6targetE0EEEvT1_,"axG",@progbits,_ZN7rocprim17ROCPRIM_400000_NS6detail17trampoline_kernelINS0_14default_configENS1_27scan_by_key_config_selectorIxxEEZZNS1_16scan_by_key_implILNS1_25lookback_scan_determinismE0ELb1ES3_N6thrust23THRUST_200600_302600_NS6detail15normal_iteratorINS9_10device_ptrIxEEEESE_SE_xNS9_4plusIvEENS9_8equal_toIvEExEE10hipError_tPvRmT2_T3_T4_T5_mT6_T7_P12ihipStream_tbENKUlT_T0_E_clISt17integral_constantIbLb1EESY_IbLb0EEEEDaSU_SV_EUlSU_E_NS1_11comp_targetILNS1_3genE9ELNS1_11target_archE1100ELNS1_3gpuE3ELNS1_3repE0EEENS1_30default_config_static_selectorELNS0_4arch9wavefront6targetE0EEEvT1_,comdat
	.protected	_ZN7rocprim17ROCPRIM_400000_NS6detail17trampoline_kernelINS0_14default_configENS1_27scan_by_key_config_selectorIxxEEZZNS1_16scan_by_key_implILNS1_25lookback_scan_determinismE0ELb1ES3_N6thrust23THRUST_200600_302600_NS6detail15normal_iteratorINS9_10device_ptrIxEEEESE_SE_xNS9_4plusIvEENS9_8equal_toIvEExEE10hipError_tPvRmT2_T3_T4_T5_mT6_T7_P12ihipStream_tbENKUlT_T0_E_clISt17integral_constantIbLb1EESY_IbLb0EEEEDaSU_SV_EUlSU_E_NS1_11comp_targetILNS1_3genE9ELNS1_11target_archE1100ELNS1_3gpuE3ELNS1_3repE0EEENS1_30default_config_static_selectorELNS0_4arch9wavefront6targetE0EEEvT1_ ; -- Begin function _ZN7rocprim17ROCPRIM_400000_NS6detail17trampoline_kernelINS0_14default_configENS1_27scan_by_key_config_selectorIxxEEZZNS1_16scan_by_key_implILNS1_25lookback_scan_determinismE0ELb1ES3_N6thrust23THRUST_200600_302600_NS6detail15normal_iteratorINS9_10device_ptrIxEEEESE_SE_xNS9_4plusIvEENS9_8equal_toIvEExEE10hipError_tPvRmT2_T3_T4_T5_mT6_T7_P12ihipStream_tbENKUlT_T0_E_clISt17integral_constantIbLb1EESY_IbLb0EEEEDaSU_SV_EUlSU_E_NS1_11comp_targetILNS1_3genE9ELNS1_11target_archE1100ELNS1_3gpuE3ELNS1_3repE0EEENS1_30default_config_static_selectorELNS0_4arch9wavefront6targetE0EEEvT1_
	.globl	_ZN7rocprim17ROCPRIM_400000_NS6detail17trampoline_kernelINS0_14default_configENS1_27scan_by_key_config_selectorIxxEEZZNS1_16scan_by_key_implILNS1_25lookback_scan_determinismE0ELb1ES3_N6thrust23THRUST_200600_302600_NS6detail15normal_iteratorINS9_10device_ptrIxEEEESE_SE_xNS9_4plusIvEENS9_8equal_toIvEExEE10hipError_tPvRmT2_T3_T4_T5_mT6_T7_P12ihipStream_tbENKUlT_T0_E_clISt17integral_constantIbLb1EESY_IbLb0EEEEDaSU_SV_EUlSU_E_NS1_11comp_targetILNS1_3genE9ELNS1_11target_archE1100ELNS1_3gpuE3ELNS1_3repE0EEENS1_30default_config_static_selectorELNS0_4arch9wavefront6targetE0EEEvT1_
	.p2align	8
	.type	_ZN7rocprim17ROCPRIM_400000_NS6detail17trampoline_kernelINS0_14default_configENS1_27scan_by_key_config_selectorIxxEEZZNS1_16scan_by_key_implILNS1_25lookback_scan_determinismE0ELb1ES3_N6thrust23THRUST_200600_302600_NS6detail15normal_iteratorINS9_10device_ptrIxEEEESE_SE_xNS9_4plusIvEENS9_8equal_toIvEExEE10hipError_tPvRmT2_T3_T4_T5_mT6_T7_P12ihipStream_tbENKUlT_T0_E_clISt17integral_constantIbLb1EESY_IbLb0EEEEDaSU_SV_EUlSU_E_NS1_11comp_targetILNS1_3genE9ELNS1_11target_archE1100ELNS1_3gpuE3ELNS1_3repE0EEENS1_30default_config_static_selectorELNS0_4arch9wavefront6targetE0EEEvT1_,@function
_ZN7rocprim17ROCPRIM_400000_NS6detail17trampoline_kernelINS0_14default_configENS1_27scan_by_key_config_selectorIxxEEZZNS1_16scan_by_key_implILNS1_25lookback_scan_determinismE0ELb1ES3_N6thrust23THRUST_200600_302600_NS6detail15normal_iteratorINS9_10device_ptrIxEEEESE_SE_xNS9_4plusIvEENS9_8equal_toIvEExEE10hipError_tPvRmT2_T3_T4_T5_mT6_T7_P12ihipStream_tbENKUlT_T0_E_clISt17integral_constantIbLb1EESY_IbLb0EEEEDaSU_SV_EUlSU_E_NS1_11comp_targetILNS1_3genE9ELNS1_11target_archE1100ELNS1_3gpuE3ELNS1_3repE0EEENS1_30default_config_static_selectorELNS0_4arch9wavefront6targetE0EEEvT1_: ; @_ZN7rocprim17ROCPRIM_400000_NS6detail17trampoline_kernelINS0_14default_configENS1_27scan_by_key_config_selectorIxxEEZZNS1_16scan_by_key_implILNS1_25lookback_scan_determinismE0ELb1ES3_N6thrust23THRUST_200600_302600_NS6detail15normal_iteratorINS9_10device_ptrIxEEEESE_SE_xNS9_4plusIvEENS9_8equal_toIvEExEE10hipError_tPvRmT2_T3_T4_T5_mT6_T7_P12ihipStream_tbENKUlT_T0_E_clISt17integral_constantIbLb1EESY_IbLb0EEEEDaSU_SV_EUlSU_E_NS1_11comp_targetILNS1_3genE9ELNS1_11target_archE1100ELNS1_3gpuE3ELNS1_3repE0EEENS1_30default_config_static_selectorELNS0_4arch9wavefront6targetE0EEEvT1_
; %bb.0:
	.section	.rodata,"a",@progbits
	.p2align	6, 0x0
	.amdhsa_kernel _ZN7rocprim17ROCPRIM_400000_NS6detail17trampoline_kernelINS0_14default_configENS1_27scan_by_key_config_selectorIxxEEZZNS1_16scan_by_key_implILNS1_25lookback_scan_determinismE0ELb1ES3_N6thrust23THRUST_200600_302600_NS6detail15normal_iteratorINS9_10device_ptrIxEEEESE_SE_xNS9_4plusIvEENS9_8equal_toIvEExEE10hipError_tPvRmT2_T3_T4_T5_mT6_T7_P12ihipStream_tbENKUlT_T0_E_clISt17integral_constantIbLb1EESY_IbLb0EEEEDaSU_SV_EUlSU_E_NS1_11comp_targetILNS1_3genE9ELNS1_11target_archE1100ELNS1_3gpuE3ELNS1_3repE0EEENS1_30default_config_static_selectorELNS0_4arch9wavefront6targetE0EEEvT1_
		.amdhsa_group_segment_fixed_size 0
		.amdhsa_private_segment_fixed_size 0
		.amdhsa_kernarg_size 136
		.amdhsa_user_sgpr_count 6
		.amdhsa_user_sgpr_private_segment_buffer 1
		.amdhsa_user_sgpr_dispatch_ptr 0
		.amdhsa_user_sgpr_queue_ptr 0
		.amdhsa_user_sgpr_kernarg_segment_ptr 1
		.amdhsa_user_sgpr_dispatch_id 0
		.amdhsa_user_sgpr_flat_scratch_init 0
		.amdhsa_user_sgpr_private_segment_size 0
		.amdhsa_wavefront_size32 1
		.amdhsa_uses_dynamic_stack 0
		.amdhsa_system_sgpr_private_segment_wavefront_offset 0
		.amdhsa_system_sgpr_workgroup_id_x 1
		.amdhsa_system_sgpr_workgroup_id_y 0
		.amdhsa_system_sgpr_workgroup_id_z 0
		.amdhsa_system_sgpr_workgroup_info 0
		.amdhsa_system_vgpr_workitem_id 0
		.amdhsa_next_free_vgpr 1
		.amdhsa_next_free_sgpr 1
		.amdhsa_reserve_vcc 0
		.amdhsa_reserve_flat_scratch 0
		.amdhsa_float_round_mode_32 0
		.amdhsa_float_round_mode_16_64 0
		.amdhsa_float_denorm_mode_32 3
		.amdhsa_float_denorm_mode_16_64 3
		.amdhsa_dx10_clamp 1
		.amdhsa_ieee_mode 1
		.amdhsa_fp16_overflow 0
		.amdhsa_workgroup_processor_mode 1
		.amdhsa_memory_ordered 1
		.amdhsa_forward_progress 1
		.amdhsa_shared_vgpr_count 0
		.amdhsa_exception_fp_ieee_invalid_op 0
		.amdhsa_exception_fp_denorm_src 0
		.amdhsa_exception_fp_ieee_div_zero 0
		.amdhsa_exception_fp_ieee_overflow 0
		.amdhsa_exception_fp_ieee_underflow 0
		.amdhsa_exception_fp_ieee_inexact 0
		.amdhsa_exception_int_div_zero 0
	.end_amdhsa_kernel
	.section	.text._ZN7rocprim17ROCPRIM_400000_NS6detail17trampoline_kernelINS0_14default_configENS1_27scan_by_key_config_selectorIxxEEZZNS1_16scan_by_key_implILNS1_25lookback_scan_determinismE0ELb1ES3_N6thrust23THRUST_200600_302600_NS6detail15normal_iteratorINS9_10device_ptrIxEEEESE_SE_xNS9_4plusIvEENS9_8equal_toIvEExEE10hipError_tPvRmT2_T3_T4_T5_mT6_T7_P12ihipStream_tbENKUlT_T0_E_clISt17integral_constantIbLb1EESY_IbLb0EEEEDaSU_SV_EUlSU_E_NS1_11comp_targetILNS1_3genE9ELNS1_11target_archE1100ELNS1_3gpuE3ELNS1_3repE0EEENS1_30default_config_static_selectorELNS0_4arch9wavefront6targetE0EEEvT1_,"axG",@progbits,_ZN7rocprim17ROCPRIM_400000_NS6detail17trampoline_kernelINS0_14default_configENS1_27scan_by_key_config_selectorIxxEEZZNS1_16scan_by_key_implILNS1_25lookback_scan_determinismE0ELb1ES3_N6thrust23THRUST_200600_302600_NS6detail15normal_iteratorINS9_10device_ptrIxEEEESE_SE_xNS9_4plusIvEENS9_8equal_toIvEExEE10hipError_tPvRmT2_T3_T4_T5_mT6_T7_P12ihipStream_tbENKUlT_T0_E_clISt17integral_constantIbLb1EESY_IbLb0EEEEDaSU_SV_EUlSU_E_NS1_11comp_targetILNS1_3genE9ELNS1_11target_archE1100ELNS1_3gpuE3ELNS1_3repE0EEENS1_30default_config_static_selectorELNS0_4arch9wavefront6targetE0EEEvT1_,comdat
.Lfunc_end378:
	.size	_ZN7rocprim17ROCPRIM_400000_NS6detail17trampoline_kernelINS0_14default_configENS1_27scan_by_key_config_selectorIxxEEZZNS1_16scan_by_key_implILNS1_25lookback_scan_determinismE0ELb1ES3_N6thrust23THRUST_200600_302600_NS6detail15normal_iteratorINS9_10device_ptrIxEEEESE_SE_xNS9_4plusIvEENS9_8equal_toIvEExEE10hipError_tPvRmT2_T3_T4_T5_mT6_T7_P12ihipStream_tbENKUlT_T0_E_clISt17integral_constantIbLb1EESY_IbLb0EEEEDaSU_SV_EUlSU_E_NS1_11comp_targetILNS1_3genE9ELNS1_11target_archE1100ELNS1_3gpuE3ELNS1_3repE0EEENS1_30default_config_static_selectorELNS0_4arch9wavefront6targetE0EEEvT1_, .Lfunc_end378-_ZN7rocprim17ROCPRIM_400000_NS6detail17trampoline_kernelINS0_14default_configENS1_27scan_by_key_config_selectorIxxEEZZNS1_16scan_by_key_implILNS1_25lookback_scan_determinismE0ELb1ES3_N6thrust23THRUST_200600_302600_NS6detail15normal_iteratorINS9_10device_ptrIxEEEESE_SE_xNS9_4plusIvEENS9_8equal_toIvEExEE10hipError_tPvRmT2_T3_T4_T5_mT6_T7_P12ihipStream_tbENKUlT_T0_E_clISt17integral_constantIbLb1EESY_IbLb0EEEEDaSU_SV_EUlSU_E_NS1_11comp_targetILNS1_3genE9ELNS1_11target_archE1100ELNS1_3gpuE3ELNS1_3repE0EEENS1_30default_config_static_selectorELNS0_4arch9wavefront6targetE0EEEvT1_
                                        ; -- End function
	.set _ZN7rocprim17ROCPRIM_400000_NS6detail17trampoline_kernelINS0_14default_configENS1_27scan_by_key_config_selectorIxxEEZZNS1_16scan_by_key_implILNS1_25lookback_scan_determinismE0ELb1ES3_N6thrust23THRUST_200600_302600_NS6detail15normal_iteratorINS9_10device_ptrIxEEEESE_SE_xNS9_4plusIvEENS9_8equal_toIvEExEE10hipError_tPvRmT2_T3_T4_T5_mT6_T7_P12ihipStream_tbENKUlT_T0_E_clISt17integral_constantIbLb1EESY_IbLb0EEEEDaSU_SV_EUlSU_E_NS1_11comp_targetILNS1_3genE9ELNS1_11target_archE1100ELNS1_3gpuE3ELNS1_3repE0EEENS1_30default_config_static_selectorELNS0_4arch9wavefront6targetE0EEEvT1_.num_vgpr, 0
	.set _ZN7rocprim17ROCPRIM_400000_NS6detail17trampoline_kernelINS0_14default_configENS1_27scan_by_key_config_selectorIxxEEZZNS1_16scan_by_key_implILNS1_25lookback_scan_determinismE0ELb1ES3_N6thrust23THRUST_200600_302600_NS6detail15normal_iteratorINS9_10device_ptrIxEEEESE_SE_xNS9_4plusIvEENS9_8equal_toIvEExEE10hipError_tPvRmT2_T3_T4_T5_mT6_T7_P12ihipStream_tbENKUlT_T0_E_clISt17integral_constantIbLb1EESY_IbLb0EEEEDaSU_SV_EUlSU_E_NS1_11comp_targetILNS1_3genE9ELNS1_11target_archE1100ELNS1_3gpuE3ELNS1_3repE0EEENS1_30default_config_static_selectorELNS0_4arch9wavefront6targetE0EEEvT1_.num_agpr, 0
	.set _ZN7rocprim17ROCPRIM_400000_NS6detail17trampoline_kernelINS0_14default_configENS1_27scan_by_key_config_selectorIxxEEZZNS1_16scan_by_key_implILNS1_25lookback_scan_determinismE0ELb1ES3_N6thrust23THRUST_200600_302600_NS6detail15normal_iteratorINS9_10device_ptrIxEEEESE_SE_xNS9_4plusIvEENS9_8equal_toIvEExEE10hipError_tPvRmT2_T3_T4_T5_mT6_T7_P12ihipStream_tbENKUlT_T0_E_clISt17integral_constantIbLb1EESY_IbLb0EEEEDaSU_SV_EUlSU_E_NS1_11comp_targetILNS1_3genE9ELNS1_11target_archE1100ELNS1_3gpuE3ELNS1_3repE0EEENS1_30default_config_static_selectorELNS0_4arch9wavefront6targetE0EEEvT1_.numbered_sgpr, 0
	.set _ZN7rocprim17ROCPRIM_400000_NS6detail17trampoline_kernelINS0_14default_configENS1_27scan_by_key_config_selectorIxxEEZZNS1_16scan_by_key_implILNS1_25lookback_scan_determinismE0ELb1ES3_N6thrust23THRUST_200600_302600_NS6detail15normal_iteratorINS9_10device_ptrIxEEEESE_SE_xNS9_4plusIvEENS9_8equal_toIvEExEE10hipError_tPvRmT2_T3_T4_T5_mT6_T7_P12ihipStream_tbENKUlT_T0_E_clISt17integral_constantIbLb1EESY_IbLb0EEEEDaSU_SV_EUlSU_E_NS1_11comp_targetILNS1_3genE9ELNS1_11target_archE1100ELNS1_3gpuE3ELNS1_3repE0EEENS1_30default_config_static_selectorELNS0_4arch9wavefront6targetE0EEEvT1_.num_named_barrier, 0
	.set _ZN7rocprim17ROCPRIM_400000_NS6detail17trampoline_kernelINS0_14default_configENS1_27scan_by_key_config_selectorIxxEEZZNS1_16scan_by_key_implILNS1_25lookback_scan_determinismE0ELb1ES3_N6thrust23THRUST_200600_302600_NS6detail15normal_iteratorINS9_10device_ptrIxEEEESE_SE_xNS9_4plusIvEENS9_8equal_toIvEExEE10hipError_tPvRmT2_T3_T4_T5_mT6_T7_P12ihipStream_tbENKUlT_T0_E_clISt17integral_constantIbLb1EESY_IbLb0EEEEDaSU_SV_EUlSU_E_NS1_11comp_targetILNS1_3genE9ELNS1_11target_archE1100ELNS1_3gpuE3ELNS1_3repE0EEENS1_30default_config_static_selectorELNS0_4arch9wavefront6targetE0EEEvT1_.private_seg_size, 0
	.set _ZN7rocprim17ROCPRIM_400000_NS6detail17trampoline_kernelINS0_14default_configENS1_27scan_by_key_config_selectorIxxEEZZNS1_16scan_by_key_implILNS1_25lookback_scan_determinismE0ELb1ES3_N6thrust23THRUST_200600_302600_NS6detail15normal_iteratorINS9_10device_ptrIxEEEESE_SE_xNS9_4plusIvEENS9_8equal_toIvEExEE10hipError_tPvRmT2_T3_T4_T5_mT6_T7_P12ihipStream_tbENKUlT_T0_E_clISt17integral_constantIbLb1EESY_IbLb0EEEEDaSU_SV_EUlSU_E_NS1_11comp_targetILNS1_3genE9ELNS1_11target_archE1100ELNS1_3gpuE3ELNS1_3repE0EEENS1_30default_config_static_selectorELNS0_4arch9wavefront6targetE0EEEvT1_.uses_vcc, 0
	.set _ZN7rocprim17ROCPRIM_400000_NS6detail17trampoline_kernelINS0_14default_configENS1_27scan_by_key_config_selectorIxxEEZZNS1_16scan_by_key_implILNS1_25lookback_scan_determinismE0ELb1ES3_N6thrust23THRUST_200600_302600_NS6detail15normal_iteratorINS9_10device_ptrIxEEEESE_SE_xNS9_4plusIvEENS9_8equal_toIvEExEE10hipError_tPvRmT2_T3_T4_T5_mT6_T7_P12ihipStream_tbENKUlT_T0_E_clISt17integral_constantIbLb1EESY_IbLb0EEEEDaSU_SV_EUlSU_E_NS1_11comp_targetILNS1_3genE9ELNS1_11target_archE1100ELNS1_3gpuE3ELNS1_3repE0EEENS1_30default_config_static_selectorELNS0_4arch9wavefront6targetE0EEEvT1_.uses_flat_scratch, 0
	.set _ZN7rocprim17ROCPRIM_400000_NS6detail17trampoline_kernelINS0_14default_configENS1_27scan_by_key_config_selectorIxxEEZZNS1_16scan_by_key_implILNS1_25lookback_scan_determinismE0ELb1ES3_N6thrust23THRUST_200600_302600_NS6detail15normal_iteratorINS9_10device_ptrIxEEEESE_SE_xNS9_4plusIvEENS9_8equal_toIvEExEE10hipError_tPvRmT2_T3_T4_T5_mT6_T7_P12ihipStream_tbENKUlT_T0_E_clISt17integral_constantIbLb1EESY_IbLb0EEEEDaSU_SV_EUlSU_E_NS1_11comp_targetILNS1_3genE9ELNS1_11target_archE1100ELNS1_3gpuE3ELNS1_3repE0EEENS1_30default_config_static_selectorELNS0_4arch9wavefront6targetE0EEEvT1_.has_dyn_sized_stack, 0
	.set _ZN7rocprim17ROCPRIM_400000_NS6detail17trampoline_kernelINS0_14default_configENS1_27scan_by_key_config_selectorIxxEEZZNS1_16scan_by_key_implILNS1_25lookback_scan_determinismE0ELb1ES3_N6thrust23THRUST_200600_302600_NS6detail15normal_iteratorINS9_10device_ptrIxEEEESE_SE_xNS9_4plusIvEENS9_8equal_toIvEExEE10hipError_tPvRmT2_T3_T4_T5_mT6_T7_P12ihipStream_tbENKUlT_T0_E_clISt17integral_constantIbLb1EESY_IbLb0EEEEDaSU_SV_EUlSU_E_NS1_11comp_targetILNS1_3genE9ELNS1_11target_archE1100ELNS1_3gpuE3ELNS1_3repE0EEENS1_30default_config_static_selectorELNS0_4arch9wavefront6targetE0EEEvT1_.has_recursion, 0
	.set _ZN7rocprim17ROCPRIM_400000_NS6detail17trampoline_kernelINS0_14default_configENS1_27scan_by_key_config_selectorIxxEEZZNS1_16scan_by_key_implILNS1_25lookback_scan_determinismE0ELb1ES3_N6thrust23THRUST_200600_302600_NS6detail15normal_iteratorINS9_10device_ptrIxEEEESE_SE_xNS9_4plusIvEENS9_8equal_toIvEExEE10hipError_tPvRmT2_T3_T4_T5_mT6_T7_P12ihipStream_tbENKUlT_T0_E_clISt17integral_constantIbLb1EESY_IbLb0EEEEDaSU_SV_EUlSU_E_NS1_11comp_targetILNS1_3genE9ELNS1_11target_archE1100ELNS1_3gpuE3ELNS1_3repE0EEENS1_30default_config_static_selectorELNS0_4arch9wavefront6targetE0EEEvT1_.has_indirect_call, 0
	.section	.AMDGPU.csdata,"",@progbits
; Kernel info:
; codeLenInByte = 0
; TotalNumSgprs: 0
; NumVgprs: 0
; ScratchSize: 0
; MemoryBound: 0
; FloatMode: 240
; IeeeMode: 1
; LDSByteSize: 0 bytes/workgroup (compile time only)
; SGPRBlocks: 0
; VGPRBlocks: 0
; NumSGPRsForWavesPerEU: 1
; NumVGPRsForWavesPerEU: 1
; Occupancy: 16
; WaveLimiterHint : 0
; COMPUTE_PGM_RSRC2:SCRATCH_EN: 0
; COMPUTE_PGM_RSRC2:USER_SGPR: 6
; COMPUTE_PGM_RSRC2:TRAP_HANDLER: 0
; COMPUTE_PGM_RSRC2:TGID_X_EN: 1
; COMPUTE_PGM_RSRC2:TGID_Y_EN: 0
; COMPUTE_PGM_RSRC2:TGID_Z_EN: 0
; COMPUTE_PGM_RSRC2:TIDIG_COMP_CNT: 0
	.section	.text._ZN7rocprim17ROCPRIM_400000_NS6detail17trampoline_kernelINS0_14default_configENS1_27scan_by_key_config_selectorIxxEEZZNS1_16scan_by_key_implILNS1_25lookback_scan_determinismE0ELb1ES3_N6thrust23THRUST_200600_302600_NS6detail15normal_iteratorINS9_10device_ptrIxEEEESE_SE_xNS9_4plusIvEENS9_8equal_toIvEExEE10hipError_tPvRmT2_T3_T4_T5_mT6_T7_P12ihipStream_tbENKUlT_T0_E_clISt17integral_constantIbLb1EESY_IbLb0EEEEDaSU_SV_EUlSU_E_NS1_11comp_targetILNS1_3genE8ELNS1_11target_archE1030ELNS1_3gpuE2ELNS1_3repE0EEENS1_30default_config_static_selectorELNS0_4arch9wavefront6targetE0EEEvT1_,"axG",@progbits,_ZN7rocprim17ROCPRIM_400000_NS6detail17trampoline_kernelINS0_14default_configENS1_27scan_by_key_config_selectorIxxEEZZNS1_16scan_by_key_implILNS1_25lookback_scan_determinismE0ELb1ES3_N6thrust23THRUST_200600_302600_NS6detail15normal_iteratorINS9_10device_ptrIxEEEESE_SE_xNS9_4plusIvEENS9_8equal_toIvEExEE10hipError_tPvRmT2_T3_T4_T5_mT6_T7_P12ihipStream_tbENKUlT_T0_E_clISt17integral_constantIbLb1EESY_IbLb0EEEEDaSU_SV_EUlSU_E_NS1_11comp_targetILNS1_3genE8ELNS1_11target_archE1030ELNS1_3gpuE2ELNS1_3repE0EEENS1_30default_config_static_selectorELNS0_4arch9wavefront6targetE0EEEvT1_,comdat
	.protected	_ZN7rocprim17ROCPRIM_400000_NS6detail17trampoline_kernelINS0_14default_configENS1_27scan_by_key_config_selectorIxxEEZZNS1_16scan_by_key_implILNS1_25lookback_scan_determinismE0ELb1ES3_N6thrust23THRUST_200600_302600_NS6detail15normal_iteratorINS9_10device_ptrIxEEEESE_SE_xNS9_4plusIvEENS9_8equal_toIvEExEE10hipError_tPvRmT2_T3_T4_T5_mT6_T7_P12ihipStream_tbENKUlT_T0_E_clISt17integral_constantIbLb1EESY_IbLb0EEEEDaSU_SV_EUlSU_E_NS1_11comp_targetILNS1_3genE8ELNS1_11target_archE1030ELNS1_3gpuE2ELNS1_3repE0EEENS1_30default_config_static_selectorELNS0_4arch9wavefront6targetE0EEEvT1_ ; -- Begin function _ZN7rocprim17ROCPRIM_400000_NS6detail17trampoline_kernelINS0_14default_configENS1_27scan_by_key_config_selectorIxxEEZZNS1_16scan_by_key_implILNS1_25lookback_scan_determinismE0ELb1ES3_N6thrust23THRUST_200600_302600_NS6detail15normal_iteratorINS9_10device_ptrIxEEEESE_SE_xNS9_4plusIvEENS9_8equal_toIvEExEE10hipError_tPvRmT2_T3_T4_T5_mT6_T7_P12ihipStream_tbENKUlT_T0_E_clISt17integral_constantIbLb1EESY_IbLb0EEEEDaSU_SV_EUlSU_E_NS1_11comp_targetILNS1_3genE8ELNS1_11target_archE1030ELNS1_3gpuE2ELNS1_3repE0EEENS1_30default_config_static_selectorELNS0_4arch9wavefront6targetE0EEEvT1_
	.globl	_ZN7rocprim17ROCPRIM_400000_NS6detail17trampoline_kernelINS0_14default_configENS1_27scan_by_key_config_selectorIxxEEZZNS1_16scan_by_key_implILNS1_25lookback_scan_determinismE0ELb1ES3_N6thrust23THRUST_200600_302600_NS6detail15normal_iteratorINS9_10device_ptrIxEEEESE_SE_xNS9_4plusIvEENS9_8equal_toIvEExEE10hipError_tPvRmT2_T3_T4_T5_mT6_T7_P12ihipStream_tbENKUlT_T0_E_clISt17integral_constantIbLb1EESY_IbLb0EEEEDaSU_SV_EUlSU_E_NS1_11comp_targetILNS1_3genE8ELNS1_11target_archE1030ELNS1_3gpuE2ELNS1_3repE0EEENS1_30default_config_static_selectorELNS0_4arch9wavefront6targetE0EEEvT1_
	.p2align	8
	.type	_ZN7rocprim17ROCPRIM_400000_NS6detail17trampoline_kernelINS0_14default_configENS1_27scan_by_key_config_selectorIxxEEZZNS1_16scan_by_key_implILNS1_25lookback_scan_determinismE0ELb1ES3_N6thrust23THRUST_200600_302600_NS6detail15normal_iteratorINS9_10device_ptrIxEEEESE_SE_xNS9_4plusIvEENS9_8equal_toIvEExEE10hipError_tPvRmT2_T3_T4_T5_mT6_T7_P12ihipStream_tbENKUlT_T0_E_clISt17integral_constantIbLb1EESY_IbLb0EEEEDaSU_SV_EUlSU_E_NS1_11comp_targetILNS1_3genE8ELNS1_11target_archE1030ELNS1_3gpuE2ELNS1_3repE0EEENS1_30default_config_static_selectorELNS0_4arch9wavefront6targetE0EEEvT1_,@function
_ZN7rocprim17ROCPRIM_400000_NS6detail17trampoline_kernelINS0_14default_configENS1_27scan_by_key_config_selectorIxxEEZZNS1_16scan_by_key_implILNS1_25lookback_scan_determinismE0ELb1ES3_N6thrust23THRUST_200600_302600_NS6detail15normal_iteratorINS9_10device_ptrIxEEEESE_SE_xNS9_4plusIvEENS9_8equal_toIvEExEE10hipError_tPvRmT2_T3_T4_T5_mT6_T7_P12ihipStream_tbENKUlT_T0_E_clISt17integral_constantIbLb1EESY_IbLb0EEEEDaSU_SV_EUlSU_E_NS1_11comp_targetILNS1_3genE8ELNS1_11target_archE1030ELNS1_3gpuE2ELNS1_3repE0EEENS1_30default_config_static_selectorELNS0_4arch9wavefront6targetE0EEEvT1_: ; @_ZN7rocprim17ROCPRIM_400000_NS6detail17trampoline_kernelINS0_14default_configENS1_27scan_by_key_config_selectorIxxEEZZNS1_16scan_by_key_implILNS1_25lookback_scan_determinismE0ELb1ES3_N6thrust23THRUST_200600_302600_NS6detail15normal_iteratorINS9_10device_ptrIxEEEESE_SE_xNS9_4plusIvEENS9_8equal_toIvEExEE10hipError_tPvRmT2_T3_T4_T5_mT6_T7_P12ihipStream_tbENKUlT_T0_E_clISt17integral_constantIbLb1EESY_IbLb0EEEEDaSU_SV_EUlSU_E_NS1_11comp_targetILNS1_3genE8ELNS1_11target_archE1030ELNS1_3gpuE2ELNS1_3repE0EEENS1_30default_config_static_selectorELNS0_4arch9wavefront6targetE0EEEvT1_
; %bb.0:
	s_endpgm
	.section	.rodata,"a",@progbits
	.p2align	6, 0x0
	.amdhsa_kernel _ZN7rocprim17ROCPRIM_400000_NS6detail17trampoline_kernelINS0_14default_configENS1_27scan_by_key_config_selectorIxxEEZZNS1_16scan_by_key_implILNS1_25lookback_scan_determinismE0ELb1ES3_N6thrust23THRUST_200600_302600_NS6detail15normal_iteratorINS9_10device_ptrIxEEEESE_SE_xNS9_4plusIvEENS9_8equal_toIvEExEE10hipError_tPvRmT2_T3_T4_T5_mT6_T7_P12ihipStream_tbENKUlT_T0_E_clISt17integral_constantIbLb1EESY_IbLb0EEEEDaSU_SV_EUlSU_E_NS1_11comp_targetILNS1_3genE8ELNS1_11target_archE1030ELNS1_3gpuE2ELNS1_3repE0EEENS1_30default_config_static_selectorELNS0_4arch9wavefront6targetE0EEEvT1_
		.amdhsa_group_segment_fixed_size 0
		.amdhsa_private_segment_fixed_size 0
		.amdhsa_kernarg_size 136
		.amdhsa_user_sgpr_count 6
		.amdhsa_user_sgpr_private_segment_buffer 1
		.amdhsa_user_sgpr_dispatch_ptr 0
		.amdhsa_user_sgpr_queue_ptr 0
		.amdhsa_user_sgpr_kernarg_segment_ptr 1
		.amdhsa_user_sgpr_dispatch_id 0
		.amdhsa_user_sgpr_flat_scratch_init 0
		.amdhsa_user_sgpr_private_segment_size 0
		.amdhsa_wavefront_size32 1
		.amdhsa_uses_dynamic_stack 0
		.amdhsa_system_sgpr_private_segment_wavefront_offset 0
		.amdhsa_system_sgpr_workgroup_id_x 1
		.amdhsa_system_sgpr_workgroup_id_y 0
		.amdhsa_system_sgpr_workgroup_id_z 0
		.amdhsa_system_sgpr_workgroup_info 0
		.amdhsa_system_vgpr_workitem_id 0
		.amdhsa_next_free_vgpr 1
		.amdhsa_next_free_sgpr 1
		.amdhsa_reserve_vcc 0
		.amdhsa_reserve_flat_scratch 0
		.amdhsa_float_round_mode_32 0
		.amdhsa_float_round_mode_16_64 0
		.amdhsa_float_denorm_mode_32 3
		.amdhsa_float_denorm_mode_16_64 3
		.amdhsa_dx10_clamp 1
		.amdhsa_ieee_mode 1
		.amdhsa_fp16_overflow 0
		.amdhsa_workgroup_processor_mode 1
		.amdhsa_memory_ordered 1
		.amdhsa_forward_progress 1
		.amdhsa_shared_vgpr_count 0
		.amdhsa_exception_fp_ieee_invalid_op 0
		.amdhsa_exception_fp_denorm_src 0
		.amdhsa_exception_fp_ieee_div_zero 0
		.amdhsa_exception_fp_ieee_overflow 0
		.amdhsa_exception_fp_ieee_underflow 0
		.amdhsa_exception_fp_ieee_inexact 0
		.amdhsa_exception_int_div_zero 0
	.end_amdhsa_kernel
	.section	.text._ZN7rocprim17ROCPRIM_400000_NS6detail17trampoline_kernelINS0_14default_configENS1_27scan_by_key_config_selectorIxxEEZZNS1_16scan_by_key_implILNS1_25lookback_scan_determinismE0ELb1ES3_N6thrust23THRUST_200600_302600_NS6detail15normal_iteratorINS9_10device_ptrIxEEEESE_SE_xNS9_4plusIvEENS9_8equal_toIvEExEE10hipError_tPvRmT2_T3_T4_T5_mT6_T7_P12ihipStream_tbENKUlT_T0_E_clISt17integral_constantIbLb1EESY_IbLb0EEEEDaSU_SV_EUlSU_E_NS1_11comp_targetILNS1_3genE8ELNS1_11target_archE1030ELNS1_3gpuE2ELNS1_3repE0EEENS1_30default_config_static_selectorELNS0_4arch9wavefront6targetE0EEEvT1_,"axG",@progbits,_ZN7rocprim17ROCPRIM_400000_NS6detail17trampoline_kernelINS0_14default_configENS1_27scan_by_key_config_selectorIxxEEZZNS1_16scan_by_key_implILNS1_25lookback_scan_determinismE0ELb1ES3_N6thrust23THRUST_200600_302600_NS6detail15normal_iteratorINS9_10device_ptrIxEEEESE_SE_xNS9_4plusIvEENS9_8equal_toIvEExEE10hipError_tPvRmT2_T3_T4_T5_mT6_T7_P12ihipStream_tbENKUlT_T0_E_clISt17integral_constantIbLb1EESY_IbLb0EEEEDaSU_SV_EUlSU_E_NS1_11comp_targetILNS1_3genE8ELNS1_11target_archE1030ELNS1_3gpuE2ELNS1_3repE0EEENS1_30default_config_static_selectorELNS0_4arch9wavefront6targetE0EEEvT1_,comdat
.Lfunc_end379:
	.size	_ZN7rocprim17ROCPRIM_400000_NS6detail17trampoline_kernelINS0_14default_configENS1_27scan_by_key_config_selectorIxxEEZZNS1_16scan_by_key_implILNS1_25lookback_scan_determinismE0ELb1ES3_N6thrust23THRUST_200600_302600_NS6detail15normal_iteratorINS9_10device_ptrIxEEEESE_SE_xNS9_4plusIvEENS9_8equal_toIvEExEE10hipError_tPvRmT2_T3_T4_T5_mT6_T7_P12ihipStream_tbENKUlT_T0_E_clISt17integral_constantIbLb1EESY_IbLb0EEEEDaSU_SV_EUlSU_E_NS1_11comp_targetILNS1_3genE8ELNS1_11target_archE1030ELNS1_3gpuE2ELNS1_3repE0EEENS1_30default_config_static_selectorELNS0_4arch9wavefront6targetE0EEEvT1_, .Lfunc_end379-_ZN7rocprim17ROCPRIM_400000_NS6detail17trampoline_kernelINS0_14default_configENS1_27scan_by_key_config_selectorIxxEEZZNS1_16scan_by_key_implILNS1_25lookback_scan_determinismE0ELb1ES3_N6thrust23THRUST_200600_302600_NS6detail15normal_iteratorINS9_10device_ptrIxEEEESE_SE_xNS9_4plusIvEENS9_8equal_toIvEExEE10hipError_tPvRmT2_T3_T4_T5_mT6_T7_P12ihipStream_tbENKUlT_T0_E_clISt17integral_constantIbLb1EESY_IbLb0EEEEDaSU_SV_EUlSU_E_NS1_11comp_targetILNS1_3genE8ELNS1_11target_archE1030ELNS1_3gpuE2ELNS1_3repE0EEENS1_30default_config_static_selectorELNS0_4arch9wavefront6targetE0EEEvT1_
                                        ; -- End function
	.set _ZN7rocprim17ROCPRIM_400000_NS6detail17trampoline_kernelINS0_14default_configENS1_27scan_by_key_config_selectorIxxEEZZNS1_16scan_by_key_implILNS1_25lookback_scan_determinismE0ELb1ES3_N6thrust23THRUST_200600_302600_NS6detail15normal_iteratorINS9_10device_ptrIxEEEESE_SE_xNS9_4plusIvEENS9_8equal_toIvEExEE10hipError_tPvRmT2_T3_T4_T5_mT6_T7_P12ihipStream_tbENKUlT_T0_E_clISt17integral_constantIbLb1EESY_IbLb0EEEEDaSU_SV_EUlSU_E_NS1_11comp_targetILNS1_3genE8ELNS1_11target_archE1030ELNS1_3gpuE2ELNS1_3repE0EEENS1_30default_config_static_selectorELNS0_4arch9wavefront6targetE0EEEvT1_.num_vgpr, 0
	.set _ZN7rocprim17ROCPRIM_400000_NS6detail17trampoline_kernelINS0_14default_configENS1_27scan_by_key_config_selectorIxxEEZZNS1_16scan_by_key_implILNS1_25lookback_scan_determinismE0ELb1ES3_N6thrust23THRUST_200600_302600_NS6detail15normal_iteratorINS9_10device_ptrIxEEEESE_SE_xNS9_4plusIvEENS9_8equal_toIvEExEE10hipError_tPvRmT2_T3_T4_T5_mT6_T7_P12ihipStream_tbENKUlT_T0_E_clISt17integral_constantIbLb1EESY_IbLb0EEEEDaSU_SV_EUlSU_E_NS1_11comp_targetILNS1_3genE8ELNS1_11target_archE1030ELNS1_3gpuE2ELNS1_3repE0EEENS1_30default_config_static_selectorELNS0_4arch9wavefront6targetE0EEEvT1_.num_agpr, 0
	.set _ZN7rocprim17ROCPRIM_400000_NS6detail17trampoline_kernelINS0_14default_configENS1_27scan_by_key_config_selectorIxxEEZZNS1_16scan_by_key_implILNS1_25lookback_scan_determinismE0ELb1ES3_N6thrust23THRUST_200600_302600_NS6detail15normal_iteratorINS9_10device_ptrIxEEEESE_SE_xNS9_4plusIvEENS9_8equal_toIvEExEE10hipError_tPvRmT2_T3_T4_T5_mT6_T7_P12ihipStream_tbENKUlT_T0_E_clISt17integral_constantIbLb1EESY_IbLb0EEEEDaSU_SV_EUlSU_E_NS1_11comp_targetILNS1_3genE8ELNS1_11target_archE1030ELNS1_3gpuE2ELNS1_3repE0EEENS1_30default_config_static_selectorELNS0_4arch9wavefront6targetE0EEEvT1_.numbered_sgpr, 0
	.set _ZN7rocprim17ROCPRIM_400000_NS6detail17trampoline_kernelINS0_14default_configENS1_27scan_by_key_config_selectorIxxEEZZNS1_16scan_by_key_implILNS1_25lookback_scan_determinismE0ELb1ES3_N6thrust23THRUST_200600_302600_NS6detail15normal_iteratorINS9_10device_ptrIxEEEESE_SE_xNS9_4plusIvEENS9_8equal_toIvEExEE10hipError_tPvRmT2_T3_T4_T5_mT6_T7_P12ihipStream_tbENKUlT_T0_E_clISt17integral_constantIbLb1EESY_IbLb0EEEEDaSU_SV_EUlSU_E_NS1_11comp_targetILNS1_3genE8ELNS1_11target_archE1030ELNS1_3gpuE2ELNS1_3repE0EEENS1_30default_config_static_selectorELNS0_4arch9wavefront6targetE0EEEvT1_.num_named_barrier, 0
	.set _ZN7rocprim17ROCPRIM_400000_NS6detail17trampoline_kernelINS0_14default_configENS1_27scan_by_key_config_selectorIxxEEZZNS1_16scan_by_key_implILNS1_25lookback_scan_determinismE0ELb1ES3_N6thrust23THRUST_200600_302600_NS6detail15normal_iteratorINS9_10device_ptrIxEEEESE_SE_xNS9_4plusIvEENS9_8equal_toIvEExEE10hipError_tPvRmT2_T3_T4_T5_mT6_T7_P12ihipStream_tbENKUlT_T0_E_clISt17integral_constantIbLb1EESY_IbLb0EEEEDaSU_SV_EUlSU_E_NS1_11comp_targetILNS1_3genE8ELNS1_11target_archE1030ELNS1_3gpuE2ELNS1_3repE0EEENS1_30default_config_static_selectorELNS0_4arch9wavefront6targetE0EEEvT1_.private_seg_size, 0
	.set _ZN7rocprim17ROCPRIM_400000_NS6detail17trampoline_kernelINS0_14default_configENS1_27scan_by_key_config_selectorIxxEEZZNS1_16scan_by_key_implILNS1_25lookback_scan_determinismE0ELb1ES3_N6thrust23THRUST_200600_302600_NS6detail15normal_iteratorINS9_10device_ptrIxEEEESE_SE_xNS9_4plusIvEENS9_8equal_toIvEExEE10hipError_tPvRmT2_T3_T4_T5_mT6_T7_P12ihipStream_tbENKUlT_T0_E_clISt17integral_constantIbLb1EESY_IbLb0EEEEDaSU_SV_EUlSU_E_NS1_11comp_targetILNS1_3genE8ELNS1_11target_archE1030ELNS1_3gpuE2ELNS1_3repE0EEENS1_30default_config_static_selectorELNS0_4arch9wavefront6targetE0EEEvT1_.uses_vcc, 0
	.set _ZN7rocprim17ROCPRIM_400000_NS6detail17trampoline_kernelINS0_14default_configENS1_27scan_by_key_config_selectorIxxEEZZNS1_16scan_by_key_implILNS1_25lookback_scan_determinismE0ELb1ES3_N6thrust23THRUST_200600_302600_NS6detail15normal_iteratorINS9_10device_ptrIxEEEESE_SE_xNS9_4plusIvEENS9_8equal_toIvEExEE10hipError_tPvRmT2_T3_T4_T5_mT6_T7_P12ihipStream_tbENKUlT_T0_E_clISt17integral_constantIbLb1EESY_IbLb0EEEEDaSU_SV_EUlSU_E_NS1_11comp_targetILNS1_3genE8ELNS1_11target_archE1030ELNS1_3gpuE2ELNS1_3repE0EEENS1_30default_config_static_selectorELNS0_4arch9wavefront6targetE0EEEvT1_.uses_flat_scratch, 0
	.set _ZN7rocprim17ROCPRIM_400000_NS6detail17trampoline_kernelINS0_14default_configENS1_27scan_by_key_config_selectorIxxEEZZNS1_16scan_by_key_implILNS1_25lookback_scan_determinismE0ELb1ES3_N6thrust23THRUST_200600_302600_NS6detail15normal_iteratorINS9_10device_ptrIxEEEESE_SE_xNS9_4plusIvEENS9_8equal_toIvEExEE10hipError_tPvRmT2_T3_T4_T5_mT6_T7_P12ihipStream_tbENKUlT_T0_E_clISt17integral_constantIbLb1EESY_IbLb0EEEEDaSU_SV_EUlSU_E_NS1_11comp_targetILNS1_3genE8ELNS1_11target_archE1030ELNS1_3gpuE2ELNS1_3repE0EEENS1_30default_config_static_selectorELNS0_4arch9wavefront6targetE0EEEvT1_.has_dyn_sized_stack, 0
	.set _ZN7rocprim17ROCPRIM_400000_NS6detail17trampoline_kernelINS0_14default_configENS1_27scan_by_key_config_selectorIxxEEZZNS1_16scan_by_key_implILNS1_25lookback_scan_determinismE0ELb1ES3_N6thrust23THRUST_200600_302600_NS6detail15normal_iteratorINS9_10device_ptrIxEEEESE_SE_xNS9_4plusIvEENS9_8equal_toIvEExEE10hipError_tPvRmT2_T3_T4_T5_mT6_T7_P12ihipStream_tbENKUlT_T0_E_clISt17integral_constantIbLb1EESY_IbLb0EEEEDaSU_SV_EUlSU_E_NS1_11comp_targetILNS1_3genE8ELNS1_11target_archE1030ELNS1_3gpuE2ELNS1_3repE0EEENS1_30default_config_static_selectorELNS0_4arch9wavefront6targetE0EEEvT1_.has_recursion, 0
	.set _ZN7rocprim17ROCPRIM_400000_NS6detail17trampoline_kernelINS0_14default_configENS1_27scan_by_key_config_selectorIxxEEZZNS1_16scan_by_key_implILNS1_25lookback_scan_determinismE0ELb1ES3_N6thrust23THRUST_200600_302600_NS6detail15normal_iteratorINS9_10device_ptrIxEEEESE_SE_xNS9_4plusIvEENS9_8equal_toIvEExEE10hipError_tPvRmT2_T3_T4_T5_mT6_T7_P12ihipStream_tbENKUlT_T0_E_clISt17integral_constantIbLb1EESY_IbLb0EEEEDaSU_SV_EUlSU_E_NS1_11comp_targetILNS1_3genE8ELNS1_11target_archE1030ELNS1_3gpuE2ELNS1_3repE0EEENS1_30default_config_static_selectorELNS0_4arch9wavefront6targetE0EEEvT1_.has_indirect_call, 0
	.section	.AMDGPU.csdata,"",@progbits
; Kernel info:
; codeLenInByte = 4
; TotalNumSgprs: 0
; NumVgprs: 0
; ScratchSize: 0
; MemoryBound: 0
; FloatMode: 240
; IeeeMode: 1
; LDSByteSize: 0 bytes/workgroup (compile time only)
; SGPRBlocks: 0
; VGPRBlocks: 0
; NumSGPRsForWavesPerEU: 1
; NumVGPRsForWavesPerEU: 1
; Occupancy: 16
; WaveLimiterHint : 0
; COMPUTE_PGM_RSRC2:SCRATCH_EN: 0
; COMPUTE_PGM_RSRC2:USER_SGPR: 6
; COMPUTE_PGM_RSRC2:TRAP_HANDLER: 0
; COMPUTE_PGM_RSRC2:TGID_X_EN: 1
; COMPUTE_PGM_RSRC2:TGID_Y_EN: 0
; COMPUTE_PGM_RSRC2:TGID_Z_EN: 0
; COMPUTE_PGM_RSRC2:TIDIG_COMP_CNT: 0
	.section	.text._ZN7rocprim17ROCPRIM_400000_NS6detail17trampoline_kernelINS0_14default_configENS1_27scan_by_key_config_selectorIxxEEZZNS1_16scan_by_key_implILNS1_25lookback_scan_determinismE0ELb1ES3_N6thrust23THRUST_200600_302600_NS6detail15normal_iteratorINS9_10device_ptrIxEEEESE_SE_xNS9_4plusIvEENS9_8equal_toIvEExEE10hipError_tPvRmT2_T3_T4_T5_mT6_T7_P12ihipStream_tbENKUlT_T0_E_clISt17integral_constantIbLb0EESY_IbLb1EEEEDaSU_SV_EUlSU_E_NS1_11comp_targetILNS1_3genE0ELNS1_11target_archE4294967295ELNS1_3gpuE0ELNS1_3repE0EEENS1_30default_config_static_selectorELNS0_4arch9wavefront6targetE0EEEvT1_,"axG",@progbits,_ZN7rocprim17ROCPRIM_400000_NS6detail17trampoline_kernelINS0_14default_configENS1_27scan_by_key_config_selectorIxxEEZZNS1_16scan_by_key_implILNS1_25lookback_scan_determinismE0ELb1ES3_N6thrust23THRUST_200600_302600_NS6detail15normal_iteratorINS9_10device_ptrIxEEEESE_SE_xNS9_4plusIvEENS9_8equal_toIvEExEE10hipError_tPvRmT2_T3_T4_T5_mT6_T7_P12ihipStream_tbENKUlT_T0_E_clISt17integral_constantIbLb0EESY_IbLb1EEEEDaSU_SV_EUlSU_E_NS1_11comp_targetILNS1_3genE0ELNS1_11target_archE4294967295ELNS1_3gpuE0ELNS1_3repE0EEENS1_30default_config_static_selectorELNS0_4arch9wavefront6targetE0EEEvT1_,comdat
	.protected	_ZN7rocprim17ROCPRIM_400000_NS6detail17trampoline_kernelINS0_14default_configENS1_27scan_by_key_config_selectorIxxEEZZNS1_16scan_by_key_implILNS1_25lookback_scan_determinismE0ELb1ES3_N6thrust23THRUST_200600_302600_NS6detail15normal_iteratorINS9_10device_ptrIxEEEESE_SE_xNS9_4plusIvEENS9_8equal_toIvEExEE10hipError_tPvRmT2_T3_T4_T5_mT6_T7_P12ihipStream_tbENKUlT_T0_E_clISt17integral_constantIbLb0EESY_IbLb1EEEEDaSU_SV_EUlSU_E_NS1_11comp_targetILNS1_3genE0ELNS1_11target_archE4294967295ELNS1_3gpuE0ELNS1_3repE0EEENS1_30default_config_static_selectorELNS0_4arch9wavefront6targetE0EEEvT1_ ; -- Begin function _ZN7rocprim17ROCPRIM_400000_NS6detail17trampoline_kernelINS0_14default_configENS1_27scan_by_key_config_selectorIxxEEZZNS1_16scan_by_key_implILNS1_25lookback_scan_determinismE0ELb1ES3_N6thrust23THRUST_200600_302600_NS6detail15normal_iteratorINS9_10device_ptrIxEEEESE_SE_xNS9_4plusIvEENS9_8equal_toIvEExEE10hipError_tPvRmT2_T3_T4_T5_mT6_T7_P12ihipStream_tbENKUlT_T0_E_clISt17integral_constantIbLb0EESY_IbLb1EEEEDaSU_SV_EUlSU_E_NS1_11comp_targetILNS1_3genE0ELNS1_11target_archE4294967295ELNS1_3gpuE0ELNS1_3repE0EEENS1_30default_config_static_selectorELNS0_4arch9wavefront6targetE0EEEvT1_
	.globl	_ZN7rocprim17ROCPRIM_400000_NS6detail17trampoline_kernelINS0_14default_configENS1_27scan_by_key_config_selectorIxxEEZZNS1_16scan_by_key_implILNS1_25lookback_scan_determinismE0ELb1ES3_N6thrust23THRUST_200600_302600_NS6detail15normal_iteratorINS9_10device_ptrIxEEEESE_SE_xNS9_4plusIvEENS9_8equal_toIvEExEE10hipError_tPvRmT2_T3_T4_T5_mT6_T7_P12ihipStream_tbENKUlT_T0_E_clISt17integral_constantIbLb0EESY_IbLb1EEEEDaSU_SV_EUlSU_E_NS1_11comp_targetILNS1_3genE0ELNS1_11target_archE4294967295ELNS1_3gpuE0ELNS1_3repE0EEENS1_30default_config_static_selectorELNS0_4arch9wavefront6targetE0EEEvT1_
	.p2align	8
	.type	_ZN7rocprim17ROCPRIM_400000_NS6detail17trampoline_kernelINS0_14default_configENS1_27scan_by_key_config_selectorIxxEEZZNS1_16scan_by_key_implILNS1_25lookback_scan_determinismE0ELb1ES3_N6thrust23THRUST_200600_302600_NS6detail15normal_iteratorINS9_10device_ptrIxEEEESE_SE_xNS9_4plusIvEENS9_8equal_toIvEExEE10hipError_tPvRmT2_T3_T4_T5_mT6_T7_P12ihipStream_tbENKUlT_T0_E_clISt17integral_constantIbLb0EESY_IbLb1EEEEDaSU_SV_EUlSU_E_NS1_11comp_targetILNS1_3genE0ELNS1_11target_archE4294967295ELNS1_3gpuE0ELNS1_3repE0EEENS1_30default_config_static_selectorELNS0_4arch9wavefront6targetE0EEEvT1_,@function
_ZN7rocprim17ROCPRIM_400000_NS6detail17trampoline_kernelINS0_14default_configENS1_27scan_by_key_config_selectorIxxEEZZNS1_16scan_by_key_implILNS1_25lookback_scan_determinismE0ELb1ES3_N6thrust23THRUST_200600_302600_NS6detail15normal_iteratorINS9_10device_ptrIxEEEESE_SE_xNS9_4plusIvEENS9_8equal_toIvEExEE10hipError_tPvRmT2_T3_T4_T5_mT6_T7_P12ihipStream_tbENKUlT_T0_E_clISt17integral_constantIbLb0EESY_IbLb1EEEEDaSU_SV_EUlSU_E_NS1_11comp_targetILNS1_3genE0ELNS1_11target_archE4294967295ELNS1_3gpuE0ELNS1_3repE0EEENS1_30default_config_static_selectorELNS0_4arch9wavefront6targetE0EEEvT1_: ; @_ZN7rocprim17ROCPRIM_400000_NS6detail17trampoline_kernelINS0_14default_configENS1_27scan_by_key_config_selectorIxxEEZZNS1_16scan_by_key_implILNS1_25lookback_scan_determinismE0ELb1ES3_N6thrust23THRUST_200600_302600_NS6detail15normal_iteratorINS9_10device_ptrIxEEEESE_SE_xNS9_4plusIvEENS9_8equal_toIvEExEE10hipError_tPvRmT2_T3_T4_T5_mT6_T7_P12ihipStream_tbENKUlT_T0_E_clISt17integral_constantIbLb0EESY_IbLb1EEEEDaSU_SV_EUlSU_E_NS1_11comp_targetILNS1_3genE0ELNS1_11target_archE4294967295ELNS1_3gpuE0ELNS1_3repE0EEENS1_30default_config_static_selectorELNS0_4arch9wavefront6targetE0EEEvT1_
; %bb.0:
	.section	.rodata,"a",@progbits
	.p2align	6, 0x0
	.amdhsa_kernel _ZN7rocprim17ROCPRIM_400000_NS6detail17trampoline_kernelINS0_14default_configENS1_27scan_by_key_config_selectorIxxEEZZNS1_16scan_by_key_implILNS1_25lookback_scan_determinismE0ELb1ES3_N6thrust23THRUST_200600_302600_NS6detail15normal_iteratorINS9_10device_ptrIxEEEESE_SE_xNS9_4plusIvEENS9_8equal_toIvEExEE10hipError_tPvRmT2_T3_T4_T5_mT6_T7_P12ihipStream_tbENKUlT_T0_E_clISt17integral_constantIbLb0EESY_IbLb1EEEEDaSU_SV_EUlSU_E_NS1_11comp_targetILNS1_3genE0ELNS1_11target_archE4294967295ELNS1_3gpuE0ELNS1_3repE0EEENS1_30default_config_static_selectorELNS0_4arch9wavefront6targetE0EEEvT1_
		.amdhsa_group_segment_fixed_size 0
		.amdhsa_private_segment_fixed_size 0
		.amdhsa_kernarg_size 136
		.amdhsa_user_sgpr_count 6
		.amdhsa_user_sgpr_private_segment_buffer 1
		.amdhsa_user_sgpr_dispatch_ptr 0
		.amdhsa_user_sgpr_queue_ptr 0
		.amdhsa_user_sgpr_kernarg_segment_ptr 1
		.amdhsa_user_sgpr_dispatch_id 0
		.amdhsa_user_sgpr_flat_scratch_init 0
		.amdhsa_user_sgpr_private_segment_size 0
		.amdhsa_wavefront_size32 1
		.amdhsa_uses_dynamic_stack 0
		.amdhsa_system_sgpr_private_segment_wavefront_offset 0
		.amdhsa_system_sgpr_workgroup_id_x 1
		.amdhsa_system_sgpr_workgroup_id_y 0
		.amdhsa_system_sgpr_workgroup_id_z 0
		.amdhsa_system_sgpr_workgroup_info 0
		.amdhsa_system_vgpr_workitem_id 0
		.amdhsa_next_free_vgpr 1
		.amdhsa_next_free_sgpr 1
		.amdhsa_reserve_vcc 0
		.amdhsa_reserve_flat_scratch 0
		.amdhsa_float_round_mode_32 0
		.amdhsa_float_round_mode_16_64 0
		.amdhsa_float_denorm_mode_32 3
		.amdhsa_float_denorm_mode_16_64 3
		.amdhsa_dx10_clamp 1
		.amdhsa_ieee_mode 1
		.amdhsa_fp16_overflow 0
		.amdhsa_workgroup_processor_mode 1
		.amdhsa_memory_ordered 1
		.amdhsa_forward_progress 1
		.amdhsa_shared_vgpr_count 0
		.amdhsa_exception_fp_ieee_invalid_op 0
		.amdhsa_exception_fp_denorm_src 0
		.amdhsa_exception_fp_ieee_div_zero 0
		.amdhsa_exception_fp_ieee_overflow 0
		.amdhsa_exception_fp_ieee_underflow 0
		.amdhsa_exception_fp_ieee_inexact 0
		.amdhsa_exception_int_div_zero 0
	.end_amdhsa_kernel
	.section	.text._ZN7rocprim17ROCPRIM_400000_NS6detail17trampoline_kernelINS0_14default_configENS1_27scan_by_key_config_selectorIxxEEZZNS1_16scan_by_key_implILNS1_25lookback_scan_determinismE0ELb1ES3_N6thrust23THRUST_200600_302600_NS6detail15normal_iteratorINS9_10device_ptrIxEEEESE_SE_xNS9_4plusIvEENS9_8equal_toIvEExEE10hipError_tPvRmT2_T3_T4_T5_mT6_T7_P12ihipStream_tbENKUlT_T0_E_clISt17integral_constantIbLb0EESY_IbLb1EEEEDaSU_SV_EUlSU_E_NS1_11comp_targetILNS1_3genE0ELNS1_11target_archE4294967295ELNS1_3gpuE0ELNS1_3repE0EEENS1_30default_config_static_selectorELNS0_4arch9wavefront6targetE0EEEvT1_,"axG",@progbits,_ZN7rocprim17ROCPRIM_400000_NS6detail17trampoline_kernelINS0_14default_configENS1_27scan_by_key_config_selectorIxxEEZZNS1_16scan_by_key_implILNS1_25lookback_scan_determinismE0ELb1ES3_N6thrust23THRUST_200600_302600_NS6detail15normal_iteratorINS9_10device_ptrIxEEEESE_SE_xNS9_4plusIvEENS9_8equal_toIvEExEE10hipError_tPvRmT2_T3_T4_T5_mT6_T7_P12ihipStream_tbENKUlT_T0_E_clISt17integral_constantIbLb0EESY_IbLb1EEEEDaSU_SV_EUlSU_E_NS1_11comp_targetILNS1_3genE0ELNS1_11target_archE4294967295ELNS1_3gpuE0ELNS1_3repE0EEENS1_30default_config_static_selectorELNS0_4arch9wavefront6targetE0EEEvT1_,comdat
.Lfunc_end380:
	.size	_ZN7rocprim17ROCPRIM_400000_NS6detail17trampoline_kernelINS0_14default_configENS1_27scan_by_key_config_selectorIxxEEZZNS1_16scan_by_key_implILNS1_25lookback_scan_determinismE0ELb1ES3_N6thrust23THRUST_200600_302600_NS6detail15normal_iteratorINS9_10device_ptrIxEEEESE_SE_xNS9_4plusIvEENS9_8equal_toIvEExEE10hipError_tPvRmT2_T3_T4_T5_mT6_T7_P12ihipStream_tbENKUlT_T0_E_clISt17integral_constantIbLb0EESY_IbLb1EEEEDaSU_SV_EUlSU_E_NS1_11comp_targetILNS1_3genE0ELNS1_11target_archE4294967295ELNS1_3gpuE0ELNS1_3repE0EEENS1_30default_config_static_selectorELNS0_4arch9wavefront6targetE0EEEvT1_, .Lfunc_end380-_ZN7rocprim17ROCPRIM_400000_NS6detail17trampoline_kernelINS0_14default_configENS1_27scan_by_key_config_selectorIxxEEZZNS1_16scan_by_key_implILNS1_25lookback_scan_determinismE0ELb1ES3_N6thrust23THRUST_200600_302600_NS6detail15normal_iteratorINS9_10device_ptrIxEEEESE_SE_xNS9_4plusIvEENS9_8equal_toIvEExEE10hipError_tPvRmT2_T3_T4_T5_mT6_T7_P12ihipStream_tbENKUlT_T0_E_clISt17integral_constantIbLb0EESY_IbLb1EEEEDaSU_SV_EUlSU_E_NS1_11comp_targetILNS1_3genE0ELNS1_11target_archE4294967295ELNS1_3gpuE0ELNS1_3repE0EEENS1_30default_config_static_selectorELNS0_4arch9wavefront6targetE0EEEvT1_
                                        ; -- End function
	.set _ZN7rocprim17ROCPRIM_400000_NS6detail17trampoline_kernelINS0_14default_configENS1_27scan_by_key_config_selectorIxxEEZZNS1_16scan_by_key_implILNS1_25lookback_scan_determinismE0ELb1ES3_N6thrust23THRUST_200600_302600_NS6detail15normal_iteratorINS9_10device_ptrIxEEEESE_SE_xNS9_4plusIvEENS9_8equal_toIvEExEE10hipError_tPvRmT2_T3_T4_T5_mT6_T7_P12ihipStream_tbENKUlT_T0_E_clISt17integral_constantIbLb0EESY_IbLb1EEEEDaSU_SV_EUlSU_E_NS1_11comp_targetILNS1_3genE0ELNS1_11target_archE4294967295ELNS1_3gpuE0ELNS1_3repE0EEENS1_30default_config_static_selectorELNS0_4arch9wavefront6targetE0EEEvT1_.num_vgpr, 0
	.set _ZN7rocprim17ROCPRIM_400000_NS6detail17trampoline_kernelINS0_14default_configENS1_27scan_by_key_config_selectorIxxEEZZNS1_16scan_by_key_implILNS1_25lookback_scan_determinismE0ELb1ES3_N6thrust23THRUST_200600_302600_NS6detail15normal_iteratorINS9_10device_ptrIxEEEESE_SE_xNS9_4plusIvEENS9_8equal_toIvEExEE10hipError_tPvRmT2_T3_T4_T5_mT6_T7_P12ihipStream_tbENKUlT_T0_E_clISt17integral_constantIbLb0EESY_IbLb1EEEEDaSU_SV_EUlSU_E_NS1_11comp_targetILNS1_3genE0ELNS1_11target_archE4294967295ELNS1_3gpuE0ELNS1_3repE0EEENS1_30default_config_static_selectorELNS0_4arch9wavefront6targetE0EEEvT1_.num_agpr, 0
	.set _ZN7rocprim17ROCPRIM_400000_NS6detail17trampoline_kernelINS0_14default_configENS1_27scan_by_key_config_selectorIxxEEZZNS1_16scan_by_key_implILNS1_25lookback_scan_determinismE0ELb1ES3_N6thrust23THRUST_200600_302600_NS6detail15normal_iteratorINS9_10device_ptrIxEEEESE_SE_xNS9_4plusIvEENS9_8equal_toIvEExEE10hipError_tPvRmT2_T3_T4_T5_mT6_T7_P12ihipStream_tbENKUlT_T0_E_clISt17integral_constantIbLb0EESY_IbLb1EEEEDaSU_SV_EUlSU_E_NS1_11comp_targetILNS1_3genE0ELNS1_11target_archE4294967295ELNS1_3gpuE0ELNS1_3repE0EEENS1_30default_config_static_selectorELNS0_4arch9wavefront6targetE0EEEvT1_.numbered_sgpr, 0
	.set _ZN7rocprim17ROCPRIM_400000_NS6detail17trampoline_kernelINS0_14default_configENS1_27scan_by_key_config_selectorIxxEEZZNS1_16scan_by_key_implILNS1_25lookback_scan_determinismE0ELb1ES3_N6thrust23THRUST_200600_302600_NS6detail15normal_iteratorINS9_10device_ptrIxEEEESE_SE_xNS9_4plusIvEENS9_8equal_toIvEExEE10hipError_tPvRmT2_T3_T4_T5_mT6_T7_P12ihipStream_tbENKUlT_T0_E_clISt17integral_constantIbLb0EESY_IbLb1EEEEDaSU_SV_EUlSU_E_NS1_11comp_targetILNS1_3genE0ELNS1_11target_archE4294967295ELNS1_3gpuE0ELNS1_3repE0EEENS1_30default_config_static_selectorELNS0_4arch9wavefront6targetE0EEEvT1_.num_named_barrier, 0
	.set _ZN7rocprim17ROCPRIM_400000_NS6detail17trampoline_kernelINS0_14default_configENS1_27scan_by_key_config_selectorIxxEEZZNS1_16scan_by_key_implILNS1_25lookback_scan_determinismE0ELb1ES3_N6thrust23THRUST_200600_302600_NS6detail15normal_iteratorINS9_10device_ptrIxEEEESE_SE_xNS9_4plusIvEENS9_8equal_toIvEExEE10hipError_tPvRmT2_T3_T4_T5_mT6_T7_P12ihipStream_tbENKUlT_T0_E_clISt17integral_constantIbLb0EESY_IbLb1EEEEDaSU_SV_EUlSU_E_NS1_11comp_targetILNS1_3genE0ELNS1_11target_archE4294967295ELNS1_3gpuE0ELNS1_3repE0EEENS1_30default_config_static_selectorELNS0_4arch9wavefront6targetE0EEEvT1_.private_seg_size, 0
	.set _ZN7rocprim17ROCPRIM_400000_NS6detail17trampoline_kernelINS0_14default_configENS1_27scan_by_key_config_selectorIxxEEZZNS1_16scan_by_key_implILNS1_25lookback_scan_determinismE0ELb1ES3_N6thrust23THRUST_200600_302600_NS6detail15normal_iteratorINS9_10device_ptrIxEEEESE_SE_xNS9_4plusIvEENS9_8equal_toIvEExEE10hipError_tPvRmT2_T3_T4_T5_mT6_T7_P12ihipStream_tbENKUlT_T0_E_clISt17integral_constantIbLb0EESY_IbLb1EEEEDaSU_SV_EUlSU_E_NS1_11comp_targetILNS1_3genE0ELNS1_11target_archE4294967295ELNS1_3gpuE0ELNS1_3repE0EEENS1_30default_config_static_selectorELNS0_4arch9wavefront6targetE0EEEvT1_.uses_vcc, 0
	.set _ZN7rocprim17ROCPRIM_400000_NS6detail17trampoline_kernelINS0_14default_configENS1_27scan_by_key_config_selectorIxxEEZZNS1_16scan_by_key_implILNS1_25lookback_scan_determinismE0ELb1ES3_N6thrust23THRUST_200600_302600_NS6detail15normal_iteratorINS9_10device_ptrIxEEEESE_SE_xNS9_4plusIvEENS9_8equal_toIvEExEE10hipError_tPvRmT2_T3_T4_T5_mT6_T7_P12ihipStream_tbENKUlT_T0_E_clISt17integral_constantIbLb0EESY_IbLb1EEEEDaSU_SV_EUlSU_E_NS1_11comp_targetILNS1_3genE0ELNS1_11target_archE4294967295ELNS1_3gpuE0ELNS1_3repE0EEENS1_30default_config_static_selectorELNS0_4arch9wavefront6targetE0EEEvT1_.uses_flat_scratch, 0
	.set _ZN7rocprim17ROCPRIM_400000_NS6detail17trampoline_kernelINS0_14default_configENS1_27scan_by_key_config_selectorIxxEEZZNS1_16scan_by_key_implILNS1_25lookback_scan_determinismE0ELb1ES3_N6thrust23THRUST_200600_302600_NS6detail15normal_iteratorINS9_10device_ptrIxEEEESE_SE_xNS9_4plusIvEENS9_8equal_toIvEExEE10hipError_tPvRmT2_T3_T4_T5_mT6_T7_P12ihipStream_tbENKUlT_T0_E_clISt17integral_constantIbLb0EESY_IbLb1EEEEDaSU_SV_EUlSU_E_NS1_11comp_targetILNS1_3genE0ELNS1_11target_archE4294967295ELNS1_3gpuE0ELNS1_3repE0EEENS1_30default_config_static_selectorELNS0_4arch9wavefront6targetE0EEEvT1_.has_dyn_sized_stack, 0
	.set _ZN7rocprim17ROCPRIM_400000_NS6detail17trampoline_kernelINS0_14default_configENS1_27scan_by_key_config_selectorIxxEEZZNS1_16scan_by_key_implILNS1_25lookback_scan_determinismE0ELb1ES3_N6thrust23THRUST_200600_302600_NS6detail15normal_iteratorINS9_10device_ptrIxEEEESE_SE_xNS9_4plusIvEENS9_8equal_toIvEExEE10hipError_tPvRmT2_T3_T4_T5_mT6_T7_P12ihipStream_tbENKUlT_T0_E_clISt17integral_constantIbLb0EESY_IbLb1EEEEDaSU_SV_EUlSU_E_NS1_11comp_targetILNS1_3genE0ELNS1_11target_archE4294967295ELNS1_3gpuE0ELNS1_3repE0EEENS1_30default_config_static_selectorELNS0_4arch9wavefront6targetE0EEEvT1_.has_recursion, 0
	.set _ZN7rocprim17ROCPRIM_400000_NS6detail17trampoline_kernelINS0_14default_configENS1_27scan_by_key_config_selectorIxxEEZZNS1_16scan_by_key_implILNS1_25lookback_scan_determinismE0ELb1ES3_N6thrust23THRUST_200600_302600_NS6detail15normal_iteratorINS9_10device_ptrIxEEEESE_SE_xNS9_4plusIvEENS9_8equal_toIvEExEE10hipError_tPvRmT2_T3_T4_T5_mT6_T7_P12ihipStream_tbENKUlT_T0_E_clISt17integral_constantIbLb0EESY_IbLb1EEEEDaSU_SV_EUlSU_E_NS1_11comp_targetILNS1_3genE0ELNS1_11target_archE4294967295ELNS1_3gpuE0ELNS1_3repE0EEENS1_30default_config_static_selectorELNS0_4arch9wavefront6targetE0EEEvT1_.has_indirect_call, 0
	.section	.AMDGPU.csdata,"",@progbits
; Kernel info:
; codeLenInByte = 0
; TotalNumSgprs: 0
; NumVgprs: 0
; ScratchSize: 0
; MemoryBound: 0
; FloatMode: 240
; IeeeMode: 1
; LDSByteSize: 0 bytes/workgroup (compile time only)
; SGPRBlocks: 0
; VGPRBlocks: 0
; NumSGPRsForWavesPerEU: 1
; NumVGPRsForWavesPerEU: 1
; Occupancy: 16
; WaveLimiterHint : 0
; COMPUTE_PGM_RSRC2:SCRATCH_EN: 0
; COMPUTE_PGM_RSRC2:USER_SGPR: 6
; COMPUTE_PGM_RSRC2:TRAP_HANDLER: 0
; COMPUTE_PGM_RSRC2:TGID_X_EN: 1
; COMPUTE_PGM_RSRC2:TGID_Y_EN: 0
; COMPUTE_PGM_RSRC2:TGID_Z_EN: 0
; COMPUTE_PGM_RSRC2:TIDIG_COMP_CNT: 0
	.section	.text._ZN7rocprim17ROCPRIM_400000_NS6detail17trampoline_kernelINS0_14default_configENS1_27scan_by_key_config_selectorIxxEEZZNS1_16scan_by_key_implILNS1_25lookback_scan_determinismE0ELb1ES3_N6thrust23THRUST_200600_302600_NS6detail15normal_iteratorINS9_10device_ptrIxEEEESE_SE_xNS9_4plusIvEENS9_8equal_toIvEExEE10hipError_tPvRmT2_T3_T4_T5_mT6_T7_P12ihipStream_tbENKUlT_T0_E_clISt17integral_constantIbLb0EESY_IbLb1EEEEDaSU_SV_EUlSU_E_NS1_11comp_targetILNS1_3genE10ELNS1_11target_archE1201ELNS1_3gpuE5ELNS1_3repE0EEENS1_30default_config_static_selectorELNS0_4arch9wavefront6targetE0EEEvT1_,"axG",@progbits,_ZN7rocprim17ROCPRIM_400000_NS6detail17trampoline_kernelINS0_14default_configENS1_27scan_by_key_config_selectorIxxEEZZNS1_16scan_by_key_implILNS1_25lookback_scan_determinismE0ELb1ES3_N6thrust23THRUST_200600_302600_NS6detail15normal_iteratorINS9_10device_ptrIxEEEESE_SE_xNS9_4plusIvEENS9_8equal_toIvEExEE10hipError_tPvRmT2_T3_T4_T5_mT6_T7_P12ihipStream_tbENKUlT_T0_E_clISt17integral_constantIbLb0EESY_IbLb1EEEEDaSU_SV_EUlSU_E_NS1_11comp_targetILNS1_3genE10ELNS1_11target_archE1201ELNS1_3gpuE5ELNS1_3repE0EEENS1_30default_config_static_selectorELNS0_4arch9wavefront6targetE0EEEvT1_,comdat
	.protected	_ZN7rocprim17ROCPRIM_400000_NS6detail17trampoline_kernelINS0_14default_configENS1_27scan_by_key_config_selectorIxxEEZZNS1_16scan_by_key_implILNS1_25lookback_scan_determinismE0ELb1ES3_N6thrust23THRUST_200600_302600_NS6detail15normal_iteratorINS9_10device_ptrIxEEEESE_SE_xNS9_4plusIvEENS9_8equal_toIvEExEE10hipError_tPvRmT2_T3_T4_T5_mT6_T7_P12ihipStream_tbENKUlT_T0_E_clISt17integral_constantIbLb0EESY_IbLb1EEEEDaSU_SV_EUlSU_E_NS1_11comp_targetILNS1_3genE10ELNS1_11target_archE1201ELNS1_3gpuE5ELNS1_3repE0EEENS1_30default_config_static_selectorELNS0_4arch9wavefront6targetE0EEEvT1_ ; -- Begin function _ZN7rocprim17ROCPRIM_400000_NS6detail17trampoline_kernelINS0_14default_configENS1_27scan_by_key_config_selectorIxxEEZZNS1_16scan_by_key_implILNS1_25lookback_scan_determinismE0ELb1ES3_N6thrust23THRUST_200600_302600_NS6detail15normal_iteratorINS9_10device_ptrIxEEEESE_SE_xNS9_4plusIvEENS9_8equal_toIvEExEE10hipError_tPvRmT2_T3_T4_T5_mT6_T7_P12ihipStream_tbENKUlT_T0_E_clISt17integral_constantIbLb0EESY_IbLb1EEEEDaSU_SV_EUlSU_E_NS1_11comp_targetILNS1_3genE10ELNS1_11target_archE1201ELNS1_3gpuE5ELNS1_3repE0EEENS1_30default_config_static_selectorELNS0_4arch9wavefront6targetE0EEEvT1_
	.globl	_ZN7rocprim17ROCPRIM_400000_NS6detail17trampoline_kernelINS0_14default_configENS1_27scan_by_key_config_selectorIxxEEZZNS1_16scan_by_key_implILNS1_25lookback_scan_determinismE0ELb1ES3_N6thrust23THRUST_200600_302600_NS6detail15normal_iteratorINS9_10device_ptrIxEEEESE_SE_xNS9_4plusIvEENS9_8equal_toIvEExEE10hipError_tPvRmT2_T3_T4_T5_mT6_T7_P12ihipStream_tbENKUlT_T0_E_clISt17integral_constantIbLb0EESY_IbLb1EEEEDaSU_SV_EUlSU_E_NS1_11comp_targetILNS1_3genE10ELNS1_11target_archE1201ELNS1_3gpuE5ELNS1_3repE0EEENS1_30default_config_static_selectorELNS0_4arch9wavefront6targetE0EEEvT1_
	.p2align	8
	.type	_ZN7rocprim17ROCPRIM_400000_NS6detail17trampoline_kernelINS0_14default_configENS1_27scan_by_key_config_selectorIxxEEZZNS1_16scan_by_key_implILNS1_25lookback_scan_determinismE0ELb1ES3_N6thrust23THRUST_200600_302600_NS6detail15normal_iteratorINS9_10device_ptrIxEEEESE_SE_xNS9_4plusIvEENS9_8equal_toIvEExEE10hipError_tPvRmT2_T3_T4_T5_mT6_T7_P12ihipStream_tbENKUlT_T0_E_clISt17integral_constantIbLb0EESY_IbLb1EEEEDaSU_SV_EUlSU_E_NS1_11comp_targetILNS1_3genE10ELNS1_11target_archE1201ELNS1_3gpuE5ELNS1_3repE0EEENS1_30default_config_static_selectorELNS0_4arch9wavefront6targetE0EEEvT1_,@function
_ZN7rocprim17ROCPRIM_400000_NS6detail17trampoline_kernelINS0_14default_configENS1_27scan_by_key_config_selectorIxxEEZZNS1_16scan_by_key_implILNS1_25lookback_scan_determinismE0ELb1ES3_N6thrust23THRUST_200600_302600_NS6detail15normal_iteratorINS9_10device_ptrIxEEEESE_SE_xNS9_4plusIvEENS9_8equal_toIvEExEE10hipError_tPvRmT2_T3_T4_T5_mT6_T7_P12ihipStream_tbENKUlT_T0_E_clISt17integral_constantIbLb0EESY_IbLb1EEEEDaSU_SV_EUlSU_E_NS1_11comp_targetILNS1_3genE10ELNS1_11target_archE1201ELNS1_3gpuE5ELNS1_3repE0EEENS1_30default_config_static_selectorELNS0_4arch9wavefront6targetE0EEEvT1_: ; @_ZN7rocprim17ROCPRIM_400000_NS6detail17trampoline_kernelINS0_14default_configENS1_27scan_by_key_config_selectorIxxEEZZNS1_16scan_by_key_implILNS1_25lookback_scan_determinismE0ELb1ES3_N6thrust23THRUST_200600_302600_NS6detail15normal_iteratorINS9_10device_ptrIxEEEESE_SE_xNS9_4plusIvEENS9_8equal_toIvEExEE10hipError_tPvRmT2_T3_T4_T5_mT6_T7_P12ihipStream_tbENKUlT_T0_E_clISt17integral_constantIbLb0EESY_IbLb1EEEEDaSU_SV_EUlSU_E_NS1_11comp_targetILNS1_3genE10ELNS1_11target_archE1201ELNS1_3gpuE5ELNS1_3repE0EEENS1_30default_config_static_selectorELNS0_4arch9wavefront6targetE0EEEvT1_
; %bb.0:
	.section	.rodata,"a",@progbits
	.p2align	6, 0x0
	.amdhsa_kernel _ZN7rocprim17ROCPRIM_400000_NS6detail17trampoline_kernelINS0_14default_configENS1_27scan_by_key_config_selectorIxxEEZZNS1_16scan_by_key_implILNS1_25lookback_scan_determinismE0ELb1ES3_N6thrust23THRUST_200600_302600_NS6detail15normal_iteratorINS9_10device_ptrIxEEEESE_SE_xNS9_4plusIvEENS9_8equal_toIvEExEE10hipError_tPvRmT2_T3_T4_T5_mT6_T7_P12ihipStream_tbENKUlT_T0_E_clISt17integral_constantIbLb0EESY_IbLb1EEEEDaSU_SV_EUlSU_E_NS1_11comp_targetILNS1_3genE10ELNS1_11target_archE1201ELNS1_3gpuE5ELNS1_3repE0EEENS1_30default_config_static_selectorELNS0_4arch9wavefront6targetE0EEEvT1_
		.amdhsa_group_segment_fixed_size 0
		.amdhsa_private_segment_fixed_size 0
		.amdhsa_kernarg_size 136
		.amdhsa_user_sgpr_count 6
		.amdhsa_user_sgpr_private_segment_buffer 1
		.amdhsa_user_sgpr_dispatch_ptr 0
		.amdhsa_user_sgpr_queue_ptr 0
		.amdhsa_user_sgpr_kernarg_segment_ptr 1
		.amdhsa_user_sgpr_dispatch_id 0
		.amdhsa_user_sgpr_flat_scratch_init 0
		.amdhsa_user_sgpr_private_segment_size 0
		.amdhsa_wavefront_size32 1
		.amdhsa_uses_dynamic_stack 0
		.amdhsa_system_sgpr_private_segment_wavefront_offset 0
		.amdhsa_system_sgpr_workgroup_id_x 1
		.amdhsa_system_sgpr_workgroup_id_y 0
		.amdhsa_system_sgpr_workgroup_id_z 0
		.amdhsa_system_sgpr_workgroup_info 0
		.amdhsa_system_vgpr_workitem_id 0
		.amdhsa_next_free_vgpr 1
		.amdhsa_next_free_sgpr 1
		.amdhsa_reserve_vcc 0
		.amdhsa_reserve_flat_scratch 0
		.amdhsa_float_round_mode_32 0
		.amdhsa_float_round_mode_16_64 0
		.amdhsa_float_denorm_mode_32 3
		.amdhsa_float_denorm_mode_16_64 3
		.amdhsa_dx10_clamp 1
		.amdhsa_ieee_mode 1
		.amdhsa_fp16_overflow 0
		.amdhsa_workgroup_processor_mode 1
		.amdhsa_memory_ordered 1
		.amdhsa_forward_progress 1
		.amdhsa_shared_vgpr_count 0
		.amdhsa_exception_fp_ieee_invalid_op 0
		.amdhsa_exception_fp_denorm_src 0
		.amdhsa_exception_fp_ieee_div_zero 0
		.amdhsa_exception_fp_ieee_overflow 0
		.amdhsa_exception_fp_ieee_underflow 0
		.amdhsa_exception_fp_ieee_inexact 0
		.amdhsa_exception_int_div_zero 0
	.end_amdhsa_kernel
	.section	.text._ZN7rocprim17ROCPRIM_400000_NS6detail17trampoline_kernelINS0_14default_configENS1_27scan_by_key_config_selectorIxxEEZZNS1_16scan_by_key_implILNS1_25lookback_scan_determinismE0ELb1ES3_N6thrust23THRUST_200600_302600_NS6detail15normal_iteratorINS9_10device_ptrIxEEEESE_SE_xNS9_4plusIvEENS9_8equal_toIvEExEE10hipError_tPvRmT2_T3_T4_T5_mT6_T7_P12ihipStream_tbENKUlT_T0_E_clISt17integral_constantIbLb0EESY_IbLb1EEEEDaSU_SV_EUlSU_E_NS1_11comp_targetILNS1_3genE10ELNS1_11target_archE1201ELNS1_3gpuE5ELNS1_3repE0EEENS1_30default_config_static_selectorELNS0_4arch9wavefront6targetE0EEEvT1_,"axG",@progbits,_ZN7rocprim17ROCPRIM_400000_NS6detail17trampoline_kernelINS0_14default_configENS1_27scan_by_key_config_selectorIxxEEZZNS1_16scan_by_key_implILNS1_25lookback_scan_determinismE0ELb1ES3_N6thrust23THRUST_200600_302600_NS6detail15normal_iteratorINS9_10device_ptrIxEEEESE_SE_xNS9_4plusIvEENS9_8equal_toIvEExEE10hipError_tPvRmT2_T3_T4_T5_mT6_T7_P12ihipStream_tbENKUlT_T0_E_clISt17integral_constantIbLb0EESY_IbLb1EEEEDaSU_SV_EUlSU_E_NS1_11comp_targetILNS1_3genE10ELNS1_11target_archE1201ELNS1_3gpuE5ELNS1_3repE0EEENS1_30default_config_static_selectorELNS0_4arch9wavefront6targetE0EEEvT1_,comdat
.Lfunc_end381:
	.size	_ZN7rocprim17ROCPRIM_400000_NS6detail17trampoline_kernelINS0_14default_configENS1_27scan_by_key_config_selectorIxxEEZZNS1_16scan_by_key_implILNS1_25lookback_scan_determinismE0ELb1ES3_N6thrust23THRUST_200600_302600_NS6detail15normal_iteratorINS9_10device_ptrIxEEEESE_SE_xNS9_4plusIvEENS9_8equal_toIvEExEE10hipError_tPvRmT2_T3_T4_T5_mT6_T7_P12ihipStream_tbENKUlT_T0_E_clISt17integral_constantIbLb0EESY_IbLb1EEEEDaSU_SV_EUlSU_E_NS1_11comp_targetILNS1_3genE10ELNS1_11target_archE1201ELNS1_3gpuE5ELNS1_3repE0EEENS1_30default_config_static_selectorELNS0_4arch9wavefront6targetE0EEEvT1_, .Lfunc_end381-_ZN7rocprim17ROCPRIM_400000_NS6detail17trampoline_kernelINS0_14default_configENS1_27scan_by_key_config_selectorIxxEEZZNS1_16scan_by_key_implILNS1_25lookback_scan_determinismE0ELb1ES3_N6thrust23THRUST_200600_302600_NS6detail15normal_iteratorINS9_10device_ptrIxEEEESE_SE_xNS9_4plusIvEENS9_8equal_toIvEExEE10hipError_tPvRmT2_T3_T4_T5_mT6_T7_P12ihipStream_tbENKUlT_T0_E_clISt17integral_constantIbLb0EESY_IbLb1EEEEDaSU_SV_EUlSU_E_NS1_11comp_targetILNS1_3genE10ELNS1_11target_archE1201ELNS1_3gpuE5ELNS1_3repE0EEENS1_30default_config_static_selectorELNS0_4arch9wavefront6targetE0EEEvT1_
                                        ; -- End function
	.set _ZN7rocprim17ROCPRIM_400000_NS6detail17trampoline_kernelINS0_14default_configENS1_27scan_by_key_config_selectorIxxEEZZNS1_16scan_by_key_implILNS1_25lookback_scan_determinismE0ELb1ES3_N6thrust23THRUST_200600_302600_NS6detail15normal_iteratorINS9_10device_ptrIxEEEESE_SE_xNS9_4plusIvEENS9_8equal_toIvEExEE10hipError_tPvRmT2_T3_T4_T5_mT6_T7_P12ihipStream_tbENKUlT_T0_E_clISt17integral_constantIbLb0EESY_IbLb1EEEEDaSU_SV_EUlSU_E_NS1_11comp_targetILNS1_3genE10ELNS1_11target_archE1201ELNS1_3gpuE5ELNS1_3repE0EEENS1_30default_config_static_selectorELNS0_4arch9wavefront6targetE0EEEvT1_.num_vgpr, 0
	.set _ZN7rocprim17ROCPRIM_400000_NS6detail17trampoline_kernelINS0_14default_configENS1_27scan_by_key_config_selectorIxxEEZZNS1_16scan_by_key_implILNS1_25lookback_scan_determinismE0ELb1ES3_N6thrust23THRUST_200600_302600_NS6detail15normal_iteratorINS9_10device_ptrIxEEEESE_SE_xNS9_4plusIvEENS9_8equal_toIvEExEE10hipError_tPvRmT2_T3_T4_T5_mT6_T7_P12ihipStream_tbENKUlT_T0_E_clISt17integral_constantIbLb0EESY_IbLb1EEEEDaSU_SV_EUlSU_E_NS1_11comp_targetILNS1_3genE10ELNS1_11target_archE1201ELNS1_3gpuE5ELNS1_3repE0EEENS1_30default_config_static_selectorELNS0_4arch9wavefront6targetE0EEEvT1_.num_agpr, 0
	.set _ZN7rocprim17ROCPRIM_400000_NS6detail17trampoline_kernelINS0_14default_configENS1_27scan_by_key_config_selectorIxxEEZZNS1_16scan_by_key_implILNS1_25lookback_scan_determinismE0ELb1ES3_N6thrust23THRUST_200600_302600_NS6detail15normal_iteratorINS9_10device_ptrIxEEEESE_SE_xNS9_4plusIvEENS9_8equal_toIvEExEE10hipError_tPvRmT2_T3_T4_T5_mT6_T7_P12ihipStream_tbENKUlT_T0_E_clISt17integral_constantIbLb0EESY_IbLb1EEEEDaSU_SV_EUlSU_E_NS1_11comp_targetILNS1_3genE10ELNS1_11target_archE1201ELNS1_3gpuE5ELNS1_3repE0EEENS1_30default_config_static_selectorELNS0_4arch9wavefront6targetE0EEEvT1_.numbered_sgpr, 0
	.set _ZN7rocprim17ROCPRIM_400000_NS6detail17trampoline_kernelINS0_14default_configENS1_27scan_by_key_config_selectorIxxEEZZNS1_16scan_by_key_implILNS1_25lookback_scan_determinismE0ELb1ES3_N6thrust23THRUST_200600_302600_NS6detail15normal_iteratorINS9_10device_ptrIxEEEESE_SE_xNS9_4plusIvEENS9_8equal_toIvEExEE10hipError_tPvRmT2_T3_T4_T5_mT6_T7_P12ihipStream_tbENKUlT_T0_E_clISt17integral_constantIbLb0EESY_IbLb1EEEEDaSU_SV_EUlSU_E_NS1_11comp_targetILNS1_3genE10ELNS1_11target_archE1201ELNS1_3gpuE5ELNS1_3repE0EEENS1_30default_config_static_selectorELNS0_4arch9wavefront6targetE0EEEvT1_.num_named_barrier, 0
	.set _ZN7rocprim17ROCPRIM_400000_NS6detail17trampoline_kernelINS0_14default_configENS1_27scan_by_key_config_selectorIxxEEZZNS1_16scan_by_key_implILNS1_25lookback_scan_determinismE0ELb1ES3_N6thrust23THRUST_200600_302600_NS6detail15normal_iteratorINS9_10device_ptrIxEEEESE_SE_xNS9_4plusIvEENS9_8equal_toIvEExEE10hipError_tPvRmT2_T3_T4_T5_mT6_T7_P12ihipStream_tbENKUlT_T0_E_clISt17integral_constantIbLb0EESY_IbLb1EEEEDaSU_SV_EUlSU_E_NS1_11comp_targetILNS1_3genE10ELNS1_11target_archE1201ELNS1_3gpuE5ELNS1_3repE0EEENS1_30default_config_static_selectorELNS0_4arch9wavefront6targetE0EEEvT1_.private_seg_size, 0
	.set _ZN7rocprim17ROCPRIM_400000_NS6detail17trampoline_kernelINS0_14default_configENS1_27scan_by_key_config_selectorIxxEEZZNS1_16scan_by_key_implILNS1_25lookback_scan_determinismE0ELb1ES3_N6thrust23THRUST_200600_302600_NS6detail15normal_iteratorINS9_10device_ptrIxEEEESE_SE_xNS9_4plusIvEENS9_8equal_toIvEExEE10hipError_tPvRmT2_T3_T4_T5_mT6_T7_P12ihipStream_tbENKUlT_T0_E_clISt17integral_constantIbLb0EESY_IbLb1EEEEDaSU_SV_EUlSU_E_NS1_11comp_targetILNS1_3genE10ELNS1_11target_archE1201ELNS1_3gpuE5ELNS1_3repE0EEENS1_30default_config_static_selectorELNS0_4arch9wavefront6targetE0EEEvT1_.uses_vcc, 0
	.set _ZN7rocprim17ROCPRIM_400000_NS6detail17trampoline_kernelINS0_14default_configENS1_27scan_by_key_config_selectorIxxEEZZNS1_16scan_by_key_implILNS1_25lookback_scan_determinismE0ELb1ES3_N6thrust23THRUST_200600_302600_NS6detail15normal_iteratorINS9_10device_ptrIxEEEESE_SE_xNS9_4plusIvEENS9_8equal_toIvEExEE10hipError_tPvRmT2_T3_T4_T5_mT6_T7_P12ihipStream_tbENKUlT_T0_E_clISt17integral_constantIbLb0EESY_IbLb1EEEEDaSU_SV_EUlSU_E_NS1_11comp_targetILNS1_3genE10ELNS1_11target_archE1201ELNS1_3gpuE5ELNS1_3repE0EEENS1_30default_config_static_selectorELNS0_4arch9wavefront6targetE0EEEvT1_.uses_flat_scratch, 0
	.set _ZN7rocprim17ROCPRIM_400000_NS6detail17trampoline_kernelINS0_14default_configENS1_27scan_by_key_config_selectorIxxEEZZNS1_16scan_by_key_implILNS1_25lookback_scan_determinismE0ELb1ES3_N6thrust23THRUST_200600_302600_NS6detail15normal_iteratorINS9_10device_ptrIxEEEESE_SE_xNS9_4plusIvEENS9_8equal_toIvEExEE10hipError_tPvRmT2_T3_T4_T5_mT6_T7_P12ihipStream_tbENKUlT_T0_E_clISt17integral_constantIbLb0EESY_IbLb1EEEEDaSU_SV_EUlSU_E_NS1_11comp_targetILNS1_3genE10ELNS1_11target_archE1201ELNS1_3gpuE5ELNS1_3repE0EEENS1_30default_config_static_selectorELNS0_4arch9wavefront6targetE0EEEvT1_.has_dyn_sized_stack, 0
	.set _ZN7rocprim17ROCPRIM_400000_NS6detail17trampoline_kernelINS0_14default_configENS1_27scan_by_key_config_selectorIxxEEZZNS1_16scan_by_key_implILNS1_25lookback_scan_determinismE0ELb1ES3_N6thrust23THRUST_200600_302600_NS6detail15normal_iteratorINS9_10device_ptrIxEEEESE_SE_xNS9_4plusIvEENS9_8equal_toIvEExEE10hipError_tPvRmT2_T3_T4_T5_mT6_T7_P12ihipStream_tbENKUlT_T0_E_clISt17integral_constantIbLb0EESY_IbLb1EEEEDaSU_SV_EUlSU_E_NS1_11comp_targetILNS1_3genE10ELNS1_11target_archE1201ELNS1_3gpuE5ELNS1_3repE0EEENS1_30default_config_static_selectorELNS0_4arch9wavefront6targetE0EEEvT1_.has_recursion, 0
	.set _ZN7rocprim17ROCPRIM_400000_NS6detail17trampoline_kernelINS0_14default_configENS1_27scan_by_key_config_selectorIxxEEZZNS1_16scan_by_key_implILNS1_25lookback_scan_determinismE0ELb1ES3_N6thrust23THRUST_200600_302600_NS6detail15normal_iteratorINS9_10device_ptrIxEEEESE_SE_xNS9_4plusIvEENS9_8equal_toIvEExEE10hipError_tPvRmT2_T3_T4_T5_mT6_T7_P12ihipStream_tbENKUlT_T0_E_clISt17integral_constantIbLb0EESY_IbLb1EEEEDaSU_SV_EUlSU_E_NS1_11comp_targetILNS1_3genE10ELNS1_11target_archE1201ELNS1_3gpuE5ELNS1_3repE0EEENS1_30default_config_static_selectorELNS0_4arch9wavefront6targetE0EEEvT1_.has_indirect_call, 0
	.section	.AMDGPU.csdata,"",@progbits
; Kernel info:
; codeLenInByte = 0
; TotalNumSgprs: 0
; NumVgprs: 0
; ScratchSize: 0
; MemoryBound: 0
; FloatMode: 240
; IeeeMode: 1
; LDSByteSize: 0 bytes/workgroup (compile time only)
; SGPRBlocks: 0
; VGPRBlocks: 0
; NumSGPRsForWavesPerEU: 1
; NumVGPRsForWavesPerEU: 1
; Occupancy: 16
; WaveLimiterHint : 0
; COMPUTE_PGM_RSRC2:SCRATCH_EN: 0
; COMPUTE_PGM_RSRC2:USER_SGPR: 6
; COMPUTE_PGM_RSRC2:TRAP_HANDLER: 0
; COMPUTE_PGM_RSRC2:TGID_X_EN: 1
; COMPUTE_PGM_RSRC2:TGID_Y_EN: 0
; COMPUTE_PGM_RSRC2:TGID_Z_EN: 0
; COMPUTE_PGM_RSRC2:TIDIG_COMP_CNT: 0
	.section	.text._ZN7rocprim17ROCPRIM_400000_NS6detail17trampoline_kernelINS0_14default_configENS1_27scan_by_key_config_selectorIxxEEZZNS1_16scan_by_key_implILNS1_25lookback_scan_determinismE0ELb1ES3_N6thrust23THRUST_200600_302600_NS6detail15normal_iteratorINS9_10device_ptrIxEEEESE_SE_xNS9_4plusIvEENS9_8equal_toIvEExEE10hipError_tPvRmT2_T3_T4_T5_mT6_T7_P12ihipStream_tbENKUlT_T0_E_clISt17integral_constantIbLb0EESY_IbLb1EEEEDaSU_SV_EUlSU_E_NS1_11comp_targetILNS1_3genE5ELNS1_11target_archE942ELNS1_3gpuE9ELNS1_3repE0EEENS1_30default_config_static_selectorELNS0_4arch9wavefront6targetE0EEEvT1_,"axG",@progbits,_ZN7rocprim17ROCPRIM_400000_NS6detail17trampoline_kernelINS0_14default_configENS1_27scan_by_key_config_selectorIxxEEZZNS1_16scan_by_key_implILNS1_25lookback_scan_determinismE0ELb1ES3_N6thrust23THRUST_200600_302600_NS6detail15normal_iteratorINS9_10device_ptrIxEEEESE_SE_xNS9_4plusIvEENS9_8equal_toIvEExEE10hipError_tPvRmT2_T3_T4_T5_mT6_T7_P12ihipStream_tbENKUlT_T0_E_clISt17integral_constantIbLb0EESY_IbLb1EEEEDaSU_SV_EUlSU_E_NS1_11comp_targetILNS1_3genE5ELNS1_11target_archE942ELNS1_3gpuE9ELNS1_3repE0EEENS1_30default_config_static_selectorELNS0_4arch9wavefront6targetE0EEEvT1_,comdat
	.protected	_ZN7rocprim17ROCPRIM_400000_NS6detail17trampoline_kernelINS0_14default_configENS1_27scan_by_key_config_selectorIxxEEZZNS1_16scan_by_key_implILNS1_25lookback_scan_determinismE0ELb1ES3_N6thrust23THRUST_200600_302600_NS6detail15normal_iteratorINS9_10device_ptrIxEEEESE_SE_xNS9_4plusIvEENS9_8equal_toIvEExEE10hipError_tPvRmT2_T3_T4_T5_mT6_T7_P12ihipStream_tbENKUlT_T0_E_clISt17integral_constantIbLb0EESY_IbLb1EEEEDaSU_SV_EUlSU_E_NS1_11comp_targetILNS1_3genE5ELNS1_11target_archE942ELNS1_3gpuE9ELNS1_3repE0EEENS1_30default_config_static_selectorELNS0_4arch9wavefront6targetE0EEEvT1_ ; -- Begin function _ZN7rocprim17ROCPRIM_400000_NS6detail17trampoline_kernelINS0_14default_configENS1_27scan_by_key_config_selectorIxxEEZZNS1_16scan_by_key_implILNS1_25lookback_scan_determinismE0ELb1ES3_N6thrust23THRUST_200600_302600_NS6detail15normal_iteratorINS9_10device_ptrIxEEEESE_SE_xNS9_4plusIvEENS9_8equal_toIvEExEE10hipError_tPvRmT2_T3_T4_T5_mT6_T7_P12ihipStream_tbENKUlT_T0_E_clISt17integral_constantIbLb0EESY_IbLb1EEEEDaSU_SV_EUlSU_E_NS1_11comp_targetILNS1_3genE5ELNS1_11target_archE942ELNS1_3gpuE9ELNS1_3repE0EEENS1_30default_config_static_selectorELNS0_4arch9wavefront6targetE0EEEvT1_
	.globl	_ZN7rocprim17ROCPRIM_400000_NS6detail17trampoline_kernelINS0_14default_configENS1_27scan_by_key_config_selectorIxxEEZZNS1_16scan_by_key_implILNS1_25lookback_scan_determinismE0ELb1ES3_N6thrust23THRUST_200600_302600_NS6detail15normal_iteratorINS9_10device_ptrIxEEEESE_SE_xNS9_4plusIvEENS9_8equal_toIvEExEE10hipError_tPvRmT2_T3_T4_T5_mT6_T7_P12ihipStream_tbENKUlT_T0_E_clISt17integral_constantIbLb0EESY_IbLb1EEEEDaSU_SV_EUlSU_E_NS1_11comp_targetILNS1_3genE5ELNS1_11target_archE942ELNS1_3gpuE9ELNS1_3repE0EEENS1_30default_config_static_selectorELNS0_4arch9wavefront6targetE0EEEvT1_
	.p2align	8
	.type	_ZN7rocprim17ROCPRIM_400000_NS6detail17trampoline_kernelINS0_14default_configENS1_27scan_by_key_config_selectorIxxEEZZNS1_16scan_by_key_implILNS1_25lookback_scan_determinismE0ELb1ES3_N6thrust23THRUST_200600_302600_NS6detail15normal_iteratorINS9_10device_ptrIxEEEESE_SE_xNS9_4plusIvEENS9_8equal_toIvEExEE10hipError_tPvRmT2_T3_T4_T5_mT6_T7_P12ihipStream_tbENKUlT_T0_E_clISt17integral_constantIbLb0EESY_IbLb1EEEEDaSU_SV_EUlSU_E_NS1_11comp_targetILNS1_3genE5ELNS1_11target_archE942ELNS1_3gpuE9ELNS1_3repE0EEENS1_30default_config_static_selectorELNS0_4arch9wavefront6targetE0EEEvT1_,@function
_ZN7rocprim17ROCPRIM_400000_NS6detail17trampoline_kernelINS0_14default_configENS1_27scan_by_key_config_selectorIxxEEZZNS1_16scan_by_key_implILNS1_25lookback_scan_determinismE0ELb1ES3_N6thrust23THRUST_200600_302600_NS6detail15normal_iteratorINS9_10device_ptrIxEEEESE_SE_xNS9_4plusIvEENS9_8equal_toIvEExEE10hipError_tPvRmT2_T3_T4_T5_mT6_T7_P12ihipStream_tbENKUlT_T0_E_clISt17integral_constantIbLb0EESY_IbLb1EEEEDaSU_SV_EUlSU_E_NS1_11comp_targetILNS1_3genE5ELNS1_11target_archE942ELNS1_3gpuE9ELNS1_3repE0EEENS1_30default_config_static_selectorELNS0_4arch9wavefront6targetE0EEEvT1_: ; @_ZN7rocprim17ROCPRIM_400000_NS6detail17trampoline_kernelINS0_14default_configENS1_27scan_by_key_config_selectorIxxEEZZNS1_16scan_by_key_implILNS1_25lookback_scan_determinismE0ELb1ES3_N6thrust23THRUST_200600_302600_NS6detail15normal_iteratorINS9_10device_ptrIxEEEESE_SE_xNS9_4plusIvEENS9_8equal_toIvEExEE10hipError_tPvRmT2_T3_T4_T5_mT6_T7_P12ihipStream_tbENKUlT_T0_E_clISt17integral_constantIbLb0EESY_IbLb1EEEEDaSU_SV_EUlSU_E_NS1_11comp_targetILNS1_3genE5ELNS1_11target_archE942ELNS1_3gpuE9ELNS1_3repE0EEENS1_30default_config_static_selectorELNS0_4arch9wavefront6targetE0EEEvT1_
; %bb.0:
	.section	.rodata,"a",@progbits
	.p2align	6, 0x0
	.amdhsa_kernel _ZN7rocprim17ROCPRIM_400000_NS6detail17trampoline_kernelINS0_14default_configENS1_27scan_by_key_config_selectorIxxEEZZNS1_16scan_by_key_implILNS1_25lookback_scan_determinismE0ELb1ES3_N6thrust23THRUST_200600_302600_NS6detail15normal_iteratorINS9_10device_ptrIxEEEESE_SE_xNS9_4plusIvEENS9_8equal_toIvEExEE10hipError_tPvRmT2_T3_T4_T5_mT6_T7_P12ihipStream_tbENKUlT_T0_E_clISt17integral_constantIbLb0EESY_IbLb1EEEEDaSU_SV_EUlSU_E_NS1_11comp_targetILNS1_3genE5ELNS1_11target_archE942ELNS1_3gpuE9ELNS1_3repE0EEENS1_30default_config_static_selectorELNS0_4arch9wavefront6targetE0EEEvT1_
		.amdhsa_group_segment_fixed_size 0
		.amdhsa_private_segment_fixed_size 0
		.amdhsa_kernarg_size 136
		.amdhsa_user_sgpr_count 6
		.amdhsa_user_sgpr_private_segment_buffer 1
		.amdhsa_user_sgpr_dispatch_ptr 0
		.amdhsa_user_sgpr_queue_ptr 0
		.amdhsa_user_sgpr_kernarg_segment_ptr 1
		.amdhsa_user_sgpr_dispatch_id 0
		.amdhsa_user_sgpr_flat_scratch_init 0
		.amdhsa_user_sgpr_private_segment_size 0
		.amdhsa_wavefront_size32 1
		.amdhsa_uses_dynamic_stack 0
		.amdhsa_system_sgpr_private_segment_wavefront_offset 0
		.amdhsa_system_sgpr_workgroup_id_x 1
		.amdhsa_system_sgpr_workgroup_id_y 0
		.amdhsa_system_sgpr_workgroup_id_z 0
		.amdhsa_system_sgpr_workgroup_info 0
		.amdhsa_system_vgpr_workitem_id 0
		.amdhsa_next_free_vgpr 1
		.amdhsa_next_free_sgpr 1
		.amdhsa_reserve_vcc 0
		.amdhsa_reserve_flat_scratch 0
		.amdhsa_float_round_mode_32 0
		.amdhsa_float_round_mode_16_64 0
		.amdhsa_float_denorm_mode_32 3
		.amdhsa_float_denorm_mode_16_64 3
		.amdhsa_dx10_clamp 1
		.amdhsa_ieee_mode 1
		.amdhsa_fp16_overflow 0
		.amdhsa_workgroup_processor_mode 1
		.amdhsa_memory_ordered 1
		.amdhsa_forward_progress 1
		.amdhsa_shared_vgpr_count 0
		.amdhsa_exception_fp_ieee_invalid_op 0
		.amdhsa_exception_fp_denorm_src 0
		.amdhsa_exception_fp_ieee_div_zero 0
		.amdhsa_exception_fp_ieee_overflow 0
		.amdhsa_exception_fp_ieee_underflow 0
		.amdhsa_exception_fp_ieee_inexact 0
		.amdhsa_exception_int_div_zero 0
	.end_amdhsa_kernel
	.section	.text._ZN7rocprim17ROCPRIM_400000_NS6detail17trampoline_kernelINS0_14default_configENS1_27scan_by_key_config_selectorIxxEEZZNS1_16scan_by_key_implILNS1_25lookback_scan_determinismE0ELb1ES3_N6thrust23THRUST_200600_302600_NS6detail15normal_iteratorINS9_10device_ptrIxEEEESE_SE_xNS9_4plusIvEENS9_8equal_toIvEExEE10hipError_tPvRmT2_T3_T4_T5_mT6_T7_P12ihipStream_tbENKUlT_T0_E_clISt17integral_constantIbLb0EESY_IbLb1EEEEDaSU_SV_EUlSU_E_NS1_11comp_targetILNS1_3genE5ELNS1_11target_archE942ELNS1_3gpuE9ELNS1_3repE0EEENS1_30default_config_static_selectorELNS0_4arch9wavefront6targetE0EEEvT1_,"axG",@progbits,_ZN7rocprim17ROCPRIM_400000_NS6detail17trampoline_kernelINS0_14default_configENS1_27scan_by_key_config_selectorIxxEEZZNS1_16scan_by_key_implILNS1_25lookback_scan_determinismE0ELb1ES3_N6thrust23THRUST_200600_302600_NS6detail15normal_iteratorINS9_10device_ptrIxEEEESE_SE_xNS9_4plusIvEENS9_8equal_toIvEExEE10hipError_tPvRmT2_T3_T4_T5_mT6_T7_P12ihipStream_tbENKUlT_T0_E_clISt17integral_constantIbLb0EESY_IbLb1EEEEDaSU_SV_EUlSU_E_NS1_11comp_targetILNS1_3genE5ELNS1_11target_archE942ELNS1_3gpuE9ELNS1_3repE0EEENS1_30default_config_static_selectorELNS0_4arch9wavefront6targetE0EEEvT1_,comdat
.Lfunc_end382:
	.size	_ZN7rocprim17ROCPRIM_400000_NS6detail17trampoline_kernelINS0_14default_configENS1_27scan_by_key_config_selectorIxxEEZZNS1_16scan_by_key_implILNS1_25lookback_scan_determinismE0ELb1ES3_N6thrust23THRUST_200600_302600_NS6detail15normal_iteratorINS9_10device_ptrIxEEEESE_SE_xNS9_4plusIvEENS9_8equal_toIvEExEE10hipError_tPvRmT2_T3_T4_T5_mT6_T7_P12ihipStream_tbENKUlT_T0_E_clISt17integral_constantIbLb0EESY_IbLb1EEEEDaSU_SV_EUlSU_E_NS1_11comp_targetILNS1_3genE5ELNS1_11target_archE942ELNS1_3gpuE9ELNS1_3repE0EEENS1_30default_config_static_selectorELNS0_4arch9wavefront6targetE0EEEvT1_, .Lfunc_end382-_ZN7rocprim17ROCPRIM_400000_NS6detail17trampoline_kernelINS0_14default_configENS1_27scan_by_key_config_selectorIxxEEZZNS1_16scan_by_key_implILNS1_25lookback_scan_determinismE0ELb1ES3_N6thrust23THRUST_200600_302600_NS6detail15normal_iteratorINS9_10device_ptrIxEEEESE_SE_xNS9_4plusIvEENS9_8equal_toIvEExEE10hipError_tPvRmT2_T3_T4_T5_mT6_T7_P12ihipStream_tbENKUlT_T0_E_clISt17integral_constantIbLb0EESY_IbLb1EEEEDaSU_SV_EUlSU_E_NS1_11comp_targetILNS1_3genE5ELNS1_11target_archE942ELNS1_3gpuE9ELNS1_3repE0EEENS1_30default_config_static_selectorELNS0_4arch9wavefront6targetE0EEEvT1_
                                        ; -- End function
	.set _ZN7rocprim17ROCPRIM_400000_NS6detail17trampoline_kernelINS0_14default_configENS1_27scan_by_key_config_selectorIxxEEZZNS1_16scan_by_key_implILNS1_25lookback_scan_determinismE0ELb1ES3_N6thrust23THRUST_200600_302600_NS6detail15normal_iteratorINS9_10device_ptrIxEEEESE_SE_xNS9_4plusIvEENS9_8equal_toIvEExEE10hipError_tPvRmT2_T3_T4_T5_mT6_T7_P12ihipStream_tbENKUlT_T0_E_clISt17integral_constantIbLb0EESY_IbLb1EEEEDaSU_SV_EUlSU_E_NS1_11comp_targetILNS1_3genE5ELNS1_11target_archE942ELNS1_3gpuE9ELNS1_3repE0EEENS1_30default_config_static_selectorELNS0_4arch9wavefront6targetE0EEEvT1_.num_vgpr, 0
	.set _ZN7rocprim17ROCPRIM_400000_NS6detail17trampoline_kernelINS0_14default_configENS1_27scan_by_key_config_selectorIxxEEZZNS1_16scan_by_key_implILNS1_25lookback_scan_determinismE0ELb1ES3_N6thrust23THRUST_200600_302600_NS6detail15normal_iteratorINS9_10device_ptrIxEEEESE_SE_xNS9_4plusIvEENS9_8equal_toIvEExEE10hipError_tPvRmT2_T3_T4_T5_mT6_T7_P12ihipStream_tbENKUlT_T0_E_clISt17integral_constantIbLb0EESY_IbLb1EEEEDaSU_SV_EUlSU_E_NS1_11comp_targetILNS1_3genE5ELNS1_11target_archE942ELNS1_3gpuE9ELNS1_3repE0EEENS1_30default_config_static_selectorELNS0_4arch9wavefront6targetE0EEEvT1_.num_agpr, 0
	.set _ZN7rocprim17ROCPRIM_400000_NS6detail17trampoline_kernelINS0_14default_configENS1_27scan_by_key_config_selectorIxxEEZZNS1_16scan_by_key_implILNS1_25lookback_scan_determinismE0ELb1ES3_N6thrust23THRUST_200600_302600_NS6detail15normal_iteratorINS9_10device_ptrIxEEEESE_SE_xNS9_4plusIvEENS9_8equal_toIvEExEE10hipError_tPvRmT2_T3_T4_T5_mT6_T7_P12ihipStream_tbENKUlT_T0_E_clISt17integral_constantIbLb0EESY_IbLb1EEEEDaSU_SV_EUlSU_E_NS1_11comp_targetILNS1_3genE5ELNS1_11target_archE942ELNS1_3gpuE9ELNS1_3repE0EEENS1_30default_config_static_selectorELNS0_4arch9wavefront6targetE0EEEvT1_.numbered_sgpr, 0
	.set _ZN7rocprim17ROCPRIM_400000_NS6detail17trampoline_kernelINS0_14default_configENS1_27scan_by_key_config_selectorIxxEEZZNS1_16scan_by_key_implILNS1_25lookback_scan_determinismE0ELb1ES3_N6thrust23THRUST_200600_302600_NS6detail15normal_iteratorINS9_10device_ptrIxEEEESE_SE_xNS9_4plusIvEENS9_8equal_toIvEExEE10hipError_tPvRmT2_T3_T4_T5_mT6_T7_P12ihipStream_tbENKUlT_T0_E_clISt17integral_constantIbLb0EESY_IbLb1EEEEDaSU_SV_EUlSU_E_NS1_11comp_targetILNS1_3genE5ELNS1_11target_archE942ELNS1_3gpuE9ELNS1_3repE0EEENS1_30default_config_static_selectorELNS0_4arch9wavefront6targetE0EEEvT1_.num_named_barrier, 0
	.set _ZN7rocprim17ROCPRIM_400000_NS6detail17trampoline_kernelINS0_14default_configENS1_27scan_by_key_config_selectorIxxEEZZNS1_16scan_by_key_implILNS1_25lookback_scan_determinismE0ELb1ES3_N6thrust23THRUST_200600_302600_NS6detail15normal_iteratorINS9_10device_ptrIxEEEESE_SE_xNS9_4plusIvEENS9_8equal_toIvEExEE10hipError_tPvRmT2_T3_T4_T5_mT6_T7_P12ihipStream_tbENKUlT_T0_E_clISt17integral_constantIbLb0EESY_IbLb1EEEEDaSU_SV_EUlSU_E_NS1_11comp_targetILNS1_3genE5ELNS1_11target_archE942ELNS1_3gpuE9ELNS1_3repE0EEENS1_30default_config_static_selectorELNS0_4arch9wavefront6targetE0EEEvT1_.private_seg_size, 0
	.set _ZN7rocprim17ROCPRIM_400000_NS6detail17trampoline_kernelINS0_14default_configENS1_27scan_by_key_config_selectorIxxEEZZNS1_16scan_by_key_implILNS1_25lookback_scan_determinismE0ELb1ES3_N6thrust23THRUST_200600_302600_NS6detail15normal_iteratorINS9_10device_ptrIxEEEESE_SE_xNS9_4plusIvEENS9_8equal_toIvEExEE10hipError_tPvRmT2_T3_T4_T5_mT6_T7_P12ihipStream_tbENKUlT_T0_E_clISt17integral_constantIbLb0EESY_IbLb1EEEEDaSU_SV_EUlSU_E_NS1_11comp_targetILNS1_3genE5ELNS1_11target_archE942ELNS1_3gpuE9ELNS1_3repE0EEENS1_30default_config_static_selectorELNS0_4arch9wavefront6targetE0EEEvT1_.uses_vcc, 0
	.set _ZN7rocprim17ROCPRIM_400000_NS6detail17trampoline_kernelINS0_14default_configENS1_27scan_by_key_config_selectorIxxEEZZNS1_16scan_by_key_implILNS1_25lookback_scan_determinismE0ELb1ES3_N6thrust23THRUST_200600_302600_NS6detail15normal_iteratorINS9_10device_ptrIxEEEESE_SE_xNS9_4plusIvEENS9_8equal_toIvEExEE10hipError_tPvRmT2_T3_T4_T5_mT6_T7_P12ihipStream_tbENKUlT_T0_E_clISt17integral_constantIbLb0EESY_IbLb1EEEEDaSU_SV_EUlSU_E_NS1_11comp_targetILNS1_3genE5ELNS1_11target_archE942ELNS1_3gpuE9ELNS1_3repE0EEENS1_30default_config_static_selectorELNS0_4arch9wavefront6targetE0EEEvT1_.uses_flat_scratch, 0
	.set _ZN7rocprim17ROCPRIM_400000_NS6detail17trampoline_kernelINS0_14default_configENS1_27scan_by_key_config_selectorIxxEEZZNS1_16scan_by_key_implILNS1_25lookback_scan_determinismE0ELb1ES3_N6thrust23THRUST_200600_302600_NS6detail15normal_iteratorINS9_10device_ptrIxEEEESE_SE_xNS9_4plusIvEENS9_8equal_toIvEExEE10hipError_tPvRmT2_T3_T4_T5_mT6_T7_P12ihipStream_tbENKUlT_T0_E_clISt17integral_constantIbLb0EESY_IbLb1EEEEDaSU_SV_EUlSU_E_NS1_11comp_targetILNS1_3genE5ELNS1_11target_archE942ELNS1_3gpuE9ELNS1_3repE0EEENS1_30default_config_static_selectorELNS0_4arch9wavefront6targetE0EEEvT1_.has_dyn_sized_stack, 0
	.set _ZN7rocprim17ROCPRIM_400000_NS6detail17trampoline_kernelINS0_14default_configENS1_27scan_by_key_config_selectorIxxEEZZNS1_16scan_by_key_implILNS1_25lookback_scan_determinismE0ELb1ES3_N6thrust23THRUST_200600_302600_NS6detail15normal_iteratorINS9_10device_ptrIxEEEESE_SE_xNS9_4plusIvEENS9_8equal_toIvEExEE10hipError_tPvRmT2_T3_T4_T5_mT6_T7_P12ihipStream_tbENKUlT_T0_E_clISt17integral_constantIbLb0EESY_IbLb1EEEEDaSU_SV_EUlSU_E_NS1_11comp_targetILNS1_3genE5ELNS1_11target_archE942ELNS1_3gpuE9ELNS1_3repE0EEENS1_30default_config_static_selectorELNS0_4arch9wavefront6targetE0EEEvT1_.has_recursion, 0
	.set _ZN7rocprim17ROCPRIM_400000_NS6detail17trampoline_kernelINS0_14default_configENS1_27scan_by_key_config_selectorIxxEEZZNS1_16scan_by_key_implILNS1_25lookback_scan_determinismE0ELb1ES3_N6thrust23THRUST_200600_302600_NS6detail15normal_iteratorINS9_10device_ptrIxEEEESE_SE_xNS9_4plusIvEENS9_8equal_toIvEExEE10hipError_tPvRmT2_T3_T4_T5_mT6_T7_P12ihipStream_tbENKUlT_T0_E_clISt17integral_constantIbLb0EESY_IbLb1EEEEDaSU_SV_EUlSU_E_NS1_11comp_targetILNS1_3genE5ELNS1_11target_archE942ELNS1_3gpuE9ELNS1_3repE0EEENS1_30default_config_static_selectorELNS0_4arch9wavefront6targetE0EEEvT1_.has_indirect_call, 0
	.section	.AMDGPU.csdata,"",@progbits
; Kernel info:
; codeLenInByte = 0
; TotalNumSgprs: 0
; NumVgprs: 0
; ScratchSize: 0
; MemoryBound: 0
; FloatMode: 240
; IeeeMode: 1
; LDSByteSize: 0 bytes/workgroup (compile time only)
; SGPRBlocks: 0
; VGPRBlocks: 0
; NumSGPRsForWavesPerEU: 1
; NumVGPRsForWavesPerEU: 1
; Occupancy: 16
; WaveLimiterHint : 0
; COMPUTE_PGM_RSRC2:SCRATCH_EN: 0
; COMPUTE_PGM_RSRC2:USER_SGPR: 6
; COMPUTE_PGM_RSRC2:TRAP_HANDLER: 0
; COMPUTE_PGM_RSRC2:TGID_X_EN: 1
; COMPUTE_PGM_RSRC2:TGID_Y_EN: 0
; COMPUTE_PGM_RSRC2:TGID_Z_EN: 0
; COMPUTE_PGM_RSRC2:TIDIG_COMP_CNT: 0
	.section	.text._ZN7rocprim17ROCPRIM_400000_NS6detail17trampoline_kernelINS0_14default_configENS1_27scan_by_key_config_selectorIxxEEZZNS1_16scan_by_key_implILNS1_25lookback_scan_determinismE0ELb1ES3_N6thrust23THRUST_200600_302600_NS6detail15normal_iteratorINS9_10device_ptrIxEEEESE_SE_xNS9_4plusIvEENS9_8equal_toIvEExEE10hipError_tPvRmT2_T3_T4_T5_mT6_T7_P12ihipStream_tbENKUlT_T0_E_clISt17integral_constantIbLb0EESY_IbLb1EEEEDaSU_SV_EUlSU_E_NS1_11comp_targetILNS1_3genE4ELNS1_11target_archE910ELNS1_3gpuE8ELNS1_3repE0EEENS1_30default_config_static_selectorELNS0_4arch9wavefront6targetE0EEEvT1_,"axG",@progbits,_ZN7rocprim17ROCPRIM_400000_NS6detail17trampoline_kernelINS0_14default_configENS1_27scan_by_key_config_selectorIxxEEZZNS1_16scan_by_key_implILNS1_25lookback_scan_determinismE0ELb1ES3_N6thrust23THRUST_200600_302600_NS6detail15normal_iteratorINS9_10device_ptrIxEEEESE_SE_xNS9_4plusIvEENS9_8equal_toIvEExEE10hipError_tPvRmT2_T3_T4_T5_mT6_T7_P12ihipStream_tbENKUlT_T0_E_clISt17integral_constantIbLb0EESY_IbLb1EEEEDaSU_SV_EUlSU_E_NS1_11comp_targetILNS1_3genE4ELNS1_11target_archE910ELNS1_3gpuE8ELNS1_3repE0EEENS1_30default_config_static_selectorELNS0_4arch9wavefront6targetE0EEEvT1_,comdat
	.protected	_ZN7rocprim17ROCPRIM_400000_NS6detail17trampoline_kernelINS0_14default_configENS1_27scan_by_key_config_selectorIxxEEZZNS1_16scan_by_key_implILNS1_25lookback_scan_determinismE0ELb1ES3_N6thrust23THRUST_200600_302600_NS6detail15normal_iteratorINS9_10device_ptrIxEEEESE_SE_xNS9_4plusIvEENS9_8equal_toIvEExEE10hipError_tPvRmT2_T3_T4_T5_mT6_T7_P12ihipStream_tbENKUlT_T0_E_clISt17integral_constantIbLb0EESY_IbLb1EEEEDaSU_SV_EUlSU_E_NS1_11comp_targetILNS1_3genE4ELNS1_11target_archE910ELNS1_3gpuE8ELNS1_3repE0EEENS1_30default_config_static_selectorELNS0_4arch9wavefront6targetE0EEEvT1_ ; -- Begin function _ZN7rocprim17ROCPRIM_400000_NS6detail17trampoline_kernelINS0_14default_configENS1_27scan_by_key_config_selectorIxxEEZZNS1_16scan_by_key_implILNS1_25lookback_scan_determinismE0ELb1ES3_N6thrust23THRUST_200600_302600_NS6detail15normal_iteratorINS9_10device_ptrIxEEEESE_SE_xNS9_4plusIvEENS9_8equal_toIvEExEE10hipError_tPvRmT2_T3_T4_T5_mT6_T7_P12ihipStream_tbENKUlT_T0_E_clISt17integral_constantIbLb0EESY_IbLb1EEEEDaSU_SV_EUlSU_E_NS1_11comp_targetILNS1_3genE4ELNS1_11target_archE910ELNS1_3gpuE8ELNS1_3repE0EEENS1_30default_config_static_selectorELNS0_4arch9wavefront6targetE0EEEvT1_
	.globl	_ZN7rocprim17ROCPRIM_400000_NS6detail17trampoline_kernelINS0_14default_configENS1_27scan_by_key_config_selectorIxxEEZZNS1_16scan_by_key_implILNS1_25lookback_scan_determinismE0ELb1ES3_N6thrust23THRUST_200600_302600_NS6detail15normal_iteratorINS9_10device_ptrIxEEEESE_SE_xNS9_4plusIvEENS9_8equal_toIvEExEE10hipError_tPvRmT2_T3_T4_T5_mT6_T7_P12ihipStream_tbENKUlT_T0_E_clISt17integral_constantIbLb0EESY_IbLb1EEEEDaSU_SV_EUlSU_E_NS1_11comp_targetILNS1_3genE4ELNS1_11target_archE910ELNS1_3gpuE8ELNS1_3repE0EEENS1_30default_config_static_selectorELNS0_4arch9wavefront6targetE0EEEvT1_
	.p2align	8
	.type	_ZN7rocprim17ROCPRIM_400000_NS6detail17trampoline_kernelINS0_14default_configENS1_27scan_by_key_config_selectorIxxEEZZNS1_16scan_by_key_implILNS1_25lookback_scan_determinismE0ELb1ES3_N6thrust23THRUST_200600_302600_NS6detail15normal_iteratorINS9_10device_ptrIxEEEESE_SE_xNS9_4plusIvEENS9_8equal_toIvEExEE10hipError_tPvRmT2_T3_T4_T5_mT6_T7_P12ihipStream_tbENKUlT_T0_E_clISt17integral_constantIbLb0EESY_IbLb1EEEEDaSU_SV_EUlSU_E_NS1_11comp_targetILNS1_3genE4ELNS1_11target_archE910ELNS1_3gpuE8ELNS1_3repE0EEENS1_30default_config_static_selectorELNS0_4arch9wavefront6targetE0EEEvT1_,@function
_ZN7rocprim17ROCPRIM_400000_NS6detail17trampoline_kernelINS0_14default_configENS1_27scan_by_key_config_selectorIxxEEZZNS1_16scan_by_key_implILNS1_25lookback_scan_determinismE0ELb1ES3_N6thrust23THRUST_200600_302600_NS6detail15normal_iteratorINS9_10device_ptrIxEEEESE_SE_xNS9_4plusIvEENS9_8equal_toIvEExEE10hipError_tPvRmT2_T3_T4_T5_mT6_T7_P12ihipStream_tbENKUlT_T0_E_clISt17integral_constantIbLb0EESY_IbLb1EEEEDaSU_SV_EUlSU_E_NS1_11comp_targetILNS1_3genE4ELNS1_11target_archE910ELNS1_3gpuE8ELNS1_3repE0EEENS1_30default_config_static_selectorELNS0_4arch9wavefront6targetE0EEEvT1_: ; @_ZN7rocprim17ROCPRIM_400000_NS6detail17trampoline_kernelINS0_14default_configENS1_27scan_by_key_config_selectorIxxEEZZNS1_16scan_by_key_implILNS1_25lookback_scan_determinismE0ELb1ES3_N6thrust23THRUST_200600_302600_NS6detail15normal_iteratorINS9_10device_ptrIxEEEESE_SE_xNS9_4plusIvEENS9_8equal_toIvEExEE10hipError_tPvRmT2_T3_T4_T5_mT6_T7_P12ihipStream_tbENKUlT_T0_E_clISt17integral_constantIbLb0EESY_IbLb1EEEEDaSU_SV_EUlSU_E_NS1_11comp_targetILNS1_3genE4ELNS1_11target_archE910ELNS1_3gpuE8ELNS1_3repE0EEENS1_30default_config_static_selectorELNS0_4arch9wavefront6targetE0EEEvT1_
; %bb.0:
	.section	.rodata,"a",@progbits
	.p2align	6, 0x0
	.amdhsa_kernel _ZN7rocprim17ROCPRIM_400000_NS6detail17trampoline_kernelINS0_14default_configENS1_27scan_by_key_config_selectorIxxEEZZNS1_16scan_by_key_implILNS1_25lookback_scan_determinismE0ELb1ES3_N6thrust23THRUST_200600_302600_NS6detail15normal_iteratorINS9_10device_ptrIxEEEESE_SE_xNS9_4plusIvEENS9_8equal_toIvEExEE10hipError_tPvRmT2_T3_T4_T5_mT6_T7_P12ihipStream_tbENKUlT_T0_E_clISt17integral_constantIbLb0EESY_IbLb1EEEEDaSU_SV_EUlSU_E_NS1_11comp_targetILNS1_3genE4ELNS1_11target_archE910ELNS1_3gpuE8ELNS1_3repE0EEENS1_30default_config_static_selectorELNS0_4arch9wavefront6targetE0EEEvT1_
		.amdhsa_group_segment_fixed_size 0
		.amdhsa_private_segment_fixed_size 0
		.amdhsa_kernarg_size 136
		.amdhsa_user_sgpr_count 6
		.amdhsa_user_sgpr_private_segment_buffer 1
		.amdhsa_user_sgpr_dispatch_ptr 0
		.amdhsa_user_sgpr_queue_ptr 0
		.amdhsa_user_sgpr_kernarg_segment_ptr 1
		.amdhsa_user_sgpr_dispatch_id 0
		.amdhsa_user_sgpr_flat_scratch_init 0
		.amdhsa_user_sgpr_private_segment_size 0
		.amdhsa_wavefront_size32 1
		.amdhsa_uses_dynamic_stack 0
		.amdhsa_system_sgpr_private_segment_wavefront_offset 0
		.amdhsa_system_sgpr_workgroup_id_x 1
		.amdhsa_system_sgpr_workgroup_id_y 0
		.amdhsa_system_sgpr_workgroup_id_z 0
		.amdhsa_system_sgpr_workgroup_info 0
		.amdhsa_system_vgpr_workitem_id 0
		.amdhsa_next_free_vgpr 1
		.amdhsa_next_free_sgpr 1
		.amdhsa_reserve_vcc 0
		.amdhsa_reserve_flat_scratch 0
		.amdhsa_float_round_mode_32 0
		.amdhsa_float_round_mode_16_64 0
		.amdhsa_float_denorm_mode_32 3
		.amdhsa_float_denorm_mode_16_64 3
		.amdhsa_dx10_clamp 1
		.amdhsa_ieee_mode 1
		.amdhsa_fp16_overflow 0
		.amdhsa_workgroup_processor_mode 1
		.amdhsa_memory_ordered 1
		.amdhsa_forward_progress 1
		.amdhsa_shared_vgpr_count 0
		.amdhsa_exception_fp_ieee_invalid_op 0
		.amdhsa_exception_fp_denorm_src 0
		.amdhsa_exception_fp_ieee_div_zero 0
		.amdhsa_exception_fp_ieee_overflow 0
		.amdhsa_exception_fp_ieee_underflow 0
		.amdhsa_exception_fp_ieee_inexact 0
		.amdhsa_exception_int_div_zero 0
	.end_amdhsa_kernel
	.section	.text._ZN7rocprim17ROCPRIM_400000_NS6detail17trampoline_kernelINS0_14default_configENS1_27scan_by_key_config_selectorIxxEEZZNS1_16scan_by_key_implILNS1_25lookback_scan_determinismE0ELb1ES3_N6thrust23THRUST_200600_302600_NS6detail15normal_iteratorINS9_10device_ptrIxEEEESE_SE_xNS9_4plusIvEENS9_8equal_toIvEExEE10hipError_tPvRmT2_T3_T4_T5_mT6_T7_P12ihipStream_tbENKUlT_T0_E_clISt17integral_constantIbLb0EESY_IbLb1EEEEDaSU_SV_EUlSU_E_NS1_11comp_targetILNS1_3genE4ELNS1_11target_archE910ELNS1_3gpuE8ELNS1_3repE0EEENS1_30default_config_static_selectorELNS0_4arch9wavefront6targetE0EEEvT1_,"axG",@progbits,_ZN7rocprim17ROCPRIM_400000_NS6detail17trampoline_kernelINS0_14default_configENS1_27scan_by_key_config_selectorIxxEEZZNS1_16scan_by_key_implILNS1_25lookback_scan_determinismE0ELb1ES3_N6thrust23THRUST_200600_302600_NS6detail15normal_iteratorINS9_10device_ptrIxEEEESE_SE_xNS9_4plusIvEENS9_8equal_toIvEExEE10hipError_tPvRmT2_T3_T4_T5_mT6_T7_P12ihipStream_tbENKUlT_T0_E_clISt17integral_constantIbLb0EESY_IbLb1EEEEDaSU_SV_EUlSU_E_NS1_11comp_targetILNS1_3genE4ELNS1_11target_archE910ELNS1_3gpuE8ELNS1_3repE0EEENS1_30default_config_static_selectorELNS0_4arch9wavefront6targetE0EEEvT1_,comdat
.Lfunc_end383:
	.size	_ZN7rocprim17ROCPRIM_400000_NS6detail17trampoline_kernelINS0_14default_configENS1_27scan_by_key_config_selectorIxxEEZZNS1_16scan_by_key_implILNS1_25lookback_scan_determinismE0ELb1ES3_N6thrust23THRUST_200600_302600_NS6detail15normal_iteratorINS9_10device_ptrIxEEEESE_SE_xNS9_4plusIvEENS9_8equal_toIvEExEE10hipError_tPvRmT2_T3_T4_T5_mT6_T7_P12ihipStream_tbENKUlT_T0_E_clISt17integral_constantIbLb0EESY_IbLb1EEEEDaSU_SV_EUlSU_E_NS1_11comp_targetILNS1_3genE4ELNS1_11target_archE910ELNS1_3gpuE8ELNS1_3repE0EEENS1_30default_config_static_selectorELNS0_4arch9wavefront6targetE0EEEvT1_, .Lfunc_end383-_ZN7rocprim17ROCPRIM_400000_NS6detail17trampoline_kernelINS0_14default_configENS1_27scan_by_key_config_selectorIxxEEZZNS1_16scan_by_key_implILNS1_25lookback_scan_determinismE0ELb1ES3_N6thrust23THRUST_200600_302600_NS6detail15normal_iteratorINS9_10device_ptrIxEEEESE_SE_xNS9_4plusIvEENS9_8equal_toIvEExEE10hipError_tPvRmT2_T3_T4_T5_mT6_T7_P12ihipStream_tbENKUlT_T0_E_clISt17integral_constantIbLb0EESY_IbLb1EEEEDaSU_SV_EUlSU_E_NS1_11comp_targetILNS1_3genE4ELNS1_11target_archE910ELNS1_3gpuE8ELNS1_3repE0EEENS1_30default_config_static_selectorELNS0_4arch9wavefront6targetE0EEEvT1_
                                        ; -- End function
	.set _ZN7rocprim17ROCPRIM_400000_NS6detail17trampoline_kernelINS0_14default_configENS1_27scan_by_key_config_selectorIxxEEZZNS1_16scan_by_key_implILNS1_25lookback_scan_determinismE0ELb1ES3_N6thrust23THRUST_200600_302600_NS6detail15normal_iteratorINS9_10device_ptrIxEEEESE_SE_xNS9_4plusIvEENS9_8equal_toIvEExEE10hipError_tPvRmT2_T3_T4_T5_mT6_T7_P12ihipStream_tbENKUlT_T0_E_clISt17integral_constantIbLb0EESY_IbLb1EEEEDaSU_SV_EUlSU_E_NS1_11comp_targetILNS1_3genE4ELNS1_11target_archE910ELNS1_3gpuE8ELNS1_3repE0EEENS1_30default_config_static_selectorELNS0_4arch9wavefront6targetE0EEEvT1_.num_vgpr, 0
	.set _ZN7rocprim17ROCPRIM_400000_NS6detail17trampoline_kernelINS0_14default_configENS1_27scan_by_key_config_selectorIxxEEZZNS1_16scan_by_key_implILNS1_25lookback_scan_determinismE0ELb1ES3_N6thrust23THRUST_200600_302600_NS6detail15normal_iteratorINS9_10device_ptrIxEEEESE_SE_xNS9_4plusIvEENS9_8equal_toIvEExEE10hipError_tPvRmT2_T3_T4_T5_mT6_T7_P12ihipStream_tbENKUlT_T0_E_clISt17integral_constantIbLb0EESY_IbLb1EEEEDaSU_SV_EUlSU_E_NS1_11comp_targetILNS1_3genE4ELNS1_11target_archE910ELNS1_3gpuE8ELNS1_3repE0EEENS1_30default_config_static_selectorELNS0_4arch9wavefront6targetE0EEEvT1_.num_agpr, 0
	.set _ZN7rocprim17ROCPRIM_400000_NS6detail17trampoline_kernelINS0_14default_configENS1_27scan_by_key_config_selectorIxxEEZZNS1_16scan_by_key_implILNS1_25lookback_scan_determinismE0ELb1ES3_N6thrust23THRUST_200600_302600_NS6detail15normal_iteratorINS9_10device_ptrIxEEEESE_SE_xNS9_4plusIvEENS9_8equal_toIvEExEE10hipError_tPvRmT2_T3_T4_T5_mT6_T7_P12ihipStream_tbENKUlT_T0_E_clISt17integral_constantIbLb0EESY_IbLb1EEEEDaSU_SV_EUlSU_E_NS1_11comp_targetILNS1_3genE4ELNS1_11target_archE910ELNS1_3gpuE8ELNS1_3repE0EEENS1_30default_config_static_selectorELNS0_4arch9wavefront6targetE0EEEvT1_.numbered_sgpr, 0
	.set _ZN7rocprim17ROCPRIM_400000_NS6detail17trampoline_kernelINS0_14default_configENS1_27scan_by_key_config_selectorIxxEEZZNS1_16scan_by_key_implILNS1_25lookback_scan_determinismE0ELb1ES3_N6thrust23THRUST_200600_302600_NS6detail15normal_iteratorINS9_10device_ptrIxEEEESE_SE_xNS9_4plusIvEENS9_8equal_toIvEExEE10hipError_tPvRmT2_T3_T4_T5_mT6_T7_P12ihipStream_tbENKUlT_T0_E_clISt17integral_constantIbLb0EESY_IbLb1EEEEDaSU_SV_EUlSU_E_NS1_11comp_targetILNS1_3genE4ELNS1_11target_archE910ELNS1_3gpuE8ELNS1_3repE0EEENS1_30default_config_static_selectorELNS0_4arch9wavefront6targetE0EEEvT1_.num_named_barrier, 0
	.set _ZN7rocprim17ROCPRIM_400000_NS6detail17trampoline_kernelINS0_14default_configENS1_27scan_by_key_config_selectorIxxEEZZNS1_16scan_by_key_implILNS1_25lookback_scan_determinismE0ELb1ES3_N6thrust23THRUST_200600_302600_NS6detail15normal_iteratorINS9_10device_ptrIxEEEESE_SE_xNS9_4plusIvEENS9_8equal_toIvEExEE10hipError_tPvRmT2_T3_T4_T5_mT6_T7_P12ihipStream_tbENKUlT_T0_E_clISt17integral_constantIbLb0EESY_IbLb1EEEEDaSU_SV_EUlSU_E_NS1_11comp_targetILNS1_3genE4ELNS1_11target_archE910ELNS1_3gpuE8ELNS1_3repE0EEENS1_30default_config_static_selectorELNS0_4arch9wavefront6targetE0EEEvT1_.private_seg_size, 0
	.set _ZN7rocprim17ROCPRIM_400000_NS6detail17trampoline_kernelINS0_14default_configENS1_27scan_by_key_config_selectorIxxEEZZNS1_16scan_by_key_implILNS1_25lookback_scan_determinismE0ELb1ES3_N6thrust23THRUST_200600_302600_NS6detail15normal_iteratorINS9_10device_ptrIxEEEESE_SE_xNS9_4plusIvEENS9_8equal_toIvEExEE10hipError_tPvRmT2_T3_T4_T5_mT6_T7_P12ihipStream_tbENKUlT_T0_E_clISt17integral_constantIbLb0EESY_IbLb1EEEEDaSU_SV_EUlSU_E_NS1_11comp_targetILNS1_3genE4ELNS1_11target_archE910ELNS1_3gpuE8ELNS1_3repE0EEENS1_30default_config_static_selectorELNS0_4arch9wavefront6targetE0EEEvT1_.uses_vcc, 0
	.set _ZN7rocprim17ROCPRIM_400000_NS6detail17trampoline_kernelINS0_14default_configENS1_27scan_by_key_config_selectorIxxEEZZNS1_16scan_by_key_implILNS1_25lookback_scan_determinismE0ELb1ES3_N6thrust23THRUST_200600_302600_NS6detail15normal_iteratorINS9_10device_ptrIxEEEESE_SE_xNS9_4plusIvEENS9_8equal_toIvEExEE10hipError_tPvRmT2_T3_T4_T5_mT6_T7_P12ihipStream_tbENKUlT_T0_E_clISt17integral_constantIbLb0EESY_IbLb1EEEEDaSU_SV_EUlSU_E_NS1_11comp_targetILNS1_3genE4ELNS1_11target_archE910ELNS1_3gpuE8ELNS1_3repE0EEENS1_30default_config_static_selectorELNS0_4arch9wavefront6targetE0EEEvT1_.uses_flat_scratch, 0
	.set _ZN7rocprim17ROCPRIM_400000_NS6detail17trampoline_kernelINS0_14default_configENS1_27scan_by_key_config_selectorIxxEEZZNS1_16scan_by_key_implILNS1_25lookback_scan_determinismE0ELb1ES3_N6thrust23THRUST_200600_302600_NS6detail15normal_iteratorINS9_10device_ptrIxEEEESE_SE_xNS9_4plusIvEENS9_8equal_toIvEExEE10hipError_tPvRmT2_T3_T4_T5_mT6_T7_P12ihipStream_tbENKUlT_T0_E_clISt17integral_constantIbLb0EESY_IbLb1EEEEDaSU_SV_EUlSU_E_NS1_11comp_targetILNS1_3genE4ELNS1_11target_archE910ELNS1_3gpuE8ELNS1_3repE0EEENS1_30default_config_static_selectorELNS0_4arch9wavefront6targetE0EEEvT1_.has_dyn_sized_stack, 0
	.set _ZN7rocprim17ROCPRIM_400000_NS6detail17trampoline_kernelINS0_14default_configENS1_27scan_by_key_config_selectorIxxEEZZNS1_16scan_by_key_implILNS1_25lookback_scan_determinismE0ELb1ES3_N6thrust23THRUST_200600_302600_NS6detail15normal_iteratorINS9_10device_ptrIxEEEESE_SE_xNS9_4plusIvEENS9_8equal_toIvEExEE10hipError_tPvRmT2_T3_T4_T5_mT6_T7_P12ihipStream_tbENKUlT_T0_E_clISt17integral_constantIbLb0EESY_IbLb1EEEEDaSU_SV_EUlSU_E_NS1_11comp_targetILNS1_3genE4ELNS1_11target_archE910ELNS1_3gpuE8ELNS1_3repE0EEENS1_30default_config_static_selectorELNS0_4arch9wavefront6targetE0EEEvT1_.has_recursion, 0
	.set _ZN7rocprim17ROCPRIM_400000_NS6detail17trampoline_kernelINS0_14default_configENS1_27scan_by_key_config_selectorIxxEEZZNS1_16scan_by_key_implILNS1_25lookback_scan_determinismE0ELb1ES3_N6thrust23THRUST_200600_302600_NS6detail15normal_iteratorINS9_10device_ptrIxEEEESE_SE_xNS9_4plusIvEENS9_8equal_toIvEExEE10hipError_tPvRmT2_T3_T4_T5_mT6_T7_P12ihipStream_tbENKUlT_T0_E_clISt17integral_constantIbLb0EESY_IbLb1EEEEDaSU_SV_EUlSU_E_NS1_11comp_targetILNS1_3genE4ELNS1_11target_archE910ELNS1_3gpuE8ELNS1_3repE0EEENS1_30default_config_static_selectorELNS0_4arch9wavefront6targetE0EEEvT1_.has_indirect_call, 0
	.section	.AMDGPU.csdata,"",@progbits
; Kernel info:
; codeLenInByte = 0
; TotalNumSgprs: 0
; NumVgprs: 0
; ScratchSize: 0
; MemoryBound: 0
; FloatMode: 240
; IeeeMode: 1
; LDSByteSize: 0 bytes/workgroup (compile time only)
; SGPRBlocks: 0
; VGPRBlocks: 0
; NumSGPRsForWavesPerEU: 1
; NumVGPRsForWavesPerEU: 1
; Occupancy: 16
; WaveLimiterHint : 0
; COMPUTE_PGM_RSRC2:SCRATCH_EN: 0
; COMPUTE_PGM_RSRC2:USER_SGPR: 6
; COMPUTE_PGM_RSRC2:TRAP_HANDLER: 0
; COMPUTE_PGM_RSRC2:TGID_X_EN: 1
; COMPUTE_PGM_RSRC2:TGID_Y_EN: 0
; COMPUTE_PGM_RSRC2:TGID_Z_EN: 0
; COMPUTE_PGM_RSRC2:TIDIG_COMP_CNT: 0
	.section	.text._ZN7rocprim17ROCPRIM_400000_NS6detail17trampoline_kernelINS0_14default_configENS1_27scan_by_key_config_selectorIxxEEZZNS1_16scan_by_key_implILNS1_25lookback_scan_determinismE0ELb1ES3_N6thrust23THRUST_200600_302600_NS6detail15normal_iteratorINS9_10device_ptrIxEEEESE_SE_xNS9_4plusIvEENS9_8equal_toIvEExEE10hipError_tPvRmT2_T3_T4_T5_mT6_T7_P12ihipStream_tbENKUlT_T0_E_clISt17integral_constantIbLb0EESY_IbLb1EEEEDaSU_SV_EUlSU_E_NS1_11comp_targetILNS1_3genE3ELNS1_11target_archE908ELNS1_3gpuE7ELNS1_3repE0EEENS1_30default_config_static_selectorELNS0_4arch9wavefront6targetE0EEEvT1_,"axG",@progbits,_ZN7rocprim17ROCPRIM_400000_NS6detail17trampoline_kernelINS0_14default_configENS1_27scan_by_key_config_selectorIxxEEZZNS1_16scan_by_key_implILNS1_25lookback_scan_determinismE0ELb1ES3_N6thrust23THRUST_200600_302600_NS6detail15normal_iteratorINS9_10device_ptrIxEEEESE_SE_xNS9_4plusIvEENS9_8equal_toIvEExEE10hipError_tPvRmT2_T3_T4_T5_mT6_T7_P12ihipStream_tbENKUlT_T0_E_clISt17integral_constantIbLb0EESY_IbLb1EEEEDaSU_SV_EUlSU_E_NS1_11comp_targetILNS1_3genE3ELNS1_11target_archE908ELNS1_3gpuE7ELNS1_3repE0EEENS1_30default_config_static_selectorELNS0_4arch9wavefront6targetE0EEEvT1_,comdat
	.protected	_ZN7rocprim17ROCPRIM_400000_NS6detail17trampoline_kernelINS0_14default_configENS1_27scan_by_key_config_selectorIxxEEZZNS1_16scan_by_key_implILNS1_25lookback_scan_determinismE0ELb1ES3_N6thrust23THRUST_200600_302600_NS6detail15normal_iteratorINS9_10device_ptrIxEEEESE_SE_xNS9_4plusIvEENS9_8equal_toIvEExEE10hipError_tPvRmT2_T3_T4_T5_mT6_T7_P12ihipStream_tbENKUlT_T0_E_clISt17integral_constantIbLb0EESY_IbLb1EEEEDaSU_SV_EUlSU_E_NS1_11comp_targetILNS1_3genE3ELNS1_11target_archE908ELNS1_3gpuE7ELNS1_3repE0EEENS1_30default_config_static_selectorELNS0_4arch9wavefront6targetE0EEEvT1_ ; -- Begin function _ZN7rocprim17ROCPRIM_400000_NS6detail17trampoline_kernelINS0_14default_configENS1_27scan_by_key_config_selectorIxxEEZZNS1_16scan_by_key_implILNS1_25lookback_scan_determinismE0ELb1ES3_N6thrust23THRUST_200600_302600_NS6detail15normal_iteratorINS9_10device_ptrIxEEEESE_SE_xNS9_4plusIvEENS9_8equal_toIvEExEE10hipError_tPvRmT2_T3_T4_T5_mT6_T7_P12ihipStream_tbENKUlT_T0_E_clISt17integral_constantIbLb0EESY_IbLb1EEEEDaSU_SV_EUlSU_E_NS1_11comp_targetILNS1_3genE3ELNS1_11target_archE908ELNS1_3gpuE7ELNS1_3repE0EEENS1_30default_config_static_selectorELNS0_4arch9wavefront6targetE0EEEvT1_
	.globl	_ZN7rocprim17ROCPRIM_400000_NS6detail17trampoline_kernelINS0_14default_configENS1_27scan_by_key_config_selectorIxxEEZZNS1_16scan_by_key_implILNS1_25lookback_scan_determinismE0ELb1ES3_N6thrust23THRUST_200600_302600_NS6detail15normal_iteratorINS9_10device_ptrIxEEEESE_SE_xNS9_4plusIvEENS9_8equal_toIvEExEE10hipError_tPvRmT2_T3_T4_T5_mT6_T7_P12ihipStream_tbENKUlT_T0_E_clISt17integral_constantIbLb0EESY_IbLb1EEEEDaSU_SV_EUlSU_E_NS1_11comp_targetILNS1_3genE3ELNS1_11target_archE908ELNS1_3gpuE7ELNS1_3repE0EEENS1_30default_config_static_selectorELNS0_4arch9wavefront6targetE0EEEvT1_
	.p2align	8
	.type	_ZN7rocprim17ROCPRIM_400000_NS6detail17trampoline_kernelINS0_14default_configENS1_27scan_by_key_config_selectorIxxEEZZNS1_16scan_by_key_implILNS1_25lookback_scan_determinismE0ELb1ES3_N6thrust23THRUST_200600_302600_NS6detail15normal_iteratorINS9_10device_ptrIxEEEESE_SE_xNS9_4plusIvEENS9_8equal_toIvEExEE10hipError_tPvRmT2_T3_T4_T5_mT6_T7_P12ihipStream_tbENKUlT_T0_E_clISt17integral_constantIbLb0EESY_IbLb1EEEEDaSU_SV_EUlSU_E_NS1_11comp_targetILNS1_3genE3ELNS1_11target_archE908ELNS1_3gpuE7ELNS1_3repE0EEENS1_30default_config_static_selectorELNS0_4arch9wavefront6targetE0EEEvT1_,@function
_ZN7rocprim17ROCPRIM_400000_NS6detail17trampoline_kernelINS0_14default_configENS1_27scan_by_key_config_selectorIxxEEZZNS1_16scan_by_key_implILNS1_25lookback_scan_determinismE0ELb1ES3_N6thrust23THRUST_200600_302600_NS6detail15normal_iteratorINS9_10device_ptrIxEEEESE_SE_xNS9_4plusIvEENS9_8equal_toIvEExEE10hipError_tPvRmT2_T3_T4_T5_mT6_T7_P12ihipStream_tbENKUlT_T0_E_clISt17integral_constantIbLb0EESY_IbLb1EEEEDaSU_SV_EUlSU_E_NS1_11comp_targetILNS1_3genE3ELNS1_11target_archE908ELNS1_3gpuE7ELNS1_3repE0EEENS1_30default_config_static_selectorELNS0_4arch9wavefront6targetE0EEEvT1_: ; @_ZN7rocprim17ROCPRIM_400000_NS6detail17trampoline_kernelINS0_14default_configENS1_27scan_by_key_config_selectorIxxEEZZNS1_16scan_by_key_implILNS1_25lookback_scan_determinismE0ELb1ES3_N6thrust23THRUST_200600_302600_NS6detail15normal_iteratorINS9_10device_ptrIxEEEESE_SE_xNS9_4plusIvEENS9_8equal_toIvEExEE10hipError_tPvRmT2_T3_T4_T5_mT6_T7_P12ihipStream_tbENKUlT_T0_E_clISt17integral_constantIbLb0EESY_IbLb1EEEEDaSU_SV_EUlSU_E_NS1_11comp_targetILNS1_3genE3ELNS1_11target_archE908ELNS1_3gpuE7ELNS1_3repE0EEENS1_30default_config_static_selectorELNS0_4arch9wavefront6targetE0EEEvT1_
; %bb.0:
	.section	.rodata,"a",@progbits
	.p2align	6, 0x0
	.amdhsa_kernel _ZN7rocprim17ROCPRIM_400000_NS6detail17trampoline_kernelINS0_14default_configENS1_27scan_by_key_config_selectorIxxEEZZNS1_16scan_by_key_implILNS1_25lookback_scan_determinismE0ELb1ES3_N6thrust23THRUST_200600_302600_NS6detail15normal_iteratorINS9_10device_ptrIxEEEESE_SE_xNS9_4plusIvEENS9_8equal_toIvEExEE10hipError_tPvRmT2_T3_T4_T5_mT6_T7_P12ihipStream_tbENKUlT_T0_E_clISt17integral_constantIbLb0EESY_IbLb1EEEEDaSU_SV_EUlSU_E_NS1_11comp_targetILNS1_3genE3ELNS1_11target_archE908ELNS1_3gpuE7ELNS1_3repE0EEENS1_30default_config_static_selectorELNS0_4arch9wavefront6targetE0EEEvT1_
		.amdhsa_group_segment_fixed_size 0
		.amdhsa_private_segment_fixed_size 0
		.amdhsa_kernarg_size 136
		.amdhsa_user_sgpr_count 6
		.amdhsa_user_sgpr_private_segment_buffer 1
		.amdhsa_user_sgpr_dispatch_ptr 0
		.amdhsa_user_sgpr_queue_ptr 0
		.amdhsa_user_sgpr_kernarg_segment_ptr 1
		.amdhsa_user_sgpr_dispatch_id 0
		.amdhsa_user_sgpr_flat_scratch_init 0
		.amdhsa_user_sgpr_private_segment_size 0
		.amdhsa_wavefront_size32 1
		.amdhsa_uses_dynamic_stack 0
		.amdhsa_system_sgpr_private_segment_wavefront_offset 0
		.amdhsa_system_sgpr_workgroup_id_x 1
		.amdhsa_system_sgpr_workgroup_id_y 0
		.amdhsa_system_sgpr_workgroup_id_z 0
		.amdhsa_system_sgpr_workgroup_info 0
		.amdhsa_system_vgpr_workitem_id 0
		.amdhsa_next_free_vgpr 1
		.amdhsa_next_free_sgpr 1
		.amdhsa_reserve_vcc 0
		.amdhsa_reserve_flat_scratch 0
		.amdhsa_float_round_mode_32 0
		.amdhsa_float_round_mode_16_64 0
		.amdhsa_float_denorm_mode_32 3
		.amdhsa_float_denorm_mode_16_64 3
		.amdhsa_dx10_clamp 1
		.amdhsa_ieee_mode 1
		.amdhsa_fp16_overflow 0
		.amdhsa_workgroup_processor_mode 1
		.amdhsa_memory_ordered 1
		.amdhsa_forward_progress 1
		.amdhsa_shared_vgpr_count 0
		.amdhsa_exception_fp_ieee_invalid_op 0
		.amdhsa_exception_fp_denorm_src 0
		.amdhsa_exception_fp_ieee_div_zero 0
		.amdhsa_exception_fp_ieee_overflow 0
		.amdhsa_exception_fp_ieee_underflow 0
		.amdhsa_exception_fp_ieee_inexact 0
		.amdhsa_exception_int_div_zero 0
	.end_amdhsa_kernel
	.section	.text._ZN7rocprim17ROCPRIM_400000_NS6detail17trampoline_kernelINS0_14default_configENS1_27scan_by_key_config_selectorIxxEEZZNS1_16scan_by_key_implILNS1_25lookback_scan_determinismE0ELb1ES3_N6thrust23THRUST_200600_302600_NS6detail15normal_iteratorINS9_10device_ptrIxEEEESE_SE_xNS9_4plusIvEENS9_8equal_toIvEExEE10hipError_tPvRmT2_T3_T4_T5_mT6_T7_P12ihipStream_tbENKUlT_T0_E_clISt17integral_constantIbLb0EESY_IbLb1EEEEDaSU_SV_EUlSU_E_NS1_11comp_targetILNS1_3genE3ELNS1_11target_archE908ELNS1_3gpuE7ELNS1_3repE0EEENS1_30default_config_static_selectorELNS0_4arch9wavefront6targetE0EEEvT1_,"axG",@progbits,_ZN7rocprim17ROCPRIM_400000_NS6detail17trampoline_kernelINS0_14default_configENS1_27scan_by_key_config_selectorIxxEEZZNS1_16scan_by_key_implILNS1_25lookback_scan_determinismE0ELb1ES3_N6thrust23THRUST_200600_302600_NS6detail15normal_iteratorINS9_10device_ptrIxEEEESE_SE_xNS9_4plusIvEENS9_8equal_toIvEExEE10hipError_tPvRmT2_T3_T4_T5_mT6_T7_P12ihipStream_tbENKUlT_T0_E_clISt17integral_constantIbLb0EESY_IbLb1EEEEDaSU_SV_EUlSU_E_NS1_11comp_targetILNS1_3genE3ELNS1_11target_archE908ELNS1_3gpuE7ELNS1_3repE0EEENS1_30default_config_static_selectorELNS0_4arch9wavefront6targetE0EEEvT1_,comdat
.Lfunc_end384:
	.size	_ZN7rocprim17ROCPRIM_400000_NS6detail17trampoline_kernelINS0_14default_configENS1_27scan_by_key_config_selectorIxxEEZZNS1_16scan_by_key_implILNS1_25lookback_scan_determinismE0ELb1ES3_N6thrust23THRUST_200600_302600_NS6detail15normal_iteratorINS9_10device_ptrIxEEEESE_SE_xNS9_4plusIvEENS9_8equal_toIvEExEE10hipError_tPvRmT2_T3_T4_T5_mT6_T7_P12ihipStream_tbENKUlT_T0_E_clISt17integral_constantIbLb0EESY_IbLb1EEEEDaSU_SV_EUlSU_E_NS1_11comp_targetILNS1_3genE3ELNS1_11target_archE908ELNS1_3gpuE7ELNS1_3repE0EEENS1_30default_config_static_selectorELNS0_4arch9wavefront6targetE0EEEvT1_, .Lfunc_end384-_ZN7rocprim17ROCPRIM_400000_NS6detail17trampoline_kernelINS0_14default_configENS1_27scan_by_key_config_selectorIxxEEZZNS1_16scan_by_key_implILNS1_25lookback_scan_determinismE0ELb1ES3_N6thrust23THRUST_200600_302600_NS6detail15normal_iteratorINS9_10device_ptrIxEEEESE_SE_xNS9_4plusIvEENS9_8equal_toIvEExEE10hipError_tPvRmT2_T3_T4_T5_mT6_T7_P12ihipStream_tbENKUlT_T0_E_clISt17integral_constantIbLb0EESY_IbLb1EEEEDaSU_SV_EUlSU_E_NS1_11comp_targetILNS1_3genE3ELNS1_11target_archE908ELNS1_3gpuE7ELNS1_3repE0EEENS1_30default_config_static_selectorELNS0_4arch9wavefront6targetE0EEEvT1_
                                        ; -- End function
	.set _ZN7rocprim17ROCPRIM_400000_NS6detail17trampoline_kernelINS0_14default_configENS1_27scan_by_key_config_selectorIxxEEZZNS1_16scan_by_key_implILNS1_25lookback_scan_determinismE0ELb1ES3_N6thrust23THRUST_200600_302600_NS6detail15normal_iteratorINS9_10device_ptrIxEEEESE_SE_xNS9_4plusIvEENS9_8equal_toIvEExEE10hipError_tPvRmT2_T3_T4_T5_mT6_T7_P12ihipStream_tbENKUlT_T0_E_clISt17integral_constantIbLb0EESY_IbLb1EEEEDaSU_SV_EUlSU_E_NS1_11comp_targetILNS1_3genE3ELNS1_11target_archE908ELNS1_3gpuE7ELNS1_3repE0EEENS1_30default_config_static_selectorELNS0_4arch9wavefront6targetE0EEEvT1_.num_vgpr, 0
	.set _ZN7rocprim17ROCPRIM_400000_NS6detail17trampoline_kernelINS0_14default_configENS1_27scan_by_key_config_selectorIxxEEZZNS1_16scan_by_key_implILNS1_25lookback_scan_determinismE0ELb1ES3_N6thrust23THRUST_200600_302600_NS6detail15normal_iteratorINS9_10device_ptrIxEEEESE_SE_xNS9_4plusIvEENS9_8equal_toIvEExEE10hipError_tPvRmT2_T3_T4_T5_mT6_T7_P12ihipStream_tbENKUlT_T0_E_clISt17integral_constantIbLb0EESY_IbLb1EEEEDaSU_SV_EUlSU_E_NS1_11comp_targetILNS1_3genE3ELNS1_11target_archE908ELNS1_3gpuE7ELNS1_3repE0EEENS1_30default_config_static_selectorELNS0_4arch9wavefront6targetE0EEEvT1_.num_agpr, 0
	.set _ZN7rocprim17ROCPRIM_400000_NS6detail17trampoline_kernelINS0_14default_configENS1_27scan_by_key_config_selectorIxxEEZZNS1_16scan_by_key_implILNS1_25lookback_scan_determinismE0ELb1ES3_N6thrust23THRUST_200600_302600_NS6detail15normal_iteratorINS9_10device_ptrIxEEEESE_SE_xNS9_4plusIvEENS9_8equal_toIvEExEE10hipError_tPvRmT2_T3_T4_T5_mT6_T7_P12ihipStream_tbENKUlT_T0_E_clISt17integral_constantIbLb0EESY_IbLb1EEEEDaSU_SV_EUlSU_E_NS1_11comp_targetILNS1_3genE3ELNS1_11target_archE908ELNS1_3gpuE7ELNS1_3repE0EEENS1_30default_config_static_selectorELNS0_4arch9wavefront6targetE0EEEvT1_.numbered_sgpr, 0
	.set _ZN7rocprim17ROCPRIM_400000_NS6detail17trampoline_kernelINS0_14default_configENS1_27scan_by_key_config_selectorIxxEEZZNS1_16scan_by_key_implILNS1_25lookback_scan_determinismE0ELb1ES3_N6thrust23THRUST_200600_302600_NS6detail15normal_iteratorINS9_10device_ptrIxEEEESE_SE_xNS9_4plusIvEENS9_8equal_toIvEExEE10hipError_tPvRmT2_T3_T4_T5_mT6_T7_P12ihipStream_tbENKUlT_T0_E_clISt17integral_constantIbLb0EESY_IbLb1EEEEDaSU_SV_EUlSU_E_NS1_11comp_targetILNS1_3genE3ELNS1_11target_archE908ELNS1_3gpuE7ELNS1_3repE0EEENS1_30default_config_static_selectorELNS0_4arch9wavefront6targetE0EEEvT1_.num_named_barrier, 0
	.set _ZN7rocprim17ROCPRIM_400000_NS6detail17trampoline_kernelINS0_14default_configENS1_27scan_by_key_config_selectorIxxEEZZNS1_16scan_by_key_implILNS1_25lookback_scan_determinismE0ELb1ES3_N6thrust23THRUST_200600_302600_NS6detail15normal_iteratorINS9_10device_ptrIxEEEESE_SE_xNS9_4plusIvEENS9_8equal_toIvEExEE10hipError_tPvRmT2_T3_T4_T5_mT6_T7_P12ihipStream_tbENKUlT_T0_E_clISt17integral_constantIbLb0EESY_IbLb1EEEEDaSU_SV_EUlSU_E_NS1_11comp_targetILNS1_3genE3ELNS1_11target_archE908ELNS1_3gpuE7ELNS1_3repE0EEENS1_30default_config_static_selectorELNS0_4arch9wavefront6targetE0EEEvT1_.private_seg_size, 0
	.set _ZN7rocprim17ROCPRIM_400000_NS6detail17trampoline_kernelINS0_14default_configENS1_27scan_by_key_config_selectorIxxEEZZNS1_16scan_by_key_implILNS1_25lookback_scan_determinismE0ELb1ES3_N6thrust23THRUST_200600_302600_NS6detail15normal_iteratorINS9_10device_ptrIxEEEESE_SE_xNS9_4plusIvEENS9_8equal_toIvEExEE10hipError_tPvRmT2_T3_T4_T5_mT6_T7_P12ihipStream_tbENKUlT_T0_E_clISt17integral_constantIbLb0EESY_IbLb1EEEEDaSU_SV_EUlSU_E_NS1_11comp_targetILNS1_3genE3ELNS1_11target_archE908ELNS1_3gpuE7ELNS1_3repE0EEENS1_30default_config_static_selectorELNS0_4arch9wavefront6targetE0EEEvT1_.uses_vcc, 0
	.set _ZN7rocprim17ROCPRIM_400000_NS6detail17trampoline_kernelINS0_14default_configENS1_27scan_by_key_config_selectorIxxEEZZNS1_16scan_by_key_implILNS1_25lookback_scan_determinismE0ELb1ES3_N6thrust23THRUST_200600_302600_NS6detail15normal_iteratorINS9_10device_ptrIxEEEESE_SE_xNS9_4plusIvEENS9_8equal_toIvEExEE10hipError_tPvRmT2_T3_T4_T5_mT6_T7_P12ihipStream_tbENKUlT_T0_E_clISt17integral_constantIbLb0EESY_IbLb1EEEEDaSU_SV_EUlSU_E_NS1_11comp_targetILNS1_3genE3ELNS1_11target_archE908ELNS1_3gpuE7ELNS1_3repE0EEENS1_30default_config_static_selectorELNS0_4arch9wavefront6targetE0EEEvT1_.uses_flat_scratch, 0
	.set _ZN7rocprim17ROCPRIM_400000_NS6detail17trampoline_kernelINS0_14default_configENS1_27scan_by_key_config_selectorIxxEEZZNS1_16scan_by_key_implILNS1_25lookback_scan_determinismE0ELb1ES3_N6thrust23THRUST_200600_302600_NS6detail15normal_iteratorINS9_10device_ptrIxEEEESE_SE_xNS9_4plusIvEENS9_8equal_toIvEExEE10hipError_tPvRmT2_T3_T4_T5_mT6_T7_P12ihipStream_tbENKUlT_T0_E_clISt17integral_constantIbLb0EESY_IbLb1EEEEDaSU_SV_EUlSU_E_NS1_11comp_targetILNS1_3genE3ELNS1_11target_archE908ELNS1_3gpuE7ELNS1_3repE0EEENS1_30default_config_static_selectorELNS0_4arch9wavefront6targetE0EEEvT1_.has_dyn_sized_stack, 0
	.set _ZN7rocprim17ROCPRIM_400000_NS6detail17trampoline_kernelINS0_14default_configENS1_27scan_by_key_config_selectorIxxEEZZNS1_16scan_by_key_implILNS1_25lookback_scan_determinismE0ELb1ES3_N6thrust23THRUST_200600_302600_NS6detail15normal_iteratorINS9_10device_ptrIxEEEESE_SE_xNS9_4plusIvEENS9_8equal_toIvEExEE10hipError_tPvRmT2_T3_T4_T5_mT6_T7_P12ihipStream_tbENKUlT_T0_E_clISt17integral_constantIbLb0EESY_IbLb1EEEEDaSU_SV_EUlSU_E_NS1_11comp_targetILNS1_3genE3ELNS1_11target_archE908ELNS1_3gpuE7ELNS1_3repE0EEENS1_30default_config_static_selectorELNS0_4arch9wavefront6targetE0EEEvT1_.has_recursion, 0
	.set _ZN7rocprim17ROCPRIM_400000_NS6detail17trampoline_kernelINS0_14default_configENS1_27scan_by_key_config_selectorIxxEEZZNS1_16scan_by_key_implILNS1_25lookback_scan_determinismE0ELb1ES3_N6thrust23THRUST_200600_302600_NS6detail15normal_iteratorINS9_10device_ptrIxEEEESE_SE_xNS9_4plusIvEENS9_8equal_toIvEExEE10hipError_tPvRmT2_T3_T4_T5_mT6_T7_P12ihipStream_tbENKUlT_T0_E_clISt17integral_constantIbLb0EESY_IbLb1EEEEDaSU_SV_EUlSU_E_NS1_11comp_targetILNS1_3genE3ELNS1_11target_archE908ELNS1_3gpuE7ELNS1_3repE0EEENS1_30default_config_static_selectorELNS0_4arch9wavefront6targetE0EEEvT1_.has_indirect_call, 0
	.section	.AMDGPU.csdata,"",@progbits
; Kernel info:
; codeLenInByte = 0
; TotalNumSgprs: 0
; NumVgprs: 0
; ScratchSize: 0
; MemoryBound: 0
; FloatMode: 240
; IeeeMode: 1
; LDSByteSize: 0 bytes/workgroup (compile time only)
; SGPRBlocks: 0
; VGPRBlocks: 0
; NumSGPRsForWavesPerEU: 1
; NumVGPRsForWavesPerEU: 1
; Occupancy: 16
; WaveLimiterHint : 0
; COMPUTE_PGM_RSRC2:SCRATCH_EN: 0
; COMPUTE_PGM_RSRC2:USER_SGPR: 6
; COMPUTE_PGM_RSRC2:TRAP_HANDLER: 0
; COMPUTE_PGM_RSRC2:TGID_X_EN: 1
; COMPUTE_PGM_RSRC2:TGID_Y_EN: 0
; COMPUTE_PGM_RSRC2:TGID_Z_EN: 0
; COMPUTE_PGM_RSRC2:TIDIG_COMP_CNT: 0
	.section	.text._ZN7rocprim17ROCPRIM_400000_NS6detail17trampoline_kernelINS0_14default_configENS1_27scan_by_key_config_selectorIxxEEZZNS1_16scan_by_key_implILNS1_25lookback_scan_determinismE0ELb1ES3_N6thrust23THRUST_200600_302600_NS6detail15normal_iteratorINS9_10device_ptrIxEEEESE_SE_xNS9_4plusIvEENS9_8equal_toIvEExEE10hipError_tPvRmT2_T3_T4_T5_mT6_T7_P12ihipStream_tbENKUlT_T0_E_clISt17integral_constantIbLb0EESY_IbLb1EEEEDaSU_SV_EUlSU_E_NS1_11comp_targetILNS1_3genE2ELNS1_11target_archE906ELNS1_3gpuE6ELNS1_3repE0EEENS1_30default_config_static_selectorELNS0_4arch9wavefront6targetE0EEEvT1_,"axG",@progbits,_ZN7rocprim17ROCPRIM_400000_NS6detail17trampoline_kernelINS0_14default_configENS1_27scan_by_key_config_selectorIxxEEZZNS1_16scan_by_key_implILNS1_25lookback_scan_determinismE0ELb1ES3_N6thrust23THRUST_200600_302600_NS6detail15normal_iteratorINS9_10device_ptrIxEEEESE_SE_xNS9_4plusIvEENS9_8equal_toIvEExEE10hipError_tPvRmT2_T3_T4_T5_mT6_T7_P12ihipStream_tbENKUlT_T0_E_clISt17integral_constantIbLb0EESY_IbLb1EEEEDaSU_SV_EUlSU_E_NS1_11comp_targetILNS1_3genE2ELNS1_11target_archE906ELNS1_3gpuE6ELNS1_3repE0EEENS1_30default_config_static_selectorELNS0_4arch9wavefront6targetE0EEEvT1_,comdat
	.protected	_ZN7rocprim17ROCPRIM_400000_NS6detail17trampoline_kernelINS0_14default_configENS1_27scan_by_key_config_selectorIxxEEZZNS1_16scan_by_key_implILNS1_25lookback_scan_determinismE0ELb1ES3_N6thrust23THRUST_200600_302600_NS6detail15normal_iteratorINS9_10device_ptrIxEEEESE_SE_xNS9_4plusIvEENS9_8equal_toIvEExEE10hipError_tPvRmT2_T3_T4_T5_mT6_T7_P12ihipStream_tbENKUlT_T0_E_clISt17integral_constantIbLb0EESY_IbLb1EEEEDaSU_SV_EUlSU_E_NS1_11comp_targetILNS1_3genE2ELNS1_11target_archE906ELNS1_3gpuE6ELNS1_3repE0EEENS1_30default_config_static_selectorELNS0_4arch9wavefront6targetE0EEEvT1_ ; -- Begin function _ZN7rocprim17ROCPRIM_400000_NS6detail17trampoline_kernelINS0_14default_configENS1_27scan_by_key_config_selectorIxxEEZZNS1_16scan_by_key_implILNS1_25lookback_scan_determinismE0ELb1ES3_N6thrust23THRUST_200600_302600_NS6detail15normal_iteratorINS9_10device_ptrIxEEEESE_SE_xNS9_4plusIvEENS9_8equal_toIvEExEE10hipError_tPvRmT2_T3_T4_T5_mT6_T7_P12ihipStream_tbENKUlT_T0_E_clISt17integral_constantIbLb0EESY_IbLb1EEEEDaSU_SV_EUlSU_E_NS1_11comp_targetILNS1_3genE2ELNS1_11target_archE906ELNS1_3gpuE6ELNS1_3repE0EEENS1_30default_config_static_selectorELNS0_4arch9wavefront6targetE0EEEvT1_
	.globl	_ZN7rocprim17ROCPRIM_400000_NS6detail17trampoline_kernelINS0_14default_configENS1_27scan_by_key_config_selectorIxxEEZZNS1_16scan_by_key_implILNS1_25lookback_scan_determinismE0ELb1ES3_N6thrust23THRUST_200600_302600_NS6detail15normal_iteratorINS9_10device_ptrIxEEEESE_SE_xNS9_4plusIvEENS9_8equal_toIvEExEE10hipError_tPvRmT2_T3_T4_T5_mT6_T7_P12ihipStream_tbENKUlT_T0_E_clISt17integral_constantIbLb0EESY_IbLb1EEEEDaSU_SV_EUlSU_E_NS1_11comp_targetILNS1_3genE2ELNS1_11target_archE906ELNS1_3gpuE6ELNS1_3repE0EEENS1_30default_config_static_selectorELNS0_4arch9wavefront6targetE0EEEvT1_
	.p2align	8
	.type	_ZN7rocprim17ROCPRIM_400000_NS6detail17trampoline_kernelINS0_14default_configENS1_27scan_by_key_config_selectorIxxEEZZNS1_16scan_by_key_implILNS1_25lookback_scan_determinismE0ELb1ES3_N6thrust23THRUST_200600_302600_NS6detail15normal_iteratorINS9_10device_ptrIxEEEESE_SE_xNS9_4plusIvEENS9_8equal_toIvEExEE10hipError_tPvRmT2_T3_T4_T5_mT6_T7_P12ihipStream_tbENKUlT_T0_E_clISt17integral_constantIbLb0EESY_IbLb1EEEEDaSU_SV_EUlSU_E_NS1_11comp_targetILNS1_3genE2ELNS1_11target_archE906ELNS1_3gpuE6ELNS1_3repE0EEENS1_30default_config_static_selectorELNS0_4arch9wavefront6targetE0EEEvT1_,@function
_ZN7rocprim17ROCPRIM_400000_NS6detail17trampoline_kernelINS0_14default_configENS1_27scan_by_key_config_selectorIxxEEZZNS1_16scan_by_key_implILNS1_25lookback_scan_determinismE0ELb1ES3_N6thrust23THRUST_200600_302600_NS6detail15normal_iteratorINS9_10device_ptrIxEEEESE_SE_xNS9_4plusIvEENS9_8equal_toIvEExEE10hipError_tPvRmT2_T3_T4_T5_mT6_T7_P12ihipStream_tbENKUlT_T0_E_clISt17integral_constantIbLb0EESY_IbLb1EEEEDaSU_SV_EUlSU_E_NS1_11comp_targetILNS1_3genE2ELNS1_11target_archE906ELNS1_3gpuE6ELNS1_3repE0EEENS1_30default_config_static_selectorELNS0_4arch9wavefront6targetE0EEEvT1_: ; @_ZN7rocprim17ROCPRIM_400000_NS6detail17trampoline_kernelINS0_14default_configENS1_27scan_by_key_config_selectorIxxEEZZNS1_16scan_by_key_implILNS1_25lookback_scan_determinismE0ELb1ES3_N6thrust23THRUST_200600_302600_NS6detail15normal_iteratorINS9_10device_ptrIxEEEESE_SE_xNS9_4plusIvEENS9_8equal_toIvEExEE10hipError_tPvRmT2_T3_T4_T5_mT6_T7_P12ihipStream_tbENKUlT_T0_E_clISt17integral_constantIbLb0EESY_IbLb1EEEEDaSU_SV_EUlSU_E_NS1_11comp_targetILNS1_3genE2ELNS1_11target_archE906ELNS1_3gpuE6ELNS1_3repE0EEENS1_30default_config_static_selectorELNS0_4arch9wavefront6targetE0EEEvT1_
; %bb.0:
	.section	.rodata,"a",@progbits
	.p2align	6, 0x0
	.amdhsa_kernel _ZN7rocprim17ROCPRIM_400000_NS6detail17trampoline_kernelINS0_14default_configENS1_27scan_by_key_config_selectorIxxEEZZNS1_16scan_by_key_implILNS1_25lookback_scan_determinismE0ELb1ES3_N6thrust23THRUST_200600_302600_NS6detail15normal_iteratorINS9_10device_ptrIxEEEESE_SE_xNS9_4plusIvEENS9_8equal_toIvEExEE10hipError_tPvRmT2_T3_T4_T5_mT6_T7_P12ihipStream_tbENKUlT_T0_E_clISt17integral_constantIbLb0EESY_IbLb1EEEEDaSU_SV_EUlSU_E_NS1_11comp_targetILNS1_3genE2ELNS1_11target_archE906ELNS1_3gpuE6ELNS1_3repE0EEENS1_30default_config_static_selectorELNS0_4arch9wavefront6targetE0EEEvT1_
		.amdhsa_group_segment_fixed_size 0
		.amdhsa_private_segment_fixed_size 0
		.amdhsa_kernarg_size 136
		.amdhsa_user_sgpr_count 6
		.amdhsa_user_sgpr_private_segment_buffer 1
		.amdhsa_user_sgpr_dispatch_ptr 0
		.amdhsa_user_sgpr_queue_ptr 0
		.amdhsa_user_sgpr_kernarg_segment_ptr 1
		.amdhsa_user_sgpr_dispatch_id 0
		.amdhsa_user_sgpr_flat_scratch_init 0
		.amdhsa_user_sgpr_private_segment_size 0
		.amdhsa_wavefront_size32 1
		.amdhsa_uses_dynamic_stack 0
		.amdhsa_system_sgpr_private_segment_wavefront_offset 0
		.amdhsa_system_sgpr_workgroup_id_x 1
		.amdhsa_system_sgpr_workgroup_id_y 0
		.amdhsa_system_sgpr_workgroup_id_z 0
		.amdhsa_system_sgpr_workgroup_info 0
		.amdhsa_system_vgpr_workitem_id 0
		.amdhsa_next_free_vgpr 1
		.amdhsa_next_free_sgpr 1
		.amdhsa_reserve_vcc 0
		.amdhsa_reserve_flat_scratch 0
		.amdhsa_float_round_mode_32 0
		.amdhsa_float_round_mode_16_64 0
		.amdhsa_float_denorm_mode_32 3
		.amdhsa_float_denorm_mode_16_64 3
		.amdhsa_dx10_clamp 1
		.amdhsa_ieee_mode 1
		.amdhsa_fp16_overflow 0
		.amdhsa_workgroup_processor_mode 1
		.amdhsa_memory_ordered 1
		.amdhsa_forward_progress 1
		.amdhsa_shared_vgpr_count 0
		.amdhsa_exception_fp_ieee_invalid_op 0
		.amdhsa_exception_fp_denorm_src 0
		.amdhsa_exception_fp_ieee_div_zero 0
		.amdhsa_exception_fp_ieee_overflow 0
		.amdhsa_exception_fp_ieee_underflow 0
		.amdhsa_exception_fp_ieee_inexact 0
		.amdhsa_exception_int_div_zero 0
	.end_amdhsa_kernel
	.section	.text._ZN7rocprim17ROCPRIM_400000_NS6detail17trampoline_kernelINS0_14default_configENS1_27scan_by_key_config_selectorIxxEEZZNS1_16scan_by_key_implILNS1_25lookback_scan_determinismE0ELb1ES3_N6thrust23THRUST_200600_302600_NS6detail15normal_iteratorINS9_10device_ptrIxEEEESE_SE_xNS9_4plusIvEENS9_8equal_toIvEExEE10hipError_tPvRmT2_T3_T4_T5_mT6_T7_P12ihipStream_tbENKUlT_T0_E_clISt17integral_constantIbLb0EESY_IbLb1EEEEDaSU_SV_EUlSU_E_NS1_11comp_targetILNS1_3genE2ELNS1_11target_archE906ELNS1_3gpuE6ELNS1_3repE0EEENS1_30default_config_static_selectorELNS0_4arch9wavefront6targetE0EEEvT1_,"axG",@progbits,_ZN7rocprim17ROCPRIM_400000_NS6detail17trampoline_kernelINS0_14default_configENS1_27scan_by_key_config_selectorIxxEEZZNS1_16scan_by_key_implILNS1_25lookback_scan_determinismE0ELb1ES3_N6thrust23THRUST_200600_302600_NS6detail15normal_iteratorINS9_10device_ptrIxEEEESE_SE_xNS9_4plusIvEENS9_8equal_toIvEExEE10hipError_tPvRmT2_T3_T4_T5_mT6_T7_P12ihipStream_tbENKUlT_T0_E_clISt17integral_constantIbLb0EESY_IbLb1EEEEDaSU_SV_EUlSU_E_NS1_11comp_targetILNS1_3genE2ELNS1_11target_archE906ELNS1_3gpuE6ELNS1_3repE0EEENS1_30default_config_static_selectorELNS0_4arch9wavefront6targetE0EEEvT1_,comdat
.Lfunc_end385:
	.size	_ZN7rocprim17ROCPRIM_400000_NS6detail17trampoline_kernelINS0_14default_configENS1_27scan_by_key_config_selectorIxxEEZZNS1_16scan_by_key_implILNS1_25lookback_scan_determinismE0ELb1ES3_N6thrust23THRUST_200600_302600_NS6detail15normal_iteratorINS9_10device_ptrIxEEEESE_SE_xNS9_4plusIvEENS9_8equal_toIvEExEE10hipError_tPvRmT2_T3_T4_T5_mT6_T7_P12ihipStream_tbENKUlT_T0_E_clISt17integral_constantIbLb0EESY_IbLb1EEEEDaSU_SV_EUlSU_E_NS1_11comp_targetILNS1_3genE2ELNS1_11target_archE906ELNS1_3gpuE6ELNS1_3repE0EEENS1_30default_config_static_selectorELNS0_4arch9wavefront6targetE0EEEvT1_, .Lfunc_end385-_ZN7rocprim17ROCPRIM_400000_NS6detail17trampoline_kernelINS0_14default_configENS1_27scan_by_key_config_selectorIxxEEZZNS1_16scan_by_key_implILNS1_25lookback_scan_determinismE0ELb1ES3_N6thrust23THRUST_200600_302600_NS6detail15normal_iteratorINS9_10device_ptrIxEEEESE_SE_xNS9_4plusIvEENS9_8equal_toIvEExEE10hipError_tPvRmT2_T3_T4_T5_mT6_T7_P12ihipStream_tbENKUlT_T0_E_clISt17integral_constantIbLb0EESY_IbLb1EEEEDaSU_SV_EUlSU_E_NS1_11comp_targetILNS1_3genE2ELNS1_11target_archE906ELNS1_3gpuE6ELNS1_3repE0EEENS1_30default_config_static_selectorELNS0_4arch9wavefront6targetE0EEEvT1_
                                        ; -- End function
	.set _ZN7rocprim17ROCPRIM_400000_NS6detail17trampoline_kernelINS0_14default_configENS1_27scan_by_key_config_selectorIxxEEZZNS1_16scan_by_key_implILNS1_25lookback_scan_determinismE0ELb1ES3_N6thrust23THRUST_200600_302600_NS6detail15normal_iteratorINS9_10device_ptrIxEEEESE_SE_xNS9_4plusIvEENS9_8equal_toIvEExEE10hipError_tPvRmT2_T3_T4_T5_mT6_T7_P12ihipStream_tbENKUlT_T0_E_clISt17integral_constantIbLb0EESY_IbLb1EEEEDaSU_SV_EUlSU_E_NS1_11comp_targetILNS1_3genE2ELNS1_11target_archE906ELNS1_3gpuE6ELNS1_3repE0EEENS1_30default_config_static_selectorELNS0_4arch9wavefront6targetE0EEEvT1_.num_vgpr, 0
	.set _ZN7rocprim17ROCPRIM_400000_NS6detail17trampoline_kernelINS0_14default_configENS1_27scan_by_key_config_selectorIxxEEZZNS1_16scan_by_key_implILNS1_25lookback_scan_determinismE0ELb1ES3_N6thrust23THRUST_200600_302600_NS6detail15normal_iteratorINS9_10device_ptrIxEEEESE_SE_xNS9_4plusIvEENS9_8equal_toIvEExEE10hipError_tPvRmT2_T3_T4_T5_mT6_T7_P12ihipStream_tbENKUlT_T0_E_clISt17integral_constantIbLb0EESY_IbLb1EEEEDaSU_SV_EUlSU_E_NS1_11comp_targetILNS1_3genE2ELNS1_11target_archE906ELNS1_3gpuE6ELNS1_3repE0EEENS1_30default_config_static_selectorELNS0_4arch9wavefront6targetE0EEEvT1_.num_agpr, 0
	.set _ZN7rocprim17ROCPRIM_400000_NS6detail17trampoline_kernelINS0_14default_configENS1_27scan_by_key_config_selectorIxxEEZZNS1_16scan_by_key_implILNS1_25lookback_scan_determinismE0ELb1ES3_N6thrust23THRUST_200600_302600_NS6detail15normal_iteratorINS9_10device_ptrIxEEEESE_SE_xNS9_4plusIvEENS9_8equal_toIvEExEE10hipError_tPvRmT2_T3_T4_T5_mT6_T7_P12ihipStream_tbENKUlT_T0_E_clISt17integral_constantIbLb0EESY_IbLb1EEEEDaSU_SV_EUlSU_E_NS1_11comp_targetILNS1_3genE2ELNS1_11target_archE906ELNS1_3gpuE6ELNS1_3repE0EEENS1_30default_config_static_selectorELNS0_4arch9wavefront6targetE0EEEvT1_.numbered_sgpr, 0
	.set _ZN7rocprim17ROCPRIM_400000_NS6detail17trampoline_kernelINS0_14default_configENS1_27scan_by_key_config_selectorIxxEEZZNS1_16scan_by_key_implILNS1_25lookback_scan_determinismE0ELb1ES3_N6thrust23THRUST_200600_302600_NS6detail15normal_iteratorINS9_10device_ptrIxEEEESE_SE_xNS9_4plusIvEENS9_8equal_toIvEExEE10hipError_tPvRmT2_T3_T4_T5_mT6_T7_P12ihipStream_tbENKUlT_T0_E_clISt17integral_constantIbLb0EESY_IbLb1EEEEDaSU_SV_EUlSU_E_NS1_11comp_targetILNS1_3genE2ELNS1_11target_archE906ELNS1_3gpuE6ELNS1_3repE0EEENS1_30default_config_static_selectorELNS0_4arch9wavefront6targetE0EEEvT1_.num_named_barrier, 0
	.set _ZN7rocprim17ROCPRIM_400000_NS6detail17trampoline_kernelINS0_14default_configENS1_27scan_by_key_config_selectorIxxEEZZNS1_16scan_by_key_implILNS1_25lookback_scan_determinismE0ELb1ES3_N6thrust23THRUST_200600_302600_NS6detail15normal_iteratorINS9_10device_ptrIxEEEESE_SE_xNS9_4plusIvEENS9_8equal_toIvEExEE10hipError_tPvRmT2_T3_T4_T5_mT6_T7_P12ihipStream_tbENKUlT_T0_E_clISt17integral_constantIbLb0EESY_IbLb1EEEEDaSU_SV_EUlSU_E_NS1_11comp_targetILNS1_3genE2ELNS1_11target_archE906ELNS1_3gpuE6ELNS1_3repE0EEENS1_30default_config_static_selectorELNS0_4arch9wavefront6targetE0EEEvT1_.private_seg_size, 0
	.set _ZN7rocprim17ROCPRIM_400000_NS6detail17trampoline_kernelINS0_14default_configENS1_27scan_by_key_config_selectorIxxEEZZNS1_16scan_by_key_implILNS1_25lookback_scan_determinismE0ELb1ES3_N6thrust23THRUST_200600_302600_NS6detail15normal_iteratorINS9_10device_ptrIxEEEESE_SE_xNS9_4plusIvEENS9_8equal_toIvEExEE10hipError_tPvRmT2_T3_T4_T5_mT6_T7_P12ihipStream_tbENKUlT_T0_E_clISt17integral_constantIbLb0EESY_IbLb1EEEEDaSU_SV_EUlSU_E_NS1_11comp_targetILNS1_3genE2ELNS1_11target_archE906ELNS1_3gpuE6ELNS1_3repE0EEENS1_30default_config_static_selectorELNS0_4arch9wavefront6targetE0EEEvT1_.uses_vcc, 0
	.set _ZN7rocprim17ROCPRIM_400000_NS6detail17trampoline_kernelINS0_14default_configENS1_27scan_by_key_config_selectorIxxEEZZNS1_16scan_by_key_implILNS1_25lookback_scan_determinismE0ELb1ES3_N6thrust23THRUST_200600_302600_NS6detail15normal_iteratorINS9_10device_ptrIxEEEESE_SE_xNS9_4plusIvEENS9_8equal_toIvEExEE10hipError_tPvRmT2_T3_T4_T5_mT6_T7_P12ihipStream_tbENKUlT_T0_E_clISt17integral_constantIbLb0EESY_IbLb1EEEEDaSU_SV_EUlSU_E_NS1_11comp_targetILNS1_3genE2ELNS1_11target_archE906ELNS1_3gpuE6ELNS1_3repE0EEENS1_30default_config_static_selectorELNS0_4arch9wavefront6targetE0EEEvT1_.uses_flat_scratch, 0
	.set _ZN7rocprim17ROCPRIM_400000_NS6detail17trampoline_kernelINS0_14default_configENS1_27scan_by_key_config_selectorIxxEEZZNS1_16scan_by_key_implILNS1_25lookback_scan_determinismE0ELb1ES3_N6thrust23THRUST_200600_302600_NS6detail15normal_iteratorINS9_10device_ptrIxEEEESE_SE_xNS9_4plusIvEENS9_8equal_toIvEExEE10hipError_tPvRmT2_T3_T4_T5_mT6_T7_P12ihipStream_tbENKUlT_T0_E_clISt17integral_constantIbLb0EESY_IbLb1EEEEDaSU_SV_EUlSU_E_NS1_11comp_targetILNS1_3genE2ELNS1_11target_archE906ELNS1_3gpuE6ELNS1_3repE0EEENS1_30default_config_static_selectorELNS0_4arch9wavefront6targetE0EEEvT1_.has_dyn_sized_stack, 0
	.set _ZN7rocprim17ROCPRIM_400000_NS6detail17trampoline_kernelINS0_14default_configENS1_27scan_by_key_config_selectorIxxEEZZNS1_16scan_by_key_implILNS1_25lookback_scan_determinismE0ELb1ES3_N6thrust23THRUST_200600_302600_NS6detail15normal_iteratorINS9_10device_ptrIxEEEESE_SE_xNS9_4plusIvEENS9_8equal_toIvEExEE10hipError_tPvRmT2_T3_T4_T5_mT6_T7_P12ihipStream_tbENKUlT_T0_E_clISt17integral_constantIbLb0EESY_IbLb1EEEEDaSU_SV_EUlSU_E_NS1_11comp_targetILNS1_3genE2ELNS1_11target_archE906ELNS1_3gpuE6ELNS1_3repE0EEENS1_30default_config_static_selectorELNS0_4arch9wavefront6targetE0EEEvT1_.has_recursion, 0
	.set _ZN7rocprim17ROCPRIM_400000_NS6detail17trampoline_kernelINS0_14default_configENS1_27scan_by_key_config_selectorIxxEEZZNS1_16scan_by_key_implILNS1_25lookback_scan_determinismE0ELb1ES3_N6thrust23THRUST_200600_302600_NS6detail15normal_iteratorINS9_10device_ptrIxEEEESE_SE_xNS9_4plusIvEENS9_8equal_toIvEExEE10hipError_tPvRmT2_T3_T4_T5_mT6_T7_P12ihipStream_tbENKUlT_T0_E_clISt17integral_constantIbLb0EESY_IbLb1EEEEDaSU_SV_EUlSU_E_NS1_11comp_targetILNS1_3genE2ELNS1_11target_archE906ELNS1_3gpuE6ELNS1_3repE0EEENS1_30default_config_static_selectorELNS0_4arch9wavefront6targetE0EEEvT1_.has_indirect_call, 0
	.section	.AMDGPU.csdata,"",@progbits
; Kernel info:
; codeLenInByte = 0
; TotalNumSgprs: 0
; NumVgprs: 0
; ScratchSize: 0
; MemoryBound: 0
; FloatMode: 240
; IeeeMode: 1
; LDSByteSize: 0 bytes/workgroup (compile time only)
; SGPRBlocks: 0
; VGPRBlocks: 0
; NumSGPRsForWavesPerEU: 1
; NumVGPRsForWavesPerEU: 1
; Occupancy: 16
; WaveLimiterHint : 0
; COMPUTE_PGM_RSRC2:SCRATCH_EN: 0
; COMPUTE_PGM_RSRC2:USER_SGPR: 6
; COMPUTE_PGM_RSRC2:TRAP_HANDLER: 0
; COMPUTE_PGM_RSRC2:TGID_X_EN: 1
; COMPUTE_PGM_RSRC2:TGID_Y_EN: 0
; COMPUTE_PGM_RSRC2:TGID_Z_EN: 0
; COMPUTE_PGM_RSRC2:TIDIG_COMP_CNT: 0
	.section	.text._ZN7rocprim17ROCPRIM_400000_NS6detail17trampoline_kernelINS0_14default_configENS1_27scan_by_key_config_selectorIxxEEZZNS1_16scan_by_key_implILNS1_25lookback_scan_determinismE0ELb1ES3_N6thrust23THRUST_200600_302600_NS6detail15normal_iteratorINS9_10device_ptrIxEEEESE_SE_xNS9_4plusIvEENS9_8equal_toIvEExEE10hipError_tPvRmT2_T3_T4_T5_mT6_T7_P12ihipStream_tbENKUlT_T0_E_clISt17integral_constantIbLb0EESY_IbLb1EEEEDaSU_SV_EUlSU_E_NS1_11comp_targetILNS1_3genE10ELNS1_11target_archE1200ELNS1_3gpuE4ELNS1_3repE0EEENS1_30default_config_static_selectorELNS0_4arch9wavefront6targetE0EEEvT1_,"axG",@progbits,_ZN7rocprim17ROCPRIM_400000_NS6detail17trampoline_kernelINS0_14default_configENS1_27scan_by_key_config_selectorIxxEEZZNS1_16scan_by_key_implILNS1_25lookback_scan_determinismE0ELb1ES3_N6thrust23THRUST_200600_302600_NS6detail15normal_iteratorINS9_10device_ptrIxEEEESE_SE_xNS9_4plusIvEENS9_8equal_toIvEExEE10hipError_tPvRmT2_T3_T4_T5_mT6_T7_P12ihipStream_tbENKUlT_T0_E_clISt17integral_constantIbLb0EESY_IbLb1EEEEDaSU_SV_EUlSU_E_NS1_11comp_targetILNS1_3genE10ELNS1_11target_archE1200ELNS1_3gpuE4ELNS1_3repE0EEENS1_30default_config_static_selectorELNS0_4arch9wavefront6targetE0EEEvT1_,comdat
	.protected	_ZN7rocprim17ROCPRIM_400000_NS6detail17trampoline_kernelINS0_14default_configENS1_27scan_by_key_config_selectorIxxEEZZNS1_16scan_by_key_implILNS1_25lookback_scan_determinismE0ELb1ES3_N6thrust23THRUST_200600_302600_NS6detail15normal_iteratorINS9_10device_ptrIxEEEESE_SE_xNS9_4plusIvEENS9_8equal_toIvEExEE10hipError_tPvRmT2_T3_T4_T5_mT6_T7_P12ihipStream_tbENKUlT_T0_E_clISt17integral_constantIbLb0EESY_IbLb1EEEEDaSU_SV_EUlSU_E_NS1_11comp_targetILNS1_3genE10ELNS1_11target_archE1200ELNS1_3gpuE4ELNS1_3repE0EEENS1_30default_config_static_selectorELNS0_4arch9wavefront6targetE0EEEvT1_ ; -- Begin function _ZN7rocprim17ROCPRIM_400000_NS6detail17trampoline_kernelINS0_14default_configENS1_27scan_by_key_config_selectorIxxEEZZNS1_16scan_by_key_implILNS1_25lookback_scan_determinismE0ELb1ES3_N6thrust23THRUST_200600_302600_NS6detail15normal_iteratorINS9_10device_ptrIxEEEESE_SE_xNS9_4plusIvEENS9_8equal_toIvEExEE10hipError_tPvRmT2_T3_T4_T5_mT6_T7_P12ihipStream_tbENKUlT_T0_E_clISt17integral_constantIbLb0EESY_IbLb1EEEEDaSU_SV_EUlSU_E_NS1_11comp_targetILNS1_3genE10ELNS1_11target_archE1200ELNS1_3gpuE4ELNS1_3repE0EEENS1_30default_config_static_selectorELNS0_4arch9wavefront6targetE0EEEvT1_
	.globl	_ZN7rocprim17ROCPRIM_400000_NS6detail17trampoline_kernelINS0_14default_configENS1_27scan_by_key_config_selectorIxxEEZZNS1_16scan_by_key_implILNS1_25lookback_scan_determinismE0ELb1ES3_N6thrust23THRUST_200600_302600_NS6detail15normal_iteratorINS9_10device_ptrIxEEEESE_SE_xNS9_4plusIvEENS9_8equal_toIvEExEE10hipError_tPvRmT2_T3_T4_T5_mT6_T7_P12ihipStream_tbENKUlT_T0_E_clISt17integral_constantIbLb0EESY_IbLb1EEEEDaSU_SV_EUlSU_E_NS1_11comp_targetILNS1_3genE10ELNS1_11target_archE1200ELNS1_3gpuE4ELNS1_3repE0EEENS1_30default_config_static_selectorELNS0_4arch9wavefront6targetE0EEEvT1_
	.p2align	8
	.type	_ZN7rocprim17ROCPRIM_400000_NS6detail17trampoline_kernelINS0_14default_configENS1_27scan_by_key_config_selectorIxxEEZZNS1_16scan_by_key_implILNS1_25lookback_scan_determinismE0ELb1ES3_N6thrust23THRUST_200600_302600_NS6detail15normal_iteratorINS9_10device_ptrIxEEEESE_SE_xNS9_4plusIvEENS9_8equal_toIvEExEE10hipError_tPvRmT2_T3_T4_T5_mT6_T7_P12ihipStream_tbENKUlT_T0_E_clISt17integral_constantIbLb0EESY_IbLb1EEEEDaSU_SV_EUlSU_E_NS1_11comp_targetILNS1_3genE10ELNS1_11target_archE1200ELNS1_3gpuE4ELNS1_3repE0EEENS1_30default_config_static_selectorELNS0_4arch9wavefront6targetE0EEEvT1_,@function
_ZN7rocprim17ROCPRIM_400000_NS6detail17trampoline_kernelINS0_14default_configENS1_27scan_by_key_config_selectorIxxEEZZNS1_16scan_by_key_implILNS1_25lookback_scan_determinismE0ELb1ES3_N6thrust23THRUST_200600_302600_NS6detail15normal_iteratorINS9_10device_ptrIxEEEESE_SE_xNS9_4plusIvEENS9_8equal_toIvEExEE10hipError_tPvRmT2_T3_T4_T5_mT6_T7_P12ihipStream_tbENKUlT_T0_E_clISt17integral_constantIbLb0EESY_IbLb1EEEEDaSU_SV_EUlSU_E_NS1_11comp_targetILNS1_3genE10ELNS1_11target_archE1200ELNS1_3gpuE4ELNS1_3repE0EEENS1_30default_config_static_selectorELNS0_4arch9wavefront6targetE0EEEvT1_: ; @_ZN7rocprim17ROCPRIM_400000_NS6detail17trampoline_kernelINS0_14default_configENS1_27scan_by_key_config_selectorIxxEEZZNS1_16scan_by_key_implILNS1_25lookback_scan_determinismE0ELb1ES3_N6thrust23THRUST_200600_302600_NS6detail15normal_iteratorINS9_10device_ptrIxEEEESE_SE_xNS9_4plusIvEENS9_8equal_toIvEExEE10hipError_tPvRmT2_T3_T4_T5_mT6_T7_P12ihipStream_tbENKUlT_T0_E_clISt17integral_constantIbLb0EESY_IbLb1EEEEDaSU_SV_EUlSU_E_NS1_11comp_targetILNS1_3genE10ELNS1_11target_archE1200ELNS1_3gpuE4ELNS1_3repE0EEENS1_30default_config_static_selectorELNS0_4arch9wavefront6targetE0EEEvT1_
; %bb.0:
	.section	.rodata,"a",@progbits
	.p2align	6, 0x0
	.amdhsa_kernel _ZN7rocprim17ROCPRIM_400000_NS6detail17trampoline_kernelINS0_14default_configENS1_27scan_by_key_config_selectorIxxEEZZNS1_16scan_by_key_implILNS1_25lookback_scan_determinismE0ELb1ES3_N6thrust23THRUST_200600_302600_NS6detail15normal_iteratorINS9_10device_ptrIxEEEESE_SE_xNS9_4plusIvEENS9_8equal_toIvEExEE10hipError_tPvRmT2_T3_T4_T5_mT6_T7_P12ihipStream_tbENKUlT_T0_E_clISt17integral_constantIbLb0EESY_IbLb1EEEEDaSU_SV_EUlSU_E_NS1_11comp_targetILNS1_3genE10ELNS1_11target_archE1200ELNS1_3gpuE4ELNS1_3repE0EEENS1_30default_config_static_selectorELNS0_4arch9wavefront6targetE0EEEvT1_
		.amdhsa_group_segment_fixed_size 0
		.amdhsa_private_segment_fixed_size 0
		.amdhsa_kernarg_size 136
		.amdhsa_user_sgpr_count 6
		.amdhsa_user_sgpr_private_segment_buffer 1
		.amdhsa_user_sgpr_dispatch_ptr 0
		.amdhsa_user_sgpr_queue_ptr 0
		.amdhsa_user_sgpr_kernarg_segment_ptr 1
		.amdhsa_user_sgpr_dispatch_id 0
		.amdhsa_user_sgpr_flat_scratch_init 0
		.amdhsa_user_sgpr_private_segment_size 0
		.amdhsa_wavefront_size32 1
		.amdhsa_uses_dynamic_stack 0
		.amdhsa_system_sgpr_private_segment_wavefront_offset 0
		.amdhsa_system_sgpr_workgroup_id_x 1
		.amdhsa_system_sgpr_workgroup_id_y 0
		.amdhsa_system_sgpr_workgroup_id_z 0
		.amdhsa_system_sgpr_workgroup_info 0
		.amdhsa_system_vgpr_workitem_id 0
		.amdhsa_next_free_vgpr 1
		.amdhsa_next_free_sgpr 1
		.amdhsa_reserve_vcc 0
		.amdhsa_reserve_flat_scratch 0
		.amdhsa_float_round_mode_32 0
		.amdhsa_float_round_mode_16_64 0
		.amdhsa_float_denorm_mode_32 3
		.amdhsa_float_denorm_mode_16_64 3
		.amdhsa_dx10_clamp 1
		.amdhsa_ieee_mode 1
		.amdhsa_fp16_overflow 0
		.amdhsa_workgroup_processor_mode 1
		.amdhsa_memory_ordered 1
		.amdhsa_forward_progress 1
		.amdhsa_shared_vgpr_count 0
		.amdhsa_exception_fp_ieee_invalid_op 0
		.amdhsa_exception_fp_denorm_src 0
		.amdhsa_exception_fp_ieee_div_zero 0
		.amdhsa_exception_fp_ieee_overflow 0
		.amdhsa_exception_fp_ieee_underflow 0
		.amdhsa_exception_fp_ieee_inexact 0
		.amdhsa_exception_int_div_zero 0
	.end_amdhsa_kernel
	.section	.text._ZN7rocprim17ROCPRIM_400000_NS6detail17trampoline_kernelINS0_14default_configENS1_27scan_by_key_config_selectorIxxEEZZNS1_16scan_by_key_implILNS1_25lookback_scan_determinismE0ELb1ES3_N6thrust23THRUST_200600_302600_NS6detail15normal_iteratorINS9_10device_ptrIxEEEESE_SE_xNS9_4plusIvEENS9_8equal_toIvEExEE10hipError_tPvRmT2_T3_T4_T5_mT6_T7_P12ihipStream_tbENKUlT_T0_E_clISt17integral_constantIbLb0EESY_IbLb1EEEEDaSU_SV_EUlSU_E_NS1_11comp_targetILNS1_3genE10ELNS1_11target_archE1200ELNS1_3gpuE4ELNS1_3repE0EEENS1_30default_config_static_selectorELNS0_4arch9wavefront6targetE0EEEvT1_,"axG",@progbits,_ZN7rocprim17ROCPRIM_400000_NS6detail17trampoline_kernelINS0_14default_configENS1_27scan_by_key_config_selectorIxxEEZZNS1_16scan_by_key_implILNS1_25lookback_scan_determinismE0ELb1ES3_N6thrust23THRUST_200600_302600_NS6detail15normal_iteratorINS9_10device_ptrIxEEEESE_SE_xNS9_4plusIvEENS9_8equal_toIvEExEE10hipError_tPvRmT2_T3_T4_T5_mT6_T7_P12ihipStream_tbENKUlT_T0_E_clISt17integral_constantIbLb0EESY_IbLb1EEEEDaSU_SV_EUlSU_E_NS1_11comp_targetILNS1_3genE10ELNS1_11target_archE1200ELNS1_3gpuE4ELNS1_3repE0EEENS1_30default_config_static_selectorELNS0_4arch9wavefront6targetE0EEEvT1_,comdat
.Lfunc_end386:
	.size	_ZN7rocprim17ROCPRIM_400000_NS6detail17trampoline_kernelINS0_14default_configENS1_27scan_by_key_config_selectorIxxEEZZNS1_16scan_by_key_implILNS1_25lookback_scan_determinismE0ELb1ES3_N6thrust23THRUST_200600_302600_NS6detail15normal_iteratorINS9_10device_ptrIxEEEESE_SE_xNS9_4plusIvEENS9_8equal_toIvEExEE10hipError_tPvRmT2_T3_T4_T5_mT6_T7_P12ihipStream_tbENKUlT_T0_E_clISt17integral_constantIbLb0EESY_IbLb1EEEEDaSU_SV_EUlSU_E_NS1_11comp_targetILNS1_3genE10ELNS1_11target_archE1200ELNS1_3gpuE4ELNS1_3repE0EEENS1_30default_config_static_selectorELNS0_4arch9wavefront6targetE0EEEvT1_, .Lfunc_end386-_ZN7rocprim17ROCPRIM_400000_NS6detail17trampoline_kernelINS0_14default_configENS1_27scan_by_key_config_selectorIxxEEZZNS1_16scan_by_key_implILNS1_25lookback_scan_determinismE0ELb1ES3_N6thrust23THRUST_200600_302600_NS6detail15normal_iteratorINS9_10device_ptrIxEEEESE_SE_xNS9_4plusIvEENS9_8equal_toIvEExEE10hipError_tPvRmT2_T3_T4_T5_mT6_T7_P12ihipStream_tbENKUlT_T0_E_clISt17integral_constantIbLb0EESY_IbLb1EEEEDaSU_SV_EUlSU_E_NS1_11comp_targetILNS1_3genE10ELNS1_11target_archE1200ELNS1_3gpuE4ELNS1_3repE0EEENS1_30default_config_static_selectorELNS0_4arch9wavefront6targetE0EEEvT1_
                                        ; -- End function
	.set _ZN7rocprim17ROCPRIM_400000_NS6detail17trampoline_kernelINS0_14default_configENS1_27scan_by_key_config_selectorIxxEEZZNS1_16scan_by_key_implILNS1_25lookback_scan_determinismE0ELb1ES3_N6thrust23THRUST_200600_302600_NS6detail15normal_iteratorINS9_10device_ptrIxEEEESE_SE_xNS9_4plusIvEENS9_8equal_toIvEExEE10hipError_tPvRmT2_T3_T4_T5_mT6_T7_P12ihipStream_tbENKUlT_T0_E_clISt17integral_constantIbLb0EESY_IbLb1EEEEDaSU_SV_EUlSU_E_NS1_11comp_targetILNS1_3genE10ELNS1_11target_archE1200ELNS1_3gpuE4ELNS1_3repE0EEENS1_30default_config_static_selectorELNS0_4arch9wavefront6targetE0EEEvT1_.num_vgpr, 0
	.set _ZN7rocprim17ROCPRIM_400000_NS6detail17trampoline_kernelINS0_14default_configENS1_27scan_by_key_config_selectorIxxEEZZNS1_16scan_by_key_implILNS1_25lookback_scan_determinismE0ELb1ES3_N6thrust23THRUST_200600_302600_NS6detail15normal_iteratorINS9_10device_ptrIxEEEESE_SE_xNS9_4plusIvEENS9_8equal_toIvEExEE10hipError_tPvRmT2_T3_T4_T5_mT6_T7_P12ihipStream_tbENKUlT_T0_E_clISt17integral_constantIbLb0EESY_IbLb1EEEEDaSU_SV_EUlSU_E_NS1_11comp_targetILNS1_3genE10ELNS1_11target_archE1200ELNS1_3gpuE4ELNS1_3repE0EEENS1_30default_config_static_selectorELNS0_4arch9wavefront6targetE0EEEvT1_.num_agpr, 0
	.set _ZN7rocprim17ROCPRIM_400000_NS6detail17trampoline_kernelINS0_14default_configENS1_27scan_by_key_config_selectorIxxEEZZNS1_16scan_by_key_implILNS1_25lookback_scan_determinismE0ELb1ES3_N6thrust23THRUST_200600_302600_NS6detail15normal_iteratorINS9_10device_ptrIxEEEESE_SE_xNS9_4plusIvEENS9_8equal_toIvEExEE10hipError_tPvRmT2_T3_T4_T5_mT6_T7_P12ihipStream_tbENKUlT_T0_E_clISt17integral_constantIbLb0EESY_IbLb1EEEEDaSU_SV_EUlSU_E_NS1_11comp_targetILNS1_3genE10ELNS1_11target_archE1200ELNS1_3gpuE4ELNS1_3repE0EEENS1_30default_config_static_selectorELNS0_4arch9wavefront6targetE0EEEvT1_.numbered_sgpr, 0
	.set _ZN7rocprim17ROCPRIM_400000_NS6detail17trampoline_kernelINS0_14default_configENS1_27scan_by_key_config_selectorIxxEEZZNS1_16scan_by_key_implILNS1_25lookback_scan_determinismE0ELb1ES3_N6thrust23THRUST_200600_302600_NS6detail15normal_iteratorINS9_10device_ptrIxEEEESE_SE_xNS9_4plusIvEENS9_8equal_toIvEExEE10hipError_tPvRmT2_T3_T4_T5_mT6_T7_P12ihipStream_tbENKUlT_T0_E_clISt17integral_constantIbLb0EESY_IbLb1EEEEDaSU_SV_EUlSU_E_NS1_11comp_targetILNS1_3genE10ELNS1_11target_archE1200ELNS1_3gpuE4ELNS1_3repE0EEENS1_30default_config_static_selectorELNS0_4arch9wavefront6targetE0EEEvT1_.num_named_barrier, 0
	.set _ZN7rocprim17ROCPRIM_400000_NS6detail17trampoline_kernelINS0_14default_configENS1_27scan_by_key_config_selectorIxxEEZZNS1_16scan_by_key_implILNS1_25lookback_scan_determinismE0ELb1ES3_N6thrust23THRUST_200600_302600_NS6detail15normal_iteratorINS9_10device_ptrIxEEEESE_SE_xNS9_4plusIvEENS9_8equal_toIvEExEE10hipError_tPvRmT2_T3_T4_T5_mT6_T7_P12ihipStream_tbENKUlT_T0_E_clISt17integral_constantIbLb0EESY_IbLb1EEEEDaSU_SV_EUlSU_E_NS1_11comp_targetILNS1_3genE10ELNS1_11target_archE1200ELNS1_3gpuE4ELNS1_3repE0EEENS1_30default_config_static_selectorELNS0_4arch9wavefront6targetE0EEEvT1_.private_seg_size, 0
	.set _ZN7rocprim17ROCPRIM_400000_NS6detail17trampoline_kernelINS0_14default_configENS1_27scan_by_key_config_selectorIxxEEZZNS1_16scan_by_key_implILNS1_25lookback_scan_determinismE0ELb1ES3_N6thrust23THRUST_200600_302600_NS6detail15normal_iteratorINS9_10device_ptrIxEEEESE_SE_xNS9_4plusIvEENS9_8equal_toIvEExEE10hipError_tPvRmT2_T3_T4_T5_mT6_T7_P12ihipStream_tbENKUlT_T0_E_clISt17integral_constantIbLb0EESY_IbLb1EEEEDaSU_SV_EUlSU_E_NS1_11comp_targetILNS1_3genE10ELNS1_11target_archE1200ELNS1_3gpuE4ELNS1_3repE0EEENS1_30default_config_static_selectorELNS0_4arch9wavefront6targetE0EEEvT1_.uses_vcc, 0
	.set _ZN7rocprim17ROCPRIM_400000_NS6detail17trampoline_kernelINS0_14default_configENS1_27scan_by_key_config_selectorIxxEEZZNS1_16scan_by_key_implILNS1_25lookback_scan_determinismE0ELb1ES3_N6thrust23THRUST_200600_302600_NS6detail15normal_iteratorINS9_10device_ptrIxEEEESE_SE_xNS9_4plusIvEENS9_8equal_toIvEExEE10hipError_tPvRmT2_T3_T4_T5_mT6_T7_P12ihipStream_tbENKUlT_T0_E_clISt17integral_constantIbLb0EESY_IbLb1EEEEDaSU_SV_EUlSU_E_NS1_11comp_targetILNS1_3genE10ELNS1_11target_archE1200ELNS1_3gpuE4ELNS1_3repE0EEENS1_30default_config_static_selectorELNS0_4arch9wavefront6targetE0EEEvT1_.uses_flat_scratch, 0
	.set _ZN7rocprim17ROCPRIM_400000_NS6detail17trampoline_kernelINS0_14default_configENS1_27scan_by_key_config_selectorIxxEEZZNS1_16scan_by_key_implILNS1_25lookback_scan_determinismE0ELb1ES3_N6thrust23THRUST_200600_302600_NS6detail15normal_iteratorINS9_10device_ptrIxEEEESE_SE_xNS9_4plusIvEENS9_8equal_toIvEExEE10hipError_tPvRmT2_T3_T4_T5_mT6_T7_P12ihipStream_tbENKUlT_T0_E_clISt17integral_constantIbLb0EESY_IbLb1EEEEDaSU_SV_EUlSU_E_NS1_11comp_targetILNS1_3genE10ELNS1_11target_archE1200ELNS1_3gpuE4ELNS1_3repE0EEENS1_30default_config_static_selectorELNS0_4arch9wavefront6targetE0EEEvT1_.has_dyn_sized_stack, 0
	.set _ZN7rocprim17ROCPRIM_400000_NS6detail17trampoline_kernelINS0_14default_configENS1_27scan_by_key_config_selectorIxxEEZZNS1_16scan_by_key_implILNS1_25lookback_scan_determinismE0ELb1ES3_N6thrust23THRUST_200600_302600_NS6detail15normal_iteratorINS9_10device_ptrIxEEEESE_SE_xNS9_4plusIvEENS9_8equal_toIvEExEE10hipError_tPvRmT2_T3_T4_T5_mT6_T7_P12ihipStream_tbENKUlT_T0_E_clISt17integral_constantIbLb0EESY_IbLb1EEEEDaSU_SV_EUlSU_E_NS1_11comp_targetILNS1_3genE10ELNS1_11target_archE1200ELNS1_3gpuE4ELNS1_3repE0EEENS1_30default_config_static_selectorELNS0_4arch9wavefront6targetE0EEEvT1_.has_recursion, 0
	.set _ZN7rocprim17ROCPRIM_400000_NS6detail17trampoline_kernelINS0_14default_configENS1_27scan_by_key_config_selectorIxxEEZZNS1_16scan_by_key_implILNS1_25lookback_scan_determinismE0ELb1ES3_N6thrust23THRUST_200600_302600_NS6detail15normal_iteratorINS9_10device_ptrIxEEEESE_SE_xNS9_4plusIvEENS9_8equal_toIvEExEE10hipError_tPvRmT2_T3_T4_T5_mT6_T7_P12ihipStream_tbENKUlT_T0_E_clISt17integral_constantIbLb0EESY_IbLb1EEEEDaSU_SV_EUlSU_E_NS1_11comp_targetILNS1_3genE10ELNS1_11target_archE1200ELNS1_3gpuE4ELNS1_3repE0EEENS1_30default_config_static_selectorELNS0_4arch9wavefront6targetE0EEEvT1_.has_indirect_call, 0
	.section	.AMDGPU.csdata,"",@progbits
; Kernel info:
; codeLenInByte = 0
; TotalNumSgprs: 0
; NumVgprs: 0
; ScratchSize: 0
; MemoryBound: 0
; FloatMode: 240
; IeeeMode: 1
; LDSByteSize: 0 bytes/workgroup (compile time only)
; SGPRBlocks: 0
; VGPRBlocks: 0
; NumSGPRsForWavesPerEU: 1
; NumVGPRsForWavesPerEU: 1
; Occupancy: 16
; WaveLimiterHint : 0
; COMPUTE_PGM_RSRC2:SCRATCH_EN: 0
; COMPUTE_PGM_RSRC2:USER_SGPR: 6
; COMPUTE_PGM_RSRC2:TRAP_HANDLER: 0
; COMPUTE_PGM_RSRC2:TGID_X_EN: 1
; COMPUTE_PGM_RSRC2:TGID_Y_EN: 0
; COMPUTE_PGM_RSRC2:TGID_Z_EN: 0
; COMPUTE_PGM_RSRC2:TIDIG_COMP_CNT: 0
	.section	.text._ZN7rocprim17ROCPRIM_400000_NS6detail17trampoline_kernelINS0_14default_configENS1_27scan_by_key_config_selectorIxxEEZZNS1_16scan_by_key_implILNS1_25lookback_scan_determinismE0ELb1ES3_N6thrust23THRUST_200600_302600_NS6detail15normal_iteratorINS9_10device_ptrIxEEEESE_SE_xNS9_4plusIvEENS9_8equal_toIvEExEE10hipError_tPvRmT2_T3_T4_T5_mT6_T7_P12ihipStream_tbENKUlT_T0_E_clISt17integral_constantIbLb0EESY_IbLb1EEEEDaSU_SV_EUlSU_E_NS1_11comp_targetILNS1_3genE9ELNS1_11target_archE1100ELNS1_3gpuE3ELNS1_3repE0EEENS1_30default_config_static_selectorELNS0_4arch9wavefront6targetE0EEEvT1_,"axG",@progbits,_ZN7rocprim17ROCPRIM_400000_NS6detail17trampoline_kernelINS0_14default_configENS1_27scan_by_key_config_selectorIxxEEZZNS1_16scan_by_key_implILNS1_25lookback_scan_determinismE0ELb1ES3_N6thrust23THRUST_200600_302600_NS6detail15normal_iteratorINS9_10device_ptrIxEEEESE_SE_xNS9_4plusIvEENS9_8equal_toIvEExEE10hipError_tPvRmT2_T3_T4_T5_mT6_T7_P12ihipStream_tbENKUlT_T0_E_clISt17integral_constantIbLb0EESY_IbLb1EEEEDaSU_SV_EUlSU_E_NS1_11comp_targetILNS1_3genE9ELNS1_11target_archE1100ELNS1_3gpuE3ELNS1_3repE0EEENS1_30default_config_static_selectorELNS0_4arch9wavefront6targetE0EEEvT1_,comdat
	.protected	_ZN7rocprim17ROCPRIM_400000_NS6detail17trampoline_kernelINS0_14default_configENS1_27scan_by_key_config_selectorIxxEEZZNS1_16scan_by_key_implILNS1_25lookback_scan_determinismE0ELb1ES3_N6thrust23THRUST_200600_302600_NS6detail15normal_iteratorINS9_10device_ptrIxEEEESE_SE_xNS9_4plusIvEENS9_8equal_toIvEExEE10hipError_tPvRmT2_T3_T4_T5_mT6_T7_P12ihipStream_tbENKUlT_T0_E_clISt17integral_constantIbLb0EESY_IbLb1EEEEDaSU_SV_EUlSU_E_NS1_11comp_targetILNS1_3genE9ELNS1_11target_archE1100ELNS1_3gpuE3ELNS1_3repE0EEENS1_30default_config_static_selectorELNS0_4arch9wavefront6targetE0EEEvT1_ ; -- Begin function _ZN7rocprim17ROCPRIM_400000_NS6detail17trampoline_kernelINS0_14default_configENS1_27scan_by_key_config_selectorIxxEEZZNS1_16scan_by_key_implILNS1_25lookback_scan_determinismE0ELb1ES3_N6thrust23THRUST_200600_302600_NS6detail15normal_iteratorINS9_10device_ptrIxEEEESE_SE_xNS9_4plusIvEENS9_8equal_toIvEExEE10hipError_tPvRmT2_T3_T4_T5_mT6_T7_P12ihipStream_tbENKUlT_T0_E_clISt17integral_constantIbLb0EESY_IbLb1EEEEDaSU_SV_EUlSU_E_NS1_11comp_targetILNS1_3genE9ELNS1_11target_archE1100ELNS1_3gpuE3ELNS1_3repE0EEENS1_30default_config_static_selectorELNS0_4arch9wavefront6targetE0EEEvT1_
	.globl	_ZN7rocprim17ROCPRIM_400000_NS6detail17trampoline_kernelINS0_14default_configENS1_27scan_by_key_config_selectorIxxEEZZNS1_16scan_by_key_implILNS1_25lookback_scan_determinismE0ELb1ES3_N6thrust23THRUST_200600_302600_NS6detail15normal_iteratorINS9_10device_ptrIxEEEESE_SE_xNS9_4plusIvEENS9_8equal_toIvEExEE10hipError_tPvRmT2_T3_T4_T5_mT6_T7_P12ihipStream_tbENKUlT_T0_E_clISt17integral_constantIbLb0EESY_IbLb1EEEEDaSU_SV_EUlSU_E_NS1_11comp_targetILNS1_3genE9ELNS1_11target_archE1100ELNS1_3gpuE3ELNS1_3repE0EEENS1_30default_config_static_selectorELNS0_4arch9wavefront6targetE0EEEvT1_
	.p2align	8
	.type	_ZN7rocprim17ROCPRIM_400000_NS6detail17trampoline_kernelINS0_14default_configENS1_27scan_by_key_config_selectorIxxEEZZNS1_16scan_by_key_implILNS1_25lookback_scan_determinismE0ELb1ES3_N6thrust23THRUST_200600_302600_NS6detail15normal_iteratorINS9_10device_ptrIxEEEESE_SE_xNS9_4plusIvEENS9_8equal_toIvEExEE10hipError_tPvRmT2_T3_T4_T5_mT6_T7_P12ihipStream_tbENKUlT_T0_E_clISt17integral_constantIbLb0EESY_IbLb1EEEEDaSU_SV_EUlSU_E_NS1_11comp_targetILNS1_3genE9ELNS1_11target_archE1100ELNS1_3gpuE3ELNS1_3repE0EEENS1_30default_config_static_selectorELNS0_4arch9wavefront6targetE0EEEvT1_,@function
_ZN7rocprim17ROCPRIM_400000_NS6detail17trampoline_kernelINS0_14default_configENS1_27scan_by_key_config_selectorIxxEEZZNS1_16scan_by_key_implILNS1_25lookback_scan_determinismE0ELb1ES3_N6thrust23THRUST_200600_302600_NS6detail15normal_iteratorINS9_10device_ptrIxEEEESE_SE_xNS9_4plusIvEENS9_8equal_toIvEExEE10hipError_tPvRmT2_T3_T4_T5_mT6_T7_P12ihipStream_tbENKUlT_T0_E_clISt17integral_constantIbLb0EESY_IbLb1EEEEDaSU_SV_EUlSU_E_NS1_11comp_targetILNS1_3genE9ELNS1_11target_archE1100ELNS1_3gpuE3ELNS1_3repE0EEENS1_30default_config_static_selectorELNS0_4arch9wavefront6targetE0EEEvT1_: ; @_ZN7rocprim17ROCPRIM_400000_NS6detail17trampoline_kernelINS0_14default_configENS1_27scan_by_key_config_selectorIxxEEZZNS1_16scan_by_key_implILNS1_25lookback_scan_determinismE0ELb1ES3_N6thrust23THRUST_200600_302600_NS6detail15normal_iteratorINS9_10device_ptrIxEEEESE_SE_xNS9_4plusIvEENS9_8equal_toIvEExEE10hipError_tPvRmT2_T3_T4_T5_mT6_T7_P12ihipStream_tbENKUlT_T0_E_clISt17integral_constantIbLb0EESY_IbLb1EEEEDaSU_SV_EUlSU_E_NS1_11comp_targetILNS1_3genE9ELNS1_11target_archE1100ELNS1_3gpuE3ELNS1_3repE0EEENS1_30default_config_static_selectorELNS0_4arch9wavefront6targetE0EEEvT1_
; %bb.0:
	.section	.rodata,"a",@progbits
	.p2align	6, 0x0
	.amdhsa_kernel _ZN7rocprim17ROCPRIM_400000_NS6detail17trampoline_kernelINS0_14default_configENS1_27scan_by_key_config_selectorIxxEEZZNS1_16scan_by_key_implILNS1_25lookback_scan_determinismE0ELb1ES3_N6thrust23THRUST_200600_302600_NS6detail15normal_iteratorINS9_10device_ptrIxEEEESE_SE_xNS9_4plusIvEENS9_8equal_toIvEExEE10hipError_tPvRmT2_T3_T4_T5_mT6_T7_P12ihipStream_tbENKUlT_T0_E_clISt17integral_constantIbLb0EESY_IbLb1EEEEDaSU_SV_EUlSU_E_NS1_11comp_targetILNS1_3genE9ELNS1_11target_archE1100ELNS1_3gpuE3ELNS1_3repE0EEENS1_30default_config_static_selectorELNS0_4arch9wavefront6targetE0EEEvT1_
		.amdhsa_group_segment_fixed_size 0
		.amdhsa_private_segment_fixed_size 0
		.amdhsa_kernarg_size 136
		.amdhsa_user_sgpr_count 6
		.amdhsa_user_sgpr_private_segment_buffer 1
		.amdhsa_user_sgpr_dispatch_ptr 0
		.amdhsa_user_sgpr_queue_ptr 0
		.amdhsa_user_sgpr_kernarg_segment_ptr 1
		.amdhsa_user_sgpr_dispatch_id 0
		.amdhsa_user_sgpr_flat_scratch_init 0
		.amdhsa_user_sgpr_private_segment_size 0
		.amdhsa_wavefront_size32 1
		.amdhsa_uses_dynamic_stack 0
		.amdhsa_system_sgpr_private_segment_wavefront_offset 0
		.amdhsa_system_sgpr_workgroup_id_x 1
		.amdhsa_system_sgpr_workgroup_id_y 0
		.amdhsa_system_sgpr_workgroup_id_z 0
		.amdhsa_system_sgpr_workgroup_info 0
		.amdhsa_system_vgpr_workitem_id 0
		.amdhsa_next_free_vgpr 1
		.amdhsa_next_free_sgpr 1
		.amdhsa_reserve_vcc 0
		.amdhsa_reserve_flat_scratch 0
		.amdhsa_float_round_mode_32 0
		.amdhsa_float_round_mode_16_64 0
		.amdhsa_float_denorm_mode_32 3
		.amdhsa_float_denorm_mode_16_64 3
		.amdhsa_dx10_clamp 1
		.amdhsa_ieee_mode 1
		.amdhsa_fp16_overflow 0
		.amdhsa_workgroup_processor_mode 1
		.amdhsa_memory_ordered 1
		.amdhsa_forward_progress 1
		.amdhsa_shared_vgpr_count 0
		.amdhsa_exception_fp_ieee_invalid_op 0
		.amdhsa_exception_fp_denorm_src 0
		.amdhsa_exception_fp_ieee_div_zero 0
		.amdhsa_exception_fp_ieee_overflow 0
		.amdhsa_exception_fp_ieee_underflow 0
		.amdhsa_exception_fp_ieee_inexact 0
		.amdhsa_exception_int_div_zero 0
	.end_amdhsa_kernel
	.section	.text._ZN7rocprim17ROCPRIM_400000_NS6detail17trampoline_kernelINS0_14default_configENS1_27scan_by_key_config_selectorIxxEEZZNS1_16scan_by_key_implILNS1_25lookback_scan_determinismE0ELb1ES3_N6thrust23THRUST_200600_302600_NS6detail15normal_iteratorINS9_10device_ptrIxEEEESE_SE_xNS9_4plusIvEENS9_8equal_toIvEExEE10hipError_tPvRmT2_T3_T4_T5_mT6_T7_P12ihipStream_tbENKUlT_T0_E_clISt17integral_constantIbLb0EESY_IbLb1EEEEDaSU_SV_EUlSU_E_NS1_11comp_targetILNS1_3genE9ELNS1_11target_archE1100ELNS1_3gpuE3ELNS1_3repE0EEENS1_30default_config_static_selectorELNS0_4arch9wavefront6targetE0EEEvT1_,"axG",@progbits,_ZN7rocprim17ROCPRIM_400000_NS6detail17trampoline_kernelINS0_14default_configENS1_27scan_by_key_config_selectorIxxEEZZNS1_16scan_by_key_implILNS1_25lookback_scan_determinismE0ELb1ES3_N6thrust23THRUST_200600_302600_NS6detail15normal_iteratorINS9_10device_ptrIxEEEESE_SE_xNS9_4plusIvEENS9_8equal_toIvEExEE10hipError_tPvRmT2_T3_T4_T5_mT6_T7_P12ihipStream_tbENKUlT_T0_E_clISt17integral_constantIbLb0EESY_IbLb1EEEEDaSU_SV_EUlSU_E_NS1_11comp_targetILNS1_3genE9ELNS1_11target_archE1100ELNS1_3gpuE3ELNS1_3repE0EEENS1_30default_config_static_selectorELNS0_4arch9wavefront6targetE0EEEvT1_,comdat
.Lfunc_end387:
	.size	_ZN7rocprim17ROCPRIM_400000_NS6detail17trampoline_kernelINS0_14default_configENS1_27scan_by_key_config_selectorIxxEEZZNS1_16scan_by_key_implILNS1_25lookback_scan_determinismE0ELb1ES3_N6thrust23THRUST_200600_302600_NS6detail15normal_iteratorINS9_10device_ptrIxEEEESE_SE_xNS9_4plusIvEENS9_8equal_toIvEExEE10hipError_tPvRmT2_T3_T4_T5_mT6_T7_P12ihipStream_tbENKUlT_T0_E_clISt17integral_constantIbLb0EESY_IbLb1EEEEDaSU_SV_EUlSU_E_NS1_11comp_targetILNS1_3genE9ELNS1_11target_archE1100ELNS1_3gpuE3ELNS1_3repE0EEENS1_30default_config_static_selectorELNS0_4arch9wavefront6targetE0EEEvT1_, .Lfunc_end387-_ZN7rocprim17ROCPRIM_400000_NS6detail17trampoline_kernelINS0_14default_configENS1_27scan_by_key_config_selectorIxxEEZZNS1_16scan_by_key_implILNS1_25lookback_scan_determinismE0ELb1ES3_N6thrust23THRUST_200600_302600_NS6detail15normal_iteratorINS9_10device_ptrIxEEEESE_SE_xNS9_4plusIvEENS9_8equal_toIvEExEE10hipError_tPvRmT2_T3_T4_T5_mT6_T7_P12ihipStream_tbENKUlT_T0_E_clISt17integral_constantIbLb0EESY_IbLb1EEEEDaSU_SV_EUlSU_E_NS1_11comp_targetILNS1_3genE9ELNS1_11target_archE1100ELNS1_3gpuE3ELNS1_3repE0EEENS1_30default_config_static_selectorELNS0_4arch9wavefront6targetE0EEEvT1_
                                        ; -- End function
	.set _ZN7rocprim17ROCPRIM_400000_NS6detail17trampoline_kernelINS0_14default_configENS1_27scan_by_key_config_selectorIxxEEZZNS1_16scan_by_key_implILNS1_25lookback_scan_determinismE0ELb1ES3_N6thrust23THRUST_200600_302600_NS6detail15normal_iteratorINS9_10device_ptrIxEEEESE_SE_xNS9_4plusIvEENS9_8equal_toIvEExEE10hipError_tPvRmT2_T3_T4_T5_mT6_T7_P12ihipStream_tbENKUlT_T0_E_clISt17integral_constantIbLb0EESY_IbLb1EEEEDaSU_SV_EUlSU_E_NS1_11comp_targetILNS1_3genE9ELNS1_11target_archE1100ELNS1_3gpuE3ELNS1_3repE0EEENS1_30default_config_static_selectorELNS0_4arch9wavefront6targetE0EEEvT1_.num_vgpr, 0
	.set _ZN7rocprim17ROCPRIM_400000_NS6detail17trampoline_kernelINS0_14default_configENS1_27scan_by_key_config_selectorIxxEEZZNS1_16scan_by_key_implILNS1_25lookback_scan_determinismE0ELb1ES3_N6thrust23THRUST_200600_302600_NS6detail15normal_iteratorINS9_10device_ptrIxEEEESE_SE_xNS9_4plusIvEENS9_8equal_toIvEExEE10hipError_tPvRmT2_T3_T4_T5_mT6_T7_P12ihipStream_tbENKUlT_T0_E_clISt17integral_constantIbLb0EESY_IbLb1EEEEDaSU_SV_EUlSU_E_NS1_11comp_targetILNS1_3genE9ELNS1_11target_archE1100ELNS1_3gpuE3ELNS1_3repE0EEENS1_30default_config_static_selectorELNS0_4arch9wavefront6targetE0EEEvT1_.num_agpr, 0
	.set _ZN7rocprim17ROCPRIM_400000_NS6detail17trampoline_kernelINS0_14default_configENS1_27scan_by_key_config_selectorIxxEEZZNS1_16scan_by_key_implILNS1_25lookback_scan_determinismE0ELb1ES3_N6thrust23THRUST_200600_302600_NS6detail15normal_iteratorINS9_10device_ptrIxEEEESE_SE_xNS9_4plusIvEENS9_8equal_toIvEExEE10hipError_tPvRmT2_T3_T4_T5_mT6_T7_P12ihipStream_tbENKUlT_T0_E_clISt17integral_constantIbLb0EESY_IbLb1EEEEDaSU_SV_EUlSU_E_NS1_11comp_targetILNS1_3genE9ELNS1_11target_archE1100ELNS1_3gpuE3ELNS1_3repE0EEENS1_30default_config_static_selectorELNS0_4arch9wavefront6targetE0EEEvT1_.numbered_sgpr, 0
	.set _ZN7rocprim17ROCPRIM_400000_NS6detail17trampoline_kernelINS0_14default_configENS1_27scan_by_key_config_selectorIxxEEZZNS1_16scan_by_key_implILNS1_25lookback_scan_determinismE0ELb1ES3_N6thrust23THRUST_200600_302600_NS6detail15normal_iteratorINS9_10device_ptrIxEEEESE_SE_xNS9_4plusIvEENS9_8equal_toIvEExEE10hipError_tPvRmT2_T3_T4_T5_mT6_T7_P12ihipStream_tbENKUlT_T0_E_clISt17integral_constantIbLb0EESY_IbLb1EEEEDaSU_SV_EUlSU_E_NS1_11comp_targetILNS1_3genE9ELNS1_11target_archE1100ELNS1_3gpuE3ELNS1_3repE0EEENS1_30default_config_static_selectorELNS0_4arch9wavefront6targetE0EEEvT1_.num_named_barrier, 0
	.set _ZN7rocprim17ROCPRIM_400000_NS6detail17trampoline_kernelINS0_14default_configENS1_27scan_by_key_config_selectorIxxEEZZNS1_16scan_by_key_implILNS1_25lookback_scan_determinismE0ELb1ES3_N6thrust23THRUST_200600_302600_NS6detail15normal_iteratorINS9_10device_ptrIxEEEESE_SE_xNS9_4plusIvEENS9_8equal_toIvEExEE10hipError_tPvRmT2_T3_T4_T5_mT6_T7_P12ihipStream_tbENKUlT_T0_E_clISt17integral_constantIbLb0EESY_IbLb1EEEEDaSU_SV_EUlSU_E_NS1_11comp_targetILNS1_3genE9ELNS1_11target_archE1100ELNS1_3gpuE3ELNS1_3repE0EEENS1_30default_config_static_selectorELNS0_4arch9wavefront6targetE0EEEvT1_.private_seg_size, 0
	.set _ZN7rocprim17ROCPRIM_400000_NS6detail17trampoline_kernelINS0_14default_configENS1_27scan_by_key_config_selectorIxxEEZZNS1_16scan_by_key_implILNS1_25lookback_scan_determinismE0ELb1ES3_N6thrust23THRUST_200600_302600_NS6detail15normal_iteratorINS9_10device_ptrIxEEEESE_SE_xNS9_4plusIvEENS9_8equal_toIvEExEE10hipError_tPvRmT2_T3_T4_T5_mT6_T7_P12ihipStream_tbENKUlT_T0_E_clISt17integral_constantIbLb0EESY_IbLb1EEEEDaSU_SV_EUlSU_E_NS1_11comp_targetILNS1_3genE9ELNS1_11target_archE1100ELNS1_3gpuE3ELNS1_3repE0EEENS1_30default_config_static_selectorELNS0_4arch9wavefront6targetE0EEEvT1_.uses_vcc, 0
	.set _ZN7rocprim17ROCPRIM_400000_NS6detail17trampoline_kernelINS0_14default_configENS1_27scan_by_key_config_selectorIxxEEZZNS1_16scan_by_key_implILNS1_25lookback_scan_determinismE0ELb1ES3_N6thrust23THRUST_200600_302600_NS6detail15normal_iteratorINS9_10device_ptrIxEEEESE_SE_xNS9_4plusIvEENS9_8equal_toIvEExEE10hipError_tPvRmT2_T3_T4_T5_mT6_T7_P12ihipStream_tbENKUlT_T0_E_clISt17integral_constantIbLb0EESY_IbLb1EEEEDaSU_SV_EUlSU_E_NS1_11comp_targetILNS1_3genE9ELNS1_11target_archE1100ELNS1_3gpuE3ELNS1_3repE0EEENS1_30default_config_static_selectorELNS0_4arch9wavefront6targetE0EEEvT1_.uses_flat_scratch, 0
	.set _ZN7rocprim17ROCPRIM_400000_NS6detail17trampoline_kernelINS0_14default_configENS1_27scan_by_key_config_selectorIxxEEZZNS1_16scan_by_key_implILNS1_25lookback_scan_determinismE0ELb1ES3_N6thrust23THRUST_200600_302600_NS6detail15normal_iteratorINS9_10device_ptrIxEEEESE_SE_xNS9_4plusIvEENS9_8equal_toIvEExEE10hipError_tPvRmT2_T3_T4_T5_mT6_T7_P12ihipStream_tbENKUlT_T0_E_clISt17integral_constantIbLb0EESY_IbLb1EEEEDaSU_SV_EUlSU_E_NS1_11comp_targetILNS1_3genE9ELNS1_11target_archE1100ELNS1_3gpuE3ELNS1_3repE0EEENS1_30default_config_static_selectorELNS0_4arch9wavefront6targetE0EEEvT1_.has_dyn_sized_stack, 0
	.set _ZN7rocprim17ROCPRIM_400000_NS6detail17trampoline_kernelINS0_14default_configENS1_27scan_by_key_config_selectorIxxEEZZNS1_16scan_by_key_implILNS1_25lookback_scan_determinismE0ELb1ES3_N6thrust23THRUST_200600_302600_NS6detail15normal_iteratorINS9_10device_ptrIxEEEESE_SE_xNS9_4plusIvEENS9_8equal_toIvEExEE10hipError_tPvRmT2_T3_T4_T5_mT6_T7_P12ihipStream_tbENKUlT_T0_E_clISt17integral_constantIbLb0EESY_IbLb1EEEEDaSU_SV_EUlSU_E_NS1_11comp_targetILNS1_3genE9ELNS1_11target_archE1100ELNS1_3gpuE3ELNS1_3repE0EEENS1_30default_config_static_selectorELNS0_4arch9wavefront6targetE0EEEvT1_.has_recursion, 0
	.set _ZN7rocprim17ROCPRIM_400000_NS6detail17trampoline_kernelINS0_14default_configENS1_27scan_by_key_config_selectorIxxEEZZNS1_16scan_by_key_implILNS1_25lookback_scan_determinismE0ELb1ES3_N6thrust23THRUST_200600_302600_NS6detail15normal_iteratorINS9_10device_ptrIxEEEESE_SE_xNS9_4plusIvEENS9_8equal_toIvEExEE10hipError_tPvRmT2_T3_T4_T5_mT6_T7_P12ihipStream_tbENKUlT_T0_E_clISt17integral_constantIbLb0EESY_IbLb1EEEEDaSU_SV_EUlSU_E_NS1_11comp_targetILNS1_3genE9ELNS1_11target_archE1100ELNS1_3gpuE3ELNS1_3repE0EEENS1_30default_config_static_selectorELNS0_4arch9wavefront6targetE0EEEvT1_.has_indirect_call, 0
	.section	.AMDGPU.csdata,"",@progbits
; Kernel info:
; codeLenInByte = 0
; TotalNumSgprs: 0
; NumVgprs: 0
; ScratchSize: 0
; MemoryBound: 0
; FloatMode: 240
; IeeeMode: 1
; LDSByteSize: 0 bytes/workgroup (compile time only)
; SGPRBlocks: 0
; VGPRBlocks: 0
; NumSGPRsForWavesPerEU: 1
; NumVGPRsForWavesPerEU: 1
; Occupancy: 16
; WaveLimiterHint : 0
; COMPUTE_PGM_RSRC2:SCRATCH_EN: 0
; COMPUTE_PGM_RSRC2:USER_SGPR: 6
; COMPUTE_PGM_RSRC2:TRAP_HANDLER: 0
; COMPUTE_PGM_RSRC2:TGID_X_EN: 1
; COMPUTE_PGM_RSRC2:TGID_Y_EN: 0
; COMPUTE_PGM_RSRC2:TGID_Z_EN: 0
; COMPUTE_PGM_RSRC2:TIDIG_COMP_CNT: 0
	.section	.text._ZN7rocprim17ROCPRIM_400000_NS6detail17trampoline_kernelINS0_14default_configENS1_27scan_by_key_config_selectorIxxEEZZNS1_16scan_by_key_implILNS1_25lookback_scan_determinismE0ELb1ES3_N6thrust23THRUST_200600_302600_NS6detail15normal_iteratorINS9_10device_ptrIxEEEESE_SE_xNS9_4plusIvEENS9_8equal_toIvEExEE10hipError_tPvRmT2_T3_T4_T5_mT6_T7_P12ihipStream_tbENKUlT_T0_E_clISt17integral_constantIbLb0EESY_IbLb1EEEEDaSU_SV_EUlSU_E_NS1_11comp_targetILNS1_3genE8ELNS1_11target_archE1030ELNS1_3gpuE2ELNS1_3repE0EEENS1_30default_config_static_selectorELNS0_4arch9wavefront6targetE0EEEvT1_,"axG",@progbits,_ZN7rocprim17ROCPRIM_400000_NS6detail17trampoline_kernelINS0_14default_configENS1_27scan_by_key_config_selectorIxxEEZZNS1_16scan_by_key_implILNS1_25lookback_scan_determinismE0ELb1ES3_N6thrust23THRUST_200600_302600_NS6detail15normal_iteratorINS9_10device_ptrIxEEEESE_SE_xNS9_4plusIvEENS9_8equal_toIvEExEE10hipError_tPvRmT2_T3_T4_T5_mT6_T7_P12ihipStream_tbENKUlT_T0_E_clISt17integral_constantIbLb0EESY_IbLb1EEEEDaSU_SV_EUlSU_E_NS1_11comp_targetILNS1_3genE8ELNS1_11target_archE1030ELNS1_3gpuE2ELNS1_3repE0EEENS1_30default_config_static_selectorELNS0_4arch9wavefront6targetE0EEEvT1_,comdat
	.protected	_ZN7rocprim17ROCPRIM_400000_NS6detail17trampoline_kernelINS0_14default_configENS1_27scan_by_key_config_selectorIxxEEZZNS1_16scan_by_key_implILNS1_25lookback_scan_determinismE0ELb1ES3_N6thrust23THRUST_200600_302600_NS6detail15normal_iteratorINS9_10device_ptrIxEEEESE_SE_xNS9_4plusIvEENS9_8equal_toIvEExEE10hipError_tPvRmT2_T3_T4_T5_mT6_T7_P12ihipStream_tbENKUlT_T0_E_clISt17integral_constantIbLb0EESY_IbLb1EEEEDaSU_SV_EUlSU_E_NS1_11comp_targetILNS1_3genE8ELNS1_11target_archE1030ELNS1_3gpuE2ELNS1_3repE0EEENS1_30default_config_static_selectorELNS0_4arch9wavefront6targetE0EEEvT1_ ; -- Begin function _ZN7rocprim17ROCPRIM_400000_NS6detail17trampoline_kernelINS0_14default_configENS1_27scan_by_key_config_selectorIxxEEZZNS1_16scan_by_key_implILNS1_25lookback_scan_determinismE0ELb1ES3_N6thrust23THRUST_200600_302600_NS6detail15normal_iteratorINS9_10device_ptrIxEEEESE_SE_xNS9_4plusIvEENS9_8equal_toIvEExEE10hipError_tPvRmT2_T3_T4_T5_mT6_T7_P12ihipStream_tbENKUlT_T0_E_clISt17integral_constantIbLb0EESY_IbLb1EEEEDaSU_SV_EUlSU_E_NS1_11comp_targetILNS1_3genE8ELNS1_11target_archE1030ELNS1_3gpuE2ELNS1_3repE0EEENS1_30default_config_static_selectorELNS0_4arch9wavefront6targetE0EEEvT1_
	.globl	_ZN7rocprim17ROCPRIM_400000_NS6detail17trampoline_kernelINS0_14default_configENS1_27scan_by_key_config_selectorIxxEEZZNS1_16scan_by_key_implILNS1_25lookback_scan_determinismE0ELb1ES3_N6thrust23THRUST_200600_302600_NS6detail15normal_iteratorINS9_10device_ptrIxEEEESE_SE_xNS9_4plusIvEENS9_8equal_toIvEExEE10hipError_tPvRmT2_T3_T4_T5_mT6_T7_P12ihipStream_tbENKUlT_T0_E_clISt17integral_constantIbLb0EESY_IbLb1EEEEDaSU_SV_EUlSU_E_NS1_11comp_targetILNS1_3genE8ELNS1_11target_archE1030ELNS1_3gpuE2ELNS1_3repE0EEENS1_30default_config_static_selectorELNS0_4arch9wavefront6targetE0EEEvT1_
	.p2align	8
	.type	_ZN7rocprim17ROCPRIM_400000_NS6detail17trampoline_kernelINS0_14default_configENS1_27scan_by_key_config_selectorIxxEEZZNS1_16scan_by_key_implILNS1_25lookback_scan_determinismE0ELb1ES3_N6thrust23THRUST_200600_302600_NS6detail15normal_iteratorINS9_10device_ptrIxEEEESE_SE_xNS9_4plusIvEENS9_8equal_toIvEExEE10hipError_tPvRmT2_T3_T4_T5_mT6_T7_P12ihipStream_tbENKUlT_T0_E_clISt17integral_constantIbLb0EESY_IbLb1EEEEDaSU_SV_EUlSU_E_NS1_11comp_targetILNS1_3genE8ELNS1_11target_archE1030ELNS1_3gpuE2ELNS1_3repE0EEENS1_30default_config_static_selectorELNS0_4arch9wavefront6targetE0EEEvT1_,@function
_ZN7rocprim17ROCPRIM_400000_NS6detail17trampoline_kernelINS0_14default_configENS1_27scan_by_key_config_selectorIxxEEZZNS1_16scan_by_key_implILNS1_25lookback_scan_determinismE0ELb1ES3_N6thrust23THRUST_200600_302600_NS6detail15normal_iteratorINS9_10device_ptrIxEEEESE_SE_xNS9_4plusIvEENS9_8equal_toIvEExEE10hipError_tPvRmT2_T3_T4_T5_mT6_T7_P12ihipStream_tbENKUlT_T0_E_clISt17integral_constantIbLb0EESY_IbLb1EEEEDaSU_SV_EUlSU_E_NS1_11comp_targetILNS1_3genE8ELNS1_11target_archE1030ELNS1_3gpuE2ELNS1_3repE0EEENS1_30default_config_static_selectorELNS0_4arch9wavefront6targetE0EEEvT1_: ; @_ZN7rocprim17ROCPRIM_400000_NS6detail17trampoline_kernelINS0_14default_configENS1_27scan_by_key_config_selectorIxxEEZZNS1_16scan_by_key_implILNS1_25lookback_scan_determinismE0ELb1ES3_N6thrust23THRUST_200600_302600_NS6detail15normal_iteratorINS9_10device_ptrIxEEEESE_SE_xNS9_4plusIvEENS9_8equal_toIvEExEE10hipError_tPvRmT2_T3_T4_T5_mT6_T7_P12ihipStream_tbENKUlT_T0_E_clISt17integral_constantIbLb0EESY_IbLb1EEEEDaSU_SV_EUlSU_E_NS1_11comp_targetILNS1_3genE8ELNS1_11target_archE1030ELNS1_3gpuE2ELNS1_3repE0EEENS1_30default_config_static_selectorELNS0_4arch9wavefront6targetE0EEEvT1_
; %bb.0:
	s_clause 0x3
	s_load_dwordx8 s[36:43], s[4:5], 0x0
	s_load_dwordx2 s[44:45], s[4:5], 0x20
	s_load_dwordx8 s[20:27], s[4:5], 0x30
	s_load_dwordx2 s[46:47], s[4:5], 0x50
	v_cmp_ne_u32_e64 s2, 0, v0
	v_cmp_eq_u32_e64 s0, 0, v0
	s_and_saveexec_b32 s1, s0
	s_cbranch_execz .LBB388_4
; %bb.1:
	s_mov_b32 s6, exec_lo
	s_mov_b32 s3, exec_lo
	v_mbcnt_lo_u32_b32 v1, s6, 0
                                        ; implicit-def: $vgpr2
	v_cmpx_eq_u32_e32 0, v1
	s_cbranch_execz .LBB388_3
; %bb.2:
	s_load_dwordx2 s[8:9], s[4:5], 0x80
	s_bcnt1_i32_b32 s6, s6
	v_mov_b32_e32 v2, 0
	v_mov_b32_e32 v3, s6
	s_waitcnt lgkmcnt(0)
	global_atomic_add v2, v2, v3, s[8:9] glc
.LBB388_3:
	s_or_b32 exec_lo, exec_lo, s3
	s_waitcnt vmcnt(0)
	v_readfirstlane_b32 s3, v2
	v_mov_b32_e32 v2, 0
	v_add_nc_u32_e32 v1, s3, v1
	ds_write_b32 v2, v1
.LBB388_4:
	s_or_b32 exec_lo, exec_lo, s1
	v_mov_b32_e32 v2, 0
	s_clause 0x1
	s_load_dword s1, s[4:5], 0x58
	s_load_dwordx4 s[28:31], s[4:5], 0x60
	s_waitcnt lgkmcnt(0)
	s_barrier
	buffer_gl0_inv
	ds_read_b32 v5, v2
	s_lshl_b64 s[34:35], s[38:39], 3
	s_waitcnt lgkmcnt(0)
	s_add_u32 s6, s36, s34
	s_addc_u32 s7, s37, s35
	s_add_u32 s8, s40, s34
	s_addc_u32 s9, s41, s35
	s_barrier
	buffer_gl0_inv
	s_barrier
	buffer_gl0_inv
	s_mul_i32 s3, s47, s1
	s_mul_hi_u32 s4, s46, s1
	s_mul_i32 s1, s46, s1
	s_add_i32 s4, s4, s3
	v_mul_lo_u32 v1, 0xd00, v5
	v_add_co_u32 v3, s1, s1, v5
	v_add_co_ci_u32_e64 v4, null, s4, 0, s1
	s_add_u32 s4, s28, -1
	s_addc_u32 s5, s29, -1
	v_readfirstlane_b32 s27, v5
	v_lshlrev_b64 v[49:50], 3, v[1:2]
	v_cmp_le_u64_e64 s1, s[4:5], v[3:4]
	s_mul_i32 s19, s4, 0xfffff300
	v_add_co_u32 v53, vcc_lo, s6, v49
	v_add_co_ci_u32_e64 v54, null, s7, v50, vcc_lo
	v_add_co_u32 v90, vcc_lo, s8, v49
	v_add_co_ci_u32_e64 v91, null, s9, v50, vcc_lo
	s_and_b32 vcc_lo, exec_lo, s1
	s_cbranch_vccz .LBB388_45
; %bb.5:
	flat_load_dwordx2 v[1:2], v[53:54]
	s_add_i32 s28, s19, s26
	v_cmp_gt_u32_e32 vcc_lo, s28, v0
	s_waitcnt vmcnt(0) lgkmcnt(0)
	v_mov_b32_e32 v4, v2
	v_mov_b32_e32 v3, v1
	s_and_saveexec_b32 s4, vcc_lo
	s_cbranch_execz .LBB388_7
; %bb.6:
	v_lshlrev_b32_e32 v3, 3, v0
	v_add_co_u32 v3, s3, v53, v3
	v_add_co_ci_u32_e64 v4, null, 0, v54, s3
	flat_load_dwordx2 v[3:4], v[3:4]
.LBB388_7:
	s_or_b32 exec_lo, exec_lo, s4
	v_or_b32_e32 v5, 0x100, v0
	v_cmp_gt_u32_e64 s3, s28, v5
	v_lshlrev_b32_e32 v29, 3, v5
	v_mov_b32_e32 v6, v2
	v_mov_b32_e32 v5, v1
	s_and_saveexec_b32 s5, s3
	s_cbranch_execz .LBB388_9
; %bb.8:
	v_add_co_u32 v5, s4, v53, v29
	v_add_co_ci_u32_e64 v6, null, 0, v54, s4
	flat_load_dwordx2 v[5:6], v[5:6]
.LBB388_9:
	s_or_b32 exec_lo, exec_lo, s5
	v_or_b32_e32 v7, 0x200, v0
	v_cmp_gt_u32_e64 s4, s28, v7
	v_lshlrev_b32_e32 v31, 3, v7
	v_mov_b32_e32 v8, v2
	v_mov_b32_e32 v7, v1
	s_and_saveexec_b32 s6, s4
	s_cbranch_execz .LBB388_11
; %bb.10:
	v_add_co_u32 v7, s5, v53, v31
	v_add_co_ci_u32_e64 v8, null, 0, v54, s5
	flat_load_dwordx2 v[7:8], v[7:8]
.LBB388_11:
	s_or_b32 exec_lo, exec_lo, s6
	v_or_b32_e32 v9, 0x300, v0
	v_cmp_gt_u32_e64 s5, s28, v9
	v_lshlrev_b32_e32 v33, 3, v9
	v_mov_b32_e32 v10, v2
	v_mov_b32_e32 v9, v1
	s_and_saveexec_b32 s7, s5
	s_cbranch_execz .LBB388_13
; %bb.12:
	v_add_co_u32 v9, s6, v53, v33
	v_add_co_ci_u32_e64 v10, null, 0, v54, s6
	flat_load_dwordx2 v[9:10], v[9:10]
.LBB388_13:
	s_or_b32 exec_lo, exec_lo, s7
	v_or_b32_e32 v11, 0x400, v0
	v_cmp_gt_u32_e64 s6, s28, v11
	v_lshlrev_b32_e32 v35, 3, v11
	v_mov_b32_e32 v12, v2
	v_mov_b32_e32 v11, v1
	s_and_saveexec_b32 s8, s6
	s_cbranch_execz .LBB388_15
; %bb.14:
	v_add_co_u32 v11, s7, v53, v35
	v_add_co_ci_u32_e64 v12, null, 0, v54, s7
	flat_load_dwordx2 v[11:12], v[11:12]
.LBB388_15:
	s_or_b32 exec_lo, exec_lo, s8
	v_or_b32_e32 v13, 0x500, v0
	v_cmp_gt_u32_e64 s7, s28, v13
	v_lshlrev_b32_e32 v37, 3, v13
	v_mov_b32_e32 v14, v2
	v_mov_b32_e32 v13, v1
	s_and_saveexec_b32 s9, s7
	s_cbranch_execz .LBB388_17
; %bb.16:
	v_add_co_u32 v13, s8, v53, v37
	v_add_co_ci_u32_e64 v14, null, 0, v54, s8
	flat_load_dwordx2 v[13:14], v[13:14]
.LBB388_17:
	s_or_b32 exec_lo, exec_lo, s9
	v_or_b32_e32 v15, 0x600, v0
	v_cmp_gt_u32_e64 s8, s28, v15
	v_lshlrev_b32_e32 v39, 3, v15
	v_mov_b32_e32 v16, v2
	v_mov_b32_e32 v15, v1
	s_and_saveexec_b32 s10, s8
	s_cbranch_execz .LBB388_19
; %bb.18:
	v_add_co_u32 v15, s9, v53, v39
	v_add_co_ci_u32_e64 v16, null, 0, v54, s9
	flat_load_dwordx2 v[15:16], v[15:16]
.LBB388_19:
	s_or_b32 exec_lo, exec_lo, s10
	v_or_b32_e32 v17, 0x700, v0
	v_cmp_gt_u32_e64 s9, s28, v17
	v_lshlrev_b32_e32 v41, 3, v17
	v_mov_b32_e32 v18, v2
	v_mov_b32_e32 v17, v1
	s_and_saveexec_b32 s11, s9
	s_cbranch_execz .LBB388_21
; %bb.20:
	v_add_co_u32 v17, s10, v53, v41
	v_add_co_ci_u32_e64 v18, null, 0, v54, s10
	flat_load_dwordx2 v[17:18], v[17:18]
.LBB388_21:
	s_or_b32 exec_lo, exec_lo, s11
	v_or_b32_e32 v19, 0x800, v0
	v_cmp_gt_u32_e64 s10, s28, v19
	v_lshlrev_b32_e32 v43, 3, v19
	v_mov_b32_e32 v20, v2
	v_mov_b32_e32 v19, v1
	s_and_saveexec_b32 s12, s10
	s_cbranch_execz .LBB388_23
; %bb.22:
	v_add_co_u32 v19, s11, v53, v43
	v_add_co_ci_u32_e64 v20, null, 0, v54, s11
	flat_load_dwordx2 v[19:20], v[19:20]
.LBB388_23:
	s_or_b32 exec_lo, exec_lo, s12
	v_or_b32_e32 v21, 0x900, v0
	v_cmp_gt_u32_e64 s11, s28, v21
	v_lshlrev_b32_e32 v45, 3, v21
	v_mov_b32_e32 v22, v2
	v_mov_b32_e32 v21, v1
	s_and_saveexec_b32 s13, s11
	s_cbranch_execz .LBB388_25
; %bb.24:
	v_add_co_u32 v21, s12, v53, v45
	v_add_co_ci_u32_e64 v22, null, 0, v54, s12
	flat_load_dwordx2 v[21:22], v[21:22]
.LBB388_25:
	s_or_b32 exec_lo, exec_lo, s13
	v_or_b32_e32 v23, 0xa00, v0
	v_cmp_gt_u32_e64 s12, s28, v23
	v_lshlrev_b32_e32 v47, 3, v23
	v_mov_b32_e32 v24, v2
	v_mov_b32_e32 v23, v1
	s_and_saveexec_b32 s14, s12
	s_cbranch_execz .LBB388_27
; %bb.26:
	v_add_co_u32 v23, s13, v53, v47
	v_add_co_ci_u32_e64 v24, null, 0, v54, s13
	flat_load_dwordx2 v[23:24], v[23:24]
.LBB388_27:
	s_or_b32 exec_lo, exec_lo, s14
	v_or_b32_e32 v25, 0xb00, v0
	v_cmp_gt_u32_e64 s13, s28, v25
	v_lshlrev_b32_e32 v51, 3, v25
	v_mov_b32_e32 v26, v2
	v_mov_b32_e32 v25, v1
	s_and_saveexec_b32 s15, s13
	s_cbranch_execz .LBB388_29
; %bb.28:
	v_add_co_u32 v25, s14, v53, v51
	v_add_co_ci_u32_e64 v26, null, 0, v54, s14
	flat_load_dwordx2 v[25:26], v[25:26]
.LBB388_29:
	s_or_b32 exec_lo, exec_lo, s15
	v_or_b32_e32 v27, 0xc00, v0
	v_cmp_gt_u32_e64 s14, s28, v27
	v_lshlrev_b32_e32 v55, 3, v27
	s_and_saveexec_b32 s16, s14
	s_cbranch_execz .LBB388_31
; %bb.30:
	v_add_co_u32 v1, s15, v53, v55
	v_add_co_ci_u32_e64 v2, null, 0, v54, s15
	flat_load_dwordx2 v[1:2], v[1:2]
.LBB388_31:
	s_or_b32 exec_lo, exec_lo, s16
	v_lshlrev_b32_e32 v56, 3, v0
	s_mov_b32 s16, exec_lo
	s_waitcnt vmcnt(0) lgkmcnt(0)
	ds_write2st64_b64 v56, v[3:4], v[5:6] offset1:4
	ds_write2st64_b64 v56, v[7:8], v[9:10] offset0:8 offset1:12
	ds_write2st64_b64 v56, v[11:12], v[13:14] offset0:16 offset1:20
	;; [unrolled: 1-line block ×5, first 2 shown]
	ds_write_b64 v56, v[1:2] offset:24576
	s_waitcnt lgkmcnt(0)
	s_barrier
	buffer_gl0_inv
	flat_load_dwordx2 v[77:78], v[53:54]
	v_mad_u32_u24 v104, 0x60, v0, v56
	ds_read_b64 v[79:80], v104
	ds_read2_b64 v[21:24], v104 offset0:1 offset1:2
	ds_read2_b64 v[17:20], v104 offset0:3 offset1:4
	;; [unrolled: 1-line block ×6, first 2 shown]
	v_mad_i32_i24 v25, 0xffffffa0, v0, v104
	s_waitcnt lgkmcnt(6)
	ds_write_b64 v25, v[79:80] offset:28672
	s_waitcnt vmcnt(0) lgkmcnt(0)
	s_barrier
	buffer_gl0_inv
	v_cmpx_ne_u32_e32 0xff, v0
; %bb.32:
	v_mul_i32_i24_e32 v25, 0xffffffa0, v0
	v_add_nc_u32_e32 v25, v104, v25
	ds_read_b64 v[77:78], v25 offset:28680
; %bb.33:
	s_or_b32 exec_lo, exec_lo, s16
	s_waitcnt lgkmcnt(0)
	s_barrier
	buffer_gl0_inv
                                        ; implicit-def: $vgpr25_vgpr26
	s_and_saveexec_b32 s15, vcc_lo
	s_cbranch_execz .LBB388_46
; %bb.34:
	v_add_co_u32 v25, vcc_lo, v90, v56
	v_add_co_ci_u32_e64 v26, null, 0, v91, vcc_lo
	flat_load_dwordx2 v[25:26], v[25:26]
	s_or_b32 exec_lo, exec_lo, s15
                                        ; implicit-def: $vgpr27_vgpr28
	s_and_saveexec_b32 s15, s3
	s_cbranch_execnz .LBB388_47
.LBB388_35:
	s_or_b32 exec_lo, exec_lo, s15
                                        ; implicit-def: $vgpr29_vgpr30
	s_and_saveexec_b32 s3, s4
	s_cbranch_execz .LBB388_48
.LBB388_36:
	v_add_co_u32 v29, vcc_lo, v90, v31
	v_add_co_ci_u32_e64 v30, null, 0, v91, vcc_lo
	flat_load_dwordx2 v[29:30], v[29:30]
	s_or_b32 exec_lo, exec_lo, s3
                                        ; implicit-def: $vgpr31_vgpr32
	s_and_saveexec_b32 s3, s5
	s_cbranch_execnz .LBB388_49
.LBB388_37:
	s_or_b32 exec_lo, exec_lo, s3
                                        ; implicit-def: $vgpr33_vgpr34
	s_and_saveexec_b32 s3, s6
	s_cbranch_execz .LBB388_50
.LBB388_38:
	v_add_co_u32 v33, vcc_lo, v90, v35
	v_add_co_ci_u32_e64 v34, null, 0, v91, vcc_lo
	flat_load_dwordx2 v[33:34], v[33:34]
	s_or_b32 exec_lo, exec_lo, s3
                                        ; implicit-def: $vgpr35_vgpr36
	s_and_saveexec_b32 s3, s7
	s_cbranch_execnz .LBB388_51
.LBB388_39:
	s_or_b32 exec_lo, exec_lo, s3
                                        ; implicit-def: $vgpr37_vgpr38
	s_and_saveexec_b32 s3, s8
	s_cbranch_execz .LBB388_52
.LBB388_40:
	v_add_co_u32 v37, vcc_lo, v90, v39
	v_add_co_ci_u32_e64 v38, null, 0, v91, vcc_lo
	flat_load_dwordx2 v[37:38], v[37:38]
	s_or_b32 exec_lo, exec_lo, s3
                                        ; implicit-def: $vgpr39_vgpr40
	s_and_saveexec_b32 s3, s9
	s_cbranch_execnz .LBB388_53
.LBB388_41:
	s_or_b32 exec_lo, exec_lo, s3
                                        ; implicit-def: $vgpr41_vgpr42
	s_and_saveexec_b32 s3, s10
	s_cbranch_execz .LBB388_54
.LBB388_42:
	v_add_co_u32 v41, vcc_lo, v90, v43
	v_add_co_ci_u32_e64 v42, null, 0, v91, vcc_lo
	flat_load_dwordx2 v[41:42], v[41:42]
	s_or_b32 exec_lo, exec_lo, s3
                                        ; implicit-def: $vgpr43_vgpr44
	s_and_saveexec_b32 s3, s11
	s_cbranch_execnz .LBB388_55
.LBB388_43:
	s_or_b32 exec_lo, exec_lo, s3
                                        ; implicit-def: $vgpr45_vgpr46
	s_and_saveexec_b32 s3, s12
	s_cbranch_execz .LBB388_56
.LBB388_44:
	v_add_co_u32 v45, vcc_lo, v90, v47
	v_add_co_ci_u32_e64 v46, null, 0, v91, vcc_lo
	flat_load_dwordx2 v[45:46], v[45:46]
	s_or_b32 exec_lo, exec_lo, s3
                                        ; implicit-def: $vgpr47_vgpr48
	s_and_saveexec_b32 s3, s13
	s_cbranch_execz .LBB388_58
	s_branch .LBB388_57
.LBB388_45:
	s_mov_b32 s3, 0
                                        ; implicit-def: $sgpr16
                                        ; implicit-def: $vgpr51_vgpr52
                                        ; implicit-def: $vgpr95
                                        ; implicit-def: $vgpr59_vgpr60
                                        ; implicit-def: $vgpr96
                                        ; implicit-def: $vgpr71_vgpr72
                                        ; implicit-def: $vgpr97
                                        ; implicit-def: $vgpr75_vgpr76
                                        ; implicit-def: $vgpr98
                                        ; implicit-def: $vgpr69_vgpr70
                                        ; implicit-def: $vgpr99
                                        ; implicit-def: $vgpr73_vgpr74
                                        ; implicit-def: $vgpr100
                                        ; implicit-def: $vgpr65_vgpr66
                                        ; implicit-def: $vgpr101
                                        ; implicit-def: $vgpr67_vgpr68
                                        ; implicit-def: $vgpr102
                                        ; implicit-def: $vgpr63_vgpr64
                                        ; implicit-def: $vgpr103
                                        ; implicit-def: $vgpr61_vgpr62
                                        ; implicit-def: $vgpr105
                                        ; implicit-def: $vgpr57_vgpr58
                                        ; implicit-def: $vgpr106
                                        ; implicit-def: $vgpr55_vgpr56
                                        ; implicit-def: $vgpr108
                                        ; implicit-def: $vgpr39_vgpr40
                                        ; implicit-def: $vgpr81
                                        ; implicit-def: $vgpr25_vgpr26
                                        ; implicit-def: $vgpr82
                                        ; implicit-def: $vgpr29_vgpr30
                                        ; implicit-def: $vgpr83
                                        ; implicit-def: $vgpr31_vgpr32
                                        ; implicit-def: $vgpr84
                                        ; implicit-def: $vgpr33_vgpr34
                                        ; implicit-def: $vgpr85
                                        ; implicit-def: $vgpr35_vgpr36
                                        ; implicit-def: $vgpr86
                                        ; implicit-def: $vgpr37_vgpr38
                                        ; implicit-def: $vgpr88
                                        ; implicit-def: $vgpr41_vgpr42
                                        ; implicit-def: $vgpr89
                                        ; implicit-def: $vgpr43_vgpr44
                                        ; implicit-def: $vgpr92
                                        ; implicit-def: $vgpr45_vgpr46
                                        ; implicit-def: $vgpr93
                                        ; implicit-def: $vgpr47_vgpr48
                                        ; implicit-def: $vgpr94
                                        ; implicit-def: $vgpr27_vgpr28
                                        ; implicit-def: $vgpr87
	v_lshlrev_b32_e32 v77, 3, v0
	s_cbranch_execz .LBB388_92
	s_branch .LBB388_87
.LBB388_46:
	s_or_b32 exec_lo, exec_lo, s15
                                        ; implicit-def: $vgpr27_vgpr28
	s_and_saveexec_b32 s15, s3
	s_cbranch_execz .LBB388_35
.LBB388_47:
	v_add_co_u32 v27, vcc_lo, v90, v29
	v_add_co_ci_u32_e64 v28, null, 0, v91, vcc_lo
	flat_load_dwordx2 v[27:28], v[27:28]
	s_or_b32 exec_lo, exec_lo, s15
                                        ; implicit-def: $vgpr29_vgpr30
	s_and_saveexec_b32 s3, s4
	s_cbranch_execnz .LBB388_36
.LBB388_48:
	s_or_b32 exec_lo, exec_lo, s3
                                        ; implicit-def: $vgpr31_vgpr32
	s_and_saveexec_b32 s3, s5
	s_cbranch_execz .LBB388_37
.LBB388_49:
	v_add_co_u32 v31, vcc_lo, v90, v33
	v_add_co_ci_u32_e64 v32, null, 0, v91, vcc_lo
	flat_load_dwordx2 v[31:32], v[31:32]
	s_or_b32 exec_lo, exec_lo, s3
                                        ; implicit-def: $vgpr33_vgpr34
	s_and_saveexec_b32 s3, s6
	s_cbranch_execnz .LBB388_38
.LBB388_50:
	s_or_b32 exec_lo, exec_lo, s3
                                        ; implicit-def: $vgpr35_vgpr36
	s_and_saveexec_b32 s3, s7
	s_cbranch_execz .LBB388_39
.LBB388_51:
	v_add_co_u32 v35, vcc_lo, v90, v37
	v_add_co_ci_u32_e64 v36, null, 0, v91, vcc_lo
	flat_load_dwordx2 v[35:36], v[35:36]
	s_or_b32 exec_lo, exec_lo, s3
                                        ; implicit-def: $vgpr37_vgpr38
	s_and_saveexec_b32 s3, s8
	s_cbranch_execnz .LBB388_40
.LBB388_52:
	s_or_b32 exec_lo, exec_lo, s3
                                        ; implicit-def: $vgpr39_vgpr40
	s_and_saveexec_b32 s3, s9
	s_cbranch_execz .LBB388_41
.LBB388_53:
	v_add_co_u32 v39, vcc_lo, v90, v41
	v_add_co_ci_u32_e64 v40, null, 0, v91, vcc_lo
	flat_load_dwordx2 v[39:40], v[39:40]
	s_or_b32 exec_lo, exec_lo, s3
                                        ; implicit-def: $vgpr41_vgpr42
	s_and_saveexec_b32 s3, s10
	s_cbranch_execnz .LBB388_42
.LBB388_54:
	s_or_b32 exec_lo, exec_lo, s3
                                        ; implicit-def: $vgpr43_vgpr44
	s_and_saveexec_b32 s3, s11
	s_cbranch_execz .LBB388_43
.LBB388_55:
	v_add_co_u32 v43, vcc_lo, v90, v45
	v_add_co_ci_u32_e64 v44, null, 0, v91, vcc_lo
	flat_load_dwordx2 v[43:44], v[43:44]
	s_or_b32 exec_lo, exec_lo, s3
                                        ; implicit-def: $vgpr45_vgpr46
	s_and_saveexec_b32 s3, s12
	s_cbranch_execnz .LBB388_44
.LBB388_56:
	s_or_b32 exec_lo, exec_lo, s3
                                        ; implicit-def: $vgpr47_vgpr48
	s_and_saveexec_b32 s3, s13
	s_cbranch_execz .LBB388_58
.LBB388_57:
	v_add_co_u32 v47, vcc_lo, v90, v51
	v_add_co_ci_u32_e64 v48, null, 0, v91, vcc_lo
	flat_load_dwordx2 v[47:48], v[47:48]
.LBB388_58:
	s_or_b32 exec_lo, exec_lo, s3
	v_mul_u32_u24_e32 v107, 13, v0
                                        ; implicit-def: $vgpr51_vgpr52
	s_and_saveexec_b32 s3, s14
	s_cbranch_execz .LBB388_60
; %bb.59:
	v_add_co_u32 v51, vcc_lo, v90, v55
	v_add_co_ci_u32_e64 v52, null, 0, v91, vcc_lo
	flat_load_dwordx2 v[51:52], v[51:52]
.LBB388_60:
	s_or_b32 exec_lo, exec_lo, s3
	s_waitcnt vmcnt(0) lgkmcnt(0)
	ds_write2st64_b64 v56, v[25:26], v[27:28] offset1:4
	ds_write2st64_b64 v56, v[29:30], v[31:32] offset0:8 offset1:12
	ds_write2st64_b64 v56, v[33:34], v[35:36] offset0:16 offset1:20
	;; [unrolled: 1-line block ×5, first 2 shown]
	ds_write_b64 v56, v[51:52] offset:24576
	v_mov_b32_e32 v51, 0
	v_mov_b32_e32 v59, 0
	v_mov_b32_e32 v71, 0
	v_mov_b32_e32 v75, 0
	v_mov_b32_e32 v69, 0
	v_mov_b32_e32 v73, 0
	v_mov_b32_e32 v65, 0
	v_mov_b32_e32 v67, 0
	v_mov_b32_e32 v63, 0
	v_mov_b32_e32 v61, 0
	v_mov_b32_e32 v57, 0
	v_mov_b32_e32 v55, 0
	v_mov_b32_e32 v39, 0
	v_mov_b32_e32 v25, 0
	v_mov_b32_e32 v29, 0
	v_mov_b32_e32 v31, 0
	v_mov_b32_e32 v33, 0
	v_mov_b32_e32 v35, 0
	v_mov_b32_e32 v37, 0
	v_mov_b32_e32 v41, 0
	v_mov_b32_e32 v43, 0
	v_mov_b32_e32 v45, 0
	v_mov_b32_e32 v47, 0
	v_mov_b32_e32 v27, 0
	v_cmp_gt_u32_e32 vcc_lo, s28, v107
	v_mov_b32_e32 v95, 0
	v_mov_b32_e32 v52, 0
	;; [unrolled: 1-line block ×48, first 2 shown]
	s_mov_b32 s15, 0
	s_mov_b32 s3, 0
	s_waitcnt lgkmcnt(0)
	s_barrier
	buffer_gl0_inv
                                        ; implicit-def: $sgpr16
	s_and_saveexec_b32 s17, vcc_lo
	s_cbranch_execz .LBB388_86
; %bb.61:
	ds_read_b64 v[25:26], v104
	v_cmp_ne_u64_e32 vcc_lo, v[79:80], v[21:22]
	v_add_nc_u32_e32 v27, 1, v107
	v_mov_b32_e32 v59, 0
	v_mov_b32_e32 v71, 0
	;; [unrolled: 1-line block ×7, first 2 shown]
	v_cmp_gt_u32_e64 s3, s28, v27
	v_mov_b32_e32 v63, 0
	v_mov_b32_e32 v61, 0
	;; [unrolled: 1-line block ×9, first 2 shown]
	s_waitcnt lgkmcnt(0)
	v_cndmask_b32_e64 v52, v26, s45, vcc_lo
	v_cndmask_b32_e64 v51, v25, s44, vcc_lo
	v_mov_b32_e32 v25, 0
	v_mov_b32_e32 v37, 0
	;; [unrolled: 1-line block ×52, first 2 shown]
	s_mov_b32 s4, 0
                                        ; implicit-def: $sgpr16
	s_and_saveexec_b32 s18, s3
	s_cbranch_execz .LBB388_85
; %bb.62:
	ds_read2_b64 v[25:28], v104 offset0:1 offset1:2
	v_cmp_ne_u64_e64 s3, v[21:22], v[23:24]
	v_add_nc_u32_e32 v21, 2, v107
	v_mov_b32_e32 v59, 0
	v_mov_b32_e32 v71, 0
	;; [unrolled: 1-line block ×17, first 2 shown]
	s_waitcnt lgkmcnt(0)
	v_cndmask_b32_e64 v56, v26, s45, s3
	v_cndmask_b32_e64 v55, v25, s44, s3
	v_mov_b32_e32 v25, 0
	v_mov_b32_e32 v43, 0
	;; [unrolled: 1-line block ×19, first 2 shown]
	v_cmp_gt_u32_e64 s4, s28, v21
	v_mov_b32_e32 v64, 0
	v_mov_b32_e32 v103, 0
	;; [unrolled: 1-line block ×26, first 2 shown]
	s_mov_b32 s5, 0
                                        ; implicit-def: $sgpr16
	s_and_saveexec_b32 s29, s4
	s_cbranch_execz .LBB388_84
; %bb.63:
	v_cmp_ne_u64_e64 s4, v[23:24], v[17:18]
	v_add_nc_u32_e32 v21, 3, v107
	v_mov_b32_e32 v59, 0
	v_mov_b32_e32 v71, 0
	;; [unrolled: 1-line block ×19, first 2 shown]
	v_cndmask_b32_e64 v58, v28, s45, s4
	v_mov_b32_e32 v60, 0
	v_mov_b32_e32 v95, 0
	v_cmp_gt_u32_e64 s5, s28, v21
	v_cndmask_b32_e64 v57, v27, s44, s4
	v_mov_b32_e32 v96, 0
	v_mov_b32_e32 v72, 0
	;; [unrolled: 1-line block ×35, first 2 shown]
	s_mov_b32 s6, 0
                                        ; implicit-def: $sgpr16
	s_and_saveexec_b32 s33, s5
	s_cbranch_execz .LBB388_83
; %bb.64:
	ds_read2_b64 v[21:24], v104 offset0:3 offset1:4
	v_cmp_ne_u64_e64 s5, v[17:18], v[19:20]
	v_add_nc_u32_e32 v17, 4, v107
	v_mov_b32_e32 v59, 0
	v_mov_b32_e32 v71, 0
	;; [unrolled: 1-line block ×32, first 2 shown]
	v_cmp_gt_u32_e64 s6, s28, v17
	s_waitcnt lgkmcnt(0)
	v_cndmask_b32_e64 v62, v22, s45, s5
	v_cndmask_b32_e64 v61, v21, s44, s5
	v_mov_b32_e32 v64, 0
	v_mov_b32_e32 v40, 0
	;; [unrolled: 1-line block ×18, first 2 shown]
	s_mov_b32 s7, 0
                                        ; implicit-def: $sgpr16
	s_and_saveexec_b32 s36, s6
	s_cbranch_execz .LBB388_82
; %bb.65:
	v_cmp_ne_u64_e64 s6, v[19:20], v[13:14]
	v_add_nc_u32_e32 v17, 5, v107
	v_mov_b32_e32 v59, 0
	v_mov_b32_e32 v71, 0
	;; [unrolled: 1-line block ×15, first 2 shown]
	v_cndmask_b32_e64 v64, v24, s45, s6
	v_mov_b32_e32 v60, 0
	v_mov_b32_e32 v95, 0
	v_cmp_gt_u32_e64 s7, s28, v17
	v_cndmask_b32_e64 v63, v23, s44, s6
	v_mov_b32_e32 v96, 0
	v_mov_b32_e32 v72, 0
	v_mov_b32_e32 v97, 0
	v_mov_b32_e32 v76, 0
	v_mov_b32_e32 v98, 0
	v_mov_b32_e32 v70, 0
	v_mov_b32_e32 v99, 0
	v_mov_b32_e32 v74, 0
	v_mov_b32_e32 v100, 0
	v_mov_b32_e32 v66, 0
	v_mov_b32_e32 v101, 0
	v_mov_b32_e32 v68, 0
	v_mov_b32_e32 v40, 0
	v_mov_b32_e32 v81, 0
	v_mov_b32_e32 v26, 0
	v_mov_b32_e32 v82, 0
	v_mov_b32_e32 v30, 0
	v_mov_b32_e32 v83, 0
	v_mov_b32_e32 v32, 0
	v_mov_b32_e32 v84, 0
	v_mov_b32_e32 v34, 0
	v_mov_b32_e32 v85, 0
	v_mov_b32_e32 v36, 0
	v_mov_b32_e32 v86, 0
	v_mov_b32_e32 v38, 0
	v_mov_b32_e32 v42, 0
	v_mov_b32_e32 v88, 0
	s_mov_b32 s8, 0
                                        ; implicit-def: $sgpr16
	s_and_saveexec_b32 s37, s7
	s_cbranch_execz .LBB388_81
; %bb.66:
	ds_read2_b64 v[17:20], v104 offset0:5 offset1:6
	v_cmp_ne_u64_e64 s7, v[13:14], v[15:16]
	v_mov_b32_e32 v59, 0
	v_mov_b32_e32 v71, 0
	;; [unrolled: 1-line block ×13, first 2 shown]
	v_add_nc_u32_e32 v13, 6, v107
	v_mov_b32_e32 v60, 0
	v_mov_b32_e32 v95, 0
	;; [unrolled: 1-line block ×15, first 2 shown]
	s_waitcnt lgkmcnt(0)
	v_cndmask_b32_e64 v68, v18, s45, s7
	v_cndmask_b32_e64 v67, v17, s44, s7
	v_mov_b32_e32 v82, 0
	v_mov_b32_e32 v30, 0
	;; [unrolled: 1-line block ×10, first 2 shown]
	s_mov_b32 s9, 0
	s_mov_b32 s38, exec_lo
                                        ; implicit-def: $sgpr16
	v_cmpx_gt_u32_e64 s28, v13
	s_cbranch_execz .LBB388_80
; %bb.67:
	v_cmp_ne_u64_e64 s8, v[15:16], v[9:10]
	v_add_nc_u32_e32 v13, 7, v107
	v_mov_b32_e32 v59, 0
	v_mov_b32_e32 v71, 0
	v_mov_b32_e32 v75, 0
	v_mov_b32_e32 v69, 0
	v_mov_b32_e32 v73, 0
	v_mov_b32_e32 v39, 0
	v_mov_b32_e32 v25, 0
	v_mov_b32_e32 v29, 0
	v_mov_b32_e32 v31, 0
	v_mov_b32_e32 v33, 0
	v_mov_b32_e32 v35, 0
	v_cndmask_b32_e64 v66, v20, s45, s8
	v_mov_b32_e32 v60, 0
	v_mov_b32_e32 v95, 0
	v_cmp_gt_u32_e64 s9, s28, v13
	v_cndmask_b32_e64 v65, v19, s44, s8
	v_mov_b32_e32 v96, 0
	v_mov_b32_e32 v72, 0
	;; [unrolled: 1-line block ×19, first 2 shown]
	s_mov_b32 s10, 0
                                        ; implicit-def: $sgpr16
	s_and_saveexec_b32 s39, s9
	s_cbranch_execz .LBB388_79
; %bb.68:
	ds_read2_b64 v[13:16], v104 offset0:7 offset1:8
	v_cmp_ne_u64_e64 s9, v[9:10], v[11:12]
	v_mov_b32_e32 v59, 0
	v_mov_b32_e32 v71, 0
	;; [unrolled: 1-line block ×9, first 2 shown]
	v_add_nc_u32_e32 v9, 8, v107
	v_mov_b32_e32 v60, 0
	v_mov_b32_e32 v95, 0
	;; [unrolled: 1-line block ×15, first 2 shown]
	s_waitcnt lgkmcnt(0)
	v_cndmask_b32_e64 v74, v14, s45, s9
	v_cndmask_b32_e64 v73, v13, s44, s9
	v_mov_b32_e32 v34, 0
	v_mov_b32_e32 v84, 0
	s_mov_b32 s11, 0
	s_mov_b32 s40, exec_lo
                                        ; implicit-def: $sgpr16
	v_cmpx_gt_u32_e64 s28, v9
	s_cbranch_execz .LBB388_78
; %bb.69:
	v_cmp_ne_u64_e64 s10, v[11:12], v[5:6]
	v_mov_b32_e32 v59, 0
	v_mov_b32_e32 v71, 0
	;; [unrolled: 1-line block ×7, first 2 shown]
	v_add_nc_u32_e32 v9, 9, v107
	v_cndmask_b32_e64 v70, v16, s45, s10
	v_mov_b32_e32 v60, 0
	v_mov_b32_e32 v95, 0
	v_cndmask_b32_e64 v69, v15, s44, s10
	v_mov_b32_e32 v96, 0
	v_mov_b32_e32 v72, 0
	v_mov_b32_e32 v97, 0
	v_mov_b32_e32 v76, 0
	v_mov_b32_e32 v40, 0
	v_mov_b32_e32 v81, 0
	v_mov_b32_e32 v26, 0
	v_mov_b32_e32 v82, 0
	v_mov_b32_e32 v30, 0
	v_mov_b32_e32 v32, 0
	v_mov_b32_e32 v83, 0
	s_mov_b32 s12, 0
	s_mov_b32 s41, exec_lo
                                        ; implicit-def: $sgpr16
	v_cmpx_gt_u32_e64 s28, v9
	s_cbranch_execz .LBB388_77
; %bb.70:
	ds_read2_b64 v[9:12], v104 offset0:9 offset1:10
	v_cmp_ne_u64_e64 s11, v[5:6], v[7:8]
	v_mov_b32_e32 v59, 0
	v_mov_b32_e32 v71, 0
	;; [unrolled: 1-line block ×4, first 2 shown]
	v_add_nc_u32_e32 v5, 10, v107
	v_mov_b32_e32 v60, 0
	v_mov_b32_e32 v95, 0
	;; [unrolled: 1-line block ×7, first 2 shown]
	s_mov_b32 s13, 0
	s_mov_b32 s48, exec_lo
                                        ; implicit-def: $sgpr16
	s_waitcnt lgkmcnt(0)
	v_cndmask_b32_e64 v76, v10, s45, s11
	v_cndmask_b32_e64 v75, v9, s44, s11
	v_cmpx_gt_u32_e64 s28, v5
	s_cbranch_execz .LBB388_76
; %bb.71:
	v_cmp_ne_u64_e64 s12, v[7:8], v[1:2]
	v_mov_b32_e32 v59, 0
	v_mov_b32_e32 v39, 0
	v_add_nc_u32_e32 v5, 11, v107
	v_mov_b32_e32 v60, 0
	v_mov_b32_e32 v40, 0
	v_cndmask_b32_e64 v72, v12, s45, s12
	v_cndmask_b32_e64 v71, v11, s44, s12
	v_mov_b32_e32 v95, 0
	s_mov_b32 s14, 0
	s_mov_b32 s49, exec_lo
                                        ; implicit-def: $sgpr16
	v_cmpx_gt_u32_e64 s28, v5
	s_cbranch_execz .LBB388_75
; %bb.72:
	ds_read2_b64 v[5:8], v104 offset0:11 offset1:12
	v_cmp_ne_u64_e64 s13, v[1:2], v[3:4]
	v_add_nc_u32_e32 v1, 12, v107
	v_mov_b32_e32 v39, 0
	v_mov_b32_e32 v40, 0
                                        ; implicit-def: $sgpr16
	v_cmp_gt_u32_e64 s14, s28, v1
	s_mov_b32 s28, 0
	s_waitcnt lgkmcnt(0)
	v_cndmask_b32_e64 v60, v6, s45, s13
	v_cndmask_b32_e64 v59, v5, s44, s13
	s_and_saveexec_b32 s50, s14
	s_xor_b32 s14, exec_lo, s50
; %bb.73:
	v_cmp_ne_u64_e64 s16, v[3:4], v[77:78]
	s_mov_b32 s28, exec_lo
	v_cndmask_b32_e64 v40, v8, s45, s16
	v_cndmask_b32_e64 v39, v7, s44, s16
; %bb.74:
	s_or_b32 exec_lo, exec_lo, s14
	v_cndmask_b32_e64 v95, 0, 1, s13
	s_and_b32 s14, s28, exec_lo
.LBB388_75:
	s_or_b32 exec_lo, exec_lo, s49
	v_cndmask_b32_e64 v96, 0, 1, s12
	v_mov_b32_e32 v29, v71
	v_mov_b32_e32 v30, v72
	s_and_b32 s13, s14, exec_lo
	v_mov_b32_e32 v82, v96
.LBB388_76:
	s_or_b32 exec_lo, exec_lo, s48
	v_cndmask_b32_e64 v97, 0, 1, s11
	v_mov_b32_e32 v25, v59
	v_mov_b32_e32 v31, v75
	;; [unrolled: 1-line block ×6, first 2 shown]
	s_and_b32 s12, s13, exec_lo
.LBB388_77:
	s_or_b32 exec_lo, exec_lo, s41
	v_cndmask_b32_e64 v98, 0, 1, s10
	v_mov_b32_e32 v33, v69
	v_mov_b32_e32 v34, v70
	s_and_b32 s11, s12, exec_lo
	v_mov_b32_e32 v84, v98
.LBB388_78:
	s_or_b32 exec_lo, exec_lo, s40
	v_cndmask_b32_e64 v99, 0, 1, s9
	v_mov_b32_e32 v35, v73
	v_mov_b32_e32 v36, v74
	s_and_b32 s10, s11, exec_lo
	v_mov_b32_e32 v85, v99
.LBB388_79:
	s_or_b32 exec_lo, exec_lo, s39
	v_cndmask_b32_e64 v100, 0, 1, s8
	v_mov_b32_e32 v37, v65
	v_mov_b32_e32 v38, v66
	s_and_b32 s9, s10, exec_lo
	v_mov_b32_e32 v86, v100
.LBB388_80:
	s_or_b32 exec_lo, exec_lo, s38
	v_cndmask_b32_e64 v101, 0, 1, s7
	v_mov_b32_e32 v41, v67
	v_mov_b32_e32 v42, v68
	s_and_b32 s8, s9, exec_lo
	v_mov_b32_e32 v88, v101
.LBB388_81:
	s_or_b32 exec_lo, exec_lo, s37
	v_cndmask_b32_e64 v102, 0, 1, s6
	v_mov_b32_e32 v43, v63
	v_mov_b32_e32 v44, v64
	s_and_b32 s7, s8, exec_lo
	v_mov_b32_e32 v89, v102
.LBB388_82:
	s_or_b32 exec_lo, exec_lo, s36
	v_cndmask_b32_e64 v103, 0, 1, s5
	v_mov_b32_e32 v45, v61
	v_mov_b32_e32 v46, v62
	s_and_b32 s6, s7, exec_lo
	v_mov_b32_e32 v92, v103
.LBB388_83:
	s_or_b32 exec_lo, exec_lo, s33
	v_cndmask_b32_e64 v105, 0, 1, s4
	v_mov_b32_e32 v47, v57
	v_mov_b32_e32 v48, v58
	s_and_b32 s5, s6, exec_lo
	v_mov_b32_e32 v93, v105
.LBB388_84:
	s_or_b32 exec_lo, exec_lo, s29
	v_cndmask_b32_e64 v106, 0, 1, s3
	v_mov_b32_e32 v27, v55
	v_mov_b32_e32 v28, v56
	s_and_b32 s4, s5, exec_lo
	v_mov_b32_e32 v94, v106
.LBB388_85:
	s_or_b32 exec_lo, exec_lo, s18
	v_cndmask_b32_e64 v108, 0, 1, vcc_lo
	s_and_b32 s3, s4, exec_lo
	v_mov_b32_e32 v87, v108
.LBB388_86:
	s_or_b32 exec_lo, exec_lo, s17
	v_lshlrev_b32_e32 v77, 3, v0
	s_and_b32 vcc_lo, exec_lo, s15
	s_cbranch_vccz .LBB388_92
.LBB388_87:
	v_add_co_u32 v1, vcc_lo, v53, v77
	v_add_co_ci_u32_e64 v2, null, 0, v54, vcc_lo
	v_mad_u32_u24 v55, 0x60, v0, v77
	v_add_co_u32 v3, vcc_lo, 0x800, v1
	v_add_co_ci_u32_e64 v4, null, 0, v2, vcc_lo
	v_add_co_u32 v5, vcc_lo, 0x1000, v1
	v_add_co_ci_u32_e64 v6, null, 0, v2, vcc_lo
	;; [unrolled: 2-line block ×10, first 2 shown]
	v_add_co_u32 v25, vcc_lo, 0x5800, v1
	s_clause 0x7
	flat_load_dwordx2 v[17:18], v[1:2]
	flat_load_dwordx2 v[3:4], v[3:4]
	;; [unrolled: 1-line block ×8, first 2 shown]
	v_add_co_ci_u32_e64 v26, null, 0, v2, vcc_lo
	v_add_co_u32 v1, vcc_lo, 0x6000, v1
	v_add_co_ci_u32_e64 v2, null, 0, v2, vcc_lo
	s_clause 0x4
	flat_load_dwordx2 v[19:20], v[19:20]
	flat_load_dwordx2 v[21:22], v[21:22]
	;; [unrolled: 1-line block ×5, first 2 shown]
	v_add_co_u32 v27, vcc_lo, 0x6800, v53
	v_add_co_ci_u32_e64 v28, null, 0, v54, vcc_lo
	s_mov_b32 s3, exec_lo
	s_waitcnt vmcnt(11) lgkmcnt(11)
	ds_write2st64_b64 v77, v[17:18], v[3:4] offset1:4
	s_waitcnt vmcnt(9) lgkmcnt(10)
	ds_write2st64_b64 v77, v[5:6], v[7:8] offset0:8 offset1:12
	s_waitcnt vmcnt(7) lgkmcnt(9)
	ds_write2st64_b64 v77, v[9:10], v[11:12] offset0:16 offset1:20
	;; [unrolled: 2-line block ×5, first 2 shown]
	s_waitcnt vmcnt(0) lgkmcnt(6)
	ds_write_b64 v77, v[1:2] offset:24576
	s_waitcnt lgkmcnt(0)
	s_barrier
	buffer_gl0_inv
	flat_load_dwordx2 v[53:54], v[27:28]
	ds_read_b64 v[51:52], v55
	ds_read2_b64 v[21:24], v55 offset0:1 offset1:2
	ds_read2_b64 v[17:20], v55 offset0:3 offset1:4
	;; [unrolled: 1-line block ×6, first 2 shown]
	v_mad_i32_i24 v25, 0xffffffa0, v0, v55
	s_waitcnt lgkmcnt(6)
	ds_write_b64 v25, v[51:52] offset:28672
	s_waitcnt vmcnt(0) lgkmcnt(0)
	s_barrier
	buffer_gl0_inv
	v_cmpx_ne_u32_e32 0xff, v0
; %bb.88:
	v_mul_i32_i24_e32 v25, 0xffffffa0, v0
	v_add_nc_u32_e32 v25, v55, v25
	ds_read_b64 v[53:54], v25 offset:28680
; %bb.89:
	s_or_b32 exec_lo, exec_lo, s3
	v_add_co_u32 v25, vcc_lo, v90, v77
	v_add_co_ci_u32_e64 v26, null, 0, v91, vcc_lo
	s_waitcnt lgkmcnt(0)
	v_add_co_u32 v27, vcc_lo, 0x800, v25
	v_add_co_ci_u32_e64 v28, null, 0, v26, vcc_lo
	v_add_co_u32 v29, vcc_lo, 0x1000, v25
	v_add_co_ci_u32_e64 v30, null, 0, v26, vcc_lo
	;; [unrolled: 2-line block ×10, first 2 shown]
	v_add_co_u32 v56, vcc_lo, 0x5800, v25
	s_barrier
	buffer_gl0_inv
	s_clause 0x7
	flat_load_dwordx2 v[41:42], v[25:26]
	flat_load_dwordx2 v[27:28], v[27:28]
	;; [unrolled: 1-line block ×8, first 2 shown]
	v_add_co_ci_u32_e64 v57, null, 0, v26, vcc_lo
	v_add_co_u32 v25, vcc_lo, 0x6000, v25
	v_add_co_ci_u32_e64 v26, null, 0, v26, vcc_lo
	s_clause 0x4
	flat_load_dwordx2 v[43:44], v[43:44]
	flat_load_dwordx2 v[45:46], v[45:46]
	;; [unrolled: 1-line block ×5, first 2 shown]
	v_cmp_ne_u64_e32 vcc_lo, v[51:52], v[21:22]
	v_cmp_eq_u64_e64 s3, v[51:52], v[21:22]
	v_mov_b32_e32 v52, s45
	v_mov_b32_e32 v51, s44
	s_waitcnt vmcnt(11) lgkmcnt(11)
	ds_write2st64_b64 v77, v[41:42], v[27:28] offset1:4
	s_waitcnt vmcnt(9) lgkmcnt(10)
	ds_write2st64_b64 v77, v[29:30], v[31:32] offset0:8 offset1:12
	s_waitcnt vmcnt(7) lgkmcnt(9)
	ds_write2st64_b64 v77, v[33:34], v[35:36] offset0:16 offset1:20
	;; [unrolled: 2-line block ×5, first 2 shown]
	s_waitcnt vmcnt(0) lgkmcnt(6)
	ds_write_b64 v77, v[25:26] offset:24576
	s_waitcnt lgkmcnt(0)
	s_barrier
	buffer_gl0_inv
	ds_read2_b64 v[45:48], v55 offset0:1 offset1:2
	ds_read2_b64 v[41:44], v55 offset0:3 offset1:4
	;; [unrolled: 1-line block ×6, first 2 shown]
	s_and_saveexec_b32 s4, s3
; %bb.90:
	ds_read_b64 v[51:52], v55
; %bb.91:
	s_or_b32 exec_lo, exec_lo, s4
	v_cndmask_b32_e64 v108, 0, 1, vcc_lo
	v_cmp_ne_u64_e32 vcc_lo, v[21:22], v[23:24]
	v_cmp_ne_u64_e64 s3, v[23:24], v[17:18]
	v_cmp_ne_u64_e64 s4, v[17:18], v[19:20]
	;; [unrolled: 1-line block ×11, first 2 shown]
	s_waitcnt lgkmcnt(5)
	v_cndmask_b32_e64 v55, v45, s44, vcc_lo
	v_cndmask_b32_e64 v57, v47, s44, s3
	s_waitcnt lgkmcnt(4)
	v_cndmask_b32_e64 v61, v41, s44, s4
	v_cndmask_b32_e64 v63, v43, s44, s5
	s_waitcnt lgkmcnt(3)
	v_cndmask_b32_e64 v67, v37, s44, s6
	;; [unrolled: 3-line block ×4, first 2 shown]
	s_waitcnt lgkmcnt(0)
	v_cndmask_b32_e64 v59, v25, s44, s12
	v_cndmask_b32_e64 v71, v31, s44, s11
	v_cndmask_b32_e64 v106, 0, 1, vcc_lo
	v_cndmask_b32_e64 v105, 0, 1, s3
	v_cndmask_b32_e64 v103, 0, 1, s4
	;; [unrolled: 1-line block ×10, first 2 shown]
	v_cndmask_b32_e64 v56, v46, s45, vcc_lo
	v_cndmask_b32_e64 v58, v48, s45, s3
	v_cndmask_b32_e64 v62, v42, s45, s4
	;; [unrolled: 1-line block ×12, first 2 shown]
	v_mov_b32_e32 v25, v59
	v_mov_b32_e32 v29, v71
	;; [unrolled: 1-line block ×34, first 2 shown]
	s_mov_b32 s3, -1
.LBB388_92:
	v_mov_b32_e32 v12, 0
	s_and_saveexec_b32 s4, s3
	s_cbranch_execz .LBB388_94
; %bb.93:
	v_mov_b32_e32 v27, v55
	v_mov_b32_e32 v47, v57
	;; [unrolled: 1-line block ×11, first 2 shown]
	v_cndmask_b32_e64 v12, 0, 1, s16
	v_mov_b32_e32 v87, v108
	v_mov_b32_e32 v28, v56
	;; [unrolled: 1-line block ×23, first 2 shown]
.LBB388_94:
	s_or_b32 exec_lo, exec_lo, s4
	v_and_b32_e32 v21, 1, v92
	v_and_b32_e32 v18, 1, v86
	;; [unrolled: 1-line block ×4, first 2 shown]
	v_or_b32_e32 v13, v93, v94
	v_or_b32_e32 v15, v88, v89
	;; [unrolled: 1-line block ×4, first 2 shown]
	v_cmp_eq_u32_e64 s16, 1, v21
	v_cmp_eq_u32_e64 s15, 1, v18
	;; [unrolled: 1-line block ×3, first 2 shown]
	v_cmp_eq_u16_e64 s14, 0, v12
	v_and_b32_e32 v17, 1, v12
	v_mbcnt_lo_u32_b32 v11, -1, 0
	s_cmp_lg_u32 s27, 0
	v_cmp_eq_u32_e32 vcc_lo, 1, v20
	s_barrier
	buffer_gl0_inv
	s_cbranch_scc0 .LBB388_152
; %bb.95:
	v_mov_b32_e32 v1, 0
	v_cmp_eq_u32_e64 s18, 1, v17
	v_cmp_eq_u16_sdwa s12, v94, v1 src0_sel:BYTE_0 src1_sel:DWORD
	v_cmp_eq_u16_sdwa s11, v93, v1 src0_sel:BYTE_0 src1_sel:DWORD
	v_cmp_eq_u16_sdwa s10, v92, v1 src0_sel:BYTE_0 src1_sel:DWORD
	v_cmp_eq_u16_sdwa s9, v89, v1 src0_sel:BYTE_0 src1_sel:DWORD
	v_cmp_eq_u16_sdwa s8, v88, v1 src0_sel:BYTE_0 src1_sel:DWORD
	v_cndmask_b32_e64 v3, 0, v51, s12
	v_cndmask_b32_e64 v2, 0, v52, s12
	v_cmp_eq_u16_sdwa s7, v86, v1 src0_sel:BYTE_0 src1_sel:DWORD
	v_cmp_eq_u16_sdwa s6, v85, v1 src0_sel:BYTE_0 src1_sel:DWORD
	;; [unrolled: 1-line block ×3, first 2 shown]
	v_add_co_u32 v3, s3, v3, v27
	v_add_co_ci_u32_e64 v2, null, v2, v28, s3
	v_cmp_eq_u16_sdwa s4, v83, v1 src0_sel:BYTE_0 src1_sel:DWORD
	v_cndmask_b32_e64 v3, 0, v3, s11
	v_cmp_ne_u16_sdwa s28, v13, v1 src0_sel:BYTE_0 src1_sel:DWORD
	v_cndmask_b32_e64 v2, 0, v2, s11
	v_cmp_ne_u16_sdwa s29, v15, v1 src0_sel:BYTE_0 src1_sel:DWORD
	v_cmp_ne_u16_sdwa s33, v16, v1 src0_sel:BYTE_0 src1_sel:DWORD
	v_add_co_u32 v3, s3, v3, v47
	v_add_co_ci_u32_e64 v2, null, v2, v48, s3
	v_cmp_ne_u16_sdwa s36, v14, v1 src0_sel:BYTE_0 src1_sel:DWORD
	v_cndmask_b32_e64 v3, 0, v3, s10
	s_or_b32 s16, s28, s16
	v_cndmask_b32_e64 v2, 0, v2, s10
	s_or_b32 s28, s29, s15
	s_or_b32 s17, s33, s17
	v_add_co_u32 v3, s3, v3, v45
	v_add_co_ci_u32_e64 v2, null, v2, v46, s3
	s_or_b32 s18, s36, s18
	v_cndmask_b32_e64 v3, 0, v3, s9
	s_or_b32 s17, s18, s17
	v_cndmask_b32_e64 v2, 0, v2, s9
	s_or_b32 s17, s17, s28
	v_add_co_u32 v3, s3, v3, v43
	v_add_co_ci_u32_e64 v2, null, v2, v44, s3
	v_cndmask_b32_e64 v3, 0, v3, s8
	v_cndmask_b32_e64 v2, 0, v2, s8
	v_add_co_u32 v3, s3, v3, v41
	v_add_co_ci_u32_e64 v2, null, v2, v42, s3
	v_cndmask_b32_e64 v3, 0, v3, s7
	v_cndmask_b32_e64 v2, 0, v2, s7
	;; [unrolled: 4-line block ×5, first 2 shown]
	v_add_co_u32 v3, s3, v3, v31
	v_add_co_ci_u32_e64 v2, null, v2, v32, s3
	v_cmp_eq_u16_sdwa s3, v82, v1 src0_sel:BYTE_0 src1_sel:DWORD
	v_cndmask_b32_e64 v3, 0, v3, s3
	v_cndmask_b32_e64 v2, 0, v2, s3
	v_add_co_u32 v3, s13, v3, v29
	v_add_co_ci_u32_e64 v2, null, v2, v30, s13
	v_cmp_eq_u16_sdwa s13, v81, v1 src0_sel:BYTE_0 src1_sel:DWORD
	v_cndmask_b32_e64 v1, 0, v2, s13
	v_cndmask_b32_e64 v2, 0, v3, s13
	v_add_co_u32 v2, s15, v2, v25
	v_add_co_ci_u32_e64 v1, null, v1, v26, s15
	s_or_b32 s15, s17, s16
	v_cndmask_b32_e64 v3, 0, v2, s14
	s_or_b32 s15, s15, vcc_lo
	v_cndmask_b32_e64 v1, 0, v1, s14
	v_cndmask_b32_e64 v2, 0, 1, s15
	;; [unrolled: 1-line block ×3, first 2 shown]
	v_add_co_u32 v3, vcc_lo, v3, v39
	v_add_co_ci_u32_e64 v4, null, v1, v40, vcc_lo
	v_and_b32_e32 v1, 15, v11
	v_mov_b32_dpp v8, v2 row_shr:1 row_mask:0xf bank_mask:0xf
	v_mov_b32_dpp v6, v3 row_shr:1 row_mask:0xf bank_mask:0xf
	;; [unrolled: 1-line block ×3, first 2 shown]
	s_mov_b32 s14, exec_lo
	v_cmpx_ne_u32_e32 0, v1
	s_cbranch_execz .LBB388_97
; %bb.96:
	v_and_b32_e32 v2, 1, v8
	v_cndmask_b32_e64 v6, v6, 0, s15
	v_cndmask_b32_e64 v7, v7, 0, s15
	v_or_b32_e32 v5, v2, v5
	v_add_co_u32 v3, vcc_lo, v6, v3
	v_add_co_ci_u32_e64 v4, null, v7, v4, vcc_lo
	v_and_b32_e32 v2, 0xffff, v5
.LBB388_97:
	s_or_b32 exec_lo, exec_lo, s14
	v_mov_b32_dpp v6, v3 row_shr:2 row_mask:0xf bank_mask:0xf
	v_mov_b32_dpp v7, v4 row_shr:2 row_mask:0xf bank_mask:0xf
	v_mov_b32_dpp v8, v2 row_shr:2 row_mask:0xf bank_mask:0xf
	s_mov_b32 s16, exec_lo
	v_cmpx_lt_u32_e32 1, v1
	s_cbranch_execz .LBB388_99
; %bb.98:
	v_cmp_eq_u16_e32 vcc_lo, 0, v5
	v_and_b32_e32 v2, 1, v5
	v_and_b32_e32 v5, 1, v8
	v_cndmask_b32_e32 v7, 0, v7, vcc_lo
	v_cndmask_b32_e32 v6, 0, v6, vcc_lo
	v_cmp_eq_u32_e32 vcc_lo, 1, v2
	v_cmp_eq_u32_e64 s14, 1, v5
	v_add_co_u32 v3, s15, v6, v3
	s_or_b32 s14, vcc_lo, s14
	v_add_co_ci_u32_e64 v4, null, v7, v4, s15
	v_cndmask_b32_e64 v5, 0, 1, s14
	v_cndmask_b32_e64 v2, 0, 1, s14
.LBB388_99:
	s_or_b32 exec_lo, exec_lo, s16
	v_mov_b32_dpp v6, v3 row_shr:4 row_mask:0xf bank_mask:0xf
	v_mov_b32_dpp v7, v4 row_shr:4 row_mask:0xf bank_mask:0xf
	v_mov_b32_dpp v8, v2 row_shr:4 row_mask:0xf bank_mask:0xf
	s_mov_b32 s16, exec_lo
	v_cmpx_lt_u32_e32 3, v1
	s_cbranch_execz .LBB388_101
; %bb.100:
	v_cmp_eq_u16_e32 vcc_lo, 0, v5
	v_and_b32_e32 v2, 1, v5
	v_and_b32_e32 v5, 1, v8
	v_cndmask_b32_e32 v7, 0, v7, vcc_lo
	v_cndmask_b32_e32 v6, 0, v6, vcc_lo
	v_cmp_eq_u32_e32 vcc_lo, 1, v2
	v_cmp_eq_u32_e64 s14, 1, v5
	v_add_co_u32 v3, s15, v6, v3
	s_or_b32 s14, vcc_lo, s14
	v_add_co_ci_u32_e64 v4, null, v7, v4, s15
	v_cndmask_b32_e64 v5, 0, 1, s14
	v_cndmask_b32_e64 v2, 0, 1, s14
.LBB388_101:
	;; [unrolled: 21-line block ×3, first 2 shown]
	s_or_b32 exec_lo, exec_lo, s16
	ds_swizzle_b32 v1, v3 offset:swizzle(BROADCAST,32,15)
	ds_swizzle_b32 v6, v4 offset:swizzle(BROADCAST,32,15)
	ds_swizzle_b32 v2, v2 offset:swizzle(BROADCAST,32,15)
	v_and_b32_e32 v7, 16, v11
	s_mov_b32 s16, exec_lo
	v_cmpx_ne_u32_e32 0, v7
	s_cbranch_execz .LBB388_105
; %bb.104:
	v_cmp_eq_u16_e32 vcc_lo, 0, v5
	v_and_b32_e32 v5, 1, v5
	s_waitcnt lgkmcnt(0)
	v_and_b32_e32 v2, 1, v2
	v_cndmask_b32_e32 v6, 0, v6, vcc_lo
	v_cndmask_b32_e32 v1, 0, v1, vcc_lo
	v_cmp_eq_u32_e32 vcc_lo, 1, v5
	v_cmp_eq_u32_e64 s14, 1, v2
	v_add_co_u32 v3, s15, v1, v3
	s_or_b32 s14, vcc_lo, s14
	v_add_co_ci_u32_e64 v4, null, v6, v4, s15
	v_cndmask_b32_e64 v5, 0, 1, s14
.LBB388_105:
	s_or_b32 exec_lo, exec_lo, s16
	s_waitcnt lgkmcnt(0)
	v_lshrrev_b32_e32 v2, 5, v0
	v_or_b32_e32 v1, 31, v0
	s_mov_b32 s14, exec_lo
	v_lshlrev_b32_e32 v6, 4, v2
	v_cmpx_eq_u32_e64 v0, v1
	s_cbranch_execz .LBB388_107
; %bb.106:
	ds_write_b64 v6, v[3:4]
	ds_write_b8 v6, v5 offset:8
.LBB388_107:
	s_or_b32 exec_lo, exec_lo, s14
	s_mov_b32 s16, exec_lo
	s_waitcnt lgkmcnt(0)
	s_barrier
	buffer_gl0_inv
	v_cmpx_gt_u32_e32 8, v0
	s_cbranch_execz .LBB388_115
; %bb.108:
	v_lshlrev_b32_e32 v7, 4, v0
	v_and_b32_e32 v8, 7, v11
	s_mov_b32 s14, exec_lo
	ds_read_b64 v[1:2], v7
	ds_read_b32 v23, v7 offset:8
	s_waitcnt lgkmcnt(1)
	v_mov_b32_dpp v24, v1 row_shr:1 row_mask:0xf bank_mask:0xf
	v_mov_b32_dpp v53, v2 row_shr:1 row_mask:0xf bank_mask:0xf
	s_waitcnt lgkmcnt(0)
	v_and_b32_e32 v10, 0xffffff00, v23
	v_mov_b32_dpp v54, v23 row_shr:1 row_mask:0xf bank_mask:0xf
	v_mov_b32_e32 v22, v23
	v_mov_b32_e32 v9, v23
	v_cmpx_ne_u32_e32 0, v8
	s_cbranch_execz .LBB388_110
; %bb.109:
	v_mov_b32_e32 v9, 0
	v_cmp_eq_u16_sdwa vcc_lo, v23, v9 src0_sel:BYTE_0 src1_sel:DWORD
	v_or_b32_e32 v9, v54, v23
	v_cndmask_b32_e32 v24, 0, v24, vcc_lo
	v_cndmask_b32_e32 v23, 0, v53, vcc_lo
	v_and_b32_e32 v22, 1, v9
	v_and_b32_e32 v9, 1, v9
	v_add_co_u32 v1, vcc_lo, v24, v1
	v_add_co_ci_u32_e64 v2, null, v23, v2, vcc_lo
	v_or_b32_e32 v23, v9, v10
.LBB388_110:
	s_or_b32 exec_lo, exec_lo, s14
	v_mov_b32_dpp v24, v1 row_shr:2 row_mask:0xf bank_mask:0xf
	v_mov_b32_dpp v53, v2 row_shr:2 row_mask:0xf bank_mask:0xf
	;; [unrolled: 1-line block ×3, first 2 shown]
	s_mov_b32 s17, exec_lo
	v_cmpx_lt_u32_e32 1, v8
	s_cbranch_execz .LBB388_112
; %bb.111:
	v_mov_b32_e32 v22, 0
	v_and_b32_e32 v23, 1, v9
	v_and_b32_e32 v54, 1, v54
	v_cmp_eq_u16_sdwa vcc_lo, v9, v22 src0_sel:BYTE_0 src1_sel:DWORD
	v_cmp_eq_u32_e64 s14, 1, v23
	v_cmp_eq_u32_e64 s15, 1, v54
	v_cndmask_b32_e32 v23, 0, v24, vcc_lo
	v_cndmask_b32_e32 v9, 0, v53, vcc_lo
	s_or_b32 s14, s14, s15
	v_cndmask_b32_e64 v22, 0, 1, s14
	v_cndmask_b32_e64 v24, 0, 1, s14
	v_add_co_u32 v1, vcc_lo, v23, v1
	v_add_co_ci_u32_e64 v2, null, v9, v2, vcc_lo
	v_or_b32_e32 v23, v10, v24
	v_mov_b32_e32 v9, v22
.LBB388_112:
	s_or_b32 exec_lo, exec_lo, s17
	v_mov_b32_dpp v10, v1 row_shr:4 row_mask:0xf bank_mask:0xf
	v_mov_b32_dpp v24, v2 row_shr:4 row_mask:0xf bank_mask:0xf
	v_mov_b32_dpp v23, v23 row_shr:4 row_mask:0xf bank_mask:0xf
	s_mov_b32 s17, exec_lo
	v_cmpx_lt_u32_e32 3, v8
	s_cbranch_execz .LBB388_114
; %bb.113:
	v_mov_b32_e32 v8, 0
	v_cmp_eq_u16_sdwa vcc_lo, v9, v8 src0_sel:BYTE_0 src1_sel:DWORD
	v_and_b32_e32 v8, 1, v9
	v_and_b32_e32 v9, 1, v23
	v_cndmask_b32_e32 v22, 0, v24, vcc_lo
	v_cndmask_b32_e32 v10, 0, v10, vcc_lo
	v_cmp_eq_u32_e32 vcc_lo, 1, v8
	v_cmp_eq_u32_e64 s14, 1, v9
	v_add_co_u32 v1, s15, v10, v1
	s_or_b32 s14, vcc_lo, s14
	v_add_co_ci_u32_e64 v2, null, v22, v2, s15
	v_cndmask_b32_e64 v22, 0, 1, s14
.LBB388_114:
	s_or_b32 exec_lo, exec_lo, s17
	ds_write_b64 v7, v[1:2]
	ds_write_b8 v7, v22 offset:8
.LBB388_115:
	s_or_b32 exec_lo, exec_lo, s16
	v_mov_b32_e32 v1, 0
	v_mov_b32_e32 v2, 0
	v_mov_b32_e32 v22, 0
	s_mov_b32 s15, exec_lo
	v_cmp_gt_u32_e32 vcc_lo, 32, v0
	s_waitcnt lgkmcnt(0)
	s_barrier
	buffer_gl0_inv
	v_cmpx_lt_u32_e32 31, v0
	s_cbranch_execz .LBB388_117
; %bb.116:
	v_add_nc_u32_e32 v1, -16, v6
	v_add_nc_u32_e32 v6, -8, v6
	v_cmp_eq_u16_e64 s14, 0, v5
	ds_read_b64 v[1:2], v1
	ds_read_u8 v22, v6
	s_waitcnt lgkmcnt(1)
	v_cndmask_b32_e64 v7, 0, v1, s14
	v_cndmask_b32_e64 v6, 0, v2, s14
	s_waitcnt lgkmcnt(0)
	v_or_b32_e32 v5, v22, v5
	v_add_co_u32 v3, s14, v3, v7
	v_add_co_ci_u32_e64 v4, null, v4, v6, s14
.LBB388_117:
	s_or_b32 exec_lo, exec_lo, s15
	v_sub_co_u32 v6, s14, v11, 1
	v_and_b32_e32 v5, 0xff, v5
	v_cmp_gt_i32_e64 s15, 0, v6
	v_cndmask_b32_e64 v6, v6, v11, s15
	v_lshlrev_b32_e32 v6, 2, v6
	ds_bpermute_b32 v24, v6, v3
	ds_bpermute_b32 v23, v6, v4
	;; [unrolled: 1-line block ×3, first 2 shown]
	s_and_saveexec_b32 s17, vcc_lo
	s_cbranch_execz .LBB388_157
; %bb.118:
	v_mov_b32_e32 v7, 0
	ds_read_b64 v[3:4], v7 offset:112
	ds_read_u8 v53, v7 offset:120
	s_and_saveexec_b32 s15, s14
	s_cbranch_execz .LBB388_120
; %bb.119:
	s_add_i32 s28, s27, 32
	s_mov_b32 s29, 0
	v_mov_b32_e32 v5, 1
	s_lshl_b64 s[36:37], s[28:29], 4
	v_mov_b32_e32 v6, s28
	s_add_u32 s36, s20, s36
	s_addc_u32 s37, s21, s37
	s_waitcnt lgkmcnt(1)
	global_store_dwordx2 v7, v[3:4], s[36:37]
	s_waitcnt lgkmcnt(0)
	global_store_byte v7, v53, s[36:37] offset:8
	s_waitcnt_vscnt null, 0x0
	buffer_gl1_inv
	buffer_gl0_inv
	global_store_byte v6, v5, s[24:25]
.LBB388_120:
	s_or_b32 exec_lo, exec_lo, s15
	v_xad_u32 v5, v11, -1, s27
	s_mov_b32 s16, 0
	s_mov_b32 s15, exec_lo
	v_add_nc_u32_e32 v6, 32, v5
	global_load_ubyte v54, v6, s[24:25] glc dlc
	s_waitcnt vmcnt(0)
	v_cmpx_eq_u16_e32 0, v54
	s_cbranch_execz .LBB388_124
; %bb.121:
	v_add_co_u32 v8, s18, s24, v6
	v_add_co_ci_u32_e64 v9, null, s25, 0, s18
.LBB388_122:                            ; =>This Inner Loop Header: Depth=1
	global_load_ubyte v54, v[8:9], off glc dlc
	s_waitcnt vmcnt(0)
	v_cmp_ne_u16_e32 vcc_lo, 0, v54
	s_or_b32 s16, vcc_lo, s16
	s_andn2_b32 exec_lo, exec_lo, s16
	s_cbranch_execnz .LBB388_122
; %bb.123:
	s_or_b32 exec_lo, exec_lo, s16
.LBB388_124:
	s_or_b32 exec_lo, exec_lo, s15
	v_cmp_eq_u16_e32 vcc_lo, 1, v54
	v_mov_b32_e32 v9, s20
	v_mov_b32_e32 v8, s21
	v_lshlrev_b64 v[6:7], 4, v[6:7]
	s_waitcnt lgkmcnt(0)
	s_waitcnt_vscnt null, 0x0
	buffer_gl1_inv
	buffer_gl0_inv
	v_lshlrev_b32_e64 v57, v11, -1
	v_cndmask_b32_e32 v9, s22, v9, vcc_lo
	v_cndmask_b32_e32 v8, s23, v8, vcc_lo
	s_mov_b32 s15, exec_lo
	v_add_co_u32 v6, vcc_lo, v9, v6
	v_add_co_ci_u32_e64 v7, null, v8, v7, vcc_lo
	v_cmp_ne_u32_e32 vcc_lo, 31, v11
	s_clause 0x1
	global_load_ubyte v68, v[6:7], off offset:8
	global_load_dwordx2 v[9:10], v[6:7], off
	v_add_co_ci_u32_e64 v6, null, 0, v11, vcc_lo
	v_cmp_eq_u16_e32 vcc_lo, 2, v54
	v_lshlrev_b32_e32 v56, 2, v6
	v_and_or_b32 v6, vcc_lo, v57, 0x80000000
	v_ffbl_b32_e32 v6, v6
	s_waitcnt vmcnt(1)
	v_and_b32_e32 v7, 1, v68
	s_waitcnt vmcnt(0)
	ds_bpermute_b32 v8, v56, v9
	ds_bpermute_b32 v58, v56, v10
	;; [unrolled: 1-line block ×3, first 2 shown]
	v_cmpx_lt_u32_e64 v11, v6
	s_cbranch_execz .LBB388_126
; %bb.125:
	v_mov_b32_e32 v7, 0
	v_cmp_eq_u16_sdwa vcc_lo, v68, v7 src0_sel:BYTE_0 src1_sel:DWORD
	s_waitcnt lgkmcnt(0)
	v_and_b32_e32 v7, 1, v59
	v_cndmask_b32_e32 v8, 0, v8, vcc_lo
	v_cndmask_b32_e32 v58, 0, v58, vcc_lo
	v_or_b32_e32 v68, v7, v68
	v_add_co_u32 v9, vcc_lo, v8, v9
	v_add_co_ci_u32_e64 v10, null, v58, v10, vcc_lo
	v_and_b32_e32 v7, 0xff, v68
.LBB388_126:
	s_or_b32 exec_lo, exec_lo, s15
	v_cmp_gt_u32_e32 vcc_lo, 30, v11
	s_waitcnt lgkmcnt(0)
	v_add_nc_u32_e32 v59, 2, v11
	s_mov_b32 s18, exec_lo
	v_cndmask_b32_e64 v8, 0, 2, vcc_lo
	v_add_lshl_u32 v58, v8, v11, 2
	ds_bpermute_b32 v8, v58, v9
	ds_bpermute_b32 v60, v58, v10
	ds_bpermute_b32 v61, v58, v7
	v_cmpx_le_u32_e64 v59, v6
	s_cbranch_execz .LBB388_128
; %bb.127:
	v_mov_b32_e32 v7, 0
	v_and_b32_e32 v62, 1, v68
	s_waitcnt lgkmcnt(0)
	v_and_b32_e32 v61, 1, v61
	v_cmp_eq_u16_sdwa vcc_lo, v68, v7 src0_sel:BYTE_0 src1_sel:DWORD
	v_cmp_eq_u32_e64 s15, 1, v62
	v_cmp_eq_u32_e64 s16, 1, v61
	v_cndmask_b32_e32 v8, 0, v8, vcc_lo
	v_cndmask_b32_e32 v7, 0, v60, vcc_lo
	s_or_b32 s15, s15, s16
	v_cndmask_b32_e64 v68, 0, 1, s15
	v_add_co_u32 v9, vcc_lo, v8, v9
	v_add_co_ci_u32_e64 v10, null, v7, v10, vcc_lo
	v_cndmask_b32_e64 v7, 0, 1, s15
.LBB388_128:
	s_or_b32 exec_lo, exec_lo, s18
	v_cmp_gt_u32_e32 vcc_lo, 28, v11
	s_waitcnt lgkmcnt(0)
	v_add_nc_u32_e32 v61, 4, v11
	s_mov_b32 s18, exec_lo
	v_cndmask_b32_e64 v8, 0, 4, vcc_lo
	v_add_lshl_u32 v60, v8, v11, 2
	ds_bpermute_b32 v8, v60, v9
	ds_bpermute_b32 v62, v60, v10
	ds_bpermute_b32 v63, v60, v7
	v_cmpx_le_u32_e64 v61, v6
	s_cbranch_execz .LBB388_130
; %bb.129:
	v_mov_b32_e32 v7, 0
	v_and_b32_e32 v64, 1, v68
	s_waitcnt lgkmcnt(0)
	v_and_b32_e32 v63, 1, v63
	v_cmp_eq_u16_sdwa vcc_lo, v68, v7 src0_sel:BYTE_0 src1_sel:DWORD
	v_cmp_eq_u32_e64 s15, 1, v64
	v_cmp_eq_u32_e64 s16, 1, v63
	v_cndmask_b32_e32 v8, 0, v8, vcc_lo
	v_cndmask_b32_e32 v7, 0, v62, vcc_lo
	s_or_b32 s15, s15, s16
	v_cndmask_b32_e64 v68, 0, 1, s15
	v_add_co_u32 v9, vcc_lo, v8, v9
	v_add_co_ci_u32_e64 v10, null, v7, v10, vcc_lo
	v_cndmask_b32_e64 v7, 0, 1, s15
.LBB388_130:
	;; [unrolled: 28-line block ×3, first 2 shown]
	s_or_b32 exec_lo, exec_lo, s18
	s_waitcnt lgkmcnt(0)
	v_lshl_or_b32 v65, v11, 2, 64
	v_add_nc_u32_e32 v66, 16, v11
	s_mov_b32 s18, exec_lo
	ds_bpermute_b32 v8, v65, v9
	ds_bpermute_b32 v64, v65, v10
	;; [unrolled: 1-line block ×3, first 2 shown]
	v_cmpx_le_u32_e64 v66, v6
	s_cbranch_execz .LBB388_134
; %bb.133:
	v_mov_b32_e32 v6, 0
	s_waitcnt lgkmcnt(0)
	v_and_b32_e32 v7, 1, v7
	v_cmp_eq_u16_sdwa vcc_lo, v68, v6 src0_sel:BYTE_0 src1_sel:DWORD
	v_and_b32_e32 v6, 1, v68
	v_cmp_eq_u32_e64 s15, 1, v7
	v_cndmask_b32_e32 v64, 0, v64, vcc_lo
	v_cndmask_b32_e32 v8, 0, v8, vcc_lo
	v_cmp_eq_u32_e32 vcc_lo, 1, v6
	v_add_co_u32 v9, s16, v8, v9
	s_or_b32 s15, vcc_lo, s15
	v_add_co_ci_u32_e64 v10, null, v64, v10, s16
	v_cndmask_b32_e64 v68, 0, 1, s15
.LBB388_134:
	s_or_b32 exec_lo, exec_lo, s18
	v_mov_b32_e32 v6, 0
	v_mov_b32_e32 v67, 2
	s_branch .LBB388_137
.LBB388_135:                            ;   in Loop: Header=BB388_137 Depth=1
	s_or_b32 exec_lo, exec_lo, s28
	v_cmp_eq_u16_sdwa vcc_lo, v64, v6 src0_sel:BYTE_0 src1_sel:DWORD
	v_and_b32_e32 v68, 1, v64
	v_subrev_nc_u32_e32 v5, 32, v5
	v_cndmask_b32_e32 v9, 0, v9, vcc_lo
	v_cndmask_b32_e32 v10, 0, v10, vcc_lo
	v_cmp_eq_u32_e32 vcc_lo, 1, v68
	v_add_co_u32 v9, s15, v9, v7
	v_add_co_ci_u32_e64 v10, null, v10, v8, s15
	s_or_b32 s15, vcc_lo, s18
	v_cndmask_b32_e64 v68, 0, 1, s15
	s_mov_b32 s15, 0
.LBB388_136:                            ;   in Loop: Header=BB388_137 Depth=1
	s_and_b32 vcc_lo, exec_lo, s15
	s_cbranch_vccnz .LBB388_153
.LBB388_137:                            ; =>This Loop Header: Depth=1
                                        ;     Child Loop BB388_140 Depth 2
	v_cmp_ne_u16_sdwa s15, v54, v67 src0_sel:BYTE_0 src1_sel:DWORD
	s_waitcnt lgkmcnt(0)
	v_mov_b32_e32 v7, v9
	v_mov_b32_e32 v64, v68
	;; [unrolled: 1-line block ×3, first 2 shown]
                                        ; implicit-def: $vgpr68
                                        ; implicit-def: $vgpr9_vgpr10
                                        ; implicit-def: $vgpr54
	s_cmp_lg_u32 s15, exec_lo
	s_mov_b32 s15, -1
	s_cbranch_scc1 .LBB388_136
; %bb.138:                              ;   in Loop: Header=BB388_137 Depth=1
	global_load_ubyte v54, v5, s[24:25] glc dlc
	s_mov_b32 s15, exec_lo
	s_waitcnt vmcnt(0)
	v_cmpx_eq_u16_e32 0, v54
	s_cbranch_execz .LBB388_142
; %bb.139:                              ;   in Loop: Header=BB388_137 Depth=1
	v_add_co_u32 v9, s16, s24, v5
	v_add_co_ci_u32_e64 v10, null, s25, 0, s16
	s_mov_b32 s16, 0
.LBB388_140:                            ;   Parent Loop BB388_137 Depth=1
                                        ; =>  This Inner Loop Header: Depth=2
	global_load_ubyte v54, v[9:10], off glc dlc
	s_waitcnt vmcnt(0)
	v_cmp_ne_u16_e32 vcc_lo, 0, v54
	s_or_b32 s16, vcc_lo, s16
	s_andn2_b32 exec_lo, exec_lo, s16
	s_cbranch_execnz .LBB388_140
; %bb.141:                              ;   in Loop: Header=BB388_137 Depth=1
	s_or_b32 exec_lo, exec_lo, s16
.LBB388_142:                            ;   in Loop: Header=BB388_137 Depth=1
	s_or_b32 exec_lo, exec_lo, s15
	v_cmp_eq_u16_e32 vcc_lo, 1, v54
	v_mov_b32_e32 v69, s20
	v_mov_b32_e32 v68, s21
	v_lshlrev_b64 v[9:10], 4, v[5:6]
	buffer_gl1_inv
	buffer_gl0_inv
	s_mov_b32 s15, exec_lo
	v_cndmask_b32_e32 v69, s22, v69, vcc_lo
	v_cndmask_b32_e32 v68, s23, v68, vcc_lo
	v_add_co_u32 v9, vcc_lo, v69, v9
	v_add_co_ci_u32_e64 v10, null, v68, v10, vcc_lo
	v_cmp_eq_u16_e32 vcc_lo, 2, v54
	s_clause 0x1
	global_load_ubyte v69, v[9:10], off offset:8
	global_load_dwordx2 v[9:10], v[9:10], off
	v_and_or_b32 v68, vcc_lo, v57, 0x80000000
	v_ffbl_b32_e32 v68, v68
	s_waitcnt vmcnt(1)
	v_and_b32_e32 v70, 1, v69
	s_waitcnt vmcnt(0)
	ds_bpermute_b32 v71, v56, v9
	ds_bpermute_b32 v72, v56, v10
	;; [unrolled: 1-line block ×3, first 2 shown]
	v_cmpx_lt_u32_e64 v11, v68
	s_cbranch_execz .LBB388_144
; %bb.143:                              ;   in Loop: Header=BB388_137 Depth=1
	v_cmp_eq_u16_sdwa vcc_lo, v69, v6 src0_sel:BYTE_0 src1_sel:DWORD
	s_waitcnt lgkmcnt(0)
	v_and_b32_e32 v70, 1, v73
	v_cndmask_b32_e32 v71, 0, v71, vcc_lo
	v_cndmask_b32_e32 v72, 0, v72, vcc_lo
	v_or_b32_e32 v69, v70, v69
	v_add_co_u32 v9, vcc_lo, v71, v9
	v_add_co_ci_u32_e64 v10, null, v72, v10, vcc_lo
	v_and_b32_e32 v70, 0xff, v69
.LBB388_144:                            ;   in Loop: Header=BB388_137 Depth=1
	s_or_b32 exec_lo, exec_lo, s15
	s_waitcnt lgkmcnt(2)
	ds_bpermute_b32 v71, v58, v9
	s_waitcnt lgkmcnt(2)
	ds_bpermute_b32 v72, v58, v10
	;; [unrolled: 2-line block ×3, first 2 shown]
	v_and_b32_e32 v74, 1, v69
	s_mov_b32 s16, exec_lo
	v_cmp_eq_u32_e64 s18, 1, v74
	v_cmpx_le_u32_e64 v59, v68
	s_cbranch_execz .LBB388_146
; %bb.145:                              ;   in Loop: Header=BB388_137 Depth=1
	v_cmp_eq_u16_sdwa vcc_lo, v69, v6 src0_sel:BYTE_0 src1_sel:DWORD
	s_waitcnt lgkmcnt(0)
	v_and_b32_e32 v69, 1, v73
	v_cndmask_b32_e32 v71, 0, v71, vcc_lo
	v_cndmask_b32_e32 v70, 0, v72, vcc_lo
	v_cmp_eq_u32_e32 vcc_lo, 1, v69
	v_add_co_u32 v9, s15, v71, v9
	v_add_co_ci_u32_e64 v10, null, v70, v10, s15
	s_or_b32 s15, s18, vcc_lo
	s_andn2_b32 s18, s18, exec_lo
	v_cndmask_b32_e64 v69, 0, 1, s15
	v_cndmask_b32_e64 v70, 0, 1, s15
	s_and_b32 s15, s15, exec_lo
	s_or_b32 s18, s18, s15
.LBB388_146:                            ;   in Loop: Header=BB388_137 Depth=1
	s_or_b32 exec_lo, exec_lo, s16
	s_waitcnt lgkmcnt(2)
	ds_bpermute_b32 v71, v60, v9
	s_waitcnt lgkmcnt(2)
	ds_bpermute_b32 v72, v60, v10
	;; [unrolled: 2-line block ×3, first 2 shown]
	s_mov_b32 s28, exec_lo
	v_cmpx_le_u32_e64 v61, v68
	s_cbranch_execz .LBB388_148
; %bb.147:                              ;   in Loop: Header=BB388_137 Depth=1
	v_cmp_eq_u16_sdwa vcc_lo, v69, v6 src0_sel:BYTE_0 src1_sel:DWORD
	v_and_b32_e32 v69, 1, v69
	s_waitcnt lgkmcnt(0)
	v_and_b32_e32 v70, 1, v73
	v_cndmask_b32_e32 v72, 0, v72, vcc_lo
	v_cndmask_b32_e32 v71, 0, v71, vcc_lo
	v_cmp_eq_u32_e32 vcc_lo, 1, v69
	v_cmp_eq_u32_e64 s15, 1, v70
	v_add_co_u32 v9, s16, v71, v9
	s_or_b32 s15, vcc_lo, s15
	v_add_co_ci_u32_e64 v10, null, v72, v10, s16
	v_cndmask_b32_e64 v69, 0, 1, s15
	v_cndmask_b32_e64 v70, 0, 1, s15
	s_andn2_b32 s16, s18, exec_lo
	s_and_b32 s15, s15, exec_lo
	s_or_b32 s18, s16, s15
.LBB388_148:                            ;   in Loop: Header=BB388_137 Depth=1
	s_or_b32 exec_lo, exec_lo, s28
	s_waitcnt lgkmcnt(2)
	ds_bpermute_b32 v71, v62, v9
	s_waitcnt lgkmcnt(2)
	ds_bpermute_b32 v72, v62, v10
	;; [unrolled: 2-line block ×3, first 2 shown]
	s_mov_b32 s28, exec_lo
	v_cmpx_le_u32_e64 v63, v68
	s_cbranch_execz .LBB388_150
; %bb.149:                              ;   in Loop: Header=BB388_137 Depth=1
	v_cmp_eq_u16_sdwa vcc_lo, v69, v6 src0_sel:BYTE_0 src1_sel:DWORD
	v_and_b32_e32 v69, 1, v69
	s_waitcnt lgkmcnt(0)
	v_and_b32_e32 v70, 1, v73
	v_cndmask_b32_e32 v72, 0, v72, vcc_lo
	v_cndmask_b32_e32 v71, 0, v71, vcc_lo
	v_cmp_eq_u32_e32 vcc_lo, 1, v69
	v_cmp_eq_u32_e64 s15, 1, v70
	v_add_co_u32 v9, s16, v71, v9
	s_or_b32 s15, vcc_lo, s15
	v_add_co_ci_u32_e64 v10, null, v72, v10, s16
	v_cndmask_b32_e64 v69, 0, 1, s15
	v_cndmask_b32_e64 v70, 0, 1, s15
	s_andn2_b32 s16, s18, exec_lo
	s_and_b32 s15, s15, exec_lo
	s_or_b32 s18, s16, s15
.LBB388_150:                            ;   in Loop: Header=BB388_137 Depth=1
	s_or_b32 exec_lo, exec_lo, s28
	s_waitcnt lgkmcnt(2)
	ds_bpermute_b32 v71, v65, v9
	s_waitcnt lgkmcnt(2)
	ds_bpermute_b32 v72, v65, v10
	ds_bpermute_b32 v70, v65, v70
	s_mov_b32 s28, exec_lo
	v_cmpx_le_u32_e64 v66, v68
	s_cbranch_execz .LBB388_135
; %bb.151:                              ;   in Loop: Header=BB388_137 Depth=1
	v_cmp_eq_u16_sdwa vcc_lo, v69, v6 src0_sel:BYTE_0 src1_sel:DWORD
	v_and_b32_e32 v68, 1, v69
	s_waitcnt lgkmcnt(0)
	v_and_b32_e32 v69, 1, v70
	v_cndmask_b32_e32 v71, 0, v71, vcc_lo
	v_cndmask_b32_e32 v70, 0, v72, vcc_lo
	v_cmp_eq_u32_e32 vcc_lo, 1, v68
	v_cmp_eq_u32_e64 s15, 1, v69
	v_add_co_u32 v9, s16, v71, v9
	v_add_co_ci_u32_e64 v10, null, v70, v10, s16
	s_or_b32 s15, vcc_lo, s15
	s_andn2_b32 s16, s18, exec_lo
	s_and_b32 s15, s15, exec_lo
	s_or_b32 s18, s16, s15
	s_branch .LBB388_135
.LBB388_152:
                                        ; implicit-def: $vgpr53_vgpr54
                                        ; implicit-def: $vgpr3_vgpr4
                                        ; implicit-def: $vgpr75_vgpr76
                                        ; implicit-def: $vgpr71_vgpr72
                                        ; implicit-def: $vgpr67_vgpr68
                                        ; implicit-def: $vgpr61_vgpr62
                                        ; implicit-def: $vgpr63_vgpr64
                                        ; implicit-def: $vgpr73_vgpr74
                                        ; implicit-def: $vgpr69_vgpr70
                                        ; implicit-def: $vgpr65_vgpr66
                                        ; implicit-def: $vgpr59_vgpr60
                                        ; implicit-def: $vgpr57_vgpr58
                                        ; implicit-def: $vgpr55_vgpr56
	s_cbranch_execnz .LBB388_160
	s_branch .LBB388_187
.LBB388_153:
	s_and_saveexec_b32 s15, s14
	s_cbranch_execz .LBB388_155
; %bb.154:
	v_mov_b32_e32 v5, 0
	v_or_b32_e32 v6, v53, v64
	s_mov_b32 s21, 0
	s_add_i32 s20, s27, 32
	v_mov_b32_e32 v9, 2
	v_cmp_eq_u32_sdwa vcc_lo, v53, v5 src0_sel:BYTE_0 src1_sel:DWORD
	s_lshl_b64 s[28:29], s[20:21], 4
	v_mov_b32_e32 v54, s20
	v_and_b32_e32 v6, 1, v6
	s_add_u32 s20, s22, s28
	v_cndmask_b32_e32 v53, 0, v7, vcc_lo
	v_cndmask_b32_e32 v10, 0, v8, vcc_lo
	s_addc_u32 s21, s23, s29
	v_add_co_u32 v3, vcc_lo, v53, v3
	v_add_co_ci_u32_e64 v4, null, v10, v4, vcc_lo
	global_store_byte v5, v6, s[20:21] offset:8
	global_store_dwordx2 v5, v[3:4], s[20:21]
	s_waitcnt lgkmcnt(0)
	s_waitcnt_vscnt null, 0x0
	buffer_gl1_inv
	buffer_gl0_inv
	global_store_byte v54, v9, s[24:25]
.LBB388_155:
	s_or_b32 exec_lo, exec_lo, s15
	s_and_b32 exec_lo, exec_lo, s0
	s_cbranch_execz .LBB388_157
; %bb.156:
	v_mov_b32_e32 v3, 0
	ds_write_b64 v3, v[7:8] offset:112
	ds_write_b8 v3, v64 offset:120
.LBB388_157:
	s_or_b32 exec_lo, exec_lo, s17
	v_mov_b32_e32 v3, 0
	s_waitcnt lgkmcnt(0)
	s_waitcnt_vscnt null, 0x0
	s_barrier
	buffer_gl0_inv
	ds_read_b64 v[53:54], v3 offset:112
	s_and_saveexec_b32 s15, s2
	s_cbranch_execz .LBB388_159
; %bb.158:
	v_cndmask_b32_e64 v4, v55, v22, s14
	v_cndmask_b32_e64 v1, v24, v1, s14
	;; [unrolled: 1-line block ×3, first 2 shown]
	v_cmp_eq_u16_sdwa vcc_lo, v4, v3 src0_sel:BYTE_0 src1_sel:DWORD
	s_waitcnt lgkmcnt(0)
	v_cndmask_b32_e32 v5, 0, v53, vcc_lo
	v_cndmask_b32_e32 v4, 0, v54, vcc_lo
	v_add_co_u32 v53, vcc_lo, v1, v5
	v_add_co_ci_u32_e64 v54, null, v2, v4, vcc_lo
.LBB388_159:
	s_or_b32 exec_lo, exec_lo, s15
	v_cmp_eq_u16_sdwa vcc_lo, v87, v3 src0_sel:BYTE_0 src1_sel:DWORD
	s_waitcnt lgkmcnt(0)
	v_cndmask_b32_e32 v2, 0, v53, vcc_lo
	v_cndmask_b32_e32 v1, 0, v54, vcc_lo
	v_add_co_u32 v55, vcc_lo, v2, v51
	v_add_co_ci_u32_e64 v56, null, v1, v52, vcc_lo
	v_cndmask_b32_e64 v1, 0, v55, s12
	v_cndmask_b32_e64 v2, 0, v56, s12
	v_add_co_u32 v57, vcc_lo, v1, v27
	v_add_co_ci_u32_e64 v58, null, v2, v28, vcc_lo
	v_cndmask_b32_e64 v1, 0, v57, s11
	v_cndmask_b32_e64 v2, 0, v58, s11
	;; [unrolled: 4-line block ×11, first 2 shown]
	s_branch .LBB388_187
.LBB388_160:
	s_cmp_eq_u64 s[46:47], 0
	v_mov_b32_e32 v1, s44
	s_cselect_b32 s2, -1, 0
	s_cmp_eq_u64 s[30:31], 0
	v_mov_b32_e32 v2, s45
	s_cselect_b32 s3, -1, 0
	s_or_b32 s2, s2, s3
	s_and_b32 vcc_lo, exec_lo, s2
	s_cbranch_vccnz .LBB388_162
; %bb.161:
	v_mov_b32_e32 v1, 0
	global_load_dwordx2 v[1:2], v1, s[30:31]
.LBB388_162:
	v_mov_b32_e32 v3, 0
	v_cmp_eq_u32_e64 s13, 1, v21
	v_cmp_eq_u32_e64 s15, 1, v19
	;; [unrolled: 1-line block ×4, first 2 shown]
	v_cmp_eq_u16_sdwa s10, v94, v3 src0_sel:BYTE_0 src1_sel:DWORD
	v_cmp_eq_u16_sdwa s9, v93, v3 src0_sel:BYTE_0 src1_sel:DWORD
	;; [unrolled: 1-line block ×5, first 2 shown]
	v_cndmask_b32_e64 v5, 0, v51, s10
	v_cndmask_b32_e64 v4, 0, v52, s10
	v_cmp_eq_u16_sdwa s4, v86, v3 src0_sel:BYTE_0 src1_sel:DWORD
	v_cmp_eq_u16_sdwa s5, v85, v3 src0_sel:BYTE_0 src1_sel:DWORD
	;; [unrolled: 1-line block ×3, first 2 shown]
	v_add_co_u32 v5, vcc_lo, v5, v27
	v_add_co_ci_u32_e64 v4, null, v4, v28, vcc_lo
	v_cmp_ne_u16_sdwa s17, v13, v3 src0_sel:BYTE_0 src1_sel:DWORD
	v_cndmask_b32_e64 v5, 0, v5, s9
	v_cmp_ne_u16_sdwa s20, v16, v3 src0_sel:BYTE_0 src1_sel:DWORD
	v_cndmask_b32_e64 v4, 0, v4, s9
	v_cmp_ne_u16_sdwa s21, v14, v3 src0_sel:BYTE_0 src1_sel:DWORD
	v_cmp_ne_u16_sdwa s18, v15, v3 src0_sel:BYTE_0 src1_sel:DWORD
	v_add_co_u32 v5, vcc_lo, v5, v47
	v_add_co_ci_u32_e64 v4, null, v4, v48, vcc_lo
	s_or_b32 s17, s17, s13
	v_cndmask_b32_e64 v5, 0, v5, s7
	s_or_b32 s13, s20, s15
	v_cndmask_b32_e64 v4, 0, v4, s7
	s_or_b32 s15, s21, s16
	s_or_b32 s14, s18, s14
	v_add_co_u32 v5, vcc_lo, v5, v45
	v_add_co_ci_u32_e64 v4, null, v4, v46, vcc_lo
	s_or_b32 s15, s15, s13
	v_cndmask_b32_e64 v5, 0, v5, s8
	v_cmp_eq_u32_e64 s12, 1, v20
	v_cndmask_b32_e64 v4, 0, v4, s8
	s_or_b32 s14, s15, s14
	s_or_b32 s14, s14, s17
	v_add_co_u32 v5, vcc_lo, v5, v43
	v_add_co_ci_u32_e64 v4, null, v4, v44, vcc_lo
	v_cndmask_b32_e64 v5, 0, v5, s6
	v_cndmask_b32_e64 v4, 0, v4, s6
	v_add_co_u32 v5, vcc_lo, v5, v41
	v_add_co_ci_u32_e64 v4, null, v4, v42, vcc_lo
	v_cndmask_b32_e64 v5, 0, v5, s4
	v_cndmask_b32_e64 v4, 0, v4, s4
	;; [unrolled: 4-line block ×4, first 2 shown]
	v_add_co_u32 v5, vcc_lo, v5, v33
	v_add_co_ci_u32_e64 v4, null, v4, v34, vcc_lo
	v_cmp_eq_u16_sdwa vcc_lo, v83, v3 src0_sel:BYTE_0 src1_sel:DWORD
	v_cndmask_b32_e32 v5, 0, v5, vcc_lo
	v_cndmask_b32_e32 v4, 0, v4, vcc_lo
	v_add_co_u32 v5, s3, v5, v31
	v_add_co_ci_u32_e64 v4, null, v4, v32, s3
	v_cmp_eq_u16_sdwa s3, v82, v3 src0_sel:BYTE_0 src1_sel:DWORD
	v_cndmask_b32_e64 v5, 0, v5, s3
	v_cndmask_b32_e64 v4, 0, v4, s3
	v_add_co_u32 v5, s11, v5, v29
	v_add_co_ci_u32_e64 v4, null, v4, v30, s11
	v_cmp_eq_u16_sdwa s11, v81, v3 src0_sel:BYTE_0 src1_sel:DWORD
	v_cndmask_b32_e64 v3, 0, v4, s11
	v_cndmask_b32_e64 v4, 0, v5, s11
	v_add_co_u32 v4, s13, v4, v25
	v_add_co_ci_u32_e64 v3, null, v3, v26, s13
	v_cmp_eq_u16_e64 s13, 0, v12
	v_cndmask_b32_e64 v5, 0, v3, s13
	v_cndmask_b32_e64 v3, 0, v4, s13
	s_or_b32 s13, s14, s12
	s_mov_b32 s14, exec_lo
	v_cndmask_b32_e64 v6, 0, 1, s13
	v_cndmask_b32_e64 v7, 0, 1, s13
	v_add_co_u32 v3, s12, v3, v39
	v_add_co_ci_u32_e64 v4, null, v5, v40, s12
	v_and_b32_e32 v5, 15, v11
	v_mov_b32_dpp v10, v6 row_shr:1 row_mask:0xf bank_mask:0xf
	v_mov_b32_dpp v8, v3 row_shr:1 row_mask:0xf bank_mask:0xf
	;; [unrolled: 1-line block ×3, first 2 shown]
	v_cmpx_ne_u32_e32 0, v5
	s_cbranch_execz .LBB388_164
; %bb.163:
	v_and_b32_e32 v6, 1, v10
	v_cndmask_b32_e64 v8, v8, 0, s13
	v_cndmask_b32_e64 v9, v9, 0, s13
	v_or_b32_e32 v7, v6, v7
	v_add_co_u32 v3, s12, v8, v3
	v_add_co_ci_u32_e64 v4, null, v9, v4, s12
	v_and_b32_e32 v6, 0xffff, v7
.LBB388_164:
	s_or_b32 exec_lo, exec_lo, s14
	v_mov_b32_dpp v8, v3 row_shr:2 row_mask:0xf bank_mask:0xf
	v_mov_b32_dpp v9, v4 row_shr:2 row_mask:0xf bank_mask:0xf
	v_mov_b32_dpp v10, v6 row_shr:2 row_mask:0xf bank_mask:0xf
	s_mov_b32 s15, exec_lo
	v_cmpx_lt_u32_e32 1, v5
	s_cbranch_execz .LBB388_166
; %bb.165:
	v_cmp_eq_u16_e64 s12, 0, v7
	v_and_b32_e32 v6, 1, v7
	v_and_b32_e32 v7, 1, v10
	v_cndmask_b32_e64 v9, 0, v9, s12
	v_cndmask_b32_e64 v8, 0, v8, s12
	v_cmp_eq_u32_e64 s12, 1, v6
	v_cmp_eq_u32_e64 s13, 1, v7
	v_add_co_u32 v3, s14, v8, v3
	s_or_b32 s12, s12, s13
	v_add_co_ci_u32_e64 v4, null, v9, v4, s14
	v_cndmask_b32_e64 v7, 0, 1, s12
	v_cndmask_b32_e64 v6, 0, 1, s12
.LBB388_166:
	s_or_b32 exec_lo, exec_lo, s15
	v_mov_b32_dpp v8, v3 row_shr:4 row_mask:0xf bank_mask:0xf
	v_mov_b32_dpp v9, v4 row_shr:4 row_mask:0xf bank_mask:0xf
	v_mov_b32_dpp v10, v6 row_shr:4 row_mask:0xf bank_mask:0xf
	s_mov_b32 s15, exec_lo
	v_cmpx_lt_u32_e32 3, v5
	s_cbranch_execz .LBB388_168
; %bb.167:
	v_cmp_eq_u16_e64 s12, 0, v7
	v_and_b32_e32 v6, 1, v7
	v_and_b32_e32 v7, 1, v10
	v_cndmask_b32_e64 v9, 0, v9, s12
	v_cndmask_b32_e64 v8, 0, v8, s12
	v_cmp_eq_u32_e64 s12, 1, v6
	v_cmp_eq_u32_e64 s13, 1, v7
	v_add_co_u32 v3, s14, v8, v3
	s_or_b32 s12, s12, s13
	v_add_co_ci_u32_e64 v4, null, v9, v4, s14
	v_cndmask_b32_e64 v7, 0, 1, s12
	v_cndmask_b32_e64 v6, 0, 1, s12
.LBB388_168:
	;; [unrolled: 21-line block ×3, first 2 shown]
	s_or_b32 exec_lo, exec_lo, s15
	ds_swizzle_b32 v5, v3 offset:swizzle(BROADCAST,32,15)
	ds_swizzle_b32 v8, v4 offset:swizzle(BROADCAST,32,15)
	;; [unrolled: 1-line block ×3, first 2 shown]
	v_and_b32_e32 v9, 16, v11
	s_mov_b32 s15, exec_lo
	v_cmpx_ne_u32_e32 0, v9
	s_cbranch_execz .LBB388_172
; %bb.171:
	v_cmp_eq_u16_e64 s12, 0, v7
	v_and_b32_e32 v7, 1, v7
	s_waitcnt lgkmcnt(0)
	v_and_b32_e32 v6, 1, v6
	v_cndmask_b32_e64 v8, 0, v8, s12
	v_cndmask_b32_e64 v5, 0, v5, s12
	v_cmp_eq_u32_e64 s12, 1, v7
	v_cmp_eq_u32_e64 s13, 1, v6
	v_add_co_u32 v3, s14, v5, v3
	s_or_b32 s12, s12, s13
	v_add_co_ci_u32_e64 v4, null, v8, v4, s14
	v_cndmask_b32_e64 v7, 0, 1, s12
.LBB388_172:
	s_or_b32 exec_lo, exec_lo, s15
	s_waitcnt lgkmcnt(0)
	v_lshrrev_b32_e32 v6, 5, v0
	v_or_b32_e32 v5, 31, v0
	s_mov_b32 s13, exec_lo
	v_lshlrev_b32_e32 v8, 4, v6
	v_cmpx_eq_u32_e64 v0, v5
	s_cbranch_execz .LBB388_174
; %bb.173:
	ds_write_b64 v8, v[3:4]
	ds_write_b8 v8, v7 offset:8
.LBB388_174:
	s_or_b32 exec_lo, exec_lo, s13
	s_mov_b32 s15, exec_lo
	s_waitcnt vmcnt(0) lgkmcnt(0)
	s_barrier
	buffer_gl0_inv
	v_cmpx_gt_u32_e32 8, v0
	s_cbranch_execz .LBB388_182
; %bb.175:
	v_lshlrev_b32_e32 v9, 4, v0
	v_and_b32_e32 v10, 7, v11
	s_mov_b32 s13, exec_lo
	ds_read_b64 v[5:6], v9
	ds_read_b32 v15, v9 offset:8
	s_waitcnt lgkmcnt(1)
	v_mov_b32_dpp v16, v5 row_shr:1 row_mask:0xf bank_mask:0xf
	v_mov_b32_dpp v17, v6 row_shr:1 row_mask:0xf bank_mask:0xf
	s_waitcnt lgkmcnt(0)
	v_and_b32_e32 v13, 0xffffff00, v15
	v_mov_b32_dpp v18, v15 row_shr:1 row_mask:0xf bank_mask:0xf
	v_mov_b32_e32 v14, v15
	v_mov_b32_e32 v12, v15
	v_cmpx_ne_u32_e32 0, v10
	s_cbranch_execz .LBB388_177
; %bb.176:
	v_mov_b32_e32 v12, 0
	v_cmp_eq_u16_sdwa s12, v15, v12 src0_sel:BYTE_0 src1_sel:DWORD
	v_or_b32_e32 v12, v18, v15
	v_cndmask_b32_e64 v16, 0, v16, s12
	v_cndmask_b32_e64 v15, 0, v17, s12
	v_and_b32_e32 v14, 1, v12
	v_and_b32_e32 v12, 1, v12
	v_add_co_u32 v5, s12, v16, v5
	v_add_co_ci_u32_e64 v6, null, v15, v6, s12
	v_or_b32_e32 v15, v12, v13
.LBB388_177:
	s_or_b32 exec_lo, exec_lo, s13
	v_mov_b32_dpp v16, v5 row_shr:2 row_mask:0xf bank_mask:0xf
	v_mov_b32_dpp v17, v6 row_shr:2 row_mask:0xf bank_mask:0xf
	;; [unrolled: 1-line block ×3, first 2 shown]
	s_mov_b32 s16, exec_lo
	v_cmpx_lt_u32_e32 1, v10
	s_cbranch_execz .LBB388_179
; %bb.178:
	v_mov_b32_e32 v14, 0
	v_and_b32_e32 v15, 1, v12
	v_and_b32_e32 v18, 1, v18
	v_cmp_eq_u16_sdwa s12, v12, v14 src0_sel:BYTE_0 src1_sel:DWORD
	v_cmp_eq_u32_e64 s13, 1, v15
	v_cmp_eq_u32_e64 s14, 1, v18
	v_cndmask_b32_e64 v12, 0, v17, s12
	v_cndmask_b32_e64 v15, 0, v16, s12
	s_or_b32 s12, s13, s14
	v_cndmask_b32_e64 v14, 0, 1, s12
	v_cndmask_b32_e64 v16, 0, 1, s12
	v_add_co_u32 v5, s12, v15, v5
	v_add_co_ci_u32_e64 v6, null, v12, v6, s12
	v_or_b32_e32 v15, v13, v16
	v_mov_b32_e32 v12, v14
.LBB388_179:
	s_or_b32 exec_lo, exec_lo, s16
	v_mov_b32_dpp v13, v5 row_shr:4 row_mask:0xf bank_mask:0xf
	v_mov_b32_dpp v16, v6 row_shr:4 row_mask:0xf bank_mask:0xf
	;; [unrolled: 1-line block ×3, first 2 shown]
	s_mov_b32 s16, exec_lo
	v_cmpx_lt_u32_e32 3, v10
	s_cbranch_execz .LBB388_181
; %bb.180:
	v_mov_b32_e32 v10, 0
	v_cmp_eq_u16_sdwa s12, v12, v10 src0_sel:BYTE_0 src1_sel:DWORD
	v_and_b32_e32 v10, 1, v12
	v_and_b32_e32 v12, 1, v15
	v_cndmask_b32_e64 v14, 0, v16, s12
	v_cndmask_b32_e64 v13, 0, v13, s12
	v_cmp_eq_u32_e64 s12, 1, v10
	v_cmp_eq_u32_e64 s13, 1, v12
	v_add_co_u32 v5, s14, v13, v5
	s_or_b32 s12, s12, s13
	v_add_co_ci_u32_e64 v6, null, v14, v6, s14
	v_cndmask_b32_e64 v14, 0, 1, s12
.LBB388_181:
	s_or_b32 exec_lo, exec_lo, s16
	ds_write_b64 v9, v[5:6]
	ds_write_b8 v9, v14 offset:8
.LBB388_182:
	s_or_b32 exec_lo, exec_lo, s15
	v_mov_b32_e32 v6, v2
	v_mov_b32_e32 v5, v1
	s_mov_b32 s13, exec_lo
	s_waitcnt lgkmcnt(0)
	s_barrier
	buffer_gl0_inv
	v_cmpx_lt_u32_e32 31, v0
	s_cbranch_execz .LBB388_184
; %bb.183:
	v_add_nc_u32_e32 v5, -8, v8
	ds_read_u8 v9, v5
	v_add_nc_u32_e32 v5, -16, v8
	ds_read_b64 v[5:6], v5
	s_waitcnt lgkmcnt(1)
	v_cmp_eq_u16_e64 s12, 0, v9
	v_cndmask_b32_e64 v9, 0, v1, s12
	v_cndmask_b32_e64 v8, 0, v2, s12
	s_waitcnt lgkmcnt(0)
	v_add_co_u32 v5, s12, v9, v5
	v_add_co_ci_u32_e64 v6, null, v8, v6, s12
.LBB388_184:
	s_or_b32 exec_lo, exec_lo, s13
	v_cmp_eq_u16_e64 s12, 0, v7
	v_sub_co_u32 v7, s13, v11, 1
	v_cndmask_b32_e64 v8, 0, v6, s12
	v_cndmask_b32_e64 v9, 0, v5, s12
	v_cmp_gt_i32_e64 s12, 0, v7
	v_cndmask_b32_e64 v7, v7, v11, s12
	v_add_co_u32 v3, s12, v9, v3
	v_add_co_ci_u32_e64 v4, null, v8, v4, s12
	v_lshlrev_b32_e32 v7, 2, v7
	ds_bpermute_b32 v3, v7, v3
	ds_bpermute_b32 v4, v7, v4
	s_waitcnt lgkmcnt(1)
	v_cndmask_b32_e64 v53, v3, v5, s13
	v_mov_b32_e32 v5, 0
	s_waitcnt lgkmcnt(0)
	v_cndmask_b32_e64 v54, v4, v6, s13
	v_cndmask_b32_e64 v3, v53, v1, s0
	v_cmp_eq_u16_sdwa s12, v87, v5 src0_sel:BYTE_0 src1_sel:DWORD
	v_cndmask_b32_e64 v4, v54, v2, s0
	v_cndmask_b32_e64 v3, 0, v3, s12
	;; [unrolled: 1-line block ×3, first 2 shown]
	v_add_co_u32 v55, s12, v3, v51
	v_add_co_ci_u32_e64 v56, null, v4, v52, s12
	v_cndmask_b32_e64 v3, 0, v55, s10
	v_cndmask_b32_e64 v4, 0, v56, s10
	v_add_co_u32 v57, s10, v3, v27
	v_add_co_ci_u32_e64 v58, null, v4, v28, s10
	v_cndmask_b32_e64 v3, 0, v57, s9
	v_cndmask_b32_e64 v4, 0, v58, s9
	v_add_co_u32 v63, s9, v3, v47
	v_add_co_ci_u32_e64 v64, null, v4, v48, s9
	v_cndmask_b32_e64 v3, 0, v63, s7
	v_cndmask_b32_e64 v4, 0, v64, s7
	v_add_co_u32 v59, s7, v3, v45
	v_add_co_ci_u32_e64 v60, null, v4, v46, s7
	v_cndmask_b32_e64 v3, 0, v59, s8
	v_cndmask_b32_e64 v4, 0, v60, s8
	v_add_co_u32 v61, s7, v3, v43
	v_add_co_ci_u32_e64 v62, null, v4, v44, s7
	v_cndmask_b32_e64 v3, 0, v61, s6
	v_cndmask_b32_e64 v4, 0, v62, s6
	v_add_co_u32 v65, s6, v3, v41
	v_add_co_ci_u32_e64 v66, null, v4, v42, s6
	v_cndmask_b32_e64 v3, 0, v65, s4
	v_cndmask_b32_e64 v4, 0, v66, s4
	v_add_co_u32 v67, s4, v3, v37
	v_add_co_ci_u32_e64 v68, null, v4, v38, s4
	v_cndmask_b32_e64 v3, 0, v67, s5
	v_cndmask_b32_e64 v4, 0, v68, s5
	v_add_co_u32 v69, s4, v3, v35
	v_add_co_ci_u32_e64 v70, null, v4, v36, s4
	v_cndmask_b32_e64 v3, 0, v69, s2
	v_cndmask_b32_e64 v4, 0, v70, s2
	v_add_co_u32 v71, s2, v3, v33
	v_add_co_ci_u32_e64 v72, null, v4, v34, s2
	v_cndmask_b32_e32 v3, 0, v71, vcc_lo
	v_cndmask_b32_e32 v4, 0, v72, vcc_lo
	v_add_co_u32 v73, vcc_lo, v3, v31
	v_add_co_ci_u32_e64 v74, null, v4, v32, vcc_lo
	v_cndmask_b32_e64 v3, 0, v73, s3
	v_cndmask_b32_e64 v4, 0, v74, s3
	v_add_co_u32 v75, vcc_lo, v3, v29
	v_add_co_ci_u32_e64 v76, null, v4, v30, vcc_lo
	v_cndmask_b32_e64 v3, 0, v75, s11
	v_cndmask_b32_e64 v4, 0, v76, s11
	s_and_saveexec_b32 s2, s0
	s_cbranch_execz .LBB388_186
; %bb.185:
	ds_read_u8 v8, v5 offset:120
	ds_read_b64 v[6:7], v5 offset:112
	v_mov_b32_e32 v54, v2
	v_mov_b32_e32 v53, v1
	s_waitcnt lgkmcnt(1)
	v_cmp_eq_u32_sdwa vcc_lo, v8, v5 src0_sel:WORD_0 src1_sel:DWORD
	v_cndmask_b32_e32 v10, 0, v1, vcc_lo
	v_cndmask_b32_e32 v9, 0, v2, vcc_lo
	s_waitcnt lgkmcnt(0)
	v_add_co_u32 v6, vcc_lo, v10, v6
	v_add_co_ci_u32_e64 v7, null, v9, v7, vcc_lo
	v_mov_b32_e32 v9, 2
	global_store_byte v5, v8, s[22:23] offset:520
	global_store_dwordx2 v5, v[6:7], s[22:23] offset:512
	s_waitcnt_vscnt null, 0x0
	buffer_gl1_inv
	buffer_gl0_inv
	global_store_byte v5, v9, s[24:25] offset:32
.LBB388_186:
	s_or_b32 exec_lo, exec_lo, s2
.LBB388_187:
	s_add_u32 s0, s42, s34
	v_add_co_u32 v25, vcc_lo, v3, v25
	s_addc_u32 s2, s43, s35
	v_add_co_ci_u32_e64 v26, null, v4, v26, vcc_lo
	v_add_co_u32 v29, vcc_lo, s0, v49
	v_add_co_ci_u32_e64 v30, null, s2, v50, vcc_lo
	s_and_b32 vcc_lo, exec_lo, s1
	s_cbranch_vccz .LBB388_231
; %bb.188:
	v_mul_u32_u24_e32 v1, 13, v0
	s_add_i32 s19, s19, s26
	s_mov_b32 s0, exec_lo
	v_cmpx_gt_u32_e64 s19, v1
	s_cbranch_execz .LBB388_206
; %bb.189:
	v_add_nc_u32_e32 v2, 1, v1
	s_mov_b32 s1, exec_lo
	v_cmpx_gt_u32_e64 s19, v2
	s_cbranch_execz .LBB388_205
; %bb.190:
	v_add_nc_u32_e32 v2, 2, v1
	s_mov_b32 s2, exec_lo
	v_cmpx_gt_u32_e64 s19, v2
	s_cbranch_execz .LBB388_204
; %bb.191:
	v_add_nc_u32_e32 v2, 3, v1
	s_mov_b32 s3, exec_lo
	v_cmpx_gt_u32_e64 s19, v2
	s_cbranch_execz .LBB388_203
; %bb.192:
	v_add_nc_u32_e32 v2, 4, v1
	s_mov_b32 s4, exec_lo
	v_cmpx_gt_u32_e64 s19, v2
	s_cbranch_execz .LBB388_202
; %bb.193:
	v_add_nc_u32_e32 v2, 5, v1
	s_mov_b32 s5, exec_lo
	v_cmpx_gt_u32_e64 s19, v2
	s_cbranch_execz .LBB388_201
; %bb.194:
	v_add_nc_u32_e32 v2, 6, v1
	s_mov_b32 s6, exec_lo
	v_cmpx_gt_u32_e64 s19, v2
	s_cbranch_execz .LBB388_200
; %bb.195:
	v_add_nc_u32_e32 v2, 7, v1
	s_mov_b32 s7, exec_lo
	v_cmpx_gt_u32_e64 s19, v2
	s_cbranch_execz .LBB388_199
; %bb.196:
	v_add_nc_u32_e32 v2, 8, v1
	s_mov_b32 s8, exec_lo
	v_cmpx_gt_u32_e64 s19, v2
; %bb.197:
	v_add_nc_u32_e32 v2, 9, v1
	s_mov_b32 s9, exec_lo
	v_cmpx_gt_u32_e64 s19, v2
	s_or_b32 exec_lo, exec_lo, s9
; %bb.198:
	s_or_b32 exec_lo, exec_lo, s8
.LBB388_199:
	s_or_b32 exec_lo, exec_lo, s7
.LBB388_200:
	s_or_b32 exec_lo, exec_lo, s6
.LBB388_201:
	s_or_b32 exec_lo, exec_lo, s5
.LBB388_202:
	s_or_b32 exec_lo, exec_lo, s4
.LBB388_203:
	s_or_b32 exec_lo, exec_lo, s3
.LBB388_204:
	s_or_b32 exec_lo, exec_lo, s2
.LBB388_205:
	s_or_b32 exec_lo, exec_lo, s1
.LBB388_206:
	s_or_b32 exec_lo, exec_lo, s0
	v_lshlrev_b32_e32 v31, 3, v1
	s_waitcnt_vscnt null, 0x0
	s_barrier
	buffer_gl0_inv
	v_add_co_u32 v27, vcc_lo, v29, v77
	v_mad_i32_i24 v1, 0xffffffa0, v0, v31
	ds_write2_b64 v31, v[53:54], v[55:56] offset1:1
	ds_write2_b64 v31, v[57:58], v[63:64] offset0:2 offset1:3
	ds_write2_b64 v31, v[59:60], v[61:62] offset0:4 offset1:5
	;; [unrolled: 1-line block ×5, first 2 shown]
	ds_write_b64 v31, v[25:26] offset:96
	s_waitcnt lgkmcnt(0)
	s_barrier
	buffer_gl0_inv
	ds_read2st64_b64 v[21:24], v1 offset0:4 offset1:8
	ds_read2st64_b64 v[17:20], v1 offset0:12 offset1:16
	;; [unrolled: 1-line block ×6, first 2 shown]
	v_add_co_ci_u32_e64 v28, null, 0, v30, vcc_lo
	s_mov_b32 s0, exec_lo
	v_cmpx_gt_u32_e64 s19, v0
	s_cbranch_execz .LBB388_208
; %bb.207:
	v_mul_i32_i24_e32 v32, 0xffffffa0, v0
	v_add_nc_u32_e32 v31, v31, v32
	ds_read_b64 v[31:32], v31
	s_waitcnt lgkmcnt(0)
	flat_store_dwordx2 v[27:28], v[31:32]
.LBB388_208:
	s_or_b32 exec_lo, exec_lo, s0
	v_or_b32_e32 v31, 0x100, v0
	s_mov_b32 s0, exec_lo
	v_cmpx_gt_u32_e64 s19, v31
	s_cbranch_execz .LBB388_210
; %bb.209:
	v_add_co_u32 v31, vcc_lo, 0x800, v27
	v_add_co_ci_u32_e64 v32, null, 0, v28, vcc_lo
	s_waitcnt lgkmcnt(5)
	flat_store_dwordx2 v[31:32], v[21:22]
.LBB388_210:
	s_or_b32 exec_lo, exec_lo, s0
	s_waitcnt lgkmcnt(5)
	v_or_b32_e32 v21, 0x200, v0
	s_mov_b32 s0, exec_lo
	v_cmpx_gt_u32_e64 s19, v21
	s_cbranch_execz .LBB388_212
; %bb.211:
	v_add_co_u32 v21, vcc_lo, 0x1000, v27
	v_add_co_ci_u32_e64 v22, null, 0, v28, vcc_lo
	flat_store_dwordx2 v[21:22], v[23:24]
.LBB388_212:
	s_or_b32 exec_lo, exec_lo, s0
	v_or_b32_e32 v21, 0x300, v0
	s_mov_b32 s0, exec_lo
	v_cmpx_gt_u32_e64 s19, v21
	s_cbranch_execz .LBB388_214
; %bb.213:
	v_add_co_u32 v21, vcc_lo, 0x1800, v27
	v_add_co_ci_u32_e64 v22, null, 0, v28, vcc_lo
	s_waitcnt lgkmcnt(4)
	flat_store_dwordx2 v[21:22], v[17:18]
.LBB388_214:
	s_or_b32 exec_lo, exec_lo, s0
	s_waitcnt lgkmcnt(4)
	v_or_b32_e32 v17, 0x400, v0
	s_mov_b32 s0, exec_lo
	v_cmpx_gt_u32_e64 s19, v17
	s_cbranch_execz .LBB388_216
; %bb.215:
	v_add_co_u32 v17, vcc_lo, 0x2000, v27
	v_add_co_ci_u32_e64 v18, null, 0, v28, vcc_lo
	flat_store_dwordx2 v[17:18], v[19:20]
.LBB388_216:
	;; [unrolled: 22-line block ×5, first 2 shown]
	s_or_b32 exec_lo, exec_lo, s0
	v_or_b32_e32 v5, 0xb00, v0
	s_mov_b32 s0, exec_lo
	v_cmpx_gt_u32_e64 s19, v5
	s_cbranch_execz .LBB388_230
; %bb.229:
	v_add_co_u32 v5, vcc_lo, 0x5800, v27
	v_add_co_ci_u32_e64 v6, null, 0, v28, vcc_lo
	s_waitcnt lgkmcnt(0)
	flat_store_dwordx2 v[5:6], v[1:2]
.LBB388_230:
	s_or_b32 exec_lo, exec_lo, s0
	s_waitcnt lgkmcnt(0)
	v_or_b32_e32 v1, 0xc00, v0
	v_cmp_gt_u32_e64 s0, s19, v1
	s_branch .LBB388_233
.LBB388_231:
	s_mov_b32 s0, 0
                                        ; implicit-def: $vgpr3_vgpr4
	s_cbranch_execz .LBB388_233
; %bb.232:
	v_mul_i32_i24_e32 v2, 0xffffffa0, v0
	v_mul_u32_u24_e32 v1, 0x68, v0
	s_waitcnt_vscnt null, 0x0
	s_barrier
	buffer_gl0_inv
	v_mad_u32_u24 v3, 0x68, v0, v2
	ds_write2_b64 v1, v[53:54], v[55:56] offset1:1
	ds_write2_b64 v1, v[57:58], v[63:64] offset0:2 offset1:3
	ds_write2_b64 v1, v[59:60], v[61:62] offset0:4 offset1:5
	;; [unrolled: 1-line block ×5, first 2 shown]
	ds_write_b64 v1, v[25:26] offset:96
	s_waitcnt lgkmcnt(0)
	s_barrier
	buffer_gl0_inv
	ds_read2st64_b64 v[5:8], v3 offset1:4
	ds_read2st64_b64 v[9:12], v3 offset0:8 offset1:12
	ds_read2st64_b64 v[13:16], v3 offset0:16 offset1:20
	;; [unrolled: 1-line block ×3, first 2 shown]
	v_add_co_u32 v1, vcc_lo, v29, v77
	v_add_co_ci_u32_e64 v2, null, 0, v30, vcc_lo
	ds_read2st64_b64 v[21:24], v3 offset0:32 offset1:36
	v_add_co_u32 v31, vcc_lo, 0x800, v1
	v_add_co_ci_u32_e64 v32, null, 0, v2, vcc_lo
	v_add_co_u32 v33, vcc_lo, 0x1000, v1
	v_add_co_ci_u32_e64 v34, null, 0, v2, vcc_lo
	ds_read2st64_b64 v[25:28], v3 offset0:40 offset1:44
	ds_read_b64 v[3:4], v3 offset:24576
	s_or_b32 s0, s0, exec_lo
	s_waitcnt lgkmcnt(6)
	flat_store_dwordx2 v[1:2], v[5:6]
	flat_store_dwordx2 v[31:32], v[7:8]
	s_waitcnt lgkmcnt(7)
	flat_store_dwordx2 v[33:34], v[9:10]
	v_add_co_u32 v5, vcc_lo, 0x1800, v1
	v_add_co_ci_u32_e64 v6, null, 0, v2, vcc_lo
	v_add_co_u32 v7, vcc_lo, 0x2000, v1
	v_add_co_ci_u32_e64 v8, null, 0, v2, vcc_lo
	;; [unrolled: 2-line block ×5, first 2 shown]
	flat_store_dwordx2 v[5:6], v[11:12]
	s_waitcnt lgkmcnt(8)
	flat_store_dwordx2 v[7:8], v[13:14]
	flat_store_dwordx2 v[9:10], v[15:16]
	s_waitcnt lgkmcnt(9)
	flat_store_dwordx2 v[31:32], v[17:18]
	flat_store_dwordx2 v[33:34], v[19:20]
	v_add_co_u32 v5, vcc_lo, 0x4000, v1
	v_add_co_ci_u32_e64 v6, null, 0, v2, vcc_lo
	v_add_co_u32 v7, vcc_lo, 0x4800, v1
	v_add_co_ci_u32_e64 v8, null, 0, v2, vcc_lo
	;; [unrolled: 2-line block ×4, first 2 shown]
	s_waitcnt lgkmcnt(10)
	flat_store_dwordx2 v[5:6], v[21:22]
	flat_store_dwordx2 v[7:8], v[23:24]
	s_waitcnt lgkmcnt(11)
	flat_store_dwordx2 v[9:10], v[25:26]
	flat_store_dwordx2 v[1:2], v[27:28]
.LBB388_233:
	s_and_saveexec_b32 s1, s0
	s_cbranch_execz .LBB388_235
; %bb.234:
	v_lshlrev_b32_e32 v0, 3, v0
	v_add_co_u32 v0, vcc_lo, v29, v0
	v_add_co_ci_u32_e64 v1, null, 0, v30, vcc_lo
	v_add_co_u32 v0, vcc_lo, 0x6000, v0
	v_add_co_ci_u32_e64 v1, null, 0, v1, vcc_lo
	s_waitcnt lgkmcnt(12)
	flat_store_dwordx2 v[0:1], v[3:4]
	s_endpgm
.LBB388_235:
	s_endpgm
	.section	.rodata,"a",@progbits
	.p2align	6, 0x0
	.amdhsa_kernel _ZN7rocprim17ROCPRIM_400000_NS6detail17trampoline_kernelINS0_14default_configENS1_27scan_by_key_config_selectorIxxEEZZNS1_16scan_by_key_implILNS1_25lookback_scan_determinismE0ELb1ES3_N6thrust23THRUST_200600_302600_NS6detail15normal_iteratorINS9_10device_ptrIxEEEESE_SE_xNS9_4plusIvEENS9_8equal_toIvEExEE10hipError_tPvRmT2_T3_T4_T5_mT6_T7_P12ihipStream_tbENKUlT_T0_E_clISt17integral_constantIbLb0EESY_IbLb1EEEEDaSU_SV_EUlSU_E_NS1_11comp_targetILNS1_3genE8ELNS1_11target_archE1030ELNS1_3gpuE2ELNS1_3repE0EEENS1_30default_config_static_selectorELNS0_4arch9wavefront6targetE0EEEvT1_
		.amdhsa_group_segment_fixed_size 30720
		.amdhsa_private_segment_fixed_size 0
		.amdhsa_kernarg_size 136
		.amdhsa_user_sgpr_count 6
		.amdhsa_user_sgpr_private_segment_buffer 1
		.amdhsa_user_sgpr_dispatch_ptr 0
		.amdhsa_user_sgpr_queue_ptr 0
		.amdhsa_user_sgpr_kernarg_segment_ptr 1
		.amdhsa_user_sgpr_dispatch_id 0
		.amdhsa_user_sgpr_flat_scratch_init 0
		.amdhsa_user_sgpr_private_segment_size 0
		.amdhsa_wavefront_size32 1
		.amdhsa_uses_dynamic_stack 0
		.amdhsa_system_sgpr_private_segment_wavefront_offset 0
		.amdhsa_system_sgpr_workgroup_id_x 1
		.amdhsa_system_sgpr_workgroup_id_y 0
		.amdhsa_system_sgpr_workgroup_id_z 0
		.amdhsa_system_sgpr_workgroup_info 0
		.amdhsa_system_vgpr_workitem_id 0
		.amdhsa_next_free_vgpr 113
		.amdhsa_next_free_sgpr 51
		.amdhsa_reserve_vcc 1
		.amdhsa_reserve_flat_scratch 1
		.amdhsa_float_round_mode_32 0
		.amdhsa_float_round_mode_16_64 0
		.amdhsa_float_denorm_mode_32 3
		.amdhsa_float_denorm_mode_16_64 3
		.amdhsa_dx10_clamp 1
		.amdhsa_ieee_mode 1
		.amdhsa_fp16_overflow 0
		.amdhsa_workgroup_processor_mode 1
		.amdhsa_memory_ordered 1
		.amdhsa_forward_progress 1
		.amdhsa_shared_vgpr_count 0
		.amdhsa_exception_fp_ieee_invalid_op 0
		.amdhsa_exception_fp_denorm_src 0
		.amdhsa_exception_fp_ieee_div_zero 0
		.amdhsa_exception_fp_ieee_overflow 0
		.amdhsa_exception_fp_ieee_underflow 0
		.amdhsa_exception_fp_ieee_inexact 0
		.amdhsa_exception_int_div_zero 0
	.end_amdhsa_kernel
	.section	.text._ZN7rocprim17ROCPRIM_400000_NS6detail17trampoline_kernelINS0_14default_configENS1_27scan_by_key_config_selectorIxxEEZZNS1_16scan_by_key_implILNS1_25lookback_scan_determinismE0ELb1ES3_N6thrust23THRUST_200600_302600_NS6detail15normal_iteratorINS9_10device_ptrIxEEEESE_SE_xNS9_4plusIvEENS9_8equal_toIvEExEE10hipError_tPvRmT2_T3_T4_T5_mT6_T7_P12ihipStream_tbENKUlT_T0_E_clISt17integral_constantIbLb0EESY_IbLb1EEEEDaSU_SV_EUlSU_E_NS1_11comp_targetILNS1_3genE8ELNS1_11target_archE1030ELNS1_3gpuE2ELNS1_3repE0EEENS1_30default_config_static_selectorELNS0_4arch9wavefront6targetE0EEEvT1_,"axG",@progbits,_ZN7rocprim17ROCPRIM_400000_NS6detail17trampoline_kernelINS0_14default_configENS1_27scan_by_key_config_selectorIxxEEZZNS1_16scan_by_key_implILNS1_25lookback_scan_determinismE0ELb1ES3_N6thrust23THRUST_200600_302600_NS6detail15normal_iteratorINS9_10device_ptrIxEEEESE_SE_xNS9_4plusIvEENS9_8equal_toIvEExEE10hipError_tPvRmT2_T3_T4_T5_mT6_T7_P12ihipStream_tbENKUlT_T0_E_clISt17integral_constantIbLb0EESY_IbLb1EEEEDaSU_SV_EUlSU_E_NS1_11comp_targetILNS1_3genE8ELNS1_11target_archE1030ELNS1_3gpuE2ELNS1_3repE0EEENS1_30default_config_static_selectorELNS0_4arch9wavefront6targetE0EEEvT1_,comdat
.Lfunc_end388:
	.size	_ZN7rocprim17ROCPRIM_400000_NS6detail17trampoline_kernelINS0_14default_configENS1_27scan_by_key_config_selectorIxxEEZZNS1_16scan_by_key_implILNS1_25lookback_scan_determinismE0ELb1ES3_N6thrust23THRUST_200600_302600_NS6detail15normal_iteratorINS9_10device_ptrIxEEEESE_SE_xNS9_4plusIvEENS9_8equal_toIvEExEE10hipError_tPvRmT2_T3_T4_T5_mT6_T7_P12ihipStream_tbENKUlT_T0_E_clISt17integral_constantIbLb0EESY_IbLb1EEEEDaSU_SV_EUlSU_E_NS1_11comp_targetILNS1_3genE8ELNS1_11target_archE1030ELNS1_3gpuE2ELNS1_3repE0EEENS1_30default_config_static_selectorELNS0_4arch9wavefront6targetE0EEEvT1_, .Lfunc_end388-_ZN7rocprim17ROCPRIM_400000_NS6detail17trampoline_kernelINS0_14default_configENS1_27scan_by_key_config_selectorIxxEEZZNS1_16scan_by_key_implILNS1_25lookback_scan_determinismE0ELb1ES3_N6thrust23THRUST_200600_302600_NS6detail15normal_iteratorINS9_10device_ptrIxEEEESE_SE_xNS9_4plusIvEENS9_8equal_toIvEExEE10hipError_tPvRmT2_T3_T4_T5_mT6_T7_P12ihipStream_tbENKUlT_T0_E_clISt17integral_constantIbLb0EESY_IbLb1EEEEDaSU_SV_EUlSU_E_NS1_11comp_targetILNS1_3genE8ELNS1_11target_archE1030ELNS1_3gpuE2ELNS1_3repE0EEENS1_30default_config_static_selectorELNS0_4arch9wavefront6targetE0EEEvT1_
                                        ; -- End function
	.set _ZN7rocprim17ROCPRIM_400000_NS6detail17trampoline_kernelINS0_14default_configENS1_27scan_by_key_config_selectorIxxEEZZNS1_16scan_by_key_implILNS1_25lookback_scan_determinismE0ELb1ES3_N6thrust23THRUST_200600_302600_NS6detail15normal_iteratorINS9_10device_ptrIxEEEESE_SE_xNS9_4plusIvEENS9_8equal_toIvEExEE10hipError_tPvRmT2_T3_T4_T5_mT6_T7_P12ihipStream_tbENKUlT_T0_E_clISt17integral_constantIbLb0EESY_IbLb1EEEEDaSU_SV_EUlSU_E_NS1_11comp_targetILNS1_3genE8ELNS1_11target_archE1030ELNS1_3gpuE2ELNS1_3repE0EEENS1_30default_config_static_selectorELNS0_4arch9wavefront6targetE0EEEvT1_.num_vgpr, 109
	.set _ZN7rocprim17ROCPRIM_400000_NS6detail17trampoline_kernelINS0_14default_configENS1_27scan_by_key_config_selectorIxxEEZZNS1_16scan_by_key_implILNS1_25lookback_scan_determinismE0ELb1ES3_N6thrust23THRUST_200600_302600_NS6detail15normal_iteratorINS9_10device_ptrIxEEEESE_SE_xNS9_4plusIvEENS9_8equal_toIvEExEE10hipError_tPvRmT2_T3_T4_T5_mT6_T7_P12ihipStream_tbENKUlT_T0_E_clISt17integral_constantIbLb0EESY_IbLb1EEEEDaSU_SV_EUlSU_E_NS1_11comp_targetILNS1_3genE8ELNS1_11target_archE1030ELNS1_3gpuE2ELNS1_3repE0EEENS1_30default_config_static_selectorELNS0_4arch9wavefront6targetE0EEEvT1_.num_agpr, 0
	.set _ZN7rocprim17ROCPRIM_400000_NS6detail17trampoline_kernelINS0_14default_configENS1_27scan_by_key_config_selectorIxxEEZZNS1_16scan_by_key_implILNS1_25lookback_scan_determinismE0ELb1ES3_N6thrust23THRUST_200600_302600_NS6detail15normal_iteratorINS9_10device_ptrIxEEEESE_SE_xNS9_4plusIvEENS9_8equal_toIvEExEE10hipError_tPvRmT2_T3_T4_T5_mT6_T7_P12ihipStream_tbENKUlT_T0_E_clISt17integral_constantIbLb0EESY_IbLb1EEEEDaSU_SV_EUlSU_E_NS1_11comp_targetILNS1_3genE8ELNS1_11target_archE1030ELNS1_3gpuE2ELNS1_3repE0EEENS1_30default_config_static_selectorELNS0_4arch9wavefront6targetE0EEEvT1_.numbered_sgpr, 51
	.set _ZN7rocprim17ROCPRIM_400000_NS6detail17trampoline_kernelINS0_14default_configENS1_27scan_by_key_config_selectorIxxEEZZNS1_16scan_by_key_implILNS1_25lookback_scan_determinismE0ELb1ES3_N6thrust23THRUST_200600_302600_NS6detail15normal_iteratorINS9_10device_ptrIxEEEESE_SE_xNS9_4plusIvEENS9_8equal_toIvEExEE10hipError_tPvRmT2_T3_T4_T5_mT6_T7_P12ihipStream_tbENKUlT_T0_E_clISt17integral_constantIbLb0EESY_IbLb1EEEEDaSU_SV_EUlSU_E_NS1_11comp_targetILNS1_3genE8ELNS1_11target_archE1030ELNS1_3gpuE2ELNS1_3repE0EEENS1_30default_config_static_selectorELNS0_4arch9wavefront6targetE0EEEvT1_.num_named_barrier, 0
	.set _ZN7rocprim17ROCPRIM_400000_NS6detail17trampoline_kernelINS0_14default_configENS1_27scan_by_key_config_selectorIxxEEZZNS1_16scan_by_key_implILNS1_25lookback_scan_determinismE0ELb1ES3_N6thrust23THRUST_200600_302600_NS6detail15normal_iteratorINS9_10device_ptrIxEEEESE_SE_xNS9_4plusIvEENS9_8equal_toIvEExEE10hipError_tPvRmT2_T3_T4_T5_mT6_T7_P12ihipStream_tbENKUlT_T0_E_clISt17integral_constantIbLb0EESY_IbLb1EEEEDaSU_SV_EUlSU_E_NS1_11comp_targetILNS1_3genE8ELNS1_11target_archE1030ELNS1_3gpuE2ELNS1_3repE0EEENS1_30default_config_static_selectorELNS0_4arch9wavefront6targetE0EEEvT1_.private_seg_size, 0
	.set _ZN7rocprim17ROCPRIM_400000_NS6detail17trampoline_kernelINS0_14default_configENS1_27scan_by_key_config_selectorIxxEEZZNS1_16scan_by_key_implILNS1_25lookback_scan_determinismE0ELb1ES3_N6thrust23THRUST_200600_302600_NS6detail15normal_iteratorINS9_10device_ptrIxEEEESE_SE_xNS9_4plusIvEENS9_8equal_toIvEExEE10hipError_tPvRmT2_T3_T4_T5_mT6_T7_P12ihipStream_tbENKUlT_T0_E_clISt17integral_constantIbLb0EESY_IbLb1EEEEDaSU_SV_EUlSU_E_NS1_11comp_targetILNS1_3genE8ELNS1_11target_archE1030ELNS1_3gpuE2ELNS1_3repE0EEENS1_30default_config_static_selectorELNS0_4arch9wavefront6targetE0EEEvT1_.uses_vcc, 1
	.set _ZN7rocprim17ROCPRIM_400000_NS6detail17trampoline_kernelINS0_14default_configENS1_27scan_by_key_config_selectorIxxEEZZNS1_16scan_by_key_implILNS1_25lookback_scan_determinismE0ELb1ES3_N6thrust23THRUST_200600_302600_NS6detail15normal_iteratorINS9_10device_ptrIxEEEESE_SE_xNS9_4plusIvEENS9_8equal_toIvEExEE10hipError_tPvRmT2_T3_T4_T5_mT6_T7_P12ihipStream_tbENKUlT_T0_E_clISt17integral_constantIbLb0EESY_IbLb1EEEEDaSU_SV_EUlSU_E_NS1_11comp_targetILNS1_3genE8ELNS1_11target_archE1030ELNS1_3gpuE2ELNS1_3repE0EEENS1_30default_config_static_selectorELNS0_4arch9wavefront6targetE0EEEvT1_.uses_flat_scratch, 1
	.set _ZN7rocprim17ROCPRIM_400000_NS6detail17trampoline_kernelINS0_14default_configENS1_27scan_by_key_config_selectorIxxEEZZNS1_16scan_by_key_implILNS1_25lookback_scan_determinismE0ELb1ES3_N6thrust23THRUST_200600_302600_NS6detail15normal_iteratorINS9_10device_ptrIxEEEESE_SE_xNS9_4plusIvEENS9_8equal_toIvEExEE10hipError_tPvRmT2_T3_T4_T5_mT6_T7_P12ihipStream_tbENKUlT_T0_E_clISt17integral_constantIbLb0EESY_IbLb1EEEEDaSU_SV_EUlSU_E_NS1_11comp_targetILNS1_3genE8ELNS1_11target_archE1030ELNS1_3gpuE2ELNS1_3repE0EEENS1_30default_config_static_selectorELNS0_4arch9wavefront6targetE0EEEvT1_.has_dyn_sized_stack, 0
	.set _ZN7rocprim17ROCPRIM_400000_NS6detail17trampoline_kernelINS0_14default_configENS1_27scan_by_key_config_selectorIxxEEZZNS1_16scan_by_key_implILNS1_25lookback_scan_determinismE0ELb1ES3_N6thrust23THRUST_200600_302600_NS6detail15normal_iteratorINS9_10device_ptrIxEEEESE_SE_xNS9_4plusIvEENS9_8equal_toIvEExEE10hipError_tPvRmT2_T3_T4_T5_mT6_T7_P12ihipStream_tbENKUlT_T0_E_clISt17integral_constantIbLb0EESY_IbLb1EEEEDaSU_SV_EUlSU_E_NS1_11comp_targetILNS1_3genE8ELNS1_11target_archE1030ELNS1_3gpuE2ELNS1_3repE0EEENS1_30default_config_static_selectorELNS0_4arch9wavefront6targetE0EEEvT1_.has_recursion, 0
	.set _ZN7rocprim17ROCPRIM_400000_NS6detail17trampoline_kernelINS0_14default_configENS1_27scan_by_key_config_selectorIxxEEZZNS1_16scan_by_key_implILNS1_25lookback_scan_determinismE0ELb1ES3_N6thrust23THRUST_200600_302600_NS6detail15normal_iteratorINS9_10device_ptrIxEEEESE_SE_xNS9_4plusIvEENS9_8equal_toIvEExEE10hipError_tPvRmT2_T3_T4_T5_mT6_T7_P12ihipStream_tbENKUlT_T0_E_clISt17integral_constantIbLb0EESY_IbLb1EEEEDaSU_SV_EUlSU_E_NS1_11comp_targetILNS1_3genE8ELNS1_11target_archE1030ELNS1_3gpuE2ELNS1_3repE0EEENS1_30default_config_static_selectorELNS0_4arch9wavefront6targetE0EEEvT1_.has_indirect_call, 0
	.section	.AMDGPU.csdata,"",@progbits
; Kernel info:
; codeLenInByte = 15828
; TotalNumSgprs: 53
; NumVgprs: 109
; ScratchSize: 0
; MemoryBound: 0
; FloatMode: 240
; IeeeMode: 1
; LDSByteSize: 30720 bytes/workgroup (compile time only)
; SGPRBlocks: 0
; VGPRBlocks: 14
; NumSGPRsForWavesPerEU: 53
; NumVGPRsForWavesPerEU: 113
; Occupancy: 8
; WaveLimiterHint : 1
; COMPUTE_PGM_RSRC2:SCRATCH_EN: 0
; COMPUTE_PGM_RSRC2:USER_SGPR: 6
; COMPUTE_PGM_RSRC2:TRAP_HANDLER: 0
; COMPUTE_PGM_RSRC2:TGID_X_EN: 1
; COMPUTE_PGM_RSRC2:TGID_Y_EN: 0
; COMPUTE_PGM_RSRC2:TGID_Z_EN: 0
; COMPUTE_PGM_RSRC2:TIDIG_COMP_CNT: 0
	.section	.text._ZN7rocprim17ROCPRIM_400000_NS6detail17trampoline_kernelINS0_14default_configENS1_27scan_by_key_config_selectorIxxEEZZNS1_16scan_by_key_implILNS1_25lookback_scan_determinismE0ELb1ES3_N6thrust23THRUST_200600_302600_NS6detail15normal_iteratorINS9_10device_ptrIxEEEESE_SE_xNS9_10multipliesIxEENS9_8equal_toIxEExEE10hipError_tPvRmT2_T3_T4_T5_mT6_T7_P12ihipStream_tbENKUlT_T0_E_clISt17integral_constantIbLb0EESZ_EEDaSU_SV_EUlSU_E_NS1_11comp_targetILNS1_3genE0ELNS1_11target_archE4294967295ELNS1_3gpuE0ELNS1_3repE0EEENS1_30default_config_static_selectorELNS0_4arch9wavefront6targetE0EEEvT1_,"axG",@progbits,_ZN7rocprim17ROCPRIM_400000_NS6detail17trampoline_kernelINS0_14default_configENS1_27scan_by_key_config_selectorIxxEEZZNS1_16scan_by_key_implILNS1_25lookback_scan_determinismE0ELb1ES3_N6thrust23THRUST_200600_302600_NS6detail15normal_iteratorINS9_10device_ptrIxEEEESE_SE_xNS9_10multipliesIxEENS9_8equal_toIxEExEE10hipError_tPvRmT2_T3_T4_T5_mT6_T7_P12ihipStream_tbENKUlT_T0_E_clISt17integral_constantIbLb0EESZ_EEDaSU_SV_EUlSU_E_NS1_11comp_targetILNS1_3genE0ELNS1_11target_archE4294967295ELNS1_3gpuE0ELNS1_3repE0EEENS1_30default_config_static_selectorELNS0_4arch9wavefront6targetE0EEEvT1_,comdat
	.protected	_ZN7rocprim17ROCPRIM_400000_NS6detail17trampoline_kernelINS0_14default_configENS1_27scan_by_key_config_selectorIxxEEZZNS1_16scan_by_key_implILNS1_25lookback_scan_determinismE0ELb1ES3_N6thrust23THRUST_200600_302600_NS6detail15normal_iteratorINS9_10device_ptrIxEEEESE_SE_xNS9_10multipliesIxEENS9_8equal_toIxEExEE10hipError_tPvRmT2_T3_T4_T5_mT6_T7_P12ihipStream_tbENKUlT_T0_E_clISt17integral_constantIbLb0EESZ_EEDaSU_SV_EUlSU_E_NS1_11comp_targetILNS1_3genE0ELNS1_11target_archE4294967295ELNS1_3gpuE0ELNS1_3repE0EEENS1_30default_config_static_selectorELNS0_4arch9wavefront6targetE0EEEvT1_ ; -- Begin function _ZN7rocprim17ROCPRIM_400000_NS6detail17trampoline_kernelINS0_14default_configENS1_27scan_by_key_config_selectorIxxEEZZNS1_16scan_by_key_implILNS1_25lookback_scan_determinismE0ELb1ES3_N6thrust23THRUST_200600_302600_NS6detail15normal_iteratorINS9_10device_ptrIxEEEESE_SE_xNS9_10multipliesIxEENS9_8equal_toIxEExEE10hipError_tPvRmT2_T3_T4_T5_mT6_T7_P12ihipStream_tbENKUlT_T0_E_clISt17integral_constantIbLb0EESZ_EEDaSU_SV_EUlSU_E_NS1_11comp_targetILNS1_3genE0ELNS1_11target_archE4294967295ELNS1_3gpuE0ELNS1_3repE0EEENS1_30default_config_static_selectorELNS0_4arch9wavefront6targetE0EEEvT1_
	.globl	_ZN7rocprim17ROCPRIM_400000_NS6detail17trampoline_kernelINS0_14default_configENS1_27scan_by_key_config_selectorIxxEEZZNS1_16scan_by_key_implILNS1_25lookback_scan_determinismE0ELb1ES3_N6thrust23THRUST_200600_302600_NS6detail15normal_iteratorINS9_10device_ptrIxEEEESE_SE_xNS9_10multipliesIxEENS9_8equal_toIxEExEE10hipError_tPvRmT2_T3_T4_T5_mT6_T7_P12ihipStream_tbENKUlT_T0_E_clISt17integral_constantIbLb0EESZ_EEDaSU_SV_EUlSU_E_NS1_11comp_targetILNS1_3genE0ELNS1_11target_archE4294967295ELNS1_3gpuE0ELNS1_3repE0EEENS1_30default_config_static_selectorELNS0_4arch9wavefront6targetE0EEEvT1_
	.p2align	8
	.type	_ZN7rocprim17ROCPRIM_400000_NS6detail17trampoline_kernelINS0_14default_configENS1_27scan_by_key_config_selectorIxxEEZZNS1_16scan_by_key_implILNS1_25lookback_scan_determinismE0ELb1ES3_N6thrust23THRUST_200600_302600_NS6detail15normal_iteratorINS9_10device_ptrIxEEEESE_SE_xNS9_10multipliesIxEENS9_8equal_toIxEExEE10hipError_tPvRmT2_T3_T4_T5_mT6_T7_P12ihipStream_tbENKUlT_T0_E_clISt17integral_constantIbLb0EESZ_EEDaSU_SV_EUlSU_E_NS1_11comp_targetILNS1_3genE0ELNS1_11target_archE4294967295ELNS1_3gpuE0ELNS1_3repE0EEENS1_30default_config_static_selectorELNS0_4arch9wavefront6targetE0EEEvT1_,@function
_ZN7rocprim17ROCPRIM_400000_NS6detail17trampoline_kernelINS0_14default_configENS1_27scan_by_key_config_selectorIxxEEZZNS1_16scan_by_key_implILNS1_25lookback_scan_determinismE0ELb1ES3_N6thrust23THRUST_200600_302600_NS6detail15normal_iteratorINS9_10device_ptrIxEEEESE_SE_xNS9_10multipliesIxEENS9_8equal_toIxEExEE10hipError_tPvRmT2_T3_T4_T5_mT6_T7_P12ihipStream_tbENKUlT_T0_E_clISt17integral_constantIbLb0EESZ_EEDaSU_SV_EUlSU_E_NS1_11comp_targetILNS1_3genE0ELNS1_11target_archE4294967295ELNS1_3gpuE0ELNS1_3repE0EEENS1_30default_config_static_selectorELNS0_4arch9wavefront6targetE0EEEvT1_: ; @_ZN7rocprim17ROCPRIM_400000_NS6detail17trampoline_kernelINS0_14default_configENS1_27scan_by_key_config_selectorIxxEEZZNS1_16scan_by_key_implILNS1_25lookback_scan_determinismE0ELb1ES3_N6thrust23THRUST_200600_302600_NS6detail15normal_iteratorINS9_10device_ptrIxEEEESE_SE_xNS9_10multipliesIxEENS9_8equal_toIxEExEE10hipError_tPvRmT2_T3_T4_T5_mT6_T7_P12ihipStream_tbENKUlT_T0_E_clISt17integral_constantIbLb0EESZ_EEDaSU_SV_EUlSU_E_NS1_11comp_targetILNS1_3genE0ELNS1_11target_archE4294967295ELNS1_3gpuE0ELNS1_3repE0EEENS1_30default_config_static_selectorELNS0_4arch9wavefront6targetE0EEEvT1_
; %bb.0:
	.section	.rodata,"a",@progbits
	.p2align	6, 0x0
	.amdhsa_kernel _ZN7rocprim17ROCPRIM_400000_NS6detail17trampoline_kernelINS0_14default_configENS1_27scan_by_key_config_selectorIxxEEZZNS1_16scan_by_key_implILNS1_25lookback_scan_determinismE0ELb1ES3_N6thrust23THRUST_200600_302600_NS6detail15normal_iteratorINS9_10device_ptrIxEEEESE_SE_xNS9_10multipliesIxEENS9_8equal_toIxEExEE10hipError_tPvRmT2_T3_T4_T5_mT6_T7_P12ihipStream_tbENKUlT_T0_E_clISt17integral_constantIbLb0EESZ_EEDaSU_SV_EUlSU_E_NS1_11comp_targetILNS1_3genE0ELNS1_11target_archE4294967295ELNS1_3gpuE0ELNS1_3repE0EEENS1_30default_config_static_selectorELNS0_4arch9wavefront6targetE0EEEvT1_
		.amdhsa_group_segment_fixed_size 0
		.amdhsa_private_segment_fixed_size 0
		.amdhsa_kernarg_size 136
		.amdhsa_user_sgpr_count 6
		.amdhsa_user_sgpr_private_segment_buffer 1
		.amdhsa_user_sgpr_dispatch_ptr 0
		.amdhsa_user_sgpr_queue_ptr 0
		.amdhsa_user_sgpr_kernarg_segment_ptr 1
		.amdhsa_user_sgpr_dispatch_id 0
		.amdhsa_user_sgpr_flat_scratch_init 0
		.amdhsa_user_sgpr_private_segment_size 0
		.amdhsa_wavefront_size32 1
		.amdhsa_uses_dynamic_stack 0
		.amdhsa_system_sgpr_private_segment_wavefront_offset 0
		.amdhsa_system_sgpr_workgroup_id_x 1
		.amdhsa_system_sgpr_workgroup_id_y 0
		.amdhsa_system_sgpr_workgroup_id_z 0
		.amdhsa_system_sgpr_workgroup_info 0
		.amdhsa_system_vgpr_workitem_id 0
		.amdhsa_next_free_vgpr 1
		.amdhsa_next_free_sgpr 1
		.amdhsa_reserve_vcc 0
		.amdhsa_reserve_flat_scratch 0
		.amdhsa_float_round_mode_32 0
		.amdhsa_float_round_mode_16_64 0
		.amdhsa_float_denorm_mode_32 3
		.amdhsa_float_denorm_mode_16_64 3
		.amdhsa_dx10_clamp 1
		.amdhsa_ieee_mode 1
		.amdhsa_fp16_overflow 0
		.amdhsa_workgroup_processor_mode 1
		.amdhsa_memory_ordered 1
		.amdhsa_forward_progress 1
		.amdhsa_shared_vgpr_count 0
		.amdhsa_exception_fp_ieee_invalid_op 0
		.amdhsa_exception_fp_denorm_src 0
		.amdhsa_exception_fp_ieee_div_zero 0
		.amdhsa_exception_fp_ieee_overflow 0
		.amdhsa_exception_fp_ieee_underflow 0
		.amdhsa_exception_fp_ieee_inexact 0
		.amdhsa_exception_int_div_zero 0
	.end_amdhsa_kernel
	.section	.text._ZN7rocprim17ROCPRIM_400000_NS6detail17trampoline_kernelINS0_14default_configENS1_27scan_by_key_config_selectorIxxEEZZNS1_16scan_by_key_implILNS1_25lookback_scan_determinismE0ELb1ES3_N6thrust23THRUST_200600_302600_NS6detail15normal_iteratorINS9_10device_ptrIxEEEESE_SE_xNS9_10multipliesIxEENS9_8equal_toIxEExEE10hipError_tPvRmT2_T3_T4_T5_mT6_T7_P12ihipStream_tbENKUlT_T0_E_clISt17integral_constantIbLb0EESZ_EEDaSU_SV_EUlSU_E_NS1_11comp_targetILNS1_3genE0ELNS1_11target_archE4294967295ELNS1_3gpuE0ELNS1_3repE0EEENS1_30default_config_static_selectorELNS0_4arch9wavefront6targetE0EEEvT1_,"axG",@progbits,_ZN7rocprim17ROCPRIM_400000_NS6detail17trampoline_kernelINS0_14default_configENS1_27scan_by_key_config_selectorIxxEEZZNS1_16scan_by_key_implILNS1_25lookback_scan_determinismE0ELb1ES3_N6thrust23THRUST_200600_302600_NS6detail15normal_iteratorINS9_10device_ptrIxEEEESE_SE_xNS9_10multipliesIxEENS9_8equal_toIxEExEE10hipError_tPvRmT2_T3_T4_T5_mT6_T7_P12ihipStream_tbENKUlT_T0_E_clISt17integral_constantIbLb0EESZ_EEDaSU_SV_EUlSU_E_NS1_11comp_targetILNS1_3genE0ELNS1_11target_archE4294967295ELNS1_3gpuE0ELNS1_3repE0EEENS1_30default_config_static_selectorELNS0_4arch9wavefront6targetE0EEEvT1_,comdat
.Lfunc_end389:
	.size	_ZN7rocprim17ROCPRIM_400000_NS6detail17trampoline_kernelINS0_14default_configENS1_27scan_by_key_config_selectorIxxEEZZNS1_16scan_by_key_implILNS1_25lookback_scan_determinismE0ELb1ES3_N6thrust23THRUST_200600_302600_NS6detail15normal_iteratorINS9_10device_ptrIxEEEESE_SE_xNS9_10multipliesIxEENS9_8equal_toIxEExEE10hipError_tPvRmT2_T3_T4_T5_mT6_T7_P12ihipStream_tbENKUlT_T0_E_clISt17integral_constantIbLb0EESZ_EEDaSU_SV_EUlSU_E_NS1_11comp_targetILNS1_3genE0ELNS1_11target_archE4294967295ELNS1_3gpuE0ELNS1_3repE0EEENS1_30default_config_static_selectorELNS0_4arch9wavefront6targetE0EEEvT1_, .Lfunc_end389-_ZN7rocprim17ROCPRIM_400000_NS6detail17trampoline_kernelINS0_14default_configENS1_27scan_by_key_config_selectorIxxEEZZNS1_16scan_by_key_implILNS1_25lookback_scan_determinismE0ELb1ES3_N6thrust23THRUST_200600_302600_NS6detail15normal_iteratorINS9_10device_ptrIxEEEESE_SE_xNS9_10multipliesIxEENS9_8equal_toIxEExEE10hipError_tPvRmT2_T3_T4_T5_mT6_T7_P12ihipStream_tbENKUlT_T0_E_clISt17integral_constantIbLb0EESZ_EEDaSU_SV_EUlSU_E_NS1_11comp_targetILNS1_3genE0ELNS1_11target_archE4294967295ELNS1_3gpuE0ELNS1_3repE0EEENS1_30default_config_static_selectorELNS0_4arch9wavefront6targetE0EEEvT1_
                                        ; -- End function
	.set _ZN7rocprim17ROCPRIM_400000_NS6detail17trampoline_kernelINS0_14default_configENS1_27scan_by_key_config_selectorIxxEEZZNS1_16scan_by_key_implILNS1_25lookback_scan_determinismE0ELb1ES3_N6thrust23THRUST_200600_302600_NS6detail15normal_iteratorINS9_10device_ptrIxEEEESE_SE_xNS9_10multipliesIxEENS9_8equal_toIxEExEE10hipError_tPvRmT2_T3_T4_T5_mT6_T7_P12ihipStream_tbENKUlT_T0_E_clISt17integral_constantIbLb0EESZ_EEDaSU_SV_EUlSU_E_NS1_11comp_targetILNS1_3genE0ELNS1_11target_archE4294967295ELNS1_3gpuE0ELNS1_3repE0EEENS1_30default_config_static_selectorELNS0_4arch9wavefront6targetE0EEEvT1_.num_vgpr, 0
	.set _ZN7rocprim17ROCPRIM_400000_NS6detail17trampoline_kernelINS0_14default_configENS1_27scan_by_key_config_selectorIxxEEZZNS1_16scan_by_key_implILNS1_25lookback_scan_determinismE0ELb1ES3_N6thrust23THRUST_200600_302600_NS6detail15normal_iteratorINS9_10device_ptrIxEEEESE_SE_xNS9_10multipliesIxEENS9_8equal_toIxEExEE10hipError_tPvRmT2_T3_T4_T5_mT6_T7_P12ihipStream_tbENKUlT_T0_E_clISt17integral_constantIbLb0EESZ_EEDaSU_SV_EUlSU_E_NS1_11comp_targetILNS1_3genE0ELNS1_11target_archE4294967295ELNS1_3gpuE0ELNS1_3repE0EEENS1_30default_config_static_selectorELNS0_4arch9wavefront6targetE0EEEvT1_.num_agpr, 0
	.set _ZN7rocprim17ROCPRIM_400000_NS6detail17trampoline_kernelINS0_14default_configENS1_27scan_by_key_config_selectorIxxEEZZNS1_16scan_by_key_implILNS1_25lookback_scan_determinismE0ELb1ES3_N6thrust23THRUST_200600_302600_NS6detail15normal_iteratorINS9_10device_ptrIxEEEESE_SE_xNS9_10multipliesIxEENS9_8equal_toIxEExEE10hipError_tPvRmT2_T3_T4_T5_mT6_T7_P12ihipStream_tbENKUlT_T0_E_clISt17integral_constantIbLb0EESZ_EEDaSU_SV_EUlSU_E_NS1_11comp_targetILNS1_3genE0ELNS1_11target_archE4294967295ELNS1_3gpuE0ELNS1_3repE0EEENS1_30default_config_static_selectorELNS0_4arch9wavefront6targetE0EEEvT1_.numbered_sgpr, 0
	.set _ZN7rocprim17ROCPRIM_400000_NS6detail17trampoline_kernelINS0_14default_configENS1_27scan_by_key_config_selectorIxxEEZZNS1_16scan_by_key_implILNS1_25lookback_scan_determinismE0ELb1ES3_N6thrust23THRUST_200600_302600_NS6detail15normal_iteratorINS9_10device_ptrIxEEEESE_SE_xNS9_10multipliesIxEENS9_8equal_toIxEExEE10hipError_tPvRmT2_T3_T4_T5_mT6_T7_P12ihipStream_tbENKUlT_T0_E_clISt17integral_constantIbLb0EESZ_EEDaSU_SV_EUlSU_E_NS1_11comp_targetILNS1_3genE0ELNS1_11target_archE4294967295ELNS1_3gpuE0ELNS1_3repE0EEENS1_30default_config_static_selectorELNS0_4arch9wavefront6targetE0EEEvT1_.num_named_barrier, 0
	.set _ZN7rocprim17ROCPRIM_400000_NS6detail17trampoline_kernelINS0_14default_configENS1_27scan_by_key_config_selectorIxxEEZZNS1_16scan_by_key_implILNS1_25lookback_scan_determinismE0ELb1ES3_N6thrust23THRUST_200600_302600_NS6detail15normal_iteratorINS9_10device_ptrIxEEEESE_SE_xNS9_10multipliesIxEENS9_8equal_toIxEExEE10hipError_tPvRmT2_T3_T4_T5_mT6_T7_P12ihipStream_tbENKUlT_T0_E_clISt17integral_constantIbLb0EESZ_EEDaSU_SV_EUlSU_E_NS1_11comp_targetILNS1_3genE0ELNS1_11target_archE4294967295ELNS1_3gpuE0ELNS1_3repE0EEENS1_30default_config_static_selectorELNS0_4arch9wavefront6targetE0EEEvT1_.private_seg_size, 0
	.set _ZN7rocprim17ROCPRIM_400000_NS6detail17trampoline_kernelINS0_14default_configENS1_27scan_by_key_config_selectorIxxEEZZNS1_16scan_by_key_implILNS1_25lookback_scan_determinismE0ELb1ES3_N6thrust23THRUST_200600_302600_NS6detail15normal_iteratorINS9_10device_ptrIxEEEESE_SE_xNS9_10multipliesIxEENS9_8equal_toIxEExEE10hipError_tPvRmT2_T3_T4_T5_mT6_T7_P12ihipStream_tbENKUlT_T0_E_clISt17integral_constantIbLb0EESZ_EEDaSU_SV_EUlSU_E_NS1_11comp_targetILNS1_3genE0ELNS1_11target_archE4294967295ELNS1_3gpuE0ELNS1_3repE0EEENS1_30default_config_static_selectorELNS0_4arch9wavefront6targetE0EEEvT1_.uses_vcc, 0
	.set _ZN7rocprim17ROCPRIM_400000_NS6detail17trampoline_kernelINS0_14default_configENS1_27scan_by_key_config_selectorIxxEEZZNS1_16scan_by_key_implILNS1_25lookback_scan_determinismE0ELb1ES3_N6thrust23THRUST_200600_302600_NS6detail15normal_iteratorINS9_10device_ptrIxEEEESE_SE_xNS9_10multipliesIxEENS9_8equal_toIxEExEE10hipError_tPvRmT2_T3_T4_T5_mT6_T7_P12ihipStream_tbENKUlT_T0_E_clISt17integral_constantIbLb0EESZ_EEDaSU_SV_EUlSU_E_NS1_11comp_targetILNS1_3genE0ELNS1_11target_archE4294967295ELNS1_3gpuE0ELNS1_3repE0EEENS1_30default_config_static_selectorELNS0_4arch9wavefront6targetE0EEEvT1_.uses_flat_scratch, 0
	.set _ZN7rocprim17ROCPRIM_400000_NS6detail17trampoline_kernelINS0_14default_configENS1_27scan_by_key_config_selectorIxxEEZZNS1_16scan_by_key_implILNS1_25lookback_scan_determinismE0ELb1ES3_N6thrust23THRUST_200600_302600_NS6detail15normal_iteratorINS9_10device_ptrIxEEEESE_SE_xNS9_10multipliesIxEENS9_8equal_toIxEExEE10hipError_tPvRmT2_T3_T4_T5_mT6_T7_P12ihipStream_tbENKUlT_T0_E_clISt17integral_constantIbLb0EESZ_EEDaSU_SV_EUlSU_E_NS1_11comp_targetILNS1_3genE0ELNS1_11target_archE4294967295ELNS1_3gpuE0ELNS1_3repE0EEENS1_30default_config_static_selectorELNS0_4arch9wavefront6targetE0EEEvT1_.has_dyn_sized_stack, 0
	.set _ZN7rocprim17ROCPRIM_400000_NS6detail17trampoline_kernelINS0_14default_configENS1_27scan_by_key_config_selectorIxxEEZZNS1_16scan_by_key_implILNS1_25lookback_scan_determinismE0ELb1ES3_N6thrust23THRUST_200600_302600_NS6detail15normal_iteratorINS9_10device_ptrIxEEEESE_SE_xNS9_10multipliesIxEENS9_8equal_toIxEExEE10hipError_tPvRmT2_T3_T4_T5_mT6_T7_P12ihipStream_tbENKUlT_T0_E_clISt17integral_constantIbLb0EESZ_EEDaSU_SV_EUlSU_E_NS1_11comp_targetILNS1_3genE0ELNS1_11target_archE4294967295ELNS1_3gpuE0ELNS1_3repE0EEENS1_30default_config_static_selectorELNS0_4arch9wavefront6targetE0EEEvT1_.has_recursion, 0
	.set _ZN7rocprim17ROCPRIM_400000_NS6detail17trampoline_kernelINS0_14default_configENS1_27scan_by_key_config_selectorIxxEEZZNS1_16scan_by_key_implILNS1_25lookback_scan_determinismE0ELb1ES3_N6thrust23THRUST_200600_302600_NS6detail15normal_iteratorINS9_10device_ptrIxEEEESE_SE_xNS9_10multipliesIxEENS9_8equal_toIxEExEE10hipError_tPvRmT2_T3_T4_T5_mT6_T7_P12ihipStream_tbENKUlT_T0_E_clISt17integral_constantIbLb0EESZ_EEDaSU_SV_EUlSU_E_NS1_11comp_targetILNS1_3genE0ELNS1_11target_archE4294967295ELNS1_3gpuE0ELNS1_3repE0EEENS1_30default_config_static_selectorELNS0_4arch9wavefront6targetE0EEEvT1_.has_indirect_call, 0
	.section	.AMDGPU.csdata,"",@progbits
; Kernel info:
; codeLenInByte = 0
; TotalNumSgprs: 0
; NumVgprs: 0
; ScratchSize: 0
; MemoryBound: 0
; FloatMode: 240
; IeeeMode: 1
; LDSByteSize: 0 bytes/workgroup (compile time only)
; SGPRBlocks: 0
; VGPRBlocks: 0
; NumSGPRsForWavesPerEU: 1
; NumVGPRsForWavesPerEU: 1
; Occupancy: 16
; WaveLimiterHint : 0
; COMPUTE_PGM_RSRC2:SCRATCH_EN: 0
; COMPUTE_PGM_RSRC2:USER_SGPR: 6
; COMPUTE_PGM_RSRC2:TRAP_HANDLER: 0
; COMPUTE_PGM_RSRC2:TGID_X_EN: 1
; COMPUTE_PGM_RSRC2:TGID_Y_EN: 0
; COMPUTE_PGM_RSRC2:TGID_Z_EN: 0
; COMPUTE_PGM_RSRC2:TIDIG_COMP_CNT: 0
	.section	.text._ZN7rocprim17ROCPRIM_400000_NS6detail17trampoline_kernelINS0_14default_configENS1_27scan_by_key_config_selectorIxxEEZZNS1_16scan_by_key_implILNS1_25lookback_scan_determinismE0ELb1ES3_N6thrust23THRUST_200600_302600_NS6detail15normal_iteratorINS9_10device_ptrIxEEEESE_SE_xNS9_10multipliesIxEENS9_8equal_toIxEExEE10hipError_tPvRmT2_T3_T4_T5_mT6_T7_P12ihipStream_tbENKUlT_T0_E_clISt17integral_constantIbLb0EESZ_EEDaSU_SV_EUlSU_E_NS1_11comp_targetILNS1_3genE10ELNS1_11target_archE1201ELNS1_3gpuE5ELNS1_3repE0EEENS1_30default_config_static_selectorELNS0_4arch9wavefront6targetE0EEEvT1_,"axG",@progbits,_ZN7rocprim17ROCPRIM_400000_NS6detail17trampoline_kernelINS0_14default_configENS1_27scan_by_key_config_selectorIxxEEZZNS1_16scan_by_key_implILNS1_25lookback_scan_determinismE0ELb1ES3_N6thrust23THRUST_200600_302600_NS6detail15normal_iteratorINS9_10device_ptrIxEEEESE_SE_xNS9_10multipliesIxEENS9_8equal_toIxEExEE10hipError_tPvRmT2_T3_T4_T5_mT6_T7_P12ihipStream_tbENKUlT_T0_E_clISt17integral_constantIbLb0EESZ_EEDaSU_SV_EUlSU_E_NS1_11comp_targetILNS1_3genE10ELNS1_11target_archE1201ELNS1_3gpuE5ELNS1_3repE0EEENS1_30default_config_static_selectorELNS0_4arch9wavefront6targetE0EEEvT1_,comdat
	.protected	_ZN7rocprim17ROCPRIM_400000_NS6detail17trampoline_kernelINS0_14default_configENS1_27scan_by_key_config_selectorIxxEEZZNS1_16scan_by_key_implILNS1_25lookback_scan_determinismE0ELb1ES3_N6thrust23THRUST_200600_302600_NS6detail15normal_iteratorINS9_10device_ptrIxEEEESE_SE_xNS9_10multipliesIxEENS9_8equal_toIxEExEE10hipError_tPvRmT2_T3_T4_T5_mT6_T7_P12ihipStream_tbENKUlT_T0_E_clISt17integral_constantIbLb0EESZ_EEDaSU_SV_EUlSU_E_NS1_11comp_targetILNS1_3genE10ELNS1_11target_archE1201ELNS1_3gpuE5ELNS1_3repE0EEENS1_30default_config_static_selectorELNS0_4arch9wavefront6targetE0EEEvT1_ ; -- Begin function _ZN7rocprim17ROCPRIM_400000_NS6detail17trampoline_kernelINS0_14default_configENS1_27scan_by_key_config_selectorIxxEEZZNS1_16scan_by_key_implILNS1_25lookback_scan_determinismE0ELb1ES3_N6thrust23THRUST_200600_302600_NS6detail15normal_iteratorINS9_10device_ptrIxEEEESE_SE_xNS9_10multipliesIxEENS9_8equal_toIxEExEE10hipError_tPvRmT2_T3_T4_T5_mT6_T7_P12ihipStream_tbENKUlT_T0_E_clISt17integral_constantIbLb0EESZ_EEDaSU_SV_EUlSU_E_NS1_11comp_targetILNS1_3genE10ELNS1_11target_archE1201ELNS1_3gpuE5ELNS1_3repE0EEENS1_30default_config_static_selectorELNS0_4arch9wavefront6targetE0EEEvT1_
	.globl	_ZN7rocprim17ROCPRIM_400000_NS6detail17trampoline_kernelINS0_14default_configENS1_27scan_by_key_config_selectorIxxEEZZNS1_16scan_by_key_implILNS1_25lookback_scan_determinismE0ELb1ES3_N6thrust23THRUST_200600_302600_NS6detail15normal_iteratorINS9_10device_ptrIxEEEESE_SE_xNS9_10multipliesIxEENS9_8equal_toIxEExEE10hipError_tPvRmT2_T3_T4_T5_mT6_T7_P12ihipStream_tbENKUlT_T0_E_clISt17integral_constantIbLb0EESZ_EEDaSU_SV_EUlSU_E_NS1_11comp_targetILNS1_3genE10ELNS1_11target_archE1201ELNS1_3gpuE5ELNS1_3repE0EEENS1_30default_config_static_selectorELNS0_4arch9wavefront6targetE0EEEvT1_
	.p2align	8
	.type	_ZN7rocprim17ROCPRIM_400000_NS6detail17trampoline_kernelINS0_14default_configENS1_27scan_by_key_config_selectorIxxEEZZNS1_16scan_by_key_implILNS1_25lookback_scan_determinismE0ELb1ES3_N6thrust23THRUST_200600_302600_NS6detail15normal_iteratorINS9_10device_ptrIxEEEESE_SE_xNS9_10multipliesIxEENS9_8equal_toIxEExEE10hipError_tPvRmT2_T3_T4_T5_mT6_T7_P12ihipStream_tbENKUlT_T0_E_clISt17integral_constantIbLb0EESZ_EEDaSU_SV_EUlSU_E_NS1_11comp_targetILNS1_3genE10ELNS1_11target_archE1201ELNS1_3gpuE5ELNS1_3repE0EEENS1_30default_config_static_selectorELNS0_4arch9wavefront6targetE0EEEvT1_,@function
_ZN7rocprim17ROCPRIM_400000_NS6detail17trampoline_kernelINS0_14default_configENS1_27scan_by_key_config_selectorIxxEEZZNS1_16scan_by_key_implILNS1_25lookback_scan_determinismE0ELb1ES3_N6thrust23THRUST_200600_302600_NS6detail15normal_iteratorINS9_10device_ptrIxEEEESE_SE_xNS9_10multipliesIxEENS9_8equal_toIxEExEE10hipError_tPvRmT2_T3_T4_T5_mT6_T7_P12ihipStream_tbENKUlT_T0_E_clISt17integral_constantIbLb0EESZ_EEDaSU_SV_EUlSU_E_NS1_11comp_targetILNS1_3genE10ELNS1_11target_archE1201ELNS1_3gpuE5ELNS1_3repE0EEENS1_30default_config_static_selectorELNS0_4arch9wavefront6targetE0EEEvT1_: ; @_ZN7rocprim17ROCPRIM_400000_NS6detail17trampoline_kernelINS0_14default_configENS1_27scan_by_key_config_selectorIxxEEZZNS1_16scan_by_key_implILNS1_25lookback_scan_determinismE0ELb1ES3_N6thrust23THRUST_200600_302600_NS6detail15normal_iteratorINS9_10device_ptrIxEEEESE_SE_xNS9_10multipliesIxEENS9_8equal_toIxEExEE10hipError_tPvRmT2_T3_T4_T5_mT6_T7_P12ihipStream_tbENKUlT_T0_E_clISt17integral_constantIbLb0EESZ_EEDaSU_SV_EUlSU_E_NS1_11comp_targetILNS1_3genE10ELNS1_11target_archE1201ELNS1_3gpuE5ELNS1_3repE0EEENS1_30default_config_static_selectorELNS0_4arch9wavefront6targetE0EEEvT1_
; %bb.0:
	.section	.rodata,"a",@progbits
	.p2align	6, 0x0
	.amdhsa_kernel _ZN7rocprim17ROCPRIM_400000_NS6detail17trampoline_kernelINS0_14default_configENS1_27scan_by_key_config_selectorIxxEEZZNS1_16scan_by_key_implILNS1_25lookback_scan_determinismE0ELb1ES3_N6thrust23THRUST_200600_302600_NS6detail15normal_iteratorINS9_10device_ptrIxEEEESE_SE_xNS9_10multipliesIxEENS9_8equal_toIxEExEE10hipError_tPvRmT2_T3_T4_T5_mT6_T7_P12ihipStream_tbENKUlT_T0_E_clISt17integral_constantIbLb0EESZ_EEDaSU_SV_EUlSU_E_NS1_11comp_targetILNS1_3genE10ELNS1_11target_archE1201ELNS1_3gpuE5ELNS1_3repE0EEENS1_30default_config_static_selectorELNS0_4arch9wavefront6targetE0EEEvT1_
		.amdhsa_group_segment_fixed_size 0
		.amdhsa_private_segment_fixed_size 0
		.amdhsa_kernarg_size 136
		.amdhsa_user_sgpr_count 6
		.amdhsa_user_sgpr_private_segment_buffer 1
		.amdhsa_user_sgpr_dispatch_ptr 0
		.amdhsa_user_sgpr_queue_ptr 0
		.amdhsa_user_sgpr_kernarg_segment_ptr 1
		.amdhsa_user_sgpr_dispatch_id 0
		.amdhsa_user_sgpr_flat_scratch_init 0
		.amdhsa_user_sgpr_private_segment_size 0
		.amdhsa_wavefront_size32 1
		.amdhsa_uses_dynamic_stack 0
		.amdhsa_system_sgpr_private_segment_wavefront_offset 0
		.amdhsa_system_sgpr_workgroup_id_x 1
		.amdhsa_system_sgpr_workgroup_id_y 0
		.amdhsa_system_sgpr_workgroup_id_z 0
		.amdhsa_system_sgpr_workgroup_info 0
		.amdhsa_system_vgpr_workitem_id 0
		.amdhsa_next_free_vgpr 1
		.amdhsa_next_free_sgpr 1
		.amdhsa_reserve_vcc 0
		.amdhsa_reserve_flat_scratch 0
		.amdhsa_float_round_mode_32 0
		.amdhsa_float_round_mode_16_64 0
		.amdhsa_float_denorm_mode_32 3
		.amdhsa_float_denorm_mode_16_64 3
		.amdhsa_dx10_clamp 1
		.amdhsa_ieee_mode 1
		.amdhsa_fp16_overflow 0
		.amdhsa_workgroup_processor_mode 1
		.amdhsa_memory_ordered 1
		.amdhsa_forward_progress 1
		.amdhsa_shared_vgpr_count 0
		.amdhsa_exception_fp_ieee_invalid_op 0
		.amdhsa_exception_fp_denorm_src 0
		.amdhsa_exception_fp_ieee_div_zero 0
		.amdhsa_exception_fp_ieee_overflow 0
		.amdhsa_exception_fp_ieee_underflow 0
		.amdhsa_exception_fp_ieee_inexact 0
		.amdhsa_exception_int_div_zero 0
	.end_amdhsa_kernel
	.section	.text._ZN7rocprim17ROCPRIM_400000_NS6detail17trampoline_kernelINS0_14default_configENS1_27scan_by_key_config_selectorIxxEEZZNS1_16scan_by_key_implILNS1_25lookback_scan_determinismE0ELb1ES3_N6thrust23THRUST_200600_302600_NS6detail15normal_iteratorINS9_10device_ptrIxEEEESE_SE_xNS9_10multipliesIxEENS9_8equal_toIxEExEE10hipError_tPvRmT2_T3_T4_T5_mT6_T7_P12ihipStream_tbENKUlT_T0_E_clISt17integral_constantIbLb0EESZ_EEDaSU_SV_EUlSU_E_NS1_11comp_targetILNS1_3genE10ELNS1_11target_archE1201ELNS1_3gpuE5ELNS1_3repE0EEENS1_30default_config_static_selectorELNS0_4arch9wavefront6targetE0EEEvT1_,"axG",@progbits,_ZN7rocprim17ROCPRIM_400000_NS6detail17trampoline_kernelINS0_14default_configENS1_27scan_by_key_config_selectorIxxEEZZNS1_16scan_by_key_implILNS1_25lookback_scan_determinismE0ELb1ES3_N6thrust23THRUST_200600_302600_NS6detail15normal_iteratorINS9_10device_ptrIxEEEESE_SE_xNS9_10multipliesIxEENS9_8equal_toIxEExEE10hipError_tPvRmT2_T3_T4_T5_mT6_T7_P12ihipStream_tbENKUlT_T0_E_clISt17integral_constantIbLb0EESZ_EEDaSU_SV_EUlSU_E_NS1_11comp_targetILNS1_3genE10ELNS1_11target_archE1201ELNS1_3gpuE5ELNS1_3repE0EEENS1_30default_config_static_selectorELNS0_4arch9wavefront6targetE0EEEvT1_,comdat
.Lfunc_end390:
	.size	_ZN7rocprim17ROCPRIM_400000_NS6detail17trampoline_kernelINS0_14default_configENS1_27scan_by_key_config_selectorIxxEEZZNS1_16scan_by_key_implILNS1_25lookback_scan_determinismE0ELb1ES3_N6thrust23THRUST_200600_302600_NS6detail15normal_iteratorINS9_10device_ptrIxEEEESE_SE_xNS9_10multipliesIxEENS9_8equal_toIxEExEE10hipError_tPvRmT2_T3_T4_T5_mT6_T7_P12ihipStream_tbENKUlT_T0_E_clISt17integral_constantIbLb0EESZ_EEDaSU_SV_EUlSU_E_NS1_11comp_targetILNS1_3genE10ELNS1_11target_archE1201ELNS1_3gpuE5ELNS1_3repE0EEENS1_30default_config_static_selectorELNS0_4arch9wavefront6targetE0EEEvT1_, .Lfunc_end390-_ZN7rocprim17ROCPRIM_400000_NS6detail17trampoline_kernelINS0_14default_configENS1_27scan_by_key_config_selectorIxxEEZZNS1_16scan_by_key_implILNS1_25lookback_scan_determinismE0ELb1ES3_N6thrust23THRUST_200600_302600_NS6detail15normal_iteratorINS9_10device_ptrIxEEEESE_SE_xNS9_10multipliesIxEENS9_8equal_toIxEExEE10hipError_tPvRmT2_T3_T4_T5_mT6_T7_P12ihipStream_tbENKUlT_T0_E_clISt17integral_constantIbLb0EESZ_EEDaSU_SV_EUlSU_E_NS1_11comp_targetILNS1_3genE10ELNS1_11target_archE1201ELNS1_3gpuE5ELNS1_3repE0EEENS1_30default_config_static_selectorELNS0_4arch9wavefront6targetE0EEEvT1_
                                        ; -- End function
	.set _ZN7rocprim17ROCPRIM_400000_NS6detail17trampoline_kernelINS0_14default_configENS1_27scan_by_key_config_selectorIxxEEZZNS1_16scan_by_key_implILNS1_25lookback_scan_determinismE0ELb1ES3_N6thrust23THRUST_200600_302600_NS6detail15normal_iteratorINS9_10device_ptrIxEEEESE_SE_xNS9_10multipliesIxEENS9_8equal_toIxEExEE10hipError_tPvRmT2_T3_T4_T5_mT6_T7_P12ihipStream_tbENKUlT_T0_E_clISt17integral_constantIbLb0EESZ_EEDaSU_SV_EUlSU_E_NS1_11comp_targetILNS1_3genE10ELNS1_11target_archE1201ELNS1_3gpuE5ELNS1_3repE0EEENS1_30default_config_static_selectorELNS0_4arch9wavefront6targetE0EEEvT1_.num_vgpr, 0
	.set _ZN7rocprim17ROCPRIM_400000_NS6detail17trampoline_kernelINS0_14default_configENS1_27scan_by_key_config_selectorIxxEEZZNS1_16scan_by_key_implILNS1_25lookback_scan_determinismE0ELb1ES3_N6thrust23THRUST_200600_302600_NS6detail15normal_iteratorINS9_10device_ptrIxEEEESE_SE_xNS9_10multipliesIxEENS9_8equal_toIxEExEE10hipError_tPvRmT2_T3_T4_T5_mT6_T7_P12ihipStream_tbENKUlT_T0_E_clISt17integral_constantIbLb0EESZ_EEDaSU_SV_EUlSU_E_NS1_11comp_targetILNS1_3genE10ELNS1_11target_archE1201ELNS1_3gpuE5ELNS1_3repE0EEENS1_30default_config_static_selectorELNS0_4arch9wavefront6targetE0EEEvT1_.num_agpr, 0
	.set _ZN7rocprim17ROCPRIM_400000_NS6detail17trampoline_kernelINS0_14default_configENS1_27scan_by_key_config_selectorIxxEEZZNS1_16scan_by_key_implILNS1_25lookback_scan_determinismE0ELb1ES3_N6thrust23THRUST_200600_302600_NS6detail15normal_iteratorINS9_10device_ptrIxEEEESE_SE_xNS9_10multipliesIxEENS9_8equal_toIxEExEE10hipError_tPvRmT2_T3_T4_T5_mT6_T7_P12ihipStream_tbENKUlT_T0_E_clISt17integral_constantIbLb0EESZ_EEDaSU_SV_EUlSU_E_NS1_11comp_targetILNS1_3genE10ELNS1_11target_archE1201ELNS1_3gpuE5ELNS1_3repE0EEENS1_30default_config_static_selectorELNS0_4arch9wavefront6targetE0EEEvT1_.numbered_sgpr, 0
	.set _ZN7rocprim17ROCPRIM_400000_NS6detail17trampoline_kernelINS0_14default_configENS1_27scan_by_key_config_selectorIxxEEZZNS1_16scan_by_key_implILNS1_25lookback_scan_determinismE0ELb1ES3_N6thrust23THRUST_200600_302600_NS6detail15normal_iteratorINS9_10device_ptrIxEEEESE_SE_xNS9_10multipliesIxEENS9_8equal_toIxEExEE10hipError_tPvRmT2_T3_T4_T5_mT6_T7_P12ihipStream_tbENKUlT_T0_E_clISt17integral_constantIbLb0EESZ_EEDaSU_SV_EUlSU_E_NS1_11comp_targetILNS1_3genE10ELNS1_11target_archE1201ELNS1_3gpuE5ELNS1_3repE0EEENS1_30default_config_static_selectorELNS0_4arch9wavefront6targetE0EEEvT1_.num_named_barrier, 0
	.set _ZN7rocprim17ROCPRIM_400000_NS6detail17trampoline_kernelINS0_14default_configENS1_27scan_by_key_config_selectorIxxEEZZNS1_16scan_by_key_implILNS1_25lookback_scan_determinismE0ELb1ES3_N6thrust23THRUST_200600_302600_NS6detail15normal_iteratorINS9_10device_ptrIxEEEESE_SE_xNS9_10multipliesIxEENS9_8equal_toIxEExEE10hipError_tPvRmT2_T3_T4_T5_mT6_T7_P12ihipStream_tbENKUlT_T0_E_clISt17integral_constantIbLb0EESZ_EEDaSU_SV_EUlSU_E_NS1_11comp_targetILNS1_3genE10ELNS1_11target_archE1201ELNS1_3gpuE5ELNS1_3repE0EEENS1_30default_config_static_selectorELNS0_4arch9wavefront6targetE0EEEvT1_.private_seg_size, 0
	.set _ZN7rocprim17ROCPRIM_400000_NS6detail17trampoline_kernelINS0_14default_configENS1_27scan_by_key_config_selectorIxxEEZZNS1_16scan_by_key_implILNS1_25lookback_scan_determinismE0ELb1ES3_N6thrust23THRUST_200600_302600_NS6detail15normal_iteratorINS9_10device_ptrIxEEEESE_SE_xNS9_10multipliesIxEENS9_8equal_toIxEExEE10hipError_tPvRmT2_T3_T4_T5_mT6_T7_P12ihipStream_tbENKUlT_T0_E_clISt17integral_constantIbLb0EESZ_EEDaSU_SV_EUlSU_E_NS1_11comp_targetILNS1_3genE10ELNS1_11target_archE1201ELNS1_3gpuE5ELNS1_3repE0EEENS1_30default_config_static_selectorELNS0_4arch9wavefront6targetE0EEEvT1_.uses_vcc, 0
	.set _ZN7rocprim17ROCPRIM_400000_NS6detail17trampoline_kernelINS0_14default_configENS1_27scan_by_key_config_selectorIxxEEZZNS1_16scan_by_key_implILNS1_25lookback_scan_determinismE0ELb1ES3_N6thrust23THRUST_200600_302600_NS6detail15normal_iteratorINS9_10device_ptrIxEEEESE_SE_xNS9_10multipliesIxEENS9_8equal_toIxEExEE10hipError_tPvRmT2_T3_T4_T5_mT6_T7_P12ihipStream_tbENKUlT_T0_E_clISt17integral_constantIbLb0EESZ_EEDaSU_SV_EUlSU_E_NS1_11comp_targetILNS1_3genE10ELNS1_11target_archE1201ELNS1_3gpuE5ELNS1_3repE0EEENS1_30default_config_static_selectorELNS0_4arch9wavefront6targetE0EEEvT1_.uses_flat_scratch, 0
	.set _ZN7rocprim17ROCPRIM_400000_NS6detail17trampoline_kernelINS0_14default_configENS1_27scan_by_key_config_selectorIxxEEZZNS1_16scan_by_key_implILNS1_25lookback_scan_determinismE0ELb1ES3_N6thrust23THRUST_200600_302600_NS6detail15normal_iteratorINS9_10device_ptrIxEEEESE_SE_xNS9_10multipliesIxEENS9_8equal_toIxEExEE10hipError_tPvRmT2_T3_T4_T5_mT6_T7_P12ihipStream_tbENKUlT_T0_E_clISt17integral_constantIbLb0EESZ_EEDaSU_SV_EUlSU_E_NS1_11comp_targetILNS1_3genE10ELNS1_11target_archE1201ELNS1_3gpuE5ELNS1_3repE0EEENS1_30default_config_static_selectorELNS0_4arch9wavefront6targetE0EEEvT1_.has_dyn_sized_stack, 0
	.set _ZN7rocprim17ROCPRIM_400000_NS6detail17trampoline_kernelINS0_14default_configENS1_27scan_by_key_config_selectorIxxEEZZNS1_16scan_by_key_implILNS1_25lookback_scan_determinismE0ELb1ES3_N6thrust23THRUST_200600_302600_NS6detail15normal_iteratorINS9_10device_ptrIxEEEESE_SE_xNS9_10multipliesIxEENS9_8equal_toIxEExEE10hipError_tPvRmT2_T3_T4_T5_mT6_T7_P12ihipStream_tbENKUlT_T0_E_clISt17integral_constantIbLb0EESZ_EEDaSU_SV_EUlSU_E_NS1_11comp_targetILNS1_3genE10ELNS1_11target_archE1201ELNS1_3gpuE5ELNS1_3repE0EEENS1_30default_config_static_selectorELNS0_4arch9wavefront6targetE0EEEvT1_.has_recursion, 0
	.set _ZN7rocprim17ROCPRIM_400000_NS6detail17trampoline_kernelINS0_14default_configENS1_27scan_by_key_config_selectorIxxEEZZNS1_16scan_by_key_implILNS1_25lookback_scan_determinismE0ELb1ES3_N6thrust23THRUST_200600_302600_NS6detail15normal_iteratorINS9_10device_ptrIxEEEESE_SE_xNS9_10multipliesIxEENS9_8equal_toIxEExEE10hipError_tPvRmT2_T3_T4_T5_mT6_T7_P12ihipStream_tbENKUlT_T0_E_clISt17integral_constantIbLb0EESZ_EEDaSU_SV_EUlSU_E_NS1_11comp_targetILNS1_3genE10ELNS1_11target_archE1201ELNS1_3gpuE5ELNS1_3repE0EEENS1_30default_config_static_selectorELNS0_4arch9wavefront6targetE0EEEvT1_.has_indirect_call, 0
	.section	.AMDGPU.csdata,"",@progbits
; Kernel info:
; codeLenInByte = 0
; TotalNumSgprs: 0
; NumVgprs: 0
; ScratchSize: 0
; MemoryBound: 0
; FloatMode: 240
; IeeeMode: 1
; LDSByteSize: 0 bytes/workgroup (compile time only)
; SGPRBlocks: 0
; VGPRBlocks: 0
; NumSGPRsForWavesPerEU: 1
; NumVGPRsForWavesPerEU: 1
; Occupancy: 16
; WaveLimiterHint : 0
; COMPUTE_PGM_RSRC2:SCRATCH_EN: 0
; COMPUTE_PGM_RSRC2:USER_SGPR: 6
; COMPUTE_PGM_RSRC2:TRAP_HANDLER: 0
; COMPUTE_PGM_RSRC2:TGID_X_EN: 1
; COMPUTE_PGM_RSRC2:TGID_Y_EN: 0
; COMPUTE_PGM_RSRC2:TGID_Z_EN: 0
; COMPUTE_PGM_RSRC2:TIDIG_COMP_CNT: 0
	.section	.text._ZN7rocprim17ROCPRIM_400000_NS6detail17trampoline_kernelINS0_14default_configENS1_27scan_by_key_config_selectorIxxEEZZNS1_16scan_by_key_implILNS1_25lookback_scan_determinismE0ELb1ES3_N6thrust23THRUST_200600_302600_NS6detail15normal_iteratorINS9_10device_ptrIxEEEESE_SE_xNS9_10multipliesIxEENS9_8equal_toIxEExEE10hipError_tPvRmT2_T3_T4_T5_mT6_T7_P12ihipStream_tbENKUlT_T0_E_clISt17integral_constantIbLb0EESZ_EEDaSU_SV_EUlSU_E_NS1_11comp_targetILNS1_3genE5ELNS1_11target_archE942ELNS1_3gpuE9ELNS1_3repE0EEENS1_30default_config_static_selectorELNS0_4arch9wavefront6targetE0EEEvT1_,"axG",@progbits,_ZN7rocprim17ROCPRIM_400000_NS6detail17trampoline_kernelINS0_14default_configENS1_27scan_by_key_config_selectorIxxEEZZNS1_16scan_by_key_implILNS1_25lookback_scan_determinismE0ELb1ES3_N6thrust23THRUST_200600_302600_NS6detail15normal_iteratorINS9_10device_ptrIxEEEESE_SE_xNS9_10multipliesIxEENS9_8equal_toIxEExEE10hipError_tPvRmT2_T3_T4_T5_mT6_T7_P12ihipStream_tbENKUlT_T0_E_clISt17integral_constantIbLb0EESZ_EEDaSU_SV_EUlSU_E_NS1_11comp_targetILNS1_3genE5ELNS1_11target_archE942ELNS1_3gpuE9ELNS1_3repE0EEENS1_30default_config_static_selectorELNS0_4arch9wavefront6targetE0EEEvT1_,comdat
	.protected	_ZN7rocprim17ROCPRIM_400000_NS6detail17trampoline_kernelINS0_14default_configENS1_27scan_by_key_config_selectorIxxEEZZNS1_16scan_by_key_implILNS1_25lookback_scan_determinismE0ELb1ES3_N6thrust23THRUST_200600_302600_NS6detail15normal_iteratorINS9_10device_ptrIxEEEESE_SE_xNS9_10multipliesIxEENS9_8equal_toIxEExEE10hipError_tPvRmT2_T3_T4_T5_mT6_T7_P12ihipStream_tbENKUlT_T0_E_clISt17integral_constantIbLb0EESZ_EEDaSU_SV_EUlSU_E_NS1_11comp_targetILNS1_3genE5ELNS1_11target_archE942ELNS1_3gpuE9ELNS1_3repE0EEENS1_30default_config_static_selectorELNS0_4arch9wavefront6targetE0EEEvT1_ ; -- Begin function _ZN7rocprim17ROCPRIM_400000_NS6detail17trampoline_kernelINS0_14default_configENS1_27scan_by_key_config_selectorIxxEEZZNS1_16scan_by_key_implILNS1_25lookback_scan_determinismE0ELb1ES3_N6thrust23THRUST_200600_302600_NS6detail15normal_iteratorINS9_10device_ptrIxEEEESE_SE_xNS9_10multipliesIxEENS9_8equal_toIxEExEE10hipError_tPvRmT2_T3_T4_T5_mT6_T7_P12ihipStream_tbENKUlT_T0_E_clISt17integral_constantIbLb0EESZ_EEDaSU_SV_EUlSU_E_NS1_11comp_targetILNS1_3genE5ELNS1_11target_archE942ELNS1_3gpuE9ELNS1_3repE0EEENS1_30default_config_static_selectorELNS0_4arch9wavefront6targetE0EEEvT1_
	.globl	_ZN7rocprim17ROCPRIM_400000_NS6detail17trampoline_kernelINS0_14default_configENS1_27scan_by_key_config_selectorIxxEEZZNS1_16scan_by_key_implILNS1_25lookback_scan_determinismE0ELb1ES3_N6thrust23THRUST_200600_302600_NS6detail15normal_iteratorINS9_10device_ptrIxEEEESE_SE_xNS9_10multipliesIxEENS9_8equal_toIxEExEE10hipError_tPvRmT2_T3_T4_T5_mT6_T7_P12ihipStream_tbENKUlT_T0_E_clISt17integral_constantIbLb0EESZ_EEDaSU_SV_EUlSU_E_NS1_11comp_targetILNS1_3genE5ELNS1_11target_archE942ELNS1_3gpuE9ELNS1_3repE0EEENS1_30default_config_static_selectorELNS0_4arch9wavefront6targetE0EEEvT1_
	.p2align	8
	.type	_ZN7rocprim17ROCPRIM_400000_NS6detail17trampoline_kernelINS0_14default_configENS1_27scan_by_key_config_selectorIxxEEZZNS1_16scan_by_key_implILNS1_25lookback_scan_determinismE0ELb1ES3_N6thrust23THRUST_200600_302600_NS6detail15normal_iteratorINS9_10device_ptrIxEEEESE_SE_xNS9_10multipliesIxEENS9_8equal_toIxEExEE10hipError_tPvRmT2_T3_T4_T5_mT6_T7_P12ihipStream_tbENKUlT_T0_E_clISt17integral_constantIbLb0EESZ_EEDaSU_SV_EUlSU_E_NS1_11comp_targetILNS1_3genE5ELNS1_11target_archE942ELNS1_3gpuE9ELNS1_3repE0EEENS1_30default_config_static_selectorELNS0_4arch9wavefront6targetE0EEEvT1_,@function
_ZN7rocprim17ROCPRIM_400000_NS6detail17trampoline_kernelINS0_14default_configENS1_27scan_by_key_config_selectorIxxEEZZNS1_16scan_by_key_implILNS1_25lookback_scan_determinismE0ELb1ES3_N6thrust23THRUST_200600_302600_NS6detail15normal_iteratorINS9_10device_ptrIxEEEESE_SE_xNS9_10multipliesIxEENS9_8equal_toIxEExEE10hipError_tPvRmT2_T3_T4_T5_mT6_T7_P12ihipStream_tbENKUlT_T0_E_clISt17integral_constantIbLb0EESZ_EEDaSU_SV_EUlSU_E_NS1_11comp_targetILNS1_3genE5ELNS1_11target_archE942ELNS1_3gpuE9ELNS1_3repE0EEENS1_30default_config_static_selectorELNS0_4arch9wavefront6targetE0EEEvT1_: ; @_ZN7rocprim17ROCPRIM_400000_NS6detail17trampoline_kernelINS0_14default_configENS1_27scan_by_key_config_selectorIxxEEZZNS1_16scan_by_key_implILNS1_25lookback_scan_determinismE0ELb1ES3_N6thrust23THRUST_200600_302600_NS6detail15normal_iteratorINS9_10device_ptrIxEEEESE_SE_xNS9_10multipliesIxEENS9_8equal_toIxEExEE10hipError_tPvRmT2_T3_T4_T5_mT6_T7_P12ihipStream_tbENKUlT_T0_E_clISt17integral_constantIbLb0EESZ_EEDaSU_SV_EUlSU_E_NS1_11comp_targetILNS1_3genE5ELNS1_11target_archE942ELNS1_3gpuE9ELNS1_3repE0EEENS1_30default_config_static_selectorELNS0_4arch9wavefront6targetE0EEEvT1_
; %bb.0:
	.section	.rodata,"a",@progbits
	.p2align	6, 0x0
	.amdhsa_kernel _ZN7rocprim17ROCPRIM_400000_NS6detail17trampoline_kernelINS0_14default_configENS1_27scan_by_key_config_selectorIxxEEZZNS1_16scan_by_key_implILNS1_25lookback_scan_determinismE0ELb1ES3_N6thrust23THRUST_200600_302600_NS6detail15normal_iteratorINS9_10device_ptrIxEEEESE_SE_xNS9_10multipliesIxEENS9_8equal_toIxEExEE10hipError_tPvRmT2_T3_T4_T5_mT6_T7_P12ihipStream_tbENKUlT_T0_E_clISt17integral_constantIbLb0EESZ_EEDaSU_SV_EUlSU_E_NS1_11comp_targetILNS1_3genE5ELNS1_11target_archE942ELNS1_3gpuE9ELNS1_3repE0EEENS1_30default_config_static_selectorELNS0_4arch9wavefront6targetE0EEEvT1_
		.amdhsa_group_segment_fixed_size 0
		.amdhsa_private_segment_fixed_size 0
		.amdhsa_kernarg_size 136
		.amdhsa_user_sgpr_count 6
		.amdhsa_user_sgpr_private_segment_buffer 1
		.amdhsa_user_sgpr_dispatch_ptr 0
		.amdhsa_user_sgpr_queue_ptr 0
		.amdhsa_user_sgpr_kernarg_segment_ptr 1
		.amdhsa_user_sgpr_dispatch_id 0
		.amdhsa_user_sgpr_flat_scratch_init 0
		.amdhsa_user_sgpr_private_segment_size 0
		.amdhsa_wavefront_size32 1
		.amdhsa_uses_dynamic_stack 0
		.amdhsa_system_sgpr_private_segment_wavefront_offset 0
		.amdhsa_system_sgpr_workgroup_id_x 1
		.amdhsa_system_sgpr_workgroup_id_y 0
		.amdhsa_system_sgpr_workgroup_id_z 0
		.amdhsa_system_sgpr_workgroup_info 0
		.amdhsa_system_vgpr_workitem_id 0
		.amdhsa_next_free_vgpr 1
		.amdhsa_next_free_sgpr 1
		.amdhsa_reserve_vcc 0
		.amdhsa_reserve_flat_scratch 0
		.amdhsa_float_round_mode_32 0
		.amdhsa_float_round_mode_16_64 0
		.amdhsa_float_denorm_mode_32 3
		.amdhsa_float_denorm_mode_16_64 3
		.amdhsa_dx10_clamp 1
		.amdhsa_ieee_mode 1
		.amdhsa_fp16_overflow 0
		.amdhsa_workgroup_processor_mode 1
		.amdhsa_memory_ordered 1
		.amdhsa_forward_progress 1
		.amdhsa_shared_vgpr_count 0
		.amdhsa_exception_fp_ieee_invalid_op 0
		.amdhsa_exception_fp_denorm_src 0
		.amdhsa_exception_fp_ieee_div_zero 0
		.amdhsa_exception_fp_ieee_overflow 0
		.amdhsa_exception_fp_ieee_underflow 0
		.amdhsa_exception_fp_ieee_inexact 0
		.amdhsa_exception_int_div_zero 0
	.end_amdhsa_kernel
	.section	.text._ZN7rocprim17ROCPRIM_400000_NS6detail17trampoline_kernelINS0_14default_configENS1_27scan_by_key_config_selectorIxxEEZZNS1_16scan_by_key_implILNS1_25lookback_scan_determinismE0ELb1ES3_N6thrust23THRUST_200600_302600_NS6detail15normal_iteratorINS9_10device_ptrIxEEEESE_SE_xNS9_10multipliesIxEENS9_8equal_toIxEExEE10hipError_tPvRmT2_T3_T4_T5_mT6_T7_P12ihipStream_tbENKUlT_T0_E_clISt17integral_constantIbLb0EESZ_EEDaSU_SV_EUlSU_E_NS1_11comp_targetILNS1_3genE5ELNS1_11target_archE942ELNS1_3gpuE9ELNS1_3repE0EEENS1_30default_config_static_selectorELNS0_4arch9wavefront6targetE0EEEvT1_,"axG",@progbits,_ZN7rocprim17ROCPRIM_400000_NS6detail17trampoline_kernelINS0_14default_configENS1_27scan_by_key_config_selectorIxxEEZZNS1_16scan_by_key_implILNS1_25lookback_scan_determinismE0ELb1ES3_N6thrust23THRUST_200600_302600_NS6detail15normal_iteratorINS9_10device_ptrIxEEEESE_SE_xNS9_10multipliesIxEENS9_8equal_toIxEExEE10hipError_tPvRmT2_T3_T4_T5_mT6_T7_P12ihipStream_tbENKUlT_T0_E_clISt17integral_constantIbLb0EESZ_EEDaSU_SV_EUlSU_E_NS1_11comp_targetILNS1_3genE5ELNS1_11target_archE942ELNS1_3gpuE9ELNS1_3repE0EEENS1_30default_config_static_selectorELNS0_4arch9wavefront6targetE0EEEvT1_,comdat
.Lfunc_end391:
	.size	_ZN7rocprim17ROCPRIM_400000_NS6detail17trampoline_kernelINS0_14default_configENS1_27scan_by_key_config_selectorIxxEEZZNS1_16scan_by_key_implILNS1_25lookback_scan_determinismE0ELb1ES3_N6thrust23THRUST_200600_302600_NS6detail15normal_iteratorINS9_10device_ptrIxEEEESE_SE_xNS9_10multipliesIxEENS9_8equal_toIxEExEE10hipError_tPvRmT2_T3_T4_T5_mT6_T7_P12ihipStream_tbENKUlT_T0_E_clISt17integral_constantIbLb0EESZ_EEDaSU_SV_EUlSU_E_NS1_11comp_targetILNS1_3genE5ELNS1_11target_archE942ELNS1_3gpuE9ELNS1_3repE0EEENS1_30default_config_static_selectorELNS0_4arch9wavefront6targetE0EEEvT1_, .Lfunc_end391-_ZN7rocprim17ROCPRIM_400000_NS6detail17trampoline_kernelINS0_14default_configENS1_27scan_by_key_config_selectorIxxEEZZNS1_16scan_by_key_implILNS1_25lookback_scan_determinismE0ELb1ES3_N6thrust23THRUST_200600_302600_NS6detail15normal_iteratorINS9_10device_ptrIxEEEESE_SE_xNS9_10multipliesIxEENS9_8equal_toIxEExEE10hipError_tPvRmT2_T3_T4_T5_mT6_T7_P12ihipStream_tbENKUlT_T0_E_clISt17integral_constantIbLb0EESZ_EEDaSU_SV_EUlSU_E_NS1_11comp_targetILNS1_3genE5ELNS1_11target_archE942ELNS1_3gpuE9ELNS1_3repE0EEENS1_30default_config_static_selectorELNS0_4arch9wavefront6targetE0EEEvT1_
                                        ; -- End function
	.set _ZN7rocprim17ROCPRIM_400000_NS6detail17trampoline_kernelINS0_14default_configENS1_27scan_by_key_config_selectorIxxEEZZNS1_16scan_by_key_implILNS1_25lookback_scan_determinismE0ELb1ES3_N6thrust23THRUST_200600_302600_NS6detail15normal_iteratorINS9_10device_ptrIxEEEESE_SE_xNS9_10multipliesIxEENS9_8equal_toIxEExEE10hipError_tPvRmT2_T3_T4_T5_mT6_T7_P12ihipStream_tbENKUlT_T0_E_clISt17integral_constantIbLb0EESZ_EEDaSU_SV_EUlSU_E_NS1_11comp_targetILNS1_3genE5ELNS1_11target_archE942ELNS1_3gpuE9ELNS1_3repE0EEENS1_30default_config_static_selectorELNS0_4arch9wavefront6targetE0EEEvT1_.num_vgpr, 0
	.set _ZN7rocprim17ROCPRIM_400000_NS6detail17trampoline_kernelINS0_14default_configENS1_27scan_by_key_config_selectorIxxEEZZNS1_16scan_by_key_implILNS1_25lookback_scan_determinismE0ELb1ES3_N6thrust23THRUST_200600_302600_NS6detail15normal_iteratorINS9_10device_ptrIxEEEESE_SE_xNS9_10multipliesIxEENS9_8equal_toIxEExEE10hipError_tPvRmT2_T3_T4_T5_mT6_T7_P12ihipStream_tbENKUlT_T0_E_clISt17integral_constantIbLb0EESZ_EEDaSU_SV_EUlSU_E_NS1_11comp_targetILNS1_3genE5ELNS1_11target_archE942ELNS1_3gpuE9ELNS1_3repE0EEENS1_30default_config_static_selectorELNS0_4arch9wavefront6targetE0EEEvT1_.num_agpr, 0
	.set _ZN7rocprim17ROCPRIM_400000_NS6detail17trampoline_kernelINS0_14default_configENS1_27scan_by_key_config_selectorIxxEEZZNS1_16scan_by_key_implILNS1_25lookback_scan_determinismE0ELb1ES3_N6thrust23THRUST_200600_302600_NS6detail15normal_iteratorINS9_10device_ptrIxEEEESE_SE_xNS9_10multipliesIxEENS9_8equal_toIxEExEE10hipError_tPvRmT2_T3_T4_T5_mT6_T7_P12ihipStream_tbENKUlT_T0_E_clISt17integral_constantIbLb0EESZ_EEDaSU_SV_EUlSU_E_NS1_11comp_targetILNS1_3genE5ELNS1_11target_archE942ELNS1_3gpuE9ELNS1_3repE0EEENS1_30default_config_static_selectorELNS0_4arch9wavefront6targetE0EEEvT1_.numbered_sgpr, 0
	.set _ZN7rocprim17ROCPRIM_400000_NS6detail17trampoline_kernelINS0_14default_configENS1_27scan_by_key_config_selectorIxxEEZZNS1_16scan_by_key_implILNS1_25lookback_scan_determinismE0ELb1ES3_N6thrust23THRUST_200600_302600_NS6detail15normal_iteratorINS9_10device_ptrIxEEEESE_SE_xNS9_10multipliesIxEENS9_8equal_toIxEExEE10hipError_tPvRmT2_T3_T4_T5_mT6_T7_P12ihipStream_tbENKUlT_T0_E_clISt17integral_constantIbLb0EESZ_EEDaSU_SV_EUlSU_E_NS1_11comp_targetILNS1_3genE5ELNS1_11target_archE942ELNS1_3gpuE9ELNS1_3repE0EEENS1_30default_config_static_selectorELNS0_4arch9wavefront6targetE0EEEvT1_.num_named_barrier, 0
	.set _ZN7rocprim17ROCPRIM_400000_NS6detail17trampoline_kernelINS0_14default_configENS1_27scan_by_key_config_selectorIxxEEZZNS1_16scan_by_key_implILNS1_25lookback_scan_determinismE0ELb1ES3_N6thrust23THRUST_200600_302600_NS6detail15normal_iteratorINS9_10device_ptrIxEEEESE_SE_xNS9_10multipliesIxEENS9_8equal_toIxEExEE10hipError_tPvRmT2_T3_T4_T5_mT6_T7_P12ihipStream_tbENKUlT_T0_E_clISt17integral_constantIbLb0EESZ_EEDaSU_SV_EUlSU_E_NS1_11comp_targetILNS1_3genE5ELNS1_11target_archE942ELNS1_3gpuE9ELNS1_3repE0EEENS1_30default_config_static_selectorELNS0_4arch9wavefront6targetE0EEEvT1_.private_seg_size, 0
	.set _ZN7rocprim17ROCPRIM_400000_NS6detail17trampoline_kernelINS0_14default_configENS1_27scan_by_key_config_selectorIxxEEZZNS1_16scan_by_key_implILNS1_25lookback_scan_determinismE0ELb1ES3_N6thrust23THRUST_200600_302600_NS6detail15normal_iteratorINS9_10device_ptrIxEEEESE_SE_xNS9_10multipliesIxEENS9_8equal_toIxEExEE10hipError_tPvRmT2_T3_T4_T5_mT6_T7_P12ihipStream_tbENKUlT_T0_E_clISt17integral_constantIbLb0EESZ_EEDaSU_SV_EUlSU_E_NS1_11comp_targetILNS1_3genE5ELNS1_11target_archE942ELNS1_3gpuE9ELNS1_3repE0EEENS1_30default_config_static_selectorELNS0_4arch9wavefront6targetE0EEEvT1_.uses_vcc, 0
	.set _ZN7rocprim17ROCPRIM_400000_NS6detail17trampoline_kernelINS0_14default_configENS1_27scan_by_key_config_selectorIxxEEZZNS1_16scan_by_key_implILNS1_25lookback_scan_determinismE0ELb1ES3_N6thrust23THRUST_200600_302600_NS6detail15normal_iteratorINS9_10device_ptrIxEEEESE_SE_xNS9_10multipliesIxEENS9_8equal_toIxEExEE10hipError_tPvRmT2_T3_T4_T5_mT6_T7_P12ihipStream_tbENKUlT_T0_E_clISt17integral_constantIbLb0EESZ_EEDaSU_SV_EUlSU_E_NS1_11comp_targetILNS1_3genE5ELNS1_11target_archE942ELNS1_3gpuE9ELNS1_3repE0EEENS1_30default_config_static_selectorELNS0_4arch9wavefront6targetE0EEEvT1_.uses_flat_scratch, 0
	.set _ZN7rocprim17ROCPRIM_400000_NS6detail17trampoline_kernelINS0_14default_configENS1_27scan_by_key_config_selectorIxxEEZZNS1_16scan_by_key_implILNS1_25lookback_scan_determinismE0ELb1ES3_N6thrust23THRUST_200600_302600_NS6detail15normal_iteratorINS9_10device_ptrIxEEEESE_SE_xNS9_10multipliesIxEENS9_8equal_toIxEExEE10hipError_tPvRmT2_T3_T4_T5_mT6_T7_P12ihipStream_tbENKUlT_T0_E_clISt17integral_constantIbLb0EESZ_EEDaSU_SV_EUlSU_E_NS1_11comp_targetILNS1_3genE5ELNS1_11target_archE942ELNS1_3gpuE9ELNS1_3repE0EEENS1_30default_config_static_selectorELNS0_4arch9wavefront6targetE0EEEvT1_.has_dyn_sized_stack, 0
	.set _ZN7rocprim17ROCPRIM_400000_NS6detail17trampoline_kernelINS0_14default_configENS1_27scan_by_key_config_selectorIxxEEZZNS1_16scan_by_key_implILNS1_25lookback_scan_determinismE0ELb1ES3_N6thrust23THRUST_200600_302600_NS6detail15normal_iteratorINS9_10device_ptrIxEEEESE_SE_xNS9_10multipliesIxEENS9_8equal_toIxEExEE10hipError_tPvRmT2_T3_T4_T5_mT6_T7_P12ihipStream_tbENKUlT_T0_E_clISt17integral_constantIbLb0EESZ_EEDaSU_SV_EUlSU_E_NS1_11comp_targetILNS1_3genE5ELNS1_11target_archE942ELNS1_3gpuE9ELNS1_3repE0EEENS1_30default_config_static_selectorELNS0_4arch9wavefront6targetE0EEEvT1_.has_recursion, 0
	.set _ZN7rocprim17ROCPRIM_400000_NS6detail17trampoline_kernelINS0_14default_configENS1_27scan_by_key_config_selectorIxxEEZZNS1_16scan_by_key_implILNS1_25lookback_scan_determinismE0ELb1ES3_N6thrust23THRUST_200600_302600_NS6detail15normal_iteratorINS9_10device_ptrIxEEEESE_SE_xNS9_10multipliesIxEENS9_8equal_toIxEExEE10hipError_tPvRmT2_T3_T4_T5_mT6_T7_P12ihipStream_tbENKUlT_T0_E_clISt17integral_constantIbLb0EESZ_EEDaSU_SV_EUlSU_E_NS1_11comp_targetILNS1_3genE5ELNS1_11target_archE942ELNS1_3gpuE9ELNS1_3repE0EEENS1_30default_config_static_selectorELNS0_4arch9wavefront6targetE0EEEvT1_.has_indirect_call, 0
	.section	.AMDGPU.csdata,"",@progbits
; Kernel info:
; codeLenInByte = 0
; TotalNumSgprs: 0
; NumVgprs: 0
; ScratchSize: 0
; MemoryBound: 0
; FloatMode: 240
; IeeeMode: 1
; LDSByteSize: 0 bytes/workgroup (compile time only)
; SGPRBlocks: 0
; VGPRBlocks: 0
; NumSGPRsForWavesPerEU: 1
; NumVGPRsForWavesPerEU: 1
; Occupancy: 16
; WaveLimiterHint : 0
; COMPUTE_PGM_RSRC2:SCRATCH_EN: 0
; COMPUTE_PGM_RSRC2:USER_SGPR: 6
; COMPUTE_PGM_RSRC2:TRAP_HANDLER: 0
; COMPUTE_PGM_RSRC2:TGID_X_EN: 1
; COMPUTE_PGM_RSRC2:TGID_Y_EN: 0
; COMPUTE_PGM_RSRC2:TGID_Z_EN: 0
; COMPUTE_PGM_RSRC2:TIDIG_COMP_CNT: 0
	.section	.text._ZN7rocprim17ROCPRIM_400000_NS6detail17trampoline_kernelINS0_14default_configENS1_27scan_by_key_config_selectorIxxEEZZNS1_16scan_by_key_implILNS1_25lookback_scan_determinismE0ELb1ES3_N6thrust23THRUST_200600_302600_NS6detail15normal_iteratorINS9_10device_ptrIxEEEESE_SE_xNS9_10multipliesIxEENS9_8equal_toIxEExEE10hipError_tPvRmT2_T3_T4_T5_mT6_T7_P12ihipStream_tbENKUlT_T0_E_clISt17integral_constantIbLb0EESZ_EEDaSU_SV_EUlSU_E_NS1_11comp_targetILNS1_3genE4ELNS1_11target_archE910ELNS1_3gpuE8ELNS1_3repE0EEENS1_30default_config_static_selectorELNS0_4arch9wavefront6targetE0EEEvT1_,"axG",@progbits,_ZN7rocprim17ROCPRIM_400000_NS6detail17trampoline_kernelINS0_14default_configENS1_27scan_by_key_config_selectorIxxEEZZNS1_16scan_by_key_implILNS1_25lookback_scan_determinismE0ELb1ES3_N6thrust23THRUST_200600_302600_NS6detail15normal_iteratorINS9_10device_ptrIxEEEESE_SE_xNS9_10multipliesIxEENS9_8equal_toIxEExEE10hipError_tPvRmT2_T3_T4_T5_mT6_T7_P12ihipStream_tbENKUlT_T0_E_clISt17integral_constantIbLb0EESZ_EEDaSU_SV_EUlSU_E_NS1_11comp_targetILNS1_3genE4ELNS1_11target_archE910ELNS1_3gpuE8ELNS1_3repE0EEENS1_30default_config_static_selectorELNS0_4arch9wavefront6targetE0EEEvT1_,comdat
	.protected	_ZN7rocprim17ROCPRIM_400000_NS6detail17trampoline_kernelINS0_14default_configENS1_27scan_by_key_config_selectorIxxEEZZNS1_16scan_by_key_implILNS1_25lookback_scan_determinismE0ELb1ES3_N6thrust23THRUST_200600_302600_NS6detail15normal_iteratorINS9_10device_ptrIxEEEESE_SE_xNS9_10multipliesIxEENS9_8equal_toIxEExEE10hipError_tPvRmT2_T3_T4_T5_mT6_T7_P12ihipStream_tbENKUlT_T0_E_clISt17integral_constantIbLb0EESZ_EEDaSU_SV_EUlSU_E_NS1_11comp_targetILNS1_3genE4ELNS1_11target_archE910ELNS1_3gpuE8ELNS1_3repE0EEENS1_30default_config_static_selectorELNS0_4arch9wavefront6targetE0EEEvT1_ ; -- Begin function _ZN7rocprim17ROCPRIM_400000_NS6detail17trampoline_kernelINS0_14default_configENS1_27scan_by_key_config_selectorIxxEEZZNS1_16scan_by_key_implILNS1_25lookback_scan_determinismE0ELb1ES3_N6thrust23THRUST_200600_302600_NS6detail15normal_iteratorINS9_10device_ptrIxEEEESE_SE_xNS9_10multipliesIxEENS9_8equal_toIxEExEE10hipError_tPvRmT2_T3_T4_T5_mT6_T7_P12ihipStream_tbENKUlT_T0_E_clISt17integral_constantIbLb0EESZ_EEDaSU_SV_EUlSU_E_NS1_11comp_targetILNS1_3genE4ELNS1_11target_archE910ELNS1_3gpuE8ELNS1_3repE0EEENS1_30default_config_static_selectorELNS0_4arch9wavefront6targetE0EEEvT1_
	.globl	_ZN7rocprim17ROCPRIM_400000_NS6detail17trampoline_kernelINS0_14default_configENS1_27scan_by_key_config_selectorIxxEEZZNS1_16scan_by_key_implILNS1_25lookback_scan_determinismE0ELb1ES3_N6thrust23THRUST_200600_302600_NS6detail15normal_iteratorINS9_10device_ptrIxEEEESE_SE_xNS9_10multipliesIxEENS9_8equal_toIxEExEE10hipError_tPvRmT2_T3_T4_T5_mT6_T7_P12ihipStream_tbENKUlT_T0_E_clISt17integral_constantIbLb0EESZ_EEDaSU_SV_EUlSU_E_NS1_11comp_targetILNS1_3genE4ELNS1_11target_archE910ELNS1_3gpuE8ELNS1_3repE0EEENS1_30default_config_static_selectorELNS0_4arch9wavefront6targetE0EEEvT1_
	.p2align	8
	.type	_ZN7rocprim17ROCPRIM_400000_NS6detail17trampoline_kernelINS0_14default_configENS1_27scan_by_key_config_selectorIxxEEZZNS1_16scan_by_key_implILNS1_25lookback_scan_determinismE0ELb1ES3_N6thrust23THRUST_200600_302600_NS6detail15normal_iteratorINS9_10device_ptrIxEEEESE_SE_xNS9_10multipliesIxEENS9_8equal_toIxEExEE10hipError_tPvRmT2_T3_T4_T5_mT6_T7_P12ihipStream_tbENKUlT_T0_E_clISt17integral_constantIbLb0EESZ_EEDaSU_SV_EUlSU_E_NS1_11comp_targetILNS1_3genE4ELNS1_11target_archE910ELNS1_3gpuE8ELNS1_3repE0EEENS1_30default_config_static_selectorELNS0_4arch9wavefront6targetE0EEEvT1_,@function
_ZN7rocprim17ROCPRIM_400000_NS6detail17trampoline_kernelINS0_14default_configENS1_27scan_by_key_config_selectorIxxEEZZNS1_16scan_by_key_implILNS1_25lookback_scan_determinismE0ELb1ES3_N6thrust23THRUST_200600_302600_NS6detail15normal_iteratorINS9_10device_ptrIxEEEESE_SE_xNS9_10multipliesIxEENS9_8equal_toIxEExEE10hipError_tPvRmT2_T3_T4_T5_mT6_T7_P12ihipStream_tbENKUlT_T0_E_clISt17integral_constantIbLb0EESZ_EEDaSU_SV_EUlSU_E_NS1_11comp_targetILNS1_3genE4ELNS1_11target_archE910ELNS1_3gpuE8ELNS1_3repE0EEENS1_30default_config_static_selectorELNS0_4arch9wavefront6targetE0EEEvT1_: ; @_ZN7rocprim17ROCPRIM_400000_NS6detail17trampoline_kernelINS0_14default_configENS1_27scan_by_key_config_selectorIxxEEZZNS1_16scan_by_key_implILNS1_25lookback_scan_determinismE0ELb1ES3_N6thrust23THRUST_200600_302600_NS6detail15normal_iteratorINS9_10device_ptrIxEEEESE_SE_xNS9_10multipliesIxEENS9_8equal_toIxEExEE10hipError_tPvRmT2_T3_T4_T5_mT6_T7_P12ihipStream_tbENKUlT_T0_E_clISt17integral_constantIbLb0EESZ_EEDaSU_SV_EUlSU_E_NS1_11comp_targetILNS1_3genE4ELNS1_11target_archE910ELNS1_3gpuE8ELNS1_3repE0EEENS1_30default_config_static_selectorELNS0_4arch9wavefront6targetE0EEEvT1_
; %bb.0:
	.section	.rodata,"a",@progbits
	.p2align	6, 0x0
	.amdhsa_kernel _ZN7rocprim17ROCPRIM_400000_NS6detail17trampoline_kernelINS0_14default_configENS1_27scan_by_key_config_selectorIxxEEZZNS1_16scan_by_key_implILNS1_25lookback_scan_determinismE0ELb1ES3_N6thrust23THRUST_200600_302600_NS6detail15normal_iteratorINS9_10device_ptrIxEEEESE_SE_xNS9_10multipliesIxEENS9_8equal_toIxEExEE10hipError_tPvRmT2_T3_T4_T5_mT6_T7_P12ihipStream_tbENKUlT_T0_E_clISt17integral_constantIbLb0EESZ_EEDaSU_SV_EUlSU_E_NS1_11comp_targetILNS1_3genE4ELNS1_11target_archE910ELNS1_3gpuE8ELNS1_3repE0EEENS1_30default_config_static_selectorELNS0_4arch9wavefront6targetE0EEEvT1_
		.amdhsa_group_segment_fixed_size 0
		.amdhsa_private_segment_fixed_size 0
		.amdhsa_kernarg_size 136
		.amdhsa_user_sgpr_count 6
		.amdhsa_user_sgpr_private_segment_buffer 1
		.amdhsa_user_sgpr_dispatch_ptr 0
		.amdhsa_user_sgpr_queue_ptr 0
		.amdhsa_user_sgpr_kernarg_segment_ptr 1
		.amdhsa_user_sgpr_dispatch_id 0
		.amdhsa_user_sgpr_flat_scratch_init 0
		.amdhsa_user_sgpr_private_segment_size 0
		.amdhsa_wavefront_size32 1
		.amdhsa_uses_dynamic_stack 0
		.amdhsa_system_sgpr_private_segment_wavefront_offset 0
		.amdhsa_system_sgpr_workgroup_id_x 1
		.amdhsa_system_sgpr_workgroup_id_y 0
		.amdhsa_system_sgpr_workgroup_id_z 0
		.amdhsa_system_sgpr_workgroup_info 0
		.amdhsa_system_vgpr_workitem_id 0
		.amdhsa_next_free_vgpr 1
		.amdhsa_next_free_sgpr 1
		.amdhsa_reserve_vcc 0
		.amdhsa_reserve_flat_scratch 0
		.amdhsa_float_round_mode_32 0
		.amdhsa_float_round_mode_16_64 0
		.amdhsa_float_denorm_mode_32 3
		.amdhsa_float_denorm_mode_16_64 3
		.amdhsa_dx10_clamp 1
		.amdhsa_ieee_mode 1
		.amdhsa_fp16_overflow 0
		.amdhsa_workgroup_processor_mode 1
		.amdhsa_memory_ordered 1
		.amdhsa_forward_progress 1
		.amdhsa_shared_vgpr_count 0
		.amdhsa_exception_fp_ieee_invalid_op 0
		.amdhsa_exception_fp_denorm_src 0
		.amdhsa_exception_fp_ieee_div_zero 0
		.amdhsa_exception_fp_ieee_overflow 0
		.amdhsa_exception_fp_ieee_underflow 0
		.amdhsa_exception_fp_ieee_inexact 0
		.amdhsa_exception_int_div_zero 0
	.end_amdhsa_kernel
	.section	.text._ZN7rocprim17ROCPRIM_400000_NS6detail17trampoline_kernelINS0_14default_configENS1_27scan_by_key_config_selectorIxxEEZZNS1_16scan_by_key_implILNS1_25lookback_scan_determinismE0ELb1ES3_N6thrust23THRUST_200600_302600_NS6detail15normal_iteratorINS9_10device_ptrIxEEEESE_SE_xNS9_10multipliesIxEENS9_8equal_toIxEExEE10hipError_tPvRmT2_T3_T4_T5_mT6_T7_P12ihipStream_tbENKUlT_T0_E_clISt17integral_constantIbLb0EESZ_EEDaSU_SV_EUlSU_E_NS1_11comp_targetILNS1_3genE4ELNS1_11target_archE910ELNS1_3gpuE8ELNS1_3repE0EEENS1_30default_config_static_selectorELNS0_4arch9wavefront6targetE0EEEvT1_,"axG",@progbits,_ZN7rocprim17ROCPRIM_400000_NS6detail17trampoline_kernelINS0_14default_configENS1_27scan_by_key_config_selectorIxxEEZZNS1_16scan_by_key_implILNS1_25lookback_scan_determinismE0ELb1ES3_N6thrust23THRUST_200600_302600_NS6detail15normal_iteratorINS9_10device_ptrIxEEEESE_SE_xNS9_10multipliesIxEENS9_8equal_toIxEExEE10hipError_tPvRmT2_T3_T4_T5_mT6_T7_P12ihipStream_tbENKUlT_T0_E_clISt17integral_constantIbLb0EESZ_EEDaSU_SV_EUlSU_E_NS1_11comp_targetILNS1_3genE4ELNS1_11target_archE910ELNS1_3gpuE8ELNS1_3repE0EEENS1_30default_config_static_selectorELNS0_4arch9wavefront6targetE0EEEvT1_,comdat
.Lfunc_end392:
	.size	_ZN7rocprim17ROCPRIM_400000_NS6detail17trampoline_kernelINS0_14default_configENS1_27scan_by_key_config_selectorIxxEEZZNS1_16scan_by_key_implILNS1_25lookback_scan_determinismE0ELb1ES3_N6thrust23THRUST_200600_302600_NS6detail15normal_iteratorINS9_10device_ptrIxEEEESE_SE_xNS9_10multipliesIxEENS9_8equal_toIxEExEE10hipError_tPvRmT2_T3_T4_T5_mT6_T7_P12ihipStream_tbENKUlT_T0_E_clISt17integral_constantIbLb0EESZ_EEDaSU_SV_EUlSU_E_NS1_11comp_targetILNS1_3genE4ELNS1_11target_archE910ELNS1_3gpuE8ELNS1_3repE0EEENS1_30default_config_static_selectorELNS0_4arch9wavefront6targetE0EEEvT1_, .Lfunc_end392-_ZN7rocprim17ROCPRIM_400000_NS6detail17trampoline_kernelINS0_14default_configENS1_27scan_by_key_config_selectorIxxEEZZNS1_16scan_by_key_implILNS1_25lookback_scan_determinismE0ELb1ES3_N6thrust23THRUST_200600_302600_NS6detail15normal_iteratorINS9_10device_ptrIxEEEESE_SE_xNS9_10multipliesIxEENS9_8equal_toIxEExEE10hipError_tPvRmT2_T3_T4_T5_mT6_T7_P12ihipStream_tbENKUlT_T0_E_clISt17integral_constantIbLb0EESZ_EEDaSU_SV_EUlSU_E_NS1_11comp_targetILNS1_3genE4ELNS1_11target_archE910ELNS1_3gpuE8ELNS1_3repE0EEENS1_30default_config_static_selectorELNS0_4arch9wavefront6targetE0EEEvT1_
                                        ; -- End function
	.set _ZN7rocprim17ROCPRIM_400000_NS6detail17trampoline_kernelINS0_14default_configENS1_27scan_by_key_config_selectorIxxEEZZNS1_16scan_by_key_implILNS1_25lookback_scan_determinismE0ELb1ES3_N6thrust23THRUST_200600_302600_NS6detail15normal_iteratorINS9_10device_ptrIxEEEESE_SE_xNS9_10multipliesIxEENS9_8equal_toIxEExEE10hipError_tPvRmT2_T3_T4_T5_mT6_T7_P12ihipStream_tbENKUlT_T0_E_clISt17integral_constantIbLb0EESZ_EEDaSU_SV_EUlSU_E_NS1_11comp_targetILNS1_3genE4ELNS1_11target_archE910ELNS1_3gpuE8ELNS1_3repE0EEENS1_30default_config_static_selectorELNS0_4arch9wavefront6targetE0EEEvT1_.num_vgpr, 0
	.set _ZN7rocprim17ROCPRIM_400000_NS6detail17trampoline_kernelINS0_14default_configENS1_27scan_by_key_config_selectorIxxEEZZNS1_16scan_by_key_implILNS1_25lookback_scan_determinismE0ELb1ES3_N6thrust23THRUST_200600_302600_NS6detail15normal_iteratorINS9_10device_ptrIxEEEESE_SE_xNS9_10multipliesIxEENS9_8equal_toIxEExEE10hipError_tPvRmT2_T3_T4_T5_mT6_T7_P12ihipStream_tbENKUlT_T0_E_clISt17integral_constantIbLb0EESZ_EEDaSU_SV_EUlSU_E_NS1_11comp_targetILNS1_3genE4ELNS1_11target_archE910ELNS1_3gpuE8ELNS1_3repE0EEENS1_30default_config_static_selectorELNS0_4arch9wavefront6targetE0EEEvT1_.num_agpr, 0
	.set _ZN7rocprim17ROCPRIM_400000_NS6detail17trampoline_kernelINS0_14default_configENS1_27scan_by_key_config_selectorIxxEEZZNS1_16scan_by_key_implILNS1_25lookback_scan_determinismE0ELb1ES3_N6thrust23THRUST_200600_302600_NS6detail15normal_iteratorINS9_10device_ptrIxEEEESE_SE_xNS9_10multipliesIxEENS9_8equal_toIxEExEE10hipError_tPvRmT2_T3_T4_T5_mT6_T7_P12ihipStream_tbENKUlT_T0_E_clISt17integral_constantIbLb0EESZ_EEDaSU_SV_EUlSU_E_NS1_11comp_targetILNS1_3genE4ELNS1_11target_archE910ELNS1_3gpuE8ELNS1_3repE0EEENS1_30default_config_static_selectorELNS0_4arch9wavefront6targetE0EEEvT1_.numbered_sgpr, 0
	.set _ZN7rocprim17ROCPRIM_400000_NS6detail17trampoline_kernelINS0_14default_configENS1_27scan_by_key_config_selectorIxxEEZZNS1_16scan_by_key_implILNS1_25lookback_scan_determinismE0ELb1ES3_N6thrust23THRUST_200600_302600_NS6detail15normal_iteratorINS9_10device_ptrIxEEEESE_SE_xNS9_10multipliesIxEENS9_8equal_toIxEExEE10hipError_tPvRmT2_T3_T4_T5_mT6_T7_P12ihipStream_tbENKUlT_T0_E_clISt17integral_constantIbLb0EESZ_EEDaSU_SV_EUlSU_E_NS1_11comp_targetILNS1_3genE4ELNS1_11target_archE910ELNS1_3gpuE8ELNS1_3repE0EEENS1_30default_config_static_selectorELNS0_4arch9wavefront6targetE0EEEvT1_.num_named_barrier, 0
	.set _ZN7rocprim17ROCPRIM_400000_NS6detail17trampoline_kernelINS0_14default_configENS1_27scan_by_key_config_selectorIxxEEZZNS1_16scan_by_key_implILNS1_25lookback_scan_determinismE0ELb1ES3_N6thrust23THRUST_200600_302600_NS6detail15normal_iteratorINS9_10device_ptrIxEEEESE_SE_xNS9_10multipliesIxEENS9_8equal_toIxEExEE10hipError_tPvRmT2_T3_T4_T5_mT6_T7_P12ihipStream_tbENKUlT_T0_E_clISt17integral_constantIbLb0EESZ_EEDaSU_SV_EUlSU_E_NS1_11comp_targetILNS1_3genE4ELNS1_11target_archE910ELNS1_3gpuE8ELNS1_3repE0EEENS1_30default_config_static_selectorELNS0_4arch9wavefront6targetE0EEEvT1_.private_seg_size, 0
	.set _ZN7rocprim17ROCPRIM_400000_NS6detail17trampoline_kernelINS0_14default_configENS1_27scan_by_key_config_selectorIxxEEZZNS1_16scan_by_key_implILNS1_25lookback_scan_determinismE0ELb1ES3_N6thrust23THRUST_200600_302600_NS6detail15normal_iteratorINS9_10device_ptrIxEEEESE_SE_xNS9_10multipliesIxEENS9_8equal_toIxEExEE10hipError_tPvRmT2_T3_T4_T5_mT6_T7_P12ihipStream_tbENKUlT_T0_E_clISt17integral_constantIbLb0EESZ_EEDaSU_SV_EUlSU_E_NS1_11comp_targetILNS1_3genE4ELNS1_11target_archE910ELNS1_3gpuE8ELNS1_3repE0EEENS1_30default_config_static_selectorELNS0_4arch9wavefront6targetE0EEEvT1_.uses_vcc, 0
	.set _ZN7rocprim17ROCPRIM_400000_NS6detail17trampoline_kernelINS0_14default_configENS1_27scan_by_key_config_selectorIxxEEZZNS1_16scan_by_key_implILNS1_25lookback_scan_determinismE0ELb1ES3_N6thrust23THRUST_200600_302600_NS6detail15normal_iteratorINS9_10device_ptrIxEEEESE_SE_xNS9_10multipliesIxEENS9_8equal_toIxEExEE10hipError_tPvRmT2_T3_T4_T5_mT6_T7_P12ihipStream_tbENKUlT_T0_E_clISt17integral_constantIbLb0EESZ_EEDaSU_SV_EUlSU_E_NS1_11comp_targetILNS1_3genE4ELNS1_11target_archE910ELNS1_3gpuE8ELNS1_3repE0EEENS1_30default_config_static_selectorELNS0_4arch9wavefront6targetE0EEEvT1_.uses_flat_scratch, 0
	.set _ZN7rocprim17ROCPRIM_400000_NS6detail17trampoline_kernelINS0_14default_configENS1_27scan_by_key_config_selectorIxxEEZZNS1_16scan_by_key_implILNS1_25lookback_scan_determinismE0ELb1ES3_N6thrust23THRUST_200600_302600_NS6detail15normal_iteratorINS9_10device_ptrIxEEEESE_SE_xNS9_10multipliesIxEENS9_8equal_toIxEExEE10hipError_tPvRmT2_T3_T4_T5_mT6_T7_P12ihipStream_tbENKUlT_T0_E_clISt17integral_constantIbLb0EESZ_EEDaSU_SV_EUlSU_E_NS1_11comp_targetILNS1_3genE4ELNS1_11target_archE910ELNS1_3gpuE8ELNS1_3repE0EEENS1_30default_config_static_selectorELNS0_4arch9wavefront6targetE0EEEvT1_.has_dyn_sized_stack, 0
	.set _ZN7rocprim17ROCPRIM_400000_NS6detail17trampoline_kernelINS0_14default_configENS1_27scan_by_key_config_selectorIxxEEZZNS1_16scan_by_key_implILNS1_25lookback_scan_determinismE0ELb1ES3_N6thrust23THRUST_200600_302600_NS6detail15normal_iteratorINS9_10device_ptrIxEEEESE_SE_xNS9_10multipliesIxEENS9_8equal_toIxEExEE10hipError_tPvRmT2_T3_T4_T5_mT6_T7_P12ihipStream_tbENKUlT_T0_E_clISt17integral_constantIbLb0EESZ_EEDaSU_SV_EUlSU_E_NS1_11comp_targetILNS1_3genE4ELNS1_11target_archE910ELNS1_3gpuE8ELNS1_3repE0EEENS1_30default_config_static_selectorELNS0_4arch9wavefront6targetE0EEEvT1_.has_recursion, 0
	.set _ZN7rocprim17ROCPRIM_400000_NS6detail17trampoline_kernelINS0_14default_configENS1_27scan_by_key_config_selectorIxxEEZZNS1_16scan_by_key_implILNS1_25lookback_scan_determinismE0ELb1ES3_N6thrust23THRUST_200600_302600_NS6detail15normal_iteratorINS9_10device_ptrIxEEEESE_SE_xNS9_10multipliesIxEENS9_8equal_toIxEExEE10hipError_tPvRmT2_T3_T4_T5_mT6_T7_P12ihipStream_tbENKUlT_T0_E_clISt17integral_constantIbLb0EESZ_EEDaSU_SV_EUlSU_E_NS1_11comp_targetILNS1_3genE4ELNS1_11target_archE910ELNS1_3gpuE8ELNS1_3repE0EEENS1_30default_config_static_selectorELNS0_4arch9wavefront6targetE0EEEvT1_.has_indirect_call, 0
	.section	.AMDGPU.csdata,"",@progbits
; Kernel info:
; codeLenInByte = 0
; TotalNumSgprs: 0
; NumVgprs: 0
; ScratchSize: 0
; MemoryBound: 0
; FloatMode: 240
; IeeeMode: 1
; LDSByteSize: 0 bytes/workgroup (compile time only)
; SGPRBlocks: 0
; VGPRBlocks: 0
; NumSGPRsForWavesPerEU: 1
; NumVGPRsForWavesPerEU: 1
; Occupancy: 16
; WaveLimiterHint : 0
; COMPUTE_PGM_RSRC2:SCRATCH_EN: 0
; COMPUTE_PGM_RSRC2:USER_SGPR: 6
; COMPUTE_PGM_RSRC2:TRAP_HANDLER: 0
; COMPUTE_PGM_RSRC2:TGID_X_EN: 1
; COMPUTE_PGM_RSRC2:TGID_Y_EN: 0
; COMPUTE_PGM_RSRC2:TGID_Z_EN: 0
; COMPUTE_PGM_RSRC2:TIDIG_COMP_CNT: 0
	.section	.text._ZN7rocprim17ROCPRIM_400000_NS6detail17trampoline_kernelINS0_14default_configENS1_27scan_by_key_config_selectorIxxEEZZNS1_16scan_by_key_implILNS1_25lookback_scan_determinismE0ELb1ES3_N6thrust23THRUST_200600_302600_NS6detail15normal_iteratorINS9_10device_ptrIxEEEESE_SE_xNS9_10multipliesIxEENS9_8equal_toIxEExEE10hipError_tPvRmT2_T3_T4_T5_mT6_T7_P12ihipStream_tbENKUlT_T0_E_clISt17integral_constantIbLb0EESZ_EEDaSU_SV_EUlSU_E_NS1_11comp_targetILNS1_3genE3ELNS1_11target_archE908ELNS1_3gpuE7ELNS1_3repE0EEENS1_30default_config_static_selectorELNS0_4arch9wavefront6targetE0EEEvT1_,"axG",@progbits,_ZN7rocprim17ROCPRIM_400000_NS6detail17trampoline_kernelINS0_14default_configENS1_27scan_by_key_config_selectorIxxEEZZNS1_16scan_by_key_implILNS1_25lookback_scan_determinismE0ELb1ES3_N6thrust23THRUST_200600_302600_NS6detail15normal_iteratorINS9_10device_ptrIxEEEESE_SE_xNS9_10multipliesIxEENS9_8equal_toIxEExEE10hipError_tPvRmT2_T3_T4_T5_mT6_T7_P12ihipStream_tbENKUlT_T0_E_clISt17integral_constantIbLb0EESZ_EEDaSU_SV_EUlSU_E_NS1_11comp_targetILNS1_3genE3ELNS1_11target_archE908ELNS1_3gpuE7ELNS1_3repE0EEENS1_30default_config_static_selectorELNS0_4arch9wavefront6targetE0EEEvT1_,comdat
	.protected	_ZN7rocprim17ROCPRIM_400000_NS6detail17trampoline_kernelINS0_14default_configENS1_27scan_by_key_config_selectorIxxEEZZNS1_16scan_by_key_implILNS1_25lookback_scan_determinismE0ELb1ES3_N6thrust23THRUST_200600_302600_NS6detail15normal_iteratorINS9_10device_ptrIxEEEESE_SE_xNS9_10multipliesIxEENS9_8equal_toIxEExEE10hipError_tPvRmT2_T3_T4_T5_mT6_T7_P12ihipStream_tbENKUlT_T0_E_clISt17integral_constantIbLb0EESZ_EEDaSU_SV_EUlSU_E_NS1_11comp_targetILNS1_3genE3ELNS1_11target_archE908ELNS1_3gpuE7ELNS1_3repE0EEENS1_30default_config_static_selectorELNS0_4arch9wavefront6targetE0EEEvT1_ ; -- Begin function _ZN7rocprim17ROCPRIM_400000_NS6detail17trampoline_kernelINS0_14default_configENS1_27scan_by_key_config_selectorIxxEEZZNS1_16scan_by_key_implILNS1_25lookback_scan_determinismE0ELb1ES3_N6thrust23THRUST_200600_302600_NS6detail15normal_iteratorINS9_10device_ptrIxEEEESE_SE_xNS9_10multipliesIxEENS9_8equal_toIxEExEE10hipError_tPvRmT2_T3_T4_T5_mT6_T7_P12ihipStream_tbENKUlT_T0_E_clISt17integral_constantIbLb0EESZ_EEDaSU_SV_EUlSU_E_NS1_11comp_targetILNS1_3genE3ELNS1_11target_archE908ELNS1_3gpuE7ELNS1_3repE0EEENS1_30default_config_static_selectorELNS0_4arch9wavefront6targetE0EEEvT1_
	.globl	_ZN7rocprim17ROCPRIM_400000_NS6detail17trampoline_kernelINS0_14default_configENS1_27scan_by_key_config_selectorIxxEEZZNS1_16scan_by_key_implILNS1_25lookback_scan_determinismE0ELb1ES3_N6thrust23THRUST_200600_302600_NS6detail15normal_iteratorINS9_10device_ptrIxEEEESE_SE_xNS9_10multipliesIxEENS9_8equal_toIxEExEE10hipError_tPvRmT2_T3_T4_T5_mT6_T7_P12ihipStream_tbENKUlT_T0_E_clISt17integral_constantIbLb0EESZ_EEDaSU_SV_EUlSU_E_NS1_11comp_targetILNS1_3genE3ELNS1_11target_archE908ELNS1_3gpuE7ELNS1_3repE0EEENS1_30default_config_static_selectorELNS0_4arch9wavefront6targetE0EEEvT1_
	.p2align	8
	.type	_ZN7rocprim17ROCPRIM_400000_NS6detail17trampoline_kernelINS0_14default_configENS1_27scan_by_key_config_selectorIxxEEZZNS1_16scan_by_key_implILNS1_25lookback_scan_determinismE0ELb1ES3_N6thrust23THRUST_200600_302600_NS6detail15normal_iteratorINS9_10device_ptrIxEEEESE_SE_xNS9_10multipliesIxEENS9_8equal_toIxEExEE10hipError_tPvRmT2_T3_T4_T5_mT6_T7_P12ihipStream_tbENKUlT_T0_E_clISt17integral_constantIbLb0EESZ_EEDaSU_SV_EUlSU_E_NS1_11comp_targetILNS1_3genE3ELNS1_11target_archE908ELNS1_3gpuE7ELNS1_3repE0EEENS1_30default_config_static_selectorELNS0_4arch9wavefront6targetE0EEEvT1_,@function
_ZN7rocprim17ROCPRIM_400000_NS6detail17trampoline_kernelINS0_14default_configENS1_27scan_by_key_config_selectorIxxEEZZNS1_16scan_by_key_implILNS1_25lookback_scan_determinismE0ELb1ES3_N6thrust23THRUST_200600_302600_NS6detail15normal_iteratorINS9_10device_ptrIxEEEESE_SE_xNS9_10multipliesIxEENS9_8equal_toIxEExEE10hipError_tPvRmT2_T3_T4_T5_mT6_T7_P12ihipStream_tbENKUlT_T0_E_clISt17integral_constantIbLb0EESZ_EEDaSU_SV_EUlSU_E_NS1_11comp_targetILNS1_3genE3ELNS1_11target_archE908ELNS1_3gpuE7ELNS1_3repE0EEENS1_30default_config_static_selectorELNS0_4arch9wavefront6targetE0EEEvT1_: ; @_ZN7rocprim17ROCPRIM_400000_NS6detail17trampoline_kernelINS0_14default_configENS1_27scan_by_key_config_selectorIxxEEZZNS1_16scan_by_key_implILNS1_25lookback_scan_determinismE0ELb1ES3_N6thrust23THRUST_200600_302600_NS6detail15normal_iteratorINS9_10device_ptrIxEEEESE_SE_xNS9_10multipliesIxEENS9_8equal_toIxEExEE10hipError_tPvRmT2_T3_T4_T5_mT6_T7_P12ihipStream_tbENKUlT_T0_E_clISt17integral_constantIbLb0EESZ_EEDaSU_SV_EUlSU_E_NS1_11comp_targetILNS1_3genE3ELNS1_11target_archE908ELNS1_3gpuE7ELNS1_3repE0EEENS1_30default_config_static_selectorELNS0_4arch9wavefront6targetE0EEEvT1_
; %bb.0:
	.section	.rodata,"a",@progbits
	.p2align	6, 0x0
	.amdhsa_kernel _ZN7rocprim17ROCPRIM_400000_NS6detail17trampoline_kernelINS0_14default_configENS1_27scan_by_key_config_selectorIxxEEZZNS1_16scan_by_key_implILNS1_25lookback_scan_determinismE0ELb1ES3_N6thrust23THRUST_200600_302600_NS6detail15normal_iteratorINS9_10device_ptrIxEEEESE_SE_xNS9_10multipliesIxEENS9_8equal_toIxEExEE10hipError_tPvRmT2_T3_T4_T5_mT6_T7_P12ihipStream_tbENKUlT_T0_E_clISt17integral_constantIbLb0EESZ_EEDaSU_SV_EUlSU_E_NS1_11comp_targetILNS1_3genE3ELNS1_11target_archE908ELNS1_3gpuE7ELNS1_3repE0EEENS1_30default_config_static_selectorELNS0_4arch9wavefront6targetE0EEEvT1_
		.amdhsa_group_segment_fixed_size 0
		.amdhsa_private_segment_fixed_size 0
		.amdhsa_kernarg_size 136
		.amdhsa_user_sgpr_count 6
		.amdhsa_user_sgpr_private_segment_buffer 1
		.amdhsa_user_sgpr_dispatch_ptr 0
		.amdhsa_user_sgpr_queue_ptr 0
		.amdhsa_user_sgpr_kernarg_segment_ptr 1
		.amdhsa_user_sgpr_dispatch_id 0
		.amdhsa_user_sgpr_flat_scratch_init 0
		.amdhsa_user_sgpr_private_segment_size 0
		.amdhsa_wavefront_size32 1
		.amdhsa_uses_dynamic_stack 0
		.amdhsa_system_sgpr_private_segment_wavefront_offset 0
		.amdhsa_system_sgpr_workgroup_id_x 1
		.amdhsa_system_sgpr_workgroup_id_y 0
		.amdhsa_system_sgpr_workgroup_id_z 0
		.amdhsa_system_sgpr_workgroup_info 0
		.amdhsa_system_vgpr_workitem_id 0
		.amdhsa_next_free_vgpr 1
		.amdhsa_next_free_sgpr 1
		.amdhsa_reserve_vcc 0
		.amdhsa_reserve_flat_scratch 0
		.amdhsa_float_round_mode_32 0
		.amdhsa_float_round_mode_16_64 0
		.amdhsa_float_denorm_mode_32 3
		.amdhsa_float_denorm_mode_16_64 3
		.amdhsa_dx10_clamp 1
		.amdhsa_ieee_mode 1
		.amdhsa_fp16_overflow 0
		.amdhsa_workgroup_processor_mode 1
		.amdhsa_memory_ordered 1
		.amdhsa_forward_progress 1
		.amdhsa_shared_vgpr_count 0
		.amdhsa_exception_fp_ieee_invalid_op 0
		.amdhsa_exception_fp_denorm_src 0
		.amdhsa_exception_fp_ieee_div_zero 0
		.amdhsa_exception_fp_ieee_overflow 0
		.amdhsa_exception_fp_ieee_underflow 0
		.amdhsa_exception_fp_ieee_inexact 0
		.amdhsa_exception_int_div_zero 0
	.end_amdhsa_kernel
	.section	.text._ZN7rocprim17ROCPRIM_400000_NS6detail17trampoline_kernelINS0_14default_configENS1_27scan_by_key_config_selectorIxxEEZZNS1_16scan_by_key_implILNS1_25lookback_scan_determinismE0ELb1ES3_N6thrust23THRUST_200600_302600_NS6detail15normal_iteratorINS9_10device_ptrIxEEEESE_SE_xNS9_10multipliesIxEENS9_8equal_toIxEExEE10hipError_tPvRmT2_T3_T4_T5_mT6_T7_P12ihipStream_tbENKUlT_T0_E_clISt17integral_constantIbLb0EESZ_EEDaSU_SV_EUlSU_E_NS1_11comp_targetILNS1_3genE3ELNS1_11target_archE908ELNS1_3gpuE7ELNS1_3repE0EEENS1_30default_config_static_selectorELNS0_4arch9wavefront6targetE0EEEvT1_,"axG",@progbits,_ZN7rocprim17ROCPRIM_400000_NS6detail17trampoline_kernelINS0_14default_configENS1_27scan_by_key_config_selectorIxxEEZZNS1_16scan_by_key_implILNS1_25lookback_scan_determinismE0ELb1ES3_N6thrust23THRUST_200600_302600_NS6detail15normal_iteratorINS9_10device_ptrIxEEEESE_SE_xNS9_10multipliesIxEENS9_8equal_toIxEExEE10hipError_tPvRmT2_T3_T4_T5_mT6_T7_P12ihipStream_tbENKUlT_T0_E_clISt17integral_constantIbLb0EESZ_EEDaSU_SV_EUlSU_E_NS1_11comp_targetILNS1_3genE3ELNS1_11target_archE908ELNS1_3gpuE7ELNS1_3repE0EEENS1_30default_config_static_selectorELNS0_4arch9wavefront6targetE0EEEvT1_,comdat
.Lfunc_end393:
	.size	_ZN7rocprim17ROCPRIM_400000_NS6detail17trampoline_kernelINS0_14default_configENS1_27scan_by_key_config_selectorIxxEEZZNS1_16scan_by_key_implILNS1_25lookback_scan_determinismE0ELb1ES3_N6thrust23THRUST_200600_302600_NS6detail15normal_iteratorINS9_10device_ptrIxEEEESE_SE_xNS9_10multipliesIxEENS9_8equal_toIxEExEE10hipError_tPvRmT2_T3_T4_T5_mT6_T7_P12ihipStream_tbENKUlT_T0_E_clISt17integral_constantIbLb0EESZ_EEDaSU_SV_EUlSU_E_NS1_11comp_targetILNS1_3genE3ELNS1_11target_archE908ELNS1_3gpuE7ELNS1_3repE0EEENS1_30default_config_static_selectorELNS0_4arch9wavefront6targetE0EEEvT1_, .Lfunc_end393-_ZN7rocprim17ROCPRIM_400000_NS6detail17trampoline_kernelINS0_14default_configENS1_27scan_by_key_config_selectorIxxEEZZNS1_16scan_by_key_implILNS1_25lookback_scan_determinismE0ELb1ES3_N6thrust23THRUST_200600_302600_NS6detail15normal_iteratorINS9_10device_ptrIxEEEESE_SE_xNS9_10multipliesIxEENS9_8equal_toIxEExEE10hipError_tPvRmT2_T3_T4_T5_mT6_T7_P12ihipStream_tbENKUlT_T0_E_clISt17integral_constantIbLb0EESZ_EEDaSU_SV_EUlSU_E_NS1_11comp_targetILNS1_3genE3ELNS1_11target_archE908ELNS1_3gpuE7ELNS1_3repE0EEENS1_30default_config_static_selectorELNS0_4arch9wavefront6targetE0EEEvT1_
                                        ; -- End function
	.set _ZN7rocprim17ROCPRIM_400000_NS6detail17trampoline_kernelINS0_14default_configENS1_27scan_by_key_config_selectorIxxEEZZNS1_16scan_by_key_implILNS1_25lookback_scan_determinismE0ELb1ES3_N6thrust23THRUST_200600_302600_NS6detail15normal_iteratorINS9_10device_ptrIxEEEESE_SE_xNS9_10multipliesIxEENS9_8equal_toIxEExEE10hipError_tPvRmT2_T3_T4_T5_mT6_T7_P12ihipStream_tbENKUlT_T0_E_clISt17integral_constantIbLb0EESZ_EEDaSU_SV_EUlSU_E_NS1_11comp_targetILNS1_3genE3ELNS1_11target_archE908ELNS1_3gpuE7ELNS1_3repE0EEENS1_30default_config_static_selectorELNS0_4arch9wavefront6targetE0EEEvT1_.num_vgpr, 0
	.set _ZN7rocprim17ROCPRIM_400000_NS6detail17trampoline_kernelINS0_14default_configENS1_27scan_by_key_config_selectorIxxEEZZNS1_16scan_by_key_implILNS1_25lookback_scan_determinismE0ELb1ES3_N6thrust23THRUST_200600_302600_NS6detail15normal_iteratorINS9_10device_ptrIxEEEESE_SE_xNS9_10multipliesIxEENS9_8equal_toIxEExEE10hipError_tPvRmT2_T3_T4_T5_mT6_T7_P12ihipStream_tbENKUlT_T0_E_clISt17integral_constantIbLb0EESZ_EEDaSU_SV_EUlSU_E_NS1_11comp_targetILNS1_3genE3ELNS1_11target_archE908ELNS1_3gpuE7ELNS1_3repE0EEENS1_30default_config_static_selectorELNS0_4arch9wavefront6targetE0EEEvT1_.num_agpr, 0
	.set _ZN7rocprim17ROCPRIM_400000_NS6detail17trampoline_kernelINS0_14default_configENS1_27scan_by_key_config_selectorIxxEEZZNS1_16scan_by_key_implILNS1_25lookback_scan_determinismE0ELb1ES3_N6thrust23THRUST_200600_302600_NS6detail15normal_iteratorINS9_10device_ptrIxEEEESE_SE_xNS9_10multipliesIxEENS9_8equal_toIxEExEE10hipError_tPvRmT2_T3_T4_T5_mT6_T7_P12ihipStream_tbENKUlT_T0_E_clISt17integral_constantIbLb0EESZ_EEDaSU_SV_EUlSU_E_NS1_11comp_targetILNS1_3genE3ELNS1_11target_archE908ELNS1_3gpuE7ELNS1_3repE0EEENS1_30default_config_static_selectorELNS0_4arch9wavefront6targetE0EEEvT1_.numbered_sgpr, 0
	.set _ZN7rocprim17ROCPRIM_400000_NS6detail17trampoline_kernelINS0_14default_configENS1_27scan_by_key_config_selectorIxxEEZZNS1_16scan_by_key_implILNS1_25lookback_scan_determinismE0ELb1ES3_N6thrust23THRUST_200600_302600_NS6detail15normal_iteratorINS9_10device_ptrIxEEEESE_SE_xNS9_10multipliesIxEENS9_8equal_toIxEExEE10hipError_tPvRmT2_T3_T4_T5_mT6_T7_P12ihipStream_tbENKUlT_T0_E_clISt17integral_constantIbLb0EESZ_EEDaSU_SV_EUlSU_E_NS1_11comp_targetILNS1_3genE3ELNS1_11target_archE908ELNS1_3gpuE7ELNS1_3repE0EEENS1_30default_config_static_selectorELNS0_4arch9wavefront6targetE0EEEvT1_.num_named_barrier, 0
	.set _ZN7rocprim17ROCPRIM_400000_NS6detail17trampoline_kernelINS0_14default_configENS1_27scan_by_key_config_selectorIxxEEZZNS1_16scan_by_key_implILNS1_25lookback_scan_determinismE0ELb1ES3_N6thrust23THRUST_200600_302600_NS6detail15normal_iteratorINS9_10device_ptrIxEEEESE_SE_xNS9_10multipliesIxEENS9_8equal_toIxEExEE10hipError_tPvRmT2_T3_T4_T5_mT6_T7_P12ihipStream_tbENKUlT_T0_E_clISt17integral_constantIbLb0EESZ_EEDaSU_SV_EUlSU_E_NS1_11comp_targetILNS1_3genE3ELNS1_11target_archE908ELNS1_3gpuE7ELNS1_3repE0EEENS1_30default_config_static_selectorELNS0_4arch9wavefront6targetE0EEEvT1_.private_seg_size, 0
	.set _ZN7rocprim17ROCPRIM_400000_NS6detail17trampoline_kernelINS0_14default_configENS1_27scan_by_key_config_selectorIxxEEZZNS1_16scan_by_key_implILNS1_25lookback_scan_determinismE0ELb1ES3_N6thrust23THRUST_200600_302600_NS6detail15normal_iteratorINS9_10device_ptrIxEEEESE_SE_xNS9_10multipliesIxEENS9_8equal_toIxEExEE10hipError_tPvRmT2_T3_T4_T5_mT6_T7_P12ihipStream_tbENKUlT_T0_E_clISt17integral_constantIbLb0EESZ_EEDaSU_SV_EUlSU_E_NS1_11comp_targetILNS1_3genE3ELNS1_11target_archE908ELNS1_3gpuE7ELNS1_3repE0EEENS1_30default_config_static_selectorELNS0_4arch9wavefront6targetE0EEEvT1_.uses_vcc, 0
	.set _ZN7rocprim17ROCPRIM_400000_NS6detail17trampoline_kernelINS0_14default_configENS1_27scan_by_key_config_selectorIxxEEZZNS1_16scan_by_key_implILNS1_25lookback_scan_determinismE0ELb1ES3_N6thrust23THRUST_200600_302600_NS6detail15normal_iteratorINS9_10device_ptrIxEEEESE_SE_xNS9_10multipliesIxEENS9_8equal_toIxEExEE10hipError_tPvRmT2_T3_T4_T5_mT6_T7_P12ihipStream_tbENKUlT_T0_E_clISt17integral_constantIbLb0EESZ_EEDaSU_SV_EUlSU_E_NS1_11comp_targetILNS1_3genE3ELNS1_11target_archE908ELNS1_3gpuE7ELNS1_3repE0EEENS1_30default_config_static_selectorELNS0_4arch9wavefront6targetE0EEEvT1_.uses_flat_scratch, 0
	.set _ZN7rocprim17ROCPRIM_400000_NS6detail17trampoline_kernelINS0_14default_configENS1_27scan_by_key_config_selectorIxxEEZZNS1_16scan_by_key_implILNS1_25lookback_scan_determinismE0ELb1ES3_N6thrust23THRUST_200600_302600_NS6detail15normal_iteratorINS9_10device_ptrIxEEEESE_SE_xNS9_10multipliesIxEENS9_8equal_toIxEExEE10hipError_tPvRmT2_T3_T4_T5_mT6_T7_P12ihipStream_tbENKUlT_T0_E_clISt17integral_constantIbLb0EESZ_EEDaSU_SV_EUlSU_E_NS1_11comp_targetILNS1_3genE3ELNS1_11target_archE908ELNS1_3gpuE7ELNS1_3repE0EEENS1_30default_config_static_selectorELNS0_4arch9wavefront6targetE0EEEvT1_.has_dyn_sized_stack, 0
	.set _ZN7rocprim17ROCPRIM_400000_NS6detail17trampoline_kernelINS0_14default_configENS1_27scan_by_key_config_selectorIxxEEZZNS1_16scan_by_key_implILNS1_25lookback_scan_determinismE0ELb1ES3_N6thrust23THRUST_200600_302600_NS6detail15normal_iteratorINS9_10device_ptrIxEEEESE_SE_xNS9_10multipliesIxEENS9_8equal_toIxEExEE10hipError_tPvRmT2_T3_T4_T5_mT6_T7_P12ihipStream_tbENKUlT_T0_E_clISt17integral_constantIbLb0EESZ_EEDaSU_SV_EUlSU_E_NS1_11comp_targetILNS1_3genE3ELNS1_11target_archE908ELNS1_3gpuE7ELNS1_3repE0EEENS1_30default_config_static_selectorELNS0_4arch9wavefront6targetE0EEEvT1_.has_recursion, 0
	.set _ZN7rocprim17ROCPRIM_400000_NS6detail17trampoline_kernelINS0_14default_configENS1_27scan_by_key_config_selectorIxxEEZZNS1_16scan_by_key_implILNS1_25lookback_scan_determinismE0ELb1ES3_N6thrust23THRUST_200600_302600_NS6detail15normal_iteratorINS9_10device_ptrIxEEEESE_SE_xNS9_10multipliesIxEENS9_8equal_toIxEExEE10hipError_tPvRmT2_T3_T4_T5_mT6_T7_P12ihipStream_tbENKUlT_T0_E_clISt17integral_constantIbLb0EESZ_EEDaSU_SV_EUlSU_E_NS1_11comp_targetILNS1_3genE3ELNS1_11target_archE908ELNS1_3gpuE7ELNS1_3repE0EEENS1_30default_config_static_selectorELNS0_4arch9wavefront6targetE0EEEvT1_.has_indirect_call, 0
	.section	.AMDGPU.csdata,"",@progbits
; Kernel info:
; codeLenInByte = 0
; TotalNumSgprs: 0
; NumVgprs: 0
; ScratchSize: 0
; MemoryBound: 0
; FloatMode: 240
; IeeeMode: 1
; LDSByteSize: 0 bytes/workgroup (compile time only)
; SGPRBlocks: 0
; VGPRBlocks: 0
; NumSGPRsForWavesPerEU: 1
; NumVGPRsForWavesPerEU: 1
; Occupancy: 16
; WaveLimiterHint : 0
; COMPUTE_PGM_RSRC2:SCRATCH_EN: 0
; COMPUTE_PGM_RSRC2:USER_SGPR: 6
; COMPUTE_PGM_RSRC2:TRAP_HANDLER: 0
; COMPUTE_PGM_RSRC2:TGID_X_EN: 1
; COMPUTE_PGM_RSRC2:TGID_Y_EN: 0
; COMPUTE_PGM_RSRC2:TGID_Z_EN: 0
; COMPUTE_PGM_RSRC2:TIDIG_COMP_CNT: 0
	.section	.text._ZN7rocprim17ROCPRIM_400000_NS6detail17trampoline_kernelINS0_14default_configENS1_27scan_by_key_config_selectorIxxEEZZNS1_16scan_by_key_implILNS1_25lookback_scan_determinismE0ELb1ES3_N6thrust23THRUST_200600_302600_NS6detail15normal_iteratorINS9_10device_ptrIxEEEESE_SE_xNS9_10multipliesIxEENS9_8equal_toIxEExEE10hipError_tPvRmT2_T3_T4_T5_mT6_T7_P12ihipStream_tbENKUlT_T0_E_clISt17integral_constantIbLb0EESZ_EEDaSU_SV_EUlSU_E_NS1_11comp_targetILNS1_3genE2ELNS1_11target_archE906ELNS1_3gpuE6ELNS1_3repE0EEENS1_30default_config_static_selectorELNS0_4arch9wavefront6targetE0EEEvT1_,"axG",@progbits,_ZN7rocprim17ROCPRIM_400000_NS6detail17trampoline_kernelINS0_14default_configENS1_27scan_by_key_config_selectorIxxEEZZNS1_16scan_by_key_implILNS1_25lookback_scan_determinismE0ELb1ES3_N6thrust23THRUST_200600_302600_NS6detail15normal_iteratorINS9_10device_ptrIxEEEESE_SE_xNS9_10multipliesIxEENS9_8equal_toIxEExEE10hipError_tPvRmT2_T3_T4_T5_mT6_T7_P12ihipStream_tbENKUlT_T0_E_clISt17integral_constantIbLb0EESZ_EEDaSU_SV_EUlSU_E_NS1_11comp_targetILNS1_3genE2ELNS1_11target_archE906ELNS1_3gpuE6ELNS1_3repE0EEENS1_30default_config_static_selectorELNS0_4arch9wavefront6targetE0EEEvT1_,comdat
	.protected	_ZN7rocprim17ROCPRIM_400000_NS6detail17trampoline_kernelINS0_14default_configENS1_27scan_by_key_config_selectorIxxEEZZNS1_16scan_by_key_implILNS1_25lookback_scan_determinismE0ELb1ES3_N6thrust23THRUST_200600_302600_NS6detail15normal_iteratorINS9_10device_ptrIxEEEESE_SE_xNS9_10multipliesIxEENS9_8equal_toIxEExEE10hipError_tPvRmT2_T3_T4_T5_mT6_T7_P12ihipStream_tbENKUlT_T0_E_clISt17integral_constantIbLb0EESZ_EEDaSU_SV_EUlSU_E_NS1_11comp_targetILNS1_3genE2ELNS1_11target_archE906ELNS1_3gpuE6ELNS1_3repE0EEENS1_30default_config_static_selectorELNS0_4arch9wavefront6targetE0EEEvT1_ ; -- Begin function _ZN7rocprim17ROCPRIM_400000_NS6detail17trampoline_kernelINS0_14default_configENS1_27scan_by_key_config_selectorIxxEEZZNS1_16scan_by_key_implILNS1_25lookback_scan_determinismE0ELb1ES3_N6thrust23THRUST_200600_302600_NS6detail15normal_iteratorINS9_10device_ptrIxEEEESE_SE_xNS9_10multipliesIxEENS9_8equal_toIxEExEE10hipError_tPvRmT2_T3_T4_T5_mT6_T7_P12ihipStream_tbENKUlT_T0_E_clISt17integral_constantIbLb0EESZ_EEDaSU_SV_EUlSU_E_NS1_11comp_targetILNS1_3genE2ELNS1_11target_archE906ELNS1_3gpuE6ELNS1_3repE0EEENS1_30default_config_static_selectorELNS0_4arch9wavefront6targetE0EEEvT1_
	.globl	_ZN7rocprim17ROCPRIM_400000_NS6detail17trampoline_kernelINS0_14default_configENS1_27scan_by_key_config_selectorIxxEEZZNS1_16scan_by_key_implILNS1_25lookback_scan_determinismE0ELb1ES3_N6thrust23THRUST_200600_302600_NS6detail15normal_iteratorINS9_10device_ptrIxEEEESE_SE_xNS9_10multipliesIxEENS9_8equal_toIxEExEE10hipError_tPvRmT2_T3_T4_T5_mT6_T7_P12ihipStream_tbENKUlT_T0_E_clISt17integral_constantIbLb0EESZ_EEDaSU_SV_EUlSU_E_NS1_11comp_targetILNS1_3genE2ELNS1_11target_archE906ELNS1_3gpuE6ELNS1_3repE0EEENS1_30default_config_static_selectorELNS0_4arch9wavefront6targetE0EEEvT1_
	.p2align	8
	.type	_ZN7rocprim17ROCPRIM_400000_NS6detail17trampoline_kernelINS0_14default_configENS1_27scan_by_key_config_selectorIxxEEZZNS1_16scan_by_key_implILNS1_25lookback_scan_determinismE0ELb1ES3_N6thrust23THRUST_200600_302600_NS6detail15normal_iteratorINS9_10device_ptrIxEEEESE_SE_xNS9_10multipliesIxEENS9_8equal_toIxEExEE10hipError_tPvRmT2_T3_T4_T5_mT6_T7_P12ihipStream_tbENKUlT_T0_E_clISt17integral_constantIbLb0EESZ_EEDaSU_SV_EUlSU_E_NS1_11comp_targetILNS1_3genE2ELNS1_11target_archE906ELNS1_3gpuE6ELNS1_3repE0EEENS1_30default_config_static_selectorELNS0_4arch9wavefront6targetE0EEEvT1_,@function
_ZN7rocprim17ROCPRIM_400000_NS6detail17trampoline_kernelINS0_14default_configENS1_27scan_by_key_config_selectorIxxEEZZNS1_16scan_by_key_implILNS1_25lookback_scan_determinismE0ELb1ES3_N6thrust23THRUST_200600_302600_NS6detail15normal_iteratorINS9_10device_ptrIxEEEESE_SE_xNS9_10multipliesIxEENS9_8equal_toIxEExEE10hipError_tPvRmT2_T3_T4_T5_mT6_T7_P12ihipStream_tbENKUlT_T0_E_clISt17integral_constantIbLb0EESZ_EEDaSU_SV_EUlSU_E_NS1_11comp_targetILNS1_3genE2ELNS1_11target_archE906ELNS1_3gpuE6ELNS1_3repE0EEENS1_30default_config_static_selectorELNS0_4arch9wavefront6targetE0EEEvT1_: ; @_ZN7rocprim17ROCPRIM_400000_NS6detail17trampoline_kernelINS0_14default_configENS1_27scan_by_key_config_selectorIxxEEZZNS1_16scan_by_key_implILNS1_25lookback_scan_determinismE0ELb1ES3_N6thrust23THRUST_200600_302600_NS6detail15normal_iteratorINS9_10device_ptrIxEEEESE_SE_xNS9_10multipliesIxEENS9_8equal_toIxEExEE10hipError_tPvRmT2_T3_T4_T5_mT6_T7_P12ihipStream_tbENKUlT_T0_E_clISt17integral_constantIbLb0EESZ_EEDaSU_SV_EUlSU_E_NS1_11comp_targetILNS1_3genE2ELNS1_11target_archE906ELNS1_3gpuE6ELNS1_3repE0EEENS1_30default_config_static_selectorELNS0_4arch9wavefront6targetE0EEEvT1_
; %bb.0:
	.section	.rodata,"a",@progbits
	.p2align	6, 0x0
	.amdhsa_kernel _ZN7rocprim17ROCPRIM_400000_NS6detail17trampoline_kernelINS0_14default_configENS1_27scan_by_key_config_selectorIxxEEZZNS1_16scan_by_key_implILNS1_25lookback_scan_determinismE0ELb1ES3_N6thrust23THRUST_200600_302600_NS6detail15normal_iteratorINS9_10device_ptrIxEEEESE_SE_xNS9_10multipliesIxEENS9_8equal_toIxEExEE10hipError_tPvRmT2_T3_T4_T5_mT6_T7_P12ihipStream_tbENKUlT_T0_E_clISt17integral_constantIbLb0EESZ_EEDaSU_SV_EUlSU_E_NS1_11comp_targetILNS1_3genE2ELNS1_11target_archE906ELNS1_3gpuE6ELNS1_3repE0EEENS1_30default_config_static_selectorELNS0_4arch9wavefront6targetE0EEEvT1_
		.amdhsa_group_segment_fixed_size 0
		.amdhsa_private_segment_fixed_size 0
		.amdhsa_kernarg_size 136
		.amdhsa_user_sgpr_count 6
		.amdhsa_user_sgpr_private_segment_buffer 1
		.amdhsa_user_sgpr_dispatch_ptr 0
		.amdhsa_user_sgpr_queue_ptr 0
		.amdhsa_user_sgpr_kernarg_segment_ptr 1
		.amdhsa_user_sgpr_dispatch_id 0
		.amdhsa_user_sgpr_flat_scratch_init 0
		.amdhsa_user_sgpr_private_segment_size 0
		.amdhsa_wavefront_size32 1
		.amdhsa_uses_dynamic_stack 0
		.amdhsa_system_sgpr_private_segment_wavefront_offset 0
		.amdhsa_system_sgpr_workgroup_id_x 1
		.amdhsa_system_sgpr_workgroup_id_y 0
		.amdhsa_system_sgpr_workgroup_id_z 0
		.amdhsa_system_sgpr_workgroup_info 0
		.amdhsa_system_vgpr_workitem_id 0
		.amdhsa_next_free_vgpr 1
		.amdhsa_next_free_sgpr 1
		.amdhsa_reserve_vcc 0
		.amdhsa_reserve_flat_scratch 0
		.amdhsa_float_round_mode_32 0
		.amdhsa_float_round_mode_16_64 0
		.amdhsa_float_denorm_mode_32 3
		.amdhsa_float_denorm_mode_16_64 3
		.amdhsa_dx10_clamp 1
		.amdhsa_ieee_mode 1
		.amdhsa_fp16_overflow 0
		.amdhsa_workgroup_processor_mode 1
		.amdhsa_memory_ordered 1
		.amdhsa_forward_progress 1
		.amdhsa_shared_vgpr_count 0
		.amdhsa_exception_fp_ieee_invalid_op 0
		.amdhsa_exception_fp_denorm_src 0
		.amdhsa_exception_fp_ieee_div_zero 0
		.amdhsa_exception_fp_ieee_overflow 0
		.amdhsa_exception_fp_ieee_underflow 0
		.amdhsa_exception_fp_ieee_inexact 0
		.amdhsa_exception_int_div_zero 0
	.end_amdhsa_kernel
	.section	.text._ZN7rocprim17ROCPRIM_400000_NS6detail17trampoline_kernelINS0_14default_configENS1_27scan_by_key_config_selectorIxxEEZZNS1_16scan_by_key_implILNS1_25lookback_scan_determinismE0ELb1ES3_N6thrust23THRUST_200600_302600_NS6detail15normal_iteratorINS9_10device_ptrIxEEEESE_SE_xNS9_10multipliesIxEENS9_8equal_toIxEExEE10hipError_tPvRmT2_T3_T4_T5_mT6_T7_P12ihipStream_tbENKUlT_T0_E_clISt17integral_constantIbLb0EESZ_EEDaSU_SV_EUlSU_E_NS1_11comp_targetILNS1_3genE2ELNS1_11target_archE906ELNS1_3gpuE6ELNS1_3repE0EEENS1_30default_config_static_selectorELNS0_4arch9wavefront6targetE0EEEvT1_,"axG",@progbits,_ZN7rocprim17ROCPRIM_400000_NS6detail17trampoline_kernelINS0_14default_configENS1_27scan_by_key_config_selectorIxxEEZZNS1_16scan_by_key_implILNS1_25lookback_scan_determinismE0ELb1ES3_N6thrust23THRUST_200600_302600_NS6detail15normal_iteratorINS9_10device_ptrIxEEEESE_SE_xNS9_10multipliesIxEENS9_8equal_toIxEExEE10hipError_tPvRmT2_T3_T4_T5_mT6_T7_P12ihipStream_tbENKUlT_T0_E_clISt17integral_constantIbLb0EESZ_EEDaSU_SV_EUlSU_E_NS1_11comp_targetILNS1_3genE2ELNS1_11target_archE906ELNS1_3gpuE6ELNS1_3repE0EEENS1_30default_config_static_selectorELNS0_4arch9wavefront6targetE0EEEvT1_,comdat
.Lfunc_end394:
	.size	_ZN7rocprim17ROCPRIM_400000_NS6detail17trampoline_kernelINS0_14default_configENS1_27scan_by_key_config_selectorIxxEEZZNS1_16scan_by_key_implILNS1_25lookback_scan_determinismE0ELb1ES3_N6thrust23THRUST_200600_302600_NS6detail15normal_iteratorINS9_10device_ptrIxEEEESE_SE_xNS9_10multipliesIxEENS9_8equal_toIxEExEE10hipError_tPvRmT2_T3_T4_T5_mT6_T7_P12ihipStream_tbENKUlT_T0_E_clISt17integral_constantIbLb0EESZ_EEDaSU_SV_EUlSU_E_NS1_11comp_targetILNS1_3genE2ELNS1_11target_archE906ELNS1_3gpuE6ELNS1_3repE0EEENS1_30default_config_static_selectorELNS0_4arch9wavefront6targetE0EEEvT1_, .Lfunc_end394-_ZN7rocprim17ROCPRIM_400000_NS6detail17trampoline_kernelINS0_14default_configENS1_27scan_by_key_config_selectorIxxEEZZNS1_16scan_by_key_implILNS1_25lookback_scan_determinismE0ELb1ES3_N6thrust23THRUST_200600_302600_NS6detail15normal_iteratorINS9_10device_ptrIxEEEESE_SE_xNS9_10multipliesIxEENS9_8equal_toIxEExEE10hipError_tPvRmT2_T3_T4_T5_mT6_T7_P12ihipStream_tbENKUlT_T0_E_clISt17integral_constantIbLb0EESZ_EEDaSU_SV_EUlSU_E_NS1_11comp_targetILNS1_3genE2ELNS1_11target_archE906ELNS1_3gpuE6ELNS1_3repE0EEENS1_30default_config_static_selectorELNS0_4arch9wavefront6targetE0EEEvT1_
                                        ; -- End function
	.set _ZN7rocprim17ROCPRIM_400000_NS6detail17trampoline_kernelINS0_14default_configENS1_27scan_by_key_config_selectorIxxEEZZNS1_16scan_by_key_implILNS1_25lookback_scan_determinismE0ELb1ES3_N6thrust23THRUST_200600_302600_NS6detail15normal_iteratorINS9_10device_ptrIxEEEESE_SE_xNS9_10multipliesIxEENS9_8equal_toIxEExEE10hipError_tPvRmT2_T3_T4_T5_mT6_T7_P12ihipStream_tbENKUlT_T0_E_clISt17integral_constantIbLb0EESZ_EEDaSU_SV_EUlSU_E_NS1_11comp_targetILNS1_3genE2ELNS1_11target_archE906ELNS1_3gpuE6ELNS1_3repE0EEENS1_30default_config_static_selectorELNS0_4arch9wavefront6targetE0EEEvT1_.num_vgpr, 0
	.set _ZN7rocprim17ROCPRIM_400000_NS6detail17trampoline_kernelINS0_14default_configENS1_27scan_by_key_config_selectorIxxEEZZNS1_16scan_by_key_implILNS1_25lookback_scan_determinismE0ELb1ES3_N6thrust23THRUST_200600_302600_NS6detail15normal_iteratorINS9_10device_ptrIxEEEESE_SE_xNS9_10multipliesIxEENS9_8equal_toIxEExEE10hipError_tPvRmT2_T3_T4_T5_mT6_T7_P12ihipStream_tbENKUlT_T0_E_clISt17integral_constantIbLb0EESZ_EEDaSU_SV_EUlSU_E_NS1_11comp_targetILNS1_3genE2ELNS1_11target_archE906ELNS1_3gpuE6ELNS1_3repE0EEENS1_30default_config_static_selectorELNS0_4arch9wavefront6targetE0EEEvT1_.num_agpr, 0
	.set _ZN7rocprim17ROCPRIM_400000_NS6detail17trampoline_kernelINS0_14default_configENS1_27scan_by_key_config_selectorIxxEEZZNS1_16scan_by_key_implILNS1_25lookback_scan_determinismE0ELb1ES3_N6thrust23THRUST_200600_302600_NS6detail15normal_iteratorINS9_10device_ptrIxEEEESE_SE_xNS9_10multipliesIxEENS9_8equal_toIxEExEE10hipError_tPvRmT2_T3_T4_T5_mT6_T7_P12ihipStream_tbENKUlT_T0_E_clISt17integral_constantIbLb0EESZ_EEDaSU_SV_EUlSU_E_NS1_11comp_targetILNS1_3genE2ELNS1_11target_archE906ELNS1_3gpuE6ELNS1_3repE0EEENS1_30default_config_static_selectorELNS0_4arch9wavefront6targetE0EEEvT1_.numbered_sgpr, 0
	.set _ZN7rocprim17ROCPRIM_400000_NS6detail17trampoline_kernelINS0_14default_configENS1_27scan_by_key_config_selectorIxxEEZZNS1_16scan_by_key_implILNS1_25lookback_scan_determinismE0ELb1ES3_N6thrust23THRUST_200600_302600_NS6detail15normal_iteratorINS9_10device_ptrIxEEEESE_SE_xNS9_10multipliesIxEENS9_8equal_toIxEExEE10hipError_tPvRmT2_T3_T4_T5_mT6_T7_P12ihipStream_tbENKUlT_T0_E_clISt17integral_constantIbLb0EESZ_EEDaSU_SV_EUlSU_E_NS1_11comp_targetILNS1_3genE2ELNS1_11target_archE906ELNS1_3gpuE6ELNS1_3repE0EEENS1_30default_config_static_selectorELNS0_4arch9wavefront6targetE0EEEvT1_.num_named_barrier, 0
	.set _ZN7rocprim17ROCPRIM_400000_NS6detail17trampoline_kernelINS0_14default_configENS1_27scan_by_key_config_selectorIxxEEZZNS1_16scan_by_key_implILNS1_25lookback_scan_determinismE0ELb1ES3_N6thrust23THRUST_200600_302600_NS6detail15normal_iteratorINS9_10device_ptrIxEEEESE_SE_xNS9_10multipliesIxEENS9_8equal_toIxEExEE10hipError_tPvRmT2_T3_T4_T5_mT6_T7_P12ihipStream_tbENKUlT_T0_E_clISt17integral_constantIbLb0EESZ_EEDaSU_SV_EUlSU_E_NS1_11comp_targetILNS1_3genE2ELNS1_11target_archE906ELNS1_3gpuE6ELNS1_3repE0EEENS1_30default_config_static_selectorELNS0_4arch9wavefront6targetE0EEEvT1_.private_seg_size, 0
	.set _ZN7rocprim17ROCPRIM_400000_NS6detail17trampoline_kernelINS0_14default_configENS1_27scan_by_key_config_selectorIxxEEZZNS1_16scan_by_key_implILNS1_25lookback_scan_determinismE0ELb1ES3_N6thrust23THRUST_200600_302600_NS6detail15normal_iteratorINS9_10device_ptrIxEEEESE_SE_xNS9_10multipliesIxEENS9_8equal_toIxEExEE10hipError_tPvRmT2_T3_T4_T5_mT6_T7_P12ihipStream_tbENKUlT_T0_E_clISt17integral_constantIbLb0EESZ_EEDaSU_SV_EUlSU_E_NS1_11comp_targetILNS1_3genE2ELNS1_11target_archE906ELNS1_3gpuE6ELNS1_3repE0EEENS1_30default_config_static_selectorELNS0_4arch9wavefront6targetE0EEEvT1_.uses_vcc, 0
	.set _ZN7rocprim17ROCPRIM_400000_NS6detail17trampoline_kernelINS0_14default_configENS1_27scan_by_key_config_selectorIxxEEZZNS1_16scan_by_key_implILNS1_25lookback_scan_determinismE0ELb1ES3_N6thrust23THRUST_200600_302600_NS6detail15normal_iteratorINS9_10device_ptrIxEEEESE_SE_xNS9_10multipliesIxEENS9_8equal_toIxEExEE10hipError_tPvRmT2_T3_T4_T5_mT6_T7_P12ihipStream_tbENKUlT_T0_E_clISt17integral_constantIbLb0EESZ_EEDaSU_SV_EUlSU_E_NS1_11comp_targetILNS1_3genE2ELNS1_11target_archE906ELNS1_3gpuE6ELNS1_3repE0EEENS1_30default_config_static_selectorELNS0_4arch9wavefront6targetE0EEEvT1_.uses_flat_scratch, 0
	.set _ZN7rocprim17ROCPRIM_400000_NS6detail17trampoline_kernelINS0_14default_configENS1_27scan_by_key_config_selectorIxxEEZZNS1_16scan_by_key_implILNS1_25lookback_scan_determinismE0ELb1ES3_N6thrust23THRUST_200600_302600_NS6detail15normal_iteratorINS9_10device_ptrIxEEEESE_SE_xNS9_10multipliesIxEENS9_8equal_toIxEExEE10hipError_tPvRmT2_T3_T4_T5_mT6_T7_P12ihipStream_tbENKUlT_T0_E_clISt17integral_constantIbLb0EESZ_EEDaSU_SV_EUlSU_E_NS1_11comp_targetILNS1_3genE2ELNS1_11target_archE906ELNS1_3gpuE6ELNS1_3repE0EEENS1_30default_config_static_selectorELNS0_4arch9wavefront6targetE0EEEvT1_.has_dyn_sized_stack, 0
	.set _ZN7rocprim17ROCPRIM_400000_NS6detail17trampoline_kernelINS0_14default_configENS1_27scan_by_key_config_selectorIxxEEZZNS1_16scan_by_key_implILNS1_25lookback_scan_determinismE0ELb1ES3_N6thrust23THRUST_200600_302600_NS6detail15normal_iteratorINS9_10device_ptrIxEEEESE_SE_xNS9_10multipliesIxEENS9_8equal_toIxEExEE10hipError_tPvRmT2_T3_T4_T5_mT6_T7_P12ihipStream_tbENKUlT_T0_E_clISt17integral_constantIbLb0EESZ_EEDaSU_SV_EUlSU_E_NS1_11comp_targetILNS1_3genE2ELNS1_11target_archE906ELNS1_3gpuE6ELNS1_3repE0EEENS1_30default_config_static_selectorELNS0_4arch9wavefront6targetE0EEEvT1_.has_recursion, 0
	.set _ZN7rocprim17ROCPRIM_400000_NS6detail17trampoline_kernelINS0_14default_configENS1_27scan_by_key_config_selectorIxxEEZZNS1_16scan_by_key_implILNS1_25lookback_scan_determinismE0ELb1ES3_N6thrust23THRUST_200600_302600_NS6detail15normal_iteratorINS9_10device_ptrIxEEEESE_SE_xNS9_10multipliesIxEENS9_8equal_toIxEExEE10hipError_tPvRmT2_T3_T4_T5_mT6_T7_P12ihipStream_tbENKUlT_T0_E_clISt17integral_constantIbLb0EESZ_EEDaSU_SV_EUlSU_E_NS1_11comp_targetILNS1_3genE2ELNS1_11target_archE906ELNS1_3gpuE6ELNS1_3repE0EEENS1_30default_config_static_selectorELNS0_4arch9wavefront6targetE0EEEvT1_.has_indirect_call, 0
	.section	.AMDGPU.csdata,"",@progbits
; Kernel info:
; codeLenInByte = 0
; TotalNumSgprs: 0
; NumVgprs: 0
; ScratchSize: 0
; MemoryBound: 0
; FloatMode: 240
; IeeeMode: 1
; LDSByteSize: 0 bytes/workgroup (compile time only)
; SGPRBlocks: 0
; VGPRBlocks: 0
; NumSGPRsForWavesPerEU: 1
; NumVGPRsForWavesPerEU: 1
; Occupancy: 16
; WaveLimiterHint : 0
; COMPUTE_PGM_RSRC2:SCRATCH_EN: 0
; COMPUTE_PGM_RSRC2:USER_SGPR: 6
; COMPUTE_PGM_RSRC2:TRAP_HANDLER: 0
; COMPUTE_PGM_RSRC2:TGID_X_EN: 1
; COMPUTE_PGM_RSRC2:TGID_Y_EN: 0
; COMPUTE_PGM_RSRC2:TGID_Z_EN: 0
; COMPUTE_PGM_RSRC2:TIDIG_COMP_CNT: 0
	.section	.text._ZN7rocprim17ROCPRIM_400000_NS6detail17trampoline_kernelINS0_14default_configENS1_27scan_by_key_config_selectorIxxEEZZNS1_16scan_by_key_implILNS1_25lookback_scan_determinismE0ELb1ES3_N6thrust23THRUST_200600_302600_NS6detail15normal_iteratorINS9_10device_ptrIxEEEESE_SE_xNS9_10multipliesIxEENS9_8equal_toIxEExEE10hipError_tPvRmT2_T3_T4_T5_mT6_T7_P12ihipStream_tbENKUlT_T0_E_clISt17integral_constantIbLb0EESZ_EEDaSU_SV_EUlSU_E_NS1_11comp_targetILNS1_3genE10ELNS1_11target_archE1200ELNS1_3gpuE4ELNS1_3repE0EEENS1_30default_config_static_selectorELNS0_4arch9wavefront6targetE0EEEvT1_,"axG",@progbits,_ZN7rocprim17ROCPRIM_400000_NS6detail17trampoline_kernelINS0_14default_configENS1_27scan_by_key_config_selectorIxxEEZZNS1_16scan_by_key_implILNS1_25lookback_scan_determinismE0ELb1ES3_N6thrust23THRUST_200600_302600_NS6detail15normal_iteratorINS9_10device_ptrIxEEEESE_SE_xNS9_10multipliesIxEENS9_8equal_toIxEExEE10hipError_tPvRmT2_T3_T4_T5_mT6_T7_P12ihipStream_tbENKUlT_T0_E_clISt17integral_constantIbLb0EESZ_EEDaSU_SV_EUlSU_E_NS1_11comp_targetILNS1_3genE10ELNS1_11target_archE1200ELNS1_3gpuE4ELNS1_3repE0EEENS1_30default_config_static_selectorELNS0_4arch9wavefront6targetE0EEEvT1_,comdat
	.protected	_ZN7rocprim17ROCPRIM_400000_NS6detail17trampoline_kernelINS0_14default_configENS1_27scan_by_key_config_selectorIxxEEZZNS1_16scan_by_key_implILNS1_25lookback_scan_determinismE0ELb1ES3_N6thrust23THRUST_200600_302600_NS6detail15normal_iteratorINS9_10device_ptrIxEEEESE_SE_xNS9_10multipliesIxEENS9_8equal_toIxEExEE10hipError_tPvRmT2_T3_T4_T5_mT6_T7_P12ihipStream_tbENKUlT_T0_E_clISt17integral_constantIbLb0EESZ_EEDaSU_SV_EUlSU_E_NS1_11comp_targetILNS1_3genE10ELNS1_11target_archE1200ELNS1_3gpuE4ELNS1_3repE0EEENS1_30default_config_static_selectorELNS0_4arch9wavefront6targetE0EEEvT1_ ; -- Begin function _ZN7rocprim17ROCPRIM_400000_NS6detail17trampoline_kernelINS0_14default_configENS1_27scan_by_key_config_selectorIxxEEZZNS1_16scan_by_key_implILNS1_25lookback_scan_determinismE0ELb1ES3_N6thrust23THRUST_200600_302600_NS6detail15normal_iteratorINS9_10device_ptrIxEEEESE_SE_xNS9_10multipliesIxEENS9_8equal_toIxEExEE10hipError_tPvRmT2_T3_T4_T5_mT6_T7_P12ihipStream_tbENKUlT_T0_E_clISt17integral_constantIbLb0EESZ_EEDaSU_SV_EUlSU_E_NS1_11comp_targetILNS1_3genE10ELNS1_11target_archE1200ELNS1_3gpuE4ELNS1_3repE0EEENS1_30default_config_static_selectorELNS0_4arch9wavefront6targetE0EEEvT1_
	.globl	_ZN7rocprim17ROCPRIM_400000_NS6detail17trampoline_kernelINS0_14default_configENS1_27scan_by_key_config_selectorIxxEEZZNS1_16scan_by_key_implILNS1_25lookback_scan_determinismE0ELb1ES3_N6thrust23THRUST_200600_302600_NS6detail15normal_iteratorINS9_10device_ptrIxEEEESE_SE_xNS9_10multipliesIxEENS9_8equal_toIxEExEE10hipError_tPvRmT2_T3_T4_T5_mT6_T7_P12ihipStream_tbENKUlT_T0_E_clISt17integral_constantIbLb0EESZ_EEDaSU_SV_EUlSU_E_NS1_11comp_targetILNS1_3genE10ELNS1_11target_archE1200ELNS1_3gpuE4ELNS1_3repE0EEENS1_30default_config_static_selectorELNS0_4arch9wavefront6targetE0EEEvT1_
	.p2align	8
	.type	_ZN7rocprim17ROCPRIM_400000_NS6detail17trampoline_kernelINS0_14default_configENS1_27scan_by_key_config_selectorIxxEEZZNS1_16scan_by_key_implILNS1_25lookback_scan_determinismE0ELb1ES3_N6thrust23THRUST_200600_302600_NS6detail15normal_iteratorINS9_10device_ptrIxEEEESE_SE_xNS9_10multipliesIxEENS9_8equal_toIxEExEE10hipError_tPvRmT2_T3_T4_T5_mT6_T7_P12ihipStream_tbENKUlT_T0_E_clISt17integral_constantIbLb0EESZ_EEDaSU_SV_EUlSU_E_NS1_11comp_targetILNS1_3genE10ELNS1_11target_archE1200ELNS1_3gpuE4ELNS1_3repE0EEENS1_30default_config_static_selectorELNS0_4arch9wavefront6targetE0EEEvT1_,@function
_ZN7rocprim17ROCPRIM_400000_NS6detail17trampoline_kernelINS0_14default_configENS1_27scan_by_key_config_selectorIxxEEZZNS1_16scan_by_key_implILNS1_25lookback_scan_determinismE0ELb1ES3_N6thrust23THRUST_200600_302600_NS6detail15normal_iteratorINS9_10device_ptrIxEEEESE_SE_xNS9_10multipliesIxEENS9_8equal_toIxEExEE10hipError_tPvRmT2_T3_T4_T5_mT6_T7_P12ihipStream_tbENKUlT_T0_E_clISt17integral_constantIbLb0EESZ_EEDaSU_SV_EUlSU_E_NS1_11comp_targetILNS1_3genE10ELNS1_11target_archE1200ELNS1_3gpuE4ELNS1_3repE0EEENS1_30default_config_static_selectorELNS0_4arch9wavefront6targetE0EEEvT1_: ; @_ZN7rocprim17ROCPRIM_400000_NS6detail17trampoline_kernelINS0_14default_configENS1_27scan_by_key_config_selectorIxxEEZZNS1_16scan_by_key_implILNS1_25lookback_scan_determinismE0ELb1ES3_N6thrust23THRUST_200600_302600_NS6detail15normal_iteratorINS9_10device_ptrIxEEEESE_SE_xNS9_10multipliesIxEENS9_8equal_toIxEExEE10hipError_tPvRmT2_T3_T4_T5_mT6_T7_P12ihipStream_tbENKUlT_T0_E_clISt17integral_constantIbLb0EESZ_EEDaSU_SV_EUlSU_E_NS1_11comp_targetILNS1_3genE10ELNS1_11target_archE1200ELNS1_3gpuE4ELNS1_3repE0EEENS1_30default_config_static_selectorELNS0_4arch9wavefront6targetE0EEEvT1_
; %bb.0:
	.section	.rodata,"a",@progbits
	.p2align	6, 0x0
	.amdhsa_kernel _ZN7rocprim17ROCPRIM_400000_NS6detail17trampoline_kernelINS0_14default_configENS1_27scan_by_key_config_selectorIxxEEZZNS1_16scan_by_key_implILNS1_25lookback_scan_determinismE0ELb1ES3_N6thrust23THRUST_200600_302600_NS6detail15normal_iteratorINS9_10device_ptrIxEEEESE_SE_xNS9_10multipliesIxEENS9_8equal_toIxEExEE10hipError_tPvRmT2_T3_T4_T5_mT6_T7_P12ihipStream_tbENKUlT_T0_E_clISt17integral_constantIbLb0EESZ_EEDaSU_SV_EUlSU_E_NS1_11comp_targetILNS1_3genE10ELNS1_11target_archE1200ELNS1_3gpuE4ELNS1_3repE0EEENS1_30default_config_static_selectorELNS0_4arch9wavefront6targetE0EEEvT1_
		.amdhsa_group_segment_fixed_size 0
		.amdhsa_private_segment_fixed_size 0
		.amdhsa_kernarg_size 136
		.amdhsa_user_sgpr_count 6
		.amdhsa_user_sgpr_private_segment_buffer 1
		.amdhsa_user_sgpr_dispatch_ptr 0
		.amdhsa_user_sgpr_queue_ptr 0
		.amdhsa_user_sgpr_kernarg_segment_ptr 1
		.amdhsa_user_sgpr_dispatch_id 0
		.amdhsa_user_sgpr_flat_scratch_init 0
		.amdhsa_user_sgpr_private_segment_size 0
		.amdhsa_wavefront_size32 1
		.amdhsa_uses_dynamic_stack 0
		.amdhsa_system_sgpr_private_segment_wavefront_offset 0
		.amdhsa_system_sgpr_workgroup_id_x 1
		.amdhsa_system_sgpr_workgroup_id_y 0
		.amdhsa_system_sgpr_workgroup_id_z 0
		.amdhsa_system_sgpr_workgroup_info 0
		.amdhsa_system_vgpr_workitem_id 0
		.amdhsa_next_free_vgpr 1
		.amdhsa_next_free_sgpr 1
		.amdhsa_reserve_vcc 0
		.amdhsa_reserve_flat_scratch 0
		.amdhsa_float_round_mode_32 0
		.amdhsa_float_round_mode_16_64 0
		.amdhsa_float_denorm_mode_32 3
		.amdhsa_float_denorm_mode_16_64 3
		.amdhsa_dx10_clamp 1
		.amdhsa_ieee_mode 1
		.amdhsa_fp16_overflow 0
		.amdhsa_workgroup_processor_mode 1
		.amdhsa_memory_ordered 1
		.amdhsa_forward_progress 1
		.amdhsa_shared_vgpr_count 0
		.amdhsa_exception_fp_ieee_invalid_op 0
		.amdhsa_exception_fp_denorm_src 0
		.amdhsa_exception_fp_ieee_div_zero 0
		.amdhsa_exception_fp_ieee_overflow 0
		.amdhsa_exception_fp_ieee_underflow 0
		.amdhsa_exception_fp_ieee_inexact 0
		.amdhsa_exception_int_div_zero 0
	.end_amdhsa_kernel
	.section	.text._ZN7rocprim17ROCPRIM_400000_NS6detail17trampoline_kernelINS0_14default_configENS1_27scan_by_key_config_selectorIxxEEZZNS1_16scan_by_key_implILNS1_25lookback_scan_determinismE0ELb1ES3_N6thrust23THRUST_200600_302600_NS6detail15normal_iteratorINS9_10device_ptrIxEEEESE_SE_xNS9_10multipliesIxEENS9_8equal_toIxEExEE10hipError_tPvRmT2_T3_T4_T5_mT6_T7_P12ihipStream_tbENKUlT_T0_E_clISt17integral_constantIbLb0EESZ_EEDaSU_SV_EUlSU_E_NS1_11comp_targetILNS1_3genE10ELNS1_11target_archE1200ELNS1_3gpuE4ELNS1_3repE0EEENS1_30default_config_static_selectorELNS0_4arch9wavefront6targetE0EEEvT1_,"axG",@progbits,_ZN7rocprim17ROCPRIM_400000_NS6detail17trampoline_kernelINS0_14default_configENS1_27scan_by_key_config_selectorIxxEEZZNS1_16scan_by_key_implILNS1_25lookback_scan_determinismE0ELb1ES3_N6thrust23THRUST_200600_302600_NS6detail15normal_iteratorINS9_10device_ptrIxEEEESE_SE_xNS9_10multipliesIxEENS9_8equal_toIxEExEE10hipError_tPvRmT2_T3_T4_T5_mT6_T7_P12ihipStream_tbENKUlT_T0_E_clISt17integral_constantIbLb0EESZ_EEDaSU_SV_EUlSU_E_NS1_11comp_targetILNS1_3genE10ELNS1_11target_archE1200ELNS1_3gpuE4ELNS1_3repE0EEENS1_30default_config_static_selectorELNS0_4arch9wavefront6targetE0EEEvT1_,comdat
.Lfunc_end395:
	.size	_ZN7rocprim17ROCPRIM_400000_NS6detail17trampoline_kernelINS0_14default_configENS1_27scan_by_key_config_selectorIxxEEZZNS1_16scan_by_key_implILNS1_25lookback_scan_determinismE0ELb1ES3_N6thrust23THRUST_200600_302600_NS6detail15normal_iteratorINS9_10device_ptrIxEEEESE_SE_xNS9_10multipliesIxEENS9_8equal_toIxEExEE10hipError_tPvRmT2_T3_T4_T5_mT6_T7_P12ihipStream_tbENKUlT_T0_E_clISt17integral_constantIbLb0EESZ_EEDaSU_SV_EUlSU_E_NS1_11comp_targetILNS1_3genE10ELNS1_11target_archE1200ELNS1_3gpuE4ELNS1_3repE0EEENS1_30default_config_static_selectorELNS0_4arch9wavefront6targetE0EEEvT1_, .Lfunc_end395-_ZN7rocprim17ROCPRIM_400000_NS6detail17trampoline_kernelINS0_14default_configENS1_27scan_by_key_config_selectorIxxEEZZNS1_16scan_by_key_implILNS1_25lookback_scan_determinismE0ELb1ES3_N6thrust23THRUST_200600_302600_NS6detail15normal_iteratorINS9_10device_ptrIxEEEESE_SE_xNS9_10multipliesIxEENS9_8equal_toIxEExEE10hipError_tPvRmT2_T3_T4_T5_mT6_T7_P12ihipStream_tbENKUlT_T0_E_clISt17integral_constantIbLb0EESZ_EEDaSU_SV_EUlSU_E_NS1_11comp_targetILNS1_3genE10ELNS1_11target_archE1200ELNS1_3gpuE4ELNS1_3repE0EEENS1_30default_config_static_selectorELNS0_4arch9wavefront6targetE0EEEvT1_
                                        ; -- End function
	.set _ZN7rocprim17ROCPRIM_400000_NS6detail17trampoline_kernelINS0_14default_configENS1_27scan_by_key_config_selectorIxxEEZZNS1_16scan_by_key_implILNS1_25lookback_scan_determinismE0ELb1ES3_N6thrust23THRUST_200600_302600_NS6detail15normal_iteratorINS9_10device_ptrIxEEEESE_SE_xNS9_10multipliesIxEENS9_8equal_toIxEExEE10hipError_tPvRmT2_T3_T4_T5_mT6_T7_P12ihipStream_tbENKUlT_T0_E_clISt17integral_constantIbLb0EESZ_EEDaSU_SV_EUlSU_E_NS1_11comp_targetILNS1_3genE10ELNS1_11target_archE1200ELNS1_3gpuE4ELNS1_3repE0EEENS1_30default_config_static_selectorELNS0_4arch9wavefront6targetE0EEEvT1_.num_vgpr, 0
	.set _ZN7rocprim17ROCPRIM_400000_NS6detail17trampoline_kernelINS0_14default_configENS1_27scan_by_key_config_selectorIxxEEZZNS1_16scan_by_key_implILNS1_25lookback_scan_determinismE0ELb1ES3_N6thrust23THRUST_200600_302600_NS6detail15normal_iteratorINS9_10device_ptrIxEEEESE_SE_xNS9_10multipliesIxEENS9_8equal_toIxEExEE10hipError_tPvRmT2_T3_T4_T5_mT6_T7_P12ihipStream_tbENKUlT_T0_E_clISt17integral_constantIbLb0EESZ_EEDaSU_SV_EUlSU_E_NS1_11comp_targetILNS1_3genE10ELNS1_11target_archE1200ELNS1_3gpuE4ELNS1_3repE0EEENS1_30default_config_static_selectorELNS0_4arch9wavefront6targetE0EEEvT1_.num_agpr, 0
	.set _ZN7rocprim17ROCPRIM_400000_NS6detail17trampoline_kernelINS0_14default_configENS1_27scan_by_key_config_selectorIxxEEZZNS1_16scan_by_key_implILNS1_25lookback_scan_determinismE0ELb1ES3_N6thrust23THRUST_200600_302600_NS6detail15normal_iteratorINS9_10device_ptrIxEEEESE_SE_xNS9_10multipliesIxEENS9_8equal_toIxEExEE10hipError_tPvRmT2_T3_T4_T5_mT6_T7_P12ihipStream_tbENKUlT_T0_E_clISt17integral_constantIbLb0EESZ_EEDaSU_SV_EUlSU_E_NS1_11comp_targetILNS1_3genE10ELNS1_11target_archE1200ELNS1_3gpuE4ELNS1_3repE0EEENS1_30default_config_static_selectorELNS0_4arch9wavefront6targetE0EEEvT1_.numbered_sgpr, 0
	.set _ZN7rocprim17ROCPRIM_400000_NS6detail17trampoline_kernelINS0_14default_configENS1_27scan_by_key_config_selectorIxxEEZZNS1_16scan_by_key_implILNS1_25lookback_scan_determinismE0ELb1ES3_N6thrust23THRUST_200600_302600_NS6detail15normal_iteratorINS9_10device_ptrIxEEEESE_SE_xNS9_10multipliesIxEENS9_8equal_toIxEExEE10hipError_tPvRmT2_T3_T4_T5_mT6_T7_P12ihipStream_tbENKUlT_T0_E_clISt17integral_constantIbLb0EESZ_EEDaSU_SV_EUlSU_E_NS1_11comp_targetILNS1_3genE10ELNS1_11target_archE1200ELNS1_3gpuE4ELNS1_3repE0EEENS1_30default_config_static_selectorELNS0_4arch9wavefront6targetE0EEEvT1_.num_named_barrier, 0
	.set _ZN7rocprim17ROCPRIM_400000_NS6detail17trampoline_kernelINS0_14default_configENS1_27scan_by_key_config_selectorIxxEEZZNS1_16scan_by_key_implILNS1_25lookback_scan_determinismE0ELb1ES3_N6thrust23THRUST_200600_302600_NS6detail15normal_iteratorINS9_10device_ptrIxEEEESE_SE_xNS9_10multipliesIxEENS9_8equal_toIxEExEE10hipError_tPvRmT2_T3_T4_T5_mT6_T7_P12ihipStream_tbENKUlT_T0_E_clISt17integral_constantIbLb0EESZ_EEDaSU_SV_EUlSU_E_NS1_11comp_targetILNS1_3genE10ELNS1_11target_archE1200ELNS1_3gpuE4ELNS1_3repE0EEENS1_30default_config_static_selectorELNS0_4arch9wavefront6targetE0EEEvT1_.private_seg_size, 0
	.set _ZN7rocprim17ROCPRIM_400000_NS6detail17trampoline_kernelINS0_14default_configENS1_27scan_by_key_config_selectorIxxEEZZNS1_16scan_by_key_implILNS1_25lookback_scan_determinismE0ELb1ES3_N6thrust23THRUST_200600_302600_NS6detail15normal_iteratorINS9_10device_ptrIxEEEESE_SE_xNS9_10multipliesIxEENS9_8equal_toIxEExEE10hipError_tPvRmT2_T3_T4_T5_mT6_T7_P12ihipStream_tbENKUlT_T0_E_clISt17integral_constantIbLb0EESZ_EEDaSU_SV_EUlSU_E_NS1_11comp_targetILNS1_3genE10ELNS1_11target_archE1200ELNS1_3gpuE4ELNS1_3repE0EEENS1_30default_config_static_selectorELNS0_4arch9wavefront6targetE0EEEvT1_.uses_vcc, 0
	.set _ZN7rocprim17ROCPRIM_400000_NS6detail17trampoline_kernelINS0_14default_configENS1_27scan_by_key_config_selectorIxxEEZZNS1_16scan_by_key_implILNS1_25lookback_scan_determinismE0ELb1ES3_N6thrust23THRUST_200600_302600_NS6detail15normal_iteratorINS9_10device_ptrIxEEEESE_SE_xNS9_10multipliesIxEENS9_8equal_toIxEExEE10hipError_tPvRmT2_T3_T4_T5_mT6_T7_P12ihipStream_tbENKUlT_T0_E_clISt17integral_constantIbLb0EESZ_EEDaSU_SV_EUlSU_E_NS1_11comp_targetILNS1_3genE10ELNS1_11target_archE1200ELNS1_3gpuE4ELNS1_3repE0EEENS1_30default_config_static_selectorELNS0_4arch9wavefront6targetE0EEEvT1_.uses_flat_scratch, 0
	.set _ZN7rocprim17ROCPRIM_400000_NS6detail17trampoline_kernelINS0_14default_configENS1_27scan_by_key_config_selectorIxxEEZZNS1_16scan_by_key_implILNS1_25lookback_scan_determinismE0ELb1ES3_N6thrust23THRUST_200600_302600_NS6detail15normal_iteratorINS9_10device_ptrIxEEEESE_SE_xNS9_10multipliesIxEENS9_8equal_toIxEExEE10hipError_tPvRmT2_T3_T4_T5_mT6_T7_P12ihipStream_tbENKUlT_T0_E_clISt17integral_constantIbLb0EESZ_EEDaSU_SV_EUlSU_E_NS1_11comp_targetILNS1_3genE10ELNS1_11target_archE1200ELNS1_3gpuE4ELNS1_3repE0EEENS1_30default_config_static_selectorELNS0_4arch9wavefront6targetE0EEEvT1_.has_dyn_sized_stack, 0
	.set _ZN7rocprim17ROCPRIM_400000_NS6detail17trampoline_kernelINS0_14default_configENS1_27scan_by_key_config_selectorIxxEEZZNS1_16scan_by_key_implILNS1_25lookback_scan_determinismE0ELb1ES3_N6thrust23THRUST_200600_302600_NS6detail15normal_iteratorINS9_10device_ptrIxEEEESE_SE_xNS9_10multipliesIxEENS9_8equal_toIxEExEE10hipError_tPvRmT2_T3_T4_T5_mT6_T7_P12ihipStream_tbENKUlT_T0_E_clISt17integral_constantIbLb0EESZ_EEDaSU_SV_EUlSU_E_NS1_11comp_targetILNS1_3genE10ELNS1_11target_archE1200ELNS1_3gpuE4ELNS1_3repE0EEENS1_30default_config_static_selectorELNS0_4arch9wavefront6targetE0EEEvT1_.has_recursion, 0
	.set _ZN7rocprim17ROCPRIM_400000_NS6detail17trampoline_kernelINS0_14default_configENS1_27scan_by_key_config_selectorIxxEEZZNS1_16scan_by_key_implILNS1_25lookback_scan_determinismE0ELb1ES3_N6thrust23THRUST_200600_302600_NS6detail15normal_iteratorINS9_10device_ptrIxEEEESE_SE_xNS9_10multipliesIxEENS9_8equal_toIxEExEE10hipError_tPvRmT2_T3_T4_T5_mT6_T7_P12ihipStream_tbENKUlT_T0_E_clISt17integral_constantIbLb0EESZ_EEDaSU_SV_EUlSU_E_NS1_11comp_targetILNS1_3genE10ELNS1_11target_archE1200ELNS1_3gpuE4ELNS1_3repE0EEENS1_30default_config_static_selectorELNS0_4arch9wavefront6targetE0EEEvT1_.has_indirect_call, 0
	.section	.AMDGPU.csdata,"",@progbits
; Kernel info:
; codeLenInByte = 0
; TotalNumSgprs: 0
; NumVgprs: 0
; ScratchSize: 0
; MemoryBound: 0
; FloatMode: 240
; IeeeMode: 1
; LDSByteSize: 0 bytes/workgroup (compile time only)
; SGPRBlocks: 0
; VGPRBlocks: 0
; NumSGPRsForWavesPerEU: 1
; NumVGPRsForWavesPerEU: 1
; Occupancy: 16
; WaveLimiterHint : 0
; COMPUTE_PGM_RSRC2:SCRATCH_EN: 0
; COMPUTE_PGM_RSRC2:USER_SGPR: 6
; COMPUTE_PGM_RSRC2:TRAP_HANDLER: 0
; COMPUTE_PGM_RSRC2:TGID_X_EN: 1
; COMPUTE_PGM_RSRC2:TGID_Y_EN: 0
; COMPUTE_PGM_RSRC2:TGID_Z_EN: 0
; COMPUTE_PGM_RSRC2:TIDIG_COMP_CNT: 0
	.section	.text._ZN7rocprim17ROCPRIM_400000_NS6detail17trampoline_kernelINS0_14default_configENS1_27scan_by_key_config_selectorIxxEEZZNS1_16scan_by_key_implILNS1_25lookback_scan_determinismE0ELb1ES3_N6thrust23THRUST_200600_302600_NS6detail15normal_iteratorINS9_10device_ptrIxEEEESE_SE_xNS9_10multipliesIxEENS9_8equal_toIxEExEE10hipError_tPvRmT2_T3_T4_T5_mT6_T7_P12ihipStream_tbENKUlT_T0_E_clISt17integral_constantIbLb0EESZ_EEDaSU_SV_EUlSU_E_NS1_11comp_targetILNS1_3genE9ELNS1_11target_archE1100ELNS1_3gpuE3ELNS1_3repE0EEENS1_30default_config_static_selectorELNS0_4arch9wavefront6targetE0EEEvT1_,"axG",@progbits,_ZN7rocprim17ROCPRIM_400000_NS6detail17trampoline_kernelINS0_14default_configENS1_27scan_by_key_config_selectorIxxEEZZNS1_16scan_by_key_implILNS1_25lookback_scan_determinismE0ELb1ES3_N6thrust23THRUST_200600_302600_NS6detail15normal_iteratorINS9_10device_ptrIxEEEESE_SE_xNS9_10multipliesIxEENS9_8equal_toIxEExEE10hipError_tPvRmT2_T3_T4_T5_mT6_T7_P12ihipStream_tbENKUlT_T0_E_clISt17integral_constantIbLb0EESZ_EEDaSU_SV_EUlSU_E_NS1_11comp_targetILNS1_3genE9ELNS1_11target_archE1100ELNS1_3gpuE3ELNS1_3repE0EEENS1_30default_config_static_selectorELNS0_4arch9wavefront6targetE0EEEvT1_,comdat
	.protected	_ZN7rocprim17ROCPRIM_400000_NS6detail17trampoline_kernelINS0_14default_configENS1_27scan_by_key_config_selectorIxxEEZZNS1_16scan_by_key_implILNS1_25lookback_scan_determinismE0ELb1ES3_N6thrust23THRUST_200600_302600_NS6detail15normal_iteratorINS9_10device_ptrIxEEEESE_SE_xNS9_10multipliesIxEENS9_8equal_toIxEExEE10hipError_tPvRmT2_T3_T4_T5_mT6_T7_P12ihipStream_tbENKUlT_T0_E_clISt17integral_constantIbLb0EESZ_EEDaSU_SV_EUlSU_E_NS1_11comp_targetILNS1_3genE9ELNS1_11target_archE1100ELNS1_3gpuE3ELNS1_3repE0EEENS1_30default_config_static_selectorELNS0_4arch9wavefront6targetE0EEEvT1_ ; -- Begin function _ZN7rocprim17ROCPRIM_400000_NS6detail17trampoline_kernelINS0_14default_configENS1_27scan_by_key_config_selectorIxxEEZZNS1_16scan_by_key_implILNS1_25lookback_scan_determinismE0ELb1ES3_N6thrust23THRUST_200600_302600_NS6detail15normal_iteratorINS9_10device_ptrIxEEEESE_SE_xNS9_10multipliesIxEENS9_8equal_toIxEExEE10hipError_tPvRmT2_T3_T4_T5_mT6_T7_P12ihipStream_tbENKUlT_T0_E_clISt17integral_constantIbLb0EESZ_EEDaSU_SV_EUlSU_E_NS1_11comp_targetILNS1_3genE9ELNS1_11target_archE1100ELNS1_3gpuE3ELNS1_3repE0EEENS1_30default_config_static_selectorELNS0_4arch9wavefront6targetE0EEEvT1_
	.globl	_ZN7rocprim17ROCPRIM_400000_NS6detail17trampoline_kernelINS0_14default_configENS1_27scan_by_key_config_selectorIxxEEZZNS1_16scan_by_key_implILNS1_25lookback_scan_determinismE0ELb1ES3_N6thrust23THRUST_200600_302600_NS6detail15normal_iteratorINS9_10device_ptrIxEEEESE_SE_xNS9_10multipliesIxEENS9_8equal_toIxEExEE10hipError_tPvRmT2_T3_T4_T5_mT6_T7_P12ihipStream_tbENKUlT_T0_E_clISt17integral_constantIbLb0EESZ_EEDaSU_SV_EUlSU_E_NS1_11comp_targetILNS1_3genE9ELNS1_11target_archE1100ELNS1_3gpuE3ELNS1_3repE0EEENS1_30default_config_static_selectorELNS0_4arch9wavefront6targetE0EEEvT1_
	.p2align	8
	.type	_ZN7rocprim17ROCPRIM_400000_NS6detail17trampoline_kernelINS0_14default_configENS1_27scan_by_key_config_selectorIxxEEZZNS1_16scan_by_key_implILNS1_25lookback_scan_determinismE0ELb1ES3_N6thrust23THRUST_200600_302600_NS6detail15normal_iteratorINS9_10device_ptrIxEEEESE_SE_xNS9_10multipliesIxEENS9_8equal_toIxEExEE10hipError_tPvRmT2_T3_T4_T5_mT6_T7_P12ihipStream_tbENKUlT_T0_E_clISt17integral_constantIbLb0EESZ_EEDaSU_SV_EUlSU_E_NS1_11comp_targetILNS1_3genE9ELNS1_11target_archE1100ELNS1_3gpuE3ELNS1_3repE0EEENS1_30default_config_static_selectorELNS0_4arch9wavefront6targetE0EEEvT1_,@function
_ZN7rocprim17ROCPRIM_400000_NS6detail17trampoline_kernelINS0_14default_configENS1_27scan_by_key_config_selectorIxxEEZZNS1_16scan_by_key_implILNS1_25lookback_scan_determinismE0ELb1ES3_N6thrust23THRUST_200600_302600_NS6detail15normal_iteratorINS9_10device_ptrIxEEEESE_SE_xNS9_10multipliesIxEENS9_8equal_toIxEExEE10hipError_tPvRmT2_T3_T4_T5_mT6_T7_P12ihipStream_tbENKUlT_T0_E_clISt17integral_constantIbLb0EESZ_EEDaSU_SV_EUlSU_E_NS1_11comp_targetILNS1_3genE9ELNS1_11target_archE1100ELNS1_3gpuE3ELNS1_3repE0EEENS1_30default_config_static_selectorELNS0_4arch9wavefront6targetE0EEEvT1_: ; @_ZN7rocprim17ROCPRIM_400000_NS6detail17trampoline_kernelINS0_14default_configENS1_27scan_by_key_config_selectorIxxEEZZNS1_16scan_by_key_implILNS1_25lookback_scan_determinismE0ELb1ES3_N6thrust23THRUST_200600_302600_NS6detail15normal_iteratorINS9_10device_ptrIxEEEESE_SE_xNS9_10multipliesIxEENS9_8equal_toIxEExEE10hipError_tPvRmT2_T3_T4_T5_mT6_T7_P12ihipStream_tbENKUlT_T0_E_clISt17integral_constantIbLb0EESZ_EEDaSU_SV_EUlSU_E_NS1_11comp_targetILNS1_3genE9ELNS1_11target_archE1100ELNS1_3gpuE3ELNS1_3repE0EEENS1_30default_config_static_selectorELNS0_4arch9wavefront6targetE0EEEvT1_
; %bb.0:
	.section	.rodata,"a",@progbits
	.p2align	6, 0x0
	.amdhsa_kernel _ZN7rocprim17ROCPRIM_400000_NS6detail17trampoline_kernelINS0_14default_configENS1_27scan_by_key_config_selectorIxxEEZZNS1_16scan_by_key_implILNS1_25lookback_scan_determinismE0ELb1ES3_N6thrust23THRUST_200600_302600_NS6detail15normal_iteratorINS9_10device_ptrIxEEEESE_SE_xNS9_10multipliesIxEENS9_8equal_toIxEExEE10hipError_tPvRmT2_T3_T4_T5_mT6_T7_P12ihipStream_tbENKUlT_T0_E_clISt17integral_constantIbLb0EESZ_EEDaSU_SV_EUlSU_E_NS1_11comp_targetILNS1_3genE9ELNS1_11target_archE1100ELNS1_3gpuE3ELNS1_3repE0EEENS1_30default_config_static_selectorELNS0_4arch9wavefront6targetE0EEEvT1_
		.amdhsa_group_segment_fixed_size 0
		.amdhsa_private_segment_fixed_size 0
		.amdhsa_kernarg_size 136
		.amdhsa_user_sgpr_count 6
		.amdhsa_user_sgpr_private_segment_buffer 1
		.amdhsa_user_sgpr_dispatch_ptr 0
		.amdhsa_user_sgpr_queue_ptr 0
		.amdhsa_user_sgpr_kernarg_segment_ptr 1
		.amdhsa_user_sgpr_dispatch_id 0
		.amdhsa_user_sgpr_flat_scratch_init 0
		.amdhsa_user_sgpr_private_segment_size 0
		.amdhsa_wavefront_size32 1
		.amdhsa_uses_dynamic_stack 0
		.amdhsa_system_sgpr_private_segment_wavefront_offset 0
		.amdhsa_system_sgpr_workgroup_id_x 1
		.amdhsa_system_sgpr_workgroup_id_y 0
		.amdhsa_system_sgpr_workgroup_id_z 0
		.amdhsa_system_sgpr_workgroup_info 0
		.amdhsa_system_vgpr_workitem_id 0
		.amdhsa_next_free_vgpr 1
		.amdhsa_next_free_sgpr 1
		.amdhsa_reserve_vcc 0
		.amdhsa_reserve_flat_scratch 0
		.amdhsa_float_round_mode_32 0
		.amdhsa_float_round_mode_16_64 0
		.amdhsa_float_denorm_mode_32 3
		.amdhsa_float_denorm_mode_16_64 3
		.amdhsa_dx10_clamp 1
		.amdhsa_ieee_mode 1
		.amdhsa_fp16_overflow 0
		.amdhsa_workgroup_processor_mode 1
		.amdhsa_memory_ordered 1
		.amdhsa_forward_progress 1
		.amdhsa_shared_vgpr_count 0
		.amdhsa_exception_fp_ieee_invalid_op 0
		.amdhsa_exception_fp_denorm_src 0
		.amdhsa_exception_fp_ieee_div_zero 0
		.amdhsa_exception_fp_ieee_overflow 0
		.amdhsa_exception_fp_ieee_underflow 0
		.amdhsa_exception_fp_ieee_inexact 0
		.amdhsa_exception_int_div_zero 0
	.end_amdhsa_kernel
	.section	.text._ZN7rocprim17ROCPRIM_400000_NS6detail17trampoline_kernelINS0_14default_configENS1_27scan_by_key_config_selectorIxxEEZZNS1_16scan_by_key_implILNS1_25lookback_scan_determinismE0ELb1ES3_N6thrust23THRUST_200600_302600_NS6detail15normal_iteratorINS9_10device_ptrIxEEEESE_SE_xNS9_10multipliesIxEENS9_8equal_toIxEExEE10hipError_tPvRmT2_T3_T4_T5_mT6_T7_P12ihipStream_tbENKUlT_T0_E_clISt17integral_constantIbLb0EESZ_EEDaSU_SV_EUlSU_E_NS1_11comp_targetILNS1_3genE9ELNS1_11target_archE1100ELNS1_3gpuE3ELNS1_3repE0EEENS1_30default_config_static_selectorELNS0_4arch9wavefront6targetE0EEEvT1_,"axG",@progbits,_ZN7rocprim17ROCPRIM_400000_NS6detail17trampoline_kernelINS0_14default_configENS1_27scan_by_key_config_selectorIxxEEZZNS1_16scan_by_key_implILNS1_25lookback_scan_determinismE0ELb1ES3_N6thrust23THRUST_200600_302600_NS6detail15normal_iteratorINS9_10device_ptrIxEEEESE_SE_xNS9_10multipliesIxEENS9_8equal_toIxEExEE10hipError_tPvRmT2_T3_T4_T5_mT6_T7_P12ihipStream_tbENKUlT_T0_E_clISt17integral_constantIbLb0EESZ_EEDaSU_SV_EUlSU_E_NS1_11comp_targetILNS1_3genE9ELNS1_11target_archE1100ELNS1_3gpuE3ELNS1_3repE0EEENS1_30default_config_static_selectorELNS0_4arch9wavefront6targetE0EEEvT1_,comdat
.Lfunc_end396:
	.size	_ZN7rocprim17ROCPRIM_400000_NS6detail17trampoline_kernelINS0_14default_configENS1_27scan_by_key_config_selectorIxxEEZZNS1_16scan_by_key_implILNS1_25lookback_scan_determinismE0ELb1ES3_N6thrust23THRUST_200600_302600_NS6detail15normal_iteratorINS9_10device_ptrIxEEEESE_SE_xNS9_10multipliesIxEENS9_8equal_toIxEExEE10hipError_tPvRmT2_T3_T4_T5_mT6_T7_P12ihipStream_tbENKUlT_T0_E_clISt17integral_constantIbLb0EESZ_EEDaSU_SV_EUlSU_E_NS1_11comp_targetILNS1_3genE9ELNS1_11target_archE1100ELNS1_3gpuE3ELNS1_3repE0EEENS1_30default_config_static_selectorELNS0_4arch9wavefront6targetE0EEEvT1_, .Lfunc_end396-_ZN7rocprim17ROCPRIM_400000_NS6detail17trampoline_kernelINS0_14default_configENS1_27scan_by_key_config_selectorIxxEEZZNS1_16scan_by_key_implILNS1_25lookback_scan_determinismE0ELb1ES3_N6thrust23THRUST_200600_302600_NS6detail15normal_iteratorINS9_10device_ptrIxEEEESE_SE_xNS9_10multipliesIxEENS9_8equal_toIxEExEE10hipError_tPvRmT2_T3_T4_T5_mT6_T7_P12ihipStream_tbENKUlT_T0_E_clISt17integral_constantIbLb0EESZ_EEDaSU_SV_EUlSU_E_NS1_11comp_targetILNS1_3genE9ELNS1_11target_archE1100ELNS1_3gpuE3ELNS1_3repE0EEENS1_30default_config_static_selectorELNS0_4arch9wavefront6targetE0EEEvT1_
                                        ; -- End function
	.set _ZN7rocprim17ROCPRIM_400000_NS6detail17trampoline_kernelINS0_14default_configENS1_27scan_by_key_config_selectorIxxEEZZNS1_16scan_by_key_implILNS1_25lookback_scan_determinismE0ELb1ES3_N6thrust23THRUST_200600_302600_NS6detail15normal_iteratorINS9_10device_ptrIxEEEESE_SE_xNS9_10multipliesIxEENS9_8equal_toIxEExEE10hipError_tPvRmT2_T3_T4_T5_mT6_T7_P12ihipStream_tbENKUlT_T0_E_clISt17integral_constantIbLb0EESZ_EEDaSU_SV_EUlSU_E_NS1_11comp_targetILNS1_3genE9ELNS1_11target_archE1100ELNS1_3gpuE3ELNS1_3repE0EEENS1_30default_config_static_selectorELNS0_4arch9wavefront6targetE0EEEvT1_.num_vgpr, 0
	.set _ZN7rocprim17ROCPRIM_400000_NS6detail17trampoline_kernelINS0_14default_configENS1_27scan_by_key_config_selectorIxxEEZZNS1_16scan_by_key_implILNS1_25lookback_scan_determinismE0ELb1ES3_N6thrust23THRUST_200600_302600_NS6detail15normal_iteratorINS9_10device_ptrIxEEEESE_SE_xNS9_10multipliesIxEENS9_8equal_toIxEExEE10hipError_tPvRmT2_T3_T4_T5_mT6_T7_P12ihipStream_tbENKUlT_T0_E_clISt17integral_constantIbLb0EESZ_EEDaSU_SV_EUlSU_E_NS1_11comp_targetILNS1_3genE9ELNS1_11target_archE1100ELNS1_3gpuE3ELNS1_3repE0EEENS1_30default_config_static_selectorELNS0_4arch9wavefront6targetE0EEEvT1_.num_agpr, 0
	.set _ZN7rocprim17ROCPRIM_400000_NS6detail17trampoline_kernelINS0_14default_configENS1_27scan_by_key_config_selectorIxxEEZZNS1_16scan_by_key_implILNS1_25lookback_scan_determinismE0ELb1ES3_N6thrust23THRUST_200600_302600_NS6detail15normal_iteratorINS9_10device_ptrIxEEEESE_SE_xNS9_10multipliesIxEENS9_8equal_toIxEExEE10hipError_tPvRmT2_T3_T4_T5_mT6_T7_P12ihipStream_tbENKUlT_T0_E_clISt17integral_constantIbLb0EESZ_EEDaSU_SV_EUlSU_E_NS1_11comp_targetILNS1_3genE9ELNS1_11target_archE1100ELNS1_3gpuE3ELNS1_3repE0EEENS1_30default_config_static_selectorELNS0_4arch9wavefront6targetE0EEEvT1_.numbered_sgpr, 0
	.set _ZN7rocprim17ROCPRIM_400000_NS6detail17trampoline_kernelINS0_14default_configENS1_27scan_by_key_config_selectorIxxEEZZNS1_16scan_by_key_implILNS1_25lookback_scan_determinismE0ELb1ES3_N6thrust23THRUST_200600_302600_NS6detail15normal_iteratorINS9_10device_ptrIxEEEESE_SE_xNS9_10multipliesIxEENS9_8equal_toIxEExEE10hipError_tPvRmT2_T3_T4_T5_mT6_T7_P12ihipStream_tbENKUlT_T0_E_clISt17integral_constantIbLb0EESZ_EEDaSU_SV_EUlSU_E_NS1_11comp_targetILNS1_3genE9ELNS1_11target_archE1100ELNS1_3gpuE3ELNS1_3repE0EEENS1_30default_config_static_selectorELNS0_4arch9wavefront6targetE0EEEvT1_.num_named_barrier, 0
	.set _ZN7rocprim17ROCPRIM_400000_NS6detail17trampoline_kernelINS0_14default_configENS1_27scan_by_key_config_selectorIxxEEZZNS1_16scan_by_key_implILNS1_25lookback_scan_determinismE0ELb1ES3_N6thrust23THRUST_200600_302600_NS6detail15normal_iteratorINS9_10device_ptrIxEEEESE_SE_xNS9_10multipliesIxEENS9_8equal_toIxEExEE10hipError_tPvRmT2_T3_T4_T5_mT6_T7_P12ihipStream_tbENKUlT_T0_E_clISt17integral_constantIbLb0EESZ_EEDaSU_SV_EUlSU_E_NS1_11comp_targetILNS1_3genE9ELNS1_11target_archE1100ELNS1_3gpuE3ELNS1_3repE0EEENS1_30default_config_static_selectorELNS0_4arch9wavefront6targetE0EEEvT1_.private_seg_size, 0
	.set _ZN7rocprim17ROCPRIM_400000_NS6detail17trampoline_kernelINS0_14default_configENS1_27scan_by_key_config_selectorIxxEEZZNS1_16scan_by_key_implILNS1_25lookback_scan_determinismE0ELb1ES3_N6thrust23THRUST_200600_302600_NS6detail15normal_iteratorINS9_10device_ptrIxEEEESE_SE_xNS9_10multipliesIxEENS9_8equal_toIxEExEE10hipError_tPvRmT2_T3_T4_T5_mT6_T7_P12ihipStream_tbENKUlT_T0_E_clISt17integral_constantIbLb0EESZ_EEDaSU_SV_EUlSU_E_NS1_11comp_targetILNS1_3genE9ELNS1_11target_archE1100ELNS1_3gpuE3ELNS1_3repE0EEENS1_30default_config_static_selectorELNS0_4arch9wavefront6targetE0EEEvT1_.uses_vcc, 0
	.set _ZN7rocprim17ROCPRIM_400000_NS6detail17trampoline_kernelINS0_14default_configENS1_27scan_by_key_config_selectorIxxEEZZNS1_16scan_by_key_implILNS1_25lookback_scan_determinismE0ELb1ES3_N6thrust23THRUST_200600_302600_NS6detail15normal_iteratorINS9_10device_ptrIxEEEESE_SE_xNS9_10multipliesIxEENS9_8equal_toIxEExEE10hipError_tPvRmT2_T3_T4_T5_mT6_T7_P12ihipStream_tbENKUlT_T0_E_clISt17integral_constantIbLb0EESZ_EEDaSU_SV_EUlSU_E_NS1_11comp_targetILNS1_3genE9ELNS1_11target_archE1100ELNS1_3gpuE3ELNS1_3repE0EEENS1_30default_config_static_selectorELNS0_4arch9wavefront6targetE0EEEvT1_.uses_flat_scratch, 0
	.set _ZN7rocprim17ROCPRIM_400000_NS6detail17trampoline_kernelINS0_14default_configENS1_27scan_by_key_config_selectorIxxEEZZNS1_16scan_by_key_implILNS1_25lookback_scan_determinismE0ELb1ES3_N6thrust23THRUST_200600_302600_NS6detail15normal_iteratorINS9_10device_ptrIxEEEESE_SE_xNS9_10multipliesIxEENS9_8equal_toIxEExEE10hipError_tPvRmT2_T3_T4_T5_mT6_T7_P12ihipStream_tbENKUlT_T0_E_clISt17integral_constantIbLb0EESZ_EEDaSU_SV_EUlSU_E_NS1_11comp_targetILNS1_3genE9ELNS1_11target_archE1100ELNS1_3gpuE3ELNS1_3repE0EEENS1_30default_config_static_selectorELNS0_4arch9wavefront6targetE0EEEvT1_.has_dyn_sized_stack, 0
	.set _ZN7rocprim17ROCPRIM_400000_NS6detail17trampoline_kernelINS0_14default_configENS1_27scan_by_key_config_selectorIxxEEZZNS1_16scan_by_key_implILNS1_25lookback_scan_determinismE0ELb1ES3_N6thrust23THRUST_200600_302600_NS6detail15normal_iteratorINS9_10device_ptrIxEEEESE_SE_xNS9_10multipliesIxEENS9_8equal_toIxEExEE10hipError_tPvRmT2_T3_T4_T5_mT6_T7_P12ihipStream_tbENKUlT_T0_E_clISt17integral_constantIbLb0EESZ_EEDaSU_SV_EUlSU_E_NS1_11comp_targetILNS1_3genE9ELNS1_11target_archE1100ELNS1_3gpuE3ELNS1_3repE0EEENS1_30default_config_static_selectorELNS0_4arch9wavefront6targetE0EEEvT1_.has_recursion, 0
	.set _ZN7rocprim17ROCPRIM_400000_NS6detail17trampoline_kernelINS0_14default_configENS1_27scan_by_key_config_selectorIxxEEZZNS1_16scan_by_key_implILNS1_25lookback_scan_determinismE0ELb1ES3_N6thrust23THRUST_200600_302600_NS6detail15normal_iteratorINS9_10device_ptrIxEEEESE_SE_xNS9_10multipliesIxEENS9_8equal_toIxEExEE10hipError_tPvRmT2_T3_T4_T5_mT6_T7_P12ihipStream_tbENKUlT_T0_E_clISt17integral_constantIbLb0EESZ_EEDaSU_SV_EUlSU_E_NS1_11comp_targetILNS1_3genE9ELNS1_11target_archE1100ELNS1_3gpuE3ELNS1_3repE0EEENS1_30default_config_static_selectorELNS0_4arch9wavefront6targetE0EEEvT1_.has_indirect_call, 0
	.section	.AMDGPU.csdata,"",@progbits
; Kernel info:
; codeLenInByte = 0
; TotalNumSgprs: 0
; NumVgprs: 0
; ScratchSize: 0
; MemoryBound: 0
; FloatMode: 240
; IeeeMode: 1
; LDSByteSize: 0 bytes/workgroup (compile time only)
; SGPRBlocks: 0
; VGPRBlocks: 0
; NumSGPRsForWavesPerEU: 1
; NumVGPRsForWavesPerEU: 1
; Occupancy: 16
; WaveLimiterHint : 0
; COMPUTE_PGM_RSRC2:SCRATCH_EN: 0
; COMPUTE_PGM_RSRC2:USER_SGPR: 6
; COMPUTE_PGM_RSRC2:TRAP_HANDLER: 0
; COMPUTE_PGM_RSRC2:TGID_X_EN: 1
; COMPUTE_PGM_RSRC2:TGID_Y_EN: 0
; COMPUTE_PGM_RSRC2:TGID_Z_EN: 0
; COMPUTE_PGM_RSRC2:TIDIG_COMP_CNT: 0
	.section	.text._ZN7rocprim17ROCPRIM_400000_NS6detail17trampoline_kernelINS0_14default_configENS1_27scan_by_key_config_selectorIxxEEZZNS1_16scan_by_key_implILNS1_25lookback_scan_determinismE0ELb1ES3_N6thrust23THRUST_200600_302600_NS6detail15normal_iteratorINS9_10device_ptrIxEEEESE_SE_xNS9_10multipliesIxEENS9_8equal_toIxEExEE10hipError_tPvRmT2_T3_T4_T5_mT6_T7_P12ihipStream_tbENKUlT_T0_E_clISt17integral_constantIbLb0EESZ_EEDaSU_SV_EUlSU_E_NS1_11comp_targetILNS1_3genE8ELNS1_11target_archE1030ELNS1_3gpuE2ELNS1_3repE0EEENS1_30default_config_static_selectorELNS0_4arch9wavefront6targetE0EEEvT1_,"axG",@progbits,_ZN7rocprim17ROCPRIM_400000_NS6detail17trampoline_kernelINS0_14default_configENS1_27scan_by_key_config_selectorIxxEEZZNS1_16scan_by_key_implILNS1_25lookback_scan_determinismE0ELb1ES3_N6thrust23THRUST_200600_302600_NS6detail15normal_iteratorINS9_10device_ptrIxEEEESE_SE_xNS9_10multipliesIxEENS9_8equal_toIxEExEE10hipError_tPvRmT2_T3_T4_T5_mT6_T7_P12ihipStream_tbENKUlT_T0_E_clISt17integral_constantIbLb0EESZ_EEDaSU_SV_EUlSU_E_NS1_11comp_targetILNS1_3genE8ELNS1_11target_archE1030ELNS1_3gpuE2ELNS1_3repE0EEENS1_30default_config_static_selectorELNS0_4arch9wavefront6targetE0EEEvT1_,comdat
	.protected	_ZN7rocprim17ROCPRIM_400000_NS6detail17trampoline_kernelINS0_14default_configENS1_27scan_by_key_config_selectorIxxEEZZNS1_16scan_by_key_implILNS1_25lookback_scan_determinismE0ELb1ES3_N6thrust23THRUST_200600_302600_NS6detail15normal_iteratorINS9_10device_ptrIxEEEESE_SE_xNS9_10multipliesIxEENS9_8equal_toIxEExEE10hipError_tPvRmT2_T3_T4_T5_mT6_T7_P12ihipStream_tbENKUlT_T0_E_clISt17integral_constantIbLb0EESZ_EEDaSU_SV_EUlSU_E_NS1_11comp_targetILNS1_3genE8ELNS1_11target_archE1030ELNS1_3gpuE2ELNS1_3repE0EEENS1_30default_config_static_selectorELNS0_4arch9wavefront6targetE0EEEvT1_ ; -- Begin function _ZN7rocprim17ROCPRIM_400000_NS6detail17trampoline_kernelINS0_14default_configENS1_27scan_by_key_config_selectorIxxEEZZNS1_16scan_by_key_implILNS1_25lookback_scan_determinismE0ELb1ES3_N6thrust23THRUST_200600_302600_NS6detail15normal_iteratorINS9_10device_ptrIxEEEESE_SE_xNS9_10multipliesIxEENS9_8equal_toIxEExEE10hipError_tPvRmT2_T3_T4_T5_mT6_T7_P12ihipStream_tbENKUlT_T0_E_clISt17integral_constantIbLb0EESZ_EEDaSU_SV_EUlSU_E_NS1_11comp_targetILNS1_3genE8ELNS1_11target_archE1030ELNS1_3gpuE2ELNS1_3repE0EEENS1_30default_config_static_selectorELNS0_4arch9wavefront6targetE0EEEvT1_
	.globl	_ZN7rocprim17ROCPRIM_400000_NS6detail17trampoline_kernelINS0_14default_configENS1_27scan_by_key_config_selectorIxxEEZZNS1_16scan_by_key_implILNS1_25lookback_scan_determinismE0ELb1ES3_N6thrust23THRUST_200600_302600_NS6detail15normal_iteratorINS9_10device_ptrIxEEEESE_SE_xNS9_10multipliesIxEENS9_8equal_toIxEExEE10hipError_tPvRmT2_T3_T4_T5_mT6_T7_P12ihipStream_tbENKUlT_T0_E_clISt17integral_constantIbLb0EESZ_EEDaSU_SV_EUlSU_E_NS1_11comp_targetILNS1_3genE8ELNS1_11target_archE1030ELNS1_3gpuE2ELNS1_3repE0EEENS1_30default_config_static_selectorELNS0_4arch9wavefront6targetE0EEEvT1_
	.p2align	8
	.type	_ZN7rocprim17ROCPRIM_400000_NS6detail17trampoline_kernelINS0_14default_configENS1_27scan_by_key_config_selectorIxxEEZZNS1_16scan_by_key_implILNS1_25lookback_scan_determinismE0ELb1ES3_N6thrust23THRUST_200600_302600_NS6detail15normal_iteratorINS9_10device_ptrIxEEEESE_SE_xNS9_10multipliesIxEENS9_8equal_toIxEExEE10hipError_tPvRmT2_T3_T4_T5_mT6_T7_P12ihipStream_tbENKUlT_T0_E_clISt17integral_constantIbLb0EESZ_EEDaSU_SV_EUlSU_E_NS1_11comp_targetILNS1_3genE8ELNS1_11target_archE1030ELNS1_3gpuE2ELNS1_3repE0EEENS1_30default_config_static_selectorELNS0_4arch9wavefront6targetE0EEEvT1_,@function
_ZN7rocprim17ROCPRIM_400000_NS6detail17trampoline_kernelINS0_14default_configENS1_27scan_by_key_config_selectorIxxEEZZNS1_16scan_by_key_implILNS1_25lookback_scan_determinismE0ELb1ES3_N6thrust23THRUST_200600_302600_NS6detail15normal_iteratorINS9_10device_ptrIxEEEESE_SE_xNS9_10multipliesIxEENS9_8equal_toIxEExEE10hipError_tPvRmT2_T3_T4_T5_mT6_T7_P12ihipStream_tbENKUlT_T0_E_clISt17integral_constantIbLb0EESZ_EEDaSU_SV_EUlSU_E_NS1_11comp_targetILNS1_3genE8ELNS1_11target_archE1030ELNS1_3gpuE2ELNS1_3repE0EEENS1_30default_config_static_selectorELNS0_4arch9wavefront6targetE0EEEvT1_: ; @_ZN7rocprim17ROCPRIM_400000_NS6detail17trampoline_kernelINS0_14default_configENS1_27scan_by_key_config_selectorIxxEEZZNS1_16scan_by_key_implILNS1_25lookback_scan_determinismE0ELb1ES3_N6thrust23THRUST_200600_302600_NS6detail15normal_iteratorINS9_10device_ptrIxEEEESE_SE_xNS9_10multipliesIxEENS9_8equal_toIxEExEE10hipError_tPvRmT2_T3_T4_T5_mT6_T7_P12ihipStream_tbENKUlT_T0_E_clISt17integral_constantIbLb0EESZ_EEDaSU_SV_EUlSU_E_NS1_11comp_targetILNS1_3genE8ELNS1_11target_archE1030ELNS1_3gpuE2ELNS1_3repE0EEENS1_30default_config_static_selectorELNS0_4arch9wavefront6targetE0EEEvT1_
; %bb.0:
	s_clause 0x5
	s_load_dwordx8 s[12:19], s[4:5], 0x0
	s_load_dwordx2 s[38:39], s[4:5], 0x50
	s_load_dword s2, s[4:5], 0x58
	s_load_dwordx4 s[28:31], s[4:5], 0x60
	s_load_dwordx2 s[40:41], s[4:5], 0x20
	s_load_dwordx8 s[20:27], s[4:5], 0x30
	s_mov_b32 s1, 0
	s_mul_i32 s0, s6, 0xd00
	s_waitcnt lgkmcnt(0)
	s_barrier
	buffer_gl0_inv
	s_lshl_b64 s[34:35], s[14:15], 3
	s_add_u32 s5, s12, s34
	s_addc_u32 s7, s13, s35
	s_mul_i32 s3, s39, s2
	s_mul_hi_u32 s4, s38, s2
	s_add_u32 s8, s16, s34
	s_addc_u32 s9, s17, s35
	s_lshl_b64 s[36:37], s[0:1], 3
	s_add_i32 s4, s4, s3
	s_add_u32 s14, s5, s36
	s_addc_u32 s15, s7, s37
	s_mul_i32 s0, s38, s2
	s_add_u32 s16, s8, s36
	s_addc_u32 s33, s9, s37
	s_add_u32 s2, s0, s6
	s_addc_u32 s3, s4, 0
	s_add_u32 s4, s28, -1
	s_addc_u32 s5, s29, -1
	s_mul_i32 s27, s4, 0xfffff300
	v_cmp_ge_u64_e64 s17, s[2:3], s[4:5]
	s_and_b32 vcc_lo, exec_lo, s17
	s_cbranch_vccz .LBB397_41
; %bb.1:
	v_mov_b32_e32 v1, s14
	v_mov_b32_e32 v2, s15
	s_add_i32 s43, s27, s26
	v_cmp_gt_u32_e32 vcc_lo, s43, v0
	flat_load_dwordx2 v[1:2], v[1:2]
	s_waitcnt vmcnt(0) lgkmcnt(0)
	v_mov_b32_e32 v4, v2
	v_mov_b32_e32 v3, v1
	s_and_saveexec_b32 s0, vcc_lo
	s_cbranch_execz .LBB397_3
; %bb.2:
	v_lshlrev_b32_e32 v3, 3, v0
	v_add_co_u32 v3, s1, s14, v3
	v_add_co_ci_u32_e64 v4, null, s15, 0, s1
	flat_load_dwordx2 v[3:4], v[3:4]
.LBB397_3:
	s_or_b32 exec_lo, exec_lo, s0
	v_or_b32_e32 v5, 0x100, v0
	v_cmp_gt_u32_e64 s0, s43, v5
	v_lshlrev_b32_e32 v29, 3, v5
	v_mov_b32_e32 v6, v2
	v_mov_b32_e32 v5, v1
	s_and_saveexec_b32 s1, s0
	s_cbranch_execz .LBB397_5
; %bb.4:
	v_add_co_u32 v5, s2, s14, v29
	v_add_co_ci_u32_e64 v6, null, s15, 0, s2
	flat_load_dwordx2 v[5:6], v[5:6]
.LBB397_5:
	s_or_b32 exec_lo, exec_lo, s1
	v_or_b32_e32 v7, 0x200, v0
	v_cmp_gt_u32_e64 s1, s43, v7
	v_lshlrev_b32_e32 v31, 3, v7
	v_mov_b32_e32 v8, v2
	v_mov_b32_e32 v7, v1
	s_and_saveexec_b32 s2, s1
	s_cbranch_execz .LBB397_7
; %bb.6:
	v_add_co_u32 v7, s3, s14, v31
	v_add_co_ci_u32_e64 v8, null, s15, 0, s3
	flat_load_dwordx2 v[7:8], v[7:8]
.LBB397_7:
	;; [unrolled: 13-line block ×11, first 2 shown]
	s_or_b32 exec_lo, exec_lo, s12
	v_or_b32_e32 v27, 0xc00, v0
	v_cmp_gt_u32_e64 s12, s43, v27
	v_lshlrev_b32_e32 v51, 3, v27
	s_and_saveexec_b32 s13, s12
	s_cbranch_execz .LBB397_27
; %bb.26:
	v_add_co_u32 v1, s28, s14, v51
	v_add_co_ci_u32_e64 v2, null, s15, 0, s28
	flat_load_dwordx2 v[1:2], v[1:2]
.LBB397_27:
	s_or_b32 exec_lo, exec_lo, s13
	v_lshlrev_b32_e32 v52, 3, v0
	s_mov_b32 s28, exec_lo
	s_waitcnt vmcnt(0) lgkmcnt(0)
	ds_write2st64_b64 v52, v[3:4], v[5:6] offset1:4
	ds_write2st64_b64 v52, v[7:8], v[9:10] offset0:8 offset1:12
	ds_write2st64_b64 v52, v[11:12], v[13:14] offset0:16 offset1:20
	;; [unrolled: 1-line block ×5, first 2 shown]
	v_mov_b32_e32 v3, s14
	v_mov_b32_e32 v4, s15
	ds_write_b64 v52, v[1:2] offset:24576
	s_waitcnt lgkmcnt(0)
	s_barrier
	buffer_gl0_inv
	flat_load_dwordx2 v[73:74], v[3:4]
	v_mad_u32_u24 v98, 0x60, v0, v52
	ds_read_b64 v[75:76], v98
	ds_read2_b64 v[21:24], v98 offset0:1 offset1:2
	ds_read2_b64 v[17:20], v98 offset0:3 offset1:4
	;; [unrolled: 1-line block ×6, first 2 shown]
	v_mad_i32_i24 v25, 0xffffffa0, v0, v98
	s_waitcnt lgkmcnt(6)
	ds_write_b64 v25, v[75:76] offset:28672
	s_waitcnt vmcnt(0) lgkmcnt(0)
	s_barrier
	buffer_gl0_inv
	v_cmpx_ne_u32_e32 0xff, v0
; %bb.28:
	v_mul_i32_i24_e32 v25, 0xffffffa0, v0
	v_add_nc_u32_e32 v25, v98, v25
	ds_read_b64 v[73:74], v25 offset:28680
; %bb.29:
	s_or_b32 exec_lo, exec_lo, s28
	s_waitcnt lgkmcnt(0)
	s_barrier
	buffer_gl0_inv
                                        ; implicit-def: $vgpr25_vgpr26
	s_and_saveexec_b32 s13, vcc_lo
	s_cbranch_execz .LBB397_42
; %bb.30:
	v_add_co_u32 v25, s28, s16, v52
	v_add_co_ci_u32_e64 v26, null, s33, 0, s28
	flat_load_dwordx2 v[25:26], v[25:26]
	s_or_b32 exec_lo, exec_lo, s13
                                        ; implicit-def: $vgpr27_vgpr28
	s_and_saveexec_b32 s13, s0
	s_cbranch_execnz .LBB397_43
.LBB397_31:
	s_or_b32 exec_lo, exec_lo, s13
                                        ; implicit-def: $vgpr29_vgpr30
	s_and_saveexec_b32 s0, s1
	s_cbranch_execz .LBB397_44
.LBB397_32:
	v_add_co_u32 v29, s1, s16, v31
	v_add_co_ci_u32_e64 v30, null, s33, 0, s1
	flat_load_dwordx2 v[29:30], v[29:30]
	s_or_b32 exec_lo, exec_lo, s0
                                        ; implicit-def: $vgpr31_vgpr32
	s_and_saveexec_b32 s0, s2
	s_cbranch_execnz .LBB397_45
.LBB397_33:
	s_or_b32 exec_lo, exec_lo, s0
                                        ; implicit-def: $vgpr33_vgpr34
	s_and_saveexec_b32 s0, s3
	s_cbranch_execz .LBB397_46
.LBB397_34:
	v_add_co_u32 v33, s1, s16, v35
	v_add_co_ci_u32_e64 v34, null, s33, 0, s1
	flat_load_dwordx2 v[33:34], v[33:34]
	s_or_b32 exec_lo, exec_lo, s0
                                        ; implicit-def: $vgpr35_vgpr36
	s_and_saveexec_b32 s0, s4
	s_cbranch_execnz .LBB397_47
.LBB397_35:
	s_or_b32 exec_lo, exec_lo, s0
                                        ; implicit-def: $vgpr37_vgpr38
	s_and_saveexec_b32 s0, s5
	s_cbranch_execz .LBB397_48
.LBB397_36:
	v_add_co_u32 v37, s1, s16, v39
	v_add_co_ci_u32_e64 v38, null, s33, 0, s1
	flat_load_dwordx2 v[37:38], v[37:38]
	s_or_b32 exec_lo, exec_lo, s0
                                        ; implicit-def: $vgpr39_vgpr40
	s_and_saveexec_b32 s0, s7
	s_cbranch_execnz .LBB397_49
.LBB397_37:
	s_or_b32 exec_lo, exec_lo, s0
                                        ; implicit-def: $vgpr41_vgpr42
	s_and_saveexec_b32 s0, s8
	s_cbranch_execz .LBB397_50
.LBB397_38:
	v_add_co_u32 v41, s1, s16, v43
	v_add_co_ci_u32_e64 v42, null, s33, 0, s1
	flat_load_dwordx2 v[41:42], v[41:42]
	s_or_b32 exec_lo, exec_lo, s0
                                        ; implicit-def: $vgpr43_vgpr44
	s_and_saveexec_b32 s0, s9
	s_cbranch_execnz .LBB397_51
.LBB397_39:
	s_or_b32 exec_lo, exec_lo, s0
                                        ; implicit-def: $vgpr45_vgpr46
	s_and_saveexec_b32 s0, s10
	s_cbranch_execz .LBB397_52
.LBB397_40:
	v_add_co_u32 v45, s1, s16, v47
	v_add_co_ci_u32_e64 v46, null, s33, 0, s1
	flat_load_dwordx2 v[45:46], v[45:46]
	s_or_b32 exec_lo, exec_lo, s0
                                        ; implicit-def: $vgpr47_vgpr48
	s_and_saveexec_b32 s0, s11
	s_cbranch_execz .LBB397_54
	s_branch .LBB397_53
.LBB397_41:
                                        ; implicit-def: $sgpr28
                                        ; implicit-def: $vgpr49_vgpr50
                                        ; implicit-def: $vgpr89
                                        ; implicit-def: $vgpr55_vgpr56
                                        ; implicit-def: $vgpr90
                                        ; implicit-def: $vgpr67_vgpr68
                                        ; implicit-def: $vgpr91
                                        ; implicit-def: $vgpr71_vgpr72
                                        ; implicit-def: $vgpr92
                                        ; implicit-def: $vgpr65_vgpr66
                                        ; implicit-def: $vgpr93
                                        ; implicit-def: $vgpr69_vgpr70
                                        ; implicit-def: $vgpr94
                                        ; implicit-def: $vgpr61_vgpr62
                                        ; implicit-def: $vgpr95
                                        ; implicit-def: $vgpr63_vgpr64
                                        ; implicit-def: $vgpr96
                                        ; implicit-def: $vgpr59_vgpr60
                                        ; implicit-def: $vgpr97
                                        ; implicit-def: $vgpr57_vgpr58
                                        ; implicit-def: $vgpr99
                                        ; implicit-def: $vgpr53_vgpr54
                                        ; implicit-def: $vgpr100
                                        ; implicit-def: $vgpr51_vgpr52
                                        ; implicit-def: $vgpr102
                                        ; implicit-def: $vgpr39_vgpr40
                                        ; implicit-def: $vgpr78
                                        ; implicit-def: $vgpr25_vgpr26
                                        ; implicit-def: $vgpr77
                                        ; implicit-def: $vgpr29_vgpr30
                                        ; implicit-def: $vgpr79
                                        ; implicit-def: $vgpr31_vgpr32
                                        ; implicit-def: $vgpr80
                                        ; implicit-def: $vgpr33_vgpr34
                                        ; implicit-def: $vgpr81
                                        ; implicit-def: $vgpr35_vgpr36
                                        ; implicit-def: $vgpr82
                                        ; implicit-def: $vgpr37_vgpr38
                                        ; implicit-def: $vgpr84
                                        ; implicit-def: $vgpr41_vgpr42
                                        ; implicit-def: $vgpr85
                                        ; implicit-def: $vgpr43_vgpr44
                                        ; implicit-def: $vgpr86
                                        ; implicit-def: $vgpr45_vgpr46
                                        ; implicit-def: $vgpr87
                                        ; implicit-def: $vgpr47_vgpr48
                                        ; implicit-def: $vgpr88
                                        ; implicit-def: $vgpr27_vgpr28
                                        ; implicit-def: $vgpr83
	v_lshlrev_b32_e32 v75, 3, v0
	s_cbranch_execz .LBB397_88
	s_branch .LBB397_83
.LBB397_42:
	s_or_b32 exec_lo, exec_lo, s13
                                        ; implicit-def: $vgpr27_vgpr28
	s_and_saveexec_b32 s13, s0
	s_cbranch_execz .LBB397_31
.LBB397_43:
	v_add_co_u32 v27, s0, s16, v29
	v_add_co_ci_u32_e64 v28, null, s33, 0, s0
	flat_load_dwordx2 v[27:28], v[27:28]
	s_or_b32 exec_lo, exec_lo, s13
                                        ; implicit-def: $vgpr29_vgpr30
	s_and_saveexec_b32 s0, s1
	s_cbranch_execnz .LBB397_32
.LBB397_44:
	s_or_b32 exec_lo, exec_lo, s0
                                        ; implicit-def: $vgpr31_vgpr32
	s_and_saveexec_b32 s0, s2
	s_cbranch_execz .LBB397_33
.LBB397_45:
	v_add_co_u32 v31, s1, s16, v33
	v_add_co_ci_u32_e64 v32, null, s33, 0, s1
	flat_load_dwordx2 v[31:32], v[31:32]
	s_or_b32 exec_lo, exec_lo, s0
                                        ; implicit-def: $vgpr33_vgpr34
	s_and_saveexec_b32 s0, s3
	s_cbranch_execnz .LBB397_34
.LBB397_46:
	s_or_b32 exec_lo, exec_lo, s0
                                        ; implicit-def: $vgpr35_vgpr36
	s_and_saveexec_b32 s0, s4
	s_cbranch_execz .LBB397_35
.LBB397_47:
	v_add_co_u32 v35, s1, s16, v37
	v_add_co_ci_u32_e64 v36, null, s33, 0, s1
	flat_load_dwordx2 v[35:36], v[35:36]
	s_or_b32 exec_lo, exec_lo, s0
                                        ; implicit-def: $vgpr37_vgpr38
	s_and_saveexec_b32 s0, s5
	s_cbranch_execnz .LBB397_36
.LBB397_48:
	s_or_b32 exec_lo, exec_lo, s0
                                        ; implicit-def: $vgpr39_vgpr40
	s_and_saveexec_b32 s0, s7
	s_cbranch_execz .LBB397_37
.LBB397_49:
	v_add_co_u32 v39, s1, s16, v41
	v_add_co_ci_u32_e64 v40, null, s33, 0, s1
	flat_load_dwordx2 v[39:40], v[39:40]
	s_or_b32 exec_lo, exec_lo, s0
                                        ; implicit-def: $vgpr41_vgpr42
	s_and_saveexec_b32 s0, s8
	s_cbranch_execnz .LBB397_38
.LBB397_50:
	s_or_b32 exec_lo, exec_lo, s0
                                        ; implicit-def: $vgpr43_vgpr44
	s_and_saveexec_b32 s0, s9
	s_cbranch_execz .LBB397_39
.LBB397_51:
	v_add_co_u32 v43, s1, s16, v45
	v_add_co_ci_u32_e64 v44, null, s33, 0, s1
	flat_load_dwordx2 v[43:44], v[43:44]
	s_or_b32 exec_lo, exec_lo, s0
                                        ; implicit-def: $vgpr45_vgpr46
	s_and_saveexec_b32 s0, s10
	s_cbranch_execnz .LBB397_40
.LBB397_52:
	s_or_b32 exec_lo, exec_lo, s0
                                        ; implicit-def: $vgpr47_vgpr48
	s_and_saveexec_b32 s0, s11
	s_cbranch_execz .LBB397_54
.LBB397_53:
	v_add_co_u32 v47, s1, s16, v49
	v_add_co_ci_u32_e64 v48, null, s33, 0, s1
	flat_load_dwordx2 v[47:48], v[47:48]
.LBB397_54:
	s_or_b32 exec_lo, exec_lo, s0
	v_mul_u32_u24_e32 v101, 13, v0
                                        ; implicit-def: $vgpr49_vgpr50
	s_and_saveexec_b32 s0, s12
	s_cbranch_execz .LBB397_56
; %bb.55:
	v_add_co_u32 v49, s1, s16, v51
	v_add_co_ci_u32_e64 v50, null, s33, 0, s1
	flat_load_dwordx2 v[49:50], v[49:50]
.LBB397_56:
	s_or_b32 exec_lo, exec_lo, s0
	s_waitcnt vmcnt(0) lgkmcnt(0)
	ds_write2st64_b64 v52, v[25:26], v[27:28] offset1:4
	ds_write2st64_b64 v52, v[29:30], v[31:32] offset0:8 offset1:12
	ds_write2st64_b64 v52, v[33:34], v[35:36] offset0:16 offset1:20
	ds_write2st64_b64 v52, v[37:38], v[39:40] offset0:24 offset1:28
	ds_write2st64_b64 v52, v[41:42], v[43:44] offset0:32 offset1:36
	ds_write2st64_b64 v52, v[45:46], v[47:48] offset0:40 offset1:44
	ds_write_b64 v52, v[49:50] offset:24576
	v_mov_b32_e32 v49, 0
	v_mov_b32_e32 v55, 0
	;; [unrolled: 1-line block ×24, first 2 shown]
	v_cmp_gt_u32_e32 vcc_lo, s43, v101
	v_mov_b32_e32 v89, 0
	v_mov_b32_e32 v50, 0
	;; [unrolled: 1-line block ×48, first 2 shown]
	s_mov_b32 s13, 0
	s_mov_b32 s1, 0
	s_waitcnt lgkmcnt(0)
	s_barrier
	buffer_gl0_inv
                                        ; implicit-def: $sgpr28
	s_and_saveexec_b32 s29, vcc_lo
	s_cbranch_execz .LBB397_82
; %bb.57:
	ds_read_b64 v[25:26], v98
	v_cmp_ne_u64_e32 vcc_lo, v[75:76], v[21:22]
	v_add_nc_u32_e32 v27, 1, v101
	v_mov_b32_e32 v55, 0
	v_mov_b32_e32 v67, 0
	;; [unrolled: 1-line block ×7, first 2 shown]
	v_cmp_gt_u32_e64 s0, s43, v27
	v_mov_b32_e32 v59, 0
	v_mov_b32_e32 v57, 0
	;; [unrolled: 1-line block ×9, first 2 shown]
	s_waitcnt lgkmcnt(0)
	v_cndmask_b32_e64 v50, v26, s41, vcc_lo
	v_cndmask_b32_e64 v49, v25, s40, vcc_lo
	v_mov_b32_e32 v25, 0
	v_mov_b32_e32 v37, 0
	;; [unrolled: 1-line block ×52, first 2 shown]
                                        ; implicit-def: $sgpr28
	s_and_saveexec_b32 s42, s0
	s_cbranch_execz .LBB397_81
; %bb.58:
	ds_read2_b64 v[25:28], v98 offset0:1 offset1:2
	v_cmp_ne_u64_e64 s0, v[21:22], v[23:24]
	v_add_nc_u32_e32 v21, 2, v101
	v_mov_b32_e32 v55, 0
	v_mov_b32_e32 v67, 0
	;; [unrolled: 1-line block ×17, first 2 shown]
	s_waitcnt lgkmcnt(0)
	v_cndmask_b32_e64 v52, v26, s41, s0
	v_cndmask_b32_e64 v51, v25, s40, s0
	v_mov_b32_e32 v25, 0
	v_mov_b32_e32 v43, 0
	;; [unrolled: 1-line block ×19, first 2 shown]
	v_cmp_gt_u32_e64 s1, s43, v21
	v_mov_b32_e32 v60, 0
	v_mov_b32_e32 v97, 0
	;; [unrolled: 1-line block ×26, first 2 shown]
	s_mov_b32 s2, 0
                                        ; implicit-def: $sgpr28
	s_and_saveexec_b32 s44, s1
	s_cbranch_execz .LBB397_80
; %bb.59:
	v_cmp_ne_u64_e64 s1, v[23:24], v[17:18]
	v_add_nc_u32_e32 v21, 3, v101
	v_mov_b32_e32 v55, 0
	v_mov_b32_e32 v67, 0
	;; [unrolled: 1-line block ×19, first 2 shown]
	v_cndmask_b32_e64 v54, v28, s41, s1
	v_mov_b32_e32 v56, 0
	v_mov_b32_e32 v89, 0
	v_cmp_gt_u32_e64 s2, s43, v21
	v_cndmask_b32_e64 v53, v27, s40, s1
	v_mov_b32_e32 v90, 0
	v_mov_b32_e32 v68, 0
	;; [unrolled: 1-line block ×35, first 2 shown]
	s_mov_b32 s3, 0
                                        ; implicit-def: $sgpr28
	s_and_saveexec_b32 s45, s2
	s_cbranch_execz .LBB397_79
; %bb.60:
	ds_read2_b64 v[21:24], v98 offset0:3 offset1:4
	v_cmp_ne_u64_e64 s2, v[17:18], v[19:20]
	v_add_nc_u32_e32 v17, 4, v101
	v_mov_b32_e32 v55, 0
	v_mov_b32_e32 v67, 0
	;; [unrolled: 1-line block ×32, first 2 shown]
	v_cmp_gt_u32_e64 s3, s43, v17
	s_waitcnt lgkmcnt(0)
	v_cndmask_b32_e64 v58, v22, s41, s2
	v_cndmask_b32_e64 v57, v21, s40, s2
	v_mov_b32_e32 v60, 0
	v_mov_b32_e32 v40, 0
	;; [unrolled: 1-line block ×18, first 2 shown]
	s_mov_b32 s4, 0
                                        ; implicit-def: $sgpr28
	s_and_saveexec_b32 s46, s3
	s_cbranch_execz .LBB397_78
; %bb.61:
	v_cmp_ne_u64_e64 s3, v[19:20], v[13:14]
	v_add_nc_u32_e32 v17, 5, v101
	v_mov_b32_e32 v55, 0
	v_mov_b32_e32 v67, 0
	;; [unrolled: 1-line block ×15, first 2 shown]
	v_cndmask_b32_e64 v60, v24, s41, s3
	v_mov_b32_e32 v56, 0
	v_mov_b32_e32 v89, 0
	v_cmp_gt_u32_e64 s4, s43, v17
	v_cndmask_b32_e64 v59, v23, s40, s3
	v_mov_b32_e32 v90, 0
	v_mov_b32_e32 v68, 0
	;; [unrolled: 1-line block ×27, first 2 shown]
	s_mov_b32 s5, 0
                                        ; implicit-def: $sgpr28
	s_and_saveexec_b32 s47, s4
	s_cbranch_execz .LBB397_77
; %bb.62:
	ds_read2_b64 v[17:20], v98 offset0:5 offset1:6
	v_cmp_ne_u64_e64 s4, v[13:14], v[15:16]
	v_mov_b32_e32 v55, 0
	v_mov_b32_e32 v67, 0
	;; [unrolled: 1-line block ×13, first 2 shown]
	v_add_nc_u32_e32 v13, 6, v101
	v_mov_b32_e32 v56, 0
	v_mov_b32_e32 v89, 0
	;; [unrolled: 1-line block ×15, first 2 shown]
	s_waitcnt lgkmcnt(0)
	v_cndmask_b32_e64 v64, v18, s41, s4
	v_cndmask_b32_e64 v63, v17, s40, s4
	v_mov_b32_e32 v77, 0
	v_mov_b32_e32 v30, 0
	;; [unrolled: 1-line block ×10, first 2 shown]
	s_mov_b32 s7, 0
	s_mov_b32 s48, exec_lo
                                        ; implicit-def: $sgpr28
	v_cmpx_gt_u32_e64 s43, v13
	s_cbranch_execz .LBB397_76
; %bb.63:
	v_cmp_ne_u64_e64 s5, v[15:16], v[9:10]
	v_add_nc_u32_e32 v13, 7, v101
	v_mov_b32_e32 v55, 0
	v_mov_b32_e32 v67, 0
	;; [unrolled: 1-line block ×11, first 2 shown]
	v_cndmask_b32_e64 v62, v20, s41, s5
	v_mov_b32_e32 v56, 0
	v_mov_b32_e32 v89, 0
	v_cmp_gt_u32_e64 s7, s43, v13
	v_cndmask_b32_e64 v61, v19, s40, s5
	v_mov_b32_e32 v90, 0
	v_mov_b32_e32 v68, 0
	;; [unrolled: 1-line block ×19, first 2 shown]
	s_mov_b32 s8, 0
                                        ; implicit-def: $sgpr28
	s_and_saveexec_b32 s49, s7
	s_cbranch_execz .LBB397_75
; %bb.64:
	ds_read2_b64 v[13:16], v98 offset0:7 offset1:8
	v_cmp_ne_u64_e64 s7, v[9:10], v[11:12]
	v_mov_b32_e32 v55, 0
	v_mov_b32_e32 v67, 0
	;; [unrolled: 1-line block ×9, first 2 shown]
	v_add_nc_u32_e32 v9, 8, v101
	v_mov_b32_e32 v56, 0
	v_mov_b32_e32 v89, 0
	;; [unrolled: 1-line block ×15, first 2 shown]
	s_waitcnt lgkmcnt(0)
	v_cndmask_b32_e64 v70, v14, s41, s7
	v_cndmask_b32_e64 v69, v13, s40, s7
	v_mov_b32_e32 v34, 0
	v_mov_b32_e32 v80, 0
	s_mov_b32 s9, 0
	s_mov_b32 s50, exec_lo
                                        ; implicit-def: $sgpr28
	v_cmpx_gt_u32_e64 s43, v9
	s_cbranch_execz .LBB397_74
; %bb.65:
	v_cmp_ne_u64_e64 s8, v[11:12], v[5:6]
	v_mov_b32_e32 v55, 0
	v_mov_b32_e32 v67, 0
	;; [unrolled: 1-line block ×7, first 2 shown]
	v_add_nc_u32_e32 v9, 9, v101
	v_cndmask_b32_e64 v66, v16, s41, s8
	v_mov_b32_e32 v56, 0
	v_mov_b32_e32 v89, 0
	v_cndmask_b32_e64 v65, v15, s40, s8
	v_mov_b32_e32 v90, 0
	v_mov_b32_e32 v68, 0
	v_mov_b32_e32 v91, 0
	v_mov_b32_e32 v72, 0
	v_mov_b32_e32 v40, 0
	v_mov_b32_e32 v78, 0
	v_mov_b32_e32 v26, 0
	v_mov_b32_e32 v77, 0
	v_mov_b32_e32 v30, 0
	v_mov_b32_e32 v32, 0
	v_mov_b32_e32 v79, 0
	s_mov_b32 s10, 0
	s_mov_b32 s51, exec_lo
                                        ; implicit-def: $sgpr28
	v_cmpx_gt_u32_e64 s43, v9
	s_cbranch_execz .LBB397_73
; %bb.66:
	ds_read2_b64 v[9:12], v98 offset0:9 offset1:10
	v_cmp_ne_u64_e64 s9, v[5:6], v[7:8]
	v_mov_b32_e32 v55, 0
	v_mov_b32_e32 v67, 0
	;; [unrolled: 1-line block ×4, first 2 shown]
	v_add_nc_u32_e32 v5, 10, v101
	v_mov_b32_e32 v56, 0
	v_mov_b32_e32 v89, 0
	;; [unrolled: 1-line block ×7, first 2 shown]
	s_mov_b32 s11, 0
	s_mov_b32 s52, exec_lo
                                        ; implicit-def: $sgpr28
	s_waitcnt lgkmcnt(0)
	v_cndmask_b32_e64 v72, v10, s41, s9
	v_cndmask_b32_e64 v71, v9, s40, s9
	v_cmpx_gt_u32_e64 s43, v5
	s_cbranch_execz .LBB397_72
; %bb.67:
	v_cmp_ne_u64_e64 s10, v[7:8], v[1:2]
	v_mov_b32_e32 v55, 0
	v_mov_b32_e32 v39, 0
	v_add_nc_u32_e32 v5, 11, v101
	v_mov_b32_e32 v56, 0
	v_mov_b32_e32 v40, 0
	v_cndmask_b32_e64 v68, v12, s41, s10
	v_cndmask_b32_e64 v67, v11, s40, s10
	v_mov_b32_e32 v89, 0
	s_mov_b32 s12, 0
	s_mov_b32 s53, exec_lo
                                        ; implicit-def: $sgpr28
	v_cmpx_gt_u32_e64 s43, v5
	s_cbranch_execz .LBB397_71
; %bb.68:
	ds_read2_b64 v[5:8], v98 offset0:11 offset1:12
	v_cmp_ne_u64_e64 s11, v[1:2], v[3:4]
	v_add_nc_u32_e32 v1, 12, v101
	v_mov_b32_e32 v39, 0
	v_mov_b32_e32 v40, 0
                                        ; implicit-def: $sgpr28
	v_cmp_gt_u32_e64 s12, s43, v1
	s_mov_b32 s43, 0
	s_waitcnt lgkmcnt(0)
	v_cndmask_b32_e64 v56, v6, s41, s11
	v_cndmask_b32_e64 v55, v5, s40, s11
	s_and_saveexec_b32 s54, s12
	s_xor_b32 s12, exec_lo, s54
; %bb.69:
	v_cmp_ne_u64_e64 s28, v[3:4], v[73:74]
	s_mov_b32 s43, exec_lo
	v_cndmask_b32_e64 v40, v8, s41, s28
	v_cndmask_b32_e64 v39, v7, s40, s28
; %bb.70:
	s_or_b32 exec_lo, exec_lo, s12
	v_cndmask_b32_e64 v89, 0, 1, s11
	s_and_b32 s12, s43, exec_lo
.LBB397_71:
	s_or_b32 exec_lo, exec_lo, s53
	v_cndmask_b32_e64 v90, 0, 1, s10
	v_mov_b32_e32 v29, v67
	v_mov_b32_e32 v30, v68
	s_and_b32 s11, s12, exec_lo
	v_mov_b32_e32 v77, v90
.LBB397_72:
	s_or_b32 exec_lo, exec_lo, s52
	v_cndmask_b32_e64 v91, 0, 1, s9
	v_mov_b32_e32 v25, v55
	v_mov_b32_e32 v31, v71
	;; [unrolled: 1-line block ×6, first 2 shown]
	s_and_b32 s10, s11, exec_lo
.LBB397_73:
	s_or_b32 exec_lo, exec_lo, s51
	v_cndmask_b32_e64 v92, 0, 1, s8
	v_mov_b32_e32 v33, v65
	v_mov_b32_e32 v34, v66
	s_and_b32 s9, s10, exec_lo
	v_mov_b32_e32 v80, v92
.LBB397_74:
	s_or_b32 exec_lo, exec_lo, s50
	v_cndmask_b32_e64 v93, 0, 1, s7
	v_mov_b32_e32 v35, v69
	v_mov_b32_e32 v36, v70
	s_and_b32 s8, s9, exec_lo
	v_mov_b32_e32 v81, v93
.LBB397_75:
	s_or_b32 exec_lo, exec_lo, s49
	v_cndmask_b32_e64 v94, 0, 1, s5
	v_mov_b32_e32 v37, v61
	v_mov_b32_e32 v38, v62
	s_and_b32 s7, s8, exec_lo
	v_mov_b32_e32 v82, v94
.LBB397_76:
	s_or_b32 exec_lo, exec_lo, s48
	v_cndmask_b32_e64 v95, 0, 1, s4
	v_mov_b32_e32 v41, v63
	v_mov_b32_e32 v42, v64
	s_and_b32 s5, s7, exec_lo
	v_mov_b32_e32 v84, v95
.LBB397_77:
	s_or_b32 exec_lo, exec_lo, s47
	v_cndmask_b32_e64 v96, 0, 1, s3
	v_mov_b32_e32 v43, v59
	v_mov_b32_e32 v44, v60
	s_and_b32 s4, s5, exec_lo
	v_mov_b32_e32 v85, v96
.LBB397_78:
	s_or_b32 exec_lo, exec_lo, s46
	v_cndmask_b32_e64 v97, 0, 1, s2
	v_mov_b32_e32 v45, v57
	v_mov_b32_e32 v46, v58
	s_and_b32 s3, s4, exec_lo
	v_mov_b32_e32 v86, v97
.LBB397_79:
	s_or_b32 exec_lo, exec_lo, s45
	v_cndmask_b32_e64 v99, 0, 1, s1
	v_mov_b32_e32 v47, v53
	v_mov_b32_e32 v48, v54
	s_and_b32 s2, s3, exec_lo
	v_mov_b32_e32 v87, v99
.LBB397_80:
	s_or_b32 exec_lo, exec_lo, s44
	v_cndmask_b32_e64 v100, 0, 1, s0
	v_mov_b32_e32 v27, v51
	v_mov_b32_e32 v28, v52
	s_and_b32 s1, s2, exec_lo
	v_mov_b32_e32 v88, v100
.LBB397_81:
	s_or_b32 exec_lo, exec_lo, s42
	v_cndmask_b32_e64 v102, 0, 1, vcc_lo
	s_and_b32 s1, s1, exec_lo
	v_mov_b32_e32 v83, v102
.LBB397_82:
	s_or_b32 exec_lo, exec_lo, s29
	v_lshlrev_b32_e32 v75, 3, v0
	s_and_b32 vcc_lo, exec_lo, s13
	s_cbranch_vccz .LBB397_88
.LBB397_83:
	v_add_co_u32 v1, s0, s14, v75
	v_add_co_ci_u32_e64 v2, null, s15, 0, s0
	v_add_co_u32 v27, s0, 0x6800, s14
	v_add_co_u32 v3, vcc_lo, 0x800, v1
	v_add_co_ci_u32_e64 v4, null, 0, v2, vcc_lo
	v_add_co_u32 v5, vcc_lo, 0x1000, v1
	v_add_co_ci_u32_e64 v6, null, 0, v2, vcc_lo
	;; [unrolled: 2-line block ×10, first 2 shown]
	v_add_co_u32 v25, vcc_lo, 0x5800, v1
	s_clause 0x7
	flat_load_dwordx2 v[17:18], v[1:2]
	flat_load_dwordx2 v[3:4], v[3:4]
	;; [unrolled: 1-line block ×8, first 2 shown]
	v_add_co_ci_u32_e64 v26, null, 0, v2, vcc_lo
	v_add_co_u32 v1, vcc_lo, 0x6000, v1
	v_add_co_ci_u32_e64 v2, null, 0, v2, vcc_lo
	s_clause 0x4
	flat_load_dwordx2 v[19:20], v[19:20]
	flat_load_dwordx2 v[21:22], v[21:22]
	flat_load_dwordx2 v[23:24], v[23:24]
	flat_load_dwordx2 v[25:26], v[25:26]
	flat_load_dwordx2 v[1:2], v[1:2]
	v_add_co_ci_u32_e64 v28, null, 0, s15, s0
	v_mad_u32_u24 v53, 0x60, v0, v75
	s_mov_b32 s0, exec_lo
	s_waitcnt vmcnt(11) lgkmcnt(11)
	ds_write2st64_b64 v75, v[17:18], v[3:4] offset1:4
	s_waitcnt vmcnt(9) lgkmcnt(10)
	ds_write2st64_b64 v75, v[5:6], v[7:8] offset0:8 offset1:12
	s_waitcnt vmcnt(7) lgkmcnt(9)
	ds_write2st64_b64 v75, v[9:10], v[11:12] offset0:16 offset1:20
	s_waitcnt vmcnt(5) lgkmcnt(8)
	ds_write2st64_b64 v75, v[13:14], v[15:16] offset0:24 offset1:28
	s_waitcnt vmcnt(3) lgkmcnt(7)
	ds_write2st64_b64 v75, v[19:20], v[21:22] offset0:32 offset1:36
	s_waitcnt vmcnt(1) lgkmcnt(6)
	ds_write2st64_b64 v75, v[23:24], v[25:26] offset0:40 offset1:44
	s_waitcnt vmcnt(0) lgkmcnt(6)
	ds_write_b64 v75, v[1:2] offset:24576
	s_waitcnt lgkmcnt(0)
	s_barrier
	buffer_gl0_inv
	flat_load_dwordx2 v[51:52], v[27:28]
	ds_read_b64 v[49:50], v53
	ds_read2_b64 v[21:24], v53 offset0:1 offset1:2
	ds_read2_b64 v[17:20], v53 offset0:3 offset1:4
	;; [unrolled: 1-line block ×6, first 2 shown]
	v_mad_i32_i24 v25, 0xffffffa0, v0, v53
	s_waitcnt lgkmcnt(6)
	ds_write_b64 v25, v[49:50] offset:28672
	s_waitcnt vmcnt(0) lgkmcnt(0)
	s_barrier
	buffer_gl0_inv
	v_cmpx_ne_u32_e32 0xff, v0
; %bb.84:
	v_mul_i32_i24_e32 v25, 0xffffffa0, v0
	v_add_nc_u32_e32 v25, v53, v25
	ds_read_b64 v[51:52], v25 offset:28680
; %bb.85:
	s_or_b32 exec_lo, exec_lo, s0
	v_add_co_u32 v25, s0, s16, v75
	v_add_co_ci_u32_e64 v26, null, s33, 0, s0
	s_waitcnt lgkmcnt(0)
	v_add_co_u32 v27, vcc_lo, 0x800, v25
	v_add_co_ci_u32_e64 v28, null, 0, v26, vcc_lo
	v_add_co_u32 v29, vcc_lo, 0x1000, v25
	v_add_co_ci_u32_e64 v30, null, 0, v26, vcc_lo
	;; [unrolled: 2-line block ×10, first 2 shown]
	v_add_co_u32 v54, vcc_lo, 0x5800, v25
	s_barrier
	buffer_gl0_inv
	s_clause 0x7
	flat_load_dwordx2 v[41:42], v[25:26]
	flat_load_dwordx2 v[27:28], v[27:28]
	flat_load_dwordx2 v[29:30], v[29:30]
	flat_load_dwordx2 v[31:32], v[31:32]
	flat_load_dwordx2 v[33:34], v[33:34]
	flat_load_dwordx2 v[35:36], v[35:36]
	flat_load_dwordx2 v[37:38], v[37:38]
	flat_load_dwordx2 v[39:40], v[39:40]
	v_add_co_ci_u32_e64 v55, null, 0, v26, vcc_lo
	v_add_co_u32 v25, vcc_lo, 0x6000, v25
	v_add_co_ci_u32_e64 v26, null, 0, v26, vcc_lo
	s_clause 0x4
	flat_load_dwordx2 v[43:44], v[43:44]
	flat_load_dwordx2 v[45:46], v[45:46]
	flat_load_dwordx2 v[47:48], v[47:48]
	flat_load_dwordx2 v[54:55], v[54:55]
	flat_load_dwordx2 v[25:26], v[25:26]
	v_cmp_ne_u64_e32 vcc_lo, v[49:50], v[21:22]
	v_cmp_eq_u64_e64 s0, v[49:50], v[21:22]
	v_mov_b32_e32 v50, s41
	v_mov_b32_e32 v49, s40
	s_waitcnt vmcnt(11) lgkmcnt(11)
	ds_write2st64_b64 v75, v[41:42], v[27:28] offset1:4
	s_waitcnt vmcnt(9) lgkmcnt(10)
	ds_write2st64_b64 v75, v[29:30], v[31:32] offset0:8 offset1:12
	s_waitcnt vmcnt(7) lgkmcnt(9)
	ds_write2st64_b64 v75, v[33:34], v[35:36] offset0:16 offset1:20
	s_waitcnt vmcnt(5) lgkmcnt(8)
	ds_write2st64_b64 v75, v[37:38], v[39:40] offset0:24 offset1:28
	s_waitcnt vmcnt(3) lgkmcnt(7)
	ds_write2st64_b64 v75, v[43:44], v[45:46] offset0:32 offset1:36
	s_waitcnt vmcnt(1) lgkmcnt(6)
	ds_write2st64_b64 v75, v[47:48], v[54:55] offset0:40 offset1:44
	s_waitcnt vmcnt(0) lgkmcnt(6)
	ds_write_b64 v75, v[25:26] offset:24576
	s_waitcnt lgkmcnt(0)
	s_barrier
	buffer_gl0_inv
	ds_read2_b64 v[45:48], v53 offset0:1 offset1:2
	ds_read2_b64 v[41:44], v53 offset0:3 offset1:4
	;; [unrolled: 1-line block ×6, first 2 shown]
	s_and_saveexec_b32 s1, s0
; %bb.86:
	ds_read_b64 v[49:50], v53
; %bb.87:
	s_or_b32 exec_lo, exec_lo, s1
	v_cndmask_b32_e64 v102, 0, 1, vcc_lo
	v_cmp_ne_u64_e32 vcc_lo, v[21:22], v[23:24]
	v_cmp_ne_u64_e64 s0, v[23:24], v[17:18]
	v_cmp_ne_u64_e64 s1, v[17:18], v[19:20]
	;; [unrolled: 1-line block ×11, first 2 shown]
	s_waitcnt lgkmcnt(5)
	v_cndmask_b32_e64 v51, v45, s40, vcc_lo
	v_cndmask_b32_e64 v53, v47, s40, s0
	s_waitcnt lgkmcnt(4)
	v_cndmask_b32_e64 v57, v41, s40, s1
	v_cndmask_b32_e64 v59, v43, s40, s2
	s_waitcnt lgkmcnt(3)
	v_cndmask_b32_e64 v63, v37, s40, s3
	;; [unrolled: 3-line block ×4, first 2 shown]
	s_waitcnt lgkmcnt(0)
	v_cndmask_b32_e64 v55, v25, s40, s10
	v_cndmask_b32_e64 v67, v31, s40, s9
	v_cndmask_b32_e64 v100, 0, 1, vcc_lo
	v_cndmask_b32_e64 v99, 0, 1, s0
	v_cndmask_b32_e64 v97, 0, 1, s1
	;; [unrolled: 1-line block ×10, first 2 shown]
	v_cndmask_b32_e64 v52, v46, s41, vcc_lo
	v_cndmask_b32_e64 v54, v48, s41, s0
	v_cndmask_b32_e64 v58, v42, s41, s1
	;; [unrolled: 1-line block ×12, first 2 shown]
	v_mov_b32_e32 v25, v55
	v_mov_b32_e32 v29, v67
	;; [unrolled: 1-line block ×34, first 2 shown]
	s_mov_b32 s1, -1
.LBB397_88:
	v_mov_b32_e32 v14, 0
	s_and_saveexec_b32 s0, s1
	s_cbranch_execz .LBB397_90
; %bb.89:
	v_mov_b32_e32 v27, v51
	v_mov_b32_e32 v47, v53
	v_mov_b32_e32 v45, v57
	v_mov_b32_e32 v43, v59
	v_mov_b32_e32 v41, v63
	v_mov_b32_e32 v37, v61
	v_mov_b32_e32 v35, v69
	v_mov_b32_e32 v33, v65
	v_mov_b32_e32 v31, v71
	v_mov_b32_e32 v29, v67
	v_mov_b32_e32 v25, v55
	v_cndmask_b32_e64 v14, 0, 1, s28
	v_mov_b32_e32 v83, v102
	v_mov_b32_e32 v28, v52
	;; [unrolled: 1-line block ×23, first 2 shown]
.LBB397_90:
	s_or_b32 exec_lo, exec_lo, s0
	v_and_b32_e32 v23, 1, v86
	v_and_b32_e32 v20, 1, v82
	;; [unrolled: 1-line block ×4, first 2 shown]
	v_or_b32_e32 v15, v87, v88
	v_or_b32_e32 v16, v84, v85
	;; [unrolled: 1-line block ×4, first 2 shown]
	v_cmp_eq_u32_e64 s14, 1, v23
	v_cmp_eq_u32_e64 s12, 1, v20
	;; [unrolled: 1-line block ×3, first 2 shown]
	v_cmp_eq_u16_e64 s13, 0, v14
	v_and_b32_e32 v19, 1, v14
	v_mbcnt_lo_u32_b32 v13, -1, 0
	s_cmp_lg_u32 s6, 0
	v_cmp_eq_u32_e32 vcc_lo, 1, v21
	s_barrier
	buffer_gl0_inv
	s_cbranch_scc0 .LBB397_148
; %bb.91:
	v_mov_b32_e32 v3, 0
	v_cmp_eq_u32_e64 s16, 1, v19
	v_cmp_eq_u16_sdwa s11, v88, v3 src0_sel:BYTE_0 src1_sel:DWORD
	v_cmp_eq_u16_sdwa s10, v87, v3 src0_sel:BYTE_0 src1_sel:DWORD
	;; [unrolled: 1-line block ×5, first 2 shown]
	v_cndmask_b32_e64 v1, 1, v49, s11
	v_cndmask_b32_e64 v4, 0, v50, s11
	v_cmp_eq_u16_sdwa s5, v82, v3 src0_sel:BYTE_0 src1_sel:DWORD
	v_cmp_eq_u16_sdwa s4, v81, v3 src0_sel:BYTE_0 src1_sel:DWORD
	;; [unrolled: 1-line block ×3, first 2 shown]
	v_mul_lo_u32 v5, v1, v28
	v_mad_u64_u32 v[1:2], null, v1, v27, 0
	v_mul_lo_u32 v4, v4, v27
	v_cmp_eq_u16_sdwa s2, v79, v3 src0_sel:BYTE_0 src1_sel:DWORD
	v_cmp_eq_u16_sdwa s1, v77, v3 src0_sel:BYTE_0 src1_sel:DWORD
	;; [unrolled: 1-line block ×3, first 2 shown]
	v_cmp_ne_u16_sdwa s29, v17, v3 src0_sel:BYTE_0 src1_sel:DWORD
	v_cmp_ne_u16_sdwa s33, v18, v3 src0_sel:BYTE_0 src1_sel:DWORD
	v_cndmask_b32_e64 v1, 1, v1, s10
	v_cmp_ne_u16_sdwa s42, v16, v3 src0_sel:BYTE_0 src1_sel:DWORD
	v_add3_u32 v2, v2, v5, v4
	v_cmp_ne_u16_sdwa s28, v15, v3 src0_sel:BYTE_0 src1_sel:DWORD
	s_or_b32 s15, s29, s15
	v_mul_lo_u32 v5, v1, v48
	s_or_b32 s16, s33, s16
	v_cndmask_b32_e64 v2, 0, v2, s10
	s_or_b32 s12, s42, s12
	s_or_b32 s15, s16, s15
	;; [unrolled: 1-line block ×4, first 2 shown]
	v_mul_lo_u32 v4, v2, v47
	v_mad_u64_u32 v[1:2], null, v1, v47, 0
	s_or_b32 s12, s12, s14
	v_add3_u32 v2, v2, v5, v4
	v_cndmask_b32_e64 v1, 1, v1, s9
	v_cndmask_b32_e64 v2, 0, v2, s9
	v_mul_lo_u32 v5, v1, v46
	v_mul_lo_u32 v4, v2, v45
	v_mad_u64_u32 v[1:2], null, v1, v45, 0
	v_add3_u32 v2, v2, v5, v4
	v_cndmask_b32_e64 v1, 1, v1, s8
	v_cndmask_b32_e64 v2, 0, v2, s8
	v_mul_lo_u32 v5, v1, v44
	v_mul_lo_u32 v4, v2, v43
	v_mad_u64_u32 v[1:2], null, v1, v43, 0
	;; [unrolled: 6-line block ×9, first 2 shown]
	v_add3_u32 v2, v2, v5, v4
	v_cndmask_b32_e64 v1, 1, v1, s13
	v_and_b32_e32 v5, 15, v13
	v_cndmask_b32_e64 v2, 0, v2, s13
	v_mul_lo_u32 v8, v1, v40
	v_mad_u64_u32 v[3:4], null, v1, v39, 0
	s_or_b32 s13, s12, vcc_lo
	v_mul_lo_u32 v1, v2, v39
	v_cndmask_b32_e64 v6, 0, 1, s13
	v_cndmask_b32_e64 v7, 0, 1, s13
	s_mov_b32 s12, exec_lo
	v_mov_b32_dpp v9, v3 row_shr:1 row_mask:0xf bank_mask:0xf
	v_add3_u32 v4, v4, v8, v1
	v_mov_b32_e32 v1, v3
	v_mov_b32_dpp v8, v6 row_shr:1 row_mask:0xf bank_mask:0xf
	v_mov_b32_dpp v10, v4 row_shr:1 row_mask:0xf bank_mask:0xf
	v_mov_b32_e32 v2, v4
	v_cmpx_ne_u32_e32 0, v5
	s_cbranch_execz .LBB397_93
; %bb.92:
	v_cndmask_b32_e64 v1, v10, 0, s13
	v_cndmask_b32_e64 v2, v9, 1, s13
	v_mul_lo_u32 v1, v1, v3
	v_mul_lo_u32 v6, v2, v4
	v_mad_u64_u32 v[3:4], null, v2, v3, 0
	v_and_b32_e32 v2, 1, v8
	v_or_b32_e32 v7, v2, v7
	v_add3_u32 v4, v4, v6, v1
	v_mov_b32_e32 v1, v3
	v_and_b32_e32 v6, 0xffff, v7
	v_mov_b32_e32 v2, v4
.LBB397_93:
	s_or_b32 exec_lo, exec_lo, s12
	v_mov_b32_dpp v9, v3 row_shr:2 row_mask:0xf bank_mask:0xf
	v_mov_b32_dpp v10, v4 row_shr:2 row_mask:0xf bank_mask:0xf
	v_mov_b32_dpp v8, v6 row_shr:2 row_mask:0xf bank_mask:0xf
	s_mov_b32 s13, exec_lo
	v_cmpx_lt_u32_e32 1, v5
	s_cbranch_execz .LBB397_95
; %bb.94:
	v_cmp_eq_u16_e32 vcc_lo, 0, v7
	v_and_b32_e32 v7, 1, v7
	v_cndmask_b32_e32 v3, 1, v9, vcc_lo
	v_cndmask_b32_e32 v6, 0, v10, vcc_lo
	v_cmp_eq_u32_e32 vcc_lo, 1, v7
	v_mul_lo_u32 v2, v3, v2
	v_mad_u64_u32 v[3:4], null, v3, v1, 0
	v_mul_lo_u32 v1, v6, v1
	v_and_b32_e32 v6, 1, v8
	v_cmp_eq_u32_e64 s12, 1, v6
	v_add3_u32 v4, v4, v2, v1
	v_mov_b32_e32 v1, v3
	s_or_b32 s12, vcc_lo, s12
	v_cndmask_b32_e64 v7, 0, 1, s12
	v_cndmask_b32_e64 v6, 0, 1, s12
	v_mov_b32_e32 v2, v4
.LBB397_95:
	s_or_b32 exec_lo, exec_lo, s13
	v_mov_b32_dpp v9, v3 row_shr:4 row_mask:0xf bank_mask:0xf
	v_mov_b32_dpp v10, v4 row_shr:4 row_mask:0xf bank_mask:0xf
	v_mov_b32_dpp v8, v6 row_shr:4 row_mask:0xf bank_mask:0xf
	s_mov_b32 s13, exec_lo
	v_cmpx_lt_u32_e32 3, v5
	s_cbranch_execz .LBB397_97
; %bb.96:
	v_cmp_eq_u16_e32 vcc_lo, 0, v7
	v_and_b32_e32 v7, 1, v7
	v_cndmask_b32_e32 v3, 1, v9, vcc_lo
	v_cndmask_b32_e32 v6, 0, v10, vcc_lo
	v_cmp_eq_u32_e32 vcc_lo, 1, v7
	v_mul_lo_u32 v2, v3, v2
	v_mad_u64_u32 v[3:4], null, v3, v1, 0
	v_mul_lo_u32 v1, v6, v1
	v_and_b32_e32 v6, 1, v8
	v_cmp_eq_u32_e64 s12, 1, v6
	v_add3_u32 v4, v4, v2, v1
	v_mov_b32_e32 v1, v3
	s_or_b32 s12, vcc_lo, s12
	v_cndmask_b32_e64 v7, 0, 1, s12
	v_cndmask_b32_e64 v6, 0, 1, s12
	v_mov_b32_e32 v2, v4
.LBB397_97:
	;; [unrolled: 25-line block ×3, first 2 shown]
	s_or_b32 exec_lo, exec_lo, s13
	ds_swizzle_b32 v8, v3 offset:swizzle(BROADCAST,32,15)
	ds_swizzle_b32 v9, v4 offset:swizzle(BROADCAST,32,15)
	;; [unrolled: 1-line block ×3, first 2 shown]
	v_and_b32_e32 v6, 16, v13
	s_mov_b32 s13, exec_lo
	v_cmpx_ne_u32_e32 0, v6
	s_cbranch_execz .LBB397_101
; %bb.100:
	v_cmp_eq_u16_e32 vcc_lo, 0, v7
	s_waitcnt lgkmcnt(0)
	v_and_b32_e32 v5, 1, v5
	v_cndmask_b32_e32 v3, 1, v8, vcc_lo
	v_cndmask_b32_e32 v6, 0, v9, vcc_lo
	v_cmp_eq_u32_e64 s12, 1, v5
	v_mul_lo_u32 v2, v3, v2
	v_mad_u64_u32 v[3:4], null, v3, v1, 0
	v_mul_lo_u32 v1, v6, v1
	v_and_b32_e32 v6, 1, v7
	v_cmp_eq_u32_e32 vcc_lo, 1, v6
	v_add3_u32 v4, v4, v2, v1
	v_mov_b32_e32 v1, v3
	s_or_b32 s12, vcc_lo, s12
	v_cndmask_b32_e64 v7, 0, 1, s12
	v_mov_b32_e32 v2, v4
.LBB397_101:
	s_or_b32 exec_lo, exec_lo, s13
	v_lshrrev_b32_e32 v6, 5, v0
	s_waitcnt lgkmcnt(0)
	v_or_b32_e32 v5, 31, v0
	s_mov_b32 s12, exec_lo
	v_lshlrev_b32_e32 v8, 4, v6
	v_cmpx_eq_u32_e64 v0, v5
	s_cbranch_execz .LBB397_103
; %bb.102:
	ds_write_b64 v8, v[1:2]
	ds_write_b8 v8, v7 offset:8
.LBB397_103:
	s_or_b32 exec_lo, exec_lo, s12
	s_mov_b32 s13, exec_lo
	s_waitcnt lgkmcnt(0)
	s_barrier
	buffer_gl0_inv
	v_cmpx_gt_u32_e32 8, v0
	s_cbranch_execz .LBB397_111
; %bb.104:
	v_lshlrev_b32_e32 v9, 4, v0
	v_and_b32_e32 v10, 7, v13
	s_mov_b32 s12, exec_lo
	ds_read_b64 v[1:2], v9
	ds_read_b32 v24, v9 offset:8
	s_waitcnt lgkmcnt(1)
	v_mov_b32_dpp v53, v1 row_shr:1 row_mask:0xf bank_mask:0xf
	v_mov_b32_dpp v54, v2 row_shr:1 row_mask:0xf bank_mask:0xf
	s_waitcnt lgkmcnt(0)
	v_and_b32_e32 v12, 0xffffff00, v24
	v_mov_b32_dpp v52, v24 row_shr:1 row_mask:0xf bank_mask:0xf
	v_mov_b32_e32 v51, v24
	v_mov_b32_e32 v11, v24
	v_mov_b32_e32 v6, v2
	v_mov_b32_e32 v5, v1
	v_cmpx_ne_u32_e32 0, v10
	s_cbranch_execz .LBB397_106
; %bb.105:
	v_mov_b32_e32 v5, 0
	v_cmp_eq_u16_sdwa vcc_lo, v24, v5 src0_sel:BYTE_0 src1_sel:DWORD
	v_or_b32_e32 v24, v52, v24
	v_cndmask_b32_e32 v5, 1, v53, vcc_lo
	v_cndmask_b32_e32 v11, 0, v54, vcc_lo
	v_and_b32_e32 v51, 1, v24
	v_mul_lo_u32 v2, v5, v2
	v_mad_u64_u32 v[5:6], null, v5, v1, 0
	v_mul_lo_u32 v1, v11, v1
	v_and_b32_e32 v11, 1, v24
	v_or_b32_e32 v24, v11, v12
	v_add3_u32 v6, v6, v2, v1
	v_mov_b32_e32 v1, v5
	v_mov_b32_e32 v2, v6
.LBB397_106:
	s_or_b32 exec_lo, exec_lo, s12
	v_mov_b32_dpp v54, v5 row_shr:2 row_mask:0xf bank_mask:0xf
	v_mov_b32_dpp v52, v6 row_shr:2 row_mask:0xf bank_mask:0xf
	;; [unrolled: 1-line block ×3, first 2 shown]
	s_mov_b32 s14, exec_lo
	v_cmpx_lt_u32_e32 1, v10
	s_cbranch_execz .LBB397_108
; %bb.107:
	v_mov_b32_e32 v5, 0
	v_and_b32_e32 v24, 1, v53
	v_cmp_eq_u16_sdwa vcc_lo, v11, v5 src0_sel:BYTE_0 src1_sel:DWORD
	v_and_b32_e32 v11, 1, v11
	v_cmp_eq_u32_e64 s12, 1, v24
	v_cndmask_b32_e32 v5, 1, v54, vcc_lo
	v_cndmask_b32_e32 v51, 0, v52, vcc_lo
	v_cmp_eq_u32_e32 vcc_lo, 1, v11
	v_mul_lo_u32 v2, v5, v2
	v_mad_u64_u32 v[5:6], null, v5, v1, 0
	v_mul_lo_u32 v1, v51, v1
	s_or_b32 s12, vcc_lo, s12
	v_cndmask_b32_e64 v51, 0, 1, s12
	v_cndmask_b32_e64 v11, 0, 1, s12
	v_add3_u32 v6, v6, v2, v1
	v_mov_b32_e32 v1, v5
	v_or_b32_e32 v24, v12, v11
	v_mov_b32_e32 v11, v51
	v_mov_b32_e32 v2, v6
.LBB397_108:
	s_or_b32 exec_lo, exec_lo, s14
	v_mov_b32_dpp v12, v5 row_shr:4 row_mask:0xf bank_mask:0xf
	v_mov_b32_dpp v6, v6 row_shr:4 row_mask:0xf bank_mask:0xf
	;; [unrolled: 1-line block ×3, first 2 shown]
	s_mov_b32 s14, exec_lo
	v_cmpx_lt_u32_e32 3, v10
	s_cbranch_execz .LBB397_110
; %bb.109:
	v_mov_b32_e32 v10, 0
	v_and_b32_e32 v5, 1, v5
	v_cmp_eq_u16_sdwa vcc_lo, v11, v10 src0_sel:BYTE_0 src1_sel:DWORD
	v_cmp_eq_u32_e64 s12, 1, v5
	v_cndmask_b32_e32 v10, 1, v12, vcc_lo
	v_cndmask_b32_e32 v6, 0, v6, vcc_lo
	v_mul_lo_u32 v2, v10, v2
	v_mad_u64_u32 v[52:53], null, v10, v1, 0
	v_mul_lo_u32 v1, v6, v1
	v_and_b32_e32 v6, 1, v11
	v_cmp_eq_u32_e32 vcc_lo, 1, v6
	v_add3_u32 v53, v53, v2, v1
	v_mov_b32_e32 v1, v52
	s_or_b32 s12, vcc_lo, s12
	v_cndmask_b32_e64 v51, 0, 1, s12
	v_mov_b32_e32 v2, v53
.LBB397_110:
	s_or_b32 exec_lo, exec_lo, s14
	ds_write_b64 v9, v[1:2]
	ds_write_b8 v9, v51 offset:8
.LBB397_111:
	s_or_b32 exec_lo, exec_lo, s13
	v_mov_b32_e32 v1, 0
	v_mov_b32_e32 v2, 0
	;; [unrolled: 1-line block ×3, first 2 shown]
	s_mov_b32 s13, exec_lo
	v_cmp_gt_u32_e32 vcc_lo, 32, v0
	s_waitcnt lgkmcnt(0)
	s_barrier
	buffer_gl0_inv
	v_cmpx_lt_u32_e32 31, v0
	s_cbranch_execz .LBB397_113
; %bb.112:
	v_add_nc_u32_e32 v1, -16, v8
	v_add_nc_u32_e32 v5, -8, v8
	v_cmp_eq_u16_e64 s12, 0, v7
	ds_read_b64 v[1:2], v1
	ds_read_u8 v24, v5
	s_waitcnt lgkmcnt(1)
	v_cndmask_b32_e64 v5, 1, v1, s12
	v_cndmask_b32_e64 v6, 0, v2, s12
	s_waitcnt lgkmcnt(0)
	v_or_b32_e32 v7, v24, v7
	v_mul_lo_u32 v8, v5, v4
	v_mul_lo_u32 v6, v6, v3
	v_mad_u64_u32 v[3:4], null, v5, v3, 0
	v_add3_u32 v4, v4, v8, v6
.LBB397_113:
	s_or_b32 exec_lo, exec_lo, s13
	v_sub_co_u32 v5, s12, v13, 1
	v_and_b32_e32 v6, 0xff, v7
	v_cmp_gt_i32_e64 s13, 0, v5
	v_cndmask_b32_e64 v5, v5, v13, s13
	v_lshlrev_b32_e32 v5, 2, v5
	ds_bpermute_b32 v53, v5, v3
	ds_bpermute_b32 v54, v5, v4
	ds_bpermute_b32 v55, v5, v6
	s_and_saveexec_b32 s14, vcc_lo
	s_cbranch_execz .LBB397_153
; %bb.114:
	v_mov_b32_e32 v7, 0
	ds_read_b64 v[3:4], v7 offset:112
	ds_read_u8 v51, v7 offset:120
	s_and_saveexec_b32 s13, s12
	s_cbranch_execz .LBB397_116
; %bb.115:
	s_add_i32 s28, s6, 32
	s_mov_b32 s29, 0
	v_mov_b32_e32 v5, 1
	s_lshl_b64 s[42:43], s[28:29], 4
	v_mov_b32_e32 v6, s28
	s_add_u32 s42, s20, s42
	s_addc_u32 s43, s21, s43
	s_waitcnt lgkmcnt(1)
	global_store_dwordx2 v7, v[3:4], s[42:43]
	s_waitcnt lgkmcnt(0)
	global_store_byte v7, v51, s[42:43] offset:8
	s_waitcnt_vscnt null, 0x0
	buffer_gl1_inv
	buffer_gl0_inv
	global_store_byte v6, v5, s[24:25]
.LBB397_116:
	s_or_b32 exec_lo, exec_lo, s13
	v_xad_u32 v5, v13, -1, s6
	s_mov_b32 s15, 0
	s_mov_b32 s13, exec_lo
	v_add_nc_u32_e32 v6, 32, v5
	global_load_ubyte v52, v6, s[24:25] glc dlc
	s_waitcnt vmcnt(0)
	v_cmpx_eq_u16_e32 0, v52
	s_cbranch_execz .LBB397_120
; %bb.117:
	v_add_co_u32 v8, s16, s24, v6
	v_add_co_ci_u32_e64 v9, null, s25, 0, s16
.LBB397_118:                            ; =>This Inner Loop Header: Depth=1
	global_load_ubyte v52, v[8:9], off glc dlc
	s_waitcnt vmcnt(0)
	v_cmp_ne_u16_e32 vcc_lo, 0, v52
	s_or_b32 s15, vcc_lo, s15
	s_andn2_b32 exec_lo, exec_lo, s15
	s_cbranch_execnz .LBB397_118
; %bb.119:
	s_or_b32 exec_lo, exec_lo, s15
.LBB397_120:
	s_or_b32 exec_lo, exec_lo, s13
	v_cmp_eq_u16_e32 vcc_lo, 1, v52
	v_mov_b32_e32 v9, s20
	v_mov_b32_e32 v8, s21
	v_lshlrev_b64 v[6:7], 4, v[6:7]
	s_waitcnt lgkmcnt(0)
	s_waitcnt_vscnt null, 0x0
	buffer_gl1_inv
	buffer_gl0_inv
	v_lshlrev_b32_e64 v57, v13, -1
	v_cndmask_b32_e32 v9, s22, v9, vcc_lo
	v_cndmask_b32_e32 v8, s23, v8, vcc_lo
	s_mov_b32 s13, exec_lo
	v_add_co_u32 v6, vcc_lo, v9, v6
	v_add_co_ci_u32_e64 v7, null, v8, v7, vcc_lo
	v_cmp_ne_u32_e32 vcc_lo, 31, v13
	s_clause 0x1
	global_load_ubyte v11, v[6:7], off offset:8
	global_load_dwordx2 v[9:10], v[6:7], off
	v_add_co_ci_u32_e64 v6, null, 0, v13, vcc_lo
	v_cmp_eq_u16_e32 vcc_lo, 2, v52
	v_lshlrev_b32_e32 v56, 2, v6
	v_and_or_b32 v6, vcc_lo, v57, 0x80000000
	v_ffbl_b32_e32 v8, v6
	s_waitcnt vmcnt(1)
	v_and_b32_e32 v12, 1, v11
	s_waitcnt vmcnt(0)
	ds_bpermute_b32 v59, v56, v9
	ds_bpermute_b32 v60, v56, v10
	v_mov_b32_e32 v7, v10
	v_mov_b32_e32 v6, v9
	ds_bpermute_b32 v58, v56, v12
	v_cmpx_lt_u32_e64 v13, v8
	s_cbranch_execz .LBB397_122
; %bb.121:
	v_mov_b32_e32 v6, 0
	v_cmp_eq_u16_sdwa vcc_lo, v11, v6 src0_sel:BYTE_0 src1_sel:DWORD
	s_waitcnt lgkmcnt(2)
	v_cndmask_b32_e32 v6, 1, v59, vcc_lo
	s_waitcnt lgkmcnt(1)
	v_cndmask_b32_e32 v12, 0, v60, vcc_lo
	v_mul_lo_u32 v10, v6, v10
	v_mad_u64_u32 v[6:7], null, v6, v9, 0
	v_mul_lo_u32 v9, v12, v9
	s_waitcnt lgkmcnt(0)
	v_and_b32_e32 v12, 1, v58
	v_or_b32_e32 v11, v12, v11
	v_add3_u32 v7, v7, v10, v9
	v_and_b32_e32 v12, 0xff, v11
	v_mov_b32_e32 v10, v7
	v_mov_b32_e32 v9, v6
.LBB397_122:
	s_or_b32 exec_lo, exec_lo, s13
	v_cmp_gt_u32_e32 vcc_lo, 30, v13
	s_waitcnt lgkmcnt(2)
	v_add_nc_u32_e32 v59, 2, v13
	s_mov_b32 s15, exec_lo
	s_waitcnt lgkmcnt(0)
	v_cndmask_b32_e64 v58, 0, 2, vcc_lo
	v_add_lshl_u32 v58, v58, v13, 2
	ds_bpermute_b32 v61, v58, v6
	ds_bpermute_b32 v62, v58, v7
	ds_bpermute_b32 v60, v58, v12
	v_cmpx_le_u32_e64 v59, v8
	s_cbranch_execz .LBB397_124
; %bb.123:
	v_mov_b32_e32 v6, 0
	v_cmp_eq_u16_sdwa vcc_lo, v11, v6 src0_sel:BYTE_0 src1_sel:DWORD
	v_and_b32_e32 v11, 1, v11
	s_waitcnt lgkmcnt(2)
	v_cndmask_b32_e32 v6, 1, v61, vcc_lo
	s_waitcnt lgkmcnt(1)
	v_cndmask_b32_e32 v12, 0, v62, vcc_lo
	v_cmp_eq_u32_e32 vcc_lo, 1, v11
	v_mul_lo_u32 v10, v6, v10
	v_mad_u64_u32 v[6:7], null, v6, v9, 0
	v_mul_lo_u32 v9, v12, v9
	s_waitcnt lgkmcnt(0)
	v_and_b32_e32 v12, 1, v60
	v_cmp_eq_u32_e64 s13, 1, v12
	v_add3_u32 v7, v7, v10, v9
	s_or_b32 s13, vcc_lo, s13
	v_mov_b32_e32 v10, v7
	v_cndmask_b32_e64 v11, 0, 1, s13
	v_cndmask_b32_e64 v12, 0, 1, s13
	v_mov_b32_e32 v9, v6
.LBB397_124:
	s_or_b32 exec_lo, exec_lo, s15
	v_cmp_gt_u32_e32 vcc_lo, 28, v13
	s_waitcnt lgkmcnt(2)
	v_add_nc_u32_e32 v61, 4, v13
	s_mov_b32 s15, exec_lo
	s_waitcnt lgkmcnt(0)
	v_cndmask_b32_e64 v60, 0, 4, vcc_lo
	v_add_lshl_u32 v60, v60, v13, 2
	ds_bpermute_b32 v63, v60, v6
	ds_bpermute_b32 v64, v60, v7
	ds_bpermute_b32 v62, v60, v12
	v_cmpx_le_u32_e64 v61, v8
	s_cbranch_execz .LBB397_126
; %bb.125:
	v_mov_b32_e32 v6, 0
	v_cmp_eq_u16_sdwa vcc_lo, v11, v6 src0_sel:BYTE_0 src1_sel:DWORD
	v_and_b32_e32 v11, 1, v11
	s_waitcnt lgkmcnt(2)
	v_cndmask_b32_e32 v6, 1, v63, vcc_lo
	s_waitcnt lgkmcnt(1)
	v_cndmask_b32_e32 v12, 0, v64, vcc_lo
	v_cmp_eq_u32_e32 vcc_lo, 1, v11
	v_mul_lo_u32 v10, v6, v10
	v_mad_u64_u32 v[6:7], null, v6, v9, 0
	v_mul_lo_u32 v9, v12, v9
	s_waitcnt lgkmcnt(0)
	v_and_b32_e32 v12, 1, v62
	v_cmp_eq_u32_e64 s13, 1, v12
	v_add3_u32 v7, v7, v10, v9
	s_or_b32 s13, vcc_lo, s13
	v_mov_b32_e32 v10, v7
	v_cndmask_b32_e64 v11, 0, 1, s13
	v_cndmask_b32_e64 v12, 0, 1, s13
	v_mov_b32_e32 v9, v6
.LBB397_126:
	;; [unrolled: 35-line block ×3, first 2 shown]
	s_or_b32 exec_lo, exec_lo, s15
	s_waitcnt lgkmcnt(2)
	v_lshl_or_b32 v65, v13, 2, 64
	s_waitcnt lgkmcnt(1)
	v_add_nc_u32_e32 v66, 16, v13
	s_mov_b32 s15, exec_lo
	s_waitcnt lgkmcnt(0)
	ds_bpermute_b32 v64, v65, v6
	ds_bpermute_b32 v7, v65, v7
	;; [unrolled: 1-line block ×3, first 2 shown]
	v_cmpx_le_u32_e64 v66, v8
	s_cbranch_execz .LBB397_130
; %bb.129:
	v_mov_b32_e32 v8, 0
	s_waitcnt lgkmcnt(0)
	v_and_b32_e32 v6, 1, v6
	v_cmp_eq_u16_sdwa vcc_lo, v11, v8 src0_sel:BYTE_0 src1_sel:DWORD
	v_and_b32_e32 v11, 1, v11
	v_cmp_eq_u32_e64 s13, 1, v6
	v_cndmask_b32_e32 v8, 1, v64, vcc_lo
	v_cndmask_b32_e32 v12, 0, v7, vcc_lo
	v_cmp_eq_u32_e32 vcc_lo, 1, v11
	v_mul_lo_u32 v10, v8, v10
	v_mad_u64_u32 v[7:8], null, v8, v9, 0
	v_mul_lo_u32 v9, v12, v9
	s_or_b32 s13, vcc_lo, s13
	v_cndmask_b32_e64 v11, 0, 1, s13
	v_add3_u32 v8, v8, v10, v9
	v_mov_b32_e32 v10, v8
	v_mov_b32_e32 v9, v7
.LBB397_130:
	s_or_b32 exec_lo, exec_lo, s15
	s_waitcnt lgkmcnt(0)
	v_mov_b32_e32 v6, 0
	v_mov_b32_e32 v67, 2
	s_branch .LBB397_133
.LBB397_131:                            ;   in Loop: Header=BB397_133 Depth=1
	s_or_b32 exec_lo, exec_lo, s16
	v_cmp_eq_u16_sdwa vcc_lo, v64, v6 src0_sel:BYTE_0 src1_sel:DWORD
	s_waitcnt lgkmcnt(1)
	v_and_b32_e32 v12, 1, v64
	v_subrev_nc_u32_e32 v5, 32, v5
	v_cndmask_b32_e32 v9, 1, v9, vcc_lo
	s_waitcnt lgkmcnt(0)
	v_cndmask_b32_e32 v11, 0, v10, vcc_lo
	v_cmp_eq_u32_e32 vcc_lo, 1, v12
	v_mul_lo_u32 v68, v9, v8
	v_mad_u64_u32 v[9:10], null, v9, v7, 0
	v_mul_lo_u32 v11, v11, v7
	s_or_b32 s13, vcc_lo, s15
	v_add3_u32 v10, v10, v68, v11
	v_cndmask_b32_e64 v11, 0, 1, s13
	s_mov_b32 s13, 0
.LBB397_132:                            ;   in Loop: Header=BB397_133 Depth=1
	s_and_b32 vcc_lo, exec_lo, s13
	s_cbranch_vccnz .LBB397_149
.LBB397_133:                            ; =>This Loop Header: Depth=1
                                        ;     Child Loop BB397_136 Depth 2
	v_cmp_ne_u16_sdwa s13, v52, v67 src0_sel:BYTE_0 src1_sel:DWORD
	v_mov_b32_e32 v7, v9
	v_mov_b32_e32 v64, v11
	;; [unrolled: 1-line block ×3, first 2 shown]
                                        ; implicit-def: $vgpr11
                                        ; implicit-def: $vgpr9_vgpr10
                                        ; implicit-def: $vgpr52
	s_cmp_lg_u32 s13, exec_lo
	s_mov_b32 s13, -1
	s_cbranch_scc1 .LBB397_132
; %bb.134:                              ;   in Loop: Header=BB397_133 Depth=1
	global_load_ubyte v52, v5, s[24:25] glc dlc
	s_mov_b32 s13, exec_lo
	s_waitcnt vmcnt(0)
	v_cmpx_eq_u16_e32 0, v52
	s_cbranch_execz .LBB397_138
; %bb.135:                              ;   in Loop: Header=BB397_133 Depth=1
	v_add_co_u32 v9, s15, s24, v5
	v_add_co_ci_u32_e64 v10, null, s25, 0, s15
	s_mov_b32 s15, 0
.LBB397_136:                            ;   Parent Loop BB397_133 Depth=1
                                        ; =>  This Inner Loop Header: Depth=2
	global_load_ubyte v52, v[9:10], off glc dlc
	s_waitcnt vmcnt(0)
	v_cmp_ne_u16_e32 vcc_lo, 0, v52
	s_or_b32 s15, vcc_lo, s15
	s_andn2_b32 exec_lo, exec_lo, s15
	s_cbranch_execnz .LBB397_136
; %bb.137:                              ;   in Loop: Header=BB397_133 Depth=1
	s_or_b32 exec_lo, exec_lo, s15
.LBB397_138:                            ;   in Loop: Header=BB397_133 Depth=1
	s_or_b32 exec_lo, exec_lo, s13
	v_cmp_eq_u16_e32 vcc_lo, 1, v52
	v_mov_b32_e32 v12, s20
	v_mov_b32_e32 v11, s21
	v_lshlrev_b64 v[9:10], 4, v[5:6]
	buffer_gl1_inv
	buffer_gl0_inv
	s_mov_b32 s13, exec_lo
	v_cndmask_b32_e32 v12, s22, v12, vcc_lo
	v_cndmask_b32_e32 v11, s23, v11, vcc_lo
	v_add_co_u32 v9, vcc_lo, v12, v9
	v_add_co_ci_u32_e64 v10, null, v11, v10, vcc_lo
	v_cmp_eq_u16_e32 vcc_lo, 2, v52
	s_clause 0x1
	global_load_ubyte v68, v[9:10], off offset:8
	global_load_dwordx2 v[9:10], v[9:10], off
	v_and_or_b32 v11, vcc_lo, v57, 0x80000000
	v_ffbl_b32_e32 v69, v11
	s_waitcnt vmcnt(1)
	v_and_b32_e32 v70, 1, v68
	s_waitcnt vmcnt(0)
	ds_bpermute_b32 v72, v56, v9
	ds_bpermute_b32 v73, v56, v10
	v_mov_b32_e32 v12, v10
	v_mov_b32_e32 v11, v9
	ds_bpermute_b32 v71, v56, v70
	v_cmpx_lt_u32_e64 v13, v69
	s_cbranch_execz .LBB397_140
; %bb.139:                              ;   in Loop: Header=BB397_133 Depth=1
	v_cmp_eq_u16_sdwa vcc_lo, v68, v6 src0_sel:BYTE_0 src1_sel:DWORD
	s_waitcnt lgkmcnt(2)
	v_cndmask_b32_e32 v11, 1, v72, vcc_lo
	s_waitcnt lgkmcnt(1)
	v_cndmask_b32_e32 v70, 0, v73, vcc_lo
	v_mul_lo_u32 v10, v11, v10
	v_mad_u64_u32 v[11:12], null, v11, v9, 0
	v_mul_lo_u32 v9, v70, v9
	s_waitcnt lgkmcnt(0)
	v_and_b32_e32 v70, 1, v71
	v_or_b32_e32 v68, v70, v68
	v_add3_u32 v12, v12, v10, v9
	v_mov_b32_e32 v9, v11
	v_and_b32_e32 v70, 0xff, v68
	v_mov_b32_e32 v10, v12
.LBB397_140:                            ;   in Loop: Header=BB397_133 Depth=1
	s_or_b32 exec_lo, exec_lo, s13
	s_waitcnt lgkmcnt(2)
	ds_bpermute_b32 v72, v58, v11
	s_waitcnt lgkmcnt(2)
	ds_bpermute_b32 v73, v58, v12
	;; [unrolled: 2-line block ×3, first 2 shown]
	v_and_b32_e32 v74, 1, v68
	s_mov_b32 s13, exec_lo
	v_cmp_eq_u32_e64 s15, 1, v74
	v_cmpx_le_u32_e64 v59, v69
	s_cbranch_execz .LBB397_142
; %bb.141:                              ;   in Loop: Header=BB397_133 Depth=1
	v_cmp_eq_u16_sdwa vcc_lo, v68, v6 src0_sel:BYTE_0 src1_sel:DWORD
	s_waitcnt lgkmcnt(0)
	v_and_b32_e32 v70, 1, v71
	v_cndmask_b32_e32 v11, 1, v72, vcc_lo
	v_cndmask_b32_e32 v68, 0, v73, vcc_lo
	v_cmp_eq_u32_e32 vcc_lo, 1, v70
	v_mul_lo_u32 v10, v11, v10
	v_mad_u64_u32 v[11:12], null, v11, v9, 0
	v_mul_lo_u32 v9, v68, v9
	s_or_b32 s16, s15, vcc_lo
	s_andn2_b32 s15, s15, exec_lo
	v_cndmask_b32_e64 v68, 0, 1, s16
	v_cndmask_b32_e64 v70, 0, 1, s16
	s_and_b32 s16, s16, exec_lo
	s_or_b32 s15, s15, s16
	v_add3_u32 v12, v12, v10, v9
	v_mov_b32_e32 v9, v11
	v_mov_b32_e32 v10, v12
.LBB397_142:                            ;   in Loop: Header=BB397_133 Depth=1
	s_or_b32 exec_lo, exec_lo, s13
	s_waitcnt lgkmcnt(2)
	ds_bpermute_b32 v72, v60, v11
	s_waitcnt lgkmcnt(2)
	ds_bpermute_b32 v73, v60, v12
	;; [unrolled: 2-line block ×3, first 2 shown]
	s_mov_b32 s16, exec_lo
	v_cmpx_le_u32_e64 v61, v69
	s_cbranch_execz .LBB397_144
; %bb.143:                              ;   in Loop: Header=BB397_133 Depth=1
	v_cmp_eq_u16_sdwa vcc_lo, v68, v6 src0_sel:BYTE_0 src1_sel:DWORD
	v_and_b32_e32 v68, 1, v68
	s_waitcnt lgkmcnt(0)
	v_and_b32_e32 v71, 1, v71
	s_andn2_b32 s15, s15, exec_lo
	v_cndmask_b32_e32 v11, 1, v72, vcc_lo
	v_cndmask_b32_e32 v70, 0, v73, vcc_lo
	v_cmp_eq_u32_e32 vcc_lo, 1, v68
	v_cmp_eq_u32_e64 s13, 1, v71
	v_mul_lo_u32 v10, v11, v10
	v_mad_u64_u32 v[11:12], null, v11, v9, 0
	v_mul_lo_u32 v9, v70, v9
	s_or_b32 s13, vcc_lo, s13
	v_cndmask_b32_e64 v68, 0, 1, s13
	v_cndmask_b32_e64 v70, 0, 1, s13
	s_and_b32 s13, s13, exec_lo
	s_or_b32 s15, s15, s13
	v_add3_u32 v12, v12, v10, v9
	v_mov_b32_e32 v9, v11
	v_mov_b32_e32 v10, v12
.LBB397_144:                            ;   in Loop: Header=BB397_133 Depth=1
	s_or_b32 exec_lo, exec_lo, s16
	s_waitcnt lgkmcnt(2)
	ds_bpermute_b32 v72, v62, v11
	s_waitcnt lgkmcnt(2)
	ds_bpermute_b32 v73, v62, v12
	;; [unrolled: 2-line block ×3, first 2 shown]
	s_mov_b32 s16, exec_lo
	v_cmpx_le_u32_e64 v63, v69
	s_cbranch_execz .LBB397_146
; %bb.145:                              ;   in Loop: Header=BB397_133 Depth=1
	v_cmp_eq_u16_sdwa vcc_lo, v68, v6 src0_sel:BYTE_0 src1_sel:DWORD
	v_and_b32_e32 v68, 1, v68
	s_waitcnt lgkmcnt(0)
	v_and_b32_e32 v71, 1, v71
	s_andn2_b32 s15, s15, exec_lo
	v_cndmask_b32_e32 v11, 1, v72, vcc_lo
	v_cndmask_b32_e32 v70, 0, v73, vcc_lo
	v_cmp_eq_u32_e32 vcc_lo, 1, v68
	v_cmp_eq_u32_e64 s13, 1, v71
	v_mul_lo_u32 v10, v11, v10
	v_mad_u64_u32 v[11:12], null, v11, v9, 0
	v_mul_lo_u32 v9, v70, v9
	s_or_b32 s13, vcc_lo, s13
	v_cndmask_b32_e64 v68, 0, 1, s13
	v_cndmask_b32_e64 v70, 0, 1, s13
	s_and_b32 s13, s13, exec_lo
	s_or_b32 s15, s15, s13
	v_add3_u32 v12, v12, v10, v9
	v_mov_b32_e32 v9, v11
	v_mov_b32_e32 v10, v12
.LBB397_146:                            ;   in Loop: Header=BB397_133 Depth=1
	s_or_b32 exec_lo, exec_lo, s16
	s_waitcnt lgkmcnt(0)
	ds_bpermute_b32 v71, v65, v11
	ds_bpermute_b32 v12, v65, v12
	;; [unrolled: 1-line block ×3, first 2 shown]
	s_mov_b32 s16, exec_lo
	v_cmpx_le_u32_e64 v66, v69
	s_cbranch_execz .LBB397_131
; %bb.147:                              ;   in Loop: Header=BB397_133 Depth=1
	v_cmp_eq_u16_sdwa vcc_lo, v68, v6 src0_sel:BYTE_0 src1_sel:DWORD
	s_waitcnt lgkmcnt(0)
	v_and_b32_e32 v11, 1, v11
	s_andn2_b32 s15, s15, exec_lo
	v_cndmask_b32_e32 v69, 1, v71, vcc_lo
	v_cndmask_b32_e32 v12, 0, v12, vcc_lo
	v_cmp_eq_u32_e64 s13, 1, v11
	v_mul_lo_u32 v10, v69, v10
	v_mad_u64_u32 v[69:70], null, v69, v9, 0
	v_mul_lo_u32 v9, v12, v9
	v_and_b32_e32 v12, 1, v68
	v_cmp_eq_u32_e32 vcc_lo, 1, v12
	v_add3_u32 v70, v70, v10, v9
	v_mov_b32_e32 v9, v69
	s_or_b32 s13, vcc_lo, s13
	v_mov_b32_e32 v10, v70
	s_and_b32 s13, s13, exec_lo
	s_or_b32 s15, s15, s13
	s_branch .LBB397_131
.LBB397_148:
                                        ; implicit-def: $vgpr51_vgpr52
                                        ; implicit-def: $vgpr3_vgpr4
                                        ; implicit-def: $vgpr73_vgpr74
                                        ; implicit-def: $vgpr69_vgpr70
                                        ; implicit-def: $vgpr65_vgpr66
                                        ; implicit-def: $vgpr61_vgpr62
                                        ; implicit-def: $vgpr59_vgpr60
                                        ; implicit-def: $vgpr71_vgpr72
                                        ; implicit-def: $vgpr67_vgpr68
                                        ; implicit-def: $vgpr63_vgpr64
                                        ; implicit-def: $vgpr57_vgpr58
                                        ; implicit-def: $vgpr55_vgpr56
                                        ; implicit-def: $vgpr53_vgpr54
	s_cbranch_execnz .LBB397_156
	s_branch .LBB397_183
.LBB397_149:
	s_and_saveexec_b32 s13, s12
	s_cbranch_execz .LBB397_151
; %bb.150:
	v_mov_b32_e32 v6, 0
	s_mov_b32 s21, 0
	s_add_i32 s20, s6, 32
	v_mov_b32_e32 v11, 2
	s_lshl_b64 s[28:29], s[20:21], 4
	v_cmp_eq_u32_sdwa vcc_lo, v51, v6 src0_sel:BYTE_0 src1_sel:DWORD
	v_mov_b32_e32 v12, s20
	s_add_u32 s20, s22, s28
	s_addc_u32 s21, s23, s29
	v_cndmask_b32_e32 v5, 1, v7, vcc_lo
	v_cndmask_b32_e32 v9, 0, v8, vcc_lo
	v_mul_lo_u32 v10, v5, v4
	v_mad_u64_u32 v[4:5], null, v5, v3, 0
	v_mul_lo_u32 v3, v9, v3
	v_or_b32_e32 v9, v51, v64
	v_and_b32_e32 v9, 1, v9
	v_add3_u32 v5, v5, v10, v3
	global_store_byte v6, v9, s[20:21] offset:8
	global_store_dwordx2 v6, v[4:5], s[20:21]
	s_waitcnt_vscnt null, 0x0
	buffer_gl1_inv
	buffer_gl0_inv
	global_store_byte v12, v11, s[24:25]
.LBB397_151:
	s_or_b32 exec_lo, exec_lo, s13
	v_cmp_eq_u32_e32 vcc_lo, 0, v0
	s_and_b32 exec_lo, exec_lo, vcc_lo
	s_cbranch_execz .LBB397_153
; %bb.152:
	v_mov_b32_e32 v3, 0
	ds_write_b64 v3, v[7:8] offset:112
	ds_write_b8 v3, v64 offset:120
.LBB397_153:
	s_or_b32 exec_lo, exec_lo, s14
	v_mov_b32_e32 v3, 0
	s_waitcnt lgkmcnt(0)
	s_waitcnt_vscnt null, 0x0
	s_barrier
	buffer_gl0_inv
	s_mov_b32 s6, 0
	ds_read_b64 v[51:52], v3 offset:112
	s_mov_b32 s13, exec_lo
	v_cmpx_ne_u32_e32 0, v0
	s_cbranch_execz .LBB397_155
; %bb.154:
	v_cndmask_b32_e64 v4, v55, v24, s12
	v_cndmask_b32_e64 v1, v53, v1, s12
	;; [unrolled: 1-line block ×3, first 2 shown]
	v_cmp_eq_u16_sdwa vcc_lo, v4, v3 src0_sel:BYTE_0 src1_sel:DWORD
	s_waitcnt lgkmcnt(0)
	v_cndmask_b32_e32 v4, 1, v51, vcc_lo
	v_cndmask_b32_e32 v5, 0, v52, vcc_lo
	v_mul_lo_u32 v2, v4, v2
	v_mul_lo_u32 v5, v5, v1
	v_mad_u64_u32 v[51:52], null, v4, v1, 0
	v_add3_u32 v52, v52, v2, v5
.LBB397_155:
	s_or_b32 exec_lo, exec_lo, s13
	v_cmp_eq_u16_sdwa vcc_lo, v83, v3 src0_sel:BYTE_0 src1_sel:DWORD
	s_waitcnt lgkmcnt(0)
	v_cndmask_b32_e32 v1, 1, v51, vcc_lo
	v_cndmask_b32_e32 v2, 0, v52, vcc_lo
	v_mul_lo_u32 v3, v1, v50
	v_mad_u64_u32 v[53:54], null, v1, v49, 0
	v_mul_lo_u32 v1, v2, v49
	v_add3_u32 v54, v54, v3, v1
	v_cndmask_b32_e64 v1, 1, v53, s11
	v_cndmask_b32_e64 v2, 0, v54, s11
	v_mul_lo_u32 v3, v1, v28
	v_mad_u64_u32 v[55:56], null, v1, v27, 0
	v_mul_lo_u32 v1, v2, v27
	v_add3_u32 v56, v56, v3, v1
	v_cndmask_b32_e64 v1, 1, v55, s10
	v_cndmask_b32_e64 v2, 0, v56, s10
	;; [unrolled: 6-line block ×11, first 2 shown]
	s_and_b32 vcc_lo, exec_lo, s6
	s_cbranch_vccz .LBB397_183
.LBB397_156:
	s_cmp_eq_u64 s[38:39], 0
	v_mov_b32_e32 v1, s40
	s_cselect_b32 s0, -1, 0
	s_cmp_eq_u64 s[30:31], 0
	v_mov_b32_e32 v2, s41
	s_cselect_b32 s1, -1, 0
	s_or_b32 s0, s0, s1
	s_and_b32 vcc_lo, exec_lo, s0
	s_cbranch_vccnz .LBB397_158
; %bb.157:
	v_mov_b32_e32 v1, 0
	global_load_dwordx2 v[1:2], v1, s[30:31]
.LBB397_158:
	v_mov_b32_e32 v5, 0
	v_cmp_eq_u16_e64 s15, 0, v14
	v_cmp_eq_u32_e64 s13, 1, v22
	v_cmp_eq_u32_e64 s14, 1, v19
	;; [unrolled: 1-line block ×3, first 2 shown]
	v_cmp_eq_u16_sdwa vcc_lo, v88, v5 src0_sel:BYTE_0 src1_sel:DWORD
	v_cmp_eq_u16_sdwa s0, v87, v5 src0_sel:BYTE_0 src1_sel:DWORD
	v_cmp_eq_u16_sdwa s1, v86, v5 src0_sel:BYTE_0 src1_sel:DWORD
	;; [unrolled: 1-line block ×4, first 2 shown]
	v_cndmask_b32_e32 v3, 1, v49, vcc_lo
	v_cndmask_b32_e32 v6, 0, v50, vcc_lo
	v_cmp_eq_u16_sdwa s3, v82, v5 src0_sel:BYTE_0 src1_sel:DWORD
	v_cmp_eq_u16_sdwa s7, v81, v5 src0_sel:BYTE_0 src1_sel:DWORD
	v_cmp_eq_u16_sdwa s4, v80, v5 src0_sel:BYTE_0 src1_sel:DWORD
	v_mul_lo_u32 v7, v3, v28
	v_mad_u64_u32 v[3:4], null, v3, v27, 0
	v_mul_lo_u32 v6, v6, v27
	v_cmp_eq_u16_sdwa s5, v79, v5 src0_sel:BYTE_0 src1_sel:DWORD
	v_cmp_eq_u16_sdwa s8, v77, v5 src0_sel:BYTE_0 src1_sel:DWORD
	;; [unrolled: 1-line block ×3, first 2 shown]
	v_cmp_ne_u16_sdwa s21, v17, v5 src0_sel:BYTE_0 src1_sel:DWORD
	v_cmp_ne_u16_sdwa s28, v18, v5 src0_sel:BYTE_0 src1_sel:DWORD
	v_cndmask_b32_e64 v3, 1, v3, s0
	v_cmp_ne_u16_sdwa s20, v16, v5 src0_sel:BYTE_0 src1_sel:DWORD
	v_add3_u32 v4, v4, v7, v6
	v_cmp_eq_u32_e64 s11, 1, v23
	v_cmp_ne_u16_sdwa s16, v15, v5 src0_sel:BYTE_0 src1_sel:DWORD
	v_mul_lo_u32 v7, v3, v48
	s_or_b32 s13, s21, s13
	v_cndmask_b32_e64 v4, 0, v4, s0
	s_or_b32 s14, s28, s14
	s_or_b32 s12, s20, s12
	;; [unrolled: 1-line block ×3, first 2 shown]
	v_cmp_eq_u32_e64 s10, 1, v21
	v_mul_lo_u32 v6, v4, v47
	v_mad_u64_u32 v[3:4], null, v3, v47, 0
	s_or_b32 s11, s16, s11
	s_or_b32 s12, s13, s12
	;; [unrolled: 1-line block ×4, first 2 shown]
	v_add3_u32 v4, v4, v7, v6
	v_cndmask_b32_e64 v3, 1, v3, s1
	v_cndmask_b32_e64 v8, 0, 1, s12
	;; [unrolled: 1-line block ×3, first 2 shown]
	s_mov_b32 s11, exec_lo
	v_cndmask_b32_e64 v4, 0, v4, s1
	v_mul_lo_u32 v7, v3, v46
	v_mul_lo_u32 v6, v4, v45
	v_mad_u64_u32 v[3:4], null, v3, v45, 0
	v_add3_u32 v4, v4, v7, v6
	v_cndmask_b32_e64 v3, 1, v3, s6
	v_cndmask_b32_e64 v4, 0, v4, s6
	v_mul_lo_u32 v7, v3, v44
	v_mul_lo_u32 v6, v4, v43
	v_mad_u64_u32 v[3:4], null, v3, v43, 0
	v_add3_u32 v4, v4, v7, v6
	v_cndmask_b32_e64 v3, 1, v3, s2
	;; [unrolled: 6-line block ×9, first 2 shown]
	v_and_b32_e32 v7, 15, v13
	v_cndmask_b32_e64 v4, 0, v4, s15
	v_mul_lo_u32 v10, v3, v40
	v_mad_u64_u32 v[5:6], null, v3, v39, 0
	v_mul_lo_u32 v4, v4, v39
	v_mov_b32_dpp v11, v5 row_shr:1 row_mask:0xf bank_mask:0xf
	v_add3_u32 v6, v6, v10, v4
	v_mov_b32_e32 v3, v5
	v_mov_b32_dpp v10, v8 row_shr:1 row_mask:0xf bank_mask:0xf
	v_mov_b32_dpp v12, v6 row_shr:1 row_mask:0xf bank_mask:0xf
	v_mov_b32_e32 v4, v6
	v_cmpx_ne_u32_e32 0, v7
	s_cbranch_execz .LBB397_160
; %bb.159:
	v_cndmask_b32_e64 v3, v12, 0, s12
	v_cndmask_b32_e64 v4, v11, 1, s12
	v_mul_lo_u32 v8, v3, v5
	v_mul_lo_u32 v6, v4, v6
	v_mad_u64_u32 v[3:4], null, v4, v5, 0
	v_and_b32_e32 v5, 1, v10
	v_or_b32_e32 v9, v5, v9
	v_add3_u32 v4, v4, v6, v8
	v_mov_b32_e32 v5, v3
	v_and_b32_e32 v8, 0xffff, v9
	v_mov_b32_e32 v6, v4
.LBB397_160:
	s_or_b32 exec_lo, exec_lo, s11
	v_mov_b32_dpp v11, v5 row_shr:2 row_mask:0xf bank_mask:0xf
	v_mov_b32_dpp v12, v6 row_shr:2 row_mask:0xf bank_mask:0xf
	v_mov_b32_dpp v10, v8 row_shr:2 row_mask:0xf bank_mask:0xf
	s_mov_b32 s12, exec_lo
	v_cmpx_lt_u32_e32 1, v7
	s_cbranch_execz .LBB397_162
; %bb.161:
	v_cmp_eq_u16_e64 s10, 0, v9
	v_and_b32_e32 v9, 1, v9
	v_cndmask_b32_e64 v5, 1, v11, s10
	v_cndmask_b32_e64 v8, 0, v12, s10
	v_cmp_eq_u32_e64 s10, 1, v9
	v_mul_lo_u32 v4, v5, v4
	v_mad_u64_u32 v[5:6], null, v5, v3, 0
	v_mul_lo_u32 v3, v8, v3
	v_and_b32_e32 v8, 1, v10
	v_cmp_eq_u32_e64 s11, 1, v8
	v_add3_u32 v6, v6, v4, v3
	v_mov_b32_e32 v3, v5
	s_or_b32 s10, s10, s11
	v_cndmask_b32_e64 v9, 0, 1, s10
	v_cndmask_b32_e64 v8, 0, 1, s10
	v_mov_b32_e32 v4, v6
.LBB397_162:
	s_or_b32 exec_lo, exec_lo, s12
	v_mov_b32_dpp v11, v5 row_shr:4 row_mask:0xf bank_mask:0xf
	v_mov_b32_dpp v12, v6 row_shr:4 row_mask:0xf bank_mask:0xf
	v_mov_b32_dpp v10, v8 row_shr:4 row_mask:0xf bank_mask:0xf
	s_mov_b32 s12, exec_lo
	v_cmpx_lt_u32_e32 3, v7
	s_cbranch_execz .LBB397_164
; %bb.163:
	v_cmp_eq_u16_e64 s10, 0, v9
	v_and_b32_e32 v9, 1, v9
	v_cndmask_b32_e64 v5, 1, v11, s10
	v_cndmask_b32_e64 v8, 0, v12, s10
	v_cmp_eq_u32_e64 s10, 1, v9
	v_mul_lo_u32 v4, v5, v4
	v_mad_u64_u32 v[5:6], null, v5, v3, 0
	v_mul_lo_u32 v3, v8, v3
	v_and_b32_e32 v8, 1, v10
	v_cmp_eq_u32_e64 s11, 1, v8
	v_add3_u32 v6, v6, v4, v3
	v_mov_b32_e32 v3, v5
	s_or_b32 s10, s10, s11
	v_cndmask_b32_e64 v9, 0, 1, s10
	v_cndmask_b32_e64 v8, 0, 1, s10
	v_mov_b32_e32 v4, v6
.LBB397_164:
	;; [unrolled: 25-line block ×3, first 2 shown]
	s_or_b32 exec_lo, exec_lo, s12
	ds_swizzle_b32 v7, v5 offset:swizzle(BROADCAST,32,15)
	ds_swizzle_b32 v6, v6 offset:swizzle(BROADCAST,32,15)
	ds_swizzle_b32 v5, v8 offset:swizzle(BROADCAST,32,15)
	v_and_b32_e32 v8, 16, v13
	s_mov_b32 s12, exec_lo
	v_cmpx_ne_u32_e32 0, v8
	s_cbranch_execz .LBB397_168
; %bb.167:
	v_cmp_eq_u16_e64 s10, 0, v9
	s_waitcnt lgkmcnt(0)
	v_and_b32_e32 v5, 1, v5
	v_cndmask_b32_e64 v7, 1, v7, s10
	v_cndmask_b32_e64 v8, 0, v6, s10
	v_cmp_eq_u32_e64 s11, 1, v5
	v_mul_lo_u32 v4, v7, v4
	v_mad_u64_u32 v[6:7], null, v7, v3, 0
	v_mul_lo_u32 v3, v8, v3
	v_and_b32_e32 v8, 1, v9
	v_cmp_eq_u32_e64 s10, 1, v8
	v_add3_u32 v7, v7, v4, v3
	v_mov_b32_e32 v3, v6
	s_or_b32 s10, s10, s11
	v_cndmask_b32_e64 v9, 0, 1, s10
	v_mov_b32_e32 v4, v7
.LBB397_168:
	s_or_b32 exec_lo, exec_lo, s12
	s_waitcnt lgkmcnt(1)
	v_lshrrev_b32_e32 v6, 5, v0
	s_waitcnt lgkmcnt(0)
	v_or_b32_e32 v5, 31, v0
	s_mov_b32 s11, exec_lo
	v_lshlrev_b32_e32 v10, 4, v6
	v_cmpx_eq_u32_e64 v0, v5
	s_cbranch_execz .LBB397_170
; %bb.169:
	ds_write_b64 v10, v[3:4]
	ds_write_b8 v10, v9 offset:8
.LBB397_170:
	s_or_b32 exec_lo, exec_lo, s11
	s_mov_b32 s12, exec_lo
	s_waitcnt vmcnt(0) lgkmcnt(0)
	s_barrier
	buffer_gl0_inv
	v_cmpx_gt_u32_e32 8, v0
	s_cbranch_execz .LBB397_178
; %bb.171:
	v_lshlrev_b32_e32 v11, 4, v0
	v_and_b32_e32 v12, 7, v13
	s_mov_b32 s11, exec_lo
	ds_read_b64 v[5:6], v11
	ds_read_b32 v16, v11 offset:8
	s_waitcnt lgkmcnt(1)
	v_mov_b32_dpp v19, v5 row_shr:1 row_mask:0xf bank_mask:0xf
	v_mov_b32_dpp v20, v6 row_shr:1 row_mask:0xf bank_mask:0xf
	s_waitcnt lgkmcnt(0)
	v_and_b32_e32 v15, 0xffffff00, v16
	v_mov_b32_dpp v18, v16 row_shr:1 row_mask:0xf bank_mask:0xf
	v_mov_b32_e32 v17, v16
	v_mov_b32_e32 v14, v16
	;; [unrolled: 1-line block ×4, first 2 shown]
	v_cmpx_ne_u32_e32 0, v12
	s_cbranch_execz .LBB397_173
; %bb.172:
	v_mov_b32_e32 v7, 0
	v_cmp_eq_u16_sdwa s10, v16, v7 src0_sel:BYTE_0 src1_sel:DWORD
	v_or_b32_e32 v16, v18, v16
	v_cndmask_b32_e64 v7, 1, v19, s10
	v_cndmask_b32_e64 v14, 0, v20, s10
	v_and_b32_e32 v17, 1, v16
	v_mul_lo_u32 v6, v7, v6
	v_mad_u64_u32 v[7:8], null, v7, v5, 0
	v_mul_lo_u32 v5, v14, v5
	v_and_b32_e32 v14, 1, v16
	v_or_b32_e32 v16, v14, v15
	v_add3_u32 v8, v8, v6, v5
	v_mov_b32_e32 v5, v7
	v_mov_b32_e32 v6, v8
.LBB397_173:
	s_or_b32 exec_lo, exec_lo, s11
	v_mov_b32_dpp v20, v7 row_shr:2 row_mask:0xf bank_mask:0xf
	v_mov_b32_dpp v18, v8 row_shr:2 row_mask:0xf bank_mask:0xf
	;; [unrolled: 1-line block ×3, first 2 shown]
	s_mov_b32 s13, exec_lo
	v_cmpx_lt_u32_e32 1, v12
	s_cbranch_execz .LBB397_175
; %bb.174:
	v_mov_b32_e32 v7, 0
	v_and_b32_e32 v16, 1, v19
	v_cmp_eq_u16_sdwa s10, v14, v7 src0_sel:BYTE_0 src1_sel:DWORD
	v_and_b32_e32 v14, 1, v14
	v_cmp_eq_u32_e64 s11, 1, v16
	v_cndmask_b32_e64 v7, 1, v20, s10
	v_cndmask_b32_e64 v17, 0, v18, s10
	v_cmp_eq_u32_e64 s10, 1, v14
	v_mul_lo_u32 v6, v7, v6
	v_mad_u64_u32 v[7:8], null, v7, v5, 0
	v_mul_lo_u32 v5, v17, v5
	s_or_b32 s10, s10, s11
	v_cndmask_b32_e64 v17, 0, 1, s10
	v_cndmask_b32_e64 v14, 0, 1, s10
	v_add3_u32 v8, v8, v6, v5
	v_mov_b32_e32 v5, v7
	v_or_b32_e32 v16, v15, v14
	v_mov_b32_e32 v14, v17
	v_mov_b32_e32 v6, v8
.LBB397_175:
	s_or_b32 exec_lo, exec_lo, s13
	v_mov_b32_dpp v15, v7 row_shr:4 row_mask:0xf bank_mask:0xf
	v_mov_b32_dpp v8, v8 row_shr:4 row_mask:0xf bank_mask:0xf
	;; [unrolled: 1-line block ×3, first 2 shown]
	s_mov_b32 s13, exec_lo
	v_cmpx_lt_u32_e32 3, v12
	s_cbranch_execz .LBB397_177
; %bb.176:
	v_mov_b32_e32 v12, 0
	v_and_b32_e32 v7, 1, v7
	v_cmp_eq_u16_sdwa s10, v14, v12 src0_sel:BYTE_0 src1_sel:DWORD
	v_cmp_eq_u32_e64 s11, 1, v7
	v_cndmask_b32_e64 v12, 1, v15, s10
	v_cndmask_b32_e64 v8, 0, v8, s10
	v_mul_lo_u32 v6, v12, v6
	v_mad_u64_u32 v[15:16], null, v12, v5, 0
	v_mul_lo_u32 v5, v8, v5
	v_and_b32_e32 v8, 1, v14
	v_cmp_eq_u32_e64 s10, 1, v8
	v_add3_u32 v16, v16, v6, v5
	v_mov_b32_e32 v5, v15
	s_or_b32 s10, s10, s11
	v_cndmask_b32_e64 v17, 0, 1, s10
	v_mov_b32_e32 v6, v16
.LBB397_177:
	s_or_b32 exec_lo, exec_lo, s13
	ds_write_b64 v11, v[5:6]
	ds_write_b8 v11, v17 offset:8
.LBB397_178:
	s_or_b32 exec_lo, exec_lo, s12
	v_mov_b32_e32 v6, v2
	v_mov_b32_e32 v5, v1
	s_mov_b32 s11, exec_lo
	s_waitcnt lgkmcnt(0)
	s_barrier
	buffer_gl0_inv
	v_cmpx_lt_u32_e32 31, v0
	s_cbranch_execz .LBB397_180
; %bb.179:
	v_add_nc_u32_e32 v5, -8, v10
	ds_read_u8 v7, v5
	v_add_nc_u32_e32 v5, -16, v10
	ds_read_b64 v[5:6], v5
	s_waitcnt lgkmcnt(1)
	v_cmp_eq_u16_e64 s10, 0, v7
	v_cndmask_b32_e64 v7, 1, v1, s10
	v_cndmask_b32_e64 v8, 0, v2, s10
	s_waitcnt lgkmcnt(0)
	v_mul_lo_u32 v10, v7, v6
	v_mul_lo_u32 v8, v8, v5
	v_mad_u64_u32 v[5:6], null, v7, v5, 0
	v_add3_u32 v6, v6, v10, v8
.LBB397_180:
	s_or_b32 exec_lo, exec_lo, s11
	v_cmp_eq_u16_e64 s10, 0, v9
	v_cndmask_b32_e64 v7, 1, v5, s10
	v_cndmask_b32_e64 v9, 0, v6, s10
	v_sub_co_u32 v10, s10, v13, 1
	v_mul_lo_u32 v4, v7, v4
	v_mad_u64_u32 v[7:8], null, v7, v3, 0
	v_cmp_gt_i32_e64 s11, 0, v10
	v_mul_lo_u32 v3, v9, v3
	v_cndmask_b32_e64 v9, v10, v13, s11
	v_add3_u32 v3, v8, v4, v3
	v_lshlrev_b32_e32 v9, 2, v9
	ds_bpermute_b32 v3, v9, v3
	ds_bpermute_b32 v4, v9, v7
	s_waitcnt lgkmcnt(1)
	v_cndmask_b32_e64 v52, v3, v6, s10
	s_waitcnt lgkmcnt(0)
	v_cndmask_b32_e64 v51, v4, v5, s10
	v_cmp_eq_u32_e64 s10, 0, v0
	v_mov_b32_e32 v5, 0
	v_cndmask_b32_e64 v3, v52, v2, s10
	v_cndmask_b32_e64 v4, v51, v1, s10
	v_cmp_eq_u16_sdwa s11, v83, v5 src0_sel:BYTE_0 src1_sel:DWORD
	v_cndmask_b32_e64 v3, 0, v3, s11
	v_cndmask_b32_e64 v4, 1, v4, s11
	v_mul_lo_u32 v3, v3, v49
	v_mul_lo_u32 v6, v4, v50
	v_mad_u64_u32 v[53:54], null, v4, v49, 0
	v_add3_u32 v54, v54, v6, v3
	v_cndmask_b32_e32 v3, 1, v53, vcc_lo
	v_cndmask_b32_e32 v4, 0, v54, vcc_lo
	v_mul_lo_u32 v6, v3, v28
	v_mad_u64_u32 v[55:56], null, v3, v27, 0
	v_mul_lo_u32 v3, v4, v27
	v_add3_u32 v56, v56, v6, v3
	v_cndmask_b32_e64 v3, 1, v55, s0
	v_cndmask_b32_e64 v4, 0, v56, s0
	v_mul_lo_u32 v6, v3, v48
	v_mad_u64_u32 v[59:60], null, v3, v47, 0
	v_mul_lo_u32 v3, v4, v47
	v_add3_u32 v60, v60, v6, v3
	v_cndmask_b32_e64 v3, 1, v59, s1
	v_cndmask_b32_e64 v4, 0, v60, s1
	;; [unrolled: 6-line block ×10, first 2 shown]
	s_and_saveexec_b32 s0, s10
	s_cbranch_execz .LBB397_182
; %bb.181:
	ds_read_u8 v8, v5 offset:120
	ds_read_b64 v[6:7], v5 offset:112
	v_mov_b32_e32 v52, v2
	v_mov_b32_e32 v51, v1
	s_waitcnt lgkmcnt(1)
	v_cmp_eq_u32_sdwa vcc_lo, v8, v5 src0_sel:WORD_0 src1_sel:DWORD
	v_cndmask_b32_e32 v10, 1, v1, vcc_lo
	v_cndmask_b32_e32 v9, 0, v2, vcc_lo
	s_waitcnt lgkmcnt(0)
	v_mul_lo_u32 v7, v10, v7
	v_mul_hi_u32 v11, v10, v6
	v_mul_lo_u32 v9, v9, v6
	v_mul_lo_u32 v6, v10, v6
	v_add_nc_u32_e32 v7, v11, v7
	v_add_nc_u32_e32 v7, v7, v9
	v_mov_b32_e32 v9, 2
	global_store_byte v5, v8, s[22:23] offset:520
	global_store_dwordx2 v5, v[6:7], s[22:23] offset:512
	s_waitcnt_vscnt null, 0x0
	buffer_gl1_inv
	buffer_gl0_inv
	global_store_byte v5, v9, s[24:25] offset:32
.LBB397_182:
	s_or_b32 exec_lo, exec_lo, s0
.LBB397_183:
	v_mul_lo_u32 v1, v4, v25
	v_mul_lo_u32 v2, v3, v26
	v_mad_u64_u32 v[25:26], null, v3, v25, 0
	s_add_u32 s0, s18, s34
	s_addc_u32 s1, s19, s35
	s_add_u32 s0, s0, s36
	s_addc_u32 s1, s1, s37
	s_and_b32 vcc_lo, exec_lo, s17
	v_add3_u32 v26, v26, v2, v1
	s_cbranch_vccz .LBB397_227
; %bb.184:
	v_mul_u32_u24_e32 v1, 13, v0
	s_add_i32 s27, s27, s26
	s_mov_b32 s2, exec_lo
	v_cmpx_gt_u32_e64 s27, v1
	s_cbranch_execz .LBB397_202
; %bb.185:
	v_add_nc_u32_e32 v2, 1, v1
	s_mov_b32 s3, exec_lo
	v_cmpx_gt_u32_e64 s27, v2
	s_cbranch_execz .LBB397_201
; %bb.186:
	v_add_nc_u32_e32 v2, 2, v1
	;; [unrolled: 5-line block ×8, first 2 shown]
	s_mov_b32 s10, exec_lo
	v_cmpx_gt_u32_e64 s27, v2
; %bb.193:
	v_add_nc_u32_e32 v2, 9, v1
	s_mov_b32 s11, exec_lo
	v_cmpx_gt_u32_e64 s27, v2
	s_or_b32 exec_lo, exec_lo, s11
; %bb.194:
	s_or_b32 exec_lo, exec_lo, s10
.LBB397_195:
	s_or_b32 exec_lo, exec_lo, s9
.LBB397_196:
	s_or_b32 exec_lo, exec_lo, s8
.LBB397_197:
	s_or_b32 exec_lo, exec_lo, s7
.LBB397_198:
	s_or_b32 exec_lo, exec_lo, s6
.LBB397_199:
	s_or_b32 exec_lo, exec_lo, s5
.LBB397_200:
	s_or_b32 exec_lo, exec_lo, s4
.LBB397_201:
	s_or_b32 exec_lo, exec_lo, s3
.LBB397_202:
	s_or_b32 exec_lo, exec_lo, s2
	v_lshlrev_b32_e32 v29, 3, v1
	s_waitcnt_vscnt null, 0x0
	s_barrier
	buffer_gl0_inv
	v_add_co_u32 v27, s2, s0, v75
	v_mad_i32_i24 v1, 0xffffffa0, v0, v29
	ds_write2_b64 v29, v[51:52], v[53:54] offset1:1
	ds_write2_b64 v29, v[55:56], v[59:60] offset0:2 offset1:3
	ds_write2_b64 v29, v[57:58], v[61:62] offset0:4 offset1:5
	;; [unrolled: 1-line block ×5, first 2 shown]
	ds_write_b64 v29, v[25:26] offset:96
	s_waitcnt lgkmcnt(0)
	s_barrier
	buffer_gl0_inv
	ds_read2st64_b64 v[21:24], v1 offset0:4 offset1:8
	ds_read2st64_b64 v[17:20], v1 offset0:12 offset1:16
	;; [unrolled: 1-line block ×6, first 2 shown]
	v_add_co_ci_u32_e64 v28, null, s1, 0, s2
	s_mov_b32 s2, exec_lo
	v_cmpx_gt_u32_e64 s27, v0
	s_cbranch_execz .LBB397_204
; %bb.203:
	v_mul_i32_i24_e32 v30, 0xffffffa0, v0
	v_add_nc_u32_e32 v29, v29, v30
	ds_read_b64 v[29:30], v29
	s_waitcnt lgkmcnt(0)
	flat_store_dwordx2 v[27:28], v[29:30]
.LBB397_204:
	s_or_b32 exec_lo, exec_lo, s2
	v_or_b32_e32 v29, 0x100, v0
	s_mov_b32 s2, exec_lo
	v_cmpx_gt_u32_e64 s27, v29
	s_cbranch_execz .LBB397_206
; %bb.205:
	v_add_co_u32 v29, vcc_lo, 0x800, v27
	v_add_co_ci_u32_e64 v30, null, 0, v28, vcc_lo
	s_waitcnt lgkmcnt(5)
	flat_store_dwordx2 v[29:30], v[21:22]
.LBB397_206:
	s_or_b32 exec_lo, exec_lo, s2
	s_waitcnt lgkmcnt(5)
	v_or_b32_e32 v21, 0x200, v0
	s_mov_b32 s2, exec_lo
	v_cmpx_gt_u32_e64 s27, v21
	s_cbranch_execz .LBB397_208
; %bb.207:
	v_add_co_u32 v21, vcc_lo, 0x1000, v27
	v_add_co_ci_u32_e64 v22, null, 0, v28, vcc_lo
	flat_store_dwordx2 v[21:22], v[23:24]
.LBB397_208:
	s_or_b32 exec_lo, exec_lo, s2
	v_or_b32_e32 v21, 0x300, v0
	s_mov_b32 s2, exec_lo
	v_cmpx_gt_u32_e64 s27, v21
	s_cbranch_execz .LBB397_210
; %bb.209:
	v_add_co_u32 v21, vcc_lo, 0x1800, v27
	v_add_co_ci_u32_e64 v22, null, 0, v28, vcc_lo
	s_waitcnt lgkmcnt(4)
	flat_store_dwordx2 v[21:22], v[17:18]
.LBB397_210:
	s_or_b32 exec_lo, exec_lo, s2
	s_waitcnt lgkmcnt(4)
	v_or_b32_e32 v17, 0x400, v0
	s_mov_b32 s2, exec_lo
	v_cmpx_gt_u32_e64 s27, v17
	s_cbranch_execz .LBB397_212
; %bb.211:
	v_add_co_u32 v17, vcc_lo, 0x2000, v27
	v_add_co_ci_u32_e64 v18, null, 0, v28, vcc_lo
	flat_store_dwordx2 v[17:18], v[19:20]
.LBB397_212:
	;; [unrolled: 22-line block ×5, first 2 shown]
	s_or_b32 exec_lo, exec_lo, s2
	v_or_b32_e32 v5, 0xb00, v0
	s_mov_b32 s2, exec_lo
	v_cmpx_gt_u32_e64 s27, v5
	s_cbranch_execz .LBB397_226
; %bb.225:
	v_add_co_u32 v5, vcc_lo, 0x5800, v27
	v_add_co_ci_u32_e64 v6, null, 0, v28, vcc_lo
	s_waitcnt lgkmcnt(0)
	flat_store_dwordx2 v[5:6], v[1:2]
.LBB397_226:
	s_or_b32 exec_lo, exec_lo, s2
	s_waitcnt lgkmcnt(0)
	v_or_b32_e32 v1, 0xc00, v0
	v_cmp_gt_u32_e64 s2, s27, v1
	s_branch .LBB397_229
.LBB397_227:
	s_mov_b32 s2, 0
                                        ; implicit-def: $vgpr3_vgpr4
	s_cbranch_execz .LBB397_229
; %bb.228:
	v_mul_i32_i24_e32 v2, 0xffffffa0, v0
	v_mul_u32_u24_e32 v1, 0x68, v0
	s_waitcnt_vscnt null, 0x0
	s_barrier
	buffer_gl0_inv
	v_mad_u32_u24 v3, 0x68, v0, v2
	ds_write2_b64 v1, v[51:52], v[53:54] offset1:1
	ds_write2_b64 v1, v[55:56], v[59:60] offset0:2 offset1:3
	ds_write2_b64 v1, v[57:58], v[61:62] offset0:4 offset1:5
	;; [unrolled: 1-line block ×5, first 2 shown]
	ds_write_b64 v1, v[25:26] offset:96
	s_waitcnt lgkmcnt(0)
	s_barrier
	buffer_gl0_inv
	ds_read2st64_b64 v[5:8], v3 offset1:4
	ds_read2st64_b64 v[9:12], v3 offset0:8 offset1:12
	ds_read2st64_b64 v[13:16], v3 offset0:16 offset1:20
	ds_read2st64_b64 v[17:20], v3 offset0:24 offset1:28
	v_add_co_u32 v1, s3, s0, v75
	v_add_co_ci_u32_e64 v2, null, s1, 0, s3
	ds_read2st64_b64 v[21:24], v3 offset0:32 offset1:36
	v_add_co_u32 v29, vcc_lo, 0x800, v1
	v_add_co_ci_u32_e64 v30, null, 0, v2, vcc_lo
	v_add_co_u32 v31, vcc_lo, 0x1000, v1
	v_add_co_ci_u32_e64 v32, null, 0, v2, vcc_lo
	ds_read2st64_b64 v[25:28], v3 offset0:40 offset1:44
	ds_read_b64 v[3:4], v3 offset:24576
	s_or_b32 s2, s2, exec_lo
	s_waitcnt lgkmcnt(6)
	flat_store_dwordx2 v[1:2], v[5:6]
	flat_store_dwordx2 v[29:30], v[7:8]
	s_waitcnt lgkmcnt(7)
	flat_store_dwordx2 v[31:32], v[9:10]
	v_add_co_u32 v5, vcc_lo, 0x1800, v1
	v_add_co_ci_u32_e64 v6, null, 0, v2, vcc_lo
	v_add_co_u32 v7, vcc_lo, 0x2000, v1
	v_add_co_ci_u32_e64 v8, null, 0, v2, vcc_lo
	;; [unrolled: 2-line block ×5, first 2 shown]
	flat_store_dwordx2 v[5:6], v[11:12]
	s_waitcnt lgkmcnt(8)
	flat_store_dwordx2 v[7:8], v[13:14]
	flat_store_dwordx2 v[9:10], v[15:16]
	s_waitcnt lgkmcnt(9)
	flat_store_dwordx2 v[29:30], v[17:18]
	flat_store_dwordx2 v[31:32], v[19:20]
	v_add_co_u32 v5, vcc_lo, 0x4000, v1
	v_add_co_ci_u32_e64 v6, null, 0, v2, vcc_lo
	v_add_co_u32 v7, vcc_lo, 0x4800, v1
	v_add_co_ci_u32_e64 v8, null, 0, v2, vcc_lo
	;; [unrolled: 2-line block ×4, first 2 shown]
	s_waitcnt lgkmcnt(10)
	flat_store_dwordx2 v[5:6], v[21:22]
	flat_store_dwordx2 v[7:8], v[23:24]
	s_waitcnt lgkmcnt(11)
	flat_store_dwordx2 v[9:10], v[25:26]
	flat_store_dwordx2 v[1:2], v[27:28]
.LBB397_229:
	s_and_saveexec_b32 s3, s2
	s_cbranch_execz .LBB397_231
; %bb.230:
	v_lshlrev_b32_e32 v0, 3, v0
	v_add_co_u32 v0, s0, s0, v0
	v_add_co_ci_u32_e64 v1, null, s1, 0, s0
	v_add_co_u32 v0, vcc_lo, 0x6000, v0
	v_add_co_ci_u32_e64 v1, null, 0, v1, vcc_lo
	s_waitcnt lgkmcnt(12)
	flat_store_dwordx2 v[0:1], v[3:4]
	s_endpgm
.LBB397_231:
	s_endpgm
	.section	.rodata,"a",@progbits
	.p2align	6, 0x0
	.amdhsa_kernel _ZN7rocprim17ROCPRIM_400000_NS6detail17trampoline_kernelINS0_14default_configENS1_27scan_by_key_config_selectorIxxEEZZNS1_16scan_by_key_implILNS1_25lookback_scan_determinismE0ELb1ES3_N6thrust23THRUST_200600_302600_NS6detail15normal_iteratorINS9_10device_ptrIxEEEESE_SE_xNS9_10multipliesIxEENS9_8equal_toIxEExEE10hipError_tPvRmT2_T3_T4_T5_mT6_T7_P12ihipStream_tbENKUlT_T0_E_clISt17integral_constantIbLb0EESZ_EEDaSU_SV_EUlSU_E_NS1_11comp_targetILNS1_3genE8ELNS1_11target_archE1030ELNS1_3gpuE2ELNS1_3repE0EEENS1_30default_config_static_selectorELNS0_4arch9wavefront6targetE0EEEvT1_
		.amdhsa_group_segment_fixed_size 30720
		.amdhsa_private_segment_fixed_size 0
		.amdhsa_kernarg_size 136
		.amdhsa_user_sgpr_count 6
		.amdhsa_user_sgpr_private_segment_buffer 1
		.amdhsa_user_sgpr_dispatch_ptr 0
		.amdhsa_user_sgpr_queue_ptr 0
		.amdhsa_user_sgpr_kernarg_segment_ptr 1
		.amdhsa_user_sgpr_dispatch_id 0
		.amdhsa_user_sgpr_flat_scratch_init 0
		.amdhsa_user_sgpr_private_segment_size 0
		.amdhsa_wavefront_size32 1
		.amdhsa_uses_dynamic_stack 0
		.amdhsa_system_sgpr_private_segment_wavefront_offset 0
		.amdhsa_system_sgpr_workgroup_id_x 1
		.amdhsa_system_sgpr_workgroup_id_y 0
		.amdhsa_system_sgpr_workgroup_id_z 0
		.amdhsa_system_sgpr_workgroup_info 0
		.amdhsa_system_vgpr_workitem_id 0
		.amdhsa_next_free_vgpr 113
		.amdhsa_next_free_sgpr 55
		.amdhsa_reserve_vcc 1
		.amdhsa_reserve_flat_scratch 1
		.amdhsa_float_round_mode_32 0
		.amdhsa_float_round_mode_16_64 0
		.amdhsa_float_denorm_mode_32 3
		.amdhsa_float_denorm_mode_16_64 3
		.amdhsa_dx10_clamp 1
		.amdhsa_ieee_mode 1
		.amdhsa_fp16_overflow 0
		.amdhsa_workgroup_processor_mode 1
		.amdhsa_memory_ordered 1
		.amdhsa_forward_progress 1
		.amdhsa_shared_vgpr_count 0
		.amdhsa_exception_fp_ieee_invalid_op 0
		.amdhsa_exception_fp_denorm_src 0
		.amdhsa_exception_fp_ieee_div_zero 0
		.amdhsa_exception_fp_ieee_overflow 0
		.amdhsa_exception_fp_ieee_underflow 0
		.amdhsa_exception_fp_ieee_inexact 0
		.amdhsa_exception_int_div_zero 0
	.end_amdhsa_kernel
	.section	.text._ZN7rocprim17ROCPRIM_400000_NS6detail17trampoline_kernelINS0_14default_configENS1_27scan_by_key_config_selectorIxxEEZZNS1_16scan_by_key_implILNS1_25lookback_scan_determinismE0ELb1ES3_N6thrust23THRUST_200600_302600_NS6detail15normal_iteratorINS9_10device_ptrIxEEEESE_SE_xNS9_10multipliesIxEENS9_8equal_toIxEExEE10hipError_tPvRmT2_T3_T4_T5_mT6_T7_P12ihipStream_tbENKUlT_T0_E_clISt17integral_constantIbLb0EESZ_EEDaSU_SV_EUlSU_E_NS1_11comp_targetILNS1_3genE8ELNS1_11target_archE1030ELNS1_3gpuE2ELNS1_3repE0EEENS1_30default_config_static_selectorELNS0_4arch9wavefront6targetE0EEEvT1_,"axG",@progbits,_ZN7rocprim17ROCPRIM_400000_NS6detail17trampoline_kernelINS0_14default_configENS1_27scan_by_key_config_selectorIxxEEZZNS1_16scan_by_key_implILNS1_25lookback_scan_determinismE0ELb1ES3_N6thrust23THRUST_200600_302600_NS6detail15normal_iteratorINS9_10device_ptrIxEEEESE_SE_xNS9_10multipliesIxEENS9_8equal_toIxEExEE10hipError_tPvRmT2_T3_T4_T5_mT6_T7_P12ihipStream_tbENKUlT_T0_E_clISt17integral_constantIbLb0EESZ_EEDaSU_SV_EUlSU_E_NS1_11comp_targetILNS1_3genE8ELNS1_11target_archE1030ELNS1_3gpuE2ELNS1_3repE0EEENS1_30default_config_static_selectorELNS0_4arch9wavefront6targetE0EEEvT1_,comdat
.Lfunc_end397:
	.size	_ZN7rocprim17ROCPRIM_400000_NS6detail17trampoline_kernelINS0_14default_configENS1_27scan_by_key_config_selectorIxxEEZZNS1_16scan_by_key_implILNS1_25lookback_scan_determinismE0ELb1ES3_N6thrust23THRUST_200600_302600_NS6detail15normal_iteratorINS9_10device_ptrIxEEEESE_SE_xNS9_10multipliesIxEENS9_8equal_toIxEExEE10hipError_tPvRmT2_T3_T4_T5_mT6_T7_P12ihipStream_tbENKUlT_T0_E_clISt17integral_constantIbLb0EESZ_EEDaSU_SV_EUlSU_E_NS1_11comp_targetILNS1_3genE8ELNS1_11target_archE1030ELNS1_3gpuE2ELNS1_3repE0EEENS1_30default_config_static_selectorELNS0_4arch9wavefront6targetE0EEEvT1_, .Lfunc_end397-_ZN7rocprim17ROCPRIM_400000_NS6detail17trampoline_kernelINS0_14default_configENS1_27scan_by_key_config_selectorIxxEEZZNS1_16scan_by_key_implILNS1_25lookback_scan_determinismE0ELb1ES3_N6thrust23THRUST_200600_302600_NS6detail15normal_iteratorINS9_10device_ptrIxEEEESE_SE_xNS9_10multipliesIxEENS9_8equal_toIxEExEE10hipError_tPvRmT2_T3_T4_T5_mT6_T7_P12ihipStream_tbENKUlT_T0_E_clISt17integral_constantIbLb0EESZ_EEDaSU_SV_EUlSU_E_NS1_11comp_targetILNS1_3genE8ELNS1_11target_archE1030ELNS1_3gpuE2ELNS1_3repE0EEENS1_30default_config_static_selectorELNS0_4arch9wavefront6targetE0EEEvT1_
                                        ; -- End function
	.set _ZN7rocprim17ROCPRIM_400000_NS6detail17trampoline_kernelINS0_14default_configENS1_27scan_by_key_config_selectorIxxEEZZNS1_16scan_by_key_implILNS1_25lookback_scan_determinismE0ELb1ES3_N6thrust23THRUST_200600_302600_NS6detail15normal_iteratorINS9_10device_ptrIxEEEESE_SE_xNS9_10multipliesIxEENS9_8equal_toIxEExEE10hipError_tPvRmT2_T3_T4_T5_mT6_T7_P12ihipStream_tbENKUlT_T0_E_clISt17integral_constantIbLb0EESZ_EEDaSU_SV_EUlSU_E_NS1_11comp_targetILNS1_3genE8ELNS1_11target_archE1030ELNS1_3gpuE2ELNS1_3repE0EEENS1_30default_config_static_selectorELNS0_4arch9wavefront6targetE0EEEvT1_.num_vgpr, 103
	.set _ZN7rocprim17ROCPRIM_400000_NS6detail17trampoline_kernelINS0_14default_configENS1_27scan_by_key_config_selectorIxxEEZZNS1_16scan_by_key_implILNS1_25lookback_scan_determinismE0ELb1ES3_N6thrust23THRUST_200600_302600_NS6detail15normal_iteratorINS9_10device_ptrIxEEEESE_SE_xNS9_10multipliesIxEENS9_8equal_toIxEExEE10hipError_tPvRmT2_T3_T4_T5_mT6_T7_P12ihipStream_tbENKUlT_T0_E_clISt17integral_constantIbLb0EESZ_EEDaSU_SV_EUlSU_E_NS1_11comp_targetILNS1_3genE8ELNS1_11target_archE1030ELNS1_3gpuE2ELNS1_3repE0EEENS1_30default_config_static_selectorELNS0_4arch9wavefront6targetE0EEEvT1_.num_agpr, 0
	.set _ZN7rocprim17ROCPRIM_400000_NS6detail17trampoline_kernelINS0_14default_configENS1_27scan_by_key_config_selectorIxxEEZZNS1_16scan_by_key_implILNS1_25lookback_scan_determinismE0ELb1ES3_N6thrust23THRUST_200600_302600_NS6detail15normal_iteratorINS9_10device_ptrIxEEEESE_SE_xNS9_10multipliesIxEENS9_8equal_toIxEExEE10hipError_tPvRmT2_T3_T4_T5_mT6_T7_P12ihipStream_tbENKUlT_T0_E_clISt17integral_constantIbLb0EESZ_EEDaSU_SV_EUlSU_E_NS1_11comp_targetILNS1_3genE8ELNS1_11target_archE1030ELNS1_3gpuE2ELNS1_3repE0EEENS1_30default_config_static_selectorELNS0_4arch9wavefront6targetE0EEEvT1_.numbered_sgpr, 55
	.set _ZN7rocprim17ROCPRIM_400000_NS6detail17trampoline_kernelINS0_14default_configENS1_27scan_by_key_config_selectorIxxEEZZNS1_16scan_by_key_implILNS1_25lookback_scan_determinismE0ELb1ES3_N6thrust23THRUST_200600_302600_NS6detail15normal_iteratorINS9_10device_ptrIxEEEESE_SE_xNS9_10multipliesIxEENS9_8equal_toIxEExEE10hipError_tPvRmT2_T3_T4_T5_mT6_T7_P12ihipStream_tbENKUlT_T0_E_clISt17integral_constantIbLb0EESZ_EEDaSU_SV_EUlSU_E_NS1_11comp_targetILNS1_3genE8ELNS1_11target_archE1030ELNS1_3gpuE2ELNS1_3repE0EEENS1_30default_config_static_selectorELNS0_4arch9wavefront6targetE0EEEvT1_.num_named_barrier, 0
	.set _ZN7rocprim17ROCPRIM_400000_NS6detail17trampoline_kernelINS0_14default_configENS1_27scan_by_key_config_selectorIxxEEZZNS1_16scan_by_key_implILNS1_25lookback_scan_determinismE0ELb1ES3_N6thrust23THRUST_200600_302600_NS6detail15normal_iteratorINS9_10device_ptrIxEEEESE_SE_xNS9_10multipliesIxEENS9_8equal_toIxEExEE10hipError_tPvRmT2_T3_T4_T5_mT6_T7_P12ihipStream_tbENKUlT_T0_E_clISt17integral_constantIbLb0EESZ_EEDaSU_SV_EUlSU_E_NS1_11comp_targetILNS1_3genE8ELNS1_11target_archE1030ELNS1_3gpuE2ELNS1_3repE0EEENS1_30default_config_static_selectorELNS0_4arch9wavefront6targetE0EEEvT1_.private_seg_size, 0
	.set _ZN7rocprim17ROCPRIM_400000_NS6detail17trampoline_kernelINS0_14default_configENS1_27scan_by_key_config_selectorIxxEEZZNS1_16scan_by_key_implILNS1_25lookback_scan_determinismE0ELb1ES3_N6thrust23THRUST_200600_302600_NS6detail15normal_iteratorINS9_10device_ptrIxEEEESE_SE_xNS9_10multipliesIxEENS9_8equal_toIxEExEE10hipError_tPvRmT2_T3_T4_T5_mT6_T7_P12ihipStream_tbENKUlT_T0_E_clISt17integral_constantIbLb0EESZ_EEDaSU_SV_EUlSU_E_NS1_11comp_targetILNS1_3genE8ELNS1_11target_archE1030ELNS1_3gpuE2ELNS1_3repE0EEENS1_30default_config_static_selectorELNS0_4arch9wavefront6targetE0EEEvT1_.uses_vcc, 1
	.set _ZN7rocprim17ROCPRIM_400000_NS6detail17trampoline_kernelINS0_14default_configENS1_27scan_by_key_config_selectorIxxEEZZNS1_16scan_by_key_implILNS1_25lookback_scan_determinismE0ELb1ES3_N6thrust23THRUST_200600_302600_NS6detail15normal_iteratorINS9_10device_ptrIxEEEESE_SE_xNS9_10multipliesIxEENS9_8equal_toIxEExEE10hipError_tPvRmT2_T3_T4_T5_mT6_T7_P12ihipStream_tbENKUlT_T0_E_clISt17integral_constantIbLb0EESZ_EEDaSU_SV_EUlSU_E_NS1_11comp_targetILNS1_3genE8ELNS1_11target_archE1030ELNS1_3gpuE2ELNS1_3repE0EEENS1_30default_config_static_selectorELNS0_4arch9wavefront6targetE0EEEvT1_.uses_flat_scratch, 1
	.set _ZN7rocprim17ROCPRIM_400000_NS6detail17trampoline_kernelINS0_14default_configENS1_27scan_by_key_config_selectorIxxEEZZNS1_16scan_by_key_implILNS1_25lookback_scan_determinismE0ELb1ES3_N6thrust23THRUST_200600_302600_NS6detail15normal_iteratorINS9_10device_ptrIxEEEESE_SE_xNS9_10multipliesIxEENS9_8equal_toIxEExEE10hipError_tPvRmT2_T3_T4_T5_mT6_T7_P12ihipStream_tbENKUlT_T0_E_clISt17integral_constantIbLb0EESZ_EEDaSU_SV_EUlSU_E_NS1_11comp_targetILNS1_3genE8ELNS1_11target_archE1030ELNS1_3gpuE2ELNS1_3repE0EEENS1_30default_config_static_selectorELNS0_4arch9wavefront6targetE0EEEvT1_.has_dyn_sized_stack, 0
	.set _ZN7rocprim17ROCPRIM_400000_NS6detail17trampoline_kernelINS0_14default_configENS1_27scan_by_key_config_selectorIxxEEZZNS1_16scan_by_key_implILNS1_25lookback_scan_determinismE0ELb1ES3_N6thrust23THRUST_200600_302600_NS6detail15normal_iteratorINS9_10device_ptrIxEEEESE_SE_xNS9_10multipliesIxEENS9_8equal_toIxEExEE10hipError_tPvRmT2_T3_T4_T5_mT6_T7_P12ihipStream_tbENKUlT_T0_E_clISt17integral_constantIbLb0EESZ_EEDaSU_SV_EUlSU_E_NS1_11comp_targetILNS1_3genE8ELNS1_11target_archE1030ELNS1_3gpuE2ELNS1_3repE0EEENS1_30default_config_static_selectorELNS0_4arch9wavefront6targetE0EEEvT1_.has_recursion, 0
	.set _ZN7rocprim17ROCPRIM_400000_NS6detail17trampoline_kernelINS0_14default_configENS1_27scan_by_key_config_selectorIxxEEZZNS1_16scan_by_key_implILNS1_25lookback_scan_determinismE0ELb1ES3_N6thrust23THRUST_200600_302600_NS6detail15normal_iteratorINS9_10device_ptrIxEEEESE_SE_xNS9_10multipliesIxEENS9_8equal_toIxEExEE10hipError_tPvRmT2_T3_T4_T5_mT6_T7_P12ihipStream_tbENKUlT_T0_E_clISt17integral_constantIbLb0EESZ_EEDaSU_SV_EUlSU_E_NS1_11comp_targetILNS1_3genE8ELNS1_11target_archE1030ELNS1_3gpuE2ELNS1_3repE0EEENS1_30default_config_static_selectorELNS0_4arch9wavefront6targetE0EEEvT1_.has_indirect_call, 0
	.section	.AMDGPU.csdata,"",@progbits
; Kernel info:
; codeLenInByte = 17256
; TotalNumSgprs: 57
; NumVgprs: 103
; ScratchSize: 0
; MemoryBound: 0
; FloatMode: 240
; IeeeMode: 1
; LDSByteSize: 30720 bytes/workgroup (compile time only)
; SGPRBlocks: 0
; VGPRBlocks: 14
; NumSGPRsForWavesPerEU: 57
; NumVGPRsForWavesPerEU: 113
; Occupancy: 8
; WaveLimiterHint : 1
; COMPUTE_PGM_RSRC2:SCRATCH_EN: 0
; COMPUTE_PGM_RSRC2:USER_SGPR: 6
; COMPUTE_PGM_RSRC2:TRAP_HANDLER: 0
; COMPUTE_PGM_RSRC2:TGID_X_EN: 1
; COMPUTE_PGM_RSRC2:TGID_Y_EN: 0
; COMPUTE_PGM_RSRC2:TGID_Z_EN: 0
; COMPUTE_PGM_RSRC2:TIDIG_COMP_CNT: 0
	.section	.text._ZN7rocprim17ROCPRIM_400000_NS6detail17trampoline_kernelINS0_14default_configENS1_27scan_by_key_config_selectorIxxEEZZNS1_16scan_by_key_implILNS1_25lookback_scan_determinismE0ELb1ES3_N6thrust23THRUST_200600_302600_NS6detail15normal_iteratorINS9_10device_ptrIxEEEESE_SE_xNS9_10multipliesIxEENS9_8equal_toIxEExEE10hipError_tPvRmT2_T3_T4_T5_mT6_T7_P12ihipStream_tbENKUlT_T0_E_clISt17integral_constantIbLb1EESZ_EEDaSU_SV_EUlSU_E_NS1_11comp_targetILNS1_3genE0ELNS1_11target_archE4294967295ELNS1_3gpuE0ELNS1_3repE0EEENS1_30default_config_static_selectorELNS0_4arch9wavefront6targetE0EEEvT1_,"axG",@progbits,_ZN7rocprim17ROCPRIM_400000_NS6detail17trampoline_kernelINS0_14default_configENS1_27scan_by_key_config_selectorIxxEEZZNS1_16scan_by_key_implILNS1_25lookback_scan_determinismE0ELb1ES3_N6thrust23THRUST_200600_302600_NS6detail15normal_iteratorINS9_10device_ptrIxEEEESE_SE_xNS9_10multipliesIxEENS9_8equal_toIxEExEE10hipError_tPvRmT2_T3_T4_T5_mT6_T7_P12ihipStream_tbENKUlT_T0_E_clISt17integral_constantIbLb1EESZ_EEDaSU_SV_EUlSU_E_NS1_11comp_targetILNS1_3genE0ELNS1_11target_archE4294967295ELNS1_3gpuE0ELNS1_3repE0EEENS1_30default_config_static_selectorELNS0_4arch9wavefront6targetE0EEEvT1_,comdat
	.protected	_ZN7rocprim17ROCPRIM_400000_NS6detail17trampoline_kernelINS0_14default_configENS1_27scan_by_key_config_selectorIxxEEZZNS1_16scan_by_key_implILNS1_25lookback_scan_determinismE0ELb1ES3_N6thrust23THRUST_200600_302600_NS6detail15normal_iteratorINS9_10device_ptrIxEEEESE_SE_xNS9_10multipliesIxEENS9_8equal_toIxEExEE10hipError_tPvRmT2_T3_T4_T5_mT6_T7_P12ihipStream_tbENKUlT_T0_E_clISt17integral_constantIbLb1EESZ_EEDaSU_SV_EUlSU_E_NS1_11comp_targetILNS1_3genE0ELNS1_11target_archE4294967295ELNS1_3gpuE0ELNS1_3repE0EEENS1_30default_config_static_selectorELNS0_4arch9wavefront6targetE0EEEvT1_ ; -- Begin function _ZN7rocprim17ROCPRIM_400000_NS6detail17trampoline_kernelINS0_14default_configENS1_27scan_by_key_config_selectorIxxEEZZNS1_16scan_by_key_implILNS1_25lookback_scan_determinismE0ELb1ES3_N6thrust23THRUST_200600_302600_NS6detail15normal_iteratorINS9_10device_ptrIxEEEESE_SE_xNS9_10multipliesIxEENS9_8equal_toIxEExEE10hipError_tPvRmT2_T3_T4_T5_mT6_T7_P12ihipStream_tbENKUlT_T0_E_clISt17integral_constantIbLb1EESZ_EEDaSU_SV_EUlSU_E_NS1_11comp_targetILNS1_3genE0ELNS1_11target_archE4294967295ELNS1_3gpuE0ELNS1_3repE0EEENS1_30default_config_static_selectorELNS0_4arch9wavefront6targetE0EEEvT1_
	.globl	_ZN7rocprim17ROCPRIM_400000_NS6detail17trampoline_kernelINS0_14default_configENS1_27scan_by_key_config_selectorIxxEEZZNS1_16scan_by_key_implILNS1_25lookback_scan_determinismE0ELb1ES3_N6thrust23THRUST_200600_302600_NS6detail15normal_iteratorINS9_10device_ptrIxEEEESE_SE_xNS9_10multipliesIxEENS9_8equal_toIxEExEE10hipError_tPvRmT2_T3_T4_T5_mT6_T7_P12ihipStream_tbENKUlT_T0_E_clISt17integral_constantIbLb1EESZ_EEDaSU_SV_EUlSU_E_NS1_11comp_targetILNS1_3genE0ELNS1_11target_archE4294967295ELNS1_3gpuE0ELNS1_3repE0EEENS1_30default_config_static_selectorELNS0_4arch9wavefront6targetE0EEEvT1_
	.p2align	8
	.type	_ZN7rocprim17ROCPRIM_400000_NS6detail17trampoline_kernelINS0_14default_configENS1_27scan_by_key_config_selectorIxxEEZZNS1_16scan_by_key_implILNS1_25lookback_scan_determinismE0ELb1ES3_N6thrust23THRUST_200600_302600_NS6detail15normal_iteratorINS9_10device_ptrIxEEEESE_SE_xNS9_10multipliesIxEENS9_8equal_toIxEExEE10hipError_tPvRmT2_T3_T4_T5_mT6_T7_P12ihipStream_tbENKUlT_T0_E_clISt17integral_constantIbLb1EESZ_EEDaSU_SV_EUlSU_E_NS1_11comp_targetILNS1_3genE0ELNS1_11target_archE4294967295ELNS1_3gpuE0ELNS1_3repE0EEENS1_30default_config_static_selectorELNS0_4arch9wavefront6targetE0EEEvT1_,@function
_ZN7rocprim17ROCPRIM_400000_NS6detail17trampoline_kernelINS0_14default_configENS1_27scan_by_key_config_selectorIxxEEZZNS1_16scan_by_key_implILNS1_25lookback_scan_determinismE0ELb1ES3_N6thrust23THRUST_200600_302600_NS6detail15normal_iteratorINS9_10device_ptrIxEEEESE_SE_xNS9_10multipliesIxEENS9_8equal_toIxEExEE10hipError_tPvRmT2_T3_T4_T5_mT6_T7_P12ihipStream_tbENKUlT_T0_E_clISt17integral_constantIbLb1EESZ_EEDaSU_SV_EUlSU_E_NS1_11comp_targetILNS1_3genE0ELNS1_11target_archE4294967295ELNS1_3gpuE0ELNS1_3repE0EEENS1_30default_config_static_selectorELNS0_4arch9wavefront6targetE0EEEvT1_: ; @_ZN7rocprim17ROCPRIM_400000_NS6detail17trampoline_kernelINS0_14default_configENS1_27scan_by_key_config_selectorIxxEEZZNS1_16scan_by_key_implILNS1_25lookback_scan_determinismE0ELb1ES3_N6thrust23THRUST_200600_302600_NS6detail15normal_iteratorINS9_10device_ptrIxEEEESE_SE_xNS9_10multipliesIxEENS9_8equal_toIxEExEE10hipError_tPvRmT2_T3_T4_T5_mT6_T7_P12ihipStream_tbENKUlT_T0_E_clISt17integral_constantIbLb1EESZ_EEDaSU_SV_EUlSU_E_NS1_11comp_targetILNS1_3genE0ELNS1_11target_archE4294967295ELNS1_3gpuE0ELNS1_3repE0EEENS1_30default_config_static_selectorELNS0_4arch9wavefront6targetE0EEEvT1_
; %bb.0:
	.section	.rodata,"a",@progbits
	.p2align	6, 0x0
	.amdhsa_kernel _ZN7rocprim17ROCPRIM_400000_NS6detail17trampoline_kernelINS0_14default_configENS1_27scan_by_key_config_selectorIxxEEZZNS1_16scan_by_key_implILNS1_25lookback_scan_determinismE0ELb1ES3_N6thrust23THRUST_200600_302600_NS6detail15normal_iteratorINS9_10device_ptrIxEEEESE_SE_xNS9_10multipliesIxEENS9_8equal_toIxEExEE10hipError_tPvRmT2_T3_T4_T5_mT6_T7_P12ihipStream_tbENKUlT_T0_E_clISt17integral_constantIbLb1EESZ_EEDaSU_SV_EUlSU_E_NS1_11comp_targetILNS1_3genE0ELNS1_11target_archE4294967295ELNS1_3gpuE0ELNS1_3repE0EEENS1_30default_config_static_selectorELNS0_4arch9wavefront6targetE0EEEvT1_
		.amdhsa_group_segment_fixed_size 0
		.amdhsa_private_segment_fixed_size 0
		.amdhsa_kernarg_size 136
		.amdhsa_user_sgpr_count 6
		.amdhsa_user_sgpr_private_segment_buffer 1
		.amdhsa_user_sgpr_dispatch_ptr 0
		.amdhsa_user_sgpr_queue_ptr 0
		.amdhsa_user_sgpr_kernarg_segment_ptr 1
		.amdhsa_user_sgpr_dispatch_id 0
		.amdhsa_user_sgpr_flat_scratch_init 0
		.amdhsa_user_sgpr_private_segment_size 0
		.amdhsa_wavefront_size32 1
		.amdhsa_uses_dynamic_stack 0
		.amdhsa_system_sgpr_private_segment_wavefront_offset 0
		.amdhsa_system_sgpr_workgroup_id_x 1
		.amdhsa_system_sgpr_workgroup_id_y 0
		.amdhsa_system_sgpr_workgroup_id_z 0
		.amdhsa_system_sgpr_workgroup_info 0
		.amdhsa_system_vgpr_workitem_id 0
		.amdhsa_next_free_vgpr 1
		.amdhsa_next_free_sgpr 1
		.amdhsa_reserve_vcc 0
		.amdhsa_reserve_flat_scratch 0
		.amdhsa_float_round_mode_32 0
		.amdhsa_float_round_mode_16_64 0
		.amdhsa_float_denorm_mode_32 3
		.amdhsa_float_denorm_mode_16_64 3
		.amdhsa_dx10_clamp 1
		.amdhsa_ieee_mode 1
		.amdhsa_fp16_overflow 0
		.amdhsa_workgroup_processor_mode 1
		.amdhsa_memory_ordered 1
		.amdhsa_forward_progress 1
		.amdhsa_shared_vgpr_count 0
		.amdhsa_exception_fp_ieee_invalid_op 0
		.amdhsa_exception_fp_denorm_src 0
		.amdhsa_exception_fp_ieee_div_zero 0
		.amdhsa_exception_fp_ieee_overflow 0
		.amdhsa_exception_fp_ieee_underflow 0
		.amdhsa_exception_fp_ieee_inexact 0
		.amdhsa_exception_int_div_zero 0
	.end_amdhsa_kernel
	.section	.text._ZN7rocprim17ROCPRIM_400000_NS6detail17trampoline_kernelINS0_14default_configENS1_27scan_by_key_config_selectorIxxEEZZNS1_16scan_by_key_implILNS1_25lookback_scan_determinismE0ELb1ES3_N6thrust23THRUST_200600_302600_NS6detail15normal_iteratorINS9_10device_ptrIxEEEESE_SE_xNS9_10multipliesIxEENS9_8equal_toIxEExEE10hipError_tPvRmT2_T3_T4_T5_mT6_T7_P12ihipStream_tbENKUlT_T0_E_clISt17integral_constantIbLb1EESZ_EEDaSU_SV_EUlSU_E_NS1_11comp_targetILNS1_3genE0ELNS1_11target_archE4294967295ELNS1_3gpuE0ELNS1_3repE0EEENS1_30default_config_static_selectorELNS0_4arch9wavefront6targetE0EEEvT1_,"axG",@progbits,_ZN7rocprim17ROCPRIM_400000_NS6detail17trampoline_kernelINS0_14default_configENS1_27scan_by_key_config_selectorIxxEEZZNS1_16scan_by_key_implILNS1_25lookback_scan_determinismE0ELb1ES3_N6thrust23THRUST_200600_302600_NS6detail15normal_iteratorINS9_10device_ptrIxEEEESE_SE_xNS9_10multipliesIxEENS9_8equal_toIxEExEE10hipError_tPvRmT2_T3_T4_T5_mT6_T7_P12ihipStream_tbENKUlT_T0_E_clISt17integral_constantIbLb1EESZ_EEDaSU_SV_EUlSU_E_NS1_11comp_targetILNS1_3genE0ELNS1_11target_archE4294967295ELNS1_3gpuE0ELNS1_3repE0EEENS1_30default_config_static_selectorELNS0_4arch9wavefront6targetE0EEEvT1_,comdat
.Lfunc_end398:
	.size	_ZN7rocprim17ROCPRIM_400000_NS6detail17trampoline_kernelINS0_14default_configENS1_27scan_by_key_config_selectorIxxEEZZNS1_16scan_by_key_implILNS1_25lookback_scan_determinismE0ELb1ES3_N6thrust23THRUST_200600_302600_NS6detail15normal_iteratorINS9_10device_ptrIxEEEESE_SE_xNS9_10multipliesIxEENS9_8equal_toIxEExEE10hipError_tPvRmT2_T3_T4_T5_mT6_T7_P12ihipStream_tbENKUlT_T0_E_clISt17integral_constantIbLb1EESZ_EEDaSU_SV_EUlSU_E_NS1_11comp_targetILNS1_3genE0ELNS1_11target_archE4294967295ELNS1_3gpuE0ELNS1_3repE0EEENS1_30default_config_static_selectorELNS0_4arch9wavefront6targetE0EEEvT1_, .Lfunc_end398-_ZN7rocprim17ROCPRIM_400000_NS6detail17trampoline_kernelINS0_14default_configENS1_27scan_by_key_config_selectorIxxEEZZNS1_16scan_by_key_implILNS1_25lookback_scan_determinismE0ELb1ES3_N6thrust23THRUST_200600_302600_NS6detail15normal_iteratorINS9_10device_ptrIxEEEESE_SE_xNS9_10multipliesIxEENS9_8equal_toIxEExEE10hipError_tPvRmT2_T3_T4_T5_mT6_T7_P12ihipStream_tbENKUlT_T0_E_clISt17integral_constantIbLb1EESZ_EEDaSU_SV_EUlSU_E_NS1_11comp_targetILNS1_3genE0ELNS1_11target_archE4294967295ELNS1_3gpuE0ELNS1_3repE0EEENS1_30default_config_static_selectorELNS0_4arch9wavefront6targetE0EEEvT1_
                                        ; -- End function
	.set _ZN7rocprim17ROCPRIM_400000_NS6detail17trampoline_kernelINS0_14default_configENS1_27scan_by_key_config_selectorIxxEEZZNS1_16scan_by_key_implILNS1_25lookback_scan_determinismE0ELb1ES3_N6thrust23THRUST_200600_302600_NS6detail15normal_iteratorINS9_10device_ptrIxEEEESE_SE_xNS9_10multipliesIxEENS9_8equal_toIxEExEE10hipError_tPvRmT2_T3_T4_T5_mT6_T7_P12ihipStream_tbENKUlT_T0_E_clISt17integral_constantIbLb1EESZ_EEDaSU_SV_EUlSU_E_NS1_11comp_targetILNS1_3genE0ELNS1_11target_archE4294967295ELNS1_3gpuE0ELNS1_3repE0EEENS1_30default_config_static_selectorELNS0_4arch9wavefront6targetE0EEEvT1_.num_vgpr, 0
	.set _ZN7rocprim17ROCPRIM_400000_NS6detail17trampoline_kernelINS0_14default_configENS1_27scan_by_key_config_selectorIxxEEZZNS1_16scan_by_key_implILNS1_25lookback_scan_determinismE0ELb1ES3_N6thrust23THRUST_200600_302600_NS6detail15normal_iteratorINS9_10device_ptrIxEEEESE_SE_xNS9_10multipliesIxEENS9_8equal_toIxEExEE10hipError_tPvRmT2_T3_T4_T5_mT6_T7_P12ihipStream_tbENKUlT_T0_E_clISt17integral_constantIbLb1EESZ_EEDaSU_SV_EUlSU_E_NS1_11comp_targetILNS1_3genE0ELNS1_11target_archE4294967295ELNS1_3gpuE0ELNS1_3repE0EEENS1_30default_config_static_selectorELNS0_4arch9wavefront6targetE0EEEvT1_.num_agpr, 0
	.set _ZN7rocprim17ROCPRIM_400000_NS6detail17trampoline_kernelINS0_14default_configENS1_27scan_by_key_config_selectorIxxEEZZNS1_16scan_by_key_implILNS1_25lookback_scan_determinismE0ELb1ES3_N6thrust23THRUST_200600_302600_NS6detail15normal_iteratorINS9_10device_ptrIxEEEESE_SE_xNS9_10multipliesIxEENS9_8equal_toIxEExEE10hipError_tPvRmT2_T3_T4_T5_mT6_T7_P12ihipStream_tbENKUlT_T0_E_clISt17integral_constantIbLb1EESZ_EEDaSU_SV_EUlSU_E_NS1_11comp_targetILNS1_3genE0ELNS1_11target_archE4294967295ELNS1_3gpuE0ELNS1_3repE0EEENS1_30default_config_static_selectorELNS0_4arch9wavefront6targetE0EEEvT1_.numbered_sgpr, 0
	.set _ZN7rocprim17ROCPRIM_400000_NS6detail17trampoline_kernelINS0_14default_configENS1_27scan_by_key_config_selectorIxxEEZZNS1_16scan_by_key_implILNS1_25lookback_scan_determinismE0ELb1ES3_N6thrust23THRUST_200600_302600_NS6detail15normal_iteratorINS9_10device_ptrIxEEEESE_SE_xNS9_10multipliesIxEENS9_8equal_toIxEExEE10hipError_tPvRmT2_T3_T4_T5_mT6_T7_P12ihipStream_tbENKUlT_T0_E_clISt17integral_constantIbLb1EESZ_EEDaSU_SV_EUlSU_E_NS1_11comp_targetILNS1_3genE0ELNS1_11target_archE4294967295ELNS1_3gpuE0ELNS1_3repE0EEENS1_30default_config_static_selectorELNS0_4arch9wavefront6targetE0EEEvT1_.num_named_barrier, 0
	.set _ZN7rocprim17ROCPRIM_400000_NS6detail17trampoline_kernelINS0_14default_configENS1_27scan_by_key_config_selectorIxxEEZZNS1_16scan_by_key_implILNS1_25lookback_scan_determinismE0ELb1ES3_N6thrust23THRUST_200600_302600_NS6detail15normal_iteratorINS9_10device_ptrIxEEEESE_SE_xNS9_10multipliesIxEENS9_8equal_toIxEExEE10hipError_tPvRmT2_T3_T4_T5_mT6_T7_P12ihipStream_tbENKUlT_T0_E_clISt17integral_constantIbLb1EESZ_EEDaSU_SV_EUlSU_E_NS1_11comp_targetILNS1_3genE0ELNS1_11target_archE4294967295ELNS1_3gpuE0ELNS1_3repE0EEENS1_30default_config_static_selectorELNS0_4arch9wavefront6targetE0EEEvT1_.private_seg_size, 0
	.set _ZN7rocprim17ROCPRIM_400000_NS6detail17trampoline_kernelINS0_14default_configENS1_27scan_by_key_config_selectorIxxEEZZNS1_16scan_by_key_implILNS1_25lookback_scan_determinismE0ELb1ES3_N6thrust23THRUST_200600_302600_NS6detail15normal_iteratorINS9_10device_ptrIxEEEESE_SE_xNS9_10multipliesIxEENS9_8equal_toIxEExEE10hipError_tPvRmT2_T3_T4_T5_mT6_T7_P12ihipStream_tbENKUlT_T0_E_clISt17integral_constantIbLb1EESZ_EEDaSU_SV_EUlSU_E_NS1_11comp_targetILNS1_3genE0ELNS1_11target_archE4294967295ELNS1_3gpuE0ELNS1_3repE0EEENS1_30default_config_static_selectorELNS0_4arch9wavefront6targetE0EEEvT1_.uses_vcc, 0
	.set _ZN7rocprim17ROCPRIM_400000_NS6detail17trampoline_kernelINS0_14default_configENS1_27scan_by_key_config_selectorIxxEEZZNS1_16scan_by_key_implILNS1_25lookback_scan_determinismE0ELb1ES3_N6thrust23THRUST_200600_302600_NS6detail15normal_iteratorINS9_10device_ptrIxEEEESE_SE_xNS9_10multipliesIxEENS9_8equal_toIxEExEE10hipError_tPvRmT2_T3_T4_T5_mT6_T7_P12ihipStream_tbENKUlT_T0_E_clISt17integral_constantIbLb1EESZ_EEDaSU_SV_EUlSU_E_NS1_11comp_targetILNS1_3genE0ELNS1_11target_archE4294967295ELNS1_3gpuE0ELNS1_3repE0EEENS1_30default_config_static_selectorELNS0_4arch9wavefront6targetE0EEEvT1_.uses_flat_scratch, 0
	.set _ZN7rocprim17ROCPRIM_400000_NS6detail17trampoline_kernelINS0_14default_configENS1_27scan_by_key_config_selectorIxxEEZZNS1_16scan_by_key_implILNS1_25lookback_scan_determinismE0ELb1ES3_N6thrust23THRUST_200600_302600_NS6detail15normal_iteratorINS9_10device_ptrIxEEEESE_SE_xNS9_10multipliesIxEENS9_8equal_toIxEExEE10hipError_tPvRmT2_T3_T4_T5_mT6_T7_P12ihipStream_tbENKUlT_T0_E_clISt17integral_constantIbLb1EESZ_EEDaSU_SV_EUlSU_E_NS1_11comp_targetILNS1_3genE0ELNS1_11target_archE4294967295ELNS1_3gpuE0ELNS1_3repE0EEENS1_30default_config_static_selectorELNS0_4arch9wavefront6targetE0EEEvT1_.has_dyn_sized_stack, 0
	.set _ZN7rocprim17ROCPRIM_400000_NS6detail17trampoline_kernelINS0_14default_configENS1_27scan_by_key_config_selectorIxxEEZZNS1_16scan_by_key_implILNS1_25lookback_scan_determinismE0ELb1ES3_N6thrust23THRUST_200600_302600_NS6detail15normal_iteratorINS9_10device_ptrIxEEEESE_SE_xNS9_10multipliesIxEENS9_8equal_toIxEExEE10hipError_tPvRmT2_T3_T4_T5_mT6_T7_P12ihipStream_tbENKUlT_T0_E_clISt17integral_constantIbLb1EESZ_EEDaSU_SV_EUlSU_E_NS1_11comp_targetILNS1_3genE0ELNS1_11target_archE4294967295ELNS1_3gpuE0ELNS1_3repE0EEENS1_30default_config_static_selectorELNS0_4arch9wavefront6targetE0EEEvT1_.has_recursion, 0
	.set _ZN7rocprim17ROCPRIM_400000_NS6detail17trampoline_kernelINS0_14default_configENS1_27scan_by_key_config_selectorIxxEEZZNS1_16scan_by_key_implILNS1_25lookback_scan_determinismE0ELb1ES3_N6thrust23THRUST_200600_302600_NS6detail15normal_iteratorINS9_10device_ptrIxEEEESE_SE_xNS9_10multipliesIxEENS9_8equal_toIxEExEE10hipError_tPvRmT2_T3_T4_T5_mT6_T7_P12ihipStream_tbENKUlT_T0_E_clISt17integral_constantIbLb1EESZ_EEDaSU_SV_EUlSU_E_NS1_11comp_targetILNS1_3genE0ELNS1_11target_archE4294967295ELNS1_3gpuE0ELNS1_3repE0EEENS1_30default_config_static_selectorELNS0_4arch9wavefront6targetE0EEEvT1_.has_indirect_call, 0
	.section	.AMDGPU.csdata,"",@progbits
; Kernel info:
; codeLenInByte = 0
; TotalNumSgprs: 0
; NumVgprs: 0
; ScratchSize: 0
; MemoryBound: 0
; FloatMode: 240
; IeeeMode: 1
; LDSByteSize: 0 bytes/workgroup (compile time only)
; SGPRBlocks: 0
; VGPRBlocks: 0
; NumSGPRsForWavesPerEU: 1
; NumVGPRsForWavesPerEU: 1
; Occupancy: 16
; WaveLimiterHint : 0
; COMPUTE_PGM_RSRC2:SCRATCH_EN: 0
; COMPUTE_PGM_RSRC2:USER_SGPR: 6
; COMPUTE_PGM_RSRC2:TRAP_HANDLER: 0
; COMPUTE_PGM_RSRC2:TGID_X_EN: 1
; COMPUTE_PGM_RSRC2:TGID_Y_EN: 0
; COMPUTE_PGM_RSRC2:TGID_Z_EN: 0
; COMPUTE_PGM_RSRC2:TIDIG_COMP_CNT: 0
	.section	.text._ZN7rocprim17ROCPRIM_400000_NS6detail17trampoline_kernelINS0_14default_configENS1_27scan_by_key_config_selectorIxxEEZZNS1_16scan_by_key_implILNS1_25lookback_scan_determinismE0ELb1ES3_N6thrust23THRUST_200600_302600_NS6detail15normal_iteratorINS9_10device_ptrIxEEEESE_SE_xNS9_10multipliesIxEENS9_8equal_toIxEExEE10hipError_tPvRmT2_T3_T4_T5_mT6_T7_P12ihipStream_tbENKUlT_T0_E_clISt17integral_constantIbLb1EESZ_EEDaSU_SV_EUlSU_E_NS1_11comp_targetILNS1_3genE10ELNS1_11target_archE1201ELNS1_3gpuE5ELNS1_3repE0EEENS1_30default_config_static_selectorELNS0_4arch9wavefront6targetE0EEEvT1_,"axG",@progbits,_ZN7rocprim17ROCPRIM_400000_NS6detail17trampoline_kernelINS0_14default_configENS1_27scan_by_key_config_selectorIxxEEZZNS1_16scan_by_key_implILNS1_25lookback_scan_determinismE0ELb1ES3_N6thrust23THRUST_200600_302600_NS6detail15normal_iteratorINS9_10device_ptrIxEEEESE_SE_xNS9_10multipliesIxEENS9_8equal_toIxEExEE10hipError_tPvRmT2_T3_T4_T5_mT6_T7_P12ihipStream_tbENKUlT_T0_E_clISt17integral_constantIbLb1EESZ_EEDaSU_SV_EUlSU_E_NS1_11comp_targetILNS1_3genE10ELNS1_11target_archE1201ELNS1_3gpuE5ELNS1_3repE0EEENS1_30default_config_static_selectorELNS0_4arch9wavefront6targetE0EEEvT1_,comdat
	.protected	_ZN7rocprim17ROCPRIM_400000_NS6detail17trampoline_kernelINS0_14default_configENS1_27scan_by_key_config_selectorIxxEEZZNS1_16scan_by_key_implILNS1_25lookback_scan_determinismE0ELb1ES3_N6thrust23THRUST_200600_302600_NS6detail15normal_iteratorINS9_10device_ptrIxEEEESE_SE_xNS9_10multipliesIxEENS9_8equal_toIxEExEE10hipError_tPvRmT2_T3_T4_T5_mT6_T7_P12ihipStream_tbENKUlT_T0_E_clISt17integral_constantIbLb1EESZ_EEDaSU_SV_EUlSU_E_NS1_11comp_targetILNS1_3genE10ELNS1_11target_archE1201ELNS1_3gpuE5ELNS1_3repE0EEENS1_30default_config_static_selectorELNS0_4arch9wavefront6targetE0EEEvT1_ ; -- Begin function _ZN7rocprim17ROCPRIM_400000_NS6detail17trampoline_kernelINS0_14default_configENS1_27scan_by_key_config_selectorIxxEEZZNS1_16scan_by_key_implILNS1_25lookback_scan_determinismE0ELb1ES3_N6thrust23THRUST_200600_302600_NS6detail15normal_iteratorINS9_10device_ptrIxEEEESE_SE_xNS9_10multipliesIxEENS9_8equal_toIxEExEE10hipError_tPvRmT2_T3_T4_T5_mT6_T7_P12ihipStream_tbENKUlT_T0_E_clISt17integral_constantIbLb1EESZ_EEDaSU_SV_EUlSU_E_NS1_11comp_targetILNS1_3genE10ELNS1_11target_archE1201ELNS1_3gpuE5ELNS1_3repE0EEENS1_30default_config_static_selectorELNS0_4arch9wavefront6targetE0EEEvT1_
	.globl	_ZN7rocprim17ROCPRIM_400000_NS6detail17trampoline_kernelINS0_14default_configENS1_27scan_by_key_config_selectorIxxEEZZNS1_16scan_by_key_implILNS1_25lookback_scan_determinismE0ELb1ES3_N6thrust23THRUST_200600_302600_NS6detail15normal_iteratorINS9_10device_ptrIxEEEESE_SE_xNS9_10multipliesIxEENS9_8equal_toIxEExEE10hipError_tPvRmT2_T3_T4_T5_mT6_T7_P12ihipStream_tbENKUlT_T0_E_clISt17integral_constantIbLb1EESZ_EEDaSU_SV_EUlSU_E_NS1_11comp_targetILNS1_3genE10ELNS1_11target_archE1201ELNS1_3gpuE5ELNS1_3repE0EEENS1_30default_config_static_selectorELNS0_4arch9wavefront6targetE0EEEvT1_
	.p2align	8
	.type	_ZN7rocprim17ROCPRIM_400000_NS6detail17trampoline_kernelINS0_14default_configENS1_27scan_by_key_config_selectorIxxEEZZNS1_16scan_by_key_implILNS1_25lookback_scan_determinismE0ELb1ES3_N6thrust23THRUST_200600_302600_NS6detail15normal_iteratorINS9_10device_ptrIxEEEESE_SE_xNS9_10multipliesIxEENS9_8equal_toIxEExEE10hipError_tPvRmT2_T3_T4_T5_mT6_T7_P12ihipStream_tbENKUlT_T0_E_clISt17integral_constantIbLb1EESZ_EEDaSU_SV_EUlSU_E_NS1_11comp_targetILNS1_3genE10ELNS1_11target_archE1201ELNS1_3gpuE5ELNS1_3repE0EEENS1_30default_config_static_selectorELNS0_4arch9wavefront6targetE0EEEvT1_,@function
_ZN7rocprim17ROCPRIM_400000_NS6detail17trampoline_kernelINS0_14default_configENS1_27scan_by_key_config_selectorIxxEEZZNS1_16scan_by_key_implILNS1_25lookback_scan_determinismE0ELb1ES3_N6thrust23THRUST_200600_302600_NS6detail15normal_iteratorINS9_10device_ptrIxEEEESE_SE_xNS9_10multipliesIxEENS9_8equal_toIxEExEE10hipError_tPvRmT2_T3_T4_T5_mT6_T7_P12ihipStream_tbENKUlT_T0_E_clISt17integral_constantIbLb1EESZ_EEDaSU_SV_EUlSU_E_NS1_11comp_targetILNS1_3genE10ELNS1_11target_archE1201ELNS1_3gpuE5ELNS1_3repE0EEENS1_30default_config_static_selectorELNS0_4arch9wavefront6targetE0EEEvT1_: ; @_ZN7rocprim17ROCPRIM_400000_NS6detail17trampoline_kernelINS0_14default_configENS1_27scan_by_key_config_selectorIxxEEZZNS1_16scan_by_key_implILNS1_25lookback_scan_determinismE0ELb1ES3_N6thrust23THRUST_200600_302600_NS6detail15normal_iteratorINS9_10device_ptrIxEEEESE_SE_xNS9_10multipliesIxEENS9_8equal_toIxEExEE10hipError_tPvRmT2_T3_T4_T5_mT6_T7_P12ihipStream_tbENKUlT_T0_E_clISt17integral_constantIbLb1EESZ_EEDaSU_SV_EUlSU_E_NS1_11comp_targetILNS1_3genE10ELNS1_11target_archE1201ELNS1_3gpuE5ELNS1_3repE0EEENS1_30default_config_static_selectorELNS0_4arch9wavefront6targetE0EEEvT1_
; %bb.0:
	.section	.rodata,"a",@progbits
	.p2align	6, 0x0
	.amdhsa_kernel _ZN7rocprim17ROCPRIM_400000_NS6detail17trampoline_kernelINS0_14default_configENS1_27scan_by_key_config_selectorIxxEEZZNS1_16scan_by_key_implILNS1_25lookback_scan_determinismE0ELb1ES3_N6thrust23THRUST_200600_302600_NS6detail15normal_iteratorINS9_10device_ptrIxEEEESE_SE_xNS9_10multipliesIxEENS9_8equal_toIxEExEE10hipError_tPvRmT2_T3_T4_T5_mT6_T7_P12ihipStream_tbENKUlT_T0_E_clISt17integral_constantIbLb1EESZ_EEDaSU_SV_EUlSU_E_NS1_11comp_targetILNS1_3genE10ELNS1_11target_archE1201ELNS1_3gpuE5ELNS1_3repE0EEENS1_30default_config_static_selectorELNS0_4arch9wavefront6targetE0EEEvT1_
		.amdhsa_group_segment_fixed_size 0
		.amdhsa_private_segment_fixed_size 0
		.amdhsa_kernarg_size 136
		.amdhsa_user_sgpr_count 6
		.amdhsa_user_sgpr_private_segment_buffer 1
		.amdhsa_user_sgpr_dispatch_ptr 0
		.amdhsa_user_sgpr_queue_ptr 0
		.amdhsa_user_sgpr_kernarg_segment_ptr 1
		.amdhsa_user_sgpr_dispatch_id 0
		.amdhsa_user_sgpr_flat_scratch_init 0
		.amdhsa_user_sgpr_private_segment_size 0
		.amdhsa_wavefront_size32 1
		.amdhsa_uses_dynamic_stack 0
		.amdhsa_system_sgpr_private_segment_wavefront_offset 0
		.amdhsa_system_sgpr_workgroup_id_x 1
		.amdhsa_system_sgpr_workgroup_id_y 0
		.amdhsa_system_sgpr_workgroup_id_z 0
		.amdhsa_system_sgpr_workgroup_info 0
		.amdhsa_system_vgpr_workitem_id 0
		.amdhsa_next_free_vgpr 1
		.amdhsa_next_free_sgpr 1
		.amdhsa_reserve_vcc 0
		.amdhsa_reserve_flat_scratch 0
		.amdhsa_float_round_mode_32 0
		.amdhsa_float_round_mode_16_64 0
		.amdhsa_float_denorm_mode_32 3
		.amdhsa_float_denorm_mode_16_64 3
		.amdhsa_dx10_clamp 1
		.amdhsa_ieee_mode 1
		.amdhsa_fp16_overflow 0
		.amdhsa_workgroup_processor_mode 1
		.amdhsa_memory_ordered 1
		.amdhsa_forward_progress 1
		.amdhsa_shared_vgpr_count 0
		.amdhsa_exception_fp_ieee_invalid_op 0
		.amdhsa_exception_fp_denorm_src 0
		.amdhsa_exception_fp_ieee_div_zero 0
		.amdhsa_exception_fp_ieee_overflow 0
		.amdhsa_exception_fp_ieee_underflow 0
		.amdhsa_exception_fp_ieee_inexact 0
		.amdhsa_exception_int_div_zero 0
	.end_amdhsa_kernel
	.section	.text._ZN7rocprim17ROCPRIM_400000_NS6detail17trampoline_kernelINS0_14default_configENS1_27scan_by_key_config_selectorIxxEEZZNS1_16scan_by_key_implILNS1_25lookback_scan_determinismE0ELb1ES3_N6thrust23THRUST_200600_302600_NS6detail15normal_iteratorINS9_10device_ptrIxEEEESE_SE_xNS9_10multipliesIxEENS9_8equal_toIxEExEE10hipError_tPvRmT2_T3_T4_T5_mT6_T7_P12ihipStream_tbENKUlT_T0_E_clISt17integral_constantIbLb1EESZ_EEDaSU_SV_EUlSU_E_NS1_11comp_targetILNS1_3genE10ELNS1_11target_archE1201ELNS1_3gpuE5ELNS1_3repE0EEENS1_30default_config_static_selectorELNS0_4arch9wavefront6targetE0EEEvT1_,"axG",@progbits,_ZN7rocprim17ROCPRIM_400000_NS6detail17trampoline_kernelINS0_14default_configENS1_27scan_by_key_config_selectorIxxEEZZNS1_16scan_by_key_implILNS1_25lookback_scan_determinismE0ELb1ES3_N6thrust23THRUST_200600_302600_NS6detail15normal_iteratorINS9_10device_ptrIxEEEESE_SE_xNS9_10multipliesIxEENS9_8equal_toIxEExEE10hipError_tPvRmT2_T3_T4_T5_mT6_T7_P12ihipStream_tbENKUlT_T0_E_clISt17integral_constantIbLb1EESZ_EEDaSU_SV_EUlSU_E_NS1_11comp_targetILNS1_3genE10ELNS1_11target_archE1201ELNS1_3gpuE5ELNS1_3repE0EEENS1_30default_config_static_selectorELNS0_4arch9wavefront6targetE0EEEvT1_,comdat
.Lfunc_end399:
	.size	_ZN7rocprim17ROCPRIM_400000_NS6detail17trampoline_kernelINS0_14default_configENS1_27scan_by_key_config_selectorIxxEEZZNS1_16scan_by_key_implILNS1_25lookback_scan_determinismE0ELb1ES3_N6thrust23THRUST_200600_302600_NS6detail15normal_iteratorINS9_10device_ptrIxEEEESE_SE_xNS9_10multipliesIxEENS9_8equal_toIxEExEE10hipError_tPvRmT2_T3_T4_T5_mT6_T7_P12ihipStream_tbENKUlT_T0_E_clISt17integral_constantIbLb1EESZ_EEDaSU_SV_EUlSU_E_NS1_11comp_targetILNS1_3genE10ELNS1_11target_archE1201ELNS1_3gpuE5ELNS1_3repE0EEENS1_30default_config_static_selectorELNS0_4arch9wavefront6targetE0EEEvT1_, .Lfunc_end399-_ZN7rocprim17ROCPRIM_400000_NS6detail17trampoline_kernelINS0_14default_configENS1_27scan_by_key_config_selectorIxxEEZZNS1_16scan_by_key_implILNS1_25lookback_scan_determinismE0ELb1ES3_N6thrust23THRUST_200600_302600_NS6detail15normal_iteratorINS9_10device_ptrIxEEEESE_SE_xNS9_10multipliesIxEENS9_8equal_toIxEExEE10hipError_tPvRmT2_T3_T4_T5_mT6_T7_P12ihipStream_tbENKUlT_T0_E_clISt17integral_constantIbLb1EESZ_EEDaSU_SV_EUlSU_E_NS1_11comp_targetILNS1_3genE10ELNS1_11target_archE1201ELNS1_3gpuE5ELNS1_3repE0EEENS1_30default_config_static_selectorELNS0_4arch9wavefront6targetE0EEEvT1_
                                        ; -- End function
	.set _ZN7rocprim17ROCPRIM_400000_NS6detail17trampoline_kernelINS0_14default_configENS1_27scan_by_key_config_selectorIxxEEZZNS1_16scan_by_key_implILNS1_25lookback_scan_determinismE0ELb1ES3_N6thrust23THRUST_200600_302600_NS6detail15normal_iteratorINS9_10device_ptrIxEEEESE_SE_xNS9_10multipliesIxEENS9_8equal_toIxEExEE10hipError_tPvRmT2_T3_T4_T5_mT6_T7_P12ihipStream_tbENKUlT_T0_E_clISt17integral_constantIbLb1EESZ_EEDaSU_SV_EUlSU_E_NS1_11comp_targetILNS1_3genE10ELNS1_11target_archE1201ELNS1_3gpuE5ELNS1_3repE0EEENS1_30default_config_static_selectorELNS0_4arch9wavefront6targetE0EEEvT1_.num_vgpr, 0
	.set _ZN7rocprim17ROCPRIM_400000_NS6detail17trampoline_kernelINS0_14default_configENS1_27scan_by_key_config_selectorIxxEEZZNS1_16scan_by_key_implILNS1_25lookback_scan_determinismE0ELb1ES3_N6thrust23THRUST_200600_302600_NS6detail15normal_iteratorINS9_10device_ptrIxEEEESE_SE_xNS9_10multipliesIxEENS9_8equal_toIxEExEE10hipError_tPvRmT2_T3_T4_T5_mT6_T7_P12ihipStream_tbENKUlT_T0_E_clISt17integral_constantIbLb1EESZ_EEDaSU_SV_EUlSU_E_NS1_11comp_targetILNS1_3genE10ELNS1_11target_archE1201ELNS1_3gpuE5ELNS1_3repE0EEENS1_30default_config_static_selectorELNS0_4arch9wavefront6targetE0EEEvT1_.num_agpr, 0
	.set _ZN7rocprim17ROCPRIM_400000_NS6detail17trampoline_kernelINS0_14default_configENS1_27scan_by_key_config_selectorIxxEEZZNS1_16scan_by_key_implILNS1_25lookback_scan_determinismE0ELb1ES3_N6thrust23THRUST_200600_302600_NS6detail15normal_iteratorINS9_10device_ptrIxEEEESE_SE_xNS9_10multipliesIxEENS9_8equal_toIxEExEE10hipError_tPvRmT2_T3_T4_T5_mT6_T7_P12ihipStream_tbENKUlT_T0_E_clISt17integral_constantIbLb1EESZ_EEDaSU_SV_EUlSU_E_NS1_11comp_targetILNS1_3genE10ELNS1_11target_archE1201ELNS1_3gpuE5ELNS1_3repE0EEENS1_30default_config_static_selectorELNS0_4arch9wavefront6targetE0EEEvT1_.numbered_sgpr, 0
	.set _ZN7rocprim17ROCPRIM_400000_NS6detail17trampoline_kernelINS0_14default_configENS1_27scan_by_key_config_selectorIxxEEZZNS1_16scan_by_key_implILNS1_25lookback_scan_determinismE0ELb1ES3_N6thrust23THRUST_200600_302600_NS6detail15normal_iteratorINS9_10device_ptrIxEEEESE_SE_xNS9_10multipliesIxEENS9_8equal_toIxEExEE10hipError_tPvRmT2_T3_T4_T5_mT6_T7_P12ihipStream_tbENKUlT_T0_E_clISt17integral_constantIbLb1EESZ_EEDaSU_SV_EUlSU_E_NS1_11comp_targetILNS1_3genE10ELNS1_11target_archE1201ELNS1_3gpuE5ELNS1_3repE0EEENS1_30default_config_static_selectorELNS0_4arch9wavefront6targetE0EEEvT1_.num_named_barrier, 0
	.set _ZN7rocprim17ROCPRIM_400000_NS6detail17trampoline_kernelINS0_14default_configENS1_27scan_by_key_config_selectorIxxEEZZNS1_16scan_by_key_implILNS1_25lookback_scan_determinismE0ELb1ES3_N6thrust23THRUST_200600_302600_NS6detail15normal_iteratorINS9_10device_ptrIxEEEESE_SE_xNS9_10multipliesIxEENS9_8equal_toIxEExEE10hipError_tPvRmT2_T3_T4_T5_mT6_T7_P12ihipStream_tbENKUlT_T0_E_clISt17integral_constantIbLb1EESZ_EEDaSU_SV_EUlSU_E_NS1_11comp_targetILNS1_3genE10ELNS1_11target_archE1201ELNS1_3gpuE5ELNS1_3repE0EEENS1_30default_config_static_selectorELNS0_4arch9wavefront6targetE0EEEvT1_.private_seg_size, 0
	.set _ZN7rocprim17ROCPRIM_400000_NS6detail17trampoline_kernelINS0_14default_configENS1_27scan_by_key_config_selectorIxxEEZZNS1_16scan_by_key_implILNS1_25lookback_scan_determinismE0ELb1ES3_N6thrust23THRUST_200600_302600_NS6detail15normal_iteratorINS9_10device_ptrIxEEEESE_SE_xNS9_10multipliesIxEENS9_8equal_toIxEExEE10hipError_tPvRmT2_T3_T4_T5_mT6_T7_P12ihipStream_tbENKUlT_T0_E_clISt17integral_constantIbLb1EESZ_EEDaSU_SV_EUlSU_E_NS1_11comp_targetILNS1_3genE10ELNS1_11target_archE1201ELNS1_3gpuE5ELNS1_3repE0EEENS1_30default_config_static_selectorELNS0_4arch9wavefront6targetE0EEEvT1_.uses_vcc, 0
	.set _ZN7rocprim17ROCPRIM_400000_NS6detail17trampoline_kernelINS0_14default_configENS1_27scan_by_key_config_selectorIxxEEZZNS1_16scan_by_key_implILNS1_25lookback_scan_determinismE0ELb1ES3_N6thrust23THRUST_200600_302600_NS6detail15normal_iteratorINS9_10device_ptrIxEEEESE_SE_xNS9_10multipliesIxEENS9_8equal_toIxEExEE10hipError_tPvRmT2_T3_T4_T5_mT6_T7_P12ihipStream_tbENKUlT_T0_E_clISt17integral_constantIbLb1EESZ_EEDaSU_SV_EUlSU_E_NS1_11comp_targetILNS1_3genE10ELNS1_11target_archE1201ELNS1_3gpuE5ELNS1_3repE0EEENS1_30default_config_static_selectorELNS0_4arch9wavefront6targetE0EEEvT1_.uses_flat_scratch, 0
	.set _ZN7rocprim17ROCPRIM_400000_NS6detail17trampoline_kernelINS0_14default_configENS1_27scan_by_key_config_selectorIxxEEZZNS1_16scan_by_key_implILNS1_25lookback_scan_determinismE0ELb1ES3_N6thrust23THRUST_200600_302600_NS6detail15normal_iteratorINS9_10device_ptrIxEEEESE_SE_xNS9_10multipliesIxEENS9_8equal_toIxEExEE10hipError_tPvRmT2_T3_T4_T5_mT6_T7_P12ihipStream_tbENKUlT_T0_E_clISt17integral_constantIbLb1EESZ_EEDaSU_SV_EUlSU_E_NS1_11comp_targetILNS1_3genE10ELNS1_11target_archE1201ELNS1_3gpuE5ELNS1_3repE0EEENS1_30default_config_static_selectorELNS0_4arch9wavefront6targetE0EEEvT1_.has_dyn_sized_stack, 0
	.set _ZN7rocprim17ROCPRIM_400000_NS6detail17trampoline_kernelINS0_14default_configENS1_27scan_by_key_config_selectorIxxEEZZNS1_16scan_by_key_implILNS1_25lookback_scan_determinismE0ELb1ES3_N6thrust23THRUST_200600_302600_NS6detail15normal_iteratorINS9_10device_ptrIxEEEESE_SE_xNS9_10multipliesIxEENS9_8equal_toIxEExEE10hipError_tPvRmT2_T3_T4_T5_mT6_T7_P12ihipStream_tbENKUlT_T0_E_clISt17integral_constantIbLb1EESZ_EEDaSU_SV_EUlSU_E_NS1_11comp_targetILNS1_3genE10ELNS1_11target_archE1201ELNS1_3gpuE5ELNS1_3repE0EEENS1_30default_config_static_selectorELNS0_4arch9wavefront6targetE0EEEvT1_.has_recursion, 0
	.set _ZN7rocprim17ROCPRIM_400000_NS6detail17trampoline_kernelINS0_14default_configENS1_27scan_by_key_config_selectorIxxEEZZNS1_16scan_by_key_implILNS1_25lookback_scan_determinismE0ELb1ES3_N6thrust23THRUST_200600_302600_NS6detail15normal_iteratorINS9_10device_ptrIxEEEESE_SE_xNS9_10multipliesIxEENS9_8equal_toIxEExEE10hipError_tPvRmT2_T3_T4_T5_mT6_T7_P12ihipStream_tbENKUlT_T0_E_clISt17integral_constantIbLb1EESZ_EEDaSU_SV_EUlSU_E_NS1_11comp_targetILNS1_3genE10ELNS1_11target_archE1201ELNS1_3gpuE5ELNS1_3repE0EEENS1_30default_config_static_selectorELNS0_4arch9wavefront6targetE0EEEvT1_.has_indirect_call, 0
	.section	.AMDGPU.csdata,"",@progbits
; Kernel info:
; codeLenInByte = 0
; TotalNumSgprs: 0
; NumVgprs: 0
; ScratchSize: 0
; MemoryBound: 0
; FloatMode: 240
; IeeeMode: 1
; LDSByteSize: 0 bytes/workgroup (compile time only)
; SGPRBlocks: 0
; VGPRBlocks: 0
; NumSGPRsForWavesPerEU: 1
; NumVGPRsForWavesPerEU: 1
; Occupancy: 16
; WaveLimiterHint : 0
; COMPUTE_PGM_RSRC2:SCRATCH_EN: 0
; COMPUTE_PGM_RSRC2:USER_SGPR: 6
; COMPUTE_PGM_RSRC2:TRAP_HANDLER: 0
; COMPUTE_PGM_RSRC2:TGID_X_EN: 1
; COMPUTE_PGM_RSRC2:TGID_Y_EN: 0
; COMPUTE_PGM_RSRC2:TGID_Z_EN: 0
; COMPUTE_PGM_RSRC2:TIDIG_COMP_CNT: 0
	.section	.text._ZN7rocprim17ROCPRIM_400000_NS6detail17trampoline_kernelINS0_14default_configENS1_27scan_by_key_config_selectorIxxEEZZNS1_16scan_by_key_implILNS1_25lookback_scan_determinismE0ELb1ES3_N6thrust23THRUST_200600_302600_NS6detail15normal_iteratorINS9_10device_ptrIxEEEESE_SE_xNS9_10multipliesIxEENS9_8equal_toIxEExEE10hipError_tPvRmT2_T3_T4_T5_mT6_T7_P12ihipStream_tbENKUlT_T0_E_clISt17integral_constantIbLb1EESZ_EEDaSU_SV_EUlSU_E_NS1_11comp_targetILNS1_3genE5ELNS1_11target_archE942ELNS1_3gpuE9ELNS1_3repE0EEENS1_30default_config_static_selectorELNS0_4arch9wavefront6targetE0EEEvT1_,"axG",@progbits,_ZN7rocprim17ROCPRIM_400000_NS6detail17trampoline_kernelINS0_14default_configENS1_27scan_by_key_config_selectorIxxEEZZNS1_16scan_by_key_implILNS1_25lookback_scan_determinismE0ELb1ES3_N6thrust23THRUST_200600_302600_NS6detail15normal_iteratorINS9_10device_ptrIxEEEESE_SE_xNS9_10multipliesIxEENS9_8equal_toIxEExEE10hipError_tPvRmT2_T3_T4_T5_mT6_T7_P12ihipStream_tbENKUlT_T0_E_clISt17integral_constantIbLb1EESZ_EEDaSU_SV_EUlSU_E_NS1_11comp_targetILNS1_3genE5ELNS1_11target_archE942ELNS1_3gpuE9ELNS1_3repE0EEENS1_30default_config_static_selectorELNS0_4arch9wavefront6targetE0EEEvT1_,comdat
	.protected	_ZN7rocprim17ROCPRIM_400000_NS6detail17trampoline_kernelINS0_14default_configENS1_27scan_by_key_config_selectorIxxEEZZNS1_16scan_by_key_implILNS1_25lookback_scan_determinismE0ELb1ES3_N6thrust23THRUST_200600_302600_NS6detail15normal_iteratorINS9_10device_ptrIxEEEESE_SE_xNS9_10multipliesIxEENS9_8equal_toIxEExEE10hipError_tPvRmT2_T3_T4_T5_mT6_T7_P12ihipStream_tbENKUlT_T0_E_clISt17integral_constantIbLb1EESZ_EEDaSU_SV_EUlSU_E_NS1_11comp_targetILNS1_3genE5ELNS1_11target_archE942ELNS1_3gpuE9ELNS1_3repE0EEENS1_30default_config_static_selectorELNS0_4arch9wavefront6targetE0EEEvT1_ ; -- Begin function _ZN7rocprim17ROCPRIM_400000_NS6detail17trampoline_kernelINS0_14default_configENS1_27scan_by_key_config_selectorIxxEEZZNS1_16scan_by_key_implILNS1_25lookback_scan_determinismE0ELb1ES3_N6thrust23THRUST_200600_302600_NS6detail15normal_iteratorINS9_10device_ptrIxEEEESE_SE_xNS9_10multipliesIxEENS9_8equal_toIxEExEE10hipError_tPvRmT2_T3_T4_T5_mT6_T7_P12ihipStream_tbENKUlT_T0_E_clISt17integral_constantIbLb1EESZ_EEDaSU_SV_EUlSU_E_NS1_11comp_targetILNS1_3genE5ELNS1_11target_archE942ELNS1_3gpuE9ELNS1_3repE0EEENS1_30default_config_static_selectorELNS0_4arch9wavefront6targetE0EEEvT1_
	.globl	_ZN7rocprim17ROCPRIM_400000_NS6detail17trampoline_kernelINS0_14default_configENS1_27scan_by_key_config_selectorIxxEEZZNS1_16scan_by_key_implILNS1_25lookback_scan_determinismE0ELb1ES3_N6thrust23THRUST_200600_302600_NS6detail15normal_iteratorINS9_10device_ptrIxEEEESE_SE_xNS9_10multipliesIxEENS9_8equal_toIxEExEE10hipError_tPvRmT2_T3_T4_T5_mT6_T7_P12ihipStream_tbENKUlT_T0_E_clISt17integral_constantIbLb1EESZ_EEDaSU_SV_EUlSU_E_NS1_11comp_targetILNS1_3genE5ELNS1_11target_archE942ELNS1_3gpuE9ELNS1_3repE0EEENS1_30default_config_static_selectorELNS0_4arch9wavefront6targetE0EEEvT1_
	.p2align	8
	.type	_ZN7rocprim17ROCPRIM_400000_NS6detail17trampoline_kernelINS0_14default_configENS1_27scan_by_key_config_selectorIxxEEZZNS1_16scan_by_key_implILNS1_25lookback_scan_determinismE0ELb1ES3_N6thrust23THRUST_200600_302600_NS6detail15normal_iteratorINS9_10device_ptrIxEEEESE_SE_xNS9_10multipliesIxEENS9_8equal_toIxEExEE10hipError_tPvRmT2_T3_T4_T5_mT6_T7_P12ihipStream_tbENKUlT_T0_E_clISt17integral_constantIbLb1EESZ_EEDaSU_SV_EUlSU_E_NS1_11comp_targetILNS1_3genE5ELNS1_11target_archE942ELNS1_3gpuE9ELNS1_3repE0EEENS1_30default_config_static_selectorELNS0_4arch9wavefront6targetE0EEEvT1_,@function
_ZN7rocprim17ROCPRIM_400000_NS6detail17trampoline_kernelINS0_14default_configENS1_27scan_by_key_config_selectorIxxEEZZNS1_16scan_by_key_implILNS1_25lookback_scan_determinismE0ELb1ES3_N6thrust23THRUST_200600_302600_NS6detail15normal_iteratorINS9_10device_ptrIxEEEESE_SE_xNS9_10multipliesIxEENS9_8equal_toIxEExEE10hipError_tPvRmT2_T3_T4_T5_mT6_T7_P12ihipStream_tbENKUlT_T0_E_clISt17integral_constantIbLb1EESZ_EEDaSU_SV_EUlSU_E_NS1_11comp_targetILNS1_3genE5ELNS1_11target_archE942ELNS1_3gpuE9ELNS1_3repE0EEENS1_30default_config_static_selectorELNS0_4arch9wavefront6targetE0EEEvT1_: ; @_ZN7rocprim17ROCPRIM_400000_NS6detail17trampoline_kernelINS0_14default_configENS1_27scan_by_key_config_selectorIxxEEZZNS1_16scan_by_key_implILNS1_25lookback_scan_determinismE0ELb1ES3_N6thrust23THRUST_200600_302600_NS6detail15normal_iteratorINS9_10device_ptrIxEEEESE_SE_xNS9_10multipliesIxEENS9_8equal_toIxEExEE10hipError_tPvRmT2_T3_T4_T5_mT6_T7_P12ihipStream_tbENKUlT_T0_E_clISt17integral_constantIbLb1EESZ_EEDaSU_SV_EUlSU_E_NS1_11comp_targetILNS1_3genE5ELNS1_11target_archE942ELNS1_3gpuE9ELNS1_3repE0EEENS1_30default_config_static_selectorELNS0_4arch9wavefront6targetE0EEEvT1_
; %bb.0:
	.section	.rodata,"a",@progbits
	.p2align	6, 0x0
	.amdhsa_kernel _ZN7rocprim17ROCPRIM_400000_NS6detail17trampoline_kernelINS0_14default_configENS1_27scan_by_key_config_selectorIxxEEZZNS1_16scan_by_key_implILNS1_25lookback_scan_determinismE0ELb1ES3_N6thrust23THRUST_200600_302600_NS6detail15normal_iteratorINS9_10device_ptrIxEEEESE_SE_xNS9_10multipliesIxEENS9_8equal_toIxEExEE10hipError_tPvRmT2_T3_T4_T5_mT6_T7_P12ihipStream_tbENKUlT_T0_E_clISt17integral_constantIbLb1EESZ_EEDaSU_SV_EUlSU_E_NS1_11comp_targetILNS1_3genE5ELNS1_11target_archE942ELNS1_3gpuE9ELNS1_3repE0EEENS1_30default_config_static_selectorELNS0_4arch9wavefront6targetE0EEEvT1_
		.amdhsa_group_segment_fixed_size 0
		.amdhsa_private_segment_fixed_size 0
		.amdhsa_kernarg_size 136
		.amdhsa_user_sgpr_count 6
		.amdhsa_user_sgpr_private_segment_buffer 1
		.amdhsa_user_sgpr_dispatch_ptr 0
		.amdhsa_user_sgpr_queue_ptr 0
		.amdhsa_user_sgpr_kernarg_segment_ptr 1
		.amdhsa_user_sgpr_dispatch_id 0
		.amdhsa_user_sgpr_flat_scratch_init 0
		.amdhsa_user_sgpr_private_segment_size 0
		.amdhsa_wavefront_size32 1
		.amdhsa_uses_dynamic_stack 0
		.amdhsa_system_sgpr_private_segment_wavefront_offset 0
		.amdhsa_system_sgpr_workgroup_id_x 1
		.amdhsa_system_sgpr_workgroup_id_y 0
		.amdhsa_system_sgpr_workgroup_id_z 0
		.amdhsa_system_sgpr_workgroup_info 0
		.amdhsa_system_vgpr_workitem_id 0
		.amdhsa_next_free_vgpr 1
		.amdhsa_next_free_sgpr 1
		.amdhsa_reserve_vcc 0
		.amdhsa_reserve_flat_scratch 0
		.amdhsa_float_round_mode_32 0
		.amdhsa_float_round_mode_16_64 0
		.amdhsa_float_denorm_mode_32 3
		.amdhsa_float_denorm_mode_16_64 3
		.amdhsa_dx10_clamp 1
		.amdhsa_ieee_mode 1
		.amdhsa_fp16_overflow 0
		.amdhsa_workgroup_processor_mode 1
		.amdhsa_memory_ordered 1
		.amdhsa_forward_progress 1
		.amdhsa_shared_vgpr_count 0
		.amdhsa_exception_fp_ieee_invalid_op 0
		.amdhsa_exception_fp_denorm_src 0
		.amdhsa_exception_fp_ieee_div_zero 0
		.amdhsa_exception_fp_ieee_overflow 0
		.amdhsa_exception_fp_ieee_underflow 0
		.amdhsa_exception_fp_ieee_inexact 0
		.amdhsa_exception_int_div_zero 0
	.end_amdhsa_kernel
	.section	.text._ZN7rocprim17ROCPRIM_400000_NS6detail17trampoline_kernelINS0_14default_configENS1_27scan_by_key_config_selectorIxxEEZZNS1_16scan_by_key_implILNS1_25lookback_scan_determinismE0ELb1ES3_N6thrust23THRUST_200600_302600_NS6detail15normal_iteratorINS9_10device_ptrIxEEEESE_SE_xNS9_10multipliesIxEENS9_8equal_toIxEExEE10hipError_tPvRmT2_T3_T4_T5_mT6_T7_P12ihipStream_tbENKUlT_T0_E_clISt17integral_constantIbLb1EESZ_EEDaSU_SV_EUlSU_E_NS1_11comp_targetILNS1_3genE5ELNS1_11target_archE942ELNS1_3gpuE9ELNS1_3repE0EEENS1_30default_config_static_selectorELNS0_4arch9wavefront6targetE0EEEvT1_,"axG",@progbits,_ZN7rocprim17ROCPRIM_400000_NS6detail17trampoline_kernelINS0_14default_configENS1_27scan_by_key_config_selectorIxxEEZZNS1_16scan_by_key_implILNS1_25lookback_scan_determinismE0ELb1ES3_N6thrust23THRUST_200600_302600_NS6detail15normal_iteratorINS9_10device_ptrIxEEEESE_SE_xNS9_10multipliesIxEENS9_8equal_toIxEExEE10hipError_tPvRmT2_T3_T4_T5_mT6_T7_P12ihipStream_tbENKUlT_T0_E_clISt17integral_constantIbLb1EESZ_EEDaSU_SV_EUlSU_E_NS1_11comp_targetILNS1_3genE5ELNS1_11target_archE942ELNS1_3gpuE9ELNS1_3repE0EEENS1_30default_config_static_selectorELNS0_4arch9wavefront6targetE0EEEvT1_,comdat
.Lfunc_end400:
	.size	_ZN7rocprim17ROCPRIM_400000_NS6detail17trampoline_kernelINS0_14default_configENS1_27scan_by_key_config_selectorIxxEEZZNS1_16scan_by_key_implILNS1_25lookback_scan_determinismE0ELb1ES3_N6thrust23THRUST_200600_302600_NS6detail15normal_iteratorINS9_10device_ptrIxEEEESE_SE_xNS9_10multipliesIxEENS9_8equal_toIxEExEE10hipError_tPvRmT2_T3_T4_T5_mT6_T7_P12ihipStream_tbENKUlT_T0_E_clISt17integral_constantIbLb1EESZ_EEDaSU_SV_EUlSU_E_NS1_11comp_targetILNS1_3genE5ELNS1_11target_archE942ELNS1_3gpuE9ELNS1_3repE0EEENS1_30default_config_static_selectorELNS0_4arch9wavefront6targetE0EEEvT1_, .Lfunc_end400-_ZN7rocprim17ROCPRIM_400000_NS6detail17trampoline_kernelINS0_14default_configENS1_27scan_by_key_config_selectorIxxEEZZNS1_16scan_by_key_implILNS1_25lookback_scan_determinismE0ELb1ES3_N6thrust23THRUST_200600_302600_NS6detail15normal_iteratorINS9_10device_ptrIxEEEESE_SE_xNS9_10multipliesIxEENS9_8equal_toIxEExEE10hipError_tPvRmT2_T3_T4_T5_mT6_T7_P12ihipStream_tbENKUlT_T0_E_clISt17integral_constantIbLb1EESZ_EEDaSU_SV_EUlSU_E_NS1_11comp_targetILNS1_3genE5ELNS1_11target_archE942ELNS1_3gpuE9ELNS1_3repE0EEENS1_30default_config_static_selectorELNS0_4arch9wavefront6targetE0EEEvT1_
                                        ; -- End function
	.set _ZN7rocprim17ROCPRIM_400000_NS6detail17trampoline_kernelINS0_14default_configENS1_27scan_by_key_config_selectorIxxEEZZNS1_16scan_by_key_implILNS1_25lookback_scan_determinismE0ELb1ES3_N6thrust23THRUST_200600_302600_NS6detail15normal_iteratorINS9_10device_ptrIxEEEESE_SE_xNS9_10multipliesIxEENS9_8equal_toIxEExEE10hipError_tPvRmT2_T3_T4_T5_mT6_T7_P12ihipStream_tbENKUlT_T0_E_clISt17integral_constantIbLb1EESZ_EEDaSU_SV_EUlSU_E_NS1_11comp_targetILNS1_3genE5ELNS1_11target_archE942ELNS1_3gpuE9ELNS1_3repE0EEENS1_30default_config_static_selectorELNS0_4arch9wavefront6targetE0EEEvT1_.num_vgpr, 0
	.set _ZN7rocprim17ROCPRIM_400000_NS6detail17trampoline_kernelINS0_14default_configENS1_27scan_by_key_config_selectorIxxEEZZNS1_16scan_by_key_implILNS1_25lookback_scan_determinismE0ELb1ES3_N6thrust23THRUST_200600_302600_NS6detail15normal_iteratorINS9_10device_ptrIxEEEESE_SE_xNS9_10multipliesIxEENS9_8equal_toIxEExEE10hipError_tPvRmT2_T3_T4_T5_mT6_T7_P12ihipStream_tbENKUlT_T0_E_clISt17integral_constantIbLb1EESZ_EEDaSU_SV_EUlSU_E_NS1_11comp_targetILNS1_3genE5ELNS1_11target_archE942ELNS1_3gpuE9ELNS1_3repE0EEENS1_30default_config_static_selectorELNS0_4arch9wavefront6targetE0EEEvT1_.num_agpr, 0
	.set _ZN7rocprim17ROCPRIM_400000_NS6detail17trampoline_kernelINS0_14default_configENS1_27scan_by_key_config_selectorIxxEEZZNS1_16scan_by_key_implILNS1_25lookback_scan_determinismE0ELb1ES3_N6thrust23THRUST_200600_302600_NS6detail15normal_iteratorINS9_10device_ptrIxEEEESE_SE_xNS9_10multipliesIxEENS9_8equal_toIxEExEE10hipError_tPvRmT2_T3_T4_T5_mT6_T7_P12ihipStream_tbENKUlT_T0_E_clISt17integral_constantIbLb1EESZ_EEDaSU_SV_EUlSU_E_NS1_11comp_targetILNS1_3genE5ELNS1_11target_archE942ELNS1_3gpuE9ELNS1_3repE0EEENS1_30default_config_static_selectorELNS0_4arch9wavefront6targetE0EEEvT1_.numbered_sgpr, 0
	.set _ZN7rocprim17ROCPRIM_400000_NS6detail17trampoline_kernelINS0_14default_configENS1_27scan_by_key_config_selectorIxxEEZZNS1_16scan_by_key_implILNS1_25lookback_scan_determinismE0ELb1ES3_N6thrust23THRUST_200600_302600_NS6detail15normal_iteratorINS9_10device_ptrIxEEEESE_SE_xNS9_10multipliesIxEENS9_8equal_toIxEExEE10hipError_tPvRmT2_T3_T4_T5_mT6_T7_P12ihipStream_tbENKUlT_T0_E_clISt17integral_constantIbLb1EESZ_EEDaSU_SV_EUlSU_E_NS1_11comp_targetILNS1_3genE5ELNS1_11target_archE942ELNS1_3gpuE9ELNS1_3repE0EEENS1_30default_config_static_selectorELNS0_4arch9wavefront6targetE0EEEvT1_.num_named_barrier, 0
	.set _ZN7rocprim17ROCPRIM_400000_NS6detail17trampoline_kernelINS0_14default_configENS1_27scan_by_key_config_selectorIxxEEZZNS1_16scan_by_key_implILNS1_25lookback_scan_determinismE0ELb1ES3_N6thrust23THRUST_200600_302600_NS6detail15normal_iteratorINS9_10device_ptrIxEEEESE_SE_xNS9_10multipliesIxEENS9_8equal_toIxEExEE10hipError_tPvRmT2_T3_T4_T5_mT6_T7_P12ihipStream_tbENKUlT_T0_E_clISt17integral_constantIbLb1EESZ_EEDaSU_SV_EUlSU_E_NS1_11comp_targetILNS1_3genE5ELNS1_11target_archE942ELNS1_3gpuE9ELNS1_3repE0EEENS1_30default_config_static_selectorELNS0_4arch9wavefront6targetE0EEEvT1_.private_seg_size, 0
	.set _ZN7rocprim17ROCPRIM_400000_NS6detail17trampoline_kernelINS0_14default_configENS1_27scan_by_key_config_selectorIxxEEZZNS1_16scan_by_key_implILNS1_25lookback_scan_determinismE0ELb1ES3_N6thrust23THRUST_200600_302600_NS6detail15normal_iteratorINS9_10device_ptrIxEEEESE_SE_xNS9_10multipliesIxEENS9_8equal_toIxEExEE10hipError_tPvRmT2_T3_T4_T5_mT6_T7_P12ihipStream_tbENKUlT_T0_E_clISt17integral_constantIbLb1EESZ_EEDaSU_SV_EUlSU_E_NS1_11comp_targetILNS1_3genE5ELNS1_11target_archE942ELNS1_3gpuE9ELNS1_3repE0EEENS1_30default_config_static_selectorELNS0_4arch9wavefront6targetE0EEEvT1_.uses_vcc, 0
	.set _ZN7rocprim17ROCPRIM_400000_NS6detail17trampoline_kernelINS0_14default_configENS1_27scan_by_key_config_selectorIxxEEZZNS1_16scan_by_key_implILNS1_25lookback_scan_determinismE0ELb1ES3_N6thrust23THRUST_200600_302600_NS6detail15normal_iteratorINS9_10device_ptrIxEEEESE_SE_xNS9_10multipliesIxEENS9_8equal_toIxEExEE10hipError_tPvRmT2_T3_T4_T5_mT6_T7_P12ihipStream_tbENKUlT_T0_E_clISt17integral_constantIbLb1EESZ_EEDaSU_SV_EUlSU_E_NS1_11comp_targetILNS1_3genE5ELNS1_11target_archE942ELNS1_3gpuE9ELNS1_3repE0EEENS1_30default_config_static_selectorELNS0_4arch9wavefront6targetE0EEEvT1_.uses_flat_scratch, 0
	.set _ZN7rocprim17ROCPRIM_400000_NS6detail17trampoline_kernelINS0_14default_configENS1_27scan_by_key_config_selectorIxxEEZZNS1_16scan_by_key_implILNS1_25lookback_scan_determinismE0ELb1ES3_N6thrust23THRUST_200600_302600_NS6detail15normal_iteratorINS9_10device_ptrIxEEEESE_SE_xNS9_10multipliesIxEENS9_8equal_toIxEExEE10hipError_tPvRmT2_T3_T4_T5_mT6_T7_P12ihipStream_tbENKUlT_T0_E_clISt17integral_constantIbLb1EESZ_EEDaSU_SV_EUlSU_E_NS1_11comp_targetILNS1_3genE5ELNS1_11target_archE942ELNS1_3gpuE9ELNS1_3repE0EEENS1_30default_config_static_selectorELNS0_4arch9wavefront6targetE0EEEvT1_.has_dyn_sized_stack, 0
	.set _ZN7rocprim17ROCPRIM_400000_NS6detail17trampoline_kernelINS0_14default_configENS1_27scan_by_key_config_selectorIxxEEZZNS1_16scan_by_key_implILNS1_25lookback_scan_determinismE0ELb1ES3_N6thrust23THRUST_200600_302600_NS6detail15normal_iteratorINS9_10device_ptrIxEEEESE_SE_xNS9_10multipliesIxEENS9_8equal_toIxEExEE10hipError_tPvRmT2_T3_T4_T5_mT6_T7_P12ihipStream_tbENKUlT_T0_E_clISt17integral_constantIbLb1EESZ_EEDaSU_SV_EUlSU_E_NS1_11comp_targetILNS1_3genE5ELNS1_11target_archE942ELNS1_3gpuE9ELNS1_3repE0EEENS1_30default_config_static_selectorELNS0_4arch9wavefront6targetE0EEEvT1_.has_recursion, 0
	.set _ZN7rocprim17ROCPRIM_400000_NS6detail17trampoline_kernelINS0_14default_configENS1_27scan_by_key_config_selectorIxxEEZZNS1_16scan_by_key_implILNS1_25lookback_scan_determinismE0ELb1ES3_N6thrust23THRUST_200600_302600_NS6detail15normal_iteratorINS9_10device_ptrIxEEEESE_SE_xNS9_10multipliesIxEENS9_8equal_toIxEExEE10hipError_tPvRmT2_T3_T4_T5_mT6_T7_P12ihipStream_tbENKUlT_T0_E_clISt17integral_constantIbLb1EESZ_EEDaSU_SV_EUlSU_E_NS1_11comp_targetILNS1_3genE5ELNS1_11target_archE942ELNS1_3gpuE9ELNS1_3repE0EEENS1_30default_config_static_selectorELNS0_4arch9wavefront6targetE0EEEvT1_.has_indirect_call, 0
	.section	.AMDGPU.csdata,"",@progbits
; Kernel info:
; codeLenInByte = 0
; TotalNumSgprs: 0
; NumVgprs: 0
; ScratchSize: 0
; MemoryBound: 0
; FloatMode: 240
; IeeeMode: 1
; LDSByteSize: 0 bytes/workgroup (compile time only)
; SGPRBlocks: 0
; VGPRBlocks: 0
; NumSGPRsForWavesPerEU: 1
; NumVGPRsForWavesPerEU: 1
; Occupancy: 16
; WaveLimiterHint : 0
; COMPUTE_PGM_RSRC2:SCRATCH_EN: 0
; COMPUTE_PGM_RSRC2:USER_SGPR: 6
; COMPUTE_PGM_RSRC2:TRAP_HANDLER: 0
; COMPUTE_PGM_RSRC2:TGID_X_EN: 1
; COMPUTE_PGM_RSRC2:TGID_Y_EN: 0
; COMPUTE_PGM_RSRC2:TGID_Z_EN: 0
; COMPUTE_PGM_RSRC2:TIDIG_COMP_CNT: 0
	.section	.text._ZN7rocprim17ROCPRIM_400000_NS6detail17trampoline_kernelINS0_14default_configENS1_27scan_by_key_config_selectorIxxEEZZNS1_16scan_by_key_implILNS1_25lookback_scan_determinismE0ELb1ES3_N6thrust23THRUST_200600_302600_NS6detail15normal_iteratorINS9_10device_ptrIxEEEESE_SE_xNS9_10multipliesIxEENS9_8equal_toIxEExEE10hipError_tPvRmT2_T3_T4_T5_mT6_T7_P12ihipStream_tbENKUlT_T0_E_clISt17integral_constantIbLb1EESZ_EEDaSU_SV_EUlSU_E_NS1_11comp_targetILNS1_3genE4ELNS1_11target_archE910ELNS1_3gpuE8ELNS1_3repE0EEENS1_30default_config_static_selectorELNS0_4arch9wavefront6targetE0EEEvT1_,"axG",@progbits,_ZN7rocprim17ROCPRIM_400000_NS6detail17trampoline_kernelINS0_14default_configENS1_27scan_by_key_config_selectorIxxEEZZNS1_16scan_by_key_implILNS1_25lookback_scan_determinismE0ELb1ES3_N6thrust23THRUST_200600_302600_NS6detail15normal_iteratorINS9_10device_ptrIxEEEESE_SE_xNS9_10multipliesIxEENS9_8equal_toIxEExEE10hipError_tPvRmT2_T3_T4_T5_mT6_T7_P12ihipStream_tbENKUlT_T0_E_clISt17integral_constantIbLb1EESZ_EEDaSU_SV_EUlSU_E_NS1_11comp_targetILNS1_3genE4ELNS1_11target_archE910ELNS1_3gpuE8ELNS1_3repE0EEENS1_30default_config_static_selectorELNS0_4arch9wavefront6targetE0EEEvT1_,comdat
	.protected	_ZN7rocprim17ROCPRIM_400000_NS6detail17trampoline_kernelINS0_14default_configENS1_27scan_by_key_config_selectorIxxEEZZNS1_16scan_by_key_implILNS1_25lookback_scan_determinismE0ELb1ES3_N6thrust23THRUST_200600_302600_NS6detail15normal_iteratorINS9_10device_ptrIxEEEESE_SE_xNS9_10multipliesIxEENS9_8equal_toIxEExEE10hipError_tPvRmT2_T3_T4_T5_mT6_T7_P12ihipStream_tbENKUlT_T0_E_clISt17integral_constantIbLb1EESZ_EEDaSU_SV_EUlSU_E_NS1_11comp_targetILNS1_3genE4ELNS1_11target_archE910ELNS1_3gpuE8ELNS1_3repE0EEENS1_30default_config_static_selectorELNS0_4arch9wavefront6targetE0EEEvT1_ ; -- Begin function _ZN7rocprim17ROCPRIM_400000_NS6detail17trampoline_kernelINS0_14default_configENS1_27scan_by_key_config_selectorIxxEEZZNS1_16scan_by_key_implILNS1_25lookback_scan_determinismE0ELb1ES3_N6thrust23THRUST_200600_302600_NS6detail15normal_iteratorINS9_10device_ptrIxEEEESE_SE_xNS9_10multipliesIxEENS9_8equal_toIxEExEE10hipError_tPvRmT2_T3_T4_T5_mT6_T7_P12ihipStream_tbENKUlT_T0_E_clISt17integral_constantIbLb1EESZ_EEDaSU_SV_EUlSU_E_NS1_11comp_targetILNS1_3genE4ELNS1_11target_archE910ELNS1_3gpuE8ELNS1_3repE0EEENS1_30default_config_static_selectorELNS0_4arch9wavefront6targetE0EEEvT1_
	.globl	_ZN7rocprim17ROCPRIM_400000_NS6detail17trampoline_kernelINS0_14default_configENS1_27scan_by_key_config_selectorIxxEEZZNS1_16scan_by_key_implILNS1_25lookback_scan_determinismE0ELb1ES3_N6thrust23THRUST_200600_302600_NS6detail15normal_iteratorINS9_10device_ptrIxEEEESE_SE_xNS9_10multipliesIxEENS9_8equal_toIxEExEE10hipError_tPvRmT2_T3_T4_T5_mT6_T7_P12ihipStream_tbENKUlT_T0_E_clISt17integral_constantIbLb1EESZ_EEDaSU_SV_EUlSU_E_NS1_11comp_targetILNS1_3genE4ELNS1_11target_archE910ELNS1_3gpuE8ELNS1_3repE0EEENS1_30default_config_static_selectorELNS0_4arch9wavefront6targetE0EEEvT1_
	.p2align	8
	.type	_ZN7rocprim17ROCPRIM_400000_NS6detail17trampoline_kernelINS0_14default_configENS1_27scan_by_key_config_selectorIxxEEZZNS1_16scan_by_key_implILNS1_25lookback_scan_determinismE0ELb1ES3_N6thrust23THRUST_200600_302600_NS6detail15normal_iteratorINS9_10device_ptrIxEEEESE_SE_xNS9_10multipliesIxEENS9_8equal_toIxEExEE10hipError_tPvRmT2_T3_T4_T5_mT6_T7_P12ihipStream_tbENKUlT_T0_E_clISt17integral_constantIbLb1EESZ_EEDaSU_SV_EUlSU_E_NS1_11comp_targetILNS1_3genE4ELNS1_11target_archE910ELNS1_3gpuE8ELNS1_3repE0EEENS1_30default_config_static_selectorELNS0_4arch9wavefront6targetE0EEEvT1_,@function
_ZN7rocprim17ROCPRIM_400000_NS6detail17trampoline_kernelINS0_14default_configENS1_27scan_by_key_config_selectorIxxEEZZNS1_16scan_by_key_implILNS1_25lookback_scan_determinismE0ELb1ES3_N6thrust23THRUST_200600_302600_NS6detail15normal_iteratorINS9_10device_ptrIxEEEESE_SE_xNS9_10multipliesIxEENS9_8equal_toIxEExEE10hipError_tPvRmT2_T3_T4_T5_mT6_T7_P12ihipStream_tbENKUlT_T0_E_clISt17integral_constantIbLb1EESZ_EEDaSU_SV_EUlSU_E_NS1_11comp_targetILNS1_3genE4ELNS1_11target_archE910ELNS1_3gpuE8ELNS1_3repE0EEENS1_30default_config_static_selectorELNS0_4arch9wavefront6targetE0EEEvT1_: ; @_ZN7rocprim17ROCPRIM_400000_NS6detail17trampoline_kernelINS0_14default_configENS1_27scan_by_key_config_selectorIxxEEZZNS1_16scan_by_key_implILNS1_25lookback_scan_determinismE0ELb1ES3_N6thrust23THRUST_200600_302600_NS6detail15normal_iteratorINS9_10device_ptrIxEEEESE_SE_xNS9_10multipliesIxEENS9_8equal_toIxEExEE10hipError_tPvRmT2_T3_T4_T5_mT6_T7_P12ihipStream_tbENKUlT_T0_E_clISt17integral_constantIbLb1EESZ_EEDaSU_SV_EUlSU_E_NS1_11comp_targetILNS1_3genE4ELNS1_11target_archE910ELNS1_3gpuE8ELNS1_3repE0EEENS1_30default_config_static_selectorELNS0_4arch9wavefront6targetE0EEEvT1_
; %bb.0:
	.section	.rodata,"a",@progbits
	.p2align	6, 0x0
	.amdhsa_kernel _ZN7rocprim17ROCPRIM_400000_NS6detail17trampoline_kernelINS0_14default_configENS1_27scan_by_key_config_selectorIxxEEZZNS1_16scan_by_key_implILNS1_25lookback_scan_determinismE0ELb1ES3_N6thrust23THRUST_200600_302600_NS6detail15normal_iteratorINS9_10device_ptrIxEEEESE_SE_xNS9_10multipliesIxEENS9_8equal_toIxEExEE10hipError_tPvRmT2_T3_T4_T5_mT6_T7_P12ihipStream_tbENKUlT_T0_E_clISt17integral_constantIbLb1EESZ_EEDaSU_SV_EUlSU_E_NS1_11comp_targetILNS1_3genE4ELNS1_11target_archE910ELNS1_3gpuE8ELNS1_3repE0EEENS1_30default_config_static_selectorELNS0_4arch9wavefront6targetE0EEEvT1_
		.amdhsa_group_segment_fixed_size 0
		.amdhsa_private_segment_fixed_size 0
		.amdhsa_kernarg_size 136
		.amdhsa_user_sgpr_count 6
		.amdhsa_user_sgpr_private_segment_buffer 1
		.amdhsa_user_sgpr_dispatch_ptr 0
		.amdhsa_user_sgpr_queue_ptr 0
		.amdhsa_user_sgpr_kernarg_segment_ptr 1
		.amdhsa_user_sgpr_dispatch_id 0
		.amdhsa_user_sgpr_flat_scratch_init 0
		.amdhsa_user_sgpr_private_segment_size 0
		.amdhsa_wavefront_size32 1
		.amdhsa_uses_dynamic_stack 0
		.amdhsa_system_sgpr_private_segment_wavefront_offset 0
		.amdhsa_system_sgpr_workgroup_id_x 1
		.amdhsa_system_sgpr_workgroup_id_y 0
		.amdhsa_system_sgpr_workgroup_id_z 0
		.amdhsa_system_sgpr_workgroup_info 0
		.amdhsa_system_vgpr_workitem_id 0
		.amdhsa_next_free_vgpr 1
		.amdhsa_next_free_sgpr 1
		.amdhsa_reserve_vcc 0
		.amdhsa_reserve_flat_scratch 0
		.amdhsa_float_round_mode_32 0
		.amdhsa_float_round_mode_16_64 0
		.amdhsa_float_denorm_mode_32 3
		.amdhsa_float_denorm_mode_16_64 3
		.amdhsa_dx10_clamp 1
		.amdhsa_ieee_mode 1
		.amdhsa_fp16_overflow 0
		.amdhsa_workgroup_processor_mode 1
		.amdhsa_memory_ordered 1
		.amdhsa_forward_progress 1
		.amdhsa_shared_vgpr_count 0
		.amdhsa_exception_fp_ieee_invalid_op 0
		.amdhsa_exception_fp_denorm_src 0
		.amdhsa_exception_fp_ieee_div_zero 0
		.amdhsa_exception_fp_ieee_overflow 0
		.amdhsa_exception_fp_ieee_underflow 0
		.amdhsa_exception_fp_ieee_inexact 0
		.amdhsa_exception_int_div_zero 0
	.end_amdhsa_kernel
	.section	.text._ZN7rocprim17ROCPRIM_400000_NS6detail17trampoline_kernelINS0_14default_configENS1_27scan_by_key_config_selectorIxxEEZZNS1_16scan_by_key_implILNS1_25lookback_scan_determinismE0ELb1ES3_N6thrust23THRUST_200600_302600_NS6detail15normal_iteratorINS9_10device_ptrIxEEEESE_SE_xNS9_10multipliesIxEENS9_8equal_toIxEExEE10hipError_tPvRmT2_T3_T4_T5_mT6_T7_P12ihipStream_tbENKUlT_T0_E_clISt17integral_constantIbLb1EESZ_EEDaSU_SV_EUlSU_E_NS1_11comp_targetILNS1_3genE4ELNS1_11target_archE910ELNS1_3gpuE8ELNS1_3repE0EEENS1_30default_config_static_selectorELNS0_4arch9wavefront6targetE0EEEvT1_,"axG",@progbits,_ZN7rocprim17ROCPRIM_400000_NS6detail17trampoline_kernelINS0_14default_configENS1_27scan_by_key_config_selectorIxxEEZZNS1_16scan_by_key_implILNS1_25lookback_scan_determinismE0ELb1ES3_N6thrust23THRUST_200600_302600_NS6detail15normal_iteratorINS9_10device_ptrIxEEEESE_SE_xNS9_10multipliesIxEENS9_8equal_toIxEExEE10hipError_tPvRmT2_T3_T4_T5_mT6_T7_P12ihipStream_tbENKUlT_T0_E_clISt17integral_constantIbLb1EESZ_EEDaSU_SV_EUlSU_E_NS1_11comp_targetILNS1_3genE4ELNS1_11target_archE910ELNS1_3gpuE8ELNS1_3repE0EEENS1_30default_config_static_selectorELNS0_4arch9wavefront6targetE0EEEvT1_,comdat
.Lfunc_end401:
	.size	_ZN7rocprim17ROCPRIM_400000_NS6detail17trampoline_kernelINS0_14default_configENS1_27scan_by_key_config_selectorIxxEEZZNS1_16scan_by_key_implILNS1_25lookback_scan_determinismE0ELb1ES3_N6thrust23THRUST_200600_302600_NS6detail15normal_iteratorINS9_10device_ptrIxEEEESE_SE_xNS9_10multipliesIxEENS9_8equal_toIxEExEE10hipError_tPvRmT2_T3_T4_T5_mT6_T7_P12ihipStream_tbENKUlT_T0_E_clISt17integral_constantIbLb1EESZ_EEDaSU_SV_EUlSU_E_NS1_11comp_targetILNS1_3genE4ELNS1_11target_archE910ELNS1_3gpuE8ELNS1_3repE0EEENS1_30default_config_static_selectorELNS0_4arch9wavefront6targetE0EEEvT1_, .Lfunc_end401-_ZN7rocprim17ROCPRIM_400000_NS6detail17trampoline_kernelINS0_14default_configENS1_27scan_by_key_config_selectorIxxEEZZNS1_16scan_by_key_implILNS1_25lookback_scan_determinismE0ELb1ES3_N6thrust23THRUST_200600_302600_NS6detail15normal_iteratorINS9_10device_ptrIxEEEESE_SE_xNS9_10multipliesIxEENS9_8equal_toIxEExEE10hipError_tPvRmT2_T3_T4_T5_mT6_T7_P12ihipStream_tbENKUlT_T0_E_clISt17integral_constantIbLb1EESZ_EEDaSU_SV_EUlSU_E_NS1_11comp_targetILNS1_3genE4ELNS1_11target_archE910ELNS1_3gpuE8ELNS1_3repE0EEENS1_30default_config_static_selectorELNS0_4arch9wavefront6targetE0EEEvT1_
                                        ; -- End function
	.set _ZN7rocprim17ROCPRIM_400000_NS6detail17trampoline_kernelINS0_14default_configENS1_27scan_by_key_config_selectorIxxEEZZNS1_16scan_by_key_implILNS1_25lookback_scan_determinismE0ELb1ES3_N6thrust23THRUST_200600_302600_NS6detail15normal_iteratorINS9_10device_ptrIxEEEESE_SE_xNS9_10multipliesIxEENS9_8equal_toIxEExEE10hipError_tPvRmT2_T3_T4_T5_mT6_T7_P12ihipStream_tbENKUlT_T0_E_clISt17integral_constantIbLb1EESZ_EEDaSU_SV_EUlSU_E_NS1_11comp_targetILNS1_3genE4ELNS1_11target_archE910ELNS1_3gpuE8ELNS1_3repE0EEENS1_30default_config_static_selectorELNS0_4arch9wavefront6targetE0EEEvT1_.num_vgpr, 0
	.set _ZN7rocprim17ROCPRIM_400000_NS6detail17trampoline_kernelINS0_14default_configENS1_27scan_by_key_config_selectorIxxEEZZNS1_16scan_by_key_implILNS1_25lookback_scan_determinismE0ELb1ES3_N6thrust23THRUST_200600_302600_NS6detail15normal_iteratorINS9_10device_ptrIxEEEESE_SE_xNS9_10multipliesIxEENS9_8equal_toIxEExEE10hipError_tPvRmT2_T3_T4_T5_mT6_T7_P12ihipStream_tbENKUlT_T0_E_clISt17integral_constantIbLb1EESZ_EEDaSU_SV_EUlSU_E_NS1_11comp_targetILNS1_3genE4ELNS1_11target_archE910ELNS1_3gpuE8ELNS1_3repE0EEENS1_30default_config_static_selectorELNS0_4arch9wavefront6targetE0EEEvT1_.num_agpr, 0
	.set _ZN7rocprim17ROCPRIM_400000_NS6detail17trampoline_kernelINS0_14default_configENS1_27scan_by_key_config_selectorIxxEEZZNS1_16scan_by_key_implILNS1_25lookback_scan_determinismE0ELb1ES3_N6thrust23THRUST_200600_302600_NS6detail15normal_iteratorINS9_10device_ptrIxEEEESE_SE_xNS9_10multipliesIxEENS9_8equal_toIxEExEE10hipError_tPvRmT2_T3_T4_T5_mT6_T7_P12ihipStream_tbENKUlT_T0_E_clISt17integral_constantIbLb1EESZ_EEDaSU_SV_EUlSU_E_NS1_11comp_targetILNS1_3genE4ELNS1_11target_archE910ELNS1_3gpuE8ELNS1_3repE0EEENS1_30default_config_static_selectorELNS0_4arch9wavefront6targetE0EEEvT1_.numbered_sgpr, 0
	.set _ZN7rocprim17ROCPRIM_400000_NS6detail17trampoline_kernelINS0_14default_configENS1_27scan_by_key_config_selectorIxxEEZZNS1_16scan_by_key_implILNS1_25lookback_scan_determinismE0ELb1ES3_N6thrust23THRUST_200600_302600_NS6detail15normal_iteratorINS9_10device_ptrIxEEEESE_SE_xNS9_10multipliesIxEENS9_8equal_toIxEExEE10hipError_tPvRmT2_T3_T4_T5_mT6_T7_P12ihipStream_tbENKUlT_T0_E_clISt17integral_constantIbLb1EESZ_EEDaSU_SV_EUlSU_E_NS1_11comp_targetILNS1_3genE4ELNS1_11target_archE910ELNS1_3gpuE8ELNS1_3repE0EEENS1_30default_config_static_selectorELNS0_4arch9wavefront6targetE0EEEvT1_.num_named_barrier, 0
	.set _ZN7rocprim17ROCPRIM_400000_NS6detail17trampoline_kernelINS0_14default_configENS1_27scan_by_key_config_selectorIxxEEZZNS1_16scan_by_key_implILNS1_25lookback_scan_determinismE0ELb1ES3_N6thrust23THRUST_200600_302600_NS6detail15normal_iteratorINS9_10device_ptrIxEEEESE_SE_xNS9_10multipliesIxEENS9_8equal_toIxEExEE10hipError_tPvRmT2_T3_T4_T5_mT6_T7_P12ihipStream_tbENKUlT_T0_E_clISt17integral_constantIbLb1EESZ_EEDaSU_SV_EUlSU_E_NS1_11comp_targetILNS1_3genE4ELNS1_11target_archE910ELNS1_3gpuE8ELNS1_3repE0EEENS1_30default_config_static_selectorELNS0_4arch9wavefront6targetE0EEEvT1_.private_seg_size, 0
	.set _ZN7rocprim17ROCPRIM_400000_NS6detail17trampoline_kernelINS0_14default_configENS1_27scan_by_key_config_selectorIxxEEZZNS1_16scan_by_key_implILNS1_25lookback_scan_determinismE0ELb1ES3_N6thrust23THRUST_200600_302600_NS6detail15normal_iteratorINS9_10device_ptrIxEEEESE_SE_xNS9_10multipliesIxEENS9_8equal_toIxEExEE10hipError_tPvRmT2_T3_T4_T5_mT6_T7_P12ihipStream_tbENKUlT_T0_E_clISt17integral_constantIbLb1EESZ_EEDaSU_SV_EUlSU_E_NS1_11comp_targetILNS1_3genE4ELNS1_11target_archE910ELNS1_3gpuE8ELNS1_3repE0EEENS1_30default_config_static_selectorELNS0_4arch9wavefront6targetE0EEEvT1_.uses_vcc, 0
	.set _ZN7rocprim17ROCPRIM_400000_NS6detail17trampoline_kernelINS0_14default_configENS1_27scan_by_key_config_selectorIxxEEZZNS1_16scan_by_key_implILNS1_25lookback_scan_determinismE0ELb1ES3_N6thrust23THRUST_200600_302600_NS6detail15normal_iteratorINS9_10device_ptrIxEEEESE_SE_xNS9_10multipliesIxEENS9_8equal_toIxEExEE10hipError_tPvRmT2_T3_T4_T5_mT6_T7_P12ihipStream_tbENKUlT_T0_E_clISt17integral_constantIbLb1EESZ_EEDaSU_SV_EUlSU_E_NS1_11comp_targetILNS1_3genE4ELNS1_11target_archE910ELNS1_3gpuE8ELNS1_3repE0EEENS1_30default_config_static_selectorELNS0_4arch9wavefront6targetE0EEEvT1_.uses_flat_scratch, 0
	.set _ZN7rocprim17ROCPRIM_400000_NS6detail17trampoline_kernelINS0_14default_configENS1_27scan_by_key_config_selectorIxxEEZZNS1_16scan_by_key_implILNS1_25lookback_scan_determinismE0ELb1ES3_N6thrust23THRUST_200600_302600_NS6detail15normal_iteratorINS9_10device_ptrIxEEEESE_SE_xNS9_10multipliesIxEENS9_8equal_toIxEExEE10hipError_tPvRmT2_T3_T4_T5_mT6_T7_P12ihipStream_tbENKUlT_T0_E_clISt17integral_constantIbLb1EESZ_EEDaSU_SV_EUlSU_E_NS1_11comp_targetILNS1_3genE4ELNS1_11target_archE910ELNS1_3gpuE8ELNS1_3repE0EEENS1_30default_config_static_selectorELNS0_4arch9wavefront6targetE0EEEvT1_.has_dyn_sized_stack, 0
	.set _ZN7rocprim17ROCPRIM_400000_NS6detail17trampoline_kernelINS0_14default_configENS1_27scan_by_key_config_selectorIxxEEZZNS1_16scan_by_key_implILNS1_25lookback_scan_determinismE0ELb1ES3_N6thrust23THRUST_200600_302600_NS6detail15normal_iteratorINS9_10device_ptrIxEEEESE_SE_xNS9_10multipliesIxEENS9_8equal_toIxEExEE10hipError_tPvRmT2_T3_T4_T5_mT6_T7_P12ihipStream_tbENKUlT_T0_E_clISt17integral_constantIbLb1EESZ_EEDaSU_SV_EUlSU_E_NS1_11comp_targetILNS1_3genE4ELNS1_11target_archE910ELNS1_3gpuE8ELNS1_3repE0EEENS1_30default_config_static_selectorELNS0_4arch9wavefront6targetE0EEEvT1_.has_recursion, 0
	.set _ZN7rocprim17ROCPRIM_400000_NS6detail17trampoline_kernelINS0_14default_configENS1_27scan_by_key_config_selectorIxxEEZZNS1_16scan_by_key_implILNS1_25lookback_scan_determinismE0ELb1ES3_N6thrust23THRUST_200600_302600_NS6detail15normal_iteratorINS9_10device_ptrIxEEEESE_SE_xNS9_10multipliesIxEENS9_8equal_toIxEExEE10hipError_tPvRmT2_T3_T4_T5_mT6_T7_P12ihipStream_tbENKUlT_T0_E_clISt17integral_constantIbLb1EESZ_EEDaSU_SV_EUlSU_E_NS1_11comp_targetILNS1_3genE4ELNS1_11target_archE910ELNS1_3gpuE8ELNS1_3repE0EEENS1_30default_config_static_selectorELNS0_4arch9wavefront6targetE0EEEvT1_.has_indirect_call, 0
	.section	.AMDGPU.csdata,"",@progbits
; Kernel info:
; codeLenInByte = 0
; TotalNumSgprs: 0
; NumVgprs: 0
; ScratchSize: 0
; MemoryBound: 0
; FloatMode: 240
; IeeeMode: 1
; LDSByteSize: 0 bytes/workgroup (compile time only)
; SGPRBlocks: 0
; VGPRBlocks: 0
; NumSGPRsForWavesPerEU: 1
; NumVGPRsForWavesPerEU: 1
; Occupancy: 16
; WaveLimiterHint : 0
; COMPUTE_PGM_RSRC2:SCRATCH_EN: 0
; COMPUTE_PGM_RSRC2:USER_SGPR: 6
; COMPUTE_PGM_RSRC2:TRAP_HANDLER: 0
; COMPUTE_PGM_RSRC2:TGID_X_EN: 1
; COMPUTE_PGM_RSRC2:TGID_Y_EN: 0
; COMPUTE_PGM_RSRC2:TGID_Z_EN: 0
; COMPUTE_PGM_RSRC2:TIDIG_COMP_CNT: 0
	.section	.text._ZN7rocprim17ROCPRIM_400000_NS6detail17trampoline_kernelINS0_14default_configENS1_27scan_by_key_config_selectorIxxEEZZNS1_16scan_by_key_implILNS1_25lookback_scan_determinismE0ELb1ES3_N6thrust23THRUST_200600_302600_NS6detail15normal_iteratorINS9_10device_ptrIxEEEESE_SE_xNS9_10multipliesIxEENS9_8equal_toIxEExEE10hipError_tPvRmT2_T3_T4_T5_mT6_T7_P12ihipStream_tbENKUlT_T0_E_clISt17integral_constantIbLb1EESZ_EEDaSU_SV_EUlSU_E_NS1_11comp_targetILNS1_3genE3ELNS1_11target_archE908ELNS1_3gpuE7ELNS1_3repE0EEENS1_30default_config_static_selectorELNS0_4arch9wavefront6targetE0EEEvT1_,"axG",@progbits,_ZN7rocprim17ROCPRIM_400000_NS6detail17trampoline_kernelINS0_14default_configENS1_27scan_by_key_config_selectorIxxEEZZNS1_16scan_by_key_implILNS1_25lookback_scan_determinismE0ELb1ES3_N6thrust23THRUST_200600_302600_NS6detail15normal_iteratorINS9_10device_ptrIxEEEESE_SE_xNS9_10multipliesIxEENS9_8equal_toIxEExEE10hipError_tPvRmT2_T3_T4_T5_mT6_T7_P12ihipStream_tbENKUlT_T0_E_clISt17integral_constantIbLb1EESZ_EEDaSU_SV_EUlSU_E_NS1_11comp_targetILNS1_3genE3ELNS1_11target_archE908ELNS1_3gpuE7ELNS1_3repE0EEENS1_30default_config_static_selectorELNS0_4arch9wavefront6targetE0EEEvT1_,comdat
	.protected	_ZN7rocprim17ROCPRIM_400000_NS6detail17trampoline_kernelINS0_14default_configENS1_27scan_by_key_config_selectorIxxEEZZNS1_16scan_by_key_implILNS1_25lookback_scan_determinismE0ELb1ES3_N6thrust23THRUST_200600_302600_NS6detail15normal_iteratorINS9_10device_ptrIxEEEESE_SE_xNS9_10multipliesIxEENS9_8equal_toIxEExEE10hipError_tPvRmT2_T3_T4_T5_mT6_T7_P12ihipStream_tbENKUlT_T0_E_clISt17integral_constantIbLb1EESZ_EEDaSU_SV_EUlSU_E_NS1_11comp_targetILNS1_3genE3ELNS1_11target_archE908ELNS1_3gpuE7ELNS1_3repE0EEENS1_30default_config_static_selectorELNS0_4arch9wavefront6targetE0EEEvT1_ ; -- Begin function _ZN7rocprim17ROCPRIM_400000_NS6detail17trampoline_kernelINS0_14default_configENS1_27scan_by_key_config_selectorIxxEEZZNS1_16scan_by_key_implILNS1_25lookback_scan_determinismE0ELb1ES3_N6thrust23THRUST_200600_302600_NS6detail15normal_iteratorINS9_10device_ptrIxEEEESE_SE_xNS9_10multipliesIxEENS9_8equal_toIxEExEE10hipError_tPvRmT2_T3_T4_T5_mT6_T7_P12ihipStream_tbENKUlT_T0_E_clISt17integral_constantIbLb1EESZ_EEDaSU_SV_EUlSU_E_NS1_11comp_targetILNS1_3genE3ELNS1_11target_archE908ELNS1_3gpuE7ELNS1_3repE0EEENS1_30default_config_static_selectorELNS0_4arch9wavefront6targetE0EEEvT1_
	.globl	_ZN7rocprim17ROCPRIM_400000_NS6detail17trampoline_kernelINS0_14default_configENS1_27scan_by_key_config_selectorIxxEEZZNS1_16scan_by_key_implILNS1_25lookback_scan_determinismE0ELb1ES3_N6thrust23THRUST_200600_302600_NS6detail15normal_iteratorINS9_10device_ptrIxEEEESE_SE_xNS9_10multipliesIxEENS9_8equal_toIxEExEE10hipError_tPvRmT2_T3_T4_T5_mT6_T7_P12ihipStream_tbENKUlT_T0_E_clISt17integral_constantIbLb1EESZ_EEDaSU_SV_EUlSU_E_NS1_11comp_targetILNS1_3genE3ELNS1_11target_archE908ELNS1_3gpuE7ELNS1_3repE0EEENS1_30default_config_static_selectorELNS0_4arch9wavefront6targetE0EEEvT1_
	.p2align	8
	.type	_ZN7rocprim17ROCPRIM_400000_NS6detail17trampoline_kernelINS0_14default_configENS1_27scan_by_key_config_selectorIxxEEZZNS1_16scan_by_key_implILNS1_25lookback_scan_determinismE0ELb1ES3_N6thrust23THRUST_200600_302600_NS6detail15normal_iteratorINS9_10device_ptrIxEEEESE_SE_xNS9_10multipliesIxEENS9_8equal_toIxEExEE10hipError_tPvRmT2_T3_T4_T5_mT6_T7_P12ihipStream_tbENKUlT_T0_E_clISt17integral_constantIbLb1EESZ_EEDaSU_SV_EUlSU_E_NS1_11comp_targetILNS1_3genE3ELNS1_11target_archE908ELNS1_3gpuE7ELNS1_3repE0EEENS1_30default_config_static_selectorELNS0_4arch9wavefront6targetE0EEEvT1_,@function
_ZN7rocprim17ROCPRIM_400000_NS6detail17trampoline_kernelINS0_14default_configENS1_27scan_by_key_config_selectorIxxEEZZNS1_16scan_by_key_implILNS1_25lookback_scan_determinismE0ELb1ES3_N6thrust23THRUST_200600_302600_NS6detail15normal_iteratorINS9_10device_ptrIxEEEESE_SE_xNS9_10multipliesIxEENS9_8equal_toIxEExEE10hipError_tPvRmT2_T3_T4_T5_mT6_T7_P12ihipStream_tbENKUlT_T0_E_clISt17integral_constantIbLb1EESZ_EEDaSU_SV_EUlSU_E_NS1_11comp_targetILNS1_3genE3ELNS1_11target_archE908ELNS1_3gpuE7ELNS1_3repE0EEENS1_30default_config_static_selectorELNS0_4arch9wavefront6targetE0EEEvT1_: ; @_ZN7rocprim17ROCPRIM_400000_NS6detail17trampoline_kernelINS0_14default_configENS1_27scan_by_key_config_selectorIxxEEZZNS1_16scan_by_key_implILNS1_25lookback_scan_determinismE0ELb1ES3_N6thrust23THRUST_200600_302600_NS6detail15normal_iteratorINS9_10device_ptrIxEEEESE_SE_xNS9_10multipliesIxEENS9_8equal_toIxEExEE10hipError_tPvRmT2_T3_T4_T5_mT6_T7_P12ihipStream_tbENKUlT_T0_E_clISt17integral_constantIbLb1EESZ_EEDaSU_SV_EUlSU_E_NS1_11comp_targetILNS1_3genE3ELNS1_11target_archE908ELNS1_3gpuE7ELNS1_3repE0EEENS1_30default_config_static_selectorELNS0_4arch9wavefront6targetE0EEEvT1_
; %bb.0:
	.section	.rodata,"a",@progbits
	.p2align	6, 0x0
	.amdhsa_kernel _ZN7rocprim17ROCPRIM_400000_NS6detail17trampoline_kernelINS0_14default_configENS1_27scan_by_key_config_selectorIxxEEZZNS1_16scan_by_key_implILNS1_25lookback_scan_determinismE0ELb1ES3_N6thrust23THRUST_200600_302600_NS6detail15normal_iteratorINS9_10device_ptrIxEEEESE_SE_xNS9_10multipliesIxEENS9_8equal_toIxEExEE10hipError_tPvRmT2_T3_T4_T5_mT6_T7_P12ihipStream_tbENKUlT_T0_E_clISt17integral_constantIbLb1EESZ_EEDaSU_SV_EUlSU_E_NS1_11comp_targetILNS1_3genE3ELNS1_11target_archE908ELNS1_3gpuE7ELNS1_3repE0EEENS1_30default_config_static_selectorELNS0_4arch9wavefront6targetE0EEEvT1_
		.amdhsa_group_segment_fixed_size 0
		.amdhsa_private_segment_fixed_size 0
		.amdhsa_kernarg_size 136
		.amdhsa_user_sgpr_count 6
		.amdhsa_user_sgpr_private_segment_buffer 1
		.amdhsa_user_sgpr_dispatch_ptr 0
		.amdhsa_user_sgpr_queue_ptr 0
		.amdhsa_user_sgpr_kernarg_segment_ptr 1
		.amdhsa_user_sgpr_dispatch_id 0
		.amdhsa_user_sgpr_flat_scratch_init 0
		.amdhsa_user_sgpr_private_segment_size 0
		.amdhsa_wavefront_size32 1
		.amdhsa_uses_dynamic_stack 0
		.amdhsa_system_sgpr_private_segment_wavefront_offset 0
		.amdhsa_system_sgpr_workgroup_id_x 1
		.amdhsa_system_sgpr_workgroup_id_y 0
		.amdhsa_system_sgpr_workgroup_id_z 0
		.amdhsa_system_sgpr_workgroup_info 0
		.amdhsa_system_vgpr_workitem_id 0
		.amdhsa_next_free_vgpr 1
		.amdhsa_next_free_sgpr 1
		.amdhsa_reserve_vcc 0
		.amdhsa_reserve_flat_scratch 0
		.amdhsa_float_round_mode_32 0
		.amdhsa_float_round_mode_16_64 0
		.amdhsa_float_denorm_mode_32 3
		.amdhsa_float_denorm_mode_16_64 3
		.amdhsa_dx10_clamp 1
		.amdhsa_ieee_mode 1
		.amdhsa_fp16_overflow 0
		.amdhsa_workgroup_processor_mode 1
		.amdhsa_memory_ordered 1
		.amdhsa_forward_progress 1
		.amdhsa_shared_vgpr_count 0
		.amdhsa_exception_fp_ieee_invalid_op 0
		.amdhsa_exception_fp_denorm_src 0
		.amdhsa_exception_fp_ieee_div_zero 0
		.amdhsa_exception_fp_ieee_overflow 0
		.amdhsa_exception_fp_ieee_underflow 0
		.amdhsa_exception_fp_ieee_inexact 0
		.amdhsa_exception_int_div_zero 0
	.end_amdhsa_kernel
	.section	.text._ZN7rocprim17ROCPRIM_400000_NS6detail17trampoline_kernelINS0_14default_configENS1_27scan_by_key_config_selectorIxxEEZZNS1_16scan_by_key_implILNS1_25lookback_scan_determinismE0ELb1ES3_N6thrust23THRUST_200600_302600_NS6detail15normal_iteratorINS9_10device_ptrIxEEEESE_SE_xNS9_10multipliesIxEENS9_8equal_toIxEExEE10hipError_tPvRmT2_T3_T4_T5_mT6_T7_P12ihipStream_tbENKUlT_T0_E_clISt17integral_constantIbLb1EESZ_EEDaSU_SV_EUlSU_E_NS1_11comp_targetILNS1_3genE3ELNS1_11target_archE908ELNS1_3gpuE7ELNS1_3repE0EEENS1_30default_config_static_selectorELNS0_4arch9wavefront6targetE0EEEvT1_,"axG",@progbits,_ZN7rocprim17ROCPRIM_400000_NS6detail17trampoline_kernelINS0_14default_configENS1_27scan_by_key_config_selectorIxxEEZZNS1_16scan_by_key_implILNS1_25lookback_scan_determinismE0ELb1ES3_N6thrust23THRUST_200600_302600_NS6detail15normal_iteratorINS9_10device_ptrIxEEEESE_SE_xNS9_10multipliesIxEENS9_8equal_toIxEExEE10hipError_tPvRmT2_T3_T4_T5_mT6_T7_P12ihipStream_tbENKUlT_T0_E_clISt17integral_constantIbLb1EESZ_EEDaSU_SV_EUlSU_E_NS1_11comp_targetILNS1_3genE3ELNS1_11target_archE908ELNS1_3gpuE7ELNS1_3repE0EEENS1_30default_config_static_selectorELNS0_4arch9wavefront6targetE0EEEvT1_,comdat
.Lfunc_end402:
	.size	_ZN7rocprim17ROCPRIM_400000_NS6detail17trampoline_kernelINS0_14default_configENS1_27scan_by_key_config_selectorIxxEEZZNS1_16scan_by_key_implILNS1_25lookback_scan_determinismE0ELb1ES3_N6thrust23THRUST_200600_302600_NS6detail15normal_iteratorINS9_10device_ptrIxEEEESE_SE_xNS9_10multipliesIxEENS9_8equal_toIxEExEE10hipError_tPvRmT2_T3_T4_T5_mT6_T7_P12ihipStream_tbENKUlT_T0_E_clISt17integral_constantIbLb1EESZ_EEDaSU_SV_EUlSU_E_NS1_11comp_targetILNS1_3genE3ELNS1_11target_archE908ELNS1_3gpuE7ELNS1_3repE0EEENS1_30default_config_static_selectorELNS0_4arch9wavefront6targetE0EEEvT1_, .Lfunc_end402-_ZN7rocprim17ROCPRIM_400000_NS6detail17trampoline_kernelINS0_14default_configENS1_27scan_by_key_config_selectorIxxEEZZNS1_16scan_by_key_implILNS1_25lookback_scan_determinismE0ELb1ES3_N6thrust23THRUST_200600_302600_NS6detail15normal_iteratorINS9_10device_ptrIxEEEESE_SE_xNS9_10multipliesIxEENS9_8equal_toIxEExEE10hipError_tPvRmT2_T3_T4_T5_mT6_T7_P12ihipStream_tbENKUlT_T0_E_clISt17integral_constantIbLb1EESZ_EEDaSU_SV_EUlSU_E_NS1_11comp_targetILNS1_3genE3ELNS1_11target_archE908ELNS1_3gpuE7ELNS1_3repE0EEENS1_30default_config_static_selectorELNS0_4arch9wavefront6targetE0EEEvT1_
                                        ; -- End function
	.set _ZN7rocprim17ROCPRIM_400000_NS6detail17trampoline_kernelINS0_14default_configENS1_27scan_by_key_config_selectorIxxEEZZNS1_16scan_by_key_implILNS1_25lookback_scan_determinismE0ELb1ES3_N6thrust23THRUST_200600_302600_NS6detail15normal_iteratorINS9_10device_ptrIxEEEESE_SE_xNS9_10multipliesIxEENS9_8equal_toIxEExEE10hipError_tPvRmT2_T3_T4_T5_mT6_T7_P12ihipStream_tbENKUlT_T0_E_clISt17integral_constantIbLb1EESZ_EEDaSU_SV_EUlSU_E_NS1_11comp_targetILNS1_3genE3ELNS1_11target_archE908ELNS1_3gpuE7ELNS1_3repE0EEENS1_30default_config_static_selectorELNS0_4arch9wavefront6targetE0EEEvT1_.num_vgpr, 0
	.set _ZN7rocprim17ROCPRIM_400000_NS6detail17trampoline_kernelINS0_14default_configENS1_27scan_by_key_config_selectorIxxEEZZNS1_16scan_by_key_implILNS1_25lookback_scan_determinismE0ELb1ES3_N6thrust23THRUST_200600_302600_NS6detail15normal_iteratorINS9_10device_ptrIxEEEESE_SE_xNS9_10multipliesIxEENS9_8equal_toIxEExEE10hipError_tPvRmT2_T3_T4_T5_mT6_T7_P12ihipStream_tbENKUlT_T0_E_clISt17integral_constantIbLb1EESZ_EEDaSU_SV_EUlSU_E_NS1_11comp_targetILNS1_3genE3ELNS1_11target_archE908ELNS1_3gpuE7ELNS1_3repE0EEENS1_30default_config_static_selectorELNS0_4arch9wavefront6targetE0EEEvT1_.num_agpr, 0
	.set _ZN7rocprim17ROCPRIM_400000_NS6detail17trampoline_kernelINS0_14default_configENS1_27scan_by_key_config_selectorIxxEEZZNS1_16scan_by_key_implILNS1_25lookback_scan_determinismE0ELb1ES3_N6thrust23THRUST_200600_302600_NS6detail15normal_iteratorINS9_10device_ptrIxEEEESE_SE_xNS9_10multipliesIxEENS9_8equal_toIxEExEE10hipError_tPvRmT2_T3_T4_T5_mT6_T7_P12ihipStream_tbENKUlT_T0_E_clISt17integral_constantIbLb1EESZ_EEDaSU_SV_EUlSU_E_NS1_11comp_targetILNS1_3genE3ELNS1_11target_archE908ELNS1_3gpuE7ELNS1_3repE0EEENS1_30default_config_static_selectorELNS0_4arch9wavefront6targetE0EEEvT1_.numbered_sgpr, 0
	.set _ZN7rocprim17ROCPRIM_400000_NS6detail17trampoline_kernelINS0_14default_configENS1_27scan_by_key_config_selectorIxxEEZZNS1_16scan_by_key_implILNS1_25lookback_scan_determinismE0ELb1ES3_N6thrust23THRUST_200600_302600_NS6detail15normal_iteratorINS9_10device_ptrIxEEEESE_SE_xNS9_10multipliesIxEENS9_8equal_toIxEExEE10hipError_tPvRmT2_T3_T4_T5_mT6_T7_P12ihipStream_tbENKUlT_T0_E_clISt17integral_constantIbLb1EESZ_EEDaSU_SV_EUlSU_E_NS1_11comp_targetILNS1_3genE3ELNS1_11target_archE908ELNS1_3gpuE7ELNS1_3repE0EEENS1_30default_config_static_selectorELNS0_4arch9wavefront6targetE0EEEvT1_.num_named_barrier, 0
	.set _ZN7rocprim17ROCPRIM_400000_NS6detail17trampoline_kernelINS0_14default_configENS1_27scan_by_key_config_selectorIxxEEZZNS1_16scan_by_key_implILNS1_25lookback_scan_determinismE0ELb1ES3_N6thrust23THRUST_200600_302600_NS6detail15normal_iteratorINS9_10device_ptrIxEEEESE_SE_xNS9_10multipliesIxEENS9_8equal_toIxEExEE10hipError_tPvRmT2_T3_T4_T5_mT6_T7_P12ihipStream_tbENKUlT_T0_E_clISt17integral_constantIbLb1EESZ_EEDaSU_SV_EUlSU_E_NS1_11comp_targetILNS1_3genE3ELNS1_11target_archE908ELNS1_3gpuE7ELNS1_3repE0EEENS1_30default_config_static_selectorELNS0_4arch9wavefront6targetE0EEEvT1_.private_seg_size, 0
	.set _ZN7rocprim17ROCPRIM_400000_NS6detail17trampoline_kernelINS0_14default_configENS1_27scan_by_key_config_selectorIxxEEZZNS1_16scan_by_key_implILNS1_25lookback_scan_determinismE0ELb1ES3_N6thrust23THRUST_200600_302600_NS6detail15normal_iteratorINS9_10device_ptrIxEEEESE_SE_xNS9_10multipliesIxEENS9_8equal_toIxEExEE10hipError_tPvRmT2_T3_T4_T5_mT6_T7_P12ihipStream_tbENKUlT_T0_E_clISt17integral_constantIbLb1EESZ_EEDaSU_SV_EUlSU_E_NS1_11comp_targetILNS1_3genE3ELNS1_11target_archE908ELNS1_3gpuE7ELNS1_3repE0EEENS1_30default_config_static_selectorELNS0_4arch9wavefront6targetE0EEEvT1_.uses_vcc, 0
	.set _ZN7rocprim17ROCPRIM_400000_NS6detail17trampoline_kernelINS0_14default_configENS1_27scan_by_key_config_selectorIxxEEZZNS1_16scan_by_key_implILNS1_25lookback_scan_determinismE0ELb1ES3_N6thrust23THRUST_200600_302600_NS6detail15normal_iteratorINS9_10device_ptrIxEEEESE_SE_xNS9_10multipliesIxEENS9_8equal_toIxEExEE10hipError_tPvRmT2_T3_T4_T5_mT6_T7_P12ihipStream_tbENKUlT_T0_E_clISt17integral_constantIbLb1EESZ_EEDaSU_SV_EUlSU_E_NS1_11comp_targetILNS1_3genE3ELNS1_11target_archE908ELNS1_3gpuE7ELNS1_3repE0EEENS1_30default_config_static_selectorELNS0_4arch9wavefront6targetE0EEEvT1_.uses_flat_scratch, 0
	.set _ZN7rocprim17ROCPRIM_400000_NS6detail17trampoline_kernelINS0_14default_configENS1_27scan_by_key_config_selectorIxxEEZZNS1_16scan_by_key_implILNS1_25lookback_scan_determinismE0ELb1ES3_N6thrust23THRUST_200600_302600_NS6detail15normal_iteratorINS9_10device_ptrIxEEEESE_SE_xNS9_10multipliesIxEENS9_8equal_toIxEExEE10hipError_tPvRmT2_T3_T4_T5_mT6_T7_P12ihipStream_tbENKUlT_T0_E_clISt17integral_constantIbLb1EESZ_EEDaSU_SV_EUlSU_E_NS1_11comp_targetILNS1_3genE3ELNS1_11target_archE908ELNS1_3gpuE7ELNS1_3repE0EEENS1_30default_config_static_selectorELNS0_4arch9wavefront6targetE0EEEvT1_.has_dyn_sized_stack, 0
	.set _ZN7rocprim17ROCPRIM_400000_NS6detail17trampoline_kernelINS0_14default_configENS1_27scan_by_key_config_selectorIxxEEZZNS1_16scan_by_key_implILNS1_25lookback_scan_determinismE0ELb1ES3_N6thrust23THRUST_200600_302600_NS6detail15normal_iteratorINS9_10device_ptrIxEEEESE_SE_xNS9_10multipliesIxEENS9_8equal_toIxEExEE10hipError_tPvRmT2_T3_T4_T5_mT6_T7_P12ihipStream_tbENKUlT_T0_E_clISt17integral_constantIbLb1EESZ_EEDaSU_SV_EUlSU_E_NS1_11comp_targetILNS1_3genE3ELNS1_11target_archE908ELNS1_3gpuE7ELNS1_3repE0EEENS1_30default_config_static_selectorELNS0_4arch9wavefront6targetE0EEEvT1_.has_recursion, 0
	.set _ZN7rocprim17ROCPRIM_400000_NS6detail17trampoline_kernelINS0_14default_configENS1_27scan_by_key_config_selectorIxxEEZZNS1_16scan_by_key_implILNS1_25lookback_scan_determinismE0ELb1ES3_N6thrust23THRUST_200600_302600_NS6detail15normal_iteratorINS9_10device_ptrIxEEEESE_SE_xNS9_10multipliesIxEENS9_8equal_toIxEExEE10hipError_tPvRmT2_T3_T4_T5_mT6_T7_P12ihipStream_tbENKUlT_T0_E_clISt17integral_constantIbLb1EESZ_EEDaSU_SV_EUlSU_E_NS1_11comp_targetILNS1_3genE3ELNS1_11target_archE908ELNS1_3gpuE7ELNS1_3repE0EEENS1_30default_config_static_selectorELNS0_4arch9wavefront6targetE0EEEvT1_.has_indirect_call, 0
	.section	.AMDGPU.csdata,"",@progbits
; Kernel info:
; codeLenInByte = 0
; TotalNumSgprs: 0
; NumVgprs: 0
; ScratchSize: 0
; MemoryBound: 0
; FloatMode: 240
; IeeeMode: 1
; LDSByteSize: 0 bytes/workgroup (compile time only)
; SGPRBlocks: 0
; VGPRBlocks: 0
; NumSGPRsForWavesPerEU: 1
; NumVGPRsForWavesPerEU: 1
; Occupancy: 16
; WaveLimiterHint : 0
; COMPUTE_PGM_RSRC2:SCRATCH_EN: 0
; COMPUTE_PGM_RSRC2:USER_SGPR: 6
; COMPUTE_PGM_RSRC2:TRAP_HANDLER: 0
; COMPUTE_PGM_RSRC2:TGID_X_EN: 1
; COMPUTE_PGM_RSRC2:TGID_Y_EN: 0
; COMPUTE_PGM_RSRC2:TGID_Z_EN: 0
; COMPUTE_PGM_RSRC2:TIDIG_COMP_CNT: 0
	.section	.text._ZN7rocprim17ROCPRIM_400000_NS6detail17trampoline_kernelINS0_14default_configENS1_27scan_by_key_config_selectorIxxEEZZNS1_16scan_by_key_implILNS1_25lookback_scan_determinismE0ELb1ES3_N6thrust23THRUST_200600_302600_NS6detail15normal_iteratorINS9_10device_ptrIxEEEESE_SE_xNS9_10multipliesIxEENS9_8equal_toIxEExEE10hipError_tPvRmT2_T3_T4_T5_mT6_T7_P12ihipStream_tbENKUlT_T0_E_clISt17integral_constantIbLb1EESZ_EEDaSU_SV_EUlSU_E_NS1_11comp_targetILNS1_3genE2ELNS1_11target_archE906ELNS1_3gpuE6ELNS1_3repE0EEENS1_30default_config_static_selectorELNS0_4arch9wavefront6targetE0EEEvT1_,"axG",@progbits,_ZN7rocprim17ROCPRIM_400000_NS6detail17trampoline_kernelINS0_14default_configENS1_27scan_by_key_config_selectorIxxEEZZNS1_16scan_by_key_implILNS1_25lookback_scan_determinismE0ELb1ES3_N6thrust23THRUST_200600_302600_NS6detail15normal_iteratorINS9_10device_ptrIxEEEESE_SE_xNS9_10multipliesIxEENS9_8equal_toIxEExEE10hipError_tPvRmT2_T3_T4_T5_mT6_T7_P12ihipStream_tbENKUlT_T0_E_clISt17integral_constantIbLb1EESZ_EEDaSU_SV_EUlSU_E_NS1_11comp_targetILNS1_3genE2ELNS1_11target_archE906ELNS1_3gpuE6ELNS1_3repE0EEENS1_30default_config_static_selectorELNS0_4arch9wavefront6targetE0EEEvT1_,comdat
	.protected	_ZN7rocprim17ROCPRIM_400000_NS6detail17trampoline_kernelINS0_14default_configENS1_27scan_by_key_config_selectorIxxEEZZNS1_16scan_by_key_implILNS1_25lookback_scan_determinismE0ELb1ES3_N6thrust23THRUST_200600_302600_NS6detail15normal_iteratorINS9_10device_ptrIxEEEESE_SE_xNS9_10multipliesIxEENS9_8equal_toIxEExEE10hipError_tPvRmT2_T3_T4_T5_mT6_T7_P12ihipStream_tbENKUlT_T0_E_clISt17integral_constantIbLb1EESZ_EEDaSU_SV_EUlSU_E_NS1_11comp_targetILNS1_3genE2ELNS1_11target_archE906ELNS1_3gpuE6ELNS1_3repE0EEENS1_30default_config_static_selectorELNS0_4arch9wavefront6targetE0EEEvT1_ ; -- Begin function _ZN7rocprim17ROCPRIM_400000_NS6detail17trampoline_kernelINS0_14default_configENS1_27scan_by_key_config_selectorIxxEEZZNS1_16scan_by_key_implILNS1_25lookback_scan_determinismE0ELb1ES3_N6thrust23THRUST_200600_302600_NS6detail15normal_iteratorINS9_10device_ptrIxEEEESE_SE_xNS9_10multipliesIxEENS9_8equal_toIxEExEE10hipError_tPvRmT2_T3_T4_T5_mT6_T7_P12ihipStream_tbENKUlT_T0_E_clISt17integral_constantIbLb1EESZ_EEDaSU_SV_EUlSU_E_NS1_11comp_targetILNS1_3genE2ELNS1_11target_archE906ELNS1_3gpuE6ELNS1_3repE0EEENS1_30default_config_static_selectorELNS0_4arch9wavefront6targetE0EEEvT1_
	.globl	_ZN7rocprim17ROCPRIM_400000_NS6detail17trampoline_kernelINS0_14default_configENS1_27scan_by_key_config_selectorIxxEEZZNS1_16scan_by_key_implILNS1_25lookback_scan_determinismE0ELb1ES3_N6thrust23THRUST_200600_302600_NS6detail15normal_iteratorINS9_10device_ptrIxEEEESE_SE_xNS9_10multipliesIxEENS9_8equal_toIxEExEE10hipError_tPvRmT2_T3_T4_T5_mT6_T7_P12ihipStream_tbENKUlT_T0_E_clISt17integral_constantIbLb1EESZ_EEDaSU_SV_EUlSU_E_NS1_11comp_targetILNS1_3genE2ELNS1_11target_archE906ELNS1_3gpuE6ELNS1_3repE0EEENS1_30default_config_static_selectorELNS0_4arch9wavefront6targetE0EEEvT1_
	.p2align	8
	.type	_ZN7rocprim17ROCPRIM_400000_NS6detail17trampoline_kernelINS0_14default_configENS1_27scan_by_key_config_selectorIxxEEZZNS1_16scan_by_key_implILNS1_25lookback_scan_determinismE0ELb1ES3_N6thrust23THRUST_200600_302600_NS6detail15normal_iteratorINS9_10device_ptrIxEEEESE_SE_xNS9_10multipliesIxEENS9_8equal_toIxEExEE10hipError_tPvRmT2_T3_T4_T5_mT6_T7_P12ihipStream_tbENKUlT_T0_E_clISt17integral_constantIbLb1EESZ_EEDaSU_SV_EUlSU_E_NS1_11comp_targetILNS1_3genE2ELNS1_11target_archE906ELNS1_3gpuE6ELNS1_3repE0EEENS1_30default_config_static_selectorELNS0_4arch9wavefront6targetE0EEEvT1_,@function
_ZN7rocprim17ROCPRIM_400000_NS6detail17trampoline_kernelINS0_14default_configENS1_27scan_by_key_config_selectorIxxEEZZNS1_16scan_by_key_implILNS1_25lookback_scan_determinismE0ELb1ES3_N6thrust23THRUST_200600_302600_NS6detail15normal_iteratorINS9_10device_ptrIxEEEESE_SE_xNS9_10multipliesIxEENS9_8equal_toIxEExEE10hipError_tPvRmT2_T3_T4_T5_mT6_T7_P12ihipStream_tbENKUlT_T0_E_clISt17integral_constantIbLb1EESZ_EEDaSU_SV_EUlSU_E_NS1_11comp_targetILNS1_3genE2ELNS1_11target_archE906ELNS1_3gpuE6ELNS1_3repE0EEENS1_30default_config_static_selectorELNS0_4arch9wavefront6targetE0EEEvT1_: ; @_ZN7rocprim17ROCPRIM_400000_NS6detail17trampoline_kernelINS0_14default_configENS1_27scan_by_key_config_selectorIxxEEZZNS1_16scan_by_key_implILNS1_25lookback_scan_determinismE0ELb1ES3_N6thrust23THRUST_200600_302600_NS6detail15normal_iteratorINS9_10device_ptrIxEEEESE_SE_xNS9_10multipliesIxEENS9_8equal_toIxEExEE10hipError_tPvRmT2_T3_T4_T5_mT6_T7_P12ihipStream_tbENKUlT_T0_E_clISt17integral_constantIbLb1EESZ_EEDaSU_SV_EUlSU_E_NS1_11comp_targetILNS1_3genE2ELNS1_11target_archE906ELNS1_3gpuE6ELNS1_3repE0EEENS1_30default_config_static_selectorELNS0_4arch9wavefront6targetE0EEEvT1_
; %bb.0:
	.section	.rodata,"a",@progbits
	.p2align	6, 0x0
	.amdhsa_kernel _ZN7rocprim17ROCPRIM_400000_NS6detail17trampoline_kernelINS0_14default_configENS1_27scan_by_key_config_selectorIxxEEZZNS1_16scan_by_key_implILNS1_25lookback_scan_determinismE0ELb1ES3_N6thrust23THRUST_200600_302600_NS6detail15normal_iteratorINS9_10device_ptrIxEEEESE_SE_xNS9_10multipliesIxEENS9_8equal_toIxEExEE10hipError_tPvRmT2_T3_T4_T5_mT6_T7_P12ihipStream_tbENKUlT_T0_E_clISt17integral_constantIbLb1EESZ_EEDaSU_SV_EUlSU_E_NS1_11comp_targetILNS1_3genE2ELNS1_11target_archE906ELNS1_3gpuE6ELNS1_3repE0EEENS1_30default_config_static_selectorELNS0_4arch9wavefront6targetE0EEEvT1_
		.amdhsa_group_segment_fixed_size 0
		.amdhsa_private_segment_fixed_size 0
		.amdhsa_kernarg_size 136
		.amdhsa_user_sgpr_count 6
		.amdhsa_user_sgpr_private_segment_buffer 1
		.amdhsa_user_sgpr_dispatch_ptr 0
		.amdhsa_user_sgpr_queue_ptr 0
		.amdhsa_user_sgpr_kernarg_segment_ptr 1
		.amdhsa_user_sgpr_dispatch_id 0
		.amdhsa_user_sgpr_flat_scratch_init 0
		.amdhsa_user_sgpr_private_segment_size 0
		.amdhsa_wavefront_size32 1
		.amdhsa_uses_dynamic_stack 0
		.amdhsa_system_sgpr_private_segment_wavefront_offset 0
		.amdhsa_system_sgpr_workgroup_id_x 1
		.amdhsa_system_sgpr_workgroup_id_y 0
		.amdhsa_system_sgpr_workgroup_id_z 0
		.amdhsa_system_sgpr_workgroup_info 0
		.amdhsa_system_vgpr_workitem_id 0
		.amdhsa_next_free_vgpr 1
		.amdhsa_next_free_sgpr 1
		.amdhsa_reserve_vcc 0
		.amdhsa_reserve_flat_scratch 0
		.amdhsa_float_round_mode_32 0
		.amdhsa_float_round_mode_16_64 0
		.amdhsa_float_denorm_mode_32 3
		.amdhsa_float_denorm_mode_16_64 3
		.amdhsa_dx10_clamp 1
		.amdhsa_ieee_mode 1
		.amdhsa_fp16_overflow 0
		.amdhsa_workgroup_processor_mode 1
		.amdhsa_memory_ordered 1
		.amdhsa_forward_progress 1
		.amdhsa_shared_vgpr_count 0
		.amdhsa_exception_fp_ieee_invalid_op 0
		.amdhsa_exception_fp_denorm_src 0
		.amdhsa_exception_fp_ieee_div_zero 0
		.amdhsa_exception_fp_ieee_overflow 0
		.amdhsa_exception_fp_ieee_underflow 0
		.amdhsa_exception_fp_ieee_inexact 0
		.amdhsa_exception_int_div_zero 0
	.end_amdhsa_kernel
	.section	.text._ZN7rocprim17ROCPRIM_400000_NS6detail17trampoline_kernelINS0_14default_configENS1_27scan_by_key_config_selectorIxxEEZZNS1_16scan_by_key_implILNS1_25lookback_scan_determinismE0ELb1ES3_N6thrust23THRUST_200600_302600_NS6detail15normal_iteratorINS9_10device_ptrIxEEEESE_SE_xNS9_10multipliesIxEENS9_8equal_toIxEExEE10hipError_tPvRmT2_T3_T4_T5_mT6_T7_P12ihipStream_tbENKUlT_T0_E_clISt17integral_constantIbLb1EESZ_EEDaSU_SV_EUlSU_E_NS1_11comp_targetILNS1_3genE2ELNS1_11target_archE906ELNS1_3gpuE6ELNS1_3repE0EEENS1_30default_config_static_selectorELNS0_4arch9wavefront6targetE0EEEvT1_,"axG",@progbits,_ZN7rocprim17ROCPRIM_400000_NS6detail17trampoline_kernelINS0_14default_configENS1_27scan_by_key_config_selectorIxxEEZZNS1_16scan_by_key_implILNS1_25lookback_scan_determinismE0ELb1ES3_N6thrust23THRUST_200600_302600_NS6detail15normal_iteratorINS9_10device_ptrIxEEEESE_SE_xNS9_10multipliesIxEENS9_8equal_toIxEExEE10hipError_tPvRmT2_T3_T4_T5_mT6_T7_P12ihipStream_tbENKUlT_T0_E_clISt17integral_constantIbLb1EESZ_EEDaSU_SV_EUlSU_E_NS1_11comp_targetILNS1_3genE2ELNS1_11target_archE906ELNS1_3gpuE6ELNS1_3repE0EEENS1_30default_config_static_selectorELNS0_4arch9wavefront6targetE0EEEvT1_,comdat
.Lfunc_end403:
	.size	_ZN7rocprim17ROCPRIM_400000_NS6detail17trampoline_kernelINS0_14default_configENS1_27scan_by_key_config_selectorIxxEEZZNS1_16scan_by_key_implILNS1_25lookback_scan_determinismE0ELb1ES3_N6thrust23THRUST_200600_302600_NS6detail15normal_iteratorINS9_10device_ptrIxEEEESE_SE_xNS9_10multipliesIxEENS9_8equal_toIxEExEE10hipError_tPvRmT2_T3_T4_T5_mT6_T7_P12ihipStream_tbENKUlT_T0_E_clISt17integral_constantIbLb1EESZ_EEDaSU_SV_EUlSU_E_NS1_11comp_targetILNS1_3genE2ELNS1_11target_archE906ELNS1_3gpuE6ELNS1_3repE0EEENS1_30default_config_static_selectorELNS0_4arch9wavefront6targetE0EEEvT1_, .Lfunc_end403-_ZN7rocprim17ROCPRIM_400000_NS6detail17trampoline_kernelINS0_14default_configENS1_27scan_by_key_config_selectorIxxEEZZNS1_16scan_by_key_implILNS1_25lookback_scan_determinismE0ELb1ES3_N6thrust23THRUST_200600_302600_NS6detail15normal_iteratorINS9_10device_ptrIxEEEESE_SE_xNS9_10multipliesIxEENS9_8equal_toIxEExEE10hipError_tPvRmT2_T3_T4_T5_mT6_T7_P12ihipStream_tbENKUlT_T0_E_clISt17integral_constantIbLb1EESZ_EEDaSU_SV_EUlSU_E_NS1_11comp_targetILNS1_3genE2ELNS1_11target_archE906ELNS1_3gpuE6ELNS1_3repE0EEENS1_30default_config_static_selectorELNS0_4arch9wavefront6targetE0EEEvT1_
                                        ; -- End function
	.set _ZN7rocprim17ROCPRIM_400000_NS6detail17trampoline_kernelINS0_14default_configENS1_27scan_by_key_config_selectorIxxEEZZNS1_16scan_by_key_implILNS1_25lookback_scan_determinismE0ELb1ES3_N6thrust23THRUST_200600_302600_NS6detail15normal_iteratorINS9_10device_ptrIxEEEESE_SE_xNS9_10multipliesIxEENS9_8equal_toIxEExEE10hipError_tPvRmT2_T3_T4_T5_mT6_T7_P12ihipStream_tbENKUlT_T0_E_clISt17integral_constantIbLb1EESZ_EEDaSU_SV_EUlSU_E_NS1_11comp_targetILNS1_3genE2ELNS1_11target_archE906ELNS1_3gpuE6ELNS1_3repE0EEENS1_30default_config_static_selectorELNS0_4arch9wavefront6targetE0EEEvT1_.num_vgpr, 0
	.set _ZN7rocprim17ROCPRIM_400000_NS6detail17trampoline_kernelINS0_14default_configENS1_27scan_by_key_config_selectorIxxEEZZNS1_16scan_by_key_implILNS1_25lookback_scan_determinismE0ELb1ES3_N6thrust23THRUST_200600_302600_NS6detail15normal_iteratorINS9_10device_ptrIxEEEESE_SE_xNS9_10multipliesIxEENS9_8equal_toIxEExEE10hipError_tPvRmT2_T3_T4_T5_mT6_T7_P12ihipStream_tbENKUlT_T0_E_clISt17integral_constantIbLb1EESZ_EEDaSU_SV_EUlSU_E_NS1_11comp_targetILNS1_3genE2ELNS1_11target_archE906ELNS1_3gpuE6ELNS1_3repE0EEENS1_30default_config_static_selectorELNS0_4arch9wavefront6targetE0EEEvT1_.num_agpr, 0
	.set _ZN7rocprim17ROCPRIM_400000_NS6detail17trampoline_kernelINS0_14default_configENS1_27scan_by_key_config_selectorIxxEEZZNS1_16scan_by_key_implILNS1_25lookback_scan_determinismE0ELb1ES3_N6thrust23THRUST_200600_302600_NS6detail15normal_iteratorINS9_10device_ptrIxEEEESE_SE_xNS9_10multipliesIxEENS9_8equal_toIxEExEE10hipError_tPvRmT2_T3_T4_T5_mT6_T7_P12ihipStream_tbENKUlT_T0_E_clISt17integral_constantIbLb1EESZ_EEDaSU_SV_EUlSU_E_NS1_11comp_targetILNS1_3genE2ELNS1_11target_archE906ELNS1_3gpuE6ELNS1_3repE0EEENS1_30default_config_static_selectorELNS0_4arch9wavefront6targetE0EEEvT1_.numbered_sgpr, 0
	.set _ZN7rocprim17ROCPRIM_400000_NS6detail17trampoline_kernelINS0_14default_configENS1_27scan_by_key_config_selectorIxxEEZZNS1_16scan_by_key_implILNS1_25lookback_scan_determinismE0ELb1ES3_N6thrust23THRUST_200600_302600_NS6detail15normal_iteratorINS9_10device_ptrIxEEEESE_SE_xNS9_10multipliesIxEENS9_8equal_toIxEExEE10hipError_tPvRmT2_T3_T4_T5_mT6_T7_P12ihipStream_tbENKUlT_T0_E_clISt17integral_constantIbLb1EESZ_EEDaSU_SV_EUlSU_E_NS1_11comp_targetILNS1_3genE2ELNS1_11target_archE906ELNS1_3gpuE6ELNS1_3repE0EEENS1_30default_config_static_selectorELNS0_4arch9wavefront6targetE0EEEvT1_.num_named_barrier, 0
	.set _ZN7rocprim17ROCPRIM_400000_NS6detail17trampoline_kernelINS0_14default_configENS1_27scan_by_key_config_selectorIxxEEZZNS1_16scan_by_key_implILNS1_25lookback_scan_determinismE0ELb1ES3_N6thrust23THRUST_200600_302600_NS6detail15normal_iteratorINS9_10device_ptrIxEEEESE_SE_xNS9_10multipliesIxEENS9_8equal_toIxEExEE10hipError_tPvRmT2_T3_T4_T5_mT6_T7_P12ihipStream_tbENKUlT_T0_E_clISt17integral_constantIbLb1EESZ_EEDaSU_SV_EUlSU_E_NS1_11comp_targetILNS1_3genE2ELNS1_11target_archE906ELNS1_3gpuE6ELNS1_3repE0EEENS1_30default_config_static_selectorELNS0_4arch9wavefront6targetE0EEEvT1_.private_seg_size, 0
	.set _ZN7rocprim17ROCPRIM_400000_NS6detail17trampoline_kernelINS0_14default_configENS1_27scan_by_key_config_selectorIxxEEZZNS1_16scan_by_key_implILNS1_25lookback_scan_determinismE0ELb1ES3_N6thrust23THRUST_200600_302600_NS6detail15normal_iteratorINS9_10device_ptrIxEEEESE_SE_xNS9_10multipliesIxEENS9_8equal_toIxEExEE10hipError_tPvRmT2_T3_T4_T5_mT6_T7_P12ihipStream_tbENKUlT_T0_E_clISt17integral_constantIbLb1EESZ_EEDaSU_SV_EUlSU_E_NS1_11comp_targetILNS1_3genE2ELNS1_11target_archE906ELNS1_3gpuE6ELNS1_3repE0EEENS1_30default_config_static_selectorELNS0_4arch9wavefront6targetE0EEEvT1_.uses_vcc, 0
	.set _ZN7rocprim17ROCPRIM_400000_NS6detail17trampoline_kernelINS0_14default_configENS1_27scan_by_key_config_selectorIxxEEZZNS1_16scan_by_key_implILNS1_25lookback_scan_determinismE0ELb1ES3_N6thrust23THRUST_200600_302600_NS6detail15normal_iteratorINS9_10device_ptrIxEEEESE_SE_xNS9_10multipliesIxEENS9_8equal_toIxEExEE10hipError_tPvRmT2_T3_T4_T5_mT6_T7_P12ihipStream_tbENKUlT_T0_E_clISt17integral_constantIbLb1EESZ_EEDaSU_SV_EUlSU_E_NS1_11comp_targetILNS1_3genE2ELNS1_11target_archE906ELNS1_3gpuE6ELNS1_3repE0EEENS1_30default_config_static_selectorELNS0_4arch9wavefront6targetE0EEEvT1_.uses_flat_scratch, 0
	.set _ZN7rocprim17ROCPRIM_400000_NS6detail17trampoline_kernelINS0_14default_configENS1_27scan_by_key_config_selectorIxxEEZZNS1_16scan_by_key_implILNS1_25lookback_scan_determinismE0ELb1ES3_N6thrust23THRUST_200600_302600_NS6detail15normal_iteratorINS9_10device_ptrIxEEEESE_SE_xNS9_10multipliesIxEENS9_8equal_toIxEExEE10hipError_tPvRmT2_T3_T4_T5_mT6_T7_P12ihipStream_tbENKUlT_T0_E_clISt17integral_constantIbLb1EESZ_EEDaSU_SV_EUlSU_E_NS1_11comp_targetILNS1_3genE2ELNS1_11target_archE906ELNS1_3gpuE6ELNS1_3repE0EEENS1_30default_config_static_selectorELNS0_4arch9wavefront6targetE0EEEvT1_.has_dyn_sized_stack, 0
	.set _ZN7rocprim17ROCPRIM_400000_NS6detail17trampoline_kernelINS0_14default_configENS1_27scan_by_key_config_selectorIxxEEZZNS1_16scan_by_key_implILNS1_25lookback_scan_determinismE0ELb1ES3_N6thrust23THRUST_200600_302600_NS6detail15normal_iteratorINS9_10device_ptrIxEEEESE_SE_xNS9_10multipliesIxEENS9_8equal_toIxEExEE10hipError_tPvRmT2_T3_T4_T5_mT6_T7_P12ihipStream_tbENKUlT_T0_E_clISt17integral_constantIbLb1EESZ_EEDaSU_SV_EUlSU_E_NS1_11comp_targetILNS1_3genE2ELNS1_11target_archE906ELNS1_3gpuE6ELNS1_3repE0EEENS1_30default_config_static_selectorELNS0_4arch9wavefront6targetE0EEEvT1_.has_recursion, 0
	.set _ZN7rocprim17ROCPRIM_400000_NS6detail17trampoline_kernelINS0_14default_configENS1_27scan_by_key_config_selectorIxxEEZZNS1_16scan_by_key_implILNS1_25lookback_scan_determinismE0ELb1ES3_N6thrust23THRUST_200600_302600_NS6detail15normal_iteratorINS9_10device_ptrIxEEEESE_SE_xNS9_10multipliesIxEENS9_8equal_toIxEExEE10hipError_tPvRmT2_T3_T4_T5_mT6_T7_P12ihipStream_tbENKUlT_T0_E_clISt17integral_constantIbLb1EESZ_EEDaSU_SV_EUlSU_E_NS1_11comp_targetILNS1_3genE2ELNS1_11target_archE906ELNS1_3gpuE6ELNS1_3repE0EEENS1_30default_config_static_selectorELNS0_4arch9wavefront6targetE0EEEvT1_.has_indirect_call, 0
	.section	.AMDGPU.csdata,"",@progbits
; Kernel info:
; codeLenInByte = 0
; TotalNumSgprs: 0
; NumVgprs: 0
; ScratchSize: 0
; MemoryBound: 0
; FloatMode: 240
; IeeeMode: 1
; LDSByteSize: 0 bytes/workgroup (compile time only)
; SGPRBlocks: 0
; VGPRBlocks: 0
; NumSGPRsForWavesPerEU: 1
; NumVGPRsForWavesPerEU: 1
; Occupancy: 16
; WaveLimiterHint : 0
; COMPUTE_PGM_RSRC2:SCRATCH_EN: 0
; COMPUTE_PGM_RSRC2:USER_SGPR: 6
; COMPUTE_PGM_RSRC2:TRAP_HANDLER: 0
; COMPUTE_PGM_RSRC2:TGID_X_EN: 1
; COMPUTE_PGM_RSRC2:TGID_Y_EN: 0
; COMPUTE_PGM_RSRC2:TGID_Z_EN: 0
; COMPUTE_PGM_RSRC2:TIDIG_COMP_CNT: 0
	.section	.text._ZN7rocprim17ROCPRIM_400000_NS6detail17trampoline_kernelINS0_14default_configENS1_27scan_by_key_config_selectorIxxEEZZNS1_16scan_by_key_implILNS1_25lookback_scan_determinismE0ELb1ES3_N6thrust23THRUST_200600_302600_NS6detail15normal_iteratorINS9_10device_ptrIxEEEESE_SE_xNS9_10multipliesIxEENS9_8equal_toIxEExEE10hipError_tPvRmT2_T3_T4_T5_mT6_T7_P12ihipStream_tbENKUlT_T0_E_clISt17integral_constantIbLb1EESZ_EEDaSU_SV_EUlSU_E_NS1_11comp_targetILNS1_3genE10ELNS1_11target_archE1200ELNS1_3gpuE4ELNS1_3repE0EEENS1_30default_config_static_selectorELNS0_4arch9wavefront6targetE0EEEvT1_,"axG",@progbits,_ZN7rocprim17ROCPRIM_400000_NS6detail17trampoline_kernelINS0_14default_configENS1_27scan_by_key_config_selectorIxxEEZZNS1_16scan_by_key_implILNS1_25lookback_scan_determinismE0ELb1ES3_N6thrust23THRUST_200600_302600_NS6detail15normal_iteratorINS9_10device_ptrIxEEEESE_SE_xNS9_10multipliesIxEENS9_8equal_toIxEExEE10hipError_tPvRmT2_T3_T4_T5_mT6_T7_P12ihipStream_tbENKUlT_T0_E_clISt17integral_constantIbLb1EESZ_EEDaSU_SV_EUlSU_E_NS1_11comp_targetILNS1_3genE10ELNS1_11target_archE1200ELNS1_3gpuE4ELNS1_3repE0EEENS1_30default_config_static_selectorELNS0_4arch9wavefront6targetE0EEEvT1_,comdat
	.protected	_ZN7rocprim17ROCPRIM_400000_NS6detail17trampoline_kernelINS0_14default_configENS1_27scan_by_key_config_selectorIxxEEZZNS1_16scan_by_key_implILNS1_25lookback_scan_determinismE0ELb1ES3_N6thrust23THRUST_200600_302600_NS6detail15normal_iteratorINS9_10device_ptrIxEEEESE_SE_xNS9_10multipliesIxEENS9_8equal_toIxEExEE10hipError_tPvRmT2_T3_T4_T5_mT6_T7_P12ihipStream_tbENKUlT_T0_E_clISt17integral_constantIbLb1EESZ_EEDaSU_SV_EUlSU_E_NS1_11comp_targetILNS1_3genE10ELNS1_11target_archE1200ELNS1_3gpuE4ELNS1_3repE0EEENS1_30default_config_static_selectorELNS0_4arch9wavefront6targetE0EEEvT1_ ; -- Begin function _ZN7rocprim17ROCPRIM_400000_NS6detail17trampoline_kernelINS0_14default_configENS1_27scan_by_key_config_selectorIxxEEZZNS1_16scan_by_key_implILNS1_25lookback_scan_determinismE0ELb1ES3_N6thrust23THRUST_200600_302600_NS6detail15normal_iteratorINS9_10device_ptrIxEEEESE_SE_xNS9_10multipliesIxEENS9_8equal_toIxEExEE10hipError_tPvRmT2_T3_T4_T5_mT6_T7_P12ihipStream_tbENKUlT_T0_E_clISt17integral_constantIbLb1EESZ_EEDaSU_SV_EUlSU_E_NS1_11comp_targetILNS1_3genE10ELNS1_11target_archE1200ELNS1_3gpuE4ELNS1_3repE0EEENS1_30default_config_static_selectorELNS0_4arch9wavefront6targetE0EEEvT1_
	.globl	_ZN7rocprim17ROCPRIM_400000_NS6detail17trampoline_kernelINS0_14default_configENS1_27scan_by_key_config_selectorIxxEEZZNS1_16scan_by_key_implILNS1_25lookback_scan_determinismE0ELb1ES3_N6thrust23THRUST_200600_302600_NS6detail15normal_iteratorINS9_10device_ptrIxEEEESE_SE_xNS9_10multipliesIxEENS9_8equal_toIxEExEE10hipError_tPvRmT2_T3_T4_T5_mT6_T7_P12ihipStream_tbENKUlT_T0_E_clISt17integral_constantIbLb1EESZ_EEDaSU_SV_EUlSU_E_NS1_11comp_targetILNS1_3genE10ELNS1_11target_archE1200ELNS1_3gpuE4ELNS1_3repE0EEENS1_30default_config_static_selectorELNS0_4arch9wavefront6targetE0EEEvT1_
	.p2align	8
	.type	_ZN7rocprim17ROCPRIM_400000_NS6detail17trampoline_kernelINS0_14default_configENS1_27scan_by_key_config_selectorIxxEEZZNS1_16scan_by_key_implILNS1_25lookback_scan_determinismE0ELb1ES3_N6thrust23THRUST_200600_302600_NS6detail15normal_iteratorINS9_10device_ptrIxEEEESE_SE_xNS9_10multipliesIxEENS9_8equal_toIxEExEE10hipError_tPvRmT2_T3_T4_T5_mT6_T7_P12ihipStream_tbENKUlT_T0_E_clISt17integral_constantIbLb1EESZ_EEDaSU_SV_EUlSU_E_NS1_11comp_targetILNS1_3genE10ELNS1_11target_archE1200ELNS1_3gpuE4ELNS1_3repE0EEENS1_30default_config_static_selectorELNS0_4arch9wavefront6targetE0EEEvT1_,@function
_ZN7rocprim17ROCPRIM_400000_NS6detail17trampoline_kernelINS0_14default_configENS1_27scan_by_key_config_selectorIxxEEZZNS1_16scan_by_key_implILNS1_25lookback_scan_determinismE0ELb1ES3_N6thrust23THRUST_200600_302600_NS6detail15normal_iteratorINS9_10device_ptrIxEEEESE_SE_xNS9_10multipliesIxEENS9_8equal_toIxEExEE10hipError_tPvRmT2_T3_T4_T5_mT6_T7_P12ihipStream_tbENKUlT_T0_E_clISt17integral_constantIbLb1EESZ_EEDaSU_SV_EUlSU_E_NS1_11comp_targetILNS1_3genE10ELNS1_11target_archE1200ELNS1_3gpuE4ELNS1_3repE0EEENS1_30default_config_static_selectorELNS0_4arch9wavefront6targetE0EEEvT1_: ; @_ZN7rocprim17ROCPRIM_400000_NS6detail17trampoline_kernelINS0_14default_configENS1_27scan_by_key_config_selectorIxxEEZZNS1_16scan_by_key_implILNS1_25lookback_scan_determinismE0ELb1ES3_N6thrust23THRUST_200600_302600_NS6detail15normal_iteratorINS9_10device_ptrIxEEEESE_SE_xNS9_10multipliesIxEENS9_8equal_toIxEExEE10hipError_tPvRmT2_T3_T4_T5_mT6_T7_P12ihipStream_tbENKUlT_T0_E_clISt17integral_constantIbLb1EESZ_EEDaSU_SV_EUlSU_E_NS1_11comp_targetILNS1_3genE10ELNS1_11target_archE1200ELNS1_3gpuE4ELNS1_3repE0EEENS1_30default_config_static_selectorELNS0_4arch9wavefront6targetE0EEEvT1_
; %bb.0:
	.section	.rodata,"a",@progbits
	.p2align	6, 0x0
	.amdhsa_kernel _ZN7rocprim17ROCPRIM_400000_NS6detail17trampoline_kernelINS0_14default_configENS1_27scan_by_key_config_selectorIxxEEZZNS1_16scan_by_key_implILNS1_25lookback_scan_determinismE0ELb1ES3_N6thrust23THRUST_200600_302600_NS6detail15normal_iteratorINS9_10device_ptrIxEEEESE_SE_xNS9_10multipliesIxEENS9_8equal_toIxEExEE10hipError_tPvRmT2_T3_T4_T5_mT6_T7_P12ihipStream_tbENKUlT_T0_E_clISt17integral_constantIbLb1EESZ_EEDaSU_SV_EUlSU_E_NS1_11comp_targetILNS1_3genE10ELNS1_11target_archE1200ELNS1_3gpuE4ELNS1_3repE0EEENS1_30default_config_static_selectorELNS0_4arch9wavefront6targetE0EEEvT1_
		.amdhsa_group_segment_fixed_size 0
		.amdhsa_private_segment_fixed_size 0
		.amdhsa_kernarg_size 136
		.amdhsa_user_sgpr_count 6
		.amdhsa_user_sgpr_private_segment_buffer 1
		.amdhsa_user_sgpr_dispatch_ptr 0
		.amdhsa_user_sgpr_queue_ptr 0
		.amdhsa_user_sgpr_kernarg_segment_ptr 1
		.amdhsa_user_sgpr_dispatch_id 0
		.amdhsa_user_sgpr_flat_scratch_init 0
		.amdhsa_user_sgpr_private_segment_size 0
		.amdhsa_wavefront_size32 1
		.amdhsa_uses_dynamic_stack 0
		.amdhsa_system_sgpr_private_segment_wavefront_offset 0
		.amdhsa_system_sgpr_workgroup_id_x 1
		.amdhsa_system_sgpr_workgroup_id_y 0
		.amdhsa_system_sgpr_workgroup_id_z 0
		.amdhsa_system_sgpr_workgroup_info 0
		.amdhsa_system_vgpr_workitem_id 0
		.amdhsa_next_free_vgpr 1
		.amdhsa_next_free_sgpr 1
		.amdhsa_reserve_vcc 0
		.amdhsa_reserve_flat_scratch 0
		.amdhsa_float_round_mode_32 0
		.amdhsa_float_round_mode_16_64 0
		.amdhsa_float_denorm_mode_32 3
		.amdhsa_float_denorm_mode_16_64 3
		.amdhsa_dx10_clamp 1
		.amdhsa_ieee_mode 1
		.amdhsa_fp16_overflow 0
		.amdhsa_workgroup_processor_mode 1
		.amdhsa_memory_ordered 1
		.amdhsa_forward_progress 1
		.amdhsa_shared_vgpr_count 0
		.amdhsa_exception_fp_ieee_invalid_op 0
		.amdhsa_exception_fp_denorm_src 0
		.amdhsa_exception_fp_ieee_div_zero 0
		.amdhsa_exception_fp_ieee_overflow 0
		.amdhsa_exception_fp_ieee_underflow 0
		.amdhsa_exception_fp_ieee_inexact 0
		.amdhsa_exception_int_div_zero 0
	.end_amdhsa_kernel
	.section	.text._ZN7rocprim17ROCPRIM_400000_NS6detail17trampoline_kernelINS0_14default_configENS1_27scan_by_key_config_selectorIxxEEZZNS1_16scan_by_key_implILNS1_25lookback_scan_determinismE0ELb1ES3_N6thrust23THRUST_200600_302600_NS6detail15normal_iteratorINS9_10device_ptrIxEEEESE_SE_xNS9_10multipliesIxEENS9_8equal_toIxEExEE10hipError_tPvRmT2_T3_T4_T5_mT6_T7_P12ihipStream_tbENKUlT_T0_E_clISt17integral_constantIbLb1EESZ_EEDaSU_SV_EUlSU_E_NS1_11comp_targetILNS1_3genE10ELNS1_11target_archE1200ELNS1_3gpuE4ELNS1_3repE0EEENS1_30default_config_static_selectorELNS0_4arch9wavefront6targetE0EEEvT1_,"axG",@progbits,_ZN7rocprim17ROCPRIM_400000_NS6detail17trampoline_kernelINS0_14default_configENS1_27scan_by_key_config_selectorIxxEEZZNS1_16scan_by_key_implILNS1_25lookback_scan_determinismE0ELb1ES3_N6thrust23THRUST_200600_302600_NS6detail15normal_iteratorINS9_10device_ptrIxEEEESE_SE_xNS9_10multipliesIxEENS9_8equal_toIxEExEE10hipError_tPvRmT2_T3_T4_T5_mT6_T7_P12ihipStream_tbENKUlT_T0_E_clISt17integral_constantIbLb1EESZ_EEDaSU_SV_EUlSU_E_NS1_11comp_targetILNS1_3genE10ELNS1_11target_archE1200ELNS1_3gpuE4ELNS1_3repE0EEENS1_30default_config_static_selectorELNS0_4arch9wavefront6targetE0EEEvT1_,comdat
.Lfunc_end404:
	.size	_ZN7rocprim17ROCPRIM_400000_NS6detail17trampoline_kernelINS0_14default_configENS1_27scan_by_key_config_selectorIxxEEZZNS1_16scan_by_key_implILNS1_25lookback_scan_determinismE0ELb1ES3_N6thrust23THRUST_200600_302600_NS6detail15normal_iteratorINS9_10device_ptrIxEEEESE_SE_xNS9_10multipliesIxEENS9_8equal_toIxEExEE10hipError_tPvRmT2_T3_T4_T5_mT6_T7_P12ihipStream_tbENKUlT_T0_E_clISt17integral_constantIbLb1EESZ_EEDaSU_SV_EUlSU_E_NS1_11comp_targetILNS1_3genE10ELNS1_11target_archE1200ELNS1_3gpuE4ELNS1_3repE0EEENS1_30default_config_static_selectorELNS0_4arch9wavefront6targetE0EEEvT1_, .Lfunc_end404-_ZN7rocprim17ROCPRIM_400000_NS6detail17trampoline_kernelINS0_14default_configENS1_27scan_by_key_config_selectorIxxEEZZNS1_16scan_by_key_implILNS1_25lookback_scan_determinismE0ELb1ES3_N6thrust23THRUST_200600_302600_NS6detail15normal_iteratorINS9_10device_ptrIxEEEESE_SE_xNS9_10multipliesIxEENS9_8equal_toIxEExEE10hipError_tPvRmT2_T3_T4_T5_mT6_T7_P12ihipStream_tbENKUlT_T0_E_clISt17integral_constantIbLb1EESZ_EEDaSU_SV_EUlSU_E_NS1_11comp_targetILNS1_3genE10ELNS1_11target_archE1200ELNS1_3gpuE4ELNS1_3repE0EEENS1_30default_config_static_selectorELNS0_4arch9wavefront6targetE0EEEvT1_
                                        ; -- End function
	.set _ZN7rocprim17ROCPRIM_400000_NS6detail17trampoline_kernelINS0_14default_configENS1_27scan_by_key_config_selectorIxxEEZZNS1_16scan_by_key_implILNS1_25lookback_scan_determinismE0ELb1ES3_N6thrust23THRUST_200600_302600_NS6detail15normal_iteratorINS9_10device_ptrIxEEEESE_SE_xNS9_10multipliesIxEENS9_8equal_toIxEExEE10hipError_tPvRmT2_T3_T4_T5_mT6_T7_P12ihipStream_tbENKUlT_T0_E_clISt17integral_constantIbLb1EESZ_EEDaSU_SV_EUlSU_E_NS1_11comp_targetILNS1_3genE10ELNS1_11target_archE1200ELNS1_3gpuE4ELNS1_3repE0EEENS1_30default_config_static_selectorELNS0_4arch9wavefront6targetE0EEEvT1_.num_vgpr, 0
	.set _ZN7rocprim17ROCPRIM_400000_NS6detail17trampoline_kernelINS0_14default_configENS1_27scan_by_key_config_selectorIxxEEZZNS1_16scan_by_key_implILNS1_25lookback_scan_determinismE0ELb1ES3_N6thrust23THRUST_200600_302600_NS6detail15normal_iteratorINS9_10device_ptrIxEEEESE_SE_xNS9_10multipliesIxEENS9_8equal_toIxEExEE10hipError_tPvRmT2_T3_T4_T5_mT6_T7_P12ihipStream_tbENKUlT_T0_E_clISt17integral_constantIbLb1EESZ_EEDaSU_SV_EUlSU_E_NS1_11comp_targetILNS1_3genE10ELNS1_11target_archE1200ELNS1_3gpuE4ELNS1_3repE0EEENS1_30default_config_static_selectorELNS0_4arch9wavefront6targetE0EEEvT1_.num_agpr, 0
	.set _ZN7rocprim17ROCPRIM_400000_NS6detail17trampoline_kernelINS0_14default_configENS1_27scan_by_key_config_selectorIxxEEZZNS1_16scan_by_key_implILNS1_25lookback_scan_determinismE0ELb1ES3_N6thrust23THRUST_200600_302600_NS6detail15normal_iteratorINS9_10device_ptrIxEEEESE_SE_xNS9_10multipliesIxEENS9_8equal_toIxEExEE10hipError_tPvRmT2_T3_T4_T5_mT6_T7_P12ihipStream_tbENKUlT_T0_E_clISt17integral_constantIbLb1EESZ_EEDaSU_SV_EUlSU_E_NS1_11comp_targetILNS1_3genE10ELNS1_11target_archE1200ELNS1_3gpuE4ELNS1_3repE0EEENS1_30default_config_static_selectorELNS0_4arch9wavefront6targetE0EEEvT1_.numbered_sgpr, 0
	.set _ZN7rocprim17ROCPRIM_400000_NS6detail17trampoline_kernelINS0_14default_configENS1_27scan_by_key_config_selectorIxxEEZZNS1_16scan_by_key_implILNS1_25lookback_scan_determinismE0ELb1ES3_N6thrust23THRUST_200600_302600_NS6detail15normal_iteratorINS9_10device_ptrIxEEEESE_SE_xNS9_10multipliesIxEENS9_8equal_toIxEExEE10hipError_tPvRmT2_T3_T4_T5_mT6_T7_P12ihipStream_tbENKUlT_T0_E_clISt17integral_constantIbLb1EESZ_EEDaSU_SV_EUlSU_E_NS1_11comp_targetILNS1_3genE10ELNS1_11target_archE1200ELNS1_3gpuE4ELNS1_3repE0EEENS1_30default_config_static_selectorELNS0_4arch9wavefront6targetE0EEEvT1_.num_named_barrier, 0
	.set _ZN7rocprim17ROCPRIM_400000_NS6detail17trampoline_kernelINS0_14default_configENS1_27scan_by_key_config_selectorIxxEEZZNS1_16scan_by_key_implILNS1_25lookback_scan_determinismE0ELb1ES3_N6thrust23THRUST_200600_302600_NS6detail15normal_iteratorINS9_10device_ptrIxEEEESE_SE_xNS9_10multipliesIxEENS9_8equal_toIxEExEE10hipError_tPvRmT2_T3_T4_T5_mT6_T7_P12ihipStream_tbENKUlT_T0_E_clISt17integral_constantIbLb1EESZ_EEDaSU_SV_EUlSU_E_NS1_11comp_targetILNS1_3genE10ELNS1_11target_archE1200ELNS1_3gpuE4ELNS1_3repE0EEENS1_30default_config_static_selectorELNS0_4arch9wavefront6targetE0EEEvT1_.private_seg_size, 0
	.set _ZN7rocprim17ROCPRIM_400000_NS6detail17trampoline_kernelINS0_14default_configENS1_27scan_by_key_config_selectorIxxEEZZNS1_16scan_by_key_implILNS1_25lookback_scan_determinismE0ELb1ES3_N6thrust23THRUST_200600_302600_NS6detail15normal_iteratorINS9_10device_ptrIxEEEESE_SE_xNS9_10multipliesIxEENS9_8equal_toIxEExEE10hipError_tPvRmT2_T3_T4_T5_mT6_T7_P12ihipStream_tbENKUlT_T0_E_clISt17integral_constantIbLb1EESZ_EEDaSU_SV_EUlSU_E_NS1_11comp_targetILNS1_3genE10ELNS1_11target_archE1200ELNS1_3gpuE4ELNS1_3repE0EEENS1_30default_config_static_selectorELNS0_4arch9wavefront6targetE0EEEvT1_.uses_vcc, 0
	.set _ZN7rocprim17ROCPRIM_400000_NS6detail17trampoline_kernelINS0_14default_configENS1_27scan_by_key_config_selectorIxxEEZZNS1_16scan_by_key_implILNS1_25lookback_scan_determinismE0ELb1ES3_N6thrust23THRUST_200600_302600_NS6detail15normal_iteratorINS9_10device_ptrIxEEEESE_SE_xNS9_10multipliesIxEENS9_8equal_toIxEExEE10hipError_tPvRmT2_T3_T4_T5_mT6_T7_P12ihipStream_tbENKUlT_T0_E_clISt17integral_constantIbLb1EESZ_EEDaSU_SV_EUlSU_E_NS1_11comp_targetILNS1_3genE10ELNS1_11target_archE1200ELNS1_3gpuE4ELNS1_3repE0EEENS1_30default_config_static_selectorELNS0_4arch9wavefront6targetE0EEEvT1_.uses_flat_scratch, 0
	.set _ZN7rocprim17ROCPRIM_400000_NS6detail17trampoline_kernelINS0_14default_configENS1_27scan_by_key_config_selectorIxxEEZZNS1_16scan_by_key_implILNS1_25lookback_scan_determinismE0ELb1ES3_N6thrust23THRUST_200600_302600_NS6detail15normal_iteratorINS9_10device_ptrIxEEEESE_SE_xNS9_10multipliesIxEENS9_8equal_toIxEExEE10hipError_tPvRmT2_T3_T4_T5_mT6_T7_P12ihipStream_tbENKUlT_T0_E_clISt17integral_constantIbLb1EESZ_EEDaSU_SV_EUlSU_E_NS1_11comp_targetILNS1_3genE10ELNS1_11target_archE1200ELNS1_3gpuE4ELNS1_3repE0EEENS1_30default_config_static_selectorELNS0_4arch9wavefront6targetE0EEEvT1_.has_dyn_sized_stack, 0
	.set _ZN7rocprim17ROCPRIM_400000_NS6detail17trampoline_kernelINS0_14default_configENS1_27scan_by_key_config_selectorIxxEEZZNS1_16scan_by_key_implILNS1_25lookback_scan_determinismE0ELb1ES3_N6thrust23THRUST_200600_302600_NS6detail15normal_iteratorINS9_10device_ptrIxEEEESE_SE_xNS9_10multipliesIxEENS9_8equal_toIxEExEE10hipError_tPvRmT2_T3_T4_T5_mT6_T7_P12ihipStream_tbENKUlT_T0_E_clISt17integral_constantIbLb1EESZ_EEDaSU_SV_EUlSU_E_NS1_11comp_targetILNS1_3genE10ELNS1_11target_archE1200ELNS1_3gpuE4ELNS1_3repE0EEENS1_30default_config_static_selectorELNS0_4arch9wavefront6targetE0EEEvT1_.has_recursion, 0
	.set _ZN7rocprim17ROCPRIM_400000_NS6detail17trampoline_kernelINS0_14default_configENS1_27scan_by_key_config_selectorIxxEEZZNS1_16scan_by_key_implILNS1_25lookback_scan_determinismE0ELb1ES3_N6thrust23THRUST_200600_302600_NS6detail15normal_iteratorINS9_10device_ptrIxEEEESE_SE_xNS9_10multipliesIxEENS9_8equal_toIxEExEE10hipError_tPvRmT2_T3_T4_T5_mT6_T7_P12ihipStream_tbENKUlT_T0_E_clISt17integral_constantIbLb1EESZ_EEDaSU_SV_EUlSU_E_NS1_11comp_targetILNS1_3genE10ELNS1_11target_archE1200ELNS1_3gpuE4ELNS1_3repE0EEENS1_30default_config_static_selectorELNS0_4arch9wavefront6targetE0EEEvT1_.has_indirect_call, 0
	.section	.AMDGPU.csdata,"",@progbits
; Kernel info:
; codeLenInByte = 0
; TotalNumSgprs: 0
; NumVgprs: 0
; ScratchSize: 0
; MemoryBound: 0
; FloatMode: 240
; IeeeMode: 1
; LDSByteSize: 0 bytes/workgroup (compile time only)
; SGPRBlocks: 0
; VGPRBlocks: 0
; NumSGPRsForWavesPerEU: 1
; NumVGPRsForWavesPerEU: 1
; Occupancy: 16
; WaveLimiterHint : 0
; COMPUTE_PGM_RSRC2:SCRATCH_EN: 0
; COMPUTE_PGM_RSRC2:USER_SGPR: 6
; COMPUTE_PGM_RSRC2:TRAP_HANDLER: 0
; COMPUTE_PGM_RSRC2:TGID_X_EN: 1
; COMPUTE_PGM_RSRC2:TGID_Y_EN: 0
; COMPUTE_PGM_RSRC2:TGID_Z_EN: 0
; COMPUTE_PGM_RSRC2:TIDIG_COMP_CNT: 0
	.section	.text._ZN7rocprim17ROCPRIM_400000_NS6detail17trampoline_kernelINS0_14default_configENS1_27scan_by_key_config_selectorIxxEEZZNS1_16scan_by_key_implILNS1_25lookback_scan_determinismE0ELb1ES3_N6thrust23THRUST_200600_302600_NS6detail15normal_iteratorINS9_10device_ptrIxEEEESE_SE_xNS9_10multipliesIxEENS9_8equal_toIxEExEE10hipError_tPvRmT2_T3_T4_T5_mT6_T7_P12ihipStream_tbENKUlT_T0_E_clISt17integral_constantIbLb1EESZ_EEDaSU_SV_EUlSU_E_NS1_11comp_targetILNS1_3genE9ELNS1_11target_archE1100ELNS1_3gpuE3ELNS1_3repE0EEENS1_30default_config_static_selectorELNS0_4arch9wavefront6targetE0EEEvT1_,"axG",@progbits,_ZN7rocprim17ROCPRIM_400000_NS6detail17trampoline_kernelINS0_14default_configENS1_27scan_by_key_config_selectorIxxEEZZNS1_16scan_by_key_implILNS1_25lookback_scan_determinismE0ELb1ES3_N6thrust23THRUST_200600_302600_NS6detail15normal_iteratorINS9_10device_ptrIxEEEESE_SE_xNS9_10multipliesIxEENS9_8equal_toIxEExEE10hipError_tPvRmT2_T3_T4_T5_mT6_T7_P12ihipStream_tbENKUlT_T0_E_clISt17integral_constantIbLb1EESZ_EEDaSU_SV_EUlSU_E_NS1_11comp_targetILNS1_3genE9ELNS1_11target_archE1100ELNS1_3gpuE3ELNS1_3repE0EEENS1_30default_config_static_selectorELNS0_4arch9wavefront6targetE0EEEvT1_,comdat
	.protected	_ZN7rocprim17ROCPRIM_400000_NS6detail17trampoline_kernelINS0_14default_configENS1_27scan_by_key_config_selectorIxxEEZZNS1_16scan_by_key_implILNS1_25lookback_scan_determinismE0ELb1ES3_N6thrust23THRUST_200600_302600_NS6detail15normal_iteratorINS9_10device_ptrIxEEEESE_SE_xNS9_10multipliesIxEENS9_8equal_toIxEExEE10hipError_tPvRmT2_T3_T4_T5_mT6_T7_P12ihipStream_tbENKUlT_T0_E_clISt17integral_constantIbLb1EESZ_EEDaSU_SV_EUlSU_E_NS1_11comp_targetILNS1_3genE9ELNS1_11target_archE1100ELNS1_3gpuE3ELNS1_3repE0EEENS1_30default_config_static_selectorELNS0_4arch9wavefront6targetE0EEEvT1_ ; -- Begin function _ZN7rocprim17ROCPRIM_400000_NS6detail17trampoline_kernelINS0_14default_configENS1_27scan_by_key_config_selectorIxxEEZZNS1_16scan_by_key_implILNS1_25lookback_scan_determinismE0ELb1ES3_N6thrust23THRUST_200600_302600_NS6detail15normal_iteratorINS9_10device_ptrIxEEEESE_SE_xNS9_10multipliesIxEENS9_8equal_toIxEExEE10hipError_tPvRmT2_T3_T4_T5_mT6_T7_P12ihipStream_tbENKUlT_T0_E_clISt17integral_constantIbLb1EESZ_EEDaSU_SV_EUlSU_E_NS1_11comp_targetILNS1_3genE9ELNS1_11target_archE1100ELNS1_3gpuE3ELNS1_3repE0EEENS1_30default_config_static_selectorELNS0_4arch9wavefront6targetE0EEEvT1_
	.globl	_ZN7rocprim17ROCPRIM_400000_NS6detail17trampoline_kernelINS0_14default_configENS1_27scan_by_key_config_selectorIxxEEZZNS1_16scan_by_key_implILNS1_25lookback_scan_determinismE0ELb1ES3_N6thrust23THRUST_200600_302600_NS6detail15normal_iteratorINS9_10device_ptrIxEEEESE_SE_xNS9_10multipliesIxEENS9_8equal_toIxEExEE10hipError_tPvRmT2_T3_T4_T5_mT6_T7_P12ihipStream_tbENKUlT_T0_E_clISt17integral_constantIbLb1EESZ_EEDaSU_SV_EUlSU_E_NS1_11comp_targetILNS1_3genE9ELNS1_11target_archE1100ELNS1_3gpuE3ELNS1_3repE0EEENS1_30default_config_static_selectorELNS0_4arch9wavefront6targetE0EEEvT1_
	.p2align	8
	.type	_ZN7rocprim17ROCPRIM_400000_NS6detail17trampoline_kernelINS0_14default_configENS1_27scan_by_key_config_selectorIxxEEZZNS1_16scan_by_key_implILNS1_25lookback_scan_determinismE0ELb1ES3_N6thrust23THRUST_200600_302600_NS6detail15normal_iteratorINS9_10device_ptrIxEEEESE_SE_xNS9_10multipliesIxEENS9_8equal_toIxEExEE10hipError_tPvRmT2_T3_T4_T5_mT6_T7_P12ihipStream_tbENKUlT_T0_E_clISt17integral_constantIbLb1EESZ_EEDaSU_SV_EUlSU_E_NS1_11comp_targetILNS1_3genE9ELNS1_11target_archE1100ELNS1_3gpuE3ELNS1_3repE0EEENS1_30default_config_static_selectorELNS0_4arch9wavefront6targetE0EEEvT1_,@function
_ZN7rocprim17ROCPRIM_400000_NS6detail17trampoline_kernelINS0_14default_configENS1_27scan_by_key_config_selectorIxxEEZZNS1_16scan_by_key_implILNS1_25lookback_scan_determinismE0ELb1ES3_N6thrust23THRUST_200600_302600_NS6detail15normal_iteratorINS9_10device_ptrIxEEEESE_SE_xNS9_10multipliesIxEENS9_8equal_toIxEExEE10hipError_tPvRmT2_T3_T4_T5_mT6_T7_P12ihipStream_tbENKUlT_T0_E_clISt17integral_constantIbLb1EESZ_EEDaSU_SV_EUlSU_E_NS1_11comp_targetILNS1_3genE9ELNS1_11target_archE1100ELNS1_3gpuE3ELNS1_3repE0EEENS1_30default_config_static_selectorELNS0_4arch9wavefront6targetE0EEEvT1_: ; @_ZN7rocprim17ROCPRIM_400000_NS6detail17trampoline_kernelINS0_14default_configENS1_27scan_by_key_config_selectorIxxEEZZNS1_16scan_by_key_implILNS1_25lookback_scan_determinismE0ELb1ES3_N6thrust23THRUST_200600_302600_NS6detail15normal_iteratorINS9_10device_ptrIxEEEESE_SE_xNS9_10multipliesIxEENS9_8equal_toIxEExEE10hipError_tPvRmT2_T3_T4_T5_mT6_T7_P12ihipStream_tbENKUlT_T0_E_clISt17integral_constantIbLb1EESZ_EEDaSU_SV_EUlSU_E_NS1_11comp_targetILNS1_3genE9ELNS1_11target_archE1100ELNS1_3gpuE3ELNS1_3repE0EEENS1_30default_config_static_selectorELNS0_4arch9wavefront6targetE0EEEvT1_
; %bb.0:
	.section	.rodata,"a",@progbits
	.p2align	6, 0x0
	.amdhsa_kernel _ZN7rocprim17ROCPRIM_400000_NS6detail17trampoline_kernelINS0_14default_configENS1_27scan_by_key_config_selectorIxxEEZZNS1_16scan_by_key_implILNS1_25lookback_scan_determinismE0ELb1ES3_N6thrust23THRUST_200600_302600_NS6detail15normal_iteratorINS9_10device_ptrIxEEEESE_SE_xNS9_10multipliesIxEENS9_8equal_toIxEExEE10hipError_tPvRmT2_T3_T4_T5_mT6_T7_P12ihipStream_tbENKUlT_T0_E_clISt17integral_constantIbLb1EESZ_EEDaSU_SV_EUlSU_E_NS1_11comp_targetILNS1_3genE9ELNS1_11target_archE1100ELNS1_3gpuE3ELNS1_3repE0EEENS1_30default_config_static_selectorELNS0_4arch9wavefront6targetE0EEEvT1_
		.amdhsa_group_segment_fixed_size 0
		.amdhsa_private_segment_fixed_size 0
		.amdhsa_kernarg_size 136
		.amdhsa_user_sgpr_count 6
		.amdhsa_user_sgpr_private_segment_buffer 1
		.amdhsa_user_sgpr_dispatch_ptr 0
		.amdhsa_user_sgpr_queue_ptr 0
		.amdhsa_user_sgpr_kernarg_segment_ptr 1
		.amdhsa_user_sgpr_dispatch_id 0
		.amdhsa_user_sgpr_flat_scratch_init 0
		.amdhsa_user_sgpr_private_segment_size 0
		.amdhsa_wavefront_size32 1
		.amdhsa_uses_dynamic_stack 0
		.amdhsa_system_sgpr_private_segment_wavefront_offset 0
		.amdhsa_system_sgpr_workgroup_id_x 1
		.amdhsa_system_sgpr_workgroup_id_y 0
		.amdhsa_system_sgpr_workgroup_id_z 0
		.amdhsa_system_sgpr_workgroup_info 0
		.amdhsa_system_vgpr_workitem_id 0
		.amdhsa_next_free_vgpr 1
		.amdhsa_next_free_sgpr 1
		.amdhsa_reserve_vcc 0
		.amdhsa_reserve_flat_scratch 0
		.amdhsa_float_round_mode_32 0
		.amdhsa_float_round_mode_16_64 0
		.amdhsa_float_denorm_mode_32 3
		.amdhsa_float_denorm_mode_16_64 3
		.amdhsa_dx10_clamp 1
		.amdhsa_ieee_mode 1
		.amdhsa_fp16_overflow 0
		.amdhsa_workgroup_processor_mode 1
		.amdhsa_memory_ordered 1
		.amdhsa_forward_progress 1
		.amdhsa_shared_vgpr_count 0
		.amdhsa_exception_fp_ieee_invalid_op 0
		.amdhsa_exception_fp_denorm_src 0
		.amdhsa_exception_fp_ieee_div_zero 0
		.amdhsa_exception_fp_ieee_overflow 0
		.amdhsa_exception_fp_ieee_underflow 0
		.amdhsa_exception_fp_ieee_inexact 0
		.amdhsa_exception_int_div_zero 0
	.end_amdhsa_kernel
	.section	.text._ZN7rocprim17ROCPRIM_400000_NS6detail17trampoline_kernelINS0_14default_configENS1_27scan_by_key_config_selectorIxxEEZZNS1_16scan_by_key_implILNS1_25lookback_scan_determinismE0ELb1ES3_N6thrust23THRUST_200600_302600_NS6detail15normal_iteratorINS9_10device_ptrIxEEEESE_SE_xNS9_10multipliesIxEENS9_8equal_toIxEExEE10hipError_tPvRmT2_T3_T4_T5_mT6_T7_P12ihipStream_tbENKUlT_T0_E_clISt17integral_constantIbLb1EESZ_EEDaSU_SV_EUlSU_E_NS1_11comp_targetILNS1_3genE9ELNS1_11target_archE1100ELNS1_3gpuE3ELNS1_3repE0EEENS1_30default_config_static_selectorELNS0_4arch9wavefront6targetE0EEEvT1_,"axG",@progbits,_ZN7rocprim17ROCPRIM_400000_NS6detail17trampoline_kernelINS0_14default_configENS1_27scan_by_key_config_selectorIxxEEZZNS1_16scan_by_key_implILNS1_25lookback_scan_determinismE0ELb1ES3_N6thrust23THRUST_200600_302600_NS6detail15normal_iteratorINS9_10device_ptrIxEEEESE_SE_xNS9_10multipliesIxEENS9_8equal_toIxEExEE10hipError_tPvRmT2_T3_T4_T5_mT6_T7_P12ihipStream_tbENKUlT_T0_E_clISt17integral_constantIbLb1EESZ_EEDaSU_SV_EUlSU_E_NS1_11comp_targetILNS1_3genE9ELNS1_11target_archE1100ELNS1_3gpuE3ELNS1_3repE0EEENS1_30default_config_static_selectorELNS0_4arch9wavefront6targetE0EEEvT1_,comdat
.Lfunc_end405:
	.size	_ZN7rocprim17ROCPRIM_400000_NS6detail17trampoline_kernelINS0_14default_configENS1_27scan_by_key_config_selectorIxxEEZZNS1_16scan_by_key_implILNS1_25lookback_scan_determinismE0ELb1ES3_N6thrust23THRUST_200600_302600_NS6detail15normal_iteratorINS9_10device_ptrIxEEEESE_SE_xNS9_10multipliesIxEENS9_8equal_toIxEExEE10hipError_tPvRmT2_T3_T4_T5_mT6_T7_P12ihipStream_tbENKUlT_T0_E_clISt17integral_constantIbLb1EESZ_EEDaSU_SV_EUlSU_E_NS1_11comp_targetILNS1_3genE9ELNS1_11target_archE1100ELNS1_3gpuE3ELNS1_3repE0EEENS1_30default_config_static_selectorELNS0_4arch9wavefront6targetE0EEEvT1_, .Lfunc_end405-_ZN7rocprim17ROCPRIM_400000_NS6detail17trampoline_kernelINS0_14default_configENS1_27scan_by_key_config_selectorIxxEEZZNS1_16scan_by_key_implILNS1_25lookback_scan_determinismE0ELb1ES3_N6thrust23THRUST_200600_302600_NS6detail15normal_iteratorINS9_10device_ptrIxEEEESE_SE_xNS9_10multipliesIxEENS9_8equal_toIxEExEE10hipError_tPvRmT2_T3_T4_T5_mT6_T7_P12ihipStream_tbENKUlT_T0_E_clISt17integral_constantIbLb1EESZ_EEDaSU_SV_EUlSU_E_NS1_11comp_targetILNS1_3genE9ELNS1_11target_archE1100ELNS1_3gpuE3ELNS1_3repE0EEENS1_30default_config_static_selectorELNS0_4arch9wavefront6targetE0EEEvT1_
                                        ; -- End function
	.set _ZN7rocprim17ROCPRIM_400000_NS6detail17trampoline_kernelINS0_14default_configENS1_27scan_by_key_config_selectorIxxEEZZNS1_16scan_by_key_implILNS1_25lookback_scan_determinismE0ELb1ES3_N6thrust23THRUST_200600_302600_NS6detail15normal_iteratorINS9_10device_ptrIxEEEESE_SE_xNS9_10multipliesIxEENS9_8equal_toIxEExEE10hipError_tPvRmT2_T3_T4_T5_mT6_T7_P12ihipStream_tbENKUlT_T0_E_clISt17integral_constantIbLb1EESZ_EEDaSU_SV_EUlSU_E_NS1_11comp_targetILNS1_3genE9ELNS1_11target_archE1100ELNS1_3gpuE3ELNS1_3repE0EEENS1_30default_config_static_selectorELNS0_4arch9wavefront6targetE0EEEvT1_.num_vgpr, 0
	.set _ZN7rocprim17ROCPRIM_400000_NS6detail17trampoline_kernelINS0_14default_configENS1_27scan_by_key_config_selectorIxxEEZZNS1_16scan_by_key_implILNS1_25lookback_scan_determinismE0ELb1ES3_N6thrust23THRUST_200600_302600_NS6detail15normal_iteratorINS9_10device_ptrIxEEEESE_SE_xNS9_10multipliesIxEENS9_8equal_toIxEExEE10hipError_tPvRmT2_T3_T4_T5_mT6_T7_P12ihipStream_tbENKUlT_T0_E_clISt17integral_constantIbLb1EESZ_EEDaSU_SV_EUlSU_E_NS1_11comp_targetILNS1_3genE9ELNS1_11target_archE1100ELNS1_3gpuE3ELNS1_3repE0EEENS1_30default_config_static_selectorELNS0_4arch9wavefront6targetE0EEEvT1_.num_agpr, 0
	.set _ZN7rocprim17ROCPRIM_400000_NS6detail17trampoline_kernelINS0_14default_configENS1_27scan_by_key_config_selectorIxxEEZZNS1_16scan_by_key_implILNS1_25lookback_scan_determinismE0ELb1ES3_N6thrust23THRUST_200600_302600_NS6detail15normal_iteratorINS9_10device_ptrIxEEEESE_SE_xNS9_10multipliesIxEENS9_8equal_toIxEExEE10hipError_tPvRmT2_T3_T4_T5_mT6_T7_P12ihipStream_tbENKUlT_T0_E_clISt17integral_constantIbLb1EESZ_EEDaSU_SV_EUlSU_E_NS1_11comp_targetILNS1_3genE9ELNS1_11target_archE1100ELNS1_3gpuE3ELNS1_3repE0EEENS1_30default_config_static_selectorELNS0_4arch9wavefront6targetE0EEEvT1_.numbered_sgpr, 0
	.set _ZN7rocprim17ROCPRIM_400000_NS6detail17trampoline_kernelINS0_14default_configENS1_27scan_by_key_config_selectorIxxEEZZNS1_16scan_by_key_implILNS1_25lookback_scan_determinismE0ELb1ES3_N6thrust23THRUST_200600_302600_NS6detail15normal_iteratorINS9_10device_ptrIxEEEESE_SE_xNS9_10multipliesIxEENS9_8equal_toIxEExEE10hipError_tPvRmT2_T3_T4_T5_mT6_T7_P12ihipStream_tbENKUlT_T0_E_clISt17integral_constantIbLb1EESZ_EEDaSU_SV_EUlSU_E_NS1_11comp_targetILNS1_3genE9ELNS1_11target_archE1100ELNS1_3gpuE3ELNS1_3repE0EEENS1_30default_config_static_selectorELNS0_4arch9wavefront6targetE0EEEvT1_.num_named_barrier, 0
	.set _ZN7rocprim17ROCPRIM_400000_NS6detail17trampoline_kernelINS0_14default_configENS1_27scan_by_key_config_selectorIxxEEZZNS1_16scan_by_key_implILNS1_25lookback_scan_determinismE0ELb1ES3_N6thrust23THRUST_200600_302600_NS6detail15normal_iteratorINS9_10device_ptrIxEEEESE_SE_xNS9_10multipliesIxEENS9_8equal_toIxEExEE10hipError_tPvRmT2_T3_T4_T5_mT6_T7_P12ihipStream_tbENKUlT_T0_E_clISt17integral_constantIbLb1EESZ_EEDaSU_SV_EUlSU_E_NS1_11comp_targetILNS1_3genE9ELNS1_11target_archE1100ELNS1_3gpuE3ELNS1_3repE0EEENS1_30default_config_static_selectorELNS0_4arch9wavefront6targetE0EEEvT1_.private_seg_size, 0
	.set _ZN7rocprim17ROCPRIM_400000_NS6detail17trampoline_kernelINS0_14default_configENS1_27scan_by_key_config_selectorIxxEEZZNS1_16scan_by_key_implILNS1_25lookback_scan_determinismE0ELb1ES3_N6thrust23THRUST_200600_302600_NS6detail15normal_iteratorINS9_10device_ptrIxEEEESE_SE_xNS9_10multipliesIxEENS9_8equal_toIxEExEE10hipError_tPvRmT2_T3_T4_T5_mT6_T7_P12ihipStream_tbENKUlT_T0_E_clISt17integral_constantIbLb1EESZ_EEDaSU_SV_EUlSU_E_NS1_11comp_targetILNS1_3genE9ELNS1_11target_archE1100ELNS1_3gpuE3ELNS1_3repE0EEENS1_30default_config_static_selectorELNS0_4arch9wavefront6targetE0EEEvT1_.uses_vcc, 0
	.set _ZN7rocprim17ROCPRIM_400000_NS6detail17trampoline_kernelINS0_14default_configENS1_27scan_by_key_config_selectorIxxEEZZNS1_16scan_by_key_implILNS1_25lookback_scan_determinismE0ELb1ES3_N6thrust23THRUST_200600_302600_NS6detail15normal_iteratorINS9_10device_ptrIxEEEESE_SE_xNS9_10multipliesIxEENS9_8equal_toIxEExEE10hipError_tPvRmT2_T3_T4_T5_mT6_T7_P12ihipStream_tbENKUlT_T0_E_clISt17integral_constantIbLb1EESZ_EEDaSU_SV_EUlSU_E_NS1_11comp_targetILNS1_3genE9ELNS1_11target_archE1100ELNS1_3gpuE3ELNS1_3repE0EEENS1_30default_config_static_selectorELNS0_4arch9wavefront6targetE0EEEvT1_.uses_flat_scratch, 0
	.set _ZN7rocprim17ROCPRIM_400000_NS6detail17trampoline_kernelINS0_14default_configENS1_27scan_by_key_config_selectorIxxEEZZNS1_16scan_by_key_implILNS1_25lookback_scan_determinismE0ELb1ES3_N6thrust23THRUST_200600_302600_NS6detail15normal_iteratorINS9_10device_ptrIxEEEESE_SE_xNS9_10multipliesIxEENS9_8equal_toIxEExEE10hipError_tPvRmT2_T3_T4_T5_mT6_T7_P12ihipStream_tbENKUlT_T0_E_clISt17integral_constantIbLb1EESZ_EEDaSU_SV_EUlSU_E_NS1_11comp_targetILNS1_3genE9ELNS1_11target_archE1100ELNS1_3gpuE3ELNS1_3repE0EEENS1_30default_config_static_selectorELNS0_4arch9wavefront6targetE0EEEvT1_.has_dyn_sized_stack, 0
	.set _ZN7rocprim17ROCPRIM_400000_NS6detail17trampoline_kernelINS0_14default_configENS1_27scan_by_key_config_selectorIxxEEZZNS1_16scan_by_key_implILNS1_25lookback_scan_determinismE0ELb1ES3_N6thrust23THRUST_200600_302600_NS6detail15normal_iteratorINS9_10device_ptrIxEEEESE_SE_xNS9_10multipliesIxEENS9_8equal_toIxEExEE10hipError_tPvRmT2_T3_T4_T5_mT6_T7_P12ihipStream_tbENKUlT_T0_E_clISt17integral_constantIbLb1EESZ_EEDaSU_SV_EUlSU_E_NS1_11comp_targetILNS1_3genE9ELNS1_11target_archE1100ELNS1_3gpuE3ELNS1_3repE0EEENS1_30default_config_static_selectorELNS0_4arch9wavefront6targetE0EEEvT1_.has_recursion, 0
	.set _ZN7rocprim17ROCPRIM_400000_NS6detail17trampoline_kernelINS0_14default_configENS1_27scan_by_key_config_selectorIxxEEZZNS1_16scan_by_key_implILNS1_25lookback_scan_determinismE0ELb1ES3_N6thrust23THRUST_200600_302600_NS6detail15normal_iteratorINS9_10device_ptrIxEEEESE_SE_xNS9_10multipliesIxEENS9_8equal_toIxEExEE10hipError_tPvRmT2_T3_T4_T5_mT6_T7_P12ihipStream_tbENKUlT_T0_E_clISt17integral_constantIbLb1EESZ_EEDaSU_SV_EUlSU_E_NS1_11comp_targetILNS1_3genE9ELNS1_11target_archE1100ELNS1_3gpuE3ELNS1_3repE0EEENS1_30default_config_static_selectorELNS0_4arch9wavefront6targetE0EEEvT1_.has_indirect_call, 0
	.section	.AMDGPU.csdata,"",@progbits
; Kernel info:
; codeLenInByte = 0
; TotalNumSgprs: 0
; NumVgprs: 0
; ScratchSize: 0
; MemoryBound: 0
; FloatMode: 240
; IeeeMode: 1
; LDSByteSize: 0 bytes/workgroup (compile time only)
; SGPRBlocks: 0
; VGPRBlocks: 0
; NumSGPRsForWavesPerEU: 1
; NumVGPRsForWavesPerEU: 1
; Occupancy: 16
; WaveLimiterHint : 0
; COMPUTE_PGM_RSRC2:SCRATCH_EN: 0
; COMPUTE_PGM_RSRC2:USER_SGPR: 6
; COMPUTE_PGM_RSRC2:TRAP_HANDLER: 0
; COMPUTE_PGM_RSRC2:TGID_X_EN: 1
; COMPUTE_PGM_RSRC2:TGID_Y_EN: 0
; COMPUTE_PGM_RSRC2:TGID_Z_EN: 0
; COMPUTE_PGM_RSRC2:TIDIG_COMP_CNT: 0
	.section	.text._ZN7rocprim17ROCPRIM_400000_NS6detail17trampoline_kernelINS0_14default_configENS1_27scan_by_key_config_selectorIxxEEZZNS1_16scan_by_key_implILNS1_25lookback_scan_determinismE0ELb1ES3_N6thrust23THRUST_200600_302600_NS6detail15normal_iteratorINS9_10device_ptrIxEEEESE_SE_xNS9_10multipliesIxEENS9_8equal_toIxEExEE10hipError_tPvRmT2_T3_T4_T5_mT6_T7_P12ihipStream_tbENKUlT_T0_E_clISt17integral_constantIbLb1EESZ_EEDaSU_SV_EUlSU_E_NS1_11comp_targetILNS1_3genE8ELNS1_11target_archE1030ELNS1_3gpuE2ELNS1_3repE0EEENS1_30default_config_static_selectorELNS0_4arch9wavefront6targetE0EEEvT1_,"axG",@progbits,_ZN7rocprim17ROCPRIM_400000_NS6detail17trampoline_kernelINS0_14default_configENS1_27scan_by_key_config_selectorIxxEEZZNS1_16scan_by_key_implILNS1_25lookback_scan_determinismE0ELb1ES3_N6thrust23THRUST_200600_302600_NS6detail15normal_iteratorINS9_10device_ptrIxEEEESE_SE_xNS9_10multipliesIxEENS9_8equal_toIxEExEE10hipError_tPvRmT2_T3_T4_T5_mT6_T7_P12ihipStream_tbENKUlT_T0_E_clISt17integral_constantIbLb1EESZ_EEDaSU_SV_EUlSU_E_NS1_11comp_targetILNS1_3genE8ELNS1_11target_archE1030ELNS1_3gpuE2ELNS1_3repE0EEENS1_30default_config_static_selectorELNS0_4arch9wavefront6targetE0EEEvT1_,comdat
	.protected	_ZN7rocprim17ROCPRIM_400000_NS6detail17trampoline_kernelINS0_14default_configENS1_27scan_by_key_config_selectorIxxEEZZNS1_16scan_by_key_implILNS1_25lookback_scan_determinismE0ELb1ES3_N6thrust23THRUST_200600_302600_NS6detail15normal_iteratorINS9_10device_ptrIxEEEESE_SE_xNS9_10multipliesIxEENS9_8equal_toIxEExEE10hipError_tPvRmT2_T3_T4_T5_mT6_T7_P12ihipStream_tbENKUlT_T0_E_clISt17integral_constantIbLb1EESZ_EEDaSU_SV_EUlSU_E_NS1_11comp_targetILNS1_3genE8ELNS1_11target_archE1030ELNS1_3gpuE2ELNS1_3repE0EEENS1_30default_config_static_selectorELNS0_4arch9wavefront6targetE0EEEvT1_ ; -- Begin function _ZN7rocprim17ROCPRIM_400000_NS6detail17trampoline_kernelINS0_14default_configENS1_27scan_by_key_config_selectorIxxEEZZNS1_16scan_by_key_implILNS1_25lookback_scan_determinismE0ELb1ES3_N6thrust23THRUST_200600_302600_NS6detail15normal_iteratorINS9_10device_ptrIxEEEESE_SE_xNS9_10multipliesIxEENS9_8equal_toIxEExEE10hipError_tPvRmT2_T3_T4_T5_mT6_T7_P12ihipStream_tbENKUlT_T0_E_clISt17integral_constantIbLb1EESZ_EEDaSU_SV_EUlSU_E_NS1_11comp_targetILNS1_3genE8ELNS1_11target_archE1030ELNS1_3gpuE2ELNS1_3repE0EEENS1_30default_config_static_selectorELNS0_4arch9wavefront6targetE0EEEvT1_
	.globl	_ZN7rocprim17ROCPRIM_400000_NS6detail17trampoline_kernelINS0_14default_configENS1_27scan_by_key_config_selectorIxxEEZZNS1_16scan_by_key_implILNS1_25lookback_scan_determinismE0ELb1ES3_N6thrust23THRUST_200600_302600_NS6detail15normal_iteratorINS9_10device_ptrIxEEEESE_SE_xNS9_10multipliesIxEENS9_8equal_toIxEExEE10hipError_tPvRmT2_T3_T4_T5_mT6_T7_P12ihipStream_tbENKUlT_T0_E_clISt17integral_constantIbLb1EESZ_EEDaSU_SV_EUlSU_E_NS1_11comp_targetILNS1_3genE8ELNS1_11target_archE1030ELNS1_3gpuE2ELNS1_3repE0EEENS1_30default_config_static_selectorELNS0_4arch9wavefront6targetE0EEEvT1_
	.p2align	8
	.type	_ZN7rocprim17ROCPRIM_400000_NS6detail17trampoline_kernelINS0_14default_configENS1_27scan_by_key_config_selectorIxxEEZZNS1_16scan_by_key_implILNS1_25lookback_scan_determinismE0ELb1ES3_N6thrust23THRUST_200600_302600_NS6detail15normal_iteratorINS9_10device_ptrIxEEEESE_SE_xNS9_10multipliesIxEENS9_8equal_toIxEExEE10hipError_tPvRmT2_T3_T4_T5_mT6_T7_P12ihipStream_tbENKUlT_T0_E_clISt17integral_constantIbLb1EESZ_EEDaSU_SV_EUlSU_E_NS1_11comp_targetILNS1_3genE8ELNS1_11target_archE1030ELNS1_3gpuE2ELNS1_3repE0EEENS1_30default_config_static_selectorELNS0_4arch9wavefront6targetE0EEEvT1_,@function
_ZN7rocprim17ROCPRIM_400000_NS6detail17trampoline_kernelINS0_14default_configENS1_27scan_by_key_config_selectorIxxEEZZNS1_16scan_by_key_implILNS1_25lookback_scan_determinismE0ELb1ES3_N6thrust23THRUST_200600_302600_NS6detail15normal_iteratorINS9_10device_ptrIxEEEESE_SE_xNS9_10multipliesIxEENS9_8equal_toIxEExEE10hipError_tPvRmT2_T3_T4_T5_mT6_T7_P12ihipStream_tbENKUlT_T0_E_clISt17integral_constantIbLb1EESZ_EEDaSU_SV_EUlSU_E_NS1_11comp_targetILNS1_3genE8ELNS1_11target_archE1030ELNS1_3gpuE2ELNS1_3repE0EEENS1_30default_config_static_selectorELNS0_4arch9wavefront6targetE0EEEvT1_: ; @_ZN7rocprim17ROCPRIM_400000_NS6detail17trampoline_kernelINS0_14default_configENS1_27scan_by_key_config_selectorIxxEEZZNS1_16scan_by_key_implILNS1_25lookback_scan_determinismE0ELb1ES3_N6thrust23THRUST_200600_302600_NS6detail15normal_iteratorINS9_10device_ptrIxEEEESE_SE_xNS9_10multipliesIxEENS9_8equal_toIxEExEE10hipError_tPvRmT2_T3_T4_T5_mT6_T7_P12ihipStream_tbENKUlT_T0_E_clISt17integral_constantIbLb1EESZ_EEDaSU_SV_EUlSU_E_NS1_11comp_targetILNS1_3genE8ELNS1_11target_archE1030ELNS1_3gpuE2ELNS1_3repE0EEENS1_30default_config_static_selectorELNS0_4arch9wavefront6targetE0EEEvT1_
; %bb.0:
	s_endpgm
	.section	.rodata,"a",@progbits
	.p2align	6, 0x0
	.amdhsa_kernel _ZN7rocprim17ROCPRIM_400000_NS6detail17trampoline_kernelINS0_14default_configENS1_27scan_by_key_config_selectorIxxEEZZNS1_16scan_by_key_implILNS1_25lookback_scan_determinismE0ELb1ES3_N6thrust23THRUST_200600_302600_NS6detail15normal_iteratorINS9_10device_ptrIxEEEESE_SE_xNS9_10multipliesIxEENS9_8equal_toIxEExEE10hipError_tPvRmT2_T3_T4_T5_mT6_T7_P12ihipStream_tbENKUlT_T0_E_clISt17integral_constantIbLb1EESZ_EEDaSU_SV_EUlSU_E_NS1_11comp_targetILNS1_3genE8ELNS1_11target_archE1030ELNS1_3gpuE2ELNS1_3repE0EEENS1_30default_config_static_selectorELNS0_4arch9wavefront6targetE0EEEvT1_
		.amdhsa_group_segment_fixed_size 0
		.amdhsa_private_segment_fixed_size 0
		.amdhsa_kernarg_size 136
		.amdhsa_user_sgpr_count 6
		.amdhsa_user_sgpr_private_segment_buffer 1
		.amdhsa_user_sgpr_dispatch_ptr 0
		.amdhsa_user_sgpr_queue_ptr 0
		.amdhsa_user_sgpr_kernarg_segment_ptr 1
		.amdhsa_user_sgpr_dispatch_id 0
		.amdhsa_user_sgpr_flat_scratch_init 0
		.amdhsa_user_sgpr_private_segment_size 0
		.amdhsa_wavefront_size32 1
		.amdhsa_uses_dynamic_stack 0
		.amdhsa_system_sgpr_private_segment_wavefront_offset 0
		.amdhsa_system_sgpr_workgroup_id_x 1
		.amdhsa_system_sgpr_workgroup_id_y 0
		.amdhsa_system_sgpr_workgroup_id_z 0
		.amdhsa_system_sgpr_workgroup_info 0
		.amdhsa_system_vgpr_workitem_id 0
		.amdhsa_next_free_vgpr 1
		.amdhsa_next_free_sgpr 1
		.amdhsa_reserve_vcc 0
		.amdhsa_reserve_flat_scratch 0
		.amdhsa_float_round_mode_32 0
		.amdhsa_float_round_mode_16_64 0
		.amdhsa_float_denorm_mode_32 3
		.amdhsa_float_denorm_mode_16_64 3
		.amdhsa_dx10_clamp 1
		.amdhsa_ieee_mode 1
		.amdhsa_fp16_overflow 0
		.amdhsa_workgroup_processor_mode 1
		.amdhsa_memory_ordered 1
		.amdhsa_forward_progress 1
		.amdhsa_shared_vgpr_count 0
		.amdhsa_exception_fp_ieee_invalid_op 0
		.amdhsa_exception_fp_denorm_src 0
		.amdhsa_exception_fp_ieee_div_zero 0
		.amdhsa_exception_fp_ieee_overflow 0
		.amdhsa_exception_fp_ieee_underflow 0
		.amdhsa_exception_fp_ieee_inexact 0
		.amdhsa_exception_int_div_zero 0
	.end_amdhsa_kernel
	.section	.text._ZN7rocprim17ROCPRIM_400000_NS6detail17trampoline_kernelINS0_14default_configENS1_27scan_by_key_config_selectorIxxEEZZNS1_16scan_by_key_implILNS1_25lookback_scan_determinismE0ELb1ES3_N6thrust23THRUST_200600_302600_NS6detail15normal_iteratorINS9_10device_ptrIxEEEESE_SE_xNS9_10multipliesIxEENS9_8equal_toIxEExEE10hipError_tPvRmT2_T3_T4_T5_mT6_T7_P12ihipStream_tbENKUlT_T0_E_clISt17integral_constantIbLb1EESZ_EEDaSU_SV_EUlSU_E_NS1_11comp_targetILNS1_3genE8ELNS1_11target_archE1030ELNS1_3gpuE2ELNS1_3repE0EEENS1_30default_config_static_selectorELNS0_4arch9wavefront6targetE0EEEvT1_,"axG",@progbits,_ZN7rocprim17ROCPRIM_400000_NS6detail17trampoline_kernelINS0_14default_configENS1_27scan_by_key_config_selectorIxxEEZZNS1_16scan_by_key_implILNS1_25lookback_scan_determinismE0ELb1ES3_N6thrust23THRUST_200600_302600_NS6detail15normal_iteratorINS9_10device_ptrIxEEEESE_SE_xNS9_10multipliesIxEENS9_8equal_toIxEExEE10hipError_tPvRmT2_T3_T4_T5_mT6_T7_P12ihipStream_tbENKUlT_T0_E_clISt17integral_constantIbLb1EESZ_EEDaSU_SV_EUlSU_E_NS1_11comp_targetILNS1_3genE8ELNS1_11target_archE1030ELNS1_3gpuE2ELNS1_3repE0EEENS1_30default_config_static_selectorELNS0_4arch9wavefront6targetE0EEEvT1_,comdat
.Lfunc_end406:
	.size	_ZN7rocprim17ROCPRIM_400000_NS6detail17trampoline_kernelINS0_14default_configENS1_27scan_by_key_config_selectorIxxEEZZNS1_16scan_by_key_implILNS1_25lookback_scan_determinismE0ELb1ES3_N6thrust23THRUST_200600_302600_NS6detail15normal_iteratorINS9_10device_ptrIxEEEESE_SE_xNS9_10multipliesIxEENS9_8equal_toIxEExEE10hipError_tPvRmT2_T3_T4_T5_mT6_T7_P12ihipStream_tbENKUlT_T0_E_clISt17integral_constantIbLb1EESZ_EEDaSU_SV_EUlSU_E_NS1_11comp_targetILNS1_3genE8ELNS1_11target_archE1030ELNS1_3gpuE2ELNS1_3repE0EEENS1_30default_config_static_selectorELNS0_4arch9wavefront6targetE0EEEvT1_, .Lfunc_end406-_ZN7rocprim17ROCPRIM_400000_NS6detail17trampoline_kernelINS0_14default_configENS1_27scan_by_key_config_selectorIxxEEZZNS1_16scan_by_key_implILNS1_25lookback_scan_determinismE0ELb1ES3_N6thrust23THRUST_200600_302600_NS6detail15normal_iteratorINS9_10device_ptrIxEEEESE_SE_xNS9_10multipliesIxEENS9_8equal_toIxEExEE10hipError_tPvRmT2_T3_T4_T5_mT6_T7_P12ihipStream_tbENKUlT_T0_E_clISt17integral_constantIbLb1EESZ_EEDaSU_SV_EUlSU_E_NS1_11comp_targetILNS1_3genE8ELNS1_11target_archE1030ELNS1_3gpuE2ELNS1_3repE0EEENS1_30default_config_static_selectorELNS0_4arch9wavefront6targetE0EEEvT1_
                                        ; -- End function
	.set _ZN7rocprim17ROCPRIM_400000_NS6detail17trampoline_kernelINS0_14default_configENS1_27scan_by_key_config_selectorIxxEEZZNS1_16scan_by_key_implILNS1_25lookback_scan_determinismE0ELb1ES3_N6thrust23THRUST_200600_302600_NS6detail15normal_iteratorINS9_10device_ptrIxEEEESE_SE_xNS9_10multipliesIxEENS9_8equal_toIxEExEE10hipError_tPvRmT2_T3_T4_T5_mT6_T7_P12ihipStream_tbENKUlT_T0_E_clISt17integral_constantIbLb1EESZ_EEDaSU_SV_EUlSU_E_NS1_11comp_targetILNS1_3genE8ELNS1_11target_archE1030ELNS1_3gpuE2ELNS1_3repE0EEENS1_30default_config_static_selectorELNS0_4arch9wavefront6targetE0EEEvT1_.num_vgpr, 0
	.set _ZN7rocprim17ROCPRIM_400000_NS6detail17trampoline_kernelINS0_14default_configENS1_27scan_by_key_config_selectorIxxEEZZNS1_16scan_by_key_implILNS1_25lookback_scan_determinismE0ELb1ES3_N6thrust23THRUST_200600_302600_NS6detail15normal_iteratorINS9_10device_ptrIxEEEESE_SE_xNS9_10multipliesIxEENS9_8equal_toIxEExEE10hipError_tPvRmT2_T3_T4_T5_mT6_T7_P12ihipStream_tbENKUlT_T0_E_clISt17integral_constantIbLb1EESZ_EEDaSU_SV_EUlSU_E_NS1_11comp_targetILNS1_3genE8ELNS1_11target_archE1030ELNS1_3gpuE2ELNS1_3repE0EEENS1_30default_config_static_selectorELNS0_4arch9wavefront6targetE0EEEvT1_.num_agpr, 0
	.set _ZN7rocprim17ROCPRIM_400000_NS6detail17trampoline_kernelINS0_14default_configENS1_27scan_by_key_config_selectorIxxEEZZNS1_16scan_by_key_implILNS1_25lookback_scan_determinismE0ELb1ES3_N6thrust23THRUST_200600_302600_NS6detail15normal_iteratorINS9_10device_ptrIxEEEESE_SE_xNS9_10multipliesIxEENS9_8equal_toIxEExEE10hipError_tPvRmT2_T3_T4_T5_mT6_T7_P12ihipStream_tbENKUlT_T0_E_clISt17integral_constantIbLb1EESZ_EEDaSU_SV_EUlSU_E_NS1_11comp_targetILNS1_3genE8ELNS1_11target_archE1030ELNS1_3gpuE2ELNS1_3repE0EEENS1_30default_config_static_selectorELNS0_4arch9wavefront6targetE0EEEvT1_.numbered_sgpr, 0
	.set _ZN7rocprim17ROCPRIM_400000_NS6detail17trampoline_kernelINS0_14default_configENS1_27scan_by_key_config_selectorIxxEEZZNS1_16scan_by_key_implILNS1_25lookback_scan_determinismE0ELb1ES3_N6thrust23THRUST_200600_302600_NS6detail15normal_iteratorINS9_10device_ptrIxEEEESE_SE_xNS9_10multipliesIxEENS9_8equal_toIxEExEE10hipError_tPvRmT2_T3_T4_T5_mT6_T7_P12ihipStream_tbENKUlT_T0_E_clISt17integral_constantIbLb1EESZ_EEDaSU_SV_EUlSU_E_NS1_11comp_targetILNS1_3genE8ELNS1_11target_archE1030ELNS1_3gpuE2ELNS1_3repE0EEENS1_30default_config_static_selectorELNS0_4arch9wavefront6targetE0EEEvT1_.num_named_barrier, 0
	.set _ZN7rocprim17ROCPRIM_400000_NS6detail17trampoline_kernelINS0_14default_configENS1_27scan_by_key_config_selectorIxxEEZZNS1_16scan_by_key_implILNS1_25lookback_scan_determinismE0ELb1ES3_N6thrust23THRUST_200600_302600_NS6detail15normal_iteratorINS9_10device_ptrIxEEEESE_SE_xNS9_10multipliesIxEENS9_8equal_toIxEExEE10hipError_tPvRmT2_T3_T4_T5_mT6_T7_P12ihipStream_tbENKUlT_T0_E_clISt17integral_constantIbLb1EESZ_EEDaSU_SV_EUlSU_E_NS1_11comp_targetILNS1_3genE8ELNS1_11target_archE1030ELNS1_3gpuE2ELNS1_3repE0EEENS1_30default_config_static_selectorELNS0_4arch9wavefront6targetE0EEEvT1_.private_seg_size, 0
	.set _ZN7rocprim17ROCPRIM_400000_NS6detail17trampoline_kernelINS0_14default_configENS1_27scan_by_key_config_selectorIxxEEZZNS1_16scan_by_key_implILNS1_25lookback_scan_determinismE0ELb1ES3_N6thrust23THRUST_200600_302600_NS6detail15normal_iteratorINS9_10device_ptrIxEEEESE_SE_xNS9_10multipliesIxEENS9_8equal_toIxEExEE10hipError_tPvRmT2_T3_T4_T5_mT6_T7_P12ihipStream_tbENKUlT_T0_E_clISt17integral_constantIbLb1EESZ_EEDaSU_SV_EUlSU_E_NS1_11comp_targetILNS1_3genE8ELNS1_11target_archE1030ELNS1_3gpuE2ELNS1_3repE0EEENS1_30default_config_static_selectorELNS0_4arch9wavefront6targetE0EEEvT1_.uses_vcc, 0
	.set _ZN7rocprim17ROCPRIM_400000_NS6detail17trampoline_kernelINS0_14default_configENS1_27scan_by_key_config_selectorIxxEEZZNS1_16scan_by_key_implILNS1_25lookback_scan_determinismE0ELb1ES3_N6thrust23THRUST_200600_302600_NS6detail15normal_iteratorINS9_10device_ptrIxEEEESE_SE_xNS9_10multipliesIxEENS9_8equal_toIxEExEE10hipError_tPvRmT2_T3_T4_T5_mT6_T7_P12ihipStream_tbENKUlT_T0_E_clISt17integral_constantIbLb1EESZ_EEDaSU_SV_EUlSU_E_NS1_11comp_targetILNS1_3genE8ELNS1_11target_archE1030ELNS1_3gpuE2ELNS1_3repE0EEENS1_30default_config_static_selectorELNS0_4arch9wavefront6targetE0EEEvT1_.uses_flat_scratch, 0
	.set _ZN7rocprim17ROCPRIM_400000_NS6detail17trampoline_kernelINS0_14default_configENS1_27scan_by_key_config_selectorIxxEEZZNS1_16scan_by_key_implILNS1_25lookback_scan_determinismE0ELb1ES3_N6thrust23THRUST_200600_302600_NS6detail15normal_iteratorINS9_10device_ptrIxEEEESE_SE_xNS9_10multipliesIxEENS9_8equal_toIxEExEE10hipError_tPvRmT2_T3_T4_T5_mT6_T7_P12ihipStream_tbENKUlT_T0_E_clISt17integral_constantIbLb1EESZ_EEDaSU_SV_EUlSU_E_NS1_11comp_targetILNS1_3genE8ELNS1_11target_archE1030ELNS1_3gpuE2ELNS1_3repE0EEENS1_30default_config_static_selectorELNS0_4arch9wavefront6targetE0EEEvT1_.has_dyn_sized_stack, 0
	.set _ZN7rocprim17ROCPRIM_400000_NS6detail17trampoline_kernelINS0_14default_configENS1_27scan_by_key_config_selectorIxxEEZZNS1_16scan_by_key_implILNS1_25lookback_scan_determinismE0ELb1ES3_N6thrust23THRUST_200600_302600_NS6detail15normal_iteratorINS9_10device_ptrIxEEEESE_SE_xNS9_10multipliesIxEENS9_8equal_toIxEExEE10hipError_tPvRmT2_T3_T4_T5_mT6_T7_P12ihipStream_tbENKUlT_T0_E_clISt17integral_constantIbLb1EESZ_EEDaSU_SV_EUlSU_E_NS1_11comp_targetILNS1_3genE8ELNS1_11target_archE1030ELNS1_3gpuE2ELNS1_3repE0EEENS1_30default_config_static_selectorELNS0_4arch9wavefront6targetE0EEEvT1_.has_recursion, 0
	.set _ZN7rocprim17ROCPRIM_400000_NS6detail17trampoline_kernelINS0_14default_configENS1_27scan_by_key_config_selectorIxxEEZZNS1_16scan_by_key_implILNS1_25lookback_scan_determinismE0ELb1ES3_N6thrust23THRUST_200600_302600_NS6detail15normal_iteratorINS9_10device_ptrIxEEEESE_SE_xNS9_10multipliesIxEENS9_8equal_toIxEExEE10hipError_tPvRmT2_T3_T4_T5_mT6_T7_P12ihipStream_tbENKUlT_T0_E_clISt17integral_constantIbLb1EESZ_EEDaSU_SV_EUlSU_E_NS1_11comp_targetILNS1_3genE8ELNS1_11target_archE1030ELNS1_3gpuE2ELNS1_3repE0EEENS1_30default_config_static_selectorELNS0_4arch9wavefront6targetE0EEEvT1_.has_indirect_call, 0
	.section	.AMDGPU.csdata,"",@progbits
; Kernel info:
; codeLenInByte = 4
; TotalNumSgprs: 0
; NumVgprs: 0
; ScratchSize: 0
; MemoryBound: 0
; FloatMode: 240
; IeeeMode: 1
; LDSByteSize: 0 bytes/workgroup (compile time only)
; SGPRBlocks: 0
; VGPRBlocks: 0
; NumSGPRsForWavesPerEU: 1
; NumVGPRsForWavesPerEU: 1
; Occupancy: 16
; WaveLimiterHint : 0
; COMPUTE_PGM_RSRC2:SCRATCH_EN: 0
; COMPUTE_PGM_RSRC2:USER_SGPR: 6
; COMPUTE_PGM_RSRC2:TRAP_HANDLER: 0
; COMPUTE_PGM_RSRC2:TGID_X_EN: 1
; COMPUTE_PGM_RSRC2:TGID_Y_EN: 0
; COMPUTE_PGM_RSRC2:TGID_Z_EN: 0
; COMPUTE_PGM_RSRC2:TIDIG_COMP_CNT: 0
	.section	.text._ZN7rocprim17ROCPRIM_400000_NS6detail17trampoline_kernelINS0_14default_configENS1_27scan_by_key_config_selectorIxxEEZZNS1_16scan_by_key_implILNS1_25lookback_scan_determinismE0ELb1ES3_N6thrust23THRUST_200600_302600_NS6detail15normal_iteratorINS9_10device_ptrIxEEEESE_SE_xNS9_10multipliesIxEENS9_8equal_toIxEExEE10hipError_tPvRmT2_T3_T4_T5_mT6_T7_P12ihipStream_tbENKUlT_T0_E_clISt17integral_constantIbLb1EESY_IbLb0EEEEDaSU_SV_EUlSU_E_NS1_11comp_targetILNS1_3genE0ELNS1_11target_archE4294967295ELNS1_3gpuE0ELNS1_3repE0EEENS1_30default_config_static_selectorELNS0_4arch9wavefront6targetE0EEEvT1_,"axG",@progbits,_ZN7rocprim17ROCPRIM_400000_NS6detail17trampoline_kernelINS0_14default_configENS1_27scan_by_key_config_selectorIxxEEZZNS1_16scan_by_key_implILNS1_25lookback_scan_determinismE0ELb1ES3_N6thrust23THRUST_200600_302600_NS6detail15normal_iteratorINS9_10device_ptrIxEEEESE_SE_xNS9_10multipliesIxEENS9_8equal_toIxEExEE10hipError_tPvRmT2_T3_T4_T5_mT6_T7_P12ihipStream_tbENKUlT_T0_E_clISt17integral_constantIbLb1EESY_IbLb0EEEEDaSU_SV_EUlSU_E_NS1_11comp_targetILNS1_3genE0ELNS1_11target_archE4294967295ELNS1_3gpuE0ELNS1_3repE0EEENS1_30default_config_static_selectorELNS0_4arch9wavefront6targetE0EEEvT1_,comdat
	.protected	_ZN7rocprim17ROCPRIM_400000_NS6detail17trampoline_kernelINS0_14default_configENS1_27scan_by_key_config_selectorIxxEEZZNS1_16scan_by_key_implILNS1_25lookback_scan_determinismE0ELb1ES3_N6thrust23THRUST_200600_302600_NS6detail15normal_iteratorINS9_10device_ptrIxEEEESE_SE_xNS9_10multipliesIxEENS9_8equal_toIxEExEE10hipError_tPvRmT2_T3_T4_T5_mT6_T7_P12ihipStream_tbENKUlT_T0_E_clISt17integral_constantIbLb1EESY_IbLb0EEEEDaSU_SV_EUlSU_E_NS1_11comp_targetILNS1_3genE0ELNS1_11target_archE4294967295ELNS1_3gpuE0ELNS1_3repE0EEENS1_30default_config_static_selectorELNS0_4arch9wavefront6targetE0EEEvT1_ ; -- Begin function _ZN7rocprim17ROCPRIM_400000_NS6detail17trampoline_kernelINS0_14default_configENS1_27scan_by_key_config_selectorIxxEEZZNS1_16scan_by_key_implILNS1_25lookback_scan_determinismE0ELb1ES3_N6thrust23THRUST_200600_302600_NS6detail15normal_iteratorINS9_10device_ptrIxEEEESE_SE_xNS9_10multipliesIxEENS9_8equal_toIxEExEE10hipError_tPvRmT2_T3_T4_T5_mT6_T7_P12ihipStream_tbENKUlT_T0_E_clISt17integral_constantIbLb1EESY_IbLb0EEEEDaSU_SV_EUlSU_E_NS1_11comp_targetILNS1_3genE0ELNS1_11target_archE4294967295ELNS1_3gpuE0ELNS1_3repE0EEENS1_30default_config_static_selectorELNS0_4arch9wavefront6targetE0EEEvT1_
	.globl	_ZN7rocprim17ROCPRIM_400000_NS6detail17trampoline_kernelINS0_14default_configENS1_27scan_by_key_config_selectorIxxEEZZNS1_16scan_by_key_implILNS1_25lookback_scan_determinismE0ELb1ES3_N6thrust23THRUST_200600_302600_NS6detail15normal_iteratorINS9_10device_ptrIxEEEESE_SE_xNS9_10multipliesIxEENS9_8equal_toIxEExEE10hipError_tPvRmT2_T3_T4_T5_mT6_T7_P12ihipStream_tbENKUlT_T0_E_clISt17integral_constantIbLb1EESY_IbLb0EEEEDaSU_SV_EUlSU_E_NS1_11comp_targetILNS1_3genE0ELNS1_11target_archE4294967295ELNS1_3gpuE0ELNS1_3repE0EEENS1_30default_config_static_selectorELNS0_4arch9wavefront6targetE0EEEvT1_
	.p2align	8
	.type	_ZN7rocprim17ROCPRIM_400000_NS6detail17trampoline_kernelINS0_14default_configENS1_27scan_by_key_config_selectorIxxEEZZNS1_16scan_by_key_implILNS1_25lookback_scan_determinismE0ELb1ES3_N6thrust23THRUST_200600_302600_NS6detail15normal_iteratorINS9_10device_ptrIxEEEESE_SE_xNS9_10multipliesIxEENS9_8equal_toIxEExEE10hipError_tPvRmT2_T3_T4_T5_mT6_T7_P12ihipStream_tbENKUlT_T0_E_clISt17integral_constantIbLb1EESY_IbLb0EEEEDaSU_SV_EUlSU_E_NS1_11comp_targetILNS1_3genE0ELNS1_11target_archE4294967295ELNS1_3gpuE0ELNS1_3repE0EEENS1_30default_config_static_selectorELNS0_4arch9wavefront6targetE0EEEvT1_,@function
_ZN7rocprim17ROCPRIM_400000_NS6detail17trampoline_kernelINS0_14default_configENS1_27scan_by_key_config_selectorIxxEEZZNS1_16scan_by_key_implILNS1_25lookback_scan_determinismE0ELb1ES3_N6thrust23THRUST_200600_302600_NS6detail15normal_iteratorINS9_10device_ptrIxEEEESE_SE_xNS9_10multipliesIxEENS9_8equal_toIxEExEE10hipError_tPvRmT2_T3_T4_T5_mT6_T7_P12ihipStream_tbENKUlT_T0_E_clISt17integral_constantIbLb1EESY_IbLb0EEEEDaSU_SV_EUlSU_E_NS1_11comp_targetILNS1_3genE0ELNS1_11target_archE4294967295ELNS1_3gpuE0ELNS1_3repE0EEENS1_30default_config_static_selectorELNS0_4arch9wavefront6targetE0EEEvT1_: ; @_ZN7rocprim17ROCPRIM_400000_NS6detail17trampoline_kernelINS0_14default_configENS1_27scan_by_key_config_selectorIxxEEZZNS1_16scan_by_key_implILNS1_25lookback_scan_determinismE0ELb1ES3_N6thrust23THRUST_200600_302600_NS6detail15normal_iteratorINS9_10device_ptrIxEEEESE_SE_xNS9_10multipliesIxEENS9_8equal_toIxEExEE10hipError_tPvRmT2_T3_T4_T5_mT6_T7_P12ihipStream_tbENKUlT_T0_E_clISt17integral_constantIbLb1EESY_IbLb0EEEEDaSU_SV_EUlSU_E_NS1_11comp_targetILNS1_3genE0ELNS1_11target_archE4294967295ELNS1_3gpuE0ELNS1_3repE0EEENS1_30default_config_static_selectorELNS0_4arch9wavefront6targetE0EEEvT1_
; %bb.0:
	.section	.rodata,"a",@progbits
	.p2align	6, 0x0
	.amdhsa_kernel _ZN7rocprim17ROCPRIM_400000_NS6detail17trampoline_kernelINS0_14default_configENS1_27scan_by_key_config_selectorIxxEEZZNS1_16scan_by_key_implILNS1_25lookback_scan_determinismE0ELb1ES3_N6thrust23THRUST_200600_302600_NS6detail15normal_iteratorINS9_10device_ptrIxEEEESE_SE_xNS9_10multipliesIxEENS9_8equal_toIxEExEE10hipError_tPvRmT2_T3_T4_T5_mT6_T7_P12ihipStream_tbENKUlT_T0_E_clISt17integral_constantIbLb1EESY_IbLb0EEEEDaSU_SV_EUlSU_E_NS1_11comp_targetILNS1_3genE0ELNS1_11target_archE4294967295ELNS1_3gpuE0ELNS1_3repE0EEENS1_30default_config_static_selectorELNS0_4arch9wavefront6targetE0EEEvT1_
		.amdhsa_group_segment_fixed_size 0
		.amdhsa_private_segment_fixed_size 0
		.amdhsa_kernarg_size 136
		.amdhsa_user_sgpr_count 6
		.amdhsa_user_sgpr_private_segment_buffer 1
		.amdhsa_user_sgpr_dispatch_ptr 0
		.amdhsa_user_sgpr_queue_ptr 0
		.amdhsa_user_sgpr_kernarg_segment_ptr 1
		.amdhsa_user_sgpr_dispatch_id 0
		.amdhsa_user_sgpr_flat_scratch_init 0
		.amdhsa_user_sgpr_private_segment_size 0
		.amdhsa_wavefront_size32 1
		.amdhsa_uses_dynamic_stack 0
		.amdhsa_system_sgpr_private_segment_wavefront_offset 0
		.amdhsa_system_sgpr_workgroup_id_x 1
		.amdhsa_system_sgpr_workgroup_id_y 0
		.amdhsa_system_sgpr_workgroup_id_z 0
		.amdhsa_system_sgpr_workgroup_info 0
		.amdhsa_system_vgpr_workitem_id 0
		.amdhsa_next_free_vgpr 1
		.amdhsa_next_free_sgpr 1
		.amdhsa_reserve_vcc 0
		.amdhsa_reserve_flat_scratch 0
		.amdhsa_float_round_mode_32 0
		.amdhsa_float_round_mode_16_64 0
		.amdhsa_float_denorm_mode_32 3
		.amdhsa_float_denorm_mode_16_64 3
		.amdhsa_dx10_clamp 1
		.amdhsa_ieee_mode 1
		.amdhsa_fp16_overflow 0
		.amdhsa_workgroup_processor_mode 1
		.amdhsa_memory_ordered 1
		.amdhsa_forward_progress 1
		.amdhsa_shared_vgpr_count 0
		.amdhsa_exception_fp_ieee_invalid_op 0
		.amdhsa_exception_fp_denorm_src 0
		.amdhsa_exception_fp_ieee_div_zero 0
		.amdhsa_exception_fp_ieee_overflow 0
		.amdhsa_exception_fp_ieee_underflow 0
		.amdhsa_exception_fp_ieee_inexact 0
		.amdhsa_exception_int_div_zero 0
	.end_amdhsa_kernel
	.section	.text._ZN7rocprim17ROCPRIM_400000_NS6detail17trampoline_kernelINS0_14default_configENS1_27scan_by_key_config_selectorIxxEEZZNS1_16scan_by_key_implILNS1_25lookback_scan_determinismE0ELb1ES3_N6thrust23THRUST_200600_302600_NS6detail15normal_iteratorINS9_10device_ptrIxEEEESE_SE_xNS9_10multipliesIxEENS9_8equal_toIxEExEE10hipError_tPvRmT2_T3_T4_T5_mT6_T7_P12ihipStream_tbENKUlT_T0_E_clISt17integral_constantIbLb1EESY_IbLb0EEEEDaSU_SV_EUlSU_E_NS1_11comp_targetILNS1_3genE0ELNS1_11target_archE4294967295ELNS1_3gpuE0ELNS1_3repE0EEENS1_30default_config_static_selectorELNS0_4arch9wavefront6targetE0EEEvT1_,"axG",@progbits,_ZN7rocprim17ROCPRIM_400000_NS6detail17trampoline_kernelINS0_14default_configENS1_27scan_by_key_config_selectorIxxEEZZNS1_16scan_by_key_implILNS1_25lookback_scan_determinismE0ELb1ES3_N6thrust23THRUST_200600_302600_NS6detail15normal_iteratorINS9_10device_ptrIxEEEESE_SE_xNS9_10multipliesIxEENS9_8equal_toIxEExEE10hipError_tPvRmT2_T3_T4_T5_mT6_T7_P12ihipStream_tbENKUlT_T0_E_clISt17integral_constantIbLb1EESY_IbLb0EEEEDaSU_SV_EUlSU_E_NS1_11comp_targetILNS1_3genE0ELNS1_11target_archE4294967295ELNS1_3gpuE0ELNS1_3repE0EEENS1_30default_config_static_selectorELNS0_4arch9wavefront6targetE0EEEvT1_,comdat
.Lfunc_end407:
	.size	_ZN7rocprim17ROCPRIM_400000_NS6detail17trampoline_kernelINS0_14default_configENS1_27scan_by_key_config_selectorIxxEEZZNS1_16scan_by_key_implILNS1_25lookback_scan_determinismE0ELb1ES3_N6thrust23THRUST_200600_302600_NS6detail15normal_iteratorINS9_10device_ptrIxEEEESE_SE_xNS9_10multipliesIxEENS9_8equal_toIxEExEE10hipError_tPvRmT2_T3_T4_T5_mT6_T7_P12ihipStream_tbENKUlT_T0_E_clISt17integral_constantIbLb1EESY_IbLb0EEEEDaSU_SV_EUlSU_E_NS1_11comp_targetILNS1_3genE0ELNS1_11target_archE4294967295ELNS1_3gpuE0ELNS1_3repE0EEENS1_30default_config_static_selectorELNS0_4arch9wavefront6targetE0EEEvT1_, .Lfunc_end407-_ZN7rocprim17ROCPRIM_400000_NS6detail17trampoline_kernelINS0_14default_configENS1_27scan_by_key_config_selectorIxxEEZZNS1_16scan_by_key_implILNS1_25lookback_scan_determinismE0ELb1ES3_N6thrust23THRUST_200600_302600_NS6detail15normal_iteratorINS9_10device_ptrIxEEEESE_SE_xNS9_10multipliesIxEENS9_8equal_toIxEExEE10hipError_tPvRmT2_T3_T4_T5_mT6_T7_P12ihipStream_tbENKUlT_T0_E_clISt17integral_constantIbLb1EESY_IbLb0EEEEDaSU_SV_EUlSU_E_NS1_11comp_targetILNS1_3genE0ELNS1_11target_archE4294967295ELNS1_3gpuE0ELNS1_3repE0EEENS1_30default_config_static_selectorELNS0_4arch9wavefront6targetE0EEEvT1_
                                        ; -- End function
	.set _ZN7rocprim17ROCPRIM_400000_NS6detail17trampoline_kernelINS0_14default_configENS1_27scan_by_key_config_selectorIxxEEZZNS1_16scan_by_key_implILNS1_25lookback_scan_determinismE0ELb1ES3_N6thrust23THRUST_200600_302600_NS6detail15normal_iteratorINS9_10device_ptrIxEEEESE_SE_xNS9_10multipliesIxEENS9_8equal_toIxEExEE10hipError_tPvRmT2_T3_T4_T5_mT6_T7_P12ihipStream_tbENKUlT_T0_E_clISt17integral_constantIbLb1EESY_IbLb0EEEEDaSU_SV_EUlSU_E_NS1_11comp_targetILNS1_3genE0ELNS1_11target_archE4294967295ELNS1_3gpuE0ELNS1_3repE0EEENS1_30default_config_static_selectorELNS0_4arch9wavefront6targetE0EEEvT1_.num_vgpr, 0
	.set _ZN7rocprim17ROCPRIM_400000_NS6detail17trampoline_kernelINS0_14default_configENS1_27scan_by_key_config_selectorIxxEEZZNS1_16scan_by_key_implILNS1_25lookback_scan_determinismE0ELb1ES3_N6thrust23THRUST_200600_302600_NS6detail15normal_iteratorINS9_10device_ptrIxEEEESE_SE_xNS9_10multipliesIxEENS9_8equal_toIxEExEE10hipError_tPvRmT2_T3_T4_T5_mT6_T7_P12ihipStream_tbENKUlT_T0_E_clISt17integral_constantIbLb1EESY_IbLb0EEEEDaSU_SV_EUlSU_E_NS1_11comp_targetILNS1_3genE0ELNS1_11target_archE4294967295ELNS1_3gpuE0ELNS1_3repE0EEENS1_30default_config_static_selectorELNS0_4arch9wavefront6targetE0EEEvT1_.num_agpr, 0
	.set _ZN7rocprim17ROCPRIM_400000_NS6detail17trampoline_kernelINS0_14default_configENS1_27scan_by_key_config_selectorIxxEEZZNS1_16scan_by_key_implILNS1_25lookback_scan_determinismE0ELb1ES3_N6thrust23THRUST_200600_302600_NS6detail15normal_iteratorINS9_10device_ptrIxEEEESE_SE_xNS9_10multipliesIxEENS9_8equal_toIxEExEE10hipError_tPvRmT2_T3_T4_T5_mT6_T7_P12ihipStream_tbENKUlT_T0_E_clISt17integral_constantIbLb1EESY_IbLb0EEEEDaSU_SV_EUlSU_E_NS1_11comp_targetILNS1_3genE0ELNS1_11target_archE4294967295ELNS1_3gpuE0ELNS1_3repE0EEENS1_30default_config_static_selectorELNS0_4arch9wavefront6targetE0EEEvT1_.numbered_sgpr, 0
	.set _ZN7rocprim17ROCPRIM_400000_NS6detail17trampoline_kernelINS0_14default_configENS1_27scan_by_key_config_selectorIxxEEZZNS1_16scan_by_key_implILNS1_25lookback_scan_determinismE0ELb1ES3_N6thrust23THRUST_200600_302600_NS6detail15normal_iteratorINS9_10device_ptrIxEEEESE_SE_xNS9_10multipliesIxEENS9_8equal_toIxEExEE10hipError_tPvRmT2_T3_T4_T5_mT6_T7_P12ihipStream_tbENKUlT_T0_E_clISt17integral_constantIbLb1EESY_IbLb0EEEEDaSU_SV_EUlSU_E_NS1_11comp_targetILNS1_3genE0ELNS1_11target_archE4294967295ELNS1_3gpuE0ELNS1_3repE0EEENS1_30default_config_static_selectorELNS0_4arch9wavefront6targetE0EEEvT1_.num_named_barrier, 0
	.set _ZN7rocprim17ROCPRIM_400000_NS6detail17trampoline_kernelINS0_14default_configENS1_27scan_by_key_config_selectorIxxEEZZNS1_16scan_by_key_implILNS1_25lookback_scan_determinismE0ELb1ES3_N6thrust23THRUST_200600_302600_NS6detail15normal_iteratorINS9_10device_ptrIxEEEESE_SE_xNS9_10multipliesIxEENS9_8equal_toIxEExEE10hipError_tPvRmT2_T3_T4_T5_mT6_T7_P12ihipStream_tbENKUlT_T0_E_clISt17integral_constantIbLb1EESY_IbLb0EEEEDaSU_SV_EUlSU_E_NS1_11comp_targetILNS1_3genE0ELNS1_11target_archE4294967295ELNS1_3gpuE0ELNS1_3repE0EEENS1_30default_config_static_selectorELNS0_4arch9wavefront6targetE0EEEvT1_.private_seg_size, 0
	.set _ZN7rocprim17ROCPRIM_400000_NS6detail17trampoline_kernelINS0_14default_configENS1_27scan_by_key_config_selectorIxxEEZZNS1_16scan_by_key_implILNS1_25lookback_scan_determinismE0ELb1ES3_N6thrust23THRUST_200600_302600_NS6detail15normal_iteratorINS9_10device_ptrIxEEEESE_SE_xNS9_10multipliesIxEENS9_8equal_toIxEExEE10hipError_tPvRmT2_T3_T4_T5_mT6_T7_P12ihipStream_tbENKUlT_T0_E_clISt17integral_constantIbLb1EESY_IbLb0EEEEDaSU_SV_EUlSU_E_NS1_11comp_targetILNS1_3genE0ELNS1_11target_archE4294967295ELNS1_3gpuE0ELNS1_3repE0EEENS1_30default_config_static_selectorELNS0_4arch9wavefront6targetE0EEEvT1_.uses_vcc, 0
	.set _ZN7rocprim17ROCPRIM_400000_NS6detail17trampoline_kernelINS0_14default_configENS1_27scan_by_key_config_selectorIxxEEZZNS1_16scan_by_key_implILNS1_25lookback_scan_determinismE0ELb1ES3_N6thrust23THRUST_200600_302600_NS6detail15normal_iteratorINS9_10device_ptrIxEEEESE_SE_xNS9_10multipliesIxEENS9_8equal_toIxEExEE10hipError_tPvRmT2_T3_T4_T5_mT6_T7_P12ihipStream_tbENKUlT_T0_E_clISt17integral_constantIbLb1EESY_IbLb0EEEEDaSU_SV_EUlSU_E_NS1_11comp_targetILNS1_3genE0ELNS1_11target_archE4294967295ELNS1_3gpuE0ELNS1_3repE0EEENS1_30default_config_static_selectorELNS0_4arch9wavefront6targetE0EEEvT1_.uses_flat_scratch, 0
	.set _ZN7rocprim17ROCPRIM_400000_NS6detail17trampoline_kernelINS0_14default_configENS1_27scan_by_key_config_selectorIxxEEZZNS1_16scan_by_key_implILNS1_25lookback_scan_determinismE0ELb1ES3_N6thrust23THRUST_200600_302600_NS6detail15normal_iteratorINS9_10device_ptrIxEEEESE_SE_xNS9_10multipliesIxEENS9_8equal_toIxEExEE10hipError_tPvRmT2_T3_T4_T5_mT6_T7_P12ihipStream_tbENKUlT_T0_E_clISt17integral_constantIbLb1EESY_IbLb0EEEEDaSU_SV_EUlSU_E_NS1_11comp_targetILNS1_3genE0ELNS1_11target_archE4294967295ELNS1_3gpuE0ELNS1_3repE0EEENS1_30default_config_static_selectorELNS0_4arch9wavefront6targetE0EEEvT1_.has_dyn_sized_stack, 0
	.set _ZN7rocprim17ROCPRIM_400000_NS6detail17trampoline_kernelINS0_14default_configENS1_27scan_by_key_config_selectorIxxEEZZNS1_16scan_by_key_implILNS1_25lookback_scan_determinismE0ELb1ES3_N6thrust23THRUST_200600_302600_NS6detail15normal_iteratorINS9_10device_ptrIxEEEESE_SE_xNS9_10multipliesIxEENS9_8equal_toIxEExEE10hipError_tPvRmT2_T3_T4_T5_mT6_T7_P12ihipStream_tbENKUlT_T0_E_clISt17integral_constantIbLb1EESY_IbLb0EEEEDaSU_SV_EUlSU_E_NS1_11comp_targetILNS1_3genE0ELNS1_11target_archE4294967295ELNS1_3gpuE0ELNS1_3repE0EEENS1_30default_config_static_selectorELNS0_4arch9wavefront6targetE0EEEvT1_.has_recursion, 0
	.set _ZN7rocprim17ROCPRIM_400000_NS6detail17trampoline_kernelINS0_14default_configENS1_27scan_by_key_config_selectorIxxEEZZNS1_16scan_by_key_implILNS1_25lookback_scan_determinismE0ELb1ES3_N6thrust23THRUST_200600_302600_NS6detail15normal_iteratorINS9_10device_ptrIxEEEESE_SE_xNS9_10multipliesIxEENS9_8equal_toIxEExEE10hipError_tPvRmT2_T3_T4_T5_mT6_T7_P12ihipStream_tbENKUlT_T0_E_clISt17integral_constantIbLb1EESY_IbLb0EEEEDaSU_SV_EUlSU_E_NS1_11comp_targetILNS1_3genE0ELNS1_11target_archE4294967295ELNS1_3gpuE0ELNS1_3repE0EEENS1_30default_config_static_selectorELNS0_4arch9wavefront6targetE0EEEvT1_.has_indirect_call, 0
	.section	.AMDGPU.csdata,"",@progbits
; Kernel info:
; codeLenInByte = 0
; TotalNumSgprs: 0
; NumVgprs: 0
; ScratchSize: 0
; MemoryBound: 0
; FloatMode: 240
; IeeeMode: 1
; LDSByteSize: 0 bytes/workgroup (compile time only)
; SGPRBlocks: 0
; VGPRBlocks: 0
; NumSGPRsForWavesPerEU: 1
; NumVGPRsForWavesPerEU: 1
; Occupancy: 16
; WaveLimiterHint : 0
; COMPUTE_PGM_RSRC2:SCRATCH_EN: 0
; COMPUTE_PGM_RSRC2:USER_SGPR: 6
; COMPUTE_PGM_RSRC2:TRAP_HANDLER: 0
; COMPUTE_PGM_RSRC2:TGID_X_EN: 1
; COMPUTE_PGM_RSRC2:TGID_Y_EN: 0
; COMPUTE_PGM_RSRC2:TGID_Z_EN: 0
; COMPUTE_PGM_RSRC2:TIDIG_COMP_CNT: 0
	.section	.text._ZN7rocprim17ROCPRIM_400000_NS6detail17trampoline_kernelINS0_14default_configENS1_27scan_by_key_config_selectorIxxEEZZNS1_16scan_by_key_implILNS1_25lookback_scan_determinismE0ELb1ES3_N6thrust23THRUST_200600_302600_NS6detail15normal_iteratorINS9_10device_ptrIxEEEESE_SE_xNS9_10multipliesIxEENS9_8equal_toIxEExEE10hipError_tPvRmT2_T3_T4_T5_mT6_T7_P12ihipStream_tbENKUlT_T0_E_clISt17integral_constantIbLb1EESY_IbLb0EEEEDaSU_SV_EUlSU_E_NS1_11comp_targetILNS1_3genE10ELNS1_11target_archE1201ELNS1_3gpuE5ELNS1_3repE0EEENS1_30default_config_static_selectorELNS0_4arch9wavefront6targetE0EEEvT1_,"axG",@progbits,_ZN7rocprim17ROCPRIM_400000_NS6detail17trampoline_kernelINS0_14default_configENS1_27scan_by_key_config_selectorIxxEEZZNS1_16scan_by_key_implILNS1_25lookback_scan_determinismE0ELb1ES3_N6thrust23THRUST_200600_302600_NS6detail15normal_iteratorINS9_10device_ptrIxEEEESE_SE_xNS9_10multipliesIxEENS9_8equal_toIxEExEE10hipError_tPvRmT2_T3_T4_T5_mT6_T7_P12ihipStream_tbENKUlT_T0_E_clISt17integral_constantIbLb1EESY_IbLb0EEEEDaSU_SV_EUlSU_E_NS1_11comp_targetILNS1_3genE10ELNS1_11target_archE1201ELNS1_3gpuE5ELNS1_3repE0EEENS1_30default_config_static_selectorELNS0_4arch9wavefront6targetE0EEEvT1_,comdat
	.protected	_ZN7rocprim17ROCPRIM_400000_NS6detail17trampoline_kernelINS0_14default_configENS1_27scan_by_key_config_selectorIxxEEZZNS1_16scan_by_key_implILNS1_25lookback_scan_determinismE0ELb1ES3_N6thrust23THRUST_200600_302600_NS6detail15normal_iteratorINS9_10device_ptrIxEEEESE_SE_xNS9_10multipliesIxEENS9_8equal_toIxEExEE10hipError_tPvRmT2_T3_T4_T5_mT6_T7_P12ihipStream_tbENKUlT_T0_E_clISt17integral_constantIbLb1EESY_IbLb0EEEEDaSU_SV_EUlSU_E_NS1_11comp_targetILNS1_3genE10ELNS1_11target_archE1201ELNS1_3gpuE5ELNS1_3repE0EEENS1_30default_config_static_selectorELNS0_4arch9wavefront6targetE0EEEvT1_ ; -- Begin function _ZN7rocprim17ROCPRIM_400000_NS6detail17trampoline_kernelINS0_14default_configENS1_27scan_by_key_config_selectorIxxEEZZNS1_16scan_by_key_implILNS1_25lookback_scan_determinismE0ELb1ES3_N6thrust23THRUST_200600_302600_NS6detail15normal_iteratorINS9_10device_ptrIxEEEESE_SE_xNS9_10multipliesIxEENS9_8equal_toIxEExEE10hipError_tPvRmT2_T3_T4_T5_mT6_T7_P12ihipStream_tbENKUlT_T0_E_clISt17integral_constantIbLb1EESY_IbLb0EEEEDaSU_SV_EUlSU_E_NS1_11comp_targetILNS1_3genE10ELNS1_11target_archE1201ELNS1_3gpuE5ELNS1_3repE0EEENS1_30default_config_static_selectorELNS0_4arch9wavefront6targetE0EEEvT1_
	.globl	_ZN7rocprim17ROCPRIM_400000_NS6detail17trampoline_kernelINS0_14default_configENS1_27scan_by_key_config_selectorIxxEEZZNS1_16scan_by_key_implILNS1_25lookback_scan_determinismE0ELb1ES3_N6thrust23THRUST_200600_302600_NS6detail15normal_iteratorINS9_10device_ptrIxEEEESE_SE_xNS9_10multipliesIxEENS9_8equal_toIxEExEE10hipError_tPvRmT2_T3_T4_T5_mT6_T7_P12ihipStream_tbENKUlT_T0_E_clISt17integral_constantIbLb1EESY_IbLb0EEEEDaSU_SV_EUlSU_E_NS1_11comp_targetILNS1_3genE10ELNS1_11target_archE1201ELNS1_3gpuE5ELNS1_3repE0EEENS1_30default_config_static_selectorELNS0_4arch9wavefront6targetE0EEEvT1_
	.p2align	8
	.type	_ZN7rocprim17ROCPRIM_400000_NS6detail17trampoline_kernelINS0_14default_configENS1_27scan_by_key_config_selectorIxxEEZZNS1_16scan_by_key_implILNS1_25lookback_scan_determinismE0ELb1ES3_N6thrust23THRUST_200600_302600_NS6detail15normal_iteratorINS9_10device_ptrIxEEEESE_SE_xNS9_10multipliesIxEENS9_8equal_toIxEExEE10hipError_tPvRmT2_T3_T4_T5_mT6_T7_P12ihipStream_tbENKUlT_T0_E_clISt17integral_constantIbLb1EESY_IbLb0EEEEDaSU_SV_EUlSU_E_NS1_11comp_targetILNS1_3genE10ELNS1_11target_archE1201ELNS1_3gpuE5ELNS1_3repE0EEENS1_30default_config_static_selectorELNS0_4arch9wavefront6targetE0EEEvT1_,@function
_ZN7rocprim17ROCPRIM_400000_NS6detail17trampoline_kernelINS0_14default_configENS1_27scan_by_key_config_selectorIxxEEZZNS1_16scan_by_key_implILNS1_25lookback_scan_determinismE0ELb1ES3_N6thrust23THRUST_200600_302600_NS6detail15normal_iteratorINS9_10device_ptrIxEEEESE_SE_xNS9_10multipliesIxEENS9_8equal_toIxEExEE10hipError_tPvRmT2_T3_T4_T5_mT6_T7_P12ihipStream_tbENKUlT_T0_E_clISt17integral_constantIbLb1EESY_IbLb0EEEEDaSU_SV_EUlSU_E_NS1_11comp_targetILNS1_3genE10ELNS1_11target_archE1201ELNS1_3gpuE5ELNS1_3repE0EEENS1_30default_config_static_selectorELNS0_4arch9wavefront6targetE0EEEvT1_: ; @_ZN7rocprim17ROCPRIM_400000_NS6detail17trampoline_kernelINS0_14default_configENS1_27scan_by_key_config_selectorIxxEEZZNS1_16scan_by_key_implILNS1_25lookback_scan_determinismE0ELb1ES3_N6thrust23THRUST_200600_302600_NS6detail15normal_iteratorINS9_10device_ptrIxEEEESE_SE_xNS9_10multipliesIxEENS9_8equal_toIxEExEE10hipError_tPvRmT2_T3_T4_T5_mT6_T7_P12ihipStream_tbENKUlT_T0_E_clISt17integral_constantIbLb1EESY_IbLb0EEEEDaSU_SV_EUlSU_E_NS1_11comp_targetILNS1_3genE10ELNS1_11target_archE1201ELNS1_3gpuE5ELNS1_3repE0EEENS1_30default_config_static_selectorELNS0_4arch9wavefront6targetE0EEEvT1_
; %bb.0:
	.section	.rodata,"a",@progbits
	.p2align	6, 0x0
	.amdhsa_kernel _ZN7rocprim17ROCPRIM_400000_NS6detail17trampoline_kernelINS0_14default_configENS1_27scan_by_key_config_selectorIxxEEZZNS1_16scan_by_key_implILNS1_25lookback_scan_determinismE0ELb1ES3_N6thrust23THRUST_200600_302600_NS6detail15normal_iteratorINS9_10device_ptrIxEEEESE_SE_xNS9_10multipliesIxEENS9_8equal_toIxEExEE10hipError_tPvRmT2_T3_T4_T5_mT6_T7_P12ihipStream_tbENKUlT_T0_E_clISt17integral_constantIbLb1EESY_IbLb0EEEEDaSU_SV_EUlSU_E_NS1_11comp_targetILNS1_3genE10ELNS1_11target_archE1201ELNS1_3gpuE5ELNS1_3repE0EEENS1_30default_config_static_selectorELNS0_4arch9wavefront6targetE0EEEvT1_
		.amdhsa_group_segment_fixed_size 0
		.amdhsa_private_segment_fixed_size 0
		.amdhsa_kernarg_size 136
		.amdhsa_user_sgpr_count 6
		.amdhsa_user_sgpr_private_segment_buffer 1
		.amdhsa_user_sgpr_dispatch_ptr 0
		.amdhsa_user_sgpr_queue_ptr 0
		.amdhsa_user_sgpr_kernarg_segment_ptr 1
		.amdhsa_user_sgpr_dispatch_id 0
		.amdhsa_user_sgpr_flat_scratch_init 0
		.amdhsa_user_sgpr_private_segment_size 0
		.amdhsa_wavefront_size32 1
		.amdhsa_uses_dynamic_stack 0
		.amdhsa_system_sgpr_private_segment_wavefront_offset 0
		.amdhsa_system_sgpr_workgroup_id_x 1
		.amdhsa_system_sgpr_workgroup_id_y 0
		.amdhsa_system_sgpr_workgroup_id_z 0
		.amdhsa_system_sgpr_workgroup_info 0
		.amdhsa_system_vgpr_workitem_id 0
		.amdhsa_next_free_vgpr 1
		.amdhsa_next_free_sgpr 1
		.amdhsa_reserve_vcc 0
		.amdhsa_reserve_flat_scratch 0
		.amdhsa_float_round_mode_32 0
		.amdhsa_float_round_mode_16_64 0
		.amdhsa_float_denorm_mode_32 3
		.amdhsa_float_denorm_mode_16_64 3
		.amdhsa_dx10_clamp 1
		.amdhsa_ieee_mode 1
		.amdhsa_fp16_overflow 0
		.amdhsa_workgroup_processor_mode 1
		.amdhsa_memory_ordered 1
		.amdhsa_forward_progress 1
		.amdhsa_shared_vgpr_count 0
		.amdhsa_exception_fp_ieee_invalid_op 0
		.amdhsa_exception_fp_denorm_src 0
		.amdhsa_exception_fp_ieee_div_zero 0
		.amdhsa_exception_fp_ieee_overflow 0
		.amdhsa_exception_fp_ieee_underflow 0
		.amdhsa_exception_fp_ieee_inexact 0
		.amdhsa_exception_int_div_zero 0
	.end_amdhsa_kernel
	.section	.text._ZN7rocprim17ROCPRIM_400000_NS6detail17trampoline_kernelINS0_14default_configENS1_27scan_by_key_config_selectorIxxEEZZNS1_16scan_by_key_implILNS1_25lookback_scan_determinismE0ELb1ES3_N6thrust23THRUST_200600_302600_NS6detail15normal_iteratorINS9_10device_ptrIxEEEESE_SE_xNS9_10multipliesIxEENS9_8equal_toIxEExEE10hipError_tPvRmT2_T3_T4_T5_mT6_T7_P12ihipStream_tbENKUlT_T0_E_clISt17integral_constantIbLb1EESY_IbLb0EEEEDaSU_SV_EUlSU_E_NS1_11comp_targetILNS1_3genE10ELNS1_11target_archE1201ELNS1_3gpuE5ELNS1_3repE0EEENS1_30default_config_static_selectorELNS0_4arch9wavefront6targetE0EEEvT1_,"axG",@progbits,_ZN7rocprim17ROCPRIM_400000_NS6detail17trampoline_kernelINS0_14default_configENS1_27scan_by_key_config_selectorIxxEEZZNS1_16scan_by_key_implILNS1_25lookback_scan_determinismE0ELb1ES3_N6thrust23THRUST_200600_302600_NS6detail15normal_iteratorINS9_10device_ptrIxEEEESE_SE_xNS9_10multipliesIxEENS9_8equal_toIxEExEE10hipError_tPvRmT2_T3_T4_T5_mT6_T7_P12ihipStream_tbENKUlT_T0_E_clISt17integral_constantIbLb1EESY_IbLb0EEEEDaSU_SV_EUlSU_E_NS1_11comp_targetILNS1_3genE10ELNS1_11target_archE1201ELNS1_3gpuE5ELNS1_3repE0EEENS1_30default_config_static_selectorELNS0_4arch9wavefront6targetE0EEEvT1_,comdat
.Lfunc_end408:
	.size	_ZN7rocprim17ROCPRIM_400000_NS6detail17trampoline_kernelINS0_14default_configENS1_27scan_by_key_config_selectorIxxEEZZNS1_16scan_by_key_implILNS1_25lookback_scan_determinismE0ELb1ES3_N6thrust23THRUST_200600_302600_NS6detail15normal_iteratorINS9_10device_ptrIxEEEESE_SE_xNS9_10multipliesIxEENS9_8equal_toIxEExEE10hipError_tPvRmT2_T3_T4_T5_mT6_T7_P12ihipStream_tbENKUlT_T0_E_clISt17integral_constantIbLb1EESY_IbLb0EEEEDaSU_SV_EUlSU_E_NS1_11comp_targetILNS1_3genE10ELNS1_11target_archE1201ELNS1_3gpuE5ELNS1_3repE0EEENS1_30default_config_static_selectorELNS0_4arch9wavefront6targetE0EEEvT1_, .Lfunc_end408-_ZN7rocprim17ROCPRIM_400000_NS6detail17trampoline_kernelINS0_14default_configENS1_27scan_by_key_config_selectorIxxEEZZNS1_16scan_by_key_implILNS1_25lookback_scan_determinismE0ELb1ES3_N6thrust23THRUST_200600_302600_NS6detail15normal_iteratorINS9_10device_ptrIxEEEESE_SE_xNS9_10multipliesIxEENS9_8equal_toIxEExEE10hipError_tPvRmT2_T3_T4_T5_mT6_T7_P12ihipStream_tbENKUlT_T0_E_clISt17integral_constantIbLb1EESY_IbLb0EEEEDaSU_SV_EUlSU_E_NS1_11comp_targetILNS1_3genE10ELNS1_11target_archE1201ELNS1_3gpuE5ELNS1_3repE0EEENS1_30default_config_static_selectorELNS0_4arch9wavefront6targetE0EEEvT1_
                                        ; -- End function
	.set _ZN7rocprim17ROCPRIM_400000_NS6detail17trampoline_kernelINS0_14default_configENS1_27scan_by_key_config_selectorIxxEEZZNS1_16scan_by_key_implILNS1_25lookback_scan_determinismE0ELb1ES3_N6thrust23THRUST_200600_302600_NS6detail15normal_iteratorINS9_10device_ptrIxEEEESE_SE_xNS9_10multipliesIxEENS9_8equal_toIxEExEE10hipError_tPvRmT2_T3_T4_T5_mT6_T7_P12ihipStream_tbENKUlT_T0_E_clISt17integral_constantIbLb1EESY_IbLb0EEEEDaSU_SV_EUlSU_E_NS1_11comp_targetILNS1_3genE10ELNS1_11target_archE1201ELNS1_3gpuE5ELNS1_3repE0EEENS1_30default_config_static_selectorELNS0_4arch9wavefront6targetE0EEEvT1_.num_vgpr, 0
	.set _ZN7rocprim17ROCPRIM_400000_NS6detail17trampoline_kernelINS0_14default_configENS1_27scan_by_key_config_selectorIxxEEZZNS1_16scan_by_key_implILNS1_25lookback_scan_determinismE0ELb1ES3_N6thrust23THRUST_200600_302600_NS6detail15normal_iteratorINS9_10device_ptrIxEEEESE_SE_xNS9_10multipliesIxEENS9_8equal_toIxEExEE10hipError_tPvRmT2_T3_T4_T5_mT6_T7_P12ihipStream_tbENKUlT_T0_E_clISt17integral_constantIbLb1EESY_IbLb0EEEEDaSU_SV_EUlSU_E_NS1_11comp_targetILNS1_3genE10ELNS1_11target_archE1201ELNS1_3gpuE5ELNS1_3repE0EEENS1_30default_config_static_selectorELNS0_4arch9wavefront6targetE0EEEvT1_.num_agpr, 0
	.set _ZN7rocprim17ROCPRIM_400000_NS6detail17trampoline_kernelINS0_14default_configENS1_27scan_by_key_config_selectorIxxEEZZNS1_16scan_by_key_implILNS1_25lookback_scan_determinismE0ELb1ES3_N6thrust23THRUST_200600_302600_NS6detail15normal_iteratorINS9_10device_ptrIxEEEESE_SE_xNS9_10multipliesIxEENS9_8equal_toIxEExEE10hipError_tPvRmT2_T3_T4_T5_mT6_T7_P12ihipStream_tbENKUlT_T0_E_clISt17integral_constantIbLb1EESY_IbLb0EEEEDaSU_SV_EUlSU_E_NS1_11comp_targetILNS1_3genE10ELNS1_11target_archE1201ELNS1_3gpuE5ELNS1_3repE0EEENS1_30default_config_static_selectorELNS0_4arch9wavefront6targetE0EEEvT1_.numbered_sgpr, 0
	.set _ZN7rocprim17ROCPRIM_400000_NS6detail17trampoline_kernelINS0_14default_configENS1_27scan_by_key_config_selectorIxxEEZZNS1_16scan_by_key_implILNS1_25lookback_scan_determinismE0ELb1ES3_N6thrust23THRUST_200600_302600_NS6detail15normal_iteratorINS9_10device_ptrIxEEEESE_SE_xNS9_10multipliesIxEENS9_8equal_toIxEExEE10hipError_tPvRmT2_T3_T4_T5_mT6_T7_P12ihipStream_tbENKUlT_T0_E_clISt17integral_constantIbLb1EESY_IbLb0EEEEDaSU_SV_EUlSU_E_NS1_11comp_targetILNS1_3genE10ELNS1_11target_archE1201ELNS1_3gpuE5ELNS1_3repE0EEENS1_30default_config_static_selectorELNS0_4arch9wavefront6targetE0EEEvT1_.num_named_barrier, 0
	.set _ZN7rocprim17ROCPRIM_400000_NS6detail17trampoline_kernelINS0_14default_configENS1_27scan_by_key_config_selectorIxxEEZZNS1_16scan_by_key_implILNS1_25lookback_scan_determinismE0ELb1ES3_N6thrust23THRUST_200600_302600_NS6detail15normal_iteratorINS9_10device_ptrIxEEEESE_SE_xNS9_10multipliesIxEENS9_8equal_toIxEExEE10hipError_tPvRmT2_T3_T4_T5_mT6_T7_P12ihipStream_tbENKUlT_T0_E_clISt17integral_constantIbLb1EESY_IbLb0EEEEDaSU_SV_EUlSU_E_NS1_11comp_targetILNS1_3genE10ELNS1_11target_archE1201ELNS1_3gpuE5ELNS1_3repE0EEENS1_30default_config_static_selectorELNS0_4arch9wavefront6targetE0EEEvT1_.private_seg_size, 0
	.set _ZN7rocprim17ROCPRIM_400000_NS6detail17trampoline_kernelINS0_14default_configENS1_27scan_by_key_config_selectorIxxEEZZNS1_16scan_by_key_implILNS1_25lookback_scan_determinismE0ELb1ES3_N6thrust23THRUST_200600_302600_NS6detail15normal_iteratorINS9_10device_ptrIxEEEESE_SE_xNS9_10multipliesIxEENS9_8equal_toIxEExEE10hipError_tPvRmT2_T3_T4_T5_mT6_T7_P12ihipStream_tbENKUlT_T0_E_clISt17integral_constantIbLb1EESY_IbLb0EEEEDaSU_SV_EUlSU_E_NS1_11comp_targetILNS1_3genE10ELNS1_11target_archE1201ELNS1_3gpuE5ELNS1_3repE0EEENS1_30default_config_static_selectorELNS0_4arch9wavefront6targetE0EEEvT1_.uses_vcc, 0
	.set _ZN7rocprim17ROCPRIM_400000_NS6detail17trampoline_kernelINS0_14default_configENS1_27scan_by_key_config_selectorIxxEEZZNS1_16scan_by_key_implILNS1_25lookback_scan_determinismE0ELb1ES3_N6thrust23THRUST_200600_302600_NS6detail15normal_iteratorINS9_10device_ptrIxEEEESE_SE_xNS9_10multipliesIxEENS9_8equal_toIxEExEE10hipError_tPvRmT2_T3_T4_T5_mT6_T7_P12ihipStream_tbENKUlT_T0_E_clISt17integral_constantIbLb1EESY_IbLb0EEEEDaSU_SV_EUlSU_E_NS1_11comp_targetILNS1_3genE10ELNS1_11target_archE1201ELNS1_3gpuE5ELNS1_3repE0EEENS1_30default_config_static_selectorELNS0_4arch9wavefront6targetE0EEEvT1_.uses_flat_scratch, 0
	.set _ZN7rocprim17ROCPRIM_400000_NS6detail17trampoline_kernelINS0_14default_configENS1_27scan_by_key_config_selectorIxxEEZZNS1_16scan_by_key_implILNS1_25lookback_scan_determinismE0ELb1ES3_N6thrust23THRUST_200600_302600_NS6detail15normal_iteratorINS9_10device_ptrIxEEEESE_SE_xNS9_10multipliesIxEENS9_8equal_toIxEExEE10hipError_tPvRmT2_T3_T4_T5_mT6_T7_P12ihipStream_tbENKUlT_T0_E_clISt17integral_constantIbLb1EESY_IbLb0EEEEDaSU_SV_EUlSU_E_NS1_11comp_targetILNS1_3genE10ELNS1_11target_archE1201ELNS1_3gpuE5ELNS1_3repE0EEENS1_30default_config_static_selectorELNS0_4arch9wavefront6targetE0EEEvT1_.has_dyn_sized_stack, 0
	.set _ZN7rocprim17ROCPRIM_400000_NS6detail17trampoline_kernelINS0_14default_configENS1_27scan_by_key_config_selectorIxxEEZZNS1_16scan_by_key_implILNS1_25lookback_scan_determinismE0ELb1ES3_N6thrust23THRUST_200600_302600_NS6detail15normal_iteratorINS9_10device_ptrIxEEEESE_SE_xNS9_10multipliesIxEENS9_8equal_toIxEExEE10hipError_tPvRmT2_T3_T4_T5_mT6_T7_P12ihipStream_tbENKUlT_T0_E_clISt17integral_constantIbLb1EESY_IbLb0EEEEDaSU_SV_EUlSU_E_NS1_11comp_targetILNS1_3genE10ELNS1_11target_archE1201ELNS1_3gpuE5ELNS1_3repE0EEENS1_30default_config_static_selectorELNS0_4arch9wavefront6targetE0EEEvT1_.has_recursion, 0
	.set _ZN7rocprim17ROCPRIM_400000_NS6detail17trampoline_kernelINS0_14default_configENS1_27scan_by_key_config_selectorIxxEEZZNS1_16scan_by_key_implILNS1_25lookback_scan_determinismE0ELb1ES3_N6thrust23THRUST_200600_302600_NS6detail15normal_iteratorINS9_10device_ptrIxEEEESE_SE_xNS9_10multipliesIxEENS9_8equal_toIxEExEE10hipError_tPvRmT2_T3_T4_T5_mT6_T7_P12ihipStream_tbENKUlT_T0_E_clISt17integral_constantIbLb1EESY_IbLb0EEEEDaSU_SV_EUlSU_E_NS1_11comp_targetILNS1_3genE10ELNS1_11target_archE1201ELNS1_3gpuE5ELNS1_3repE0EEENS1_30default_config_static_selectorELNS0_4arch9wavefront6targetE0EEEvT1_.has_indirect_call, 0
	.section	.AMDGPU.csdata,"",@progbits
; Kernel info:
; codeLenInByte = 0
; TotalNumSgprs: 0
; NumVgprs: 0
; ScratchSize: 0
; MemoryBound: 0
; FloatMode: 240
; IeeeMode: 1
; LDSByteSize: 0 bytes/workgroup (compile time only)
; SGPRBlocks: 0
; VGPRBlocks: 0
; NumSGPRsForWavesPerEU: 1
; NumVGPRsForWavesPerEU: 1
; Occupancy: 16
; WaveLimiterHint : 0
; COMPUTE_PGM_RSRC2:SCRATCH_EN: 0
; COMPUTE_PGM_RSRC2:USER_SGPR: 6
; COMPUTE_PGM_RSRC2:TRAP_HANDLER: 0
; COMPUTE_PGM_RSRC2:TGID_X_EN: 1
; COMPUTE_PGM_RSRC2:TGID_Y_EN: 0
; COMPUTE_PGM_RSRC2:TGID_Z_EN: 0
; COMPUTE_PGM_RSRC2:TIDIG_COMP_CNT: 0
	.section	.text._ZN7rocprim17ROCPRIM_400000_NS6detail17trampoline_kernelINS0_14default_configENS1_27scan_by_key_config_selectorIxxEEZZNS1_16scan_by_key_implILNS1_25lookback_scan_determinismE0ELb1ES3_N6thrust23THRUST_200600_302600_NS6detail15normal_iteratorINS9_10device_ptrIxEEEESE_SE_xNS9_10multipliesIxEENS9_8equal_toIxEExEE10hipError_tPvRmT2_T3_T4_T5_mT6_T7_P12ihipStream_tbENKUlT_T0_E_clISt17integral_constantIbLb1EESY_IbLb0EEEEDaSU_SV_EUlSU_E_NS1_11comp_targetILNS1_3genE5ELNS1_11target_archE942ELNS1_3gpuE9ELNS1_3repE0EEENS1_30default_config_static_selectorELNS0_4arch9wavefront6targetE0EEEvT1_,"axG",@progbits,_ZN7rocprim17ROCPRIM_400000_NS6detail17trampoline_kernelINS0_14default_configENS1_27scan_by_key_config_selectorIxxEEZZNS1_16scan_by_key_implILNS1_25lookback_scan_determinismE0ELb1ES3_N6thrust23THRUST_200600_302600_NS6detail15normal_iteratorINS9_10device_ptrIxEEEESE_SE_xNS9_10multipliesIxEENS9_8equal_toIxEExEE10hipError_tPvRmT2_T3_T4_T5_mT6_T7_P12ihipStream_tbENKUlT_T0_E_clISt17integral_constantIbLb1EESY_IbLb0EEEEDaSU_SV_EUlSU_E_NS1_11comp_targetILNS1_3genE5ELNS1_11target_archE942ELNS1_3gpuE9ELNS1_3repE0EEENS1_30default_config_static_selectorELNS0_4arch9wavefront6targetE0EEEvT1_,comdat
	.protected	_ZN7rocprim17ROCPRIM_400000_NS6detail17trampoline_kernelINS0_14default_configENS1_27scan_by_key_config_selectorIxxEEZZNS1_16scan_by_key_implILNS1_25lookback_scan_determinismE0ELb1ES3_N6thrust23THRUST_200600_302600_NS6detail15normal_iteratorINS9_10device_ptrIxEEEESE_SE_xNS9_10multipliesIxEENS9_8equal_toIxEExEE10hipError_tPvRmT2_T3_T4_T5_mT6_T7_P12ihipStream_tbENKUlT_T0_E_clISt17integral_constantIbLb1EESY_IbLb0EEEEDaSU_SV_EUlSU_E_NS1_11comp_targetILNS1_3genE5ELNS1_11target_archE942ELNS1_3gpuE9ELNS1_3repE0EEENS1_30default_config_static_selectorELNS0_4arch9wavefront6targetE0EEEvT1_ ; -- Begin function _ZN7rocprim17ROCPRIM_400000_NS6detail17trampoline_kernelINS0_14default_configENS1_27scan_by_key_config_selectorIxxEEZZNS1_16scan_by_key_implILNS1_25lookback_scan_determinismE0ELb1ES3_N6thrust23THRUST_200600_302600_NS6detail15normal_iteratorINS9_10device_ptrIxEEEESE_SE_xNS9_10multipliesIxEENS9_8equal_toIxEExEE10hipError_tPvRmT2_T3_T4_T5_mT6_T7_P12ihipStream_tbENKUlT_T0_E_clISt17integral_constantIbLb1EESY_IbLb0EEEEDaSU_SV_EUlSU_E_NS1_11comp_targetILNS1_3genE5ELNS1_11target_archE942ELNS1_3gpuE9ELNS1_3repE0EEENS1_30default_config_static_selectorELNS0_4arch9wavefront6targetE0EEEvT1_
	.globl	_ZN7rocprim17ROCPRIM_400000_NS6detail17trampoline_kernelINS0_14default_configENS1_27scan_by_key_config_selectorIxxEEZZNS1_16scan_by_key_implILNS1_25lookback_scan_determinismE0ELb1ES3_N6thrust23THRUST_200600_302600_NS6detail15normal_iteratorINS9_10device_ptrIxEEEESE_SE_xNS9_10multipliesIxEENS9_8equal_toIxEExEE10hipError_tPvRmT2_T3_T4_T5_mT6_T7_P12ihipStream_tbENKUlT_T0_E_clISt17integral_constantIbLb1EESY_IbLb0EEEEDaSU_SV_EUlSU_E_NS1_11comp_targetILNS1_3genE5ELNS1_11target_archE942ELNS1_3gpuE9ELNS1_3repE0EEENS1_30default_config_static_selectorELNS0_4arch9wavefront6targetE0EEEvT1_
	.p2align	8
	.type	_ZN7rocprim17ROCPRIM_400000_NS6detail17trampoline_kernelINS0_14default_configENS1_27scan_by_key_config_selectorIxxEEZZNS1_16scan_by_key_implILNS1_25lookback_scan_determinismE0ELb1ES3_N6thrust23THRUST_200600_302600_NS6detail15normal_iteratorINS9_10device_ptrIxEEEESE_SE_xNS9_10multipliesIxEENS9_8equal_toIxEExEE10hipError_tPvRmT2_T3_T4_T5_mT6_T7_P12ihipStream_tbENKUlT_T0_E_clISt17integral_constantIbLb1EESY_IbLb0EEEEDaSU_SV_EUlSU_E_NS1_11comp_targetILNS1_3genE5ELNS1_11target_archE942ELNS1_3gpuE9ELNS1_3repE0EEENS1_30default_config_static_selectorELNS0_4arch9wavefront6targetE0EEEvT1_,@function
_ZN7rocprim17ROCPRIM_400000_NS6detail17trampoline_kernelINS0_14default_configENS1_27scan_by_key_config_selectorIxxEEZZNS1_16scan_by_key_implILNS1_25lookback_scan_determinismE0ELb1ES3_N6thrust23THRUST_200600_302600_NS6detail15normal_iteratorINS9_10device_ptrIxEEEESE_SE_xNS9_10multipliesIxEENS9_8equal_toIxEExEE10hipError_tPvRmT2_T3_T4_T5_mT6_T7_P12ihipStream_tbENKUlT_T0_E_clISt17integral_constantIbLb1EESY_IbLb0EEEEDaSU_SV_EUlSU_E_NS1_11comp_targetILNS1_3genE5ELNS1_11target_archE942ELNS1_3gpuE9ELNS1_3repE0EEENS1_30default_config_static_selectorELNS0_4arch9wavefront6targetE0EEEvT1_: ; @_ZN7rocprim17ROCPRIM_400000_NS6detail17trampoline_kernelINS0_14default_configENS1_27scan_by_key_config_selectorIxxEEZZNS1_16scan_by_key_implILNS1_25lookback_scan_determinismE0ELb1ES3_N6thrust23THRUST_200600_302600_NS6detail15normal_iteratorINS9_10device_ptrIxEEEESE_SE_xNS9_10multipliesIxEENS9_8equal_toIxEExEE10hipError_tPvRmT2_T3_T4_T5_mT6_T7_P12ihipStream_tbENKUlT_T0_E_clISt17integral_constantIbLb1EESY_IbLb0EEEEDaSU_SV_EUlSU_E_NS1_11comp_targetILNS1_3genE5ELNS1_11target_archE942ELNS1_3gpuE9ELNS1_3repE0EEENS1_30default_config_static_selectorELNS0_4arch9wavefront6targetE0EEEvT1_
; %bb.0:
	.section	.rodata,"a",@progbits
	.p2align	6, 0x0
	.amdhsa_kernel _ZN7rocprim17ROCPRIM_400000_NS6detail17trampoline_kernelINS0_14default_configENS1_27scan_by_key_config_selectorIxxEEZZNS1_16scan_by_key_implILNS1_25lookback_scan_determinismE0ELb1ES3_N6thrust23THRUST_200600_302600_NS6detail15normal_iteratorINS9_10device_ptrIxEEEESE_SE_xNS9_10multipliesIxEENS9_8equal_toIxEExEE10hipError_tPvRmT2_T3_T4_T5_mT6_T7_P12ihipStream_tbENKUlT_T0_E_clISt17integral_constantIbLb1EESY_IbLb0EEEEDaSU_SV_EUlSU_E_NS1_11comp_targetILNS1_3genE5ELNS1_11target_archE942ELNS1_3gpuE9ELNS1_3repE0EEENS1_30default_config_static_selectorELNS0_4arch9wavefront6targetE0EEEvT1_
		.amdhsa_group_segment_fixed_size 0
		.amdhsa_private_segment_fixed_size 0
		.amdhsa_kernarg_size 136
		.amdhsa_user_sgpr_count 6
		.amdhsa_user_sgpr_private_segment_buffer 1
		.amdhsa_user_sgpr_dispatch_ptr 0
		.amdhsa_user_sgpr_queue_ptr 0
		.amdhsa_user_sgpr_kernarg_segment_ptr 1
		.amdhsa_user_sgpr_dispatch_id 0
		.amdhsa_user_sgpr_flat_scratch_init 0
		.amdhsa_user_sgpr_private_segment_size 0
		.amdhsa_wavefront_size32 1
		.amdhsa_uses_dynamic_stack 0
		.amdhsa_system_sgpr_private_segment_wavefront_offset 0
		.amdhsa_system_sgpr_workgroup_id_x 1
		.amdhsa_system_sgpr_workgroup_id_y 0
		.amdhsa_system_sgpr_workgroup_id_z 0
		.amdhsa_system_sgpr_workgroup_info 0
		.amdhsa_system_vgpr_workitem_id 0
		.amdhsa_next_free_vgpr 1
		.amdhsa_next_free_sgpr 1
		.amdhsa_reserve_vcc 0
		.amdhsa_reserve_flat_scratch 0
		.amdhsa_float_round_mode_32 0
		.amdhsa_float_round_mode_16_64 0
		.amdhsa_float_denorm_mode_32 3
		.amdhsa_float_denorm_mode_16_64 3
		.amdhsa_dx10_clamp 1
		.amdhsa_ieee_mode 1
		.amdhsa_fp16_overflow 0
		.amdhsa_workgroup_processor_mode 1
		.amdhsa_memory_ordered 1
		.amdhsa_forward_progress 1
		.amdhsa_shared_vgpr_count 0
		.amdhsa_exception_fp_ieee_invalid_op 0
		.amdhsa_exception_fp_denorm_src 0
		.amdhsa_exception_fp_ieee_div_zero 0
		.amdhsa_exception_fp_ieee_overflow 0
		.amdhsa_exception_fp_ieee_underflow 0
		.amdhsa_exception_fp_ieee_inexact 0
		.amdhsa_exception_int_div_zero 0
	.end_amdhsa_kernel
	.section	.text._ZN7rocprim17ROCPRIM_400000_NS6detail17trampoline_kernelINS0_14default_configENS1_27scan_by_key_config_selectorIxxEEZZNS1_16scan_by_key_implILNS1_25lookback_scan_determinismE0ELb1ES3_N6thrust23THRUST_200600_302600_NS6detail15normal_iteratorINS9_10device_ptrIxEEEESE_SE_xNS9_10multipliesIxEENS9_8equal_toIxEExEE10hipError_tPvRmT2_T3_T4_T5_mT6_T7_P12ihipStream_tbENKUlT_T0_E_clISt17integral_constantIbLb1EESY_IbLb0EEEEDaSU_SV_EUlSU_E_NS1_11comp_targetILNS1_3genE5ELNS1_11target_archE942ELNS1_3gpuE9ELNS1_3repE0EEENS1_30default_config_static_selectorELNS0_4arch9wavefront6targetE0EEEvT1_,"axG",@progbits,_ZN7rocprim17ROCPRIM_400000_NS6detail17trampoline_kernelINS0_14default_configENS1_27scan_by_key_config_selectorIxxEEZZNS1_16scan_by_key_implILNS1_25lookback_scan_determinismE0ELb1ES3_N6thrust23THRUST_200600_302600_NS6detail15normal_iteratorINS9_10device_ptrIxEEEESE_SE_xNS9_10multipliesIxEENS9_8equal_toIxEExEE10hipError_tPvRmT2_T3_T4_T5_mT6_T7_P12ihipStream_tbENKUlT_T0_E_clISt17integral_constantIbLb1EESY_IbLb0EEEEDaSU_SV_EUlSU_E_NS1_11comp_targetILNS1_3genE5ELNS1_11target_archE942ELNS1_3gpuE9ELNS1_3repE0EEENS1_30default_config_static_selectorELNS0_4arch9wavefront6targetE0EEEvT1_,comdat
.Lfunc_end409:
	.size	_ZN7rocprim17ROCPRIM_400000_NS6detail17trampoline_kernelINS0_14default_configENS1_27scan_by_key_config_selectorIxxEEZZNS1_16scan_by_key_implILNS1_25lookback_scan_determinismE0ELb1ES3_N6thrust23THRUST_200600_302600_NS6detail15normal_iteratorINS9_10device_ptrIxEEEESE_SE_xNS9_10multipliesIxEENS9_8equal_toIxEExEE10hipError_tPvRmT2_T3_T4_T5_mT6_T7_P12ihipStream_tbENKUlT_T0_E_clISt17integral_constantIbLb1EESY_IbLb0EEEEDaSU_SV_EUlSU_E_NS1_11comp_targetILNS1_3genE5ELNS1_11target_archE942ELNS1_3gpuE9ELNS1_3repE0EEENS1_30default_config_static_selectorELNS0_4arch9wavefront6targetE0EEEvT1_, .Lfunc_end409-_ZN7rocprim17ROCPRIM_400000_NS6detail17trampoline_kernelINS0_14default_configENS1_27scan_by_key_config_selectorIxxEEZZNS1_16scan_by_key_implILNS1_25lookback_scan_determinismE0ELb1ES3_N6thrust23THRUST_200600_302600_NS6detail15normal_iteratorINS9_10device_ptrIxEEEESE_SE_xNS9_10multipliesIxEENS9_8equal_toIxEExEE10hipError_tPvRmT2_T3_T4_T5_mT6_T7_P12ihipStream_tbENKUlT_T0_E_clISt17integral_constantIbLb1EESY_IbLb0EEEEDaSU_SV_EUlSU_E_NS1_11comp_targetILNS1_3genE5ELNS1_11target_archE942ELNS1_3gpuE9ELNS1_3repE0EEENS1_30default_config_static_selectorELNS0_4arch9wavefront6targetE0EEEvT1_
                                        ; -- End function
	.set _ZN7rocprim17ROCPRIM_400000_NS6detail17trampoline_kernelINS0_14default_configENS1_27scan_by_key_config_selectorIxxEEZZNS1_16scan_by_key_implILNS1_25lookback_scan_determinismE0ELb1ES3_N6thrust23THRUST_200600_302600_NS6detail15normal_iteratorINS9_10device_ptrIxEEEESE_SE_xNS9_10multipliesIxEENS9_8equal_toIxEExEE10hipError_tPvRmT2_T3_T4_T5_mT6_T7_P12ihipStream_tbENKUlT_T0_E_clISt17integral_constantIbLb1EESY_IbLb0EEEEDaSU_SV_EUlSU_E_NS1_11comp_targetILNS1_3genE5ELNS1_11target_archE942ELNS1_3gpuE9ELNS1_3repE0EEENS1_30default_config_static_selectorELNS0_4arch9wavefront6targetE0EEEvT1_.num_vgpr, 0
	.set _ZN7rocprim17ROCPRIM_400000_NS6detail17trampoline_kernelINS0_14default_configENS1_27scan_by_key_config_selectorIxxEEZZNS1_16scan_by_key_implILNS1_25lookback_scan_determinismE0ELb1ES3_N6thrust23THRUST_200600_302600_NS6detail15normal_iteratorINS9_10device_ptrIxEEEESE_SE_xNS9_10multipliesIxEENS9_8equal_toIxEExEE10hipError_tPvRmT2_T3_T4_T5_mT6_T7_P12ihipStream_tbENKUlT_T0_E_clISt17integral_constantIbLb1EESY_IbLb0EEEEDaSU_SV_EUlSU_E_NS1_11comp_targetILNS1_3genE5ELNS1_11target_archE942ELNS1_3gpuE9ELNS1_3repE0EEENS1_30default_config_static_selectorELNS0_4arch9wavefront6targetE0EEEvT1_.num_agpr, 0
	.set _ZN7rocprim17ROCPRIM_400000_NS6detail17trampoline_kernelINS0_14default_configENS1_27scan_by_key_config_selectorIxxEEZZNS1_16scan_by_key_implILNS1_25lookback_scan_determinismE0ELb1ES3_N6thrust23THRUST_200600_302600_NS6detail15normal_iteratorINS9_10device_ptrIxEEEESE_SE_xNS9_10multipliesIxEENS9_8equal_toIxEExEE10hipError_tPvRmT2_T3_T4_T5_mT6_T7_P12ihipStream_tbENKUlT_T0_E_clISt17integral_constantIbLb1EESY_IbLb0EEEEDaSU_SV_EUlSU_E_NS1_11comp_targetILNS1_3genE5ELNS1_11target_archE942ELNS1_3gpuE9ELNS1_3repE0EEENS1_30default_config_static_selectorELNS0_4arch9wavefront6targetE0EEEvT1_.numbered_sgpr, 0
	.set _ZN7rocprim17ROCPRIM_400000_NS6detail17trampoline_kernelINS0_14default_configENS1_27scan_by_key_config_selectorIxxEEZZNS1_16scan_by_key_implILNS1_25lookback_scan_determinismE0ELb1ES3_N6thrust23THRUST_200600_302600_NS6detail15normal_iteratorINS9_10device_ptrIxEEEESE_SE_xNS9_10multipliesIxEENS9_8equal_toIxEExEE10hipError_tPvRmT2_T3_T4_T5_mT6_T7_P12ihipStream_tbENKUlT_T0_E_clISt17integral_constantIbLb1EESY_IbLb0EEEEDaSU_SV_EUlSU_E_NS1_11comp_targetILNS1_3genE5ELNS1_11target_archE942ELNS1_3gpuE9ELNS1_3repE0EEENS1_30default_config_static_selectorELNS0_4arch9wavefront6targetE0EEEvT1_.num_named_barrier, 0
	.set _ZN7rocprim17ROCPRIM_400000_NS6detail17trampoline_kernelINS0_14default_configENS1_27scan_by_key_config_selectorIxxEEZZNS1_16scan_by_key_implILNS1_25lookback_scan_determinismE0ELb1ES3_N6thrust23THRUST_200600_302600_NS6detail15normal_iteratorINS9_10device_ptrIxEEEESE_SE_xNS9_10multipliesIxEENS9_8equal_toIxEExEE10hipError_tPvRmT2_T3_T4_T5_mT6_T7_P12ihipStream_tbENKUlT_T0_E_clISt17integral_constantIbLb1EESY_IbLb0EEEEDaSU_SV_EUlSU_E_NS1_11comp_targetILNS1_3genE5ELNS1_11target_archE942ELNS1_3gpuE9ELNS1_3repE0EEENS1_30default_config_static_selectorELNS0_4arch9wavefront6targetE0EEEvT1_.private_seg_size, 0
	.set _ZN7rocprim17ROCPRIM_400000_NS6detail17trampoline_kernelINS0_14default_configENS1_27scan_by_key_config_selectorIxxEEZZNS1_16scan_by_key_implILNS1_25lookback_scan_determinismE0ELb1ES3_N6thrust23THRUST_200600_302600_NS6detail15normal_iteratorINS9_10device_ptrIxEEEESE_SE_xNS9_10multipliesIxEENS9_8equal_toIxEExEE10hipError_tPvRmT2_T3_T4_T5_mT6_T7_P12ihipStream_tbENKUlT_T0_E_clISt17integral_constantIbLb1EESY_IbLb0EEEEDaSU_SV_EUlSU_E_NS1_11comp_targetILNS1_3genE5ELNS1_11target_archE942ELNS1_3gpuE9ELNS1_3repE0EEENS1_30default_config_static_selectorELNS0_4arch9wavefront6targetE0EEEvT1_.uses_vcc, 0
	.set _ZN7rocprim17ROCPRIM_400000_NS6detail17trampoline_kernelINS0_14default_configENS1_27scan_by_key_config_selectorIxxEEZZNS1_16scan_by_key_implILNS1_25lookback_scan_determinismE0ELb1ES3_N6thrust23THRUST_200600_302600_NS6detail15normal_iteratorINS9_10device_ptrIxEEEESE_SE_xNS9_10multipliesIxEENS9_8equal_toIxEExEE10hipError_tPvRmT2_T3_T4_T5_mT6_T7_P12ihipStream_tbENKUlT_T0_E_clISt17integral_constantIbLb1EESY_IbLb0EEEEDaSU_SV_EUlSU_E_NS1_11comp_targetILNS1_3genE5ELNS1_11target_archE942ELNS1_3gpuE9ELNS1_3repE0EEENS1_30default_config_static_selectorELNS0_4arch9wavefront6targetE0EEEvT1_.uses_flat_scratch, 0
	.set _ZN7rocprim17ROCPRIM_400000_NS6detail17trampoline_kernelINS0_14default_configENS1_27scan_by_key_config_selectorIxxEEZZNS1_16scan_by_key_implILNS1_25lookback_scan_determinismE0ELb1ES3_N6thrust23THRUST_200600_302600_NS6detail15normal_iteratorINS9_10device_ptrIxEEEESE_SE_xNS9_10multipliesIxEENS9_8equal_toIxEExEE10hipError_tPvRmT2_T3_T4_T5_mT6_T7_P12ihipStream_tbENKUlT_T0_E_clISt17integral_constantIbLb1EESY_IbLb0EEEEDaSU_SV_EUlSU_E_NS1_11comp_targetILNS1_3genE5ELNS1_11target_archE942ELNS1_3gpuE9ELNS1_3repE0EEENS1_30default_config_static_selectorELNS0_4arch9wavefront6targetE0EEEvT1_.has_dyn_sized_stack, 0
	.set _ZN7rocprim17ROCPRIM_400000_NS6detail17trampoline_kernelINS0_14default_configENS1_27scan_by_key_config_selectorIxxEEZZNS1_16scan_by_key_implILNS1_25lookback_scan_determinismE0ELb1ES3_N6thrust23THRUST_200600_302600_NS6detail15normal_iteratorINS9_10device_ptrIxEEEESE_SE_xNS9_10multipliesIxEENS9_8equal_toIxEExEE10hipError_tPvRmT2_T3_T4_T5_mT6_T7_P12ihipStream_tbENKUlT_T0_E_clISt17integral_constantIbLb1EESY_IbLb0EEEEDaSU_SV_EUlSU_E_NS1_11comp_targetILNS1_3genE5ELNS1_11target_archE942ELNS1_3gpuE9ELNS1_3repE0EEENS1_30default_config_static_selectorELNS0_4arch9wavefront6targetE0EEEvT1_.has_recursion, 0
	.set _ZN7rocprim17ROCPRIM_400000_NS6detail17trampoline_kernelINS0_14default_configENS1_27scan_by_key_config_selectorIxxEEZZNS1_16scan_by_key_implILNS1_25lookback_scan_determinismE0ELb1ES3_N6thrust23THRUST_200600_302600_NS6detail15normal_iteratorINS9_10device_ptrIxEEEESE_SE_xNS9_10multipliesIxEENS9_8equal_toIxEExEE10hipError_tPvRmT2_T3_T4_T5_mT6_T7_P12ihipStream_tbENKUlT_T0_E_clISt17integral_constantIbLb1EESY_IbLb0EEEEDaSU_SV_EUlSU_E_NS1_11comp_targetILNS1_3genE5ELNS1_11target_archE942ELNS1_3gpuE9ELNS1_3repE0EEENS1_30default_config_static_selectorELNS0_4arch9wavefront6targetE0EEEvT1_.has_indirect_call, 0
	.section	.AMDGPU.csdata,"",@progbits
; Kernel info:
; codeLenInByte = 0
; TotalNumSgprs: 0
; NumVgprs: 0
; ScratchSize: 0
; MemoryBound: 0
; FloatMode: 240
; IeeeMode: 1
; LDSByteSize: 0 bytes/workgroup (compile time only)
; SGPRBlocks: 0
; VGPRBlocks: 0
; NumSGPRsForWavesPerEU: 1
; NumVGPRsForWavesPerEU: 1
; Occupancy: 16
; WaveLimiterHint : 0
; COMPUTE_PGM_RSRC2:SCRATCH_EN: 0
; COMPUTE_PGM_RSRC2:USER_SGPR: 6
; COMPUTE_PGM_RSRC2:TRAP_HANDLER: 0
; COMPUTE_PGM_RSRC2:TGID_X_EN: 1
; COMPUTE_PGM_RSRC2:TGID_Y_EN: 0
; COMPUTE_PGM_RSRC2:TGID_Z_EN: 0
; COMPUTE_PGM_RSRC2:TIDIG_COMP_CNT: 0
	.section	.text._ZN7rocprim17ROCPRIM_400000_NS6detail17trampoline_kernelINS0_14default_configENS1_27scan_by_key_config_selectorIxxEEZZNS1_16scan_by_key_implILNS1_25lookback_scan_determinismE0ELb1ES3_N6thrust23THRUST_200600_302600_NS6detail15normal_iteratorINS9_10device_ptrIxEEEESE_SE_xNS9_10multipliesIxEENS9_8equal_toIxEExEE10hipError_tPvRmT2_T3_T4_T5_mT6_T7_P12ihipStream_tbENKUlT_T0_E_clISt17integral_constantIbLb1EESY_IbLb0EEEEDaSU_SV_EUlSU_E_NS1_11comp_targetILNS1_3genE4ELNS1_11target_archE910ELNS1_3gpuE8ELNS1_3repE0EEENS1_30default_config_static_selectorELNS0_4arch9wavefront6targetE0EEEvT1_,"axG",@progbits,_ZN7rocprim17ROCPRIM_400000_NS6detail17trampoline_kernelINS0_14default_configENS1_27scan_by_key_config_selectorIxxEEZZNS1_16scan_by_key_implILNS1_25lookback_scan_determinismE0ELb1ES3_N6thrust23THRUST_200600_302600_NS6detail15normal_iteratorINS9_10device_ptrIxEEEESE_SE_xNS9_10multipliesIxEENS9_8equal_toIxEExEE10hipError_tPvRmT2_T3_T4_T5_mT6_T7_P12ihipStream_tbENKUlT_T0_E_clISt17integral_constantIbLb1EESY_IbLb0EEEEDaSU_SV_EUlSU_E_NS1_11comp_targetILNS1_3genE4ELNS1_11target_archE910ELNS1_3gpuE8ELNS1_3repE0EEENS1_30default_config_static_selectorELNS0_4arch9wavefront6targetE0EEEvT1_,comdat
	.protected	_ZN7rocprim17ROCPRIM_400000_NS6detail17trampoline_kernelINS0_14default_configENS1_27scan_by_key_config_selectorIxxEEZZNS1_16scan_by_key_implILNS1_25lookback_scan_determinismE0ELb1ES3_N6thrust23THRUST_200600_302600_NS6detail15normal_iteratorINS9_10device_ptrIxEEEESE_SE_xNS9_10multipliesIxEENS9_8equal_toIxEExEE10hipError_tPvRmT2_T3_T4_T5_mT6_T7_P12ihipStream_tbENKUlT_T0_E_clISt17integral_constantIbLb1EESY_IbLb0EEEEDaSU_SV_EUlSU_E_NS1_11comp_targetILNS1_3genE4ELNS1_11target_archE910ELNS1_3gpuE8ELNS1_3repE0EEENS1_30default_config_static_selectorELNS0_4arch9wavefront6targetE0EEEvT1_ ; -- Begin function _ZN7rocprim17ROCPRIM_400000_NS6detail17trampoline_kernelINS0_14default_configENS1_27scan_by_key_config_selectorIxxEEZZNS1_16scan_by_key_implILNS1_25lookback_scan_determinismE0ELb1ES3_N6thrust23THRUST_200600_302600_NS6detail15normal_iteratorINS9_10device_ptrIxEEEESE_SE_xNS9_10multipliesIxEENS9_8equal_toIxEExEE10hipError_tPvRmT2_T3_T4_T5_mT6_T7_P12ihipStream_tbENKUlT_T0_E_clISt17integral_constantIbLb1EESY_IbLb0EEEEDaSU_SV_EUlSU_E_NS1_11comp_targetILNS1_3genE4ELNS1_11target_archE910ELNS1_3gpuE8ELNS1_3repE0EEENS1_30default_config_static_selectorELNS0_4arch9wavefront6targetE0EEEvT1_
	.globl	_ZN7rocprim17ROCPRIM_400000_NS6detail17trampoline_kernelINS0_14default_configENS1_27scan_by_key_config_selectorIxxEEZZNS1_16scan_by_key_implILNS1_25lookback_scan_determinismE0ELb1ES3_N6thrust23THRUST_200600_302600_NS6detail15normal_iteratorINS9_10device_ptrIxEEEESE_SE_xNS9_10multipliesIxEENS9_8equal_toIxEExEE10hipError_tPvRmT2_T3_T4_T5_mT6_T7_P12ihipStream_tbENKUlT_T0_E_clISt17integral_constantIbLb1EESY_IbLb0EEEEDaSU_SV_EUlSU_E_NS1_11comp_targetILNS1_3genE4ELNS1_11target_archE910ELNS1_3gpuE8ELNS1_3repE0EEENS1_30default_config_static_selectorELNS0_4arch9wavefront6targetE0EEEvT1_
	.p2align	8
	.type	_ZN7rocprim17ROCPRIM_400000_NS6detail17trampoline_kernelINS0_14default_configENS1_27scan_by_key_config_selectorIxxEEZZNS1_16scan_by_key_implILNS1_25lookback_scan_determinismE0ELb1ES3_N6thrust23THRUST_200600_302600_NS6detail15normal_iteratorINS9_10device_ptrIxEEEESE_SE_xNS9_10multipliesIxEENS9_8equal_toIxEExEE10hipError_tPvRmT2_T3_T4_T5_mT6_T7_P12ihipStream_tbENKUlT_T0_E_clISt17integral_constantIbLb1EESY_IbLb0EEEEDaSU_SV_EUlSU_E_NS1_11comp_targetILNS1_3genE4ELNS1_11target_archE910ELNS1_3gpuE8ELNS1_3repE0EEENS1_30default_config_static_selectorELNS0_4arch9wavefront6targetE0EEEvT1_,@function
_ZN7rocprim17ROCPRIM_400000_NS6detail17trampoline_kernelINS0_14default_configENS1_27scan_by_key_config_selectorIxxEEZZNS1_16scan_by_key_implILNS1_25lookback_scan_determinismE0ELb1ES3_N6thrust23THRUST_200600_302600_NS6detail15normal_iteratorINS9_10device_ptrIxEEEESE_SE_xNS9_10multipliesIxEENS9_8equal_toIxEExEE10hipError_tPvRmT2_T3_T4_T5_mT6_T7_P12ihipStream_tbENKUlT_T0_E_clISt17integral_constantIbLb1EESY_IbLb0EEEEDaSU_SV_EUlSU_E_NS1_11comp_targetILNS1_3genE4ELNS1_11target_archE910ELNS1_3gpuE8ELNS1_3repE0EEENS1_30default_config_static_selectorELNS0_4arch9wavefront6targetE0EEEvT1_: ; @_ZN7rocprim17ROCPRIM_400000_NS6detail17trampoline_kernelINS0_14default_configENS1_27scan_by_key_config_selectorIxxEEZZNS1_16scan_by_key_implILNS1_25lookback_scan_determinismE0ELb1ES3_N6thrust23THRUST_200600_302600_NS6detail15normal_iteratorINS9_10device_ptrIxEEEESE_SE_xNS9_10multipliesIxEENS9_8equal_toIxEExEE10hipError_tPvRmT2_T3_T4_T5_mT6_T7_P12ihipStream_tbENKUlT_T0_E_clISt17integral_constantIbLb1EESY_IbLb0EEEEDaSU_SV_EUlSU_E_NS1_11comp_targetILNS1_3genE4ELNS1_11target_archE910ELNS1_3gpuE8ELNS1_3repE0EEENS1_30default_config_static_selectorELNS0_4arch9wavefront6targetE0EEEvT1_
; %bb.0:
	.section	.rodata,"a",@progbits
	.p2align	6, 0x0
	.amdhsa_kernel _ZN7rocprim17ROCPRIM_400000_NS6detail17trampoline_kernelINS0_14default_configENS1_27scan_by_key_config_selectorIxxEEZZNS1_16scan_by_key_implILNS1_25lookback_scan_determinismE0ELb1ES3_N6thrust23THRUST_200600_302600_NS6detail15normal_iteratorINS9_10device_ptrIxEEEESE_SE_xNS9_10multipliesIxEENS9_8equal_toIxEExEE10hipError_tPvRmT2_T3_T4_T5_mT6_T7_P12ihipStream_tbENKUlT_T0_E_clISt17integral_constantIbLb1EESY_IbLb0EEEEDaSU_SV_EUlSU_E_NS1_11comp_targetILNS1_3genE4ELNS1_11target_archE910ELNS1_3gpuE8ELNS1_3repE0EEENS1_30default_config_static_selectorELNS0_4arch9wavefront6targetE0EEEvT1_
		.amdhsa_group_segment_fixed_size 0
		.amdhsa_private_segment_fixed_size 0
		.amdhsa_kernarg_size 136
		.amdhsa_user_sgpr_count 6
		.amdhsa_user_sgpr_private_segment_buffer 1
		.amdhsa_user_sgpr_dispatch_ptr 0
		.amdhsa_user_sgpr_queue_ptr 0
		.amdhsa_user_sgpr_kernarg_segment_ptr 1
		.amdhsa_user_sgpr_dispatch_id 0
		.amdhsa_user_sgpr_flat_scratch_init 0
		.amdhsa_user_sgpr_private_segment_size 0
		.amdhsa_wavefront_size32 1
		.amdhsa_uses_dynamic_stack 0
		.amdhsa_system_sgpr_private_segment_wavefront_offset 0
		.amdhsa_system_sgpr_workgroup_id_x 1
		.amdhsa_system_sgpr_workgroup_id_y 0
		.amdhsa_system_sgpr_workgroup_id_z 0
		.amdhsa_system_sgpr_workgroup_info 0
		.amdhsa_system_vgpr_workitem_id 0
		.amdhsa_next_free_vgpr 1
		.amdhsa_next_free_sgpr 1
		.amdhsa_reserve_vcc 0
		.amdhsa_reserve_flat_scratch 0
		.amdhsa_float_round_mode_32 0
		.amdhsa_float_round_mode_16_64 0
		.amdhsa_float_denorm_mode_32 3
		.amdhsa_float_denorm_mode_16_64 3
		.amdhsa_dx10_clamp 1
		.amdhsa_ieee_mode 1
		.amdhsa_fp16_overflow 0
		.amdhsa_workgroup_processor_mode 1
		.amdhsa_memory_ordered 1
		.amdhsa_forward_progress 1
		.amdhsa_shared_vgpr_count 0
		.amdhsa_exception_fp_ieee_invalid_op 0
		.amdhsa_exception_fp_denorm_src 0
		.amdhsa_exception_fp_ieee_div_zero 0
		.amdhsa_exception_fp_ieee_overflow 0
		.amdhsa_exception_fp_ieee_underflow 0
		.amdhsa_exception_fp_ieee_inexact 0
		.amdhsa_exception_int_div_zero 0
	.end_amdhsa_kernel
	.section	.text._ZN7rocprim17ROCPRIM_400000_NS6detail17trampoline_kernelINS0_14default_configENS1_27scan_by_key_config_selectorIxxEEZZNS1_16scan_by_key_implILNS1_25lookback_scan_determinismE0ELb1ES3_N6thrust23THRUST_200600_302600_NS6detail15normal_iteratorINS9_10device_ptrIxEEEESE_SE_xNS9_10multipliesIxEENS9_8equal_toIxEExEE10hipError_tPvRmT2_T3_T4_T5_mT6_T7_P12ihipStream_tbENKUlT_T0_E_clISt17integral_constantIbLb1EESY_IbLb0EEEEDaSU_SV_EUlSU_E_NS1_11comp_targetILNS1_3genE4ELNS1_11target_archE910ELNS1_3gpuE8ELNS1_3repE0EEENS1_30default_config_static_selectorELNS0_4arch9wavefront6targetE0EEEvT1_,"axG",@progbits,_ZN7rocprim17ROCPRIM_400000_NS6detail17trampoline_kernelINS0_14default_configENS1_27scan_by_key_config_selectorIxxEEZZNS1_16scan_by_key_implILNS1_25lookback_scan_determinismE0ELb1ES3_N6thrust23THRUST_200600_302600_NS6detail15normal_iteratorINS9_10device_ptrIxEEEESE_SE_xNS9_10multipliesIxEENS9_8equal_toIxEExEE10hipError_tPvRmT2_T3_T4_T5_mT6_T7_P12ihipStream_tbENKUlT_T0_E_clISt17integral_constantIbLb1EESY_IbLb0EEEEDaSU_SV_EUlSU_E_NS1_11comp_targetILNS1_3genE4ELNS1_11target_archE910ELNS1_3gpuE8ELNS1_3repE0EEENS1_30default_config_static_selectorELNS0_4arch9wavefront6targetE0EEEvT1_,comdat
.Lfunc_end410:
	.size	_ZN7rocprim17ROCPRIM_400000_NS6detail17trampoline_kernelINS0_14default_configENS1_27scan_by_key_config_selectorIxxEEZZNS1_16scan_by_key_implILNS1_25lookback_scan_determinismE0ELb1ES3_N6thrust23THRUST_200600_302600_NS6detail15normal_iteratorINS9_10device_ptrIxEEEESE_SE_xNS9_10multipliesIxEENS9_8equal_toIxEExEE10hipError_tPvRmT2_T3_T4_T5_mT6_T7_P12ihipStream_tbENKUlT_T0_E_clISt17integral_constantIbLb1EESY_IbLb0EEEEDaSU_SV_EUlSU_E_NS1_11comp_targetILNS1_3genE4ELNS1_11target_archE910ELNS1_3gpuE8ELNS1_3repE0EEENS1_30default_config_static_selectorELNS0_4arch9wavefront6targetE0EEEvT1_, .Lfunc_end410-_ZN7rocprim17ROCPRIM_400000_NS6detail17trampoline_kernelINS0_14default_configENS1_27scan_by_key_config_selectorIxxEEZZNS1_16scan_by_key_implILNS1_25lookback_scan_determinismE0ELb1ES3_N6thrust23THRUST_200600_302600_NS6detail15normal_iteratorINS9_10device_ptrIxEEEESE_SE_xNS9_10multipliesIxEENS9_8equal_toIxEExEE10hipError_tPvRmT2_T3_T4_T5_mT6_T7_P12ihipStream_tbENKUlT_T0_E_clISt17integral_constantIbLb1EESY_IbLb0EEEEDaSU_SV_EUlSU_E_NS1_11comp_targetILNS1_3genE4ELNS1_11target_archE910ELNS1_3gpuE8ELNS1_3repE0EEENS1_30default_config_static_selectorELNS0_4arch9wavefront6targetE0EEEvT1_
                                        ; -- End function
	.set _ZN7rocprim17ROCPRIM_400000_NS6detail17trampoline_kernelINS0_14default_configENS1_27scan_by_key_config_selectorIxxEEZZNS1_16scan_by_key_implILNS1_25lookback_scan_determinismE0ELb1ES3_N6thrust23THRUST_200600_302600_NS6detail15normal_iteratorINS9_10device_ptrIxEEEESE_SE_xNS9_10multipliesIxEENS9_8equal_toIxEExEE10hipError_tPvRmT2_T3_T4_T5_mT6_T7_P12ihipStream_tbENKUlT_T0_E_clISt17integral_constantIbLb1EESY_IbLb0EEEEDaSU_SV_EUlSU_E_NS1_11comp_targetILNS1_3genE4ELNS1_11target_archE910ELNS1_3gpuE8ELNS1_3repE0EEENS1_30default_config_static_selectorELNS0_4arch9wavefront6targetE0EEEvT1_.num_vgpr, 0
	.set _ZN7rocprim17ROCPRIM_400000_NS6detail17trampoline_kernelINS0_14default_configENS1_27scan_by_key_config_selectorIxxEEZZNS1_16scan_by_key_implILNS1_25lookback_scan_determinismE0ELb1ES3_N6thrust23THRUST_200600_302600_NS6detail15normal_iteratorINS9_10device_ptrIxEEEESE_SE_xNS9_10multipliesIxEENS9_8equal_toIxEExEE10hipError_tPvRmT2_T3_T4_T5_mT6_T7_P12ihipStream_tbENKUlT_T0_E_clISt17integral_constantIbLb1EESY_IbLb0EEEEDaSU_SV_EUlSU_E_NS1_11comp_targetILNS1_3genE4ELNS1_11target_archE910ELNS1_3gpuE8ELNS1_3repE0EEENS1_30default_config_static_selectorELNS0_4arch9wavefront6targetE0EEEvT1_.num_agpr, 0
	.set _ZN7rocprim17ROCPRIM_400000_NS6detail17trampoline_kernelINS0_14default_configENS1_27scan_by_key_config_selectorIxxEEZZNS1_16scan_by_key_implILNS1_25lookback_scan_determinismE0ELb1ES3_N6thrust23THRUST_200600_302600_NS6detail15normal_iteratorINS9_10device_ptrIxEEEESE_SE_xNS9_10multipliesIxEENS9_8equal_toIxEExEE10hipError_tPvRmT2_T3_T4_T5_mT6_T7_P12ihipStream_tbENKUlT_T0_E_clISt17integral_constantIbLb1EESY_IbLb0EEEEDaSU_SV_EUlSU_E_NS1_11comp_targetILNS1_3genE4ELNS1_11target_archE910ELNS1_3gpuE8ELNS1_3repE0EEENS1_30default_config_static_selectorELNS0_4arch9wavefront6targetE0EEEvT1_.numbered_sgpr, 0
	.set _ZN7rocprim17ROCPRIM_400000_NS6detail17trampoline_kernelINS0_14default_configENS1_27scan_by_key_config_selectorIxxEEZZNS1_16scan_by_key_implILNS1_25lookback_scan_determinismE0ELb1ES3_N6thrust23THRUST_200600_302600_NS6detail15normal_iteratorINS9_10device_ptrIxEEEESE_SE_xNS9_10multipliesIxEENS9_8equal_toIxEExEE10hipError_tPvRmT2_T3_T4_T5_mT6_T7_P12ihipStream_tbENKUlT_T0_E_clISt17integral_constantIbLb1EESY_IbLb0EEEEDaSU_SV_EUlSU_E_NS1_11comp_targetILNS1_3genE4ELNS1_11target_archE910ELNS1_3gpuE8ELNS1_3repE0EEENS1_30default_config_static_selectorELNS0_4arch9wavefront6targetE0EEEvT1_.num_named_barrier, 0
	.set _ZN7rocprim17ROCPRIM_400000_NS6detail17trampoline_kernelINS0_14default_configENS1_27scan_by_key_config_selectorIxxEEZZNS1_16scan_by_key_implILNS1_25lookback_scan_determinismE0ELb1ES3_N6thrust23THRUST_200600_302600_NS6detail15normal_iteratorINS9_10device_ptrIxEEEESE_SE_xNS9_10multipliesIxEENS9_8equal_toIxEExEE10hipError_tPvRmT2_T3_T4_T5_mT6_T7_P12ihipStream_tbENKUlT_T0_E_clISt17integral_constantIbLb1EESY_IbLb0EEEEDaSU_SV_EUlSU_E_NS1_11comp_targetILNS1_3genE4ELNS1_11target_archE910ELNS1_3gpuE8ELNS1_3repE0EEENS1_30default_config_static_selectorELNS0_4arch9wavefront6targetE0EEEvT1_.private_seg_size, 0
	.set _ZN7rocprim17ROCPRIM_400000_NS6detail17trampoline_kernelINS0_14default_configENS1_27scan_by_key_config_selectorIxxEEZZNS1_16scan_by_key_implILNS1_25lookback_scan_determinismE0ELb1ES3_N6thrust23THRUST_200600_302600_NS6detail15normal_iteratorINS9_10device_ptrIxEEEESE_SE_xNS9_10multipliesIxEENS9_8equal_toIxEExEE10hipError_tPvRmT2_T3_T4_T5_mT6_T7_P12ihipStream_tbENKUlT_T0_E_clISt17integral_constantIbLb1EESY_IbLb0EEEEDaSU_SV_EUlSU_E_NS1_11comp_targetILNS1_3genE4ELNS1_11target_archE910ELNS1_3gpuE8ELNS1_3repE0EEENS1_30default_config_static_selectorELNS0_4arch9wavefront6targetE0EEEvT1_.uses_vcc, 0
	.set _ZN7rocprim17ROCPRIM_400000_NS6detail17trampoline_kernelINS0_14default_configENS1_27scan_by_key_config_selectorIxxEEZZNS1_16scan_by_key_implILNS1_25lookback_scan_determinismE0ELb1ES3_N6thrust23THRUST_200600_302600_NS6detail15normal_iteratorINS9_10device_ptrIxEEEESE_SE_xNS9_10multipliesIxEENS9_8equal_toIxEExEE10hipError_tPvRmT2_T3_T4_T5_mT6_T7_P12ihipStream_tbENKUlT_T0_E_clISt17integral_constantIbLb1EESY_IbLb0EEEEDaSU_SV_EUlSU_E_NS1_11comp_targetILNS1_3genE4ELNS1_11target_archE910ELNS1_3gpuE8ELNS1_3repE0EEENS1_30default_config_static_selectorELNS0_4arch9wavefront6targetE0EEEvT1_.uses_flat_scratch, 0
	.set _ZN7rocprim17ROCPRIM_400000_NS6detail17trampoline_kernelINS0_14default_configENS1_27scan_by_key_config_selectorIxxEEZZNS1_16scan_by_key_implILNS1_25lookback_scan_determinismE0ELb1ES3_N6thrust23THRUST_200600_302600_NS6detail15normal_iteratorINS9_10device_ptrIxEEEESE_SE_xNS9_10multipliesIxEENS9_8equal_toIxEExEE10hipError_tPvRmT2_T3_T4_T5_mT6_T7_P12ihipStream_tbENKUlT_T0_E_clISt17integral_constantIbLb1EESY_IbLb0EEEEDaSU_SV_EUlSU_E_NS1_11comp_targetILNS1_3genE4ELNS1_11target_archE910ELNS1_3gpuE8ELNS1_3repE0EEENS1_30default_config_static_selectorELNS0_4arch9wavefront6targetE0EEEvT1_.has_dyn_sized_stack, 0
	.set _ZN7rocprim17ROCPRIM_400000_NS6detail17trampoline_kernelINS0_14default_configENS1_27scan_by_key_config_selectorIxxEEZZNS1_16scan_by_key_implILNS1_25lookback_scan_determinismE0ELb1ES3_N6thrust23THRUST_200600_302600_NS6detail15normal_iteratorINS9_10device_ptrIxEEEESE_SE_xNS9_10multipliesIxEENS9_8equal_toIxEExEE10hipError_tPvRmT2_T3_T4_T5_mT6_T7_P12ihipStream_tbENKUlT_T0_E_clISt17integral_constantIbLb1EESY_IbLb0EEEEDaSU_SV_EUlSU_E_NS1_11comp_targetILNS1_3genE4ELNS1_11target_archE910ELNS1_3gpuE8ELNS1_3repE0EEENS1_30default_config_static_selectorELNS0_4arch9wavefront6targetE0EEEvT1_.has_recursion, 0
	.set _ZN7rocprim17ROCPRIM_400000_NS6detail17trampoline_kernelINS0_14default_configENS1_27scan_by_key_config_selectorIxxEEZZNS1_16scan_by_key_implILNS1_25lookback_scan_determinismE0ELb1ES3_N6thrust23THRUST_200600_302600_NS6detail15normal_iteratorINS9_10device_ptrIxEEEESE_SE_xNS9_10multipliesIxEENS9_8equal_toIxEExEE10hipError_tPvRmT2_T3_T4_T5_mT6_T7_P12ihipStream_tbENKUlT_T0_E_clISt17integral_constantIbLb1EESY_IbLb0EEEEDaSU_SV_EUlSU_E_NS1_11comp_targetILNS1_3genE4ELNS1_11target_archE910ELNS1_3gpuE8ELNS1_3repE0EEENS1_30default_config_static_selectorELNS0_4arch9wavefront6targetE0EEEvT1_.has_indirect_call, 0
	.section	.AMDGPU.csdata,"",@progbits
; Kernel info:
; codeLenInByte = 0
; TotalNumSgprs: 0
; NumVgprs: 0
; ScratchSize: 0
; MemoryBound: 0
; FloatMode: 240
; IeeeMode: 1
; LDSByteSize: 0 bytes/workgroup (compile time only)
; SGPRBlocks: 0
; VGPRBlocks: 0
; NumSGPRsForWavesPerEU: 1
; NumVGPRsForWavesPerEU: 1
; Occupancy: 16
; WaveLimiterHint : 0
; COMPUTE_PGM_RSRC2:SCRATCH_EN: 0
; COMPUTE_PGM_RSRC2:USER_SGPR: 6
; COMPUTE_PGM_RSRC2:TRAP_HANDLER: 0
; COMPUTE_PGM_RSRC2:TGID_X_EN: 1
; COMPUTE_PGM_RSRC2:TGID_Y_EN: 0
; COMPUTE_PGM_RSRC2:TGID_Z_EN: 0
; COMPUTE_PGM_RSRC2:TIDIG_COMP_CNT: 0
	.section	.text._ZN7rocprim17ROCPRIM_400000_NS6detail17trampoline_kernelINS0_14default_configENS1_27scan_by_key_config_selectorIxxEEZZNS1_16scan_by_key_implILNS1_25lookback_scan_determinismE0ELb1ES3_N6thrust23THRUST_200600_302600_NS6detail15normal_iteratorINS9_10device_ptrIxEEEESE_SE_xNS9_10multipliesIxEENS9_8equal_toIxEExEE10hipError_tPvRmT2_T3_T4_T5_mT6_T7_P12ihipStream_tbENKUlT_T0_E_clISt17integral_constantIbLb1EESY_IbLb0EEEEDaSU_SV_EUlSU_E_NS1_11comp_targetILNS1_3genE3ELNS1_11target_archE908ELNS1_3gpuE7ELNS1_3repE0EEENS1_30default_config_static_selectorELNS0_4arch9wavefront6targetE0EEEvT1_,"axG",@progbits,_ZN7rocprim17ROCPRIM_400000_NS6detail17trampoline_kernelINS0_14default_configENS1_27scan_by_key_config_selectorIxxEEZZNS1_16scan_by_key_implILNS1_25lookback_scan_determinismE0ELb1ES3_N6thrust23THRUST_200600_302600_NS6detail15normal_iteratorINS9_10device_ptrIxEEEESE_SE_xNS9_10multipliesIxEENS9_8equal_toIxEExEE10hipError_tPvRmT2_T3_T4_T5_mT6_T7_P12ihipStream_tbENKUlT_T0_E_clISt17integral_constantIbLb1EESY_IbLb0EEEEDaSU_SV_EUlSU_E_NS1_11comp_targetILNS1_3genE3ELNS1_11target_archE908ELNS1_3gpuE7ELNS1_3repE0EEENS1_30default_config_static_selectorELNS0_4arch9wavefront6targetE0EEEvT1_,comdat
	.protected	_ZN7rocprim17ROCPRIM_400000_NS6detail17trampoline_kernelINS0_14default_configENS1_27scan_by_key_config_selectorIxxEEZZNS1_16scan_by_key_implILNS1_25lookback_scan_determinismE0ELb1ES3_N6thrust23THRUST_200600_302600_NS6detail15normal_iteratorINS9_10device_ptrIxEEEESE_SE_xNS9_10multipliesIxEENS9_8equal_toIxEExEE10hipError_tPvRmT2_T3_T4_T5_mT6_T7_P12ihipStream_tbENKUlT_T0_E_clISt17integral_constantIbLb1EESY_IbLb0EEEEDaSU_SV_EUlSU_E_NS1_11comp_targetILNS1_3genE3ELNS1_11target_archE908ELNS1_3gpuE7ELNS1_3repE0EEENS1_30default_config_static_selectorELNS0_4arch9wavefront6targetE0EEEvT1_ ; -- Begin function _ZN7rocprim17ROCPRIM_400000_NS6detail17trampoline_kernelINS0_14default_configENS1_27scan_by_key_config_selectorIxxEEZZNS1_16scan_by_key_implILNS1_25lookback_scan_determinismE0ELb1ES3_N6thrust23THRUST_200600_302600_NS6detail15normal_iteratorINS9_10device_ptrIxEEEESE_SE_xNS9_10multipliesIxEENS9_8equal_toIxEExEE10hipError_tPvRmT2_T3_T4_T5_mT6_T7_P12ihipStream_tbENKUlT_T0_E_clISt17integral_constantIbLb1EESY_IbLb0EEEEDaSU_SV_EUlSU_E_NS1_11comp_targetILNS1_3genE3ELNS1_11target_archE908ELNS1_3gpuE7ELNS1_3repE0EEENS1_30default_config_static_selectorELNS0_4arch9wavefront6targetE0EEEvT1_
	.globl	_ZN7rocprim17ROCPRIM_400000_NS6detail17trampoline_kernelINS0_14default_configENS1_27scan_by_key_config_selectorIxxEEZZNS1_16scan_by_key_implILNS1_25lookback_scan_determinismE0ELb1ES3_N6thrust23THRUST_200600_302600_NS6detail15normal_iteratorINS9_10device_ptrIxEEEESE_SE_xNS9_10multipliesIxEENS9_8equal_toIxEExEE10hipError_tPvRmT2_T3_T4_T5_mT6_T7_P12ihipStream_tbENKUlT_T0_E_clISt17integral_constantIbLb1EESY_IbLb0EEEEDaSU_SV_EUlSU_E_NS1_11comp_targetILNS1_3genE3ELNS1_11target_archE908ELNS1_3gpuE7ELNS1_3repE0EEENS1_30default_config_static_selectorELNS0_4arch9wavefront6targetE0EEEvT1_
	.p2align	8
	.type	_ZN7rocprim17ROCPRIM_400000_NS6detail17trampoline_kernelINS0_14default_configENS1_27scan_by_key_config_selectorIxxEEZZNS1_16scan_by_key_implILNS1_25lookback_scan_determinismE0ELb1ES3_N6thrust23THRUST_200600_302600_NS6detail15normal_iteratorINS9_10device_ptrIxEEEESE_SE_xNS9_10multipliesIxEENS9_8equal_toIxEExEE10hipError_tPvRmT2_T3_T4_T5_mT6_T7_P12ihipStream_tbENKUlT_T0_E_clISt17integral_constantIbLb1EESY_IbLb0EEEEDaSU_SV_EUlSU_E_NS1_11comp_targetILNS1_3genE3ELNS1_11target_archE908ELNS1_3gpuE7ELNS1_3repE0EEENS1_30default_config_static_selectorELNS0_4arch9wavefront6targetE0EEEvT1_,@function
_ZN7rocprim17ROCPRIM_400000_NS6detail17trampoline_kernelINS0_14default_configENS1_27scan_by_key_config_selectorIxxEEZZNS1_16scan_by_key_implILNS1_25lookback_scan_determinismE0ELb1ES3_N6thrust23THRUST_200600_302600_NS6detail15normal_iteratorINS9_10device_ptrIxEEEESE_SE_xNS9_10multipliesIxEENS9_8equal_toIxEExEE10hipError_tPvRmT2_T3_T4_T5_mT6_T7_P12ihipStream_tbENKUlT_T0_E_clISt17integral_constantIbLb1EESY_IbLb0EEEEDaSU_SV_EUlSU_E_NS1_11comp_targetILNS1_3genE3ELNS1_11target_archE908ELNS1_3gpuE7ELNS1_3repE0EEENS1_30default_config_static_selectorELNS0_4arch9wavefront6targetE0EEEvT1_: ; @_ZN7rocprim17ROCPRIM_400000_NS6detail17trampoline_kernelINS0_14default_configENS1_27scan_by_key_config_selectorIxxEEZZNS1_16scan_by_key_implILNS1_25lookback_scan_determinismE0ELb1ES3_N6thrust23THRUST_200600_302600_NS6detail15normal_iteratorINS9_10device_ptrIxEEEESE_SE_xNS9_10multipliesIxEENS9_8equal_toIxEExEE10hipError_tPvRmT2_T3_T4_T5_mT6_T7_P12ihipStream_tbENKUlT_T0_E_clISt17integral_constantIbLb1EESY_IbLb0EEEEDaSU_SV_EUlSU_E_NS1_11comp_targetILNS1_3genE3ELNS1_11target_archE908ELNS1_3gpuE7ELNS1_3repE0EEENS1_30default_config_static_selectorELNS0_4arch9wavefront6targetE0EEEvT1_
; %bb.0:
	.section	.rodata,"a",@progbits
	.p2align	6, 0x0
	.amdhsa_kernel _ZN7rocprim17ROCPRIM_400000_NS6detail17trampoline_kernelINS0_14default_configENS1_27scan_by_key_config_selectorIxxEEZZNS1_16scan_by_key_implILNS1_25lookback_scan_determinismE0ELb1ES3_N6thrust23THRUST_200600_302600_NS6detail15normal_iteratorINS9_10device_ptrIxEEEESE_SE_xNS9_10multipliesIxEENS9_8equal_toIxEExEE10hipError_tPvRmT2_T3_T4_T5_mT6_T7_P12ihipStream_tbENKUlT_T0_E_clISt17integral_constantIbLb1EESY_IbLb0EEEEDaSU_SV_EUlSU_E_NS1_11comp_targetILNS1_3genE3ELNS1_11target_archE908ELNS1_3gpuE7ELNS1_3repE0EEENS1_30default_config_static_selectorELNS0_4arch9wavefront6targetE0EEEvT1_
		.amdhsa_group_segment_fixed_size 0
		.amdhsa_private_segment_fixed_size 0
		.amdhsa_kernarg_size 136
		.amdhsa_user_sgpr_count 6
		.amdhsa_user_sgpr_private_segment_buffer 1
		.amdhsa_user_sgpr_dispatch_ptr 0
		.amdhsa_user_sgpr_queue_ptr 0
		.amdhsa_user_sgpr_kernarg_segment_ptr 1
		.amdhsa_user_sgpr_dispatch_id 0
		.amdhsa_user_sgpr_flat_scratch_init 0
		.amdhsa_user_sgpr_private_segment_size 0
		.amdhsa_wavefront_size32 1
		.amdhsa_uses_dynamic_stack 0
		.amdhsa_system_sgpr_private_segment_wavefront_offset 0
		.amdhsa_system_sgpr_workgroup_id_x 1
		.amdhsa_system_sgpr_workgroup_id_y 0
		.amdhsa_system_sgpr_workgroup_id_z 0
		.amdhsa_system_sgpr_workgroup_info 0
		.amdhsa_system_vgpr_workitem_id 0
		.amdhsa_next_free_vgpr 1
		.amdhsa_next_free_sgpr 1
		.amdhsa_reserve_vcc 0
		.amdhsa_reserve_flat_scratch 0
		.amdhsa_float_round_mode_32 0
		.amdhsa_float_round_mode_16_64 0
		.amdhsa_float_denorm_mode_32 3
		.amdhsa_float_denorm_mode_16_64 3
		.amdhsa_dx10_clamp 1
		.amdhsa_ieee_mode 1
		.amdhsa_fp16_overflow 0
		.amdhsa_workgroup_processor_mode 1
		.amdhsa_memory_ordered 1
		.amdhsa_forward_progress 1
		.amdhsa_shared_vgpr_count 0
		.amdhsa_exception_fp_ieee_invalid_op 0
		.amdhsa_exception_fp_denorm_src 0
		.amdhsa_exception_fp_ieee_div_zero 0
		.amdhsa_exception_fp_ieee_overflow 0
		.amdhsa_exception_fp_ieee_underflow 0
		.amdhsa_exception_fp_ieee_inexact 0
		.amdhsa_exception_int_div_zero 0
	.end_amdhsa_kernel
	.section	.text._ZN7rocprim17ROCPRIM_400000_NS6detail17trampoline_kernelINS0_14default_configENS1_27scan_by_key_config_selectorIxxEEZZNS1_16scan_by_key_implILNS1_25lookback_scan_determinismE0ELb1ES3_N6thrust23THRUST_200600_302600_NS6detail15normal_iteratorINS9_10device_ptrIxEEEESE_SE_xNS9_10multipliesIxEENS9_8equal_toIxEExEE10hipError_tPvRmT2_T3_T4_T5_mT6_T7_P12ihipStream_tbENKUlT_T0_E_clISt17integral_constantIbLb1EESY_IbLb0EEEEDaSU_SV_EUlSU_E_NS1_11comp_targetILNS1_3genE3ELNS1_11target_archE908ELNS1_3gpuE7ELNS1_3repE0EEENS1_30default_config_static_selectorELNS0_4arch9wavefront6targetE0EEEvT1_,"axG",@progbits,_ZN7rocprim17ROCPRIM_400000_NS6detail17trampoline_kernelINS0_14default_configENS1_27scan_by_key_config_selectorIxxEEZZNS1_16scan_by_key_implILNS1_25lookback_scan_determinismE0ELb1ES3_N6thrust23THRUST_200600_302600_NS6detail15normal_iteratorINS9_10device_ptrIxEEEESE_SE_xNS9_10multipliesIxEENS9_8equal_toIxEExEE10hipError_tPvRmT2_T3_T4_T5_mT6_T7_P12ihipStream_tbENKUlT_T0_E_clISt17integral_constantIbLb1EESY_IbLb0EEEEDaSU_SV_EUlSU_E_NS1_11comp_targetILNS1_3genE3ELNS1_11target_archE908ELNS1_3gpuE7ELNS1_3repE0EEENS1_30default_config_static_selectorELNS0_4arch9wavefront6targetE0EEEvT1_,comdat
.Lfunc_end411:
	.size	_ZN7rocprim17ROCPRIM_400000_NS6detail17trampoline_kernelINS0_14default_configENS1_27scan_by_key_config_selectorIxxEEZZNS1_16scan_by_key_implILNS1_25lookback_scan_determinismE0ELb1ES3_N6thrust23THRUST_200600_302600_NS6detail15normal_iteratorINS9_10device_ptrIxEEEESE_SE_xNS9_10multipliesIxEENS9_8equal_toIxEExEE10hipError_tPvRmT2_T3_T4_T5_mT6_T7_P12ihipStream_tbENKUlT_T0_E_clISt17integral_constantIbLb1EESY_IbLb0EEEEDaSU_SV_EUlSU_E_NS1_11comp_targetILNS1_3genE3ELNS1_11target_archE908ELNS1_3gpuE7ELNS1_3repE0EEENS1_30default_config_static_selectorELNS0_4arch9wavefront6targetE0EEEvT1_, .Lfunc_end411-_ZN7rocprim17ROCPRIM_400000_NS6detail17trampoline_kernelINS0_14default_configENS1_27scan_by_key_config_selectorIxxEEZZNS1_16scan_by_key_implILNS1_25lookback_scan_determinismE0ELb1ES3_N6thrust23THRUST_200600_302600_NS6detail15normal_iteratorINS9_10device_ptrIxEEEESE_SE_xNS9_10multipliesIxEENS9_8equal_toIxEExEE10hipError_tPvRmT2_T3_T4_T5_mT6_T7_P12ihipStream_tbENKUlT_T0_E_clISt17integral_constantIbLb1EESY_IbLb0EEEEDaSU_SV_EUlSU_E_NS1_11comp_targetILNS1_3genE3ELNS1_11target_archE908ELNS1_3gpuE7ELNS1_3repE0EEENS1_30default_config_static_selectorELNS0_4arch9wavefront6targetE0EEEvT1_
                                        ; -- End function
	.set _ZN7rocprim17ROCPRIM_400000_NS6detail17trampoline_kernelINS0_14default_configENS1_27scan_by_key_config_selectorIxxEEZZNS1_16scan_by_key_implILNS1_25lookback_scan_determinismE0ELb1ES3_N6thrust23THRUST_200600_302600_NS6detail15normal_iteratorINS9_10device_ptrIxEEEESE_SE_xNS9_10multipliesIxEENS9_8equal_toIxEExEE10hipError_tPvRmT2_T3_T4_T5_mT6_T7_P12ihipStream_tbENKUlT_T0_E_clISt17integral_constantIbLb1EESY_IbLb0EEEEDaSU_SV_EUlSU_E_NS1_11comp_targetILNS1_3genE3ELNS1_11target_archE908ELNS1_3gpuE7ELNS1_3repE0EEENS1_30default_config_static_selectorELNS0_4arch9wavefront6targetE0EEEvT1_.num_vgpr, 0
	.set _ZN7rocprim17ROCPRIM_400000_NS6detail17trampoline_kernelINS0_14default_configENS1_27scan_by_key_config_selectorIxxEEZZNS1_16scan_by_key_implILNS1_25lookback_scan_determinismE0ELb1ES3_N6thrust23THRUST_200600_302600_NS6detail15normal_iteratorINS9_10device_ptrIxEEEESE_SE_xNS9_10multipliesIxEENS9_8equal_toIxEExEE10hipError_tPvRmT2_T3_T4_T5_mT6_T7_P12ihipStream_tbENKUlT_T0_E_clISt17integral_constantIbLb1EESY_IbLb0EEEEDaSU_SV_EUlSU_E_NS1_11comp_targetILNS1_3genE3ELNS1_11target_archE908ELNS1_3gpuE7ELNS1_3repE0EEENS1_30default_config_static_selectorELNS0_4arch9wavefront6targetE0EEEvT1_.num_agpr, 0
	.set _ZN7rocprim17ROCPRIM_400000_NS6detail17trampoline_kernelINS0_14default_configENS1_27scan_by_key_config_selectorIxxEEZZNS1_16scan_by_key_implILNS1_25lookback_scan_determinismE0ELb1ES3_N6thrust23THRUST_200600_302600_NS6detail15normal_iteratorINS9_10device_ptrIxEEEESE_SE_xNS9_10multipliesIxEENS9_8equal_toIxEExEE10hipError_tPvRmT2_T3_T4_T5_mT6_T7_P12ihipStream_tbENKUlT_T0_E_clISt17integral_constantIbLb1EESY_IbLb0EEEEDaSU_SV_EUlSU_E_NS1_11comp_targetILNS1_3genE3ELNS1_11target_archE908ELNS1_3gpuE7ELNS1_3repE0EEENS1_30default_config_static_selectorELNS0_4arch9wavefront6targetE0EEEvT1_.numbered_sgpr, 0
	.set _ZN7rocprim17ROCPRIM_400000_NS6detail17trampoline_kernelINS0_14default_configENS1_27scan_by_key_config_selectorIxxEEZZNS1_16scan_by_key_implILNS1_25lookback_scan_determinismE0ELb1ES3_N6thrust23THRUST_200600_302600_NS6detail15normal_iteratorINS9_10device_ptrIxEEEESE_SE_xNS9_10multipliesIxEENS9_8equal_toIxEExEE10hipError_tPvRmT2_T3_T4_T5_mT6_T7_P12ihipStream_tbENKUlT_T0_E_clISt17integral_constantIbLb1EESY_IbLb0EEEEDaSU_SV_EUlSU_E_NS1_11comp_targetILNS1_3genE3ELNS1_11target_archE908ELNS1_3gpuE7ELNS1_3repE0EEENS1_30default_config_static_selectorELNS0_4arch9wavefront6targetE0EEEvT1_.num_named_barrier, 0
	.set _ZN7rocprim17ROCPRIM_400000_NS6detail17trampoline_kernelINS0_14default_configENS1_27scan_by_key_config_selectorIxxEEZZNS1_16scan_by_key_implILNS1_25lookback_scan_determinismE0ELb1ES3_N6thrust23THRUST_200600_302600_NS6detail15normal_iteratorINS9_10device_ptrIxEEEESE_SE_xNS9_10multipliesIxEENS9_8equal_toIxEExEE10hipError_tPvRmT2_T3_T4_T5_mT6_T7_P12ihipStream_tbENKUlT_T0_E_clISt17integral_constantIbLb1EESY_IbLb0EEEEDaSU_SV_EUlSU_E_NS1_11comp_targetILNS1_3genE3ELNS1_11target_archE908ELNS1_3gpuE7ELNS1_3repE0EEENS1_30default_config_static_selectorELNS0_4arch9wavefront6targetE0EEEvT1_.private_seg_size, 0
	.set _ZN7rocprim17ROCPRIM_400000_NS6detail17trampoline_kernelINS0_14default_configENS1_27scan_by_key_config_selectorIxxEEZZNS1_16scan_by_key_implILNS1_25lookback_scan_determinismE0ELb1ES3_N6thrust23THRUST_200600_302600_NS6detail15normal_iteratorINS9_10device_ptrIxEEEESE_SE_xNS9_10multipliesIxEENS9_8equal_toIxEExEE10hipError_tPvRmT2_T3_T4_T5_mT6_T7_P12ihipStream_tbENKUlT_T0_E_clISt17integral_constantIbLb1EESY_IbLb0EEEEDaSU_SV_EUlSU_E_NS1_11comp_targetILNS1_3genE3ELNS1_11target_archE908ELNS1_3gpuE7ELNS1_3repE0EEENS1_30default_config_static_selectorELNS0_4arch9wavefront6targetE0EEEvT1_.uses_vcc, 0
	.set _ZN7rocprim17ROCPRIM_400000_NS6detail17trampoline_kernelINS0_14default_configENS1_27scan_by_key_config_selectorIxxEEZZNS1_16scan_by_key_implILNS1_25lookback_scan_determinismE0ELb1ES3_N6thrust23THRUST_200600_302600_NS6detail15normal_iteratorINS9_10device_ptrIxEEEESE_SE_xNS9_10multipliesIxEENS9_8equal_toIxEExEE10hipError_tPvRmT2_T3_T4_T5_mT6_T7_P12ihipStream_tbENKUlT_T0_E_clISt17integral_constantIbLb1EESY_IbLb0EEEEDaSU_SV_EUlSU_E_NS1_11comp_targetILNS1_3genE3ELNS1_11target_archE908ELNS1_3gpuE7ELNS1_3repE0EEENS1_30default_config_static_selectorELNS0_4arch9wavefront6targetE0EEEvT1_.uses_flat_scratch, 0
	.set _ZN7rocprim17ROCPRIM_400000_NS6detail17trampoline_kernelINS0_14default_configENS1_27scan_by_key_config_selectorIxxEEZZNS1_16scan_by_key_implILNS1_25lookback_scan_determinismE0ELb1ES3_N6thrust23THRUST_200600_302600_NS6detail15normal_iteratorINS9_10device_ptrIxEEEESE_SE_xNS9_10multipliesIxEENS9_8equal_toIxEExEE10hipError_tPvRmT2_T3_T4_T5_mT6_T7_P12ihipStream_tbENKUlT_T0_E_clISt17integral_constantIbLb1EESY_IbLb0EEEEDaSU_SV_EUlSU_E_NS1_11comp_targetILNS1_3genE3ELNS1_11target_archE908ELNS1_3gpuE7ELNS1_3repE0EEENS1_30default_config_static_selectorELNS0_4arch9wavefront6targetE0EEEvT1_.has_dyn_sized_stack, 0
	.set _ZN7rocprim17ROCPRIM_400000_NS6detail17trampoline_kernelINS0_14default_configENS1_27scan_by_key_config_selectorIxxEEZZNS1_16scan_by_key_implILNS1_25lookback_scan_determinismE0ELb1ES3_N6thrust23THRUST_200600_302600_NS6detail15normal_iteratorINS9_10device_ptrIxEEEESE_SE_xNS9_10multipliesIxEENS9_8equal_toIxEExEE10hipError_tPvRmT2_T3_T4_T5_mT6_T7_P12ihipStream_tbENKUlT_T0_E_clISt17integral_constantIbLb1EESY_IbLb0EEEEDaSU_SV_EUlSU_E_NS1_11comp_targetILNS1_3genE3ELNS1_11target_archE908ELNS1_3gpuE7ELNS1_3repE0EEENS1_30default_config_static_selectorELNS0_4arch9wavefront6targetE0EEEvT1_.has_recursion, 0
	.set _ZN7rocprim17ROCPRIM_400000_NS6detail17trampoline_kernelINS0_14default_configENS1_27scan_by_key_config_selectorIxxEEZZNS1_16scan_by_key_implILNS1_25lookback_scan_determinismE0ELb1ES3_N6thrust23THRUST_200600_302600_NS6detail15normal_iteratorINS9_10device_ptrIxEEEESE_SE_xNS9_10multipliesIxEENS9_8equal_toIxEExEE10hipError_tPvRmT2_T3_T4_T5_mT6_T7_P12ihipStream_tbENKUlT_T0_E_clISt17integral_constantIbLb1EESY_IbLb0EEEEDaSU_SV_EUlSU_E_NS1_11comp_targetILNS1_3genE3ELNS1_11target_archE908ELNS1_3gpuE7ELNS1_3repE0EEENS1_30default_config_static_selectorELNS0_4arch9wavefront6targetE0EEEvT1_.has_indirect_call, 0
	.section	.AMDGPU.csdata,"",@progbits
; Kernel info:
; codeLenInByte = 0
; TotalNumSgprs: 0
; NumVgprs: 0
; ScratchSize: 0
; MemoryBound: 0
; FloatMode: 240
; IeeeMode: 1
; LDSByteSize: 0 bytes/workgroup (compile time only)
; SGPRBlocks: 0
; VGPRBlocks: 0
; NumSGPRsForWavesPerEU: 1
; NumVGPRsForWavesPerEU: 1
; Occupancy: 16
; WaveLimiterHint : 0
; COMPUTE_PGM_RSRC2:SCRATCH_EN: 0
; COMPUTE_PGM_RSRC2:USER_SGPR: 6
; COMPUTE_PGM_RSRC2:TRAP_HANDLER: 0
; COMPUTE_PGM_RSRC2:TGID_X_EN: 1
; COMPUTE_PGM_RSRC2:TGID_Y_EN: 0
; COMPUTE_PGM_RSRC2:TGID_Z_EN: 0
; COMPUTE_PGM_RSRC2:TIDIG_COMP_CNT: 0
	.section	.text._ZN7rocprim17ROCPRIM_400000_NS6detail17trampoline_kernelINS0_14default_configENS1_27scan_by_key_config_selectorIxxEEZZNS1_16scan_by_key_implILNS1_25lookback_scan_determinismE0ELb1ES3_N6thrust23THRUST_200600_302600_NS6detail15normal_iteratorINS9_10device_ptrIxEEEESE_SE_xNS9_10multipliesIxEENS9_8equal_toIxEExEE10hipError_tPvRmT2_T3_T4_T5_mT6_T7_P12ihipStream_tbENKUlT_T0_E_clISt17integral_constantIbLb1EESY_IbLb0EEEEDaSU_SV_EUlSU_E_NS1_11comp_targetILNS1_3genE2ELNS1_11target_archE906ELNS1_3gpuE6ELNS1_3repE0EEENS1_30default_config_static_selectorELNS0_4arch9wavefront6targetE0EEEvT1_,"axG",@progbits,_ZN7rocprim17ROCPRIM_400000_NS6detail17trampoline_kernelINS0_14default_configENS1_27scan_by_key_config_selectorIxxEEZZNS1_16scan_by_key_implILNS1_25lookback_scan_determinismE0ELb1ES3_N6thrust23THRUST_200600_302600_NS6detail15normal_iteratorINS9_10device_ptrIxEEEESE_SE_xNS9_10multipliesIxEENS9_8equal_toIxEExEE10hipError_tPvRmT2_T3_T4_T5_mT6_T7_P12ihipStream_tbENKUlT_T0_E_clISt17integral_constantIbLb1EESY_IbLb0EEEEDaSU_SV_EUlSU_E_NS1_11comp_targetILNS1_3genE2ELNS1_11target_archE906ELNS1_3gpuE6ELNS1_3repE0EEENS1_30default_config_static_selectorELNS0_4arch9wavefront6targetE0EEEvT1_,comdat
	.protected	_ZN7rocprim17ROCPRIM_400000_NS6detail17trampoline_kernelINS0_14default_configENS1_27scan_by_key_config_selectorIxxEEZZNS1_16scan_by_key_implILNS1_25lookback_scan_determinismE0ELb1ES3_N6thrust23THRUST_200600_302600_NS6detail15normal_iteratorINS9_10device_ptrIxEEEESE_SE_xNS9_10multipliesIxEENS9_8equal_toIxEExEE10hipError_tPvRmT2_T3_T4_T5_mT6_T7_P12ihipStream_tbENKUlT_T0_E_clISt17integral_constantIbLb1EESY_IbLb0EEEEDaSU_SV_EUlSU_E_NS1_11comp_targetILNS1_3genE2ELNS1_11target_archE906ELNS1_3gpuE6ELNS1_3repE0EEENS1_30default_config_static_selectorELNS0_4arch9wavefront6targetE0EEEvT1_ ; -- Begin function _ZN7rocprim17ROCPRIM_400000_NS6detail17trampoline_kernelINS0_14default_configENS1_27scan_by_key_config_selectorIxxEEZZNS1_16scan_by_key_implILNS1_25lookback_scan_determinismE0ELb1ES3_N6thrust23THRUST_200600_302600_NS6detail15normal_iteratorINS9_10device_ptrIxEEEESE_SE_xNS9_10multipliesIxEENS9_8equal_toIxEExEE10hipError_tPvRmT2_T3_T4_T5_mT6_T7_P12ihipStream_tbENKUlT_T0_E_clISt17integral_constantIbLb1EESY_IbLb0EEEEDaSU_SV_EUlSU_E_NS1_11comp_targetILNS1_3genE2ELNS1_11target_archE906ELNS1_3gpuE6ELNS1_3repE0EEENS1_30default_config_static_selectorELNS0_4arch9wavefront6targetE0EEEvT1_
	.globl	_ZN7rocprim17ROCPRIM_400000_NS6detail17trampoline_kernelINS0_14default_configENS1_27scan_by_key_config_selectorIxxEEZZNS1_16scan_by_key_implILNS1_25lookback_scan_determinismE0ELb1ES3_N6thrust23THRUST_200600_302600_NS6detail15normal_iteratorINS9_10device_ptrIxEEEESE_SE_xNS9_10multipliesIxEENS9_8equal_toIxEExEE10hipError_tPvRmT2_T3_T4_T5_mT6_T7_P12ihipStream_tbENKUlT_T0_E_clISt17integral_constantIbLb1EESY_IbLb0EEEEDaSU_SV_EUlSU_E_NS1_11comp_targetILNS1_3genE2ELNS1_11target_archE906ELNS1_3gpuE6ELNS1_3repE0EEENS1_30default_config_static_selectorELNS0_4arch9wavefront6targetE0EEEvT1_
	.p2align	8
	.type	_ZN7rocprim17ROCPRIM_400000_NS6detail17trampoline_kernelINS0_14default_configENS1_27scan_by_key_config_selectorIxxEEZZNS1_16scan_by_key_implILNS1_25lookback_scan_determinismE0ELb1ES3_N6thrust23THRUST_200600_302600_NS6detail15normal_iteratorINS9_10device_ptrIxEEEESE_SE_xNS9_10multipliesIxEENS9_8equal_toIxEExEE10hipError_tPvRmT2_T3_T4_T5_mT6_T7_P12ihipStream_tbENKUlT_T0_E_clISt17integral_constantIbLb1EESY_IbLb0EEEEDaSU_SV_EUlSU_E_NS1_11comp_targetILNS1_3genE2ELNS1_11target_archE906ELNS1_3gpuE6ELNS1_3repE0EEENS1_30default_config_static_selectorELNS0_4arch9wavefront6targetE0EEEvT1_,@function
_ZN7rocprim17ROCPRIM_400000_NS6detail17trampoline_kernelINS0_14default_configENS1_27scan_by_key_config_selectorIxxEEZZNS1_16scan_by_key_implILNS1_25lookback_scan_determinismE0ELb1ES3_N6thrust23THRUST_200600_302600_NS6detail15normal_iteratorINS9_10device_ptrIxEEEESE_SE_xNS9_10multipliesIxEENS9_8equal_toIxEExEE10hipError_tPvRmT2_T3_T4_T5_mT6_T7_P12ihipStream_tbENKUlT_T0_E_clISt17integral_constantIbLb1EESY_IbLb0EEEEDaSU_SV_EUlSU_E_NS1_11comp_targetILNS1_3genE2ELNS1_11target_archE906ELNS1_3gpuE6ELNS1_3repE0EEENS1_30default_config_static_selectorELNS0_4arch9wavefront6targetE0EEEvT1_: ; @_ZN7rocprim17ROCPRIM_400000_NS6detail17trampoline_kernelINS0_14default_configENS1_27scan_by_key_config_selectorIxxEEZZNS1_16scan_by_key_implILNS1_25lookback_scan_determinismE0ELb1ES3_N6thrust23THRUST_200600_302600_NS6detail15normal_iteratorINS9_10device_ptrIxEEEESE_SE_xNS9_10multipliesIxEENS9_8equal_toIxEExEE10hipError_tPvRmT2_T3_T4_T5_mT6_T7_P12ihipStream_tbENKUlT_T0_E_clISt17integral_constantIbLb1EESY_IbLb0EEEEDaSU_SV_EUlSU_E_NS1_11comp_targetILNS1_3genE2ELNS1_11target_archE906ELNS1_3gpuE6ELNS1_3repE0EEENS1_30default_config_static_selectorELNS0_4arch9wavefront6targetE0EEEvT1_
; %bb.0:
	.section	.rodata,"a",@progbits
	.p2align	6, 0x0
	.amdhsa_kernel _ZN7rocprim17ROCPRIM_400000_NS6detail17trampoline_kernelINS0_14default_configENS1_27scan_by_key_config_selectorIxxEEZZNS1_16scan_by_key_implILNS1_25lookback_scan_determinismE0ELb1ES3_N6thrust23THRUST_200600_302600_NS6detail15normal_iteratorINS9_10device_ptrIxEEEESE_SE_xNS9_10multipliesIxEENS9_8equal_toIxEExEE10hipError_tPvRmT2_T3_T4_T5_mT6_T7_P12ihipStream_tbENKUlT_T0_E_clISt17integral_constantIbLb1EESY_IbLb0EEEEDaSU_SV_EUlSU_E_NS1_11comp_targetILNS1_3genE2ELNS1_11target_archE906ELNS1_3gpuE6ELNS1_3repE0EEENS1_30default_config_static_selectorELNS0_4arch9wavefront6targetE0EEEvT1_
		.amdhsa_group_segment_fixed_size 0
		.amdhsa_private_segment_fixed_size 0
		.amdhsa_kernarg_size 136
		.amdhsa_user_sgpr_count 6
		.amdhsa_user_sgpr_private_segment_buffer 1
		.amdhsa_user_sgpr_dispatch_ptr 0
		.amdhsa_user_sgpr_queue_ptr 0
		.amdhsa_user_sgpr_kernarg_segment_ptr 1
		.amdhsa_user_sgpr_dispatch_id 0
		.amdhsa_user_sgpr_flat_scratch_init 0
		.amdhsa_user_sgpr_private_segment_size 0
		.amdhsa_wavefront_size32 1
		.amdhsa_uses_dynamic_stack 0
		.amdhsa_system_sgpr_private_segment_wavefront_offset 0
		.amdhsa_system_sgpr_workgroup_id_x 1
		.amdhsa_system_sgpr_workgroup_id_y 0
		.amdhsa_system_sgpr_workgroup_id_z 0
		.amdhsa_system_sgpr_workgroup_info 0
		.amdhsa_system_vgpr_workitem_id 0
		.amdhsa_next_free_vgpr 1
		.amdhsa_next_free_sgpr 1
		.amdhsa_reserve_vcc 0
		.amdhsa_reserve_flat_scratch 0
		.amdhsa_float_round_mode_32 0
		.amdhsa_float_round_mode_16_64 0
		.amdhsa_float_denorm_mode_32 3
		.amdhsa_float_denorm_mode_16_64 3
		.amdhsa_dx10_clamp 1
		.amdhsa_ieee_mode 1
		.amdhsa_fp16_overflow 0
		.amdhsa_workgroup_processor_mode 1
		.amdhsa_memory_ordered 1
		.amdhsa_forward_progress 1
		.amdhsa_shared_vgpr_count 0
		.amdhsa_exception_fp_ieee_invalid_op 0
		.amdhsa_exception_fp_denorm_src 0
		.amdhsa_exception_fp_ieee_div_zero 0
		.amdhsa_exception_fp_ieee_overflow 0
		.amdhsa_exception_fp_ieee_underflow 0
		.amdhsa_exception_fp_ieee_inexact 0
		.amdhsa_exception_int_div_zero 0
	.end_amdhsa_kernel
	.section	.text._ZN7rocprim17ROCPRIM_400000_NS6detail17trampoline_kernelINS0_14default_configENS1_27scan_by_key_config_selectorIxxEEZZNS1_16scan_by_key_implILNS1_25lookback_scan_determinismE0ELb1ES3_N6thrust23THRUST_200600_302600_NS6detail15normal_iteratorINS9_10device_ptrIxEEEESE_SE_xNS9_10multipliesIxEENS9_8equal_toIxEExEE10hipError_tPvRmT2_T3_T4_T5_mT6_T7_P12ihipStream_tbENKUlT_T0_E_clISt17integral_constantIbLb1EESY_IbLb0EEEEDaSU_SV_EUlSU_E_NS1_11comp_targetILNS1_3genE2ELNS1_11target_archE906ELNS1_3gpuE6ELNS1_3repE0EEENS1_30default_config_static_selectorELNS0_4arch9wavefront6targetE0EEEvT1_,"axG",@progbits,_ZN7rocprim17ROCPRIM_400000_NS6detail17trampoline_kernelINS0_14default_configENS1_27scan_by_key_config_selectorIxxEEZZNS1_16scan_by_key_implILNS1_25lookback_scan_determinismE0ELb1ES3_N6thrust23THRUST_200600_302600_NS6detail15normal_iteratorINS9_10device_ptrIxEEEESE_SE_xNS9_10multipliesIxEENS9_8equal_toIxEExEE10hipError_tPvRmT2_T3_T4_T5_mT6_T7_P12ihipStream_tbENKUlT_T0_E_clISt17integral_constantIbLb1EESY_IbLb0EEEEDaSU_SV_EUlSU_E_NS1_11comp_targetILNS1_3genE2ELNS1_11target_archE906ELNS1_3gpuE6ELNS1_3repE0EEENS1_30default_config_static_selectorELNS0_4arch9wavefront6targetE0EEEvT1_,comdat
.Lfunc_end412:
	.size	_ZN7rocprim17ROCPRIM_400000_NS6detail17trampoline_kernelINS0_14default_configENS1_27scan_by_key_config_selectorIxxEEZZNS1_16scan_by_key_implILNS1_25lookback_scan_determinismE0ELb1ES3_N6thrust23THRUST_200600_302600_NS6detail15normal_iteratorINS9_10device_ptrIxEEEESE_SE_xNS9_10multipliesIxEENS9_8equal_toIxEExEE10hipError_tPvRmT2_T3_T4_T5_mT6_T7_P12ihipStream_tbENKUlT_T0_E_clISt17integral_constantIbLb1EESY_IbLb0EEEEDaSU_SV_EUlSU_E_NS1_11comp_targetILNS1_3genE2ELNS1_11target_archE906ELNS1_3gpuE6ELNS1_3repE0EEENS1_30default_config_static_selectorELNS0_4arch9wavefront6targetE0EEEvT1_, .Lfunc_end412-_ZN7rocprim17ROCPRIM_400000_NS6detail17trampoline_kernelINS0_14default_configENS1_27scan_by_key_config_selectorIxxEEZZNS1_16scan_by_key_implILNS1_25lookback_scan_determinismE0ELb1ES3_N6thrust23THRUST_200600_302600_NS6detail15normal_iteratorINS9_10device_ptrIxEEEESE_SE_xNS9_10multipliesIxEENS9_8equal_toIxEExEE10hipError_tPvRmT2_T3_T4_T5_mT6_T7_P12ihipStream_tbENKUlT_T0_E_clISt17integral_constantIbLb1EESY_IbLb0EEEEDaSU_SV_EUlSU_E_NS1_11comp_targetILNS1_3genE2ELNS1_11target_archE906ELNS1_3gpuE6ELNS1_3repE0EEENS1_30default_config_static_selectorELNS0_4arch9wavefront6targetE0EEEvT1_
                                        ; -- End function
	.set _ZN7rocprim17ROCPRIM_400000_NS6detail17trampoline_kernelINS0_14default_configENS1_27scan_by_key_config_selectorIxxEEZZNS1_16scan_by_key_implILNS1_25lookback_scan_determinismE0ELb1ES3_N6thrust23THRUST_200600_302600_NS6detail15normal_iteratorINS9_10device_ptrIxEEEESE_SE_xNS9_10multipliesIxEENS9_8equal_toIxEExEE10hipError_tPvRmT2_T3_T4_T5_mT6_T7_P12ihipStream_tbENKUlT_T0_E_clISt17integral_constantIbLb1EESY_IbLb0EEEEDaSU_SV_EUlSU_E_NS1_11comp_targetILNS1_3genE2ELNS1_11target_archE906ELNS1_3gpuE6ELNS1_3repE0EEENS1_30default_config_static_selectorELNS0_4arch9wavefront6targetE0EEEvT1_.num_vgpr, 0
	.set _ZN7rocprim17ROCPRIM_400000_NS6detail17trampoline_kernelINS0_14default_configENS1_27scan_by_key_config_selectorIxxEEZZNS1_16scan_by_key_implILNS1_25lookback_scan_determinismE0ELb1ES3_N6thrust23THRUST_200600_302600_NS6detail15normal_iteratorINS9_10device_ptrIxEEEESE_SE_xNS9_10multipliesIxEENS9_8equal_toIxEExEE10hipError_tPvRmT2_T3_T4_T5_mT6_T7_P12ihipStream_tbENKUlT_T0_E_clISt17integral_constantIbLb1EESY_IbLb0EEEEDaSU_SV_EUlSU_E_NS1_11comp_targetILNS1_3genE2ELNS1_11target_archE906ELNS1_3gpuE6ELNS1_3repE0EEENS1_30default_config_static_selectorELNS0_4arch9wavefront6targetE0EEEvT1_.num_agpr, 0
	.set _ZN7rocprim17ROCPRIM_400000_NS6detail17trampoline_kernelINS0_14default_configENS1_27scan_by_key_config_selectorIxxEEZZNS1_16scan_by_key_implILNS1_25lookback_scan_determinismE0ELb1ES3_N6thrust23THRUST_200600_302600_NS6detail15normal_iteratorINS9_10device_ptrIxEEEESE_SE_xNS9_10multipliesIxEENS9_8equal_toIxEExEE10hipError_tPvRmT2_T3_T4_T5_mT6_T7_P12ihipStream_tbENKUlT_T0_E_clISt17integral_constantIbLb1EESY_IbLb0EEEEDaSU_SV_EUlSU_E_NS1_11comp_targetILNS1_3genE2ELNS1_11target_archE906ELNS1_3gpuE6ELNS1_3repE0EEENS1_30default_config_static_selectorELNS0_4arch9wavefront6targetE0EEEvT1_.numbered_sgpr, 0
	.set _ZN7rocprim17ROCPRIM_400000_NS6detail17trampoline_kernelINS0_14default_configENS1_27scan_by_key_config_selectorIxxEEZZNS1_16scan_by_key_implILNS1_25lookback_scan_determinismE0ELb1ES3_N6thrust23THRUST_200600_302600_NS6detail15normal_iteratorINS9_10device_ptrIxEEEESE_SE_xNS9_10multipliesIxEENS9_8equal_toIxEExEE10hipError_tPvRmT2_T3_T4_T5_mT6_T7_P12ihipStream_tbENKUlT_T0_E_clISt17integral_constantIbLb1EESY_IbLb0EEEEDaSU_SV_EUlSU_E_NS1_11comp_targetILNS1_3genE2ELNS1_11target_archE906ELNS1_3gpuE6ELNS1_3repE0EEENS1_30default_config_static_selectorELNS0_4arch9wavefront6targetE0EEEvT1_.num_named_barrier, 0
	.set _ZN7rocprim17ROCPRIM_400000_NS6detail17trampoline_kernelINS0_14default_configENS1_27scan_by_key_config_selectorIxxEEZZNS1_16scan_by_key_implILNS1_25lookback_scan_determinismE0ELb1ES3_N6thrust23THRUST_200600_302600_NS6detail15normal_iteratorINS9_10device_ptrIxEEEESE_SE_xNS9_10multipliesIxEENS9_8equal_toIxEExEE10hipError_tPvRmT2_T3_T4_T5_mT6_T7_P12ihipStream_tbENKUlT_T0_E_clISt17integral_constantIbLb1EESY_IbLb0EEEEDaSU_SV_EUlSU_E_NS1_11comp_targetILNS1_3genE2ELNS1_11target_archE906ELNS1_3gpuE6ELNS1_3repE0EEENS1_30default_config_static_selectorELNS0_4arch9wavefront6targetE0EEEvT1_.private_seg_size, 0
	.set _ZN7rocprim17ROCPRIM_400000_NS6detail17trampoline_kernelINS0_14default_configENS1_27scan_by_key_config_selectorIxxEEZZNS1_16scan_by_key_implILNS1_25lookback_scan_determinismE0ELb1ES3_N6thrust23THRUST_200600_302600_NS6detail15normal_iteratorINS9_10device_ptrIxEEEESE_SE_xNS9_10multipliesIxEENS9_8equal_toIxEExEE10hipError_tPvRmT2_T3_T4_T5_mT6_T7_P12ihipStream_tbENKUlT_T0_E_clISt17integral_constantIbLb1EESY_IbLb0EEEEDaSU_SV_EUlSU_E_NS1_11comp_targetILNS1_3genE2ELNS1_11target_archE906ELNS1_3gpuE6ELNS1_3repE0EEENS1_30default_config_static_selectorELNS0_4arch9wavefront6targetE0EEEvT1_.uses_vcc, 0
	.set _ZN7rocprim17ROCPRIM_400000_NS6detail17trampoline_kernelINS0_14default_configENS1_27scan_by_key_config_selectorIxxEEZZNS1_16scan_by_key_implILNS1_25lookback_scan_determinismE0ELb1ES3_N6thrust23THRUST_200600_302600_NS6detail15normal_iteratorINS9_10device_ptrIxEEEESE_SE_xNS9_10multipliesIxEENS9_8equal_toIxEExEE10hipError_tPvRmT2_T3_T4_T5_mT6_T7_P12ihipStream_tbENKUlT_T0_E_clISt17integral_constantIbLb1EESY_IbLb0EEEEDaSU_SV_EUlSU_E_NS1_11comp_targetILNS1_3genE2ELNS1_11target_archE906ELNS1_3gpuE6ELNS1_3repE0EEENS1_30default_config_static_selectorELNS0_4arch9wavefront6targetE0EEEvT1_.uses_flat_scratch, 0
	.set _ZN7rocprim17ROCPRIM_400000_NS6detail17trampoline_kernelINS0_14default_configENS1_27scan_by_key_config_selectorIxxEEZZNS1_16scan_by_key_implILNS1_25lookback_scan_determinismE0ELb1ES3_N6thrust23THRUST_200600_302600_NS6detail15normal_iteratorINS9_10device_ptrIxEEEESE_SE_xNS9_10multipliesIxEENS9_8equal_toIxEExEE10hipError_tPvRmT2_T3_T4_T5_mT6_T7_P12ihipStream_tbENKUlT_T0_E_clISt17integral_constantIbLb1EESY_IbLb0EEEEDaSU_SV_EUlSU_E_NS1_11comp_targetILNS1_3genE2ELNS1_11target_archE906ELNS1_3gpuE6ELNS1_3repE0EEENS1_30default_config_static_selectorELNS0_4arch9wavefront6targetE0EEEvT1_.has_dyn_sized_stack, 0
	.set _ZN7rocprim17ROCPRIM_400000_NS6detail17trampoline_kernelINS0_14default_configENS1_27scan_by_key_config_selectorIxxEEZZNS1_16scan_by_key_implILNS1_25lookback_scan_determinismE0ELb1ES3_N6thrust23THRUST_200600_302600_NS6detail15normal_iteratorINS9_10device_ptrIxEEEESE_SE_xNS9_10multipliesIxEENS9_8equal_toIxEExEE10hipError_tPvRmT2_T3_T4_T5_mT6_T7_P12ihipStream_tbENKUlT_T0_E_clISt17integral_constantIbLb1EESY_IbLb0EEEEDaSU_SV_EUlSU_E_NS1_11comp_targetILNS1_3genE2ELNS1_11target_archE906ELNS1_3gpuE6ELNS1_3repE0EEENS1_30default_config_static_selectorELNS0_4arch9wavefront6targetE0EEEvT1_.has_recursion, 0
	.set _ZN7rocprim17ROCPRIM_400000_NS6detail17trampoline_kernelINS0_14default_configENS1_27scan_by_key_config_selectorIxxEEZZNS1_16scan_by_key_implILNS1_25lookback_scan_determinismE0ELb1ES3_N6thrust23THRUST_200600_302600_NS6detail15normal_iteratorINS9_10device_ptrIxEEEESE_SE_xNS9_10multipliesIxEENS9_8equal_toIxEExEE10hipError_tPvRmT2_T3_T4_T5_mT6_T7_P12ihipStream_tbENKUlT_T0_E_clISt17integral_constantIbLb1EESY_IbLb0EEEEDaSU_SV_EUlSU_E_NS1_11comp_targetILNS1_3genE2ELNS1_11target_archE906ELNS1_3gpuE6ELNS1_3repE0EEENS1_30default_config_static_selectorELNS0_4arch9wavefront6targetE0EEEvT1_.has_indirect_call, 0
	.section	.AMDGPU.csdata,"",@progbits
; Kernel info:
; codeLenInByte = 0
; TotalNumSgprs: 0
; NumVgprs: 0
; ScratchSize: 0
; MemoryBound: 0
; FloatMode: 240
; IeeeMode: 1
; LDSByteSize: 0 bytes/workgroup (compile time only)
; SGPRBlocks: 0
; VGPRBlocks: 0
; NumSGPRsForWavesPerEU: 1
; NumVGPRsForWavesPerEU: 1
; Occupancy: 16
; WaveLimiterHint : 0
; COMPUTE_PGM_RSRC2:SCRATCH_EN: 0
; COMPUTE_PGM_RSRC2:USER_SGPR: 6
; COMPUTE_PGM_RSRC2:TRAP_HANDLER: 0
; COMPUTE_PGM_RSRC2:TGID_X_EN: 1
; COMPUTE_PGM_RSRC2:TGID_Y_EN: 0
; COMPUTE_PGM_RSRC2:TGID_Z_EN: 0
; COMPUTE_PGM_RSRC2:TIDIG_COMP_CNT: 0
	.section	.text._ZN7rocprim17ROCPRIM_400000_NS6detail17trampoline_kernelINS0_14default_configENS1_27scan_by_key_config_selectorIxxEEZZNS1_16scan_by_key_implILNS1_25lookback_scan_determinismE0ELb1ES3_N6thrust23THRUST_200600_302600_NS6detail15normal_iteratorINS9_10device_ptrIxEEEESE_SE_xNS9_10multipliesIxEENS9_8equal_toIxEExEE10hipError_tPvRmT2_T3_T4_T5_mT6_T7_P12ihipStream_tbENKUlT_T0_E_clISt17integral_constantIbLb1EESY_IbLb0EEEEDaSU_SV_EUlSU_E_NS1_11comp_targetILNS1_3genE10ELNS1_11target_archE1200ELNS1_3gpuE4ELNS1_3repE0EEENS1_30default_config_static_selectorELNS0_4arch9wavefront6targetE0EEEvT1_,"axG",@progbits,_ZN7rocprim17ROCPRIM_400000_NS6detail17trampoline_kernelINS0_14default_configENS1_27scan_by_key_config_selectorIxxEEZZNS1_16scan_by_key_implILNS1_25lookback_scan_determinismE0ELb1ES3_N6thrust23THRUST_200600_302600_NS6detail15normal_iteratorINS9_10device_ptrIxEEEESE_SE_xNS9_10multipliesIxEENS9_8equal_toIxEExEE10hipError_tPvRmT2_T3_T4_T5_mT6_T7_P12ihipStream_tbENKUlT_T0_E_clISt17integral_constantIbLb1EESY_IbLb0EEEEDaSU_SV_EUlSU_E_NS1_11comp_targetILNS1_3genE10ELNS1_11target_archE1200ELNS1_3gpuE4ELNS1_3repE0EEENS1_30default_config_static_selectorELNS0_4arch9wavefront6targetE0EEEvT1_,comdat
	.protected	_ZN7rocprim17ROCPRIM_400000_NS6detail17trampoline_kernelINS0_14default_configENS1_27scan_by_key_config_selectorIxxEEZZNS1_16scan_by_key_implILNS1_25lookback_scan_determinismE0ELb1ES3_N6thrust23THRUST_200600_302600_NS6detail15normal_iteratorINS9_10device_ptrIxEEEESE_SE_xNS9_10multipliesIxEENS9_8equal_toIxEExEE10hipError_tPvRmT2_T3_T4_T5_mT6_T7_P12ihipStream_tbENKUlT_T0_E_clISt17integral_constantIbLb1EESY_IbLb0EEEEDaSU_SV_EUlSU_E_NS1_11comp_targetILNS1_3genE10ELNS1_11target_archE1200ELNS1_3gpuE4ELNS1_3repE0EEENS1_30default_config_static_selectorELNS0_4arch9wavefront6targetE0EEEvT1_ ; -- Begin function _ZN7rocprim17ROCPRIM_400000_NS6detail17trampoline_kernelINS0_14default_configENS1_27scan_by_key_config_selectorIxxEEZZNS1_16scan_by_key_implILNS1_25lookback_scan_determinismE0ELb1ES3_N6thrust23THRUST_200600_302600_NS6detail15normal_iteratorINS9_10device_ptrIxEEEESE_SE_xNS9_10multipliesIxEENS9_8equal_toIxEExEE10hipError_tPvRmT2_T3_T4_T5_mT6_T7_P12ihipStream_tbENKUlT_T0_E_clISt17integral_constantIbLb1EESY_IbLb0EEEEDaSU_SV_EUlSU_E_NS1_11comp_targetILNS1_3genE10ELNS1_11target_archE1200ELNS1_3gpuE4ELNS1_3repE0EEENS1_30default_config_static_selectorELNS0_4arch9wavefront6targetE0EEEvT1_
	.globl	_ZN7rocprim17ROCPRIM_400000_NS6detail17trampoline_kernelINS0_14default_configENS1_27scan_by_key_config_selectorIxxEEZZNS1_16scan_by_key_implILNS1_25lookback_scan_determinismE0ELb1ES3_N6thrust23THRUST_200600_302600_NS6detail15normal_iteratorINS9_10device_ptrIxEEEESE_SE_xNS9_10multipliesIxEENS9_8equal_toIxEExEE10hipError_tPvRmT2_T3_T4_T5_mT6_T7_P12ihipStream_tbENKUlT_T0_E_clISt17integral_constantIbLb1EESY_IbLb0EEEEDaSU_SV_EUlSU_E_NS1_11comp_targetILNS1_3genE10ELNS1_11target_archE1200ELNS1_3gpuE4ELNS1_3repE0EEENS1_30default_config_static_selectorELNS0_4arch9wavefront6targetE0EEEvT1_
	.p2align	8
	.type	_ZN7rocprim17ROCPRIM_400000_NS6detail17trampoline_kernelINS0_14default_configENS1_27scan_by_key_config_selectorIxxEEZZNS1_16scan_by_key_implILNS1_25lookback_scan_determinismE0ELb1ES3_N6thrust23THRUST_200600_302600_NS6detail15normal_iteratorINS9_10device_ptrIxEEEESE_SE_xNS9_10multipliesIxEENS9_8equal_toIxEExEE10hipError_tPvRmT2_T3_T4_T5_mT6_T7_P12ihipStream_tbENKUlT_T0_E_clISt17integral_constantIbLb1EESY_IbLb0EEEEDaSU_SV_EUlSU_E_NS1_11comp_targetILNS1_3genE10ELNS1_11target_archE1200ELNS1_3gpuE4ELNS1_3repE0EEENS1_30default_config_static_selectorELNS0_4arch9wavefront6targetE0EEEvT1_,@function
_ZN7rocprim17ROCPRIM_400000_NS6detail17trampoline_kernelINS0_14default_configENS1_27scan_by_key_config_selectorIxxEEZZNS1_16scan_by_key_implILNS1_25lookback_scan_determinismE0ELb1ES3_N6thrust23THRUST_200600_302600_NS6detail15normal_iteratorINS9_10device_ptrIxEEEESE_SE_xNS9_10multipliesIxEENS9_8equal_toIxEExEE10hipError_tPvRmT2_T3_T4_T5_mT6_T7_P12ihipStream_tbENKUlT_T0_E_clISt17integral_constantIbLb1EESY_IbLb0EEEEDaSU_SV_EUlSU_E_NS1_11comp_targetILNS1_3genE10ELNS1_11target_archE1200ELNS1_3gpuE4ELNS1_3repE0EEENS1_30default_config_static_selectorELNS0_4arch9wavefront6targetE0EEEvT1_: ; @_ZN7rocprim17ROCPRIM_400000_NS6detail17trampoline_kernelINS0_14default_configENS1_27scan_by_key_config_selectorIxxEEZZNS1_16scan_by_key_implILNS1_25lookback_scan_determinismE0ELb1ES3_N6thrust23THRUST_200600_302600_NS6detail15normal_iteratorINS9_10device_ptrIxEEEESE_SE_xNS9_10multipliesIxEENS9_8equal_toIxEExEE10hipError_tPvRmT2_T3_T4_T5_mT6_T7_P12ihipStream_tbENKUlT_T0_E_clISt17integral_constantIbLb1EESY_IbLb0EEEEDaSU_SV_EUlSU_E_NS1_11comp_targetILNS1_3genE10ELNS1_11target_archE1200ELNS1_3gpuE4ELNS1_3repE0EEENS1_30default_config_static_selectorELNS0_4arch9wavefront6targetE0EEEvT1_
; %bb.0:
	.section	.rodata,"a",@progbits
	.p2align	6, 0x0
	.amdhsa_kernel _ZN7rocprim17ROCPRIM_400000_NS6detail17trampoline_kernelINS0_14default_configENS1_27scan_by_key_config_selectorIxxEEZZNS1_16scan_by_key_implILNS1_25lookback_scan_determinismE0ELb1ES3_N6thrust23THRUST_200600_302600_NS6detail15normal_iteratorINS9_10device_ptrIxEEEESE_SE_xNS9_10multipliesIxEENS9_8equal_toIxEExEE10hipError_tPvRmT2_T3_T4_T5_mT6_T7_P12ihipStream_tbENKUlT_T0_E_clISt17integral_constantIbLb1EESY_IbLb0EEEEDaSU_SV_EUlSU_E_NS1_11comp_targetILNS1_3genE10ELNS1_11target_archE1200ELNS1_3gpuE4ELNS1_3repE0EEENS1_30default_config_static_selectorELNS0_4arch9wavefront6targetE0EEEvT1_
		.amdhsa_group_segment_fixed_size 0
		.amdhsa_private_segment_fixed_size 0
		.amdhsa_kernarg_size 136
		.amdhsa_user_sgpr_count 6
		.amdhsa_user_sgpr_private_segment_buffer 1
		.amdhsa_user_sgpr_dispatch_ptr 0
		.amdhsa_user_sgpr_queue_ptr 0
		.amdhsa_user_sgpr_kernarg_segment_ptr 1
		.amdhsa_user_sgpr_dispatch_id 0
		.amdhsa_user_sgpr_flat_scratch_init 0
		.amdhsa_user_sgpr_private_segment_size 0
		.amdhsa_wavefront_size32 1
		.amdhsa_uses_dynamic_stack 0
		.amdhsa_system_sgpr_private_segment_wavefront_offset 0
		.amdhsa_system_sgpr_workgroup_id_x 1
		.amdhsa_system_sgpr_workgroup_id_y 0
		.amdhsa_system_sgpr_workgroup_id_z 0
		.amdhsa_system_sgpr_workgroup_info 0
		.amdhsa_system_vgpr_workitem_id 0
		.amdhsa_next_free_vgpr 1
		.amdhsa_next_free_sgpr 1
		.amdhsa_reserve_vcc 0
		.amdhsa_reserve_flat_scratch 0
		.amdhsa_float_round_mode_32 0
		.amdhsa_float_round_mode_16_64 0
		.amdhsa_float_denorm_mode_32 3
		.amdhsa_float_denorm_mode_16_64 3
		.amdhsa_dx10_clamp 1
		.amdhsa_ieee_mode 1
		.amdhsa_fp16_overflow 0
		.amdhsa_workgroup_processor_mode 1
		.amdhsa_memory_ordered 1
		.amdhsa_forward_progress 1
		.amdhsa_shared_vgpr_count 0
		.amdhsa_exception_fp_ieee_invalid_op 0
		.amdhsa_exception_fp_denorm_src 0
		.amdhsa_exception_fp_ieee_div_zero 0
		.amdhsa_exception_fp_ieee_overflow 0
		.amdhsa_exception_fp_ieee_underflow 0
		.amdhsa_exception_fp_ieee_inexact 0
		.amdhsa_exception_int_div_zero 0
	.end_amdhsa_kernel
	.section	.text._ZN7rocprim17ROCPRIM_400000_NS6detail17trampoline_kernelINS0_14default_configENS1_27scan_by_key_config_selectorIxxEEZZNS1_16scan_by_key_implILNS1_25lookback_scan_determinismE0ELb1ES3_N6thrust23THRUST_200600_302600_NS6detail15normal_iteratorINS9_10device_ptrIxEEEESE_SE_xNS9_10multipliesIxEENS9_8equal_toIxEExEE10hipError_tPvRmT2_T3_T4_T5_mT6_T7_P12ihipStream_tbENKUlT_T0_E_clISt17integral_constantIbLb1EESY_IbLb0EEEEDaSU_SV_EUlSU_E_NS1_11comp_targetILNS1_3genE10ELNS1_11target_archE1200ELNS1_3gpuE4ELNS1_3repE0EEENS1_30default_config_static_selectorELNS0_4arch9wavefront6targetE0EEEvT1_,"axG",@progbits,_ZN7rocprim17ROCPRIM_400000_NS6detail17trampoline_kernelINS0_14default_configENS1_27scan_by_key_config_selectorIxxEEZZNS1_16scan_by_key_implILNS1_25lookback_scan_determinismE0ELb1ES3_N6thrust23THRUST_200600_302600_NS6detail15normal_iteratorINS9_10device_ptrIxEEEESE_SE_xNS9_10multipliesIxEENS9_8equal_toIxEExEE10hipError_tPvRmT2_T3_T4_T5_mT6_T7_P12ihipStream_tbENKUlT_T0_E_clISt17integral_constantIbLb1EESY_IbLb0EEEEDaSU_SV_EUlSU_E_NS1_11comp_targetILNS1_3genE10ELNS1_11target_archE1200ELNS1_3gpuE4ELNS1_3repE0EEENS1_30default_config_static_selectorELNS0_4arch9wavefront6targetE0EEEvT1_,comdat
.Lfunc_end413:
	.size	_ZN7rocprim17ROCPRIM_400000_NS6detail17trampoline_kernelINS0_14default_configENS1_27scan_by_key_config_selectorIxxEEZZNS1_16scan_by_key_implILNS1_25lookback_scan_determinismE0ELb1ES3_N6thrust23THRUST_200600_302600_NS6detail15normal_iteratorINS9_10device_ptrIxEEEESE_SE_xNS9_10multipliesIxEENS9_8equal_toIxEExEE10hipError_tPvRmT2_T3_T4_T5_mT6_T7_P12ihipStream_tbENKUlT_T0_E_clISt17integral_constantIbLb1EESY_IbLb0EEEEDaSU_SV_EUlSU_E_NS1_11comp_targetILNS1_3genE10ELNS1_11target_archE1200ELNS1_3gpuE4ELNS1_3repE0EEENS1_30default_config_static_selectorELNS0_4arch9wavefront6targetE0EEEvT1_, .Lfunc_end413-_ZN7rocprim17ROCPRIM_400000_NS6detail17trampoline_kernelINS0_14default_configENS1_27scan_by_key_config_selectorIxxEEZZNS1_16scan_by_key_implILNS1_25lookback_scan_determinismE0ELb1ES3_N6thrust23THRUST_200600_302600_NS6detail15normal_iteratorINS9_10device_ptrIxEEEESE_SE_xNS9_10multipliesIxEENS9_8equal_toIxEExEE10hipError_tPvRmT2_T3_T4_T5_mT6_T7_P12ihipStream_tbENKUlT_T0_E_clISt17integral_constantIbLb1EESY_IbLb0EEEEDaSU_SV_EUlSU_E_NS1_11comp_targetILNS1_3genE10ELNS1_11target_archE1200ELNS1_3gpuE4ELNS1_3repE0EEENS1_30default_config_static_selectorELNS0_4arch9wavefront6targetE0EEEvT1_
                                        ; -- End function
	.set _ZN7rocprim17ROCPRIM_400000_NS6detail17trampoline_kernelINS0_14default_configENS1_27scan_by_key_config_selectorIxxEEZZNS1_16scan_by_key_implILNS1_25lookback_scan_determinismE0ELb1ES3_N6thrust23THRUST_200600_302600_NS6detail15normal_iteratorINS9_10device_ptrIxEEEESE_SE_xNS9_10multipliesIxEENS9_8equal_toIxEExEE10hipError_tPvRmT2_T3_T4_T5_mT6_T7_P12ihipStream_tbENKUlT_T0_E_clISt17integral_constantIbLb1EESY_IbLb0EEEEDaSU_SV_EUlSU_E_NS1_11comp_targetILNS1_3genE10ELNS1_11target_archE1200ELNS1_3gpuE4ELNS1_3repE0EEENS1_30default_config_static_selectorELNS0_4arch9wavefront6targetE0EEEvT1_.num_vgpr, 0
	.set _ZN7rocprim17ROCPRIM_400000_NS6detail17trampoline_kernelINS0_14default_configENS1_27scan_by_key_config_selectorIxxEEZZNS1_16scan_by_key_implILNS1_25lookback_scan_determinismE0ELb1ES3_N6thrust23THRUST_200600_302600_NS6detail15normal_iteratorINS9_10device_ptrIxEEEESE_SE_xNS9_10multipliesIxEENS9_8equal_toIxEExEE10hipError_tPvRmT2_T3_T4_T5_mT6_T7_P12ihipStream_tbENKUlT_T0_E_clISt17integral_constantIbLb1EESY_IbLb0EEEEDaSU_SV_EUlSU_E_NS1_11comp_targetILNS1_3genE10ELNS1_11target_archE1200ELNS1_3gpuE4ELNS1_3repE0EEENS1_30default_config_static_selectorELNS0_4arch9wavefront6targetE0EEEvT1_.num_agpr, 0
	.set _ZN7rocprim17ROCPRIM_400000_NS6detail17trampoline_kernelINS0_14default_configENS1_27scan_by_key_config_selectorIxxEEZZNS1_16scan_by_key_implILNS1_25lookback_scan_determinismE0ELb1ES3_N6thrust23THRUST_200600_302600_NS6detail15normal_iteratorINS9_10device_ptrIxEEEESE_SE_xNS9_10multipliesIxEENS9_8equal_toIxEExEE10hipError_tPvRmT2_T3_T4_T5_mT6_T7_P12ihipStream_tbENKUlT_T0_E_clISt17integral_constantIbLb1EESY_IbLb0EEEEDaSU_SV_EUlSU_E_NS1_11comp_targetILNS1_3genE10ELNS1_11target_archE1200ELNS1_3gpuE4ELNS1_3repE0EEENS1_30default_config_static_selectorELNS0_4arch9wavefront6targetE0EEEvT1_.numbered_sgpr, 0
	.set _ZN7rocprim17ROCPRIM_400000_NS6detail17trampoline_kernelINS0_14default_configENS1_27scan_by_key_config_selectorIxxEEZZNS1_16scan_by_key_implILNS1_25lookback_scan_determinismE0ELb1ES3_N6thrust23THRUST_200600_302600_NS6detail15normal_iteratorINS9_10device_ptrIxEEEESE_SE_xNS9_10multipliesIxEENS9_8equal_toIxEExEE10hipError_tPvRmT2_T3_T4_T5_mT6_T7_P12ihipStream_tbENKUlT_T0_E_clISt17integral_constantIbLb1EESY_IbLb0EEEEDaSU_SV_EUlSU_E_NS1_11comp_targetILNS1_3genE10ELNS1_11target_archE1200ELNS1_3gpuE4ELNS1_3repE0EEENS1_30default_config_static_selectorELNS0_4arch9wavefront6targetE0EEEvT1_.num_named_barrier, 0
	.set _ZN7rocprim17ROCPRIM_400000_NS6detail17trampoline_kernelINS0_14default_configENS1_27scan_by_key_config_selectorIxxEEZZNS1_16scan_by_key_implILNS1_25lookback_scan_determinismE0ELb1ES3_N6thrust23THRUST_200600_302600_NS6detail15normal_iteratorINS9_10device_ptrIxEEEESE_SE_xNS9_10multipliesIxEENS9_8equal_toIxEExEE10hipError_tPvRmT2_T3_T4_T5_mT6_T7_P12ihipStream_tbENKUlT_T0_E_clISt17integral_constantIbLb1EESY_IbLb0EEEEDaSU_SV_EUlSU_E_NS1_11comp_targetILNS1_3genE10ELNS1_11target_archE1200ELNS1_3gpuE4ELNS1_3repE0EEENS1_30default_config_static_selectorELNS0_4arch9wavefront6targetE0EEEvT1_.private_seg_size, 0
	.set _ZN7rocprim17ROCPRIM_400000_NS6detail17trampoline_kernelINS0_14default_configENS1_27scan_by_key_config_selectorIxxEEZZNS1_16scan_by_key_implILNS1_25lookback_scan_determinismE0ELb1ES3_N6thrust23THRUST_200600_302600_NS6detail15normal_iteratorINS9_10device_ptrIxEEEESE_SE_xNS9_10multipliesIxEENS9_8equal_toIxEExEE10hipError_tPvRmT2_T3_T4_T5_mT6_T7_P12ihipStream_tbENKUlT_T0_E_clISt17integral_constantIbLb1EESY_IbLb0EEEEDaSU_SV_EUlSU_E_NS1_11comp_targetILNS1_3genE10ELNS1_11target_archE1200ELNS1_3gpuE4ELNS1_3repE0EEENS1_30default_config_static_selectorELNS0_4arch9wavefront6targetE0EEEvT1_.uses_vcc, 0
	.set _ZN7rocprim17ROCPRIM_400000_NS6detail17trampoline_kernelINS0_14default_configENS1_27scan_by_key_config_selectorIxxEEZZNS1_16scan_by_key_implILNS1_25lookback_scan_determinismE0ELb1ES3_N6thrust23THRUST_200600_302600_NS6detail15normal_iteratorINS9_10device_ptrIxEEEESE_SE_xNS9_10multipliesIxEENS9_8equal_toIxEExEE10hipError_tPvRmT2_T3_T4_T5_mT6_T7_P12ihipStream_tbENKUlT_T0_E_clISt17integral_constantIbLb1EESY_IbLb0EEEEDaSU_SV_EUlSU_E_NS1_11comp_targetILNS1_3genE10ELNS1_11target_archE1200ELNS1_3gpuE4ELNS1_3repE0EEENS1_30default_config_static_selectorELNS0_4arch9wavefront6targetE0EEEvT1_.uses_flat_scratch, 0
	.set _ZN7rocprim17ROCPRIM_400000_NS6detail17trampoline_kernelINS0_14default_configENS1_27scan_by_key_config_selectorIxxEEZZNS1_16scan_by_key_implILNS1_25lookback_scan_determinismE0ELb1ES3_N6thrust23THRUST_200600_302600_NS6detail15normal_iteratorINS9_10device_ptrIxEEEESE_SE_xNS9_10multipliesIxEENS9_8equal_toIxEExEE10hipError_tPvRmT2_T3_T4_T5_mT6_T7_P12ihipStream_tbENKUlT_T0_E_clISt17integral_constantIbLb1EESY_IbLb0EEEEDaSU_SV_EUlSU_E_NS1_11comp_targetILNS1_3genE10ELNS1_11target_archE1200ELNS1_3gpuE4ELNS1_3repE0EEENS1_30default_config_static_selectorELNS0_4arch9wavefront6targetE0EEEvT1_.has_dyn_sized_stack, 0
	.set _ZN7rocprim17ROCPRIM_400000_NS6detail17trampoline_kernelINS0_14default_configENS1_27scan_by_key_config_selectorIxxEEZZNS1_16scan_by_key_implILNS1_25lookback_scan_determinismE0ELb1ES3_N6thrust23THRUST_200600_302600_NS6detail15normal_iteratorINS9_10device_ptrIxEEEESE_SE_xNS9_10multipliesIxEENS9_8equal_toIxEExEE10hipError_tPvRmT2_T3_T4_T5_mT6_T7_P12ihipStream_tbENKUlT_T0_E_clISt17integral_constantIbLb1EESY_IbLb0EEEEDaSU_SV_EUlSU_E_NS1_11comp_targetILNS1_3genE10ELNS1_11target_archE1200ELNS1_3gpuE4ELNS1_3repE0EEENS1_30default_config_static_selectorELNS0_4arch9wavefront6targetE0EEEvT1_.has_recursion, 0
	.set _ZN7rocprim17ROCPRIM_400000_NS6detail17trampoline_kernelINS0_14default_configENS1_27scan_by_key_config_selectorIxxEEZZNS1_16scan_by_key_implILNS1_25lookback_scan_determinismE0ELb1ES3_N6thrust23THRUST_200600_302600_NS6detail15normal_iteratorINS9_10device_ptrIxEEEESE_SE_xNS9_10multipliesIxEENS9_8equal_toIxEExEE10hipError_tPvRmT2_T3_T4_T5_mT6_T7_P12ihipStream_tbENKUlT_T0_E_clISt17integral_constantIbLb1EESY_IbLb0EEEEDaSU_SV_EUlSU_E_NS1_11comp_targetILNS1_3genE10ELNS1_11target_archE1200ELNS1_3gpuE4ELNS1_3repE0EEENS1_30default_config_static_selectorELNS0_4arch9wavefront6targetE0EEEvT1_.has_indirect_call, 0
	.section	.AMDGPU.csdata,"",@progbits
; Kernel info:
; codeLenInByte = 0
; TotalNumSgprs: 0
; NumVgprs: 0
; ScratchSize: 0
; MemoryBound: 0
; FloatMode: 240
; IeeeMode: 1
; LDSByteSize: 0 bytes/workgroup (compile time only)
; SGPRBlocks: 0
; VGPRBlocks: 0
; NumSGPRsForWavesPerEU: 1
; NumVGPRsForWavesPerEU: 1
; Occupancy: 16
; WaveLimiterHint : 0
; COMPUTE_PGM_RSRC2:SCRATCH_EN: 0
; COMPUTE_PGM_RSRC2:USER_SGPR: 6
; COMPUTE_PGM_RSRC2:TRAP_HANDLER: 0
; COMPUTE_PGM_RSRC2:TGID_X_EN: 1
; COMPUTE_PGM_RSRC2:TGID_Y_EN: 0
; COMPUTE_PGM_RSRC2:TGID_Z_EN: 0
; COMPUTE_PGM_RSRC2:TIDIG_COMP_CNT: 0
	.section	.text._ZN7rocprim17ROCPRIM_400000_NS6detail17trampoline_kernelINS0_14default_configENS1_27scan_by_key_config_selectorIxxEEZZNS1_16scan_by_key_implILNS1_25lookback_scan_determinismE0ELb1ES3_N6thrust23THRUST_200600_302600_NS6detail15normal_iteratorINS9_10device_ptrIxEEEESE_SE_xNS9_10multipliesIxEENS9_8equal_toIxEExEE10hipError_tPvRmT2_T3_T4_T5_mT6_T7_P12ihipStream_tbENKUlT_T0_E_clISt17integral_constantIbLb1EESY_IbLb0EEEEDaSU_SV_EUlSU_E_NS1_11comp_targetILNS1_3genE9ELNS1_11target_archE1100ELNS1_3gpuE3ELNS1_3repE0EEENS1_30default_config_static_selectorELNS0_4arch9wavefront6targetE0EEEvT1_,"axG",@progbits,_ZN7rocprim17ROCPRIM_400000_NS6detail17trampoline_kernelINS0_14default_configENS1_27scan_by_key_config_selectorIxxEEZZNS1_16scan_by_key_implILNS1_25lookback_scan_determinismE0ELb1ES3_N6thrust23THRUST_200600_302600_NS6detail15normal_iteratorINS9_10device_ptrIxEEEESE_SE_xNS9_10multipliesIxEENS9_8equal_toIxEExEE10hipError_tPvRmT2_T3_T4_T5_mT6_T7_P12ihipStream_tbENKUlT_T0_E_clISt17integral_constantIbLb1EESY_IbLb0EEEEDaSU_SV_EUlSU_E_NS1_11comp_targetILNS1_3genE9ELNS1_11target_archE1100ELNS1_3gpuE3ELNS1_3repE0EEENS1_30default_config_static_selectorELNS0_4arch9wavefront6targetE0EEEvT1_,comdat
	.protected	_ZN7rocprim17ROCPRIM_400000_NS6detail17trampoline_kernelINS0_14default_configENS1_27scan_by_key_config_selectorIxxEEZZNS1_16scan_by_key_implILNS1_25lookback_scan_determinismE0ELb1ES3_N6thrust23THRUST_200600_302600_NS6detail15normal_iteratorINS9_10device_ptrIxEEEESE_SE_xNS9_10multipliesIxEENS9_8equal_toIxEExEE10hipError_tPvRmT2_T3_T4_T5_mT6_T7_P12ihipStream_tbENKUlT_T0_E_clISt17integral_constantIbLb1EESY_IbLb0EEEEDaSU_SV_EUlSU_E_NS1_11comp_targetILNS1_3genE9ELNS1_11target_archE1100ELNS1_3gpuE3ELNS1_3repE0EEENS1_30default_config_static_selectorELNS0_4arch9wavefront6targetE0EEEvT1_ ; -- Begin function _ZN7rocprim17ROCPRIM_400000_NS6detail17trampoline_kernelINS0_14default_configENS1_27scan_by_key_config_selectorIxxEEZZNS1_16scan_by_key_implILNS1_25lookback_scan_determinismE0ELb1ES3_N6thrust23THRUST_200600_302600_NS6detail15normal_iteratorINS9_10device_ptrIxEEEESE_SE_xNS9_10multipliesIxEENS9_8equal_toIxEExEE10hipError_tPvRmT2_T3_T4_T5_mT6_T7_P12ihipStream_tbENKUlT_T0_E_clISt17integral_constantIbLb1EESY_IbLb0EEEEDaSU_SV_EUlSU_E_NS1_11comp_targetILNS1_3genE9ELNS1_11target_archE1100ELNS1_3gpuE3ELNS1_3repE0EEENS1_30default_config_static_selectorELNS0_4arch9wavefront6targetE0EEEvT1_
	.globl	_ZN7rocprim17ROCPRIM_400000_NS6detail17trampoline_kernelINS0_14default_configENS1_27scan_by_key_config_selectorIxxEEZZNS1_16scan_by_key_implILNS1_25lookback_scan_determinismE0ELb1ES3_N6thrust23THRUST_200600_302600_NS6detail15normal_iteratorINS9_10device_ptrIxEEEESE_SE_xNS9_10multipliesIxEENS9_8equal_toIxEExEE10hipError_tPvRmT2_T3_T4_T5_mT6_T7_P12ihipStream_tbENKUlT_T0_E_clISt17integral_constantIbLb1EESY_IbLb0EEEEDaSU_SV_EUlSU_E_NS1_11comp_targetILNS1_3genE9ELNS1_11target_archE1100ELNS1_3gpuE3ELNS1_3repE0EEENS1_30default_config_static_selectorELNS0_4arch9wavefront6targetE0EEEvT1_
	.p2align	8
	.type	_ZN7rocprim17ROCPRIM_400000_NS6detail17trampoline_kernelINS0_14default_configENS1_27scan_by_key_config_selectorIxxEEZZNS1_16scan_by_key_implILNS1_25lookback_scan_determinismE0ELb1ES3_N6thrust23THRUST_200600_302600_NS6detail15normal_iteratorINS9_10device_ptrIxEEEESE_SE_xNS9_10multipliesIxEENS9_8equal_toIxEExEE10hipError_tPvRmT2_T3_T4_T5_mT6_T7_P12ihipStream_tbENKUlT_T0_E_clISt17integral_constantIbLb1EESY_IbLb0EEEEDaSU_SV_EUlSU_E_NS1_11comp_targetILNS1_3genE9ELNS1_11target_archE1100ELNS1_3gpuE3ELNS1_3repE0EEENS1_30default_config_static_selectorELNS0_4arch9wavefront6targetE0EEEvT1_,@function
_ZN7rocprim17ROCPRIM_400000_NS6detail17trampoline_kernelINS0_14default_configENS1_27scan_by_key_config_selectorIxxEEZZNS1_16scan_by_key_implILNS1_25lookback_scan_determinismE0ELb1ES3_N6thrust23THRUST_200600_302600_NS6detail15normal_iteratorINS9_10device_ptrIxEEEESE_SE_xNS9_10multipliesIxEENS9_8equal_toIxEExEE10hipError_tPvRmT2_T3_T4_T5_mT6_T7_P12ihipStream_tbENKUlT_T0_E_clISt17integral_constantIbLb1EESY_IbLb0EEEEDaSU_SV_EUlSU_E_NS1_11comp_targetILNS1_3genE9ELNS1_11target_archE1100ELNS1_3gpuE3ELNS1_3repE0EEENS1_30default_config_static_selectorELNS0_4arch9wavefront6targetE0EEEvT1_: ; @_ZN7rocprim17ROCPRIM_400000_NS6detail17trampoline_kernelINS0_14default_configENS1_27scan_by_key_config_selectorIxxEEZZNS1_16scan_by_key_implILNS1_25lookback_scan_determinismE0ELb1ES3_N6thrust23THRUST_200600_302600_NS6detail15normal_iteratorINS9_10device_ptrIxEEEESE_SE_xNS9_10multipliesIxEENS9_8equal_toIxEExEE10hipError_tPvRmT2_T3_T4_T5_mT6_T7_P12ihipStream_tbENKUlT_T0_E_clISt17integral_constantIbLb1EESY_IbLb0EEEEDaSU_SV_EUlSU_E_NS1_11comp_targetILNS1_3genE9ELNS1_11target_archE1100ELNS1_3gpuE3ELNS1_3repE0EEENS1_30default_config_static_selectorELNS0_4arch9wavefront6targetE0EEEvT1_
; %bb.0:
	.section	.rodata,"a",@progbits
	.p2align	6, 0x0
	.amdhsa_kernel _ZN7rocprim17ROCPRIM_400000_NS6detail17trampoline_kernelINS0_14default_configENS1_27scan_by_key_config_selectorIxxEEZZNS1_16scan_by_key_implILNS1_25lookback_scan_determinismE0ELb1ES3_N6thrust23THRUST_200600_302600_NS6detail15normal_iteratorINS9_10device_ptrIxEEEESE_SE_xNS9_10multipliesIxEENS9_8equal_toIxEExEE10hipError_tPvRmT2_T3_T4_T5_mT6_T7_P12ihipStream_tbENKUlT_T0_E_clISt17integral_constantIbLb1EESY_IbLb0EEEEDaSU_SV_EUlSU_E_NS1_11comp_targetILNS1_3genE9ELNS1_11target_archE1100ELNS1_3gpuE3ELNS1_3repE0EEENS1_30default_config_static_selectorELNS0_4arch9wavefront6targetE0EEEvT1_
		.amdhsa_group_segment_fixed_size 0
		.amdhsa_private_segment_fixed_size 0
		.amdhsa_kernarg_size 136
		.amdhsa_user_sgpr_count 6
		.amdhsa_user_sgpr_private_segment_buffer 1
		.amdhsa_user_sgpr_dispatch_ptr 0
		.amdhsa_user_sgpr_queue_ptr 0
		.amdhsa_user_sgpr_kernarg_segment_ptr 1
		.amdhsa_user_sgpr_dispatch_id 0
		.amdhsa_user_sgpr_flat_scratch_init 0
		.amdhsa_user_sgpr_private_segment_size 0
		.amdhsa_wavefront_size32 1
		.amdhsa_uses_dynamic_stack 0
		.amdhsa_system_sgpr_private_segment_wavefront_offset 0
		.amdhsa_system_sgpr_workgroup_id_x 1
		.amdhsa_system_sgpr_workgroup_id_y 0
		.amdhsa_system_sgpr_workgroup_id_z 0
		.amdhsa_system_sgpr_workgroup_info 0
		.amdhsa_system_vgpr_workitem_id 0
		.amdhsa_next_free_vgpr 1
		.amdhsa_next_free_sgpr 1
		.amdhsa_reserve_vcc 0
		.amdhsa_reserve_flat_scratch 0
		.amdhsa_float_round_mode_32 0
		.amdhsa_float_round_mode_16_64 0
		.amdhsa_float_denorm_mode_32 3
		.amdhsa_float_denorm_mode_16_64 3
		.amdhsa_dx10_clamp 1
		.amdhsa_ieee_mode 1
		.amdhsa_fp16_overflow 0
		.amdhsa_workgroup_processor_mode 1
		.amdhsa_memory_ordered 1
		.amdhsa_forward_progress 1
		.amdhsa_shared_vgpr_count 0
		.amdhsa_exception_fp_ieee_invalid_op 0
		.amdhsa_exception_fp_denorm_src 0
		.amdhsa_exception_fp_ieee_div_zero 0
		.amdhsa_exception_fp_ieee_overflow 0
		.amdhsa_exception_fp_ieee_underflow 0
		.amdhsa_exception_fp_ieee_inexact 0
		.amdhsa_exception_int_div_zero 0
	.end_amdhsa_kernel
	.section	.text._ZN7rocprim17ROCPRIM_400000_NS6detail17trampoline_kernelINS0_14default_configENS1_27scan_by_key_config_selectorIxxEEZZNS1_16scan_by_key_implILNS1_25lookback_scan_determinismE0ELb1ES3_N6thrust23THRUST_200600_302600_NS6detail15normal_iteratorINS9_10device_ptrIxEEEESE_SE_xNS9_10multipliesIxEENS9_8equal_toIxEExEE10hipError_tPvRmT2_T3_T4_T5_mT6_T7_P12ihipStream_tbENKUlT_T0_E_clISt17integral_constantIbLb1EESY_IbLb0EEEEDaSU_SV_EUlSU_E_NS1_11comp_targetILNS1_3genE9ELNS1_11target_archE1100ELNS1_3gpuE3ELNS1_3repE0EEENS1_30default_config_static_selectorELNS0_4arch9wavefront6targetE0EEEvT1_,"axG",@progbits,_ZN7rocprim17ROCPRIM_400000_NS6detail17trampoline_kernelINS0_14default_configENS1_27scan_by_key_config_selectorIxxEEZZNS1_16scan_by_key_implILNS1_25lookback_scan_determinismE0ELb1ES3_N6thrust23THRUST_200600_302600_NS6detail15normal_iteratorINS9_10device_ptrIxEEEESE_SE_xNS9_10multipliesIxEENS9_8equal_toIxEExEE10hipError_tPvRmT2_T3_T4_T5_mT6_T7_P12ihipStream_tbENKUlT_T0_E_clISt17integral_constantIbLb1EESY_IbLb0EEEEDaSU_SV_EUlSU_E_NS1_11comp_targetILNS1_3genE9ELNS1_11target_archE1100ELNS1_3gpuE3ELNS1_3repE0EEENS1_30default_config_static_selectorELNS0_4arch9wavefront6targetE0EEEvT1_,comdat
.Lfunc_end414:
	.size	_ZN7rocprim17ROCPRIM_400000_NS6detail17trampoline_kernelINS0_14default_configENS1_27scan_by_key_config_selectorIxxEEZZNS1_16scan_by_key_implILNS1_25lookback_scan_determinismE0ELb1ES3_N6thrust23THRUST_200600_302600_NS6detail15normal_iteratorINS9_10device_ptrIxEEEESE_SE_xNS9_10multipliesIxEENS9_8equal_toIxEExEE10hipError_tPvRmT2_T3_T4_T5_mT6_T7_P12ihipStream_tbENKUlT_T0_E_clISt17integral_constantIbLb1EESY_IbLb0EEEEDaSU_SV_EUlSU_E_NS1_11comp_targetILNS1_3genE9ELNS1_11target_archE1100ELNS1_3gpuE3ELNS1_3repE0EEENS1_30default_config_static_selectorELNS0_4arch9wavefront6targetE0EEEvT1_, .Lfunc_end414-_ZN7rocprim17ROCPRIM_400000_NS6detail17trampoline_kernelINS0_14default_configENS1_27scan_by_key_config_selectorIxxEEZZNS1_16scan_by_key_implILNS1_25lookback_scan_determinismE0ELb1ES3_N6thrust23THRUST_200600_302600_NS6detail15normal_iteratorINS9_10device_ptrIxEEEESE_SE_xNS9_10multipliesIxEENS9_8equal_toIxEExEE10hipError_tPvRmT2_T3_T4_T5_mT6_T7_P12ihipStream_tbENKUlT_T0_E_clISt17integral_constantIbLb1EESY_IbLb0EEEEDaSU_SV_EUlSU_E_NS1_11comp_targetILNS1_3genE9ELNS1_11target_archE1100ELNS1_3gpuE3ELNS1_3repE0EEENS1_30default_config_static_selectorELNS0_4arch9wavefront6targetE0EEEvT1_
                                        ; -- End function
	.set _ZN7rocprim17ROCPRIM_400000_NS6detail17trampoline_kernelINS0_14default_configENS1_27scan_by_key_config_selectorIxxEEZZNS1_16scan_by_key_implILNS1_25lookback_scan_determinismE0ELb1ES3_N6thrust23THRUST_200600_302600_NS6detail15normal_iteratorINS9_10device_ptrIxEEEESE_SE_xNS9_10multipliesIxEENS9_8equal_toIxEExEE10hipError_tPvRmT2_T3_T4_T5_mT6_T7_P12ihipStream_tbENKUlT_T0_E_clISt17integral_constantIbLb1EESY_IbLb0EEEEDaSU_SV_EUlSU_E_NS1_11comp_targetILNS1_3genE9ELNS1_11target_archE1100ELNS1_3gpuE3ELNS1_3repE0EEENS1_30default_config_static_selectorELNS0_4arch9wavefront6targetE0EEEvT1_.num_vgpr, 0
	.set _ZN7rocprim17ROCPRIM_400000_NS6detail17trampoline_kernelINS0_14default_configENS1_27scan_by_key_config_selectorIxxEEZZNS1_16scan_by_key_implILNS1_25lookback_scan_determinismE0ELb1ES3_N6thrust23THRUST_200600_302600_NS6detail15normal_iteratorINS9_10device_ptrIxEEEESE_SE_xNS9_10multipliesIxEENS9_8equal_toIxEExEE10hipError_tPvRmT2_T3_T4_T5_mT6_T7_P12ihipStream_tbENKUlT_T0_E_clISt17integral_constantIbLb1EESY_IbLb0EEEEDaSU_SV_EUlSU_E_NS1_11comp_targetILNS1_3genE9ELNS1_11target_archE1100ELNS1_3gpuE3ELNS1_3repE0EEENS1_30default_config_static_selectorELNS0_4arch9wavefront6targetE0EEEvT1_.num_agpr, 0
	.set _ZN7rocprim17ROCPRIM_400000_NS6detail17trampoline_kernelINS0_14default_configENS1_27scan_by_key_config_selectorIxxEEZZNS1_16scan_by_key_implILNS1_25lookback_scan_determinismE0ELb1ES3_N6thrust23THRUST_200600_302600_NS6detail15normal_iteratorINS9_10device_ptrIxEEEESE_SE_xNS9_10multipliesIxEENS9_8equal_toIxEExEE10hipError_tPvRmT2_T3_T4_T5_mT6_T7_P12ihipStream_tbENKUlT_T0_E_clISt17integral_constantIbLb1EESY_IbLb0EEEEDaSU_SV_EUlSU_E_NS1_11comp_targetILNS1_3genE9ELNS1_11target_archE1100ELNS1_3gpuE3ELNS1_3repE0EEENS1_30default_config_static_selectorELNS0_4arch9wavefront6targetE0EEEvT1_.numbered_sgpr, 0
	.set _ZN7rocprim17ROCPRIM_400000_NS6detail17trampoline_kernelINS0_14default_configENS1_27scan_by_key_config_selectorIxxEEZZNS1_16scan_by_key_implILNS1_25lookback_scan_determinismE0ELb1ES3_N6thrust23THRUST_200600_302600_NS6detail15normal_iteratorINS9_10device_ptrIxEEEESE_SE_xNS9_10multipliesIxEENS9_8equal_toIxEExEE10hipError_tPvRmT2_T3_T4_T5_mT6_T7_P12ihipStream_tbENKUlT_T0_E_clISt17integral_constantIbLb1EESY_IbLb0EEEEDaSU_SV_EUlSU_E_NS1_11comp_targetILNS1_3genE9ELNS1_11target_archE1100ELNS1_3gpuE3ELNS1_3repE0EEENS1_30default_config_static_selectorELNS0_4arch9wavefront6targetE0EEEvT1_.num_named_barrier, 0
	.set _ZN7rocprim17ROCPRIM_400000_NS6detail17trampoline_kernelINS0_14default_configENS1_27scan_by_key_config_selectorIxxEEZZNS1_16scan_by_key_implILNS1_25lookback_scan_determinismE0ELb1ES3_N6thrust23THRUST_200600_302600_NS6detail15normal_iteratorINS9_10device_ptrIxEEEESE_SE_xNS9_10multipliesIxEENS9_8equal_toIxEExEE10hipError_tPvRmT2_T3_T4_T5_mT6_T7_P12ihipStream_tbENKUlT_T0_E_clISt17integral_constantIbLb1EESY_IbLb0EEEEDaSU_SV_EUlSU_E_NS1_11comp_targetILNS1_3genE9ELNS1_11target_archE1100ELNS1_3gpuE3ELNS1_3repE0EEENS1_30default_config_static_selectorELNS0_4arch9wavefront6targetE0EEEvT1_.private_seg_size, 0
	.set _ZN7rocprim17ROCPRIM_400000_NS6detail17trampoline_kernelINS0_14default_configENS1_27scan_by_key_config_selectorIxxEEZZNS1_16scan_by_key_implILNS1_25lookback_scan_determinismE0ELb1ES3_N6thrust23THRUST_200600_302600_NS6detail15normal_iteratorINS9_10device_ptrIxEEEESE_SE_xNS9_10multipliesIxEENS9_8equal_toIxEExEE10hipError_tPvRmT2_T3_T4_T5_mT6_T7_P12ihipStream_tbENKUlT_T0_E_clISt17integral_constantIbLb1EESY_IbLb0EEEEDaSU_SV_EUlSU_E_NS1_11comp_targetILNS1_3genE9ELNS1_11target_archE1100ELNS1_3gpuE3ELNS1_3repE0EEENS1_30default_config_static_selectorELNS0_4arch9wavefront6targetE0EEEvT1_.uses_vcc, 0
	.set _ZN7rocprim17ROCPRIM_400000_NS6detail17trampoline_kernelINS0_14default_configENS1_27scan_by_key_config_selectorIxxEEZZNS1_16scan_by_key_implILNS1_25lookback_scan_determinismE0ELb1ES3_N6thrust23THRUST_200600_302600_NS6detail15normal_iteratorINS9_10device_ptrIxEEEESE_SE_xNS9_10multipliesIxEENS9_8equal_toIxEExEE10hipError_tPvRmT2_T3_T4_T5_mT6_T7_P12ihipStream_tbENKUlT_T0_E_clISt17integral_constantIbLb1EESY_IbLb0EEEEDaSU_SV_EUlSU_E_NS1_11comp_targetILNS1_3genE9ELNS1_11target_archE1100ELNS1_3gpuE3ELNS1_3repE0EEENS1_30default_config_static_selectorELNS0_4arch9wavefront6targetE0EEEvT1_.uses_flat_scratch, 0
	.set _ZN7rocprim17ROCPRIM_400000_NS6detail17trampoline_kernelINS0_14default_configENS1_27scan_by_key_config_selectorIxxEEZZNS1_16scan_by_key_implILNS1_25lookback_scan_determinismE0ELb1ES3_N6thrust23THRUST_200600_302600_NS6detail15normal_iteratorINS9_10device_ptrIxEEEESE_SE_xNS9_10multipliesIxEENS9_8equal_toIxEExEE10hipError_tPvRmT2_T3_T4_T5_mT6_T7_P12ihipStream_tbENKUlT_T0_E_clISt17integral_constantIbLb1EESY_IbLb0EEEEDaSU_SV_EUlSU_E_NS1_11comp_targetILNS1_3genE9ELNS1_11target_archE1100ELNS1_3gpuE3ELNS1_3repE0EEENS1_30default_config_static_selectorELNS0_4arch9wavefront6targetE0EEEvT1_.has_dyn_sized_stack, 0
	.set _ZN7rocprim17ROCPRIM_400000_NS6detail17trampoline_kernelINS0_14default_configENS1_27scan_by_key_config_selectorIxxEEZZNS1_16scan_by_key_implILNS1_25lookback_scan_determinismE0ELb1ES3_N6thrust23THRUST_200600_302600_NS6detail15normal_iteratorINS9_10device_ptrIxEEEESE_SE_xNS9_10multipliesIxEENS9_8equal_toIxEExEE10hipError_tPvRmT2_T3_T4_T5_mT6_T7_P12ihipStream_tbENKUlT_T0_E_clISt17integral_constantIbLb1EESY_IbLb0EEEEDaSU_SV_EUlSU_E_NS1_11comp_targetILNS1_3genE9ELNS1_11target_archE1100ELNS1_3gpuE3ELNS1_3repE0EEENS1_30default_config_static_selectorELNS0_4arch9wavefront6targetE0EEEvT1_.has_recursion, 0
	.set _ZN7rocprim17ROCPRIM_400000_NS6detail17trampoline_kernelINS0_14default_configENS1_27scan_by_key_config_selectorIxxEEZZNS1_16scan_by_key_implILNS1_25lookback_scan_determinismE0ELb1ES3_N6thrust23THRUST_200600_302600_NS6detail15normal_iteratorINS9_10device_ptrIxEEEESE_SE_xNS9_10multipliesIxEENS9_8equal_toIxEExEE10hipError_tPvRmT2_T3_T4_T5_mT6_T7_P12ihipStream_tbENKUlT_T0_E_clISt17integral_constantIbLb1EESY_IbLb0EEEEDaSU_SV_EUlSU_E_NS1_11comp_targetILNS1_3genE9ELNS1_11target_archE1100ELNS1_3gpuE3ELNS1_3repE0EEENS1_30default_config_static_selectorELNS0_4arch9wavefront6targetE0EEEvT1_.has_indirect_call, 0
	.section	.AMDGPU.csdata,"",@progbits
; Kernel info:
; codeLenInByte = 0
; TotalNumSgprs: 0
; NumVgprs: 0
; ScratchSize: 0
; MemoryBound: 0
; FloatMode: 240
; IeeeMode: 1
; LDSByteSize: 0 bytes/workgroup (compile time only)
; SGPRBlocks: 0
; VGPRBlocks: 0
; NumSGPRsForWavesPerEU: 1
; NumVGPRsForWavesPerEU: 1
; Occupancy: 16
; WaveLimiterHint : 0
; COMPUTE_PGM_RSRC2:SCRATCH_EN: 0
; COMPUTE_PGM_RSRC2:USER_SGPR: 6
; COMPUTE_PGM_RSRC2:TRAP_HANDLER: 0
; COMPUTE_PGM_RSRC2:TGID_X_EN: 1
; COMPUTE_PGM_RSRC2:TGID_Y_EN: 0
; COMPUTE_PGM_RSRC2:TGID_Z_EN: 0
; COMPUTE_PGM_RSRC2:TIDIG_COMP_CNT: 0
	.section	.text._ZN7rocprim17ROCPRIM_400000_NS6detail17trampoline_kernelINS0_14default_configENS1_27scan_by_key_config_selectorIxxEEZZNS1_16scan_by_key_implILNS1_25lookback_scan_determinismE0ELb1ES3_N6thrust23THRUST_200600_302600_NS6detail15normal_iteratorINS9_10device_ptrIxEEEESE_SE_xNS9_10multipliesIxEENS9_8equal_toIxEExEE10hipError_tPvRmT2_T3_T4_T5_mT6_T7_P12ihipStream_tbENKUlT_T0_E_clISt17integral_constantIbLb1EESY_IbLb0EEEEDaSU_SV_EUlSU_E_NS1_11comp_targetILNS1_3genE8ELNS1_11target_archE1030ELNS1_3gpuE2ELNS1_3repE0EEENS1_30default_config_static_selectorELNS0_4arch9wavefront6targetE0EEEvT1_,"axG",@progbits,_ZN7rocprim17ROCPRIM_400000_NS6detail17trampoline_kernelINS0_14default_configENS1_27scan_by_key_config_selectorIxxEEZZNS1_16scan_by_key_implILNS1_25lookback_scan_determinismE0ELb1ES3_N6thrust23THRUST_200600_302600_NS6detail15normal_iteratorINS9_10device_ptrIxEEEESE_SE_xNS9_10multipliesIxEENS9_8equal_toIxEExEE10hipError_tPvRmT2_T3_T4_T5_mT6_T7_P12ihipStream_tbENKUlT_T0_E_clISt17integral_constantIbLb1EESY_IbLb0EEEEDaSU_SV_EUlSU_E_NS1_11comp_targetILNS1_3genE8ELNS1_11target_archE1030ELNS1_3gpuE2ELNS1_3repE0EEENS1_30default_config_static_selectorELNS0_4arch9wavefront6targetE0EEEvT1_,comdat
	.protected	_ZN7rocprim17ROCPRIM_400000_NS6detail17trampoline_kernelINS0_14default_configENS1_27scan_by_key_config_selectorIxxEEZZNS1_16scan_by_key_implILNS1_25lookback_scan_determinismE0ELb1ES3_N6thrust23THRUST_200600_302600_NS6detail15normal_iteratorINS9_10device_ptrIxEEEESE_SE_xNS9_10multipliesIxEENS9_8equal_toIxEExEE10hipError_tPvRmT2_T3_T4_T5_mT6_T7_P12ihipStream_tbENKUlT_T0_E_clISt17integral_constantIbLb1EESY_IbLb0EEEEDaSU_SV_EUlSU_E_NS1_11comp_targetILNS1_3genE8ELNS1_11target_archE1030ELNS1_3gpuE2ELNS1_3repE0EEENS1_30default_config_static_selectorELNS0_4arch9wavefront6targetE0EEEvT1_ ; -- Begin function _ZN7rocprim17ROCPRIM_400000_NS6detail17trampoline_kernelINS0_14default_configENS1_27scan_by_key_config_selectorIxxEEZZNS1_16scan_by_key_implILNS1_25lookback_scan_determinismE0ELb1ES3_N6thrust23THRUST_200600_302600_NS6detail15normal_iteratorINS9_10device_ptrIxEEEESE_SE_xNS9_10multipliesIxEENS9_8equal_toIxEExEE10hipError_tPvRmT2_T3_T4_T5_mT6_T7_P12ihipStream_tbENKUlT_T0_E_clISt17integral_constantIbLb1EESY_IbLb0EEEEDaSU_SV_EUlSU_E_NS1_11comp_targetILNS1_3genE8ELNS1_11target_archE1030ELNS1_3gpuE2ELNS1_3repE0EEENS1_30default_config_static_selectorELNS0_4arch9wavefront6targetE0EEEvT1_
	.globl	_ZN7rocprim17ROCPRIM_400000_NS6detail17trampoline_kernelINS0_14default_configENS1_27scan_by_key_config_selectorIxxEEZZNS1_16scan_by_key_implILNS1_25lookback_scan_determinismE0ELb1ES3_N6thrust23THRUST_200600_302600_NS6detail15normal_iteratorINS9_10device_ptrIxEEEESE_SE_xNS9_10multipliesIxEENS9_8equal_toIxEExEE10hipError_tPvRmT2_T3_T4_T5_mT6_T7_P12ihipStream_tbENKUlT_T0_E_clISt17integral_constantIbLb1EESY_IbLb0EEEEDaSU_SV_EUlSU_E_NS1_11comp_targetILNS1_3genE8ELNS1_11target_archE1030ELNS1_3gpuE2ELNS1_3repE0EEENS1_30default_config_static_selectorELNS0_4arch9wavefront6targetE0EEEvT1_
	.p2align	8
	.type	_ZN7rocprim17ROCPRIM_400000_NS6detail17trampoline_kernelINS0_14default_configENS1_27scan_by_key_config_selectorIxxEEZZNS1_16scan_by_key_implILNS1_25lookback_scan_determinismE0ELb1ES3_N6thrust23THRUST_200600_302600_NS6detail15normal_iteratorINS9_10device_ptrIxEEEESE_SE_xNS9_10multipliesIxEENS9_8equal_toIxEExEE10hipError_tPvRmT2_T3_T4_T5_mT6_T7_P12ihipStream_tbENKUlT_T0_E_clISt17integral_constantIbLb1EESY_IbLb0EEEEDaSU_SV_EUlSU_E_NS1_11comp_targetILNS1_3genE8ELNS1_11target_archE1030ELNS1_3gpuE2ELNS1_3repE0EEENS1_30default_config_static_selectorELNS0_4arch9wavefront6targetE0EEEvT1_,@function
_ZN7rocprim17ROCPRIM_400000_NS6detail17trampoline_kernelINS0_14default_configENS1_27scan_by_key_config_selectorIxxEEZZNS1_16scan_by_key_implILNS1_25lookback_scan_determinismE0ELb1ES3_N6thrust23THRUST_200600_302600_NS6detail15normal_iteratorINS9_10device_ptrIxEEEESE_SE_xNS9_10multipliesIxEENS9_8equal_toIxEExEE10hipError_tPvRmT2_T3_T4_T5_mT6_T7_P12ihipStream_tbENKUlT_T0_E_clISt17integral_constantIbLb1EESY_IbLb0EEEEDaSU_SV_EUlSU_E_NS1_11comp_targetILNS1_3genE8ELNS1_11target_archE1030ELNS1_3gpuE2ELNS1_3repE0EEENS1_30default_config_static_selectorELNS0_4arch9wavefront6targetE0EEEvT1_: ; @_ZN7rocprim17ROCPRIM_400000_NS6detail17trampoline_kernelINS0_14default_configENS1_27scan_by_key_config_selectorIxxEEZZNS1_16scan_by_key_implILNS1_25lookback_scan_determinismE0ELb1ES3_N6thrust23THRUST_200600_302600_NS6detail15normal_iteratorINS9_10device_ptrIxEEEESE_SE_xNS9_10multipliesIxEENS9_8equal_toIxEExEE10hipError_tPvRmT2_T3_T4_T5_mT6_T7_P12ihipStream_tbENKUlT_T0_E_clISt17integral_constantIbLb1EESY_IbLb0EEEEDaSU_SV_EUlSU_E_NS1_11comp_targetILNS1_3genE8ELNS1_11target_archE1030ELNS1_3gpuE2ELNS1_3repE0EEENS1_30default_config_static_selectorELNS0_4arch9wavefront6targetE0EEEvT1_
; %bb.0:
	s_endpgm
	.section	.rodata,"a",@progbits
	.p2align	6, 0x0
	.amdhsa_kernel _ZN7rocprim17ROCPRIM_400000_NS6detail17trampoline_kernelINS0_14default_configENS1_27scan_by_key_config_selectorIxxEEZZNS1_16scan_by_key_implILNS1_25lookback_scan_determinismE0ELb1ES3_N6thrust23THRUST_200600_302600_NS6detail15normal_iteratorINS9_10device_ptrIxEEEESE_SE_xNS9_10multipliesIxEENS9_8equal_toIxEExEE10hipError_tPvRmT2_T3_T4_T5_mT6_T7_P12ihipStream_tbENKUlT_T0_E_clISt17integral_constantIbLb1EESY_IbLb0EEEEDaSU_SV_EUlSU_E_NS1_11comp_targetILNS1_3genE8ELNS1_11target_archE1030ELNS1_3gpuE2ELNS1_3repE0EEENS1_30default_config_static_selectorELNS0_4arch9wavefront6targetE0EEEvT1_
		.amdhsa_group_segment_fixed_size 0
		.amdhsa_private_segment_fixed_size 0
		.amdhsa_kernarg_size 136
		.amdhsa_user_sgpr_count 6
		.amdhsa_user_sgpr_private_segment_buffer 1
		.amdhsa_user_sgpr_dispatch_ptr 0
		.amdhsa_user_sgpr_queue_ptr 0
		.amdhsa_user_sgpr_kernarg_segment_ptr 1
		.amdhsa_user_sgpr_dispatch_id 0
		.amdhsa_user_sgpr_flat_scratch_init 0
		.amdhsa_user_sgpr_private_segment_size 0
		.amdhsa_wavefront_size32 1
		.amdhsa_uses_dynamic_stack 0
		.amdhsa_system_sgpr_private_segment_wavefront_offset 0
		.amdhsa_system_sgpr_workgroup_id_x 1
		.amdhsa_system_sgpr_workgroup_id_y 0
		.amdhsa_system_sgpr_workgroup_id_z 0
		.amdhsa_system_sgpr_workgroup_info 0
		.amdhsa_system_vgpr_workitem_id 0
		.amdhsa_next_free_vgpr 1
		.amdhsa_next_free_sgpr 1
		.amdhsa_reserve_vcc 0
		.amdhsa_reserve_flat_scratch 0
		.amdhsa_float_round_mode_32 0
		.amdhsa_float_round_mode_16_64 0
		.amdhsa_float_denorm_mode_32 3
		.amdhsa_float_denorm_mode_16_64 3
		.amdhsa_dx10_clamp 1
		.amdhsa_ieee_mode 1
		.amdhsa_fp16_overflow 0
		.amdhsa_workgroup_processor_mode 1
		.amdhsa_memory_ordered 1
		.amdhsa_forward_progress 1
		.amdhsa_shared_vgpr_count 0
		.amdhsa_exception_fp_ieee_invalid_op 0
		.amdhsa_exception_fp_denorm_src 0
		.amdhsa_exception_fp_ieee_div_zero 0
		.amdhsa_exception_fp_ieee_overflow 0
		.amdhsa_exception_fp_ieee_underflow 0
		.amdhsa_exception_fp_ieee_inexact 0
		.amdhsa_exception_int_div_zero 0
	.end_amdhsa_kernel
	.section	.text._ZN7rocprim17ROCPRIM_400000_NS6detail17trampoline_kernelINS0_14default_configENS1_27scan_by_key_config_selectorIxxEEZZNS1_16scan_by_key_implILNS1_25lookback_scan_determinismE0ELb1ES3_N6thrust23THRUST_200600_302600_NS6detail15normal_iteratorINS9_10device_ptrIxEEEESE_SE_xNS9_10multipliesIxEENS9_8equal_toIxEExEE10hipError_tPvRmT2_T3_T4_T5_mT6_T7_P12ihipStream_tbENKUlT_T0_E_clISt17integral_constantIbLb1EESY_IbLb0EEEEDaSU_SV_EUlSU_E_NS1_11comp_targetILNS1_3genE8ELNS1_11target_archE1030ELNS1_3gpuE2ELNS1_3repE0EEENS1_30default_config_static_selectorELNS0_4arch9wavefront6targetE0EEEvT1_,"axG",@progbits,_ZN7rocprim17ROCPRIM_400000_NS6detail17trampoline_kernelINS0_14default_configENS1_27scan_by_key_config_selectorIxxEEZZNS1_16scan_by_key_implILNS1_25lookback_scan_determinismE0ELb1ES3_N6thrust23THRUST_200600_302600_NS6detail15normal_iteratorINS9_10device_ptrIxEEEESE_SE_xNS9_10multipliesIxEENS9_8equal_toIxEExEE10hipError_tPvRmT2_T3_T4_T5_mT6_T7_P12ihipStream_tbENKUlT_T0_E_clISt17integral_constantIbLb1EESY_IbLb0EEEEDaSU_SV_EUlSU_E_NS1_11comp_targetILNS1_3genE8ELNS1_11target_archE1030ELNS1_3gpuE2ELNS1_3repE0EEENS1_30default_config_static_selectorELNS0_4arch9wavefront6targetE0EEEvT1_,comdat
.Lfunc_end415:
	.size	_ZN7rocprim17ROCPRIM_400000_NS6detail17trampoline_kernelINS0_14default_configENS1_27scan_by_key_config_selectorIxxEEZZNS1_16scan_by_key_implILNS1_25lookback_scan_determinismE0ELb1ES3_N6thrust23THRUST_200600_302600_NS6detail15normal_iteratorINS9_10device_ptrIxEEEESE_SE_xNS9_10multipliesIxEENS9_8equal_toIxEExEE10hipError_tPvRmT2_T3_T4_T5_mT6_T7_P12ihipStream_tbENKUlT_T0_E_clISt17integral_constantIbLb1EESY_IbLb0EEEEDaSU_SV_EUlSU_E_NS1_11comp_targetILNS1_3genE8ELNS1_11target_archE1030ELNS1_3gpuE2ELNS1_3repE0EEENS1_30default_config_static_selectorELNS0_4arch9wavefront6targetE0EEEvT1_, .Lfunc_end415-_ZN7rocprim17ROCPRIM_400000_NS6detail17trampoline_kernelINS0_14default_configENS1_27scan_by_key_config_selectorIxxEEZZNS1_16scan_by_key_implILNS1_25lookback_scan_determinismE0ELb1ES3_N6thrust23THRUST_200600_302600_NS6detail15normal_iteratorINS9_10device_ptrIxEEEESE_SE_xNS9_10multipliesIxEENS9_8equal_toIxEExEE10hipError_tPvRmT2_T3_T4_T5_mT6_T7_P12ihipStream_tbENKUlT_T0_E_clISt17integral_constantIbLb1EESY_IbLb0EEEEDaSU_SV_EUlSU_E_NS1_11comp_targetILNS1_3genE8ELNS1_11target_archE1030ELNS1_3gpuE2ELNS1_3repE0EEENS1_30default_config_static_selectorELNS0_4arch9wavefront6targetE0EEEvT1_
                                        ; -- End function
	.set _ZN7rocprim17ROCPRIM_400000_NS6detail17trampoline_kernelINS0_14default_configENS1_27scan_by_key_config_selectorIxxEEZZNS1_16scan_by_key_implILNS1_25lookback_scan_determinismE0ELb1ES3_N6thrust23THRUST_200600_302600_NS6detail15normal_iteratorINS9_10device_ptrIxEEEESE_SE_xNS9_10multipliesIxEENS9_8equal_toIxEExEE10hipError_tPvRmT2_T3_T4_T5_mT6_T7_P12ihipStream_tbENKUlT_T0_E_clISt17integral_constantIbLb1EESY_IbLb0EEEEDaSU_SV_EUlSU_E_NS1_11comp_targetILNS1_3genE8ELNS1_11target_archE1030ELNS1_3gpuE2ELNS1_3repE0EEENS1_30default_config_static_selectorELNS0_4arch9wavefront6targetE0EEEvT1_.num_vgpr, 0
	.set _ZN7rocprim17ROCPRIM_400000_NS6detail17trampoline_kernelINS0_14default_configENS1_27scan_by_key_config_selectorIxxEEZZNS1_16scan_by_key_implILNS1_25lookback_scan_determinismE0ELb1ES3_N6thrust23THRUST_200600_302600_NS6detail15normal_iteratorINS9_10device_ptrIxEEEESE_SE_xNS9_10multipliesIxEENS9_8equal_toIxEExEE10hipError_tPvRmT2_T3_T4_T5_mT6_T7_P12ihipStream_tbENKUlT_T0_E_clISt17integral_constantIbLb1EESY_IbLb0EEEEDaSU_SV_EUlSU_E_NS1_11comp_targetILNS1_3genE8ELNS1_11target_archE1030ELNS1_3gpuE2ELNS1_3repE0EEENS1_30default_config_static_selectorELNS0_4arch9wavefront6targetE0EEEvT1_.num_agpr, 0
	.set _ZN7rocprim17ROCPRIM_400000_NS6detail17trampoline_kernelINS0_14default_configENS1_27scan_by_key_config_selectorIxxEEZZNS1_16scan_by_key_implILNS1_25lookback_scan_determinismE0ELb1ES3_N6thrust23THRUST_200600_302600_NS6detail15normal_iteratorINS9_10device_ptrIxEEEESE_SE_xNS9_10multipliesIxEENS9_8equal_toIxEExEE10hipError_tPvRmT2_T3_T4_T5_mT6_T7_P12ihipStream_tbENKUlT_T0_E_clISt17integral_constantIbLb1EESY_IbLb0EEEEDaSU_SV_EUlSU_E_NS1_11comp_targetILNS1_3genE8ELNS1_11target_archE1030ELNS1_3gpuE2ELNS1_3repE0EEENS1_30default_config_static_selectorELNS0_4arch9wavefront6targetE0EEEvT1_.numbered_sgpr, 0
	.set _ZN7rocprim17ROCPRIM_400000_NS6detail17trampoline_kernelINS0_14default_configENS1_27scan_by_key_config_selectorIxxEEZZNS1_16scan_by_key_implILNS1_25lookback_scan_determinismE0ELb1ES3_N6thrust23THRUST_200600_302600_NS6detail15normal_iteratorINS9_10device_ptrIxEEEESE_SE_xNS9_10multipliesIxEENS9_8equal_toIxEExEE10hipError_tPvRmT2_T3_T4_T5_mT6_T7_P12ihipStream_tbENKUlT_T0_E_clISt17integral_constantIbLb1EESY_IbLb0EEEEDaSU_SV_EUlSU_E_NS1_11comp_targetILNS1_3genE8ELNS1_11target_archE1030ELNS1_3gpuE2ELNS1_3repE0EEENS1_30default_config_static_selectorELNS0_4arch9wavefront6targetE0EEEvT1_.num_named_barrier, 0
	.set _ZN7rocprim17ROCPRIM_400000_NS6detail17trampoline_kernelINS0_14default_configENS1_27scan_by_key_config_selectorIxxEEZZNS1_16scan_by_key_implILNS1_25lookback_scan_determinismE0ELb1ES3_N6thrust23THRUST_200600_302600_NS6detail15normal_iteratorINS9_10device_ptrIxEEEESE_SE_xNS9_10multipliesIxEENS9_8equal_toIxEExEE10hipError_tPvRmT2_T3_T4_T5_mT6_T7_P12ihipStream_tbENKUlT_T0_E_clISt17integral_constantIbLb1EESY_IbLb0EEEEDaSU_SV_EUlSU_E_NS1_11comp_targetILNS1_3genE8ELNS1_11target_archE1030ELNS1_3gpuE2ELNS1_3repE0EEENS1_30default_config_static_selectorELNS0_4arch9wavefront6targetE0EEEvT1_.private_seg_size, 0
	.set _ZN7rocprim17ROCPRIM_400000_NS6detail17trampoline_kernelINS0_14default_configENS1_27scan_by_key_config_selectorIxxEEZZNS1_16scan_by_key_implILNS1_25lookback_scan_determinismE0ELb1ES3_N6thrust23THRUST_200600_302600_NS6detail15normal_iteratorINS9_10device_ptrIxEEEESE_SE_xNS9_10multipliesIxEENS9_8equal_toIxEExEE10hipError_tPvRmT2_T3_T4_T5_mT6_T7_P12ihipStream_tbENKUlT_T0_E_clISt17integral_constantIbLb1EESY_IbLb0EEEEDaSU_SV_EUlSU_E_NS1_11comp_targetILNS1_3genE8ELNS1_11target_archE1030ELNS1_3gpuE2ELNS1_3repE0EEENS1_30default_config_static_selectorELNS0_4arch9wavefront6targetE0EEEvT1_.uses_vcc, 0
	.set _ZN7rocprim17ROCPRIM_400000_NS6detail17trampoline_kernelINS0_14default_configENS1_27scan_by_key_config_selectorIxxEEZZNS1_16scan_by_key_implILNS1_25lookback_scan_determinismE0ELb1ES3_N6thrust23THRUST_200600_302600_NS6detail15normal_iteratorINS9_10device_ptrIxEEEESE_SE_xNS9_10multipliesIxEENS9_8equal_toIxEExEE10hipError_tPvRmT2_T3_T4_T5_mT6_T7_P12ihipStream_tbENKUlT_T0_E_clISt17integral_constantIbLb1EESY_IbLb0EEEEDaSU_SV_EUlSU_E_NS1_11comp_targetILNS1_3genE8ELNS1_11target_archE1030ELNS1_3gpuE2ELNS1_3repE0EEENS1_30default_config_static_selectorELNS0_4arch9wavefront6targetE0EEEvT1_.uses_flat_scratch, 0
	.set _ZN7rocprim17ROCPRIM_400000_NS6detail17trampoline_kernelINS0_14default_configENS1_27scan_by_key_config_selectorIxxEEZZNS1_16scan_by_key_implILNS1_25lookback_scan_determinismE0ELb1ES3_N6thrust23THRUST_200600_302600_NS6detail15normal_iteratorINS9_10device_ptrIxEEEESE_SE_xNS9_10multipliesIxEENS9_8equal_toIxEExEE10hipError_tPvRmT2_T3_T4_T5_mT6_T7_P12ihipStream_tbENKUlT_T0_E_clISt17integral_constantIbLb1EESY_IbLb0EEEEDaSU_SV_EUlSU_E_NS1_11comp_targetILNS1_3genE8ELNS1_11target_archE1030ELNS1_3gpuE2ELNS1_3repE0EEENS1_30default_config_static_selectorELNS0_4arch9wavefront6targetE0EEEvT1_.has_dyn_sized_stack, 0
	.set _ZN7rocprim17ROCPRIM_400000_NS6detail17trampoline_kernelINS0_14default_configENS1_27scan_by_key_config_selectorIxxEEZZNS1_16scan_by_key_implILNS1_25lookback_scan_determinismE0ELb1ES3_N6thrust23THRUST_200600_302600_NS6detail15normal_iteratorINS9_10device_ptrIxEEEESE_SE_xNS9_10multipliesIxEENS9_8equal_toIxEExEE10hipError_tPvRmT2_T3_T4_T5_mT6_T7_P12ihipStream_tbENKUlT_T0_E_clISt17integral_constantIbLb1EESY_IbLb0EEEEDaSU_SV_EUlSU_E_NS1_11comp_targetILNS1_3genE8ELNS1_11target_archE1030ELNS1_3gpuE2ELNS1_3repE0EEENS1_30default_config_static_selectorELNS0_4arch9wavefront6targetE0EEEvT1_.has_recursion, 0
	.set _ZN7rocprim17ROCPRIM_400000_NS6detail17trampoline_kernelINS0_14default_configENS1_27scan_by_key_config_selectorIxxEEZZNS1_16scan_by_key_implILNS1_25lookback_scan_determinismE0ELb1ES3_N6thrust23THRUST_200600_302600_NS6detail15normal_iteratorINS9_10device_ptrIxEEEESE_SE_xNS9_10multipliesIxEENS9_8equal_toIxEExEE10hipError_tPvRmT2_T3_T4_T5_mT6_T7_P12ihipStream_tbENKUlT_T0_E_clISt17integral_constantIbLb1EESY_IbLb0EEEEDaSU_SV_EUlSU_E_NS1_11comp_targetILNS1_3genE8ELNS1_11target_archE1030ELNS1_3gpuE2ELNS1_3repE0EEENS1_30default_config_static_selectorELNS0_4arch9wavefront6targetE0EEEvT1_.has_indirect_call, 0
	.section	.AMDGPU.csdata,"",@progbits
; Kernel info:
; codeLenInByte = 4
; TotalNumSgprs: 0
; NumVgprs: 0
; ScratchSize: 0
; MemoryBound: 0
; FloatMode: 240
; IeeeMode: 1
; LDSByteSize: 0 bytes/workgroup (compile time only)
; SGPRBlocks: 0
; VGPRBlocks: 0
; NumSGPRsForWavesPerEU: 1
; NumVGPRsForWavesPerEU: 1
; Occupancy: 16
; WaveLimiterHint : 0
; COMPUTE_PGM_RSRC2:SCRATCH_EN: 0
; COMPUTE_PGM_RSRC2:USER_SGPR: 6
; COMPUTE_PGM_RSRC2:TRAP_HANDLER: 0
; COMPUTE_PGM_RSRC2:TGID_X_EN: 1
; COMPUTE_PGM_RSRC2:TGID_Y_EN: 0
; COMPUTE_PGM_RSRC2:TGID_Z_EN: 0
; COMPUTE_PGM_RSRC2:TIDIG_COMP_CNT: 0
	.section	.text._ZN7rocprim17ROCPRIM_400000_NS6detail17trampoline_kernelINS0_14default_configENS1_27scan_by_key_config_selectorIxxEEZZNS1_16scan_by_key_implILNS1_25lookback_scan_determinismE0ELb1ES3_N6thrust23THRUST_200600_302600_NS6detail15normal_iteratorINS9_10device_ptrIxEEEESE_SE_xNS9_10multipliesIxEENS9_8equal_toIxEExEE10hipError_tPvRmT2_T3_T4_T5_mT6_T7_P12ihipStream_tbENKUlT_T0_E_clISt17integral_constantIbLb0EESY_IbLb1EEEEDaSU_SV_EUlSU_E_NS1_11comp_targetILNS1_3genE0ELNS1_11target_archE4294967295ELNS1_3gpuE0ELNS1_3repE0EEENS1_30default_config_static_selectorELNS0_4arch9wavefront6targetE0EEEvT1_,"axG",@progbits,_ZN7rocprim17ROCPRIM_400000_NS6detail17trampoline_kernelINS0_14default_configENS1_27scan_by_key_config_selectorIxxEEZZNS1_16scan_by_key_implILNS1_25lookback_scan_determinismE0ELb1ES3_N6thrust23THRUST_200600_302600_NS6detail15normal_iteratorINS9_10device_ptrIxEEEESE_SE_xNS9_10multipliesIxEENS9_8equal_toIxEExEE10hipError_tPvRmT2_T3_T4_T5_mT6_T7_P12ihipStream_tbENKUlT_T0_E_clISt17integral_constantIbLb0EESY_IbLb1EEEEDaSU_SV_EUlSU_E_NS1_11comp_targetILNS1_3genE0ELNS1_11target_archE4294967295ELNS1_3gpuE0ELNS1_3repE0EEENS1_30default_config_static_selectorELNS0_4arch9wavefront6targetE0EEEvT1_,comdat
	.protected	_ZN7rocprim17ROCPRIM_400000_NS6detail17trampoline_kernelINS0_14default_configENS1_27scan_by_key_config_selectorIxxEEZZNS1_16scan_by_key_implILNS1_25lookback_scan_determinismE0ELb1ES3_N6thrust23THRUST_200600_302600_NS6detail15normal_iteratorINS9_10device_ptrIxEEEESE_SE_xNS9_10multipliesIxEENS9_8equal_toIxEExEE10hipError_tPvRmT2_T3_T4_T5_mT6_T7_P12ihipStream_tbENKUlT_T0_E_clISt17integral_constantIbLb0EESY_IbLb1EEEEDaSU_SV_EUlSU_E_NS1_11comp_targetILNS1_3genE0ELNS1_11target_archE4294967295ELNS1_3gpuE0ELNS1_3repE0EEENS1_30default_config_static_selectorELNS0_4arch9wavefront6targetE0EEEvT1_ ; -- Begin function _ZN7rocprim17ROCPRIM_400000_NS6detail17trampoline_kernelINS0_14default_configENS1_27scan_by_key_config_selectorIxxEEZZNS1_16scan_by_key_implILNS1_25lookback_scan_determinismE0ELb1ES3_N6thrust23THRUST_200600_302600_NS6detail15normal_iteratorINS9_10device_ptrIxEEEESE_SE_xNS9_10multipliesIxEENS9_8equal_toIxEExEE10hipError_tPvRmT2_T3_T4_T5_mT6_T7_P12ihipStream_tbENKUlT_T0_E_clISt17integral_constantIbLb0EESY_IbLb1EEEEDaSU_SV_EUlSU_E_NS1_11comp_targetILNS1_3genE0ELNS1_11target_archE4294967295ELNS1_3gpuE0ELNS1_3repE0EEENS1_30default_config_static_selectorELNS0_4arch9wavefront6targetE0EEEvT1_
	.globl	_ZN7rocprim17ROCPRIM_400000_NS6detail17trampoline_kernelINS0_14default_configENS1_27scan_by_key_config_selectorIxxEEZZNS1_16scan_by_key_implILNS1_25lookback_scan_determinismE0ELb1ES3_N6thrust23THRUST_200600_302600_NS6detail15normal_iteratorINS9_10device_ptrIxEEEESE_SE_xNS9_10multipliesIxEENS9_8equal_toIxEExEE10hipError_tPvRmT2_T3_T4_T5_mT6_T7_P12ihipStream_tbENKUlT_T0_E_clISt17integral_constantIbLb0EESY_IbLb1EEEEDaSU_SV_EUlSU_E_NS1_11comp_targetILNS1_3genE0ELNS1_11target_archE4294967295ELNS1_3gpuE0ELNS1_3repE0EEENS1_30default_config_static_selectorELNS0_4arch9wavefront6targetE0EEEvT1_
	.p2align	8
	.type	_ZN7rocprim17ROCPRIM_400000_NS6detail17trampoline_kernelINS0_14default_configENS1_27scan_by_key_config_selectorIxxEEZZNS1_16scan_by_key_implILNS1_25lookback_scan_determinismE0ELb1ES3_N6thrust23THRUST_200600_302600_NS6detail15normal_iteratorINS9_10device_ptrIxEEEESE_SE_xNS9_10multipliesIxEENS9_8equal_toIxEExEE10hipError_tPvRmT2_T3_T4_T5_mT6_T7_P12ihipStream_tbENKUlT_T0_E_clISt17integral_constantIbLb0EESY_IbLb1EEEEDaSU_SV_EUlSU_E_NS1_11comp_targetILNS1_3genE0ELNS1_11target_archE4294967295ELNS1_3gpuE0ELNS1_3repE0EEENS1_30default_config_static_selectorELNS0_4arch9wavefront6targetE0EEEvT1_,@function
_ZN7rocprim17ROCPRIM_400000_NS6detail17trampoline_kernelINS0_14default_configENS1_27scan_by_key_config_selectorIxxEEZZNS1_16scan_by_key_implILNS1_25lookback_scan_determinismE0ELb1ES3_N6thrust23THRUST_200600_302600_NS6detail15normal_iteratorINS9_10device_ptrIxEEEESE_SE_xNS9_10multipliesIxEENS9_8equal_toIxEExEE10hipError_tPvRmT2_T3_T4_T5_mT6_T7_P12ihipStream_tbENKUlT_T0_E_clISt17integral_constantIbLb0EESY_IbLb1EEEEDaSU_SV_EUlSU_E_NS1_11comp_targetILNS1_3genE0ELNS1_11target_archE4294967295ELNS1_3gpuE0ELNS1_3repE0EEENS1_30default_config_static_selectorELNS0_4arch9wavefront6targetE0EEEvT1_: ; @_ZN7rocprim17ROCPRIM_400000_NS6detail17trampoline_kernelINS0_14default_configENS1_27scan_by_key_config_selectorIxxEEZZNS1_16scan_by_key_implILNS1_25lookback_scan_determinismE0ELb1ES3_N6thrust23THRUST_200600_302600_NS6detail15normal_iteratorINS9_10device_ptrIxEEEESE_SE_xNS9_10multipliesIxEENS9_8equal_toIxEExEE10hipError_tPvRmT2_T3_T4_T5_mT6_T7_P12ihipStream_tbENKUlT_T0_E_clISt17integral_constantIbLb0EESY_IbLb1EEEEDaSU_SV_EUlSU_E_NS1_11comp_targetILNS1_3genE0ELNS1_11target_archE4294967295ELNS1_3gpuE0ELNS1_3repE0EEENS1_30default_config_static_selectorELNS0_4arch9wavefront6targetE0EEEvT1_
; %bb.0:
	.section	.rodata,"a",@progbits
	.p2align	6, 0x0
	.amdhsa_kernel _ZN7rocprim17ROCPRIM_400000_NS6detail17trampoline_kernelINS0_14default_configENS1_27scan_by_key_config_selectorIxxEEZZNS1_16scan_by_key_implILNS1_25lookback_scan_determinismE0ELb1ES3_N6thrust23THRUST_200600_302600_NS6detail15normal_iteratorINS9_10device_ptrIxEEEESE_SE_xNS9_10multipliesIxEENS9_8equal_toIxEExEE10hipError_tPvRmT2_T3_T4_T5_mT6_T7_P12ihipStream_tbENKUlT_T0_E_clISt17integral_constantIbLb0EESY_IbLb1EEEEDaSU_SV_EUlSU_E_NS1_11comp_targetILNS1_3genE0ELNS1_11target_archE4294967295ELNS1_3gpuE0ELNS1_3repE0EEENS1_30default_config_static_selectorELNS0_4arch9wavefront6targetE0EEEvT1_
		.amdhsa_group_segment_fixed_size 0
		.amdhsa_private_segment_fixed_size 0
		.amdhsa_kernarg_size 136
		.amdhsa_user_sgpr_count 6
		.amdhsa_user_sgpr_private_segment_buffer 1
		.amdhsa_user_sgpr_dispatch_ptr 0
		.amdhsa_user_sgpr_queue_ptr 0
		.amdhsa_user_sgpr_kernarg_segment_ptr 1
		.amdhsa_user_sgpr_dispatch_id 0
		.amdhsa_user_sgpr_flat_scratch_init 0
		.amdhsa_user_sgpr_private_segment_size 0
		.amdhsa_wavefront_size32 1
		.amdhsa_uses_dynamic_stack 0
		.amdhsa_system_sgpr_private_segment_wavefront_offset 0
		.amdhsa_system_sgpr_workgroup_id_x 1
		.amdhsa_system_sgpr_workgroup_id_y 0
		.amdhsa_system_sgpr_workgroup_id_z 0
		.amdhsa_system_sgpr_workgroup_info 0
		.amdhsa_system_vgpr_workitem_id 0
		.amdhsa_next_free_vgpr 1
		.amdhsa_next_free_sgpr 1
		.amdhsa_reserve_vcc 0
		.amdhsa_reserve_flat_scratch 0
		.amdhsa_float_round_mode_32 0
		.amdhsa_float_round_mode_16_64 0
		.amdhsa_float_denorm_mode_32 3
		.amdhsa_float_denorm_mode_16_64 3
		.amdhsa_dx10_clamp 1
		.amdhsa_ieee_mode 1
		.amdhsa_fp16_overflow 0
		.amdhsa_workgroup_processor_mode 1
		.amdhsa_memory_ordered 1
		.amdhsa_forward_progress 1
		.amdhsa_shared_vgpr_count 0
		.amdhsa_exception_fp_ieee_invalid_op 0
		.amdhsa_exception_fp_denorm_src 0
		.amdhsa_exception_fp_ieee_div_zero 0
		.amdhsa_exception_fp_ieee_overflow 0
		.amdhsa_exception_fp_ieee_underflow 0
		.amdhsa_exception_fp_ieee_inexact 0
		.amdhsa_exception_int_div_zero 0
	.end_amdhsa_kernel
	.section	.text._ZN7rocprim17ROCPRIM_400000_NS6detail17trampoline_kernelINS0_14default_configENS1_27scan_by_key_config_selectorIxxEEZZNS1_16scan_by_key_implILNS1_25lookback_scan_determinismE0ELb1ES3_N6thrust23THRUST_200600_302600_NS6detail15normal_iteratorINS9_10device_ptrIxEEEESE_SE_xNS9_10multipliesIxEENS9_8equal_toIxEExEE10hipError_tPvRmT2_T3_T4_T5_mT6_T7_P12ihipStream_tbENKUlT_T0_E_clISt17integral_constantIbLb0EESY_IbLb1EEEEDaSU_SV_EUlSU_E_NS1_11comp_targetILNS1_3genE0ELNS1_11target_archE4294967295ELNS1_3gpuE0ELNS1_3repE0EEENS1_30default_config_static_selectorELNS0_4arch9wavefront6targetE0EEEvT1_,"axG",@progbits,_ZN7rocprim17ROCPRIM_400000_NS6detail17trampoline_kernelINS0_14default_configENS1_27scan_by_key_config_selectorIxxEEZZNS1_16scan_by_key_implILNS1_25lookback_scan_determinismE0ELb1ES3_N6thrust23THRUST_200600_302600_NS6detail15normal_iteratorINS9_10device_ptrIxEEEESE_SE_xNS9_10multipliesIxEENS9_8equal_toIxEExEE10hipError_tPvRmT2_T3_T4_T5_mT6_T7_P12ihipStream_tbENKUlT_T0_E_clISt17integral_constantIbLb0EESY_IbLb1EEEEDaSU_SV_EUlSU_E_NS1_11comp_targetILNS1_3genE0ELNS1_11target_archE4294967295ELNS1_3gpuE0ELNS1_3repE0EEENS1_30default_config_static_selectorELNS0_4arch9wavefront6targetE0EEEvT1_,comdat
.Lfunc_end416:
	.size	_ZN7rocprim17ROCPRIM_400000_NS6detail17trampoline_kernelINS0_14default_configENS1_27scan_by_key_config_selectorIxxEEZZNS1_16scan_by_key_implILNS1_25lookback_scan_determinismE0ELb1ES3_N6thrust23THRUST_200600_302600_NS6detail15normal_iteratorINS9_10device_ptrIxEEEESE_SE_xNS9_10multipliesIxEENS9_8equal_toIxEExEE10hipError_tPvRmT2_T3_T4_T5_mT6_T7_P12ihipStream_tbENKUlT_T0_E_clISt17integral_constantIbLb0EESY_IbLb1EEEEDaSU_SV_EUlSU_E_NS1_11comp_targetILNS1_3genE0ELNS1_11target_archE4294967295ELNS1_3gpuE0ELNS1_3repE0EEENS1_30default_config_static_selectorELNS0_4arch9wavefront6targetE0EEEvT1_, .Lfunc_end416-_ZN7rocprim17ROCPRIM_400000_NS6detail17trampoline_kernelINS0_14default_configENS1_27scan_by_key_config_selectorIxxEEZZNS1_16scan_by_key_implILNS1_25lookback_scan_determinismE0ELb1ES3_N6thrust23THRUST_200600_302600_NS6detail15normal_iteratorINS9_10device_ptrIxEEEESE_SE_xNS9_10multipliesIxEENS9_8equal_toIxEExEE10hipError_tPvRmT2_T3_T4_T5_mT6_T7_P12ihipStream_tbENKUlT_T0_E_clISt17integral_constantIbLb0EESY_IbLb1EEEEDaSU_SV_EUlSU_E_NS1_11comp_targetILNS1_3genE0ELNS1_11target_archE4294967295ELNS1_3gpuE0ELNS1_3repE0EEENS1_30default_config_static_selectorELNS0_4arch9wavefront6targetE0EEEvT1_
                                        ; -- End function
	.set _ZN7rocprim17ROCPRIM_400000_NS6detail17trampoline_kernelINS0_14default_configENS1_27scan_by_key_config_selectorIxxEEZZNS1_16scan_by_key_implILNS1_25lookback_scan_determinismE0ELb1ES3_N6thrust23THRUST_200600_302600_NS6detail15normal_iteratorINS9_10device_ptrIxEEEESE_SE_xNS9_10multipliesIxEENS9_8equal_toIxEExEE10hipError_tPvRmT2_T3_T4_T5_mT6_T7_P12ihipStream_tbENKUlT_T0_E_clISt17integral_constantIbLb0EESY_IbLb1EEEEDaSU_SV_EUlSU_E_NS1_11comp_targetILNS1_3genE0ELNS1_11target_archE4294967295ELNS1_3gpuE0ELNS1_3repE0EEENS1_30default_config_static_selectorELNS0_4arch9wavefront6targetE0EEEvT1_.num_vgpr, 0
	.set _ZN7rocprim17ROCPRIM_400000_NS6detail17trampoline_kernelINS0_14default_configENS1_27scan_by_key_config_selectorIxxEEZZNS1_16scan_by_key_implILNS1_25lookback_scan_determinismE0ELb1ES3_N6thrust23THRUST_200600_302600_NS6detail15normal_iteratorINS9_10device_ptrIxEEEESE_SE_xNS9_10multipliesIxEENS9_8equal_toIxEExEE10hipError_tPvRmT2_T3_T4_T5_mT6_T7_P12ihipStream_tbENKUlT_T0_E_clISt17integral_constantIbLb0EESY_IbLb1EEEEDaSU_SV_EUlSU_E_NS1_11comp_targetILNS1_3genE0ELNS1_11target_archE4294967295ELNS1_3gpuE0ELNS1_3repE0EEENS1_30default_config_static_selectorELNS0_4arch9wavefront6targetE0EEEvT1_.num_agpr, 0
	.set _ZN7rocprim17ROCPRIM_400000_NS6detail17trampoline_kernelINS0_14default_configENS1_27scan_by_key_config_selectorIxxEEZZNS1_16scan_by_key_implILNS1_25lookback_scan_determinismE0ELb1ES3_N6thrust23THRUST_200600_302600_NS6detail15normal_iteratorINS9_10device_ptrIxEEEESE_SE_xNS9_10multipliesIxEENS9_8equal_toIxEExEE10hipError_tPvRmT2_T3_T4_T5_mT6_T7_P12ihipStream_tbENKUlT_T0_E_clISt17integral_constantIbLb0EESY_IbLb1EEEEDaSU_SV_EUlSU_E_NS1_11comp_targetILNS1_3genE0ELNS1_11target_archE4294967295ELNS1_3gpuE0ELNS1_3repE0EEENS1_30default_config_static_selectorELNS0_4arch9wavefront6targetE0EEEvT1_.numbered_sgpr, 0
	.set _ZN7rocprim17ROCPRIM_400000_NS6detail17trampoline_kernelINS0_14default_configENS1_27scan_by_key_config_selectorIxxEEZZNS1_16scan_by_key_implILNS1_25lookback_scan_determinismE0ELb1ES3_N6thrust23THRUST_200600_302600_NS6detail15normal_iteratorINS9_10device_ptrIxEEEESE_SE_xNS9_10multipliesIxEENS9_8equal_toIxEExEE10hipError_tPvRmT2_T3_T4_T5_mT6_T7_P12ihipStream_tbENKUlT_T0_E_clISt17integral_constantIbLb0EESY_IbLb1EEEEDaSU_SV_EUlSU_E_NS1_11comp_targetILNS1_3genE0ELNS1_11target_archE4294967295ELNS1_3gpuE0ELNS1_3repE0EEENS1_30default_config_static_selectorELNS0_4arch9wavefront6targetE0EEEvT1_.num_named_barrier, 0
	.set _ZN7rocprim17ROCPRIM_400000_NS6detail17trampoline_kernelINS0_14default_configENS1_27scan_by_key_config_selectorIxxEEZZNS1_16scan_by_key_implILNS1_25lookback_scan_determinismE0ELb1ES3_N6thrust23THRUST_200600_302600_NS6detail15normal_iteratorINS9_10device_ptrIxEEEESE_SE_xNS9_10multipliesIxEENS9_8equal_toIxEExEE10hipError_tPvRmT2_T3_T4_T5_mT6_T7_P12ihipStream_tbENKUlT_T0_E_clISt17integral_constantIbLb0EESY_IbLb1EEEEDaSU_SV_EUlSU_E_NS1_11comp_targetILNS1_3genE0ELNS1_11target_archE4294967295ELNS1_3gpuE0ELNS1_3repE0EEENS1_30default_config_static_selectorELNS0_4arch9wavefront6targetE0EEEvT1_.private_seg_size, 0
	.set _ZN7rocprim17ROCPRIM_400000_NS6detail17trampoline_kernelINS0_14default_configENS1_27scan_by_key_config_selectorIxxEEZZNS1_16scan_by_key_implILNS1_25lookback_scan_determinismE0ELb1ES3_N6thrust23THRUST_200600_302600_NS6detail15normal_iteratorINS9_10device_ptrIxEEEESE_SE_xNS9_10multipliesIxEENS9_8equal_toIxEExEE10hipError_tPvRmT2_T3_T4_T5_mT6_T7_P12ihipStream_tbENKUlT_T0_E_clISt17integral_constantIbLb0EESY_IbLb1EEEEDaSU_SV_EUlSU_E_NS1_11comp_targetILNS1_3genE0ELNS1_11target_archE4294967295ELNS1_3gpuE0ELNS1_3repE0EEENS1_30default_config_static_selectorELNS0_4arch9wavefront6targetE0EEEvT1_.uses_vcc, 0
	.set _ZN7rocprim17ROCPRIM_400000_NS6detail17trampoline_kernelINS0_14default_configENS1_27scan_by_key_config_selectorIxxEEZZNS1_16scan_by_key_implILNS1_25lookback_scan_determinismE0ELb1ES3_N6thrust23THRUST_200600_302600_NS6detail15normal_iteratorINS9_10device_ptrIxEEEESE_SE_xNS9_10multipliesIxEENS9_8equal_toIxEExEE10hipError_tPvRmT2_T3_T4_T5_mT6_T7_P12ihipStream_tbENKUlT_T0_E_clISt17integral_constantIbLb0EESY_IbLb1EEEEDaSU_SV_EUlSU_E_NS1_11comp_targetILNS1_3genE0ELNS1_11target_archE4294967295ELNS1_3gpuE0ELNS1_3repE0EEENS1_30default_config_static_selectorELNS0_4arch9wavefront6targetE0EEEvT1_.uses_flat_scratch, 0
	.set _ZN7rocprim17ROCPRIM_400000_NS6detail17trampoline_kernelINS0_14default_configENS1_27scan_by_key_config_selectorIxxEEZZNS1_16scan_by_key_implILNS1_25lookback_scan_determinismE0ELb1ES3_N6thrust23THRUST_200600_302600_NS6detail15normal_iteratorINS9_10device_ptrIxEEEESE_SE_xNS9_10multipliesIxEENS9_8equal_toIxEExEE10hipError_tPvRmT2_T3_T4_T5_mT6_T7_P12ihipStream_tbENKUlT_T0_E_clISt17integral_constantIbLb0EESY_IbLb1EEEEDaSU_SV_EUlSU_E_NS1_11comp_targetILNS1_3genE0ELNS1_11target_archE4294967295ELNS1_3gpuE0ELNS1_3repE0EEENS1_30default_config_static_selectorELNS0_4arch9wavefront6targetE0EEEvT1_.has_dyn_sized_stack, 0
	.set _ZN7rocprim17ROCPRIM_400000_NS6detail17trampoline_kernelINS0_14default_configENS1_27scan_by_key_config_selectorIxxEEZZNS1_16scan_by_key_implILNS1_25lookback_scan_determinismE0ELb1ES3_N6thrust23THRUST_200600_302600_NS6detail15normal_iteratorINS9_10device_ptrIxEEEESE_SE_xNS9_10multipliesIxEENS9_8equal_toIxEExEE10hipError_tPvRmT2_T3_T4_T5_mT6_T7_P12ihipStream_tbENKUlT_T0_E_clISt17integral_constantIbLb0EESY_IbLb1EEEEDaSU_SV_EUlSU_E_NS1_11comp_targetILNS1_3genE0ELNS1_11target_archE4294967295ELNS1_3gpuE0ELNS1_3repE0EEENS1_30default_config_static_selectorELNS0_4arch9wavefront6targetE0EEEvT1_.has_recursion, 0
	.set _ZN7rocprim17ROCPRIM_400000_NS6detail17trampoline_kernelINS0_14default_configENS1_27scan_by_key_config_selectorIxxEEZZNS1_16scan_by_key_implILNS1_25lookback_scan_determinismE0ELb1ES3_N6thrust23THRUST_200600_302600_NS6detail15normal_iteratorINS9_10device_ptrIxEEEESE_SE_xNS9_10multipliesIxEENS9_8equal_toIxEExEE10hipError_tPvRmT2_T3_T4_T5_mT6_T7_P12ihipStream_tbENKUlT_T0_E_clISt17integral_constantIbLb0EESY_IbLb1EEEEDaSU_SV_EUlSU_E_NS1_11comp_targetILNS1_3genE0ELNS1_11target_archE4294967295ELNS1_3gpuE0ELNS1_3repE0EEENS1_30default_config_static_selectorELNS0_4arch9wavefront6targetE0EEEvT1_.has_indirect_call, 0
	.section	.AMDGPU.csdata,"",@progbits
; Kernel info:
; codeLenInByte = 0
; TotalNumSgprs: 0
; NumVgprs: 0
; ScratchSize: 0
; MemoryBound: 0
; FloatMode: 240
; IeeeMode: 1
; LDSByteSize: 0 bytes/workgroup (compile time only)
; SGPRBlocks: 0
; VGPRBlocks: 0
; NumSGPRsForWavesPerEU: 1
; NumVGPRsForWavesPerEU: 1
; Occupancy: 16
; WaveLimiterHint : 0
; COMPUTE_PGM_RSRC2:SCRATCH_EN: 0
; COMPUTE_PGM_RSRC2:USER_SGPR: 6
; COMPUTE_PGM_RSRC2:TRAP_HANDLER: 0
; COMPUTE_PGM_RSRC2:TGID_X_EN: 1
; COMPUTE_PGM_RSRC2:TGID_Y_EN: 0
; COMPUTE_PGM_RSRC2:TGID_Z_EN: 0
; COMPUTE_PGM_RSRC2:TIDIG_COMP_CNT: 0
	.section	.text._ZN7rocprim17ROCPRIM_400000_NS6detail17trampoline_kernelINS0_14default_configENS1_27scan_by_key_config_selectorIxxEEZZNS1_16scan_by_key_implILNS1_25lookback_scan_determinismE0ELb1ES3_N6thrust23THRUST_200600_302600_NS6detail15normal_iteratorINS9_10device_ptrIxEEEESE_SE_xNS9_10multipliesIxEENS9_8equal_toIxEExEE10hipError_tPvRmT2_T3_T4_T5_mT6_T7_P12ihipStream_tbENKUlT_T0_E_clISt17integral_constantIbLb0EESY_IbLb1EEEEDaSU_SV_EUlSU_E_NS1_11comp_targetILNS1_3genE10ELNS1_11target_archE1201ELNS1_3gpuE5ELNS1_3repE0EEENS1_30default_config_static_selectorELNS0_4arch9wavefront6targetE0EEEvT1_,"axG",@progbits,_ZN7rocprim17ROCPRIM_400000_NS6detail17trampoline_kernelINS0_14default_configENS1_27scan_by_key_config_selectorIxxEEZZNS1_16scan_by_key_implILNS1_25lookback_scan_determinismE0ELb1ES3_N6thrust23THRUST_200600_302600_NS6detail15normal_iteratorINS9_10device_ptrIxEEEESE_SE_xNS9_10multipliesIxEENS9_8equal_toIxEExEE10hipError_tPvRmT2_T3_T4_T5_mT6_T7_P12ihipStream_tbENKUlT_T0_E_clISt17integral_constantIbLb0EESY_IbLb1EEEEDaSU_SV_EUlSU_E_NS1_11comp_targetILNS1_3genE10ELNS1_11target_archE1201ELNS1_3gpuE5ELNS1_3repE0EEENS1_30default_config_static_selectorELNS0_4arch9wavefront6targetE0EEEvT1_,comdat
	.protected	_ZN7rocprim17ROCPRIM_400000_NS6detail17trampoline_kernelINS0_14default_configENS1_27scan_by_key_config_selectorIxxEEZZNS1_16scan_by_key_implILNS1_25lookback_scan_determinismE0ELb1ES3_N6thrust23THRUST_200600_302600_NS6detail15normal_iteratorINS9_10device_ptrIxEEEESE_SE_xNS9_10multipliesIxEENS9_8equal_toIxEExEE10hipError_tPvRmT2_T3_T4_T5_mT6_T7_P12ihipStream_tbENKUlT_T0_E_clISt17integral_constantIbLb0EESY_IbLb1EEEEDaSU_SV_EUlSU_E_NS1_11comp_targetILNS1_3genE10ELNS1_11target_archE1201ELNS1_3gpuE5ELNS1_3repE0EEENS1_30default_config_static_selectorELNS0_4arch9wavefront6targetE0EEEvT1_ ; -- Begin function _ZN7rocprim17ROCPRIM_400000_NS6detail17trampoline_kernelINS0_14default_configENS1_27scan_by_key_config_selectorIxxEEZZNS1_16scan_by_key_implILNS1_25lookback_scan_determinismE0ELb1ES3_N6thrust23THRUST_200600_302600_NS6detail15normal_iteratorINS9_10device_ptrIxEEEESE_SE_xNS9_10multipliesIxEENS9_8equal_toIxEExEE10hipError_tPvRmT2_T3_T4_T5_mT6_T7_P12ihipStream_tbENKUlT_T0_E_clISt17integral_constantIbLb0EESY_IbLb1EEEEDaSU_SV_EUlSU_E_NS1_11comp_targetILNS1_3genE10ELNS1_11target_archE1201ELNS1_3gpuE5ELNS1_3repE0EEENS1_30default_config_static_selectorELNS0_4arch9wavefront6targetE0EEEvT1_
	.globl	_ZN7rocprim17ROCPRIM_400000_NS6detail17trampoline_kernelINS0_14default_configENS1_27scan_by_key_config_selectorIxxEEZZNS1_16scan_by_key_implILNS1_25lookback_scan_determinismE0ELb1ES3_N6thrust23THRUST_200600_302600_NS6detail15normal_iteratorINS9_10device_ptrIxEEEESE_SE_xNS9_10multipliesIxEENS9_8equal_toIxEExEE10hipError_tPvRmT2_T3_T4_T5_mT6_T7_P12ihipStream_tbENKUlT_T0_E_clISt17integral_constantIbLb0EESY_IbLb1EEEEDaSU_SV_EUlSU_E_NS1_11comp_targetILNS1_3genE10ELNS1_11target_archE1201ELNS1_3gpuE5ELNS1_3repE0EEENS1_30default_config_static_selectorELNS0_4arch9wavefront6targetE0EEEvT1_
	.p2align	8
	.type	_ZN7rocprim17ROCPRIM_400000_NS6detail17trampoline_kernelINS0_14default_configENS1_27scan_by_key_config_selectorIxxEEZZNS1_16scan_by_key_implILNS1_25lookback_scan_determinismE0ELb1ES3_N6thrust23THRUST_200600_302600_NS6detail15normal_iteratorINS9_10device_ptrIxEEEESE_SE_xNS9_10multipliesIxEENS9_8equal_toIxEExEE10hipError_tPvRmT2_T3_T4_T5_mT6_T7_P12ihipStream_tbENKUlT_T0_E_clISt17integral_constantIbLb0EESY_IbLb1EEEEDaSU_SV_EUlSU_E_NS1_11comp_targetILNS1_3genE10ELNS1_11target_archE1201ELNS1_3gpuE5ELNS1_3repE0EEENS1_30default_config_static_selectorELNS0_4arch9wavefront6targetE0EEEvT1_,@function
_ZN7rocprim17ROCPRIM_400000_NS6detail17trampoline_kernelINS0_14default_configENS1_27scan_by_key_config_selectorIxxEEZZNS1_16scan_by_key_implILNS1_25lookback_scan_determinismE0ELb1ES3_N6thrust23THRUST_200600_302600_NS6detail15normal_iteratorINS9_10device_ptrIxEEEESE_SE_xNS9_10multipliesIxEENS9_8equal_toIxEExEE10hipError_tPvRmT2_T3_T4_T5_mT6_T7_P12ihipStream_tbENKUlT_T0_E_clISt17integral_constantIbLb0EESY_IbLb1EEEEDaSU_SV_EUlSU_E_NS1_11comp_targetILNS1_3genE10ELNS1_11target_archE1201ELNS1_3gpuE5ELNS1_3repE0EEENS1_30default_config_static_selectorELNS0_4arch9wavefront6targetE0EEEvT1_: ; @_ZN7rocprim17ROCPRIM_400000_NS6detail17trampoline_kernelINS0_14default_configENS1_27scan_by_key_config_selectorIxxEEZZNS1_16scan_by_key_implILNS1_25lookback_scan_determinismE0ELb1ES3_N6thrust23THRUST_200600_302600_NS6detail15normal_iteratorINS9_10device_ptrIxEEEESE_SE_xNS9_10multipliesIxEENS9_8equal_toIxEExEE10hipError_tPvRmT2_T3_T4_T5_mT6_T7_P12ihipStream_tbENKUlT_T0_E_clISt17integral_constantIbLb0EESY_IbLb1EEEEDaSU_SV_EUlSU_E_NS1_11comp_targetILNS1_3genE10ELNS1_11target_archE1201ELNS1_3gpuE5ELNS1_3repE0EEENS1_30default_config_static_selectorELNS0_4arch9wavefront6targetE0EEEvT1_
; %bb.0:
	.section	.rodata,"a",@progbits
	.p2align	6, 0x0
	.amdhsa_kernel _ZN7rocprim17ROCPRIM_400000_NS6detail17trampoline_kernelINS0_14default_configENS1_27scan_by_key_config_selectorIxxEEZZNS1_16scan_by_key_implILNS1_25lookback_scan_determinismE0ELb1ES3_N6thrust23THRUST_200600_302600_NS6detail15normal_iteratorINS9_10device_ptrIxEEEESE_SE_xNS9_10multipliesIxEENS9_8equal_toIxEExEE10hipError_tPvRmT2_T3_T4_T5_mT6_T7_P12ihipStream_tbENKUlT_T0_E_clISt17integral_constantIbLb0EESY_IbLb1EEEEDaSU_SV_EUlSU_E_NS1_11comp_targetILNS1_3genE10ELNS1_11target_archE1201ELNS1_3gpuE5ELNS1_3repE0EEENS1_30default_config_static_selectorELNS0_4arch9wavefront6targetE0EEEvT1_
		.amdhsa_group_segment_fixed_size 0
		.amdhsa_private_segment_fixed_size 0
		.amdhsa_kernarg_size 136
		.amdhsa_user_sgpr_count 6
		.amdhsa_user_sgpr_private_segment_buffer 1
		.amdhsa_user_sgpr_dispatch_ptr 0
		.amdhsa_user_sgpr_queue_ptr 0
		.amdhsa_user_sgpr_kernarg_segment_ptr 1
		.amdhsa_user_sgpr_dispatch_id 0
		.amdhsa_user_sgpr_flat_scratch_init 0
		.amdhsa_user_sgpr_private_segment_size 0
		.amdhsa_wavefront_size32 1
		.amdhsa_uses_dynamic_stack 0
		.amdhsa_system_sgpr_private_segment_wavefront_offset 0
		.amdhsa_system_sgpr_workgroup_id_x 1
		.amdhsa_system_sgpr_workgroup_id_y 0
		.amdhsa_system_sgpr_workgroup_id_z 0
		.amdhsa_system_sgpr_workgroup_info 0
		.amdhsa_system_vgpr_workitem_id 0
		.amdhsa_next_free_vgpr 1
		.amdhsa_next_free_sgpr 1
		.amdhsa_reserve_vcc 0
		.amdhsa_reserve_flat_scratch 0
		.amdhsa_float_round_mode_32 0
		.amdhsa_float_round_mode_16_64 0
		.amdhsa_float_denorm_mode_32 3
		.amdhsa_float_denorm_mode_16_64 3
		.amdhsa_dx10_clamp 1
		.amdhsa_ieee_mode 1
		.amdhsa_fp16_overflow 0
		.amdhsa_workgroup_processor_mode 1
		.amdhsa_memory_ordered 1
		.amdhsa_forward_progress 1
		.amdhsa_shared_vgpr_count 0
		.amdhsa_exception_fp_ieee_invalid_op 0
		.amdhsa_exception_fp_denorm_src 0
		.amdhsa_exception_fp_ieee_div_zero 0
		.amdhsa_exception_fp_ieee_overflow 0
		.amdhsa_exception_fp_ieee_underflow 0
		.amdhsa_exception_fp_ieee_inexact 0
		.amdhsa_exception_int_div_zero 0
	.end_amdhsa_kernel
	.section	.text._ZN7rocprim17ROCPRIM_400000_NS6detail17trampoline_kernelINS0_14default_configENS1_27scan_by_key_config_selectorIxxEEZZNS1_16scan_by_key_implILNS1_25lookback_scan_determinismE0ELb1ES3_N6thrust23THRUST_200600_302600_NS6detail15normal_iteratorINS9_10device_ptrIxEEEESE_SE_xNS9_10multipliesIxEENS9_8equal_toIxEExEE10hipError_tPvRmT2_T3_T4_T5_mT6_T7_P12ihipStream_tbENKUlT_T0_E_clISt17integral_constantIbLb0EESY_IbLb1EEEEDaSU_SV_EUlSU_E_NS1_11comp_targetILNS1_3genE10ELNS1_11target_archE1201ELNS1_3gpuE5ELNS1_3repE0EEENS1_30default_config_static_selectorELNS0_4arch9wavefront6targetE0EEEvT1_,"axG",@progbits,_ZN7rocprim17ROCPRIM_400000_NS6detail17trampoline_kernelINS0_14default_configENS1_27scan_by_key_config_selectorIxxEEZZNS1_16scan_by_key_implILNS1_25lookback_scan_determinismE0ELb1ES3_N6thrust23THRUST_200600_302600_NS6detail15normal_iteratorINS9_10device_ptrIxEEEESE_SE_xNS9_10multipliesIxEENS9_8equal_toIxEExEE10hipError_tPvRmT2_T3_T4_T5_mT6_T7_P12ihipStream_tbENKUlT_T0_E_clISt17integral_constantIbLb0EESY_IbLb1EEEEDaSU_SV_EUlSU_E_NS1_11comp_targetILNS1_3genE10ELNS1_11target_archE1201ELNS1_3gpuE5ELNS1_3repE0EEENS1_30default_config_static_selectorELNS0_4arch9wavefront6targetE0EEEvT1_,comdat
.Lfunc_end417:
	.size	_ZN7rocprim17ROCPRIM_400000_NS6detail17trampoline_kernelINS0_14default_configENS1_27scan_by_key_config_selectorIxxEEZZNS1_16scan_by_key_implILNS1_25lookback_scan_determinismE0ELb1ES3_N6thrust23THRUST_200600_302600_NS6detail15normal_iteratorINS9_10device_ptrIxEEEESE_SE_xNS9_10multipliesIxEENS9_8equal_toIxEExEE10hipError_tPvRmT2_T3_T4_T5_mT6_T7_P12ihipStream_tbENKUlT_T0_E_clISt17integral_constantIbLb0EESY_IbLb1EEEEDaSU_SV_EUlSU_E_NS1_11comp_targetILNS1_3genE10ELNS1_11target_archE1201ELNS1_3gpuE5ELNS1_3repE0EEENS1_30default_config_static_selectorELNS0_4arch9wavefront6targetE0EEEvT1_, .Lfunc_end417-_ZN7rocprim17ROCPRIM_400000_NS6detail17trampoline_kernelINS0_14default_configENS1_27scan_by_key_config_selectorIxxEEZZNS1_16scan_by_key_implILNS1_25lookback_scan_determinismE0ELb1ES3_N6thrust23THRUST_200600_302600_NS6detail15normal_iteratorINS9_10device_ptrIxEEEESE_SE_xNS9_10multipliesIxEENS9_8equal_toIxEExEE10hipError_tPvRmT2_T3_T4_T5_mT6_T7_P12ihipStream_tbENKUlT_T0_E_clISt17integral_constantIbLb0EESY_IbLb1EEEEDaSU_SV_EUlSU_E_NS1_11comp_targetILNS1_3genE10ELNS1_11target_archE1201ELNS1_3gpuE5ELNS1_3repE0EEENS1_30default_config_static_selectorELNS0_4arch9wavefront6targetE0EEEvT1_
                                        ; -- End function
	.set _ZN7rocprim17ROCPRIM_400000_NS6detail17trampoline_kernelINS0_14default_configENS1_27scan_by_key_config_selectorIxxEEZZNS1_16scan_by_key_implILNS1_25lookback_scan_determinismE0ELb1ES3_N6thrust23THRUST_200600_302600_NS6detail15normal_iteratorINS9_10device_ptrIxEEEESE_SE_xNS9_10multipliesIxEENS9_8equal_toIxEExEE10hipError_tPvRmT2_T3_T4_T5_mT6_T7_P12ihipStream_tbENKUlT_T0_E_clISt17integral_constantIbLb0EESY_IbLb1EEEEDaSU_SV_EUlSU_E_NS1_11comp_targetILNS1_3genE10ELNS1_11target_archE1201ELNS1_3gpuE5ELNS1_3repE0EEENS1_30default_config_static_selectorELNS0_4arch9wavefront6targetE0EEEvT1_.num_vgpr, 0
	.set _ZN7rocprim17ROCPRIM_400000_NS6detail17trampoline_kernelINS0_14default_configENS1_27scan_by_key_config_selectorIxxEEZZNS1_16scan_by_key_implILNS1_25lookback_scan_determinismE0ELb1ES3_N6thrust23THRUST_200600_302600_NS6detail15normal_iteratorINS9_10device_ptrIxEEEESE_SE_xNS9_10multipliesIxEENS9_8equal_toIxEExEE10hipError_tPvRmT2_T3_T4_T5_mT6_T7_P12ihipStream_tbENKUlT_T0_E_clISt17integral_constantIbLb0EESY_IbLb1EEEEDaSU_SV_EUlSU_E_NS1_11comp_targetILNS1_3genE10ELNS1_11target_archE1201ELNS1_3gpuE5ELNS1_3repE0EEENS1_30default_config_static_selectorELNS0_4arch9wavefront6targetE0EEEvT1_.num_agpr, 0
	.set _ZN7rocprim17ROCPRIM_400000_NS6detail17trampoline_kernelINS0_14default_configENS1_27scan_by_key_config_selectorIxxEEZZNS1_16scan_by_key_implILNS1_25lookback_scan_determinismE0ELb1ES3_N6thrust23THRUST_200600_302600_NS6detail15normal_iteratorINS9_10device_ptrIxEEEESE_SE_xNS9_10multipliesIxEENS9_8equal_toIxEExEE10hipError_tPvRmT2_T3_T4_T5_mT6_T7_P12ihipStream_tbENKUlT_T0_E_clISt17integral_constantIbLb0EESY_IbLb1EEEEDaSU_SV_EUlSU_E_NS1_11comp_targetILNS1_3genE10ELNS1_11target_archE1201ELNS1_3gpuE5ELNS1_3repE0EEENS1_30default_config_static_selectorELNS0_4arch9wavefront6targetE0EEEvT1_.numbered_sgpr, 0
	.set _ZN7rocprim17ROCPRIM_400000_NS6detail17trampoline_kernelINS0_14default_configENS1_27scan_by_key_config_selectorIxxEEZZNS1_16scan_by_key_implILNS1_25lookback_scan_determinismE0ELb1ES3_N6thrust23THRUST_200600_302600_NS6detail15normal_iteratorINS9_10device_ptrIxEEEESE_SE_xNS9_10multipliesIxEENS9_8equal_toIxEExEE10hipError_tPvRmT2_T3_T4_T5_mT6_T7_P12ihipStream_tbENKUlT_T0_E_clISt17integral_constantIbLb0EESY_IbLb1EEEEDaSU_SV_EUlSU_E_NS1_11comp_targetILNS1_3genE10ELNS1_11target_archE1201ELNS1_3gpuE5ELNS1_3repE0EEENS1_30default_config_static_selectorELNS0_4arch9wavefront6targetE0EEEvT1_.num_named_barrier, 0
	.set _ZN7rocprim17ROCPRIM_400000_NS6detail17trampoline_kernelINS0_14default_configENS1_27scan_by_key_config_selectorIxxEEZZNS1_16scan_by_key_implILNS1_25lookback_scan_determinismE0ELb1ES3_N6thrust23THRUST_200600_302600_NS6detail15normal_iteratorINS9_10device_ptrIxEEEESE_SE_xNS9_10multipliesIxEENS9_8equal_toIxEExEE10hipError_tPvRmT2_T3_T4_T5_mT6_T7_P12ihipStream_tbENKUlT_T0_E_clISt17integral_constantIbLb0EESY_IbLb1EEEEDaSU_SV_EUlSU_E_NS1_11comp_targetILNS1_3genE10ELNS1_11target_archE1201ELNS1_3gpuE5ELNS1_3repE0EEENS1_30default_config_static_selectorELNS0_4arch9wavefront6targetE0EEEvT1_.private_seg_size, 0
	.set _ZN7rocprim17ROCPRIM_400000_NS6detail17trampoline_kernelINS0_14default_configENS1_27scan_by_key_config_selectorIxxEEZZNS1_16scan_by_key_implILNS1_25lookback_scan_determinismE0ELb1ES3_N6thrust23THRUST_200600_302600_NS6detail15normal_iteratorINS9_10device_ptrIxEEEESE_SE_xNS9_10multipliesIxEENS9_8equal_toIxEExEE10hipError_tPvRmT2_T3_T4_T5_mT6_T7_P12ihipStream_tbENKUlT_T0_E_clISt17integral_constantIbLb0EESY_IbLb1EEEEDaSU_SV_EUlSU_E_NS1_11comp_targetILNS1_3genE10ELNS1_11target_archE1201ELNS1_3gpuE5ELNS1_3repE0EEENS1_30default_config_static_selectorELNS0_4arch9wavefront6targetE0EEEvT1_.uses_vcc, 0
	.set _ZN7rocprim17ROCPRIM_400000_NS6detail17trampoline_kernelINS0_14default_configENS1_27scan_by_key_config_selectorIxxEEZZNS1_16scan_by_key_implILNS1_25lookback_scan_determinismE0ELb1ES3_N6thrust23THRUST_200600_302600_NS6detail15normal_iteratorINS9_10device_ptrIxEEEESE_SE_xNS9_10multipliesIxEENS9_8equal_toIxEExEE10hipError_tPvRmT2_T3_T4_T5_mT6_T7_P12ihipStream_tbENKUlT_T0_E_clISt17integral_constantIbLb0EESY_IbLb1EEEEDaSU_SV_EUlSU_E_NS1_11comp_targetILNS1_3genE10ELNS1_11target_archE1201ELNS1_3gpuE5ELNS1_3repE0EEENS1_30default_config_static_selectorELNS0_4arch9wavefront6targetE0EEEvT1_.uses_flat_scratch, 0
	.set _ZN7rocprim17ROCPRIM_400000_NS6detail17trampoline_kernelINS0_14default_configENS1_27scan_by_key_config_selectorIxxEEZZNS1_16scan_by_key_implILNS1_25lookback_scan_determinismE0ELb1ES3_N6thrust23THRUST_200600_302600_NS6detail15normal_iteratorINS9_10device_ptrIxEEEESE_SE_xNS9_10multipliesIxEENS9_8equal_toIxEExEE10hipError_tPvRmT2_T3_T4_T5_mT6_T7_P12ihipStream_tbENKUlT_T0_E_clISt17integral_constantIbLb0EESY_IbLb1EEEEDaSU_SV_EUlSU_E_NS1_11comp_targetILNS1_3genE10ELNS1_11target_archE1201ELNS1_3gpuE5ELNS1_3repE0EEENS1_30default_config_static_selectorELNS0_4arch9wavefront6targetE0EEEvT1_.has_dyn_sized_stack, 0
	.set _ZN7rocprim17ROCPRIM_400000_NS6detail17trampoline_kernelINS0_14default_configENS1_27scan_by_key_config_selectorIxxEEZZNS1_16scan_by_key_implILNS1_25lookback_scan_determinismE0ELb1ES3_N6thrust23THRUST_200600_302600_NS6detail15normal_iteratorINS9_10device_ptrIxEEEESE_SE_xNS9_10multipliesIxEENS9_8equal_toIxEExEE10hipError_tPvRmT2_T3_T4_T5_mT6_T7_P12ihipStream_tbENKUlT_T0_E_clISt17integral_constantIbLb0EESY_IbLb1EEEEDaSU_SV_EUlSU_E_NS1_11comp_targetILNS1_3genE10ELNS1_11target_archE1201ELNS1_3gpuE5ELNS1_3repE0EEENS1_30default_config_static_selectorELNS0_4arch9wavefront6targetE0EEEvT1_.has_recursion, 0
	.set _ZN7rocprim17ROCPRIM_400000_NS6detail17trampoline_kernelINS0_14default_configENS1_27scan_by_key_config_selectorIxxEEZZNS1_16scan_by_key_implILNS1_25lookback_scan_determinismE0ELb1ES3_N6thrust23THRUST_200600_302600_NS6detail15normal_iteratorINS9_10device_ptrIxEEEESE_SE_xNS9_10multipliesIxEENS9_8equal_toIxEExEE10hipError_tPvRmT2_T3_T4_T5_mT6_T7_P12ihipStream_tbENKUlT_T0_E_clISt17integral_constantIbLb0EESY_IbLb1EEEEDaSU_SV_EUlSU_E_NS1_11comp_targetILNS1_3genE10ELNS1_11target_archE1201ELNS1_3gpuE5ELNS1_3repE0EEENS1_30default_config_static_selectorELNS0_4arch9wavefront6targetE0EEEvT1_.has_indirect_call, 0
	.section	.AMDGPU.csdata,"",@progbits
; Kernel info:
; codeLenInByte = 0
; TotalNumSgprs: 0
; NumVgprs: 0
; ScratchSize: 0
; MemoryBound: 0
; FloatMode: 240
; IeeeMode: 1
; LDSByteSize: 0 bytes/workgroup (compile time only)
; SGPRBlocks: 0
; VGPRBlocks: 0
; NumSGPRsForWavesPerEU: 1
; NumVGPRsForWavesPerEU: 1
; Occupancy: 16
; WaveLimiterHint : 0
; COMPUTE_PGM_RSRC2:SCRATCH_EN: 0
; COMPUTE_PGM_RSRC2:USER_SGPR: 6
; COMPUTE_PGM_RSRC2:TRAP_HANDLER: 0
; COMPUTE_PGM_RSRC2:TGID_X_EN: 1
; COMPUTE_PGM_RSRC2:TGID_Y_EN: 0
; COMPUTE_PGM_RSRC2:TGID_Z_EN: 0
; COMPUTE_PGM_RSRC2:TIDIG_COMP_CNT: 0
	.section	.text._ZN7rocprim17ROCPRIM_400000_NS6detail17trampoline_kernelINS0_14default_configENS1_27scan_by_key_config_selectorIxxEEZZNS1_16scan_by_key_implILNS1_25lookback_scan_determinismE0ELb1ES3_N6thrust23THRUST_200600_302600_NS6detail15normal_iteratorINS9_10device_ptrIxEEEESE_SE_xNS9_10multipliesIxEENS9_8equal_toIxEExEE10hipError_tPvRmT2_T3_T4_T5_mT6_T7_P12ihipStream_tbENKUlT_T0_E_clISt17integral_constantIbLb0EESY_IbLb1EEEEDaSU_SV_EUlSU_E_NS1_11comp_targetILNS1_3genE5ELNS1_11target_archE942ELNS1_3gpuE9ELNS1_3repE0EEENS1_30default_config_static_selectorELNS0_4arch9wavefront6targetE0EEEvT1_,"axG",@progbits,_ZN7rocprim17ROCPRIM_400000_NS6detail17trampoline_kernelINS0_14default_configENS1_27scan_by_key_config_selectorIxxEEZZNS1_16scan_by_key_implILNS1_25lookback_scan_determinismE0ELb1ES3_N6thrust23THRUST_200600_302600_NS6detail15normal_iteratorINS9_10device_ptrIxEEEESE_SE_xNS9_10multipliesIxEENS9_8equal_toIxEExEE10hipError_tPvRmT2_T3_T4_T5_mT6_T7_P12ihipStream_tbENKUlT_T0_E_clISt17integral_constantIbLb0EESY_IbLb1EEEEDaSU_SV_EUlSU_E_NS1_11comp_targetILNS1_3genE5ELNS1_11target_archE942ELNS1_3gpuE9ELNS1_3repE0EEENS1_30default_config_static_selectorELNS0_4arch9wavefront6targetE0EEEvT1_,comdat
	.protected	_ZN7rocprim17ROCPRIM_400000_NS6detail17trampoline_kernelINS0_14default_configENS1_27scan_by_key_config_selectorIxxEEZZNS1_16scan_by_key_implILNS1_25lookback_scan_determinismE0ELb1ES3_N6thrust23THRUST_200600_302600_NS6detail15normal_iteratorINS9_10device_ptrIxEEEESE_SE_xNS9_10multipliesIxEENS9_8equal_toIxEExEE10hipError_tPvRmT2_T3_T4_T5_mT6_T7_P12ihipStream_tbENKUlT_T0_E_clISt17integral_constantIbLb0EESY_IbLb1EEEEDaSU_SV_EUlSU_E_NS1_11comp_targetILNS1_3genE5ELNS1_11target_archE942ELNS1_3gpuE9ELNS1_3repE0EEENS1_30default_config_static_selectorELNS0_4arch9wavefront6targetE0EEEvT1_ ; -- Begin function _ZN7rocprim17ROCPRIM_400000_NS6detail17trampoline_kernelINS0_14default_configENS1_27scan_by_key_config_selectorIxxEEZZNS1_16scan_by_key_implILNS1_25lookback_scan_determinismE0ELb1ES3_N6thrust23THRUST_200600_302600_NS6detail15normal_iteratorINS9_10device_ptrIxEEEESE_SE_xNS9_10multipliesIxEENS9_8equal_toIxEExEE10hipError_tPvRmT2_T3_T4_T5_mT6_T7_P12ihipStream_tbENKUlT_T0_E_clISt17integral_constantIbLb0EESY_IbLb1EEEEDaSU_SV_EUlSU_E_NS1_11comp_targetILNS1_3genE5ELNS1_11target_archE942ELNS1_3gpuE9ELNS1_3repE0EEENS1_30default_config_static_selectorELNS0_4arch9wavefront6targetE0EEEvT1_
	.globl	_ZN7rocprim17ROCPRIM_400000_NS6detail17trampoline_kernelINS0_14default_configENS1_27scan_by_key_config_selectorIxxEEZZNS1_16scan_by_key_implILNS1_25lookback_scan_determinismE0ELb1ES3_N6thrust23THRUST_200600_302600_NS6detail15normal_iteratorINS9_10device_ptrIxEEEESE_SE_xNS9_10multipliesIxEENS9_8equal_toIxEExEE10hipError_tPvRmT2_T3_T4_T5_mT6_T7_P12ihipStream_tbENKUlT_T0_E_clISt17integral_constantIbLb0EESY_IbLb1EEEEDaSU_SV_EUlSU_E_NS1_11comp_targetILNS1_3genE5ELNS1_11target_archE942ELNS1_3gpuE9ELNS1_3repE0EEENS1_30default_config_static_selectorELNS0_4arch9wavefront6targetE0EEEvT1_
	.p2align	8
	.type	_ZN7rocprim17ROCPRIM_400000_NS6detail17trampoline_kernelINS0_14default_configENS1_27scan_by_key_config_selectorIxxEEZZNS1_16scan_by_key_implILNS1_25lookback_scan_determinismE0ELb1ES3_N6thrust23THRUST_200600_302600_NS6detail15normal_iteratorINS9_10device_ptrIxEEEESE_SE_xNS9_10multipliesIxEENS9_8equal_toIxEExEE10hipError_tPvRmT2_T3_T4_T5_mT6_T7_P12ihipStream_tbENKUlT_T0_E_clISt17integral_constantIbLb0EESY_IbLb1EEEEDaSU_SV_EUlSU_E_NS1_11comp_targetILNS1_3genE5ELNS1_11target_archE942ELNS1_3gpuE9ELNS1_3repE0EEENS1_30default_config_static_selectorELNS0_4arch9wavefront6targetE0EEEvT1_,@function
_ZN7rocprim17ROCPRIM_400000_NS6detail17trampoline_kernelINS0_14default_configENS1_27scan_by_key_config_selectorIxxEEZZNS1_16scan_by_key_implILNS1_25lookback_scan_determinismE0ELb1ES3_N6thrust23THRUST_200600_302600_NS6detail15normal_iteratorINS9_10device_ptrIxEEEESE_SE_xNS9_10multipliesIxEENS9_8equal_toIxEExEE10hipError_tPvRmT2_T3_T4_T5_mT6_T7_P12ihipStream_tbENKUlT_T0_E_clISt17integral_constantIbLb0EESY_IbLb1EEEEDaSU_SV_EUlSU_E_NS1_11comp_targetILNS1_3genE5ELNS1_11target_archE942ELNS1_3gpuE9ELNS1_3repE0EEENS1_30default_config_static_selectorELNS0_4arch9wavefront6targetE0EEEvT1_: ; @_ZN7rocprim17ROCPRIM_400000_NS6detail17trampoline_kernelINS0_14default_configENS1_27scan_by_key_config_selectorIxxEEZZNS1_16scan_by_key_implILNS1_25lookback_scan_determinismE0ELb1ES3_N6thrust23THRUST_200600_302600_NS6detail15normal_iteratorINS9_10device_ptrIxEEEESE_SE_xNS9_10multipliesIxEENS9_8equal_toIxEExEE10hipError_tPvRmT2_T3_T4_T5_mT6_T7_P12ihipStream_tbENKUlT_T0_E_clISt17integral_constantIbLb0EESY_IbLb1EEEEDaSU_SV_EUlSU_E_NS1_11comp_targetILNS1_3genE5ELNS1_11target_archE942ELNS1_3gpuE9ELNS1_3repE0EEENS1_30default_config_static_selectorELNS0_4arch9wavefront6targetE0EEEvT1_
; %bb.0:
	.section	.rodata,"a",@progbits
	.p2align	6, 0x0
	.amdhsa_kernel _ZN7rocprim17ROCPRIM_400000_NS6detail17trampoline_kernelINS0_14default_configENS1_27scan_by_key_config_selectorIxxEEZZNS1_16scan_by_key_implILNS1_25lookback_scan_determinismE0ELb1ES3_N6thrust23THRUST_200600_302600_NS6detail15normal_iteratorINS9_10device_ptrIxEEEESE_SE_xNS9_10multipliesIxEENS9_8equal_toIxEExEE10hipError_tPvRmT2_T3_T4_T5_mT6_T7_P12ihipStream_tbENKUlT_T0_E_clISt17integral_constantIbLb0EESY_IbLb1EEEEDaSU_SV_EUlSU_E_NS1_11comp_targetILNS1_3genE5ELNS1_11target_archE942ELNS1_3gpuE9ELNS1_3repE0EEENS1_30default_config_static_selectorELNS0_4arch9wavefront6targetE0EEEvT1_
		.amdhsa_group_segment_fixed_size 0
		.amdhsa_private_segment_fixed_size 0
		.amdhsa_kernarg_size 136
		.amdhsa_user_sgpr_count 6
		.amdhsa_user_sgpr_private_segment_buffer 1
		.amdhsa_user_sgpr_dispatch_ptr 0
		.amdhsa_user_sgpr_queue_ptr 0
		.amdhsa_user_sgpr_kernarg_segment_ptr 1
		.amdhsa_user_sgpr_dispatch_id 0
		.amdhsa_user_sgpr_flat_scratch_init 0
		.amdhsa_user_sgpr_private_segment_size 0
		.amdhsa_wavefront_size32 1
		.amdhsa_uses_dynamic_stack 0
		.amdhsa_system_sgpr_private_segment_wavefront_offset 0
		.amdhsa_system_sgpr_workgroup_id_x 1
		.amdhsa_system_sgpr_workgroup_id_y 0
		.amdhsa_system_sgpr_workgroup_id_z 0
		.amdhsa_system_sgpr_workgroup_info 0
		.amdhsa_system_vgpr_workitem_id 0
		.amdhsa_next_free_vgpr 1
		.amdhsa_next_free_sgpr 1
		.amdhsa_reserve_vcc 0
		.amdhsa_reserve_flat_scratch 0
		.amdhsa_float_round_mode_32 0
		.amdhsa_float_round_mode_16_64 0
		.amdhsa_float_denorm_mode_32 3
		.amdhsa_float_denorm_mode_16_64 3
		.amdhsa_dx10_clamp 1
		.amdhsa_ieee_mode 1
		.amdhsa_fp16_overflow 0
		.amdhsa_workgroup_processor_mode 1
		.amdhsa_memory_ordered 1
		.amdhsa_forward_progress 1
		.amdhsa_shared_vgpr_count 0
		.amdhsa_exception_fp_ieee_invalid_op 0
		.amdhsa_exception_fp_denorm_src 0
		.amdhsa_exception_fp_ieee_div_zero 0
		.amdhsa_exception_fp_ieee_overflow 0
		.amdhsa_exception_fp_ieee_underflow 0
		.amdhsa_exception_fp_ieee_inexact 0
		.amdhsa_exception_int_div_zero 0
	.end_amdhsa_kernel
	.section	.text._ZN7rocprim17ROCPRIM_400000_NS6detail17trampoline_kernelINS0_14default_configENS1_27scan_by_key_config_selectorIxxEEZZNS1_16scan_by_key_implILNS1_25lookback_scan_determinismE0ELb1ES3_N6thrust23THRUST_200600_302600_NS6detail15normal_iteratorINS9_10device_ptrIxEEEESE_SE_xNS9_10multipliesIxEENS9_8equal_toIxEExEE10hipError_tPvRmT2_T3_T4_T5_mT6_T7_P12ihipStream_tbENKUlT_T0_E_clISt17integral_constantIbLb0EESY_IbLb1EEEEDaSU_SV_EUlSU_E_NS1_11comp_targetILNS1_3genE5ELNS1_11target_archE942ELNS1_3gpuE9ELNS1_3repE0EEENS1_30default_config_static_selectorELNS0_4arch9wavefront6targetE0EEEvT1_,"axG",@progbits,_ZN7rocprim17ROCPRIM_400000_NS6detail17trampoline_kernelINS0_14default_configENS1_27scan_by_key_config_selectorIxxEEZZNS1_16scan_by_key_implILNS1_25lookback_scan_determinismE0ELb1ES3_N6thrust23THRUST_200600_302600_NS6detail15normal_iteratorINS9_10device_ptrIxEEEESE_SE_xNS9_10multipliesIxEENS9_8equal_toIxEExEE10hipError_tPvRmT2_T3_T4_T5_mT6_T7_P12ihipStream_tbENKUlT_T0_E_clISt17integral_constantIbLb0EESY_IbLb1EEEEDaSU_SV_EUlSU_E_NS1_11comp_targetILNS1_3genE5ELNS1_11target_archE942ELNS1_3gpuE9ELNS1_3repE0EEENS1_30default_config_static_selectorELNS0_4arch9wavefront6targetE0EEEvT1_,comdat
.Lfunc_end418:
	.size	_ZN7rocprim17ROCPRIM_400000_NS6detail17trampoline_kernelINS0_14default_configENS1_27scan_by_key_config_selectorIxxEEZZNS1_16scan_by_key_implILNS1_25lookback_scan_determinismE0ELb1ES3_N6thrust23THRUST_200600_302600_NS6detail15normal_iteratorINS9_10device_ptrIxEEEESE_SE_xNS9_10multipliesIxEENS9_8equal_toIxEExEE10hipError_tPvRmT2_T3_T4_T5_mT6_T7_P12ihipStream_tbENKUlT_T0_E_clISt17integral_constantIbLb0EESY_IbLb1EEEEDaSU_SV_EUlSU_E_NS1_11comp_targetILNS1_3genE5ELNS1_11target_archE942ELNS1_3gpuE9ELNS1_3repE0EEENS1_30default_config_static_selectorELNS0_4arch9wavefront6targetE0EEEvT1_, .Lfunc_end418-_ZN7rocprim17ROCPRIM_400000_NS6detail17trampoline_kernelINS0_14default_configENS1_27scan_by_key_config_selectorIxxEEZZNS1_16scan_by_key_implILNS1_25lookback_scan_determinismE0ELb1ES3_N6thrust23THRUST_200600_302600_NS6detail15normal_iteratorINS9_10device_ptrIxEEEESE_SE_xNS9_10multipliesIxEENS9_8equal_toIxEExEE10hipError_tPvRmT2_T3_T4_T5_mT6_T7_P12ihipStream_tbENKUlT_T0_E_clISt17integral_constantIbLb0EESY_IbLb1EEEEDaSU_SV_EUlSU_E_NS1_11comp_targetILNS1_3genE5ELNS1_11target_archE942ELNS1_3gpuE9ELNS1_3repE0EEENS1_30default_config_static_selectorELNS0_4arch9wavefront6targetE0EEEvT1_
                                        ; -- End function
	.set _ZN7rocprim17ROCPRIM_400000_NS6detail17trampoline_kernelINS0_14default_configENS1_27scan_by_key_config_selectorIxxEEZZNS1_16scan_by_key_implILNS1_25lookback_scan_determinismE0ELb1ES3_N6thrust23THRUST_200600_302600_NS6detail15normal_iteratorINS9_10device_ptrIxEEEESE_SE_xNS9_10multipliesIxEENS9_8equal_toIxEExEE10hipError_tPvRmT2_T3_T4_T5_mT6_T7_P12ihipStream_tbENKUlT_T0_E_clISt17integral_constantIbLb0EESY_IbLb1EEEEDaSU_SV_EUlSU_E_NS1_11comp_targetILNS1_3genE5ELNS1_11target_archE942ELNS1_3gpuE9ELNS1_3repE0EEENS1_30default_config_static_selectorELNS0_4arch9wavefront6targetE0EEEvT1_.num_vgpr, 0
	.set _ZN7rocprim17ROCPRIM_400000_NS6detail17trampoline_kernelINS0_14default_configENS1_27scan_by_key_config_selectorIxxEEZZNS1_16scan_by_key_implILNS1_25lookback_scan_determinismE0ELb1ES3_N6thrust23THRUST_200600_302600_NS6detail15normal_iteratorINS9_10device_ptrIxEEEESE_SE_xNS9_10multipliesIxEENS9_8equal_toIxEExEE10hipError_tPvRmT2_T3_T4_T5_mT6_T7_P12ihipStream_tbENKUlT_T0_E_clISt17integral_constantIbLb0EESY_IbLb1EEEEDaSU_SV_EUlSU_E_NS1_11comp_targetILNS1_3genE5ELNS1_11target_archE942ELNS1_3gpuE9ELNS1_3repE0EEENS1_30default_config_static_selectorELNS0_4arch9wavefront6targetE0EEEvT1_.num_agpr, 0
	.set _ZN7rocprim17ROCPRIM_400000_NS6detail17trampoline_kernelINS0_14default_configENS1_27scan_by_key_config_selectorIxxEEZZNS1_16scan_by_key_implILNS1_25lookback_scan_determinismE0ELb1ES3_N6thrust23THRUST_200600_302600_NS6detail15normal_iteratorINS9_10device_ptrIxEEEESE_SE_xNS9_10multipliesIxEENS9_8equal_toIxEExEE10hipError_tPvRmT2_T3_T4_T5_mT6_T7_P12ihipStream_tbENKUlT_T0_E_clISt17integral_constantIbLb0EESY_IbLb1EEEEDaSU_SV_EUlSU_E_NS1_11comp_targetILNS1_3genE5ELNS1_11target_archE942ELNS1_3gpuE9ELNS1_3repE0EEENS1_30default_config_static_selectorELNS0_4arch9wavefront6targetE0EEEvT1_.numbered_sgpr, 0
	.set _ZN7rocprim17ROCPRIM_400000_NS6detail17trampoline_kernelINS0_14default_configENS1_27scan_by_key_config_selectorIxxEEZZNS1_16scan_by_key_implILNS1_25lookback_scan_determinismE0ELb1ES3_N6thrust23THRUST_200600_302600_NS6detail15normal_iteratorINS9_10device_ptrIxEEEESE_SE_xNS9_10multipliesIxEENS9_8equal_toIxEExEE10hipError_tPvRmT2_T3_T4_T5_mT6_T7_P12ihipStream_tbENKUlT_T0_E_clISt17integral_constantIbLb0EESY_IbLb1EEEEDaSU_SV_EUlSU_E_NS1_11comp_targetILNS1_3genE5ELNS1_11target_archE942ELNS1_3gpuE9ELNS1_3repE0EEENS1_30default_config_static_selectorELNS0_4arch9wavefront6targetE0EEEvT1_.num_named_barrier, 0
	.set _ZN7rocprim17ROCPRIM_400000_NS6detail17trampoline_kernelINS0_14default_configENS1_27scan_by_key_config_selectorIxxEEZZNS1_16scan_by_key_implILNS1_25lookback_scan_determinismE0ELb1ES3_N6thrust23THRUST_200600_302600_NS6detail15normal_iteratorINS9_10device_ptrIxEEEESE_SE_xNS9_10multipliesIxEENS9_8equal_toIxEExEE10hipError_tPvRmT2_T3_T4_T5_mT6_T7_P12ihipStream_tbENKUlT_T0_E_clISt17integral_constantIbLb0EESY_IbLb1EEEEDaSU_SV_EUlSU_E_NS1_11comp_targetILNS1_3genE5ELNS1_11target_archE942ELNS1_3gpuE9ELNS1_3repE0EEENS1_30default_config_static_selectorELNS0_4arch9wavefront6targetE0EEEvT1_.private_seg_size, 0
	.set _ZN7rocprim17ROCPRIM_400000_NS6detail17trampoline_kernelINS0_14default_configENS1_27scan_by_key_config_selectorIxxEEZZNS1_16scan_by_key_implILNS1_25lookback_scan_determinismE0ELb1ES3_N6thrust23THRUST_200600_302600_NS6detail15normal_iteratorINS9_10device_ptrIxEEEESE_SE_xNS9_10multipliesIxEENS9_8equal_toIxEExEE10hipError_tPvRmT2_T3_T4_T5_mT6_T7_P12ihipStream_tbENKUlT_T0_E_clISt17integral_constantIbLb0EESY_IbLb1EEEEDaSU_SV_EUlSU_E_NS1_11comp_targetILNS1_3genE5ELNS1_11target_archE942ELNS1_3gpuE9ELNS1_3repE0EEENS1_30default_config_static_selectorELNS0_4arch9wavefront6targetE0EEEvT1_.uses_vcc, 0
	.set _ZN7rocprim17ROCPRIM_400000_NS6detail17trampoline_kernelINS0_14default_configENS1_27scan_by_key_config_selectorIxxEEZZNS1_16scan_by_key_implILNS1_25lookback_scan_determinismE0ELb1ES3_N6thrust23THRUST_200600_302600_NS6detail15normal_iteratorINS9_10device_ptrIxEEEESE_SE_xNS9_10multipliesIxEENS9_8equal_toIxEExEE10hipError_tPvRmT2_T3_T4_T5_mT6_T7_P12ihipStream_tbENKUlT_T0_E_clISt17integral_constantIbLb0EESY_IbLb1EEEEDaSU_SV_EUlSU_E_NS1_11comp_targetILNS1_3genE5ELNS1_11target_archE942ELNS1_3gpuE9ELNS1_3repE0EEENS1_30default_config_static_selectorELNS0_4arch9wavefront6targetE0EEEvT1_.uses_flat_scratch, 0
	.set _ZN7rocprim17ROCPRIM_400000_NS6detail17trampoline_kernelINS0_14default_configENS1_27scan_by_key_config_selectorIxxEEZZNS1_16scan_by_key_implILNS1_25lookback_scan_determinismE0ELb1ES3_N6thrust23THRUST_200600_302600_NS6detail15normal_iteratorINS9_10device_ptrIxEEEESE_SE_xNS9_10multipliesIxEENS9_8equal_toIxEExEE10hipError_tPvRmT2_T3_T4_T5_mT6_T7_P12ihipStream_tbENKUlT_T0_E_clISt17integral_constantIbLb0EESY_IbLb1EEEEDaSU_SV_EUlSU_E_NS1_11comp_targetILNS1_3genE5ELNS1_11target_archE942ELNS1_3gpuE9ELNS1_3repE0EEENS1_30default_config_static_selectorELNS0_4arch9wavefront6targetE0EEEvT1_.has_dyn_sized_stack, 0
	.set _ZN7rocprim17ROCPRIM_400000_NS6detail17trampoline_kernelINS0_14default_configENS1_27scan_by_key_config_selectorIxxEEZZNS1_16scan_by_key_implILNS1_25lookback_scan_determinismE0ELb1ES3_N6thrust23THRUST_200600_302600_NS6detail15normal_iteratorINS9_10device_ptrIxEEEESE_SE_xNS9_10multipliesIxEENS9_8equal_toIxEExEE10hipError_tPvRmT2_T3_T4_T5_mT6_T7_P12ihipStream_tbENKUlT_T0_E_clISt17integral_constantIbLb0EESY_IbLb1EEEEDaSU_SV_EUlSU_E_NS1_11comp_targetILNS1_3genE5ELNS1_11target_archE942ELNS1_3gpuE9ELNS1_3repE0EEENS1_30default_config_static_selectorELNS0_4arch9wavefront6targetE0EEEvT1_.has_recursion, 0
	.set _ZN7rocprim17ROCPRIM_400000_NS6detail17trampoline_kernelINS0_14default_configENS1_27scan_by_key_config_selectorIxxEEZZNS1_16scan_by_key_implILNS1_25lookback_scan_determinismE0ELb1ES3_N6thrust23THRUST_200600_302600_NS6detail15normal_iteratorINS9_10device_ptrIxEEEESE_SE_xNS9_10multipliesIxEENS9_8equal_toIxEExEE10hipError_tPvRmT2_T3_T4_T5_mT6_T7_P12ihipStream_tbENKUlT_T0_E_clISt17integral_constantIbLb0EESY_IbLb1EEEEDaSU_SV_EUlSU_E_NS1_11comp_targetILNS1_3genE5ELNS1_11target_archE942ELNS1_3gpuE9ELNS1_3repE0EEENS1_30default_config_static_selectorELNS0_4arch9wavefront6targetE0EEEvT1_.has_indirect_call, 0
	.section	.AMDGPU.csdata,"",@progbits
; Kernel info:
; codeLenInByte = 0
; TotalNumSgprs: 0
; NumVgprs: 0
; ScratchSize: 0
; MemoryBound: 0
; FloatMode: 240
; IeeeMode: 1
; LDSByteSize: 0 bytes/workgroup (compile time only)
; SGPRBlocks: 0
; VGPRBlocks: 0
; NumSGPRsForWavesPerEU: 1
; NumVGPRsForWavesPerEU: 1
; Occupancy: 16
; WaveLimiterHint : 0
; COMPUTE_PGM_RSRC2:SCRATCH_EN: 0
; COMPUTE_PGM_RSRC2:USER_SGPR: 6
; COMPUTE_PGM_RSRC2:TRAP_HANDLER: 0
; COMPUTE_PGM_RSRC2:TGID_X_EN: 1
; COMPUTE_PGM_RSRC2:TGID_Y_EN: 0
; COMPUTE_PGM_RSRC2:TGID_Z_EN: 0
; COMPUTE_PGM_RSRC2:TIDIG_COMP_CNT: 0
	.section	.text._ZN7rocprim17ROCPRIM_400000_NS6detail17trampoline_kernelINS0_14default_configENS1_27scan_by_key_config_selectorIxxEEZZNS1_16scan_by_key_implILNS1_25lookback_scan_determinismE0ELb1ES3_N6thrust23THRUST_200600_302600_NS6detail15normal_iteratorINS9_10device_ptrIxEEEESE_SE_xNS9_10multipliesIxEENS9_8equal_toIxEExEE10hipError_tPvRmT2_T3_T4_T5_mT6_T7_P12ihipStream_tbENKUlT_T0_E_clISt17integral_constantIbLb0EESY_IbLb1EEEEDaSU_SV_EUlSU_E_NS1_11comp_targetILNS1_3genE4ELNS1_11target_archE910ELNS1_3gpuE8ELNS1_3repE0EEENS1_30default_config_static_selectorELNS0_4arch9wavefront6targetE0EEEvT1_,"axG",@progbits,_ZN7rocprim17ROCPRIM_400000_NS6detail17trampoline_kernelINS0_14default_configENS1_27scan_by_key_config_selectorIxxEEZZNS1_16scan_by_key_implILNS1_25lookback_scan_determinismE0ELb1ES3_N6thrust23THRUST_200600_302600_NS6detail15normal_iteratorINS9_10device_ptrIxEEEESE_SE_xNS9_10multipliesIxEENS9_8equal_toIxEExEE10hipError_tPvRmT2_T3_T4_T5_mT6_T7_P12ihipStream_tbENKUlT_T0_E_clISt17integral_constantIbLb0EESY_IbLb1EEEEDaSU_SV_EUlSU_E_NS1_11comp_targetILNS1_3genE4ELNS1_11target_archE910ELNS1_3gpuE8ELNS1_3repE0EEENS1_30default_config_static_selectorELNS0_4arch9wavefront6targetE0EEEvT1_,comdat
	.protected	_ZN7rocprim17ROCPRIM_400000_NS6detail17trampoline_kernelINS0_14default_configENS1_27scan_by_key_config_selectorIxxEEZZNS1_16scan_by_key_implILNS1_25lookback_scan_determinismE0ELb1ES3_N6thrust23THRUST_200600_302600_NS6detail15normal_iteratorINS9_10device_ptrIxEEEESE_SE_xNS9_10multipliesIxEENS9_8equal_toIxEExEE10hipError_tPvRmT2_T3_T4_T5_mT6_T7_P12ihipStream_tbENKUlT_T0_E_clISt17integral_constantIbLb0EESY_IbLb1EEEEDaSU_SV_EUlSU_E_NS1_11comp_targetILNS1_3genE4ELNS1_11target_archE910ELNS1_3gpuE8ELNS1_3repE0EEENS1_30default_config_static_selectorELNS0_4arch9wavefront6targetE0EEEvT1_ ; -- Begin function _ZN7rocprim17ROCPRIM_400000_NS6detail17trampoline_kernelINS0_14default_configENS1_27scan_by_key_config_selectorIxxEEZZNS1_16scan_by_key_implILNS1_25lookback_scan_determinismE0ELb1ES3_N6thrust23THRUST_200600_302600_NS6detail15normal_iteratorINS9_10device_ptrIxEEEESE_SE_xNS9_10multipliesIxEENS9_8equal_toIxEExEE10hipError_tPvRmT2_T3_T4_T5_mT6_T7_P12ihipStream_tbENKUlT_T0_E_clISt17integral_constantIbLb0EESY_IbLb1EEEEDaSU_SV_EUlSU_E_NS1_11comp_targetILNS1_3genE4ELNS1_11target_archE910ELNS1_3gpuE8ELNS1_3repE0EEENS1_30default_config_static_selectorELNS0_4arch9wavefront6targetE0EEEvT1_
	.globl	_ZN7rocprim17ROCPRIM_400000_NS6detail17trampoline_kernelINS0_14default_configENS1_27scan_by_key_config_selectorIxxEEZZNS1_16scan_by_key_implILNS1_25lookback_scan_determinismE0ELb1ES3_N6thrust23THRUST_200600_302600_NS6detail15normal_iteratorINS9_10device_ptrIxEEEESE_SE_xNS9_10multipliesIxEENS9_8equal_toIxEExEE10hipError_tPvRmT2_T3_T4_T5_mT6_T7_P12ihipStream_tbENKUlT_T0_E_clISt17integral_constantIbLb0EESY_IbLb1EEEEDaSU_SV_EUlSU_E_NS1_11comp_targetILNS1_3genE4ELNS1_11target_archE910ELNS1_3gpuE8ELNS1_3repE0EEENS1_30default_config_static_selectorELNS0_4arch9wavefront6targetE0EEEvT1_
	.p2align	8
	.type	_ZN7rocprim17ROCPRIM_400000_NS6detail17trampoline_kernelINS0_14default_configENS1_27scan_by_key_config_selectorIxxEEZZNS1_16scan_by_key_implILNS1_25lookback_scan_determinismE0ELb1ES3_N6thrust23THRUST_200600_302600_NS6detail15normal_iteratorINS9_10device_ptrIxEEEESE_SE_xNS9_10multipliesIxEENS9_8equal_toIxEExEE10hipError_tPvRmT2_T3_T4_T5_mT6_T7_P12ihipStream_tbENKUlT_T0_E_clISt17integral_constantIbLb0EESY_IbLb1EEEEDaSU_SV_EUlSU_E_NS1_11comp_targetILNS1_3genE4ELNS1_11target_archE910ELNS1_3gpuE8ELNS1_3repE0EEENS1_30default_config_static_selectorELNS0_4arch9wavefront6targetE0EEEvT1_,@function
_ZN7rocprim17ROCPRIM_400000_NS6detail17trampoline_kernelINS0_14default_configENS1_27scan_by_key_config_selectorIxxEEZZNS1_16scan_by_key_implILNS1_25lookback_scan_determinismE0ELb1ES3_N6thrust23THRUST_200600_302600_NS6detail15normal_iteratorINS9_10device_ptrIxEEEESE_SE_xNS9_10multipliesIxEENS9_8equal_toIxEExEE10hipError_tPvRmT2_T3_T4_T5_mT6_T7_P12ihipStream_tbENKUlT_T0_E_clISt17integral_constantIbLb0EESY_IbLb1EEEEDaSU_SV_EUlSU_E_NS1_11comp_targetILNS1_3genE4ELNS1_11target_archE910ELNS1_3gpuE8ELNS1_3repE0EEENS1_30default_config_static_selectorELNS0_4arch9wavefront6targetE0EEEvT1_: ; @_ZN7rocprim17ROCPRIM_400000_NS6detail17trampoline_kernelINS0_14default_configENS1_27scan_by_key_config_selectorIxxEEZZNS1_16scan_by_key_implILNS1_25lookback_scan_determinismE0ELb1ES3_N6thrust23THRUST_200600_302600_NS6detail15normal_iteratorINS9_10device_ptrIxEEEESE_SE_xNS9_10multipliesIxEENS9_8equal_toIxEExEE10hipError_tPvRmT2_T3_T4_T5_mT6_T7_P12ihipStream_tbENKUlT_T0_E_clISt17integral_constantIbLb0EESY_IbLb1EEEEDaSU_SV_EUlSU_E_NS1_11comp_targetILNS1_3genE4ELNS1_11target_archE910ELNS1_3gpuE8ELNS1_3repE0EEENS1_30default_config_static_selectorELNS0_4arch9wavefront6targetE0EEEvT1_
; %bb.0:
	.section	.rodata,"a",@progbits
	.p2align	6, 0x0
	.amdhsa_kernel _ZN7rocprim17ROCPRIM_400000_NS6detail17trampoline_kernelINS0_14default_configENS1_27scan_by_key_config_selectorIxxEEZZNS1_16scan_by_key_implILNS1_25lookback_scan_determinismE0ELb1ES3_N6thrust23THRUST_200600_302600_NS6detail15normal_iteratorINS9_10device_ptrIxEEEESE_SE_xNS9_10multipliesIxEENS9_8equal_toIxEExEE10hipError_tPvRmT2_T3_T4_T5_mT6_T7_P12ihipStream_tbENKUlT_T0_E_clISt17integral_constantIbLb0EESY_IbLb1EEEEDaSU_SV_EUlSU_E_NS1_11comp_targetILNS1_3genE4ELNS1_11target_archE910ELNS1_3gpuE8ELNS1_3repE0EEENS1_30default_config_static_selectorELNS0_4arch9wavefront6targetE0EEEvT1_
		.amdhsa_group_segment_fixed_size 0
		.amdhsa_private_segment_fixed_size 0
		.amdhsa_kernarg_size 136
		.amdhsa_user_sgpr_count 6
		.amdhsa_user_sgpr_private_segment_buffer 1
		.amdhsa_user_sgpr_dispatch_ptr 0
		.amdhsa_user_sgpr_queue_ptr 0
		.amdhsa_user_sgpr_kernarg_segment_ptr 1
		.amdhsa_user_sgpr_dispatch_id 0
		.amdhsa_user_sgpr_flat_scratch_init 0
		.amdhsa_user_sgpr_private_segment_size 0
		.amdhsa_wavefront_size32 1
		.amdhsa_uses_dynamic_stack 0
		.amdhsa_system_sgpr_private_segment_wavefront_offset 0
		.amdhsa_system_sgpr_workgroup_id_x 1
		.amdhsa_system_sgpr_workgroup_id_y 0
		.amdhsa_system_sgpr_workgroup_id_z 0
		.amdhsa_system_sgpr_workgroup_info 0
		.amdhsa_system_vgpr_workitem_id 0
		.amdhsa_next_free_vgpr 1
		.amdhsa_next_free_sgpr 1
		.amdhsa_reserve_vcc 0
		.amdhsa_reserve_flat_scratch 0
		.amdhsa_float_round_mode_32 0
		.amdhsa_float_round_mode_16_64 0
		.amdhsa_float_denorm_mode_32 3
		.amdhsa_float_denorm_mode_16_64 3
		.amdhsa_dx10_clamp 1
		.amdhsa_ieee_mode 1
		.amdhsa_fp16_overflow 0
		.amdhsa_workgroup_processor_mode 1
		.amdhsa_memory_ordered 1
		.amdhsa_forward_progress 1
		.amdhsa_shared_vgpr_count 0
		.amdhsa_exception_fp_ieee_invalid_op 0
		.amdhsa_exception_fp_denorm_src 0
		.amdhsa_exception_fp_ieee_div_zero 0
		.amdhsa_exception_fp_ieee_overflow 0
		.amdhsa_exception_fp_ieee_underflow 0
		.amdhsa_exception_fp_ieee_inexact 0
		.amdhsa_exception_int_div_zero 0
	.end_amdhsa_kernel
	.section	.text._ZN7rocprim17ROCPRIM_400000_NS6detail17trampoline_kernelINS0_14default_configENS1_27scan_by_key_config_selectorIxxEEZZNS1_16scan_by_key_implILNS1_25lookback_scan_determinismE0ELb1ES3_N6thrust23THRUST_200600_302600_NS6detail15normal_iteratorINS9_10device_ptrIxEEEESE_SE_xNS9_10multipliesIxEENS9_8equal_toIxEExEE10hipError_tPvRmT2_T3_T4_T5_mT6_T7_P12ihipStream_tbENKUlT_T0_E_clISt17integral_constantIbLb0EESY_IbLb1EEEEDaSU_SV_EUlSU_E_NS1_11comp_targetILNS1_3genE4ELNS1_11target_archE910ELNS1_3gpuE8ELNS1_3repE0EEENS1_30default_config_static_selectorELNS0_4arch9wavefront6targetE0EEEvT1_,"axG",@progbits,_ZN7rocprim17ROCPRIM_400000_NS6detail17trampoline_kernelINS0_14default_configENS1_27scan_by_key_config_selectorIxxEEZZNS1_16scan_by_key_implILNS1_25lookback_scan_determinismE0ELb1ES3_N6thrust23THRUST_200600_302600_NS6detail15normal_iteratorINS9_10device_ptrIxEEEESE_SE_xNS9_10multipliesIxEENS9_8equal_toIxEExEE10hipError_tPvRmT2_T3_T4_T5_mT6_T7_P12ihipStream_tbENKUlT_T0_E_clISt17integral_constantIbLb0EESY_IbLb1EEEEDaSU_SV_EUlSU_E_NS1_11comp_targetILNS1_3genE4ELNS1_11target_archE910ELNS1_3gpuE8ELNS1_3repE0EEENS1_30default_config_static_selectorELNS0_4arch9wavefront6targetE0EEEvT1_,comdat
.Lfunc_end419:
	.size	_ZN7rocprim17ROCPRIM_400000_NS6detail17trampoline_kernelINS0_14default_configENS1_27scan_by_key_config_selectorIxxEEZZNS1_16scan_by_key_implILNS1_25lookback_scan_determinismE0ELb1ES3_N6thrust23THRUST_200600_302600_NS6detail15normal_iteratorINS9_10device_ptrIxEEEESE_SE_xNS9_10multipliesIxEENS9_8equal_toIxEExEE10hipError_tPvRmT2_T3_T4_T5_mT6_T7_P12ihipStream_tbENKUlT_T0_E_clISt17integral_constantIbLb0EESY_IbLb1EEEEDaSU_SV_EUlSU_E_NS1_11comp_targetILNS1_3genE4ELNS1_11target_archE910ELNS1_3gpuE8ELNS1_3repE0EEENS1_30default_config_static_selectorELNS0_4arch9wavefront6targetE0EEEvT1_, .Lfunc_end419-_ZN7rocprim17ROCPRIM_400000_NS6detail17trampoline_kernelINS0_14default_configENS1_27scan_by_key_config_selectorIxxEEZZNS1_16scan_by_key_implILNS1_25lookback_scan_determinismE0ELb1ES3_N6thrust23THRUST_200600_302600_NS6detail15normal_iteratorINS9_10device_ptrIxEEEESE_SE_xNS9_10multipliesIxEENS9_8equal_toIxEExEE10hipError_tPvRmT2_T3_T4_T5_mT6_T7_P12ihipStream_tbENKUlT_T0_E_clISt17integral_constantIbLb0EESY_IbLb1EEEEDaSU_SV_EUlSU_E_NS1_11comp_targetILNS1_3genE4ELNS1_11target_archE910ELNS1_3gpuE8ELNS1_3repE0EEENS1_30default_config_static_selectorELNS0_4arch9wavefront6targetE0EEEvT1_
                                        ; -- End function
	.set _ZN7rocprim17ROCPRIM_400000_NS6detail17trampoline_kernelINS0_14default_configENS1_27scan_by_key_config_selectorIxxEEZZNS1_16scan_by_key_implILNS1_25lookback_scan_determinismE0ELb1ES3_N6thrust23THRUST_200600_302600_NS6detail15normal_iteratorINS9_10device_ptrIxEEEESE_SE_xNS9_10multipliesIxEENS9_8equal_toIxEExEE10hipError_tPvRmT2_T3_T4_T5_mT6_T7_P12ihipStream_tbENKUlT_T0_E_clISt17integral_constantIbLb0EESY_IbLb1EEEEDaSU_SV_EUlSU_E_NS1_11comp_targetILNS1_3genE4ELNS1_11target_archE910ELNS1_3gpuE8ELNS1_3repE0EEENS1_30default_config_static_selectorELNS0_4arch9wavefront6targetE0EEEvT1_.num_vgpr, 0
	.set _ZN7rocprim17ROCPRIM_400000_NS6detail17trampoline_kernelINS0_14default_configENS1_27scan_by_key_config_selectorIxxEEZZNS1_16scan_by_key_implILNS1_25lookback_scan_determinismE0ELb1ES3_N6thrust23THRUST_200600_302600_NS6detail15normal_iteratorINS9_10device_ptrIxEEEESE_SE_xNS9_10multipliesIxEENS9_8equal_toIxEExEE10hipError_tPvRmT2_T3_T4_T5_mT6_T7_P12ihipStream_tbENKUlT_T0_E_clISt17integral_constantIbLb0EESY_IbLb1EEEEDaSU_SV_EUlSU_E_NS1_11comp_targetILNS1_3genE4ELNS1_11target_archE910ELNS1_3gpuE8ELNS1_3repE0EEENS1_30default_config_static_selectorELNS0_4arch9wavefront6targetE0EEEvT1_.num_agpr, 0
	.set _ZN7rocprim17ROCPRIM_400000_NS6detail17trampoline_kernelINS0_14default_configENS1_27scan_by_key_config_selectorIxxEEZZNS1_16scan_by_key_implILNS1_25lookback_scan_determinismE0ELb1ES3_N6thrust23THRUST_200600_302600_NS6detail15normal_iteratorINS9_10device_ptrIxEEEESE_SE_xNS9_10multipliesIxEENS9_8equal_toIxEExEE10hipError_tPvRmT2_T3_T4_T5_mT6_T7_P12ihipStream_tbENKUlT_T0_E_clISt17integral_constantIbLb0EESY_IbLb1EEEEDaSU_SV_EUlSU_E_NS1_11comp_targetILNS1_3genE4ELNS1_11target_archE910ELNS1_3gpuE8ELNS1_3repE0EEENS1_30default_config_static_selectorELNS0_4arch9wavefront6targetE0EEEvT1_.numbered_sgpr, 0
	.set _ZN7rocprim17ROCPRIM_400000_NS6detail17trampoline_kernelINS0_14default_configENS1_27scan_by_key_config_selectorIxxEEZZNS1_16scan_by_key_implILNS1_25lookback_scan_determinismE0ELb1ES3_N6thrust23THRUST_200600_302600_NS6detail15normal_iteratorINS9_10device_ptrIxEEEESE_SE_xNS9_10multipliesIxEENS9_8equal_toIxEExEE10hipError_tPvRmT2_T3_T4_T5_mT6_T7_P12ihipStream_tbENKUlT_T0_E_clISt17integral_constantIbLb0EESY_IbLb1EEEEDaSU_SV_EUlSU_E_NS1_11comp_targetILNS1_3genE4ELNS1_11target_archE910ELNS1_3gpuE8ELNS1_3repE0EEENS1_30default_config_static_selectorELNS0_4arch9wavefront6targetE0EEEvT1_.num_named_barrier, 0
	.set _ZN7rocprim17ROCPRIM_400000_NS6detail17trampoline_kernelINS0_14default_configENS1_27scan_by_key_config_selectorIxxEEZZNS1_16scan_by_key_implILNS1_25lookback_scan_determinismE0ELb1ES3_N6thrust23THRUST_200600_302600_NS6detail15normal_iteratorINS9_10device_ptrIxEEEESE_SE_xNS9_10multipliesIxEENS9_8equal_toIxEExEE10hipError_tPvRmT2_T3_T4_T5_mT6_T7_P12ihipStream_tbENKUlT_T0_E_clISt17integral_constantIbLb0EESY_IbLb1EEEEDaSU_SV_EUlSU_E_NS1_11comp_targetILNS1_3genE4ELNS1_11target_archE910ELNS1_3gpuE8ELNS1_3repE0EEENS1_30default_config_static_selectorELNS0_4arch9wavefront6targetE0EEEvT1_.private_seg_size, 0
	.set _ZN7rocprim17ROCPRIM_400000_NS6detail17trampoline_kernelINS0_14default_configENS1_27scan_by_key_config_selectorIxxEEZZNS1_16scan_by_key_implILNS1_25lookback_scan_determinismE0ELb1ES3_N6thrust23THRUST_200600_302600_NS6detail15normal_iteratorINS9_10device_ptrIxEEEESE_SE_xNS9_10multipliesIxEENS9_8equal_toIxEExEE10hipError_tPvRmT2_T3_T4_T5_mT6_T7_P12ihipStream_tbENKUlT_T0_E_clISt17integral_constantIbLb0EESY_IbLb1EEEEDaSU_SV_EUlSU_E_NS1_11comp_targetILNS1_3genE4ELNS1_11target_archE910ELNS1_3gpuE8ELNS1_3repE0EEENS1_30default_config_static_selectorELNS0_4arch9wavefront6targetE0EEEvT1_.uses_vcc, 0
	.set _ZN7rocprim17ROCPRIM_400000_NS6detail17trampoline_kernelINS0_14default_configENS1_27scan_by_key_config_selectorIxxEEZZNS1_16scan_by_key_implILNS1_25lookback_scan_determinismE0ELb1ES3_N6thrust23THRUST_200600_302600_NS6detail15normal_iteratorINS9_10device_ptrIxEEEESE_SE_xNS9_10multipliesIxEENS9_8equal_toIxEExEE10hipError_tPvRmT2_T3_T4_T5_mT6_T7_P12ihipStream_tbENKUlT_T0_E_clISt17integral_constantIbLb0EESY_IbLb1EEEEDaSU_SV_EUlSU_E_NS1_11comp_targetILNS1_3genE4ELNS1_11target_archE910ELNS1_3gpuE8ELNS1_3repE0EEENS1_30default_config_static_selectorELNS0_4arch9wavefront6targetE0EEEvT1_.uses_flat_scratch, 0
	.set _ZN7rocprim17ROCPRIM_400000_NS6detail17trampoline_kernelINS0_14default_configENS1_27scan_by_key_config_selectorIxxEEZZNS1_16scan_by_key_implILNS1_25lookback_scan_determinismE0ELb1ES3_N6thrust23THRUST_200600_302600_NS6detail15normal_iteratorINS9_10device_ptrIxEEEESE_SE_xNS9_10multipliesIxEENS9_8equal_toIxEExEE10hipError_tPvRmT2_T3_T4_T5_mT6_T7_P12ihipStream_tbENKUlT_T0_E_clISt17integral_constantIbLb0EESY_IbLb1EEEEDaSU_SV_EUlSU_E_NS1_11comp_targetILNS1_3genE4ELNS1_11target_archE910ELNS1_3gpuE8ELNS1_3repE0EEENS1_30default_config_static_selectorELNS0_4arch9wavefront6targetE0EEEvT1_.has_dyn_sized_stack, 0
	.set _ZN7rocprim17ROCPRIM_400000_NS6detail17trampoline_kernelINS0_14default_configENS1_27scan_by_key_config_selectorIxxEEZZNS1_16scan_by_key_implILNS1_25lookback_scan_determinismE0ELb1ES3_N6thrust23THRUST_200600_302600_NS6detail15normal_iteratorINS9_10device_ptrIxEEEESE_SE_xNS9_10multipliesIxEENS9_8equal_toIxEExEE10hipError_tPvRmT2_T3_T4_T5_mT6_T7_P12ihipStream_tbENKUlT_T0_E_clISt17integral_constantIbLb0EESY_IbLb1EEEEDaSU_SV_EUlSU_E_NS1_11comp_targetILNS1_3genE4ELNS1_11target_archE910ELNS1_3gpuE8ELNS1_3repE0EEENS1_30default_config_static_selectorELNS0_4arch9wavefront6targetE0EEEvT1_.has_recursion, 0
	.set _ZN7rocprim17ROCPRIM_400000_NS6detail17trampoline_kernelINS0_14default_configENS1_27scan_by_key_config_selectorIxxEEZZNS1_16scan_by_key_implILNS1_25lookback_scan_determinismE0ELb1ES3_N6thrust23THRUST_200600_302600_NS6detail15normal_iteratorINS9_10device_ptrIxEEEESE_SE_xNS9_10multipliesIxEENS9_8equal_toIxEExEE10hipError_tPvRmT2_T3_T4_T5_mT6_T7_P12ihipStream_tbENKUlT_T0_E_clISt17integral_constantIbLb0EESY_IbLb1EEEEDaSU_SV_EUlSU_E_NS1_11comp_targetILNS1_3genE4ELNS1_11target_archE910ELNS1_3gpuE8ELNS1_3repE0EEENS1_30default_config_static_selectorELNS0_4arch9wavefront6targetE0EEEvT1_.has_indirect_call, 0
	.section	.AMDGPU.csdata,"",@progbits
; Kernel info:
; codeLenInByte = 0
; TotalNumSgprs: 0
; NumVgprs: 0
; ScratchSize: 0
; MemoryBound: 0
; FloatMode: 240
; IeeeMode: 1
; LDSByteSize: 0 bytes/workgroup (compile time only)
; SGPRBlocks: 0
; VGPRBlocks: 0
; NumSGPRsForWavesPerEU: 1
; NumVGPRsForWavesPerEU: 1
; Occupancy: 16
; WaveLimiterHint : 0
; COMPUTE_PGM_RSRC2:SCRATCH_EN: 0
; COMPUTE_PGM_RSRC2:USER_SGPR: 6
; COMPUTE_PGM_RSRC2:TRAP_HANDLER: 0
; COMPUTE_PGM_RSRC2:TGID_X_EN: 1
; COMPUTE_PGM_RSRC2:TGID_Y_EN: 0
; COMPUTE_PGM_RSRC2:TGID_Z_EN: 0
; COMPUTE_PGM_RSRC2:TIDIG_COMP_CNT: 0
	.section	.text._ZN7rocprim17ROCPRIM_400000_NS6detail17trampoline_kernelINS0_14default_configENS1_27scan_by_key_config_selectorIxxEEZZNS1_16scan_by_key_implILNS1_25lookback_scan_determinismE0ELb1ES3_N6thrust23THRUST_200600_302600_NS6detail15normal_iteratorINS9_10device_ptrIxEEEESE_SE_xNS9_10multipliesIxEENS9_8equal_toIxEExEE10hipError_tPvRmT2_T3_T4_T5_mT6_T7_P12ihipStream_tbENKUlT_T0_E_clISt17integral_constantIbLb0EESY_IbLb1EEEEDaSU_SV_EUlSU_E_NS1_11comp_targetILNS1_3genE3ELNS1_11target_archE908ELNS1_3gpuE7ELNS1_3repE0EEENS1_30default_config_static_selectorELNS0_4arch9wavefront6targetE0EEEvT1_,"axG",@progbits,_ZN7rocprim17ROCPRIM_400000_NS6detail17trampoline_kernelINS0_14default_configENS1_27scan_by_key_config_selectorIxxEEZZNS1_16scan_by_key_implILNS1_25lookback_scan_determinismE0ELb1ES3_N6thrust23THRUST_200600_302600_NS6detail15normal_iteratorINS9_10device_ptrIxEEEESE_SE_xNS9_10multipliesIxEENS9_8equal_toIxEExEE10hipError_tPvRmT2_T3_T4_T5_mT6_T7_P12ihipStream_tbENKUlT_T0_E_clISt17integral_constantIbLb0EESY_IbLb1EEEEDaSU_SV_EUlSU_E_NS1_11comp_targetILNS1_3genE3ELNS1_11target_archE908ELNS1_3gpuE7ELNS1_3repE0EEENS1_30default_config_static_selectorELNS0_4arch9wavefront6targetE0EEEvT1_,comdat
	.protected	_ZN7rocprim17ROCPRIM_400000_NS6detail17trampoline_kernelINS0_14default_configENS1_27scan_by_key_config_selectorIxxEEZZNS1_16scan_by_key_implILNS1_25lookback_scan_determinismE0ELb1ES3_N6thrust23THRUST_200600_302600_NS6detail15normal_iteratorINS9_10device_ptrIxEEEESE_SE_xNS9_10multipliesIxEENS9_8equal_toIxEExEE10hipError_tPvRmT2_T3_T4_T5_mT6_T7_P12ihipStream_tbENKUlT_T0_E_clISt17integral_constantIbLb0EESY_IbLb1EEEEDaSU_SV_EUlSU_E_NS1_11comp_targetILNS1_3genE3ELNS1_11target_archE908ELNS1_3gpuE7ELNS1_3repE0EEENS1_30default_config_static_selectorELNS0_4arch9wavefront6targetE0EEEvT1_ ; -- Begin function _ZN7rocprim17ROCPRIM_400000_NS6detail17trampoline_kernelINS0_14default_configENS1_27scan_by_key_config_selectorIxxEEZZNS1_16scan_by_key_implILNS1_25lookback_scan_determinismE0ELb1ES3_N6thrust23THRUST_200600_302600_NS6detail15normal_iteratorINS9_10device_ptrIxEEEESE_SE_xNS9_10multipliesIxEENS9_8equal_toIxEExEE10hipError_tPvRmT2_T3_T4_T5_mT6_T7_P12ihipStream_tbENKUlT_T0_E_clISt17integral_constantIbLb0EESY_IbLb1EEEEDaSU_SV_EUlSU_E_NS1_11comp_targetILNS1_3genE3ELNS1_11target_archE908ELNS1_3gpuE7ELNS1_3repE0EEENS1_30default_config_static_selectorELNS0_4arch9wavefront6targetE0EEEvT1_
	.globl	_ZN7rocprim17ROCPRIM_400000_NS6detail17trampoline_kernelINS0_14default_configENS1_27scan_by_key_config_selectorIxxEEZZNS1_16scan_by_key_implILNS1_25lookback_scan_determinismE0ELb1ES3_N6thrust23THRUST_200600_302600_NS6detail15normal_iteratorINS9_10device_ptrIxEEEESE_SE_xNS9_10multipliesIxEENS9_8equal_toIxEExEE10hipError_tPvRmT2_T3_T4_T5_mT6_T7_P12ihipStream_tbENKUlT_T0_E_clISt17integral_constantIbLb0EESY_IbLb1EEEEDaSU_SV_EUlSU_E_NS1_11comp_targetILNS1_3genE3ELNS1_11target_archE908ELNS1_3gpuE7ELNS1_3repE0EEENS1_30default_config_static_selectorELNS0_4arch9wavefront6targetE0EEEvT1_
	.p2align	8
	.type	_ZN7rocprim17ROCPRIM_400000_NS6detail17trampoline_kernelINS0_14default_configENS1_27scan_by_key_config_selectorIxxEEZZNS1_16scan_by_key_implILNS1_25lookback_scan_determinismE0ELb1ES3_N6thrust23THRUST_200600_302600_NS6detail15normal_iteratorINS9_10device_ptrIxEEEESE_SE_xNS9_10multipliesIxEENS9_8equal_toIxEExEE10hipError_tPvRmT2_T3_T4_T5_mT6_T7_P12ihipStream_tbENKUlT_T0_E_clISt17integral_constantIbLb0EESY_IbLb1EEEEDaSU_SV_EUlSU_E_NS1_11comp_targetILNS1_3genE3ELNS1_11target_archE908ELNS1_3gpuE7ELNS1_3repE0EEENS1_30default_config_static_selectorELNS0_4arch9wavefront6targetE0EEEvT1_,@function
_ZN7rocprim17ROCPRIM_400000_NS6detail17trampoline_kernelINS0_14default_configENS1_27scan_by_key_config_selectorIxxEEZZNS1_16scan_by_key_implILNS1_25lookback_scan_determinismE0ELb1ES3_N6thrust23THRUST_200600_302600_NS6detail15normal_iteratorINS9_10device_ptrIxEEEESE_SE_xNS9_10multipliesIxEENS9_8equal_toIxEExEE10hipError_tPvRmT2_T3_T4_T5_mT6_T7_P12ihipStream_tbENKUlT_T0_E_clISt17integral_constantIbLb0EESY_IbLb1EEEEDaSU_SV_EUlSU_E_NS1_11comp_targetILNS1_3genE3ELNS1_11target_archE908ELNS1_3gpuE7ELNS1_3repE0EEENS1_30default_config_static_selectorELNS0_4arch9wavefront6targetE0EEEvT1_: ; @_ZN7rocprim17ROCPRIM_400000_NS6detail17trampoline_kernelINS0_14default_configENS1_27scan_by_key_config_selectorIxxEEZZNS1_16scan_by_key_implILNS1_25lookback_scan_determinismE0ELb1ES3_N6thrust23THRUST_200600_302600_NS6detail15normal_iteratorINS9_10device_ptrIxEEEESE_SE_xNS9_10multipliesIxEENS9_8equal_toIxEExEE10hipError_tPvRmT2_T3_T4_T5_mT6_T7_P12ihipStream_tbENKUlT_T0_E_clISt17integral_constantIbLb0EESY_IbLb1EEEEDaSU_SV_EUlSU_E_NS1_11comp_targetILNS1_3genE3ELNS1_11target_archE908ELNS1_3gpuE7ELNS1_3repE0EEENS1_30default_config_static_selectorELNS0_4arch9wavefront6targetE0EEEvT1_
; %bb.0:
	.section	.rodata,"a",@progbits
	.p2align	6, 0x0
	.amdhsa_kernel _ZN7rocprim17ROCPRIM_400000_NS6detail17trampoline_kernelINS0_14default_configENS1_27scan_by_key_config_selectorIxxEEZZNS1_16scan_by_key_implILNS1_25lookback_scan_determinismE0ELb1ES3_N6thrust23THRUST_200600_302600_NS6detail15normal_iteratorINS9_10device_ptrIxEEEESE_SE_xNS9_10multipliesIxEENS9_8equal_toIxEExEE10hipError_tPvRmT2_T3_T4_T5_mT6_T7_P12ihipStream_tbENKUlT_T0_E_clISt17integral_constantIbLb0EESY_IbLb1EEEEDaSU_SV_EUlSU_E_NS1_11comp_targetILNS1_3genE3ELNS1_11target_archE908ELNS1_3gpuE7ELNS1_3repE0EEENS1_30default_config_static_selectorELNS0_4arch9wavefront6targetE0EEEvT1_
		.amdhsa_group_segment_fixed_size 0
		.amdhsa_private_segment_fixed_size 0
		.amdhsa_kernarg_size 136
		.amdhsa_user_sgpr_count 6
		.amdhsa_user_sgpr_private_segment_buffer 1
		.amdhsa_user_sgpr_dispatch_ptr 0
		.amdhsa_user_sgpr_queue_ptr 0
		.amdhsa_user_sgpr_kernarg_segment_ptr 1
		.amdhsa_user_sgpr_dispatch_id 0
		.amdhsa_user_sgpr_flat_scratch_init 0
		.amdhsa_user_sgpr_private_segment_size 0
		.amdhsa_wavefront_size32 1
		.amdhsa_uses_dynamic_stack 0
		.amdhsa_system_sgpr_private_segment_wavefront_offset 0
		.amdhsa_system_sgpr_workgroup_id_x 1
		.amdhsa_system_sgpr_workgroup_id_y 0
		.amdhsa_system_sgpr_workgroup_id_z 0
		.amdhsa_system_sgpr_workgroup_info 0
		.amdhsa_system_vgpr_workitem_id 0
		.amdhsa_next_free_vgpr 1
		.amdhsa_next_free_sgpr 1
		.amdhsa_reserve_vcc 0
		.amdhsa_reserve_flat_scratch 0
		.amdhsa_float_round_mode_32 0
		.amdhsa_float_round_mode_16_64 0
		.amdhsa_float_denorm_mode_32 3
		.amdhsa_float_denorm_mode_16_64 3
		.amdhsa_dx10_clamp 1
		.amdhsa_ieee_mode 1
		.amdhsa_fp16_overflow 0
		.amdhsa_workgroup_processor_mode 1
		.amdhsa_memory_ordered 1
		.amdhsa_forward_progress 1
		.amdhsa_shared_vgpr_count 0
		.amdhsa_exception_fp_ieee_invalid_op 0
		.amdhsa_exception_fp_denorm_src 0
		.amdhsa_exception_fp_ieee_div_zero 0
		.amdhsa_exception_fp_ieee_overflow 0
		.amdhsa_exception_fp_ieee_underflow 0
		.amdhsa_exception_fp_ieee_inexact 0
		.amdhsa_exception_int_div_zero 0
	.end_amdhsa_kernel
	.section	.text._ZN7rocprim17ROCPRIM_400000_NS6detail17trampoline_kernelINS0_14default_configENS1_27scan_by_key_config_selectorIxxEEZZNS1_16scan_by_key_implILNS1_25lookback_scan_determinismE0ELb1ES3_N6thrust23THRUST_200600_302600_NS6detail15normal_iteratorINS9_10device_ptrIxEEEESE_SE_xNS9_10multipliesIxEENS9_8equal_toIxEExEE10hipError_tPvRmT2_T3_T4_T5_mT6_T7_P12ihipStream_tbENKUlT_T0_E_clISt17integral_constantIbLb0EESY_IbLb1EEEEDaSU_SV_EUlSU_E_NS1_11comp_targetILNS1_3genE3ELNS1_11target_archE908ELNS1_3gpuE7ELNS1_3repE0EEENS1_30default_config_static_selectorELNS0_4arch9wavefront6targetE0EEEvT1_,"axG",@progbits,_ZN7rocprim17ROCPRIM_400000_NS6detail17trampoline_kernelINS0_14default_configENS1_27scan_by_key_config_selectorIxxEEZZNS1_16scan_by_key_implILNS1_25lookback_scan_determinismE0ELb1ES3_N6thrust23THRUST_200600_302600_NS6detail15normal_iteratorINS9_10device_ptrIxEEEESE_SE_xNS9_10multipliesIxEENS9_8equal_toIxEExEE10hipError_tPvRmT2_T3_T4_T5_mT6_T7_P12ihipStream_tbENKUlT_T0_E_clISt17integral_constantIbLb0EESY_IbLb1EEEEDaSU_SV_EUlSU_E_NS1_11comp_targetILNS1_3genE3ELNS1_11target_archE908ELNS1_3gpuE7ELNS1_3repE0EEENS1_30default_config_static_selectorELNS0_4arch9wavefront6targetE0EEEvT1_,comdat
.Lfunc_end420:
	.size	_ZN7rocprim17ROCPRIM_400000_NS6detail17trampoline_kernelINS0_14default_configENS1_27scan_by_key_config_selectorIxxEEZZNS1_16scan_by_key_implILNS1_25lookback_scan_determinismE0ELb1ES3_N6thrust23THRUST_200600_302600_NS6detail15normal_iteratorINS9_10device_ptrIxEEEESE_SE_xNS9_10multipliesIxEENS9_8equal_toIxEExEE10hipError_tPvRmT2_T3_T4_T5_mT6_T7_P12ihipStream_tbENKUlT_T0_E_clISt17integral_constantIbLb0EESY_IbLb1EEEEDaSU_SV_EUlSU_E_NS1_11comp_targetILNS1_3genE3ELNS1_11target_archE908ELNS1_3gpuE7ELNS1_3repE0EEENS1_30default_config_static_selectorELNS0_4arch9wavefront6targetE0EEEvT1_, .Lfunc_end420-_ZN7rocprim17ROCPRIM_400000_NS6detail17trampoline_kernelINS0_14default_configENS1_27scan_by_key_config_selectorIxxEEZZNS1_16scan_by_key_implILNS1_25lookback_scan_determinismE0ELb1ES3_N6thrust23THRUST_200600_302600_NS6detail15normal_iteratorINS9_10device_ptrIxEEEESE_SE_xNS9_10multipliesIxEENS9_8equal_toIxEExEE10hipError_tPvRmT2_T3_T4_T5_mT6_T7_P12ihipStream_tbENKUlT_T0_E_clISt17integral_constantIbLb0EESY_IbLb1EEEEDaSU_SV_EUlSU_E_NS1_11comp_targetILNS1_3genE3ELNS1_11target_archE908ELNS1_3gpuE7ELNS1_3repE0EEENS1_30default_config_static_selectorELNS0_4arch9wavefront6targetE0EEEvT1_
                                        ; -- End function
	.set _ZN7rocprim17ROCPRIM_400000_NS6detail17trampoline_kernelINS0_14default_configENS1_27scan_by_key_config_selectorIxxEEZZNS1_16scan_by_key_implILNS1_25lookback_scan_determinismE0ELb1ES3_N6thrust23THRUST_200600_302600_NS6detail15normal_iteratorINS9_10device_ptrIxEEEESE_SE_xNS9_10multipliesIxEENS9_8equal_toIxEExEE10hipError_tPvRmT2_T3_T4_T5_mT6_T7_P12ihipStream_tbENKUlT_T0_E_clISt17integral_constantIbLb0EESY_IbLb1EEEEDaSU_SV_EUlSU_E_NS1_11comp_targetILNS1_3genE3ELNS1_11target_archE908ELNS1_3gpuE7ELNS1_3repE0EEENS1_30default_config_static_selectorELNS0_4arch9wavefront6targetE0EEEvT1_.num_vgpr, 0
	.set _ZN7rocprim17ROCPRIM_400000_NS6detail17trampoline_kernelINS0_14default_configENS1_27scan_by_key_config_selectorIxxEEZZNS1_16scan_by_key_implILNS1_25lookback_scan_determinismE0ELb1ES3_N6thrust23THRUST_200600_302600_NS6detail15normal_iteratorINS9_10device_ptrIxEEEESE_SE_xNS9_10multipliesIxEENS9_8equal_toIxEExEE10hipError_tPvRmT2_T3_T4_T5_mT6_T7_P12ihipStream_tbENKUlT_T0_E_clISt17integral_constantIbLb0EESY_IbLb1EEEEDaSU_SV_EUlSU_E_NS1_11comp_targetILNS1_3genE3ELNS1_11target_archE908ELNS1_3gpuE7ELNS1_3repE0EEENS1_30default_config_static_selectorELNS0_4arch9wavefront6targetE0EEEvT1_.num_agpr, 0
	.set _ZN7rocprim17ROCPRIM_400000_NS6detail17trampoline_kernelINS0_14default_configENS1_27scan_by_key_config_selectorIxxEEZZNS1_16scan_by_key_implILNS1_25lookback_scan_determinismE0ELb1ES3_N6thrust23THRUST_200600_302600_NS6detail15normal_iteratorINS9_10device_ptrIxEEEESE_SE_xNS9_10multipliesIxEENS9_8equal_toIxEExEE10hipError_tPvRmT2_T3_T4_T5_mT6_T7_P12ihipStream_tbENKUlT_T0_E_clISt17integral_constantIbLb0EESY_IbLb1EEEEDaSU_SV_EUlSU_E_NS1_11comp_targetILNS1_3genE3ELNS1_11target_archE908ELNS1_3gpuE7ELNS1_3repE0EEENS1_30default_config_static_selectorELNS0_4arch9wavefront6targetE0EEEvT1_.numbered_sgpr, 0
	.set _ZN7rocprim17ROCPRIM_400000_NS6detail17trampoline_kernelINS0_14default_configENS1_27scan_by_key_config_selectorIxxEEZZNS1_16scan_by_key_implILNS1_25lookback_scan_determinismE0ELb1ES3_N6thrust23THRUST_200600_302600_NS6detail15normal_iteratorINS9_10device_ptrIxEEEESE_SE_xNS9_10multipliesIxEENS9_8equal_toIxEExEE10hipError_tPvRmT2_T3_T4_T5_mT6_T7_P12ihipStream_tbENKUlT_T0_E_clISt17integral_constantIbLb0EESY_IbLb1EEEEDaSU_SV_EUlSU_E_NS1_11comp_targetILNS1_3genE3ELNS1_11target_archE908ELNS1_3gpuE7ELNS1_3repE0EEENS1_30default_config_static_selectorELNS0_4arch9wavefront6targetE0EEEvT1_.num_named_barrier, 0
	.set _ZN7rocprim17ROCPRIM_400000_NS6detail17trampoline_kernelINS0_14default_configENS1_27scan_by_key_config_selectorIxxEEZZNS1_16scan_by_key_implILNS1_25lookback_scan_determinismE0ELb1ES3_N6thrust23THRUST_200600_302600_NS6detail15normal_iteratorINS9_10device_ptrIxEEEESE_SE_xNS9_10multipliesIxEENS9_8equal_toIxEExEE10hipError_tPvRmT2_T3_T4_T5_mT6_T7_P12ihipStream_tbENKUlT_T0_E_clISt17integral_constantIbLb0EESY_IbLb1EEEEDaSU_SV_EUlSU_E_NS1_11comp_targetILNS1_3genE3ELNS1_11target_archE908ELNS1_3gpuE7ELNS1_3repE0EEENS1_30default_config_static_selectorELNS0_4arch9wavefront6targetE0EEEvT1_.private_seg_size, 0
	.set _ZN7rocprim17ROCPRIM_400000_NS6detail17trampoline_kernelINS0_14default_configENS1_27scan_by_key_config_selectorIxxEEZZNS1_16scan_by_key_implILNS1_25lookback_scan_determinismE0ELb1ES3_N6thrust23THRUST_200600_302600_NS6detail15normal_iteratorINS9_10device_ptrIxEEEESE_SE_xNS9_10multipliesIxEENS9_8equal_toIxEExEE10hipError_tPvRmT2_T3_T4_T5_mT6_T7_P12ihipStream_tbENKUlT_T0_E_clISt17integral_constantIbLb0EESY_IbLb1EEEEDaSU_SV_EUlSU_E_NS1_11comp_targetILNS1_3genE3ELNS1_11target_archE908ELNS1_3gpuE7ELNS1_3repE0EEENS1_30default_config_static_selectorELNS0_4arch9wavefront6targetE0EEEvT1_.uses_vcc, 0
	.set _ZN7rocprim17ROCPRIM_400000_NS6detail17trampoline_kernelINS0_14default_configENS1_27scan_by_key_config_selectorIxxEEZZNS1_16scan_by_key_implILNS1_25lookback_scan_determinismE0ELb1ES3_N6thrust23THRUST_200600_302600_NS6detail15normal_iteratorINS9_10device_ptrIxEEEESE_SE_xNS9_10multipliesIxEENS9_8equal_toIxEExEE10hipError_tPvRmT2_T3_T4_T5_mT6_T7_P12ihipStream_tbENKUlT_T0_E_clISt17integral_constantIbLb0EESY_IbLb1EEEEDaSU_SV_EUlSU_E_NS1_11comp_targetILNS1_3genE3ELNS1_11target_archE908ELNS1_3gpuE7ELNS1_3repE0EEENS1_30default_config_static_selectorELNS0_4arch9wavefront6targetE0EEEvT1_.uses_flat_scratch, 0
	.set _ZN7rocprim17ROCPRIM_400000_NS6detail17trampoline_kernelINS0_14default_configENS1_27scan_by_key_config_selectorIxxEEZZNS1_16scan_by_key_implILNS1_25lookback_scan_determinismE0ELb1ES3_N6thrust23THRUST_200600_302600_NS6detail15normal_iteratorINS9_10device_ptrIxEEEESE_SE_xNS9_10multipliesIxEENS9_8equal_toIxEExEE10hipError_tPvRmT2_T3_T4_T5_mT6_T7_P12ihipStream_tbENKUlT_T0_E_clISt17integral_constantIbLb0EESY_IbLb1EEEEDaSU_SV_EUlSU_E_NS1_11comp_targetILNS1_3genE3ELNS1_11target_archE908ELNS1_3gpuE7ELNS1_3repE0EEENS1_30default_config_static_selectorELNS0_4arch9wavefront6targetE0EEEvT1_.has_dyn_sized_stack, 0
	.set _ZN7rocprim17ROCPRIM_400000_NS6detail17trampoline_kernelINS0_14default_configENS1_27scan_by_key_config_selectorIxxEEZZNS1_16scan_by_key_implILNS1_25lookback_scan_determinismE0ELb1ES3_N6thrust23THRUST_200600_302600_NS6detail15normal_iteratorINS9_10device_ptrIxEEEESE_SE_xNS9_10multipliesIxEENS9_8equal_toIxEExEE10hipError_tPvRmT2_T3_T4_T5_mT6_T7_P12ihipStream_tbENKUlT_T0_E_clISt17integral_constantIbLb0EESY_IbLb1EEEEDaSU_SV_EUlSU_E_NS1_11comp_targetILNS1_3genE3ELNS1_11target_archE908ELNS1_3gpuE7ELNS1_3repE0EEENS1_30default_config_static_selectorELNS0_4arch9wavefront6targetE0EEEvT1_.has_recursion, 0
	.set _ZN7rocprim17ROCPRIM_400000_NS6detail17trampoline_kernelINS0_14default_configENS1_27scan_by_key_config_selectorIxxEEZZNS1_16scan_by_key_implILNS1_25lookback_scan_determinismE0ELb1ES3_N6thrust23THRUST_200600_302600_NS6detail15normal_iteratorINS9_10device_ptrIxEEEESE_SE_xNS9_10multipliesIxEENS9_8equal_toIxEExEE10hipError_tPvRmT2_T3_T4_T5_mT6_T7_P12ihipStream_tbENKUlT_T0_E_clISt17integral_constantIbLb0EESY_IbLb1EEEEDaSU_SV_EUlSU_E_NS1_11comp_targetILNS1_3genE3ELNS1_11target_archE908ELNS1_3gpuE7ELNS1_3repE0EEENS1_30default_config_static_selectorELNS0_4arch9wavefront6targetE0EEEvT1_.has_indirect_call, 0
	.section	.AMDGPU.csdata,"",@progbits
; Kernel info:
; codeLenInByte = 0
; TotalNumSgprs: 0
; NumVgprs: 0
; ScratchSize: 0
; MemoryBound: 0
; FloatMode: 240
; IeeeMode: 1
; LDSByteSize: 0 bytes/workgroup (compile time only)
; SGPRBlocks: 0
; VGPRBlocks: 0
; NumSGPRsForWavesPerEU: 1
; NumVGPRsForWavesPerEU: 1
; Occupancy: 16
; WaveLimiterHint : 0
; COMPUTE_PGM_RSRC2:SCRATCH_EN: 0
; COMPUTE_PGM_RSRC2:USER_SGPR: 6
; COMPUTE_PGM_RSRC2:TRAP_HANDLER: 0
; COMPUTE_PGM_RSRC2:TGID_X_EN: 1
; COMPUTE_PGM_RSRC2:TGID_Y_EN: 0
; COMPUTE_PGM_RSRC2:TGID_Z_EN: 0
; COMPUTE_PGM_RSRC2:TIDIG_COMP_CNT: 0
	.section	.text._ZN7rocprim17ROCPRIM_400000_NS6detail17trampoline_kernelINS0_14default_configENS1_27scan_by_key_config_selectorIxxEEZZNS1_16scan_by_key_implILNS1_25lookback_scan_determinismE0ELb1ES3_N6thrust23THRUST_200600_302600_NS6detail15normal_iteratorINS9_10device_ptrIxEEEESE_SE_xNS9_10multipliesIxEENS9_8equal_toIxEExEE10hipError_tPvRmT2_T3_T4_T5_mT6_T7_P12ihipStream_tbENKUlT_T0_E_clISt17integral_constantIbLb0EESY_IbLb1EEEEDaSU_SV_EUlSU_E_NS1_11comp_targetILNS1_3genE2ELNS1_11target_archE906ELNS1_3gpuE6ELNS1_3repE0EEENS1_30default_config_static_selectorELNS0_4arch9wavefront6targetE0EEEvT1_,"axG",@progbits,_ZN7rocprim17ROCPRIM_400000_NS6detail17trampoline_kernelINS0_14default_configENS1_27scan_by_key_config_selectorIxxEEZZNS1_16scan_by_key_implILNS1_25lookback_scan_determinismE0ELb1ES3_N6thrust23THRUST_200600_302600_NS6detail15normal_iteratorINS9_10device_ptrIxEEEESE_SE_xNS9_10multipliesIxEENS9_8equal_toIxEExEE10hipError_tPvRmT2_T3_T4_T5_mT6_T7_P12ihipStream_tbENKUlT_T0_E_clISt17integral_constantIbLb0EESY_IbLb1EEEEDaSU_SV_EUlSU_E_NS1_11comp_targetILNS1_3genE2ELNS1_11target_archE906ELNS1_3gpuE6ELNS1_3repE0EEENS1_30default_config_static_selectorELNS0_4arch9wavefront6targetE0EEEvT1_,comdat
	.protected	_ZN7rocprim17ROCPRIM_400000_NS6detail17trampoline_kernelINS0_14default_configENS1_27scan_by_key_config_selectorIxxEEZZNS1_16scan_by_key_implILNS1_25lookback_scan_determinismE0ELb1ES3_N6thrust23THRUST_200600_302600_NS6detail15normal_iteratorINS9_10device_ptrIxEEEESE_SE_xNS9_10multipliesIxEENS9_8equal_toIxEExEE10hipError_tPvRmT2_T3_T4_T5_mT6_T7_P12ihipStream_tbENKUlT_T0_E_clISt17integral_constantIbLb0EESY_IbLb1EEEEDaSU_SV_EUlSU_E_NS1_11comp_targetILNS1_3genE2ELNS1_11target_archE906ELNS1_3gpuE6ELNS1_3repE0EEENS1_30default_config_static_selectorELNS0_4arch9wavefront6targetE0EEEvT1_ ; -- Begin function _ZN7rocprim17ROCPRIM_400000_NS6detail17trampoline_kernelINS0_14default_configENS1_27scan_by_key_config_selectorIxxEEZZNS1_16scan_by_key_implILNS1_25lookback_scan_determinismE0ELb1ES3_N6thrust23THRUST_200600_302600_NS6detail15normal_iteratorINS9_10device_ptrIxEEEESE_SE_xNS9_10multipliesIxEENS9_8equal_toIxEExEE10hipError_tPvRmT2_T3_T4_T5_mT6_T7_P12ihipStream_tbENKUlT_T0_E_clISt17integral_constantIbLb0EESY_IbLb1EEEEDaSU_SV_EUlSU_E_NS1_11comp_targetILNS1_3genE2ELNS1_11target_archE906ELNS1_3gpuE6ELNS1_3repE0EEENS1_30default_config_static_selectorELNS0_4arch9wavefront6targetE0EEEvT1_
	.globl	_ZN7rocprim17ROCPRIM_400000_NS6detail17trampoline_kernelINS0_14default_configENS1_27scan_by_key_config_selectorIxxEEZZNS1_16scan_by_key_implILNS1_25lookback_scan_determinismE0ELb1ES3_N6thrust23THRUST_200600_302600_NS6detail15normal_iteratorINS9_10device_ptrIxEEEESE_SE_xNS9_10multipliesIxEENS9_8equal_toIxEExEE10hipError_tPvRmT2_T3_T4_T5_mT6_T7_P12ihipStream_tbENKUlT_T0_E_clISt17integral_constantIbLb0EESY_IbLb1EEEEDaSU_SV_EUlSU_E_NS1_11comp_targetILNS1_3genE2ELNS1_11target_archE906ELNS1_3gpuE6ELNS1_3repE0EEENS1_30default_config_static_selectorELNS0_4arch9wavefront6targetE0EEEvT1_
	.p2align	8
	.type	_ZN7rocprim17ROCPRIM_400000_NS6detail17trampoline_kernelINS0_14default_configENS1_27scan_by_key_config_selectorIxxEEZZNS1_16scan_by_key_implILNS1_25lookback_scan_determinismE0ELb1ES3_N6thrust23THRUST_200600_302600_NS6detail15normal_iteratorINS9_10device_ptrIxEEEESE_SE_xNS9_10multipliesIxEENS9_8equal_toIxEExEE10hipError_tPvRmT2_T3_T4_T5_mT6_T7_P12ihipStream_tbENKUlT_T0_E_clISt17integral_constantIbLb0EESY_IbLb1EEEEDaSU_SV_EUlSU_E_NS1_11comp_targetILNS1_3genE2ELNS1_11target_archE906ELNS1_3gpuE6ELNS1_3repE0EEENS1_30default_config_static_selectorELNS0_4arch9wavefront6targetE0EEEvT1_,@function
_ZN7rocprim17ROCPRIM_400000_NS6detail17trampoline_kernelINS0_14default_configENS1_27scan_by_key_config_selectorIxxEEZZNS1_16scan_by_key_implILNS1_25lookback_scan_determinismE0ELb1ES3_N6thrust23THRUST_200600_302600_NS6detail15normal_iteratorINS9_10device_ptrIxEEEESE_SE_xNS9_10multipliesIxEENS9_8equal_toIxEExEE10hipError_tPvRmT2_T3_T4_T5_mT6_T7_P12ihipStream_tbENKUlT_T0_E_clISt17integral_constantIbLb0EESY_IbLb1EEEEDaSU_SV_EUlSU_E_NS1_11comp_targetILNS1_3genE2ELNS1_11target_archE906ELNS1_3gpuE6ELNS1_3repE0EEENS1_30default_config_static_selectorELNS0_4arch9wavefront6targetE0EEEvT1_: ; @_ZN7rocprim17ROCPRIM_400000_NS6detail17trampoline_kernelINS0_14default_configENS1_27scan_by_key_config_selectorIxxEEZZNS1_16scan_by_key_implILNS1_25lookback_scan_determinismE0ELb1ES3_N6thrust23THRUST_200600_302600_NS6detail15normal_iteratorINS9_10device_ptrIxEEEESE_SE_xNS9_10multipliesIxEENS9_8equal_toIxEExEE10hipError_tPvRmT2_T3_T4_T5_mT6_T7_P12ihipStream_tbENKUlT_T0_E_clISt17integral_constantIbLb0EESY_IbLb1EEEEDaSU_SV_EUlSU_E_NS1_11comp_targetILNS1_3genE2ELNS1_11target_archE906ELNS1_3gpuE6ELNS1_3repE0EEENS1_30default_config_static_selectorELNS0_4arch9wavefront6targetE0EEEvT1_
; %bb.0:
	.section	.rodata,"a",@progbits
	.p2align	6, 0x0
	.amdhsa_kernel _ZN7rocprim17ROCPRIM_400000_NS6detail17trampoline_kernelINS0_14default_configENS1_27scan_by_key_config_selectorIxxEEZZNS1_16scan_by_key_implILNS1_25lookback_scan_determinismE0ELb1ES3_N6thrust23THRUST_200600_302600_NS6detail15normal_iteratorINS9_10device_ptrIxEEEESE_SE_xNS9_10multipliesIxEENS9_8equal_toIxEExEE10hipError_tPvRmT2_T3_T4_T5_mT6_T7_P12ihipStream_tbENKUlT_T0_E_clISt17integral_constantIbLb0EESY_IbLb1EEEEDaSU_SV_EUlSU_E_NS1_11comp_targetILNS1_3genE2ELNS1_11target_archE906ELNS1_3gpuE6ELNS1_3repE0EEENS1_30default_config_static_selectorELNS0_4arch9wavefront6targetE0EEEvT1_
		.amdhsa_group_segment_fixed_size 0
		.amdhsa_private_segment_fixed_size 0
		.amdhsa_kernarg_size 136
		.amdhsa_user_sgpr_count 6
		.amdhsa_user_sgpr_private_segment_buffer 1
		.amdhsa_user_sgpr_dispatch_ptr 0
		.amdhsa_user_sgpr_queue_ptr 0
		.amdhsa_user_sgpr_kernarg_segment_ptr 1
		.amdhsa_user_sgpr_dispatch_id 0
		.amdhsa_user_sgpr_flat_scratch_init 0
		.amdhsa_user_sgpr_private_segment_size 0
		.amdhsa_wavefront_size32 1
		.amdhsa_uses_dynamic_stack 0
		.amdhsa_system_sgpr_private_segment_wavefront_offset 0
		.amdhsa_system_sgpr_workgroup_id_x 1
		.amdhsa_system_sgpr_workgroup_id_y 0
		.amdhsa_system_sgpr_workgroup_id_z 0
		.amdhsa_system_sgpr_workgroup_info 0
		.amdhsa_system_vgpr_workitem_id 0
		.amdhsa_next_free_vgpr 1
		.amdhsa_next_free_sgpr 1
		.amdhsa_reserve_vcc 0
		.amdhsa_reserve_flat_scratch 0
		.amdhsa_float_round_mode_32 0
		.amdhsa_float_round_mode_16_64 0
		.amdhsa_float_denorm_mode_32 3
		.amdhsa_float_denorm_mode_16_64 3
		.amdhsa_dx10_clamp 1
		.amdhsa_ieee_mode 1
		.amdhsa_fp16_overflow 0
		.amdhsa_workgroup_processor_mode 1
		.amdhsa_memory_ordered 1
		.amdhsa_forward_progress 1
		.amdhsa_shared_vgpr_count 0
		.amdhsa_exception_fp_ieee_invalid_op 0
		.amdhsa_exception_fp_denorm_src 0
		.amdhsa_exception_fp_ieee_div_zero 0
		.amdhsa_exception_fp_ieee_overflow 0
		.amdhsa_exception_fp_ieee_underflow 0
		.amdhsa_exception_fp_ieee_inexact 0
		.amdhsa_exception_int_div_zero 0
	.end_amdhsa_kernel
	.section	.text._ZN7rocprim17ROCPRIM_400000_NS6detail17trampoline_kernelINS0_14default_configENS1_27scan_by_key_config_selectorIxxEEZZNS1_16scan_by_key_implILNS1_25lookback_scan_determinismE0ELb1ES3_N6thrust23THRUST_200600_302600_NS6detail15normal_iteratorINS9_10device_ptrIxEEEESE_SE_xNS9_10multipliesIxEENS9_8equal_toIxEExEE10hipError_tPvRmT2_T3_T4_T5_mT6_T7_P12ihipStream_tbENKUlT_T0_E_clISt17integral_constantIbLb0EESY_IbLb1EEEEDaSU_SV_EUlSU_E_NS1_11comp_targetILNS1_3genE2ELNS1_11target_archE906ELNS1_3gpuE6ELNS1_3repE0EEENS1_30default_config_static_selectorELNS0_4arch9wavefront6targetE0EEEvT1_,"axG",@progbits,_ZN7rocprim17ROCPRIM_400000_NS6detail17trampoline_kernelINS0_14default_configENS1_27scan_by_key_config_selectorIxxEEZZNS1_16scan_by_key_implILNS1_25lookback_scan_determinismE0ELb1ES3_N6thrust23THRUST_200600_302600_NS6detail15normal_iteratorINS9_10device_ptrIxEEEESE_SE_xNS9_10multipliesIxEENS9_8equal_toIxEExEE10hipError_tPvRmT2_T3_T4_T5_mT6_T7_P12ihipStream_tbENKUlT_T0_E_clISt17integral_constantIbLb0EESY_IbLb1EEEEDaSU_SV_EUlSU_E_NS1_11comp_targetILNS1_3genE2ELNS1_11target_archE906ELNS1_3gpuE6ELNS1_3repE0EEENS1_30default_config_static_selectorELNS0_4arch9wavefront6targetE0EEEvT1_,comdat
.Lfunc_end421:
	.size	_ZN7rocprim17ROCPRIM_400000_NS6detail17trampoline_kernelINS0_14default_configENS1_27scan_by_key_config_selectorIxxEEZZNS1_16scan_by_key_implILNS1_25lookback_scan_determinismE0ELb1ES3_N6thrust23THRUST_200600_302600_NS6detail15normal_iteratorINS9_10device_ptrIxEEEESE_SE_xNS9_10multipliesIxEENS9_8equal_toIxEExEE10hipError_tPvRmT2_T3_T4_T5_mT6_T7_P12ihipStream_tbENKUlT_T0_E_clISt17integral_constantIbLb0EESY_IbLb1EEEEDaSU_SV_EUlSU_E_NS1_11comp_targetILNS1_3genE2ELNS1_11target_archE906ELNS1_3gpuE6ELNS1_3repE0EEENS1_30default_config_static_selectorELNS0_4arch9wavefront6targetE0EEEvT1_, .Lfunc_end421-_ZN7rocprim17ROCPRIM_400000_NS6detail17trampoline_kernelINS0_14default_configENS1_27scan_by_key_config_selectorIxxEEZZNS1_16scan_by_key_implILNS1_25lookback_scan_determinismE0ELb1ES3_N6thrust23THRUST_200600_302600_NS6detail15normal_iteratorINS9_10device_ptrIxEEEESE_SE_xNS9_10multipliesIxEENS9_8equal_toIxEExEE10hipError_tPvRmT2_T3_T4_T5_mT6_T7_P12ihipStream_tbENKUlT_T0_E_clISt17integral_constantIbLb0EESY_IbLb1EEEEDaSU_SV_EUlSU_E_NS1_11comp_targetILNS1_3genE2ELNS1_11target_archE906ELNS1_3gpuE6ELNS1_3repE0EEENS1_30default_config_static_selectorELNS0_4arch9wavefront6targetE0EEEvT1_
                                        ; -- End function
	.set _ZN7rocprim17ROCPRIM_400000_NS6detail17trampoline_kernelINS0_14default_configENS1_27scan_by_key_config_selectorIxxEEZZNS1_16scan_by_key_implILNS1_25lookback_scan_determinismE0ELb1ES3_N6thrust23THRUST_200600_302600_NS6detail15normal_iteratorINS9_10device_ptrIxEEEESE_SE_xNS9_10multipliesIxEENS9_8equal_toIxEExEE10hipError_tPvRmT2_T3_T4_T5_mT6_T7_P12ihipStream_tbENKUlT_T0_E_clISt17integral_constantIbLb0EESY_IbLb1EEEEDaSU_SV_EUlSU_E_NS1_11comp_targetILNS1_3genE2ELNS1_11target_archE906ELNS1_3gpuE6ELNS1_3repE0EEENS1_30default_config_static_selectorELNS0_4arch9wavefront6targetE0EEEvT1_.num_vgpr, 0
	.set _ZN7rocprim17ROCPRIM_400000_NS6detail17trampoline_kernelINS0_14default_configENS1_27scan_by_key_config_selectorIxxEEZZNS1_16scan_by_key_implILNS1_25lookback_scan_determinismE0ELb1ES3_N6thrust23THRUST_200600_302600_NS6detail15normal_iteratorINS9_10device_ptrIxEEEESE_SE_xNS9_10multipliesIxEENS9_8equal_toIxEExEE10hipError_tPvRmT2_T3_T4_T5_mT6_T7_P12ihipStream_tbENKUlT_T0_E_clISt17integral_constantIbLb0EESY_IbLb1EEEEDaSU_SV_EUlSU_E_NS1_11comp_targetILNS1_3genE2ELNS1_11target_archE906ELNS1_3gpuE6ELNS1_3repE0EEENS1_30default_config_static_selectorELNS0_4arch9wavefront6targetE0EEEvT1_.num_agpr, 0
	.set _ZN7rocprim17ROCPRIM_400000_NS6detail17trampoline_kernelINS0_14default_configENS1_27scan_by_key_config_selectorIxxEEZZNS1_16scan_by_key_implILNS1_25lookback_scan_determinismE0ELb1ES3_N6thrust23THRUST_200600_302600_NS6detail15normal_iteratorINS9_10device_ptrIxEEEESE_SE_xNS9_10multipliesIxEENS9_8equal_toIxEExEE10hipError_tPvRmT2_T3_T4_T5_mT6_T7_P12ihipStream_tbENKUlT_T0_E_clISt17integral_constantIbLb0EESY_IbLb1EEEEDaSU_SV_EUlSU_E_NS1_11comp_targetILNS1_3genE2ELNS1_11target_archE906ELNS1_3gpuE6ELNS1_3repE0EEENS1_30default_config_static_selectorELNS0_4arch9wavefront6targetE0EEEvT1_.numbered_sgpr, 0
	.set _ZN7rocprim17ROCPRIM_400000_NS6detail17trampoline_kernelINS0_14default_configENS1_27scan_by_key_config_selectorIxxEEZZNS1_16scan_by_key_implILNS1_25lookback_scan_determinismE0ELb1ES3_N6thrust23THRUST_200600_302600_NS6detail15normal_iteratorINS9_10device_ptrIxEEEESE_SE_xNS9_10multipliesIxEENS9_8equal_toIxEExEE10hipError_tPvRmT2_T3_T4_T5_mT6_T7_P12ihipStream_tbENKUlT_T0_E_clISt17integral_constantIbLb0EESY_IbLb1EEEEDaSU_SV_EUlSU_E_NS1_11comp_targetILNS1_3genE2ELNS1_11target_archE906ELNS1_3gpuE6ELNS1_3repE0EEENS1_30default_config_static_selectorELNS0_4arch9wavefront6targetE0EEEvT1_.num_named_barrier, 0
	.set _ZN7rocprim17ROCPRIM_400000_NS6detail17trampoline_kernelINS0_14default_configENS1_27scan_by_key_config_selectorIxxEEZZNS1_16scan_by_key_implILNS1_25lookback_scan_determinismE0ELb1ES3_N6thrust23THRUST_200600_302600_NS6detail15normal_iteratorINS9_10device_ptrIxEEEESE_SE_xNS9_10multipliesIxEENS9_8equal_toIxEExEE10hipError_tPvRmT2_T3_T4_T5_mT6_T7_P12ihipStream_tbENKUlT_T0_E_clISt17integral_constantIbLb0EESY_IbLb1EEEEDaSU_SV_EUlSU_E_NS1_11comp_targetILNS1_3genE2ELNS1_11target_archE906ELNS1_3gpuE6ELNS1_3repE0EEENS1_30default_config_static_selectorELNS0_4arch9wavefront6targetE0EEEvT1_.private_seg_size, 0
	.set _ZN7rocprim17ROCPRIM_400000_NS6detail17trampoline_kernelINS0_14default_configENS1_27scan_by_key_config_selectorIxxEEZZNS1_16scan_by_key_implILNS1_25lookback_scan_determinismE0ELb1ES3_N6thrust23THRUST_200600_302600_NS6detail15normal_iteratorINS9_10device_ptrIxEEEESE_SE_xNS9_10multipliesIxEENS9_8equal_toIxEExEE10hipError_tPvRmT2_T3_T4_T5_mT6_T7_P12ihipStream_tbENKUlT_T0_E_clISt17integral_constantIbLb0EESY_IbLb1EEEEDaSU_SV_EUlSU_E_NS1_11comp_targetILNS1_3genE2ELNS1_11target_archE906ELNS1_3gpuE6ELNS1_3repE0EEENS1_30default_config_static_selectorELNS0_4arch9wavefront6targetE0EEEvT1_.uses_vcc, 0
	.set _ZN7rocprim17ROCPRIM_400000_NS6detail17trampoline_kernelINS0_14default_configENS1_27scan_by_key_config_selectorIxxEEZZNS1_16scan_by_key_implILNS1_25lookback_scan_determinismE0ELb1ES3_N6thrust23THRUST_200600_302600_NS6detail15normal_iteratorINS9_10device_ptrIxEEEESE_SE_xNS9_10multipliesIxEENS9_8equal_toIxEExEE10hipError_tPvRmT2_T3_T4_T5_mT6_T7_P12ihipStream_tbENKUlT_T0_E_clISt17integral_constantIbLb0EESY_IbLb1EEEEDaSU_SV_EUlSU_E_NS1_11comp_targetILNS1_3genE2ELNS1_11target_archE906ELNS1_3gpuE6ELNS1_3repE0EEENS1_30default_config_static_selectorELNS0_4arch9wavefront6targetE0EEEvT1_.uses_flat_scratch, 0
	.set _ZN7rocprim17ROCPRIM_400000_NS6detail17trampoline_kernelINS0_14default_configENS1_27scan_by_key_config_selectorIxxEEZZNS1_16scan_by_key_implILNS1_25lookback_scan_determinismE0ELb1ES3_N6thrust23THRUST_200600_302600_NS6detail15normal_iteratorINS9_10device_ptrIxEEEESE_SE_xNS9_10multipliesIxEENS9_8equal_toIxEExEE10hipError_tPvRmT2_T3_T4_T5_mT6_T7_P12ihipStream_tbENKUlT_T0_E_clISt17integral_constantIbLb0EESY_IbLb1EEEEDaSU_SV_EUlSU_E_NS1_11comp_targetILNS1_3genE2ELNS1_11target_archE906ELNS1_3gpuE6ELNS1_3repE0EEENS1_30default_config_static_selectorELNS0_4arch9wavefront6targetE0EEEvT1_.has_dyn_sized_stack, 0
	.set _ZN7rocprim17ROCPRIM_400000_NS6detail17trampoline_kernelINS0_14default_configENS1_27scan_by_key_config_selectorIxxEEZZNS1_16scan_by_key_implILNS1_25lookback_scan_determinismE0ELb1ES3_N6thrust23THRUST_200600_302600_NS6detail15normal_iteratorINS9_10device_ptrIxEEEESE_SE_xNS9_10multipliesIxEENS9_8equal_toIxEExEE10hipError_tPvRmT2_T3_T4_T5_mT6_T7_P12ihipStream_tbENKUlT_T0_E_clISt17integral_constantIbLb0EESY_IbLb1EEEEDaSU_SV_EUlSU_E_NS1_11comp_targetILNS1_3genE2ELNS1_11target_archE906ELNS1_3gpuE6ELNS1_3repE0EEENS1_30default_config_static_selectorELNS0_4arch9wavefront6targetE0EEEvT1_.has_recursion, 0
	.set _ZN7rocprim17ROCPRIM_400000_NS6detail17trampoline_kernelINS0_14default_configENS1_27scan_by_key_config_selectorIxxEEZZNS1_16scan_by_key_implILNS1_25lookback_scan_determinismE0ELb1ES3_N6thrust23THRUST_200600_302600_NS6detail15normal_iteratorINS9_10device_ptrIxEEEESE_SE_xNS9_10multipliesIxEENS9_8equal_toIxEExEE10hipError_tPvRmT2_T3_T4_T5_mT6_T7_P12ihipStream_tbENKUlT_T0_E_clISt17integral_constantIbLb0EESY_IbLb1EEEEDaSU_SV_EUlSU_E_NS1_11comp_targetILNS1_3genE2ELNS1_11target_archE906ELNS1_3gpuE6ELNS1_3repE0EEENS1_30default_config_static_selectorELNS0_4arch9wavefront6targetE0EEEvT1_.has_indirect_call, 0
	.section	.AMDGPU.csdata,"",@progbits
; Kernel info:
; codeLenInByte = 0
; TotalNumSgprs: 0
; NumVgprs: 0
; ScratchSize: 0
; MemoryBound: 0
; FloatMode: 240
; IeeeMode: 1
; LDSByteSize: 0 bytes/workgroup (compile time only)
; SGPRBlocks: 0
; VGPRBlocks: 0
; NumSGPRsForWavesPerEU: 1
; NumVGPRsForWavesPerEU: 1
; Occupancy: 16
; WaveLimiterHint : 0
; COMPUTE_PGM_RSRC2:SCRATCH_EN: 0
; COMPUTE_PGM_RSRC2:USER_SGPR: 6
; COMPUTE_PGM_RSRC2:TRAP_HANDLER: 0
; COMPUTE_PGM_RSRC2:TGID_X_EN: 1
; COMPUTE_PGM_RSRC2:TGID_Y_EN: 0
; COMPUTE_PGM_RSRC2:TGID_Z_EN: 0
; COMPUTE_PGM_RSRC2:TIDIG_COMP_CNT: 0
	.section	.text._ZN7rocprim17ROCPRIM_400000_NS6detail17trampoline_kernelINS0_14default_configENS1_27scan_by_key_config_selectorIxxEEZZNS1_16scan_by_key_implILNS1_25lookback_scan_determinismE0ELb1ES3_N6thrust23THRUST_200600_302600_NS6detail15normal_iteratorINS9_10device_ptrIxEEEESE_SE_xNS9_10multipliesIxEENS9_8equal_toIxEExEE10hipError_tPvRmT2_T3_T4_T5_mT6_T7_P12ihipStream_tbENKUlT_T0_E_clISt17integral_constantIbLb0EESY_IbLb1EEEEDaSU_SV_EUlSU_E_NS1_11comp_targetILNS1_3genE10ELNS1_11target_archE1200ELNS1_3gpuE4ELNS1_3repE0EEENS1_30default_config_static_selectorELNS0_4arch9wavefront6targetE0EEEvT1_,"axG",@progbits,_ZN7rocprim17ROCPRIM_400000_NS6detail17trampoline_kernelINS0_14default_configENS1_27scan_by_key_config_selectorIxxEEZZNS1_16scan_by_key_implILNS1_25lookback_scan_determinismE0ELb1ES3_N6thrust23THRUST_200600_302600_NS6detail15normal_iteratorINS9_10device_ptrIxEEEESE_SE_xNS9_10multipliesIxEENS9_8equal_toIxEExEE10hipError_tPvRmT2_T3_T4_T5_mT6_T7_P12ihipStream_tbENKUlT_T0_E_clISt17integral_constantIbLb0EESY_IbLb1EEEEDaSU_SV_EUlSU_E_NS1_11comp_targetILNS1_3genE10ELNS1_11target_archE1200ELNS1_3gpuE4ELNS1_3repE0EEENS1_30default_config_static_selectorELNS0_4arch9wavefront6targetE0EEEvT1_,comdat
	.protected	_ZN7rocprim17ROCPRIM_400000_NS6detail17trampoline_kernelINS0_14default_configENS1_27scan_by_key_config_selectorIxxEEZZNS1_16scan_by_key_implILNS1_25lookback_scan_determinismE0ELb1ES3_N6thrust23THRUST_200600_302600_NS6detail15normal_iteratorINS9_10device_ptrIxEEEESE_SE_xNS9_10multipliesIxEENS9_8equal_toIxEExEE10hipError_tPvRmT2_T3_T4_T5_mT6_T7_P12ihipStream_tbENKUlT_T0_E_clISt17integral_constantIbLb0EESY_IbLb1EEEEDaSU_SV_EUlSU_E_NS1_11comp_targetILNS1_3genE10ELNS1_11target_archE1200ELNS1_3gpuE4ELNS1_3repE0EEENS1_30default_config_static_selectorELNS0_4arch9wavefront6targetE0EEEvT1_ ; -- Begin function _ZN7rocprim17ROCPRIM_400000_NS6detail17trampoline_kernelINS0_14default_configENS1_27scan_by_key_config_selectorIxxEEZZNS1_16scan_by_key_implILNS1_25lookback_scan_determinismE0ELb1ES3_N6thrust23THRUST_200600_302600_NS6detail15normal_iteratorINS9_10device_ptrIxEEEESE_SE_xNS9_10multipliesIxEENS9_8equal_toIxEExEE10hipError_tPvRmT2_T3_T4_T5_mT6_T7_P12ihipStream_tbENKUlT_T0_E_clISt17integral_constantIbLb0EESY_IbLb1EEEEDaSU_SV_EUlSU_E_NS1_11comp_targetILNS1_3genE10ELNS1_11target_archE1200ELNS1_3gpuE4ELNS1_3repE0EEENS1_30default_config_static_selectorELNS0_4arch9wavefront6targetE0EEEvT1_
	.globl	_ZN7rocprim17ROCPRIM_400000_NS6detail17trampoline_kernelINS0_14default_configENS1_27scan_by_key_config_selectorIxxEEZZNS1_16scan_by_key_implILNS1_25lookback_scan_determinismE0ELb1ES3_N6thrust23THRUST_200600_302600_NS6detail15normal_iteratorINS9_10device_ptrIxEEEESE_SE_xNS9_10multipliesIxEENS9_8equal_toIxEExEE10hipError_tPvRmT2_T3_T4_T5_mT6_T7_P12ihipStream_tbENKUlT_T0_E_clISt17integral_constantIbLb0EESY_IbLb1EEEEDaSU_SV_EUlSU_E_NS1_11comp_targetILNS1_3genE10ELNS1_11target_archE1200ELNS1_3gpuE4ELNS1_3repE0EEENS1_30default_config_static_selectorELNS0_4arch9wavefront6targetE0EEEvT1_
	.p2align	8
	.type	_ZN7rocprim17ROCPRIM_400000_NS6detail17trampoline_kernelINS0_14default_configENS1_27scan_by_key_config_selectorIxxEEZZNS1_16scan_by_key_implILNS1_25lookback_scan_determinismE0ELb1ES3_N6thrust23THRUST_200600_302600_NS6detail15normal_iteratorINS9_10device_ptrIxEEEESE_SE_xNS9_10multipliesIxEENS9_8equal_toIxEExEE10hipError_tPvRmT2_T3_T4_T5_mT6_T7_P12ihipStream_tbENKUlT_T0_E_clISt17integral_constantIbLb0EESY_IbLb1EEEEDaSU_SV_EUlSU_E_NS1_11comp_targetILNS1_3genE10ELNS1_11target_archE1200ELNS1_3gpuE4ELNS1_3repE0EEENS1_30default_config_static_selectorELNS0_4arch9wavefront6targetE0EEEvT1_,@function
_ZN7rocprim17ROCPRIM_400000_NS6detail17trampoline_kernelINS0_14default_configENS1_27scan_by_key_config_selectorIxxEEZZNS1_16scan_by_key_implILNS1_25lookback_scan_determinismE0ELb1ES3_N6thrust23THRUST_200600_302600_NS6detail15normal_iteratorINS9_10device_ptrIxEEEESE_SE_xNS9_10multipliesIxEENS9_8equal_toIxEExEE10hipError_tPvRmT2_T3_T4_T5_mT6_T7_P12ihipStream_tbENKUlT_T0_E_clISt17integral_constantIbLb0EESY_IbLb1EEEEDaSU_SV_EUlSU_E_NS1_11comp_targetILNS1_3genE10ELNS1_11target_archE1200ELNS1_3gpuE4ELNS1_3repE0EEENS1_30default_config_static_selectorELNS0_4arch9wavefront6targetE0EEEvT1_: ; @_ZN7rocprim17ROCPRIM_400000_NS6detail17trampoline_kernelINS0_14default_configENS1_27scan_by_key_config_selectorIxxEEZZNS1_16scan_by_key_implILNS1_25lookback_scan_determinismE0ELb1ES3_N6thrust23THRUST_200600_302600_NS6detail15normal_iteratorINS9_10device_ptrIxEEEESE_SE_xNS9_10multipliesIxEENS9_8equal_toIxEExEE10hipError_tPvRmT2_T3_T4_T5_mT6_T7_P12ihipStream_tbENKUlT_T0_E_clISt17integral_constantIbLb0EESY_IbLb1EEEEDaSU_SV_EUlSU_E_NS1_11comp_targetILNS1_3genE10ELNS1_11target_archE1200ELNS1_3gpuE4ELNS1_3repE0EEENS1_30default_config_static_selectorELNS0_4arch9wavefront6targetE0EEEvT1_
; %bb.0:
	.section	.rodata,"a",@progbits
	.p2align	6, 0x0
	.amdhsa_kernel _ZN7rocprim17ROCPRIM_400000_NS6detail17trampoline_kernelINS0_14default_configENS1_27scan_by_key_config_selectorIxxEEZZNS1_16scan_by_key_implILNS1_25lookback_scan_determinismE0ELb1ES3_N6thrust23THRUST_200600_302600_NS6detail15normal_iteratorINS9_10device_ptrIxEEEESE_SE_xNS9_10multipliesIxEENS9_8equal_toIxEExEE10hipError_tPvRmT2_T3_T4_T5_mT6_T7_P12ihipStream_tbENKUlT_T0_E_clISt17integral_constantIbLb0EESY_IbLb1EEEEDaSU_SV_EUlSU_E_NS1_11comp_targetILNS1_3genE10ELNS1_11target_archE1200ELNS1_3gpuE4ELNS1_3repE0EEENS1_30default_config_static_selectorELNS0_4arch9wavefront6targetE0EEEvT1_
		.amdhsa_group_segment_fixed_size 0
		.amdhsa_private_segment_fixed_size 0
		.amdhsa_kernarg_size 136
		.amdhsa_user_sgpr_count 6
		.amdhsa_user_sgpr_private_segment_buffer 1
		.amdhsa_user_sgpr_dispatch_ptr 0
		.amdhsa_user_sgpr_queue_ptr 0
		.amdhsa_user_sgpr_kernarg_segment_ptr 1
		.amdhsa_user_sgpr_dispatch_id 0
		.amdhsa_user_sgpr_flat_scratch_init 0
		.amdhsa_user_sgpr_private_segment_size 0
		.amdhsa_wavefront_size32 1
		.amdhsa_uses_dynamic_stack 0
		.amdhsa_system_sgpr_private_segment_wavefront_offset 0
		.amdhsa_system_sgpr_workgroup_id_x 1
		.amdhsa_system_sgpr_workgroup_id_y 0
		.amdhsa_system_sgpr_workgroup_id_z 0
		.amdhsa_system_sgpr_workgroup_info 0
		.amdhsa_system_vgpr_workitem_id 0
		.amdhsa_next_free_vgpr 1
		.amdhsa_next_free_sgpr 1
		.amdhsa_reserve_vcc 0
		.amdhsa_reserve_flat_scratch 0
		.amdhsa_float_round_mode_32 0
		.amdhsa_float_round_mode_16_64 0
		.amdhsa_float_denorm_mode_32 3
		.amdhsa_float_denorm_mode_16_64 3
		.amdhsa_dx10_clamp 1
		.amdhsa_ieee_mode 1
		.amdhsa_fp16_overflow 0
		.amdhsa_workgroup_processor_mode 1
		.amdhsa_memory_ordered 1
		.amdhsa_forward_progress 1
		.amdhsa_shared_vgpr_count 0
		.amdhsa_exception_fp_ieee_invalid_op 0
		.amdhsa_exception_fp_denorm_src 0
		.amdhsa_exception_fp_ieee_div_zero 0
		.amdhsa_exception_fp_ieee_overflow 0
		.amdhsa_exception_fp_ieee_underflow 0
		.amdhsa_exception_fp_ieee_inexact 0
		.amdhsa_exception_int_div_zero 0
	.end_amdhsa_kernel
	.section	.text._ZN7rocprim17ROCPRIM_400000_NS6detail17trampoline_kernelINS0_14default_configENS1_27scan_by_key_config_selectorIxxEEZZNS1_16scan_by_key_implILNS1_25lookback_scan_determinismE0ELb1ES3_N6thrust23THRUST_200600_302600_NS6detail15normal_iteratorINS9_10device_ptrIxEEEESE_SE_xNS9_10multipliesIxEENS9_8equal_toIxEExEE10hipError_tPvRmT2_T3_T4_T5_mT6_T7_P12ihipStream_tbENKUlT_T0_E_clISt17integral_constantIbLb0EESY_IbLb1EEEEDaSU_SV_EUlSU_E_NS1_11comp_targetILNS1_3genE10ELNS1_11target_archE1200ELNS1_3gpuE4ELNS1_3repE0EEENS1_30default_config_static_selectorELNS0_4arch9wavefront6targetE0EEEvT1_,"axG",@progbits,_ZN7rocprim17ROCPRIM_400000_NS6detail17trampoline_kernelINS0_14default_configENS1_27scan_by_key_config_selectorIxxEEZZNS1_16scan_by_key_implILNS1_25lookback_scan_determinismE0ELb1ES3_N6thrust23THRUST_200600_302600_NS6detail15normal_iteratorINS9_10device_ptrIxEEEESE_SE_xNS9_10multipliesIxEENS9_8equal_toIxEExEE10hipError_tPvRmT2_T3_T4_T5_mT6_T7_P12ihipStream_tbENKUlT_T0_E_clISt17integral_constantIbLb0EESY_IbLb1EEEEDaSU_SV_EUlSU_E_NS1_11comp_targetILNS1_3genE10ELNS1_11target_archE1200ELNS1_3gpuE4ELNS1_3repE0EEENS1_30default_config_static_selectorELNS0_4arch9wavefront6targetE0EEEvT1_,comdat
.Lfunc_end422:
	.size	_ZN7rocprim17ROCPRIM_400000_NS6detail17trampoline_kernelINS0_14default_configENS1_27scan_by_key_config_selectorIxxEEZZNS1_16scan_by_key_implILNS1_25lookback_scan_determinismE0ELb1ES3_N6thrust23THRUST_200600_302600_NS6detail15normal_iteratorINS9_10device_ptrIxEEEESE_SE_xNS9_10multipliesIxEENS9_8equal_toIxEExEE10hipError_tPvRmT2_T3_T4_T5_mT6_T7_P12ihipStream_tbENKUlT_T0_E_clISt17integral_constantIbLb0EESY_IbLb1EEEEDaSU_SV_EUlSU_E_NS1_11comp_targetILNS1_3genE10ELNS1_11target_archE1200ELNS1_3gpuE4ELNS1_3repE0EEENS1_30default_config_static_selectorELNS0_4arch9wavefront6targetE0EEEvT1_, .Lfunc_end422-_ZN7rocprim17ROCPRIM_400000_NS6detail17trampoline_kernelINS0_14default_configENS1_27scan_by_key_config_selectorIxxEEZZNS1_16scan_by_key_implILNS1_25lookback_scan_determinismE0ELb1ES3_N6thrust23THRUST_200600_302600_NS6detail15normal_iteratorINS9_10device_ptrIxEEEESE_SE_xNS9_10multipliesIxEENS9_8equal_toIxEExEE10hipError_tPvRmT2_T3_T4_T5_mT6_T7_P12ihipStream_tbENKUlT_T0_E_clISt17integral_constantIbLb0EESY_IbLb1EEEEDaSU_SV_EUlSU_E_NS1_11comp_targetILNS1_3genE10ELNS1_11target_archE1200ELNS1_3gpuE4ELNS1_3repE0EEENS1_30default_config_static_selectorELNS0_4arch9wavefront6targetE0EEEvT1_
                                        ; -- End function
	.set _ZN7rocprim17ROCPRIM_400000_NS6detail17trampoline_kernelINS0_14default_configENS1_27scan_by_key_config_selectorIxxEEZZNS1_16scan_by_key_implILNS1_25lookback_scan_determinismE0ELb1ES3_N6thrust23THRUST_200600_302600_NS6detail15normal_iteratorINS9_10device_ptrIxEEEESE_SE_xNS9_10multipliesIxEENS9_8equal_toIxEExEE10hipError_tPvRmT2_T3_T4_T5_mT6_T7_P12ihipStream_tbENKUlT_T0_E_clISt17integral_constantIbLb0EESY_IbLb1EEEEDaSU_SV_EUlSU_E_NS1_11comp_targetILNS1_3genE10ELNS1_11target_archE1200ELNS1_3gpuE4ELNS1_3repE0EEENS1_30default_config_static_selectorELNS0_4arch9wavefront6targetE0EEEvT1_.num_vgpr, 0
	.set _ZN7rocprim17ROCPRIM_400000_NS6detail17trampoline_kernelINS0_14default_configENS1_27scan_by_key_config_selectorIxxEEZZNS1_16scan_by_key_implILNS1_25lookback_scan_determinismE0ELb1ES3_N6thrust23THRUST_200600_302600_NS6detail15normal_iteratorINS9_10device_ptrIxEEEESE_SE_xNS9_10multipliesIxEENS9_8equal_toIxEExEE10hipError_tPvRmT2_T3_T4_T5_mT6_T7_P12ihipStream_tbENKUlT_T0_E_clISt17integral_constantIbLb0EESY_IbLb1EEEEDaSU_SV_EUlSU_E_NS1_11comp_targetILNS1_3genE10ELNS1_11target_archE1200ELNS1_3gpuE4ELNS1_3repE0EEENS1_30default_config_static_selectorELNS0_4arch9wavefront6targetE0EEEvT1_.num_agpr, 0
	.set _ZN7rocprim17ROCPRIM_400000_NS6detail17trampoline_kernelINS0_14default_configENS1_27scan_by_key_config_selectorIxxEEZZNS1_16scan_by_key_implILNS1_25lookback_scan_determinismE0ELb1ES3_N6thrust23THRUST_200600_302600_NS6detail15normal_iteratorINS9_10device_ptrIxEEEESE_SE_xNS9_10multipliesIxEENS9_8equal_toIxEExEE10hipError_tPvRmT2_T3_T4_T5_mT6_T7_P12ihipStream_tbENKUlT_T0_E_clISt17integral_constantIbLb0EESY_IbLb1EEEEDaSU_SV_EUlSU_E_NS1_11comp_targetILNS1_3genE10ELNS1_11target_archE1200ELNS1_3gpuE4ELNS1_3repE0EEENS1_30default_config_static_selectorELNS0_4arch9wavefront6targetE0EEEvT1_.numbered_sgpr, 0
	.set _ZN7rocprim17ROCPRIM_400000_NS6detail17trampoline_kernelINS0_14default_configENS1_27scan_by_key_config_selectorIxxEEZZNS1_16scan_by_key_implILNS1_25lookback_scan_determinismE0ELb1ES3_N6thrust23THRUST_200600_302600_NS6detail15normal_iteratorINS9_10device_ptrIxEEEESE_SE_xNS9_10multipliesIxEENS9_8equal_toIxEExEE10hipError_tPvRmT2_T3_T4_T5_mT6_T7_P12ihipStream_tbENKUlT_T0_E_clISt17integral_constantIbLb0EESY_IbLb1EEEEDaSU_SV_EUlSU_E_NS1_11comp_targetILNS1_3genE10ELNS1_11target_archE1200ELNS1_3gpuE4ELNS1_3repE0EEENS1_30default_config_static_selectorELNS0_4arch9wavefront6targetE0EEEvT1_.num_named_barrier, 0
	.set _ZN7rocprim17ROCPRIM_400000_NS6detail17trampoline_kernelINS0_14default_configENS1_27scan_by_key_config_selectorIxxEEZZNS1_16scan_by_key_implILNS1_25lookback_scan_determinismE0ELb1ES3_N6thrust23THRUST_200600_302600_NS6detail15normal_iteratorINS9_10device_ptrIxEEEESE_SE_xNS9_10multipliesIxEENS9_8equal_toIxEExEE10hipError_tPvRmT2_T3_T4_T5_mT6_T7_P12ihipStream_tbENKUlT_T0_E_clISt17integral_constantIbLb0EESY_IbLb1EEEEDaSU_SV_EUlSU_E_NS1_11comp_targetILNS1_3genE10ELNS1_11target_archE1200ELNS1_3gpuE4ELNS1_3repE0EEENS1_30default_config_static_selectorELNS0_4arch9wavefront6targetE0EEEvT1_.private_seg_size, 0
	.set _ZN7rocprim17ROCPRIM_400000_NS6detail17trampoline_kernelINS0_14default_configENS1_27scan_by_key_config_selectorIxxEEZZNS1_16scan_by_key_implILNS1_25lookback_scan_determinismE0ELb1ES3_N6thrust23THRUST_200600_302600_NS6detail15normal_iteratorINS9_10device_ptrIxEEEESE_SE_xNS9_10multipliesIxEENS9_8equal_toIxEExEE10hipError_tPvRmT2_T3_T4_T5_mT6_T7_P12ihipStream_tbENKUlT_T0_E_clISt17integral_constantIbLb0EESY_IbLb1EEEEDaSU_SV_EUlSU_E_NS1_11comp_targetILNS1_3genE10ELNS1_11target_archE1200ELNS1_3gpuE4ELNS1_3repE0EEENS1_30default_config_static_selectorELNS0_4arch9wavefront6targetE0EEEvT1_.uses_vcc, 0
	.set _ZN7rocprim17ROCPRIM_400000_NS6detail17trampoline_kernelINS0_14default_configENS1_27scan_by_key_config_selectorIxxEEZZNS1_16scan_by_key_implILNS1_25lookback_scan_determinismE0ELb1ES3_N6thrust23THRUST_200600_302600_NS6detail15normal_iteratorINS9_10device_ptrIxEEEESE_SE_xNS9_10multipliesIxEENS9_8equal_toIxEExEE10hipError_tPvRmT2_T3_T4_T5_mT6_T7_P12ihipStream_tbENKUlT_T0_E_clISt17integral_constantIbLb0EESY_IbLb1EEEEDaSU_SV_EUlSU_E_NS1_11comp_targetILNS1_3genE10ELNS1_11target_archE1200ELNS1_3gpuE4ELNS1_3repE0EEENS1_30default_config_static_selectorELNS0_4arch9wavefront6targetE0EEEvT1_.uses_flat_scratch, 0
	.set _ZN7rocprim17ROCPRIM_400000_NS6detail17trampoline_kernelINS0_14default_configENS1_27scan_by_key_config_selectorIxxEEZZNS1_16scan_by_key_implILNS1_25lookback_scan_determinismE0ELb1ES3_N6thrust23THRUST_200600_302600_NS6detail15normal_iteratorINS9_10device_ptrIxEEEESE_SE_xNS9_10multipliesIxEENS9_8equal_toIxEExEE10hipError_tPvRmT2_T3_T4_T5_mT6_T7_P12ihipStream_tbENKUlT_T0_E_clISt17integral_constantIbLb0EESY_IbLb1EEEEDaSU_SV_EUlSU_E_NS1_11comp_targetILNS1_3genE10ELNS1_11target_archE1200ELNS1_3gpuE4ELNS1_3repE0EEENS1_30default_config_static_selectorELNS0_4arch9wavefront6targetE0EEEvT1_.has_dyn_sized_stack, 0
	.set _ZN7rocprim17ROCPRIM_400000_NS6detail17trampoline_kernelINS0_14default_configENS1_27scan_by_key_config_selectorIxxEEZZNS1_16scan_by_key_implILNS1_25lookback_scan_determinismE0ELb1ES3_N6thrust23THRUST_200600_302600_NS6detail15normal_iteratorINS9_10device_ptrIxEEEESE_SE_xNS9_10multipliesIxEENS9_8equal_toIxEExEE10hipError_tPvRmT2_T3_T4_T5_mT6_T7_P12ihipStream_tbENKUlT_T0_E_clISt17integral_constantIbLb0EESY_IbLb1EEEEDaSU_SV_EUlSU_E_NS1_11comp_targetILNS1_3genE10ELNS1_11target_archE1200ELNS1_3gpuE4ELNS1_3repE0EEENS1_30default_config_static_selectorELNS0_4arch9wavefront6targetE0EEEvT1_.has_recursion, 0
	.set _ZN7rocprim17ROCPRIM_400000_NS6detail17trampoline_kernelINS0_14default_configENS1_27scan_by_key_config_selectorIxxEEZZNS1_16scan_by_key_implILNS1_25lookback_scan_determinismE0ELb1ES3_N6thrust23THRUST_200600_302600_NS6detail15normal_iteratorINS9_10device_ptrIxEEEESE_SE_xNS9_10multipliesIxEENS9_8equal_toIxEExEE10hipError_tPvRmT2_T3_T4_T5_mT6_T7_P12ihipStream_tbENKUlT_T0_E_clISt17integral_constantIbLb0EESY_IbLb1EEEEDaSU_SV_EUlSU_E_NS1_11comp_targetILNS1_3genE10ELNS1_11target_archE1200ELNS1_3gpuE4ELNS1_3repE0EEENS1_30default_config_static_selectorELNS0_4arch9wavefront6targetE0EEEvT1_.has_indirect_call, 0
	.section	.AMDGPU.csdata,"",@progbits
; Kernel info:
; codeLenInByte = 0
; TotalNumSgprs: 0
; NumVgprs: 0
; ScratchSize: 0
; MemoryBound: 0
; FloatMode: 240
; IeeeMode: 1
; LDSByteSize: 0 bytes/workgroup (compile time only)
; SGPRBlocks: 0
; VGPRBlocks: 0
; NumSGPRsForWavesPerEU: 1
; NumVGPRsForWavesPerEU: 1
; Occupancy: 16
; WaveLimiterHint : 0
; COMPUTE_PGM_RSRC2:SCRATCH_EN: 0
; COMPUTE_PGM_RSRC2:USER_SGPR: 6
; COMPUTE_PGM_RSRC2:TRAP_HANDLER: 0
; COMPUTE_PGM_RSRC2:TGID_X_EN: 1
; COMPUTE_PGM_RSRC2:TGID_Y_EN: 0
; COMPUTE_PGM_RSRC2:TGID_Z_EN: 0
; COMPUTE_PGM_RSRC2:TIDIG_COMP_CNT: 0
	.section	.text._ZN7rocprim17ROCPRIM_400000_NS6detail17trampoline_kernelINS0_14default_configENS1_27scan_by_key_config_selectorIxxEEZZNS1_16scan_by_key_implILNS1_25lookback_scan_determinismE0ELb1ES3_N6thrust23THRUST_200600_302600_NS6detail15normal_iteratorINS9_10device_ptrIxEEEESE_SE_xNS9_10multipliesIxEENS9_8equal_toIxEExEE10hipError_tPvRmT2_T3_T4_T5_mT6_T7_P12ihipStream_tbENKUlT_T0_E_clISt17integral_constantIbLb0EESY_IbLb1EEEEDaSU_SV_EUlSU_E_NS1_11comp_targetILNS1_3genE9ELNS1_11target_archE1100ELNS1_3gpuE3ELNS1_3repE0EEENS1_30default_config_static_selectorELNS0_4arch9wavefront6targetE0EEEvT1_,"axG",@progbits,_ZN7rocprim17ROCPRIM_400000_NS6detail17trampoline_kernelINS0_14default_configENS1_27scan_by_key_config_selectorIxxEEZZNS1_16scan_by_key_implILNS1_25lookback_scan_determinismE0ELb1ES3_N6thrust23THRUST_200600_302600_NS6detail15normal_iteratorINS9_10device_ptrIxEEEESE_SE_xNS9_10multipliesIxEENS9_8equal_toIxEExEE10hipError_tPvRmT2_T3_T4_T5_mT6_T7_P12ihipStream_tbENKUlT_T0_E_clISt17integral_constantIbLb0EESY_IbLb1EEEEDaSU_SV_EUlSU_E_NS1_11comp_targetILNS1_3genE9ELNS1_11target_archE1100ELNS1_3gpuE3ELNS1_3repE0EEENS1_30default_config_static_selectorELNS0_4arch9wavefront6targetE0EEEvT1_,comdat
	.protected	_ZN7rocprim17ROCPRIM_400000_NS6detail17trampoline_kernelINS0_14default_configENS1_27scan_by_key_config_selectorIxxEEZZNS1_16scan_by_key_implILNS1_25lookback_scan_determinismE0ELb1ES3_N6thrust23THRUST_200600_302600_NS6detail15normal_iteratorINS9_10device_ptrIxEEEESE_SE_xNS9_10multipliesIxEENS9_8equal_toIxEExEE10hipError_tPvRmT2_T3_T4_T5_mT6_T7_P12ihipStream_tbENKUlT_T0_E_clISt17integral_constantIbLb0EESY_IbLb1EEEEDaSU_SV_EUlSU_E_NS1_11comp_targetILNS1_3genE9ELNS1_11target_archE1100ELNS1_3gpuE3ELNS1_3repE0EEENS1_30default_config_static_selectorELNS0_4arch9wavefront6targetE0EEEvT1_ ; -- Begin function _ZN7rocprim17ROCPRIM_400000_NS6detail17trampoline_kernelINS0_14default_configENS1_27scan_by_key_config_selectorIxxEEZZNS1_16scan_by_key_implILNS1_25lookback_scan_determinismE0ELb1ES3_N6thrust23THRUST_200600_302600_NS6detail15normal_iteratorINS9_10device_ptrIxEEEESE_SE_xNS9_10multipliesIxEENS9_8equal_toIxEExEE10hipError_tPvRmT2_T3_T4_T5_mT6_T7_P12ihipStream_tbENKUlT_T0_E_clISt17integral_constantIbLb0EESY_IbLb1EEEEDaSU_SV_EUlSU_E_NS1_11comp_targetILNS1_3genE9ELNS1_11target_archE1100ELNS1_3gpuE3ELNS1_3repE0EEENS1_30default_config_static_selectorELNS0_4arch9wavefront6targetE0EEEvT1_
	.globl	_ZN7rocprim17ROCPRIM_400000_NS6detail17trampoline_kernelINS0_14default_configENS1_27scan_by_key_config_selectorIxxEEZZNS1_16scan_by_key_implILNS1_25lookback_scan_determinismE0ELb1ES3_N6thrust23THRUST_200600_302600_NS6detail15normal_iteratorINS9_10device_ptrIxEEEESE_SE_xNS9_10multipliesIxEENS9_8equal_toIxEExEE10hipError_tPvRmT2_T3_T4_T5_mT6_T7_P12ihipStream_tbENKUlT_T0_E_clISt17integral_constantIbLb0EESY_IbLb1EEEEDaSU_SV_EUlSU_E_NS1_11comp_targetILNS1_3genE9ELNS1_11target_archE1100ELNS1_3gpuE3ELNS1_3repE0EEENS1_30default_config_static_selectorELNS0_4arch9wavefront6targetE0EEEvT1_
	.p2align	8
	.type	_ZN7rocprim17ROCPRIM_400000_NS6detail17trampoline_kernelINS0_14default_configENS1_27scan_by_key_config_selectorIxxEEZZNS1_16scan_by_key_implILNS1_25lookback_scan_determinismE0ELb1ES3_N6thrust23THRUST_200600_302600_NS6detail15normal_iteratorINS9_10device_ptrIxEEEESE_SE_xNS9_10multipliesIxEENS9_8equal_toIxEExEE10hipError_tPvRmT2_T3_T4_T5_mT6_T7_P12ihipStream_tbENKUlT_T0_E_clISt17integral_constantIbLb0EESY_IbLb1EEEEDaSU_SV_EUlSU_E_NS1_11comp_targetILNS1_3genE9ELNS1_11target_archE1100ELNS1_3gpuE3ELNS1_3repE0EEENS1_30default_config_static_selectorELNS0_4arch9wavefront6targetE0EEEvT1_,@function
_ZN7rocprim17ROCPRIM_400000_NS6detail17trampoline_kernelINS0_14default_configENS1_27scan_by_key_config_selectorIxxEEZZNS1_16scan_by_key_implILNS1_25lookback_scan_determinismE0ELb1ES3_N6thrust23THRUST_200600_302600_NS6detail15normal_iteratorINS9_10device_ptrIxEEEESE_SE_xNS9_10multipliesIxEENS9_8equal_toIxEExEE10hipError_tPvRmT2_T3_T4_T5_mT6_T7_P12ihipStream_tbENKUlT_T0_E_clISt17integral_constantIbLb0EESY_IbLb1EEEEDaSU_SV_EUlSU_E_NS1_11comp_targetILNS1_3genE9ELNS1_11target_archE1100ELNS1_3gpuE3ELNS1_3repE0EEENS1_30default_config_static_selectorELNS0_4arch9wavefront6targetE0EEEvT1_: ; @_ZN7rocprim17ROCPRIM_400000_NS6detail17trampoline_kernelINS0_14default_configENS1_27scan_by_key_config_selectorIxxEEZZNS1_16scan_by_key_implILNS1_25lookback_scan_determinismE0ELb1ES3_N6thrust23THRUST_200600_302600_NS6detail15normal_iteratorINS9_10device_ptrIxEEEESE_SE_xNS9_10multipliesIxEENS9_8equal_toIxEExEE10hipError_tPvRmT2_T3_T4_T5_mT6_T7_P12ihipStream_tbENKUlT_T0_E_clISt17integral_constantIbLb0EESY_IbLb1EEEEDaSU_SV_EUlSU_E_NS1_11comp_targetILNS1_3genE9ELNS1_11target_archE1100ELNS1_3gpuE3ELNS1_3repE0EEENS1_30default_config_static_selectorELNS0_4arch9wavefront6targetE0EEEvT1_
; %bb.0:
	.section	.rodata,"a",@progbits
	.p2align	6, 0x0
	.amdhsa_kernel _ZN7rocprim17ROCPRIM_400000_NS6detail17trampoline_kernelINS0_14default_configENS1_27scan_by_key_config_selectorIxxEEZZNS1_16scan_by_key_implILNS1_25lookback_scan_determinismE0ELb1ES3_N6thrust23THRUST_200600_302600_NS6detail15normal_iteratorINS9_10device_ptrIxEEEESE_SE_xNS9_10multipliesIxEENS9_8equal_toIxEExEE10hipError_tPvRmT2_T3_T4_T5_mT6_T7_P12ihipStream_tbENKUlT_T0_E_clISt17integral_constantIbLb0EESY_IbLb1EEEEDaSU_SV_EUlSU_E_NS1_11comp_targetILNS1_3genE9ELNS1_11target_archE1100ELNS1_3gpuE3ELNS1_3repE0EEENS1_30default_config_static_selectorELNS0_4arch9wavefront6targetE0EEEvT1_
		.amdhsa_group_segment_fixed_size 0
		.amdhsa_private_segment_fixed_size 0
		.amdhsa_kernarg_size 136
		.amdhsa_user_sgpr_count 6
		.amdhsa_user_sgpr_private_segment_buffer 1
		.amdhsa_user_sgpr_dispatch_ptr 0
		.amdhsa_user_sgpr_queue_ptr 0
		.amdhsa_user_sgpr_kernarg_segment_ptr 1
		.amdhsa_user_sgpr_dispatch_id 0
		.amdhsa_user_sgpr_flat_scratch_init 0
		.amdhsa_user_sgpr_private_segment_size 0
		.amdhsa_wavefront_size32 1
		.amdhsa_uses_dynamic_stack 0
		.amdhsa_system_sgpr_private_segment_wavefront_offset 0
		.amdhsa_system_sgpr_workgroup_id_x 1
		.amdhsa_system_sgpr_workgroup_id_y 0
		.amdhsa_system_sgpr_workgroup_id_z 0
		.amdhsa_system_sgpr_workgroup_info 0
		.amdhsa_system_vgpr_workitem_id 0
		.amdhsa_next_free_vgpr 1
		.amdhsa_next_free_sgpr 1
		.amdhsa_reserve_vcc 0
		.amdhsa_reserve_flat_scratch 0
		.amdhsa_float_round_mode_32 0
		.amdhsa_float_round_mode_16_64 0
		.amdhsa_float_denorm_mode_32 3
		.amdhsa_float_denorm_mode_16_64 3
		.amdhsa_dx10_clamp 1
		.amdhsa_ieee_mode 1
		.amdhsa_fp16_overflow 0
		.amdhsa_workgroup_processor_mode 1
		.amdhsa_memory_ordered 1
		.amdhsa_forward_progress 1
		.amdhsa_shared_vgpr_count 0
		.amdhsa_exception_fp_ieee_invalid_op 0
		.amdhsa_exception_fp_denorm_src 0
		.amdhsa_exception_fp_ieee_div_zero 0
		.amdhsa_exception_fp_ieee_overflow 0
		.amdhsa_exception_fp_ieee_underflow 0
		.amdhsa_exception_fp_ieee_inexact 0
		.amdhsa_exception_int_div_zero 0
	.end_amdhsa_kernel
	.section	.text._ZN7rocprim17ROCPRIM_400000_NS6detail17trampoline_kernelINS0_14default_configENS1_27scan_by_key_config_selectorIxxEEZZNS1_16scan_by_key_implILNS1_25lookback_scan_determinismE0ELb1ES3_N6thrust23THRUST_200600_302600_NS6detail15normal_iteratorINS9_10device_ptrIxEEEESE_SE_xNS9_10multipliesIxEENS9_8equal_toIxEExEE10hipError_tPvRmT2_T3_T4_T5_mT6_T7_P12ihipStream_tbENKUlT_T0_E_clISt17integral_constantIbLb0EESY_IbLb1EEEEDaSU_SV_EUlSU_E_NS1_11comp_targetILNS1_3genE9ELNS1_11target_archE1100ELNS1_3gpuE3ELNS1_3repE0EEENS1_30default_config_static_selectorELNS0_4arch9wavefront6targetE0EEEvT1_,"axG",@progbits,_ZN7rocprim17ROCPRIM_400000_NS6detail17trampoline_kernelINS0_14default_configENS1_27scan_by_key_config_selectorIxxEEZZNS1_16scan_by_key_implILNS1_25lookback_scan_determinismE0ELb1ES3_N6thrust23THRUST_200600_302600_NS6detail15normal_iteratorINS9_10device_ptrIxEEEESE_SE_xNS9_10multipliesIxEENS9_8equal_toIxEExEE10hipError_tPvRmT2_T3_T4_T5_mT6_T7_P12ihipStream_tbENKUlT_T0_E_clISt17integral_constantIbLb0EESY_IbLb1EEEEDaSU_SV_EUlSU_E_NS1_11comp_targetILNS1_3genE9ELNS1_11target_archE1100ELNS1_3gpuE3ELNS1_3repE0EEENS1_30default_config_static_selectorELNS0_4arch9wavefront6targetE0EEEvT1_,comdat
.Lfunc_end423:
	.size	_ZN7rocprim17ROCPRIM_400000_NS6detail17trampoline_kernelINS0_14default_configENS1_27scan_by_key_config_selectorIxxEEZZNS1_16scan_by_key_implILNS1_25lookback_scan_determinismE0ELb1ES3_N6thrust23THRUST_200600_302600_NS6detail15normal_iteratorINS9_10device_ptrIxEEEESE_SE_xNS9_10multipliesIxEENS9_8equal_toIxEExEE10hipError_tPvRmT2_T3_T4_T5_mT6_T7_P12ihipStream_tbENKUlT_T0_E_clISt17integral_constantIbLb0EESY_IbLb1EEEEDaSU_SV_EUlSU_E_NS1_11comp_targetILNS1_3genE9ELNS1_11target_archE1100ELNS1_3gpuE3ELNS1_3repE0EEENS1_30default_config_static_selectorELNS0_4arch9wavefront6targetE0EEEvT1_, .Lfunc_end423-_ZN7rocprim17ROCPRIM_400000_NS6detail17trampoline_kernelINS0_14default_configENS1_27scan_by_key_config_selectorIxxEEZZNS1_16scan_by_key_implILNS1_25lookback_scan_determinismE0ELb1ES3_N6thrust23THRUST_200600_302600_NS6detail15normal_iteratorINS9_10device_ptrIxEEEESE_SE_xNS9_10multipliesIxEENS9_8equal_toIxEExEE10hipError_tPvRmT2_T3_T4_T5_mT6_T7_P12ihipStream_tbENKUlT_T0_E_clISt17integral_constantIbLb0EESY_IbLb1EEEEDaSU_SV_EUlSU_E_NS1_11comp_targetILNS1_3genE9ELNS1_11target_archE1100ELNS1_3gpuE3ELNS1_3repE0EEENS1_30default_config_static_selectorELNS0_4arch9wavefront6targetE0EEEvT1_
                                        ; -- End function
	.set _ZN7rocprim17ROCPRIM_400000_NS6detail17trampoline_kernelINS0_14default_configENS1_27scan_by_key_config_selectorIxxEEZZNS1_16scan_by_key_implILNS1_25lookback_scan_determinismE0ELb1ES3_N6thrust23THRUST_200600_302600_NS6detail15normal_iteratorINS9_10device_ptrIxEEEESE_SE_xNS9_10multipliesIxEENS9_8equal_toIxEExEE10hipError_tPvRmT2_T3_T4_T5_mT6_T7_P12ihipStream_tbENKUlT_T0_E_clISt17integral_constantIbLb0EESY_IbLb1EEEEDaSU_SV_EUlSU_E_NS1_11comp_targetILNS1_3genE9ELNS1_11target_archE1100ELNS1_3gpuE3ELNS1_3repE0EEENS1_30default_config_static_selectorELNS0_4arch9wavefront6targetE0EEEvT1_.num_vgpr, 0
	.set _ZN7rocprim17ROCPRIM_400000_NS6detail17trampoline_kernelINS0_14default_configENS1_27scan_by_key_config_selectorIxxEEZZNS1_16scan_by_key_implILNS1_25lookback_scan_determinismE0ELb1ES3_N6thrust23THRUST_200600_302600_NS6detail15normal_iteratorINS9_10device_ptrIxEEEESE_SE_xNS9_10multipliesIxEENS9_8equal_toIxEExEE10hipError_tPvRmT2_T3_T4_T5_mT6_T7_P12ihipStream_tbENKUlT_T0_E_clISt17integral_constantIbLb0EESY_IbLb1EEEEDaSU_SV_EUlSU_E_NS1_11comp_targetILNS1_3genE9ELNS1_11target_archE1100ELNS1_3gpuE3ELNS1_3repE0EEENS1_30default_config_static_selectorELNS0_4arch9wavefront6targetE0EEEvT1_.num_agpr, 0
	.set _ZN7rocprim17ROCPRIM_400000_NS6detail17trampoline_kernelINS0_14default_configENS1_27scan_by_key_config_selectorIxxEEZZNS1_16scan_by_key_implILNS1_25lookback_scan_determinismE0ELb1ES3_N6thrust23THRUST_200600_302600_NS6detail15normal_iteratorINS9_10device_ptrIxEEEESE_SE_xNS9_10multipliesIxEENS9_8equal_toIxEExEE10hipError_tPvRmT2_T3_T4_T5_mT6_T7_P12ihipStream_tbENKUlT_T0_E_clISt17integral_constantIbLb0EESY_IbLb1EEEEDaSU_SV_EUlSU_E_NS1_11comp_targetILNS1_3genE9ELNS1_11target_archE1100ELNS1_3gpuE3ELNS1_3repE0EEENS1_30default_config_static_selectorELNS0_4arch9wavefront6targetE0EEEvT1_.numbered_sgpr, 0
	.set _ZN7rocprim17ROCPRIM_400000_NS6detail17trampoline_kernelINS0_14default_configENS1_27scan_by_key_config_selectorIxxEEZZNS1_16scan_by_key_implILNS1_25lookback_scan_determinismE0ELb1ES3_N6thrust23THRUST_200600_302600_NS6detail15normal_iteratorINS9_10device_ptrIxEEEESE_SE_xNS9_10multipliesIxEENS9_8equal_toIxEExEE10hipError_tPvRmT2_T3_T4_T5_mT6_T7_P12ihipStream_tbENKUlT_T0_E_clISt17integral_constantIbLb0EESY_IbLb1EEEEDaSU_SV_EUlSU_E_NS1_11comp_targetILNS1_3genE9ELNS1_11target_archE1100ELNS1_3gpuE3ELNS1_3repE0EEENS1_30default_config_static_selectorELNS0_4arch9wavefront6targetE0EEEvT1_.num_named_barrier, 0
	.set _ZN7rocprim17ROCPRIM_400000_NS6detail17trampoline_kernelINS0_14default_configENS1_27scan_by_key_config_selectorIxxEEZZNS1_16scan_by_key_implILNS1_25lookback_scan_determinismE0ELb1ES3_N6thrust23THRUST_200600_302600_NS6detail15normal_iteratorINS9_10device_ptrIxEEEESE_SE_xNS9_10multipliesIxEENS9_8equal_toIxEExEE10hipError_tPvRmT2_T3_T4_T5_mT6_T7_P12ihipStream_tbENKUlT_T0_E_clISt17integral_constantIbLb0EESY_IbLb1EEEEDaSU_SV_EUlSU_E_NS1_11comp_targetILNS1_3genE9ELNS1_11target_archE1100ELNS1_3gpuE3ELNS1_3repE0EEENS1_30default_config_static_selectorELNS0_4arch9wavefront6targetE0EEEvT1_.private_seg_size, 0
	.set _ZN7rocprim17ROCPRIM_400000_NS6detail17trampoline_kernelINS0_14default_configENS1_27scan_by_key_config_selectorIxxEEZZNS1_16scan_by_key_implILNS1_25lookback_scan_determinismE0ELb1ES3_N6thrust23THRUST_200600_302600_NS6detail15normal_iteratorINS9_10device_ptrIxEEEESE_SE_xNS9_10multipliesIxEENS9_8equal_toIxEExEE10hipError_tPvRmT2_T3_T4_T5_mT6_T7_P12ihipStream_tbENKUlT_T0_E_clISt17integral_constantIbLb0EESY_IbLb1EEEEDaSU_SV_EUlSU_E_NS1_11comp_targetILNS1_3genE9ELNS1_11target_archE1100ELNS1_3gpuE3ELNS1_3repE0EEENS1_30default_config_static_selectorELNS0_4arch9wavefront6targetE0EEEvT1_.uses_vcc, 0
	.set _ZN7rocprim17ROCPRIM_400000_NS6detail17trampoline_kernelINS0_14default_configENS1_27scan_by_key_config_selectorIxxEEZZNS1_16scan_by_key_implILNS1_25lookback_scan_determinismE0ELb1ES3_N6thrust23THRUST_200600_302600_NS6detail15normal_iteratorINS9_10device_ptrIxEEEESE_SE_xNS9_10multipliesIxEENS9_8equal_toIxEExEE10hipError_tPvRmT2_T3_T4_T5_mT6_T7_P12ihipStream_tbENKUlT_T0_E_clISt17integral_constantIbLb0EESY_IbLb1EEEEDaSU_SV_EUlSU_E_NS1_11comp_targetILNS1_3genE9ELNS1_11target_archE1100ELNS1_3gpuE3ELNS1_3repE0EEENS1_30default_config_static_selectorELNS0_4arch9wavefront6targetE0EEEvT1_.uses_flat_scratch, 0
	.set _ZN7rocprim17ROCPRIM_400000_NS6detail17trampoline_kernelINS0_14default_configENS1_27scan_by_key_config_selectorIxxEEZZNS1_16scan_by_key_implILNS1_25lookback_scan_determinismE0ELb1ES3_N6thrust23THRUST_200600_302600_NS6detail15normal_iteratorINS9_10device_ptrIxEEEESE_SE_xNS9_10multipliesIxEENS9_8equal_toIxEExEE10hipError_tPvRmT2_T3_T4_T5_mT6_T7_P12ihipStream_tbENKUlT_T0_E_clISt17integral_constantIbLb0EESY_IbLb1EEEEDaSU_SV_EUlSU_E_NS1_11comp_targetILNS1_3genE9ELNS1_11target_archE1100ELNS1_3gpuE3ELNS1_3repE0EEENS1_30default_config_static_selectorELNS0_4arch9wavefront6targetE0EEEvT1_.has_dyn_sized_stack, 0
	.set _ZN7rocprim17ROCPRIM_400000_NS6detail17trampoline_kernelINS0_14default_configENS1_27scan_by_key_config_selectorIxxEEZZNS1_16scan_by_key_implILNS1_25lookback_scan_determinismE0ELb1ES3_N6thrust23THRUST_200600_302600_NS6detail15normal_iteratorINS9_10device_ptrIxEEEESE_SE_xNS9_10multipliesIxEENS9_8equal_toIxEExEE10hipError_tPvRmT2_T3_T4_T5_mT6_T7_P12ihipStream_tbENKUlT_T0_E_clISt17integral_constantIbLb0EESY_IbLb1EEEEDaSU_SV_EUlSU_E_NS1_11comp_targetILNS1_3genE9ELNS1_11target_archE1100ELNS1_3gpuE3ELNS1_3repE0EEENS1_30default_config_static_selectorELNS0_4arch9wavefront6targetE0EEEvT1_.has_recursion, 0
	.set _ZN7rocprim17ROCPRIM_400000_NS6detail17trampoline_kernelINS0_14default_configENS1_27scan_by_key_config_selectorIxxEEZZNS1_16scan_by_key_implILNS1_25lookback_scan_determinismE0ELb1ES3_N6thrust23THRUST_200600_302600_NS6detail15normal_iteratorINS9_10device_ptrIxEEEESE_SE_xNS9_10multipliesIxEENS9_8equal_toIxEExEE10hipError_tPvRmT2_T3_T4_T5_mT6_T7_P12ihipStream_tbENKUlT_T0_E_clISt17integral_constantIbLb0EESY_IbLb1EEEEDaSU_SV_EUlSU_E_NS1_11comp_targetILNS1_3genE9ELNS1_11target_archE1100ELNS1_3gpuE3ELNS1_3repE0EEENS1_30default_config_static_selectorELNS0_4arch9wavefront6targetE0EEEvT1_.has_indirect_call, 0
	.section	.AMDGPU.csdata,"",@progbits
; Kernel info:
; codeLenInByte = 0
; TotalNumSgprs: 0
; NumVgprs: 0
; ScratchSize: 0
; MemoryBound: 0
; FloatMode: 240
; IeeeMode: 1
; LDSByteSize: 0 bytes/workgroup (compile time only)
; SGPRBlocks: 0
; VGPRBlocks: 0
; NumSGPRsForWavesPerEU: 1
; NumVGPRsForWavesPerEU: 1
; Occupancy: 16
; WaveLimiterHint : 0
; COMPUTE_PGM_RSRC2:SCRATCH_EN: 0
; COMPUTE_PGM_RSRC2:USER_SGPR: 6
; COMPUTE_PGM_RSRC2:TRAP_HANDLER: 0
; COMPUTE_PGM_RSRC2:TGID_X_EN: 1
; COMPUTE_PGM_RSRC2:TGID_Y_EN: 0
; COMPUTE_PGM_RSRC2:TGID_Z_EN: 0
; COMPUTE_PGM_RSRC2:TIDIG_COMP_CNT: 0
	.section	.text._ZN7rocprim17ROCPRIM_400000_NS6detail17trampoline_kernelINS0_14default_configENS1_27scan_by_key_config_selectorIxxEEZZNS1_16scan_by_key_implILNS1_25lookback_scan_determinismE0ELb1ES3_N6thrust23THRUST_200600_302600_NS6detail15normal_iteratorINS9_10device_ptrIxEEEESE_SE_xNS9_10multipliesIxEENS9_8equal_toIxEExEE10hipError_tPvRmT2_T3_T4_T5_mT6_T7_P12ihipStream_tbENKUlT_T0_E_clISt17integral_constantIbLb0EESY_IbLb1EEEEDaSU_SV_EUlSU_E_NS1_11comp_targetILNS1_3genE8ELNS1_11target_archE1030ELNS1_3gpuE2ELNS1_3repE0EEENS1_30default_config_static_selectorELNS0_4arch9wavefront6targetE0EEEvT1_,"axG",@progbits,_ZN7rocprim17ROCPRIM_400000_NS6detail17trampoline_kernelINS0_14default_configENS1_27scan_by_key_config_selectorIxxEEZZNS1_16scan_by_key_implILNS1_25lookback_scan_determinismE0ELb1ES3_N6thrust23THRUST_200600_302600_NS6detail15normal_iteratorINS9_10device_ptrIxEEEESE_SE_xNS9_10multipliesIxEENS9_8equal_toIxEExEE10hipError_tPvRmT2_T3_T4_T5_mT6_T7_P12ihipStream_tbENKUlT_T0_E_clISt17integral_constantIbLb0EESY_IbLb1EEEEDaSU_SV_EUlSU_E_NS1_11comp_targetILNS1_3genE8ELNS1_11target_archE1030ELNS1_3gpuE2ELNS1_3repE0EEENS1_30default_config_static_selectorELNS0_4arch9wavefront6targetE0EEEvT1_,comdat
	.protected	_ZN7rocprim17ROCPRIM_400000_NS6detail17trampoline_kernelINS0_14default_configENS1_27scan_by_key_config_selectorIxxEEZZNS1_16scan_by_key_implILNS1_25lookback_scan_determinismE0ELb1ES3_N6thrust23THRUST_200600_302600_NS6detail15normal_iteratorINS9_10device_ptrIxEEEESE_SE_xNS9_10multipliesIxEENS9_8equal_toIxEExEE10hipError_tPvRmT2_T3_T4_T5_mT6_T7_P12ihipStream_tbENKUlT_T0_E_clISt17integral_constantIbLb0EESY_IbLb1EEEEDaSU_SV_EUlSU_E_NS1_11comp_targetILNS1_3genE8ELNS1_11target_archE1030ELNS1_3gpuE2ELNS1_3repE0EEENS1_30default_config_static_selectorELNS0_4arch9wavefront6targetE0EEEvT1_ ; -- Begin function _ZN7rocprim17ROCPRIM_400000_NS6detail17trampoline_kernelINS0_14default_configENS1_27scan_by_key_config_selectorIxxEEZZNS1_16scan_by_key_implILNS1_25lookback_scan_determinismE0ELb1ES3_N6thrust23THRUST_200600_302600_NS6detail15normal_iteratorINS9_10device_ptrIxEEEESE_SE_xNS9_10multipliesIxEENS9_8equal_toIxEExEE10hipError_tPvRmT2_T3_T4_T5_mT6_T7_P12ihipStream_tbENKUlT_T0_E_clISt17integral_constantIbLb0EESY_IbLb1EEEEDaSU_SV_EUlSU_E_NS1_11comp_targetILNS1_3genE8ELNS1_11target_archE1030ELNS1_3gpuE2ELNS1_3repE0EEENS1_30default_config_static_selectorELNS0_4arch9wavefront6targetE0EEEvT1_
	.globl	_ZN7rocprim17ROCPRIM_400000_NS6detail17trampoline_kernelINS0_14default_configENS1_27scan_by_key_config_selectorIxxEEZZNS1_16scan_by_key_implILNS1_25lookback_scan_determinismE0ELb1ES3_N6thrust23THRUST_200600_302600_NS6detail15normal_iteratorINS9_10device_ptrIxEEEESE_SE_xNS9_10multipliesIxEENS9_8equal_toIxEExEE10hipError_tPvRmT2_T3_T4_T5_mT6_T7_P12ihipStream_tbENKUlT_T0_E_clISt17integral_constantIbLb0EESY_IbLb1EEEEDaSU_SV_EUlSU_E_NS1_11comp_targetILNS1_3genE8ELNS1_11target_archE1030ELNS1_3gpuE2ELNS1_3repE0EEENS1_30default_config_static_selectorELNS0_4arch9wavefront6targetE0EEEvT1_
	.p2align	8
	.type	_ZN7rocprim17ROCPRIM_400000_NS6detail17trampoline_kernelINS0_14default_configENS1_27scan_by_key_config_selectorIxxEEZZNS1_16scan_by_key_implILNS1_25lookback_scan_determinismE0ELb1ES3_N6thrust23THRUST_200600_302600_NS6detail15normal_iteratorINS9_10device_ptrIxEEEESE_SE_xNS9_10multipliesIxEENS9_8equal_toIxEExEE10hipError_tPvRmT2_T3_T4_T5_mT6_T7_P12ihipStream_tbENKUlT_T0_E_clISt17integral_constantIbLb0EESY_IbLb1EEEEDaSU_SV_EUlSU_E_NS1_11comp_targetILNS1_3genE8ELNS1_11target_archE1030ELNS1_3gpuE2ELNS1_3repE0EEENS1_30default_config_static_selectorELNS0_4arch9wavefront6targetE0EEEvT1_,@function
_ZN7rocprim17ROCPRIM_400000_NS6detail17trampoline_kernelINS0_14default_configENS1_27scan_by_key_config_selectorIxxEEZZNS1_16scan_by_key_implILNS1_25lookback_scan_determinismE0ELb1ES3_N6thrust23THRUST_200600_302600_NS6detail15normal_iteratorINS9_10device_ptrIxEEEESE_SE_xNS9_10multipliesIxEENS9_8equal_toIxEExEE10hipError_tPvRmT2_T3_T4_T5_mT6_T7_P12ihipStream_tbENKUlT_T0_E_clISt17integral_constantIbLb0EESY_IbLb1EEEEDaSU_SV_EUlSU_E_NS1_11comp_targetILNS1_3genE8ELNS1_11target_archE1030ELNS1_3gpuE2ELNS1_3repE0EEENS1_30default_config_static_selectorELNS0_4arch9wavefront6targetE0EEEvT1_: ; @_ZN7rocprim17ROCPRIM_400000_NS6detail17trampoline_kernelINS0_14default_configENS1_27scan_by_key_config_selectorIxxEEZZNS1_16scan_by_key_implILNS1_25lookback_scan_determinismE0ELb1ES3_N6thrust23THRUST_200600_302600_NS6detail15normal_iteratorINS9_10device_ptrIxEEEESE_SE_xNS9_10multipliesIxEENS9_8equal_toIxEExEE10hipError_tPvRmT2_T3_T4_T5_mT6_T7_P12ihipStream_tbENKUlT_T0_E_clISt17integral_constantIbLb0EESY_IbLb1EEEEDaSU_SV_EUlSU_E_NS1_11comp_targetILNS1_3genE8ELNS1_11target_archE1030ELNS1_3gpuE2ELNS1_3repE0EEENS1_30default_config_static_selectorELNS0_4arch9wavefront6targetE0EEEvT1_
; %bb.0:
	s_clause 0x3
	s_load_dwordx8 s[36:43], s[4:5], 0x0
	s_load_dwordx2 s[44:45], s[4:5], 0x20
	s_load_dwordx8 s[20:27], s[4:5], 0x30
	s_load_dwordx2 s[46:47], s[4:5], 0x50
	v_cmp_ne_u32_e64 s2, 0, v0
	v_cmp_eq_u32_e64 s1, 0, v0
	s_and_saveexec_b32 s0, s1
	s_cbranch_execz .LBB424_4
; %bb.1:
	s_mov_b32 s6, exec_lo
	s_mov_b32 s3, exec_lo
	v_mbcnt_lo_u32_b32 v1, s6, 0
                                        ; implicit-def: $vgpr2
	v_cmpx_eq_u32_e32 0, v1
	s_cbranch_execz .LBB424_3
; %bb.2:
	s_load_dwordx2 s[8:9], s[4:5], 0x80
	s_bcnt1_i32_b32 s6, s6
	v_mov_b32_e32 v2, 0
	v_mov_b32_e32 v3, s6
	s_waitcnt lgkmcnt(0)
	global_atomic_add v2, v2, v3, s[8:9] glc
.LBB424_3:
	s_or_b32 exec_lo, exec_lo, s3
	s_waitcnt vmcnt(0)
	v_readfirstlane_b32 s3, v2
	v_mov_b32_e32 v2, 0
	v_add_nc_u32_e32 v1, s3, v1
	ds_write_b32 v2, v1
.LBB424_4:
	s_or_b32 exec_lo, exec_lo, s0
	v_mov_b32_e32 v2, 0
	s_clause 0x1
	s_load_dword s0, s[4:5], 0x58
	s_load_dwordx4 s[28:31], s[4:5], 0x60
	s_waitcnt lgkmcnt(0)
	s_barrier
	buffer_gl0_inv
	ds_read_b32 v5, v2
	s_lshl_b64 s[34:35], s[38:39], 3
	s_waitcnt lgkmcnt(0)
	s_add_u32 s6, s36, s34
	s_addc_u32 s7, s37, s35
	s_add_u32 s8, s40, s34
	s_addc_u32 s9, s41, s35
	s_barrier
	buffer_gl0_inv
	s_barrier
	buffer_gl0_inv
	s_mul_i32 s3, s47, s0
	s_mul_hi_u32 s4, s46, s0
	s_mul_i32 s0, s46, s0
	s_add_i32 s4, s4, s3
	v_mul_lo_u32 v1, 0xd00, v5
	v_add_co_u32 v3, s0, s0, v5
	v_add_co_ci_u32_e64 v4, null, s4, 0, s0
	s_add_u32 s4, s28, -1
	s_addc_u32 s5, s29, -1
	v_readfirstlane_b32 s27, v5
	v_lshlrev_b64 v[49:50], 3, v[1:2]
	v_cmp_le_u64_e64 s0, s[4:5], v[3:4]
	s_mul_i32 s19, s4, 0xfffff300
	v_add_co_u32 v53, vcc_lo, s6, v49
	v_add_co_ci_u32_e64 v54, null, s7, v50, vcc_lo
	v_add_co_u32 v91, vcc_lo, s8, v49
	v_add_co_ci_u32_e64 v92, null, s9, v50, vcc_lo
	s_and_b32 vcc_lo, exec_lo, s0
	s_cbranch_vccz .LBB424_45
; %bb.5:
	flat_load_dwordx2 v[1:2], v[53:54]
	s_add_i32 s28, s19, s26
	v_cmp_gt_u32_e32 vcc_lo, s28, v0
	s_waitcnt vmcnt(0) lgkmcnt(0)
	v_mov_b32_e32 v4, v2
	v_mov_b32_e32 v3, v1
	s_and_saveexec_b32 s4, vcc_lo
	s_cbranch_execz .LBB424_7
; %bb.6:
	v_lshlrev_b32_e32 v3, 3, v0
	v_add_co_u32 v3, s3, v53, v3
	v_add_co_ci_u32_e64 v4, null, 0, v54, s3
	flat_load_dwordx2 v[3:4], v[3:4]
.LBB424_7:
	s_or_b32 exec_lo, exec_lo, s4
	v_or_b32_e32 v5, 0x100, v0
	v_cmp_gt_u32_e64 s3, s28, v5
	v_lshlrev_b32_e32 v29, 3, v5
	v_mov_b32_e32 v6, v2
	v_mov_b32_e32 v5, v1
	s_and_saveexec_b32 s5, s3
	s_cbranch_execz .LBB424_9
; %bb.8:
	v_add_co_u32 v5, s4, v53, v29
	v_add_co_ci_u32_e64 v6, null, 0, v54, s4
	flat_load_dwordx2 v[5:6], v[5:6]
.LBB424_9:
	s_or_b32 exec_lo, exec_lo, s5
	v_or_b32_e32 v7, 0x200, v0
	v_cmp_gt_u32_e64 s4, s28, v7
	v_lshlrev_b32_e32 v31, 3, v7
	v_mov_b32_e32 v8, v2
	v_mov_b32_e32 v7, v1
	s_and_saveexec_b32 s6, s4
	s_cbranch_execz .LBB424_11
; %bb.10:
	v_add_co_u32 v7, s5, v53, v31
	v_add_co_ci_u32_e64 v8, null, 0, v54, s5
	flat_load_dwordx2 v[7:8], v[7:8]
.LBB424_11:
	;; [unrolled: 13-line block ×11, first 2 shown]
	s_or_b32 exec_lo, exec_lo, s15
	v_or_b32_e32 v27, 0xc00, v0
	v_cmp_gt_u32_e64 s14, s28, v27
	v_lshlrev_b32_e32 v55, 3, v27
	s_and_saveexec_b32 s16, s14
	s_cbranch_execz .LBB424_31
; %bb.30:
	v_add_co_u32 v1, s15, v53, v55
	v_add_co_ci_u32_e64 v2, null, 0, v54, s15
	flat_load_dwordx2 v[1:2], v[1:2]
.LBB424_31:
	s_or_b32 exec_lo, exec_lo, s16
	v_lshlrev_b32_e32 v56, 3, v0
	s_mov_b32 s16, exec_lo
	s_waitcnt vmcnt(0) lgkmcnt(0)
	ds_write2st64_b64 v56, v[3:4], v[5:6] offset1:4
	ds_write2st64_b64 v56, v[7:8], v[9:10] offset0:8 offset1:12
	ds_write2st64_b64 v56, v[11:12], v[13:14] offset0:16 offset1:20
	;; [unrolled: 1-line block ×5, first 2 shown]
	ds_write_b64 v56, v[1:2] offset:24576
	s_waitcnt lgkmcnt(0)
	s_barrier
	buffer_gl0_inv
	flat_load_dwordx2 v[77:78], v[53:54]
	v_mad_u32_u24 v104, 0x60, v0, v56
	ds_read_b64 v[79:80], v104
	ds_read2_b64 v[21:24], v104 offset0:1 offset1:2
	ds_read2_b64 v[17:20], v104 offset0:3 offset1:4
	;; [unrolled: 1-line block ×6, first 2 shown]
	v_mad_i32_i24 v25, 0xffffffa0, v0, v104
	s_waitcnt lgkmcnt(6)
	ds_write_b64 v25, v[79:80] offset:28672
	s_waitcnt vmcnt(0) lgkmcnt(0)
	s_barrier
	buffer_gl0_inv
	v_cmpx_ne_u32_e32 0xff, v0
; %bb.32:
	v_mul_i32_i24_e32 v25, 0xffffffa0, v0
	v_add_nc_u32_e32 v25, v104, v25
	ds_read_b64 v[77:78], v25 offset:28680
; %bb.33:
	s_or_b32 exec_lo, exec_lo, s16
	s_waitcnt lgkmcnt(0)
	s_barrier
	buffer_gl0_inv
                                        ; implicit-def: $vgpr25_vgpr26
	s_and_saveexec_b32 s15, vcc_lo
	s_cbranch_execz .LBB424_46
; %bb.34:
	v_add_co_u32 v25, vcc_lo, v91, v56
	v_add_co_ci_u32_e64 v26, null, 0, v92, vcc_lo
	flat_load_dwordx2 v[25:26], v[25:26]
	s_or_b32 exec_lo, exec_lo, s15
                                        ; implicit-def: $vgpr27_vgpr28
	s_and_saveexec_b32 s15, s3
	s_cbranch_execnz .LBB424_47
.LBB424_35:
	s_or_b32 exec_lo, exec_lo, s15
                                        ; implicit-def: $vgpr29_vgpr30
	s_and_saveexec_b32 s3, s4
	s_cbranch_execz .LBB424_48
.LBB424_36:
	v_add_co_u32 v29, vcc_lo, v91, v31
	v_add_co_ci_u32_e64 v30, null, 0, v92, vcc_lo
	flat_load_dwordx2 v[29:30], v[29:30]
	s_or_b32 exec_lo, exec_lo, s3
                                        ; implicit-def: $vgpr31_vgpr32
	s_and_saveexec_b32 s3, s5
	s_cbranch_execnz .LBB424_49
.LBB424_37:
	s_or_b32 exec_lo, exec_lo, s3
                                        ; implicit-def: $vgpr33_vgpr34
	s_and_saveexec_b32 s3, s6
	s_cbranch_execz .LBB424_50
.LBB424_38:
	v_add_co_u32 v33, vcc_lo, v91, v35
	v_add_co_ci_u32_e64 v34, null, 0, v92, vcc_lo
	flat_load_dwordx2 v[33:34], v[33:34]
	s_or_b32 exec_lo, exec_lo, s3
                                        ; implicit-def: $vgpr35_vgpr36
	s_and_saveexec_b32 s3, s7
	s_cbranch_execnz .LBB424_51
.LBB424_39:
	s_or_b32 exec_lo, exec_lo, s3
                                        ; implicit-def: $vgpr37_vgpr38
	s_and_saveexec_b32 s3, s8
	s_cbranch_execz .LBB424_52
.LBB424_40:
	v_add_co_u32 v37, vcc_lo, v91, v39
	v_add_co_ci_u32_e64 v38, null, 0, v92, vcc_lo
	flat_load_dwordx2 v[37:38], v[37:38]
	s_or_b32 exec_lo, exec_lo, s3
                                        ; implicit-def: $vgpr39_vgpr40
	s_and_saveexec_b32 s3, s9
	s_cbranch_execnz .LBB424_53
.LBB424_41:
	s_or_b32 exec_lo, exec_lo, s3
                                        ; implicit-def: $vgpr41_vgpr42
	s_and_saveexec_b32 s3, s10
	s_cbranch_execz .LBB424_54
.LBB424_42:
	v_add_co_u32 v41, vcc_lo, v91, v43
	v_add_co_ci_u32_e64 v42, null, 0, v92, vcc_lo
	flat_load_dwordx2 v[41:42], v[41:42]
	s_or_b32 exec_lo, exec_lo, s3
                                        ; implicit-def: $vgpr43_vgpr44
	s_and_saveexec_b32 s3, s11
	s_cbranch_execnz .LBB424_55
.LBB424_43:
	s_or_b32 exec_lo, exec_lo, s3
                                        ; implicit-def: $vgpr45_vgpr46
	s_and_saveexec_b32 s3, s12
	s_cbranch_execz .LBB424_56
.LBB424_44:
	v_add_co_u32 v45, vcc_lo, v91, v47
	v_add_co_ci_u32_e64 v46, null, 0, v92, vcc_lo
	flat_load_dwordx2 v[45:46], v[45:46]
	s_or_b32 exec_lo, exec_lo, s3
                                        ; implicit-def: $vgpr47_vgpr48
	s_and_saveexec_b32 s3, s13
	s_cbranch_execz .LBB424_58
	s_branch .LBB424_57
.LBB424_45:
	s_mov_b32 s3, 0
                                        ; implicit-def: $sgpr16
                                        ; implicit-def: $vgpr51_vgpr52
                                        ; implicit-def: $vgpr95
                                        ; implicit-def: $vgpr59_vgpr60
                                        ; implicit-def: $vgpr96
                                        ; implicit-def: $vgpr71_vgpr72
                                        ; implicit-def: $vgpr97
                                        ; implicit-def: $vgpr75_vgpr76
                                        ; implicit-def: $vgpr98
                                        ; implicit-def: $vgpr69_vgpr70
                                        ; implicit-def: $vgpr99
                                        ; implicit-def: $vgpr73_vgpr74
                                        ; implicit-def: $vgpr100
                                        ; implicit-def: $vgpr65_vgpr66
                                        ; implicit-def: $vgpr101
                                        ; implicit-def: $vgpr67_vgpr68
                                        ; implicit-def: $vgpr102
                                        ; implicit-def: $vgpr63_vgpr64
                                        ; implicit-def: $vgpr103
                                        ; implicit-def: $vgpr61_vgpr62
                                        ; implicit-def: $vgpr105
                                        ; implicit-def: $vgpr57_vgpr58
                                        ; implicit-def: $vgpr106
                                        ; implicit-def: $vgpr55_vgpr56
                                        ; implicit-def: $vgpr108
                                        ; implicit-def: $vgpr39_vgpr40
                                        ; implicit-def: $vgpr82
                                        ; implicit-def: $vgpr25_vgpr26
                                        ; implicit-def: $vgpr81
                                        ; implicit-def: $vgpr29_vgpr30
                                        ; implicit-def: $vgpr83
                                        ; implicit-def: $vgpr31_vgpr32
                                        ; implicit-def: $vgpr84
                                        ; implicit-def: $vgpr33_vgpr34
                                        ; implicit-def: $vgpr85
                                        ; implicit-def: $vgpr35_vgpr36
                                        ; implicit-def: $vgpr86
                                        ; implicit-def: $vgpr37_vgpr38
                                        ; implicit-def: $vgpr88
                                        ; implicit-def: $vgpr41_vgpr42
                                        ; implicit-def: $vgpr89
                                        ; implicit-def: $vgpr43_vgpr44
                                        ; implicit-def: $vgpr90
                                        ; implicit-def: $vgpr45_vgpr46
                                        ; implicit-def: $vgpr93
                                        ; implicit-def: $vgpr47_vgpr48
                                        ; implicit-def: $vgpr94
                                        ; implicit-def: $vgpr27_vgpr28
                                        ; implicit-def: $vgpr87
	v_lshlrev_b32_e32 v77, 3, v0
	s_cbranch_execz .LBB424_92
	s_branch .LBB424_87
.LBB424_46:
	s_or_b32 exec_lo, exec_lo, s15
                                        ; implicit-def: $vgpr27_vgpr28
	s_and_saveexec_b32 s15, s3
	s_cbranch_execz .LBB424_35
.LBB424_47:
	v_add_co_u32 v27, vcc_lo, v91, v29
	v_add_co_ci_u32_e64 v28, null, 0, v92, vcc_lo
	flat_load_dwordx2 v[27:28], v[27:28]
	s_or_b32 exec_lo, exec_lo, s15
                                        ; implicit-def: $vgpr29_vgpr30
	s_and_saveexec_b32 s3, s4
	s_cbranch_execnz .LBB424_36
.LBB424_48:
	s_or_b32 exec_lo, exec_lo, s3
                                        ; implicit-def: $vgpr31_vgpr32
	s_and_saveexec_b32 s3, s5
	s_cbranch_execz .LBB424_37
.LBB424_49:
	v_add_co_u32 v31, vcc_lo, v91, v33
	v_add_co_ci_u32_e64 v32, null, 0, v92, vcc_lo
	flat_load_dwordx2 v[31:32], v[31:32]
	s_or_b32 exec_lo, exec_lo, s3
                                        ; implicit-def: $vgpr33_vgpr34
	s_and_saveexec_b32 s3, s6
	s_cbranch_execnz .LBB424_38
.LBB424_50:
	s_or_b32 exec_lo, exec_lo, s3
                                        ; implicit-def: $vgpr35_vgpr36
	s_and_saveexec_b32 s3, s7
	s_cbranch_execz .LBB424_39
.LBB424_51:
	v_add_co_u32 v35, vcc_lo, v91, v37
	v_add_co_ci_u32_e64 v36, null, 0, v92, vcc_lo
	flat_load_dwordx2 v[35:36], v[35:36]
	s_or_b32 exec_lo, exec_lo, s3
                                        ; implicit-def: $vgpr37_vgpr38
	s_and_saveexec_b32 s3, s8
	s_cbranch_execnz .LBB424_40
.LBB424_52:
	s_or_b32 exec_lo, exec_lo, s3
                                        ; implicit-def: $vgpr39_vgpr40
	s_and_saveexec_b32 s3, s9
	s_cbranch_execz .LBB424_41
.LBB424_53:
	v_add_co_u32 v39, vcc_lo, v91, v41
	v_add_co_ci_u32_e64 v40, null, 0, v92, vcc_lo
	flat_load_dwordx2 v[39:40], v[39:40]
	s_or_b32 exec_lo, exec_lo, s3
                                        ; implicit-def: $vgpr41_vgpr42
	s_and_saveexec_b32 s3, s10
	s_cbranch_execnz .LBB424_42
.LBB424_54:
	s_or_b32 exec_lo, exec_lo, s3
                                        ; implicit-def: $vgpr43_vgpr44
	s_and_saveexec_b32 s3, s11
	s_cbranch_execz .LBB424_43
.LBB424_55:
	v_add_co_u32 v43, vcc_lo, v91, v45
	v_add_co_ci_u32_e64 v44, null, 0, v92, vcc_lo
	flat_load_dwordx2 v[43:44], v[43:44]
	s_or_b32 exec_lo, exec_lo, s3
                                        ; implicit-def: $vgpr45_vgpr46
	s_and_saveexec_b32 s3, s12
	s_cbranch_execnz .LBB424_44
.LBB424_56:
	s_or_b32 exec_lo, exec_lo, s3
                                        ; implicit-def: $vgpr47_vgpr48
	s_and_saveexec_b32 s3, s13
	s_cbranch_execz .LBB424_58
.LBB424_57:
	v_add_co_u32 v47, vcc_lo, v91, v51
	v_add_co_ci_u32_e64 v48, null, 0, v92, vcc_lo
	flat_load_dwordx2 v[47:48], v[47:48]
.LBB424_58:
	s_or_b32 exec_lo, exec_lo, s3
	v_mul_u32_u24_e32 v107, 13, v0
                                        ; implicit-def: $vgpr51_vgpr52
	s_and_saveexec_b32 s3, s14
	s_cbranch_execz .LBB424_60
; %bb.59:
	v_add_co_u32 v51, vcc_lo, v91, v55
	v_add_co_ci_u32_e64 v52, null, 0, v92, vcc_lo
	flat_load_dwordx2 v[51:52], v[51:52]
.LBB424_60:
	s_or_b32 exec_lo, exec_lo, s3
	s_waitcnt vmcnt(0) lgkmcnt(0)
	ds_write2st64_b64 v56, v[25:26], v[27:28] offset1:4
	ds_write2st64_b64 v56, v[29:30], v[31:32] offset0:8 offset1:12
	ds_write2st64_b64 v56, v[33:34], v[35:36] offset0:16 offset1:20
	;; [unrolled: 1-line block ×5, first 2 shown]
	ds_write_b64 v56, v[51:52] offset:24576
	v_mov_b32_e32 v51, 0
	v_mov_b32_e32 v59, 0
	;; [unrolled: 1-line block ×24, first 2 shown]
	v_cmp_gt_u32_e32 vcc_lo, s28, v107
	v_mov_b32_e32 v95, 0
	v_mov_b32_e32 v52, 0
	;; [unrolled: 1-line block ×48, first 2 shown]
	s_mov_b32 s15, 0
	s_mov_b32 s3, 0
	s_waitcnt lgkmcnt(0)
	s_barrier
	buffer_gl0_inv
                                        ; implicit-def: $sgpr16
	s_and_saveexec_b32 s17, vcc_lo
	s_cbranch_execz .LBB424_86
; %bb.61:
	ds_read_b64 v[25:26], v104
	v_cmp_ne_u64_e32 vcc_lo, v[79:80], v[21:22]
	v_add_nc_u32_e32 v27, 1, v107
	v_mov_b32_e32 v59, 0
	v_mov_b32_e32 v71, 0
	;; [unrolled: 1-line block ×7, first 2 shown]
	v_cmp_gt_u32_e64 s3, s28, v27
	v_mov_b32_e32 v63, 0
	v_mov_b32_e32 v61, 0
	;; [unrolled: 1-line block ×9, first 2 shown]
	s_waitcnt lgkmcnt(0)
	v_cndmask_b32_e64 v52, v26, s45, vcc_lo
	v_cndmask_b32_e64 v51, v25, s44, vcc_lo
	v_mov_b32_e32 v25, 0
	v_mov_b32_e32 v37, 0
	;; [unrolled: 1-line block ×52, first 2 shown]
	s_mov_b32 s4, 0
                                        ; implicit-def: $sgpr16
	s_and_saveexec_b32 s18, s3
	s_cbranch_execz .LBB424_85
; %bb.62:
	ds_read2_b64 v[25:28], v104 offset0:1 offset1:2
	v_cmp_ne_u64_e64 s3, v[21:22], v[23:24]
	v_add_nc_u32_e32 v21, 2, v107
	v_mov_b32_e32 v59, 0
	v_mov_b32_e32 v71, 0
	;; [unrolled: 1-line block ×17, first 2 shown]
	s_waitcnt lgkmcnt(0)
	v_cndmask_b32_e64 v56, v26, s45, s3
	v_cndmask_b32_e64 v55, v25, s44, s3
	v_mov_b32_e32 v25, 0
	v_mov_b32_e32 v43, 0
	v_mov_b32_e32 v45, 0
	v_mov_b32_e32 v47, 0
	v_mov_b32_e32 v60, 0
	v_mov_b32_e32 v95, 0
	v_mov_b32_e32 v96, 0
	v_mov_b32_e32 v72, 0
	v_mov_b32_e32 v97, 0
	v_mov_b32_e32 v76, 0
	v_mov_b32_e32 v98, 0
	v_mov_b32_e32 v70, 0
	v_mov_b32_e32 v99, 0
	v_mov_b32_e32 v74, 0
	v_mov_b32_e32 v100, 0
	v_mov_b32_e32 v66, 0
	v_mov_b32_e32 v101, 0
	v_mov_b32_e32 v68, 0
	v_mov_b32_e32 v102, 0
	v_cmp_gt_u32_e64 s4, s28, v21
	v_mov_b32_e32 v64, 0
	v_mov_b32_e32 v103, 0
	;; [unrolled: 1-line block ×26, first 2 shown]
	s_mov_b32 s5, 0
                                        ; implicit-def: $sgpr16
	s_and_saveexec_b32 s29, s4
	s_cbranch_execz .LBB424_84
; %bb.63:
	v_cmp_ne_u64_e64 s4, v[23:24], v[17:18]
	v_add_nc_u32_e32 v21, 3, v107
	v_mov_b32_e32 v59, 0
	v_mov_b32_e32 v71, 0
	;; [unrolled: 1-line block ×19, first 2 shown]
	v_cndmask_b32_e64 v58, v28, s45, s4
	v_mov_b32_e32 v60, 0
	v_mov_b32_e32 v95, 0
	v_cmp_gt_u32_e64 s5, s28, v21
	v_cndmask_b32_e64 v57, v27, s44, s4
	v_mov_b32_e32 v96, 0
	v_mov_b32_e32 v72, 0
	v_mov_b32_e32 v97, 0
	v_mov_b32_e32 v76, 0
	v_mov_b32_e32 v98, 0
	v_mov_b32_e32 v70, 0
	v_mov_b32_e32 v99, 0
	v_mov_b32_e32 v74, 0
	v_mov_b32_e32 v100, 0
	v_mov_b32_e32 v66, 0
	v_mov_b32_e32 v101, 0
	v_mov_b32_e32 v68, 0
	v_mov_b32_e32 v102, 0
	v_mov_b32_e32 v64, 0
	v_mov_b32_e32 v103, 0
	v_mov_b32_e32 v62, 0
	v_mov_b32_e32 v40, 0
	v_mov_b32_e32 v82, 0
	v_mov_b32_e32 v26, 0
	v_mov_b32_e32 v81, 0
	v_mov_b32_e32 v30, 0
	v_mov_b32_e32 v83, 0
	v_mov_b32_e32 v32, 0
	v_mov_b32_e32 v84, 0
	v_mov_b32_e32 v34, 0
	v_mov_b32_e32 v85, 0
	v_mov_b32_e32 v36, 0
	v_mov_b32_e32 v86, 0
	v_mov_b32_e32 v38, 0
	v_mov_b32_e32 v88, 0
	v_mov_b32_e32 v42, 0
	v_mov_b32_e32 v89, 0
	v_mov_b32_e32 v44, 0
	v_mov_b32_e32 v46, 0
	v_mov_b32_e32 v90, 0
	s_mov_b32 s6, 0
                                        ; implicit-def: $sgpr16
	s_and_saveexec_b32 s33, s5
	s_cbranch_execz .LBB424_83
; %bb.64:
	ds_read2_b64 v[21:24], v104 offset0:3 offset1:4
	v_cmp_ne_u64_e64 s5, v[17:18], v[19:20]
	v_add_nc_u32_e32 v17, 4, v107
	v_mov_b32_e32 v59, 0
	v_mov_b32_e32 v71, 0
	;; [unrolled: 1-line block ×32, first 2 shown]
	v_cmp_gt_u32_e64 s6, s28, v17
	s_waitcnt lgkmcnt(0)
	v_cndmask_b32_e64 v62, v22, s45, s5
	v_cndmask_b32_e64 v61, v21, s44, s5
	v_mov_b32_e32 v64, 0
	v_mov_b32_e32 v40, 0
	;; [unrolled: 1-line block ×18, first 2 shown]
	s_mov_b32 s7, 0
                                        ; implicit-def: $sgpr16
	s_and_saveexec_b32 s36, s6
	s_cbranch_execz .LBB424_82
; %bb.65:
	v_cmp_ne_u64_e64 s6, v[19:20], v[13:14]
	v_add_nc_u32_e32 v17, 5, v107
	v_mov_b32_e32 v59, 0
	v_mov_b32_e32 v71, 0
	;; [unrolled: 1-line block ×15, first 2 shown]
	v_cndmask_b32_e64 v64, v24, s45, s6
	v_mov_b32_e32 v60, 0
	v_mov_b32_e32 v95, 0
	v_cmp_gt_u32_e64 s7, s28, v17
	v_cndmask_b32_e64 v63, v23, s44, s6
	v_mov_b32_e32 v96, 0
	v_mov_b32_e32 v72, 0
	;; [unrolled: 1-line block ×27, first 2 shown]
	s_mov_b32 s8, 0
                                        ; implicit-def: $sgpr16
	s_and_saveexec_b32 s37, s7
	s_cbranch_execz .LBB424_81
; %bb.66:
	ds_read2_b64 v[17:20], v104 offset0:5 offset1:6
	v_cmp_ne_u64_e64 s7, v[13:14], v[15:16]
	v_mov_b32_e32 v59, 0
	v_mov_b32_e32 v71, 0
	;; [unrolled: 1-line block ×13, first 2 shown]
	v_add_nc_u32_e32 v13, 6, v107
	v_mov_b32_e32 v60, 0
	v_mov_b32_e32 v95, 0
	;; [unrolled: 1-line block ×15, first 2 shown]
	s_waitcnt lgkmcnt(0)
	v_cndmask_b32_e64 v68, v18, s45, s7
	v_cndmask_b32_e64 v67, v17, s44, s7
	v_mov_b32_e32 v81, 0
	v_mov_b32_e32 v30, 0
	;; [unrolled: 1-line block ×10, first 2 shown]
	s_mov_b32 s9, 0
	s_mov_b32 s38, exec_lo
                                        ; implicit-def: $sgpr16
	v_cmpx_gt_u32_e64 s28, v13
	s_cbranch_execz .LBB424_80
; %bb.67:
	v_cmp_ne_u64_e64 s8, v[15:16], v[9:10]
	v_add_nc_u32_e32 v13, 7, v107
	v_mov_b32_e32 v59, 0
	v_mov_b32_e32 v71, 0
	v_mov_b32_e32 v75, 0
	v_mov_b32_e32 v69, 0
	v_mov_b32_e32 v73, 0
	v_mov_b32_e32 v39, 0
	v_mov_b32_e32 v25, 0
	v_mov_b32_e32 v29, 0
	v_mov_b32_e32 v31, 0
	v_mov_b32_e32 v33, 0
	v_mov_b32_e32 v35, 0
	v_cndmask_b32_e64 v66, v20, s45, s8
	v_mov_b32_e32 v60, 0
	v_mov_b32_e32 v95, 0
	v_cmp_gt_u32_e64 s9, s28, v13
	v_cndmask_b32_e64 v65, v19, s44, s8
	v_mov_b32_e32 v96, 0
	v_mov_b32_e32 v72, 0
	;; [unrolled: 1-line block ×19, first 2 shown]
	s_mov_b32 s10, 0
                                        ; implicit-def: $sgpr16
	s_and_saveexec_b32 s39, s9
	s_cbranch_execz .LBB424_79
; %bb.68:
	ds_read2_b64 v[13:16], v104 offset0:7 offset1:8
	v_cmp_ne_u64_e64 s9, v[9:10], v[11:12]
	v_mov_b32_e32 v59, 0
	v_mov_b32_e32 v71, 0
	;; [unrolled: 1-line block ×9, first 2 shown]
	v_add_nc_u32_e32 v9, 8, v107
	v_mov_b32_e32 v60, 0
	v_mov_b32_e32 v95, 0
	;; [unrolled: 1-line block ×15, first 2 shown]
	s_waitcnt lgkmcnt(0)
	v_cndmask_b32_e64 v74, v14, s45, s9
	v_cndmask_b32_e64 v73, v13, s44, s9
	v_mov_b32_e32 v34, 0
	v_mov_b32_e32 v84, 0
	s_mov_b32 s11, 0
	s_mov_b32 s40, exec_lo
                                        ; implicit-def: $sgpr16
	v_cmpx_gt_u32_e64 s28, v9
	s_cbranch_execz .LBB424_78
; %bb.69:
	v_cmp_ne_u64_e64 s10, v[11:12], v[5:6]
	v_mov_b32_e32 v59, 0
	v_mov_b32_e32 v71, 0
	;; [unrolled: 1-line block ×7, first 2 shown]
	v_add_nc_u32_e32 v9, 9, v107
	v_cndmask_b32_e64 v70, v16, s45, s10
	v_mov_b32_e32 v60, 0
	v_mov_b32_e32 v95, 0
	v_cndmask_b32_e64 v69, v15, s44, s10
	v_mov_b32_e32 v96, 0
	v_mov_b32_e32 v72, 0
	;; [unrolled: 1-line block ×11, first 2 shown]
	s_mov_b32 s12, 0
	s_mov_b32 s41, exec_lo
                                        ; implicit-def: $sgpr16
	v_cmpx_gt_u32_e64 s28, v9
	s_cbranch_execz .LBB424_77
; %bb.70:
	ds_read2_b64 v[9:12], v104 offset0:9 offset1:10
	v_cmp_ne_u64_e64 s11, v[5:6], v[7:8]
	v_mov_b32_e32 v59, 0
	v_mov_b32_e32 v71, 0
	;; [unrolled: 1-line block ×4, first 2 shown]
	v_add_nc_u32_e32 v5, 10, v107
	v_mov_b32_e32 v60, 0
	v_mov_b32_e32 v95, 0
	;; [unrolled: 1-line block ×7, first 2 shown]
	s_mov_b32 s13, 0
	s_mov_b32 s48, exec_lo
                                        ; implicit-def: $sgpr16
	s_waitcnt lgkmcnt(0)
	v_cndmask_b32_e64 v76, v10, s45, s11
	v_cndmask_b32_e64 v75, v9, s44, s11
	v_cmpx_gt_u32_e64 s28, v5
	s_cbranch_execz .LBB424_76
; %bb.71:
	v_cmp_ne_u64_e64 s12, v[7:8], v[1:2]
	v_mov_b32_e32 v59, 0
	v_mov_b32_e32 v39, 0
	v_add_nc_u32_e32 v5, 11, v107
	v_mov_b32_e32 v60, 0
	v_mov_b32_e32 v40, 0
	v_cndmask_b32_e64 v72, v12, s45, s12
	v_cndmask_b32_e64 v71, v11, s44, s12
	v_mov_b32_e32 v95, 0
	s_mov_b32 s14, 0
	s_mov_b32 s49, exec_lo
                                        ; implicit-def: $sgpr16
	v_cmpx_gt_u32_e64 s28, v5
	s_cbranch_execz .LBB424_75
; %bb.72:
	ds_read2_b64 v[5:8], v104 offset0:11 offset1:12
	v_cmp_ne_u64_e64 s13, v[1:2], v[3:4]
	v_add_nc_u32_e32 v1, 12, v107
	v_mov_b32_e32 v39, 0
	v_mov_b32_e32 v40, 0
                                        ; implicit-def: $sgpr16
	v_cmp_gt_u32_e64 s14, s28, v1
	s_mov_b32 s28, 0
	s_waitcnt lgkmcnt(0)
	v_cndmask_b32_e64 v60, v6, s45, s13
	v_cndmask_b32_e64 v59, v5, s44, s13
	s_and_saveexec_b32 s50, s14
	s_xor_b32 s14, exec_lo, s50
; %bb.73:
	v_cmp_ne_u64_e64 s16, v[3:4], v[77:78]
	s_mov_b32 s28, exec_lo
	v_cndmask_b32_e64 v40, v8, s45, s16
	v_cndmask_b32_e64 v39, v7, s44, s16
; %bb.74:
	s_or_b32 exec_lo, exec_lo, s14
	v_cndmask_b32_e64 v95, 0, 1, s13
	s_and_b32 s14, s28, exec_lo
.LBB424_75:
	s_or_b32 exec_lo, exec_lo, s49
	v_cndmask_b32_e64 v96, 0, 1, s12
	v_mov_b32_e32 v29, v71
	v_mov_b32_e32 v30, v72
	s_and_b32 s13, s14, exec_lo
	v_mov_b32_e32 v81, v96
.LBB424_76:
	s_or_b32 exec_lo, exec_lo, s48
	v_cndmask_b32_e64 v97, 0, 1, s11
	v_mov_b32_e32 v25, v59
	v_mov_b32_e32 v31, v75
	;; [unrolled: 1-line block ×6, first 2 shown]
	s_and_b32 s12, s13, exec_lo
.LBB424_77:
	s_or_b32 exec_lo, exec_lo, s41
	v_cndmask_b32_e64 v98, 0, 1, s10
	v_mov_b32_e32 v33, v69
	v_mov_b32_e32 v34, v70
	s_and_b32 s11, s12, exec_lo
	v_mov_b32_e32 v84, v98
.LBB424_78:
	s_or_b32 exec_lo, exec_lo, s40
	v_cndmask_b32_e64 v99, 0, 1, s9
	v_mov_b32_e32 v35, v73
	v_mov_b32_e32 v36, v74
	s_and_b32 s10, s11, exec_lo
	v_mov_b32_e32 v85, v99
.LBB424_79:
	s_or_b32 exec_lo, exec_lo, s39
	v_cndmask_b32_e64 v100, 0, 1, s8
	v_mov_b32_e32 v37, v65
	v_mov_b32_e32 v38, v66
	s_and_b32 s9, s10, exec_lo
	v_mov_b32_e32 v86, v100
.LBB424_80:
	s_or_b32 exec_lo, exec_lo, s38
	v_cndmask_b32_e64 v101, 0, 1, s7
	v_mov_b32_e32 v41, v67
	v_mov_b32_e32 v42, v68
	s_and_b32 s8, s9, exec_lo
	v_mov_b32_e32 v88, v101
.LBB424_81:
	s_or_b32 exec_lo, exec_lo, s37
	v_cndmask_b32_e64 v102, 0, 1, s6
	v_mov_b32_e32 v43, v63
	v_mov_b32_e32 v44, v64
	s_and_b32 s7, s8, exec_lo
	v_mov_b32_e32 v89, v102
.LBB424_82:
	s_or_b32 exec_lo, exec_lo, s36
	v_cndmask_b32_e64 v103, 0, 1, s5
	v_mov_b32_e32 v45, v61
	v_mov_b32_e32 v46, v62
	s_and_b32 s6, s7, exec_lo
	v_mov_b32_e32 v90, v103
.LBB424_83:
	s_or_b32 exec_lo, exec_lo, s33
	v_cndmask_b32_e64 v105, 0, 1, s4
	v_mov_b32_e32 v47, v57
	v_mov_b32_e32 v48, v58
	s_and_b32 s5, s6, exec_lo
	v_mov_b32_e32 v93, v105
.LBB424_84:
	s_or_b32 exec_lo, exec_lo, s29
	v_cndmask_b32_e64 v106, 0, 1, s3
	v_mov_b32_e32 v27, v55
	v_mov_b32_e32 v28, v56
	s_and_b32 s4, s5, exec_lo
	v_mov_b32_e32 v94, v106
.LBB424_85:
	s_or_b32 exec_lo, exec_lo, s18
	v_cndmask_b32_e64 v108, 0, 1, vcc_lo
	s_and_b32 s3, s4, exec_lo
	v_mov_b32_e32 v87, v108
.LBB424_86:
	s_or_b32 exec_lo, exec_lo, s17
	v_lshlrev_b32_e32 v77, 3, v0
	s_and_b32 vcc_lo, exec_lo, s15
	s_cbranch_vccz .LBB424_92
.LBB424_87:
	v_add_co_u32 v1, vcc_lo, v53, v77
	v_add_co_ci_u32_e64 v2, null, 0, v54, vcc_lo
	v_mad_u32_u24 v55, 0x60, v0, v77
	v_add_co_u32 v3, vcc_lo, 0x800, v1
	v_add_co_ci_u32_e64 v4, null, 0, v2, vcc_lo
	v_add_co_u32 v5, vcc_lo, 0x1000, v1
	v_add_co_ci_u32_e64 v6, null, 0, v2, vcc_lo
	;; [unrolled: 2-line block ×10, first 2 shown]
	v_add_co_u32 v25, vcc_lo, 0x5800, v1
	s_clause 0x7
	flat_load_dwordx2 v[17:18], v[1:2]
	flat_load_dwordx2 v[3:4], v[3:4]
	;; [unrolled: 1-line block ×8, first 2 shown]
	v_add_co_ci_u32_e64 v26, null, 0, v2, vcc_lo
	v_add_co_u32 v1, vcc_lo, 0x6000, v1
	v_add_co_ci_u32_e64 v2, null, 0, v2, vcc_lo
	s_clause 0x4
	flat_load_dwordx2 v[19:20], v[19:20]
	flat_load_dwordx2 v[21:22], v[21:22]
	;; [unrolled: 1-line block ×5, first 2 shown]
	v_add_co_u32 v27, vcc_lo, 0x6800, v53
	v_add_co_ci_u32_e64 v28, null, 0, v54, vcc_lo
	s_mov_b32 s3, exec_lo
	s_waitcnt vmcnt(11) lgkmcnt(11)
	ds_write2st64_b64 v77, v[17:18], v[3:4] offset1:4
	s_waitcnt vmcnt(9) lgkmcnt(10)
	ds_write2st64_b64 v77, v[5:6], v[7:8] offset0:8 offset1:12
	s_waitcnt vmcnt(7) lgkmcnt(9)
	ds_write2st64_b64 v77, v[9:10], v[11:12] offset0:16 offset1:20
	;; [unrolled: 2-line block ×5, first 2 shown]
	s_waitcnt vmcnt(0) lgkmcnt(6)
	ds_write_b64 v77, v[1:2] offset:24576
	s_waitcnt lgkmcnt(0)
	s_barrier
	buffer_gl0_inv
	flat_load_dwordx2 v[53:54], v[27:28]
	ds_read_b64 v[51:52], v55
	ds_read2_b64 v[21:24], v55 offset0:1 offset1:2
	ds_read2_b64 v[17:20], v55 offset0:3 offset1:4
	;; [unrolled: 1-line block ×6, first 2 shown]
	v_mad_i32_i24 v25, 0xffffffa0, v0, v55
	s_waitcnt lgkmcnt(6)
	ds_write_b64 v25, v[51:52] offset:28672
	s_waitcnt vmcnt(0) lgkmcnt(0)
	s_barrier
	buffer_gl0_inv
	v_cmpx_ne_u32_e32 0xff, v0
; %bb.88:
	v_mul_i32_i24_e32 v25, 0xffffffa0, v0
	v_add_nc_u32_e32 v25, v55, v25
	ds_read_b64 v[53:54], v25 offset:28680
; %bb.89:
	s_or_b32 exec_lo, exec_lo, s3
	v_add_co_u32 v25, vcc_lo, v91, v77
	v_add_co_ci_u32_e64 v26, null, 0, v92, vcc_lo
	s_waitcnt lgkmcnt(0)
	v_add_co_u32 v27, vcc_lo, 0x800, v25
	v_add_co_ci_u32_e64 v28, null, 0, v26, vcc_lo
	v_add_co_u32 v29, vcc_lo, 0x1000, v25
	v_add_co_ci_u32_e64 v30, null, 0, v26, vcc_lo
	;; [unrolled: 2-line block ×10, first 2 shown]
	v_add_co_u32 v56, vcc_lo, 0x5800, v25
	s_barrier
	buffer_gl0_inv
	s_clause 0x7
	flat_load_dwordx2 v[41:42], v[25:26]
	flat_load_dwordx2 v[27:28], v[27:28]
	;; [unrolled: 1-line block ×8, first 2 shown]
	v_add_co_ci_u32_e64 v57, null, 0, v26, vcc_lo
	v_add_co_u32 v25, vcc_lo, 0x6000, v25
	v_add_co_ci_u32_e64 v26, null, 0, v26, vcc_lo
	s_clause 0x4
	flat_load_dwordx2 v[43:44], v[43:44]
	flat_load_dwordx2 v[45:46], v[45:46]
	;; [unrolled: 1-line block ×5, first 2 shown]
	v_cmp_ne_u64_e32 vcc_lo, v[51:52], v[21:22]
	v_cmp_eq_u64_e64 s3, v[51:52], v[21:22]
	v_mov_b32_e32 v52, s45
	v_mov_b32_e32 v51, s44
	s_waitcnt vmcnt(11) lgkmcnt(11)
	ds_write2st64_b64 v77, v[41:42], v[27:28] offset1:4
	s_waitcnt vmcnt(9) lgkmcnt(10)
	ds_write2st64_b64 v77, v[29:30], v[31:32] offset0:8 offset1:12
	s_waitcnt vmcnt(7) lgkmcnt(9)
	ds_write2st64_b64 v77, v[33:34], v[35:36] offset0:16 offset1:20
	;; [unrolled: 2-line block ×5, first 2 shown]
	s_waitcnt vmcnt(0) lgkmcnt(6)
	ds_write_b64 v77, v[25:26] offset:24576
	s_waitcnt lgkmcnt(0)
	s_barrier
	buffer_gl0_inv
	ds_read2_b64 v[45:48], v55 offset0:1 offset1:2
	ds_read2_b64 v[41:44], v55 offset0:3 offset1:4
	ds_read2_b64 v[37:40], v55 offset0:5 offset1:6
	ds_read2_b64 v[33:36], v55 offset0:7 offset1:8
	ds_read2_b64 v[29:32], v55 offset0:9 offset1:10
	ds_read2_b64 v[25:28], v55 offset0:11 offset1:12
	s_and_saveexec_b32 s4, s3
; %bb.90:
	ds_read_b64 v[51:52], v55
; %bb.91:
	s_or_b32 exec_lo, exec_lo, s4
	v_cndmask_b32_e64 v108, 0, 1, vcc_lo
	v_cmp_ne_u64_e32 vcc_lo, v[21:22], v[23:24]
	v_cmp_ne_u64_e64 s3, v[23:24], v[17:18]
	v_cmp_ne_u64_e64 s4, v[17:18], v[19:20]
	;; [unrolled: 1-line block ×11, first 2 shown]
	s_waitcnt lgkmcnt(5)
	v_cndmask_b32_e64 v55, v45, s44, vcc_lo
	v_cndmask_b32_e64 v57, v47, s44, s3
	s_waitcnt lgkmcnt(4)
	v_cndmask_b32_e64 v61, v41, s44, s4
	v_cndmask_b32_e64 v63, v43, s44, s5
	s_waitcnt lgkmcnt(3)
	v_cndmask_b32_e64 v67, v37, s44, s6
	;; [unrolled: 3-line block ×4, first 2 shown]
	s_waitcnt lgkmcnt(0)
	v_cndmask_b32_e64 v59, v25, s44, s12
	v_cndmask_b32_e64 v71, v31, s44, s11
	v_cndmask_b32_e64 v106, 0, 1, vcc_lo
	v_cndmask_b32_e64 v105, 0, 1, s3
	v_cndmask_b32_e64 v103, 0, 1, s4
	;; [unrolled: 1-line block ×10, first 2 shown]
	v_cndmask_b32_e64 v56, v46, s45, vcc_lo
	v_cndmask_b32_e64 v58, v48, s45, s3
	v_cndmask_b32_e64 v62, v42, s45, s4
	;; [unrolled: 1-line block ×12, first 2 shown]
	v_mov_b32_e32 v25, v59
	v_mov_b32_e32 v29, v71
	;; [unrolled: 1-line block ×34, first 2 shown]
	s_mov_b32 s3, -1
.LBB424_92:
	v_mov_b32_e32 v14, 0
	s_and_saveexec_b32 s4, s3
	s_cbranch_execz .LBB424_94
; %bb.93:
	v_mov_b32_e32 v27, v55
	v_mov_b32_e32 v47, v57
	v_mov_b32_e32 v45, v61
	v_mov_b32_e32 v43, v63
	v_mov_b32_e32 v41, v67
	v_mov_b32_e32 v37, v65
	v_mov_b32_e32 v35, v73
	v_mov_b32_e32 v33, v69
	v_mov_b32_e32 v31, v75
	v_mov_b32_e32 v29, v71
	v_mov_b32_e32 v25, v59
	v_cndmask_b32_e64 v14, 0, 1, s16
	v_mov_b32_e32 v87, v108
	v_mov_b32_e32 v28, v56
	;; [unrolled: 1-line block ×23, first 2 shown]
.LBB424_94:
	s_or_b32 exec_lo, exec_lo, s4
	v_and_b32_e32 v23, 1, v90
	v_and_b32_e32 v20, 1, v86
	;; [unrolled: 1-line block ×4, first 2 shown]
	v_or_b32_e32 v15, v93, v94
	v_or_b32_e32 v16, v88, v89
	v_or_b32_e32 v17, v84, v85
	v_or_b32_e32 v18, v82, v81
	v_cmp_eq_u32_e64 s16, 1, v23
	v_cmp_eq_u32_e64 s14, 1, v20
	;; [unrolled: 1-line block ×3, first 2 shown]
	v_cmp_eq_u16_e64 s15, 0, v14
	v_and_b32_e32 v19, 1, v14
	v_mbcnt_lo_u32_b32 v13, -1, 0
	s_cmp_lg_u32 s27, 0
	v_cmp_eq_u32_e32 vcc_lo, 1, v21
	s_barrier
	buffer_gl0_inv
	s_cbranch_scc0 .LBB424_152
; %bb.95:
	v_mov_b32_e32 v3, 0
	v_cmp_eq_u32_e64 s18, 1, v19
	v_cmp_eq_u16_sdwa s13, v94, v3 src0_sel:BYTE_0 src1_sel:DWORD
	v_cmp_eq_u16_sdwa s12, v93, v3 src0_sel:BYTE_0 src1_sel:DWORD
	;; [unrolled: 1-line block ×5, first 2 shown]
	v_cndmask_b32_e64 v1, 1, v51, s13
	v_cndmask_b32_e64 v4, 0, v52, s13
	v_cmp_eq_u16_sdwa s8, v86, v3 src0_sel:BYTE_0 src1_sel:DWORD
	v_cmp_eq_u16_sdwa s7, v85, v3 src0_sel:BYTE_0 src1_sel:DWORD
	;; [unrolled: 1-line block ×3, first 2 shown]
	v_mul_lo_u32 v5, v1, v28
	v_mad_u64_u32 v[1:2], null, v1, v27, 0
	v_mul_lo_u32 v4, v4, v27
	v_cmp_eq_u16_sdwa s5, v83, v3 src0_sel:BYTE_0 src1_sel:DWORD
	v_cmp_eq_u16_sdwa s4, v81, v3 src0_sel:BYTE_0 src1_sel:DWORD
	;; [unrolled: 1-line block ×3, first 2 shown]
	v_cmp_ne_u16_sdwa s29, v17, v3 src0_sel:BYTE_0 src1_sel:DWORD
	v_cmp_ne_u16_sdwa s33, v18, v3 src0_sel:BYTE_0 src1_sel:DWORD
	v_cndmask_b32_e64 v1, 1, v1, s12
	v_cmp_ne_u16_sdwa s36, v16, v3 src0_sel:BYTE_0 src1_sel:DWORD
	v_add3_u32 v2, v2, v5, v4
	v_cmp_ne_u16_sdwa s28, v15, v3 src0_sel:BYTE_0 src1_sel:DWORD
	s_or_b32 s17, s29, s17
	v_mul_lo_u32 v5, v1, v48
	s_or_b32 s18, s33, s18
	v_cndmask_b32_e64 v2, 0, v2, s12
	s_or_b32 s14, s36, s14
	s_or_b32 s17, s18, s17
	;; [unrolled: 1-line block ×4, first 2 shown]
	v_mul_lo_u32 v4, v2, v47
	v_mad_u64_u32 v[1:2], null, v1, v47, 0
	s_or_b32 s14, s14, s16
	v_add3_u32 v2, v2, v5, v4
	v_cndmask_b32_e64 v1, 1, v1, s11
	v_cndmask_b32_e64 v2, 0, v2, s11
	v_mul_lo_u32 v5, v1, v46
	v_mul_lo_u32 v4, v2, v45
	v_mad_u64_u32 v[1:2], null, v1, v45, 0
	v_add3_u32 v2, v2, v5, v4
	v_cndmask_b32_e64 v1, 1, v1, s10
	v_cndmask_b32_e64 v2, 0, v2, s10
	v_mul_lo_u32 v5, v1, v44
	v_mul_lo_u32 v4, v2, v43
	v_mad_u64_u32 v[1:2], null, v1, v43, 0
	;; [unrolled: 6-line block ×9, first 2 shown]
	v_add3_u32 v2, v2, v5, v4
	v_cndmask_b32_e64 v1, 1, v1, s15
	v_and_b32_e32 v5, 15, v13
	v_cndmask_b32_e64 v2, 0, v2, s15
	v_mul_lo_u32 v8, v1, v40
	v_mad_u64_u32 v[3:4], null, v1, v39, 0
	s_or_b32 s15, s14, vcc_lo
	v_mul_lo_u32 v1, v2, v39
	v_cndmask_b32_e64 v6, 0, 1, s15
	v_cndmask_b32_e64 v7, 0, 1, s15
	s_mov_b32 s14, exec_lo
	v_mov_b32_dpp v9, v3 row_shr:1 row_mask:0xf bank_mask:0xf
	v_add3_u32 v4, v4, v8, v1
	v_mov_b32_e32 v1, v3
	v_mov_b32_dpp v8, v6 row_shr:1 row_mask:0xf bank_mask:0xf
	v_mov_b32_dpp v10, v4 row_shr:1 row_mask:0xf bank_mask:0xf
	v_mov_b32_e32 v2, v4
	v_cmpx_ne_u32_e32 0, v5
	s_cbranch_execz .LBB424_97
; %bb.96:
	v_cndmask_b32_e64 v1, v10, 0, s15
	v_cndmask_b32_e64 v2, v9, 1, s15
	v_mul_lo_u32 v1, v1, v3
	v_mul_lo_u32 v6, v2, v4
	v_mad_u64_u32 v[3:4], null, v2, v3, 0
	v_and_b32_e32 v2, 1, v8
	v_or_b32_e32 v7, v2, v7
	v_add3_u32 v4, v4, v6, v1
	v_mov_b32_e32 v1, v3
	v_and_b32_e32 v6, 0xffff, v7
	v_mov_b32_e32 v2, v4
.LBB424_97:
	s_or_b32 exec_lo, exec_lo, s14
	v_mov_b32_dpp v9, v3 row_shr:2 row_mask:0xf bank_mask:0xf
	v_mov_b32_dpp v10, v4 row_shr:2 row_mask:0xf bank_mask:0xf
	v_mov_b32_dpp v8, v6 row_shr:2 row_mask:0xf bank_mask:0xf
	s_mov_b32 s15, exec_lo
	v_cmpx_lt_u32_e32 1, v5
	s_cbranch_execz .LBB424_99
; %bb.98:
	v_cmp_eq_u16_e32 vcc_lo, 0, v7
	v_and_b32_e32 v7, 1, v7
	v_cndmask_b32_e32 v3, 1, v9, vcc_lo
	v_cndmask_b32_e32 v6, 0, v10, vcc_lo
	v_cmp_eq_u32_e32 vcc_lo, 1, v7
	v_mul_lo_u32 v2, v3, v2
	v_mad_u64_u32 v[3:4], null, v3, v1, 0
	v_mul_lo_u32 v1, v6, v1
	v_and_b32_e32 v6, 1, v8
	v_cmp_eq_u32_e64 s14, 1, v6
	v_add3_u32 v4, v4, v2, v1
	v_mov_b32_e32 v1, v3
	s_or_b32 s14, vcc_lo, s14
	v_cndmask_b32_e64 v7, 0, 1, s14
	v_cndmask_b32_e64 v6, 0, 1, s14
	v_mov_b32_e32 v2, v4
.LBB424_99:
	s_or_b32 exec_lo, exec_lo, s15
	v_mov_b32_dpp v9, v3 row_shr:4 row_mask:0xf bank_mask:0xf
	v_mov_b32_dpp v10, v4 row_shr:4 row_mask:0xf bank_mask:0xf
	v_mov_b32_dpp v8, v6 row_shr:4 row_mask:0xf bank_mask:0xf
	s_mov_b32 s15, exec_lo
	v_cmpx_lt_u32_e32 3, v5
	s_cbranch_execz .LBB424_101
; %bb.100:
	v_cmp_eq_u16_e32 vcc_lo, 0, v7
	v_and_b32_e32 v7, 1, v7
	v_cndmask_b32_e32 v3, 1, v9, vcc_lo
	v_cndmask_b32_e32 v6, 0, v10, vcc_lo
	v_cmp_eq_u32_e32 vcc_lo, 1, v7
	v_mul_lo_u32 v2, v3, v2
	v_mad_u64_u32 v[3:4], null, v3, v1, 0
	v_mul_lo_u32 v1, v6, v1
	v_and_b32_e32 v6, 1, v8
	v_cmp_eq_u32_e64 s14, 1, v6
	v_add3_u32 v4, v4, v2, v1
	v_mov_b32_e32 v1, v3
	s_or_b32 s14, vcc_lo, s14
	v_cndmask_b32_e64 v7, 0, 1, s14
	v_cndmask_b32_e64 v6, 0, 1, s14
	v_mov_b32_e32 v2, v4
.LBB424_101:
	;; [unrolled: 25-line block ×3, first 2 shown]
	s_or_b32 exec_lo, exec_lo, s15
	ds_swizzle_b32 v8, v3 offset:swizzle(BROADCAST,32,15)
	ds_swizzle_b32 v9, v4 offset:swizzle(BROADCAST,32,15)
	;; [unrolled: 1-line block ×3, first 2 shown]
	v_and_b32_e32 v6, 16, v13
	s_mov_b32 s15, exec_lo
	v_cmpx_ne_u32_e32 0, v6
	s_cbranch_execz .LBB424_105
; %bb.104:
	v_cmp_eq_u16_e32 vcc_lo, 0, v7
	s_waitcnt lgkmcnt(0)
	v_and_b32_e32 v5, 1, v5
	v_cndmask_b32_e32 v3, 1, v8, vcc_lo
	v_cndmask_b32_e32 v6, 0, v9, vcc_lo
	v_cmp_eq_u32_e64 s14, 1, v5
	v_mul_lo_u32 v2, v3, v2
	v_mad_u64_u32 v[3:4], null, v3, v1, 0
	v_mul_lo_u32 v1, v6, v1
	v_and_b32_e32 v6, 1, v7
	v_cmp_eq_u32_e32 vcc_lo, 1, v6
	v_add3_u32 v4, v4, v2, v1
	v_mov_b32_e32 v1, v3
	s_or_b32 s14, vcc_lo, s14
	v_cndmask_b32_e64 v7, 0, 1, s14
	v_mov_b32_e32 v2, v4
.LBB424_105:
	s_or_b32 exec_lo, exec_lo, s15
	v_lshrrev_b32_e32 v6, 5, v0
	s_waitcnt lgkmcnt(0)
	v_or_b32_e32 v5, 31, v0
	s_mov_b32 s14, exec_lo
	v_lshlrev_b32_e32 v8, 4, v6
	v_cmpx_eq_u32_e64 v0, v5
	s_cbranch_execz .LBB424_107
; %bb.106:
	ds_write_b64 v8, v[1:2]
	ds_write_b8 v8, v7 offset:8
.LBB424_107:
	s_or_b32 exec_lo, exec_lo, s14
	s_mov_b32 s15, exec_lo
	s_waitcnt lgkmcnt(0)
	s_barrier
	buffer_gl0_inv
	v_cmpx_gt_u32_e32 8, v0
	s_cbranch_execz .LBB424_115
; %bb.108:
	v_lshlrev_b32_e32 v9, 4, v0
	v_and_b32_e32 v10, 7, v13
	s_mov_b32 s14, exec_lo
	ds_read_b64 v[1:2], v9
	ds_read_b32 v24, v9 offset:8
	s_waitcnt lgkmcnt(1)
	v_mov_b32_dpp v55, v1 row_shr:1 row_mask:0xf bank_mask:0xf
	v_mov_b32_dpp v56, v2 row_shr:1 row_mask:0xf bank_mask:0xf
	s_waitcnt lgkmcnt(0)
	v_and_b32_e32 v12, 0xffffff00, v24
	v_mov_b32_dpp v54, v24 row_shr:1 row_mask:0xf bank_mask:0xf
	v_mov_b32_e32 v53, v24
	v_mov_b32_e32 v11, v24
	;; [unrolled: 1-line block ×4, first 2 shown]
	v_cmpx_ne_u32_e32 0, v10
	s_cbranch_execz .LBB424_110
; %bb.109:
	v_mov_b32_e32 v5, 0
	v_cmp_eq_u16_sdwa vcc_lo, v24, v5 src0_sel:BYTE_0 src1_sel:DWORD
	v_or_b32_e32 v24, v54, v24
	v_cndmask_b32_e32 v5, 1, v55, vcc_lo
	v_cndmask_b32_e32 v11, 0, v56, vcc_lo
	v_and_b32_e32 v53, 1, v24
	v_mul_lo_u32 v2, v5, v2
	v_mad_u64_u32 v[5:6], null, v5, v1, 0
	v_mul_lo_u32 v1, v11, v1
	v_and_b32_e32 v11, 1, v24
	v_or_b32_e32 v24, v11, v12
	v_add3_u32 v6, v6, v2, v1
	v_mov_b32_e32 v1, v5
	v_mov_b32_e32 v2, v6
.LBB424_110:
	s_or_b32 exec_lo, exec_lo, s14
	v_mov_b32_dpp v56, v5 row_shr:2 row_mask:0xf bank_mask:0xf
	v_mov_b32_dpp v54, v6 row_shr:2 row_mask:0xf bank_mask:0xf
	;; [unrolled: 1-line block ×3, first 2 shown]
	s_mov_b32 s16, exec_lo
	v_cmpx_lt_u32_e32 1, v10
	s_cbranch_execz .LBB424_112
; %bb.111:
	v_mov_b32_e32 v5, 0
	v_and_b32_e32 v24, 1, v55
	v_cmp_eq_u16_sdwa vcc_lo, v11, v5 src0_sel:BYTE_0 src1_sel:DWORD
	v_and_b32_e32 v11, 1, v11
	v_cmp_eq_u32_e64 s14, 1, v24
	v_cndmask_b32_e32 v5, 1, v56, vcc_lo
	v_cndmask_b32_e32 v53, 0, v54, vcc_lo
	v_cmp_eq_u32_e32 vcc_lo, 1, v11
	v_mul_lo_u32 v2, v5, v2
	v_mad_u64_u32 v[5:6], null, v5, v1, 0
	v_mul_lo_u32 v1, v53, v1
	s_or_b32 s14, vcc_lo, s14
	v_cndmask_b32_e64 v53, 0, 1, s14
	v_cndmask_b32_e64 v11, 0, 1, s14
	v_add3_u32 v6, v6, v2, v1
	v_mov_b32_e32 v1, v5
	v_or_b32_e32 v24, v12, v11
	v_mov_b32_e32 v11, v53
	v_mov_b32_e32 v2, v6
.LBB424_112:
	s_or_b32 exec_lo, exec_lo, s16
	v_mov_b32_dpp v12, v5 row_shr:4 row_mask:0xf bank_mask:0xf
	v_mov_b32_dpp v6, v6 row_shr:4 row_mask:0xf bank_mask:0xf
	;; [unrolled: 1-line block ×3, first 2 shown]
	s_mov_b32 s16, exec_lo
	v_cmpx_lt_u32_e32 3, v10
	s_cbranch_execz .LBB424_114
; %bb.113:
	v_mov_b32_e32 v10, 0
	v_and_b32_e32 v5, 1, v5
	v_cmp_eq_u16_sdwa vcc_lo, v11, v10 src0_sel:BYTE_0 src1_sel:DWORD
	v_cmp_eq_u32_e64 s14, 1, v5
	v_cndmask_b32_e32 v10, 1, v12, vcc_lo
	v_cndmask_b32_e32 v6, 0, v6, vcc_lo
	v_mul_lo_u32 v2, v10, v2
	v_mad_u64_u32 v[54:55], null, v10, v1, 0
	v_mul_lo_u32 v1, v6, v1
	v_and_b32_e32 v6, 1, v11
	v_cmp_eq_u32_e32 vcc_lo, 1, v6
	v_add3_u32 v55, v55, v2, v1
	v_mov_b32_e32 v1, v54
	s_or_b32 s14, vcc_lo, s14
	v_cndmask_b32_e64 v53, 0, 1, s14
	v_mov_b32_e32 v2, v55
.LBB424_114:
	s_or_b32 exec_lo, exec_lo, s16
	ds_write_b64 v9, v[1:2]
	ds_write_b8 v9, v53 offset:8
.LBB424_115:
	s_or_b32 exec_lo, exec_lo, s15
	v_mov_b32_e32 v1, 0
	v_mov_b32_e32 v2, 0
	;; [unrolled: 1-line block ×3, first 2 shown]
	s_mov_b32 s15, exec_lo
	v_cmp_gt_u32_e32 vcc_lo, 32, v0
	s_waitcnt lgkmcnt(0)
	s_barrier
	buffer_gl0_inv
	v_cmpx_lt_u32_e32 31, v0
	s_cbranch_execz .LBB424_117
; %bb.116:
	v_add_nc_u32_e32 v1, -16, v8
	v_add_nc_u32_e32 v5, -8, v8
	v_cmp_eq_u16_e64 s14, 0, v7
	ds_read_b64 v[1:2], v1
	ds_read_u8 v24, v5
	s_waitcnt lgkmcnt(1)
	v_cndmask_b32_e64 v5, 1, v1, s14
	v_cndmask_b32_e64 v6, 0, v2, s14
	s_waitcnt lgkmcnt(0)
	v_or_b32_e32 v7, v24, v7
	v_mul_lo_u32 v8, v5, v4
	v_mul_lo_u32 v6, v6, v3
	v_mad_u64_u32 v[3:4], null, v5, v3, 0
	v_add3_u32 v4, v4, v8, v6
.LBB424_117:
	s_or_b32 exec_lo, exec_lo, s15
	v_sub_co_u32 v5, s14, v13, 1
	v_and_b32_e32 v6, 0xff, v7
	v_cmp_gt_i32_e64 s15, 0, v5
	v_cndmask_b32_e64 v5, v5, v13, s15
	v_lshlrev_b32_e32 v5, 2, v5
	ds_bpermute_b32 v55, v5, v3
	ds_bpermute_b32 v56, v5, v4
	;; [unrolled: 1-line block ×3, first 2 shown]
	s_and_saveexec_b32 s16, vcc_lo
	s_cbranch_execz .LBB424_157
; %bb.118:
	v_mov_b32_e32 v7, 0
	ds_read_b64 v[3:4], v7 offset:112
	ds_read_u8 v53, v7 offset:120
	s_and_saveexec_b32 s15, s14
	s_cbranch_execz .LBB424_120
; %bb.119:
	s_add_i32 s28, s27, 32
	s_mov_b32 s29, 0
	v_mov_b32_e32 v5, 1
	s_lshl_b64 s[36:37], s[28:29], 4
	v_mov_b32_e32 v6, s28
	s_add_u32 s36, s20, s36
	s_addc_u32 s37, s21, s37
	s_waitcnt lgkmcnt(1)
	global_store_dwordx2 v7, v[3:4], s[36:37]
	s_waitcnt lgkmcnt(0)
	global_store_byte v7, v53, s[36:37] offset:8
	s_waitcnt_vscnt null, 0x0
	buffer_gl1_inv
	buffer_gl0_inv
	global_store_byte v6, v5, s[24:25]
.LBB424_120:
	s_or_b32 exec_lo, exec_lo, s15
	v_xad_u32 v5, v13, -1, s27
	s_mov_b32 s17, 0
	s_mov_b32 s15, exec_lo
	v_add_nc_u32_e32 v6, 32, v5
	global_load_ubyte v54, v6, s[24:25] glc dlc
	s_waitcnt vmcnt(0)
	v_cmpx_eq_u16_e32 0, v54
	s_cbranch_execz .LBB424_124
; %bb.121:
	v_add_co_u32 v8, s18, s24, v6
	v_add_co_ci_u32_e64 v9, null, s25, 0, s18
.LBB424_122:                            ; =>This Inner Loop Header: Depth=1
	global_load_ubyte v54, v[8:9], off glc dlc
	s_waitcnt vmcnt(0)
	v_cmp_ne_u16_e32 vcc_lo, 0, v54
	s_or_b32 s17, vcc_lo, s17
	s_andn2_b32 exec_lo, exec_lo, s17
	s_cbranch_execnz .LBB424_122
; %bb.123:
	s_or_b32 exec_lo, exec_lo, s17
.LBB424_124:
	s_or_b32 exec_lo, exec_lo, s15
	v_cmp_eq_u16_e32 vcc_lo, 1, v54
	v_mov_b32_e32 v9, s20
	v_mov_b32_e32 v8, s21
	v_lshlrev_b64 v[6:7], 4, v[6:7]
	s_waitcnt lgkmcnt(0)
	s_waitcnt_vscnt null, 0x0
	buffer_gl1_inv
	buffer_gl0_inv
	v_lshlrev_b32_e64 v59, v13, -1
	v_cndmask_b32_e32 v9, s22, v9, vcc_lo
	v_cndmask_b32_e32 v8, s23, v8, vcc_lo
	s_mov_b32 s15, exec_lo
	v_add_co_u32 v6, vcc_lo, v9, v6
	v_add_co_ci_u32_e64 v7, null, v8, v7, vcc_lo
	v_cmp_ne_u32_e32 vcc_lo, 31, v13
	s_clause 0x1
	global_load_ubyte v11, v[6:7], off offset:8
	global_load_dwordx2 v[9:10], v[6:7], off
	v_add_co_ci_u32_e64 v6, null, 0, v13, vcc_lo
	v_cmp_eq_u16_e32 vcc_lo, 2, v54
	v_lshlrev_b32_e32 v58, 2, v6
	v_and_or_b32 v6, vcc_lo, v59, 0x80000000
	v_ffbl_b32_e32 v8, v6
	s_waitcnt vmcnt(1)
	v_and_b32_e32 v12, 1, v11
	s_waitcnt vmcnt(0)
	ds_bpermute_b32 v61, v58, v9
	ds_bpermute_b32 v62, v58, v10
	v_mov_b32_e32 v7, v10
	v_mov_b32_e32 v6, v9
	ds_bpermute_b32 v60, v58, v12
	v_cmpx_lt_u32_e64 v13, v8
	s_cbranch_execz .LBB424_126
; %bb.125:
	v_mov_b32_e32 v6, 0
	v_cmp_eq_u16_sdwa vcc_lo, v11, v6 src0_sel:BYTE_0 src1_sel:DWORD
	s_waitcnt lgkmcnt(2)
	v_cndmask_b32_e32 v6, 1, v61, vcc_lo
	s_waitcnt lgkmcnt(1)
	v_cndmask_b32_e32 v12, 0, v62, vcc_lo
	v_mul_lo_u32 v10, v6, v10
	v_mad_u64_u32 v[6:7], null, v6, v9, 0
	v_mul_lo_u32 v9, v12, v9
	s_waitcnt lgkmcnt(0)
	v_and_b32_e32 v12, 1, v60
	v_or_b32_e32 v11, v12, v11
	v_add3_u32 v7, v7, v10, v9
	v_and_b32_e32 v12, 0xff, v11
	v_mov_b32_e32 v10, v7
	v_mov_b32_e32 v9, v6
.LBB424_126:
	s_or_b32 exec_lo, exec_lo, s15
	v_cmp_gt_u32_e32 vcc_lo, 30, v13
	s_waitcnt lgkmcnt(2)
	v_add_nc_u32_e32 v61, 2, v13
	s_mov_b32 s17, exec_lo
	s_waitcnt lgkmcnt(0)
	v_cndmask_b32_e64 v60, 0, 2, vcc_lo
	v_add_lshl_u32 v60, v60, v13, 2
	ds_bpermute_b32 v63, v60, v6
	ds_bpermute_b32 v64, v60, v7
	ds_bpermute_b32 v62, v60, v12
	v_cmpx_le_u32_e64 v61, v8
	s_cbranch_execz .LBB424_128
; %bb.127:
	v_mov_b32_e32 v6, 0
	v_cmp_eq_u16_sdwa vcc_lo, v11, v6 src0_sel:BYTE_0 src1_sel:DWORD
	v_and_b32_e32 v11, 1, v11
	s_waitcnt lgkmcnt(2)
	v_cndmask_b32_e32 v6, 1, v63, vcc_lo
	s_waitcnt lgkmcnt(1)
	v_cndmask_b32_e32 v12, 0, v64, vcc_lo
	v_cmp_eq_u32_e32 vcc_lo, 1, v11
	v_mul_lo_u32 v10, v6, v10
	v_mad_u64_u32 v[6:7], null, v6, v9, 0
	v_mul_lo_u32 v9, v12, v9
	s_waitcnt lgkmcnt(0)
	v_and_b32_e32 v12, 1, v62
	v_cmp_eq_u32_e64 s15, 1, v12
	v_add3_u32 v7, v7, v10, v9
	s_or_b32 s15, vcc_lo, s15
	v_mov_b32_e32 v10, v7
	v_cndmask_b32_e64 v11, 0, 1, s15
	v_cndmask_b32_e64 v12, 0, 1, s15
	v_mov_b32_e32 v9, v6
.LBB424_128:
	s_or_b32 exec_lo, exec_lo, s17
	v_cmp_gt_u32_e32 vcc_lo, 28, v13
	s_waitcnt lgkmcnt(2)
	v_add_nc_u32_e32 v63, 4, v13
	s_mov_b32 s17, exec_lo
	s_waitcnt lgkmcnt(0)
	v_cndmask_b32_e64 v62, 0, 4, vcc_lo
	v_add_lshl_u32 v62, v62, v13, 2
	ds_bpermute_b32 v65, v62, v6
	ds_bpermute_b32 v66, v62, v7
	ds_bpermute_b32 v64, v62, v12
	v_cmpx_le_u32_e64 v63, v8
	s_cbranch_execz .LBB424_130
; %bb.129:
	v_mov_b32_e32 v6, 0
	v_cmp_eq_u16_sdwa vcc_lo, v11, v6 src0_sel:BYTE_0 src1_sel:DWORD
	v_and_b32_e32 v11, 1, v11
	s_waitcnt lgkmcnt(2)
	v_cndmask_b32_e32 v6, 1, v65, vcc_lo
	s_waitcnt lgkmcnt(1)
	v_cndmask_b32_e32 v12, 0, v66, vcc_lo
	v_cmp_eq_u32_e32 vcc_lo, 1, v11
	v_mul_lo_u32 v10, v6, v10
	v_mad_u64_u32 v[6:7], null, v6, v9, 0
	v_mul_lo_u32 v9, v12, v9
	s_waitcnt lgkmcnt(0)
	v_and_b32_e32 v12, 1, v64
	v_cmp_eq_u32_e64 s15, 1, v12
	v_add3_u32 v7, v7, v10, v9
	s_or_b32 s15, vcc_lo, s15
	v_mov_b32_e32 v10, v7
	v_cndmask_b32_e64 v11, 0, 1, s15
	v_cndmask_b32_e64 v12, 0, 1, s15
	v_mov_b32_e32 v9, v6
.LBB424_130:
	;; [unrolled: 35-line block ×3, first 2 shown]
	s_or_b32 exec_lo, exec_lo, s17
	s_waitcnt lgkmcnt(2)
	v_lshl_or_b32 v67, v13, 2, 64
	s_waitcnt lgkmcnt(1)
	v_add_nc_u32_e32 v68, 16, v13
	s_mov_b32 s17, exec_lo
	s_waitcnt lgkmcnt(0)
	ds_bpermute_b32 v66, v67, v6
	ds_bpermute_b32 v7, v67, v7
	;; [unrolled: 1-line block ×3, first 2 shown]
	v_cmpx_le_u32_e64 v68, v8
	s_cbranch_execz .LBB424_134
; %bb.133:
	v_mov_b32_e32 v8, 0
	s_waitcnt lgkmcnt(0)
	v_and_b32_e32 v6, 1, v6
	v_cmp_eq_u16_sdwa vcc_lo, v11, v8 src0_sel:BYTE_0 src1_sel:DWORD
	v_and_b32_e32 v11, 1, v11
	v_cmp_eq_u32_e64 s15, 1, v6
	v_cndmask_b32_e32 v8, 1, v66, vcc_lo
	v_cndmask_b32_e32 v12, 0, v7, vcc_lo
	v_cmp_eq_u32_e32 vcc_lo, 1, v11
	v_mul_lo_u32 v10, v8, v10
	v_mad_u64_u32 v[7:8], null, v8, v9, 0
	v_mul_lo_u32 v9, v12, v9
	s_or_b32 s15, vcc_lo, s15
	v_cndmask_b32_e64 v11, 0, 1, s15
	v_add3_u32 v8, v8, v10, v9
	v_mov_b32_e32 v10, v8
	v_mov_b32_e32 v9, v7
.LBB424_134:
	s_or_b32 exec_lo, exec_lo, s17
	s_waitcnt lgkmcnt(0)
	v_mov_b32_e32 v6, 0
	v_mov_b32_e32 v69, 2
	s_branch .LBB424_137
.LBB424_135:                            ;   in Loop: Header=BB424_137 Depth=1
	s_or_b32 exec_lo, exec_lo, s18
	v_cmp_eq_u16_sdwa vcc_lo, v66, v6 src0_sel:BYTE_0 src1_sel:DWORD
	s_waitcnt lgkmcnt(1)
	v_and_b32_e32 v12, 1, v66
	v_subrev_nc_u32_e32 v5, 32, v5
	v_cndmask_b32_e32 v9, 1, v9, vcc_lo
	s_waitcnt lgkmcnt(0)
	v_cndmask_b32_e32 v11, 0, v10, vcc_lo
	v_cmp_eq_u32_e32 vcc_lo, 1, v12
	v_mul_lo_u32 v70, v9, v8
	v_mad_u64_u32 v[9:10], null, v9, v7, 0
	v_mul_lo_u32 v11, v11, v7
	s_or_b32 s15, vcc_lo, s17
	v_add3_u32 v10, v10, v70, v11
	v_cndmask_b32_e64 v11, 0, 1, s15
	s_mov_b32 s15, 0
.LBB424_136:                            ;   in Loop: Header=BB424_137 Depth=1
	s_and_b32 vcc_lo, exec_lo, s15
	s_cbranch_vccnz .LBB424_153
.LBB424_137:                            ; =>This Loop Header: Depth=1
                                        ;     Child Loop BB424_140 Depth 2
	v_cmp_ne_u16_sdwa s15, v54, v69 src0_sel:BYTE_0 src1_sel:DWORD
	v_mov_b32_e32 v7, v9
	v_mov_b32_e32 v66, v11
	;; [unrolled: 1-line block ×3, first 2 shown]
                                        ; implicit-def: $vgpr11
                                        ; implicit-def: $vgpr9_vgpr10
                                        ; implicit-def: $vgpr54
	s_cmp_lg_u32 s15, exec_lo
	s_mov_b32 s15, -1
	s_cbranch_scc1 .LBB424_136
; %bb.138:                              ;   in Loop: Header=BB424_137 Depth=1
	global_load_ubyte v54, v5, s[24:25] glc dlc
	s_mov_b32 s15, exec_lo
	s_waitcnt vmcnt(0)
	v_cmpx_eq_u16_e32 0, v54
	s_cbranch_execz .LBB424_142
; %bb.139:                              ;   in Loop: Header=BB424_137 Depth=1
	v_add_co_u32 v9, s17, s24, v5
	v_add_co_ci_u32_e64 v10, null, s25, 0, s17
	s_mov_b32 s17, 0
.LBB424_140:                            ;   Parent Loop BB424_137 Depth=1
                                        ; =>  This Inner Loop Header: Depth=2
	global_load_ubyte v54, v[9:10], off glc dlc
	s_waitcnt vmcnt(0)
	v_cmp_ne_u16_e32 vcc_lo, 0, v54
	s_or_b32 s17, vcc_lo, s17
	s_andn2_b32 exec_lo, exec_lo, s17
	s_cbranch_execnz .LBB424_140
; %bb.141:                              ;   in Loop: Header=BB424_137 Depth=1
	s_or_b32 exec_lo, exec_lo, s17
.LBB424_142:                            ;   in Loop: Header=BB424_137 Depth=1
	s_or_b32 exec_lo, exec_lo, s15
	v_cmp_eq_u16_e32 vcc_lo, 1, v54
	v_mov_b32_e32 v12, s20
	v_mov_b32_e32 v11, s21
	v_lshlrev_b64 v[9:10], 4, v[5:6]
	buffer_gl1_inv
	buffer_gl0_inv
	s_mov_b32 s15, exec_lo
	v_cndmask_b32_e32 v12, s22, v12, vcc_lo
	v_cndmask_b32_e32 v11, s23, v11, vcc_lo
	v_add_co_u32 v9, vcc_lo, v12, v9
	v_add_co_ci_u32_e64 v10, null, v11, v10, vcc_lo
	v_cmp_eq_u16_e32 vcc_lo, 2, v54
	s_clause 0x1
	global_load_ubyte v70, v[9:10], off offset:8
	global_load_dwordx2 v[9:10], v[9:10], off
	v_and_or_b32 v11, vcc_lo, v59, 0x80000000
	v_ffbl_b32_e32 v71, v11
	s_waitcnt vmcnt(1)
	v_and_b32_e32 v72, 1, v70
	s_waitcnt vmcnt(0)
	ds_bpermute_b32 v74, v58, v9
	ds_bpermute_b32 v75, v58, v10
	v_mov_b32_e32 v12, v10
	v_mov_b32_e32 v11, v9
	ds_bpermute_b32 v73, v58, v72
	v_cmpx_lt_u32_e64 v13, v71
	s_cbranch_execz .LBB424_144
; %bb.143:                              ;   in Loop: Header=BB424_137 Depth=1
	v_cmp_eq_u16_sdwa vcc_lo, v70, v6 src0_sel:BYTE_0 src1_sel:DWORD
	s_waitcnt lgkmcnt(2)
	v_cndmask_b32_e32 v11, 1, v74, vcc_lo
	s_waitcnt lgkmcnt(1)
	v_cndmask_b32_e32 v72, 0, v75, vcc_lo
	v_mul_lo_u32 v10, v11, v10
	v_mad_u64_u32 v[11:12], null, v11, v9, 0
	v_mul_lo_u32 v9, v72, v9
	s_waitcnt lgkmcnt(0)
	v_and_b32_e32 v72, 1, v73
	v_or_b32_e32 v70, v72, v70
	v_add3_u32 v12, v12, v10, v9
	v_mov_b32_e32 v9, v11
	v_and_b32_e32 v72, 0xff, v70
	v_mov_b32_e32 v10, v12
.LBB424_144:                            ;   in Loop: Header=BB424_137 Depth=1
	s_or_b32 exec_lo, exec_lo, s15
	s_waitcnt lgkmcnt(2)
	ds_bpermute_b32 v74, v60, v11
	s_waitcnt lgkmcnt(2)
	ds_bpermute_b32 v75, v60, v12
	;; [unrolled: 2-line block ×3, first 2 shown]
	v_and_b32_e32 v76, 1, v70
	s_mov_b32 s15, exec_lo
	v_cmp_eq_u32_e64 s17, 1, v76
	v_cmpx_le_u32_e64 v61, v71
	s_cbranch_execz .LBB424_146
; %bb.145:                              ;   in Loop: Header=BB424_137 Depth=1
	v_cmp_eq_u16_sdwa vcc_lo, v70, v6 src0_sel:BYTE_0 src1_sel:DWORD
	s_waitcnt lgkmcnt(0)
	v_and_b32_e32 v72, 1, v73
	v_cndmask_b32_e32 v11, 1, v74, vcc_lo
	v_cndmask_b32_e32 v70, 0, v75, vcc_lo
	v_cmp_eq_u32_e32 vcc_lo, 1, v72
	v_mul_lo_u32 v10, v11, v10
	v_mad_u64_u32 v[11:12], null, v11, v9, 0
	v_mul_lo_u32 v9, v70, v9
	s_or_b32 s18, s17, vcc_lo
	s_andn2_b32 s17, s17, exec_lo
	v_cndmask_b32_e64 v70, 0, 1, s18
	v_cndmask_b32_e64 v72, 0, 1, s18
	s_and_b32 s18, s18, exec_lo
	s_or_b32 s17, s17, s18
	v_add3_u32 v12, v12, v10, v9
	v_mov_b32_e32 v9, v11
	v_mov_b32_e32 v10, v12
.LBB424_146:                            ;   in Loop: Header=BB424_137 Depth=1
	s_or_b32 exec_lo, exec_lo, s15
	s_waitcnt lgkmcnt(2)
	ds_bpermute_b32 v74, v62, v11
	s_waitcnt lgkmcnt(2)
	ds_bpermute_b32 v75, v62, v12
	;; [unrolled: 2-line block ×3, first 2 shown]
	s_mov_b32 s18, exec_lo
	v_cmpx_le_u32_e64 v63, v71
	s_cbranch_execz .LBB424_148
; %bb.147:                              ;   in Loop: Header=BB424_137 Depth=1
	v_cmp_eq_u16_sdwa vcc_lo, v70, v6 src0_sel:BYTE_0 src1_sel:DWORD
	v_and_b32_e32 v70, 1, v70
	s_waitcnt lgkmcnt(0)
	v_and_b32_e32 v73, 1, v73
	s_andn2_b32 s17, s17, exec_lo
	v_cndmask_b32_e32 v11, 1, v74, vcc_lo
	v_cndmask_b32_e32 v72, 0, v75, vcc_lo
	v_cmp_eq_u32_e32 vcc_lo, 1, v70
	v_cmp_eq_u32_e64 s15, 1, v73
	v_mul_lo_u32 v10, v11, v10
	v_mad_u64_u32 v[11:12], null, v11, v9, 0
	v_mul_lo_u32 v9, v72, v9
	s_or_b32 s15, vcc_lo, s15
	v_cndmask_b32_e64 v70, 0, 1, s15
	v_cndmask_b32_e64 v72, 0, 1, s15
	s_and_b32 s15, s15, exec_lo
	s_or_b32 s17, s17, s15
	v_add3_u32 v12, v12, v10, v9
	v_mov_b32_e32 v9, v11
	v_mov_b32_e32 v10, v12
.LBB424_148:                            ;   in Loop: Header=BB424_137 Depth=1
	s_or_b32 exec_lo, exec_lo, s18
	s_waitcnt lgkmcnt(2)
	ds_bpermute_b32 v74, v64, v11
	s_waitcnt lgkmcnt(2)
	ds_bpermute_b32 v75, v64, v12
	;; [unrolled: 2-line block ×3, first 2 shown]
	s_mov_b32 s18, exec_lo
	v_cmpx_le_u32_e64 v65, v71
	s_cbranch_execz .LBB424_150
; %bb.149:                              ;   in Loop: Header=BB424_137 Depth=1
	v_cmp_eq_u16_sdwa vcc_lo, v70, v6 src0_sel:BYTE_0 src1_sel:DWORD
	v_and_b32_e32 v70, 1, v70
	s_waitcnt lgkmcnt(0)
	v_and_b32_e32 v73, 1, v73
	s_andn2_b32 s17, s17, exec_lo
	v_cndmask_b32_e32 v11, 1, v74, vcc_lo
	v_cndmask_b32_e32 v72, 0, v75, vcc_lo
	v_cmp_eq_u32_e32 vcc_lo, 1, v70
	v_cmp_eq_u32_e64 s15, 1, v73
	v_mul_lo_u32 v10, v11, v10
	v_mad_u64_u32 v[11:12], null, v11, v9, 0
	v_mul_lo_u32 v9, v72, v9
	s_or_b32 s15, vcc_lo, s15
	v_cndmask_b32_e64 v70, 0, 1, s15
	v_cndmask_b32_e64 v72, 0, 1, s15
	s_and_b32 s15, s15, exec_lo
	s_or_b32 s17, s17, s15
	v_add3_u32 v12, v12, v10, v9
	v_mov_b32_e32 v9, v11
	v_mov_b32_e32 v10, v12
.LBB424_150:                            ;   in Loop: Header=BB424_137 Depth=1
	s_or_b32 exec_lo, exec_lo, s18
	s_waitcnt lgkmcnt(0)
	ds_bpermute_b32 v73, v67, v11
	ds_bpermute_b32 v12, v67, v12
	;; [unrolled: 1-line block ×3, first 2 shown]
	s_mov_b32 s18, exec_lo
	v_cmpx_le_u32_e64 v68, v71
	s_cbranch_execz .LBB424_135
; %bb.151:                              ;   in Loop: Header=BB424_137 Depth=1
	v_cmp_eq_u16_sdwa vcc_lo, v70, v6 src0_sel:BYTE_0 src1_sel:DWORD
	s_waitcnt lgkmcnt(0)
	v_and_b32_e32 v11, 1, v11
	s_andn2_b32 s17, s17, exec_lo
	v_cndmask_b32_e32 v71, 1, v73, vcc_lo
	v_cndmask_b32_e32 v12, 0, v12, vcc_lo
	v_cmp_eq_u32_e64 s15, 1, v11
	v_mul_lo_u32 v10, v71, v10
	v_mad_u64_u32 v[71:72], null, v71, v9, 0
	v_mul_lo_u32 v9, v12, v9
	v_and_b32_e32 v12, 1, v70
	v_cmp_eq_u32_e32 vcc_lo, 1, v12
	v_add3_u32 v72, v72, v10, v9
	v_mov_b32_e32 v9, v71
	s_or_b32 s15, vcc_lo, s15
	v_mov_b32_e32 v10, v72
	s_and_b32 s15, s15, exec_lo
	s_or_b32 s17, s17, s15
	s_branch .LBB424_135
.LBB424_152:
                                        ; implicit-def: $vgpr53_vgpr54
                                        ; implicit-def: $vgpr3_vgpr4
                                        ; implicit-def: $vgpr75_vgpr76
                                        ; implicit-def: $vgpr71_vgpr72
                                        ; implicit-def: $vgpr67_vgpr68
                                        ; implicit-def: $vgpr63_vgpr64
                                        ; implicit-def: $vgpr61_vgpr62
                                        ; implicit-def: $vgpr73_vgpr74
                                        ; implicit-def: $vgpr69_vgpr70
                                        ; implicit-def: $vgpr65_vgpr66
                                        ; implicit-def: $vgpr59_vgpr60
                                        ; implicit-def: $vgpr57_vgpr58
                                        ; implicit-def: $vgpr55_vgpr56
	s_cbranch_execnz .LBB424_160
	s_branch .LBB424_187
.LBB424_153:
	s_and_saveexec_b32 s15, s14
	s_cbranch_execz .LBB424_155
; %bb.154:
	v_mov_b32_e32 v6, 0
	s_mov_b32 s21, 0
	s_add_i32 s20, s27, 32
	v_mov_b32_e32 v11, 2
	s_lshl_b64 s[28:29], s[20:21], 4
	v_cmp_eq_u32_sdwa vcc_lo, v53, v6 src0_sel:BYTE_0 src1_sel:DWORD
	v_mov_b32_e32 v12, s20
	s_add_u32 s20, s22, s28
	s_addc_u32 s21, s23, s29
	v_cndmask_b32_e32 v5, 1, v7, vcc_lo
	v_cndmask_b32_e32 v9, 0, v8, vcc_lo
	v_mul_lo_u32 v10, v5, v4
	v_mad_u64_u32 v[4:5], null, v5, v3, 0
	v_mul_lo_u32 v3, v9, v3
	v_or_b32_e32 v9, v53, v66
	v_and_b32_e32 v9, 1, v9
	v_add3_u32 v5, v5, v10, v3
	global_store_byte v6, v9, s[20:21] offset:8
	global_store_dwordx2 v6, v[4:5], s[20:21]
	s_waitcnt_vscnt null, 0x0
	buffer_gl1_inv
	buffer_gl0_inv
	global_store_byte v12, v11, s[24:25]
.LBB424_155:
	s_or_b32 exec_lo, exec_lo, s15
	s_and_b32 exec_lo, exec_lo, s1
	s_cbranch_execz .LBB424_157
; %bb.156:
	v_mov_b32_e32 v3, 0
	ds_write_b64 v3, v[7:8] offset:112
	ds_write_b8 v3, v66 offset:120
.LBB424_157:
	s_or_b32 exec_lo, exec_lo, s16
	v_mov_b32_e32 v3, 0
	s_waitcnt lgkmcnt(0)
	s_waitcnt_vscnt null, 0x0
	s_barrier
	buffer_gl0_inv
	ds_read_b64 v[53:54], v3 offset:112
	s_and_saveexec_b32 s15, s2
	s_cbranch_execz .LBB424_159
; %bb.158:
	v_cndmask_b32_e64 v4, v57, v24, s14
	v_cndmask_b32_e64 v1, v55, v1, s14
	;; [unrolled: 1-line block ×3, first 2 shown]
	v_cmp_eq_u16_sdwa vcc_lo, v4, v3 src0_sel:BYTE_0 src1_sel:DWORD
	s_waitcnt lgkmcnt(0)
	v_cndmask_b32_e32 v4, 1, v53, vcc_lo
	v_cndmask_b32_e32 v5, 0, v54, vcc_lo
	v_mul_lo_u32 v2, v4, v2
	v_mul_lo_u32 v5, v5, v1
	v_mad_u64_u32 v[53:54], null, v4, v1, 0
	v_add3_u32 v54, v54, v2, v5
.LBB424_159:
	s_or_b32 exec_lo, exec_lo, s15
	v_cmp_eq_u16_sdwa vcc_lo, v87, v3 src0_sel:BYTE_0 src1_sel:DWORD
	s_waitcnt lgkmcnt(0)
	v_cndmask_b32_e32 v1, 1, v53, vcc_lo
	v_cndmask_b32_e32 v2, 0, v54, vcc_lo
	v_mul_lo_u32 v3, v1, v52
	v_mad_u64_u32 v[55:56], null, v1, v51, 0
	v_mul_lo_u32 v1, v2, v51
	v_add3_u32 v56, v56, v3, v1
	v_cndmask_b32_e64 v1, 1, v55, s13
	v_cndmask_b32_e64 v2, 0, v56, s13
	v_mul_lo_u32 v3, v1, v28
	v_mad_u64_u32 v[57:58], null, v1, v27, 0
	v_mul_lo_u32 v1, v2, v27
	v_add3_u32 v58, v58, v3, v1
	v_cndmask_b32_e64 v1, 1, v57, s12
	v_cndmask_b32_e64 v2, 0, v58, s12
	;; [unrolled: 6-line block ×11, first 2 shown]
	s_branch .LBB424_187
.LBB424_160:
	s_cmp_eq_u64 s[46:47], 0
	v_mov_b32_e32 v1, s44
	s_cselect_b32 s2, -1, 0
	s_cmp_eq_u64 s[30:31], 0
	v_mov_b32_e32 v2, s45
	s_cselect_b32 s3, -1, 0
	s_or_b32 s2, s2, s3
	s_and_b32 vcc_lo, exec_lo, s2
	s_cbranch_vccnz .LBB424_162
; %bb.161:
	v_mov_b32_e32 v1, 0
	global_load_dwordx2 v[1:2], v1, s[30:31]
.LBB424_162:
	v_mov_b32_e32 v5, 0
	v_cmp_eq_u16_e64 s17, 0, v14
	v_cmp_eq_u32_e64 s15, 1, v22
	v_cmp_eq_u32_e64 s16, 1, v19
	;; [unrolled: 1-line block ×3, first 2 shown]
	v_cmp_eq_u16_sdwa vcc_lo, v94, v5 src0_sel:BYTE_0 src1_sel:DWORD
	v_cmp_eq_u16_sdwa s2, v93, v5 src0_sel:BYTE_0 src1_sel:DWORD
	v_cmp_eq_u16_sdwa s3, v90, v5 src0_sel:BYTE_0 src1_sel:DWORD
	;; [unrolled: 1-line block ×4, first 2 shown]
	v_cndmask_b32_e32 v3, 1, v51, vcc_lo
	v_cndmask_b32_e32 v6, 0, v52, vcc_lo
	v_cmp_eq_u16_sdwa s5, v86, v5 src0_sel:BYTE_0 src1_sel:DWORD
	v_cmp_eq_u16_sdwa s9, v85, v5 src0_sel:BYTE_0 src1_sel:DWORD
	;; [unrolled: 1-line block ×3, first 2 shown]
	v_mul_lo_u32 v7, v3, v28
	v_mad_u64_u32 v[3:4], null, v3, v27, 0
	v_mul_lo_u32 v6, v6, v27
	v_cmp_eq_u16_sdwa s7, v83, v5 src0_sel:BYTE_0 src1_sel:DWORD
	v_cmp_eq_u16_sdwa s10, v81, v5 src0_sel:BYTE_0 src1_sel:DWORD
	;; [unrolled: 1-line block ×3, first 2 shown]
	v_cmp_ne_u16_sdwa s21, v17, v5 src0_sel:BYTE_0 src1_sel:DWORD
	v_cmp_ne_u16_sdwa s27, v18, v5 src0_sel:BYTE_0 src1_sel:DWORD
	v_cndmask_b32_e64 v3, 1, v3, s2
	v_cmp_ne_u16_sdwa s20, v16, v5 src0_sel:BYTE_0 src1_sel:DWORD
	v_add3_u32 v4, v4, v7, v6
	v_cmp_eq_u32_e64 s13, 1, v23
	v_cmp_ne_u16_sdwa s18, v15, v5 src0_sel:BYTE_0 src1_sel:DWORD
	v_mul_lo_u32 v7, v3, v48
	s_or_b32 s15, s21, s15
	v_cndmask_b32_e64 v4, 0, v4, s2
	s_or_b32 s16, s27, s16
	s_or_b32 s14, s20, s14
	;; [unrolled: 1-line block ×3, first 2 shown]
	v_cmp_eq_u32_e64 s12, 1, v21
	v_mul_lo_u32 v6, v4, v47
	v_mad_u64_u32 v[3:4], null, v3, v47, 0
	s_or_b32 s13, s18, s13
	s_or_b32 s14, s15, s14
	;; [unrolled: 1-line block ×4, first 2 shown]
	v_add3_u32 v4, v4, v7, v6
	v_cndmask_b32_e64 v3, 1, v3, s3
	v_cndmask_b32_e64 v8, 0, 1, s14
	v_cndmask_b32_e64 v9, 0, 1, s14
	s_mov_b32 s13, exec_lo
	v_cndmask_b32_e64 v4, 0, v4, s3
	v_mul_lo_u32 v7, v3, v46
	v_mul_lo_u32 v6, v4, v45
	v_mad_u64_u32 v[3:4], null, v3, v45, 0
	v_add3_u32 v4, v4, v7, v6
	v_cndmask_b32_e64 v3, 1, v3, s8
	v_cndmask_b32_e64 v4, 0, v4, s8
	v_mul_lo_u32 v7, v3, v44
	v_mul_lo_u32 v6, v4, v43
	v_mad_u64_u32 v[3:4], null, v3, v43, 0
	v_add3_u32 v4, v4, v7, v6
	v_cndmask_b32_e64 v3, 1, v3, s4
	;; [unrolled: 6-line block ×9, first 2 shown]
	v_and_b32_e32 v7, 15, v13
	v_cndmask_b32_e64 v4, 0, v4, s17
	v_mul_lo_u32 v10, v3, v40
	v_mad_u64_u32 v[5:6], null, v3, v39, 0
	v_mul_lo_u32 v4, v4, v39
	v_mov_b32_dpp v11, v5 row_shr:1 row_mask:0xf bank_mask:0xf
	v_add3_u32 v6, v6, v10, v4
	v_mov_b32_e32 v3, v5
	v_mov_b32_dpp v10, v8 row_shr:1 row_mask:0xf bank_mask:0xf
	v_mov_b32_dpp v12, v6 row_shr:1 row_mask:0xf bank_mask:0xf
	v_mov_b32_e32 v4, v6
	v_cmpx_ne_u32_e32 0, v7
	s_cbranch_execz .LBB424_164
; %bb.163:
	v_cndmask_b32_e64 v3, v12, 0, s14
	v_cndmask_b32_e64 v4, v11, 1, s14
	v_mul_lo_u32 v8, v3, v5
	v_mul_lo_u32 v6, v4, v6
	v_mad_u64_u32 v[3:4], null, v4, v5, 0
	v_and_b32_e32 v5, 1, v10
	v_or_b32_e32 v9, v5, v9
	v_add3_u32 v4, v4, v6, v8
	v_mov_b32_e32 v5, v3
	v_and_b32_e32 v8, 0xffff, v9
	v_mov_b32_e32 v6, v4
.LBB424_164:
	s_or_b32 exec_lo, exec_lo, s13
	v_mov_b32_dpp v11, v5 row_shr:2 row_mask:0xf bank_mask:0xf
	v_mov_b32_dpp v12, v6 row_shr:2 row_mask:0xf bank_mask:0xf
	v_mov_b32_dpp v10, v8 row_shr:2 row_mask:0xf bank_mask:0xf
	s_mov_b32 s14, exec_lo
	v_cmpx_lt_u32_e32 1, v7
	s_cbranch_execz .LBB424_166
; %bb.165:
	v_cmp_eq_u16_e64 s12, 0, v9
	v_and_b32_e32 v9, 1, v9
	v_cndmask_b32_e64 v5, 1, v11, s12
	v_cndmask_b32_e64 v8, 0, v12, s12
	v_cmp_eq_u32_e64 s12, 1, v9
	v_mul_lo_u32 v4, v5, v4
	v_mad_u64_u32 v[5:6], null, v5, v3, 0
	v_mul_lo_u32 v3, v8, v3
	v_and_b32_e32 v8, 1, v10
	v_cmp_eq_u32_e64 s13, 1, v8
	v_add3_u32 v6, v6, v4, v3
	v_mov_b32_e32 v3, v5
	s_or_b32 s12, s12, s13
	v_cndmask_b32_e64 v9, 0, 1, s12
	v_cndmask_b32_e64 v8, 0, 1, s12
	v_mov_b32_e32 v4, v6
.LBB424_166:
	s_or_b32 exec_lo, exec_lo, s14
	v_mov_b32_dpp v11, v5 row_shr:4 row_mask:0xf bank_mask:0xf
	v_mov_b32_dpp v12, v6 row_shr:4 row_mask:0xf bank_mask:0xf
	v_mov_b32_dpp v10, v8 row_shr:4 row_mask:0xf bank_mask:0xf
	s_mov_b32 s14, exec_lo
	v_cmpx_lt_u32_e32 3, v7
	s_cbranch_execz .LBB424_168
; %bb.167:
	v_cmp_eq_u16_e64 s12, 0, v9
	v_and_b32_e32 v9, 1, v9
	v_cndmask_b32_e64 v5, 1, v11, s12
	v_cndmask_b32_e64 v8, 0, v12, s12
	v_cmp_eq_u32_e64 s12, 1, v9
	v_mul_lo_u32 v4, v5, v4
	v_mad_u64_u32 v[5:6], null, v5, v3, 0
	v_mul_lo_u32 v3, v8, v3
	v_and_b32_e32 v8, 1, v10
	v_cmp_eq_u32_e64 s13, 1, v8
	v_add3_u32 v6, v6, v4, v3
	v_mov_b32_e32 v3, v5
	s_or_b32 s12, s12, s13
	v_cndmask_b32_e64 v9, 0, 1, s12
	v_cndmask_b32_e64 v8, 0, 1, s12
	v_mov_b32_e32 v4, v6
.LBB424_168:
	;; [unrolled: 25-line block ×3, first 2 shown]
	s_or_b32 exec_lo, exec_lo, s14
	ds_swizzle_b32 v7, v5 offset:swizzle(BROADCAST,32,15)
	ds_swizzle_b32 v6, v6 offset:swizzle(BROADCAST,32,15)
	;; [unrolled: 1-line block ×3, first 2 shown]
	v_and_b32_e32 v8, 16, v13
	s_mov_b32 s14, exec_lo
	v_cmpx_ne_u32_e32 0, v8
	s_cbranch_execz .LBB424_172
; %bb.171:
	v_cmp_eq_u16_e64 s12, 0, v9
	s_waitcnt lgkmcnt(0)
	v_and_b32_e32 v5, 1, v5
	v_cndmask_b32_e64 v7, 1, v7, s12
	v_cndmask_b32_e64 v8, 0, v6, s12
	v_cmp_eq_u32_e64 s13, 1, v5
	v_mul_lo_u32 v4, v7, v4
	v_mad_u64_u32 v[6:7], null, v7, v3, 0
	v_mul_lo_u32 v3, v8, v3
	v_and_b32_e32 v8, 1, v9
	v_cmp_eq_u32_e64 s12, 1, v8
	v_add3_u32 v7, v7, v4, v3
	v_mov_b32_e32 v3, v6
	s_or_b32 s12, s12, s13
	v_cndmask_b32_e64 v9, 0, 1, s12
	v_mov_b32_e32 v4, v7
.LBB424_172:
	s_or_b32 exec_lo, exec_lo, s14
	s_waitcnt lgkmcnt(1)
	v_lshrrev_b32_e32 v6, 5, v0
	s_waitcnt lgkmcnt(0)
	v_or_b32_e32 v5, 31, v0
	s_mov_b32 s13, exec_lo
	v_lshlrev_b32_e32 v10, 4, v6
	v_cmpx_eq_u32_e64 v0, v5
	s_cbranch_execz .LBB424_174
; %bb.173:
	ds_write_b64 v10, v[3:4]
	ds_write_b8 v10, v9 offset:8
.LBB424_174:
	s_or_b32 exec_lo, exec_lo, s13
	s_mov_b32 s14, exec_lo
	s_waitcnt vmcnt(0) lgkmcnt(0)
	s_barrier
	buffer_gl0_inv
	v_cmpx_gt_u32_e32 8, v0
	s_cbranch_execz .LBB424_182
; %bb.175:
	v_lshlrev_b32_e32 v11, 4, v0
	v_and_b32_e32 v12, 7, v13
	s_mov_b32 s13, exec_lo
	ds_read_b64 v[5:6], v11
	ds_read_b32 v16, v11 offset:8
	s_waitcnt lgkmcnt(1)
	v_mov_b32_dpp v19, v5 row_shr:1 row_mask:0xf bank_mask:0xf
	v_mov_b32_dpp v20, v6 row_shr:1 row_mask:0xf bank_mask:0xf
	s_waitcnt lgkmcnt(0)
	v_and_b32_e32 v15, 0xffffff00, v16
	v_mov_b32_dpp v18, v16 row_shr:1 row_mask:0xf bank_mask:0xf
	v_mov_b32_e32 v17, v16
	v_mov_b32_e32 v14, v16
	v_mov_b32_e32 v8, v6
	v_mov_b32_e32 v7, v5
	v_cmpx_ne_u32_e32 0, v12
	s_cbranch_execz .LBB424_177
; %bb.176:
	v_mov_b32_e32 v7, 0
	v_cmp_eq_u16_sdwa s12, v16, v7 src0_sel:BYTE_0 src1_sel:DWORD
	v_or_b32_e32 v16, v18, v16
	v_cndmask_b32_e64 v7, 1, v19, s12
	v_cndmask_b32_e64 v14, 0, v20, s12
	v_and_b32_e32 v17, 1, v16
	v_mul_lo_u32 v6, v7, v6
	v_mad_u64_u32 v[7:8], null, v7, v5, 0
	v_mul_lo_u32 v5, v14, v5
	v_and_b32_e32 v14, 1, v16
	v_or_b32_e32 v16, v14, v15
	v_add3_u32 v8, v8, v6, v5
	v_mov_b32_e32 v5, v7
	v_mov_b32_e32 v6, v8
.LBB424_177:
	s_or_b32 exec_lo, exec_lo, s13
	v_mov_b32_dpp v20, v7 row_shr:2 row_mask:0xf bank_mask:0xf
	v_mov_b32_dpp v18, v8 row_shr:2 row_mask:0xf bank_mask:0xf
	;; [unrolled: 1-line block ×3, first 2 shown]
	s_mov_b32 s15, exec_lo
	v_cmpx_lt_u32_e32 1, v12
	s_cbranch_execz .LBB424_179
; %bb.178:
	v_mov_b32_e32 v7, 0
	v_and_b32_e32 v16, 1, v19
	v_cmp_eq_u16_sdwa s12, v14, v7 src0_sel:BYTE_0 src1_sel:DWORD
	v_and_b32_e32 v14, 1, v14
	v_cmp_eq_u32_e64 s13, 1, v16
	v_cndmask_b32_e64 v7, 1, v20, s12
	v_cndmask_b32_e64 v17, 0, v18, s12
	v_cmp_eq_u32_e64 s12, 1, v14
	v_mul_lo_u32 v6, v7, v6
	v_mad_u64_u32 v[7:8], null, v7, v5, 0
	v_mul_lo_u32 v5, v17, v5
	s_or_b32 s12, s12, s13
	v_cndmask_b32_e64 v17, 0, 1, s12
	v_cndmask_b32_e64 v14, 0, 1, s12
	v_add3_u32 v8, v8, v6, v5
	v_mov_b32_e32 v5, v7
	v_or_b32_e32 v16, v15, v14
	v_mov_b32_e32 v14, v17
	v_mov_b32_e32 v6, v8
.LBB424_179:
	s_or_b32 exec_lo, exec_lo, s15
	v_mov_b32_dpp v15, v7 row_shr:4 row_mask:0xf bank_mask:0xf
	v_mov_b32_dpp v8, v8 row_shr:4 row_mask:0xf bank_mask:0xf
	;; [unrolled: 1-line block ×3, first 2 shown]
	s_mov_b32 s15, exec_lo
	v_cmpx_lt_u32_e32 3, v12
	s_cbranch_execz .LBB424_181
; %bb.180:
	v_mov_b32_e32 v12, 0
	v_and_b32_e32 v7, 1, v7
	v_cmp_eq_u16_sdwa s12, v14, v12 src0_sel:BYTE_0 src1_sel:DWORD
	v_cmp_eq_u32_e64 s13, 1, v7
	v_cndmask_b32_e64 v12, 1, v15, s12
	v_cndmask_b32_e64 v8, 0, v8, s12
	v_mul_lo_u32 v6, v12, v6
	v_mad_u64_u32 v[15:16], null, v12, v5, 0
	v_mul_lo_u32 v5, v8, v5
	v_and_b32_e32 v8, 1, v14
	v_cmp_eq_u32_e64 s12, 1, v8
	v_add3_u32 v16, v16, v6, v5
	v_mov_b32_e32 v5, v15
	s_or_b32 s12, s12, s13
	v_cndmask_b32_e64 v17, 0, 1, s12
	v_mov_b32_e32 v6, v16
.LBB424_181:
	s_or_b32 exec_lo, exec_lo, s15
	ds_write_b64 v11, v[5:6]
	ds_write_b8 v11, v17 offset:8
.LBB424_182:
	s_or_b32 exec_lo, exec_lo, s14
	v_mov_b32_e32 v6, v2
	v_mov_b32_e32 v5, v1
	s_mov_b32 s13, exec_lo
	s_waitcnt lgkmcnt(0)
	s_barrier
	buffer_gl0_inv
	v_cmpx_lt_u32_e32 31, v0
	s_cbranch_execz .LBB424_184
; %bb.183:
	v_add_nc_u32_e32 v5, -8, v10
	ds_read_u8 v7, v5
	v_add_nc_u32_e32 v5, -16, v10
	ds_read_b64 v[5:6], v5
	s_waitcnt lgkmcnt(1)
	v_cmp_eq_u16_e64 s12, 0, v7
	v_cndmask_b32_e64 v7, 1, v1, s12
	v_cndmask_b32_e64 v8, 0, v2, s12
	s_waitcnt lgkmcnt(0)
	v_mul_lo_u32 v10, v7, v6
	v_mul_lo_u32 v8, v8, v5
	v_mad_u64_u32 v[5:6], null, v7, v5, 0
	v_add3_u32 v6, v6, v10, v8
.LBB424_184:
	s_or_b32 exec_lo, exec_lo, s13
	v_cmp_eq_u16_e64 s12, 0, v9
	v_cndmask_b32_e64 v7, 1, v5, s12
	v_cndmask_b32_e64 v9, 0, v6, s12
	v_sub_co_u32 v10, s12, v13, 1
	v_mul_lo_u32 v4, v7, v4
	v_mad_u64_u32 v[7:8], null, v7, v3, 0
	v_cmp_gt_i32_e64 s13, 0, v10
	v_mul_lo_u32 v3, v9, v3
	v_cndmask_b32_e64 v9, v10, v13, s13
	v_add3_u32 v3, v8, v4, v3
	v_lshlrev_b32_e32 v9, 2, v9
	ds_bpermute_b32 v3, v9, v3
	ds_bpermute_b32 v4, v9, v7
	s_waitcnt lgkmcnt(1)
	v_cndmask_b32_e64 v54, v3, v6, s12
	s_waitcnt lgkmcnt(0)
	v_cndmask_b32_e64 v53, v4, v5, s12
	v_mov_b32_e32 v5, 0
	v_cndmask_b32_e64 v3, v54, v2, s1
	v_cndmask_b32_e64 v4, v53, v1, s1
	v_cmp_eq_u16_sdwa s12, v87, v5 src0_sel:BYTE_0 src1_sel:DWORD
	v_cndmask_b32_e64 v3, 0, v3, s12
	v_cndmask_b32_e64 v4, 1, v4, s12
	v_mul_lo_u32 v3, v3, v51
	v_mul_lo_u32 v6, v4, v52
	v_mad_u64_u32 v[55:56], null, v4, v51, 0
	v_add3_u32 v56, v56, v6, v3
	v_cndmask_b32_e32 v3, 1, v55, vcc_lo
	v_cndmask_b32_e32 v4, 0, v56, vcc_lo
	v_mul_lo_u32 v6, v3, v28
	v_mad_u64_u32 v[57:58], null, v3, v27, 0
	v_mul_lo_u32 v3, v4, v27
	v_add3_u32 v58, v58, v6, v3
	v_cndmask_b32_e64 v3, 1, v57, s2
	v_cndmask_b32_e64 v4, 0, v58, s2
	v_mul_lo_u32 v6, v3, v48
	v_mad_u64_u32 v[61:62], null, v3, v47, 0
	v_mul_lo_u32 v3, v4, v47
	v_add3_u32 v62, v62, v6, v3
	v_cndmask_b32_e64 v3, 1, v61, s3
	v_cndmask_b32_e64 v4, 0, v62, s3
	;; [unrolled: 6-line block ×10, first 2 shown]
	s_and_saveexec_b32 s2, s1
	s_cbranch_execz .LBB424_186
; %bb.185:
	ds_read_u8 v8, v5 offset:120
	ds_read_b64 v[6:7], v5 offset:112
	v_mov_b32_e32 v54, v2
	v_mov_b32_e32 v53, v1
	s_waitcnt lgkmcnt(1)
	v_cmp_eq_u32_sdwa vcc_lo, v8, v5 src0_sel:WORD_0 src1_sel:DWORD
	v_cndmask_b32_e32 v10, 1, v1, vcc_lo
	v_cndmask_b32_e32 v9, 0, v2, vcc_lo
	s_waitcnt lgkmcnt(0)
	v_mul_lo_u32 v7, v10, v7
	v_mul_hi_u32 v11, v10, v6
	v_mul_lo_u32 v9, v9, v6
	v_mul_lo_u32 v6, v10, v6
	v_add_nc_u32_e32 v7, v11, v7
	v_add_nc_u32_e32 v7, v7, v9
	v_mov_b32_e32 v9, 2
	global_store_byte v5, v8, s[22:23] offset:520
	global_store_dwordx2 v5, v[6:7], s[22:23] offset:512
	s_waitcnt_vscnt null, 0x0
	buffer_gl1_inv
	buffer_gl0_inv
	global_store_byte v5, v9, s[24:25] offset:32
.LBB424_186:
	s_or_b32 exec_lo, exec_lo, s2
.LBB424_187:
	v_mul_lo_u32 v1, v4, v25
	v_mul_lo_u32 v2, v3, v26
	v_mad_u64_u32 v[25:26], null, v3, v25, 0
	s_add_u32 s1, s42, s34
	s_addc_u32 s2, s43, s35
	v_add_co_u32 v29, vcc_lo, s1, v49
	v_add_co_ci_u32_e64 v30, null, s2, v50, vcc_lo
	v_add3_u32 v26, v26, v2, v1
	s_and_b32 vcc_lo, exec_lo, s0
	s_cbranch_vccz .LBB424_231
; %bb.188:
	v_mul_u32_u24_e32 v1, 13, v0
	s_add_i32 s19, s19, s26
	s_mov_b32 s0, exec_lo
	v_cmpx_gt_u32_e64 s19, v1
	s_cbranch_execz .LBB424_206
; %bb.189:
	v_add_nc_u32_e32 v2, 1, v1
	s_mov_b32 s1, exec_lo
	v_cmpx_gt_u32_e64 s19, v2
	s_cbranch_execz .LBB424_205
; %bb.190:
	v_add_nc_u32_e32 v2, 2, v1
	;; [unrolled: 5-line block ×8, first 2 shown]
	s_mov_b32 s8, exec_lo
	v_cmpx_gt_u32_e64 s19, v2
; %bb.197:
	v_add_nc_u32_e32 v2, 9, v1
	s_mov_b32 s9, exec_lo
	v_cmpx_gt_u32_e64 s19, v2
	s_or_b32 exec_lo, exec_lo, s9
; %bb.198:
	s_or_b32 exec_lo, exec_lo, s8
.LBB424_199:
	s_or_b32 exec_lo, exec_lo, s7
.LBB424_200:
	s_or_b32 exec_lo, exec_lo, s6
.LBB424_201:
	s_or_b32 exec_lo, exec_lo, s5
.LBB424_202:
	s_or_b32 exec_lo, exec_lo, s4
.LBB424_203:
	s_or_b32 exec_lo, exec_lo, s3
.LBB424_204:
	s_or_b32 exec_lo, exec_lo, s2
.LBB424_205:
	s_or_b32 exec_lo, exec_lo, s1
.LBB424_206:
	s_or_b32 exec_lo, exec_lo, s0
	v_lshlrev_b32_e32 v31, 3, v1
	s_waitcnt_vscnt null, 0x0
	s_barrier
	buffer_gl0_inv
	v_add_co_u32 v27, vcc_lo, v29, v77
	v_mad_i32_i24 v1, 0xffffffa0, v0, v31
	ds_write2_b64 v31, v[53:54], v[55:56] offset1:1
	ds_write2_b64 v31, v[57:58], v[61:62] offset0:2 offset1:3
	ds_write2_b64 v31, v[59:60], v[63:64] offset0:4 offset1:5
	;; [unrolled: 1-line block ×5, first 2 shown]
	ds_write_b64 v31, v[25:26] offset:96
	s_waitcnt lgkmcnt(0)
	s_barrier
	buffer_gl0_inv
	ds_read2st64_b64 v[21:24], v1 offset0:4 offset1:8
	ds_read2st64_b64 v[17:20], v1 offset0:12 offset1:16
	;; [unrolled: 1-line block ×6, first 2 shown]
	v_add_co_ci_u32_e64 v28, null, 0, v30, vcc_lo
	s_mov_b32 s0, exec_lo
	v_cmpx_gt_u32_e64 s19, v0
	s_cbranch_execz .LBB424_208
; %bb.207:
	v_mul_i32_i24_e32 v32, 0xffffffa0, v0
	v_add_nc_u32_e32 v31, v31, v32
	ds_read_b64 v[31:32], v31
	s_waitcnt lgkmcnt(0)
	flat_store_dwordx2 v[27:28], v[31:32]
.LBB424_208:
	s_or_b32 exec_lo, exec_lo, s0
	v_or_b32_e32 v31, 0x100, v0
	s_mov_b32 s0, exec_lo
	v_cmpx_gt_u32_e64 s19, v31
	s_cbranch_execz .LBB424_210
; %bb.209:
	v_add_co_u32 v31, vcc_lo, 0x800, v27
	v_add_co_ci_u32_e64 v32, null, 0, v28, vcc_lo
	s_waitcnt lgkmcnt(5)
	flat_store_dwordx2 v[31:32], v[21:22]
.LBB424_210:
	s_or_b32 exec_lo, exec_lo, s0
	s_waitcnt lgkmcnt(5)
	v_or_b32_e32 v21, 0x200, v0
	s_mov_b32 s0, exec_lo
	v_cmpx_gt_u32_e64 s19, v21
	s_cbranch_execz .LBB424_212
; %bb.211:
	v_add_co_u32 v21, vcc_lo, 0x1000, v27
	v_add_co_ci_u32_e64 v22, null, 0, v28, vcc_lo
	flat_store_dwordx2 v[21:22], v[23:24]
.LBB424_212:
	s_or_b32 exec_lo, exec_lo, s0
	v_or_b32_e32 v21, 0x300, v0
	s_mov_b32 s0, exec_lo
	v_cmpx_gt_u32_e64 s19, v21
	s_cbranch_execz .LBB424_214
; %bb.213:
	v_add_co_u32 v21, vcc_lo, 0x1800, v27
	v_add_co_ci_u32_e64 v22, null, 0, v28, vcc_lo
	s_waitcnt lgkmcnt(4)
	flat_store_dwordx2 v[21:22], v[17:18]
.LBB424_214:
	s_or_b32 exec_lo, exec_lo, s0
	s_waitcnt lgkmcnt(4)
	v_or_b32_e32 v17, 0x400, v0
	s_mov_b32 s0, exec_lo
	v_cmpx_gt_u32_e64 s19, v17
	s_cbranch_execz .LBB424_216
; %bb.215:
	v_add_co_u32 v17, vcc_lo, 0x2000, v27
	v_add_co_ci_u32_e64 v18, null, 0, v28, vcc_lo
	flat_store_dwordx2 v[17:18], v[19:20]
.LBB424_216:
	;; [unrolled: 22-line block ×5, first 2 shown]
	s_or_b32 exec_lo, exec_lo, s0
	v_or_b32_e32 v5, 0xb00, v0
	s_mov_b32 s0, exec_lo
	v_cmpx_gt_u32_e64 s19, v5
	s_cbranch_execz .LBB424_230
; %bb.229:
	v_add_co_u32 v5, vcc_lo, 0x5800, v27
	v_add_co_ci_u32_e64 v6, null, 0, v28, vcc_lo
	s_waitcnt lgkmcnt(0)
	flat_store_dwordx2 v[5:6], v[1:2]
.LBB424_230:
	s_or_b32 exec_lo, exec_lo, s0
	s_waitcnt lgkmcnt(0)
	v_or_b32_e32 v1, 0xc00, v0
	v_cmp_gt_u32_e64 s0, s19, v1
	s_branch .LBB424_233
.LBB424_231:
	s_mov_b32 s0, 0
                                        ; implicit-def: $vgpr3_vgpr4
	s_cbranch_execz .LBB424_233
; %bb.232:
	v_mul_i32_i24_e32 v2, 0xffffffa0, v0
	v_mul_u32_u24_e32 v1, 0x68, v0
	s_waitcnt_vscnt null, 0x0
	s_barrier
	buffer_gl0_inv
	v_mad_u32_u24 v3, 0x68, v0, v2
	ds_write2_b64 v1, v[53:54], v[55:56] offset1:1
	ds_write2_b64 v1, v[57:58], v[61:62] offset0:2 offset1:3
	ds_write2_b64 v1, v[59:60], v[63:64] offset0:4 offset1:5
	;; [unrolled: 1-line block ×5, first 2 shown]
	ds_write_b64 v1, v[25:26] offset:96
	s_waitcnt lgkmcnt(0)
	s_barrier
	buffer_gl0_inv
	ds_read2st64_b64 v[5:8], v3 offset1:4
	ds_read2st64_b64 v[9:12], v3 offset0:8 offset1:12
	ds_read2st64_b64 v[13:16], v3 offset0:16 offset1:20
	;; [unrolled: 1-line block ×3, first 2 shown]
	v_add_co_u32 v1, vcc_lo, v29, v77
	v_add_co_ci_u32_e64 v2, null, 0, v30, vcc_lo
	ds_read2st64_b64 v[21:24], v3 offset0:32 offset1:36
	v_add_co_u32 v31, vcc_lo, 0x800, v1
	v_add_co_ci_u32_e64 v32, null, 0, v2, vcc_lo
	v_add_co_u32 v33, vcc_lo, 0x1000, v1
	v_add_co_ci_u32_e64 v34, null, 0, v2, vcc_lo
	ds_read2st64_b64 v[25:28], v3 offset0:40 offset1:44
	ds_read_b64 v[3:4], v3 offset:24576
	s_or_b32 s0, s0, exec_lo
	s_waitcnt lgkmcnt(6)
	flat_store_dwordx2 v[1:2], v[5:6]
	flat_store_dwordx2 v[31:32], v[7:8]
	s_waitcnt lgkmcnt(7)
	flat_store_dwordx2 v[33:34], v[9:10]
	v_add_co_u32 v5, vcc_lo, 0x1800, v1
	v_add_co_ci_u32_e64 v6, null, 0, v2, vcc_lo
	v_add_co_u32 v7, vcc_lo, 0x2000, v1
	v_add_co_ci_u32_e64 v8, null, 0, v2, vcc_lo
	;; [unrolled: 2-line block ×5, first 2 shown]
	flat_store_dwordx2 v[5:6], v[11:12]
	s_waitcnt lgkmcnt(8)
	flat_store_dwordx2 v[7:8], v[13:14]
	flat_store_dwordx2 v[9:10], v[15:16]
	s_waitcnt lgkmcnt(9)
	flat_store_dwordx2 v[31:32], v[17:18]
	flat_store_dwordx2 v[33:34], v[19:20]
	v_add_co_u32 v5, vcc_lo, 0x4000, v1
	v_add_co_ci_u32_e64 v6, null, 0, v2, vcc_lo
	v_add_co_u32 v7, vcc_lo, 0x4800, v1
	v_add_co_ci_u32_e64 v8, null, 0, v2, vcc_lo
	v_add_co_u32 v9, vcc_lo, 0x5000, v1
	v_add_co_ci_u32_e64 v10, null, 0, v2, vcc_lo
	v_add_co_u32 v1, vcc_lo, 0x5800, v1
	v_add_co_ci_u32_e64 v2, null, 0, v2, vcc_lo
	s_waitcnt lgkmcnt(10)
	flat_store_dwordx2 v[5:6], v[21:22]
	flat_store_dwordx2 v[7:8], v[23:24]
	s_waitcnt lgkmcnt(11)
	flat_store_dwordx2 v[9:10], v[25:26]
	flat_store_dwordx2 v[1:2], v[27:28]
.LBB424_233:
	s_and_saveexec_b32 s1, s0
	s_cbranch_execz .LBB424_235
; %bb.234:
	v_lshlrev_b32_e32 v0, 3, v0
	v_add_co_u32 v0, vcc_lo, v29, v0
	v_add_co_ci_u32_e64 v1, null, 0, v30, vcc_lo
	v_add_co_u32 v0, vcc_lo, 0x6000, v0
	v_add_co_ci_u32_e64 v1, null, 0, v1, vcc_lo
	s_waitcnt lgkmcnt(12)
	flat_store_dwordx2 v[0:1], v[3:4]
	s_endpgm
.LBB424_235:
	s_endpgm
	.section	.rodata,"a",@progbits
	.p2align	6, 0x0
	.amdhsa_kernel _ZN7rocprim17ROCPRIM_400000_NS6detail17trampoline_kernelINS0_14default_configENS1_27scan_by_key_config_selectorIxxEEZZNS1_16scan_by_key_implILNS1_25lookback_scan_determinismE0ELb1ES3_N6thrust23THRUST_200600_302600_NS6detail15normal_iteratorINS9_10device_ptrIxEEEESE_SE_xNS9_10multipliesIxEENS9_8equal_toIxEExEE10hipError_tPvRmT2_T3_T4_T5_mT6_T7_P12ihipStream_tbENKUlT_T0_E_clISt17integral_constantIbLb0EESY_IbLb1EEEEDaSU_SV_EUlSU_E_NS1_11comp_targetILNS1_3genE8ELNS1_11target_archE1030ELNS1_3gpuE2ELNS1_3repE0EEENS1_30default_config_static_selectorELNS0_4arch9wavefront6targetE0EEEvT1_
		.amdhsa_group_segment_fixed_size 30720
		.amdhsa_private_segment_fixed_size 0
		.amdhsa_kernarg_size 136
		.amdhsa_user_sgpr_count 6
		.amdhsa_user_sgpr_private_segment_buffer 1
		.amdhsa_user_sgpr_dispatch_ptr 0
		.amdhsa_user_sgpr_queue_ptr 0
		.amdhsa_user_sgpr_kernarg_segment_ptr 1
		.amdhsa_user_sgpr_dispatch_id 0
		.amdhsa_user_sgpr_flat_scratch_init 0
		.amdhsa_user_sgpr_private_segment_size 0
		.amdhsa_wavefront_size32 1
		.amdhsa_uses_dynamic_stack 0
		.amdhsa_system_sgpr_private_segment_wavefront_offset 0
		.amdhsa_system_sgpr_workgroup_id_x 1
		.amdhsa_system_sgpr_workgroup_id_y 0
		.amdhsa_system_sgpr_workgroup_id_z 0
		.amdhsa_system_sgpr_workgroup_info 0
		.amdhsa_system_vgpr_workitem_id 0
		.amdhsa_next_free_vgpr 113
		.amdhsa_next_free_sgpr 51
		.amdhsa_reserve_vcc 1
		.amdhsa_reserve_flat_scratch 1
		.amdhsa_float_round_mode_32 0
		.amdhsa_float_round_mode_16_64 0
		.amdhsa_float_denorm_mode_32 3
		.amdhsa_float_denorm_mode_16_64 3
		.amdhsa_dx10_clamp 1
		.amdhsa_ieee_mode 1
		.amdhsa_fp16_overflow 0
		.amdhsa_workgroup_processor_mode 1
		.amdhsa_memory_ordered 1
		.amdhsa_forward_progress 1
		.amdhsa_shared_vgpr_count 0
		.amdhsa_exception_fp_ieee_invalid_op 0
		.amdhsa_exception_fp_denorm_src 0
		.amdhsa_exception_fp_ieee_div_zero 0
		.amdhsa_exception_fp_ieee_overflow 0
		.amdhsa_exception_fp_ieee_underflow 0
		.amdhsa_exception_fp_ieee_inexact 0
		.amdhsa_exception_int_div_zero 0
	.end_amdhsa_kernel
	.section	.text._ZN7rocprim17ROCPRIM_400000_NS6detail17trampoline_kernelINS0_14default_configENS1_27scan_by_key_config_selectorIxxEEZZNS1_16scan_by_key_implILNS1_25lookback_scan_determinismE0ELb1ES3_N6thrust23THRUST_200600_302600_NS6detail15normal_iteratorINS9_10device_ptrIxEEEESE_SE_xNS9_10multipliesIxEENS9_8equal_toIxEExEE10hipError_tPvRmT2_T3_T4_T5_mT6_T7_P12ihipStream_tbENKUlT_T0_E_clISt17integral_constantIbLb0EESY_IbLb1EEEEDaSU_SV_EUlSU_E_NS1_11comp_targetILNS1_3genE8ELNS1_11target_archE1030ELNS1_3gpuE2ELNS1_3repE0EEENS1_30default_config_static_selectorELNS0_4arch9wavefront6targetE0EEEvT1_,"axG",@progbits,_ZN7rocprim17ROCPRIM_400000_NS6detail17trampoline_kernelINS0_14default_configENS1_27scan_by_key_config_selectorIxxEEZZNS1_16scan_by_key_implILNS1_25lookback_scan_determinismE0ELb1ES3_N6thrust23THRUST_200600_302600_NS6detail15normal_iteratorINS9_10device_ptrIxEEEESE_SE_xNS9_10multipliesIxEENS9_8equal_toIxEExEE10hipError_tPvRmT2_T3_T4_T5_mT6_T7_P12ihipStream_tbENKUlT_T0_E_clISt17integral_constantIbLb0EESY_IbLb1EEEEDaSU_SV_EUlSU_E_NS1_11comp_targetILNS1_3genE8ELNS1_11target_archE1030ELNS1_3gpuE2ELNS1_3repE0EEENS1_30default_config_static_selectorELNS0_4arch9wavefront6targetE0EEEvT1_,comdat
.Lfunc_end424:
	.size	_ZN7rocprim17ROCPRIM_400000_NS6detail17trampoline_kernelINS0_14default_configENS1_27scan_by_key_config_selectorIxxEEZZNS1_16scan_by_key_implILNS1_25lookback_scan_determinismE0ELb1ES3_N6thrust23THRUST_200600_302600_NS6detail15normal_iteratorINS9_10device_ptrIxEEEESE_SE_xNS9_10multipliesIxEENS9_8equal_toIxEExEE10hipError_tPvRmT2_T3_T4_T5_mT6_T7_P12ihipStream_tbENKUlT_T0_E_clISt17integral_constantIbLb0EESY_IbLb1EEEEDaSU_SV_EUlSU_E_NS1_11comp_targetILNS1_3genE8ELNS1_11target_archE1030ELNS1_3gpuE2ELNS1_3repE0EEENS1_30default_config_static_selectorELNS0_4arch9wavefront6targetE0EEEvT1_, .Lfunc_end424-_ZN7rocprim17ROCPRIM_400000_NS6detail17trampoline_kernelINS0_14default_configENS1_27scan_by_key_config_selectorIxxEEZZNS1_16scan_by_key_implILNS1_25lookback_scan_determinismE0ELb1ES3_N6thrust23THRUST_200600_302600_NS6detail15normal_iteratorINS9_10device_ptrIxEEEESE_SE_xNS9_10multipliesIxEENS9_8equal_toIxEExEE10hipError_tPvRmT2_T3_T4_T5_mT6_T7_P12ihipStream_tbENKUlT_T0_E_clISt17integral_constantIbLb0EESY_IbLb1EEEEDaSU_SV_EUlSU_E_NS1_11comp_targetILNS1_3genE8ELNS1_11target_archE1030ELNS1_3gpuE2ELNS1_3repE0EEENS1_30default_config_static_selectorELNS0_4arch9wavefront6targetE0EEEvT1_
                                        ; -- End function
	.set _ZN7rocprim17ROCPRIM_400000_NS6detail17trampoline_kernelINS0_14default_configENS1_27scan_by_key_config_selectorIxxEEZZNS1_16scan_by_key_implILNS1_25lookback_scan_determinismE0ELb1ES3_N6thrust23THRUST_200600_302600_NS6detail15normal_iteratorINS9_10device_ptrIxEEEESE_SE_xNS9_10multipliesIxEENS9_8equal_toIxEExEE10hipError_tPvRmT2_T3_T4_T5_mT6_T7_P12ihipStream_tbENKUlT_T0_E_clISt17integral_constantIbLb0EESY_IbLb1EEEEDaSU_SV_EUlSU_E_NS1_11comp_targetILNS1_3genE8ELNS1_11target_archE1030ELNS1_3gpuE2ELNS1_3repE0EEENS1_30default_config_static_selectorELNS0_4arch9wavefront6targetE0EEEvT1_.num_vgpr, 109
	.set _ZN7rocprim17ROCPRIM_400000_NS6detail17trampoline_kernelINS0_14default_configENS1_27scan_by_key_config_selectorIxxEEZZNS1_16scan_by_key_implILNS1_25lookback_scan_determinismE0ELb1ES3_N6thrust23THRUST_200600_302600_NS6detail15normal_iteratorINS9_10device_ptrIxEEEESE_SE_xNS9_10multipliesIxEENS9_8equal_toIxEExEE10hipError_tPvRmT2_T3_T4_T5_mT6_T7_P12ihipStream_tbENKUlT_T0_E_clISt17integral_constantIbLb0EESY_IbLb1EEEEDaSU_SV_EUlSU_E_NS1_11comp_targetILNS1_3genE8ELNS1_11target_archE1030ELNS1_3gpuE2ELNS1_3repE0EEENS1_30default_config_static_selectorELNS0_4arch9wavefront6targetE0EEEvT1_.num_agpr, 0
	.set _ZN7rocprim17ROCPRIM_400000_NS6detail17trampoline_kernelINS0_14default_configENS1_27scan_by_key_config_selectorIxxEEZZNS1_16scan_by_key_implILNS1_25lookback_scan_determinismE0ELb1ES3_N6thrust23THRUST_200600_302600_NS6detail15normal_iteratorINS9_10device_ptrIxEEEESE_SE_xNS9_10multipliesIxEENS9_8equal_toIxEExEE10hipError_tPvRmT2_T3_T4_T5_mT6_T7_P12ihipStream_tbENKUlT_T0_E_clISt17integral_constantIbLb0EESY_IbLb1EEEEDaSU_SV_EUlSU_E_NS1_11comp_targetILNS1_3genE8ELNS1_11target_archE1030ELNS1_3gpuE2ELNS1_3repE0EEENS1_30default_config_static_selectorELNS0_4arch9wavefront6targetE0EEEvT1_.numbered_sgpr, 51
	.set _ZN7rocprim17ROCPRIM_400000_NS6detail17trampoline_kernelINS0_14default_configENS1_27scan_by_key_config_selectorIxxEEZZNS1_16scan_by_key_implILNS1_25lookback_scan_determinismE0ELb1ES3_N6thrust23THRUST_200600_302600_NS6detail15normal_iteratorINS9_10device_ptrIxEEEESE_SE_xNS9_10multipliesIxEENS9_8equal_toIxEExEE10hipError_tPvRmT2_T3_T4_T5_mT6_T7_P12ihipStream_tbENKUlT_T0_E_clISt17integral_constantIbLb0EESY_IbLb1EEEEDaSU_SV_EUlSU_E_NS1_11comp_targetILNS1_3genE8ELNS1_11target_archE1030ELNS1_3gpuE2ELNS1_3repE0EEENS1_30default_config_static_selectorELNS0_4arch9wavefront6targetE0EEEvT1_.num_named_barrier, 0
	.set _ZN7rocprim17ROCPRIM_400000_NS6detail17trampoline_kernelINS0_14default_configENS1_27scan_by_key_config_selectorIxxEEZZNS1_16scan_by_key_implILNS1_25lookback_scan_determinismE0ELb1ES3_N6thrust23THRUST_200600_302600_NS6detail15normal_iteratorINS9_10device_ptrIxEEEESE_SE_xNS9_10multipliesIxEENS9_8equal_toIxEExEE10hipError_tPvRmT2_T3_T4_T5_mT6_T7_P12ihipStream_tbENKUlT_T0_E_clISt17integral_constantIbLb0EESY_IbLb1EEEEDaSU_SV_EUlSU_E_NS1_11comp_targetILNS1_3genE8ELNS1_11target_archE1030ELNS1_3gpuE2ELNS1_3repE0EEENS1_30default_config_static_selectorELNS0_4arch9wavefront6targetE0EEEvT1_.private_seg_size, 0
	.set _ZN7rocprim17ROCPRIM_400000_NS6detail17trampoline_kernelINS0_14default_configENS1_27scan_by_key_config_selectorIxxEEZZNS1_16scan_by_key_implILNS1_25lookback_scan_determinismE0ELb1ES3_N6thrust23THRUST_200600_302600_NS6detail15normal_iteratorINS9_10device_ptrIxEEEESE_SE_xNS9_10multipliesIxEENS9_8equal_toIxEExEE10hipError_tPvRmT2_T3_T4_T5_mT6_T7_P12ihipStream_tbENKUlT_T0_E_clISt17integral_constantIbLb0EESY_IbLb1EEEEDaSU_SV_EUlSU_E_NS1_11comp_targetILNS1_3genE8ELNS1_11target_archE1030ELNS1_3gpuE2ELNS1_3repE0EEENS1_30default_config_static_selectorELNS0_4arch9wavefront6targetE0EEEvT1_.uses_vcc, 1
	.set _ZN7rocprim17ROCPRIM_400000_NS6detail17trampoline_kernelINS0_14default_configENS1_27scan_by_key_config_selectorIxxEEZZNS1_16scan_by_key_implILNS1_25lookback_scan_determinismE0ELb1ES3_N6thrust23THRUST_200600_302600_NS6detail15normal_iteratorINS9_10device_ptrIxEEEESE_SE_xNS9_10multipliesIxEENS9_8equal_toIxEExEE10hipError_tPvRmT2_T3_T4_T5_mT6_T7_P12ihipStream_tbENKUlT_T0_E_clISt17integral_constantIbLb0EESY_IbLb1EEEEDaSU_SV_EUlSU_E_NS1_11comp_targetILNS1_3genE8ELNS1_11target_archE1030ELNS1_3gpuE2ELNS1_3repE0EEENS1_30default_config_static_selectorELNS0_4arch9wavefront6targetE0EEEvT1_.uses_flat_scratch, 1
	.set _ZN7rocprim17ROCPRIM_400000_NS6detail17trampoline_kernelINS0_14default_configENS1_27scan_by_key_config_selectorIxxEEZZNS1_16scan_by_key_implILNS1_25lookback_scan_determinismE0ELb1ES3_N6thrust23THRUST_200600_302600_NS6detail15normal_iteratorINS9_10device_ptrIxEEEESE_SE_xNS9_10multipliesIxEENS9_8equal_toIxEExEE10hipError_tPvRmT2_T3_T4_T5_mT6_T7_P12ihipStream_tbENKUlT_T0_E_clISt17integral_constantIbLb0EESY_IbLb1EEEEDaSU_SV_EUlSU_E_NS1_11comp_targetILNS1_3genE8ELNS1_11target_archE1030ELNS1_3gpuE2ELNS1_3repE0EEENS1_30default_config_static_selectorELNS0_4arch9wavefront6targetE0EEEvT1_.has_dyn_sized_stack, 0
	.set _ZN7rocprim17ROCPRIM_400000_NS6detail17trampoline_kernelINS0_14default_configENS1_27scan_by_key_config_selectorIxxEEZZNS1_16scan_by_key_implILNS1_25lookback_scan_determinismE0ELb1ES3_N6thrust23THRUST_200600_302600_NS6detail15normal_iteratorINS9_10device_ptrIxEEEESE_SE_xNS9_10multipliesIxEENS9_8equal_toIxEExEE10hipError_tPvRmT2_T3_T4_T5_mT6_T7_P12ihipStream_tbENKUlT_T0_E_clISt17integral_constantIbLb0EESY_IbLb1EEEEDaSU_SV_EUlSU_E_NS1_11comp_targetILNS1_3genE8ELNS1_11target_archE1030ELNS1_3gpuE2ELNS1_3repE0EEENS1_30default_config_static_selectorELNS0_4arch9wavefront6targetE0EEEvT1_.has_recursion, 0
	.set _ZN7rocprim17ROCPRIM_400000_NS6detail17trampoline_kernelINS0_14default_configENS1_27scan_by_key_config_selectorIxxEEZZNS1_16scan_by_key_implILNS1_25lookback_scan_determinismE0ELb1ES3_N6thrust23THRUST_200600_302600_NS6detail15normal_iteratorINS9_10device_ptrIxEEEESE_SE_xNS9_10multipliesIxEENS9_8equal_toIxEExEE10hipError_tPvRmT2_T3_T4_T5_mT6_T7_P12ihipStream_tbENKUlT_T0_E_clISt17integral_constantIbLb0EESY_IbLb1EEEEDaSU_SV_EUlSU_E_NS1_11comp_targetILNS1_3genE8ELNS1_11target_archE1030ELNS1_3gpuE2ELNS1_3repE0EEENS1_30default_config_static_selectorELNS0_4arch9wavefront6targetE0EEEvT1_.has_indirect_call, 0
	.section	.AMDGPU.csdata,"",@progbits
; Kernel info:
; codeLenInByte = 17420
; TotalNumSgprs: 53
; NumVgprs: 109
; ScratchSize: 0
; MemoryBound: 0
; FloatMode: 240
; IeeeMode: 1
; LDSByteSize: 30720 bytes/workgroup (compile time only)
; SGPRBlocks: 0
; VGPRBlocks: 14
; NumSGPRsForWavesPerEU: 53
; NumVGPRsForWavesPerEU: 113
; Occupancy: 8
; WaveLimiterHint : 1
; COMPUTE_PGM_RSRC2:SCRATCH_EN: 0
; COMPUTE_PGM_RSRC2:USER_SGPR: 6
; COMPUTE_PGM_RSRC2:TRAP_HANDLER: 0
; COMPUTE_PGM_RSRC2:TGID_X_EN: 1
; COMPUTE_PGM_RSRC2:TGID_Y_EN: 0
; COMPUTE_PGM_RSRC2:TGID_Z_EN: 0
; COMPUTE_PGM_RSRC2:TIDIG_COMP_CNT: 0
	.section	.text._ZN7rocprim17ROCPRIM_400000_NS6detail17trampoline_kernelINS0_14default_configENS1_27scan_by_key_config_selectorIxxEEZZNS1_16scan_by_key_implILNS1_25lookback_scan_determinismE0ELb1ES3_N6thrust23THRUST_200600_302600_NS6detail15normal_iteratorINS9_10device_ptrIxEEEESE_SE_xNS9_4plusIvEENS9_8equal_toIxEExEE10hipError_tPvRmT2_T3_T4_T5_mT6_T7_P12ihipStream_tbENKUlT_T0_E_clISt17integral_constantIbLb0EESZ_EEDaSU_SV_EUlSU_E_NS1_11comp_targetILNS1_3genE0ELNS1_11target_archE4294967295ELNS1_3gpuE0ELNS1_3repE0EEENS1_30default_config_static_selectorELNS0_4arch9wavefront6targetE0EEEvT1_,"axG",@progbits,_ZN7rocprim17ROCPRIM_400000_NS6detail17trampoline_kernelINS0_14default_configENS1_27scan_by_key_config_selectorIxxEEZZNS1_16scan_by_key_implILNS1_25lookback_scan_determinismE0ELb1ES3_N6thrust23THRUST_200600_302600_NS6detail15normal_iteratorINS9_10device_ptrIxEEEESE_SE_xNS9_4plusIvEENS9_8equal_toIxEExEE10hipError_tPvRmT2_T3_T4_T5_mT6_T7_P12ihipStream_tbENKUlT_T0_E_clISt17integral_constantIbLb0EESZ_EEDaSU_SV_EUlSU_E_NS1_11comp_targetILNS1_3genE0ELNS1_11target_archE4294967295ELNS1_3gpuE0ELNS1_3repE0EEENS1_30default_config_static_selectorELNS0_4arch9wavefront6targetE0EEEvT1_,comdat
	.protected	_ZN7rocprim17ROCPRIM_400000_NS6detail17trampoline_kernelINS0_14default_configENS1_27scan_by_key_config_selectorIxxEEZZNS1_16scan_by_key_implILNS1_25lookback_scan_determinismE0ELb1ES3_N6thrust23THRUST_200600_302600_NS6detail15normal_iteratorINS9_10device_ptrIxEEEESE_SE_xNS9_4plusIvEENS9_8equal_toIxEExEE10hipError_tPvRmT2_T3_T4_T5_mT6_T7_P12ihipStream_tbENKUlT_T0_E_clISt17integral_constantIbLb0EESZ_EEDaSU_SV_EUlSU_E_NS1_11comp_targetILNS1_3genE0ELNS1_11target_archE4294967295ELNS1_3gpuE0ELNS1_3repE0EEENS1_30default_config_static_selectorELNS0_4arch9wavefront6targetE0EEEvT1_ ; -- Begin function _ZN7rocprim17ROCPRIM_400000_NS6detail17trampoline_kernelINS0_14default_configENS1_27scan_by_key_config_selectorIxxEEZZNS1_16scan_by_key_implILNS1_25lookback_scan_determinismE0ELb1ES3_N6thrust23THRUST_200600_302600_NS6detail15normal_iteratorINS9_10device_ptrIxEEEESE_SE_xNS9_4plusIvEENS9_8equal_toIxEExEE10hipError_tPvRmT2_T3_T4_T5_mT6_T7_P12ihipStream_tbENKUlT_T0_E_clISt17integral_constantIbLb0EESZ_EEDaSU_SV_EUlSU_E_NS1_11comp_targetILNS1_3genE0ELNS1_11target_archE4294967295ELNS1_3gpuE0ELNS1_3repE0EEENS1_30default_config_static_selectorELNS0_4arch9wavefront6targetE0EEEvT1_
	.globl	_ZN7rocprim17ROCPRIM_400000_NS6detail17trampoline_kernelINS0_14default_configENS1_27scan_by_key_config_selectorIxxEEZZNS1_16scan_by_key_implILNS1_25lookback_scan_determinismE0ELb1ES3_N6thrust23THRUST_200600_302600_NS6detail15normal_iteratorINS9_10device_ptrIxEEEESE_SE_xNS9_4plusIvEENS9_8equal_toIxEExEE10hipError_tPvRmT2_T3_T4_T5_mT6_T7_P12ihipStream_tbENKUlT_T0_E_clISt17integral_constantIbLb0EESZ_EEDaSU_SV_EUlSU_E_NS1_11comp_targetILNS1_3genE0ELNS1_11target_archE4294967295ELNS1_3gpuE0ELNS1_3repE0EEENS1_30default_config_static_selectorELNS0_4arch9wavefront6targetE0EEEvT1_
	.p2align	8
	.type	_ZN7rocprim17ROCPRIM_400000_NS6detail17trampoline_kernelINS0_14default_configENS1_27scan_by_key_config_selectorIxxEEZZNS1_16scan_by_key_implILNS1_25lookback_scan_determinismE0ELb1ES3_N6thrust23THRUST_200600_302600_NS6detail15normal_iteratorINS9_10device_ptrIxEEEESE_SE_xNS9_4plusIvEENS9_8equal_toIxEExEE10hipError_tPvRmT2_T3_T4_T5_mT6_T7_P12ihipStream_tbENKUlT_T0_E_clISt17integral_constantIbLb0EESZ_EEDaSU_SV_EUlSU_E_NS1_11comp_targetILNS1_3genE0ELNS1_11target_archE4294967295ELNS1_3gpuE0ELNS1_3repE0EEENS1_30default_config_static_selectorELNS0_4arch9wavefront6targetE0EEEvT1_,@function
_ZN7rocprim17ROCPRIM_400000_NS6detail17trampoline_kernelINS0_14default_configENS1_27scan_by_key_config_selectorIxxEEZZNS1_16scan_by_key_implILNS1_25lookback_scan_determinismE0ELb1ES3_N6thrust23THRUST_200600_302600_NS6detail15normal_iteratorINS9_10device_ptrIxEEEESE_SE_xNS9_4plusIvEENS9_8equal_toIxEExEE10hipError_tPvRmT2_T3_T4_T5_mT6_T7_P12ihipStream_tbENKUlT_T0_E_clISt17integral_constantIbLb0EESZ_EEDaSU_SV_EUlSU_E_NS1_11comp_targetILNS1_3genE0ELNS1_11target_archE4294967295ELNS1_3gpuE0ELNS1_3repE0EEENS1_30default_config_static_selectorELNS0_4arch9wavefront6targetE0EEEvT1_: ; @_ZN7rocprim17ROCPRIM_400000_NS6detail17trampoline_kernelINS0_14default_configENS1_27scan_by_key_config_selectorIxxEEZZNS1_16scan_by_key_implILNS1_25lookback_scan_determinismE0ELb1ES3_N6thrust23THRUST_200600_302600_NS6detail15normal_iteratorINS9_10device_ptrIxEEEESE_SE_xNS9_4plusIvEENS9_8equal_toIxEExEE10hipError_tPvRmT2_T3_T4_T5_mT6_T7_P12ihipStream_tbENKUlT_T0_E_clISt17integral_constantIbLb0EESZ_EEDaSU_SV_EUlSU_E_NS1_11comp_targetILNS1_3genE0ELNS1_11target_archE4294967295ELNS1_3gpuE0ELNS1_3repE0EEENS1_30default_config_static_selectorELNS0_4arch9wavefront6targetE0EEEvT1_
; %bb.0:
	.section	.rodata,"a",@progbits
	.p2align	6, 0x0
	.amdhsa_kernel _ZN7rocprim17ROCPRIM_400000_NS6detail17trampoline_kernelINS0_14default_configENS1_27scan_by_key_config_selectorIxxEEZZNS1_16scan_by_key_implILNS1_25lookback_scan_determinismE0ELb1ES3_N6thrust23THRUST_200600_302600_NS6detail15normal_iteratorINS9_10device_ptrIxEEEESE_SE_xNS9_4plusIvEENS9_8equal_toIxEExEE10hipError_tPvRmT2_T3_T4_T5_mT6_T7_P12ihipStream_tbENKUlT_T0_E_clISt17integral_constantIbLb0EESZ_EEDaSU_SV_EUlSU_E_NS1_11comp_targetILNS1_3genE0ELNS1_11target_archE4294967295ELNS1_3gpuE0ELNS1_3repE0EEENS1_30default_config_static_selectorELNS0_4arch9wavefront6targetE0EEEvT1_
		.amdhsa_group_segment_fixed_size 0
		.amdhsa_private_segment_fixed_size 0
		.amdhsa_kernarg_size 136
		.amdhsa_user_sgpr_count 6
		.amdhsa_user_sgpr_private_segment_buffer 1
		.amdhsa_user_sgpr_dispatch_ptr 0
		.amdhsa_user_sgpr_queue_ptr 0
		.amdhsa_user_sgpr_kernarg_segment_ptr 1
		.amdhsa_user_sgpr_dispatch_id 0
		.amdhsa_user_sgpr_flat_scratch_init 0
		.amdhsa_user_sgpr_private_segment_size 0
		.amdhsa_wavefront_size32 1
		.amdhsa_uses_dynamic_stack 0
		.amdhsa_system_sgpr_private_segment_wavefront_offset 0
		.amdhsa_system_sgpr_workgroup_id_x 1
		.amdhsa_system_sgpr_workgroup_id_y 0
		.amdhsa_system_sgpr_workgroup_id_z 0
		.amdhsa_system_sgpr_workgroup_info 0
		.amdhsa_system_vgpr_workitem_id 0
		.amdhsa_next_free_vgpr 1
		.amdhsa_next_free_sgpr 1
		.amdhsa_reserve_vcc 0
		.amdhsa_reserve_flat_scratch 0
		.amdhsa_float_round_mode_32 0
		.amdhsa_float_round_mode_16_64 0
		.amdhsa_float_denorm_mode_32 3
		.amdhsa_float_denorm_mode_16_64 3
		.amdhsa_dx10_clamp 1
		.amdhsa_ieee_mode 1
		.amdhsa_fp16_overflow 0
		.amdhsa_workgroup_processor_mode 1
		.amdhsa_memory_ordered 1
		.amdhsa_forward_progress 1
		.amdhsa_shared_vgpr_count 0
		.amdhsa_exception_fp_ieee_invalid_op 0
		.amdhsa_exception_fp_denorm_src 0
		.amdhsa_exception_fp_ieee_div_zero 0
		.amdhsa_exception_fp_ieee_overflow 0
		.amdhsa_exception_fp_ieee_underflow 0
		.amdhsa_exception_fp_ieee_inexact 0
		.amdhsa_exception_int_div_zero 0
	.end_amdhsa_kernel
	.section	.text._ZN7rocprim17ROCPRIM_400000_NS6detail17trampoline_kernelINS0_14default_configENS1_27scan_by_key_config_selectorIxxEEZZNS1_16scan_by_key_implILNS1_25lookback_scan_determinismE0ELb1ES3_N6thrust23THRUST_200600_302600_NS6detail15normal_iteratorINS9_10device_ptrIxEEEESE_SE_xNS9_4plusIvEENS9_8equal_toIxEExEE10hipError_tPvRmT2_T3_T4_T5_mT6_T7_P12ihipStream_tbENKUlT_T0_E_clISt17integral_constantIbLb0EESZ_EEDaSU_SV_EUlSU_E_NS1_11comp_targetILNS1_3genE0ELNS1_11target_archE4294967295ELNS1_3gpuE0ELNS1_3repE0EEENS1_30default_config_static_selectorELNS0_4arch9wavefront6targetE0EEEvT1_,"axG",@progbits,_ZN7rocprim17ROCPRIM_400000_NS6detail17trampoline_kernelINS0_14default_configENS1_27scan_by_key_config_selectorIxxEEZZNS1_16scan_by_key_implILNS1_25lookback_scan_determinismE0ELb1ES3_N6thrust23THRUST_200600_302600_NS6detail15normal_iteratorINS9_10device_ptrIxEEEESE_SE_xNS9_4plusIvEENS9_8equal_toIxEExEE10hipError_tPvRmT2_T3_T4_T5_mT6_T7_P12ihipStream_tbENKUlT_T0_E_clISt17integral_constantIbLb0EESZ_EEDaSU_SV_EUlSU_E_NS1_11comp_targetILNS1_3genE0ELNS1_11target_archE4294967295ELNS1_3gpuE0ELNS1_3repE0EEENS1_30default_config_static_selectorELNS0_4arch9wavefront6targetE0EEEvT1_,comdat
.Lfunc_end425:
	.size	_ZN7rocprim17ROCPRIM_400000_NS6detail17trampoline_kernelINS0_14default_configENS1_27scan_by_key_config_selectorIxxEEZZNS1_16scan_by_key_implILNS1_25lookback_scan_determinismE0ELb1ES3_N6thrust23THRUST_200600_302600_NS6detail15normal_iteratorINS9_10device_ptrIxEEEESE_SE_xNS9_4plusIvEENS9_8equal_toIxEExEE10hipError_tPvRmT2_T3_T4_T5_mT6_T7_P12ihipStream_tbENKUlT_T0_E_clISt17integral_constantIbLb0EESZ_EEDaSU_SV_EUlSU_E_NS1_11comp_targetILNS1_3genE0ELNS1_11target_archE4294967295ELNS1_3gpuE0ELNS1_3repE0EEENS1_30default_config_static_selectorELNS0_4arch9wavefront6targetE0EEEvT1_, .Lfunc_end425-_ZN7rocprim17ROCPRIM_400000_NS6detail17trampoline_kernelINS0_14default_configENS1_27scan_by_key_config_selectorIxxEEZZNS1_16scan_by_key_implILNS1_25lookback_scan_determinismE0ELb1ES3_N6thrust23THRUST_200600_302600_NS6detail15normal_iteratorINS9_10device_ptrIxEEEESE_SE_xNS9_4plusIvEENS9_8equal_toIxEExEE10hipError_tPvRmT2_T3_T4_T5_mT6_T7_P12ihipStream_tbENKUlT_T0_E_clISt17integral_constantIbLb0EESZ_EEDaSU_SV_EUlSU_E_NS1_11comp_targetILNS1_3genE0ELNS1_11target_archE4294967295ELNS1_3gpuE0ELNS1_3repE0EEENS1_30default_config_static_selectorELNS0_4arch9wavefront6targetE0EEEvT1_
                                        ; -- End function
	.set _ZN7rocprim17ROCPRIM_400000_NS6detail17trampoline_kernelINS0_14default_configENS1_27scan_by_key_config_selectorIxxEEZZNS1_16scan_by_key_implILNS1_25lookback_scan_determinismE0ELb1ES3_N6thrust23THRUST_200600_302600_NS6detail15normal_iteratorINS9_10device_ptrIxEEEESE_SE_xNS9_4plusIvEENS9_8equal_toIxEExEE10hipError_tPvRmT2_T3_T4_T5_mT6_T7_P12ihipStream_tbENKUlT_T0_E_clISt17integral_constantIbLb0EESZ_EEDaSU_SV_EUlSU_E_NS1_11comp_targetILNS1_3genE0ELNS1_11target_archE4294967295ELNS1_3gpuE0ELNS1_3repE0EEENS1_30default_config_static_selectorELNS0_4arch9wavefront6targetE0EEEvT1_.num_vgpr, 0
	.set _ZN7rocprim17ROCPRIM_400000_NS6detail17trampoline_kernelINS0_14default_configENS1_27scan_by_key_config_selectorIxxEEZZNS1_16scan_by_key_implILNS1_25lookback_scan_determinismE0ELb1ES3_N6thrust23THRUST_200600_302600_NS6detail15normal_iteratorINS9_10device_ptrIxEEEESE_SE_xNS9_4plusIvEENS9_8equal_toIxEExEE10hipError_tPvRmT2_T3_T4_T5_mT6_T7_P12ihipStream_tbENKUlT_T0_E_clISt17integral_constantIbLb0EESZ_EEDaSU_SV_EUlSU_E_NS1_11comp_targetILNS1_3genE0ELNS1_11target_archE4294967295ELNS1_3gpuE0ELNS1_3repE0EEENS1_30default_config_static_selectorELNS0_4arch9wavefront6targetE0EEEvT1_.num_agpr, 0
	.set _ZN7rocprim17ROCPRIM_400000_NS6detail17trampoline_kernelINS0_14default_configENS1_27scan_by_key_config_selectorIxxEEZZNS1_16scan_by_key_implILNS1_25lookback_scan_determinismE0ELb1ES3_N6thrust23THRUST_200600_302600_NS6detail15normal_iteratorINS9_10device_ptrIxEEEESE_SE_xNS9_4plusIvEENS9_8equal_toIxEExEE10hipError_tPvRmT2_T3_T4_T5_mT6_T7_P12ihipStream_tbENKUlT_T0_E_clISt17integral_constantIbLb0EESZ_EEDaSU_SV_EUlSU_E_NS1_11comp_targetILNS1_3genE0ELNS1_11target_archE4294967295ELNS1_3gpuE0ELNS1_3repE0EEENS1_30default_config_static_selectorELNS0_4arch9wavefront6targetE0EEEvT1_.numbered_sgpr, 0
	.set _ZN7rocprim17ROCPRIM_400000_NS6detail17trampoline_kernelINS0_14default_configENS1_27scan_by_key_config_selectorIxxEEZZNS1_16scan_by_key_implILNS1_25lookback_scan_determinismE0ELb1ES3_N6thrust23THRUST_200600_302600_NS6detail15normal_iteratorINS9_10device_ptrIxEEEESE_SE_xNS9_4plusIvEENS9_8equal_toIxEExEE10hipError_tPvRmT2_T3_T4_T5_mT6_T7_P12ihipStream_tbENKUlT_T0_E_clISt17integral_constantIbLb0EESZ_EEDaSU_SV_EUlSU_E_NS1_11comp_targetILNS1_3genE0ELNS1_11target_archE4294967295ELNS1_3gpuE0ELNS1_3repE0EEENS1_30default_config_static_selectorELNS0_4arch9wavefront6targetE0EEEvT1_.num_named_barrier, 0
	.set _ZN7rocprim17ROCPRIM_400000_NS6detail17trampoline_kernelINS0_14default_configENS1_27scan_by_key_config_selectorIxxEEZZNS1_16scan_by_key_implILNS1_25lookback_scan_determinismE0ELb1ES3_N6thrust23THRUST_200600_302600_NS6detail15normal_iteratorINS9_10device_ptrIxEEEESE_SE_xNS9_4plusIvEENS9_8equal_toIxEExEE10hipError_tPvRmT2_T3_T4_T5_mT6_T7_P12ihipStream_tbENKUlT_T0_E_clISt17integral_constantIbLb0EESZ_EEDaSU_SV_EUlSU_E_NS1_11comp_targetILNS1_3genE0ELNS1_11target_archE4294967295ELNS1_3gpuE0ELNS1_3repE0EEENS1_30default_config_static_selectorELNS0_4arch9wavefront6targetE0EEEvT1_.private_seg_size, 0
	.set _ZN7rocprim17ROCPRIM_400000_NS6detail17trampoline_kernelINS0_14default_configENS1_27scan_by_key_config_selectorIxxEEZZNS1_16scan_by_key_implILNS1_25lookback_scan_determinismE0ELb1ES3_N6thrust23THRUST_200600_302600_NS6detail15normal_iteratorINS9_10device_ptrIxEEEESE_SE_xNS9_4plusIvEENS9_8equal_toIxEExEE10hipError_tPvRmT2_T3_T4_T5_mT6_T7_P12ihipStream_tbENKUlT_T0_E_clISt17integral_constantIbLb0EESZ_EEDaSU_SV_EUlSU_E_NS1_11comp_targetILNS1_3genE0ELNS1_11target_archE4294967295ELNS1_3gpuE0ELNS1_3repE0EEENS1_30default_config_static_selectorELNS0_4arch9wavefront6targetE0EEEvT1_.uses_vcc, 0
	.set _ZN7rocprim17ROCPRIM_400000_NS6detail17trampoline_kernelINS0_14default_configENS1_27scan_by_key_config_selectorIxxEEZZNS1_16scan_by_key_implILNS1_25lookback_scan_determinismE0ELb1ES3_N6thrust23THRUST_200600_302600_NS6detail15normal_iteratorINS9_10device_ptrIxEEEESE_SE_xNS9_4plusIvEENS9_8equal_toIxEExEE10hipError_tPvRmT2_T3_T4_T5_mT6_T7_P12ihipStream_tbENKUlT_T0_E_clISt17integral_constantIbLb0EESZ_EEDaSU_SV_EUlSU_E_NS1_11comp_targetILNS1_3genE0ELNS1_11target_archE4294967295ELNS1_3gpuE0ELNS1_3repE0EEENS1_30default_config_static_selectorELNS0_4arch9wavefront6targetE0EEEvT1_.uses_flat_scratch, 0
	.set _ZN7rocprim17ROCPRIM_400000_NS6detail17trampoline_kernelINS0_14default_configENS1_27scan_by_key_config_selectorIxxEEZZNS1_16scan_by_key_implILNS1_25lookback_scan_determinismE0ELb1ES3_N6thrust23THRUST_200600_302600_NS6detail15normal_iteratorINS9_10device_ptrIxEEEESE_SE_xNS9_4plusIvEENS9_8equal_toIxEExEE10hipError_tPvRmT2_T3_T4_T5_mT6_T7_P12ihipStream_tbENKUlT_T0_E_clISt17integral_constantIbLb0EESZ_EEDaSU_SV_EUlSU_E_NS1_11comp_targetILNS1_3genE0ELNS1_11target_archE4294967295ELNS1_3gpuE0ELNS1_3repE0EEENS1_30default_config_static_selectorELNS0_4arch9wavefront6targetE0EEEvT1_.has_dyn_sized_stack, 0
	.set _ZN7rocprim17ROCPRIM_400000_NS6detail17trampoline_kernelINS0_14default_configENS1_27scan_by_key_config_selectorIxxEEZZNS1_16scan_by_key_implILNS1_25lookback_scan_determinismE0ELb1ES3_N6thrust23THRUST_200600_302600_NS6detail15normal_iteratorINS9_10device_ptrIxEEEESE_SE_xNS9_4plusIvEENS9_8equal_toIxEExEE10hipError_tPvRmT2_T3_T4_T5_mT6_T7_P12ihipStream_tbENKUlT_T0_E_clISt17integral_constantIbLb0EESZ_EEDaSU_SV_EUlSU_E_NS1_11comp_targetILNS1_3genE0ELNS1_11target_archE4294967295ELNS1_3gpuE0ELNS1_3repE0EEENS1_30default_config_static_selectorELNS0_4arch9wavefront6targetE0EEEvT1_.has_recursion, 0
	.set _ZN7rocprim17ROCPRIM_400000_NS6detail17trampoline_kernelINS0_14default_configENS1_27scan_by_key_config_selectorIxxEEZZNS1_16scan_by_key_implILNS1_25lookback_scan_determinismE0ELb1ES3_N6thrust23THRUST_200600_302600_NS6detail15normal_iteratorINS9_10device_ptrIxEEEESE_SE_xNS9_4plusIvEENS9_8equal_toIxEExEE10hipError_tPvRmT2_T3_T4_T5_mT6_T7_P12ihipStream_tbENKUlT_T0_E_clISt17integral_constantIbLb0EESZ_EEDaSU_SV_EUlSU_E_NS1_11comp_targetILNS1_3genE0ELNS1_11target_archE4294967295ELNS1_3gpuE0ELNS1_3repE0EEENS1_30default_config_static_selectorELNS0_4arch9wavefront6targetE0EEEvT1_.has_indirect_call, 0
	.section	.AMDGPU.csdata,"",@progbits
; Kernel info:
; codeLenInByte = 0
; TotalNumSgprs: 0
; NumVgprs: 0
; ScratchSize: 0
; MemoryBound: 0
; FloatMode: 240
; IeeeMode: 1
; LDSByteSize: 0 bytes/workgroup (compile time only)
; SGPRBlocks: 0
; VGPRBlocks: 0
; NumSGPRsForWavesPerEU: 1
; NumVGPRsForWavesPerEU: 1
; Occupancy: 16
; WaveLimiterHint : 0
; COMPUTE_PGM_RSRC2:SCRATCH_EN: 0
; COMPUTE_PGM_RSRC2:USER_SGPR: 6
; COMPUTE_PGM_RSRC2:TRAP_HANDLER: 0
; COMPUTE_PGM_RSRC2:TGID_X_EN: 1
; COMPUTE_PGM_RSRC2:TGID_Y_EN: 0
; COMPUTE_PGM_RSRC2:TGID_Z_EN: 0
; COMPUTE_PGM_RSRC2:TIDIG_COMP_CNT: 0
	.section	.text._ZN7rocprim17ROCPRIM_400000_NS6detail17trampoline_kernelINS0_14default_configENS1_27scan_by_key_config_selectorIxxEEZZNS1_16scan_by_key_implILNS1_25lookback_scan_determinismE0ELb1ES3_N6thrust23THRUST_200600_302600_NS6detail15normal_iteratorINS9_10device_ptrIxEEEESE_SE_xNS9_4plusIvEENS9_8equal_toIxEExEE10hipError_tPvRmT2_T3_T4_T5_mT6_T7_P12ihipStream_tbENKUlT_T0_E_clISt17integral_constantIbLb0EESZ_EEDaSU_SV_EUlSU_E_NS1_11comp_targetILNS1_3genE10ELNS1_11target_archE1201ELNS1_3gpuE5ELNS1_3repE0EEENS1_30default_config_static_selectorELNS0_4arch9wavefront6targetE0EEEvT1_,"axG",@progbits,_ZN7rocprim17ROCPRIM_400000_NS6detail17trampoline_kernelINS0_14default_configENS1_27scan_by_key_config_selectorIxxEEZZNS1_16scan_by_key_implILNS1_25lookback_scan_determinismE0ELb1ES3_N6thrust23THRUST_200600_302600_NS6detail15normal_iteratorINS9_10device_ptrIxEEEESE_SE_xNS9_4plusIvEENS9_8equal_toIxEExEE10hipError_tPvRmT2_T3_T4_T5_mT6_T7_P12ihipStream_tbENKUlT_T0_E_clISt17integral_constantIbLb0EESZ_EEDaSU_SV_EUlSU_E_NS1_11comp_targetILNS1_3genE10ELNS1_11target_archE1201ELNS1_3gpuE5ELNS1_3repE0EEENS1_30default_config_static_selectorELNS0_4arch9wavefront6targetE0EEEvT1_,comdat
	.protected	_ZN7rocprim17ROCPRIM_400000_NS6detail17trampoline_kernelINS0_14default_configENS1_27scan_by_key_config_selectorIxxEEZZNS1_16scan_by_key_implILNS1_25lookback_scan_determinismE0ELb1ES3_N6thrust23THRUST_200600_302600_NS6detail15normal_iteratorINS9_10device_ptrIxEEEESE_SE_xNS9_4plusIvEENS9_8equal_toIxEExEE10hipError_tPvRmT2_T3_T4_T5_mT6_T7_P12ihipStream_tbENKUlT_T0_E_clISt17integral_constantIbLb0EESZ_EEDaSU_SV_EUlSU_E_NS1_11comp_targetILNS1_3genE10ELNS1_11target_archE1201ELNS1_3gpuE5ELNS1_3repE0EEENS1_30default_config_static_selectorELNS0_4arch9wavefront6targetE0EEEvT1_ ; -- Begin function _ZN7rocprim17ROCPRIM_400000_NS6detail17trampoline_kernelINS0_14default_configENS1_27scan_by_key_config_selectorIxxEEZZNS1_16scan_by_key_implILNS1_25lookback_scan_determinismE0ELb1ES3_N6thrust23THRUST_200600_302600_NS6detail15normal_iteratorINS9_10device_ptrIxEEEESE_SE_xNS9_4plusIvEENS9_8equal_toIxEExEE10hipError_tPvRmT2_T3_T4_T5_mT6_T7_P12ihipStream_tbENKUlT_T0_E_clISt17integral_constantIbLb0EESZ_EEDaSU_SV_EUlSU_E_NS1_11comp_targetILNS1_3genE10ELNS1_11target_archE1201ELNS1_3gpuE5ELNS1_3repE0EEENS1_30default_config_static_selectorELNS0_4arch9wavefront6targetE0EEEvT1_
	.globl	_ZN7rocprim17ROCPRIM_400000_NS6detail17trampoline_kernelINS0_14default_configENS1_27scan_by_key_config_selectorIxxEEZZNS1_16scan_by_key_implILNS1_25lookback_scan_determinismE0ELb1ES3_N6thrust23THRUST_200600_302600_NS6detail15normal_iteratorINS9_10device_ptrIxEEEESE_SE_xNS9_4plusIvEENS9_8equal_toIxEExEE10hipError_tPvRmT2_T3_T4_T5_mT6_T7_P12ihipStream_tbENKUlT_T0_E_clISt17integral_constantIbLb0EESZ_EEDaSU_SV_EUlSU_E_NS1_11comp_targetILNS1_3genE10ELNS1_11target_archE1201ELNS1_3gpuE5ELNS1_3repE0EEENS1_30default_config_static_selectorELNS0_4arch9wavefront6targetE0EEEvT1_
	.p2align	8
	.type	_ZN7rocprim17ROCPRIM_400000_NS6detail17trampoline_kernelINS0_14default_configENS1_27scan_by_key_config_selectorIxxEEZZNS1_16scan_by_key_implILNS1_25lookback_scan_determinismE0ELb1ES3_N6thrust23THRUST_200600_302600_NS6detail15normal_iteratorINS9_10device_ptrIxEEEESE_SE_xNS9_4plusIvEENS9_8equal_toIxEExEE10hipError_tPvRmT2_T3_T4_T5_mT6_T7_P12ihipStream_tbENKUlT_T0_E_clISt17integral_constantIbLb0EESZ_EEDaSU_SV_EUlSU_E_NS1_11comp_targetILNS1_3genE10ELNS1_11target_archE1201ELNS1_3gpuE5ELNS1_3repE0EEENS1_30default_config_static_selectorELNS0_4arch9wavefront6targetE0EEEvT1_,@function
_ZN7rocprim17ROCPRIM_400000_NS6detail17trampoline_kernelINS0_14default_configENS1_27scan_by_key_config_selectorIxxEEZZNS1_16scan_by_key_implILNS1_25lookback_scan_determinismE0ELb1ES3_N6thrust23THRUST_200600_302600_NS6detail15normal_iteratorINS9_10device_ptrIxEEEESE_SE_xNS9_4plusIvEENS9_8equal_toIxEExEE10hipError_tPvRmT2_T3_T4_T5_mT6_T7_P12ihipStream_tbENKUlT_T0_E_clISt17integral_constantIbLb0EESZ_EEDaSU_SV_EUlSU_E_NS1_11comp_targetILNS1_3genE10ELNS1_11target_archE1201ELNS1_3gpuE5ELNS1_3repE0EEENS1_30default_config_static_selectorELNS0_4arch9wavefront6targetE0EEEvT1_: ; @_ZN7rocprim17ROCPRIM_400000_NS6detail17trampoline_kernelINS0_14default_configENS1_27scan_by_key_config_selectorIxxEEZZNS1_16scan_by_key_implILNS1_25lookback_scan_determinismE0ELb1ES3_N6thrust23THRUST_200600_302600_NS6detail15normal_iteratorINS9_10device_ptrIxEEEESE_SE_xNS9_4plusIvEENS9_8equal_toIxEExEE10hipError_tPvRmT2_T3_T4_T5_mT6_T7_P12ihipStream_tbENKUlT_T0_E_clISt17integral_constantIbLb0EESZ_EEDaSU_SV_EUlSU_E_NS1_11comp_targetILNS1_3genE10ELNS1_11target_archE1201ELNS1_3gpuE5ELNS1_3repE0EEENS1_30default_config_static_selectorELNS0_4arch9wavefront6targetE0EEEvT1_
; %bb.0:
	.section	.rodata,"a",@progbits
	.p2align	6, 0x0
	.amdhsa_kernel _ZN7rocprim17ROCPRIM_400000_NS6detail17trampoline_kernelINS0_14default_configENS1_27scan_by_key_config_selectorIxxEEZZNS1_16scan_by_key_implILNS1_25lookback_scan_determinismE0ELb1ES3_N6thrust23THRUST_200600_302600_NS6detail15normal_iteratorINS9_10device_ptrIxEEEESE_SE_xNS9_4plusIvEENS9_8equal_toIxEExEE10hipError_tPvRmT2_T3_T4_T5_mT6_T7_P12ihipStream_tbENKUlT_T0_E_clISt17integral_constantIbLb0EESZ_EEDaSU_SV_EUlSU_E_NS1_11comp_targetILNS1_3genE10ELNS1_11target_archE1201ELNS1_3gpuE5ELNS1_3repE0EEENS1_30default_config_static_selectorELNS0_4arch9wavefront6targetE0EEEvT1_
		.amdhsa_group_segment_fixed_size 0
		.amdhsa_private_segment_fixed_size 0
		.amdhsa_kernarg_size 136
		.amdhsa_user_sgpr_count 6
		.amdhsa_user_sgpr_private_segment_buffer 1
		.amdhsa_user_sgpr_dispatch_ptr 0
		.amdhsa_user_sgpr_queue_ptr 0
		.amdhsa_user_sgpr_kernarg_segment_ptr 1
		.amdhsa_user_sgpr_dispatch_id 0
		.amdhsa_user_sgpr_flat_scratch_init 0
		.amdhsa_user_sgpr_private_segment_size 0
		.amdhsa_wavefront_size32 1
		.amdhsa_uses_dynamic_stack 0
		.amdhsa_system_sgpr_private_segment_wavefront_offset 0
		.amdhsa_system_sgpr_workgroup_id_x 1
		.amdhsa_system_sgpr_workgroup_id_y 0
		.amdhsa_system_sgpr_workgroup_id_z 0
		.amdhsa_system_sgpr_workgroup_info 0
		.amdhsa_system_vgpr_workitem_id 0
		.amdhsa_next_free_vgpr 1
		.amdhsa_next_free_sgpr 1
		.amdhsa_reserve_vcc 0
		.amdhsa_reserve_flat_scratch 0
		.amdhsa_float_round_mode_32 0
		.amdhsa_float_round_mode_16_64 0
		.amdhsa_float_denorm_mode_32 3
		.amdhsa_float_denorm_mode_16_64 3
		.amdhsa_dx10_clamp 1
		.amdhsa_ieee_mode 1
		.amdhsa_fp16_overflow 0
		.amdhsa_workgroup_processor_mode 1
		.amdhsa_memory_ordered 1
		.amdhsa_forward_progress 1
		.amdhsa_shared_vgpr_count 0
		.amdhsa_exception_fp_ieee_invalid_op 0
		.amdhsa_exception_fp_denorm_src 0
		.amdhsa_exception_fp_ieee_div_zero 0
		.amdhsa_exception_fp_ieee_overflow 0
		.amdhsa_exception_fp_ieee_underflow 0
		.amdhsa_exception_fp_ieee_inexact 0
		.amdhsa_exception_int_div_zero 0
	.end_amdhsa_kernel
	.section	.text._ZN7rocprim17ROCPRIM_400000_NS6detail17trampoline_kernelINS0_14default_configENS1_27scan_by_key_config_selectorIxxEEZZNS1_16scan_by_key_implILNS1_25lookback_scan_determinismE0ELb1ES3_N6thrust23THRUST_200600_302600_NS6detail15normal_iteratorINS9_10device_ptrIxEEEESE_SE_xNS9_4plusIvEENS9_8equal_toIxEExEE10hipError_tPvRmT2_T3_T4_T5_mT6_T7_P12ihipStream_tbENKUlT_T0_E_clISt17integral_constantIbLb0EESZ_EEDaSU_SV_EUlSU_E_NS1_11comp_targetILNS1_3genE10ELNS1_11target_archE1201ELNS1_3gpuE5ELNS1_3repE0EEENS1_30default_config_static_selectorELNS0_4arch9wavefront6targetE0EEEvT1_,"axG",@progbits,_ZN7rocprim17ROCPRIM_400000_NS6detail17trampoline_kernelINS0_14default_configENS1_27scan_by_key_config_selectorIxxEEZZNS1_16scan_by_key_implILNS1_25lookback_scan_determinismE0ELb1ES3_N6thrust23THRUST_200600_302600_NS6detail15normal_iteratorINS9_10device_ptrIxEEEESE_SE_xNS9_4plusIvEENS9_8equal_toIxEExEE10hipError_tPvRmT2_T3_T4_T5_mT6_T7_P12ihipStream_tbENKUlT_T0_E_clISt17integral_constantIbLb0EESZ_EEDaSU_SV_EUlSU_E_NS1_11comp_targetILNS1_3genE10ELNS1_11target_archE1201ELNS1_3gpuE5ELNS1_3repE0EEENS1_30default_config_static_selectorELNS0_4arch9wavefront6targetE0EEEvT1_,comdat
.Lfunc_end426:
	.size	_ZN7rocprim17ROCPRIM_400000_NS6detail17trampoline_kernelINS0_14default_configENS1_27scan_by_key_config_selectorIxxEEZZNS1_16scan_by_key_implILNS1_25lookback_scan_determinismE0ELb1ES3_N6thrust23THRUST_200600_302600_NS6detail15normal_iteratorINS9_10device_ptrIxEEEESE_SE_xNS9_4plusIvEENS9_8equal_toIxEExEE10hipError_tPvRmT2_T3_T4_T5_mT6_T7_P12ihipStream_tbENKUlT_T0_E_clISt17integral_constantIbLb0EESZ_EEDaSU_SV_EUlSU_E_NS1_11comp_targetILNS1_3genE10ELNS1_11target_archE1201ELNS1_3gpuE5ELNS1_3repE0EEENS1_30default_config_static_selectorELNS0_4arch9wavefront6targetE0EEEvT1_, .Lfunc_end426-_ZN7rocprim17ROCPRIM_400000_NS6detail17trampoline_kernelINS0_14default_configENS1_27scan_by_key_config_selectorIxxEEZZNS1_16scan_by_key_implILNS1_25lookback_scan_determinismE0ELb1ES3_N6thrust23THRUST_200600_302600_NS6detail15normal_iteratorINS9_10device_ptrIxEEEESE_SE_xNS9_4plusIvEENS9_8equal_toIxEExEE10hipError_tPvRmT2_T3_T4_T5_mT6_T7_P12ihipStream_tbENKUlT_T0_E_clISt17integral_constantIbLb0EESZ_EEDaSU_SV_EUlSU_E_NS1_11comp_targetILNS1_3genE10ELNS1_11target_archE1201ELNS1_3gpuE5ELNS1_3repE0EEENS1_30default_config_static_selectorELNS0_4arch9wavefront6targetE0EEEvT1_
                                        ; -- End function
	.set _ZN7rocprim17ROCPRIM_400000_NS6detail17trampoline_kernelINS0_14default_configENS1_27scan_by_key_config_selectorIxxEEZZNS1_16scan_by_key_implILNS1_25lookback_scan_determinismE0ELb1ES3_N6thrust23THRUST_200600_302600_NS6detail15normal_iteratorINS9_10device_ptrIxEEEESE_SE_xNS9_4plusIvEENS9_8equal_toIxEExEE10hipError_tPvRmT2_T3_T4_T5_mT6_T7_P12ihipStream_tbENKUlT_T0_E_clISt17integral_constantIbLb0EESZ_EEDaSU_SV_EUlSU_E_NS1_11comp_targetILNS1_3genE10ELNS1_11target_archE1201ELNS1_3gpuE5ELNS1_3repE0EEENS1_30default_config_static_selectorELNS0_4arch9wavefront6targetE0EEEvT1_.num_vgpr, 0
	.set _ZN7rocprim17ROCPRIM_400000_NS6detail17trampoline_kernelINS0_14default_configENS1_27scan_by_key_config_selectorIxxEEZZNS1_16scan_by_key_implILNS1_25lookback_scan_determinismE0ELb1ES3_N6thrust23THRUST_200600_302600_NS6detail15normal_iteratorINS9_10device_ptrIxEEEESE_SE_xNS9_4plusIvEENS9_8equal_toIxEExEE10hipError_tPvRmT2_T3_T4_T5_mT6_T7_P12ihipStream_tbENKUlT_T0_E_clISt17integral_constantIbLb0EESZ_EEDaSU_SV_EUlSU_E_NS1_11comp_targetILNS1_3genE10ELNS1_11target_archE1201ELNS1_3gpuE5ELNS1_3repE0EEENS1_30default_config_static_selectorELNS0_4arch9wavefront6targetE0EEEvT1_.num_agpr, 0
	.set _ZN7rocprim17ROCPRIM_400000_NS6detail17trampoline_kernelINS0_14default_configENS1_27scan_by_key_config_selectorIxxEEZZNS1_16scan_by_key_implILNS1_25lookback_scan_determinismE0ELb1ES3_N6thrust23THRUST_200600_302600_NS6detail15normal_iteratorINS9_10device_ptrIxEEEESE_SE_xNS9_4plusIvEENS9_8equal_toIxEExEE10hipError_tPvRmT2_T3_T4_T5_mT6_T7_P12ihipStream_tbENKUlT_T0_E_clISt17integral_constantIbLb0EESZ_EEDaSU_SV_EUlSU_E_NS1_11comp_targetILNS1_3genE10ELNS1_11target_archE1201ELNS1_3gpuE5ELNS1_3repE0EEENS1_30default_config_static_selectorELNS0_4arch9wavefront6targetE0EEEvT1_.numbered_sgpr, 0
	.set _ZN7rocprim17ROCPRIM_400000_NS6detail17trampoline_kernelINS0_14default_configENS1_27scan_by_key_config_selectorIxxEEZZNS1_16scan_by_key_implILNS1_25lookback_scan_determinismE0ELb1ES3_N6thrust23THRUST_200600_302600_NS6detail15normal_iteratorINS9_10device_ptrIxEEEESE_SE_xNS9_4plusIvEENS9_8equal_toIxEExEE10hipError_tPvRmT2_T3_T4_T5_mT6_T7_P12ihipStream_tbENKUlT_T0_E_clISt17integral_constantIbLb0EESZ_EEDaSU_SV_EUlSU_E_NS1_11comp_targetILNS1_3genE10ELNS1_11target_archE1201ELNS1_3gpuE5ELNS1_3repE0EEENS1_30default_config_static_selectorELNS0_4arch9wavefront6targetE0EEEvT1_.num_named_barrier, 0
	.set _ZN7rocprim17ROCPRIM_400000_NS6detail17trampoline_kernelINS0_14default_configENS1_27scan_by_key_config_selectorIxxEEZZNS1_16scan_by_key_implILNS1_25lookback_scan_determinismE0ELb1ES3_N6thrust23THRUST_200600_302600_NS6detail15normal_iteratorINS9_10device_ptrIxEEEESE_SE_xNS9_4plusIvEENS9_8equal_toIxEExEE10hipError_tPvRmT2_T3_T4_T5_mT6_T7_P12ihipStream_tbENKUlT_T0_E_clISt17integral_constantIbLb0EESZ_EEDaSU_SV_EUlSU_E_NS1_11comp_targetILNS1_3genE10ELNS1_11target_archE1201ELNS1_3gpuE5ELNS1_3repE0EEENS1_30default_config_static_selectorELNS0_4arch9wavefront6targetE0EEEvT1_.private_seg_size, 0
	.set _ZN7rocprim17ROCPRIM_400000_NS6detail17trampoline_kernelINS0_14default_configENS1_27scan_by_key_config_selectorIxxEEZZNS1_16scan_by_key_implILNS1_25lookback_scan_determinismE0ELb1ES3_N6thrust23THRUST_200600_302600_NS6detail15normal_iteratorINS9_10device_ptrIxEEEESE_SE_xNS9_4plusIvEENS9_8equal_toIxEExEE10hipError_tPvRmT2_T3_T4_T5_mT6_T7_P12ihipStream_tbENKUlT_T0_E_clISt17integral_constantIbLb0EESZ_EEDaSU_SV_EUlSU_E_NS1_11comp_targetILNS1_3genE10ELNS1_11target_archE1201ELNS1_3gpuE5ELNS1_3repE0EEENS1_30default_config_static_selectorELNS0_4arch9wavefront6targetE0EEEvT1_.uses_vcc, 0
	.set _ZN7rocprim17ROCPRIM_400000_NS6detail17trampoline_kernelINS0_14default_configENS1_27scan_by_key_config_selectorIxxEEZZNS1_16scan_by_key_implILNS1_25lookback_scan_determinismE0ELb1ES3_N6thrust23THRUST_200600_302600_NS6detail15normal_iteratorINS9_10device_ptrIxEEEESE_SE_xNS9_4plusIvEENS9_8equal_toIxEExEE10hipError_tPvRmT2_T3_T4_T5_mT6_T7_P12ihipStream_tbENKUlT_T0_E_clISt17integral_constantIbLb0EESZ_EEDaSU_SV_EUlSU_E_NS1_11comp_targetILNS1_3genE10ELNS1_11target_archE1201ELNS1_3gpuE5ELNS1_3repE0EEENS1_30default_config_static_selectorELNS0_4arch9wavefront6targetE0EEEvT1_.uses_flat_scratch, 0
	.set _ZN7rocprim17ROCPRIM_400000_NS6detail17trampoline_kernelINS0_14default_configENS1_27scan_by_key_config_selectorIxxEEZZNS1_16scan_by_key_implILNS1_25lookback_scan_determinismE0ELb1ES3_N6thrust23THRUST_200600_302600_NS6detail15normal_iteratorINS9_10device_ptrIxEEEESE_SE_xNS9_4plusIvEENS9_8equal_toIxEExEE10hipError_tPvRmT2_T3_T4_T5_mT6_T7_P12ihipStream_tbENKUlT_T0_E_clISt17integral_constantIbLb0EESZ_EEDaSU_SV_EUlSU_E_NS1_11comp_targetILNS1_3genE10ELNS1_11target_archE1201ELNS1_3gpuE5ELNS1_3repE0EEENS1_30default_config_static_selectorELNS0_4arch9wavefront6targetE0EEEvT1_.has_dyn_sized_stack, 0
	.set _ZN7rocprim17ROCPRIM_400000_NS6detail17trampoline_kernelINS0_14default_configENS1_27scan_by_key_config_selectorIxxEEZZNS1_16scan_by_key_implILNS1_25lookback_scan_determinismE0ELb1ES3_N6thrust23THRUST_200600_302600_NS6detail15normal_iteratorINS9_10device_ptrIxEEEESE_SE_xNS9_4plusIvEENS9_8equal_toIxEExEE10hipError_tPvRmT2_T3_T4_T5_mT6_T7_P12ihipStream_tbENKUlT_T0_E_clISt17integral_constantIbLb0EESZ_EEDaSU_SV_EUlSU_E_NS1_11comp_targetILNS1_3genE10ELNS1_11target_archE1201ELNS1_3gpuE5ELNS1_3repE0EEENS1_30default_config_static_selectorELNS0_4arch9wavefront6targetE0EEEvT1_.has_recursion, 0
	.set _ZN7rocprim17ROCPRIM_400000_NS6detail17trampoline_kernelINS0_14default_configENS1_27scan_by_key_config_selectorIxxEEZZNS1_16scan_by_key_implILNS1_25lookback_scan_determinismE0ELb1ES3_N6thrust23THRUST_200600_302600_NS6detail15normal_iteratorINS9_10device_ptrIxEEEESE_SE_xNS9_4plusIvEENS9_8equal_toIxEExEE10hipError_tPvRmT2_T3_T4_T5_mT6_T7_P12ihipStream_tbENKUlT_T0_E_clISt17integral_constantIbLb0EESZ_EEDaSU_SV_EUlSU_E_NS1_11comp_targetILNS1_3genE10ELNS1_11target_archE1201ELNS1_3gpuE5ELNS1_3repE0EEENS1_30default_config_static_selectorELNS0_4arch9wavefront6targetE0EEEvT1_.has_indirect_call, 0
	.section	.AMDGPU.csdata,"",@progbits
; Kernel info:
; codeLenInByte = 0
; TotalNumSgprs: 0
; NumVgprs: 0
; ScratchSize: 0
; MemoryBound: 0
; FloatMode: 240
; IeeeMode: 1
; LDSByteSize: 0 bytes/workgroup (compile time only)
; SGPRBlocks: 0
; VGPRBlocks: 0
; NumSGPRsForWavesPerEU: 1
; NumVGPRsForWavesPerEU: 1
; Occupancy: 16
; WaveLimiterHint : 0
; COMPUTE_PGM_RSRC2:SCRATCH_EN: 0
; COMPUTE_PGM_RSRC2:USER_SGPR: 6
; COMPUTE_PGM_RSRC2:TRAP_HANDLER: 0
; COMPUTE_PGM_RSRC2:TGID_X_EN: 1
; COMPUTE_PGM_RSRC2:TGID_Y_EN: 0
; COMPUTE_PGM_RSRC2:TGID_Z_EN: 0
; COMPUTE_PGM_RSRC2:TIDIG_COMP_CNT: 0
	.section	.text._ZN7rocprim17ROCPRIM_400000_NS6detail17trampoline_kernelINS0_14default_configENS1_27scan_by_key_config_selectorIxxEEZZNS1_16scan_by_key_implILNS1_25lookback_scan_determinismE0ELb1ES3_N6thrust23THRUST_200600_302600_NS6detail15normal_iteratorINS9_10device_ptrIxEEEESE_SE_xNS9_4plusIvEENS9_8equal_toIxEExEE10hipError_tPvRmT2_T3_T4_T5_mT6_T7_P12ihipStream_tbENKUlT_T0_E_clISt17integral_constantIbLb0EESZ_EEDaSU_SV_EUlSU_E_NS1_11comp_targetILNS1_3genE5ELNS1_11target_archE942ELNS1_3gpuE9ELNS1_3repE0EEENS1_30default_config_static_selectorELNS0_4arch9wavefront6targetE0EEEvT1_,"axG",@progbits,_ZN7rocprim17ROCPRIM_400000_NS6detail17trampoline_kernelINS0_14default_configENS1_27scan_by_key_config_selectorIxxEEZZNS1_16scan_by_key_implILNS1_25lookback_scan_determinismE0ELb1ES3_N6thrust23THRUST_200600_302600_NS6detail15normal_iteratorINS9_10device_ptrIxEEEESE_SE_xNS9_4plusIvEENS9_8equal_toIxEExEE10hipError_tPvRmT2_T3_T4_T5_mT6_T7_P12ihipStream_tbENKUlT_T0_E_clISt17integral_constantIbLb0EESZ_EEDaSU_SV_EUlSU_E_NS1_11comp_targetILNS1_3genE5ELNS1_11target_archE942ELNS1_3gpuE9ELNS1_3repE0EEENS1_30default_config_static_selectorELNS0_4arch9wavefront6targetE0EEEvT1_,comdat
	.protected	_ZN7rocprim17ROCPRIM_400000_NS6detail17trampoline_kernelINS0_14default_configENS1_27scan_by_key_config_selectorIxxEEZZNS1_16scan_by_key_implILNS1_25lookback_scan_determinismE0ELb1ES3_N6thrust23THRUST_200600_302600_NS6detail15normal_iteratorINS9_10device_ptrIxEEEESE_SE_xNS9_4plusIvEENS9_8equal_toIxEExEE10hipError_tPvRmT2_T3_T4_T5_mT6_T7_P12ihipStream_tbENKUlT_T0_E_clISt17integral_constantIbLb0EESZ_EEDaSU_SV_EUlSU_E_NS1_11comp_targetILNS1_3genE5ELNS1_11target_archE942ELNS1_3gpuE9ELNS1_3repE0EEENS1_30default_config_static_selectorELNS0_4arch9wavefront6targetE0EEEvT1_ ; -- Begin function _ZN7rocprim17ROCPRIM_400000_NS6detail17trampoline_kernelINS0_14default_configENS1_27scan_by_key_config_selectorIxxEEZZNS1_16scan_by_key_implILNS1_25lookback_scan_determinismE0ELb1ES3_N6thrust23THRUST_200600_302600_NS6detail15normal_iteratorINS9_10device_ptrIxEEEESE_SE_xNS9_4plusIvEENS9_8equal_toIxEExEE10hipError_tPvRmT2_T3_T4_T5_mT6_T7_P12ihipStream_tbENKUlT_T0_E_clISt17integral_constantIbLb0EESZ_EEDaSU_SV_EUlSU_E_NS1_11comp_targetILNS1_3genE5ELNS1_11target_archE942ELNS1_3gpuE9ELNS1_3repE0EEENS1_30default_config_static_selectorELNS0_4arch9wavefront6targetE0EEEvT1_
	.globl	_ZN7rocprim17ROCPRIM_400000_NS6detail17trampoline_kernelINS0_14default_configENS1_27scan_by_key_config_selectorIxxEEZZNS1_16scan_by_key_implILNS1_25lookback_scan_determinismE0ELb1ES3_N6thrust23THRUST_200600_302600_NS6detail15normal_iteratorINS9_10device_ptrIxEEEESE_SE_xNS9_4plusIvEENS9_8equal_toIxEExEE10hipError_tPvRmT2_T3_T4_T5_mT6_T7_P12ihipStream_tbENKUlT_T0_E_clISt17integral_constantIbLb0EESZ_EEDaSU_SV_EUlSU_E_NS1_11comp_targetILNS1_3genE5ELNS1_11target_archE942ELNS1_3gpuE9ELNS1_3repE0EEENS1_30default_config_static_selectorELNS0_4arch9wavefront6targetE0EEEvT1_
	.p2align	8
	.type	_ZN7rocprim17ROCPRIM_400000_NS6detail17trampoline_kernelINS0_14default_configENS1_27scan_by_key_config_selectorIxxEEZZNS1_16scan_by_key_implILNS1_25lookback_scan_determinismE0ELb1ES3_N6thrust23THRUST_200600_302600_NS6detail15normal_iteratorINS9_10device_ptrIxEEEESE_SE_xNS9_4plusIvEENS9_8equal_toIxEExEE10hipError_tPvRmT2_T3_T4_T5_mT6_T7_P12ihipStream_tbENKUlT_T0_E_clISt17integral_constantIbLb0EESZ_EEDaSU_SV_EUlSU_E_NS1_11comp_targetILNS1_3genE5ELNS1_11target_archE942ELNS1_3gpuE9ELNS1_3repE0EEENS1_30default_config_static_selectorELNS0_4arch9wavefront6targetE0EEEvT1_,@function
_ZN7rocprim17ROCPRIM_400000_NS6detail17trampoline_kernelINS0_14default_configENS1_27scan_by_key_config_selectorIxxEEZZNS1_16scan_by_key_implILNS1_25lookback_scan_determinismE0ELb1ES3_N6thrust23THRUST_200600_302600_NS6detail15normal_iteratorINS9_10device_ptrIxEEEESE_SE_xNS9_4plusIvEENS9_8equal_toIxEExEE10hipError_tPvRmT2_T3_T4_T5_mT6_T7_P12ihipStream_tbENKUlT_T0_E_clISt17integral_constantIbLb0EESZ_EEDaSU_SV_EUlSU_E_NS1_11comp_targetILNS1_3genE5ELNS1_11target_archE942ELNS1_3gpuE9ELNS1_3repE0EEENS1_30default_config_static_selectorELNS0_4arch9wavefront6targetE0EEEvT1_: ; @_ZN7rocprim17ROCPRIM_400000_NS6detail17trampoline_kernelINS0_14default_configENS1_27scan_by_key_config_selectorIxxEEZZNS1_16scan_by_key_implILNS1_25lookback_scan_determinismE0ELb1ES3_N6thrust23THRUST_200600_302600_NS6detail15normal_iteratorINS9_10device_ptrIxEEEESE_SE_xNS9_4plusIvEENS9_8equal_toIxEExEE10hipError_tPvRmT2_T3_T4_T5_mT6_T7_P12ihipStream_tbENKUlT_T0_E_clISt17integral_constantIbLb0EESZ_EEDaSU_SV_EUlSU_E_NS1_11comp_targetILNS1_3genE5ELNS1_11target_archE942ELNS1_3gpuE9ELNS1_3repE0EEENS1_30default_config_static_selectorELNS0_4arch9wavefront6targetE0EEEvT1_
; %bb.0:
	.section	.rodata,"a",@progbits
	.p2align	6, 0x0
	.amdhsa_kernel _ZN7rocprim17ROCPRIM_400000_NS6detail17trampoline_kernelINS0_14default_configENS1_27scan_by_key_config_selectorIxxEEZZNS1_16scan_by_key_implILNS1_25lookback_scan_determinismE0ELb1ES3_N6thrust23THRUST_200600_302600_NS6detail15normal_iteratorINS9_10device_ptrIxEEEESE_SE_xNS9_4plusIvEENS9_8equal_toIxEExEE10hipError_tPvRmT2_T3_T4_T5_mT6_T7_P12ihipStream_tbENKUlT_T0_E_clISt17integral_constantIbLb0EESZ_EEDaSU_SV_EUlSU_E_NS1_11comp_targetILNS1_3genE5ELNS1_11target_archE942ELNS1_3gpuE9ELNS1_3repE0EEENS1_30default_config_static_selectorELNS0_4arch9wavefront6targetE0EEEvT1_
		.amdhsa_group_segment_fixed_size 0
		.amdhsa_private_segment_fixed_size 0
		.amdhsa_kernarg_size 136
		.amdhsa_user_sgpr_count 6
		.amdhsa_user_sgpr_private_segment_buffer 1
		.amdhsa_user_sgpr_dispatch_ptr 0
		.amdhsa_user_sgpr_queue_ptr 0
		.amdhsa_user_sgpr_kernarg_segment_ptr 1
		.amdhsa_user_sgpr_dispatch_id 0
		.amdhsa_user_sgpr_flat_scratch_init 0
		.amdhsa_user_sgpr_private_segment_size 0
		.amdhsa_wavefront_size32 1
		.amdhsa_uses_dynamic_stack 0
		.amdhsa_system_sgpr_private_segment_wavefront_offset 0
		.amdhsa_system_sgpr_workgroup_id_x 1
		.amdhsa_system_sgpr_workgroup_id_y 0
		.amdhsa_system_sgpr_workgroup_id_z 0
		.amdhsa_system_sgpr_workgroup_info 0
		.amdhsa_system_vgpr_workitem_id 0
		.amdhsa_next_free_vgpr 1
		.amdhsa_next_free_sgpr 1
		.amdhsa_reserve_vcc 0
		.amdhsa_reserve_flat_scratch 0
		.amdhsa_float_round_mode_32 0
		.amdhsa_float_round_mode_16_64 0
		.amdhsa_float_denorm_mode_32 3
		.amdhsa_float_denorm_mode_16_64 3
		.amdhsa_dx10_clamp 1
		.amdhsa_ieee_mode 1
		.amdhsa_fp16_overflow 0
		.amdhsa_workgroup_processor_mode 1
		.amdhsa_memory_ordered 1
		.amdhsa_forward_progress 1
		.amdhsa_shared_vgpr_count 0
		.amdhsa_exception_fp_ieee_invalid_op 0
		.amdhsa_exception_fp_denorm_src 0
		.amdhsa_exception_fp_ieee_div_zero 0
		.amdhsa_exception_fp_ieee_overflow 0
		.amdhsa_exception_fp_ieee_underflow 0
		.amdhsa_exception_fp_ieee_inexact 0
		.amdhsa_exception_int_div_zero 0
	.end_amdhsa_kernel
	.section	.text._ZN7rocprim17ROCPRIM_400000_NS6detail17trampoline_kernelINS0_14default_configENS1_27scan_by_key_config_selectorIxxEEZZNS1_16scan_by_key_implILNS1_25lookback_scan_determinismE0ELb1ES3_N6thrust23THRUST_200600_302600_NS6detail15normal_iteratorINS9_10device_ptrIxEEEESE_SE_xNS9_4plusIvEENS9_8equal_toIxEExEE10hipError_tPvRmT2_T3_T4_T5_mT6_T7_P12ihipStream_tbENKUlT_T0_E_clISt17integral_constantIbLb0EESZ_EEDaSU_SV_EUlSU_E_NS1_11comp_targetILNS1_3genE5ELNS1_11target_archE942ELNS1_3gpuE9ELNS1_3repE0EEENS1_30default_config_static_selectorELNS0_4arch9wavefront6targetE0EEEvT1_,"axG",@progbits,_ZN7rocprim17ROCPRIM_400000_NS6detail17trampoline_kernelINS0_14default_configENS1_27scan_by_key_config_selectorIxxEEZZNS1_16scan_by_key_implILNS1_25lookback_scan_determinismE0ELb1ES3_N6thrust23THRUST_200600_302600_NS6detail15normal_iteratorINS9_10device_ptrIxEEEESE_SE_xNS9_4plusIvEENS9_8equal_toIxEExEE10hipError_tPvRmT2_T3_T4_T5_mT6_T7_P12ihipStream_tbENKUlT_T0_E_clISt17integral_constantIbLb0EESZ_EEDaSU_SV_EUlSU_E_NS1_11comp_targetILNS1_3genE5ELNS1_11target_archE942ELNS1_3gpuE9ELNS1_3repE0EEENS1_30default_config_static_selectorELNS0_4arch9wavefront6targetE0EEEvT1_,comdat
.Lfunc_end427:
	.size	_ZN7rocprim17ROCPRIM_400000_NS6detail17trampoline_kernelINS0_14default_configENS1_27scan_by_key_config_selectorIxxEEZZNS1_16scan_by_key_implILNS1_25lookback_scan_determinismE0ELb1ES3_N6thrust23THRUST_200600_302600_NS6detail15normal_iteratorINS9_10device_ptrIxEEEESE_SE_xNS9_4plusIvEENS9_8equal_toIxEExEE10hipError_tPvRmT2_T3_T4_T5_mT6_T7_P12ihipStream_tbENKUlT_T0_E_clISt17integral_constantIbLb0EESZ_EEDaSU_SV_EUlSU_E_NS1_11comp_targetILNS1_3genE5ELNS1_11target_archE942ELNS1_3gpuE9ELNS1_3repE0EEENS1_30default_config_static_selectorELNS0_4arch9wavefront6targetE0EEEvT1_, .Lfunc_end427-_ZN7rocprim17ROCPRIM_400000_NS6detail17trampoline_kernelINS0_14default_configENS1_27scan_by_key_config_selectorIxxEEZZNS1_16scan_by_key_implILNS1_25lookback_scan_determinismE0ELb1ES3_N6thrust23THRUST_200600_302600_NS6detail15normal_iteratorINS9_10device_ptrIxEEEESE_SE_xNS9_4plusIvEENS9_8equal_toIxEExEE10hipError_tPvRmT2_T3_T4_T5_mT6_T7_P12ihipStream_tbENKUlT_T0_E_clISt17integral_constantIbLb0EESZ_EEDaSU_SV_EUlSU_E_NS1_11comp_targetILNS1_3genE5ELNS1_11target_archE942ELNS1_3gpuE9ELNS1_3repE0EEENS1_30default_config_static_selectorELNS0_4arch9wavefront6targetE0EEEvT1_
                                        ; -- End function
	.set _ZN7rocprim17ROCPRIM_400000_NS6detail17trampoline_kernelINS0_14default_configENS1_27scan_by_key_config_selectorIxxEEZZNS1_16scan_by_key_implILNS1_25lookback_scan_determinismE0ELb1ES3_N6thrust23THRUST_200600_302600_NS6detail15normal_iteratorINS9_10device_ptrIxEEEESE_SE_xNS9_4plusIvEENS9_8equal_toIxEExEE10hipError_tPvRmT2_T3_T4_T5_mT6_T7_P12ihipStream_tbENKUlT_T0_E_clISt17integral_constantIbLb0EESZ_EEDaSU_SV_EUlSU_E_NS1_11comp_targetILNS1_3genE5ELNS1_11target_archE942ELNS1_3gpuE9ELNS1_3repE0EEENS1_30default_config_static_selectorELNS0_4arch9wavefront6targetE0EEEvT1_.num_vgpr, 0
	.set _ZN7rocprim17ROCPRIM_400000_NS6detail17trampoline_kernelINS0_14default_configENS1_27scan_by_key_config_selectorIxxEEZZNS1_16scan_by_key_implILNS1_25lookback_scan_determinismE0ELb1ES3_N6thrust23THRUST_200600_302600_NS6detail15normal_iteratorINS9_10device_ptrIxEEEESE_SE_xNS9_4plusIvEENS9_8equal_toIxEExEE10hipError_tPvRmT2_T3_T4_T5_mT6_T7_P12ihipStream_tbENKUlT_T0_E_clISt17integral_constantIbLb0EESZ_EEDaSU_SV_EUlSU_E_NS1_11comp_targetILNS1_3genE5ELNS1_11target_archE942ELNS1_3gpuE9ELNS1_3repE0EEENS1_30default_config_static_selectorELNS0_4arch9wavefront6targetE0EEEvT1_.num_agpr, 0
	.set _ZN7rocprim17ROCPRIM_400000_NS6detail17trampoline_kernelINS0_14default_configENS1_27scan_by_key_config_selectorIxxEEZZNS1_16scan_by_key_implILNS1_25lookback_scan_determinismE0ELb1ES3_N6thrust23THRUST_200600_302600_NS6detail15normal_iteratorINS9_10device_ptrIxEEEESE_SE_xNS9_4plusIvEENS9_8equal_toIxEExEE10hipError_tPvRmT2_T3_T4_T5_mT6_T7_P12ihipStream_tbENKUlT_T0_E_clISt17integral_constantIbLb0EESZ_EEDaSU_SV_EUlSU_E_NS1_11comp_targetILNS1_3genE5ELNS1_11target_archE942ELNS1_3gpuE9ELNS1_3repE0EEENS1_30default_config_static_selectorELNS0_4arch9wavefront6targetE0EEEvT1_.numbered_sgpr, 0
	.set _ZN7rocprim17ROCPRIM_400000_NS6detail17trampoline_kernelINS0_14default_configENS1_27scan_by_key_config_selectorIxxEEZZNS1_16scan_by_key_implILNS1_25lookback_scan_determinismE0ELb1ES3_N6thrust23THRUST_200600_302600_NS6detail15normal_iteratorINS9_10device_ptrIxEEEESE_SE_xNS9_4plusIvEENS9_8equal_toIxEExEE10hipError_tPvRmT2_T3_T4_T5_mT6_T7_P12ihipStream_tbENKUlT_T0_E_clISt17integral_constantIbLb0EESZ_EEDaSU_SV_EUlSU_E_NS1_11comp_targetILNS1_3genE5ELNS1_11target_archE942ELNS1_3gpuE9ELNS1_3repE0EEENS1_30default_config_static_selectorELNS0_4arch9wavefront6targetE0EEEvT1_.num_named_barrier, 0
	.set _ZN7rocprim17ROCPRIM_400000_NS6detail17trampoline_kernelINS0_14default_configENS1_27scan_by_key_config_selectorIxxEEZZNS1_16scan_by_key_implILNS1_25lookback_scan_determinismE0ELb1ES3_N6thrust23THRUST_200600_302600_NS6detail15normal_iteratorINS9_10device_ptrIxEEEESE_SE_xNS9_4plusIvEENS9_8equal_toIxEExEE10hipError_tPvRmT2_T3_T4_T5_mT6_T7_P12ihipStream_tbENKUlT_T0_E_clISt17integral_constantIbLb0EESZ_EEDaSU_SV_EUlSU_E_NS1_11comp_targetILNS1_3genE5ELNS1_11target_archE942ELNS1_3gpuE9ELNS1_3repE0EEENS1_30default_config_static_selectorELNS0_4arch9wavefront6targetE0EEEvT1_.private_seg_size, 0
	.set _ZN7rocprim17ROCPRIM_400000_NS6detail17trampoline_kernelINS0_14default_configENS1_27scan_by_key_config_selectorIxxEEZZNS1_16scan_by_key_implILNS1_25lookback_scan_determinismE0ELb1ES3_N6thrust23THRUST_200600_302600_NS6detail15normal_iteratorINS9_10device_ptrIxEEEESE_SE_xNS9_4plusIvEENS9_8equal_toIxEExEE10hipError_tPvRmT2_T3_T4_T5_mT6_T7_P12ihipStream_tbENKUlT_T0_E_clISt17integral_constantIbLb0EESZ_EEDaSU_SV_EUlSU_E_NS1_11comp_targetILNS1_3genE5ELNS1_11target_archE942ELNS1_3gpuE9ELNS1_3repE0EEENS1_30default_config_static_selectorELNS0_4arch9wavefront6targetE0EEEvT1_.uses_vcc, 0
	.set _ZN7rocprim17ROCPRIM_400000_NS6detail17trampoline_kernelINS0_14default_configENS1_27scan_by_key_config_selectorIxxEEZZNS1_16scan_by_key_implILNS1_25lookback_scan_determinismE0ELb1ES3_N6thrust23THRUST_200600_302600_NS6detail15normal_iteratorINS9_10device_ptrIxEEEESE_SE_xNS9_4plusIvEENS9_8equal_toIxEExEE10hipError_tPvRmT2_T3_T4_T5_mT6_T7_P12ihipStream_tbENKUlT_T0_E_clISt17integral_constantIbLb0EESZ_EEDaSU_SV_EUlSU_E_NS1_11comp_targetILNS1_3genE5ELNS1_11target_archE942ELNS1_3gpuE9ELNS1_3repE0EEENS1_30default_config_static_selectorELNS0_4arch9wavefront6targetE0EEEvT1_.uses_flat_scratch, 0
	.set _ZN7rocprim17ROCPRIM_400000_NS6detail17trampoline_kernelINS0_14default_configENS1_27scan_by_key_config_selectorIxxEEZZNS1_16scan_by_key_implILNS1_25lookback_scan_determinismE0ELb1ES3_N6thrust23THRUST_200600_302600_NS6detail15normal_iteratorINS9_10device_ptrIxEEEESE_SE_xNS9_4plusIvEENS9_8equal_toIxEExEE10hipError_tPvRmT2_T3_T4_T5_mT6_T7_P12ihipStream_tbENKUlT_T0_E_clISt17integral_constantIbLb0EESZ_EEDaSU_SV_EUlSU_E_NS1_11comp_targetILNS1_3genE5ELNS1_11target_archE942ELNS1_3gpuE9ELNS1_3repE0EEENS1_30default_config_static_selectorELNS0_4arch9wavefront6targetE0EEEvT1_.has_dyn_sized_stack, 0
	.set _ZN7rocprim17ROCPRIM_400000_NS6detail17trampoline_kernelINS0_14default_configENS1_27scan_by_key_config_selectorIxxEEZZNS1_16scan_by_key_implILNS1_25lookback_scan_determinismE0ELb1ES3_N6thrust23THRUST_200600_302600_NS6detail15normal_iteratorINS9_10device_ptrIxEEEESE_SE_xNS9_4plusIvEENS9_8equal_toIxEExEE10hipError_tPvRmT2_T3_T4_T5_mT6_T7_P12ihipStream_tbENKUlT_T0_E_clISt17integral_constantIbLb0EESZ_EEDaSU_SV_EUlSU_E_NS1_11comp_targetILNS1_3genE5ELNS1_11target_archE942ELNS1_3gpuE9ELNS1_3repE0EEENS1_30default_config_static_selectorELNS0_4arch9wavefront6targetE0EEEvT1_.has_recursion, 0
	.set _ZN7rocprim17ROCPRIM_400000_NS6detail17trampoline_kernelINS0_14default_configENS1_27scan_by_key_config_selectorIxxEEZZNS1_16scan_by_key_implILNS1_25lookback_scan_determinismE0ELb1ES3_N6thrust23THRUST_200600_302600_NS6detail15normal_iteratorINS9_10device_ptrIxEEEESE_SE_xNS9_4plusIvEENS9_8equal_toIxEExEE10hipError_tPvRmT2_T3_T4_T5_mT6_T7_P12ihipStream_tbENKUlT_T0_E_clISt17integral_constantIbLb0EESZ_EEDaSU_SV_EUlSU_E_NS1_11comp_targetILNS1_3genE5ELNS1_11target_archE942ELNS1_3gpuE9ELNS1_3repE0EEENS1_30default_config_static_selectorELNS0_4arch9wavefront6targetE0EEEvT1_.has_indirect_call, 0
	.section	.AMDGPU.csdata,"",@progbits
; Kernel info:
; codeLenInByte = 0
; TotalNumSgprs: 0
; NumVgprs: 0
; ScratchSize: 0
; MemoryBound: 0
; FloatMode: 240
; IeeeMode: 1
; LDSByteSize: 0 bytes/workgroup (compile time only)
; SGPRBlocks: 0
; VGPRBlocks: 0
; NumSGPRsForWavesPerEU: 1
; NumVGPRsForWavesPerEU: 1
; Occupancy: 16
; WaveLimiterHint : 0
; COMPUTE_PGM_RSRC2:SCRATCH_EN: 0
; COMPUTE_PGM_RSRC2:USER_SGPR: 6
; COMPUTE_PGM_RSRC2:TRAP_HANDLER: 0
; COMPUTE_PGM_RSRC2:TGID_X_EN: 1
; COMPUTE_PGM_RSRC2:TGID_Y_EN: 0
; COMPUTE_PGM_RSRC2:TGID_Z_EN: 0
; COMPUTE_PGM_RSRC2:TIDIG_COMP_CNT: 0
	.section	.text._ZN7rocprim17ROCPRIM_400000_NS6detail17trampoline_kernelINS0_14default_configENS1_27scan_by_key_config_selectorIxxEEZZNS1_16scan_by_key_implILNS1_25lookback_scan_determinismE0ELb1ES3_N6thrust23THRUST_200600_302600_NS6detail15normal_iteratorINS9_10device_ptrIxEEEESE_SE_xNS9_4plusIvEENS9_8equal_toIxEExEE10hipError_tPvRmT2_T3_T4_T5_mT6_T7_P12ihipStream_tbENKUlT_T0_E_clISt17integral_constantIbLb0EESZ_EEDaSU_SV_EUlSU_E_NS1_11comp_targetILNS1_3genE4ELNS1_11target_archE910ELNS1_3gpuE8ELNS1_3repE0EEENS1_30default_config_static_selectorELNS0_4arch9wavefront6targetE0EEEvT1_,"axG",@progbits,_ZN7rocprim17ROCPRIM_400000_NS6detail17trampoline_kernelINS0_14default_configENS1_27scan_by_key_config_selectorIxxEEZZNS1_16scan_by_key_implILNS1_25lookback_scan_determinismE0ELb1ES3_N6thrust23THRUST_200600_302600_NS6detail15normal_iteratorINS9_10device_ptrIxEEEESE_SE_xNS9_4plusIvEENS9_8equal_toIxEExEE10hipError_tPvRmT2_T3_T4_T5_mT6_T7_P12ihipStream_tbENKUlT_T0_E_clISt17integral_constantIbLb0EESZ_EEDaSU_SV_EUlSU_E_NS1_11comp_targetILNS1_3genE4ELNS1_11target_archE910ELNS1_3gpuE8ELNS1_3repE0EEENS1_30default_config_static_selectorELNS0_4arch9wavefront6targetE0EEEvT1_,comdat
	.protected	_ZN7rocprim17ROCPRIM_400000_NS6detail17trampoline_kernelINS0_14default_configENS1_27scan_by_key_config_selectorIxxEEZZNS1_16scan_by_key_implILNS1_25lookback_scan_determinismE0ELb1ES3_N6thrust23THRUST_200600_302600_NS6detail15normal_iteratorINS9_10device_ptrIxEEEESE_SE_xNS9_4plusIvEENS9_8equal_toIxEExEE10hipError_tPvRmT2_T3_T4_T5_mT6_T7_P12ihipStream_tbENKUlT_T0_E_clISt17integral_constantIbLb0EESZ_EEDaSU_SV_EUlSU_E_NS1_11comp_targetILNS1_3genE4ELNS1_11target_archE910ELNS1_3gpuE8ELNS1_3repE0EEENS1_30default_config_static_selectorELNS0_4arch9wavefront6targetE0EEEvT1_ ; -- Begin function _ZN7rocprim17ROCPRIM_400000_NS6detail17trampoline_kernelINS0_14default_configENS1_27scan_by_key_config_selectorIxxEEZZNS1_16scan_by_key_implILNS1_25lookback_scan_determinismE0ELb1ES3_N6thrust23THRUST_200600_302600_NS6detail15normal_iteratorINS9_10device_ptrIxEEEESE_SE_xNS9_4plusIvEENS9_8equal_toIxEExEE10hipError_tPvRmT2_T3_T4_T5_mT6_T7_P12ihipStream_tbENKUlT_T0_E_clISt17integral_constantIbLb0EESZ_EEDaSU_SV_EUlSU_E_NS1_11comp_targetILNS1_3genE4ELNS1_11target_archE910ELNS1_3gpuE8ELNS1_3repE0EEENS1_30default_config_static_selectorELNS0_4arch9wavefront6targetE0EEEvT1_
	.globl	_ZN7rocprim17ROCPRIM_400000_NS6detail17trampoline_kernelINS0_14default_configENS1_27scan_by_key_config_selectorIxxEEZZNS1_16scan_by_key_implILNS1_25lookback_scan_determinismE0ELb1ES3_N6thrust23THRUST_200600_302600_NS6detail15normal_iteratorINS9_10device_ptrIxEEEESE_SE_xNS9_4plusIvEENS9_8equal_toIxEExEE10hipError_tPvRmT2_T3_T4_T5_mT6_T7_P12ihipStream_tbENKUlT_T0_E_clISt17integral_constantIbLb0EESZ_EEDaSU_SV_EUlSU_E_NS1_11comp_targetILNS1_3genE4ELNS1_11target_archE910ELNS1_3gpuE8ELNS1_3repE0EEENS1_30default_config_static_selectorELNS0_4arch9wavefront6targetE0EEEvT1_
	.p2align	8
	.type	_ZN7rocprim17ROCPRIM_400000_NS6detail17trampoline_kernelINS0_14default_configENS1_27scan_by_key_config_selectorIxxEEZZNS1_16scan_by_key_implILNS1_25lookback_scan_determinismE0ELb1ES3_N6thrust23THRUST_200600_302600_NS6detail15normal_iteratorINS9_10device_ptrIxEEEESE_SE_xNS9_4plusIvEENS9_8equal_toIxEExEE10hipError_tPvRmT2_T3_T4_T5_mT6_T7_P12ihipStream_tbENKUlT_T0_E_clISt17integral_constantIbLb0EESZ_EEDaSU_SV_EUlSU_E_NS1_11comp_targetILNS1_3genE4ELNS1_11target_archE910ELNS1_3gpuE8ELNS1_3repE0EEENS1_30default_config_static_selectorELNS0_4arch9wavefront6targetE0EEEvT1_,@function
_ZN7rocprim17ROCPRIM_400000_NS6detail17trampoline_kernelINS0_14default_configENS1_27scan_by_key_config_selectorIxxEEZZNS1_16scan_by_key_implILNS1_25lookback_scan_determinismE0ELb1ES3_N6thrust23THRUST_200600_302600_NS6detail15normal_iteratorINS9_10device_ptrIxEEEESE_SE_xNS9_4plusIvEENS9_8equal_toIxEExEE10hipError_tPvRmT2_T3_T4_T5_mT6_T7_P12ihipStream_tbENKUlT_T0_E_clISt17integral_constantIbLb0EESZ_EEDaSU_SV_EUlSU_E_NS1_11comp_targetILNS1_3genE4ELNS1_11target_archE910ELNS1_3gpuE8ELNS1_3repE0EEENS1_30default_config_static_selectorELNS0_4arch9wavefront6targetE0EEEvT1_: ; @_ZN7rocprim17ROCPRIM_400000_NS6detail17trampoline_kernelINS0_14default_configENS1_27scan_by_key_config_selectorIxxEEZZNS1_16scan_by_key_implILNS1_25lookback_scan_determinismE0ELb1ES3_N6thrust23THRUST_200600_302600_NS6detail15normal_iteratorINS9_10device_ptrIxEEEESE_SE_xNS9_4plusIvEENS9_8equal_toIxEExEE10hipError_tPvRmT2_T3_T4_T5_mT6_T7_P12ihipStream_tbENKUlT_T0_E_clISt17integral_constantIbLb0EESZ_EEDaSU_SV_EUlSU_E_NS1_11comp_targetILNS1_3genE4ELNS1_11target_archE910ELNS1_3gpuE8ELNS1_3repE0EEENS1_30default_config_static_selectorELNS0_4arch9wavefront6targetE0EEEvT1_
; %bb.0:
	.section	.rodata,"a",@progbits
	.p2align	6, 0x0
	.amdhsa_kernel _ZN7rocprim17ROCPRIM_400000_NS6detail17trampoline_kernelINS0_14default_configENS1_27scan_by_key_config_selectorIxxEEZZNS1_16scan_by_key_implILNS1_25lookback_scan_determinismE0ELb1ES3_N6thrust23THRUST_200600_302600_NS6detail15normal_iteratorINS9_10device_ptrIxEEEESE_SE_xNS9_4plusIvEENS9_8equal_toIxEExEE10hipError_tPvRmT2_T3_T4_T5_mT6_T7_P12ihipStream_tbENKUlT_T0_E_clISt17integral_constantIbLb0EESZ_EEDaSU_SV_EUlSU_E_NS1_11comp_targetILNS1_3genE4ELNS1_11target_archE910ELNS1_3gpuE8ELNS1_3repE0EEENS1_30default_config_static_selectorELNS0_4arch9wavefront6targetE0EEEvT1_
		.amdhsa_group_segment_fixed_size 0
		.amdhsa_private_segment_fixed_size 0
		.amdhsa_kernarg_size 136
		.amdhsa_user_sgpr_count 6
		.amdhsa_user_sgpr_private_segment_buffer 1
		.amdhsa_user_sgpr_dispatch_ptr 0
		.amdhsa_user_sgpr_queue_ptr 0
		.amdhsa_user_sgpr_kernarg_segment_ptr 1
		.amdhsa_user_sgpr_dispatch_id 0
		.amdhsa_user_sgpr_flat_scratch_init 0
		.amdhsa_user_sgpr_private_segment_size 0
		.amdhsa_wavefront_size32 1
		.amdhsa_uses_dynamic_stack 0
		.amdhsa_system_sgpr_private_segment_wavefront_offset 0
		.amdhsa_system_sgpr_workgroup_id_x 1
		.amdhsa_system_sgpr_workgroup_id_y 0
		.amdhsa_system_sgpr_workgroup_id_z 0
		.amdhsa_system_sgpr_workgroup_info 0
		.amdhsa_system_vgpr_workitem_id 0
		.amdhsa_next_free_vgpr 1
		.amdhsa_next_free_sgpr 1
		.amdhsa_reserve_vcc 0
		.amdhsa_reserve_flat_scratch 0
		.amdhsa_float_round_mode_32 0
		.amdhsa_float_round_mode_16_64 0
		.amdhsa_float_denorm_mode_32 3
		.amdhsa_float_denorm_mode_16_64 3
		.amdhsa_dx10_clamp 1
		.amdhsa_ieee_mode 1
		.amdhsa_fp16_overflow 0
		.amdhsa_workgroup_processor_mode 1
		.amdhsa_memory_ordered 1
		.amdhsa_forward_progress 1
		.amdhsa_shared_vgpr_count 0
		.amdhsa_exception_fp_ieee_invalid_op 0
		.amdhsa_exception_fp_denorm_src 0
		.amdhsa_exception_fp_ieee_div_zero 0
		.amdhsa_exception_fp_ieee_overflow 0
		.amdhsa_exception_fp_ieee_underflow 0
		.amdhsa_exception_fp_ieee_inexact 0
		.amdhsa_exception_int_div_zero 0
	.end_amdhsa_kernel
	.section	.text._ZN7rocprim17ROCPRIM_400000_NS6detail17trampoline_kernelINS0_14default_configENS1_27scan_by_key_config_selectorIxxEEZZNS1_16scan_by_key_implILNS1_25lookback_scan_determinismE0ELb1ES3_N6thrust23THRUST_200600_302600_NS6detail15normal_iteratorINS9_10device_ptrIxEEEESE_SE_xNS9_4plusIvEENS9_8equal_toIxEExEE10hipError_tPvRmT2_T3_T4_T5_mT6_T7_P12ihipStream_tbENKUlT_T0_E_clISt17integral_constantIbLb0EESZ_EEDaSU_SV_EUlSU_E_NS1_11comp_targetILNS1_3genE4ELNS1_11target_archE910ELNS1_3gpuE8ELNS1_3repE0EEENS1_30default_config_static_selectorELNS0_4arch9wavefront6targetE0EEEvT1_,"axG",@progbits,_ZN7rocprim17ROCPRIM_400000_NS6detail17trampoline_kernelINS0_14default_configENS1_27scan_by_key_config_selectorIxxEEZZNS1_16scan_by_key_implILNS1_25lookback_scan_determinismE0ELb1ES3_N6thrust23THRUST_200600_302600_NS6detail15normal_iteratorINS9_10device_ptrIxEEEESE_SE_xNS9_4plusIvEENS9_8equal_toIxEExEE10hipError_tPvRmT2_T3_T4_T5_mT6_T7_P12ihipStream_tbENKUlT_T0_E_clISt17integral_constantIbLb0EESZ_EEDaSU_SV_EUlSU_E_NS1_11comp_targetILNS1_3genE4ELNS1_11target_archE910ELNS1_3gpuE8ELNS1_3repE0EEENS1_30default_config_static_selectorELNS0_4arch9wavefront6targetE0EEEvT1_,comdat
.Lfunc_end428:
	.size	_ZN7rocprim17ROCPRIM_400000_NS6detail17trampoline_kernelINS0_14default_configENS1_27scan_by_key_config_selectorIxxEEZZNS1_16scan_by_key_implILNS1_25lookback_scan_determinismE0ELb1ES3_N6thrust23THRUST_200600_302600_NS6detail15normal_iteratorINS9_10device_ptrIxEEEESE_SE_xNS9_4plusIvEENS9_8equal_toIxEExEE10hipError_tPvRmT2_T3_T4_T5_mT6_T7_P12ihipStream_tbENKUlT_T0_E_clISt17integral_constantIbLb0EESZ_EEDaSU_SV_EUlSU_E_NS1_11comp_targetILNS1_3genE4ELNS1_11target_archE910ELNS1_3gpuE8ELNS1_3repE0EEENS1_30default_config_static_selectorELNS0_4arch9wavefront6targetE0EEEvT1_, .Lfunc_end428-_ZN7rocprim17ROCPRIM_400000_NS6detail17trampoline_kernelINS0_14default_configENS1_27scan_by_key_config_selectorIxxEEZZNS1_16scan_by_key_implILNS1_25lookback_scan_determinismE0ELb1ES3_N6thrust23THRUST_200600_302600_NS6detail15normal_iteratorINS9_10device_ptrIxEEEESE_SE_xNS9_4plusIvEENS9_8equal_toIxEExEE10hipError_tPvRmT2_T3_T4_T5_mT6_T7_P12ihipStream_tbENKUlT_T0_E_clISt17integral_constantIbLb0EESZ_EEDaSU_SV_EUlSU_E_NS1_11comp_targetILNS1_3genE4ELNS1_11target_archE910ELNS1_3gpuE8ELNS1_3repE0EEENS1_30default_config_static_selectorELNS0_4arch9wavefront6targetE0EEEvT1_
                                        ; -- End function
	.set _ZN7rocprim17ROCPRIM_400000_NS6detail17trampoline_kernelINS0_14default_configENS1_27scan_by_key_config_selectorIxxEEZZNS1_16scan_by_key_implILNS1_25lookback_scan_determinismE0ELb1ES3_N6thrust23THRUST_200600_302600_NS6detail15normal_iteratorINS9_10device_ptrIxEEEESE_SE_xNS9_4plusIvEENS9_8equal_toIxEExEE10hipError_tPvRmT2_T3_T4_T5_mT6_T7_P12ihipStream_tbENKUlT_T0_E_clISt17integral_constantIbLb0EESZ_EEDaSU_SV_EUlSU_E_NS1_11comp_targetILNS1_3genE4ELNS1_11target_archE910ELNS1_3gpuE8ELNS1_3repE0EEENS1_30default_config_static_selectorELNS0_4arch9wavefront6targetE0EEEvT1_.num_vgpr, 0
	.set _ZN7rocprim17ROCPRIM_400000_NS6detail17trampoline_kernelINS0_14default_configENS1_27scan_by_key_config_selectorIxxEEZZNS1_16scan_by_key_implILNS1_25lookback_scan_determinismE0ELb1ES3_N6thrust23THRUST_200600_302600_NS6detail15normal_iteratorINS9_10device_ptrIxEEEESE_SE_xNS9_4plusIvEENS9_8equal_toIxEExEE10hipError_tPvRmT2_T3_T4_T5_mT6_T7_P12ihipStream_tbENKUlT_T0_E_clISt17integral_constantIbLb0EESZ_EEDaSU_SV_EUlSU_E_NS1_11comp_targetILNS1_3genE4ELNS1_11target_archE910ELNS1_3gpuE8ELNS1_3repE0EEENS1_30default_config_static_selectorELNS0_4arch9wavefront6targetE0EEEvT1_.num_agpr, 0
	.set _ZN7rocprim17ROCPRIM_400000_NS6detail17trampoline_kernelINS0_14default_configENS1_27scan_by_key_config_selectorIxxEEZZNS1_16scan_by_key_implILNS1_25lookback_scan_determinismE0ELb1ES3_N6thrust23THRUST_200600_302600_NS6detail15normal_iteratorINS9_10device_ptrIxEEEESE_SE_xNS9_4plusIvEENS9_8equal_toIxEExEE10hipError_tPvRmT2_T3_T4_T5_mT6_T7_P12ihipStream_tbENKUlT_T0_E_clISt17integral_constantIbLb0EESZ_EEDaSU_SV_EUlSU_E_NS1_11comp_targetILNS1_3genE4ELNS1_11target_archE910ELNS1_3gpuE8ELNS1_3repE0EEENS1_30default_config_static_selectorELNS0_4arch9wavefront6targetE0EEEvT1_.numbered_sgpr, 0
	.set _ZN7rocprim17ROCPRIM_400000_NS6detail17trampoline_kernelINS0_14default_configENS1_27scan_by_key_config_selectorIxxEEZZNS1_16scan_by_key_implILNS1_25lookback_scan_determinismE0ELb1ES3_N6thrust23THRUST_200600_302600_NS6detail15normal_iteratorINS9_10device_ptrIxEEEESE_SE_xNS9_4plusIvEENS9_8equal_toIxEExEE10hipError_tPvRmT2_T3_T4_T5_mT6_T7_P12ihipStream_tbENKUlT_T0_E_clISt17integral_constantIbLb0EESZ_EEDaSU_SV_EUlSU_E_NS1_11comp_targetILNS1_3genE4ELNS1_11target_archE910ELNS1_3gpuE8ELNS1_3repE0EEENS1_30default_config_static_selectorELNS0_4arch9wavefront6targetE0EEEvT1_.num_named_barrier, 0
	.set _ZN7rocprim17ROCPRIM_400000_NS6detail17trampoline_kernelINS0_14default_configENS1_27scan_by_key_config_selectorIxxEEZZNS1_16scan_by_key_implILNS1_25lookback_scan_determinismE0ELb1ES3_N6thrust23THRUST_200600_302600_NS6detail15normal_iteratorINS9_10device_ptrIxEEEESE_SE_xNS9_4plusIvEENS9_8equal_toIxEExEE10hipError_tPvRmT2_T3_T4_T5_mT6_T7_P12ihipStream_tbENKUlT_T0_E_clISt17integral_constantIbLb0EESZ_EEDaSU_SV_EUlSU_E_NS1_11comp_targetILNS1_3genE4ELNS1_11target_archE910ELNS1_3gpuE8ELNS1_3repE0EEENS1_30default_config_static_selectorELNS0_4arch9wavefront6targetE0EEEvT1_.private_seg_size, 0
	.set _ZN7rocprim17ROCPRIM_400000_NS6detail17trampoline_kernelINS0_14default_configENS1_27scan_by_key_config_selectorIxxEEZZNS1_16scan_by_key_implILNS1_25lookback_scan_determinismE0ELb1ES3_N6thrust23THRUST_200600_302600_NS6detail15normal_iteratorINS9_10device_ptrIxEEEESE_SE_xNS9_4plusIvEENS9_8equal_toIxEExEE10hipError_tPvRmT2_T3_T4_T5_mT6_T7_P12ihipStream_tbENKUlT_T0_E_clISt17integral_constantIbLb0EESZ_EEDaSU_SV_EUlSU_E_NS1_11comp_targetILNS1_3genE4ELNS1_11target_archE910ELNS1_3gpuE8ELNS1_3repE0EEENS1_30default_config_static_selectorELNS0_4arch9wavefront6targetE0EEEvT1_.uses_vcc, 0
	.set _ZN7rocprim17ROCPRIM_400000_NS6detail17trampoline_kernelINS0_14default_configENS1_27scan_by_key_config_selectorIxxEEZZNS1_16scan_by_key_implILNS1_25lookback_scan_determinismE0ELb1ES3_N6thrust23THRUST_200600_302600_NS6detail15normal_iteratorINS9_10device_ptrIxEEEESE_SE_xNS9_4plusIvEENS9_8equal_toIxEExEE10hipError_tPvRmT2_T3_T4_T5_mT6_T7_P12ihipStream_tbENKUlT_T0_E_clISt17integral_constantIbLb0EESZ_EEDaSU_SV_EUlSU_E_NS1_11comp_targetILNS1_3genE4ELNS1_11target_archE910ELNS1_3gpuE8ELNS1_3repE0EEENS1_30default_config_static_selectorELNS0_4arch9wavefront6targetE0EEEvT1_.uses_flat_scratch, 0
	.set _ZN7rocprim17ROCPRIM_400000_NS6detail17trampoline_kernelINS0_14default_configENS1_27scan_by_key_config_selectorIxxEEZZNS1_16scan_by_key_implILNS1_25lookback_scan_determinismE0ELb1ES3_N6thrust23THRUST_200600_302600_NS6detail15normal_iteratorINS9_10device_ptrIxEEEESE_SE_xNS9_4plusIvEENS9_8equal_toIxEExEE10hipError_tPvRmT2_T3_T4_T5_mT6_T7_P12ihipStream_tbENKUlT_T0_E_clISt17integral_constantIbLb0EESZ_EEDaSU_SV_EUlSU_E_NS1_11comp_targetILNS1_3genE4ELNS1_11target_archE910ELNS1_3gpuE8ELNS1_3repE0EEENS1_30default_config_static_selectorELNS0_4arch9wavefront6targetE0EEEvT1_.has_dyn_sized_stack, 0
	.set _ZN7rocprim17ROCPRIM_400000_NS6detail17trampoline_kernelINS0_14default_configENS1_27scan_by_key_config_selectorIxxEEZZNS1_16scan_by_key_implILNS1_25lookback_scan_determinismE0ELb1ES3_N6thrust23THRUST_200600_302600_NS6detail15normal_iteratorINS9_10device_ptrIxEEEESE_SE_xNS9_4plusIvEENS9_8equal_toIxEExEE10hipError_tPvRmT2_T3_T4_T5_mT6_T7_P12ihipStream_tbENKUlT_T0_E_clISt17integral_constantIbLb0EESZ_EEDaSU_SV_EUlSU_E_NS1_11comp_targetILNS1_3genE4ELNS1_11target_archE910ELNS1_3gpuE8ELNS1_3repE0EEENS1_30default_config_static_selectorELNS0_4arch9wavefront6targetE0EEEvT1_.has_recursion, 0
	.set _ZN7rocprim17ROCPRIM_400000_NS6detail17trampoline_kernelINS0_14default_configENS1_27scan_by_key_config_selectorIxxEEZZNS1_16scan_by_key_implILNS1_25lookback_scan_determinismE0ELb1ES3_N6thrust23THRUST_200600_302600_NS6detail15normal_iteratorINS9_10device_ptrIxEEEESE_SE_xNS9_4plusIvEENS9_8equal_toIxEExEE10hipError_tPvRmT2_T3_T4_T5_mT6_T7_P12ihipStream_tbENKUlT_T0_E_clISt17integral_constantIbLb0EESZ_EEDaSU_SV_EUlSU_E_NS1_11comp_targetILNS1_3genE4ELNS1_11target_archE910ELNS1_3gpuE8ELNS1_3repE0EEENS1_30default_config_static_selectorELNS0_4arch9wavefront6targetE0EEEvT1_.has_indirect_call, 0
	.section	.AMDGPU.csdata,"",@progbits
; Kernel info:
; codeLenInByte = 0
; TotalNumSgprs: 0
; NumVgprs: 0
; ScratchSize: 0
; MemoryBound: 0
; FloatMode: 240
; IeeeMode: 1
; LDSByteSize: 0 bytes/workgroup (compile time only)
; SGPRBlocks: 0
; VGPRBlocks: 0
; NumSGPRsForWavesPerEU: 1
; NumVGPRsForWavesPerEU: 1
; Occupancy: 16
; WaveLimiterHint : 0
; COMPUTE_PGM_RSRC2:SCRATCH_EN: 0
; COMPUTE_PGM_RSRC2:USER_SGPR: 6
; COMPUTE_PGM_RSRC2:TRAP_HANDLER: 0
; COMPUTE_PGM_RSRC2:TGID_X_EN: 1
; COMPUTE_PGM_RSRC2:TGID_Y_EN: 0
; COMPUTE_PGM_RSRC2:TGID_Z_EN: 0
; COMPUTE_PGM_RSRC2:TIDIG_COMP_CNT: 0
	.section	.text._ZN7rocprim17ROCPRIM_400000_NS6detail17trampoline_kernelINS0_14default_configENS1_27scan_by_key_config_selectorIxxEEZZNS1_16scan_by_key_implILNS1_25lookback_scan_determinismE0ELb1ES3_N6thrust23THRUST_200600_302600_NS6detail15normal_iteratorINS9_10device_ptrIxEEEESE_SE_xNS9_4plusIvEENS9_8equal_toIxEExEE10hipError_tPvRmT2_T3_T4_T5_mT6_T7_P12ihipStream_tbENKUlT_T0_E_clISt17integral_constantIbLb0EESZ_EEDaSU_SV_EUlSU_E_NS1_11comp_targetILNS1_3genE3ELNS1_11target_archE908ELNS1_3gpuE7ELNS1_3repE0EEENS1_30default_config_static_selectorELNS0_4arch9wavefront6targetE0EEEvT1_,"axG",@progbits,_ZN7rocprim17ROCPRIM_400000_NS6detail17trampoline_kernelINS0_14default_configENS1_27scan_by_key_config_selectorIxxEEZZNS1_16scan_by_key_implILNS1_25lookback_scan_determinismE0ELb1ES3_N6thrust23THRUST_200600_302600_NS6detail15normal_iteratorINS9_10device_ptrIxEEEESE_SE_xNS9_4plusIvEENS9_8equal_toIxEExEE10hipError_tPvRmT2_T3_T4_T5_mT6_T7_P12ihipStream_tbENKUlT_T0_E_clISt17integral_constantIbLb0EESZ_EEDaSU_SV_EUlSU_E_NS1_11comp_targetILNS1_3genE3ELNS1_11target_archE908ELNS1_3gpuE7ELNS1_3repE0EEENS1_30default_config_static_selectorELNS0_4arch9wavefront6targetE0EEEvT1_,comdat
	.protected	_ZN7rocprim17ROCPRIM_400000_NS6detail17trampoline_kernelINS0_14default_configENS1_27scan_by_key_config_selectorIxxEEZZNS1_16scan_by_key_implILNS1_25lookback_scan_determinismE0ELb1ES3_N6thrust23THRUST_200600_302600_NS6detail15normal_iteratorINS9_10device_ptrIxEEEESE_SE_xNS9_4plusIvEENS9_8equal_toIxEExEE10hipError_tPvRmT2_T3_T4_T5_mT6_T7_P12ihipStream_tbENKUlT_T0_E_clISt17integral_constantIbLb0EESZ_EEDaSU_SV_EUlSU_E_NS1_11comp_targetILNS1_3genE3ELNS1_11target_archE908ELNS1_3gpuE7ELNS1_3repE0EEENS1_30default_config_static_selectorELNS0_4arch9wavefront6targetE0EEEvT1_ ; -- Begin function _ZN7rocprim17ROCPRIM_400000_NS6detail17trampoline_kernelINS0_14default_configENS1_27scan_by_key_config_selectorIxxEEZZNS1_16scan_by_key_implILNS1_25lookback_scan_determinismE0ELb1ES3_N6thrust23THRUST_200600_302600_NS6detail15normal_iteratorINS9_10device_ptrIxEEEESE_SE_xNS9_4plusIvEENS9_8equal_toIxEExEE10hipError_tPvRmT2_T3_T4_T5_mT6_T7_P12ihipStream_tbENKUlT_T0_E_clISt17integral_constantIbLb0EESZ_EEDaSU_SV_EUlSU_E_NS1_11comp_targetILNS1_3genE3ELNS1_11target_archE908ELNS1_3gpuE7ELNS1_3repE0EEENS1_30default_config_static_selectorELNS0_4arch9wavefront6targetE0EEEvT1_
	.globl	_ZN7rocprim17ROCPRIM_400000_NS6detail17trampoline_kernelINS0_14default_configENS1_27scan_by_key_config_selectorIxxEEZZNS1_16scan_by_key_implILNS1_25lookback_scan_determinismE0ELb1ES3_N6thrust23THRUST_200600_302600_NS6detail15normal_iteratorINS9_10device_ptrIxEEEESE_SE_xNS9_4plusIvEENS9_8equal_toIxEExEE10hipError_tPvRmT2_T3_T4_T5_mT6_T7_P12ihipStream_tbENKUlT_T0_E_clISt17integral_constantIbLb0EESZ_EEDaSU_SV_EUlSU_E_NS1_11comp_targetILNS1_3genE3ELNS1_11target_archE908ELNS1_3gpuE7ELNS1_3repE0EEENS1_30default_config_static_selectorELNS0_4arch9wavefront6targetE0EEEvT1_
	.p2align	8
	.type	_ZN7rocprim17ROCPRIM_400000_NS6detail17trampoline_kernelINS0_14default_configENS1_27scan_by_key_config_selectorIxxEEZZNS1_16scan_by_key_implILNS1_25lookback_scan_determinismE0ELb1ES3_N6thrust23THRUST_200600_302600_NS6detail15normal_iteratorINS9_10device_ptrIxEEEESE_SE_xNS9_4plusIvEENS9_8equal_toIxEExEE10hipError_tPvRmT2_T3_T4_T5_mT6_T7_P12ihipStream_tbENKUlT_T0_E_clISt17integral_constantIbLb0EESZ_EEDaSU_SV_EUlSU_E_NS1_11comp_targetILNS1_3genE3ELNS1_11target_archE908ELNS1_3gpuE7ELNS1_3repE0EEENS1_30default_config_static_selectorELNS0_4arch9wavefront6targetE0EEEvT1_,@function
_ZN7rocprim17ROCPRIM_400000_NS6detail17trampoline_kernelINS0_14default_configENS1_27scan_by_key_config_selectorIxxEEZZNS1_16scan_by_key_implILNS1_25lookback_scan_determinismE0ELb1ES3_N6thrust23THRUST_200600_302600_NS6detail15normal_iteratorINS9_10device_ptrIxEEEESE_SE_xNS9_4plusIvEENS9_8equal_toIxEExEE10hipError_tPvRmT2_T3_T4_T5_mT6_T7_P12ihipStream_tbENKUlT_T0_E_clISt17integral_constantIbLb0EESZ_EEDaSU_SV_EUlSU_E_NS1_11comp_targetILNS1_3genE3ELNS1_11target_archE908ELNS1_3gpuE7ELNS1_3repE0EEENS1_30default_config_static_selectorELNS0_4arch9wavefront6targetE0EEEvT1_: ; @_ZN7rocprim17ROCPRIM_400000_NS6detail17trampoline_kernelINS0_14default_configENS1_27scan_by_key_config_selectorIxxEEZZNS1_16scan_by_key_implILNS1_25lookback_scan_determinismE0ELb1ES3_N6thrust23THRUST_200600_302600_NS6detail15normal_iteratorINS9_10device_ptrIxEEEESE_SE_xNS9_4plusIvEENS9_8equal_toIxEExEE10hipError_tPvRmT2_T3_T4_T5_mT6_T7_P12ihipStream_tbENKUlT_T0_E_clISt17integral_constantIbLb0EESZ_EEDaSU_SV_EUlSU_E_NS1_11comp_targetILNS1_3genE3ELNS1_11target_archE908ELNS1_3gpuE7ELNS1_3repE0EEENS1_30default_config_static_selectorELNS0_4arch9wavefront6targetE0EEEvT1_
; %bb.0:
	.section	.rodata,"a",@progbits
	.p2align	6, 0x0
	.amdhsa_kernel _ZN7rocprim17ROCPRIM_400000_NS6detail17trampoline_kernelINS0_14default_configENS1_27scan_by_key_config_selectorIxxEEZZNS1_16scan_by_key_implILNS1_25lookback_scan_determinismE0ELb1ES3_N6thrust23THRUST_200600_302600_NS6detail15normal_iteratorINS9_10device_ptrIxEEEESE_SE_xNS9_4plusIvEENS9_8equal_toIxEExEE10hipError_tPvRmT2_T3_T4_T5_mT6_T7_P12ihipStream_tbENKUlT_T0_E_clISt17integral_constantIbLb0EESZ_EEDaSU_SV_EUlSU_E_NS1_11comp_targetILNS1_3genE3ELNS1_11target_archE908ELNS1_3gpuE7ELNS1_3repE0EEENS1_30default_config_static_selectorELNS0_4arch9wavefront6targetE0EEEvT1_
		.amdhsa_group_segment_fixed_size 0
		.amdhsa_private_segment_fixed_size 0
		.amdhsa_kernarg_size 136
		.amdhsa_user_sgpr_count 6
		.amdhsa_user_sgpr_private_segment_buffer 1
		.amdhsa_user_sgpr_dispatch_ptr 0
		.amdhsa_user_sgpr_queue_ptr 0
		.amdhsa_user_sgpr_kernarg_segment_ptr 1
		.amdhsa_user_sgpr_dispatch_id 0
		.amdhsa_user_sgpr_flat_scratch_init 0
		.amdhsa_user_sgpr_private_segment_size 0
		.amdhsa_wavefront_size32 1
		.amdhsa_uses_dynamic_stack 0
		.amdhsa_system_sgpr_private_segment_wavefront_offset 0
		.amdhsa_system_sgpr_workgroup_id_x 1
		.amdhsa_system_sgpr_workgroup_id_y 0
		.amdhsa_system_sgpr_workgroup_id_z 0
		.amdhsa_system_sgpr_workgroup_info 0
		.amdhsa_system_vgpr_workitem_id 0
		.amdhsa_next_free_vgpr 1
		.amdhsa_next_free_sgpr 1
		.amdhsa_reserve_vcc 0
		.amdhsa_reserve_flat_scratch 0
		.amdhsa_float_round_mode_32 0
		.amdhsa_float_round_mode_16_64 0
		.amdhsa_float_denorm_mode_32 3
		.amdhsa_float_denorm_mode_16_64 3
		.amdhsa_dx10_clamp 1
		.amdhsa_ieee_mode 1
		.amdhsa_fp16_overflow 0
		.amdhsa_workgroup_processor_mode 1
		.amdhsa_memory_ordered 1
		.amdhsa_forward_progress 1
		.amdhsa_shared_vgpr_count 0
		.amdhsa_exception_fp_ieee_invalid_op 0
		.amdhsa_exception_fp_denorm_src 0
		.amdhsa_exception_fp_ieee_div_zero 0
		.amdhsa_exception_fp_ieee_overflow 0
		.amdhsa_exception_fp_ieee_underflow 0
		.amdhsa_exception_fp_ieee_inexact 0
		.amdhsa_exception_int_div_zero 0
	.end_amdhsa_kernel
	.section	.text._ZN7rocprim17ROCPRIM_400000_NS6detail17trampoline_kernelINS0_14default_configENS1_27scan_by_key_config_selectorIxxEEZZNS1_16scan_by_key_implILNS1_25lookback_scan_determinismE0ELb1ES3_N6thrust23THRUST_200600_302600_NS6detail15normal_iteratorINS9_10device_ptrIxEEEESE_SE_xNS9_4plusIvEENS9_8equal_toIxEExEE10hipError_tPvRmT2_T3_T4_T5_mT6_T7_P12ihipStream_tbENKUlT_T0_E_clISt17integral_constantIbLb0EESZ_EEDaSU_SV_EUlSU_E_NS1_11comp_targetILNS1_3genE3ELNS1_11target_archE908ELNS1_3gpuE7ELNS1_3repE0EEENS1_30default_config_static_selectorELNS0_4arch9wavefront6targetE0EEEvT1_,"axG",@progbits,_ZN7rocprim17ROCPRIM_400000_NS6detail17trampoline_kernelINS0_14default_configENS1_27scan_by_key_config_selectorIxxEEZZNS1_16scan_by_key_implILNS1_25lookback_scan_determinismE0ELb1ES3_N6thrust23THRUST_200600_302600_NS6detail15normal_iteratorINS9_10device_ptrIxEEEESE_SE_xNS9_4plusIvEENS9_8equal_toIxEExEE10hipError_tPvRmT2_T3_T4_T5_mT6_T7_P12ihipStream_tbENKUlT_T0_E_clISt17integral_constantIbLb0EESZ_EEDaSU_SV_EUlSU_E_NS1_11comp_targetILNS1_3genE3ELNS1_11target_archE908ELNS1_3gpuE7ELNS1_3repE0EEENS1_30default_config_static_selectorELNS0_4arch9wavefront6targetE0EEEvT1_,comdat
.Lfunc_end429:
	.size	_ZN7rocprim17ROCPRIM_400000_NS6detail17trampoline_kernelINS0_14default_configENS1_27scan_by_key_config_selectorIxxEEZZNS1_16scan_by_key_implILNS1_25lookback_scan_determinismE0ELb1ES3_N6thrust23THRUST_200600_302600_NS6detail15normal_iteratorINS9_10device_ptrIxEEEESE_SE_xNS9_4plusIvEENS9_8equal_toIxEExEE10hipError_tPvRmT2_T3_T4_T5_mT6_T7_P12ihipStream_tbENKUlT_T0_E_clISt17integral_constantIbLb0EESZ_EEDaSU_SV_EUlSU_E_NS1_11comp_targetILNS1_3genE3ELNS1_11target_archE908ELNS1_3gpuE7ELNS1_3repE0EEENS1_30default_config_static_selectorELNS0_4arch9wavefront6targetE0EEEvT1_, .Lfunc_end429-_ZN7rocprim17ROCPRIM_400000_NS6detail17trampoline_kernelINS0_14default_configENS1_27scan_by_key_config_selectorIxxEEZZNS1_16scan_by_key_implILNS1_25lookback_scan_determinismE0ELb1ES3_N6thrust23THRUST_200600_302600_NS6detail15normal_iteratorINS9_10device_ptrIxEEEESE_SE_xNS9_4plusIvEENS9_8equal_toIxEExEE10hipError_tPvRmT2_T3_T4_T5_mT6_T7_P12ihipStream_tbENKUlT_T0_E_clISt17integral_constantIbLb0EESZ_EEDaSU_SV_EUlSU_E_NS1_11comp_targetILNS1_3genE3ELNS1_11target_archE908ELNS1_3gpuE7ELNS1_3repE0EEENS1_30default_config_static_selectorELNS0_4arch9wavefront6targetE0EEEvT1_
                                        ; -- End function
	.set _ZN7rocprim17ROCPRIM_400000_NS6detail17trampoline_kernelINS0_14default_configENS1_27scan_by_key_config_selectorIxxEEZZNS1_16scan_by_key_implILNS1_25lookback_scan_determinismE0ELb1ES3_N6thrust23THRUST_200600_302600_NS6detail15normal_iteratorINS9_10device_ptrIxEEEESE_SE_xNS9_4plusIvEENS9_8equal_toIxEExEE10hipError_tPvRmT2_T3_T4_T5_mT6_T7_P12ihipStream_tbENKUlT_T0_E_clISt17integral_constantIbLb0EESZ_EEDaSU_SV_EUlSU_E_NS1_11comp_targetILNS1_3genE3ELNS1_11target_archE908ELNS1_3gpuE7ELNS1_3repE0EEENS1_30default_config_static_selectorELNS0_4arch9wavefront6targetE0EEEvT1_.num_vgpr, 0
	.set _ZN7rocprim17ROCPRIM_400000_NS6detail17trampoline_kernelINS0_14default_configENS1_27scan_by_key_config_selectorIxxEEZZNS1_16scan_by_key_implILNS1_25lookback_scan_determinismE0ELb1ES3_N6thrust23THRUST_200600_302600_NS6detail15normal_iteratorINS9_10device_ptrIxEEEESE_SE_xNS9_4plusIvEENS9_8equal_toIxEExEE10hipError_tPvRmT2_T3_T4_T5_mT6_T7_P12ihipStream_tbENKUlT_T0_E_clISt17integral_constantIbLb0EESZ_EEDaSU_SV_EUlSU_E_NS1_11comp_targetILNS1_3genE3ELNS1_11target_archE908ELNS1_3gpuE7ELNS1_3repE0EEENS1_30default_config_static_selectorELNS0_4arch9wavefront6targetE0EEEvT1_.num_agpr, 0
	.set _ZN7rocprim17ROCPRIM_400000_NS6detail17trampoline_kernelINS0_14default_configENS1_27scan_by_key_config_selectorIxxEEZZNS1_16scan_by_key_implILNS1_25lookback_scan_determinismE0ELb1ES3_N6thrust23THRUST_200600_302600_NS6detail15normal_iteratorINS9_10device_ptrIxEEEESE_SE_xNS9_4plusIvEENS9_8equal_toIxEExEE10hipError_tPvRmT2_T3_T4_T5_mT6_T7_P12ihipStream_tbENKUlT_T0_E_clISt17integral_constantIbLb0EESZ_EEDaSU_SV_EUlSU_E_NS1_11comp_targetILNS1_3genE3ELNS1_11target_archE908ELNS1_3gpuE7ELNS1_3repE0EEENS1_30default_config_static_selectorELNS0_4arch9wavefront6targetE0EEEvT1_.numbered_sgpr, 0
	.set _ZN7rocprim17ROCPRIM_400000_NS6detail17trampoline_kernelINS0_14default_configENS1_27scan_by_key_config_selectorIxxEEZZNS1_16scan_by_key_implILNS1_25lookback_scan_determinismE0ELb1ES3_N6thrust23THRUST_200600_302600_NS6detail15normal_iteratorINS9_10device_ptrIxEEEESE_SE_xNS9_4plusIvEENS9_8equal_toIxEExEE10hipError_tPvRmT2_T3_T4_T5_mT6_T7_P12ihipStream_tbENKUlT_T0_E_clISt17integral_constantIbLb0EESZ_EEDaSU_SV_EUlSU_E_NS1_11comp_targetILNS1_3genE3ELNS1_11target_archE908ELNS1_3gpuE7ELNS1_3repE0EEENS1_30default_config_static_selectorELNS0_4arch9wavefront6targetE0EEEvT1_.num_named_barrier, 0
	.set _ZN7rocprim17ROCPRIM_400000_NS6detail17trampoline_kernelINS0_14default_configENS1_27scan_by_key_config_selectorIxxEEZZNS1_16scan_by_key_implILNS1_25lookback_scan_determinismE0ELb1ES3_N6thrust23THRUST_200600_302600_NS6detail15normal_iteratorINS9_10device_ptrIxEEEESE_SE_xNS9_4plusIvEENS9_8equal_toIxEExEE10hipError_tPvRmT2_T3_T4_T5_mT6_T7_P12ihipStream_tbENKUlT_T0_E_clISt17integral_constantIbLb0EESZ_EEDaSU_SV_EUlSU_E_NS1_11comp_targetILNS1_3genE3ELNS1_11target_archE908ELNS1_3gpuE7ELNS1_3repE0EEENS1_30default_config_static_selectorELNS0_4arch9wavefront6targetE0EEEvT1_.private_seg_size, 0
	.set _ZN7rocprim17ROCPRIM_400000_NS6detail17trampoline_kernelINS0_14default_configENS1_27scan_by_key_config_selectorIxxEEZZNS1_16scan_by_key_implILNS1_25lookback_scan_determinismE0ELb1ES3_N6thrust23THRUST_200600_302600_NS6detail15normal_iteratorINS9_10device_ptrIxEEEESE_SE_xNS9_4plusIvEENS9_8equal_toIxEExEE10hipError_tPvRmT2_T3_T4_T5_mT6_T7_P12ihipStream_tbENKUlT_T0_E_clISt17integral_constantIbLb0EESZ_EEDaSU_SV_EUlSU_E_NS1_11comp_targetILNS1_3genE3ELNS1_11target_archE908ELNS1_3gpuE7ELNS1_3repE0EEENS1_30default_config_static_selectorELNS0_4arch9wavefront6targetE0EEEvT1_.uses_vcc, 0
	.set _ZN7rocprim17ROCPRIM_400000_NS6detail17trampoline_kernelINS0_14default_configENS1_27scan_by_key_config_selectorIxxEEZZNS1_16scan_by_key_implILNS1_25lookback_scan_determinismE0ELb1ES3_N6thrust23THRUST_200600_302600_NS6detail15normal_iteratorINS9_10device_ptrIxEEEESE_SE_xNS9_4plusIvEENS9_8equal_toIxEExEE10hipError_tPvRmT2_T3_T4_T5_mT6_T7_P12ihipStream_tbENKUlT_T0_E_clISt17integral_constantIbLb0EESZ_EEDaSU_SV_EUlSU_E_NS1_11comp_targetILNS1_3genE3ELNS1_11target_archE908ELNS1_3gpuE7ELNS1_3repE0EEENS1_30default_config_static_selectorELNS0_4arch9wavefront6targetE0EEEvT1_.uses_flat_scratch, 0
	.set _ZN7rocprim17ROCPRIM_400000_NS6detail17trampoline_kernelINS0_14default_configENS1_27scan_by_key_config_selectorIxxEEZZNS1_16scan_by_key_implILNS1_25lookback_scan_determinismE0ELb1ES3_N6thrust23THRUST_200600_302600_NS6detail15normal_iteratorINS9_10device_ptrIxEEEESE_SE_xNS9_4plusIvEENS9_8equal_toIxEExEE10hipError_tPvRmT2_T3_T4_T5_mT6_T7_P12ihipStream_tbENKUlT_T0_E_clISt17integral_constantIbLb0EESZ_EEDaSU_SV_EUlSU_E_NS1_11comp_targetILNS1_3genE3ELNS1_11target_archE908ELNS1_3gpuE7ELNS1_3repE0EEENS1_30default_config_static_selectorELNS0_4arch9wavefront6targetE0EEEvT1_.has_dyn_sized_stack, 0
	.set _ZN7rocprim17ROCPRIM_400000_NS6detail17trampoline_kernelINS0_14default_configENS1_27scan_by_key_config_selectorIxxEEZZNS1_16scan_by_key_implILNS1_25lookback_scan_determinismE0ELb1ES3_N6thrust23THRUST_200600_302600_NS6detail15normal_iteratorINS9_10device_ptrIxEEEESE_SE_xNS9_4plusIvEENS9_8equal_toIxEExEE10hipError_tPvRmT2_T3_T4_T5_mT6_T7_P12ihipStream_tbENKUlT_T0_E_clISt17integral_constantIbLb0EESZ_EEDaSU_SV_EUlSU_E_NS1_11comp_targetILNS1_3genE3ELNS1_11target_archE908ELNS1_3gpuE7ELNS1_3repE0EEENS1_30default_config_static_selectorELNS0_4arch9wavefront6targetE0EEEvT1_.has_recursion, 0
	.set _ZN7rocprim17ROCPRIM_400000_NS6detail17trampoline_kernelINS0_14default_configENS1_27scan_by_key_config_selectorIxxEEZZNS1_16scan_by_key_implILNS1_25lookback_scan_determinismE0ELb1ES3_N6thrust23THRUST_200600_302600_NS6detail15normal_iteratorINS9_10device_ptrIxEEEESE_SE_xNS9_4plusIvEENS9_8equal_toIxEExEE10hipError_tPvRmT2_T3_T4_T5_mT6_T7_P12ihipStream_tbENKUlT_T0_E_clISt17integral_constantIbLb0EESZ_EEDaSU_SV_EUlSU_E_NS1_11comp_targetILNS1_3genE3ELNS1_11target_archE908ELNS1_3gpuE7ELNS1_3repE0EEENS1_30default_config_static_selectorELNS0_4arch9wavefront6targetE0EEEvT1_.has_indirect_call, 0
	.section	.AMDGPU.csdata,"",@progbits
; Kernel info:
; codeLenInByte = 0
; TotalNumSgprs: 0
; NumVgprs: 0
; ScratchSize: 0
; MemoryBound: 0
; FloatMode: 240
; IeeeMode: 1
; LDSByteSize: 0 bytes/workgroup (compile time only)
; SGPRBlocks: 0
; VGPRBlocks: 0
; NumSGPRsForWavesPerEU: 1
; NumVGPRsForWavesPerEU: 1
; Occupancy: 16
; WaveLimiterHint : 0
; COMPUTE_PGM_RSRC2:SCRATCH_EN: 0
; COMPUTE_PGM_RSRC2:USER_SGPR: 6
; COMPUTE_PGM_RSRC2:TRAP_HANDLER: 0
; COMPUTE_PGM_RSRC2:TGID_X_EN: 1
; COMPUTE_PGM_RSRC2:TGID_Y_EN: 0
; COMPUTE_PGM_RSRC2:TGID_Z_EN: 0
; COMPUTE_PGM_RSRC2:TIDIG_COMP_CNT: 0
	.section	.text._ZN7rocprim17ROCPRIM_400000_NS6detail17trampoline_kernelINS0_14default_configENS1_27scan_by_key_config_selectorIxxEEZZNS1_16scan_by_key_implILNS1_25lookback_scan_determinismE0ELb1ES3_N6thrust23THRUST_200600_302600_NS6detail15normal_iteratorINS9_10device_ptrIxEEEESE_SE_xNS9_4plusIvEENS9_8equal_toIxEExEE10hipError_tPvRmT2_T3_T4_T5_mT6_T7_P12ihipStream_tbENKUlT_T0_E_clISt17integral_constantIbLb0EESZ_EEDaSU_SV_EUlSU_E_NS1_11comp_targetILNS1_3genE2ELNS1_11target_archE906ELNS1_3gpuE6ELNS1_3repE0EEENS1_30default_config_static_selectorELNS0_4arch9wavefront6targetE0EEEvT1_,"axG",@progbits,_ZN7rocprim17ROCPRIM_400000_NS6detail17trampoline_kernelINS0_14default_configENS1_27scan_by_key_config_selectorIxxEEZZNS1_16scan_by_key_implILNS1_25lookback_scan_determinismE0ELb1ES3_N6thrust23THRUST_200600_302600_NS6detail15normal_iteratorINS9_10device_ptrIxEEEESE_SE_xNS9_4plusIvEENS9_8equal_toIxEExEE10hipError_tPvRmT2_T3_T4_T5_mT6_T7_P12ihipStream_tbENKUlT_T0_E_clISt17integral_constantIbLb0EESZ_EEDaSU_SV_EUlSU_E_NS1_11comp_targetILNS1_3genE2ELNS1_11target_archE906ELNS1_3gpuE6ELNS1_3repE0EEENS1_30default_config_static_selectorELNS0_4arch9wavefront6targetE0EEEvT1_,comdat
	.protected	_ZN7rocprim17ROCPRIM_400000_NS6detail17trampoline_kernelINS0_14default_configENS1_27scan_by_key_config_selectorIxxEEZZNS1_16scan_by_key_implILNS1_25lookback_scan_determinismE0ELb1ES3_N6thrust23THRUST_200600_302600_NS6detail15normal_iteratorINS9_10device_ptrIxEEEESE_SE_xNS9_4plusIvEENS9_8equal_toIxEExEE10hipError_tPvRmT2_T3_T4_T5_mT6_T7_P12ihipStream_tbENKUlT_T0_E_clISt17integral_constantIbLb0EESZ_EEDaSU_SV_EUlSU_E_NS1_11comp_targetILNS1_3genE2ELNS1_11target_archE906ELNS1_3gpuE6ELNS1_3repE0EEENS1_30default_config_static_selectorELNS0_4arch9wavefront6targetE0EEEvT1_ ; -- Begin function _ZN7rocprim17ROCPRIM_400000_NS6detail17trampoline_kernelINS0_14default_configENS1_27scan_by_key_config_selectorIxxEEZZNS1_16scan_by_key_implILNS1_25lookback_scan_determinismE0ELb1ES3_N6thrust23THRUST_200600_302600_NS6detail15normal_iteratorINS9_10device_ptrIxEEEESE_SE_xNS9_4plusIvEENS9_8equal_toIxEExEE10hipError_tPvRmT2_T3_T4_T5_mT6_T7_P12ihipStream_tbENKUlT_T0_E_clISt17integral_constantIbLb0EESZ_EEDaSU_SV_EUlSU_E_NS1_11comp_targetILNS1_3genE2ELNS1_11target_archE906ELNS1_3gpuE6ELNS1_3repE0EEENS1_30default_config_static_selectorELNS0_4arch9wavefront6targetE0EEEvT1_
	.globl	_ZN7rocprim17ROCPRIM_400000_NS6detail17trampoline_kernelINS0_14default_configENS1_27scan_by_key_config_selectorIxxEEZZNS1_16scan_by_key_implILNS1_25lookback_scan_determinismE0ELb1ES3_N6thrust23THRUST_200600_302600_NS6detail15normal_iteratorINS9_10device_ptrIxEEEESE_SE_xNS9_4plusIvEENS9_8equal_toIxEExEE10hipError_tPvRmT2_T3_T4_T5_mT6_T7_P12ihipStream_tbENKUlT_T0_E_clISt17integral_constantIbLb0EESZ_EEDaSU_SV_EUlSU_E_NS1_11comp_targetILNS1_3genE2ELNS1_11target_archE906ELNS1_3gpuE6ELNS1_3repE0EEENS1_30default_config_static_selectorELNS0_4arch9wavefront6targetE0EEEvT1_
	.p2align	8
	.type	_ZN7rocprim17ROCPRIM_400000_NS6detail17trampoline_kernelINS0_14default_configENS1_27scan_by_key_config_selectorIxxEEZZNS1_16scan_by_key_implILNS1_25lookback_scan_determinismE0ELb1ES3_N6thrust23THRUST_200600_302600_NS6detail15normal_iteratorINS9_10device_ptrIxEEEESE_SE_xNS9_4plusIvEENS9_8equal_toIxEExEE10hipError_tPvRmT2_T3_T4_T5_mT6_T7_P12ihipStream_tbENKUlT_T0_E_clISt17integral_constantIbLb0EESZ_EEDaSU_SV_EUlSU_E_NS1_11comp_targetILNS1_3genE2ELNS1_11target_archE906ELNS1_3gpuE6ELNS1_3repE0EEENS1_30default_config_static_selectorELNS0_4arch9wavefront6targetE0EEEvT1_,@function
_ZN7rocprim17ROCPRIM_400000_NS6detail17trampoline_kernelINS0_14default_configENS1_27scan_by_key_config_selectorIxxEEZZNS1_16scan_by_key_implILNS1_25lookback_scan_determinismE0ELb1ES3_N6thrust23THRUST_200600_302600_NS6detail15normal_iteratorINS9_10device_ptrIxEEEESE_SE_xNS9_4plusIvEENS9_8equal_toIxEExEE10hipError_tPvRmT2_T3_T4_T5_mT6_T7_P12ihipStream_tbENKUlT_T0_E_clISt17integral_constantIbLb0EESZ_EEDaSU_SV_EUlSU_E_NS1_11comp_targetILNS1_3genE2ELNS1_11target_archE906ELNS1_3gpuE6ELNS1_3repE0EEENS1_30default_config_static_selectorELNS0_4arch9wavefront6targetE0EEEvT1_: ; @_ZN7rocprim17ROCPRIM_400000_NS6detail17trampoline_kernelINS0_14default_configENS1_27scan_by_key_config_selectorIxxEEZZNS1_16scan_by_key_implILNS1_25lookback_scan_determinismE0ELb1ES3_N6thrust23THRUST_200600_302600_NS6detail15normal_iteratorINS9_10device_ptrIxEEEESE_SE_xNS9_4plusIvEENS9_8equal_toIxEExEE10hipError_tPvRmT2_T3_T4_T5_mT6_T7_P12ihipStream_tbENKUlT_T0_E_clISt17integral_constantIbLb0EESZ_EEDaSU_SV_EUlSU_E_NS1_11comp_targetILNS1_3genE2ELNS1_11target_archE906ELNS1_3gpuE6ELNS1_3repE0EEENS1_30default_config_static_selectorELNS0_4arch9wavefront6targetE0EEEvT1_
; %bb.0:
	.section	.rodata,"a",@progbits
	.p2align	6, 0x0
	.amdhsa_kernel _ZN7rocprim17ROCPRIM_400000_NS6detail17trampoline_kernelINS0_14default_configENS1_27scan_by_key_config_selectorIxxEEZZNS1_16scan_by_key_implILNS1_25lookback_scan_determinismE0ELb1ES3_N6thrust23THRUST_200600_302600_NS6detail15normal_iteratorINS9_10device_ptrIxEEEESE_SE_xNS9_4plusIvEENS9_8equal_toIxEExEE10hipError_tPvRmT2_T3_T4_T5_mT6_T7_P12ihipStream_tbENKUlT_T0_E_clISt17integral_constantIbLb0EESZ_EEDaSU_SV_EUlSU_E_NS1_11comp_targetILNS1_3genE2ELNS1_11target_archE906ELNS1_3gpuE6ELNS1_3repE0EEENS1_30default_config_static_selectorELNS0_4arch9wavefront6targetE0EEEvT1_
		.amdhsa_group_segment_fixed_size 0
		.amdhsa_private_segment_fixed_size 0
		.amdhsa_kernarg_size 136
		.amdhsa_user_sgpr_count 6
		.amdhsa_user_sgpr_private_segment_buffer 1
		.amdhsa_user_sgpr_dispatch_ptr 0
		.amdhsa_user_sgpr_queue_ptr 0
		.amdhsa_user_sgpr_kernarg_segment_ptr 1
		.amdhsa_user_sgpr_dispatch_id 0
		.amdhsa_user_sgpr_flat_scratch_init 0
		.amdhsa_user_sgpr_private_segment_size 0
		.amdhsa_wavefront_size32 1
		.amdhsa_uses_dynamic_stack 0
		.amdhsa_system_sgpr_private_segment_wavefront_offset 0
		.amdhsa_system_sgpr_workgroup_id_x 1
		.amdhsa_system_sgpr_workgroup_id_y 0
		.amdhsa_system_sgpr_workgroup_id_z 0
		.amdhsa_system_sgpr_workgroup_info 0
		.amdhsa_system_vgpr_workitem_id 0
		.amdhsa_next_free_vgpr 1
		.amdhsa_next_free_sgpr 1
		.amdhsa_reserve_vcc 0
		.amdhsa_reserve_flat_scratch 0
		.amdhsa_float_round_mode_32 0
		.amdhsa_float_round_mode_16_64 0
		.amdhsa_float_denorm_mode_32 3
		.amdhsa_float_denorm_mode_16_64 3
		.amdhsa_dx10_clamp 1
		.amdhsa_ieee_mode 1
		.amdhsa_fp16_overflow 0
		.amdhsa_workgroup_processor_mode 1
		.amdhsa_memory_ordered 1
		.amdhsa_forward_progress 1
		.amdhsa_shared_vgpr_count 0
		.amdhsa_exception_fp_ieee_invalid_op 0
		.amdhsa_exception_fp_denorm_src 0
		.amdhsa_exception_fp_ieee_div_zero 0
		.amdhsa_exception_fp_ieee_overflow 0
		.amdhsa_exception_fp_ieee_underflow 0
		.amdhsa_exception_fp_ieee_inexact 0
		.amdhsa_exception_int_div_zero 0
	.end_amdhsa_kernel
	.section	.text._ZN7rocprim17ROCPRIM_400000_NS6detail17trampoline_kernelINS0_14default_configENS1_27scan_by_key_config_selectorIxxEEZZNS1_16scan_by_key_implILNS1_25lookback_scan_determinismE0ELb1ES3_N6thrust23THRUST_200600_302600_NS6detail15normal_iteratorINS9_10device_ptrIxEEEESE_SE_xNS9_4plusIvEENS9_8equal_toIxEExEE10hipError_tPvRmT2_T3_T4_T5_mT6_T7_P12ihipStream_tbENKUlT_T0_E_clISt17integral_constantIbLb0EESZ_EEDaSU_SV_EUlSU_E_NS1_11comp_targetILNS1_3genE2ELNS1_11target_archE906ELNS1_3gpuE6ELNS1_3repE0EEENS1_30default_config_static_selectorELNS0_4arch9wavefront6targetE0EEEvT1_,"axG",@progbits,_ZN7rocprim17ROCPRIM_400000_NS6detail17trampoline_kernelINS0_14default_configENS1_27scan_by_key_config_selectorIxxEEZZNS1_16scan_by_key_implILNS1_25lookback_scan_determinismE0ELb1ES3_N6thrust23THRUST_200600_302600_NS6detail15normal_iteratorINS9_10device_ptrIxEEEESE_SE_xNS9_4plusIvEENS9_8equal_toIxEExEE10hipError_tPvRmT2_T3_T4_T5_mT6_T7_P12ihipStream_tbENKUlT_T0_E_clISt17integral_constantIbLb0EESZ_EEDaSU_SV_EUlSU_E_NS1_11comp_targetILNS1_3genE2ELNS1_11target_archE906ELNS1_3gpuE6ELNS1_3repE0EEENS1_30default_config_static_selectorELNS0_4arch9wavefront6targetE0EEEvT1_,comdat
.Lfunc_end430:
	.size	_ZN7rocprim17ROCPRIM_400000_NS6detail17trampoline_kernelINS0_14default_configENS1_27scan_by_key_config_selectorIxxEEZZNS1_16scan_by_key_implILNS1_25lookback_scan_determinismE0ELb1ES3_N6thrust23THRUST_200600_302600_NS6detail15normal_iteratorINS9_10device_ptrIxEEEESE_SE_xNS9_4plusIvEENS9_8equal_toIxEExEE10hipError_tPvRmT2_T3_T4_T5_mT6_T7_P12ihipStream_tbENKUlT_T0_E_clISt17integral_constantIbLb0EESZ_EEDaSU_SV_EUlSU_E_NS1_11comp_targetILNS1_3genE2ELNS1_11target_archE906ELNS1_3gpuE6ELNS1_3repE0EEENS1_30default_config_static_selectorELNS0_4arch9wavefront6targetE0EEEvT1_, .Lfunc_end430-_ZN7rocprim17ROCPRIM_400000_NS6detail17trampoline_kernelINS0_14default_configENS1_27scan_by_key_config_selectorIxxEEZZNS1_16scan_by_key_implILNS1_25lookback_scan_determinismE0ELb1ES3_N6thrust23THRUST_200600_302600_NS6detail15normal_iteratorINS9_10device_ptrIxEEEESE_SE_xNS9_4plusIvEENS9_8equal_toIxEExEE10hipError_tPvRmT2_T3_T4_T5_mT6_T7_P12ihipStream_tbENKUlT_T0_E_clISt17integral_constantIbLb0EESZ_EEDaSU_SV_EUlSU_E_NS1_11comp_targetILNS1_3genE2ELNS1_11target_archE906ELNS1_3gpuE6ELNS1_3repE0EEENS1_30default_config_static_selectorELNS0_4arch9wavefront6targetE0EEEvT1_
                                        ; -- End function
	.set _ZN7rocprim17ROCPRIM_400000_NS6detail17trampoline_kernelINS0_14default_configENS1_27scan_by_key_config_selectorIxxEEZZNS1_16scan_by_key_implILNS1_25lookback_scan_determinismE0ELb1ES3_N6thrust23THRUST_200600_302600_NS6detail15normal_iteratorINS9_10device_ptrIxEEEESE_SE_xNS9_4plusIvEENS9_8equal_toIxEExEE10hipError_tPvRmT2_T3_T4_T5_mT6_T7_P12ihipStream_tbENKUlT_T0_E_clISt17integral_constantIbLb0EESZ_EEDaSU_SV_EUlSU_E_NS1_11comp_targetILNS1_3genE2ELNS1_11target_archE906ELNS1_3gpuE6ELNS1_3repE0EEENS1_30default_config_static_selectorELNS0_4arch9wavefront6targetE0EEEvT1_.num_vgpr, 0
	.set _ZN7rocprim17ROCPRIM_400000_NS6detail17trampoline_kernelINS0_14default_configENS1_27scan_by_key_config_selectorIxxEEZZNS1_16scan_by_key_implILNS1_25lookback_scan_determinismE0ELb1ES3_N6thrust23THRUST_200600_302600_NS6detail15normal_iteratorINS9_10device_ptrIxEEEESE_SE_xNS9_4plusIvEENS9_8equal_toIxEExEE10hipError_tPvRmT2_T3_T4_T5_mT6_T7_P12ihipStream_tbENKUlT_T0_E_clISt17integral_constantIbLb0EESZ_EEDaSU_SV_EUlSU_E_NS1_11comp_targetILNS1_3genE2ELNS1_11target_archE906ELNS1_3gpuE6ELNS1_3repE0EEENS1_30default_config_static_selectorELNS0_4arch9wavefront6targetE0EEEvT1_.num_agpr, 0
	.set _ZN7rocprim17ROCPRIM_400000_NS6detail17trampoline_kernelINS0_14default_configENS1_27scan_by_key_config_selectorIxxEEZZNS1_16scan_by_key_implILNS1_25lookback_scan_determinismE0ELb1ES3_N6thrust23THRUST_200600_302600_NS6detail15normal_iteratorINS9_10device_ptrIxEEEESE_SE_xNS9_4plusIvEENS9_8equal_toIxEExEE10hipError_tPvRmT2_T3_T4_T5_mT6_T7_P12ihipStream_tbENKUlT_T0_E_clISt17integral_constantIbLb0EESZ_EEDaSU_SV_EUlSU_E_NS1_11comp_targetILNS1_3genE2ELNS1_11target_archE906ELNS1_3gpuE6ELNS1_3repE0EEENS1_30default_config_static_selectorELNS0_4arch9wavefront6targetE0EEEvT1_.numbered_sgpr, 0
	.set _ZN7rocprim17ROCPRIM_400000_NS6detail17trampoline_kernelINS0_14default_configENS1_27scan_by_key_config_selectorIxxEEZZNS1_16scan_by_key_implILNS1_25lookback_scan_determinismE0ELb1ES3_N6thrust23THRUST_200600_302600_NS6detail15normal_iteratorINS9_10device_ptrIxEEEESE_SE_xNS9_4plusIvEENS9_8equal_toIxEExEE10hipError_tPvRmT2_T3_T4_T5_mT6_T7_P12ihipStream_tbENKUlT_T0_E_clISt17integral_constantIbLb0EESZ_EEDaSU_SV_EUlSU_E_NS1_11comp_targetILNS1_3genE2ELNS1_11target_archE906ELNS1_3gpuE6ELNS1_3repE0EEENS1_30default_config_static_selectorELNS0_4arch9wavefront6targetE0EEEvT1_.num_named_barrier, 0
	.set _ZN7rocprim17ROCPRIM_400000_NS6detail17trampoline_kernelINS0_14default_configENS1_27scan_by_key_config_selectorIxxEEZZNS1_16scan_by_key_implILNS1_25lookback_scan_determinismE0ELb1ES3_N6thrust23THRUST_200600_302600_NS6detail15normal_iteratorINS9_10device_ptrIxEEEESE_SE_xNS9_4plusIvEENS9_8equal_toIxEExEE10hipError_tPvRmT2_T3_T4_T5_mT6_T7_P12ihipStream_tbENKUlT_T0_E_clISt17integral_constantIbLb0EESZ_EEDaSU_SV_EUlSU_E_NS1_11comp_targetILNS1_3genE2ELNS1_11target_archE906ELNS1_3gpuE6ELNS1_3repE0EEENS1_30default_config_static_selectorELNS0_4arch9wavefront6targetE0EEEvT1_.private_seg_size, 0
	.set _ZN7rocprim17ROCPRIM_400000_NS6detail17trampoline_kernelINS0_14default_configENS1_27scan_by_key_config_selectorIxxEEZZNS1_16scan_by_key_implILNS1_25lookback_scan_determinismE0ELb1ES3_N6thrust23THRUST_200600_302600_NS6detail15normal_iteratorINS9_10device_ptrIxEEEESE_SE_xNS9_4plusIvEENS9_8equal_toIxEExEE10hipError_tPvRmT2_T3_T4_T5_mT6_T7_P12ihipStream_tbENKUlT_T0_E_clISt17integral_constantIbLb0EESZ_EEDaSU_SV_EUlSU_E_NS1_11comp_targetILNS1_3genE2ELNS1_11target_archE906ELNS1_3gpuE6ELNS1_3repE0EEENS1_30default_config_static_selectorELNS0_4arch9wavefront6targetE0EEEvT1_.uses_vcc, 0
	.set _ZN7rocprim17ROCPRIM_400000_NS6detail17trampoline_kernelINS0_14default_configENS1_27scan_by_key_config_selectorIxxEEZZNS1_16scan_by_key_implILNS1_25lookback_scan_determinismE0ELb1ES3_N6thrust23THRUST_200600_302600_NS6detail15normal_iteratorINS9_10device_ptrIxEEEESE_SE_xNS9_4plusIvEENS9_8equal_toIxEExEE10hipError_tPvRmT2_T3_T4_T5_mT6_T7_P12ihipStream_tbENKUlT_T0_E_clISt17integral_constantIbLb0EESZ_EEDaSU_SV_EUlSU_E_NS1_11comp_targetILNS1_3genE2ELNS1_11target_archE906ELNS1_3gpuE6ELNS1_3repE0EEENS1_30default_config_static_selectorELNS0_4arch9wavefront6targetE0EEEvT1_.uses_flat_scratch, 0
	.set _ZN7rocprim17ROCPRIM_400000_NS6detail17trampoline_kernelINS0_14default_configENS1_27scan_by_key_config_selectorIxxEEZZNS1_16scan_by_key_implILNS1_25lookback_scan_determinismE0ELb1ES3_N6thrust23THRUST_200600_302600_NS6detail15normal_iteratorINS9_10device_ptrIxEEEESE_SE_xNS9_4plusIvEENS9_8equal_toIxEExEE10hipError_tPvRmT2_T3_T4_T5_mT6_T7_P12ihipStream_tbENKUlT_T0_E_clISt17integral_constantIbLb0EESZ_EEDaSU_SV_EUlSU_E_NS1_11comp_targetILNS1_3genE2ELNS1_11target_archE906ELNS1_3gpuE6ELNS1_3repE0EEENS1_30default_config_static_selectorELNS0_4arch9wavefront6targetE0EEEvT1_.has_dyn_sized_stack, 0
	.set _ZN7rocprim17ROCPRIM_400000_NS6detail17trampoline_kernelINS0_14default_configENS1_27scan_by_key_config_selectorIxxEEZZNS1_16scan_by_key_implILNS1_25lookback_scan_determinismE0ELb1ES3_N6thrust23THRUST_200600_302600_NS6detail15normal_iteratorINS9_10device_ptrIxEEEESE_SE_xNS9_4plusIvEENS9_8equal_toIxEExEE10hipError_tPvRmT2_T3_T4_T5_mT6_T7_P12ihipStream_tbENKUlT_T0_E_clISt17integral_constantIbLb0EESZ_EEDaSU_SV_EUlSU_E_NS1_11comp_targetILNS1_3genE2ELNS1_11target_archE906ELNS1_3gpuE6ELNS1_3repE0EEENS1_30default_config_static_selectorELNS0_4arch9wavefront6targetE0EEEvT1_.has_recursion, 0
	.set _ZN7rocprim17ROCPRIM_400000_NS6detail17trampoline_kernelINS0_14default_configENS1_27scan_by_key_config_selectorIxxEEZZNS1_16scan_by_key_implILNS1_25lookback_scan_determinismE0ELb1ES3_N6thrust23THRUST_200600_302600_NS6detail15normal_iteratorINS9_10device_ptrIxEEEESE_SE_xNS9_4plusIvEENS9_8equal_toIxEExEE10hipError_tPvRmT2_T3_T4_T5_mT6_T7_P12ihipStream_tbENKUlT_T0_E_clISt17integral_constantIbLb0EESZ_EEDaSU_SV_EUlSU_E_NS1_11comp_targetILNS1_3genE2ELNS1_11target_archE906ELNS1_3gpuE6ELNS1_3repE0EEENS1_30default_config_static_selectorELNS0_4arch9wavefront6targetE0EEEvT1_.has_indirect_call, 0
	.section	.AMDGPU.csdata,"",@progbits
; Kernel info:
; codeLenInByte = 0
; TotalNumSgprs: 0
; NumVgprs: 0
; ScratchSize: 0
; MemoryBound: 0
; FloatMode: 240
; IeeeMode: 1
; LDSByteSize: 0 bytes/workgroup (compile time only)
; SGPRBlocks: 0
; VGPRBlocks: 0
; NumSGPRsForWavesPerEU: 1
; NumVGPRsForWavesPerEU: 1
; Occupancy: 16
; WaveLimiterHint : 0
; COMPUTE_PGM_RSRC2:SCRATCH_EN: 0
; COMPUTE_PGM_RSRC2:USER_SGPR: 6
; COMPUTE_PGM_RSRC2:TRAP_HANDLER: 0
; COMPUTE_PGM_RSRC2:TGID_X_EN: 1
; COMPUTE_PGM_RSRC2:TGID_Y_EN: 0
; COMPUTE_PGM_RSRC2:TGID_Z_EN: 0
; COMPUTE_PGM_RSRC2:TIDIG_COMP_CNT: 0
	.section	.text._ZN7rocprim17ROCPRIM_400000_NS6detail17trampoline_kernelINS0_14default_configENS1_27scan_by_key_config_selectorIxxEEZZNS1_16scan_by_key_implILNS1_25lookback_scan_determinismE0ELb1ES3_N6thrust23THRUST_200600_302600_NS6detail15normal_iteratorINS9_10device_ptrIxEEEESE_SE_xNS9_4plusIvEENS9_8equal_toIxEExEE10hipError_tPvRmT2_T3_T4_T5_mT6_T7_P12ihipStream_tbENKUlT_T0_E_clISt17integral_constantIbLb0EESZ_EEDaSU_SV_EUlSU_E_NS1_11comp_targetILNS1_3genE10ELNS1_11target_archE1200ELNS1_3gpuE4ELNS1_3repE0EEENS1_30default_config_static_selectorELNS0_4arch9wavefront6targetE0EEEvT1_,"axG",@progbits,_ZN7rocprim17ROCPRIM_400000_NS6detail17trampoline_kernelINS0_14default_configENS1_27scan_by_key_config_selectorIxxEEZZNS1_16scan_by_key_implILNS1_25lookback_scan_determinismE0ELb1ES3_N6thrust23THRUST_200600_302600_NS6detail15normal_iteratorINS9_10device_ptrIxEEEESE_SE_xNS9_4plusIvEENS9_8equal_toIxEExEE10hipError_tPvRmT2_T3_T4_T5_mT6_T7_P12ihipStream_tbENKUlT_T0_E_clISt17integral_constantIbLb0EESZ_EEDaSU_SV_EUlSU_E_NS1_11comp_targetILNS1_3genE10ELNS1_11target_archE1200ELNS1_3gpuE4ELNS1_3repE0EEENS1_30default_config_static_selectorELNS0_4arch9wavefront6targetE0EEEvT1_,comdat
	.protected	_ZN7rocprim17ROCPRIM_400000_NS6detail17trampoline_kernelINS0_14default_configENS1_27scan_by_key_config_selectorIxxEEZZNS1_16scan_by_key_implILNS1_25lookback_scan_determinismE0ELb1ES3_N6thrust23THRUST_200600_302600_NS6detail15normal_iteratorINS9_10device_ptrIxEEEESE_SE_xNS9_4plusIvEENS9_8equal_toIxEExEE10hipError_tPvRmT2_T3_T4_T5_mT6_T7_P12ihipStream_tbENKUlT_T0_E_clISt17integral_constantIbLb0EESZ_EEDaSU_SV_EUlSU_E_NS1_11comp_targetILNS1_3genE10ELNS1_11target_archE1200ELNS1_3gpuE4ELNS1_3repE0EEENS1_30default_config_static_selectorELNS0_4arch9wavefront6targetE0EEEvT1_ ; -- Begin function _ZN7rocprim17ROCPRIM_400000_NS6detail17trampoline_kernelINS0_14default_configENS1_27scan_by_key_config_selectorIxxEEZZNS1_16scan_by_key_implILNS1_25lookback_scan_determinismE0ELb1ES3_N6thrust23THRUST_200600_302600_NS6detail15normal_iteratorINS9_10device_ptrIxEEEESE_SE_xNS9_4plusIvEENS9_8equal_toIxEExEE10hipError_tPvRmT2_T3_T4_T5_mT6_T7_P12ihipStream_tbENKUlT_T0_E_clISt17integral_constantIbLb0EESZ_EEDaSU_SV_EUlSU_E_NS1_11comp_targetILNS1_3genE10ELNS1_11target_archE1200ELNS1_3gpuE4ELNS1_3repE0EEENS1_30default_config_static_selectorELNS0_4arch9wavefront6targetE0EEEvT1_
	.globl	_ZN7rocprim17ROCPRIM_400000_NS6detail17trampoline_kernelINS0_14default_configENS1_27scan_by_key_config_selectorIxxEEZZNS1_16scan_by_key_implILNS1_25lookback_scan_determinismE0ELb1ES3_N6thrust23THRUST_200600_302600_NS6detail15normal_iteratorINS9_10device_ptrIxEEEESE_SE_xNS9_4plusIvEENS9_8equal_toIxEExEE10hipError_tPvRmT2_T3_T4_T5_mT6_T7_P12ihipStream_tbENKUlT_T0_E_clISt17integral_constantIbLb0EESZ_EEDaSU_SV_EUlSU_E_NS1_11comp_targetILNS1_3genE10ELNS1_11target_archE1200ELNS1_3gpuE4ELNS1_3repE0EEENS1_30default_config_static_selectorELNS0_4arch9wavefront6targetE0EEEvT1_
	.p2align	8
	.type	_ZN7rocprim17ROCPRIM_400000_NS6detail17trampoline_kernelINS0_14default_configENS1_27scan_by_key_config_selectorIxxEEZZNS1_16scan_by_key_implILNS1_25lookback_scan_determinismE0ELb1ES3_N6thrust23THRUST_200600_302600_NS6detail15normal_iteratorINS9_10device_ptrIxEEEESE_SE_xNS9_4plusIvEENS9_8equal_toIxEExEE10hipError_tPvRmT2_T3_T4_T5_mT6_T7_P12ihipStream_tbENKUlT_T0_E_clISt17integral_constantIbLb0EESZ_EEDaSU_SV_EUlSU_E_NS1_11comp_targetILNS1_3genE10ELNS1_11target_archE1200ELNS1_3gpuE4ELNS1_3repE0EEENS1_30default_config_static_selectorELNS0_4arch9wavefront6targetE0EEEvT1_,@function
_ZN7rocprim17ROCPRIM_400000_NS6detail17trampoline_kernelINS0_14default_configENS1_27scan_by_key_config_selectorIxxEEZZNS1_16scan_by_key_implILNS1_25lookback_scan_determinismE0ELb1ES3_N6thrust23THRUST_200600_302600_NS6detail15normal_iteratorINS9_10device_ptrIxEEEESE_SE_xNS9_4plusIvEENS9_8equal_toIxEExEE10hipError_tPvRmT2_T3_T4_T5_mT6_T7_P12ihipStream_tbENKUlT_T0_E_clISt17integral_constantIbLb0EESZ_EEDaSU_SV_EUlSU_E_NS1_11comp_targetILNS1_3genE10ELNS1_11target_archE1200ELNS1_3gpuE4ELNS1_3repE0EEENS1_30default_config_static_selectorELNS0_4arch9wavefront6targetE0EEEvT1_: ; @_ZN7rocprim17ROCPRIM_400000_NS6detail17trampoline_kernelINS0_14default_configENS1_27scan_by_key_config_selectorIxxEEZZNS1_16scan_by_key_implILNS1_25lookback_scan_determinismE0ELb1ES3_N6thrust23THRUST_200600_302600_NS6detail15normal_iteratorINS9_10device_ptrIxEEEESE_SE_xNS9_4plusIvEENS9_8equal_toIxEExEE10hipError_tPvRmT2_T3_T4_T5_mT6_T7_P12ihipStream_tbENKUlT_T0_E_clISt17integral_constantIbLb0EESZ_EEDaSU_SV_EUlSU_E_NS1_11comp_targetILNS1_3genE10ELNS1_11target_archE1200ELNS1_3gpuE4ELNS1_3repE0EEENS1_30default_config_static_selectorELNS0_4arch9wavefront6targetE0EEEvT1_
; %bb.0:
	.section	.rodata,"a",@progbits
	.p2align	6, 0x0
	.amdhsa_kernel _ZN7rocprim17ROCPRIM_400000_NS6detail17trampoline_kernelINS0_14default_configENS1_27scan_by_key_config_selectorIxxEEZZNS1_16scan_by_key_implILNS1_25lookback_scan_determinismE0ELb1ES3_N6thrust23THRUST_200600_302600_NS6detail15normal_iteratorINS9_10device_ptrIxEEEESE_SE_xNS9_4plusIvEENS9_8equal_toIxEExEE10hipError_tPvRmT2_T3_T4_T5_mT6_T7_P12ihipStream_tbENKUlT_T0_E_clISt17integral_constantIbLb0EESZ_EEDaSU_SV_EUlSU_E_NS1_11comp_targetILNS1_3genE10ELNS1_11target_archE1200ELNS1_3gpuE4ELNS1_3repE0EEENS1_30default_config_static_selectorELNS0_4arch9wavefront6targetE0EEEvT1_
		.amdhsa_group_segment_fixed_size 0
		.amdhsa_private_segment_fixed_size 0
		.amdhsa_kernarg_size 136
		.amdhsa_user_sgpr_count 6
		.amdhsa_user_sgpr_private_segment_buffer 1
		.amdhsa_user_sgpr_dispatch_ptr 0
		.amdhsa_user_sgpr_queue_ptr 0
		.amdhsa_user_sgpr_kernarg_segment_ptr 1
		.amdhsa_user_sgpr_dispatch_id 0
		.amdhsa_user_sgpr_flat_scratch_init 0
		.amdhsa_user_sgpr_private_segment_size 0
		.amdhsa_wavefront_size32 1
		.amdhsa_uses_dynamic_stack 0
		.amdhsa_system_sgpr_private_segment_wavefront_offset 0
		.amdhsa_system_sgpr_workgroup_id_x 1
		.amdhsa_system_sgpr_workgroup_id_y 0
		.amdhsa_system_sgpr_workgroup_id_z 0
		.amdhsa_system_sgpr_workgroup_info 0
		.amdhsa_system_vgpr_workitem_id 0
		.amdhsa_next_free_vgpr 1
		.amdhsa_next_free_sgpr 1
		.amdhsa_reserve_vcc 0
		.amdhsa_reserve_flat_scratch 0
		.amdhsa_float_round_mode_32 0
		.amdhsa_float_round_mode_16_64 0
		.amdhsa_float_denorm_mode_32 3
		.amdhsa_float_denorm_mode_16_64 3
		.amdhsa_dx10_clamp 1
		.amdhsa_ieee_mode 1
		.amdhsa_fp16_overflow 0
		.amdhsa_workgroup_processor_mode 1
		.amdhsa_memory_ordered 1
		.amdhsa_forward_progress 1
		.amdhsa_shared_vgpr_count 0
		.amdhsa_exception_fp_ieee_invalid_op 0
		.amdhsa_exception_fp_denorm_src 0
		.amdhsa_exception_fp_ieee_div_zero 0
		.amdhsa_exception_fp_ieee_overflow 0
		.amdhsa_exception_fp_ieee_underflow 0
		.amdhsa_exception_fp_ieee_inexact 0
		.amdhsa_exception_int_div_zero 0
	.end_amdhsa_kernel
	.section	.text._ZN7rocprim17ROCPRIM_400000_NS6detail17trampoline_kernelINS0_14default_configENS1_27scan_by_key_config_selectorIxxEEZZNS1_16scan_by_key_implILNS1_25lookback_scan_determinismE0ELb1ES3_N6thrust23THRUST_200600_302600_NS6detail15normal_iteratorINS9_10device_ptrIxEEEESE_SE_xNS9_4plusIvEENS9_8equal_toIxEExEE10hipError_tPvRmT2_T3_T4_T5_mT6_T7_P12ihipStream_tbENKUlT_T0_E_clISt17integral_constantIbLb0EESZ_EEDaSU_SV_EUlSU_E_NS1_11comp_targetILNS1_3genE10ELNS1_11target_archE1200ELNS1_3gpuE4ELNS1_3repE0EEENS1_30default_config_static_selectorELNS0_4arch9wavefront6targetE0EEEvT1_,"axG",@progbits,_ZN7rocprim17ROCPRIM_400000_NS6detail17trampoline_kernelINS0_14default_configENS1_27scan_by_key_config_selectorIxxEEZZNS1_16scan_by_key_implILNS1_25lookback_scan_determinismE0ELb1ES3_N6thrust23THRUST_200600_302600_NS6detail15normal_iteratorINS9_10device_ptrIxEEEESE_SE_xNS9_4plusIvEENS9_8equal_toIxEExEE10hipError_tPvRmT2_T3_T4_T5_mT6_T7_P12ihipStream_tbENKUlT_T0_E_clISt17integral_constantIbLb0EESZ_EEDaSU_SV_EUlSU_E_NS1_11comp_targetILNS1_3genE10ELNS1_11target_archE1200ELNS1_3gpuE4ELNS1_3repE0EEENS1_30default_config_static_selectorELNS0_4arch9wavefront6targetE0EEEvT1_,comdat
.Lfunc_end431:
	.size	_ZN7rocprim17ROCPRIM_400000_NS6detail17trampoline_kernelINS0_14default_configENS1_27scan_by_key_config_selectorIxxEEZZNS1_16scan_by_key_implILNS1_25lookback_scan_determinismE0ELb1ES3_N6thrust23THRUST_200600_302600_NS6detail15normal_iteratorINS9_10device_ptrIxEEEESE_SE_xNS9_4plusIvEENS9_8equal_toIxEExEE10hipError_tPvRmT2_T3_T4_T5_mT6_T7_P12ihipStream_tbENKUlT_T0_E_clISt17integral_constantIbLb0EESZ_EEDaSU_SV_EUlSU_E_NS1_11comp_targetILNS1_3genE10ELNS1_11target_archE1200ELNS1_3gpuE4ELNS1_3repE0EEENS1_30default_config_static_selectorELNS0_4arch9wavefront6targetE0EEEvT1_, .Lfunc_end431-_ZN7rocprim17ROCPRIM_400000_NS6detail17trampoline_kernelINS0_14default_configENS1_27scan_by_key_config_selectorIxxEEZZNS1_16scan_by_key_implILNS1_25lookback_scan_determinismE0ELb1ES3_N6thrust23THRUST_200600_302600_NS6detail15normal_iteratorINS9_10device_ptrIxEEEESE_SE_xNS9_4plusIvEENS9_8equal_toIxEExEE10hipError_tPvRmT2_T3_T4_T5_mT6_T7_P12ihipStream_tbENKUlT_T0_E_clISt17integral_constantIbLb0EESZ_EEDaSU_SV_EUlSU_E_NS1_11comp_targetILNS1_3genE10ELNS1_11target_archE1200ELNS1_3gpuE4ELNS1_3repE0EEENS1_30default_config_static_selectorELNS0_4arch9wavefront6targetE0EEEvT1_
                                        ; -- End function
	.set _ZN7rocprim17ROCPRIM_400000_NS6detail17trampoline_kernelINS0_14default_configENS1_27scan_by_key_config_selectorIxxEEZZNS1_16scan_by_key_implILNS1_25lookback_scan_determinismE0ELb1ES3_N6thrust23THRUST_200600_302600_NS6detail15normal_iteratorINS9_10device_ptrIxEEEESE_SE_xNS9_4plusIvEENS9_8equal_toIxEExEE10hipError_tPvRmT2_T3_T4_T5_mT6_T7_P12ihipStream_tbENKUlT_T0_E_clISt17integral_constantIbLb0EESZ_EEDaSU_SV_EUlSU_E_NS1_11comp_targetILNS1_3genE10ELNS1_11target_archE1200ELNS1_3gpuE4ELNS1_3repE0EEENS1_30default_config_static_selectorELNS0_4arch9wavefront6targetE0EEEvT1_.num_vgpr, 0
	.set _ZN7rocprim17ROCPRIM_400000_NS6detail17trampoline_kernelINS0_14default_configENS1_27scan_by_key_config_selectorIxxEEZZNS1_16scan_by_key_implILNS1_25lookback_scan_determinismE0ELb1ES3_N6thrust23THRUST_200600_302600_NS6detail15normal_iteratorINS9_10device_ptrIxEEEESE_SE_xNS9_4plusIvEENS9_8equal_toIxEExEE10hipError_tPvRmT2_T3_T4_T5_mT6_T7_P12ihipStream_tbENKUlT_T0_E_clISt17integral_constantIbLb0EESZ_EEDaSU_SV_EUlSU_E_NS1_11comp_targetILNS1_3genE10ELNS1_11target_archE1200ELNS1_3gpuE4ELNS1_3repE0EEENS1_30default_config_static_selectorELNS0_4arch9wavefront6targetE0EEEvT1_.num_agpr, 0
	.set _ZN7rocprim17ROCPRIM_400000_NS6detail17trampoline_kernelINS0_14default_configENS1_27scan_by_key_config_selectorIxxEEZZNS1_16scan_by_key_implILNS1_25lookback_scan_determinismE0ELb1ES3_N6thrust23THRUST_200600_302600_NS6detail15normal_iteratorINS9_10device_ptrIxEEEESE_SE_xNS9_4plusIvEENS9_8equal_toIxEExEE10hipError_tPvRmT2_T3_T4_T5_mT6_T7_P12ihipStream_tbENKUlT_T0_E_clISt17integral_constantIbLb0EESZ_EEDaSU_SV_EUlSU_E_NS1_11comp_targetILNS1_3genE10ELNS1_11target_archE1200ELNS1_3gpuE4ELNS1_3repE0EEENS1_30default_config_static_selectorELNS0_4arch9wavefront6targetE0EEEvT1_.numbered_sgpr, 0
	.set _ZN7rocprim17ROCPRIM_400000_NS6detail17trampoline_kernelINS0_14default_configENS1_27scan_by_key_config_selectorIxxEEZZNS1_16scan_by_key_implILNS1_25lookback_scan_determinismE0ELb1ES3_N6thrust23THRUST_200600_302600_NS6detail15normal_iteratorINS9_10device_ptrIxEEEESE_SE_xNS9_4plusIvEENS9_8equal_toIxEExEE10hipError_tPvRmT2_T3_T4_T5_mT6_T7_P12ihipStream_tbENKUlT_T0_E_clISt17integral_constantIbLb0EESZ_EEDaSU_SV_EUlSU_E_NS1_11comp_targetILNS1_3genE10ELNS1_11target_archE1200ELNS1_3gpuE4ELNS1_3repE0EEENS1_30default_config_static_selectorELNS0_4arch9wavefront6targetE0EEEvT1_.num_named_barrier, 0
	.set _ZN7rocprim17ROCPRIM_400000_NS6detail17trampoline_kernelINS0_14default_configENS1_27scan_by_key_config_selectorIxxEEZZNS1_16scan_by_key_implILNS1_25lookback_scan_determinismE0ELb1ES3_N6thrust23THRUST_200600_302600_NS6detail15normal_iteratorINS9_10device_ptrIxEEEESE_SE_xNS9_4plusIvEENS9_8equal_toIxEExEE10hipError_tPvRmT2_T3_T4_T5_mT6_T7_P12ihipStream_tbENKUlT_T0_E_clISt17integral_constantIbLb0EESZ_EEDaSU_SV_EUlSU_E_NS1_11comp_targetILNS1_3genE10ELNS1_11target_archE1200ELNS1_3gpuE4ELNS1_3repE0EEENS1_30default_config_static_selectorELNS0_4arch9wavefront6targetE0EEEvT1_.private_seg_size, 0
	.set _ZN7rocprim17ROCPRIM_400000_NS6detail17trampoline_kernelINS0_14default_configENS1_27scan_by_key_config_selectorIxxEEZZNS1_16scan_by_key_implILNS1_25lookback_scan_determinismE0ELb1ES3_N6thrust23THRUST_200600_302600_NS6detail15normal_iteratorINS9_10device_ptrIxEEEESE_SE_xNS9_4plusIvEENS9_8equal_toIxEExEE10hipError_tPvRmT2_T3_T4_T5_mT6_T7_P12ihipStream_tbENKUlT_T0_E_clISt17integral_constantIbLb0EESZ_EEDaSU_SV_EUlSU_E_NS1_11comp_targetILNS1_3genE10ELNS1_11target_archE1200ELNS1_3gpuE4ELNS1_3repE0EEENS1_30default_config_static_selectorELNS0_4arch9wavefront6targetE0EEEvT1_.uses_vcc, 0
	.set _ZN7rocprim17ROCPRIM_400000_NS6detail17trampoline_kernelINS0_14default_configENS1_27scan_by_key_config_selectorIxxEEZZNS1_16scan_by_key_implILNS1_25lookback_scan_determinismE0ELb1ES3_N6thrust23THRUST_200600_302600_NS6detail15normal_iteratorINS9_10device_ptrIxEEEESE_SE_xNS9_4plusIvEENS9_8equal_toIxEExEE10hipError_tPvRmT2_T3_T4_T5_mT6_T7_P12ihipStream_tbENKUlT_T0_E_clISt17integral_constantIbLb0EESZ_EEDaSU_SV_EUlSU_E_NS1_11comp_targetILNS1_3genE10ELNS1_11target_archE1200ELNS1_3gpuE4ELNS1_3repE0EEENS1_30default_config_static_selectorELNS0_4arch9wavefront6targetE0EEEvT1_.uses_flat_scratch, 0
	.set _ZN7rocprim17ROCPRIM_400000_NS6detail17trampoline_kernelINS0_14default_configENS1_27scan_by_key_config_selectorIxxEEZZNS1_16scan_by_key_implILNS1_25lookback_scan_determinismE0ELb1ES3_N6thrust23THRUST_200600_302600_NS6detail15normal_iteratorINS9_10device_ptrIxEEEESE_SE_xNS9_4plusIvEENS9_8equal_toIxEExEE10hipError_tPvRmT2_T3_T4_T5_mT6_T7_P12ihipStream_tbENKUlT_T0_E_clISt17integral_constantIbLb0EESZ_EEDaSU_SV_EUlSU_E_NS1_11comp_targetILNS1_3genE10ELNS1_11target_archE1200ELNS1_3gpuE4ELNS1_3repE0EEENS1_30default_config_static_selectorELNS0_4arch9wavefront6targetE0EEEvT1_.has_dyn_sized_stack, 0
	.set _ZN7rocprim17ROCPRIM_400000_NS6detail17trampoline_kernelINS0_14default_configENS1_27scan_by_key_config_selectorIxxEEZZNS1_16scan_by_key_implILNS1_25lookback_scan_determinismE0ELb1ES3_N6thrust23THRUST_200600_302600_NS6detail15normal_iteratorINS9_10device_ptrIxEEEESE_SE_xNS9_4plusIvEENS9_8equal_toIxEExEE10hipError_tPvRmT2_T3_T4_T5_mT6_T7_P12ihipStream_tbENKUlT_T0_E_clISt17integral_constantIbLb0EESZ_EEDaSU_SV_EUlSU_E_NS1_11comp_targetILNS1_3genE10ELNS1_11target_archE1200ELNS1_3gpuE4ELNS1_3repE0EEENS1_30default_config_static_selectorELNS0_4arch9wavefront6targetE0EEEvT1_.has_recursion, 0
	.set _ZN7rocprim17ROCPRIM_400000_NS6detail17trampoline_kernelINS0_14default_configENS1_27scan_by_key_config_selectorIxxEEZZNS1_16scan_by_key_implILNS1_25lookback_scan_determinismE0ELb1ES3_N6thrust23THRUST_200600_302600_NS6detail15normal_iteratorINS9_10device_ptrIxEEEESE_SE_xNS9_4plusIvEENS9_8equal_toIxEExEE10hipError_tPvRmT2_T3_T4_T5_mT6_T7_P12ihipStream_tbENKUlT_T0_E_clISt17integral_constantIbLb0EESZ_EEDaSU_SV_EUlSU_E_NS1_11comp_targetILNS1_3genE10ELNS1_11target_archE1200ELNS1_3gpuE4ELNS1_3repE0EEENS1_30default_config_static_selectorELNS0_4arch9wavefront6targetE0EEEvT1_.has_indirect_call, 0
	.section	.AMDGPU.csdata,"",@progbits
; Kernel info:
; codeLenInByte = 0
; TotalNumSgprs: 0
; NumVgprs: 0
; ScratchSize: 0
; MemoryBound: 0
; FloatMode: 240
; IeeeMode: 1
; LDSByteSize: 0 bytes/workgroup (compile time only)
; SGPRBlocks: 0
; VGPRBlocks: 0
; NumSGPRsForWavesPerEU: 1
; NumVGPRsForWavesPerEU: 1
; Occupancy: 16
; WaveLimiterHint : 0
; COMPUTE_PGM_RSRC2:SCRATCH_EN: 0
; COMPUTE_PGM_RSRC2:USER_SGPR: 6
; COMPUTE_PGM_RSRC2:TRAP_HANDLER: 0
; COMPUTE_PGM_RSRC2:TGID_X_EN: 1
; COMPUTE_PGM_RSRC2:TGID_Y_EN: 0
; COMPUTE_PGM_RSRC2:TGID_Z_EN: 0
; COMPUTE_PGM_RSRC2:TIDIG_COMP_CNT: 0
	.section	.text._ZN7rocprim17ROCPRIM_400000_NS6detail17trampoline_kernelINS0_14default_configENS1_27scan_by_key_config_selectorIxxEEZZNS1_16scan_by_key_implILNS1_25lookback_scan_determinismE0ELb1ES3_N6thrust23THRUST_200600_302600_NS6detail15normal_iteratorINS9_10device_ptrIxEEEESE_SE_xNS9_4plusIvEENS9_8equal_toIxEExEE10hipError_tPvRmT2_T3_T4_T5_mT6_T7_P12ihipStream_tbENKUlT_T0_E_clISt17integral_constantIbLb0EESZ_EEDaSU_SV_EUlSU_E_NS1_11comp_targetILNS1_3genE9ELNS1_11target_archE1100ELNS1_3gpuE3ELNS1_3repE0EEENS1_30default_config_static_selectorELNS0_4arch9wavefront6targetE0EEEvT1_,"axG",@progbits,_ZN7rocprim17ROCPRIM_400000_NS6detail17trampoline_kernelINS0_14default_configENS1_27scan_by_key_config_selectorIxxEEZZNS1_16scan_by_key_implILNS1_25lookback_scan_determinismE0ELb1ES3_N6thrust23THRUST_200600_302600_NS6detail15normal_iteratorINS9_10device_ptrIxEEEESE_SE_xNS9_4plusIvEENS9_8equal_toIxEExEE10hipError_tPvRmT2_T3_T4_T5_mT6_T7_P12ihipStream_tbENKUlT_T0_E_clISt17integral_constantIbLb0EESZ_EEDaSU_SV_EUlSU_E_NS1_11comp_targetILNS1_3genE9ELNS1_11target_archE1100ELNS1_3gpuE3ELNS1_3repE0EEENS1_30default_config_static_selectorELNS0_4arch9wavefront6targetE0EEEvT1_,comdat
	.protected	_ZN7rocprim17ROCPRIM_400000_NS6detail17trampoline_kernelINS0_14default_configENS1_27scan_by_key_config_selectorIxxEEZZNS1_16scan_by_key_implILNS1_25lookback_scan_determinismE0ELb1ES3_N6thrust23THRUST_200600_302600_NS6detail15normal_iteratorINS9_10device_ptrIxEEEESE_SE_xNS9_4plusIvEENS9_8equal_toIxEExEE10hipError_tPvRmT2_T3_T4_T5_mT6_T7_P12ihipStream_tbENKUlT_T0_E_clISt17integral_constantIbLb0EESZ_EEDaSU_SV_EUlSU_E_NS1_11comp_targetILNS1_3genE9ELNS1_11target_archE1100ELNS1_3gpuE3ELNS1_3repE0EEENS1_30default_config_static_selectorELNS0_4arch9wavefront6targetE0EEEvT1_ ; -- Begin function _ZN7rocprim17ROCPRIM_400000_NS6detail17trampoline_kernelINS0_14default_configENS1_27scan_by_key_config_selectorIxxEEZZNS1_16scan_by_key_implILNS1_25lookback_scan_determinismE0ELb1ES3_N6thrust23THRUST_200600_302600_NS6detail15normal_iteratorINS9_10device_ptrIxEEEESE_SE_xNS9_4plusIvEENS9_8equal_toIxEExEE10hipError_tPvRmT2_T3_T4_T5_mT6_T7_P12ihipStream_tbENKUlT_T0_E_clISt17integral_constantIbLb0EESZ_EEDaSU_SV_EUlSU_E_NS1_11comp_targetILNS1_3genE9ELNS1_11target_archE1100ELNS1_3gpuE3ELNS1_3repE0EEENS1_30default_config_static_selectorELNS0_4arch9wavefront6targetE0EEEvT1_
	.globl	_ZN7rocprim17ROCPRIM_400000_NS6detail17trampoline_kernelINS0_14default_configENS1_27scan_by_key_config_selectorIxxEEZZNS1_16scan_by_key_implILNS1_25lookback_scan_determinismE0ELb1ES3_N6thrust23THRUST_200600_302600_NS6detail15normal_iteratorINS9_10device_ptrIxEEEESE_SE_xNS9_4plusIvEENS9_8equal_toIxEExEE10hipError_tPvRmT2_T3_T4_T5_mT6_T7_P12ihipStream_tbENKUlT_T0_E_clISt17integral_constantIbLb0EESZ_EEDaSU_SV_EUlSU_E_NS1_11comp_targetILNS1_3genE9ELNS1_11target_archE1100ELNS1_3gpuE3ELNS1_3repE0EEENS1_30default_config_static_selectorELNS0_4arch9wavefront6targetE0EEEvT1_
	.p2align	8
	.type	_ZN7rocprim17ROCPRIM_400000_NS6detail17trampoline_kernelINS0_14default_configENS1_27scan_by_key_config_selectorIxxEEZZNS1_16scan_by_key_implILNS1_25lookback_scan_determinismE0ELb1ES3_N6thrust23THRUST_200600_302600_NS6detail15normal_iteratorINS9_10device_ptrIxEEEESE_SE_xNS9_4plusIvEENS9_8equal_toIxEExEE10hipError_tPvRmT2_T3_T4_T5_mT6_T7_P12ihipStream_tbENKUlT_T0_E_clISt17integral_constantIbLb0EESZ_EEDaSU_SV_EUlSU_E_NS1_11comp_targetILNS1_3genE9ELNS1_11target_archE1100ELNS1_3gpuE3ELNS1_3repE0EEENS1_30default_config_static_selectorELNS0_4arch9wavefront6targetE0EEEvT1_,@function
_ZN7rocprim17ROCPRIM_400000_NS6detail17trampoline_kernelINS0_14default_configENS1_27scan_by_key_config_selectorIxxEEZZNS1_16scan_by_key_implILNS1_25lookback_scan_determinismE0ELb1ES3_N6thrust23THRUST_200600_302600_NS6detail15normal_iteratorINS9_10device_ptrIxEEEESE_SE_xNS9_4plusIvEENS9_8equal_toIxEExEE10hipError_tPvRmT2_T3_T4_T5_mT6_T7_P12ihipStream_tbENKUlT_T0_E_clISt17integral_constantIbLb0EESZ_EEDaSU_SV_EUlSU_E_NS1_11comp_targetILNS1_3genE9ELNS1_11target_archE1100ELNS1_3gpuE3ELNS1_3repE0EEENS1_30default_config_static_selectorELNS0_4arch9wavefront6targetE0EEEvT1_: ; @_ZN7rocprim17ROCPRIM_400000_NS6detail17trampoline_kernelINS0_14default_configENS1_27scan_by_key_config_selectorIxxEEZZNS1_16scan_by_key_implILNS1_25lookback_scan_determinismE0ELb1ES3_N6thrust23THRUST_200600_302600_NS6detail15normal_iteratorINS9_10device_ptrIxEEEESE_SE_xNS9_4plusIvEENS9_8equal_toIxEExEE10hipError_tPvRmT2_T3_T4_T5_mT6_T7_P12ihipStream_tbENKUlT_T0_E_clISt17integral_constantIbLb0EESZ_EEDaSU_SV_EUlSU_E_NS1_11comp_targetILNS1_3genE9ELNS1_11target_archE1100ELNS1_3gpuE3ELNS1_3repE0EEENS1_30default_config_static_selectorELNS0_4arch9wavefront6targetE0EEEvT1_
; %bb.0:
	.section	.rodata,"a",@progbits
	.p2align	6, 0x0
	.amdhsa_kernel _ZN7rocprim17ROCPRIM_400000_NS6detail17trampoline_kernelINS0_14default_configENS1_27scan_by_key_config_selectorIxxEEZZNS1_16scan_by_key_implILNS1_25lookback_scan_determinismE0ELb1ES3_N6thrust23THRUST_200600_302600_NS6detail15normal_iteratorINS9_10device_ptrIxEEEESE_SE_xNS9_4plusIvEENS9_8equal_toIxEExEE10hipError_tPvRmT2_T3_T4_T5_mT6_T7_P12ihipStream_tbENKUlT_T0_E_clISt17integral_constantIbLb0EESZ_EEDaSU_SV_EUlSU_E_NS1_11comp_targetILNS1_3genE9ELNS1_11target_archE1100ELNS1_3gpuE3ELNS1_3repE0EEENS1_30default_config_static_selectorELNS0_4arch9wavefront6targetE0EEEvT1_
		.amdhsa_group_segment_fixed_size 0
		.amdhsa_private_segment_fixed_size 0
		.amdhsa_kernarg_size 136
		.amdhsa_user_sgpr_count 6
		.amdhsa_user_sgpr_private_segment_buffer 1
		.amdhsa_user_sgpr_dispatch_ptr 0
		.amdhsa_user_sgpr_queue_ptr 0
		.amdhsa_user_sgpr_kernarg_segment_ptr 1
		.amdhsa_user_sgpr_dispatch_id 0
		.amdhsa_user_sgpr_flat_scratch_init 0
		.amdhsa_user_sgpr_private_segment_size 0
		.amdhsa_wavefront_size32 1
		.amdhsa_uses_dynamic_stack 0
		.amdhsa_system_sgpr_private_segment_wavefront_offset 0
		.amdhsa_system_sgpr_workgroup_id_x 1
		.amdhsa_system_sgpr_workgroup_id_y 0
		.amdhsa_system_sgpr_workgroup_id_z 0
		.amdhsa_system_sgpr_workgroup_info 0
		.amdhsa_system_vgpr_workitem_id 0
		.amdhsa_next_free_vgpr 1
		.amdhsa_next_free_sgpr 1
		.amdhsa_reserve_vcc 0
		.amdhsa_reserve_flat_scratch 0
		.amdhsa_float_round_mode_32 0
		.amdhsa_float_round_mode_16_64 0
		.amdhsa_float_denorm_mode_32 3
		.amdhsa_float_denorm_mode_16_64 3
		.amdhsa_dx10_clamp 1
		.amdhsa_ieee_mode 1
		.amdhsa_fp16_overflow 0
		.amdhsa_workgroup_processor_mode 1
		.amdhsa_memory_ordered 1
		.amdhsa_forward_progress 1
		.amdhsa_shared_vgpr_count 0
		.amdhsa_exception_fp_ieee_invalid_op 0
		.amdhsa_exception_fp_denorm_src 0
		.amdhsa_exception_fp_ieee_div_zero 0
		.amdhsa_exception_fp_ieee_overflow 0
		.amdhsa_exception_fp_ieee_underflow 0
		.amdhsa_exception_fp_ieee_inexact 0
		.amdhsa_exception_int_div_zero 0
	.end_amdhsa_kernel
	.section	.text._ZN7rocprim17ROCPRIM_400000_NS6detail17trampoline_kernelINS0_14default_configENS1_27scan_by_key_config_selectorIxxEEZZNS1_16scan_by_key_implILNS1_25lookback_scan_determinismE0ELb1ES3_N6thrust23THRUST_200600_302600_NS6detail15normal_iteratorINS9_10device_ptrIxEEEESE_SE_xNS9_4plusIvEENS9_8equal_toIxEExEE10hipError_tPvRmT2_T3_T4_T5_mT6_T7_P12ihipStream_tbENKUlT_T0_E_clISt17integral_constantIbLb0EESZ_EEDaSU_SV_EUlSU_E_NS1_11comp_targetILNS1_3genE9ELNS1_11target_archE1100ELNS1_3gpuE3ELNS1_3repE0EEENS1_30default_config_static_selectorELNS0_4arch9wavefront6targetE0EEEvT1_,"axG",@progbits,_ZN7rocprim17ROCPRIM_400000_NS6detail17trampoline_kernelINS0_14default_configENS1_27scan_by_key_config_selectorIxxEEZZNS1_16scan_by_key_implILNS1_25lookback_scan_determinismE0ELb1ES3_N6thrust23THRUST_200600_302600_NS6detail15normal_iteratorINS9_10device_ptrIxEEEESE_SE_xNS9_4plusIvEENS9_8equal_toIxEExEE10hipError_tPvRmT2_T3_T4_T5_mT6_T7_P12ihipStream_tbENKUlT_T0_E_clISt17integral_constantIbLb0EESZ_EEDaSU_SV_EUlSU_E_NS1_11comp_targetILNS1_3genE9ELNS1_11target_archE1100ELNS1_3gpuE3ELNS1_3repE0EEENS1_30default_config_static_selectorELNS0_4arch9wavefront6targetE0EEEvT1_,comdat
.Lfunc_end432:
	.size	_ZN7rocprim17ROCPRIM_400000_NS6detail17trampoline_kernelINS0_14default_configENS1_27scan_by_key_config_selectorIxxEEZZNS1_16scan_by_key_implILNS1_25lookback_scan_determinismE0ELb1ES3_N6thrust23THRUST_200600_302600_NS6detail15normal_iteratorINS9_10device_ptrIxEEEESE_SE_xNS9_4plusIvEENS9_8equal_toIxEExEE10hipError_tPvRmT2_T3_T4_T5_mT6_T7_P12ihipStream_tbENKUlT_T0_E_clISt17integral_constantIbLb0EESZ_EEDaSU_SV_EUlSU_E_NS1_11comp_targetILNS1_3genE9ELNS1_11target_archE1100ELNS1_3gpuE3ELNS1_3repE0EEENS1_30default_config_static_selectorELNS0_4arch9wavefront6targetE0EEEvT1_, .Lfunc_end432-_ZN7rocprim17ROCPRIM_400000_NS6detail17trampoline_kernelINS0_14default_configENS1_27scan_by_key_config_selectorIxxEEZZNS1_16scan_by_key_implILNS1_25lookback_scan_determinismE0ELb1ES3_N6thrust23THRUST_200600_302600_NS6detail15normal_iteratorINS9_10device_ptrIxEEEESE_SE_xNS9_4plusIvEENS9_8equal_toIxEExEE10hipError_tPvRmT2_T3_T4_T5_mT6_T7_P12ihipStream_tbENKUlT_T0_E_clISt17integral_constantIbLb0EESZ_EEDaSU_SV_EUlSU_E_NS1_11comp_targetILNS1_3genE9ELNS1_11target_archE1100ELNS1_3gpuE3ELNS1_3repE0EEENS1_30default_config_static_selectorELNS0_4arch9wavefront6targetE0EEEvT1_
                                        ; -- End function
	.set _ZN7rocprim17ROCPRIM_400000_NS6detail17trampoline_kernelINS0_14default_configENS1_27scan_by_key_config_selectorIxxEEZZNS1_16scan_by_key_implILNS1_25lookback_scan_determinismE0ELb1ES3_N6thrust23THRUST_200600_302600_NS6detail15normal_iteratorINS9_10device_ptrIxEEEESE_SE_xNS9_4plusIvEENS9_8equal_toIxEExEE10hipError_tPvRmT2_T3_T4_T5_mT6_T7_P12ihipStream_tbENKUlT_T0_E_clISt17integral_constantIbLb0EESZ_EEDaSU_SV_EUlSU_E_NS1_11comp_targetILNS1_3genE9ELNS1_11target_archE1100ELNS1_3gpuE3ELNS1_3repE0EEENS1_30default_config_static_selectorELNS0_4arch9wavefront6targetE0EEEvT1_.num_vgpr, 0
	.set _ZN7rocprim17ROCPRIM_400000_NS6detail17trampoline_kernelINS0_14default_configENS1_27scan_by_key_config_selectorIxxEEZZNS1_16scan_by_key_implILNS1_25lookback_scan_determinismE0ELb1ES3_N6thrust23THRUST_200600_302600_NS6detail15normal_iteratorINS9_10device_ptrIxEEEESE_SE_xNS9_4plusIvEENS9_8equal_toIxEExEE10hipError_tPvRmT2_T3_T4_T5_mT6_T7_P12ihipStream_tbENKUlT_T0_E_clISt17integral_constantIbLb0EESZ_EEDaSU_SV_EUlSU_E_NS1_11comp_targetILNS1_3genE9ELNS1_11target_archE1100ELNS1_3gpuE3ELNS1_3repE0EEENS1_30default_config_static_selectorELNS0_4arch9wavefront6targetE0EEEvT1_.num_agpr, 0
	.set _ZN7rocprim17ROCPRIM_400000_NS6detail17trampoline_kernelINS0_14default_configENS1_27scan_by_key_config_selectorIxxEEZZNS1_16scan_by_key_implILNS1_25lookback_scan_determinismE0ELb1ES3_N6thrust23THRUST_200600_302600_NS6detail15normal_iteratorINS9_10device_ptrIxEEEESE_SE_xNS9_4plusIvEENS9_8equal_toIxEExEE10hipError_tPvRmT2_T3_T4_T5_mT6_T7_P12ihipStream_tbENKUlT_T0_E_clISt17integral_constantIbLb0EESZ_EEDaSU_SV_EUlSU_E_NS1_11comp_targetILNS1_3genE9ELNS1_11target_archE1100ELNS1_3gpuE3ELNS1_3repE0EEENS1_30default_config_static_selectorELNS0_4arch9wavefront6targetE0EEEvT1_.numbered_sgpr, 0
	.set _ZN7rocprim17ROCPRIM_400000_NS6detail17trampoline_kernelINS0_14default_configENS1_27scan_by_key_config_selectorIxxEEZZNS1_16scan_by_key_implILNS1_25lookback_scan_determinismE0ELb1ES3_N6thrust23THRUST_200600_302600_NS6detail15normal_iteratorINS9_10device_ptrIxEEEESE_SE_xNS9_4plusIvEENS9_8equal_toIxEExEE10hipError_tPvRmT2_T3_T4_T5_mT6_T7_P12ihipStream_tbENKUlT_T0_E_clISt17integral_constantIbLb0EESZ_EEDaSU_SV_EUlSU_E_NS1_11comp_targetILNS1_3genE9ELNS1_11target_archE1100ELNS1_3gpuE3ELNS1_3repE0EEENS1_30default_config_static_selectorELNS0_4arch9wavefront6targetE0EEEvT1_.num_named_barrier, 0
	.set _ZN7rocprim17ROCPRIM_400000_NS6detail17trampoline_kernelINS0_14default_configENS1_27scan_by_key_config_selectorIxxEEZZNS1_16scan_by_key_implILNS1_25lookback_scan_determinismE0ELb1ES3_N6thrust23THRUST_200600_302600_NS6detail15normal_iteratorINS9_10device_ptrIxEEEESE_SE_xNS9_4plusIvEENS9_8equal_toIxEExEE10hipError_tPvRmT2_T3_T4_T5_mT6_T7_P12ihipStream_tbENKUlT_T0_E_clISt17integral_constantIbLb0EESZ_EEDaSU_SV_EUlSU_E_NS1_11comp_targetILNS1_3genE9ELNS1_11target_archE1100ELNS1_3gpuE3ELNS1_3repE0EEENS1_30default_config_static_selectorELNS0_4arch9wavefront6targetE0EEEvT1_.private_seg_size, 0
	.set _ZN7rocprim17ROCPRIM_400000_NS6detail17trampoline_kernelINS0_14default_configENS1_27scan_by_key_config_selectorIxxEEZZNS1_16scan_by_key_implILNS1_25lookback_scan_determinismE0ELb1ES3_N6thrust23THRUST_200600_302600_NS6detail15normal_iteratorINS9_10device_ptrIxEEEESE_SE_xNS9_4plusIvEENS9_8equal_toIxEExEE10hipError_tPvRmT2_T3_T4_T5_mT6_T7_P12ihipStream_tbENKUlT_T0_E_clISt17integral_constantIbLb0EESZ_EEDaSU_SV_EUlSU_E_NS1_11comp_targetILNS1_3genE9ELNS1_11target_archE1100ELNS1_3gpuE3ELNS1_3repE0EEENS1_30default_config_static_selectorELNS0_4arch9wavefront6targetE0EEEvT1_.uses_vcc, 0
	.set _ZN7rocprim17ROCPRIM_400000_NS6detail17trampoline_kernelINS0_14default_configENS1_27scan_by_key_config_selectorIxxEEZZNS1_16scan_by_key_implILNS1_25lookback_scan_determinismE0ELb1ES3_N6thrust23THRUST_200600_302600_NS6detail15normal_iteratorINS9_10device_ptrIxEEEESE_SE_xNS9_4plusIvEENS9_8equal_toIxEExEE10hipError_tPvRmT2_T3_T4_T5_mT6_T7_P12ihipStream_tbENKUlT_T0_E_clISt17integral_constantIbLb0EESZ_EEDaSU_SV_EUlSU_E_NS1_11comp_targetILNS1_3genE9ELNS1_11target_archE1100ELNS1_3gpuE3ELNS1_3repE0EEENS1_30default_config_static_selectorELNS0_4arch9wavefront6targetE0EEEvT1_.uses_flat_scratch, 0
	.set _ZN7rocprim17ROCPRIM_400000_NS6detail17trampoline_kernelINS0_14default_configENS1_27scan_by_key_config_selectorIxxEEZZNS1_16scan_by_key_implILNS1_25lookback_scan_determinismE0ELb1ES3_N6thrust23THRUST_200600_302600_NS6detail15normal_iteratorINS9_10device_ptrIxEEEESE_SE_xNS9_4plusIvEENS9_8equal_toIxEExEE10hipError_tPvRmT2_T3_T4_T5_mT6_T7_P12ihipStream_tbENKUlT_T0_E_clISt17integral_constantIbLb0EESZ_EEDaSU_SV_EUlSU_E_NS1_11comp_targetILNS1_3genE9ELNS1_11target_archE1100ELNS1_3gpuE3ELNS1_3repE0EEENS1_30default_config_static_selectorELNS0_4arch9wavefront6targetE0EEEvT1_.has_dyn_sized_stack, 0
	.set _ZN7rocprim17ROCPRIM_400000_NS6detail17trampoline_kernelINS0_14default_configENS1_27scan_by_key_config_selectorIxxEEZZNS1_16scan_by_key_implILNS1_25lookback_scan_determinismE0ELb1ES3_N6thrust23THRUST_200600_302600_NS6detail15normal_iteratorINS9_10device_ptrIxEEEESE_SE_xNS9_4plusIvEENS9_8equal_toIxEExEE10hipError_tPvRmT2_T3_T4_T5_mT6_T7_P12ihipStream_tbENKUlT_T0_E_clISt17integral_constantIbLb0EESZ_EEDaSU_SV_EUlSU_E_NS1_11comp_targetILNS1_3genE9ELNS1_11target_archE1100ELNS1_3gpuE3ELNS1_3repE0EEENS1_30default_config_static_selectorELNS0_4arch9wavefront6targetE0EEEvT1_.has_recursion, 0
	.set _ZN7rocprim17ROCPRIM_400000_NS6detail17trampoline_kernelINS0_14default_configENS1_27scan_by_key_config_selectorIxxEEZZNS1_16scan_by_key_implILNS1_25lookback_scan_determinismE0ELb1ES3_N6thrust23THRUST_200600_302600_NS6detail15normal_iteratorINS9_10device_ptrIxEEEESE_SE_xNS9_4plusIvEENS9_8equal_toIxEExEE10hipError_tPvRmT2_T3_T4_T5_mT6_T7_P12ihipStream_tbENKUlT_T0_E_clISt17integral_constantIbLb0EESZ_EEDaSU_SV_EUlSU_E_NS1_11comp_targetILNS1_3genE9ELNS1_11target_archE1100ELNS1_3gpuE3ELNS1_3repE0EEENS1_30default_config_static_selectorELNS0_4arch9wavefront6targetE0EEEvT1_.has_indirect_call, 0
	.section	.AMDGPU.csdata,"",@progbits
; Kernel info:
; codeLenInByte = 0
; TotalNumSgprs: 0
; NumVgprs: 0
; ScratchSize: 0
; MemoryBound: 0
; FloatMode: 240
; IeeeMode: 1
; LDSByteSize: 0 bytes/workgroup (compile time only)
; SGPRBlocks: 0
; VGPRBlocks: 0
; NumSGPRsForWavesPerEU: 1
; NumVGPRsForWavesPerEU: 1
; Occupancy: 16
; WaveLimiterHint : 0
; COMPUTE_PGM_RSRC2:SCRATCH_EN: 0
; COMPUTE_PGM_RSRC2:USER_SGPR: 6
; COMPUTE_PGM_RSRC2:TRAP_HANDLER: 0
; COMPUTE_PGM_RSRC2:TGID_X_EN: 1
; COMPUTE_PGM_RSRC2:TGID_Y_EN: 0
; COMPUTE_PGM_RSRC2:TGID_Z_EN: 0
; COMPUTE_PGM_RSRC2:TIDIG_COMP_CNT: 0
	.section	.text._ZN7rocprim17ROCPRIM_400000_NS6detail17trampoline_kernelINS0_14default_configENS1_27scan_by_key_config_selectorIxxEEZZNS1_16scan_by_key_implILNS1_25lookback_scan_determinismE0ELb1ES3_N6thrust23THRUST_200600_302600_NS6detail15normal_iteratorINS9_10device_ptrIxEEEESE_SE_xNS9_4plusIvEENS9_8equal_toIxEExEE10hipError_tPvRmT2_T3_T4_T5_mT6_T7_P12ihipStream_tbENKUlT_T0_E_clISt17integral_constantIbLb0EESZ_EEDaSU_SV_EUlSU_E_NS1_11comp_targetILNS1_3genE8ELNS1_11target_archE1030ELNS1_3gpuE2ELNS1_3repE0EEENS1_30default_config_static_selectorELNS0_4arch9wavefront6targetE0EEEvT1_,"axG",@progbits,_ZN7rocprim17ROCPRIM_400000_NS6detail17trampoline_kernelINS0_14default_configENS1_27scan_by_key_config_selectorIxxEEZZNS1_16scan_by_key_implILNS1_25lookback_scan_determinismE0ELb1ES3_N6thrust23THRUST_200600_302600_NS6detail15normal_iteratorINS9_10device_ptrIxEEEESE_SE_xNS9_4plusIvEENS9_8equal_toIxEExEE10hipError_tPvRmT2_T3_T4_T5_mT6_T7_P12ihipStream_tbENKUlT_T0_E_clISt17integral_constantIbLb0EESZ_EEDaSU_SV_EUlSU_E_NS1_11comp_targetILNS1_3genE8ELNS1_11target_archE1030ELNS1_3gpuE2ELNS1_3repE0EEENS1_30default_config_static_selectorELNS0_4arch9wavefront6targetE0EEEvT1_,comdat
	.protected	_ZN7rocprim17ROCPRIM_400000_NS6detail17trampoline_kernelINS0_14default_configENS1_27scan_by_key_config_selectorIxxEEZZNS1_16scan_by_key_implILNS1_25lookback_scan_determinismE0ELb1ES3_N6thrust23THRUST_200600_302600_NS6detail15normal_iteratorINS9_10device_ptrIxEEEESE_SE_xNS9_4plusIvEENS9_8equal_toIxEExEE10hipError_tPvRmT2_T3_T4_T5_mT6_T7_P12ihipStream_tbENKUlT_T0_E_clISt17integral_constantIbLb0EESZ_EEDaSU_SV_EUlSU_E_NS1_11comp_targetILNS1_3genE8ELNS1_11target_archE1030ELNS1_3gpuE2ELNS1_3repE0EEENS1_30default_config_static_selectorELNS0_4arch9wavefront6targetE0EEEvT1_ ; -- Begin function _ZN7rocprim17ROCPRIM_400000_NS6detail17trampoline_kernelINS0_14default_configENS1_27scan_by_key_config_selectorIxxEEZZNS1_16scan_by_key_implILNS1_25lookback_scan_determinismE0ELb1ES3_N6thrust23THRUST_200600_302600_NS6detail15normal_iteratorINS9_10device_ptrIxEEEESE_SE_xNS9_4plusIvEENS9_8equal_toIxEExEE10hipError_tPvRmT2_T3_T4_T5_mT6_T7_P12ihipStream_tbENKUlT_T0_E_clISt17integral_constantIbLb0EESZ_EEDaSU_SV_EUlSU_E_NS1_11comp_targetILNS1_3genE8ELNS1_11target_archE1030ELNS1_3gpuE2ELNS1_3repE0EEENS1_30default_config_static_selectorELNS0_4arch9wavefront6targetE0EEEvT1_
	.globl	_ZN7rocprim17ROCPRIM_400000_NS6detail17trampoline_kernelINS0_14default_configENS1_27scan_by_key_config_selectorIxxEEZZNS1_16scan_by_key_implILNS1_25lookback_scan_determinismE0ELb1ES3_N6thrust23THRUST_200600_302600_NS6detail15normal_iteratorINS9_10device_ptrIxEEEESE_SE_xNS9_4plusIvEENS9_8equal_toIxEExEE10hipError_tPvRmT2_T3_T4_T5_mT6_T7_P12ihipStream_tbENKUlT_T0_E_clISt17integral_constantIbLb0EESZ_EEDaSU_SV_EUlSU_E_NS1_11comp_targetILNS1_3genE8ELNS1_11target_archE1030ELNS1_3gpuE2ELNS1_3repE0EEENS1_30default_config_static_selectorELNS0_4arch9wavefront6targetE0EEEvT1_
	.p2align	8
	.type	_ZN7rocprim17ROCPRIM_400000_NS6detail17trampoline_kernelINS0_14default_configENS1_27scan_by_key_config_selectorIxxEEZZNS1_16scan_by_key_implILNS1_25lookback_scan_determinismE0ELb1ES3_N6thrust23THRUST_200600_302600_NS6detail15normal_iteratorINS9_10device_ptrIxEEEESE_SE_xNS9_4plusIvEENS9_8equal_toIxEExEE10hipError_tPvRmT2_T3_T4_T5_mT6_T7_P12ihipStream_tbENKUlT_T0_E_clISt17integral_constantIbLb0EESZ_EEDaSU_SV_EUlSU_E_NS1_11comp_targetILNS1_3genE8ELNS1_11target_archE1030ELNS1_3gpuE2ELNS1_3repE0EEENS1_30default_config_static_selectorELNS0_4arch9wavefront6targetE0EEEvT1_,@function
_ZN7rocprim17ROCPRIM_400000_NS6detail17trampoline_kernelINS0_14default_configENS1_27scan_by_key_config_selectorIxxEEZZNS1_16scan_by_key_implILNS1_25lookback_scan_determinismE0ELb1ES3_N6thrust23THRUST_200600_302600_NS6detail15normal_iteratorINS9_10device_ptrIxEEEESE_SE_xNS9_4plusIvEENS9_8equal_toIxEExEE10hipError_tPvRmT2_T3_T4_T5_mT6_T7_P12ihipStream_tbENKUlT_T0_E_clISt17integral_constantIbLb0EESZ_EEDaSU_SV_EUlSU_E_NS1_11comp_targetILNS1_3genE8ELNS1_11target_archE1030ELNS1_3gpuE2ELNS1_3repE0EEENS1_30default_config_static_selectorELNS0_4arch9wavefront6targetE0EEEvT1_: ; @_ZN7rocprim17ROCPRIM_400000_NS6detail17trampoline_kernelINS0_14default_configENS1_27scan_by_key_config_selectorIxxEEZZNS1_16scan_by_key_implILNS1_25lookback_scan_determinismE0ELb1ES3_N6thrust23THRUST_200600_302600_NS6detail15normal_iteratorINS9_10device_ptrIxEEEESE_SE_xNS9_4plusIvEENS9_8equal_toIxEExEE10hipError_tPvRmT2_T3_T4_T5_mT6_T7_P12ihipStream_tbENKUlT_T0_E_clISt17integral_constantIbLb0EESZ_EEDaSU_SV_EUlSU_E_NS1_11comp_targetILNS1_3genE8ELNS1_11target_archE1030ELNS1_3gpuE2ELNS1_3repE0EEENS1_30default_config_static_selectorELNS0_4arch9wavefront6targetE0EEEvT1_
; %bb.0:
	s_clause 0x5
	s_load_dwordx8 s[12:19], s[4:5], 0x0
	s_load_dwordx2 s[38:39], s[4:5], 0x50
	s_load_dword s2, s[4:5], 0x58
	s_load_dwordx4 s[28:31], s[4:5], 0x60
	s_load_dwordx2 s[40:41], s[4:5], 0x20
	s_load_dwordx8 s[20:27], s[4:5], 0x30
	s_mov_b32 s1, 0
	s_mul_i32 s0, s6, 0xd00
	s_waitcnt lgkmcnt(0)
	s_barrier
	buffer_gl0_inv
	s_lshl_b64 s[34:35], s[14:15], 3
	s_add_u32 s5, s12, s34
	s_addc_u32 s7, s13, s35
	s_mul_i32 s3, s39, s2
	s_mul_hi_u32 s4, s38, s2
	s_add_u32 s8, s16, s34
	s_addc_u32 s9, s17, s35
	s_lshl_b64 s[36:37], s[0:1], 3
	s_add_i32 s4, s4, s3
	s_add_u32 s14, s5, s36
	s_addc_u32 s15, s7, s37
	s_mul_i32 s0, s38, s2
	s_add_u32 s16, s8, s36
	s_addc_u32 s33, s9, s37
	s_add_u32 s2, s0, s6
	s_addc_u32 s3, s4, 0
	s_add_u32 s4, s28, -1
	s_addc_u32 s5, s29, -1
	s_mul_i32 s27, s4, 0xfffff300
	v_cmp_ge_u64_e64 s17, s[2:3], s[4:5]
	s_and_b32 vcc_lo, exec_lo, s17
	s_cbranch_vccz .LBB433_41
; %bb.1:
	v_mov_b32_e32 v1, s14
	v_mov_b32_e32 v2, s15
	s_add_i32 s43, s27, s26
	v_cmp_gt_u32_e32 vcc_lo, s43, v0
	flat_load_dwordx2 v[1:2], v[1:2]
	s_waitcnt vmcnt(0) lgkmcnt(0)
	v_mov_b32_e32 v4, v2
	v_mov_b32_e32 v3, v1
	s_and_saveexec_b32 s0, vcc_lo
	s_cbranch_execz .LBB433_3
; %bb.2:
	v_lshlrev_b32_e32 v3, 3, v0
	v_add_co_u32 v3, s1, s14, v3
	v_add_co_ci_u32_e64 v4, null, s15, 0, s1
	flat_load_dwordx2 v[3:4], v[3:4]
.LBB433_3:
	s_or_b32 exec_lo, exec_lo, s0
	v_or_b32_e32 v5, 0x100, v0
	v_cmp_gt_u32_e64 s0, s43, v5
	v_lshlrev_b32_e32 v29, 3, v5
	v_mov_b32_e32 v6, v2
	v_mov_b32_e32 v5, v1
	s_and_saveexec_b32 s1, s0
	s_cbranch_execz .LBB433_5
; %bb.4:
	v_add_co_u32 v5, s2, s14, v29
	v_add_co_ci_u32_e64 v6, null, s15, 0, s2
	flat_load_dwordx2 v[5:6], v[5:6]
.LBB433_5:
	s_or_b32 exec_lo, exec_lo, s1
	v_or_b32_e32 v7, 0x200, v0
	v_cmp_gt_u32_e64 s1, s43, v7
	v_lshlrev_b32_e32 v31, 3, v7
	v_mov_b32_e32 v8, v2
	v_mov_b32_e32 v7, v1
	s_and_saveexec_b32 s2, s1
	s_cbranch_execz .LBB433_7
; %bb.6:
	v_add_co_u32 v7, s3, s14, v31
	v_add_co_ci_u32_e64 v8, null, s15, 0, s3
	flat_load_dwordx2 v[7:8], v[7:8]
.LBB433_7:
	;; [unrolled: 13-line block ×11, first 2 shown]
	s_or_b32 exec_lo, exec_lo, s12
	v_or_b32_e32 v27, 0xc00, v0
	v_cmp_gt_u32_e64 s12, s43, v27
	v_lshlrev_b32_e32 v51, 3, v27
	s_and_saveexec_b32 s13, s12
	s_cbranch_execz .LBB433_27
; %bb.26:
	v_add_co_u32 v1, s28, s14, v51
	v_add_co_ci_u32_e64 v2, null, s15, 0, s28
	flat_load_dwordx2 v[1:2], v[1:2]
.LBB433_27:
	s_or_b32 exec_lo, exec_lo, s13
	v_lshlrev_b32_e32 v52, 3, v0
	s_mov_b32 s28, exec_lo
	s_waitcnt vmcnt(0) lgkmcnt(0)
	ds_write2st64_b64 v52, v[3:4], v[5:6] offset1:4
	ds_write2st64_b64 v52, v[7:8], v[9:10] offset0:8 offset1:12
	ds_write2st64_b64 v52, v[11:12], v[13:14] offset0:16 offset1:20
	;; [unrolled: 1-line block ×5, first 2 shown]
	v_mov_b32_e32 v3, s14
	v_mov_b32_e32 v4, s15
	ds_write_b64 v52, v[1:2] offset:24576
	s_waitcnt lgkmcnt(0)
	s_barrier
	buffer_gl0_inv
	flat_load_dwordx2 v[73:74], v[3:4]
	v_mad_u32_u24 v98, 0x60, v0, v52
	ds_read_b64 v[75:76], v98
	ds_read2_b64 v[21:24], v98 offset0:1 offset1:2
	ds_read2_b64 v[17:20], v98 offset0:3 offset1:4
	;; [unrolled: 1-line block ×6, first 2 shown]
	v_mad_i32_i24 v25, 0xffffffa0, v0, v98
	s_waitcnt lgkmcnt(6)
	ds_write_b64 v25, v[75:76] offset:28672
	s_waitcnt vmcnt(0) lgkmcnt(0)
	s_barrier
	buffer_gl0_inv
	v_cmpx_ne_u32_e32 0xff, v0
; %bb.28:
	v_mul_i32_i24_e32 v25, 0xffffffa0, v0
	v_add_nc_u32_e32 v25, v98, v25
	ds_read_b64 v[73:74], v25 offset:28680
; %bb.29:
	s_or_b32 exec_lo, exec_lo, s28
	s_waitcnt lgkmcnt(0)
	s_barrier
	buffer_gl0_inv
                                        ; implicit-def: $vgpr25_vgpr26
	s_and_saveexec_b32 s13, vcc_lo
	s_cbranch_execz .LBB433_42
; %bb.30:
	v_add_co_u32 v25, s28, s16, v52
	v_add_co_ci_u32_e64 v26, null, s33, 0, s28
	flat_load_dwordx2 v[25:26], v[25:26]
	s_or_b32 exec_lo, exec_lo, s13
                                        ; implicit-def: $vgpr27_vgpr28
	s_and_saveexec_b32 s13, s0
	s_cbranch_execnz .LBB433_43
.LBB433_31:
	s_or_b32 exec_lo, exec_lo, s13
                                        ; implicit-def: $vgpr29_vgpr30
	s_and_saveexec_b32 s0, s1
	s_cbranch_execz .LBB433_44
.LBB433_32:
	v_add_co_u32 v29, s1, s16, v31
	v_add_co_ci_u32_e64 v30, null, s33, 0, s1
	flat_load_dwordx2 v[29:30], v[29:30]
	s_or_b32 exec_lo, exec_lo, s0
                                        ; implicit-def: $vgpr31_vgpr32
	s_and_saveexec_b32 s0, s2
	s_cbranch_execnz .LBB433_45
.LBB433_33:
	s_or_b32 exec_lo, exec_lo, s0
                                        ; implicit-def: $vgpr33_vgpr34
	s_and_saveexec_b32 s0, s3
	s_cbranch_execz .LBB433_46
.LBB433_34:
	v_add_co_u32 v33, s1, s16, v35
	v_add_co_ci_u32_e64 v34, null, s33, 0, s1
	flat_load_dwordx2 v[33:34], v[33:34]
	s_or_b32 exec_lo, exec_lo, s0
                                        ; implicit-def: $vgpr35_vgpr36
	s_and_saveexec_b32 s0, s4
	s_cbranch_execnz .LBB433_47
.LBB433_35:
	s_or_b32 exec_lo, exec_lo, s0
                                        ; implicit-def: $vgpr37_vgpr38
	s_and_saveexec_b32 s0, s5
	s_cbranch_execz .LBB433_48
.LBB433_36:
	v_add_co_u32 v37, s1, s16, v39
	v_add_co_ci_u32_e64 v38, null, s33, 0, s1
	flat_load_dwordx2 v[37:38], v[37:38]
	s_or_b32 exec_lo, exec_lo, s0
                                        ; implicit-def: $vgpr39_vgpr40
	s_and_saveexec_b32 s0, s7
	s_cbranch_execnz .LBB433_49
.LBB433_37:
	s_or_b32 exec_lo, exec_lo, s0
                                        ; implicit-def: $vgpr41_vgpr42
	s_and_saveexec_b32 s0, s8
	s_cbranch_execz .LBB433_50
.LBB433_38:
	v_add_co_u32 v41, s1, s16, v43
	v_add_co_ci_u32_e64 v42, null, s33, 0, s1
	flat_load_dwordx2 v[41:42], v[41:42]
	s_or_b32 exec_lo, exec_lo, s0
                                        ; implicit-def: $vgpr43_vgpr44
	s_and_saveexec_b32 s0, s9
	s_cbranch_execnz .LBB433_51
.LBB433_39:
	s_or_b32 exec_lo, exec_lo, s0
                                        ; implicit-def: $vgpr45_vgpr46
	s_and_saveexec_b32 s0, s10
	s_cbranch_execz .LBB433_52
.LBB433_40:
	v_add_co_u32 v45, s1, s16, v47
	v_add_co_ci_u32_e64 v46, null, s33, 0, s1
	flat_load_dwordx2 v[45:46], v[45:46]
	s_or_b32 exec_lo, exec_lo, s0
                                        ; implicit-def: $vgpr47_vgpr48
	s_and_saveexec_b32 s0, s11
	s_cbranch_execz .LBB433_54
	s_branch .LBB433_53
.LBB433_41:
                                        ; implicit-def: $sgpr28
                                        ; implicit-def: $vgpr49_vgpr50
                                        ; implicit-def: $vgpr89
                                        ; implicit-def: $vgpr55_vgpr56
                                        ; implicit-def: $vgpr90
                                        ; implicit-def: $vgpr67_vgpr68
                                        ; implicit-def: $vgpr91
                                        ; implicit-def: $vgpr71_vgpr72
                                        ; implicit-def: $vgpr92
                                        ; implicit-def: $vgpr65_vgpr66
                                        ; implicit-def: $vgpr93
                                        ; implicit-def: $vgpr69_vgpr70
                                        ; implicit-def: $vgpr94
                                        ; implicit-def: $vgpr61_vgpr62
                                        ; implicit-def: $vgpr95
                                        ; implicit-def: $vgpr63_vgpr64
                                        ; implicit-def: $vgpr96
                                        ; implicit-def: $vgpr59_vgpr60
                                        ; implicit-def: $vgpr97
                                        ; implicit-def: $vgpr57_vgpr58
                                        ; implicit-def: $vgpr99
                                        ; implicit-def: $vgpr53_vgpr54
                                        ; implicit-def: $vgpr100
                                        ; implicit-def: $vgpr51_vgpr52
                                        ; implicit-def: $vgpr102
                                        ; implicit-def: $vgpr39_vgpr40
                                        ; implicit-def: $vgpr77
                                        ; implicit-def: $vgpr25_vgpr26
                                        ; implicit-def: $vgpr78
                                        ; implicit-def: $vgpr29_vgpr30
                                        ; implicit-def: $vgpr79
                                        ; implicit-def: $vgpr31_vgpr32
                                        ; implicit-def: $vgpr80
                                        ; implicit-def: $vgpr33_vgpr34
                                        ; implicit-def: $vgpr81
                                        ; implicit-def: $vgpr35_vgpr36
                                        ; implicit-def: $vgpr82
                                        ; implicit-def: $vgpr37_vgpr38
                                        ; implicit-def: $vgpr84
                                        ; implicit-def: $vgpr41_vgpr42
                                        ; implicit-def: $vgpr85
                                        ; implicit-def: $vgpr43_vgpr44
                                        ; implicit-def: $vgpr86
                                        ; implicit-def: $vgpr45_vgpr46
                                        ; implicit-def: $vgpr87
                                        ; implicit-def: $vgpr47_vgpr48
                                        ; implicit-def: $vgpr88
                                        ; implicit-def: $vgpr27_vgpr28
                                        ; implicit-def: $vgpr83
	v_lshlrev_b32_e32 v75, 3, v0
	s_cbranch_execz .LBB433_88
	s_branch .LBB433_83
.LBB433_42:
	s_or_b32 exec_lo, exec_lo, s13
                                        ; implicit-def: $vgpr27_vgpr28
	s_and_saveexec_b32 s13, s0
	s_cbranch_execz .LBB433_31
.LBB433_43:
	v_add_co_u32 v27, s0, s16, v29
	v_add_co_ci_u32_e64 v28, null, s33, 0, s0
	flat_load_dwordx2 v[27:28], v[27:28]
	s_or_b32 exec_lo, exec_lo, s13
                                        ; implicit-def: $vgpr29_vgpr30
	s_and_saveexec_b32 s0, s1
	s_cbranch_execnz .LBB433_32
.LBB433_44:
	s_or_b32 exec_lo, exec_lo, s0
                                        ; implicit-def: $vgpr31_vgpr32
	s_and_saveexec_b32 s0, s2
	s_cbranch_execz .LBB433_33
.LBB433_45:
	v_add_co_u32 v31, s1, s16, v33
	v_add_co_ci_u32_e64 v32, null, s33, 0, s1
	flat_load_dwordx2 v[31:32], v[31:32]
	s_or_b32 exec_lo, exec_lo, s0
                                        ; implicit-def: $vgpr33_vgpr34
	s_and_saveexec_b32 s0, s3
	s_cbranch_execnz .LBB433_34
.LBB433_46:
	s_or_b32 exec_lo, exec_lo, s0
                                        ; implicit-def: $vgpr35_vgpr36
	s_and_saveexec_b32 s0, s4
	s_cbranch_execz .LBB433_35
.LBB433_47:
	v_add_co_u32 v35, s1, s16, v37
	v_add_co_ci_u32_e64 v36, null, s33, 0, s1
	flat_load_dwordx2 v[35:36], v[35:36]
	s_or_b32 exec_lo, exec_lo, s0
                                        ; implicit-def: $vgpr37_vgpr38
	s_and_saveexec_b32 s0, s5
	s_cbranch_execnz .LBB433_36
.LBB433_48:
	s_or_b32 exec_lo, exec_lo, s0
                                        ; implicit-def: $vgpr39_vgpr40
	s_and_saveexec_b32 s0, s7
	s_cbranch_execz .LBB433_37
.LBB433_49:
	v_add_co_u32 v39, s1, s16, v41
	v_add_co_ci_u32_e64 v40, null, s33, 0, s1
	flat_load_dwordx2 v[39:40], v[39:40]
	s_or_b32 exec_lo, exec_lo, s0
                                        ; implicit-def: $vgpr41_vgpr42
	s_and_saveexec_b32 s0, s8
	s_cbranch_execnz .LBB433_38
.LBB433_50:
	s_or_b32 exec_lo, exec_lo, s0
                                        ; implicit-def: $vgpr43_vgpr44
	s_and_saveexec_b32 s0, s9
	s_cbranch_execz .LBB433_39
.LBB433_51:
	v_add_co_u32 v43, s1, s16, v45
	v_add_co_ci_u32_e64 v44, null, s33, 0, s1
	flat_load_dwordx2 v[43:44], v[43:44]
	s_or_b32 exec_lo, exec_lo, s0
                                        ; implicit-def: $vgpr45_vgpr46
	s_and_saveexec_b32 s0, s10
	s_cbranch_execnz .LBB433_40
.LBB433_52:
	s_or_b32 exec_lo, exec_lo, s0
                                        ; implicit-def: $vgpr47_vgpr48
	s_and_saveexec_b32 s0, s11
	s_cbranch_execz .LBB433_54
.LBB433_53:
	v_add_co_u32 v47, s1, s16, v49
	v_add_co_ci_u32_e64 v48, null, s33, 0, s1
	flat_load_dwordx2 v[47:48], v[47:48]
.LBB433_54:
	s_or_b32 exec_lo, exec_lo, s0
	v_mul_u32_u24_e32 v101, 13, v0
                                        ; implicit-def: $vgpr49_vgpr50
	s_and_saveexec_b32 s0, s12
	s_cbranch_execz .LBB433_56
; %bb.55:
	v_add_co_u32 v49, s1, s16, v51
	v_add_co_ci_u32_e64 v50, null, s33, 0, s1
	flat_load_dwordx2 v[49:50], v[49:50]
.LBB433_56:
	s_or_b32 exec_lo, exec_lo, s0
	s_waitcnt vmcnt(0) lgkmcnt(0)
	ds_write2st64_b64 v52, v[25:26], v[27:28] offset1:4
	ds_write2st64_b64 v52, v[29:30], v[31:32] offset0:8 offset1:12
	ds_write2st64_b64 v52, v[33:34], v[35:36] offset0:16 offset1:20
	;; [unrolled: 1-line block ×5, first 2 shown]
	ds_write_b64 v52, v[49:50] offset:24576
	v_mov_b32_e32 v49, 0
	v_mov_b32_e32 v55, 0
	;; [unrolled: 1-line block ×24, first 2 shown]
	v_cmp_gt_u32_e32 vcc_lo, s43, v101
	v_mov_b32_e32 v89, 0
	v_mov_b32_e32 v50, 0
	;; [unrolled: 1-line block ×48, first 2 shown]
	s_mov_b32 s13, 0
	s_mov_b32 s1, 0
	s_waitcnt lgkmcnt(0)
	s_barrier
	buffer_gl0_inv
                                        ; implicit-def: $sgpr28
	s_and_saveexec_b32 s29, vcc_lo
	s_cbranch_execz .LBB433_82
; %bb.57:
	ds_read_b64 v[25:26], v98
	v_cmp_ne_u64_e32 vcc_lo, v[75:76], v[21:22]
	v_add_nc_u32_e32 v27, 1, v101
	v_mov_b32_e32 v55, 0
	v_mov_b32_e32 v67, 0
	;; [unrolled: 1-line block ×7, first 2 shown]
	v_cmp_gt_u32_e64 s0, s43, v27
	v_mov_b32_e32 v59, 0
	v_mov_b32_e32 v57, 0
	;; [unrolled: 1-line block ×9, first 2 shown]
	s_waitcnt lgkmcnt(0)
	v_cndmask_b32_e64 v50, v26, s41, vcc_lo
	v_cndmask_b32_e64 v49, v25, s40, vcc_lo
	v_mov_b32_e32 v25, 0
	v_mov_b32_e32 v37, 0
	;; [unrolled: 1-line block ×52, first 2 shown]
                                        ; implicit-def: $sgpr28
	s_and_saveexec_b32 s42, s0
	s_cbranch_execz .LBB433_81
; %bb.58:
	ds_read2_b64 v[25:28], v98 offset0:1 offset1:2
	v_cmp_ne_u64_e64 s0, v[21:22], v[23:24]
	v_add_nc_u32_e32 v21, 2, v101
	v_mov_b32_e32 v55, 0
	v_mov_b32_e32 v67, 0
	;; [unrolled: 1-line block ×17, first 2 shown]
	s_waitcnt lgkmcnt(0)
	v_cndmask_b32_e64 v52, v26, s41, s0
	v_cndmask_b32_e64 v51, v25, s40, s0
	v_mov_b32_e32 v25, 0
	v_mov_b32_e32 v43, 0
	;; [unrolled: 1-line block ×19, first 2 shown]
	v_cmp_gt_u32_e64 s1, s43, v21
	v_mov_b32_e32 v60, 0
	v_mov_b32_e32 v97, 0
	;; [unrolled: 1-line block ×26, first 2 shown]
	s_mov_b32 s2, 0
                                        ; implicit-def: $sgpr28
	s_and_saveexec_b32 s44, s1
	s_cbranch_execz .LBB433_80
; %bb.59:
	v_cmp_ne_u64_e64 s1, v[23:24], v[17:18]
	v_add_nc_u32_e32 v21, 3, v101
	v_mov_b32_e32 v55, 0
	v_mov_b32_e32 v67, 0
	;; [unrolled: 1-line block ×19, first 2 shown]
	v_cndmask_b32_e64 v54, v28, s41, s1
	v_mov_b32_e32 v56, 0
	v_mov_b32_e32 v89, 0
	v_cmp_gt_u32_e64 s2, s43, v21
	v_cndmask_b32_e64 v53, v27, s40, s1
	v_mov_b32_e32 v90, 0
	v_mov_b32_e32 v68, 0
	;; [unrolled: 1-line block ×35, first 2 shown]
	s_mov_b32 s3, 0
                                        ; implicit-def: $sgpr28
	s_and_saveexec_b32 s45, s2
	s_cbranch_execz .LBB433_79
; %bb.60:
	ds_read2_b64 v[21:24], v98 offset0:3 offset1:4
	v_cmp_ne_u64_e64 s2, v[17:18], v[19:20]
	v_add_nc_u32_e32 v17, 4, v101
	v_mov_b32_e32 v55, 0
	v_mov_b32_e32 v67, 0
	;; [unrolled: 1-line block ×32, first 2 shown]
	v_cmp_gt_u32_e64 s3, s43, v17
	s_waitcnt lgkmcnt(0)
	v_cndmask_b32_e64 v58, v22, s41, s2
	v_cndmask_b32_e64 v57, v21, s40, s2
	v_mov_b32_e32 v60, 0
	v_mov_b32_e32 v40, 0
	;; [unrolled: 1-line block ×18, first 2 shown]
	s_mov_b32 s4, 0
                                        ; implicit-def: $sgpr28
	s_and_saveexec_b32 s46, s3
	s_cbranch_execz .LBB433_78
; %bb.61:
	v_cmp_ne_u64_e64 s3, v[19:20], v[13:14]
	v_add_nc_u32_e32 v17, 5, v101
	v_mov_b32_e32 v55, 0
	v_mov_b32_e32 v67, 0
	;; [unrolled: 1-line block ×15, first 2 shown]
	v_cndmask_b32_e64 v60, v24, s41, s3
	v_mov_b32_e32 v56, 0
	v_mov_b32_e32 v89, 0
	v_cmp_gt_u32_e64 s4, s43, v17
	v_cndmask_b32_e64 v59, v23, s40, s3
	v_mov_b32_e32 v90, 0
	v_mov_b32_e32 v68, 0
	v_mov_b32_e32 v91, 0
	v_mov_b32_e32 v72, 0
	v_mov_b32_e32 v92, 0
	v_mov_b32_e32 v66, 0
	v_mov_b32_e32 v93, 0
	v_mov_b32_e32 v70, 0
	v_mov_b32_e32 v94, 0
	v_mov_b32_e32 v62, 0
	v_mov_b32_e32 v95, 0
	v_mov_b32_e32 v64, 0
	v_mov_b32_e32 v40, 0
	v_mov_b32_e32 v77, 0
	v_mov_b32_e32 v26, 0
	v_mov_b32_e32 v78, 0
	v_mov_b32_e32 v30, 0
	v_mov_b32_e32 v79, 0
	v_mov_b32_e32 v32, 0
	v_mov_b32_e32 v80, 0
	v_mov_b32_e32 v34, 0
	v_mov_b32_e32 v81, 0
	v_mov_b32_e32 v36, 0
	v_mov_b32_e32 v82, 0
	v_mov_b32_e32 v38, 0
	v_mov_b32_e32 v42, 0
	v_mov_b32_e32 v84, 0
	s_mov_b32 s5, 0
                                        ; implicit-def: $sgpr28
	s_and_saveexec_b32 s47, s4
	s_cbranch_execz .LBB433_77
; %bb.62:
	ds_read2_b64 v[17:20], v98 offset0:5 offset1:6
	v_cmp_ne_u64_e64 s4, v[13:14], v[15:16]
	v_mov_b32_e32 v55, 0
	v_mov_b32_e32 v67, 0
	;; [unrolled: 1-line block ×13, first 2 shown]
	v_add_nc_u32_e32 v13, 6, v101
	v_mov_b32_e32 v56, 0
	v_mov_b32_e32 v89, 0
	;; [unrolled: 1-line block ×15, first 2 shown]
	s_waitcnt lgkmcnt(0)
	v_cndmask_b32_e64 v64, v18, s41, s4
	v_cndmask_b32_e64 v63, v17, s40, s4
	v_mov_b32_e32 v78, 0
	v_mov_b32_e32 v30, 0
	;; [unrolled: 1-line block ×10, first 2 shown]
	s_mov_b32 s7, 0
	s_mov_b32 s48, exec_lo
                                        ; implicit-def: $sgpr28
	v_cmpx_gt_u32_e64 s43, v13
	s_cbranch_execz .LBB433_76
; %bb.63:
	v_cmp_ne_u64_e64 s5, v[15:16], v[9:10]
	v_add_nc_u32_e32 v13, 7, v101
	v_mov_b32_e32 v55, 0
	v_mov_b32_e32 v67, 0
	;; [unrolled: 1-line block ×11, first 2 shown]
	v_cndmask_b32_e64 v62, v20, s41, s5
	v_mov_b32_e32 v56, 0
	v_mov_b32_e32 v89, 0
	v_cmp_gt_u32_e64 s7, s43, v13
	v_cndmask_b32_e64 v61, v19, s40, s5
	v_mov_b32_e32 v90, 0
	v_mov_b32_e32 v68, 0
	;; [unrolled: 1-line block ×19, first 2 shown]
	s_mov_b32 s8, 0
                                        ; implicit-def: $sgpr28
	s_and_saveexec_b32 s49, s7
	s_cbranch_execz .LBB433_75
; %bb.64:
	ds_read2_b64 v[13:16], v98 offset0:7 offset1:8
	v_cmp_ne_u64_e64 s7, v[9:10], v[11:12]
	v_mov_b32_e32 v55, 0
	v_mov_b32_e32 v67, 0
	;; [unrolled: 1-line block ×9, first 2 shown]
	v_add_nc_u32_e32 v9, 8, v101
	v_mov_b32_e32 v56, 0
	v_mov_b32_e32 v89, 0
	;; [unrolled: 1-line block ×15, first 2 shown]
	s_waitcnt lgkmcnt(0)
	v_cndmask_b32_e64 v70, v14, s41, s7
	v_cndmask_b32_e64 v69, v13, s40, s7
	v_mov_b32_e32 v34, 0
	v_mov_b32_e32 v80, 0
	s_mov_b32 s9, 0
	s_mov_b32 s50, exec_lo
                                        ; implicit-def: $sgpr28
	v_cmpx_gt_u32_e64 s43, v9
	s_cbranch_execz .LBB433_74
; %bb.65:
	v_cmp_ne_u64_e64 s8, v[11:12], v[5:6]
	v_mov_b32_e32 v55, 0
	v_mov_b32_e32 v67, 0
	;; [unrolled: 1-line block ×7, first 2 shown]
	v_add_nc_u32_e32 v9, 9, v101
	v_cndmask_b32_e64 v66, v16, s41, s8
	v_mov_b32_e32 v56, 0
	v_mov_b32_e32 v89, 0
	v_cndmask_b32_e64 v65, v15, s40, s8
	v_mov_b32_e32 v90, 0
	v_mov_b32_e32 v68, 0
	v_mov_b32_e32 v91, 0
	v_mov_b32_e32 v72, 0
	v_mov_b32_e32 v40, 0
	v_mov_b32_e32 v77, 0
	v_mov_b32_e32 v26, 0
	v_mov_b32_e32 v78, 0
	v_mov_b32_e32 v30, 0
	v_mov_b32_e32 v32, 0
	v_mov_b32_e32 v79, 0
	s_mov_b32 s10, 0
	s_mov_b32 s51, exec_lo
                                        ; implicit-def: $sgpr28
	v_cmpx_gt_u32_e64 s43, v9
	s_cbranch_execz .LBB433_73
; %bb.66:
	ds_read2_b64 v[9:12], v98 offset0:9 offset1:10
	v_cmp_ne_u64_e64 s9, v[5:6], v[7:8]
	v_mov_b32_e32 v55, 0
	v_mov_b32_e32 v67, 0
	;; [unrolled: 1-line block ×4, first 2 shown]
	v_add_nc_u32_e32 v5, 10, v101
	v_mov_b32_e32 v56, 0
	v_mov_b32_e32 v89, 0
	;; [unrolled: 1-line block ×7, first 2 shown]
	s_mov_b32 s11, 0
	s_mov_b32 s52, exec_lo
                                        ; implicit-def: $sgpr28
	s_waitcnt lgkmcnt(0)
	v_cndmask_b32_e64 v72, v10, s41, s9
	v_cndmask_b32_e64 v71, v9, s40, s9
	v_cmpx_gt_u32_e64 s43, v5
	s_cbranch_execz .LBB433_72
; %bb.67:
	v_cmp_ne_u64_e64 s10, v[7:8], v[1:2]
	v_mov_b32_e32 v55, 0
	v_mov_b32_e32 v39, 0
	v_add_nc_u32_e32 v5, 11, v101
	v_mov_b32_e32 v56, 0
	v_mov_b32_e32 v40, 0
	v_cndmask_b32_e64 v68, v12, s41, s10
	v_cndmask_b32_e64 v67, v11, s40, s10
	v_mov_b32_e32 v89, 0
	s_mov_b32 s12, 0
	s_mov_b32 s53, exec_lo
                                        ; implicit-def: $sgpr28
	v_cmpx_gt_u32_e64 s43, v5
	s_cbranch_execz .LBB433_71
; %bb.68:
	ds_read2_b64 v[5:8], v98 offset0:11 offset1:12
	v_cmp_ne_u64_e64 s11, v[1:2], v[3:4]
	v_add_nc_u32_e32 v1, 12, v101
	v_mov_b32_e32 v39, 0
	v_mov_b32_e32 v40, 0
                                        ; implicit-def: $sgpr28
	v_cmp_gt_u32_e64 s12, s43, v1
	s_mov_b32 s43, 0
	s_waitcnt lgkmcnt(0)
	v_cndmask_b32_e64 v56, v6, s41, s11
	v_cndmask_b32_e64 v55, v5, s40, s11
	s_and_saveexec_b32 s54, s12
	s_xor_b32 s12, exec_lo, s54
; %bb.69:
	v_cmp_ne_u64_e64 s28, v[3:4], v[73:74]
	s_mov_b32 s43, exec_lo
	v_cndmask_b32_e64 v40, v8, s41, s28
	v_cndmask_b32_e64 v39, v7, s40, s28
; %bb.70:
	s_or_b32 exec_lo, exec_lo, s12
	v_cndmask_b32_e64 v89, 0, 1, s11
	s_and_b32 s12, s43, exec_lo
.LBB433_71:
	s_or_b32 exec_lo, exec_lo, s53
	v_cndmask_b32_e64 v90, 0, 1, s10
	v_mov_b32_e32 v29, v67
	v_mov_b32_e32 v30, v68
	s_and_b32 s11, s12, exec_lo
	v_mov_b32_e32 v78, v90
.LBB433_72:
	s_or_b32 exec_lo, exec_lo, s52
	v_cndmask_b32_e64 v91, 0, 1, s9
	v_mov_b32_e32 v25, v55
	v_mov_b32_e32 v31, v71
	;; [unrolled: 1-line block ×6, first 2 shown]
	s_and_b32 s10, s11, exec_lo
.LBB433_73:
	s_or_b32 exec_lo, exec_lo, s51
	v_cndmask_b32_e64 v92, 0, 1, s8
	v_mov_b32_e32 v33, v65
	v_mov_b32_e32 v34, v66
	s_and_b32 s9, s10, exec_lo
	v_mov_b32_e32 v80, v92
.LBB433_74:
	s_or_b32 exec_lo, exec_lo, s50
	v_cndmask_b32_e64 v93, 0, 1, s7
	v_mov_b32_e32 v35, v69
	v_mov_b32_e32 v36, v70
	s_and_b32 s8, s9, exec_lo
	v_mov_b32_e32 v81, v93
.LBB433_75:
	s_or_b32 exec_lo, exec_lo, s49
	v_cndmask_b32_e64 v94, 0, 1, s5
	v_mov_b32_e32 v37, v61
	v_mov_b32_e32 v38, v62
	s_and_b32 s7, s8, exec_lo
	v_mov_b32_e32 v82, v94
.LBB433_76:
	s_or_b32 exec_lo, exec_lo, s48
	v_cndmask_b32_e64 v95, 0, 1, s4
	v_mov_b32_e32 v41, v63
	v_mov_b32_e32 v42, v64
	s_and_b32 s5, s7, exec_lo
	v_mov_b32_e32 v84, v95
.LBB433_77:
	s_or_b32 exec_lo, exec_lo, s47
	v_cndmask_b32_e64 v96, 0, 1, s3
	v_mov_b32_e32 v43, v59
	v_mov_b32_e32 v44, v60
	s_and_b32 s4, s5, exec_lo
	v_mov_b32_e32 v85, v96
.LBB433_78:
	s_or_b32 exec_lo, exec_lo, s46
	v_cndmask_b32_e64 v97, 0, 1, s2
	v_mov_b32_e32 v45, v57
	v_mov_b32_e32 v46, v58
	s_and_b32 s3, s4, exec_lo
	v_mov_b32_e32 v86, v97
.LBB433_79:
	s_or_b32 exec_lo, exec_lo, s45
	v_cndmask_b32_e64 v99, 0, 1, s1
	v_mov_b32_e32 v47, v53
	v_mov_b32_e32 v48, v54
	s_and_b32 s2, s3, exec_lo
	v_mov_b32_e32 v87, v99
.LBB433_80:
	s_or_b32 exec_lo, exec_lo, s44
	v_cndmask_b32_e64 v100, 0, 1, s0
	v_mov_b32_e32 v27, v51
	v_mov_b32_e32 v28, v52
	s_and_b32 s1, s2, exec_lo
	v_mov_b32_e32 v88, v100
.LBB433_81:
	s_or_b32 exec_lo, exec_lo, s42
	v_cndmask_b32_e64 v102, 0, 1, vcc_lo
	s_and_b32 s1, s1, exec_lo
	v_mov_b32_e32 v83, v102
.LBB433_82:
	s_or_b32 exec_lo, exec_lo, s29
	v_lshlrev_b32_e32 v75, 3, v0
	s_and_b32 vcc_lo, exec_lo, s13
	s_cbranch_vccz .LBB433_88
.LBB433_83:
	v_add_co_u32 v1, s0, s14, v75
	v_add_co_ci_u32_e64 v2, null, s15, 0, s0
	v_add_co_u32 v27, s0, 0x6800, s14
	v_add_co_u32 v3, vcc_lo, 0x800, v1
	v_add_co_ci_u32_e64 v4, null, 0, v2, vcc_lo
	v_add_co_u32 v5, vcc_lo, 0x1000, v1
	v_add_co_ci_u32_e64 v6, null, 0, v2, vcc_lo
	;; [unrolled: 2-line block ×10, first 2 shown]
	v_add_co_u32 v25, vcc_lo, 0x5800, v1
	s_clause 0x7
	flat_load_dwordx2 v[17:18], v[1:2]
	flat_load_dwordx2 v[3:4], v[3:4]
	;; [unrolled: 1-line block ×8, first 2 shown]
	v_add_co_ci_u32_e64 v26, null, 0, v2, vcc_lo
	v_add_co_u32 v1, vcc_lo, 0x6000, v1
	v_add_co_ci_u32_e64 v2, null, 0, v2, vcc_lo
	s_clause 0x4
	flat_load_dwordx2 v[19:20], v[19:20]
	flat_load_dwordx2 v[21:22], v[21:22]
	;; [unrolled: 1-line block ×5, first 2 shown]
	v_add_co_ci_u32_e64 v28, null, 0, s15, s0
	v_mad_u32_u24 v53, 0x60, v0, v75
	s_mov_b32 s0, exec_lo
	s_waitcnt vmcnt(11) lgkmcnt(11)
	ds_write2st64_b64 v75, v[17:18], v[3:4] offset1:4
	s_waitcnt vmcnt(9) lgkmcnt(10)
	ds_write2st64_b64 v75, v[5:6], v[7:8] offset0:8 offset1:12
	s_waitcnt vmcnt(7) lgkmcnt(9)
	ds_write2st64_b64 v75, v[9:10], v[11:12] offset0:16 offset1:20
	;; [unrolled: 2-line block ×5, first 2 shown]
	s_waitcnt vmcnt(0) lgkmcnt(6)
	ds_write_b64 v75, v[1:2] offset:24576
	s_waitcnt lgkmcnt(0)
	s_barrier
	buffer_gl0_inv
	flat_load_dwordx2 v[51:52], v[27:28]
	ds_read_b64 v[49:50], v53
	ds_read2_b64 v[21:24], v53 offset0:1 offset1:2
	ds_read2_b64 v[17:20], v53 offset0:3 offset1:4
	;; [unrolled: 1-line block ×6, first 2 shown]
	v_mad_i32_i24 v25, 0xffffffa0, v0, v53
	s_waitcnt lgkmcnt(6)
	ds_write_b64 v25, v[49:50] offset:28672
	s_waitcnt vmcnt(0) lgkmcnt(0)
	s_barrier
	buffer_gl0_inv
	v_cmpx_ne_u32_e32 0xff, v0
; %bb.84:
	v_mul_i32_i24_e32 v25, 0xffffffa0, v0
	v_add_nc_u32_e32 v25, v53, v25
	ds_read_b64 v[51:52], v25 offset:28680
; %bb.85:
	s_or_b32 exec_lo, exec_lo, s0
	v_add_co_u32 v25, s0, s16, v75
	v_add_co_ci_u32_e64 v26, null, s33, 0, s0
	s_waitcnt lgkmcnt(0)
	v_add_co_u32 v27, vcc_lo, 0x800, v25
	v_add_co_ci_u32_e64 v28, null, 0, v26, vcc_lo
	v_add_co_u32 v29, vcc_lo, 0x1000, v25
	v_add_co_ci_u32_e64 v30, null, 0, v26, vcc_lo
	;; [unrolled: 2-line block ×10, first 2 shown]
	v_add_co_u32 v54, vcc_lo, 0x5800, v25
	s_barrier
	buffer_gl0_inv
	s_clause 0x7
	flat_load_dwordx2 v[41:42], v[25:26]
	flat_load_dwordx2 v[27:28], v[27:28]
	;; [unrolled: 1-line block ×8, first 2 shown]
	v_add_co_ci_u32_e64 v55, null, 0, v26, vcc_lo
	v_add_co_u32 v25, vcc_lo, 0x6000, v25
	v_add_co_ci_u32_e64 v26, null, 0, v26, vcc_lo
	s_clause 0x4
	flat_load_dwordx2 v[43:44], v[43:44]
	flat_load_dwordx2 v[45:46], v[45:46]
	;; [unrolled: 1-line block ×5, first 2 shown]
	v_cmp_ne_u64_e32 vcc_lo, v[49:50], v[21:22]
	v_cmp_eq_u64_e64 s0, v[49:50], v[21:22]
	v_mov_b32_e32 v50, s41
	v_mov_b32_e32 v49, s40
	s_waitcnt vmcnt(11) lgkmcnt(11)
	ds_write2st64_b64 v75, v[41:42], v[27:28] offset1:4
	s_waitcnt vmcnt(9) lgkmcnt(10)
	ds_write2st64_b64 v75, v[29:30], v[31:32] offset0:8 offset1:12
	s_waitcnt vmcnt(7) lgkmcnt(9)
	ds_write2st64_b64 v75, v[33:34], v[35:36] offset0:16 offset1:20
	;; [unrolled: 2-line block ×5, first 2 shown]
	s_waitcnt vmcnt(0) lgkmcnt(6)
	ds_write_b64 v75, v[25:26] offset:24576
	s_waitcnt lgkmcnt(0)
	s_barrier
	buffer_gl0_inv
	ds_read2_b64 v[45:48], v53 offset0:1 offset1:2
	ds_read2_b64 v[41:44], v53 offset0:3 offset1:4
	;; [unrolled: 1-line block ×6, first 2 shown]
	s_and_saveexec_b32 s1, s0
; %bb.86:
	ds_read_b64 v[49:50], v53
; %bb.87:
	s_or_b32 exec_lo, exec_lo, s1
	v_cndmask_b32_e64 v102, 0, 1, vcc_lo
	v_cmp_ne_u64_e32 vcc_lo, v[21:22], v[23:24]
	v_cmp_ne_u64_e64 s0, v[23:24], v[17:18]
	v_cmp_ne_u64_e64 s1, v[17:18], v[19:20]
	;; [unrolled: 1-line block ×11, first 2 shown]
	s_waitcnt lgkmcnt(5)
	v_cndmask_b32_e64 v51, v45, s40, vcc_lo
	v_cndmask_b32_e64 v53, v47, s40, s0
	s_waitcnt lgkmcnt(4)
	v_cndmask_b32_e64 v57, v41, s40, s1
	v_cndmask_b32_e64 v59, v43, s40, s2
	s_waitcnt lgkmcnt(3)
	v_cndmask_b32_e64 v63, v37, s40, s3
	;; [unrolled: 3-line block ×4, first 2 shown]
	s_waitcnt lgkmcnt(0)
	v_cndmask_b32_e64 v55, v25, s40, s10
	v_cndmask_b32_e64 v67, v31, s40, s9
	v_cndmask_b32_e64 v100, 0, 1, vcc_lo
	v_cndmask_b32_e64 v99, 0, 1, s0
	v_cndmask_b32_e64 v97, 0, 1, s1
	;; [unrolled: 1-line block ×10, first 2 shown]
	v_cndmask_b32_e64 v52, v46, s41, vcc_lo
	v_cndmask_b32_e64 v54, v48, s41, s0
	v_cndmask_b32_e64 v58, v42, s41, s1
	;; [unrolled: 1-line block ×12, first 2 shown]
	v_mov_b32_e32 v25, v55
	v_mov_b32_e32 v29, v67
	;; [unrolled: 1-line block ×34, first 2 shown]
	s_mov_b32 s1, -1
.LBB433_88:
	v_mov_b32_e32 v12, 0
	s_and_saveexec_b32 s0, s1
	s_cbranch_execz .LBB433_90
; %bb.89:
	v_mov_b32_e32 v27, v51
	v_mov_b32_e32 v47, v53
	v_mov_b32_e32 v45, v57
	v_mov_b32_e32 v43, v59
	v_mov_b32_e32 v41, v63
	v_mov_b32_e32 v37, v61
	v_mov_b32_e32 v35, v69
	v_mov_b32_e32 v33, v65
	v_mov_b32_e32 v31, v71
	v_mov_b32_e32 v29, v67
	v_mov_b32_e32 v25, v55
	v_cndmask_b32_e64 v12, 0, 1, s28
	v_mov_b32_e32 v83, v102
	v_mov_b32_e32 v28, v52
	;; [unrolled: 1-line block ×23, first 2 shown]
.LBB433_90:
	s_or_b32 exec_lo, exec_lo, s0
	v_and_b32_e32 v21, 1, v86
	v_and_b32_e32 v18, 1, v82
	;; [unrolled: 1-line block ×4, first 2 shown]
	v_or_b32_e32 v13, v87, v88
	v_or_b32_e32 v15, v84, v85
	;; [unrolled: 1-line block ×4, first 2 shown]
	v_cmp_eq_u32_e64 s14, 1, v21
	v_cmp_eq_u32_e64 s13, 1, v18
	;; [unrolled: 1-line block ×3, first 2 shown]
	v_cmp_eq_u16_e64 s12, 0, v12
	v_and_b32_e32 v17, 1, v12
	v_mbcnt_lo_u32_b32 v11, -1, 0
	s_cmp_lg_u32 s6, 0
	v_cmp_eq_u32_e32 vcc_lo, 1, v20
	s_barrier
	buffer_gl0_inv
	s_cbranch_scc0 .LBB433_148
; %bb.91:
	v_mov_b32_e32 v1, 0
	v_cmp_eq_u32_e64 s16, 1, v17
	v_cmp_eq_u16_sdwa s10, v88, v1 src0_sel:BYTE_0 src1_sel:DWORD
	v_cmp_eq_u16_sdwa s9, v87, v1 src0_sel:BYTE_0 src1_sel:DWORD
	;; [unrolled: 1-line block ×5, first 2 shown]
	v_cndmask_b32_e64 v3, 0, v49, s10
	v_cndmask_b32_e64 v2, 0, v50, s10
	v_cmp_eq_u16_sdwa s4, v82, v1 src0_sel:BYTE_0 src1_sel:DWORD
	v_cmp_eq_u16_sdwa s3, v81, v1 src0_sel:BYTE_0 src1_sel:DWORD
	v_cmp_eq_u16_sdwa s2, v80, v1 src0_sel:BYTE_0 src1_sel:DWORD
	v_add_co_u32 v3, s0, v3, v27
	v_add_co_ci_u32_e64 v2, null, v2, v28, s0
	v_cmp_eq_u16_sdwa s1, v79, v1 src0_sel:BYTE_0 src1_sel:DWORD
	v_cndmask_b32_e64 v3, 0, v3, s9
	v_cmp_ne_u16_sdwa s28, v13, v1 src0_sel:BYTE_0 src1_sel:DWORD
	v_cndmask_b32_e64 v2, 0, v2, s9
	v_cmp_ne_u16_sdwa s29, v15, v1 src0_sel:BYTE_0 src1_sel:DWORD
	v_cmp_ne_u16_sdwa s33, v16, v1 src0_sel:BYTE_0 src1_sel:DWORD
	v_add_co_u32 v3, s0, v3, v47
	v_add_co_ci_u32_e64 v2, null, v2, v48, s0
	v_cmp_ne_u16_sdwa s42, v14, v1 src0_sel:BYTE_0 src1_sel:DWORD
	v_cndmask_b32_e64 v3, 0, v3, s8
	s_or_b32 s14, s28, s14
	v_cndmask_b32_e64 v2, 0, v2, s8
	s_or_b32 s28, s29, s13
	s_or_b32 s15, s33, s15
	v_add_co_u32 v3, s0, v3, v45
	v_add_co_ci_u32_e64 v2, null, v2, v46, s0
	s_or_b32 s16, s42, s16
	v_cndmask_b32_e64 v3, 0, v3, s7
	s_or_b32 s15, s16, s15
	v_cndmask_b32_e64 v2, 0, v2, s7
	s_or_b32 s15, s15, s28
	v_add_co_u32 v3, s0, v3, v43
	v_add_co_ci_u32_e64 v2, null, v2, v44, s0
	v_cndmask_b32_e64 v3, 0, v3, s5
	v_cndmask_b32_e64 v2, 0, v2, s5
	v_add_co_u32 v3, s0, v3, v41
	v_add_co_ci_u32_e64 v2, null, v2, v42, s0
	v_cndmask_b32_e64 v3, 0, v3, s4
	v_cndmask_b32_e64 v2, 0, v2, s4
	;; [unrolled: 4-line block ×5, first 2 shown]
	v_add_co_u32 v3, s0, v3, v31
	v_add_co_ci_u32_e64 v2, null, v2, v32, s0
	v_cmp_eq_u16_sdwa s0, v78, v1 src0_sel:BYTE_0 src1_sel:DWORD
	v_cndmask_b32_e64 v3, 0, v3, s0
	v_cndmask_b32_e64 v2, 0, v2, s0
	v_add_co_u32 v3, s11, v3, v29
	v_add_co_ci_u32_e64 v2, null, v2, v30, s11
	v_cmp_eq_u16_sdwa s11, v77, v1 src0_sel:BYTE_0 src1_sel:DWORD
	v_cndmask_b32_e64 v1, 0, v2, s11
	v_cndmask_b32_e64 v2, 0, v3, s11
	v_add_co_u32 v2, s13, v2, v25
	v_add_co_ci_u32_e64 v1, null, v1, v26, s13
	s_or_b32 s13, s15, s14
	v_cndmask_b32_e64 v3, 0, v2, s12
	s_or_b32 s13, s13, vcc_lo
	v_cndmask_b32_e64 v1, 0, v1, s12
	v_cndmask_b32_e64 v2, 0, 1, s13
	;; [unrolled: 1-line block ×3, first 2 shown]
	v_add_co_u32 v3, vcc_lo, v3, v39
	v_add_co_ci_u32_e64 v4, null, v1, v40, vcc_lo
	v_and_b32_e32 v1, 15, v11
	v_mov_b32_dpp v8, v2 row_shr:1 row_mask:0xf bank_mask:0xf
	v_mov_b32_dpp v6, v3 row_shr:1 row_mask:0xf bank_mask:0xf
	;; [unrolled: 1-line block ×3, first 2 shown]
	s_mov_b32 s12, exec_lo
	v_cmpx_ne_u32_e32 0, v1
	s_cbranch_execz .LBB433_93
; %bb.92:
	v_and_b32_e32 v2, 1, v8
	v_cndmask_b32_e64 v6, v6, 0, s13
	v_cndmask_b32_e64 v7, v7, 0, s13
	v_or_b32_e32 v5, v2, v5
	v_add_co_u32 v3, vcc_lo, v6, v3
	v_add_co_ci_u32_e64 v4, null, v7, v4, vcc_lo
	v_and_b32_e32 v2, 0xffff, v5
.LBB433_93:
	s_or_b32 exec_lo, exec_lo, s12
	v_mov_b32_dpp v6, v3 row_shr:2 row_mask:0xf bank_mask:0xf
	v_mov_b32_dpp v7, v4 row_shr:2 row_mask:0xf bank_mask:0xf
	v_mov_b32_dpp v8, v2 row_shr:2 row_mask:0xf bank_mask:0xf
	s_mov_b32 s14, exec_lo
	v_cmpx_lt_u32_e32 1, v1
	s_cbranch_execz .LBB433_95
; %bb.94:
	v_cmp_eq_u16_e32 vcc_lo, 0, v5
	v_and_b32_e32 v2, 1, v5
	v_and_b32_e32 v5, 1, v8
	v_cndmask_b32_e32 v7, 0, v7, vcc_lo
	v_cndmask_b32_e32 v6, 0, v6, vcc_lo
	v_cmp_eq_u32_e32 vcc_lo, 1, v2
	v_cmp_eq_u32_e64 s12, 1, v5
	v_add_co_u32 v3, s13, v6, v3
	s_or_b32 s12, vcc_lo, s12
	v_add_co_ci_u32_e64 v4, null, v7, v4, s13
	v_cndmask_b32_e64 v5, 0, 1, s12
	v_cndmask_b32_e64 v2, 0, 1, s12
.LBB433_95:
	s_or_b32 exec_lo, exec_lo, s14
	v_mov_b32_dpp v6, v3 row_shr:4 row_mask:0xf bank_mask:0xf
	v_mov_b32_dpp v7, v4 row_shr:4 row_mask:0xf bank_mask:0xf
	v_mov_b32_dpp v8, v2 row_shr:4 row_mask:0xf bank_mask:0xf
	s_mov_b32 s14, exec_lo
	v_cmpx_lt_u32_e32 3, v1
	s_cbranch_execz .LBB433_97
; %bb.96:
	v_cmp_eq_u16_e32 vcc_lo, 0, v5
	v_and_b32_e32 v2, 1, v5
	v_and_b32_e32 v5, 1, v8
	v_cndmask_b32_e32 v7, 0, v7, vcc_lo
	v_cndmask_b32_e32 v6, 0, v6, vcc_lo
	v_cmp_eq_u32_e32 vcc_lo, 1, v2
	v_cmp_eq_u32_e64 s12, 1, v5
	v_add_co_u32 v3, s13, v6, v3
	s_or_b32 s12, vcc_lo, s12
	v_add_co_ci_u32_e64 v4, null, v7, v4, s13
	v_cndmask_b32_e64 v5, 0, 1, s12
	v_cndmask_b32_e64 v2, 0, 1, s12
.LBB433_97:
	s_or_b32 exec_lo, exec_lo, s14
	v_mov_b32_dpp v6, v3 row_shr:8 row_mask:0xf bank_mask:0xf
	v_mov_b32_dpp v7, v4 row_shr:8 row_mask:0xf bank_mask:0xf
	v_mov_b32_dpp v8, v2 row_shr:8 row_mask:0xf bank_mask:0xf
	s_mov_b32 s14, exec_lo
	v_cmpx_lt_u32_e32 7, v1
	s_cbranch_execz .LBB433_99
; %bb.98:
	v_cmp_eq_u16_e32 vcc_lo, 0, v5
	v_and_b32_e32 v1, 1, v5
	v_and_b32_e32 v2, 1, v8
	v_cndmask_b32_e32 v5, 0, v7, vcc_lo
	v_cndmask_b32_e32 v6, 0, v6, vcc_lo
	v_cmp_eq_u32_e32 vcc_lo, 1, v1
	v_cmp_eq_u32_e64 s12, 1, v2
	v_add_co_u32 v3, s13, v6, v3
	s_or_b32 s12, vcc_lo, s12
	v_add_co_ci_u32_e64 v4, null, v5, v4, s13
	v_cndmask_b32_e64 v5, 0, 1, s12
	v_cndmask_b32_e64 v2, 0, 1, s12
.LBB433_99:
	s_or_b32 exec_lo, exec_lo, s14
	ds_swizzle_b32 v1, v3 offset:swizzle(BROADCAST,32,15)
	ds_swizzle_b32 v6, v4 offset:swizzle(BROADCAST,32,15)
	;; [unrolled: 1-line block ×3, first 2 shown]
	v_and_b32_e32 v7, 16, v11
	s_mov_b32 s14, exec_lo
	v_cmpx_ne_u32_e32 0, v7
	s_cbranch_execz .LBB433_101
; %bb.100:
	v_cmp_eq_u16_e32 vcc_lo, 0, v5
	v_and_b32_e32 v5, 1, v5
	s_waitcnt lgkmcnt(0)
	v_and_b32_e32 v2, 1, v2
	v_cndmask_b32_e32 v6, 0, v6, vcc_lo
	v_cndmask_b32_e32 v1, 0, v1, vcc_lo
	v_cmp_eq_u32_e32 vcc_lo, 1, v5
	v_cmp_eq_u32_e64 s12, 1, v2
	v_add_co_u32 v3, s13, v1, v3
	s_or_b32 s12, vcc_lo, s12
	v_add_co_ci_u32_e64 v4, null, v6, v4, s13
	v_cndmask_b32_e64 v5, 0, 1, s12
.LBB433_101:
	s_or_b32 exec_lo, exec_lo, s14
	s_waitcnt lgkmcnt(0)
	v_lshrrev_b32_e32 v2, 5, v0
	v_or_b32_e32 v1, 31, v0
	s_mov_b32 s12, exec_lo
	v_lshlrev_b32_e32 v6, 4, v2
	v_cmpx_eq_u32_e64 v0, v1
	s_cbranch_execz .LBB433_103
; %bb.102:
	ds_write_b64 v6, v[3:4]
	ds_write_b8 v6, v5 offset:8
.LBB433_103:
	s_or_b32 exec_lo, exec_lo, s12
	s_mov_b32 s14, exec_lo
	s_waitcnt lgkmcnt(0)
	s_barrier
	buffer_gl0_inv
	v_cmpx_gt_u32_e32 8, v0
	s_cbranch_execz .LBB433_111
; %bb.104:
	v_lshlrev_b32_e32 v7, 4, v0
	v_and_b32_e32 v8, 7, v11
	s_mov_b32 s12, exec_lo
	ds_read_b64 v[1:2], v7
	ds_read_b32 v23, v7 offset:8
	s_waitcnt lgkmcnt(1)
	v_mov_b32_dpp v24, v1 row_shr:1 row_mask:0xf bank_mask:0xf
	v_mov_b32_dpp v51, v2 row_shr:1 row_mask:0xf bank_mask:0xf
	s_waitcnt lgkmcnt(0)
	v_and_b32_e32 v10, 0xffffff00, v23
	v_mov_b32_dpp v52, v23 row_shr:1 row_mask:0xf bank_mask:0xf
	v_mov_b32_e32 v22, v23
	v_mov_b32_e32 v9, v23
	v_cmpx_ne_u32_e32 0, v8
	s_cbranch_execz .LBB433_106
; %bb.105:
	v_mov_b32_e32 v9, 0
	v_cmp_eq_u16_sdwa vcc_lo, v23, v9 src0_sel:BYTE_0 src1_sel:DWORD
	v_or_b32_e32 v9, v52, v23
	v_cndmask_b32_e32 v24, 0, v24, vcc_lo
	v_cndmask_b32_e32 v23, 0, v51, vcc_lo
	v_and_b32_e32 v22, 1, v9
	v_and_b32_e32 v9, 1, v9
	v_add_co_u32 v1, vcc_lo, v24, v1
	v_add_co_ci_u32_e64 v2, null, v23, v2, vcc_lo
	v_or_b32_e32 v23, v9, v10
.LBB433_106:
	s_or_b32 exec_lo, exec_lo, s12
	v_mov_b32_dpp v24, v1 row_shr:2 row_mask:0xf bank_mask:0xf
	v_mov_b32_dpp v51, v2 row_shr:2 row_mask:0xf bank_mask:0xf
	;; [unrolled: 1-line block ×3, first 2 shown]
	s_mov_b32 s15, exec_lo
	v_cmpx_lt_u32_e32 1, v8
	s_cbranch_execz .LBB433_108
; %bb.107:
	v_mov_b32_e32 v22, 0
	v_and_b32_e32 v23, 1, v9
	v_and_b32_e32 v52, 1, v52
	v_cmp_eq_u16_sdwa vcc_lo, v9, v22 src0_sel:BYTE_0 src1_sel:DWORD
	v_cmp_eq_u32_e64 s12, 1, v23
	v_cmp_eq_u32_e64 s13, 1, v52
	v_cndmask_b32_e32 v23, 0, v24, vcc_lo
	v_cndmask_b32_e32 v9, 0, v51, vcc_lo
	s_or_b32 s12, s12, s13
	v_cndmask_b32_e64 v22, 0, 1, s12
	v_cndmask_b32_e64 v24, 0, 1, s12
	v_add_co_u32 v1, vcc_lo, v23, v1
	v_add_co_ci_u32_e64 v2, null, v9, v2, vcc_lo
	v_or_b32_e32 v23, v10, v24
	v_mov_b32_e32 v9, v22
.LBB433_108:
	s_or_b32 exec_lo, exec_lo, s15
	v_mov_b32_dpp v10, v1 row_shr:4 row_mask:0xf bank_mask:0xf
	v_mov_b32_dpp v24, v2 row_shr:4 row_mask:0xf bank_mask:0xf
	;; [unrolled: 1-line block ×3, first 2 shown]
	s_mov_b32 s15, exec_lo
	v_cmpx_lt_u32_e32 3, v8
	s_cbranch_execz .LBB433_110
; %bb.109:
	v_mov_b32_e32 v8, 0
	v_cmp_eq_u16_sdwa vcc_lo, v9, v8 src0_sel:BYTE_0 src1_sel:DWORD
	v_and_b32_e32 v8, 1, v9
	v_and_b32_e32 v9, 1, v23
	v_cndmask_b32_e32 v22, 0, v24, vcc_lo
	v_cndmask_b32_e32 v10, 0, v10, vcc_lo
	v_cmp_eq_u32_e32 vcc_lo, 1, v8
	v_cmp_eq_u32_e64 s12, 1, v9
	v_add_co_u32 v1, s13, v10, v1
	s_or_b32 s12, vcc_lo, s12
	v_add_co_ci_u32_e64 v2, null, v22, v2, s13
	v_cndmask_b32_e64 v22, 0, 1, s12
.LBB433_110:
	s_or_b32 exec_lo, exec_lo, s15
	ds_write_b64 v7, v[1:2]
	ds_write_b8 v7, v22 offset:8
.LBB433_111:
	s_or_b32 exec_lo, exec_lo, s14
	v_mov_b32_e32 v1, 0
	v_mov_b32_e32 v2, 0
	;; [unrolled: 1-line block ×3, first 2 shown]
	s_mov_b32 s13, exec_lo
	v_cmp_gt_u32_e32 vcc_lo, 32, v0
	s_waitcnt lgkmcnt(0)
	s_barrier
	buffer_gl0_inv
	v_cmpx_lt_u32_e32 31, v0
	s_cbranch_execz .LBB433_113
; %bb.112:
	v_add_nc_u32_e32 v1, -16, v6
	v_add_nc_u32_e32 v6, -8, v6
	v_cmp_eq_u16_e64 s12, 0, v5
	ds_read_b64 v[1:2], v1
	ds_read_u8 v22, v6
	s_waitcnt lgkmcnt(1)
	v_cndmask_b32_e64 v7, 0, v1, s12
	v_cndmask_b32_e64 v6, 0, v2, s12
	s_waitcnt lgkmcnt(0)
	v_or_b32_e32 v5, v22, v5
	v_add_co_u32 v3, s12, v3, v7
	v_add_co_ci_u32_e64 v4, null, v4, v6, s12
.LBB433_113:
	s_or_b32 exec_lo, exec_lo, s13
	v_sub_co_u32 v6, s12, v11, 1
	v_and_b32_e32 v5, 0xff, v5
	v_cmp_gt_i32_e64 s13, 0, v6
	v_cndmask_b32_e64 v6, v6, v11, s13
	v_lshlrev_b32_e32 v6, 2, v6
	ds_bpermute_b32 v24, v6, v3
	ds_bpermute_b32 v23, v6, v4
	;; [unrolled: 1-line block ×3, first 2 shown]
	s_and_saveexec_b32 s15, vcc_lo
	s_cbranch_execz .LBB433_153
; %bb.114:
	v_mov_b32_e32 v7, 0
	ds_read_b64 v[3:4], v7 offset:112
	ds_read_u8 v51, v7 offset:120
	s_and_saveexec_b32 s13, s12
	s_cbranch_execz .LBB433_116
; %bb.115:
	s_add_i32 s28, s6, 32
	s_mov_b32 s29, 0
	v_mov_b32_e32 v5, 1
	s_lshl_b64 s[42:43], s[28:29], 4
	v_mov_b32_e32 v6, s28
	s_add_u32 s42, s20, s42
	s_addc_u32 s43, s21, s43
	s_waitcnt lgkmcnt(1)
	global_store_dwordx2 v7, v[3:4], s[42:43]
	s_waitcnt lgkmcnt(0)
	global_store_byte v7, v51, s[42:43] offset:8
	s_waitcnt_vscnt null, 0x0
	buffer_gl1_inv
	buffer_gl0_inv
	global_store_byte v6, v5, s[24:25]
.LBB433_116:
	s_or_b32 exec_lo, exec_lo, s13
	v_xad_u32 v5, v11, -1, s6
	s_mov_b32 s14, 0
	s_mov_b32 s13, exec_lo
	v_add_nc_u32_e32 v6, 32, v5
	global_load_ubyte v52, v6, s[24:25] glc dlc
	s_waitcnt vmcnt(0)
	v_cmpx_eq_u16_e32 0, v52
	s_cbranch_execz .LBB433_120
; %bb.117:
	v_add_co_u32 v8, s16, s24, v6
	v_add_co_ci_u32_e64 v9, null, s25, 0, s16
.LBB433_118:                            ; =>This Inner Loop Header: Depth=1
	global_load_ubyte v52, v[8:9], off glc dlc
	s_waitcnt vmcnt(0)
	v_cmp_ne_u16_e32 vcc_lo, 0, v52
	s_or_b32 s14, vcc_lo, s14
	s_andn2_b32 exec_lo, exec_lo, s14
	s_cbranch_execnz .LBB433_118
; %bb.119:
	s_or_b32 exec_lo, exec_lo, s14
.LBB433_120:
	s_or_b32 exec_lo, exec_lo, s13
	v_cmp_eq_u16_e32 vcc_lo, 1, v52
	v_mov_b32_e32 v9, s20
	v_mov_b32_e32 v8, s21
	v_lshlrev_b64 v[6:7], 4, v[6:7]
	s_waitcnt lgkmcnt(0)
	s_waitcnt_vscnt null, 0x0
	buffer_gl1_inv
	buffer_gl0_inv
	v_lshlrev_b32_e64 v55, v11, -1
	v_cndmask_b32_e32 v9, s22, v9, vcc_lo
	v_cndmask_b32_e32 v8, s23, v8, vcc_lo
	s_mov_b32 s13, exec_lo
	v_add_co_u32 v6, vcc_lo, v9, v6
	v_add_co_ci_u32_e64 v7, null, v8, v7, vcc_lo
	v_cmp_ne_u32_e32 vcc_lo, 31, v11
	s_clause 0x1
	global_load_ubyte v66, v[6:7], off offset:8
	global_load_dwordx2 v[9:10], v[6:7], off
	v_add_co_ci_u32_e64 v6, null, 0, v11, vcc_lo
	v_cmp_eq_u16_e32 vcc_lo, 2, v52
	v_lshlrev_b32_e32 v54, 2, v6
	v_and_or_b32 v6, vcc_lo, v55, 0x80000000
	v_ffbl_b32_e32 v6, v6
	s_waitcnt vmcnt(1)
	v_and_b32_e32 v7, 1, v66
	s_waitcnt vmcnt(0)
	ds_bpermute_b32 v8, v54, v9
	ds_bpermute_b32 v56, v54, v10
	;; [unrolled: 1-line block ×3, first 2 shown]
	v_cmpx_lt_u32_e64 v11, v6
	s_cbranch_execz .LBB433_122
; %bb.121:
	v_mov_b32_e32 v7, 0
	v_cmp_eq_u16_sdwa vcc_lo, v66, v7 src0_sel:BYTE_0 src1_sel:DWORD
	s_waitcnt lgkmcnt(0)
	v_and_b32_e32 v7, 1, v57
	v_cndmask_b32_e32 v8, 0, v8, vcc_lo
	v_cndmask_b32_e32 v56, 0, v56, vcc_lo
	v_or_b32_e32 v66, v7, v66
	v_add_co_u32 v9, vcc_lo, v8, v9
	v_add_co_ci_u32_e64 v10, null, v56, v10, vcc_lo
	v_and_b32_e32 v7, 0xff, v66
.LBB433_122:
	s_or_b32 exec_lo, exec_lo, s13
	v_cmp_gt_u32_e32 vcc_lo, 30, v11
	s_waitcnt lgkmcnt(0)
	v_add_nc_u32_e32 v57, 2, v11
	s_mov_b32 s16, exec_lo
	v_cndmask_b32_e64 v8, 0, 2, vcc_lo
	v_add_lshl_u32 v56, v8, v11, 2
	ds_bpermute_b32 v8, v56, v9
	ds_bpermute_b32 v58, v56, v10
	ds_bpermute_b32 v59, v56, v7
	v_cmpx_le_u32_e64 v57, v6
	s_cbranch_execz .LBB433_124
; %bb.123:
	v_mov_b32_e32 v7, 0
	v_and_b32_e32 v60, 1, v66
	s_waitcnt lgkmcnt(0)
	v_and_b32_e32 v59, 1, v59
	v_cmp_eq_u16_sdwa vcc_lo, v66, v7 src0_sel:BYTE_0 src1_sel:DWORD
	v_cmp_eq_u32_e64 s13, 1, v60
	v_cmp_eq_u32_e64 s14, 1, v59
	v_cndmask_b32_e32 v8, 0, v8, vcc_lo
	v_cndmask_b32_e32 v7, 0, v58, vcc_lo
	s_or_b32 s13, s13, s14
	v_cndmask_b32_e64 v66, 0, 1, s13
	v_add_co_u32 v9, vcc_lo, v8, v9
	v_add_co_ci_u32_e64 v10, null, v7, v10, vcc_lo
	v_cndmask_b32_e64 v7, 0, 1, s13
.LBB433_124:
	s_or_b32 exec_lo, exec_lo, s16
	v_cmp_gt_u32_e32 vcc_lo, 28, v11
	s_waitcnt lgkmcnt(0)
	v_add_nc_u32_e32 v59, 4, v11
	s_mov_b32 s16, exec_lo
	v_cndmask_b32_e64 v8, 0, 4, vcc_lo
	v_add_lshl_u32 v58, v8, v11, 2
	ds_bpermute_b32 v8, v58, v9
	ds_bpermute_b32 v60, v58, v10
	ds_bpermute_b32 v61, v58, v7
	v_cmpx_le_u32_e64 v59, v6
	s_cbranch_execz .LBB433_126
; %bb.125:
	v_mov_b32_e32 v7, 0
	v_and_b32_e32 v62, 1, v66
	s_waitcnt lgkmcnt(0)
	v_and_b32_e32 v61, 1, v61
	v_cmp_eq_u16_sdwa vcc_lo, v66, v7 src0_sel:BYTE_0 src1_sel:DWORD
	v_cmp_eq_u32_e64 s13, 1, v62
	v_cmp_eq_u32_e64 s14, 1, v61
	v_cndmask_b32_e32 v8, 0, v8, vcc_lo
	v_cndmask_b32_e32 v7, 0, v60, vcc_lo
	s_or_b32 s13, s13, s14
	v_cndmask_b32_e64 v66, 0, 1, s13
	v_add_co_u32 v9, vcc_lo, v8, v9
	v_add_co_ci_u32_e64 v10, null, v7, v10, vcc_lo
	v_cndmask_b32_e64 v7, 0, 1, s13
.LBB433_126:
	;; [unrolled: 28-line block ×3, first 2 shown]
	s_or_b32 exec_lo, exec_lo, s16
	s_waitcnt lgkmcnt(0)
	v_lshl_or_b32 v63, v11, 2, 64
	v_add_nc_u32_e32 v64, 16, v11
	s_mov_b32 s16, exec_lo
	ds_bpermute_b32 v8, v63, v9
	ds_bpermute_b32 v62, v63, v10
	;; [unrolled: 1-line block ×3, first 2 shown]
	v_cmpx_le_u32_e64 v64, v6
	s_cbranch_execz .LBB433_130
; %bb.129:
	v_mov_b32_e32 v6, 0
	s_waitcnt lgkmcnt(0)
	v_and_b32_e32 v7, 1, v7
	v_cmp_eq_u16_sdwa vcc_lo, v66, v6 src0_sel:BYTE_0 src1_sel:DWORD
	v_and_b32_e32 v6, 1, v66
	v_cmp_eq_u32_e64 s13, 1, v7
	v_cndmask_b32_e32 v62, 0, v62, vcc_lo
	v_cndmask_b32_e32 v8, 0, v8, vcc_lo
	v_cmp_eq_u32_e32 vcc_lo, 1, v6
	v_add_co_u32 v9, s14, v8, v9
	s_or_b32 s13, vcc_lo, s13
	v_add_co_ci_u32_e64 v10, null, v62, v10, s14
	v_cndmask_b32_e64 v66, 0, 1, s13
.LBB433_130:
	s_or_b32 exec_lo, exec_lo, s16
	v_mov_b32_e32 v6, 0
	v_mov_b32_e32 v65, 2
	s_branch .LBB433_133
.LBB433_131:                            ;   in Loop: Header=BB433_133 Depth=1
	s_or_b32 exec_lo, exec_lo, s28
	v_cmp_eq_u16_sdwa vcc_lo, v62, v6 src0_sel:BYTE_0 src1_sel:DWORD
	v_and_b32_e32 v66, 1, v62
	v_subrev_nc_u32_e32 v5, 32, v5
	v_cndmask_b32_e32 v9, 0, v9, vcc_lo
	v_cndmask_b32_e32 v10, 0, v10, vcc_lo
	v_cmp_eq_u32_e32 vcc_lo, 1, v66
	v_add_co_u32 v9, s13, v9, v7
	v_add_co_ci_u32_e64 v10, null, v10, v8, s13
	s_or_b32 s13, vcc_lo, s16
	v_cndmask_b32_e64 v66, 0, 1, s13
	s_mov_b32 s13, 0
.LBB433_132:                            ;   in Loop: Header=BB433_133 Depth=1
	s_and_b32 vcc_lo, exec_lo, s13
	s_cbranch_vccnz .LBB433_149
.LBB433_133:                            ; =>This Loop Header: Depth=1
                                        ;     Child Loop BB433_136 Depth 2
	v_cmp_ne_u16_sdwa s13, v52, v65 src0_sel:BYTE_0 src1_sel:DWORD
	s_waitcnt lgkmcnt(0)
	v_mov_b32_e32 v7, v9
	v_mov_b32_e32 v62, v66
	;; [unrolled: 1-line block ×3, first 2 shown]
                                        ; implicit-def: $vgpr66
                                        ; implicit-def: $vgpr9_vgpr10
                                        ; implicit-def: $vgpr52
	s_cmp_lg_u32 s13, exec_lo
	s_mov_b32 s13, -1
	s_cbranch_scc1 .LBB433_132
; %bb.134:                              ;   in Loop: Header=BB433_133 Depth=1
	global_load_ubyte v52, v5, s[24:25] glc dlc
	s_mov_b32 s13, exec_lo
	s_waitcnt vmcnt(0)
	v_cmpx_eq_u16_e32 0, v52
	s_cbranch_execz .LBB433_138
; %bb.135:                              ;   in Loop: Header=BB433_133 Depth=1
	v_add_co_u32 v9, s14, s24, v5
	v_add_co_ci_u32_e64 v10, null, s25, 0, s14
	s_mov_b32 s14, 0
.LBB433_136:                            ;   Parent Loop BB433_133 Depth=1
                                        ; =>  This Inner Loop Header: Depth=2
	global_load_ubyte v52, v[9:10], off glc dlc
	s_waitcnt vmcnt(0)
	v_cmp_ne_u16_e32 vcc_lo, 0, v52
	s_or_b32 s14, vcc_lo, s14
	s_andn2_b32 exec_lo, exec_lo, s14
	s_cbranch_execnz .LBB433_136
; %bb.137:                              ;   in Loop: Header=BB433_133 Depth=1
	s_or_b32 exec_lo, exec_lo, s14
.LBB433_138:                            ;   in Loop: Header=BB433_133 Depth=1
	s_or_b32 exec_lo, exec_lo, s13
	v_cmp_eq_u16_e32 vcc_lo, 1, v52
	v_mov_b32_e32 v67, s20
	v_mov_b32_e32 v66, s21
	v_lshlrev_b64 v[9:10], 4, v[5:6]
	buffer_gl1_inv
	buffer_gl0_inv
	s_mov_b32 s13, exec_lo
	v_cndmask_b32_e32 v67, s22, v67, vcc_lo
	v_cndmask_b32_e32 v66, s23, v66, vcc_lo
	v_add_co_u32 v9, vcc_lo, v67, v9
	v_add_co_ci_u32_e64 v10, null, v66, v10, vcc_lo
	v_cmp_eq_u16_e32 vcc_lo, 2, v52
	s_clause 0x1
	global_load_ubyte v67, v[9:10], off offset:8
	global_load_dwordx2 v[9:10], v[9:10], off
	v_and_or_b32 v66, vcc_lo, v55, 0x80000000
	v_ffbl_b32_e32 v66, v66
	s_waitcnt vmcnt(1)
	v_and_b32_e32 v68, 1, v67
	s_waitcnt vmcnt(0)
	ds_bpermute_b32 v69, v54, v9
	ds_bpermute_b32 v70, v54, v10
	;; [unrolled: 1-line block ×3, first 2 shown]
	v_cmpx_lt_u32_e64 v11, v66
	s_cbranch_execz .LBB433_140
; %bb.139:                              ;   in Loop: Header=BB433_133 Depth=1
	v_cmp_eq_u16_sdwa vcc_lo, v67, v6 src0_sel:BYTE_0 src1_sel:DWORD
	s_waitcnt lgkmcnt(0)
	v_and_b32_e32 v68, 1, v71
	v_cndmask_b32_e32 v69, 0, v69, vcc_lo
	v_cndmask_b32_e32 v70, 0, v70, vcc_lo
	v_or_b32_e32 v67, v68, v67
	v_add_co_u32 v9, vcc_lo, v69, v9
	v_add_co_ci_u32_e64 v10, null, v70, v10, vcc_lo
	v_and_b32_e32 v68, 0xff, v67
.LBB433_140:                            ;   in Loop: Header=BB433_133 Depth=1
	s_or_b32 exec_lo, exec_lo, s13
	s_waitcnt lgkmcnt(2)
	ds_bpermute_b32 v69, v56, v9
	s_waitcnt lgkmcnt(2)
	ds_bpermute_b32 v70, v56, v10
	;; [unrolled: 2-line block ×3, first 2 shown]
	v_and_b32_e32 v72, 1, v67
	s_mov_b32 s14, exec_lo
	v_cmp_eq_u32_e64 s16, 1, v72
	v_cmpx_le_u32_e64 v57, v66
	s_cbranch_execz .LBB433_142
; %bb.141:                              ;   in Loop: Header=BB433_133 Depth=1
	v_cmp_eq_u16_sdwa vcc_lo, v67, v6 src0_sel:BYTE_0 src1_sel:DWORD
	s_waitcnt lgkmcnt(0)
	v_and_b32_e32 v67, 1, v71
	v_cndmask_b32_e32 v69, 0, v69, vcc_lo
	v_cndmask_b32_e32 v68, 0, v70, vcc_lo
	v_cmp_eq_u32_e32 vcc_lo, 1, v67
	v_add_co_u32 v9, s13, v69, v9
	v_add_co_ci_u32_e64 v10, null, v68, v10, s13
	s_or_b32 s13, s16, vcc_lo
	s_andn2_b32 s16, s16, exec_lo
	v_cndmask_b32_e64 v67, 0, 1, s13
	v_cndmask_b32_e64 v68, 0, 1, s13
	s_and_b32 s13, s13, exec_lo
	s_or_b32 s16, s16, s13
.LBB433_142:                            ;   in Loop: Header=BB433_133 Depth=1
	s_or_b32 exec_lo, exec_lo, s14
	s_waitcnt lgkmcnt(2)
	ds_bpermute_b32 v69, v58, v9
	s_waitcnt lgkmcnt(2)
	ds_bpermute_b32 v70, v58, v10
	;; [unrolled: 2-line block ×3, first 2 shown]
	s_mov_b32 s28, exec_lo
	v_cmpx_le_u32_e64 v59, v66
	s_cbranch_execz .LBB433_144
; %bb.143:                              ;   in Loop: Header=BB433_133 Depth=1
	v_cmp_eq_u16_sdwa vcc_lo, v67, v6 src0_sel:BYTE_0 src1_sel:DWORD
	v_and_b32_e32 v67, 1, v67
	s_waitcnt lgkmcnt(0)
	v_and_b32_e32 v68, 1, v71
	v_cndmask_b32_e32 v70, 0, v70, vcc_lo
	v_cndmask_b32_e32 v69, 0, v69, vcc_lo
	v_cmp_eq_u32_e32 vcc_lo, 1, v67
	v_cmp_eq_u32_e64 s13, 1, v68
	v_add_co_u32 v9, s14, v69, v9
	s_or_b32 s13, vcc_lo, s13
	v_add_co_ci_u32_e64 v10, null, v70, v10, s14
	v_cndmask_b32_e64 v67, 0, 1, s13
	v_cndmask_b32_e64 v68, 0, 1, s13
	s_andn2_b32 s14, s16, exec_lo
	s_and_b32 s13, s13, exec_lo
	s_or_b32 s16, s14, s13
.LBB433_144:                            ;   in Loop: Header=BB433_133 Depth=1
	s_or_b32 exec_lo, exec_lo, s28
	s_waitcnt lgkmcnt(2)
	ds_bpermute_b32 v69, v60, v9
	s_waitcnt lgkmcnt(2)
	ds_bpermute_b32 v70, v60, v10
	s_waitcnt lgkmcnt(2)
	ds_bpermute_b32 v71, v60, v68
	s_mov_b32 s28, exec_lo
	v_cmpx_le_u32_e64 v61, v66
	s_cbranch_execz .LBB433_146
; %bb.145:                              ;   in Loop: Header=BB433_133 Depth=1
	v_cmp_eq_u16_sdwa vcc_lo, v67, v6 src0_sel:BYTE_0 src1_sel:DWORD
	v_and_b32_e32 v67, 1, v67
	s_waitcnt lgkmcnt(0)
	v_and_b32_e32 v68, 1, v71
	v_cndmask_b32_e32 v70, 0, v70, vcc_lo
	v_cndmask_b32_e32 v69, 0, v69, vcc_lo
	v_cmp_eq_u32_e32 vcc_lo, 1, v67
	v_cmp_eq_u32_e64 s13, 1, v68
	v_add_co_u32 v9, s14, v69, v9
	s_or_b32 s13, vcc_lo, s13
	v_add_co_ci_u32_e64 v10, null, v70, v10, s14
	v_cndmask_b32_e64 v67, 0, 1, s13
	v_cndmask_b32_e64 v68, 0, 1, s13
	s_andn2_b32 s14, s16, exec_lo
	s_and_b32 s13, s13, exec_lo
	s_or_b32 s16, s14, s13
.LBB433_146:                            ;   in Loop: Header=BB433_133 Depth=1
	s_or_b32 exec_lo, exec_lo, s28
	s_waitcnt lgkmcnt(2)
	ds_bpermute_b32 v69, v63, v9
	s_waitcnt lgkmcnt(2)
	ds_bpermute_b32 v70, v63, v10
	ds_bpermute_b32 v68, v63, v68
	s_mov_b32 s28, exec_lo
	v_cmpx_le_u32_e64 v64, v66
	s_cbranch_execz .LBB433_131
; %bb.147:                              ;   in Loop: Header=BB433_133 Depth=1
	v_cmp_eq_u16_sdwa vcc_lo, v67, v6 src0_sel:BYTE_0 src1_sel:DWORD
	v_and_b32_e32 v66, 1, v67
	s_waitcnt lgkmcnt(0)
	v_and_b32_e32 v67, 1, v68
	v_cndmask_b32_e32 v69, 0, v69, vcc_lo
	v_cndmask_b32_e32 v68, 0, v70, vcc_lo
	v_cmp_eq_u32_e32 vcc_lo, 1, v66
	v_cmp_eq_u32_e64 s13, 1, v67
	v_add_co_u32 v9, s14, v69, v9
	v_add_co_ci_u32_e64 v10, null, v68, v10, s14
	s_or_b32 s13, vcc_lo, s13
	s_andn2_b32 s14, s16, exec_lo
	s_and_b32 s13, s13, exec_lo
	s_or_b32 s16, s14, s13
	s_branch .LBB433_131
.LBB433_148:
                                        ; implicit-def: $vgpr51_vgpr52
                                        ; implicit-def: $vgpr3_vgpr4
                                        ; implicit-def: $vgpr73_vgpr74
                                        ; implicit-def: $vgpr69_vgpr70
                                        ; implicit-def: $vgpr65_vgpr66
                                        ; implicit-def: $vgpr59_vgpr60
                                        ; implicit-def: $vgpr61_vgpr62
                                        ; implicit-def: $vgpr71_vgpr72
                                        ; implicit-def: $vgpr67_vgpr68
                                        ; implicit-def: $vgpr63_vgpr64
                                        ; implicit-def: $vgpr57_vgpr58
                                        ; implicit-def: $vgpr55_vgpr56
                                        ; implicit-def: $vgpr53_vgpr54
	s_cbranch_execnz .LBB433_156
	s_branch .LBB433_183
.LBB433_149:
	s_and_saveexec_b32 s13, s12
	s_cbranch_execz .LBB433_151
; %bb.150:
	v_mov_b32_e32 v5, 0
	v_or_b32_e32 v6, v51, v62
	s_mov_b32 s21, 0
	s_add_i32 s20, s6, 32
	v_mov_b32_e32 v9, 2
	v_cmp_eq_u32_sdwa vcc_lo, v51, v5 src0_sel:BYTE_0 src1_sel:DWORD
	s_lshl_b64 s[28:29], s[20:21], 4
	v_mov_b32_e32 v52, s20
	v_and_b32_e32 v6, 1, v6
	s_add_u32 s20, s22, s28
	v_cndmask_b32_e32 v51, 0, v7, vcc_lo
	v_cndmask_b32_e32 v10, 0, v8, vcc_lo
	s_addc_u32 s21, s23, s29
	v_add_co_u32 v3, vcc_lo, v51, v3
	v_add_co_ci_u32_e64 v4, null, v10, v4, vcc_lo
	global_store_byte v5, v6, s[20:21] offset:8
	global_store_dwordx2 v5, v[3:4], s[20:21]
	s_waitcnt lgkmcnt(0)
	s_waitcnt_vscnt null, 0x0
	buffer_gl1_inv
	buffer_gl0_inv
	global_store_byte v52, v9, s[24:25]
.LBB433_151:
	s_or_b32 exec_lo, exec_lo, s13
	v_cmp_eq_u32_e32 vcc_lo, 0, v0
	s_and_b32 exec_lo, exec_lo, vcc_lo
	s_cbranch_execz .LBB433_153
; %bb.152:
	v_mov_b32_e32 v3, 0
	ds_write_b64 v3, v[7:8] offset:112
	ds_write_b8 v3, v62 offset:120
.LBB433_153:
	s_or_b32 exec_lo, exec_lo, s15
	v_mov_b32_e32 v3, 0
	s_waitcnt lgkmcnt(0)
	s_waitcnt_vscnt null, 0x0
	s_barrier
	buffer_gl0_inv
	s_mov_b32 s6, 0
	ds_read_b64 v[51:52], v3 offset:112
	s_mov_b32 s13, exec_lo
	v_cmpx_ne_u32_e32 0, v0
	s_cbranch_execz .LBB433_155
; %bb.154:
	v_cndmask_b32_e64 v4, v53, v22, s12
	v_cndmask_b32_e64 v1, v24, v1, s12
	;; [unrolled: 1-line block ×3, first 2 shown]
	v_cmp_eq_u16_sdwa vcc_lo, v4, v3 src0_sel:BYTE_0 src1_sel:DWORD
	s_waitcnt lgkmcnt(0)
	v_cndmask_b32_e32 v5, 0, v51, vcc_lo
	v_cndmask_b32_e32 v4, 0, v52, vcc_lo
	v_add_co_u32 v51, vcc_lo, v1, v5
	v_add_co_ci_u32_e64 v52, null, v2, v4, vcc_lo
.LBB433_155:
	s_or_b32 exec_lo, exec_lo, s13
	v_cmp_eq_u16_sdwa vcc_lo, v83, v3 src0_sel:BYTE_0 src1_sel:DWORD
	s_waitcnt lgkmcnt(0)
	v_cndmask_b32_e32 v2, 0, v51, vcc_lo
	v_cndmask_b32_e32 v1, 0, v52, vcc_lo
	v_add_co_u32 v53, vcc_lo, v2, v49
	v_add_co_ci_u32_e64 v54, null, v1, v50, vcc_lo
	v_cndmask_b32_e64 v1, 0, v53, s10
	v_cndmask_b32_e64 v2, 0, v54, s10
	v_add_co_u32 v55, vcc_lo, v1, v27
	v_add_co_ci_u32_e64 v56, null, v2, v28, vcc_lo
	v_cndmask_b32_e64 v1, 0, v55, s9
	v_cndmask_b32_e64 v2, 0, v56, s9
	;; [unrolled: 4-line block ×11, first 2 shown]
	s_and_b32 vcc_lo, exec_lo, s6
	s_cbranch_vccz .LBB433_183
.LBB433_156:
	s_cmp_eq_u64 s[38:39], 0
	v_mov_b32_e32 v1, s40
	s_cselect_b32 s0, -1, 0
	s_cmp_eq_u64 s[30:31], 0
	v_mov_b32_e32 v2, s41
	s_cselect_b32 s1, -1, 0
	s_or_b32 s0, s0, s1
	s_and_b32 vcc_lo, exec_lo, s0
	s_cbranch_vccnz .LBB433_158
; %bb.157:
	v_mov_b32_e32 v1, 0
	global_load_dwordx2 v[1:2], v1, s[30:31]
.LBB433_158:
	v_mov_b32_e32 v3, 0
	v_cmp_eq_u32_e64 s11, 1, v21
	v_cmp_eq_u32_e64 s13, 1, v19
	;; [unrolled: 1-line block ×4, first 2 shown]
	v_cmp_eq_u16_sdwa s8, v88, v3 src0_sel:BYTE_0 src1_sel:DWORD
	v_cmp_eq_u16_sdwa s7, v87, v3 src0_sel:BYTE_0 src1_sel:DWORD
	;; [unrolled: 1-line block ×5, first 2 shown]
	v_cndmask_b32_e64 v5, 0, v49, s8
	v_cndmask_b32_e64 v4, 0, v50, s8
	v_cmp_eq_u16_sdwa s2, v82, v3 src0_sel:BYTE_0 src1_sel:DWORD
	v_cmp_eq_u16_sdwa s3, v81, v3 src0_sel:BYTE_0 src1_sel:DWORD
	v_cmp_eq_u16_sdwa s0, v80, v3 src0_sel:BYTE_0 src1_sel:DWORD
	v_add_co_u32 v5, vcc_lo, v5, v27
	v_add_co_ci_u32_e64 v4, null, v4, v28, vcc_lo
	v_cmp_ne_u16_sdwa s15, v13, v3 src0_sel:BYTE_0 src1_sel:DWORD
	v_cndmask_b32_e64 v5, 0, v5, s7
	v_cmp_ne_u16_sdwa s20, v16, v3 src0_sel:BYTE_0 src1_sel:DWORD
	v_cndmask_b32_e64 v4, 0, v4, s7
	v_cmp_ne_u16_sdwa s21, v14, v3 src0_sel:BYTE_0 src1_sel:DWORD
	v_cmp_ne_u16_sdwa s16, v15, v3 src0_sel:BYTE_0 src1_sel:DWORD
	v_add_co_u32 v5, vcc_lo, v5, v47
	v_add_co_ci_u32_e64 v4, null, v4, v48, vcc_lo
	s_or_b32 s15, s15, s11
	v_cndmask_b32_e64 v5, 0, v5, s5
	s_or_b32 s11, s20, s13
	v_cndmask_b32_e64 v4, 0, v4, s5
	s_or_b32 s13, s21, s14
	s_or_b32 s12, s16, s12
	v_add_co_u32 v5, vcc_lo, v5, v45
	v_add_co_ci_u32_e64 v4, null, v4, v46, vcc_lo
	s_or_b32 s13, s13, s11
	v_cndmask_b32_e64 v5, 0, v5, s6
	v_cmp_eq_u32_e64 s10, 1, v20
	v_cndmask_b32_e64 v4, 0, v4, s6
	s_or_b32 s12, s13, s12
	s_or_b32 s12, s12, s15
	v_add_co_u32 v5, vcc_lo, v5, v43
	v_add_co_ci_u32_e64 v4, null, v4, v44, vcc_lo
	v_cndmask_b32_e64 v5, 0, v5, s4
	v_cndmask_b32_e64 v4, 0, v4, s4
	v_add_co_u32 v5, vcc_lo, v5, v41
	v_add_co_ci_u32_e64 v4, null, v4, v42, vcc_lo
	v_cndmask_b32_e64 v5, 0, v5, s2
	v_cndmask_b32_e64 v4, 0, v4, s2
	;; [unrolled: 4-line block ×4, first 2 shown]
	v_add_co_u32 v5, vcc_lo, v5, v33
	v_add_co_ci_u32_e64 v4, null, v4, v34, vcc_lo
	v_cmp_eq_u16_sdwa vcc_lo, v79, v3 src0_sel:BYTE_0 src1_sel:DWORD
	v_cndmask_b32_e32 v5, 0, v5, vcc_lo
	v_cndmask_b32_e32 v4, 0, v4, vcc_lo
	v_add_co_u32 v5, s1, v5, v31
	v_add_co_ci_u32_e64 v4, null, v4, v32, s1
	v_cmp_eq_u16_sdwa s1, v78, v3 src0_sel:BYTE_0 src1_sel:DWORD
	v_cndmask_b32_e64 v5, 0, v5, s1
	v_cndmask_b32_e64 v4, 0, v4, s1
	v_add_co_u32 v5, s9, v5, v29
	v_add_co_ci_u32_e64 v4, null, v4, v30, s9
	v_cmp_eq_u16_sdwa s9, v77, v3 src0_sel:BYTE_0 src1_sel:DWORD
	v_cndmask_b32_e64 v3, 0, v4, s9
	v_cndmask_b32_e64 v4, 0, v5, s9
	v_add_co_u32 v4, s11, v4, v25
	v_add_co_ci_u32_e64 v3, null, v3, v26, s11
	v_cmp_eq_u16_e64 s11, 0, v12
	v_cndmask_b32_e64 v5, 0, v3, s11
	v_cndmask_b32_e64 v3, 0, v4, s11
	s_or_b32 s11, s12, s10
	s_mov_b32 s12, exec_lo
	v_cndmask_b32_e64 v6, 0, 1, s11
	v_cndmask_b32_e64 v7, 0, 1, s11
	v_add_co_u32 v3, s10, v3, v39
	v_add_co_ci_u32_e64 v4, null, v5, v40, s10
	v_and_b32_e32 v5, 15, v11
	v_mov_b32_dpp v10, v6 row_shr:1 row_mask:0xf bank_mask:0xf
	v_mov_b32_dpp v8, v3 row_shr:1 row_mask:0xf bank_mask:0xf
	;; [unrolled: 1-line block ×3, first 2 shown]
	v_cmpx_ne_u32_e32 0, v5
	s_cbranch_execz .LBB433_160
; %bb.159:
	v_and_b32_e32 v6, 1, v10
	v_cndmask_b32_e64 v8, v8, 0, s11
	v_cndmask_b32_e64 v9, v9, 0, s11
	v_or_b32_e32 v7, v6, v7
	v_add_co_u32 v3, s10, v8, v3
	v_add_co_ci_u32_e64 v4, null, v9, v4, s10
	v_and_b32_e32 v6, 0xffff, v7
.LBB433_160:
	s_or_b32 exec_lo, exec_lo, s12
	v_mov_b32_dpp v8, v3 row_shr:2 row_mask:0xf bank_mask:0xf
	v_mov_b32_dpp v9, v4 row_shr:2 row_mask:0xf bank_mask:0xf
	v_mov_b32_dpp v10, v6 row_shr:2 row_mask:0xf bank_mask:0xf
	s_mov_b32 s13, exec_lo
	v_cmpx_lt_u32_e32 1, v5
	s_cbranch_execz .LBB433_162
; %bb.161:
	v_cmp_eq_u16_e64 s10, 0, v7
	v_and_b32_e32 v6, 1, v7
	v_and_b32_e32 v7, 1, v10
	v_cndmask_b32_e64 v9, 0, v9, s10
	v_cndmask_b32_e64 v8, 0, v8, s10
	v_cmp_eq_u32_e64 s10, 1, v6
	v_cmp_eq_u32_e64 s11, 1, v7
	v_add_co_u32 v3, s12, v8, v3
	s_or_b32 s10, s10, s11
	v_add_co_ci_u32_e64 v4, null, v9, v4, s12
	v_cndmask_b32_e64 v7, 0, 1, s10
	v_cndmask_b32_e64 v6, 0, 1, s10
.LBB433_162:
	s_or_b32 exec_lo, exec_lo, s13
	v_mov_b32_dpp v8, v3 row_shr:4 row_mask:0xf bank_mask:0xf
	v_mov_b32_dpp v9, v4 row_shr:4 row_mask:0xf bank_mask:0xf
	v_mov_b32_dpp v10, v6 row_shr:4 row_mask:0xf bank_mask:0xf
	s_mov_b32 s13, exec_lo
	v_cmpx_lt_u32_e32 3, v5
	s_cbranch_execz .LBB433_164
; %bb.163:
	v_cmp_eq_u16_e64 s10, 0, v7
	v_and_b32_e32 v6, 1, v7
	v_and_b32_e32 v7, 1, v10
	v_cndmask_b32_e64 v9, 0, v9, s10
	v_cndmask_b32_e64 v8, 0, v8, s10
	v_cmp_eq_u32_e64 s10, 1, v6
	v_cmp_eq_u32_e64 s11, 1, v7
	v_add_co_u32 v3, s12, v8, v3
	s_or_b32 s10, s10, s11
	v_add_co_ci_u32_e64 v4, null, v9, v4, s12
	v_cndmask_b32_e64 v7, 0, 1, s10
	v_cndmask_b32_e64 v6, 0, 1, s10
.LBB433_164:
	;; [unrolled: 21-line block ×3, first 2 shown]
	s_or_b32 exec_lo, exec_lo, s13
	ds_swizzle_b32 v5, v3 offset:swizzle(BROADCAST,32,15)
	ds_swizzle_b32 v8, v4 offset:swizzle(BROADCAST,32,15)
	;; [unrolled: 1-line block ×3, first 2 shown]
	v_and_b32_e32 v9, 16, v11
	s_mov_b32 s13, exec_lo
	v_cmpx_ne_u32_e32 0, v9
	s_cbranch_execz .LBB433_168
; %bb.167:
	v_cmp_eq_u16_e64 s10, 0, v7
	v_and_b32_e32 v7, 1, v7
	s_waitcnt lgkmcnt(0)
	v_and_b32_e32 v6, 1, v6
	v_cndmask_b32_e64 v8, 0, v8, s10
	v_cndmask_b32_e64 v5, 0, v5, s10
	v_cmp_eq_u32_e64 s10, 1, v7
	v_cmp_eq_u32_e64 s11, 1, v6
	v_add_co_u32 v3, s12, v5, v3
	s_or_b32 s10, s10, s11
	v_add_co_ci_u32_e64 v4, null, v8, v4, s12
	v_cndmask_b32_e64 v7, 0, 1, s10
.LBB433_168:
	s_or_b32 exec_lo, exec_lo, s13
	s_waitcnt lgkmcnt(0)
	v_lshrrev_b32_e32 v6, 5, v0
	v_or_b32_e32 v5, 31, v0
	s_mov_b32 s11, exec_lo
	v_lshlrev_b32_e32 v8, 4, v6
	v_cmpx_eq_u32_e64 v0, v5
	s_cbranch_execz .LBB433_170
; %bb.169:
	ds_write_b64 v8, v[3:4]
	ds_write_b8 v8, v7 offset:8
.LBB433_170:
	s_or_b32 exec_lo, exec_lo, s11
	s_mov_b32 s13, exec_lo
	s_waitcnt vmcnt(0) lgkmcnt(0)
	s_barrier
	buffer_gl0_inv
	v_cmpx_gt_u32_e32 8, v0
	s_cbranch_execz .LBB433_178
; %bb.171:
	v_lshlrev_b32_e32 v9, 4, v0
	v_and_b32_e32 v10, 7, v11
	s_mov_b32 s11, exec_lo
	ds_read_b64 v[5:6], v9
	ds_read_b32 v15, v9 offset:8
	s_waitcnt lgkmcnt(1)
	v_mov_b32_dpp v16, v5 row_shr:1 row_mask:0xf bank_mask:0xf
	v_mov_b32_dpp v17, v6 row_shr:1 row_mask:0xf bank_mask:0xf
	s_waitcnt lgkmcnt(0)
	v_and_b32_e32 v13, 0xffffff00, v15
	v_mov_b32_dpp v18, v15 row_shr:1 row_mask:0xf bank_mask:0xf
	v_mov_b32_e32 v14, v15
	v_mov_b32_e32 v12, v15
	v_cmpx_ne_u32_e32 0, v10
	s_cbranch_execz .LBB433_173
; %bb.172:
	v_mov_b32_e32 v12, 0
	v_cmp_eq_u16_sdwa s10, v15, v12 src0_sel:BYTE_0 src1_sel:DWORD
	v_or_b32_e32 v12, v18, v15
	v_cndmask_b32_e64 v16, 0, v16, s10
	v_cndmask_b32_e64 v15, 0, v17, s10
	v_and_b32_e32 v14, 1, v12
	v_and_b32_e32 v12, 1, v12
	v_add_co_u32 v5, s10, v16, v5
	v_add_co_ci_u32_e64 v6, null, v15, v6, s10
	v_or_b32_e32 v15, v12, v13
.LBB433_173:
	s_or_b32 exec_lo, exec_lo, s11
	v_mov_b32_dpp v16, v5 row_shr:2 row_mask:0xf bank_mask:0xf
	v_mov_b32_dpp v17, v6 row_shr:2 row_mask:0xf bank_mask:0xf
	;; [unrolled: 1-line block ×3, first 2 shown]
	s_mov_b32 s14, exec_lo
	v_cmpx_lt_u32_e32 1, v10
	s_cbranch_execz .LBB433_175
; %bb.174:
	v_mov_b32_e32 v14, 0
	v_and_b32_e32 v15, 1, v12
	v_and_b32_e32 v18, 1, v18
	v_cmp_eq_u16_sdwa s10, v12, v14 src0_sel:BYTE_0 src1_sel:DWORD
	v_cmp_eq_u32_e64 s11, 1, v15
	v_cmp_eq_u32_e64 s12, 1, v18
	v_cndmask_b32_e64 v12, 0, v17, s10
	v_cndmask_b32_e64 v15, 0, v16, s10
	s_or_b32 s10, s11, s12
	v_cndmask_b32_e64 v14, 0, 1, s10
	v_cndmask_b32_e64 v16, 0, 1, s10
	v_add_co_u32 v5, s10, v15, v5
	v_add_co_ci_u32_e64 v6, null, v12, v6, s10
	v_or_b32_e32 v15, v13, v16
	v_mov_b32_e32 v12, v14
.LBB433_175:
	s_or_b32 exec_lo, exec_lo, s14
	v_mov_b32_dpp v13, v5 row_shr:4 row_mask:0xf bank_mask:0xf
	v_mov_b32_dpp v16, v6 row_shr:4 row_mask:0xf bank_mask:0xf
	;; [unrolled: 1-line block ×3, first 2 shown]
	s_mov_b32 s14, exec_lo
	v_cmpx_lt_u32_e32 3, v10
	s_cbranch_execz .LBB433_177
; %bb.176:
	v_mov_b32_e32 v10, 0
	v_cmp_eq_u16_sdwa s10, v12, v10 src0_sel:BYTE_0 src1_sel:DWORD
	v_and_b32_e32 v10, 1, v12
	v_and_b32_e32 v12, 1, v15
	v_cndmask_b32_e64 v14, 0, v16, s10
	v_cndmask_b32_e64 v13, 0, v13, s10
	v_cmp_eq_u32_e64 s10, 1, v10
	v_cmp_eq_u32_e64 s11, 1, v12
	v_add_co_u32 v5, s12, v13, v5
	s_or_b32 s10, s10, s11
	v_add_co_ci_u32_e64 v6, null, v14, v6, s12
	v_cndmask_b32_e64 v14, 0, 1, s10
.LBB433_177:
	s_or_b32 exec_lo, exec_lo, s14
	ds_write_b64 v9, v[5:6]
	ds_write_b8 v9, v14 offset:8
.LBB433_178:
	s_or_b32 exec_lo, exec_lo, s13
	v_mov_b32_e32 v6, v2
	v_mov_b32_e32 v5, v1
	s_mov_b32 s11, exec_lo
	s_waitcnt lgkmcnt(0)
	s_barrier
	buffer_gl0_inv
	v_cmpx_lt_u32_e32 31, v0
	s_cbranch_execz .LBB433_180
; %bb.179:
	v_add_nc_u32_e32 v5, -8, v8
	ds_read_u8 v9, v5
	v_add_nc_u32_e32 v5, -16, v8
	ds_read_b64 v[5:6], v5
	s_waitcnt lgkmcnt(1)
	v_cmp_eq_u16_e64 s10, 0, v9
	v_cndmask_b32_e64 v9, 0, v1, s10
	v_cndmask_b32_e64 v8, 0, v2, s10
	s_waitcnt lgkmcnt(0)
	v_add_co_u32 v5, s10, v9, v5
	v_add_co_ci_u32_e64 v6, null, v8, v6, s10
.LBB433_180:
	s_or_b32 exec_lo, exec_lo, s11
	v_cmp_eq_u16_e64 s10, 0, v7
	v_sub_co_u32 v7, s11, v11, 1
	v_cndmask_b32_e64 v8, 0, v6, s10
	v_cndmask_b32_e64 v9, 0, v5, s10
	v_cmp_gt_i32_e64 s10, 0, v7
	v_cndmask_b32_e64 v7, v7, v11, s10
	v_add_co_u32 v3, s10, v9, v3
	v_add_co_ci_u32_e64 v4, null, v8, v4, s10
	v_lshlrev_b32_e32 v7, 2, v7
	v_cmp_eq_u32_e64 s10, 0, v0
	ds_bpermute_b32 v3, v7, v3
	ds_bpermute_b32 v4, v7, v4
	s_waitcnt lgkmcnt(1)
	v_cndmask_b32_e64 v51, v3, v5, s11
	v_mov_b32_e32 v5, 0
	s_waitcnt lgkmcnt(0)
	v_cndmask_b32_e64 v52, v4, v6, s11
	v_cndmask_b32_e64 v3, v51, v1, s10
	v_cmp_eq_u16_sdwa s11, v83, v5 src0_sel:BYTE_0 src1_sel:DWORD
	v_cndmask_b32_e64 v4, v52, v2, s10
	v_cndmask_b32_e64 v3, 0, v3, s11
	;; [unrolled: 1-line block ×3, first 2 shown]
	v_add_co_u32 v53, s11, v3, v49
	v_add_co_ci_u32_e64 v54, null, v4, v50, s11
	v_cndmask_b32_e64 v3, 0, v53, s8
	v_cndmask_b32_e64 v4, 0, v54, s8
	v_add_co_u32 v55, s8, v3, v27
	v_add_co_ci_u32_e64 v56, null, v4, v28, s8
	v_cndmask_b32_e64 v3, 0, v55, s7
	v_cndmask_b32_e64 v4, 0, v56, s7
	;; [unrolled: 4-line block ×8, first 2 shown]
	v_add_co_u32 v69, s0, v3, v33
	v_add_co_ci_u32_e64 v70, null, v4, v34, s0
	v_cndmask_b32_e32 v3, 0, v69, vcc_lo
	v_cndmask_b32_e32 v4, 0, v70, vcc_lo
	v_add_co_u32 v71, vcc_lo, v3, v31
	v_add_co_ci_u32_e64 v72, null, v4, v32, vcc_lo
	v_cndmask_b32_e64 v3, 0, v71, s1
	v_cndmask_b32_e64 v4, 0, v72, s1
	v_add_co_u32 v73, vcc_lo, v3, v29
	v_add_co_ci_u32_e64 v74, null, v4, v30, vcc_lo
	v_cndmask_b32_e64 v3, 0, v73, s9
	v_cndmask_b32_e64 v4, 0, v74, s9
	s_and_saveexec_b32 s0, s10
	s_cbranch_execz .LBB433_182
; %bb.181:
	ds_read_u8 v8, v5 offset:120
	ds_read_b64 v[6:7], v5 offset:112
	v_mov_b32_e32 v52, v2
	v_mov_b32_e32 v51, v1
	s_waitcnt lgkmcnt(1)
	v_cmp_eq_u32_sdwa vcc_lo, v8, v5 src0_sel:WORD_0 src1_sel:DWORD
	v_cndmask_b32_e32 v10, 0, v1, vcc_lo
	v_cndmask_b32_e32 v9, 0, v2, vcc_lo
	s_waitcnt lgkmcnt(0)
	v_add_co_u32 v6, vcc_lo, v10, v6
	v_add_co_ci_u32_e64 v7, null, v9, v7, vcc_lo
	v_mov_b32_e32 v9, 2
	global_store_byte v5, v8, s[22:23] offset:520
	global_store_dwordx2 v5, v[6:7], s[22:23] offset:512
	s_waitcnt_vscnt null, 0x0
	buffer_gl1_inv
	buffer_gl0_inv
	global_store_byte v5, v9, s[24:25] offset:32
.LBB433_182:
	s_or_b32 exec_lo, exec_lo, s0
.LBB433_183:
	v_add_co_u32 v25, vcc_lo, v3, v25
	s_add_u32 s0, s18, s34
	v_add_co_ci_u32_e64 v26, null, v4, v26, vcc_lo
	s_addc_u32 s1, s19, s35
	s_add_u32 s0, s0, s36
	s_addc_u32 s1, s1, s37
	s_and_b32 vcc_lo, exec_lo, s17
	s_cbranch_vccz .LBB433_227
; %bb.184:
	v_mul_u32_u24_e32 v1, 13, v0
	s_add_i32 s27, s27, s26
	s_mov_b32 s2, exec_lo
	v_cmpx_gt_u32_e64 s27, v1
	s_cbranch_execz .LBB433_202
; %bb.185:
	v_add_nc_u32_e32 v2, 1, v1
	s_mov_b32 s3, exec_lo
	v_cmpx_gt_u32_e64 s27, v2
	s_cbranch_execz .LBB433_201
; %bb.186:
	v_add_nc_u32_e32 v2, 2, v1
	;; [unrolled: 5-line block ×8, first 2 shown]
	s_mov_b32 s10, exec_lo
	v_cmpx_gt_u32_e64 s27, v2
; %bb.193:
	v_add_nc_u32_e32 v2, 9, v1
	s_mov_b32 s11, exec_lo
	v_cmpx_gt_u32_e64 s27, v2
	s_or_b32 exec_lo, exec_lo, s11
; %bb.194:
	s_or_b32 exec_lo, exec_lo, s10
.LBB433_195:
	s_or_b32 exec_lo, exec_lo, s9
.LBB433_196:
	s_or_b32 exec_lo, exec_lo, s8
.LBB433_197:
	s_or_b32 exec_lo, exec_lo, s7
.LBB433_198:
	s_or_b32 exec_lo, exec_lo, s6
.LBB433_199:
	s_or_b32 exec_lo, exec_lo, s5
.LBB433_200:
	s_or_b32 exec_lo, exec_lo, s4
.LBB433_201:
	s_or_b32 exec_lo, exec_lo, s3
.LBB433_202:
	s_or_b32 exec_lo, exec_lo, s2
	v_lshlrev_b32_e32 v29, 3, v1
	s_waitcnt_vscnt null, 0x0
	s_barrier
	buffer_gl0_inv
	v_add_co_u32 v27, s2, s0, v75
	v_mad_i32_i24 v1, 0xffffffa0, v0, v29
	ds_write2_b64 v29, v[51:52], v[53:54] offset1:1
	ds_write2_b64 v29, v[55:56], v[61:62] offset0:2 offset1:3
	ds_write2_b64 v29, v[57:58], v[59:60] offset0:4 offset1:5
	;; [unrolled: 1-line block ×5, first 2 shown]
	ds_write_b64 v29, v[25:26] offset:96
	s_waitcnt lgkmcnt(0)
	s_barrier
	buffer_gl0_inv
	ds_read2st64_b64 v[21:24], v1 offset0:4 offset1:8
	ds_read2st64_b64 v[17:20], v1 offset0:12 offset1:16
	;; [unrolled: 1-line block ×6, first 2 shown]
	v_add_co_ci_u32_e64 v28, null, s1, 0, s2
	s_mov_b32 s2, exec_lo
	v_cmpx_gt_u32_e64 s27, v0
	s_cbranch_execz .LBB433_204
; %bb.203:
	v_mul_i32_i24_e32 v30, 0xffffffa0, v0
	v_add_nc_u32_e32 v29, v29, v30
	ds_read_b64 v[29:30], v29
	s_waitcnt lgkmcnt(0)
	flat_store_dwordx2 v[27:28], v[29:30]
.LBB433_204:
	s_or_b32 exec_lo, exec_lo, s2
	v_or_b32_e32 v29, 0x100, v0
	s_mov_b32 s2, exec_lo
	v_cmpx_gt_u32_e64 s27, v29
	s_cbranch_execz .LBB433_206
; %bb.205:
	v_add_co_u32 v29, vcc_lo, 0x800, v27
	v_add_co_ci_u32_e64 v30, null, 0, v28, vcc_lo
	s_waitcnt lgkmcnt(5)
	flat_store_dwordx2 v[29:30], v[21:22]
.LBB433_206:
	s_or_b32 exec_lo, exec_lo, s2
	s_waitcnt lgkmcnt(5)
	v_or_b32_e32 v21, 0x200, v0
	s_mov_b32 s2, exec_lo
	v_cmpx_gt_u32_e64 s27, v21
	s_cbranch_execz .LBB433_208
; %bb.207:
	v_add_co_u32 v21, vcc_lo, 0x1000, v27
	v_add_co_ci_u32_e64 v22, null, 0, v28, vcc_lo
	flat_store_dwordx2 v[21:22], v[23:24]
.LBB433_208:
	s_or_b32 exec_lo, exec_lo, s2
	v_or_b32_e32 v21, 0x300, v0
	s_mov_b32 s2, exec_lo
	v_cmpx_gt_u32_e64 s27, v21
	s_cbranch_execz .LBB433_210
; %bb.209:
	v_add_co_u32 v21, vcc_lo, 0x1800, v27
	v_add_co_ci_u32_e64 v22, null, 0, v28, vcc_lo
	s_waitcnt lgkmcnt(4)
	flat_store_dwordx2 v[21:22], v[17:18]
.LBB433_210:
	s_or_b32 exec_lo, exec_lo, s2
	s_waitcnt lgkmcnt(4)
	v_or_b32_e32 v17, 0x400, v0
	s_mov_b32 s2, exec_lo
	v_cmpx_gt_u32_e64 s27, v17
	s_cbranch_execz .LBB433_212
; %bb.211:
	v_add_co_u32 v17, vcc_lo, 0x2000, v27
	v_add_co_ci_u32_e64 v18, null, 0, v28, vcc_lo
	flat_store_dwordx2 v[17:18], v[19:20]
.LBB433_212:
	;; [unrolled: 22-line block ×5, first 2 shown]
	s_or_b32 exec_lo, exec_lo, s2
	v_or_b32_e32 v5, 0xb00, v0
	s_mov_b32 s2, exec_lo
	v_cmpx_gt_u32_e64 s27, v5
	s_cbranch_execz .LBB433_226
; %bb.225:
	v_add_co_u32 v5, vcc_lo, 0x5800, v27
	v_add_co_ci_u32_e64 v6, null, 0, v28, vcc_lo
	s_waitcnt lgkmcnt(0)
	flat_store_dwordx2 v[5:6], v[1:2]
.LBB433_226:
	s_or_b32 exec_lo, exec_lo, s2
	s_waitcnt lgkmcnt(0)
	v_or_b32_e32 v1, 0xc00, v0
	v_cmp_gt_u32_e64 s2, s27, v1
	s_branch .LBB433_229
.LBB433_227:
	s_mov_b32 s2, 0
                                        ; implicit-def: $vgpr3_vgpr4
	s_cbranch_execz .LBB433_229
; %bb.228:
	v_mul_i32_i24_e32 v2, 0xffffffa0, v0
	v_mul_u32_u24_e32 v1, 0x68, v0
	s_waitcnt_vscnt null, 0x0
	s_barrier
	buffer_gl0_inv
	v_mad_u32_u24 v3, 0x68, v0, v2
	ds_write2_b64 v1, v[51:52], v[53:54] offset1:1
	ds_write2_b64 v1, v[55:56], v[61:62] offset0:2 offset1:3
	ds_write2_b64 v1, v[57:58], v[59:60] offset0:4 offset1:5
	;; [unrolled: 1-line block ×5, first 2 shown]
	ds_write_b64 v1, v[25:26] offset:96
	s_waitcnt lgkmcnt(0)
	s_barrier
	buffer_gl0_inv
	ds_read2st64_b64 v[5:8], v3 offset1:4
	ds_read2st64_b64 v[9:12], v3 offset0:8 offset1:12
	ds_read2st64_b64 v[13:16], v3 offset0:16 offset1:20
	;; [unrolled: 1-line block ×3, first 2 shown]
	v_add_co_u32 v1, s3, s0, v75
	v_add_co_ci_u32_e64 v2, null, s1, 0, s3
	ds_read2st64_b64 v[21:24], v3 offset0:32 offset1:36
	v_add_co_u32 v29, vcc_lo, 0x800, v1
	v_add_co_ci_u32_e64 v30, null, 0, v2, vcc_lo
	v_add_co_u32 v31, vcc_lo, 0x1000, v1
	v_add_co_ci_u32_e64 v32, null, 0, v2, vcc_lo
	ds_read2st64_b64 v[25:28], v3 offset0:40 offset1:44
	ds_read_b64 v[3:4], v3 offset:24576
	s_or_b32 s2, s2, exec_lo
	s_waitcnt lgkmcnt(6)
	flat_store_dwordx2 v[1:2], v[5:6]
	flat_store_dwordx2 v[29:30], v[7:8]
	s_waitcnt lgkmcnt(7)
	flat_store_dwordx2 v[31:32], v[9:10]
	v_add_co_u32 v5, vcc_lo, 0x1800, v1
	v_add_co_ci_u32_e64 v6, null, 0, v2, vcc_lo
	v_add_co_u32 v7, vcc_lo, 0x2000, v1
	v_add_co_ci_u32_e64 v8, null, 0, v2, vcc_lo
	;; [unrolled: 2-line block ×5, first 2 shown]
	flat_store_dwordx2 v[5:6], v[11:12]
	s_waitcnt lgkmcnt(8)
	flat_store_dwordx2 v[7:8], v[13:14]
	flat_store_dwordx2 v[9:10], v[15:16]
	s_waitcnt lgkmcnt(9)
	flat_store_dwordx2 v[29:30], v[17:18]
	flat_store_dwordx2 v[31:32], v[19:20]
	v_add_co_u32 v5, vcc_lo, 0x4000, v1
	v_add_co_ci_u32_e64 v6, null, 0, v2, vcc_lo
	v_add_co_u32 v7, vcc_lo, 0x4800, v1
	v_add_co_ci_u32_e64 v8, null, 0, v2, vcc_lo
	;; [unrolled: 2-line block ×4, first 2 shown]
	s_waitcnt lgkmcnt(10)
	flat_store_dwordx2 v[5:6], v[21:22]
	flat_store_dwordx2 v[7:8], v[23:24]
	s_waitcnt lgkmcnt(11)
	flat_store_dwordx2 v[9:10], v[25:26]
	flat_store_dwordx2 v[1:2], v[27:28]
.LBB433_229:
	s_and_saveexec_b32 s3, s2
	s_cbranch_execz .LBB433_231
; %bb.230:
	v_lshlrev_b32_e32 v0, 3, v0
	v_add_co_u32 v0, s0, s0, v0
	v_add_co_ci_u32_e64 v1, null, s1, 0, s0
	v_add_co_u32 v0, vcc_lo, 0x6000, v0
	v_add_co_ci_u32_e64 v1, null, 0, v1, vcc_lo
	s_waitcnt lgkmcnt(12)
	flat_store_dwordx2 v[0:1], v[3:4]
	s_endpgm
.LBB433_231:
	s_endpgm
	.section	.rodata,"a",@progbits
	.p2align	6, 0x0
	.amdhsa_kernel _ZN7rocprim17ROCPRIM_400000_NS6detail17trampoline_kernelINS0_14default_configENS1_27scan_by_key_config_selectorIxxEEZZNS1_16scan_by_key_implILNS1_25lookback_scan_determinismE0ELb1ES3_N6thrust23THRUST_200600_302600_NS6detail15normal_iteratorINS9_10device_ptrIxEEEESE_SE_xNS9_4plusIvEENS9_8equal_toIxEExEE10hipError_tPvRmT2_T3_T4_T5_mT6_T7_P12ihipStream_tbENKUlT_T0_E_clISt17integral_constantIbLb0EESZ_EEDaSU_SV_EUlSU_E_NS1_11comp_targetILNS1_3genE8ELNS1_11target_archE1030ELNS1_3gpuE2ELNS1_3repE0EEENS1_30default_config_static_selectorELNS0_4arch9wavefront6targetE0EEEvT1_
		.amdhsa_group_segment_fixed_size 30720
		.amdhsa_private_segment_fixed_size 0
		.amdhsa_kernarg_size 136
		.amdhsa_user_sgpr_count 6
		.amdhsa_user_sgpr_private_segment_buffer 1
		.amdhsa_user_sgpr_dispatch_ptr 0
		.amdhsa_user_sgpr_queue_ptr 0
		.amdhsa_user_sgpr_kernarg_segment_ptr 1
		.amdhsa_user_sgpr_dispatch_id 0
		.amdhsa_user_sgpr_flat_scratch_init 0
		.amdhsa_user_sgpr_private_segment_size 0
		.amdhsa_wavefront_size32 1
		.amdhsa_uses_dynamic_stack 0
		.amdhsa_system_sgpr_private_segment_wavefront_offset 0
		.amdhsa_system_sgpr_workgroup_id_x 1
		.amdhsa_system_sgpr_workgroup_id_y 0
		.amdhsa_system_sgpr_workgroup_id_z 0
		.amdhsa_system_sgpr_workgroup_info 0
		.amdhsa_system_vgpr_workitem_id 0
		.amdhsa_next_free_vgpr 113
		.amdhsa_next_free_sgpr 55
		.amdhsa_reserve_vcc 1
		.amdhsa_reserve_flat_scratch 1
		.amdhsa_float_round_mode_32 0
		.amdhsa_float_round_mode_16_64 0
		.amdhsa_float_denorm_mode_32 3
		.amdhsa_float_denorm_mode_16_64 3
		.amdhsa_dx10_clamp 1
		.amdhsa_ieee_mode 1
		.amdhsa_fp16_overflow 0
		.amdhsa_workgroup_processor_mode 1
		.amdhsa_memory_ordered 1
		.amdhsa_forward_progress 1
		.amdhsa_shared_vgpr_count 0
		.amdhsa_exception_fp_ieee_invalid_op 0
		.amdhsa_exception_fp_denorm_src 0
		.amdhsa_exception_fp_ieee_div_zero 0
		.amdhsa_exception_fp_ieee_overflow 0
		.amdhsa_exception_fp_ieee_underflow 0
		.amdhsa_exception_fp_ieee_inexact 0
		.amdhsa_exception_int_div_zero 0
	.end_amdhsa_kernel
	.section	.text._ZN7rocprim17ROCPRIM_400000_NS6detail17trampoline_kernelINS0_14default_configENS1_27scan_by_key_config_selectorIxxEEZZNS1_16scan_by_key_implILNS1_25lookback_scan_determinismE0ELb1ES3_N6thrust23THRUST_200600_302600_NS6detail15normal_iteratorINS9_10device_ptrIxEEEESE_SE_xNS9_4plusIvEENS9_8equal_toIxEExEE10hipError_tPvRmT2_T3_T4_T5_mT6_T7_P12ihipStream_tbENKUlT_T0_E_clISt17integral_constantIbLb0EESZ_EEDaSU_SV_EUlSU_E_NS1_11comp_targetILNS1_3genE8ELNS1_11target_archE1030ELNS1_3gpuE2ELNS1_3repE0EEENS1_30default_config_static_selectorELNS0_4arch9wavefront6targetE0EEEvT1_,"axG",@progbits,_ZN7rocprim17ROCPRIM_400000_NS6detail17trampoline_kernelINS0_14default_configENS1_27scan_by_key_config_selectorIxxEEZZNS1_16scan_by_key_implILNS1_25lookback_scan_determinismE0ELb1ES3_N6thrust23THRUST_200600_302600_NS6detail15normal_iteratorINS9_10device_ptrIxEEEESE_SE_xNS9_4plusIvEENS9_8equal_toIxEExEE10hipError_tPvRmT2_T3_T4_T5_mT6_T7_P12ihipStream_tbENKUlT_T0_E_clISt17integral_constantIbLb0EESZ_EEDaSU_SV_EUlSU_E_NS1_11comp_targetILNS1_3genE8ELNS1_11target_archE1030ELNS1_3gpuE2ELNS1_3repE0EEENS1_30default_config_static_selectorELNS0_4arch9wavefront6targetE0EEEvT1_,comdat
.Lfunc_end433:
	.size	_ZN7rocprim17ROCPRIM_400000_NS6detail17trampoline_kernelINS0_14default_configENS1_27scan_by_key_config_selectorIxxEEZZNS1_16scan_by_key_implILNS1_25lookback_scan_determinismE0ELb1ES3_N6thrust23THRUST_200600_302600_NS6detail15normal_iteratorINS9_10device_ptrIxEEEESE_SE_xNS9_4plusIvEENS9_8equal_toIxEExEE10hipError_tPvRmT2_T3_T4_T5_mT6_T7_P12ihipStream_tbENKUlT_T0_E_clISt17integral_constantIbLb0EESZ_EEDaSU_SV_EUlSU_E_NS1_11comp_targetILNS1_3genE8ELNS1_11target_archE1030ELNS1_3gpuE2ELNS1_3repE0EEENS1_30default_config_static_selectorELNS0_4arch9wavefront6targetE0EEEvT1_, .Lfunc_end433-_ZN7rocprim17ROCPRIM_400000_NS6detail17trampoline_kernelINS0_14default_configENS1_27scan_by_key_config_selectorIxxEEZZNS1_16scan_by_key_implILNS1_25lookback_scan_determinismE0ELb1ES3_N6thrust23THRUST_200600_302600_NS6detail15normal_iteratorINS9_10device_ptrIxEEEESE_SE_xNS9_4plusIvEENS9_8equal_toIxEExEE10hipError_tPvRmT2_T3_T4_T5_mT6_T7_P12ihipStream_tbENKUlT_T0_E_clISt17integral_constantIbLb0EESZ_EEDaSU_SV_EUlSU_E_NS1_11comp_targetILNS1_3genE8ELNS1_11target_archE1030ELNS1_3gpuE2ELNS1_3repE0EEENS1_30default_config_static_selectorELNS0_4arch9wavefront6targetE0EEEvT1_
                                        ; -- End function
	.set _ZN7rocprim17ROCPRIM_400000_NS6detail17trampoline_kernelINS0_14default_configENS1_27scan_by_key_config_selectorIxxEEZZNS1_16scan_by_key_implILNS1_25lookback_scan_determinismE0ELb1ES3_N6thrust23THRUST_200600_302600_NS6detail15normal_iteratorINS9_10device_ptrIxEEEESE_SE_xNS9_4plusIvEENS9_8equal_toIxEExEE10hipError_tPvRmT2_T3_T4_T5_mT6_T7_P12ihipStream_tbENKUlT_T0_E_clISt17integral_constantIbLb0EESZ_EEDaSU_SV_EUlSU_E_NS1_11comp_targetILNS1_3genE8ELNS1_11target_archE1030ELNS1_3gpuE2ELNS1_3repE0EEENS1_30default_config_static_selectorELNS0_4arch9wavefront6targetE0EEEvT1_.num_vgpr, 103
	.set _ZN7rocprim17ROCPRIM_400000_NS6detail17trampoline_kernelINS0_14default_configENS1_27scan_by_key_config_selectorIxxEEZZNS1_16scan_by_key_implILNS1_25lookback_scan_determinismE0ELb1ES3_N6thrust23THRUST_200600_302600_NS6detail15normal_iteratorINS9_10device_ptrIxEEEESE_SE_xNS9_4plusIvEENS9_8equal_toIxEExEE10hipError_tPvRmT2_T3_T4_T5_mT6_T7_P12ihipStream_tbENKUlT_T0_E_clISt17integral_constantIbLb0EESZ_EEDaSU_SV_EUlSU_E_NS1_11comp_targetILNS1_3genE8ELNS1_11target_archE1030ELNS1_3gpuE2ELNS1_3repE0EEENS1_30default_config_static_selectorELNS0_4arch9wavefront6targetE0EEEvT1_.num_agpr, 0
	.set _ZN7rocprim17ROCPRIM_400000_NS6detail17trampoline_kernelINS0_14default_configENS1_27scan_by_key_config_selectorIxxEEZZNS1_16scan_by_key_implILNS1_25lookback_scan_determinismE0ELb1ES3_N6thrust23THRUST_200600_302600_NS6detail15normal_iteratorINS9_10device_ptrIxEEEESE_SE_xNS9_4plusIvEENS9_8equal_toIxEExEE10hipError_tPvRmT2_T3_T4_T5_mT6_T7_P12ihipStream_tbENKUlT_T0_E_clISt17integral_constantIbLb0EESZ_EEDaSU_SV_EUlSU_E_NS1_11comp_targetILNS1_3genE8ELNS1_11target_archE1030ELNS1_3gpuE2ELNS1_3repE0EEENS1_30default_config_static_selectorELNS0_4arch9wavefront6targetE0EEEvT1_.numbered_sgpr, 55
	.set _ZN7rocprim17ROCPRIM_400000_NS6detail17trampoline_kernelINS0_14default_configENS1_27scan_by_key_config_selectorIxxEEZZNS1_16scan_by_key_implILNS1_25lookback_scan_determinismE0ELb1ES3_N6thrust23THRUST_200600_302600_NS6detail15normal_iteratorINS9_10device_ptrIxEEEESE_SE_xNS9_4plusIvEENS9_8equal_toIxEExEE10hipError_tPvRmT2_T3_T4_T5_mT6_T7_P12ihipStream_tbENKUlT_T0_E_clISt17integral_constantIbLb0EESZ_EEDaSU_SV_EUlSU_E_NS1_11comp_targetILNS1_3genE8ELNS1_11target_archE1030ELNS1_3gpuE2ELNS1_3repE0EEENS1_30default_config_static_selectorELNS0_4arch9wavefront6targetE0EEEvT1_.num_named_barrier, 0
	.set _ZN7rocprim17ROCPRIM_400000_NS6detail17trampoline_kernelINS0_14default_configENS1_27scan_by_key_config_selectorIxxEEZZNS1_16scan_by_key_implILNS1_25lookback_scan_determinismE0ELb1ES3_N6thrust23THRUST_200600_302600_NS6detail15normal_iteratorINS9_10device_ptrIxEEEESE_SE_xNS9_4plusIvEENS9_8equal_toIxEExEE10hipError_tPvRmT2_T3_T4_T5_mT6_T7_P12ihipStream_tbENKUlT_T0_E_clISt17integral_constantIbLb0EESZ_EEDaSU_SV_EUlSU_E_NS1_11comp_targetILNS1_3genE8ELNS1_11target_archE1030ELNS1_3gpuE2ELNS1_3repE0EEENS1_30default_config_static_selectorELNS0_4arch9wavefront6targetE0EEEvT1_.private_seg_size, 0
	.set _ZN7rocprim17ROCPRIM_400000_NS6detail17trampoline_kernelINS0_14default_configENS1_27scan_by_key_config_selectorIxxEEZZNS1_16scan_by_key_implILNS1_25lookback_scan_determinismE0ELb1ES3_N6thrust23THRUST_200600_302600_NS6detail15normal_iteratorINS9_10device_ptrIxEEEESE_SE_xNS9_4plusIvEENS9_8equal_toIxEExEE10hipError_tPvRmT2_T3_T4_T5_mT6_T7_P12ihipStream_tbENKUlT_T0_E_clISt17integral_constantIbLb0EESZ_EEDaSU_SV_EUlSU_E_NS1_11comp_targetILNS1_3genE8ELNS1_11target_archE1030ELNS1_3gpuE2ELNS1_3repE0EEENS1_30default_config_static_selectorELNS0_4arch9wavefront6targetE0EEEvT1_.uses_vcc, 1
	.set _ZN7rocprim17ROCPRIM_400000_NS6detail17trampoline_kernelINS0_14default_configENS1_27scan_by_key_config_selectorIxxEEZZNS1_16scan_by_key_implILNS1_25lookback_scan_determinismE0ELb1ES3_N6thrust23THRUST_200600_302600_NS6detail15normal_iteratorINS9_10device_ptrIxEEEESE_SE_xNS9_4plusIvEENS9_8equal_toIxEExEE10hipError_tPvRmT2_T3_T4_T5_mT6_T7_P12ihipStream_tbENKUlT_T0_E_clISt17integral_constantIbLb0EESZ_EEDaSU_SV_EUlSU_E_NS1_11comp_targetILNS1_3genE8ELNS1_11target_archE1030ELNS1_3gpuE2ELNS1_3repE0EEENS1_30default_config_static_selectorELNS0_4arch9wavefront6targetE0EEEvT1_.uses_flat_scratch, 1
	.set _ZN7rocprim17ROCPRIM_400000_NS6detail17trampoline_kernelINS0_14default_configENS1_27scan_by_key_config_selectorIxxEEZZNS1_16scan_by_key_implILNS1_25lookback_scan_determinismE0ELb1ES3_N6thrust23THRUST_200600_302600_NS6detail15normal_iteratorINS9_10device_ptrIxEEEESE_SE_xNS9_4plusIvEENS9_8equal_toIxEExEE10hipError_tPvRmT2_T3_T4_T5_mT6_T7_P12ihipStream_tbENKUlT_T0_E_clISt17integral_constantIbLb0EESZ_EEDaSU_SV_EUlSU_E_NS1_11comp_targetILNS1_3genE8ELNS1_11target_archE1030ELNS1_3gpuE2ELNS1_3repE0EEENS1_30default_config_static_selectorELNS0_4arch9wavefront6targetE0EEEvT1_.has_dyn_sized_stack, 0
	.set _ZN7rocprim17ROCPRIM_400000_NS6detail17trampoline_kernelINS0_14default_configENS1_27scan_by_key_config_selectorIxxEEZZNS1_16scan_by_key_implILNS1_25lookback_scan_determinismE0ELb1ES3_N6thrust23THRUST_200600_302600_NS6detail15normal_iteratorINS9_10device_ptrIxEEEESE_SE_xNS9_4plusIvEENS9_8equal_toIxEExEE10hipError_tPvRmT2_T3_T4_T5_mT6_T7_P12ihipStream_tbENKUlT_T0_E_clISt17integral_constantIbLb0EESZ_EEDaSU_SV_EUlSU_E_NS1_11comp_targetILNS1_3genE8ELNS1_11target_archE1030ELNS1_3gpuE2ELNS1_3repE0EEENS1_30default_config_static_selectorELNS0_4arch9wavefront6targetE0EEEvT1_.has_recursion, 0
	.set _ZN7rocprim17ROCPRIM_400000_NS6detail17trampoline_kernelINS0_14default_configENS1_27scan_by_key_config_selectorIxxEEZZNS1_16scan_by_key_implILNS1_25lookback_scan_determinismE0ELb1ES3_N6thrust23THRUST_200600_302600_NS6detail15normal_iteratorINS9_10device_ptrIxEEEESE_SE_xNS9_4plusIvEENS9_8equal_toIxEExEE10hipError_tPvRmT2_T3_T4_T5_mT6_T7_P12ihipStream_tbENKUlT_T0_E_clISt17integral_constantIbLb0EESZ_EEDaSU_SV_EUlSU_E_NS1_11comp_targetILNS1_3genE8ELNS1_11target_archE1030ELNS1_3gpuE2ELNS1_3repE0EEENS1_30default_config_static_selectorELNS0_4arch9wavefront6targetE0EEEvT1_.has_indirect_call, 0
	.section	.AMDGPU.csdata,"",@progbits
; Kernel info:
; codeLenInByte = 15664
; TotalNumSgprs: 57
; NumVgprs: 103
; ScratchSize: 0
; MemoryBound: 0
; FloatMode: 240
; IeeeMode: 1
; LDSByteSize: 30720 bytes/workgroup (compile time only)
; SGPRBlocks: 0
; VGPRBlocks: 14
; NumSGPRsForWavesPerEU: 57
; NumVGPRsForWavesPerEU: 113
; Occupancy: 8
; WaveLimiterHint : 1
; COMPUTE_PGM_RSRC2:SCRATCH_EN: 0
; COMPUTE_PGM_RSRC2:USER_SGPR: 6
; COMPUTE_PGM_RSRC2:TRAP_HANDLER: 0
; COMPUTE_PGM_RSRC2:TGID_X_EN: 1
; COMPUTE_PGM_RSRC2:TGID_Y_EN: 0
; COMPUTE_PGM_RSRC2:TGID_Z_EN: 0
; COMPUTE_PGM_RSRC2:TIDIG_COMP_CNT: 0
	.section	.text._ZN7rocprim17ROCPRIM_400000_NS6detail17trampoline_kernelINS0_14default_configENS1_27scan_by_key_config_selectorIxxEEZZNS1_16scan_by_key_implILNS1_25lookback_scan_determinismE0ELb1ES3_N6thrust23THRUST_200600_302600_NS6detail15normal_iteratorINS9_10device_ptrIxEEEESE_SE_xNS9_4plusIvEENS9_8equal_toIxEExEE10hipError_tPvRmT2_T3_T4_T5_mT6_T7_P12ihipStream_tbENKUlT_T0_E_clISt17integral_constantIbLb1EESZ_EEDaSU_SV_EUlSU_E_NS1_11comp_targetILNS1_3genE0ELNS1_11target_archE4294967295ELNS1_3gpuE0ELNS1_3repE0EEENS1_30default_config_static_selectorELNS0_4arch9wavefront6targetE0EEEvT1_,"axG",@progbits,_ZN7rocprim17ROCPRIM_400000_NS6detail17trampoline_kernelINS0_14default_configENS1_27scan_by_key_config_selectorIxxEEZZNS1_16scan_by_key_implILNS1_25lookback_scan_determinismE0ELb1ES3_N6thrust23THRUST_200600_302600_NS6detail15normal_iteratorINS9_10device_ptrIxEEEESE_SE_xNS9_4plusIvEENS9_8equal_toIxEExEE10hipError_tPvRmT2_T3_T4_T5_mT6_T7_P12ihipStream_tbENKUlT_T0_E_clISt17integral_constantIbLb1EESZ_EEDaSU_SV_EUlSU_E_NS1_11comp_targetILNS1_3genE0ELNS1_11target_archE4294967295ELNS1_3gpuE0ELNS1_3repE0EEENS1_30default_config_static_selectorELNS0_4arch9wavefront6targetE0EEEvT1_,comdat
	.protected	_ZN7rocprim17ROCPRIM_400000_NS6detail17trampoline_kernelINS0_14default_configENS1_27scan_by_key_config_selectorIxxEEZZNS1_16scan_by_key_implILNS1_25lookback_scan_determinismE0ELb1ES3_N6thrust23THRUST_200600_302600_NS6detail15normal_iteratorINS9_10device_ptrIxEEEESE_SE_xNS9_4plusIvEENS9_8equal_toIxEExEE10hipError_tPvRmT2_T3_T4_T5_mT6_T7_P12ihipStream_tbENKUlT_T0_E_clISt17integral_constantIbLb1EESZ_EEDaSU_SV_EUlSU_E_NS1_11comp_targetILNS1_3genE0ELNS1_11target_archE4294967295ELNS1_3gpuE0ELNS1_3repE0EEENS1_30default_config_static_selectorELNS0_4arch9wavefront6targetE0EEEvT1_ ; -- Begin function _ZN7rocprim17ROCPRIM_400000_NS6detail17trampoline_kernelINS0_14default_configENS1_27scan_by_key_config_selectorIxxEEZZNS1_16scan_by_key_implILNS1_25lookback_scan_determinismE0ELb1ES3_N6thrust23THRUST_200600_302600_NS6detail15normal_iteratorINS9_10device_ptrIxEEEESE_SE_xNS9_4plusIvEENS9_8equal_toIxEExEE10hipError_tPvRmT2_T3_T4_T5_mT6_T7_P12ihipStream_tbENKUlT_T0_E_clISt17integral_constantIbLb1EESZ_EEDaSU_SV_EUlSU_E_NS1_11comp_targetILNS1_3genE0ELNS1_11target_archE4294967295ELNS1_3gpuE0ELNS1_3repE0EEENS1_30default_config_static_selectorELNS0_4arch9wavefront6targetE0EEEvT1_
	.globl	_ZN7rocprim17ROCPRIM_400000_NS6detail17trampoline_kernelINS0_14default_configENS1_27scan_by_key_config_selectorIxxEEZZNS1_16scan_by_key_implILNS1_25lookback_scan_determinismE0ELb1ES3_N6thrust23THRUST_200600_302600_NS6detail15normal_iteratorINS9_10device_ptrIxEEEESE_SE_xNS9_4plusIvEENS9_8equal_toIxEExEE10hipError_tPvRmT2_T3_T4_T5_mT6_T7_P12ihipStream_tbENKUlT_T0_E_clISt17integral_constantIbLb1EESZ_EEDaSU_SV_EUlSU_E_NS1_11comp_targetILNS1_3genE0ELNS1_11target_archE4294967295ELNS1_3gpuE0ELNS1_3repE0EEENS1_30default_config_static_selectorELNS0_4arch9wavefront6targetE0EEEvT1_
	.p2align	8
	.type	_ZN7rocprim17ROCPRIM_400000_NS6detail17trampoline_kernelINS0_14default_configENS1_27scan_by_key_config_selectorIxxEEZZNS1_16scan_by_key_implILNS1_25lookback_scan_determinismE0ELb1ES3_N6thrust23THRUST_200600_302600_NS6detail15normal_iteratorINS9_10device_ptrIxEEEESE_SE_xNS9_4plusIvEENS9_8equal_toIxEExEE10hipError_tPvRmT2_T3_T4_T5_mT6_T7_P12ihipStream_tbENKUlT_T0_E_clISt17integral_constantIbLb1EESZ_EEDaSU_SV_EUlSU_E_NS1_11comp_targetILNS1_3genE0ELNS1_11target_archE4294967295ELNS1_3gpuE0ELNS1_3repE0EEENS1_30default_config_static_selectorELNS0_4arch9wavefront6targetE0EEEvT1_,@function
_ZN7rocprim17ROCPRIM_400000_NS6detail17trampoline_kernelINS0_14default_configENS1_27scan_by_key_config_selectorIxxEEZZNS1_16scan_by_key_implILNS1_25lookback_scan_determinismE0ELb1ES3_N6thrust23THRUST_200600_302600_NS6detail15normal_iteratorINS9_10device_ptrIxEEEESE_SE_xNS9_4plusIvEENS9_8equal_toIxEExEE10hipError_tPvRmT2_T3_T4_T5_mT6_T7_P12ihipStream_tbENKUlT_T0_E_clISt17integral_constantIbLb1EESZ_EEDaSU_SV_EUlSU_E_NS1_11comp_targetILNS1_3genE0ELNS1_11target_archE4294967295ELNS1_3gpuE0ELNS1_3repE0EEENS1_30default_config_static_selectorELNS0_4arch9wavefront6targetE0EEEvT1_: ; @_ZN7rocprim17ROCPRIM_400000_NS6detail17trampoline_kernelINS0_14default_configENS1_27scan_by_key_config_selectorIxxEEZZNS1_16scan_by_key_implILNS1_25lookback_scan_determinismE0ELb1ES3_N6thrust23THRUST_200600_302600_NS6detail15normal_iteratorINS9_10device_ptrIxEEEESE_SE_xNS9_4plusIvEENS9_8equal_toIxEExEE10hipError_tPvRmT2_T3_T4_T5_mT6_T7_P12ihipStream_tbENKUlT_T0_E_clISt17integral_constantIbLb1EESZ_EEDaSU_SV_EUlSU_E_NS1_11comp_targetILNS1_3genE0ELNS1_11target_archE4294967295ELNS1_3gpuE0ELNS1_3repE0EEENS1_30default_config_static_selectorELNS0_4arch9wavefront6targetE0EEEvT1_
; %bb.0:
	.section	.rodata,"a",@progbits
	.p2align	6, 0x0
	.amdhsa_kernel _ZN7rocprim17ROCPRIM_400000_NS6detail17trampoline_kernelINS0_14default_configENS1_27scan_by_key_config_selectorIxxEEZZNS1_16scan_by_key_implILNS1_25lookback_scan_determinismE0ELb1ES3_N6thrust23THRUST_200600_302600_NS6detail15normal_iteratorINS9_10device_ptrIxEEEESE_SE_xNS9_4plusIvEENS9_8equal_toIxEExEE10hipError_tPvRmT2_T3_T4_T5_mT6_T7_P12ihipStream_tbENKUlT_T0_E_clISt17integral_constantIbLb1EESZ_EEDaSU_SV_EUlSU_E_NS1_11comp_targetILNS1_3genE0ELNS1_11target_archE4294967295ELNS1_3gpuE0ELNS1_3repE0EEENS1_30default_config_static_selectorELNS0_4arch9wavefront6targetE0EEEvT1_
		.amdhsa_group_segment_fixed_size 0
		.amdhsa_private_segment_fixed_size 0
		.amdhsa_kernarg_size 136
		.amdhsa_user_sgpr_count 6
		.amdhsa_user_sgpr_private_segment_buffer 1
		.amdhsa_user_sgpr_dispatch_ptr 0
		.amdhsa_user_sgpr_queue_ptr 0
		.amdhsa_user_sgpr_kernarg_segment_ptr 1
		.amdhsa_user_sgpr_dispatch_id 0
		.amdhsa_user_sgpr_flat_scratch_init 0
		.amdhsa_user_sgpr_private_segment_size 0
		.amdhsa_wavefront_size32 1
		.amdhsa_uses_dynamic_stack 0
		.amdhsa_system_sgpr_private_segment_wavefront_offset 0
		.amdhsa_system_sgpr_workgroup_id_x 1
		.amdhsa_system_sgpr_workgroup_id_y 0
		.amdhsa_system_sgpr_workgroup_id_z 0
		.amdhsa_system_sgpr_workgroup_info 0
		.amdhsa_system_vgpr_workitem_id 0
		.amdhsa_next_free_vgpr 1
		.amdhsa_next_free_sgpr 1
		.amdhsa_reserve_vcc 0
		.amdhsa_reserve_flat_scratch 0
		.amdhsa_float_round_mode_32 0
		.amdhsa_float_round_mode_16_64 0
		.amdhsa_float_denorm_mode_32 3
		.amdhsa_float_denorm_mode_16_64 3
		.amdhsa_dx10_clamp 1
		.amdhsa_ieee_mode 1
		.amdhsa_fp16_overflow 0
		.amdhsa_workgroup_processor_mode 1
		.amdhsa_memory_ordered 1
		.amdhsa_forward_progress 1
		.amdhsa_shared_vgpr_count 0
		.amdhsa_exception_fp_ieee_invalid_op 0
		.amdhsa_exception_fp_denorm_src 0
		.amdhsa_exception_fp_ieee_div_zero 0
		.amdhsa_exception_fp_ieee_overflow 0
		.amdhsa_exception_fp_ieee_underflow 0
		.amdhsa_exception_fp_ieee_inexact 0
		.amdhsa_exception_int_div_zero 0
	.end_amdhsa_kernel
	.section	.text._ZN7rocprim17ROCPRIM_400000_NS6detail17trampoline_kernelINS0_14default_configENS1_27scan_by_key_config_selectorIxxEEZZNS1_16scan_by_key_implILNS1_25lookback_scan_determinismE0ELb1ES3_N6thrust23THRUST_200600_302600_NS6detail15normal_iteratorINS9_10device_ptrIxEEEESE_SE_xNS9_4plusIvEENS9_8equal_toIxEExEE10hipError_tPvRmT2_T3_T4_T5_mT6_T7_P12ihipStream_tbENKUlT_T0_E_clISt17integral_constantIbLb1EESZ_EEDaSU_SV_EUlSU_E_NS1_11comp_targetILNS1_3genE0ELNS1_11target_archE4294967295ELNS1_3gpuE0ELNS1_3repE0EEENS1_30default_config_static_selectorELNS0_4arch9wavefront6targetE0EEEvT1_,"axG",@progbits,_ZN7rocprim17ROCPRIM_400000_NS6detail17trampoline_kernelINS0_14default_configENS1_27scan_by_key_config_selectorIxxEEZZNS1_16scan_by_key_implILNS1_25lookback_scan_determinismE0ELb1ES3_N6thrust23THRUST_200600_302600_NS6detail15normal_iteratorINS9_10device_ptrIxEEEESE_SE_xNS9_4plusIvEENS9_8equal_toIxEExEE10hipError_tPvRmT2_T3_T4_T5_mT6_T7_P12ihipStream_tbENKUlT_T0_E_clISt17integral_constantIbLb1EESZ_EEDaSU_SV_EUlSU_E_NS1_11comp_targetILNS1_3genE0ELNS1_11target_archE4294967295ELNS1_3gpuE0ELNS1_3repE0EEENS1_30default_config_static_selectorELNS0_4arch9wavefront6targetE0EEEvT1_,comdat
.Lfunc_end434:
	.size	_ZN7rocprim17ROCPRIM_400000_NS6detail17trampoline_kernelINS0_14default_configENS1_27scan_by_key_config_selectorIxxEEZZNS1_16scan_by_key_implILNS1_25lookback_scan_determinismE0ELb1ES3_N6thrust23THRUST_200600_302600_NS6detail15normal_iteratorINS9_10device_ptrIxEEEESE_SE_xNS9_4plusIvEENS9_8equal_toIxEExEE10hipError_tPvRmT2_T3_T4_T5_mT6_T7_P12ihipStream_tbENKUlT_T0_E_clISt17integral_constantIbLb1EESZ_EEDaSU_SV_EUlSU_E_NS1_11comp_targetILNS1_3genE0ELNS1_11target_archE4294967295ELNS1_3gpuE0ELNS1_3repE0EEENS1_30default_config_static_selectorELNS0_4arch9wavefront6targetE0EEEvT1_, .Lfunc_end434-_ZN7rocprim17ROCPRIM_400000_NS6detail17trampoline_kernelINS0_14default_configENS1_27scan_by_key_config_selectorIxxEEZZNS1_16scan_by_key_implILNS1_25lookback_scan_determinismE0ELb1ES3_N6thrust23THRUST_200600_302600_NS6detail15normal_iteratorINS9_10device_ptrIxEEEESE_SE_xNS9_4plusIvEENS9_8equal_toIxEExEE10hipError_tPvRmT2_T3_T4_T5_mT6_T7_P12ihipStream_tbENKUlT_T0_E_clISt17integral_constantIbLb1EESZ_EEDaSU_SV_EUlSU_E_NS1_11comp_targetILNS1_3genE0ELNS1_11target_archE4294967295ELNS1_3gpuE0ELNS1_3repE0EEENS1_30default_config_static_selectorELNS0_4arch9wavefront6targetE0EEEvT1_
                                        ; -- End function
	.set _ZN7rocprim17ROCPRIM_400000_NS6detail17trampoline_kernelINS0_14default_configENS1_27scan_by_key_config_selectorIxxEEZZNS1_16scan_by_key_implILNS1_25lookback_scan_determinismE0ELb1ES3_N6thrust23THRUST_200600_302600_NS6detail15normal_iteratorINS9_10device_ptrIxEEEESE_SE_xNS9_4plusIvEENS9_8equal_toIxEExEE10hipError_tPvRmT2_T3_T4_T5_mT6_T7_P12ihipStream_tbENKUlT_T0_E_clISt17integral_constantIbLb1EESZ_EEDaSU_SV_EUlSU_E_NS1_11comp_targetILNS1_3genE0ELNS1_11target_archE4294967295ELNS1_3gpuE0ELNS1_3repE0EEENS1_30default_config_static_selectorELNS0_4arch9wavefront6targetE0EEEvT1_.num_vgpr, 0
	.set _ZN7rocprim17ROCPRIM_400000_NS6detail17trampoline_kernelINS0_14default_configENS1_27scan_by_key_config_selectorIxxEEZZNS1_16scan_by_key_implILNS1_25lookback_scan_determinismE0ELb1ES3_N6thrust23THRUST_200600_302600_NS6detail15normal_iteratorINS9_10device_ptrIxEEEESE_SE_xNS9_4plusIvEENS9_8equal_toIxEExEE10hipError_tPvRmT2_T3_T4_T5_mT6_T7_P12ihipStream_tbENKUlT_T0_E_clISt17integral_constantIbLb1EESZ_EEDaSU_SV_EUlSU_E_NS1_11comp_targetILNS1_3genE0ELNS1_11target_archE4294967295ELNS1_3gpuE0ELNS1_3repE0EEENS1_30default_config_static_selectorELNS0_4arch9wavefront6targetE0EEEvT1_.num_agpr, 0
	.set _ZN7rocprim17ROCPRIM_400000_NS6detail17trampoline_kernelINS0_14default_configENS1_27scan_by_key_config_selectorIxxEEZZNS1_16scan_by_key_implILNS1_25lookback_scan_determinismE0ELb1ES3_N6thrust23THRUST_200600_302600_NS6detail15normal_iteratorINS9_10device_ptrIxEEEESE_SE_xNS9_4plusIvEENS9_8equal_toIxEExEE10hipError_tPvRmT2_T3_T4_T5_mT6_T7_P12ihipStream_tbENKUlT_T0_E_clISt17integral_constantIbLb1EESZ_EEDaSU_SV_EUlSU_E_NS1_11comp_targetILNS1_3genE0ELNS1_11target_archE4294967295ELNS1_3gpuE0ELNS1_3repE0EEENS1_30default_config_static_selectorELNS0_4arch9wavefront6targetE0EEEvT1_.numbered_sgpr, 0
	.set _ZN7rocprim17ROCPRIM_400000_NS6detail17trampoline_kernelINS0_14default_configENS1_27scan_by_key_config_selectorIxxEEZZNS1_16scan_by_key_implILNS1_25lookback_scan_determinismE0ELb1ES3_N6thrust23THRUST_200600_302600_NS6detail15normal_iteratorINS9_10device_ptrIxEEEESE_SE_xNS9_4plusIvEENS9_8equal_toIxEExEE10hipError_tPvRmT2_T3_T4_T5_mT6_T7_P12ihipStream_tbENKUlT_T0_E_clISt17integral_constantIbLb1EESZ_EEDaSU_SV_EUlSU_E_NS1_11comp_targetILNS1_3genE0ELNS1_11target_archE4294967295ELNS1_3gpuE0ELNS1_3repE0EEENS1_30default_config_static_selectorELNS0_4arch9wavefront6targetE0EEEvT1_.num_named_barrier, 0
	.set _ZN7rocprim17ROCPRIM_400000_NS6detail17trampoline_kernelINS0_14default_configENS1_27scan_by_key_config_selectorIxxEEZZNS1_16scan_by_key_implILNS1_25lookback_scan_determinismE0ELb1ES3_N6thrust23THRUST_200600_302600_NS6detail15normal_iteratorINS9_10device_ptrIxEEEESE_SE_xNS9_4plusIvEENS9_8equal_toIxEExEE10hipError_tPvRmT2_T3_T4_T5_mT6_T7_P12ihipStream_tbENKUlT_T0_E_clISt17integral_constantIbLb1EESZ_EEDaSU_SV_EUlSU_E_NS1_11comp_targetILNS1_3genE0ELNS1_11target_archE4294967295ELNS1_3gpuE0ELNS1_3repE0EEENS1_30default_config_static_selectorELNS0_4arch9wavefront6targetE0EEEvT1_.private_seg_size, 0
	.set _ZN7rocprim17ROCPRIM_400000_NS6detail17trampoline_kernelINS0_14default_configENS1_27scan_by_key_config_selectorIxxEEZZNS1_16scan_by_key_implILNS1_25lookback_scan_determinismE0ELb1ES3_N6thrust23THRUST_200600_302600_NS6detail15normal_iteratorINS9_10device_ptrIxEEEESE_SE_xNS9_4plusIvEENS9_8equal_toIxEExEE10hipError_tPvRmT2_T3_T4_T5_mT6_T7_P12ihipStream_tbENKUlT_T0_E_clISt17integral_constantIbLb1EESZ_EEDaSU_SV_EUlSU_E_NS1_11comp_targetILNS1_3genE0ELNS1_11target_archE4294967295ELNS1_3gpuE0ELNS1_3repE0EEENS1_30default_config_static_selectorELNS0_4arch9wavefront6targetE0EEEvT1_.uses_vcc, 0
	.set _ZN7rocprim17ROCPRIM_400000_NS6detail17trampoline_kernelINS0_14default_configENS1_27scan_by_key_config_selectorIxxEEZZNS1_16scan_by_key_implILNS1_25lookback_scan_determinismE0ELb1ES3_N6thrust23THRUST_200600_302600_NS6detail15normal_iteratorINS9_10device_ptrIxEEEESE_SE_xNS9_4plusIvEENS9_8equal_toIxEExEE10hipError_tPvRmT2_T3_T4_T5_mT6_T7_P12ihipStream_tbENKUlT_T0_E_clISt17integral_constantIbLb1EESZ_EEDaSU_SV_EUlSU_E_NS1_11comp_targetILNS1_3genE0ELNS1_11target_archE4294967295ELNS1_3gpuE0ELNS1_3repE0EEENS1_30default_config_static_selectorELNS0_4arch9wavefront6targetE0EEEvT1_.uses_flat_scratch, 0
	.set _ZN7rocprim17ROCPRIM_400000_NS6detail17trampoline_kernelINS0_14default_configENS1_27scan_by_key_config_selectorIxxEEZZNS1_16scan_by_key_implILNS1_25lookback_scan_determinismE0ELb1ES3_N6thrust23THRUST_200600_302600_NS6detail15normal_iteratorINS9_10device_ptrIxEEEESE_SE_xNS9_4plusIvEENS9_8equal_toIxEExEE10hipError_tPvRmT2_T3_T4_T5_mT6_T7_P12ihipStream_tbENKUlT_T0_E_clISt17integral_constantIbLb1EESZ_EEDaSU_SV_EUlSU_E_NS1_11comp_targetILNS1_3genE0ELNS1_11target_archE4294967295ELNS1_3gpuE0ELNS1_3repE0EEENS1_30default_config_static_selectorELNS0_4arch9wavefront6targetE0EEEvT1_.has_dyn_sized_stack, 0
	.set _ZN7rocprim17ROCPRIM_400000_NS6detail17trampoline_kernelINS0_14default_configENS1_27scan_by_key_config_selectorIxxEEZZNS1_16scan_by_key_implILNS1_25lookback_scan_determinismE0ELb1ES3_N6thrust23THRUST_200600_302600_NS6detail15normal_iteratorINS9_10device_ptrIxEEEESE_SE_xNS9_4plusIvEENS9_8equal_toIxEExEE10hipError_tPvRmT2_T3_T4_T5_mT6_T7_P12ihipStream_tbENKUlT_T0_E_clISt17integral_constantIbLb1EESZ_EEDaSU_SV_EUlSU_E_NS1_11comp_targetILNS1_3genE0ELNS1_11target_archE4294967295ELNS1_3gpuE0ELNS1_3repE0EEENS1_30default_config_static_selectorELNS0_4arch9wavefront6targetE0EEEvT1_.has_recursion, 0
	.set _ZN7rocprim17ROCPRIM_400000_NS6detail17trampoline_kernelINS0_14default_configENS1_27scan_by_key_config_selectorIxxEEZZNS1_16scan_by_key_implILNS1_25lookback_scan_determinismE0ELb1ES3_N6thrust23THRUST_200600_302600_NS6detail15normal_iteratorINS9_10device_ptrIxEEEESE_SE_xNS9_4plusIvEENS9_8equal_toIxEExEE10hipError_tPvRmT2_T3_T4_T5_mT6_T7_P12ihipStream_tbENKUlT_T0_E_clISt17integral_constantIbLb1EESZ_EEDaSU_SV_EUlSU_E_NS1_11comp_targetILNS1_3genE0ELNS1_11target_archE4294967295ELNS1_3gpuE0ELNS1_3repE0EEENS1_30default_config_static_selectorELNS0_4arch9wavefront6targetE0EEEvT1_.has_indirect_call, 0
	.section	.AMDGPU.csdata,"",@progbits
; Kernel info:
; codeLenInByte = 0
; TotalNumSgprs: 0
; NumVgprs: 0
; ScratchSize: 0
; MemoryBound: 0
; FloatMode: 240
; IeeeMode: 1
; LDSByteSize: 0 bytes/workgroup (compile time only)
; SGPRBlocks: 0
; VGPRBlocks: 0
; NumSGPRsForWavesPerEU: 1
; NumVGPRsForWavesPerEU: 1
; Occupancy: 16
; WaveLimiterHint : 0
; COMPUTE_PGM_RSRC2:SCRATCH_EN: 0
; COMPUTE_PGM_RSRC2:USER_SGPR: 6
; COMPUTE_PGM_RSRC2:TRAP_HANDLER: 0
; COMPUTE_PGM_RSRC2:TGID_X_EN: 1
; COMPUTE_PGM_RSRC2:TGID_Y_EN: 0
; COMPUTE_PGM_RSRC2:TGID_Z_EN: 0
; COMPUTE_PGM_RSRC2:TIDIG_COMP_CNT: 0
	.section	.text._ZN7rocprim17ROCPRIM_400000_NS6detail17trampoline_kernelINS0_14default_configENS1_27scan_by_key_config_selectorIxxEEZZNS1_16scan_by_key_implILNS1_25lookback_scan_determinismE0ELb1ES3_N6thrust23THRUST_200600_302600_NS6detail15normal_iteratorINS9_10device_ptrIxEEEESE_SE_xNS9_4plusIvEENS9_8equal_toIxEExEE10hipError_tPvRmT2_T3_T4_T5_mT6_T7_P12ihipStream_tbENKUlT_T0_E_clISt17integral_constantIbLb1EESZ_EEDaSU_SV_EUlSU_E_NS1_11comp_targetILNS1_3genE10ELNS1_11target_archE1201ELNS1_3gpuE5ELNS1_3repE0EEENS1_30default_config_static_selectorELNS0_4arch9wavefront6targetE0EEEvT1_,"axG",@progbits,_ZN7rocprim17ROCPRIM_400000_NS6detail17trampoline_kernelINS0_14default_configENS1_27scan_by_key_config_selectorIxxEEZZNS1_16scan_by_key_implILNS1_25lookback_scan_determinismE0ELb1ES3_N6thrust23THRUST_200600_302600_NS6detail15normal_iteratorINS9_10device_ptrIxEEEESE_SE_xNS9_4plusIvEENS9_8equal_toIxEExEE10hipError_tPvRmT2_T3_T4_T5_mT6_T7_P12ihipStream_tbENKUlT_T0_E_clISt17integral_constantIbLb1EESZ_EEDaSU_SV_EUlSU_E_NS1_11comp_targetILNS1_3genE10ELNS1_11target_archE1201ELNS1_3gpuE5ELNS1_3repE0EEENS1_30default_config_static_selectorELNS0_4arch9wavefront6targetE0EEEvT1_,comdat
	.protected	_ZN7rocprim17ROCPRIM_400000_NS6detail17trampoline_kernelINS0_14default_configENS1_27scan_by_key_config_selectorIxxEEZZNS1_16scan_by_key_implILNS1_25lookback_scan_determinismE0ELb1ES3_N6thrust23THRUST_200600_302600_NS6detail15normal_iteratorINS9_10device_ptrIxEEEESE_SE_xNS9_4plusIvEENS9_8equal_toIxEExEE10hipError_tPvRmT2_T3_T4_T5_mT6_T7_P12ihipStream_tbENKUlT_T0_E_clISt17integral_constantIbLb1EESZ_EEDaSU_SV_EUlSU_E_NS1_11comp_targetILNS1_3genE10ELNS1_11target_archE1201ELNS1_3gpuE5ELNS1_3repE0EEENS1_30default_config_static_selectorELNS0_4arch9wavefront6targetE0EEEvT1_ ; -- Begin function _ZN7rocprim17ROCPRIM_400000_NS6detail17trampoline_kernelINS0_14default_configENS1_27scan_by_key_config_selectorIxxEEZZNS1_16scan_by_key_implILNS1_25lookback_scan_determinismE0ELb1ES3_N6thrust23THRUST_200600_302600_NS6detail15normal_iteratorINS9_10device_ptrIxEEEESE_SE_xNS9_4plusIvEENS9_8equal_toIxEExEE10hipError_tPvRmT2_T3_T4_T5_mT6_T7_P12ihipStream_tbENKUlT_T0_E_clISt17integral_constantIbLb1EESZ_EEDaSU_SV_EUlSU_E_NS1_11comp_targetILNS1_3genE10ELNS1_11target_archE1201ELNS1_3gpuE5ELNS1_3repE0EEENS1_30default_config_static_selectorELNS0_4arch9wavefront6targetE0EEEvT1_
	.globl	_ZN7rocprim17ROCPRIM_400000_NS6detail17trampoline_kernelINS0_14default_configENS1_27scan_by_key_config_selectorIxxEEZZNS1_16scan_by_key_implILNS1_25lookback_scan_determinismE0ELb1ES3_N6thrust23THRUST_200600_302600_NS6detail15normal_iteratorINS9_10device_ptrIxEEEESE_SE_xNS9_4plusIvEENS9_8equal_toIxEExEE10hipError_tPvRmT2_T3_T4_T5_mT6_T7_P12ihipStream_tbENKUlT_T0_E_clISt17integral_constantIbLb1EESZ_EEDaSU_SV_EUlSU_E_NS1_11comp_targetILNS1_3genE10ELNS1_11target_archE1201ELNS1_3gpuE5ELNS1_3repE0EEENS1_30default_config_static_selectorELNS0_4arch9wavefront6targetE0EEEvT1_
	.p2align	8
	.type	_ZN7rocprim17ROCPRIM_400000_NS6detail17trampoline_kernelINS0_14default_configENS1_27scan_by_key_config_selectorIxxEEZZNS1_16scan_by_key_implILNS1_25lookback_scan_determinismE0ELb1ES3_N6thrust23THRUST_200600_302600_NS6detail15normal_iteratorINS9_10device_ptrIxEEEESE_SE_xNS9_4plusIvEENS9_8equal_toIxEExEE10hipError_tPvRmT2_T3_T4_T5_mT6_T7_P12ihipStream_tbENKUlT_T0_E_clISt17integral_constantIbLb1EESZ_EEDaSU_SV_EUlSU_E_NS1_11comp_targetILNS1_3genE10ELNS1_11target_archE1201ELNS1_3gpuE5ELNS1_3repE0EEENS1_30default_config_static_selectorELNS0_4arch9wavefront6targetE0EEEvT1_,@function
_ZN7rocprim17ROCPRIM_400000_NS6detail17trampoline_kernelINS0_14default_configENS1_27scan_by_key_config_selectorIxxEEZZNS1_16scan_by_key_implILNS1_25lookback_scan_determinismE0ELb1ES3_N6thrust23THRUST_200600_302600_NS6detail15normal_iteratorINS9_10device_ptrIxEEEESE_SE_xNS9_4plusIvEENS9_8equal_toIxEExEE10hipError_tPvRmT2_T3_T4_T5_mT6_T7_P12ihipStream_tbENKUlT_T0_E_clISt17integral_constantIbLb1EESZ_EEDaSU_SV_EUlSU_E_NS1_11comp_targetILNS1_3genE10ELNS1_11target_archE1201ELNS1_3gpuE5ELNS1_3repE0EEENS1_30default_config_static_selectorELNS0_4arch9wavefront6targetE0EEEvT1_: ; @_ZN7rocprim17ROCPRIM_400000_NS6detail17trampoline_kernelINS0_14default_configENS1_27scan_by_key_config_selectorIxxEEZZNS1_16scan_by_key_implILNS1_25lookback_scan_determinismE0ELb1ES3_N6thrust23THRUST_200600_302600_NS6detail15normal_iteratorINS9_10device_ptrIxEEEESE_SE_xNS9_4plusIvEENS9_8equal_toIxEExEE10hipError_tPvRmT2_T3_T4_T5_mT6_T7_P12ihipStream_tbENKUlT_T0_E_clISt17integral_constantIbLb1EESZ_EEDaSU_SV_EUlSU_E_NS1_11comp_targetILNS1_3genE10ELNS1_11target_archE1201ELNS1_3gpuE5ELNS1_3repE0EEENS1_30default_config_static_selectorELNS0_4arch9wavefront6targetE0EEEvT1_
; %bb.0:
	.section	.rodata,"a",@progbits
	.p2align	6, 0x0
	.amdhsa_kernel _ZN7rocprim17ROCPRIM_400000_NS6detail17trampoline_kernelINS0_14default_configENS1_27scan_by_key_config_selectorIxxEEZZNS1_16scan_by_key_implILNS1_25lookback_scan_determinismE0ELb1ES3_N6thrust23THRUST_200600_302600_NS6detail15normal_iteratorINS9_10device_ptrIxEEEESE_SE_xNS9_4plusIvEENS9_8equal_toIxEExEE10hipError_tPvRmT2_T3_T4_T5_mT6_T7_P12ihipStream_tbENKUlT_T0_E_clISt17integral_constantIbLb1EESZ_EEDaSU_SV_EUlSU_E_NS1_11comp_targetILNS1_3genE10ELNS1_11target_archE1201ELNS1_3gpuE5ELNS1_3repE0EEENS1_30default_config_static_selectorELNS0_4arch9wavefront6targetE0EEEvT1_
		.amdhsa_group_segment_fixed_size 0
		.amdhsa_private_segment_fixed_size 0
		.amdhsa_kernarg_size 136
		.amdhsa_user_sgpr_count 6
		.amdhsa_user_sgpr_private_segment_buffer 1
		.amdhsa_user_sgpr_dispatch_ptr 0
		.amdhsa_user_sgpr_queue_ptr 0
		.amdhsa_user_sgpr_kernarg_segment_ptr 1
		.amdhsa_user_sgpr_dispatch_id 0
		.amdhsa_user_sgpr_flat_scratch_init 0
		.amdhsa_user_sgpr_private_segment_size 0
		.amdhsa_wavefront_size32 1
		.amdhsa_uses_dynamic_stack 0
		.amdhsa_system_sgpr_private_segment_wavefront_offset 0
		.amdhsa_system_sgpr_workgroup_id_x 1
		.amdhsa_system_sgpr_workgroup_id_y 0
		.amdhsa_system_sgpr_workgroup_id_z 0
		.amdhsa_system_sgpr_workgroup_info 0
		.amdhsa_system_vgpr_workitem_id 0
		.amdhsa_next_free_vgpr 1
		.amdhsa_next_free_sgpr 1
		.amdhsa_reserve_vcc 0
		.amdhsa_reserve_flat_scratch 0
		.amdhsa_float_round_mode_32 0
		.amdhsa_float_round_mode_16_64 0
		.amdhsa_float_denorm_mode_32 3
		.amdhsa_float_denorm_mode_16_64 3
		.amdhsa_dx10_clamp 1
		.amdhsa_ieee_mode 1
		.amdhsa_fp16_overflow 0
		.amdhsa_workgroup_processor_mode 1
		.amdhsa_memory_ordered 1
		.amdhsa_forward_progress 1
		.amdhsa_shared_vgpr_count 0
		.amdhsa_exception_fp_ieee_invalid_op 0
		.amdhsa_exception_fp_denorm_src 0
		.amdhsa_exception_fp_ieee_div_zero 0
		.amdhsa_exception_fp_ieee_overflow 0
		.amdhsa_exception_fp_ieee_underflow 0
		.amdhsa_exception_fp_ieee_inexact 0
		.amdhsa_exception_int_div_zero 0
	.end_amdhsa_kernel
	.section	.text._ZN7rocprim17ROCPRIM_400000_NS6detail17trampoline_kernelINS0_14default_configENS1_27scan_by_key_config_selectorIxxEEZZNS1_16scan_by_key_implILNS1_25lookback_scan_determinismE0ELb1ES3_N6thrust23THRUST_200600_302600_NS6detail15normal_iteratorINS9_10device_ptrIxEEEESE_SE_xNS9_4plusIvEENS9_8equal_toIxEExEE10hipError_tPvRmT2_T3_T4_T5_mT6_T7_P12ihipStream_tbENKUlT_T0_E_clISt17integral_constantIbLb1EESZ_EEDaSU_SV_EUlSU_E_NS1_11comp_targetILNS1_3genE10ELNS1_11target_archE1201ELNS1_3gpuE5ELNS1_3repE0EEENS1_30default_config_static_selectorELNS0_4arch9wavefront6targetE0EEEvT1_,"axG",@progbits,_ZN7rocprim17ROCPRIM_400000_NS6detail17trampoline_kernelINS0_14default_configENS1_27scan_by_key_config_selectorIxxEEZZNS1_16scan_by_key_implILNS1_25lookback_scan_determinismE0ELb1ES3_N6thrust23THRUST_200600_302600_NS6detail15normal_iteratorINS9_10device_ptrIxEEEESE_SE_xNS9_4plusIvEENS9_8equal_toIxEExEE10hipError_tPvRmT2_T3_T4_T5_mT6_T7_P12ihipStream_tbENKUlT_T0_E_clISt17integral_constantIbLb1EESZ_EEDaSU_SV_EUlSU_E_NS1_11comp_targetILNS1_3genE10ELNS1_11target_archE1201ELNS1_3gpuE5ELNS1_3repE0EEENS1_30default_config_static_selectorELNS0_4arch9wavefront6targetE0EEEvT1_,comdat
.Lfunc_end435:
	.size	_ZN7rocprim17ROCPRIM_400000_NS6detail17trampoline_kernelINS0_14default_configENS1_27scan_by_key_config_selectorIxxEEZZNS1_16scan_by_key_implILNS1_25lookback_scan_determinismE0ELb1ES3_N6thrust23THRUST_200600_302600_NS6detail15normal_iteratorINS9_10device_ptrIxEEEESE_SE_xNS9_4plusIvEENS9_8equal_toIxEExEE10hipError_tPvRmT2_T3_T4_T5_mT6_T7_P12ihipStream_tbENKUlT_T0_E_clISt17integral_constantIbLb1EESZ_EEDaSU_SV_EUlSU_E_NS1_11comp_targetILNS1_3genE10ELNS1_11target_archE1201ELNS1_3gpuE5ELNS1_3repE0EEENS1_30default_config_static_selectorELNS0_4arch9wavefront6targetE0EEEvT1_, .Lfunc_end435-_ZN7rocprim17ROCPRIM_400000_NS6detail17trampoline_kernelINS0_14default_configENS1_27scan_by_key_config_selectorIxxEEZZNS1_16scan_by_key_implILNS1_25lookback_scan_determinismE0ELb1ES3_N6thrust23THRUST_200600_302600_NS6detail15normal_iteratorINS9_10device_ptrIxEEEESE_SE_xNS9_4plusIvEENS9_8equal_toIxEExEE10hipError_tPvRmT2_T3_T4_T5_mT6_T7_P12ihipStream_tbENKUlT_T0_E_clISt17integral_constantIbLb1EESZ_EEDaSU_SV_EUlSU_E_NS1_11comp_targetILNS1_3genE10ELNS1_11target_archE1201ELNS1_3gpuE5ELNS1_3repE0EEENS1_30default_config_static_selectorELNS0_4arch9wavefront6targetE0EEEvT1_
                                        ; -- End function
	.set _ZN7rocprim17ROCPRIM_400000_NS6detail17trampoline_kernelINS0_14default_configENS1_27scan_by_key_config_selectorIxxEEZZNS1_16scan_by_key_implILNS1_25lookback_scan_determinismE0ELb1ES3_N6thrust23THRUST_200600_302600_NS6detail15normal_iteratorINS9_10device_ptrIxEEEESE_SE_xNS9_4plusIvEENS9_8equal_toIxEExEE10hipError_tPvRmT2_T3_T4_T5_mT6_T7_P12ihipStream_tbENKUlT_T0_E_clISt17integral_constantIbLb1EESZ_EEDaSU_SV_EUlSU_E_NS1_11comp_targetILNS1_3genE10ELNS1_11target_archE1201ELNS1_3gpuE5ELNS1_3repE0EEENS1_30default_config_static_selectorELNS0_4arch9wavefront6targetE0EEEvT1_.num_vgpr, 0
	.set _ZN7rocprim17ROCPRIM_400000_NS6detail17trampoline_kernelINS0_14default_configENS1_27scan_by_key_config_selectorIxxEEZZNS1_16scan_by_key_implILNS1_25lookback_scan_determinismE0ELb1ES3_N6thrust23THRUST_200600_302600_NS6detail15normal_iteratorINS9_10device_ptrIxEEEESE_SE_xNS9_4plusIvEENS9_8equal_toIxEExEE10hipError_tPvRmT2_T3_T4_T5_mT6_T7_P12ihipStream_tbENKUlT_T0_E_clISt17integral_constantIbLb1EESZ_EEDaSU_SV_EUlSU_E_NS1_11comp_targetILNS1_3genE10ELNS1_11target_archE1201ELNS1_3gpuE5ELNS1_3repE0EEENS1_30default_config_static_selectorELNS0_4arch9wavefront6targetE0EEEvT1_.num_agpr, 0
	.set _ZN7rocprim17ROCPRIM_400000_NS6detail17trampoline_kernelINS0_14default_configENS1_27scan_by_key_config_selectorIxxEEZZNS1_16scan_by_key_implILNS1_25lookback_scan_determinismE0ELb1ES3_N6thrust23THRUST_200600_302600_NS6detail15normal_iteratorINS9_10device_ptrIxEEEESE_SE_xNS9_4plusIvEENS9_8equal_toIxEExEE10hipError_tPvRmT2_T3_T4_T5_mT6_T7_P12ihipStream_tbENKUlT_T0_E_clISt17integral_constantIbLb1EESZ_EEDaSU_SV_EUlSU_E_NS1_11comp_targetILNS1_3genE10ELNS1_11target_archE1201ELNS1_3gpuE5ELNS1_3repE0EEENS1_30default_config_static_selectorELNS0_4arch9wavefront6targetE0EEEvT1_.numbered_sgpr, 0
	.set _ZN7rocprim17ROCPRIM_400000_NS6detail17trampoline_kernelINS0_14default_configENS1_27scan_by_key_config_selectorIxxEEZZNS1_16scan_by_key_implILNS1_25lookback_scan_determinismE0ELb1ES3_N6thrust23THRUST_200600_302600_NS6detail15normal_iteratorINS9_10device_ptrIxEEEESE_SE_xNS9_4plusIvEENS9_8equal_toIxEExEE10hipError_tPvRmT2_T3_T4_T5_mT6_T7_P12ihipStream_tbENKUlT_T0_E_clISt17integral_constantIbLb1EESZ_EEDaSU_SV_EUlSU_E_NS1_11comp_targetILNS1_3genE10ELNS1_11target_archE1201ELNS1_3gpuE5ELNS1_3repE0EEENS1_30default_config_static_selectorELNS0_4arch9wavefront6targetE0EEEvT1_.num_named_barrier, 0
	.set _ZN7rocprim17ROCPRIM_400000_NS6detail17trampoline_kernelINS0_14default_configENS1_27scan_by_key_config_selectorIxxEEZZNS1_16scan_by_key_implILNS1_25lookback_scan_determinismE0ELb1ES3_N6thrust23THRUST_200600_302600_NS6detail15normal_iteratorINS9_10device_ptrIxEEEESE_SE_xNS9_4plusIvEENS9_8equal_toIxEExEE10hipError_tPvRmT2_T3_T4_T5_mT6_T7_P12ihipStream_tbENKUlT_T0_E_clISt17integral_constantIbLb1EESZ_EEDaSU_SV_EUlSU_E_NS1_11comp_targetILNS1_3genE10ELNS1_11target_archE1201ELNS1_3gpuE5ELNS1_3repE0EEENS1_30default_config_static_selectorELNS0_4arch9wavefront6targetE0EEEvT1_.private_seg_size, 0
	.set _ZN7rocprim17ROCPRIM_400000_NS6detail17trampoline_kernelINS0_14default_configENS1_27scan_by_key_config_selectorIxxEEZZNS1_16scan_by_key_implILNS1_25lookback_scan_determinismE0ELb1ES3_N6thrust23THRUST_200600_302600_NS6detail15normal_iteratorINS9_10device_ptrIxEEEESE_SE_xNS9_4plusIvEENS9_8equal_toIxEExEE10hipError_tPvRmT2_T3_T4_T5_mT6_T7_P12ihipStream_tbENKUlT_T0_E_clISt17integral_constantIbLb1EESZ_EEDaSU_SV_EUlSU_E_NS1_11comp_targetILNS1_3genE10ELNS1_11target_archE1201ELNS1_3gpuE5ELNS1_3repE0EEENS1_30default_config_static_selectorELNS0_4arch9wavefront6targetE0EEEvT1_.uses_vcc, 0
	.set _ZN7rocprim17ROCPRIM_400000_NS6detail17trampoline_kernelINS0_14default_configENS1_27scan_by_key_config_selectorIxxEEZZNS1_16scan_by_key_implILNS1_25lookback_scan_determinismE0ELb1ES3_N6thrust23THRUST_200600_302600_NS6detail15normal_iteratorINS9_10device_ptrIxEEEESE_SE_xNS9_4plusIvEENS9_8equal_toIxEExEE10hipError_tPvRmT2_T3_T4_T5_mT6_T7_P12ihipStream_tbENKUlT_T0_E_clISt17integral_constantIbLb1EESZ_EEDaSU_SV_EUlSU_E_NS1_11comp_targetILNS1_3genE10ELNS1_11target_archE1201ELNS1_3gpuE5ELNS1_3repE0EEENS1_30default_config_static_selectorELNS0_4arch9wavefront6targetE0EEEvT1_.uses_flat_scratch, 0
	.set _ZN7rocprim17ROCPRIM_400000_NS6detail17trampoline_kernelINS0_14default_configENS1_27scan_by_key_config_selectorIxxEEZZNS1_16scan_by_key_implILNS1_25lookback_scan_determinismE0ELb1ES3_N6thrust23THRUST_200600_302600_NS6detail15normal_iteratorINS9_10device_ptrIxEEEESE_SE_xNS9_4plusIvEENS9_8equal_toIxEExEE10hipError_tPvRmT2_T3_T4_T5_mT6_T7_P12ihipStream_tbENKUlT_T0_E_clISt17integral_constantIbLb1EESZ_EEDaSU_SV_EUlSU_E_NS1_11comp_targetILNS1_3genE10ELNS1_11target_archE1201ELNS1_3gpuE5ELNS1_3repE0EEENS1_30default_config_static_selectorELNS0_4arch9wavefront6targetE0EEEvT1_.has_dyn_sized_stack, 0
	.set _ZN7rocprim17ROCPRIM_400000_NS6detail17trampoline_kernelINS0_14default_configENS1_27scan_by_key_config_selectorIxxEEZZNS1_16scan_by_key_implILNS1_25lookback_scan_determinismE0ELb1ES3_N6thrust23THRUST_200600_302600_NS6detail15normal_iteratorINS9_10device_ptrIxEEEESE_SE_xNS9_4plusIvEENS9_8equal_toIxEExEE10hipError_tPvRmT2_T3_T4_T5_mT6_T7_P12ihipStream_tbENKUlT_T0_E_clISt17integral_constantIbLb1EESZ_EEDaSU_SV_EUlSU_E_NS1_11comp_targetILNS1_3genE10ELNS1_11target_archE1201ELNS1_3gpuE5ELNS1_3repE0EEENS1_30default_config_static_selectorELNS0_4arch9wavefront6targetE0EEEvT1_.has_recursion, 0
	.set _ZN7rocprim17ROCPRIM_400000_NS6detail17trampoline_kernelINS0_14default_configENS1_27scan_by_key_config_selectorIxxEEZZNS1_16scan_by_key_implILNS1_25lookback_scan_determinismE0ELb1ES3_N6thrust23THRUST_200600_302600_NS6detail15normal_iteratorINS9_10device_ptrIxEEEESE_SE_xNS9_4plusIvEENS9_8equal_toIxEExEE10hipError_tPvRmT2_T3_T4_T5_mT6_T7_P12ihipStream_tbENKUlT_T0_E_clISt17integral_constantIbLb1EESZ_EEDaSU_SV_EUlSU_E_NS1_11comp_targetILNS1_3genE10ELNS1_11target_archE1201ELNS1_3gpuE5ELNS1_3repE0EEENS1_30default_config_static_selectorELNS0_4arch9wavefront6targetE0EEEvT1_.has_indirect_call, 0
	.section	.AMDGPU.csdata,"",@progbits
; Kernel info:
; codeLenInByte = 0
; TotalNumSgprs: 0
; NumVgprs: 0
; ScratchSize: 0
; MemoryBound: 0
; FloatMode: 240
; IeeeMode: 1
; LDSByteSize: 0 bytes/workgroup (compile time only)
; SGPRBlocks: 0
; VGPRBlocks: 0
; NumSGPRsForWavesPerEU: 1
; NumVGPRsForWavesPerEU: 1
; Occupancy: 16
; WaveLimiterHint : 0
; COMPUTE_PGM_RSRC2:SCRATCH_EN: 0
; COMPUTE_PGM_RSRC2:USER_SGPR: 6
; COMPUTE_PGM_RSRC2:TRAP_HANDLER: 0
; COMPUTE_PGM_RSRC2:TGID_X_EN: 1
; COMPUTE_PGM_RSRC2:TGID_Y_EN: 0
; COMPUTE_PGM_RSRC2:TGID_Z_EN: 0
; COMPUTE_PGM_RSRC2:TIDIG_COMP_CNT: 0
	.section	.text._ZN7rocprim17ROCPRIM_400000_NS6detail17trampoline_kernelINS0_14default_configENS1_27scan_by_key_config_selectorIxxEEZZNS1_16scan_by_key_implILNS1_25lookback_scan_determinismE0ELb1ES3_N6thrust23THRUST_200600_302600_NS6detail15normal_iteratorINS9_10device_ptrIxEEEESE_SE_xNS9_4plusIvEENS9_8equal_toIxEExEE10hipError_tPvRmT2_T3_T4_T5_mT6_T7_P12ihipStream_tbENKUlT_T0_E_clISt17integral_constantIbLb1EESZ_EEDaSU_SV_EUlSU_E_NS1_11comp_targetILNS1_3genE5ELNS1_11target_archE942ELNS1_3gpuE9ELNS1_3repE0EEENS1_30default_config_static_selectorELNS0_4arch9wavefront6targetE0EEEvT1_,"axG",@progbits,_ZN7rocprim17ROCPRIM_400000_NS6detail17trampoline_kernelINS0_14default_configENS1_27scan_by_key_config_selectorIxxEEZZNS1_16scan_by_key_implILNS1_25lookback_scan_determinismE0ELb1ES3_N6thrust23THRUST_200600_302600_NS6detail15normal_iteratorINS9_10device_ptrIxEEEESE_SE_xNS9_4plusIvEENS9_8equal_toIxEExEE10hipError_tPvRmT2_T3_T4_T5_mT6_T7_P12ihipStream_tbENKUlT_T0_E_clISt17integral_constantIbLb1EESZ_EEDaSU_SV_EUlSU_E_NS1_11comp_targetILNS1_3genE5ELNS1_11target_archE942ELNS1_3gpuE9ELNS1_3repE0EEENS1_30default_config_static_selectorELNS0_4arch9wavefront6targetE0EEEvT1_,comdat
	.protected	_ZN7rocprim17ROCPRIM_400000_NS6detail17trampoline_kernelINS0_14default_configENS1_27scan_by_key_config_selectorIxxEEZZNS1_16scan_by_key_implILNS1_25lookback_scan_determinismE0ELb1ES3_N6thrust23THRUST_200600_302600_NS6detail15normal_iteratorINS9_10device_ptrIxEEEESE_SE_xNS9_4plusIvEENS9_8equal_toIxEExEE10hipError_tPvRmT2_T3_T4_T5_mT6_T7_P12ihipStream_tbENKUlT_T0_E_clISt17integral_constantIbLb1EESZ_EEDaSU_SV_EUlSU_E_NS1_11comp_targetILNS1_3genE5ELNS1_11target_archE942ELNS1_3gpuE9ELNS1_3repE0EEENS1_30default_config_static_selectorELNS0_4arch9wavefront6targetE0EEEvT1_ ; -- Begin function _ZN7rocprim17ROCPRIM_400000_NS6detail17trampoline_kernelINS0_14default_configENS1_27scan_by_key_config_selectorIxxEEZZNS1_16scan_by_key_implILNS1_25lookback_scan_determinismE0ELb1ES3_N6thrust23THRUST_200600_302600_NS6detail15normal_iteratorINS9_10device_ptrIxEEEESE_SE_xNS9_4plusIvEENS9_8equal_toIxEExEE10hipError_tPvRmT2_T3_T4_T5_mT6_T7_P12ihipStream_tbENKUlT_T0_E_clISt17integral_constantIbLb1EESZ_EEDaSU_SV_EUlSU_E_NS1_11comp_targetILNS1_3genE5ELNS1_11target_archE942ELNS1_3gpuE9ELNS1_3repE0EEENS1_30default_config_static_selectorELNS0_4arch9wavefront6targetE0EEEvT1_
	.globl	_ZN7rocprim17ROCPRIM_400000_NS6detail17trampoline_kernelINS0_14default_configENS1_27scan_by_key_config_selectorIxxEEZZNS1_16scan_by_key_implILNS1_25lookback_scan_determinismE0ELb1ES3_N6thrust23THRUST_200600_302600_NS6detail15normal_iteratorINS9_10device_ptrIxEEEESE_SE_xNS9_4plusIvEENS9_8equal_toIxEExEE10hipError_tPvRmT2_T3_T4_T5_mT6_T7_P12ihipStream_tbENKUlT_T0_E_clISt17integral_constantIbLb1EESZ_EEDaSU_SV_EUlSU_E_NS1_11comp_targetILNS1_3genE5ELNS1_11target_archE942ELNS1_3gpuE9ELNS1_3repE0EEENS1_30default_config_static_selectorELNS0_4arch9wavefront6targetE0EEEvT1_
	.p2align	8
	.type	_ZN7rocprim17ROCPRIM_400000_NS6detail17trampoline_kernelINS0_14default_configENS1_27scan_by_key_config_selectorIxxEEZZNS1_16scan_by_key_implILNS1_25lookback_scan_determinismE0ELb1ES3_N6thrust23THRUST_200600_302600_NS6detail15normal_iteratorINS9_10device_ptrIxEEEESE_SE_xNS9_4plusIvEENS9_8equal_toIxEExEE10hipError_tPvRmT2_T3_T4_T5_mT6_T7_P12ihipStream_tbENKUlT_T0_E_clISt17integral_constantIbLb1EESZ_EEDaSU_SV_EUlSU_E_NS1_11comp_targetILNS1_3genE5ELNS1_11target_archE942ELNS1_3gpuE9ELNS1_3repE0EEENS1_30default_config_static_selectorELNS0_4arch9wavefront6targetE0EEEvT1_,@function
_ZN7rocprim17ROCPRIM_400000_NS6detail17trampoline_kernelINS0_14default_configENS1_27scan_by_key_config_selectorIxxEEZZNS1_16scan_by_key_implILNS1_25lookback_scan_determinismE0ELb1ES3_N6thrust23THRUST_200600_302600_NS6detail15normal_iteratorINS9_10device_ptrIxEEEESE_SE_xNS9_4plusIvEENS9_8equal_toIxEExEE10hipError_tPvRmT2_T3_T4_T5_mT6_T7_P12ihipStream_tbENKUlT_T0_E_clISt17integral_constantIbLb1EESZ_EEDaSU_SV_EUlSU_E_NS1_11comp_targetILNS1_3genE5ELNS1_11target_archE942ELNS1_3gpuE9ELNS1_3repE0EEENS1_30default_config_static_selectorELNS0_4arch9wavefront6targetE0EEEvT1_: ; @_ZN7rocprim17ROCPRIM_400000_NS6detail17trampoline_kernelINS0_14default_configENS1_27scan_by_key_config_selectorIxxEEZZNS1_16scan_by_key_implILNS1_25lookback_scan_determinismE0ELb1ES3_N6thrust23THRUST_200600_302600_NS6detail15normal_iteratorINS9_10device_ptrIxEEEESE_SE_xNS9_4plusIvEENS9_8equal_toIxEExEE10hipError_tPvRmT2_T3_T4_T5_mT6_T7_P12ihipStream_tbENKUlT_T0_E_clISt17integral_constantIbLb1EESZ_EEDaSU_SV_EUlSU_E_NS1_11comp_targetILNS1_3genE5ELNS1_11target_archE942ELNS1_3gpuE9ELNS1_3repE0EEENS1_30default_config_static_selectorELNS0_4arch9wavefront6targetE0EEEvT1_
; %bb.0:
	.section	.rodata,"a",@progbits
	.p2align	6, 0x0
	.amdhsa_kernel _ZN7rocprim17ROCPRIM_400000_NS6detail17trampoline_kernelINS0_14default_configENS1_27scan_by_key_config_selectorIxxEEZZNS1_16scan_by_key_implILNS1_25lookback_scan_determinismE0ELb1ES3_N6thrust23THRUST_200600_302600_NS6detail15normal_iteratorINS9_10device_ptrIxEEEESE_SE_xNS9_4plusIvEENS9_8equal_toIxEExEE10hipError_tPvRmT2_T3_T4_T5_mT6_T7_P12ihipStream_tbENKUlT_T0_E_clISt17integral_constantIbLb1EESZ_EEDaSU_SV_EUlSU_E_NS1_11comp_targetILNS1_3genE5ELNS1_11target_archE942ELNS1_3gpuE9ELNS1_3repE0EEENS1_30default_config_static_selectorELNS0_4arch9wavefront6targetE0EEEvT1_
		.amdhsa_group_segment_fixed_size 0
		.amdhsa_private_segment_fixed_size 0
		.amdhsa_kernarg_size 136
		.amdhsa_user_sgpr_count 6
		.amdhsa_user_sgpr_private_segment_buffer 1
		.amdhsa_user_sgpr_dispatch_ptr 0
		.amdhsa_user_sgpr_queue_ptr 0
		.amdhsa_user_sgpr_kernarg_segment_ptr 1
		.amdhsa_user_sgpr_dispatch_id 0
		.amdhsa_user_sgpr_flat_scratch_init 0
		.amdhsa_user_sgpr_private_segment_size 0
		.amdhsa_wavefront_size32 1
		.amdhsa_uses_dynamic_stack 0
		.amdhsa_system_sgpr_private_segment_wavefront_offset 0
		.amdhsa_system_sgpr_workgroup_id_x 1
		.amdhsa_system_sgpr_workgroup_id_y 0
		.amdhsa_system_sgpr_workgroup_id_z 0
		.amdhsa_system_sgpr_workgroup_info 0
		.amdhsa_system_vgpr_workitem_id 0
		.amdhsa_next_free_vgpr 1
		.amdhsa_next_free_sgpr 1
		.amdhsa_reserve_vcc 0
		.amdhsa_reserve_flat_scratch 0
		.amdhsa_float_round_mode_32 0
		.amdhsa_float_round_mode_16_64 0
		.amdhsa_float_denorm_mode_32 3
		.amdhsa_float_denorm_mode_16_64 3
		.amdhsa_dx10_clamp 1
		.amdhsa_ieee_mode 1
		.amdhsa_fp16_overflow 0
		.amdhsa_workgroup_processor_mode 1
		.amdhsa_memory_ordered 1
		.amdhsa_forward_progress 1
		.amdhsa_shared_vgpr_count 0
		.amdhsa_exception_fp_ieee_invalid_op 0
		.amdhsa_exception_fp_denorm_src 0
		.amdhsa_exception_fp_ieee_div_zero 0
		.amdhsa_exception_fp_ieee_overflow 0
		.amdhsa_exception_fp_ieee_underflow 0
		.amdhsa_exception_fp_ieee_inexact 0
		.amdhsa_exception_int_div_zero 0
	.end_amdhsa_kernel
	.section	.text._ZN7rocprim17ROCPRIM_400000_NS6detail17trampoline_kernelINS0_14default_configENS1_27scan_by_key_config_selectorIxxEEZZNS1_16scan_by_key_implILNS1_25lookback_scan_determinismE0ELb1ES3_N6thrust23THRUST_200600_302600_NS6detail15normal_iteratorINS9_10device_ptrIxEEEESE_SE_xNS9_4plusIvEENS9_8equal_toIxEExEE10hipError_tPvRmT2_T3_T4_T5_mT6_T7_P12ihipStream_tbENKUlT_T0_E_clISt17integral_constantIbLb1EESZ_EEDaSU_SV_EUlSU_E_NS1_11comp_targetILNS1_3genE5ELNS1_11target_archE942ELNS1_3gpuE9ELNS1_3repE0EEENS1_30default_config_static_selectorELNS0_4arch9wavefront6targetE0EEEvT1_,"axG",@progbits,_ZN7rocprim17ROCPRIM_400000_NS6detail17trampoline_kernelINS0_14default_configENS1_27scan_by_key_config_selectorIxxEEZZNS1_16scan_by_key_implILNS1_25lookback_scan_determinismE0ELb1ES3_N6thrust23THRUST_200600_302600_NS6detail15normal_iteratorINS9_10device_ptrIxEEEESE_SE_xNS9_4plusIvEENS9_8equal_toIxEExEE10hipError_tPvRmT2_T3_T4_T5_mT6_T7_P12ihipStream_tbENKUlT_T0_E_clISt17integral_constantIbLb1EESZ_EEDaSU_SV_EUlSU_E_NS1_11comp_targetILNS1_3genE5ELNS1_11target_archE942ELNS1_3gpuE9ELNS1_3repE0EEENS1_30default_config_static_selectorELNS0_4arch9wavefront6targetE0EEEvT1_,comdat
.Lfunc_end436:
	.size	_ZN7rocprim17ROCPRIM_400000_NS6detail17trampoline_kernelINS0_14default_configENS1_27scan_by_key_config_selectorIxxEEZZNS1_16scan_by_key_implILNS1_25lookback_scan_determinismE0ELb1ES3_N6thrust23THRUST_200600_302600_NS6detail15normal_iteratorINS9_10device_ptrIxEEEESE_SE_xNS9_4plusIvEENS9_8equal_toIxEExEE10hipError_tPvRmT2_T3_T4_T5_mT6_T7_P12ihipStream_tbENKUlT_T0_E_clISt17integral_constantIbLb1EESZ_EEDaSU_SV_EUlSU_E_NS1_11comp_targetILNS1_3genE5ELNS1_11target_archE942ELNS1_3gpuE9ELNS1_3repE0EEENS1_30default_config_static_selectorELNS0_4arch9wavefront6targetE0EEEvT1_, .Lfunc_end436-_ZN7rocprim17ROCPRIM_400000_NS6detail17trampoline_kernelINS0_14default_configENS1_27scan_by_key_config_selectorIxxEEZZNS1_16scan_by_key_implILNS1_25lookback_scan_determinismE0ELb1ES3_N6thrust23THRUST_200600_302600_NS6detail15normal_iteratorINS9_10device_ptrIxEEEESE_SE_xNS9_4plusIvEENS9_8equal_toIxEExEE10hipError_tPvRmT2_T3_T4_T5_mT6_T7_P12ihipStream_tbENKUlT_T0_E_clISt17integral_constantIbLb1EESZ_EEDaSU_SV_EUlSU_E_NS1_11comp_targetILNS1_3genE5ELNS1_11target_archE942ELNS1_3gpuE9ELNS1_3repE0EEENS1_30default_config_static_selectorELNS0_4arch9wavefront6targetE0EEEvT1_
                                        ; -- End function
	.set _ZN7rocprim17ROCPRIM_400000_NS6detail17trampoline_kernelINS0_14default_configENS1_27scan_by_key_config_selectorIxxEEZZNS1_16scan_by_key_implILNS1_25lookback_scan_determinismE0ELb1ES3_N6thrust23THRUST_200600_302600_NS6detail15normal_iteratorINS9_10device_ptrIxEEEESE_SE_xNS9_4plusIvEENS9_8equal_toIxEExEE10hipError_tPvRmT2_T3_T4_T5_mT6_T7_P12ihipStream_tbENKUlT_T0_E_clISt17integral_constantIbLb1EESZ_EEDaSU_SV_EUlSU_E_NS1_11comp_targetILNS1_3genE5ELNS1_11target_archE942ELNS1_3gpuE9ELNS1_3repE0EEENS1_30default_config_static_selectorELNS0_4arch9wavefront6targetE0EEEvT1_.num_vgpr, 0
	.set _ZN7rocprim17ROCPRIM_400000_NS6detail17trampoline_kernelINS0_14default_configENS1_27scan_by_key_config_selectorIxxEEZZNS1_16scan_by_key_implILNS1_25lookback_scan_determinismE0ELb1ES3_N6thrust23THRUST_200600_302600_NS6detail15normal_iteratorINS9_10device_ptrIxEEEESE_SE_xNS9_4plusIvEENS9_8equal_toIxEExEE10hipError_tPvRmT2_T3_T4_T5_mT6_T7_P12ihipStream_tbENKUlT_T0_E_clISt17integral_constantIbLb1EESZ_EEDaSU_SV_EUlSU_E_NS1_11comp_targetILNS1_3genE5ELNS1_11target_archE942ELNS1_3gpuE9ELNS1_3repE0EEENS1_30default_config_static_selectorELNS0_4arch9wavefront6targetE0EEEvT1_.num_agpr, 0
	.set _ZN7rocprim17ROCPRIM_400000_NS6detail17trampoline_kernelINS0_14default_configENS1_27scan_by_key_config_selectorIxxEEZZNS1_16scan_by_key_implILNS1_25lookback_scan_determinismE0ELb1ES3_N6thrust23THRUST_200600_302600_NS6detail15normal_iteratorINS9_10device_ptrIxEEEESE_SE_xNS9_4plusIvEENS9_8equal_toIxEExEE10hipError_tPvRmT2_T3_T4_T5_mT6_T7_P12ihipStream_tbENKUlT_T0_E_clISt17integral_constantIbLb1EESZ_EEDaSU_SV_EUlSU_E_NS1_11comp_targetILNS1_3genE5ELNS1_11target_archE942ELNS1_3gpuE9ELNS1_3repE0EEENS1_30default_config_static_selectorELNS0_4arch9wavefront6targetE0EEEvT1_.numbered_sgpr, 0
	.set _ZN7rocprim17ROCPRIM_400000_NS6detail17trampoline_kernelINS0_14default_configENS1_27scan_by_key_config_selectorIxxEEZZNS1_16scan_by_key_implILNS1_25lookback_scan_determinismE0ELb1ES3_N6thrust23THRUST_200600_302600_NS6detail15normal_iteratorINS9_10device_ptrIxEEEESE_SE_xNS9_4plusIvEENS9_8equal_toIxEExEE10hipError_tPvRmT2_T3_T4_T5_mT6_T7_P12ihipStream_tbENKUlT_T0_E_clISt17integral_constantIbLb1EESZ_EEDaSU_SV_EUlSU_E_NS1_11comp_targetILNS1_3genE5ELNS1_11target_archE942ELNS1_3gpuE9ELNS1_3repE0EEENS1_30default_config_static_selectorELNS0_4arch9wavefront6targetE0EEEvT1_.num_named_barrier, 0
	.set _ZN7rocprim17ROCPRIM_400000_NS6detail17trampoline_kernelINS0_14default_configENS1_27scan_by_key_config_selectorIxxEEZZNS1_16scan_by_key_implILNS1_25lookback_scan_determinismE0ELb1ES3_N6thrust23THRUST_200600_302600_NS6detail15normal_iteratorINS9_10device_ptrIxEEEESE_SE_xNS9_4plusIvEENS9_8equal_toIxEExEE10hipError_tPvRmT2_T3_T4_T5_mT6_T7_P12ihipStream_tbENKUlT_T0_E_clISt17integral_constantIbLb1EESZ_EEDaSU_SV_EUlSU_E_NS1_11comp_targetILNS1_3genE5ELNS1_11target_archE942ELNS1_3gpuE9ELNS1_3repE0EEENS1_30default_config_static_selectorELNS0_4arch9wavefront6targetE0EEEvT1_.private_seg_size, 0
	.set _ZN7rocprim17ROCPRIM_400000_NS6detail17trampoline_kernelINS0_14default_configENS1_27scan_by_key_config_selectorIxxEEZZNS1_16scan_by_key_implILNS1_25lookback_scan_determinismE0ELb1ES3_N6thrust23THRUST_200600_302600_NS6detail15normal_iteratorINS9_10device_ptrIxEEEESE_SE_xNS9_4plusIvEENS9_8equal_toIxEExEE10hipError_tPvRmT2_T3_T4_T5_mT6_T7_P12ihipStream_tbENKUlT_T0_E_clISt17integral_constantIbLb1EESZ_EEDaSU_SV_EUlSU_E_NS1_11comp_targetILNS1_3genE5ELNS1_11target_archE942ELNS1_3gpuE9ELNS1_3repE0EEENS1_30default_config_static_selectorELNS0_4arch9wavefront6targetE0EEEvT1_.uses_vcc, 0
	.set _ZN7rocprim17ROCPRIM_400000_NS6detail17trampoline_kernelINS0_14default_configENS1_27scan_by_key_config_selectorIxxEEZZNS1_16scan_by_key_implILNS1_25lookback_scan_determinismE0ELb1ES3_N6thrust23THRUST_200600_302600_NS6detail15normal_iteratorINS9_10device_ptrIxEEEESE_SE_xNS9_4plusIvEENS9_8equal_toIxEExEE10hipError_tPvRmT2_T3_T4_T5_mT6_T7_P12ihipStream_tbENKUlT_T0_E_clISt17integral_constantIbLb1EESZ_EEDaSU_SV_EUlSU_E_NS1_11comp_targetILNS1_3genE5ELNS1_11target_archE942ELNS1_3gpuE9ELNS1_3repE0EEENS1_30default_config_static_selectorELNS0_4arch9wavefront6targetE0EEEvT1_.uses_flat_scratch, 0
	.set _ZN7rocprim17ROCPRIM_400000_NS6detail17trampoline_kernelINS0_14default_configENS1_27scan_by_key_config_selectorIxxEEZZNS1_16scan_by_key_implILNS1_25lookback_scan_determinismE0ELb1ES3_N6thrust23THRUST_200600_302600_NS6detail15normal_iteratorINS9_10device_ptrIxEEEESE_SE_xNS9_4plusIvEENS9_8equal_toIxEExEE10hipError_tPvRmT2_T3_T4_T5_mT6_T7_P12ihipStream_tbENKUlT_T0_E_clISt17integral_constantIbLb1EESZ_EEDaSU_SV_EUlSU_E_NS1_11comp_targetILNS1_3genE5ELNS1_11target_archE942ELNS1_3gpuE9ELNS1_3repE0EEENS1_30default_config_static_selectorELNS0_4arch9wavefront6targetE0EEEvT1_.has_dyn_sized_stack, 0
	.set _ZN7rocprim17ROCPRIM_400000_NS6detail17trampoline_kernelINS0_14default_configENS1_27scan_by_key_config_selectorIxxEEZZNS1_16scan_by_key_implILNS1_25lookback_scan_determinismE0ELb1ES3_N6thrust23THRUST_200600_302600_NS6detail15normal_iteratorINS9_10device_ptrIxEEEESE_SE_xNS9_4plusIvEENS9_8equal_toIxEExEE10hipError_tPvRmT2_T3_T4_T5_mT6_T7_P12ihipStream_tbENKUlT_T0_E_clISt17integral_constantIbLb1EESZ_EEDaSU_SV_EUlSU_E_NS1_11comp_targetILNS1_3genE5ELNS1_11target_archE942ELNS1_3gpuE9ELNS1_3repE0EEENS1_30default_config_static_selectorELNS0_4arch9wavefront6targetE0EEEvT1_.has_recursion, 0
	.set _ZN7rocprim17ROCPRIM_400000_NS6detail17trampoline_kernelINS0_14default_configENS1_27scan_by_key_config_selectorIxxEEZZNS1_16scan_by_key_implILNS1_25lookback_scan_determinismE0ELb1ES3_N6thrust23THRUST_200600_302600_NS6detail15normal_iteratorINS9_10device_ptrIxEEEESE_SE_xNS9_4plusIvEENS9_8equal_toIxEExEE10hipError_tPvRmT2_T3_T4_T5_mT6_T7_P12ihipStream_tbENKUlT_T0_E_clISt17integral_constantIbLb1EESZ_EEDaSU_SV_EUlSU_E_NS1_11comp_targetILNS1_3genE5ELNS1_11target_archE942ELNS1_3gpuE9ELNS1_3repE0EEENS1_30default_config_static_selectorELNS0_4arch9wavefront6targetE0EEEvT1_.has_indirect_call, 0
	.section	.AMDGPU.csdata,"",@progbits
; Kernel info:
; codeLenInByte = 0
; TotalNumSgprs: 0
; NumVgprs: 0
; ScratchSize: 0
; MemoryBound: 0
; FloatMode: 240
; IeeeMode: 1
; LDSByteSize: 0 bytes/workgroup (compile time only)
; SGPRBlocks: 0
; VGPRBlocks: 0
; NumSGPRsForWavesPerEU: 1
; NumVGPRsForWavesPerEU: 1
; Occupancy: 16
; WaveLimiterHint : 0
; COMPUTE_PGM_RSRC2:SCRATCH_EN: 0
; COMPUTE_PGM_RSRC2:USER_SGPR: 6
; COMPUTE_PGM_RSRC2:TRAP_HANDLER: 0
; COMPUTE_PGM_RSRC2:TGID_X_EN: 1
; COMPUTE_PGM_RSRC2:TGID_Y_EN: 0
; COMPUTE_PGM_RSRC2:TGID_Z_EN: 0
; COMPUTE_PGM_RSRC2:TIDIG_COMP_CNT: 0
	.section	.text._ZN7rocprim17ROCPRIM_400000_NS6detail17trampoline_kernelINS0_14default_configENS1_27scan_by_key_config_selectorIxxEEZZNS1_16scan_by_key_implILNS1_25lookback_scan_determinismE0ELb1ES3_N6thrust23THRUST_200600_302600_NS6detail15normal_iteratorINS9_10device_ptrIxEEEESE_SE_xNS9_4plusIvEENS9_8equal_toIxEExEE10hipError_tPvRmT2_T3_T4_T5_mT6_T7_P12ihipStream_tbENKUlT_T0_E_clISt17integral_constantIbLb1EESZ_EEDaSU_SV_EUlSU_E_NS1_11comp_targetILNS1_3genE4ELNS1_11target_archE910ELNS1_3gpuE8ELNS1_3repE0EEENS1_30default_config_static_selectorELNS0_4arch9wavefront6targetE0EEEvT1_,"axG",@progbits,_ZN7rocprim17ROCPRIM_400000_NS6detail17trampoline_kernelINS0_14default_configENS1_27scan_by_key_config_selectorIxxEEZZNS1_16scan_by_key_implILNS1_25lookback_scan_determinismE0ELb1ES3_N6thrust23THRUST_200600_302600_NS6detail15normal_iteratorINS9_10device_ptrIxEEEESE_SE_xNS9_4plusIvEENS9_8equal_toIxEExEE10hipError_tPvRmT2_T3_T4_T5_mT6_T7_P12ihipStream_tbENKUlT_T0_E_clISt17integral_constantIbLb1EESZ_EEDaSU_SV_EUlSU_E_NS1_11comp_targetILNS1_3genE4ELNS1_11target_archE910ELNS1_3gpuE8ELNS1_3repE0EEENS1_30default_config_static_selectorELNS0_4arch9wavefront6targetE0EEEvT1_,comdat
	.protected	_ZN7rocprim17ROCPRIM_400000_NS6detail17trampoline_kernelINS0_14default_configENS1_27scan_by_key_config_selectorIxxEEZZNS1_16scan_by_key_implILNS1_25lookback_scan_determinismE0ELb1ES3_N6thrust23THRUST_200600_302600_NS6detail15normal_iteratorINS9_10device_ptrIxEEEESE_SE_xNS9_4plusIvEENS9_8equal_toIxEExEE10hipError_tPvRmT2_T3_T4_T5_mT6_T7_P12ihipStream_tbENKUlT_T0_E_clISt17integral_constantIbLb1EESZ_EEDaSU_SV_EUlSU_E_NS1_11comp_targetILNS1_3genE4ELNS1_11target_archE910ELNS1_3gpuE8ELNS1_3repE0EEENS1_30default_config_static_selectorELNS0_4arch9wavefront6targetE0EEEvT1_ ; -- Begin function _ZN7rocprim17ROCPRIM_400000_NS6detail17trampoline_kernelINS0_14default_configENS1_27scan_by_key_config_selectorIxxEEZZNS1_16scan_by_key_implILNS1_25lookback_scan_determinismE0ELb1ES3_N6thrust23THRUST_200600_302600_NS6detail15normal_iteratorINS9_10device_ptrIxEEEESE_SE_xNS9_4plusIvEENS9_8equal_toIxEExEE10hipError_tPvRmT2_T3_T4_T5_mT6_T7_P12ihipStream_tbENKUlT_T0_E_clISt17integral_constantIbLb1EESZ_EEDaSU_SV_EUlSU_E_NS1_11comp_targetILNS1_3genE4ELNS1_11target_archE910ELNS1_3gpuE8ELNS1_3repE0EEENS1_30default_config_static_selectorELNS0_4arch9wavefront6targetE0EEEvT1_
	.globl	_ZN7rocprim17ROCPRIM_400000_NS6detail17trampoline_kernelINS0_14default_configENS1_27scan_by_key_config_selectorIxxEEZZNS1_16scan_by_key_implILNS1_25lookback_scan_determinismE0ELb1ES3_N6thrust23THRUST_200600_302600_NS6detail15normal_iteratorINS9_10device_ptrIxEEEESE_SE_xNS9_4plusIvEENS9_8equal_toIxEExEE10hipError_tPvRmT2_T3_T4_T5_mT6_T7_P12ihipStream_tbENKUlT_T0_E_clISt17integral_constantIbLb1EESZ_EEDaSU_SV_EUlSU_E_NS1_11comp_targetILNS1_3genE4ELNS1_11target_archE910ELNS1_3gpuE8ELNS1_3repE0EEENS1_30default_config_static_selectorELNS0_4arch9wavefront6targetE0EEEvT1_
	.p2align	8
	.type	_ZN7rocprim17ROCPRIM_400000_NS6detail17trampoline_kernelINS0_14default_configENS1_27scan_by_key_config_selectorIxxEEZZNS1_16scan_by_key_implILNS1_25lookback_scan_determinismE0ELb1ES3_N6thrust23THRUST_200600_302600_NS6detail15normal_iteratorINS9_10device_ptrIxEEEESE_SE_xNS9_4plusIvEENS9_8equal_toIxEExEE10hipError_tPvRmT2_T3_T4_T5_mT6_T7_P12ihipStream_tbENKUlT_T0_E_clISt17integral_constantIbLb1EESZ_EEDaSU_SV_EUlSU_E_NS1_11comp_targetILNS1_3genE4ELNS1_11target_archE910ELNS1_3gpuE8ELNS1_3repE0EEENS1_30default_config_static_selectorELNS0_4arch9wavefront6targetE0EEEvT1_,@function
_ZN7rocprim17ROCPRIM_400000_NS6detail17trampoline_kernelINS0_14default_configENS1_27scan_by_key_config_selectorIxxEEZZNS1_16scan_by_key_implILNS1_25lookback_scan_determinismE0ELb1ES3_N6thrust23THRUST_200600_302600_NS6detail15normal_iteratorINS9_10device_ptrIxEEEESE_SE_xNS9_4plusIvEENS9_8equal_toIxEExEE10hipError_tPvRmT2_T3_T4_T5_mT6_T7_P12ihipStream_tbENKUlT_T0_E_clISt17integral_constantIbLb1EESZ_EEDaSU_SV_EUlSU_E_NS1_11comp_targetILNS1_3genE4ELNS1_11target_archE910ELNS1_3gpuE8ELNS1_3repE0EEENS1_30default_config_static_selectorELNS0_4arch9wavefront6targetE0EEEvT1_: ; @_ZN7rocprim17ROCPRIM_400000_NS6detail17trampoline_kernelINS0_14default_configENS1_27scan_by_key_config_selectorIxxEEZZNS1_16scan_by_key_implILNS1_25lookback_scan_determinismE0ELb1ES3_N6thrust23THRUST_200600_302600_NS6detail15normal_iteratorINS9_10device_ptrIxEEEESE_SE_xNS9_4plusIvEENS9_8equal_toIxEExEE10hipError_tPvRmT2_T3_T4_T5_mT6_T7_P12ihipStream_tbENKUlT_T0_E_clISt17integral_constantIbLb1EESZ_EEDaSU_SV_EUlSU_E_NS1_11comp_targetILNS1_3genE4ELNS1_11target_archE910ELNS1_3gpuE8ELNS1_3repE0EEENS1_30default_config_static_selectorELNS0_4arch9wavefront6targetE0EEEvT1_
; %bb.0:
	.section	.rodata,"a",@progbits
	.p2align	6, 0x0
	.amdhsa_kernel _ZN7rocprim17ROCPRIM_400000_NS6detail17trampoline_kernelINS0_14default_configENS1_27scan_by_key_config_selectorIxxEEZZNS1_16scan_by_key_implILNS1_25lookback_scan_determinismE0ELb1ES3_N6thrust23THRUST_200600_302600_NS6detail15normal_iteratorINS9_10device_ptrIxEEEESE_SE_xNS9_4plusIvEENS9_8equal_toIxEExEE10hipError_tPvRmT2_T3_T4_T5_mT6_T7_P12ihipStream_tbENKUlT_T0_E_clISt17integral_constantIbLb1EESZ_EEDaSU_SV_EUlSU_E_NS1_11comp_targetILNS1_3genE4ELNS1_11target_archE910ELNS1_3gpuE8ELNS1_3repE0EEENS1_30default_config_static_selectorELNS0_4arch9wavefront6targetE0EEEvT1_
		.amdhsa_group_segment_fixed_size 0
		.amdhsa_private_segment_fixed_size 0
		.amdhsa_kernarg_size 136
		.amdhsa_user_sgpr_count 6
		.amdhsa_user_sgpr_private_segment_buffer 1
		.amdhsa_user_sgpr_dispatch_ptr 0
		.amdhsa_user_sgpr_queue_ptr 0
		.amdhsa_user_sgpr_kernarg_segment_ptr 1
		.amdhsa_user_sgpr_dispatch_id 0
		.amdhsa_user_sgpr_flat_scratch_init 0
		.amdhsa_user_sgpr_private_segment_size 0
		.amdhsa_wavefront_size32 1
		.amdhsa_uses_dynamic_stack 0
		.amdhsa_system_sgpr_private_segment_wavefront_offset 0
		.amdhsa_system_sgpr_workgroup_id_x 1
		.amdhsa_system_sgpr_workgroup_id_y 0
		.amdhsa_system_sgpr_workgroup_id_z 0
		.amdhsa_system_sgpr_workgroup_info 0
		.amdhsa_system_vgpr_workitem_id 0
		.amdhsa_next_free_vgpr 1
		.amdhsa_next_free_sgpr 1
		.amdhsa_reserve_vcc 0
		.amdhsa_reserve_flat_scratch 0
		.amdhsa_float_round_mode_32 0
		.amdhsa_float_round_mode_16_64 0
		.amdhsa_float_denorm_mode_32 3
		.amdhsa_float_denorm_mode_16_64 3
		.amdhsa_dx10_clamp 1
		.amdhsa_ieee_mode 1
		.amdhsa_fp16_overflow 0
		.amdhsa_workgroup_processor_mode 1
		.amdhsa_memory_ordered 1
		.amdhsa_forward_progress 1
		.amdhsa_shared_vgpr_count 0
		.amdhsa_exception_fp_ieee_invalid_op 0
		.amdhsa_exception_fp_denorm_src 0
		.amdhsa_exception_fp_ieee_div_zero 0
		.amdhsa_exception_fp_ieee_overflow 0
		.amdhsa_exception_fp_ieee_underflow 0
		.amdhsa_exception_fp_ieee_inexact 0
		.amdhsa_exception_int_div_zero 0
	.end_amdhsa_kernel
	.section	.text._ZN7rocprim17ROCPRIM_400000_NS6detail17trampoline_kernelINS0_14default_configENS1_27scan_by_key_config_selectorIxxEEZZNS1_16scan_by_key_implILNS1_25lookback_scan_determinismE0ELb1ES3_N6thrust23THRUST_200600_302600_NS6detail15normal_iteratorINS9_10device_ptrIxEEEESE_SE_xNS9_4plusIvEENS9_8equal_toIxEExEE10hipError_tPvRmT2_T3_T4_T5_mT6_T7_P12ihipStream_tbENKUlT_T0_E_clISt17integral_constantIbLb1EESZ_EEDaSU_SV_EUlSU_E_NS1_11comp_targetILNS1_3genE4ELNS1_11target_archE910ELNS1_3gpuE8ELNS1_3repE0EEENS1_30default_config_static_selectorELNS0_4arch9wavefront6targetE0EEEvT1_,"axG",@progbits,_ZN7rocprim17ROCPRIM_400000_NS6detail17trampoline_kernelINS0_14default_configENS1_27scan_by_key_config_selectorIxxEEZZNS1_16scan_by_key_implILNS1_25lookback_scan_determinismE0ELb1ES3_N6thrust23THRUST_200600_302600_NS6detail15normal_iteratorINS9_10device_ptrIxEEEESE_SE_xNS9_4plusIvEENS9_8equal_toIxEExEE10hipError_tPvRmT2_T3_T4_T5_mT6_T7_P12ihipStream_tbENKUlT_T0_E_clISt17integral_constantIbLb1EESZ_EEDaSU_SV_EUlSU_E_NS1_11comp_targetILNS1_3genE4ELNS1_11target_archE910ELNS1_3gpuE8ELNS1_3repE0EEENS1_30default_config_static_selectorELNS0_4arch9wavefront6targetE0EEEvT1_,comdat
.Lfunc_end437:
	.size	_ZN7rocprim17ROCPRIM_400000_NS6detail17trampoline_kernelINS0_14default_configENS1_27scan_by_key_config_selectorIxxEEZZNS1_16scan_by_key_implILNS1_25lookback_scan_determinismE0ELb1ES3_N6thrust23THRUST_200600_302600_NS6detail15normal_iteratorINS9_10device_ptrIxEEEESE_SE_xNS9_4plusIvEENS9_8equal_toIxEExEE10hipError_tPvRmT2_T3_T4_T5_mT6_T7_P12ihipStream_tbENKUlT_T0_E_clISt17integral_constantIbLb1EESZ_EEDaSU_SV_EUlSU_E_NS1_11comp_targetILNS1_3genE4ELNS1_11target_archE910ELNS1_3gpuE8ELNS1_3repE0EEENS1_30default_config_static_selectorELNS0_4arch9wavefront6targetE0EEEvT1_, .Lfunc_end437-_ZN7rocprim17ROCPRIM_400000_NS6detail17trampoline_kernelINS0_14default_configENS1_27scan_by_key_config_selectorIxxEEZZNS1_16scan_by_key_implILNS1_25lookback_scan_determinismE0ELb1ES3_N6thrust23THRUST_200600_302600_NS6detail15normal_iteratorINS9_10device_ptrIxEEEESE_SE_xNS9_4plusIvEENS9_8equal_toIxEExEE10hipError_tPvRmT2_T3_T4_T5_mT6_T7_P12ihipStream_tbENKUlT_T0_E_clISt17integral_constantIbLb1EESZ_EEDaSU_SV_EUlSU_E_NS1_11comp_targetILNS1_3genE4ELNS1_11target_archE910ELNS1_3gpuE8ELNS1_3repE0EEENS1_30default_config_static_selectorELNS0_4arch9wavefront6targetE0EEEvT1_
                                        ; -- End function
	.set _ZN7rocprim17ROCPRIM_400000_NS6detail17trampoline_kernelINS0_14default_configENS1_27scan_by_key_config_selectorIxxEEZZNS1_16scan_by_key_implILNS1_25lookback_scan_determinismE0ELb1ES3_N6thrust23THRUST_200600_302600_NS6detail15normal_iteratorINS9_10device_ptrIxEEEESE_SE_xNS9_4plusIvEENS9_8equal_toIxEExEE10hipError_tPvRmT2_T3_T4_T5_mT6_T7_P12ihipStream_tbENKUlT_T0_E_clISt17integral_constantIbLb1EESZ_EEDaSU_SV_EUlSU_E_NS1_11comp_targetILNS1_3genE4ELNS1_11target_archE910ELNS1_3gpuE8ELNS1_3repE0EEENS1_30default_config_static_selectorELNS0_4arch9wavefront6targetE0EEEvT1_.num_vgpr, 0
	.set _ZN7rocprim17ROCPRIM_400000_NS6detail17trampoline_kernelINS0_14default_configENS1_27scan_by_key_config_selectorIxxEEZZNS1_16scan_by_key_implILNS1_25lookback_scan_determinismE0ELb1ES3_N6thrust23THRUST_200600_302600_NS6detail15normal_iteratorINS9_10device_ptrIxEEEESE_SE_xNS9_4plusIvEENS9_8equal_toIxEExEE10hipError_tPvRmT2_T3_T4_T5_mT6_T7_P12ihipStream_tbENKUlT_T0_E_clISt17integral_constantIbLb1EESZ_EEDaSU_SV_EUlSU_E_NS1_11comp_targetILNS1_3genE4ELNS1_11target_archE910ELNS1_3gpuE8ELNS1_3repE0EEENS1_30default_config_static_selectorELNS0_4arch9wavefront6targetE0EEEvT1_.num_agpr, 0
	.set _ZN7rocprim17ROCPRIM_400000_NS6detail17trampoline_kernelINS0_14default_configENS1_27scan_by_key_config_selectorIxxEEZZNS1_16scan_by_key_implILNS1_25lookback_scan_determinismE0ELb1ES3_N6thrust23THRUST_200600_302600_NS6detail15normal_iteratorINS9_10device_ptrIxEEEESE_SE_xNS9_4plusIvEENS9_8equal_toIxEExEE10hipError_tPvRmT2_T3_T4_T5_mT6_T7_P12ihipStream_tbENKUlT_T0_E_clISt17integral_constantIbLb1EESZ_EEDaSU_SV_EUlSU_E_NS1_11comp_targetILNS1_3genE4ELNS1_11target_archE910ELNS1_3gpuE8ELNS1_3repE0EEENS1_30default_config_static_selectorELNS0_4arch9wavefront6targetE0EEEvT1_.numbered_sgpr, 0
	.set _ZN7rocprim17ROCPRIM_400000_NS6detail17trampoline_kernelINS0_14default_configENS1_27scan_by_key_config_selectorIxxEEZZNS1_16scan_by_key_implILNS1_25lookback_scan_determinismE0ELb1ES3_N6thrust23THRUST_200600_302600_NS6detail15normal_iteratorINS9_10device_ptrIxEEEESE_SE_xNS9_4plusIvEENS9_8equal_toIxEExEE10hipError_tPvRmT2_T3_T4_T5_mT6_T7_P12ihipStream_tbENKUlT_T0_E_clISt17integral_constantIbLb1EESZ_EEDaSU_SV_EUlSU_E_NS1_11comp_targetILNS1_3genE4ELNS1_11target_archE910ELNS1_3gpuE8ELNS1_3repE0EEENS1_30default_config_static_selectorELNS0_4arch9wavefront6targetE0EEEvT1_.num_named_barrier, 0
	.set _ZN7rocprim17ROCPRIM_400000_NS6detail17trampoline_kernelINS0_14default_configENS1_27scan_by_key_config_selectorIxxEEZZNS1_16scan_by_key_implILNS1_25lookback_scan_determinismE0ELb1ES3_N6thrust23THRUST_200600_302600_NS6detail15normal_iteratorINS9_10device_ptrIxEEEESE_SE_xNS9_4plusIvEENS9_8equal_toIxEExEE10hipError_tPvRmT2_T3_T4_T5_mT6_T7_P12ihipStream_tbENKUlT_T0_E_clISt17integral_constantIbLb1EESZ_EEDaSU_SV_EUlSU_E_NS1_11comp_targetILNS1_3genE4ELNS1_11target_archE910ELNS1_3gpuE8ELNS1_3repE0EEENS1_30default_config_static_selectorELNS0_4arch9wavefront6targetE0EEEvT1_.private_seg_size, 0
	.set _ZN7rocprim17ROCPRIM_400000_NS6detail17trampoline_kernelINS0_14default_configENS1_27scan_by_key_config_selectorIxxEEZZNS1_16scan_by_key_implILNS1_25lookback_scan_determinismE0ELb1ES3_N6thrust23THRUST_200600_302600_NS6detail15normal_iteratorINS9_10device_ptrIxEEEESE_SE_xNS9_4plusIvEENS9_8equal_toIxEExEE10hipError_tPvRmT2_T3_T4_T5_mT6_T7_P12ihipStream_tbENKUlT_T0_E_clISt17integral_constantIbLb1EESZ_EEDaSU_SV_EUlSU_E_NS1_11comp_targetILNS1_3genE4ELNS1_11target_archE910ELNS1_3gpuE8ELNS1_3repE0EEENS1_30default_config_static_selectorELNS0_4arch9wavefront6targetE0EEEvT1_.uses_vcc, 0
	.set _ZN7rocprim17ROCPRIM_400000_NS6detail17trampoline_kernelINS0_14default_configENS1_27scan_by_key_config_selectorIxxEEZZNS1_16scan_by_key_implILNS1_25lookback_scan_determinismE0ELb1ES3_N6thrust23THRUST_200600_302600_NS6detail15normal_iteratorINS9_10device_ptrIxEEEESE_SE_xNS9_4plusIvEENS9_8equal_toIxEExEE10hipError_tPvRmT2_T3_T4_T5_mT6_T7_P12ihipStream_tbENKUlT_T0_E_clISt17integral_constantIbLb1EESZ_EEDaSU_SV_EUlSU_E_NS1_11comp_targetILNS1_3genE4ELNS1_11target_archE910ELNS1_3gpuE8ELNS1_3repE0EEENS1_30default_config_static_selectorELNS0_4arch9wavefront6targetE0EEEvT1_.uses_flat_scratch, 0
	.set _ZN7rocprim17ROCPRIM_400000_NS6detail17trampoline_kernelINS0_14default_configENS1_27scan_by_key_config_selectorIxxEEZZNS1_16scan_by_key_implILNS1_25lookback_scan_determinismE0ELb1ES3_N6thrust23THRUST_200600_302600_NS6detail15normal_iteratorINS9_10device_ptrIxEEEESE_SE_xNS9_4plusIvEENS9_8equal_toIxEExEE10hipError_tPvRmT2_T3_T4_T5_mT6_T7_P12ihipStream_tbENKUlT_T0_E_clISt17integral_constantIbLb1EESZ_EEDaSU_SV_EUlSU_E_NS1_11comp_targetILNS1_3genE4ELNS1_11target_archE910ELNS1_3gpuE8ELNS1_3repE0EEENS1_30default_config_static_selectorELNS0_4arch9wavefront6targetE0EEEvT1_.has_dyn_sized_stack, 0
	.set _ZN7rocprim17ROCPRIM_400000_NS6detail17trampoline_kernelINS0_14default_configENS1_27scan_by_key_config_selectorIxxEEZZNS1_16scan_by_key_implILNS1_25lookback_scan_determinismE0ELb1ES3_N6thrust23THRUST_200600_302600_NS6detail15normal_iteratorINS9_10device_ptrIxEEEESE_SE_xNS9_4plusIvEENS9_8equal_toIxEExEE10hipError_tPvRmT2_T3_T4_T5_mT6_T7_P12ihipStream_tbENKUlT_T0_E_clISt17integral_constantIbLb1EESZ_EEDaSU_SV_EUlSU_E_NS1_11comp_targetILNS1_3genE4ELNS1_11target_archE910ELNS1_3gpuE8ELNS1_3repE0EEENS1_30default_config_static_selectorELNS0_4arch9wavefront6targetE0EEEvT1_.has_recursion, 0
	.set _ZN7rocprim17ROCPRIM_400000_NS6detail17trampoline_kernelINS0_14default_configENS1_27scan_by_key_config_selectorIxxEEZZNS1_16scan_by_key_implILNS1_25lookback_scan_determinismE0ELb1ES3_N6thrust23THRUST_200600_302600_NS6detail15normal_iteratorINS9_10device_ptrIxEEEESE_SE_xNS9_4plusIvEENS9_8equal_toIxEExEE10hipError_tPvRmT2_T3_T4_T5_mT6_T7_P12ihipStream_tbENKUlT_T0_E_clISt17integral_constantIbLb1EESZ_EEDaSU_SV_EUlSU_E_NS1_11comp_targetILNS1_3genE4ELNS1_11target_archE910ELNS1_3gpuE8ELNS1_3repE0EEENS1_30default_config_static_selectorELNS0_4arch9wavefront6targetE0EEEvT1_.has_indirect_call, 0
	.section	.AMDGPU.csdata,"",@progbits
; Kernel info:
; codeLenInByte = 0
; TotalNumSgprs: 0
; NumVgprs: 0
; ScratchSize: 0
; MemoryBound: 0
; FloatMode: 240
; IeeeMode: 1
; LDSByteSize: 0 bytes/workgroup (compile time only)
; SGPRBlocks: 0
; VGPRBlocks: 0
; NumSGPRsForWavesPerEU: 1
; NumVGPRsForWavesPerEU: 1
; Occupancy: 16
; WaveLimiterHint : 0
; COMPUTE_PGM_RSRC2:SCRATCH_EN: 0
; COMPUTE_PGM_RSRC2:USER_SGPR: 6
; COMPUTE_PGM_RSRC2:TRAP_HANDLER: 0
; COMPUTE_PGM_RSRC2:TGID_X_EN: 1
; COMPUTE_PGM_RSRC2:TGID_Y_EN: 0
; COMPUTE_PGM_RSRC2:TGID_Z_EN: 0
; COMPUTE_PGM_RSRC2:TIDIG_COMP_CNT: 0
	.section	.text._ZN7rocprim17ROCPRIM_400000_NS6detail17trampoline_kernelINS0_14default_configENS1_27scan_by_key_config_selectorIxxEEZZNS1_16scan_by_key_implILNS1_25lookback_scan_determinismE0ELb1ES3_N6thrust23THRUST_200600_302600_NS6detail15normal_iteratorINS9_10device_ptrIxEEEESE_SE_xNS9_4plusIvEENS9_8equal_toIxEExEE10hipError_tPvRmT2_T3_T4_T5_mT6_T7_P12ihipStream_tbENKUlT_T0_E_clISt17integral_constantIbLb1EESZ_EEDaSU_SV_EUlSU_E_NS1_11comp_targetILNS1_3genE3ELNS1_11target_archE908ELNS1_3gpuE7ELNS1_3repE0EEENS1_30default_config_static_selectorELNS0_4arch9wavefront6targetE0EEEvT1_,"axG",@progbits,_ZN7rocprim17ROCPRIM_400000_NS6detail17trampoline_kernelINS0_14default_configENS1_27scan_by_key_config_selectorIxxEEZZNS1_16scan_by_key_implILNS1_25lookback_scan_determinismE0ELb1ES3_N6thrust23THRUST_200600_302600_NS6detail15normal_iteratorINS9_10device_ptrIxEEEESE_SE_xNS9_4plusIvEENS9_8equal_toIxEExEE10hipError_tPvRmT2_T3_T4_T5_mT6_T7_P12ihipStream_tbENKUlT_T0_E_clISt17integral_constantIbLb1EESZ_EEDaSU_SV_EUlSU_E_NS1_11comp_targetILNS1_3genE3ELNS1_11target_archE908ELNS1_3gpuE7ELNS1_3repE0EEENS1_30default_config_static_selectorELNS0_4arch9wavefront6targetE0EEEvT1_,comdat
	.protected	_ZN7rocprim17ROCPRIM_400000_NS6detail17trampoline_kernelINS0_14default_configENS1_27scan_by_key_config_selectorIxxEEZZNS1_16scan_by_key_implILNS1_25lookback_scan_determinismE0ELb1ES3_N6thrust23THRUST_200600_302600_NS6detail15normal_iteratorINS9_10device_ptrIxEEEESE_SE_xNS9_4plusIvEENS9_8equal_toIxEExEE10hipError_tPvRmT2_T3_T4_T5_mT6_T7_P12ihipStream_tbENKUlT_T0_E_clISt17integral_constantIbLb1EESZ_EEDaSU_SV_EUlSU_E_NS1_11comp_targetILNS1_3genE3ELNS1_11target_archE908ELNS1_3gpuE7ELNS1_3repE0EEENS1_30default_config_static_selectorELNS0_4arch9wavefront6targetE0EEEvT1_ ; -- Begin function _ZN7rocprim17ROCPRIM_400000_NS6detail17trampoline_kernelINS0_14default_configENS1_27scan_by_key_config_selectorIxxEEZZNS1_16scan_by_key_implILNS1_25lookback_scan_determinismE0ELb1ES3_N6thrust23THRUST_200600_302600_NS6detail15normal_iteratorINS9_10device_ptrIxEEEESE_SE_xNS9_4plusIvEENS9_8equal_toIxEExEE10hipError_tPvRmT2_T3_T4_T5_mT6_T7_P12ihipStream_tbENKUlT_T0_E_clISt17integral_constantIbLb1EESZ_EEDaSU_SV_EUlSU_E_NS1_11comp_targetILNS1_3genE3ELNS1_11target_archE908ELNS1_3gpuE7ELNS1_3repE0EEENS1_30default_config_static_selectorELNS0_4arch9wavefront6targetE0EEEvT1_
	.globl	_ZN7rocprim17ROCPRIM_400000_NS6detail17trampoline_kernelINS0_14default_configENS1_27scan_by_key_config_selectorIxxEEZZNS1_16scan_by_key_implILNS1_25lookback_scan_determinismE0ELb1ES3_N6thrust23THRUST_200600_302600_NS6detail15normal_iteratorINS9_10device_ptrIxEEEESE_SE_xNS9_4plusIvEENS9_8equal_toIxEExEE10hipError_tPvRmT2_T3_T4_T5_mT6_T7_P12ihipStream_tbENKUlT_T0_E_clISt17integral_constantIbLb1EESZ_EEDaSU_SV_EUlSU_E_NS1_11comp_targetILNS1_3genE3ELNS1_11target_archE908ELNS1_3gpuE7ELNS1_3repE0EEENS1_30default_config_static_selectorELNS0_4arch9wavefront6targetE0EEEvT1_
	.p2align	8
	.type	_ZN7rocprim17ROCPRIM_400000_NS6detail17trampoline_kernelINS0_14default_configENS1_27scan_by_key_config_selectorIxxEEZZNS1_16scan_by_key_implILNS1_25lookback_scan_determinismE0ELb1ES3_N6thrust23THRUST_200600_302600_NS6detail15normal_iteratorINS9_10device_ptrIxEEEESE_SE_xNS9_4plusIvEENS9_8equal_toIxEExEE10hipError_tPvRmT2_T3_T4_T5_mT6_T7_P12ihipStream_tbENKUlT_T0_E_clISt17integral_constantIbLb1EESZ_EEDaSU_SV_EUlSU_E_NS1_11comp_targetILNS1_3genE3ELNS1_11target_archE908ELNS1_3gpuE7ELNS1_3repE0EEENS1_30default_config_static_selectorELNS0_4arch9wavefront6targetE0EEEvT1_,@function
_ZN7rocprim17ROCPRIM_400000_NS6detail17trampoline_kernelINS0_14default_configENS1_27scan_by_key_config_selectorIxxEEZZNS1_16scan_by_key_implILNS1_25lookback_scan_determinismE0ELb1ES3_N6thrust23THRUST_200600_302600_NS6detail15normal_iteratorINS9_10device_ptrIxEEEESE_SE_xNS9_4plusIvEENS9_8equal_toIxEExEE10hipError_tPvRmT2_T3_T4_T5_mT6_T7_P12ihipStream_tbENKUlT_T0_E_clISt17integral_constantIbLb1EESZ_EEDaSU_SV_EUlSU_E_NS1_11comp_targetILNS1_3genE3ELNS1_11target_archE908ELNS1_3gpuE7ELNS1_3repE0EEENS1_30default_config_static_selectorELNS0_4arch9wavefront6targetE0EEEvT1_: ; @_ZN7rocprim17ROCPRIM_400000_NS6detail17trampoline_kernelINS0_14default_configENS1_27scan_by_key_config_selectorIxxEEZZNS1_16scan_by_key_implILNS1_25lookback_scan_determinismE0ELb1ES3_N6thrust23THRUST_200600_302600_NS6detail15normal_iteratorINS9_10device_ptrIxEEEESE_SE_xNS9_4plusIvEENS9_8equal_toIxEExEE10hipError_tPvRmT2_T3_T4_T5_mT6_T7_P12ihipStream_tbENKUlT_T0_E_clISt17integral_constantIbLb1EESZ_EEDaSU_SV_EUlSU_E_NS1_11comp_targetILNS1_3genE3ELNS1_11target_archE908ELNS1_3gpuE7ELNS1_3repE0EEENS1_30default_config_static_selectorELNS0_4arch9wavefront6targetE0EEEvT1_
; %bb.0:
	.section	.rodata,"a",@progbits
	.p2align	6, 0x0
	.amdhsa_kernel _ZN7rocprim17ROCPRIM_400000_NS6detail17trampoline_kernelINS0_14default_configENS1_27scan_by_key_config_selectorIxxEEZZNS1_16scan_by_key_implILNS1_25lookback_scan_determinismE0ELb1ES3_N6thrust23THRUST_200600_302600_NS6detail15normal_iteratorINS9_10device_ptrIxEEEESE_SE_xNS9_4plusIvEENS9_8equal_toIxEExEE10hipError_tPvRmT2_T3_T4_T5_mT6_T7_P12ihipStream_tbENKUlT_T0_E_clISt17integral_constantIbLb1EESZ_EEDaSU_SV_EUlSU_E_NS1_11comp_targetILNS1_3genE3ELNS1_11target_archE908ELNS1_3gpuE7ELNS1_3repE0EEENS1_30default_config_static_selectorELNS0_4arch9wavefront6targetE0EEEvT1_
		.amdhsa_group_segment_fixed_size 0
		.amdhsa_private_segment_fixed_size 0
		.amdhsa_kernarg_size 136
		.amdhsa_user_sgpr_count 6
		.amdhsa_user_sgpr_private_segment_buffer 1
		.amdhsa_user_sgpr_dispatch_ptr 0
		.amdhsa_user_sgpr_queue_ptr 0
		.amdhsa_user_sgpr_kernarg_segment_ptr 1
		.amdhsa_user_sgpr_dispatch_id 0
		.amdhsa_user_sgpr_flat_scratch_init 0
		.amdhsa_user_sgpr_private_segment_size 0
		.amdhsa_wavefront_size32 1
		.amdhsa_uses_dynamic_stack 0
		.amdhsa_system_sgpr_private_segment_wavefront_offset 0
		.amdhsa_system_sgpr_workgroup_id_x 1
		.amdhsa_system_sgpr_workgroup_id_y 0
		.amdhsa_system_sgpr_workgroup_id_z 0
		.amdhsa_system_sgpr_workgroup_info 0
		.amdhsa_system_vgpr_workitem_id 0
		.amdhsa_next_free_vgpr 1
		.amdhsa_next_free_sgpr 1
		.amdhsa_reserve_vcc 0
		.amdhsa_reserve_flat_scratch 0
		.amdhsa_float_round_mode_32 0
		.amdhsa_float_round_mode_16_64 0
		.amdhsa_float_denorm_mode_32 3
		.amdhsa_float_denorm_mode_16_64 3
		.amdhsa_dx10_clamp 1
		.amdhsa_ieee_mode 1
		.amdhsa_fp16_overflow 0
		.amdhsa_workgroup_processor_mode 1
		.amdhsa_memory_ordered 1
		.amdhsa_forward_progress 1
		.amdhsa_shared_vgpr_count 0
		.amdhsa_exception_fp_ieee_invalid_op 0
		.amdhsa_exception_fp_denorm_src 0
		.amdhsa_exception_fp_ieee_div_zero 0
		.amdhsa_exception_fp_ieee_overflow 0
		.amdhsa_exception_fp_ieee_underflow 0
		.amdhsa_exception_fp_ieee_inexact 0
		.amdhsa_exception_int_div_zero 0
	.end_amdhsa_kernel
	.section	.text._ZN7rocprim17ROCPRIM_400000_NS6detail17trampoline_kernelINS0_14default_configENS1_27scan_by_key_config_selectorIxxEEZZNS1_16scan_by_key_implILNS1_25lookback_scan_determinismE0ELb1ES3_N6thrust23THRUST_200600_302600_NS6detail15normal_iteratorINS9_10device_ptrIxEEEESE_SE_xNS9_4plusIvEENS9_8equal_toIxEExEE10hipError_tPvRmT2_T3_T4_T5_mT6_T7_P12ihipStream_tbENKUlT_T0_E_clISt17integral_constantIbLb1EESZ_EEDaSU_SV_EUlSU_E_NS1_11comp_targetILNS1_3genE3ELNS1_11target_archE908ELNS1_3gpuE7ELNS1_3repE0EEENS1_30default_config_static_selectorELNS0_4arch9wavefront6targetE0EEEvT1_,"axG",@progbits,_ZN7rocprim17ROCPRIM_400000_NS6detail17trampoline_kernelINS0_14default_configENS1_27scan_by_key_config_selectorIxxEEZZNS1_16scan_by_key_implILNS1_25lookback_scan_determinismE0ELb1ES3_N6thrust23THRUST_200600_302600_NS6detail15normal_iteratorINS9_10device_ptrIxEEEESE_SE_xNS9_4plusIvEENS9_8equal_toIxEExEE10hipError_tPvRmT2_T3_T4_T5_mT6_T7_P12ihipStream_tbENKUlT_T0_E_clISt17integral_constantIbLb1EESZ_EEDaSU_SV_EUlSU_E_NS1_11comp_targetILNS1_3genE3ELNS1_11target_archE908ELNS1_3gpuE7ELNS1_3repE0EEENS1_30default_config_static_selectorELNS0_4arch9wavefront6targetE0EEEvT1_,comdat
.Lfunc_end438:
	.size	_ZN7rocprim17ROCPRIM_400000_NS6detail17trampoline_kernelINS0_14default_configENS1_27scan_by_key_config_selectorIxxEEZZNS1_16scan_by_key_implILNS1_25lookback_scan_determinismE0ELb1ES3_N6thrust23THRUST_200600_302600_NS6detail15normal_iteratorINS9_10device_ptrIxEEEESE_SE_xNS9_4plusIvEENS9_8equal_toIxEExEE10hipError_tPvRmT2_T3_T4_T5_mT6_T7_P12ihipStream_tbENKUlT_T0_E_clISt17integral_constantIbLb1EESZ_EEDaSU_SV_EUlSU_E_NS1_11comp_targetILNS1_3genE3ELNS1_11target_archE908ELNS1_3gpuE7ELNS1_3repE0EEENS1_30default_config_static_selectorELNS0_4arch9wavefront6targetE0EEEvT1_, .Lfunc_end438-_ZN7rocprim17ROCPRIM_400000_NS6detail17trampoline_kernelINS0_14default_configENS1_27scan_by_key_config_selectorIxxEEZZNS1_16scan_by_key_implILNS1_25lookback_scan_determinismE0ELb1ES3_N6thrust23THRUST_200600_302600_NS6detail15normal_iteratorINS9_10device_ptrIxEEEESE_SE_xNS9_4plusIvEENS9_8equal_toIxEExEE10hipError_tPvRmT2_T3_T4_T5_mT6_T7_P12ihipStream_tbENKUlT_T0_E_clISt17integral_constantIbLb1EESZ_EEDaSU_SV_EUlSU_E_NS1_11comp_targetILNS1_3genE3ELNS1_11target_archE908ELNS1_3gpuE7ELNS1_3repE0EEENS1_30default_config_static_selectorELNS0_4arch9wavefront6targetE0EEEvT1_
                                        ; -- End function
	.set _ZN7rocprim17ROCPRIM_400000_NS6detail17trampoline_kernelINS0_14default_configENS1_27scan_by_key_config_selectorIxxEEZZNS1_16scan_by_key_implILNS1_25lookback_scan_determinismE0ELb1ES3_N6thrust23THRUST_200600_302600_NS6detail15normal_iteratorINS9_10device_ptrIxEEEESE_SE_xNS9_4plusIvEENS9_8equal_toIxEExEE10hipError_tPvRmT2_T3_T4_T5_mT6_T7_P12ihipStream_tbENKUlT_T0_E_clISt17integral_constantIbLb1EESZ_EEDaSU_SV_EUlSU_E_NS1_11comp_targetILNS1_3genE3ELNS1_11target_archE908ELNS1_3gpuE7ELNS1_3repE0EEENS1_30default_config_static_selectorELNS0_4arch9wavefront6targetE0EEEvT1_.num_vgpr, 0
	.set _ZN7rocprim17ROCPRIM_400000_NS6detail17trampoline_kernelINS0_14default_configENS1_27scan_by_key_config_selectorIxxEEZZNS1_16scan_by_key_implILNS1_25lookback_scan_determinismE0ELb1ES3_N6thrust23THRUST_200600_302600_NS6detail15normal_iteratorINS9_10device_ptrIxEEEESE_SE_xNS9_4plusIvEENS9_8equal_toIxEExEE10hipError_tPvRmT2_T3_T4_T5_mT6_T7_P12ihipStream_tbENKUlT_T0_E_clISt17integral_constantIbLb1EESZ_EEDaSU_SV_EUlSU_E_NS1_11comp_targetILNS1_3genE3ELNS1_11target_archE908ELNS1_3gpuE7ELNS1_3repE0EEENS1_30default_config_static_selectorELNS0_4arch9wavefront6targetE0EEEvT1_.num_agpr, 0
	.set _ZN7rocprim17ROCPRIM_400000_NS6detail17trampoline_kernelINS0_14default_configENS1_27scan_by_key_config_selectorIxxEEZZNS1_16scan_by_key_implILNS1_25lookback_scan_determinismE0ELb1ES3_N6thrust23THRUST_200600_302600_NS6detail15normal_iteratorINS9_10device_ptrIxEEEESE_SE_xNS9_4plusIvEENS9_8equal_toIxEExEE10hipError_tPvRmT2_T3_T4_T5_mT6_T7_P12ihipStream_tbENKUlT_T0_E_clISt17integral_constantIbLb1EESZ_EEDaSU_SV_EUlSU_E_NS1_11comp_targetILNS1_3genE3ELNS1_11target_archE908ELNS1_3gpuE7ELNS1_3repE0EEENS1_30default_config_static_selectorELNS0_4arch9wavefront6targetE0EEEvT1_.numbered_sgpr, 0
	.set _ZN7rocprim17ROCPRIM_400000_NS6detail17trampoline_kernelINS0_14default_configENS1_27scan_by_key_config_selectorIxxEEZZNS1_16scan_by_key_implILNS1_25lookback_scan_determinismE0ELb1ES3_N6thrust23THRUST_200600_302600_NS6detail15normal_iteratorINS9_10device_ptrIxEEEESE_SE_xNS9_4plusIvEENS9_8equal_toIxEExEE10hipError_tPvRmT2_T3_T4_T5_mT6_T7_P12ihipStream_tbENKUlT_T0_E_clISt17integral_constantIbLb1EESZ_EEDaSU_SV_EUlSU_E_NS1_11comp_targetILNS1_3genE3ELNS1_11target_archE908ELNS1_3gpuE7ELNS1_3repE0EEENS1_30default_config_static_selectorELNS0_4arch9wavefront6targetE0EEEvT1_.num_named_barrier, 0
	.set _ZN7rocprim17ROCPRIM_400000_NS6detail17trampoline_kernelINS0_14default_configENS1_27scan_by_key_config_selectorIxxEEZZNS1_16scan_by_key_implILNS1_25lookback_scan_determinismE0ELb1ES3_N6thrust23THRUST_200600_302600_NS6detail15normal_iteratorINS9_10device_ptrIxEEEESE_SE_xNS9_4plusIvEENS9_8equal_toIxEExEE10hipError_tPvRmT2_T3_T4_T5_mT6_T7_P12ihipStream_tbENKUlT_T0_E_clISt17integral_constantIbLb1EESZ_EEDaSU_SV_EUlSU_E_NS1_11comp_targetILNS1_3genE3ELNS1_11target_archE908ELNS1_3gpuE7ELNS1_3repE0EEENS1_30default_config_static_selectorELNS0_4arch9wavefront6targetE0EEEvT1_.private_seg_size, 0
	.set _ZN7rocprim17ROCPRIM_400000_NS6detail17trampoline_kernelINS0_14default_configENS1_27scan_by_key_config_selectorIxxEEZZNS1_16scan_by_key_implILNS1_25lookback_scan_determinismE0ELb1ES3_N6thrust23THRUST_200600_302600_NS6detail15normal_iteratorINS9_10device_ptrIxEEEESE_SE_xNS9_4plusIvEENS9_8equal_toIxEExEE10hipError_tPvRmT2_T3_T4_T5_mT6_T7_P12ihipStream_tbENKUlT_T0_E_clISt17integral_constantIbLb1EESZ_EEDaSU_SV_EUlSU_E_NS1_11comp_targetILNS1_3genE3ELNS1_11target_archE908ELNS1_3gpuE7ELNS1_3repE0EEENS1_30default_config_static_selectorELNS0_4arch9wavefront6targetE0EEEvT1_.uses_vcc, 0
	.set _ZN7rocprim17ROCPRIM_400000_NS6detail17trampoline_kernelINS0_14default_configENS1_27scan_by_key_config_selectorIxxEEZZNS1_16scan_by_key_implILNS1_25lookback_scan_determinismE0ELb1ES3_N6thrust23THRUST_200600_302600_NS6detail15normal_iteratorINS9_10device_ptrIxEEEESE_SE_xNS9_4plusIvEENS9_8equal_toIxEExEE10hipError_tPvRmT2_T3_T4_T5_mT6_T7_P12ihipStream_tbENKUlT_T0_E_clISt17integral_constantIbLb1EESZ_EEDaSU_SV_EUlSU_E_NS1_11comp_targetILNS1_3genE3ELNS1_11target_archE908ELNS1_3gpuE7ELNS1_3repE0EEENS1_30default_config_static_selectorELNS0_4arch9wavefront6targetE0EEEvT1_.uses_flat_scratch, 0
	.set _ZN7rocprim17ROCPRIM_400000_NS6detail17trampoline_kernelINS0_14default_configENS1_27scan_by_key_config_selectorIxxEEZZNS1_16scan_by_key_implILNS1_25lookback_scan_determinismE0ELb1ES3_N6thrust23THRUST_200600_302600_NS6detail15normal_iteratorINS9_10device_ptrIxEEEESE_SE_xNS9_4plusIvEENS9_8equal_toIxEExEE10hipError_tPvRmT2_T3_T4_T5_mT6_T7_P12ihipStream_tbENKUlT_T0_E_clISt17integral_constantIbLb1EESZ_EEDaSU_SV_EUlSU_E_NS1_11comp_targetILNS1_3genE3ELNS1_11target_archE908ELNS1_3gpuE7ELNS1_3repE0EEENS1_30default_config_static_selectorELNS0_4arch9wavefront6targetE0EEEvT1_.has_dyn_sized_stack, 0
	.set _ZN7rocprim17ROCPRIM_400000_NS6detail17trampoline_kernelINS0_14default_configENS1_27scan_by_key_config_selectorIxxEEZZNS1_16scan_by_key_implILNS1_25lookback_scan_determinismE0ELb1ES3_N6thrust23THRUST_200600_302600_NS6detail15normal_iteratorINS9_10device_ptrIxEEEESE_SE_xNS9_4plusIvEENS9_8equal_toIxEExEE10hipError_tPvRmT2_T3_T4_T5_mT6_T7_P12ihipStream_tbENKUlT_T0_E_clISt17integral_constantIbLb1EESZ_EEDaSU_SV_EUlSU_E_NS1_11comp_targetILNS1_3genE3ELNS1_11target_archE908ELNS1_3gpuE7ELNS1_3repE0EEENS1_30default_config_static_selectorELNS0_4arch9wavefront6targetE0EEEvT1_.has_recursion, 0
	.set _ZN7rocprim17ROCPRIM_400000_NS6detail17trampoline_kernelINS0_14default_configENS1_27scan_by_key_config_selectorIxxEEZZNS1_16scan_by_key_implILNS1_25lookback_scan_determinismE0ELb1ES3_N6thrust23THRUST_200600_302600_NS6detail15normal_iteratorINS9_10device_ptrIxEEEESE_SE_xNS9_4plusIvEENS9_8equal_toIxEExEE10hipError_tPvRmT2_T3_T4_T5_mT6_T7_P12ihipStream_tbENKUlT_T0_E_clISt17integral_constantIbLb1EESZ_EEDaSU_SV_EUlSU_E_NS1_11comp_targetILNS1_3genE3ELNS1_11target_archE908ELNS1_3gpuE7ELNS1_3repE0EEENS1_30default_config_static_selectorELNS0_4arch9wavefront6targetE0EEEvT1_.has_indirect_call, 0
	.section	.AMDGPU.csdata,"",@progbits
; Kernel info:
; codeLenInByte = 0
; TotalNumSgprs: 0
; NumVgprs: 0
; ScratchSize: 0
; MemoryBound: 0
; FloatMode: 240
; IeeeMode: 1
; LDSByteSize: 0 bytes/workgroup (compile time only)
; SGPRBlocks: 0
; VGPRBlocks: 0
; NumSGPRsForWavesPerEU: 1
; NumVGPRsForWavesPerEU: 1
; Occupancy: 16
; WaveLimiterHint : 0
; COMPUTE_PGM_RSRC2:SCRATCH_EN: 0
; COMPUTE_PGM_RSRC2:USER_SGPR: 6
; COMPUTE_PGM_RSRC2:TRAP_HANDLER: 0
; COMPUTE_PGM_RSRC2:TGID_X_EN: 1
; COMPUTE_PGM_RSRC2:TGID_Y_EN: 0
; COMPUTE_PGM_RSRC2:TGID_Z_EN: 0
; COMPUTE_PGM_RSRC2:TIDIG_COMP_CNT: 0
	.section	.text._ZN7rocprim17ROCPRIM_400000_NS6detail17trampoline_kernelINS0_14default_configENS1_27scan_by_key_config_selectorIxxEEZZNS1_16scan_by_key_implILNS1_25lookback_scan_determinismE0ELb1ES3_N6thrust23THRUST_200600_302600_NS6detail15normal_iteratorINS9_10device_ptrIxEEEESE_SE_xNS9_4plusIvEENS9_8equal_toIxEExEE10hipError_tPvRmT2_T3_T4_T5_mT6_T7_P12ihipStream_tbENKUlT_T0_E_clISt17integral_constantIbLb1EESZ_EEDaSU_SV_EUlSU_E_NS1_11comp_targetILNS1_3genE2ELNS1_11target_archE906ELNS1_3gpuE6ELNS1_3repE0EEENS1_30default_config_static_selectorELNS0_4arch9wavefront6targetE0EEEvT1_,"axG",@progbits,_ZN7rocprim17ROCPRIM_400000_NS6detail17trampoline_kernelINS0_14default_configENS1_27scan_by_key_config_selectorIxxEEZZNS1_16scan_by_key_implILNS1_25lookback_scan_determinismE0ELb1ES3_N6thrust23THRUST_200600_302600_NS6detail15normal_iteratorINS9_10device_ptrIxEEEESE_SE_xNS9_4plusIvEENS9_8equal_toIxEExEE10hipError_tPvRmT2_T3_T4_T5_mT6_T7_P12ihipStream_tbENKUlT_T0_E_clISt17integral_constantIbLb1EESZ_EEDaSU_SV_EUlSU_E_NS1_11comp_targetILNS1_3genE2ELNS1_11target_archE906ELNS1_3gpuE6ELNS1_3repE0EEENS1_30default_config_static_selectorELNS0_4arch9wavefront6targetE0EEEvT1_,comdat
	.protected	_ZN7rocprim17ROCPRIM_400000_NS6detail17trampoline_kernelINS0_14default_configENS1_27scan_by_key_config_selectorIxxEEZZNS1_16scan_by_key_implILNS1_25lookback_scan_determinismE0ELb1ES3_N6thrust23THRUST_200600_302600_NS6detail15normal_iteratorINS9_10device_ptrIxEEEESE_SE_xNS9_4plusIvEENS9_8equal_toIxEExEE10hipError_tPvRmT2_T3_T4_T5_mT6_T7_P12ihipStream_tbENKUlT_T0_E_clISt17integral_constantIbLb1EESZ_EEDaSU_SV_EUlSU_E_NS1_11comp_targetILNS1_3genE2ELNS1_11target_archE906ELNS1_3gpuE6ELNS1_3repE0EEENS1_30default_config_static_selectorELNS0_4arch9wavefront6targetE0EEEvT1_ ; -- Begin function _ZN7rocprim17ROCPRIM_400000_NS6detail17trampoline_kernelINS0_14default_configENS1_27scan_by_key_config_selectorIxxEEZZNS1_16scan_by_key_implILNS1_25lookback_scan_determinismE0ELb1ES3_N6thrust23THRUST_200600_302600_NS6detail15normal_iteratorINS9_10device_ptrIxEEEESE_SE_xNS9_4plusIvEENS9_8equal_toIxEExEE10hipError_tPvRmT2_T3_T4_T5_mT6_T7_P12ihipStream_tbENKUlT_T0_E_clISt17integral_constantIbLb1EESZ_EEDaSU_SV_EUlSU_E_NS1_11comp_targetILNS1_3genE2ELNS1_11target_archE906ELNS1_3gpuE6ELNS1_3repE0EEENS1_30default_config_static_selectorELNS0_4arch9wavefront6targetE0EEEvT1_
	.globl	_ZN7rocprim17ROCPRIM_400000_NS6detail17trampoline_kernelINS0_14default_configENS1_27scan_by_key_config_selectorIxxEEZZNS1_16scan_by_key_implILNS1_25lookback_scan_determinismE0ELb1ES3_N6thrust23THRUST_200600_302600_NS6detail15normal_iteratorINS9_10device_ptrIxEEEESE_SE_xNS9_4plusIvEENS9_8equal_toIxEExEE10hipError_tPvRmT2_T3_T4_T5_mT6_T7_P12ihipStream_tbENKUlT_T0_E_clISt17integral_constantIbLb1EESZ_EEDaSU_SV_EUlSU_E_NS1_11comp_targetILNS1_3genE2ELNS1_11target_archE906ELNS1_3gpuE6ELNS1_3repE0EEENS1_30default_config_static_selectorELNS0_4arch9wavefront6targetE0EEEvT1_
	.p2align	8
	.type	_ZN7rocprim17ROCPRIM_400000_NS6detail17trampoline_kernelINS0_14default_configENS1_27scan_by_key_config_selectorIxxEEZZNS1_16scan_by_key_implILNS1_25lookback_scan_determinismE0ELb1ES3_N6thrust23THRUST_200600_302600_NS6detail15normal_iteratorINS9_10device_ptrIxEEEESE_SE_xNS9_4plusIvEENS9_8equal_toIxEExEE10hipError_tPvRmT2_T3_T4_T5_mT6_T7_P12ihipStream_tbENKUlT_T0_E_clISt17integral_constantIbLb1EESZ_EEDaSU_SV_EUlSU_E_NS1_11comp_targetILNS1_3genE2ELNS1_11target_archE906ELNS1_3gpuE6ELNS1_3repE0EEENS1_30default_config_static_selectorELNS0_4arch9wavefront6targetE0EEEvT1_,@function
_ZN7rocprim17ROCPRIM_400000_NS6detail17trampoline_kernelINS0_14default_configENS1_27scan_by_key_config_selectorIxxEEZZNS1_16scan_by_key_implILNS1_25lookback_scan_determinismE0ELb1ES3_N6thrust23THRUST_200600_302600_NS6detail15normal_iteratorINS9_10device_ptrIxEEEESE_SE_xNS9_4plusIvEENS9_8equal_toIxEExEE10hipError_tPvRmT2_T3_T4_T5_mT6_T7_P12ihipStream_tbENKUlT_T0_E_clISt17integral_constantIbLb1EESZ_EEDaSU_SV_EUlSU_E_NS1_11comp_targetILNS1_3genE2ELNS1_11target_archE906ELNS1_3gpuE6ELNS1_3repE0EEENS1_30default_config_static_selectorELNS0_4arch9wavefront6targetE0EEEvT1_: ; @_ZN7rocprim17ROCPRIM_400000_NS6detail17trampoline_kernelINS0_14default_configENS1_27scan_by_key_config_selectorIxxEEZZNS1_16scan_by_key_implILNS1_25lookback_scan_determinismE0ELb1ES3_N6thrust23THRUST_200600_302600_NS6detail15normal_iteratorINS9_10device_ptrIxEEEESE_SE_xNS9_4plusIvEENS9_8equal_toIxEExEE10hipError_tPvRmT2_T3_T4_T5_mT6_T7_P12ihipStream_tbENKUlT_T0_E_clISt17integral_constantIbLb1EESZ_EEDaSU_SV_EUlSU_E_NS1_11comp_targetILNS1_3genE2ELNS1_11target_archE906ELNS1_3gpuE6ELNS1_3repE0EEENS1_30default_config_static_selectorELNS0_4arch9wavefront6targetE0EEEvT1_
; %bb.0:
	.section	.rodata,"a",@progbits
	.p2align	6, 0x0
	.amdhsa_kernel _ZN7rocprim17ROCPRIM_400000_NS6detail17trampoline_kernelINS0_14default_configENS1_27scan_by_key_config_selectorIxxEEZZNS1_16scan_by_key_implILNS1_25lookback_scan_determinismE0ELb1ES3_N6thrust23THRUST_200600_302600_NS6detail15normal_iteratorINS9_10device_ptrIxEEEESE_SE_xNS9_4plusIvEENS9_8equal_toIxEExEE10hipError_tPvRmT2_T3_T4_T5_mT6_T7_P12ihipStream_tbENKUlT_T0_E_clISt17integral_constantIbLb1EESZ_EEDaSU_SV_EUlSU_E_NS1_11comp_targetILNS1_3genE2ELNS1_11target_archE906ELNS1_3gpuE6ELNS1_3repE0EEENS1_30default_config_static_selectorELNS0_4arch9wavefront6targetE0EEEvT1_
		.amdhsa_group_segment_fixed_size 0
		.amdhsa_private_segment_fixed_size 0
		.amdhsa_kernarg_size 136
		.amdhsa_user_sgpr_count 6
		.amdhsa_user_sgpr_private_segment_buffer 1
		.amdhsa_user_sgpr_dispatch_ptr 0
		.amdhsa_user_sgpr_queue_ptr 0
		.amdhsa_user_sgpr_kernarg_segment_ptr 1
		.amdhsa_user_sgpr_dispatch_id 0
		.amdhsa_user_sgpr_flat_scratch_init 0
		.amdhsa_user_sgpr_private_segment_size 0
		.amdhsa_wavefront_size32 1
		.amdhsa_uses_dynamic_stack 0
		.amdhsa_system_sgpr_private_segment_wavefront_offset 0
		.amdhsa_system_sgpr_workgroup_id_x 1
		.amdhsa_system_sgpr_workgroup_id_y 0
		.amdhsa_system_sgpr_workgroup_id_z 0
		.amdhsa_system_sgpr_workgroup_info 0
		.amdhsa_system_vgpr_workitem_id 0
		.amdhsa_next_free_vgpr 1
		.amdhsa_next_free_sgpr 1
		.amdhsa_reserve_vcc 0
		.amdhsa_reserve_flat_scratch 0
		.amdhsa_float_round_mode_32 0
		.amdhsa_float_round_mode_16_64 0
		.amdhsa_float_denorm_mode_32 3
		.amdhsa_float_denorm_mode_16_64 3
		.amdhsa_dx10_clamp 1
		.amdhsa_ieee_mode 1
		.amdhsa_fp16_overflow 0
		.amdhsa_workgroup_processor_mode 1
		.amdhsa_memory_ordered 1
		.amdhsa_forward_progress 1
		.amdhsa_shared_vgpr_count 0
		.amdhsa_exception_fp_ieee_invalid_op 0
		.amdhsa_exception_fp_denorm_src 0
		.amdhsa_exception_fp_ieee_div_zero 0
		.amdhsa_exception_fp_ieee_overflow 0
		.amdhsa_exception_fp_ieee_underflow 0
		.amdhsa_exception_fp_ieee_inexact 0
		.amdhsa_exception_int_div_zero 0
	.end_amdhsa_kernel
	.section	.text._ZN7rocprim17ROCPRIM_400000_NS6detail17trampoline_kernelINS0_14default_configENS1_27scan_by_key_config_selectorIxxEEZZNS1_16scan_by_key_implILNS1_25lookback_scan_determinismE0ELb1ES3_N6thrust23THRUST_200600_302600_NS6detail15normal_iteratorINS9_10device_ptrIxEEEESE_SE_xNS9_4plusIvEENS9_8equal_toIxEExEE10hipError_tPvRmT2_T3_T4_T5_mT6_T7_P12ihipStream_tbENKUlT_T0_E_clISt17integral_constantIbLb1EESZ_EEDaSU_SV_EUlSU_E_NS1_11comp_targetILNS1_3genE2ELNS1_11target_archE906ELNS1_3gpuE6ELNS1_3repE0EEENS1_30default_config_static_selectorELNS0_4arch9wavefront6targetE0EEEvT1_,"axG",@progbits,_ZN7rocprim17ROCPRIM_400000_NS6detail17trampoline_kernelINS0_14default_configENS1_27scan_by_key_config_selectorIxxEEZZNS1_16scan_by_key_implILNS1_25lookback_scan_determinismE0ELb1ES3_N6thrust23THRUST_200600_302600_NS6detail15normal_iteratorINS9_10device_ptrIxEEEESE_SE_xNS9_4plusIvEENS9_8equal_toIxEExEE10hipError_tPvRmT2_T3_T4_T5_mT6_T7_P12ihipStream_tbENKUlT_T0_E_clISt17integral_constantIbLb1EESZ_EEDaSU_SV_EUlSU_E_NS1_11comp_targetILNS1_3genE2ELNS1_11target_archE906ELNS1_3gpuE6ELNS1_3repE0EEENS1_30default_config_static_selectorELNS0_4arch9wavefront6targetE0EEEvT1_,comdat
.Lfunc_end439:
	.size	_ZN7rocprim17ROCPRIM_400000_NS6detail17trampoline_kernelINS0_14default_configENS1_27scan_by_key_config_selectorIxxEEZZNS1_16scan_by_key_implILNS1_25lookback_scan_determinismE0ELb1ES3_N6thrust23THRUST_200600_302600_NS6detail15normal_iteratorINS9_10device_ptrIxEEEESE_SE_xNS9_4plusIvEENS9_8equal_toIxEExEE10hipError_tPvRmT2_T3_T4_T5_mT6_T7_P12ihipStream_tbENKUlT_T0_E_clISt17integral_constantIbLb1EESZ_EEDaSU_SV_EUlSU_E_NS1_11comp_targetILNS1_3genE2ELNS1_11target_archE906ELNS1_3gpuE6ELNS1_3repE0EEENS1_30default_config_static_selectorELNS0_4arch9wavefront6targetE0EEEvT1_, .Lfunc_end439-_ZN7rocprim17ROCPRIM_400000_NS6detail17trampoline_kernelINS0_14default_configENS1_27scan_by_key_config_selectorIxxEEZZNS1_16scan_by_key_implILNS1_25lookback_scan_determinismE0ELb1ES3_N6thrust23THRUST_200600_302600_NS6detail15normal_iteratorINS9_10device_ptrIxEEEESE_SE_xNS9_4plusIvEENS9_8equal_toIxEExEE10hipError_tPvRmT2_T3_T4_T5_mT6_T7_P12ihipStream_tbENKUlT_T0_E_clISt17integral_constantIbLb1EESZ_EEDaSU_SV_EUlSU_E_NS1_11comp_targetILNS1_3genE2ELNS1_11target_archE906ELNS1_3gpuE6ELNS1_3repE0EEENS1_30default_config_static_selectorELNS0_4arch9wavefront6targetE0EEEvT1_
                                        ; -- End function
	.set _ZN7rocprim17ROCPRIM_400000_NS6detail17trampoline_kernelINS0_14default_configENS1_27scan_by_key_config_selectorIxxEEZZNS1_16scan_by_key_implILNS1_25lookback_scan_determinismE0ELb1ES3_N6thrust23THRUST_200600_302600_NS6detail15normal_iteratorINS9_10device_ptrIxEEEESE_SE_xNS9_4plusIvEENS9_8equal_toIxEExEE10hipError_tPvRmT2_T3_T4_T5_mT6_T7_P12ihipStream_tbENKUlT_T0_E_clISt17integral_constantIbLb1EESZ_EEDaSU_SV_EUlSU_E_NS1_11comp_targetILNS1_3genE2ELNS1_11target_archE906ELNS1_3gpuE6ELNS1_3repE0EEENS1_30default_config_static_selectorELNS0_4arch9wavefront6targetE0EEEvT1_.num_vgpr, 0
	.set _ZN7rocprim17ROCPRIM_400000_NS6detail17trampoline_kernelINS0_14default_configENS1_27scan_by_key_config_selectorIxxEEZZNS1_16scan_by_key_implILNS1_25lookback_scan_determinismE0ELb1ES3_N6thrust23THRUST_200600_302600_NS6detail15normal_iteratorINS9_10device_ptrIxEEEESE_SE_xNS9_4plusIvEENS9_8equal_toIxEExEE10hipError_tPvRmT2_T3_T4_T5_mT6_T7_P12ihipStream_tbENKUlT_T0_E_clISt17integral_constantIbLb1EESZ_EEDaSU_SV_EUlSU_E_NS1_11comp_targetILNS1_3genE2ELNS1_11target_archE906ELNS1_3gpuE6ELNS1_3repE0EEENS1_30default_config_static_selectorELNS0_4arch9wavefront6targetE0EEEvT1_.num_agpr, 0
	.set _ZN7rocprim17ROCPRIM_400000_NS6detail17trampoline_kernelINS0_14default_configENS1_27scan_by_key_config_selectorIxxEEZZNS1_16scan_by_key_implILNS1_25lookback_scan_determinismE0ELb1ES3_N6thrust23THRUST_200600_302600_NS6detail15normal_iteratorINS9_10device_ptrIxEEEESE_SE_xNS9_4plusIvEENS9_8equal_toIxEExEE10hipError_tPvRmT2_T3_T4_T5_mT6_T7_P12ihipStream_tbENKUlT_T0_E_clISt17integral_constantIbLb1EESZ_EEDaSU_SV_EUlSU_E_NS1_11comp_targetILNS1_3genE2ELNS1_11target_archE906ELNS1_3gpuE6ELNS1_3repE0EEENS1_30default_config_static_selectorELNS0_4arch9wavefront6targetE0EEEvT1_.numbered_sgpr, 0
	.set _ZN7rocprim17ROCPRIM_400000_NS6detail17trampoline_kernelINS0_14default_configENS1_27scan_by_key_config_selectorIxxEEZZNS1_16scan_by_key_implILNS1_25lookback_scan_determinismE0ELb1ES3_N6thrust23THRUST_200600_302600_NS6detail15normal_iteratorINS9_10device_ptrIxEEEESE_SE_xNS9_4plusIvEENS9_8equal_toIxEExEE10hipError_tPvRmT2_T3_T4_T5_mT6_T7_P12ihipStream_tbENKUlT_T0_E_clISt17integral_constantIbLb1EESZ_EEDaSU_SV_EUlSU_E_NS1_11comp_targetILNS1_3genE2ELNS1_11target_archE906ELNS1_3gpuE6ELNS1_3repE0EEENS1_30default_config_static_selectorELNS0_4arch9wavefront6targetE0EEEvT1_.num_named_barrier, 0
	.set _ZN7rocprim17ROCPRIM_400000_NS6detail17trampoline_kernelINS0_14default_configENS1_27scan_by_key_config_selectorIxxEEZZNS1_16scan_by_key_implILNS1_25lookback_scan_determinismE0ELb1ES3_N6thrust23THRUST_200600_302600_NS6detail15normal_iteratorINS9_10device_ptrIxEEEESE_SE_xNS9_4plusIvEENS9_8equal_toIxEExEE10hipError_tPvRmT2_T3_T4_T5_mT6_T7_P12ihipStream_tbENKUlT_T0_E_clISt17integral_constantIbLb1EESZ_EEDaSU_SV_EUlSU_E_NS1_11comp_targetILNS1_3genE2ELNS1_11target_archE906ELNS1_3gpuE6ELNS1_3repE0EEENS1_30default_config_static_selectorELNS0_4arch9wavefront6targetE0EEEvT1_.private_seg_size, 0
	.set _ZN7rocprim17ROCPRIM_400000_NS6detail17trampoline_kernelINS0_14default_configENS1_27scan_by_key_config_selectorIxxEEZZNS1_16scan_by_key_implILNS1_25lookback_scan_determinismE0ELb1ES3_N6thrust23THRUST_200600_302600_NS6detail15normal_iteratorINS9_10device_ptrIxEEEESE_SE_xNS9_4plusIvEENS9_8equal_toIxEExEE10hipError_tPvRmT2_T3_T4_T5_mT6_T7_P12ihipStream_tbENKUlT_T0_E_clISt17integral_constantIbLb1EESZ_EEDaSU_SV_EUlSU_E_NS1_11comp_targetILNS1_3genE2ELNS1_11target_archE906ELNS1_3gpuE6ELNS1_3repE0EEENS1_30default_config_static_selectorELNS0_4arch9wavefront6targetE0EEEvT1_.uses_vcc, 0
	.set _ZN7rocprim17ROCPRIM_400000_NS6detail17trampoline_kernelINS0_14default_configENS1_27scan_by_key_config_selectorIxxEEZZNS1_16scan_by_key_implILNS1_25lookback_scan_determinismE0ELb1ES3_N6thrust23THRUST_200600_302600_NS6detail15normal_iteratorINS9_10device_ptrIxEEEESE_SE_xNS9_4plusIvEENS9_8equal_toIxEExEE10hipError_tPvRmT2_T3_T4_T5_mT6_T7_P12ihipStream_tbENKUlT_T0_E_clISt17integral_constantIbLb1EESZ_EEDaSU_SV_EUlSU_E_NS1_11comp_targetILNS1_3genE2ELNS1_11target_archE906ELNS1_3gpuE6ELNS1_3repE0EEENS1_30default_config_static_selectorELNS0_4arch9wavefront6targetE0EEEvT1_.uses_flat_scratch, 0
	.set _ZN7rocprim17ROCPRIM_400000_NS6detail17trampoline_kernelINS0_14default_configENS1_27scan_by_key_config_selectorIxxEEZZNS1_16scan_by_key_implILNS1_25lookback_scan_determinismE0ELb1ES3_N6thrust23THRUST_200600_302600_NS6detail15normal_iteratorINS9_10device_ptrIxEEEESE_SE_xNS9_4plusIvEENS9_8equal_toIxEExEE10hipError_tPvRmT2_T3_T4_T5_mT6_T7_P12ihipStream_tbENKUlT_T0_E_clISt17integral_constantIbLb1EESZ_EEDaSU_SV_EUlSU_E_NS1_11comp_targetILNS1_3genE2ELNS1_11target_archE906ELNS1_3gpuE6ELNS1_3repE0EEENS1_30default_config_static_selectorELNS0_4arch9wavefront6targetE0EEEvT1_.has_dyn_sized_stack, 0
	.set _ZN7rocprim17ROCPRIM_400000_NS6detail17trampoline_kernelINS0_14default_configENS1_27scan_by_key_config_selectorIxxEEZZNS1_16scan_by_key_implILNS1_25lookback_scan_determinismE0ELb1ES3_N6thrust23THRUST_200600_302600_NS6detail15normal_iteratorINS9_10device_ptrIxEEEESE_SE_xNS9_4plusIvEENS9_8equal_toIxEExEE10hipError_tPvRmT2_T3_T4_T5_mT6_T7_P12ihipStream_tbENKUlT_T0_E_clISt17integral_constantIbLb1EESZ_EEDaSU_SV_EUlSU_E_NS1_11comp_targetILNS1_3genE2ELNS1_11target_archE906ELNS1_3gpuE6ELNS1_3repE0EEENS1_30default_config_static_selectorELNS0_4arch9wavefront6targetE0EEEvT1_.has_recursion, 0
	.set _ZN7rocprim17ROCPRIM_400000_NS6detail17trampoline_kernelINS0_14default_configENS1_27scan_by_key_config_selectorIxxEEZZNS1_16scan_by_key_implILNS1_25lookback_scan_determinismE0ELb1ES3_N6thrust23THRUST_200600_302600_NS6detail15normal_iteratorINS9_10device_ptrIxEEEESE_SE_xNS9_4plusIvEENS9_8equal_toIxEExEE10hipError_tPvRmT2_T3_T4_T5_mT6_T7_P12ihipStream_tbENKUlT_T0_E_clISt17integral_constantIbLb1EESZ_EEDaSU_SV_EUlSU_E_NS1_11comp_targetILNS1_3genE2ELNS1_11target_archE906ELNS1_3gpuE6ELNS1_3repE0EEENS1_30default_config_static_selectorELNS0_4arch9wavefront6targetE0EEEvT1_.has_indirect_call, 0
	.section	.AMDGPU.csdata,"",@progbits
; Kernel info:
; codeLenInByte = 0
; TotalNumSgprs: 0
; NumVgprs: 0
; ScratchSize: 0
; MemoryBound: 0
; FloatMode: 240
; IeeeMode: 1
; LDSByteSize: 0 bytes/workgroup (compile time only)
; SGPRBlocks: 0
; VGPRBlocks: 0
; NumSGPRsForWavesPerEU: 1
; NumVGPRsForWavesPerEU: 1
; Occupancy: 16
; WaveLimiterHint : 0
; COMPUTE_PGM_RSRC2:SCRATCH_EN: 0
; COMPUTE_PGM_RSRC2:USER_SGPR: 6
; COMPUTE_PGM_RSRC2:TRAP_HANDLER: 0
; COMPUTE_PGM_RSRC2:TGID_X_EN: 1
; COMPUTE_PGM_RSRC2:TGID_Y_EN: 0
; COMPUTE_PGM_RSRC2:TGID_Z_EN: 0
; COMPUTE_PGM_RSRC2:TIDIG_COMP_CNT: 0
	.section	.text._ZN7rocprim17ROCPRIM_400000_NS6detail17trampoline_kernelINS0_14default_configENS1_27scan_by_key_config_selectorIxxEEZZNS1_16scan_by_key_implILNS1_25lookback_scan_determinismE0ELb1ES3_N6thrust23THRUST_200600_302600_NS6detail15normal_iteratorINS9_10device_ptrIxEEEESE_SE_xNS9_4plusIvEENS9_8equal_toIxEExEE10hipError_tPvRmT2_T3_T4_T5_mT6_T7_P12ihipStream_tbENKUlT_T0_E_clISt17integral_constantIbLb1EESZ_EEDaSU_SV_EUlSU_E_NS1_11comp_targetILNS1_3genE10ELNS1_11target_archE1200ELNS1_3gpuE4ELNS1_3repE0EEENS1_30default_config_static_selectorELNS0_4arch9wavefront6targetE0EEEvT1_,"axG",@progbits,_ZN7rocprim17ROCPRIM_400000_NS6detail17trampoline_kernelINS0_14default_configENS1_27scan_by_key_config_selectorIxxEEZZNS1_16scan_by_key_implILNS1_25lookback_scan_determinismE0ELb1ES3_N6thrust23THRUST_200600_302600_NS6detail15normal_iteratorINS9_10device_ptrIxEEEESE_SE_xNS9_4plusIvEENS9_8equal_toIxEExEE10hipError_tPvRmT2_T3_T4_T5_mT6_T7_P12ihipStream_tbENKUlT_T0_E_clISt17integral_constantIbLb1EESZ_EEDaSU_SV_EUlSU_E_NS1_11comp_targetILNS1_3genE10ELNS1_11target_archE1200ELNS1_3gpuE4ELNS1_3repE0EEENS1_30default_config_static_selectorELNS0_4arch9wavefront6targetE0EEEvT1_,comdat
	.protected	_ZN7rocprim17ROCPRIM_400000_NS6detail17trampoline_kernelINS0_14default_configENS1_27scan_by_key_config_selectorIxxEEZZNS1_16scan_by_key_implILNS1_25lookback_scan_determinismE0ELb1ES3_N6thrust23THRUST_200600_302600_NS6detail15normal_iteratorINS9_10device_ptrIxEEEESE_SE_xNS9_4plusIvEENS9_8equal_toIxEExEE10hipError_tPvRmT2_T3_T4_T5_mT6_T7_P12ihipStream_tbENKUlT_T0_E_clISt17integral_constantIbLb1EESZ_EEDaSU_SV_EUlSU_E_NS1_11comp_targetILNS1_3genE10ELNS1_11target_archE1200ELNS1_3gpuE4ELNS1_3repE0EEENS1_30default_config_static_selectorELNS0_4arch9wavefront6targetE0EEEvT1_ ; -- Begin function _ZN7rocprim17ROCPRIM_400000_NS6detail17trampoline_kernelINS0_14default_configENS1_27scan_by_key_config_selectorIxxEEZZNS1_16scan_by_key_implILNS1_25lookback_scan_determinismE0ELb1ES3_N6thrust23THRUST_200600_302600_NS6detail15normal_iteratorINS9_10device_ptrIxEEEESE_SE_xNS9_4plusIvEENS9_8equal_toIxEExEE10hipError_tPvRmT2_T3_T4_T5_mT6_T7_P12ihipStream_tbENKUlT_T0_E_clISt17integral_constantIbLb1EESZ_EEDaSU_SV_EUlSU_E_NS1_11comp_targetILNS1_3genE10ELNS1_11target_archE1200ELNS1_3gpuE4ELNS1_3repE0EEENS1_30default_config_static_selectorELNS0_4arch9wavefront6targetE0EEEvT1_
	.globl	_ZN7rocprim17ROCPRIM_400000_NS6detail17trampoline_kernelINS0_14default_configENS1_27scan_by_key_config_selectorIxxEEZZNS1_16scan_by_key_implILNS1_25lookback_scan_determinismE0ELb1ES3_N6thrust23THRUST_200600_302600_NS6detail15normal_iteratorINS9_10device_ptrIxEEEESE_SE_xNS9_4plusIvEENS9_8equal_toIxEExEE10hipError_tPvRmT2_T3_T4_T5_mT6_T7_P12ihipStream_tbENKUlT_T0_E_clISt17integral_constantIbLb1EESZ_EEDaSU_SV_EUlSU_E_NS1_11comp_targetILNS1_3genE10ELNS1_11target_archE1200ELNS1_3gpuE4ELNS1_3repE0EEENS1_30default_config_static_selectorELNS0_4arch9wavefront6targetE0EEEvT1_
	.p2align	8
	.type	_ZN7rocprim17ROCPRIM_400000_NS6detail17trampoline_kernelINS0_14default_configENS1_27scan_by_key_config_selectorIxxEEZZNS1_16scan_by_key_implILNS1_25lookback_scan_determinismE0ELb1ES3_N6thrust23THRUST_200600_302600_NS6detail15normal_iteratorINS9_10device_ptrIxEEEESE_SE_xNS9_4plusIvEENS9_8equal_toIxEExEE10hipError_tPvRmT2_T3_T4_T5_mT6_T7_P12ihipStream_tbENKUlT_T0_E_clISt17integral_constantIbLb1EESZ_EEDaSU_SV_EUlSU_E_NS1_11comp_targetILNS1_3genE10ELNS1_11target_archE1200ELNS1_3gpuE4ELNS1_3repE0EEENS1_30default_config_static_selectorELNS0_4arch9wavefront6targetE0EEEvT1_,@function
_ZN7rocprim17ROCPRIM_400000_NS6detail17trampoline_kernelINS0_14default_configENS1_27scan_by_key_config_selectorIxxEEZZNS1_16scan_by_key_implILNS1_25lookback_scan_determinismE0ELb1ES3_N6thrust23THRUST_200600_302600_NS6detail15normal_iteratorINS9_10device_ptrIxEEEESE_SE_xNS9_4plusIvEENS9_8equal_toIxEExEE10hipError_tPvRmT2_T3_T4_T5_mT6_T7_P12ihipStream_tbENKUlT_T0_E_clISt17integral_constantIbLb1EESZ_EEDaSU_SV_EUlSU_E_NS1_11comp_targetILNS1_3genE10ELNS1_11target_archE1200ELNS1_3gpuE4ELNS1_3repE0EEENS1_30default_config_static_selectorELNS0_4arch9wavefront6targetE0EEEvT1_: ; @_ZN7rocprim17ROCPRIM_400000_NS6detail17trampoline_kernelINS0_14default_configENS1_27scan_by_key_config_selectorIxxEEZZNS1_16scan_by_key_implILNS1_25lookback_scan_determinismE0ELb1ES3_N6thrust23THRUST_200600_302600_NS6detail15normal_iteratorINS9_10device_ptrIxEEEESE_SE_xNS9_4plusIvEENS9_8equal_toIxEExEE10hipError_tPvRmT2_T3_T4_T5_mT6_T7_P12ihipStream_tbENKUlT_T0_E_clISt17integral_constantIbLb1EESZ_EEDaSU_SV_EUlSU_E_NS1_11comp_targetILNS1_3genE10ELNS1_11target_archE1200ELNS1_3gpuE4ELNS1_3repE0EEENS1_30default_config_static_selectorELNS0_4arch9wavefront6targetE0EEEvT1_
; %bb.0:
	.section	.rodata,"a",@progbits
	.p2align	6, 0x0
	.amdhsa_kernel _ZN7rocprim17ROCPRIM_400000_NS6detail17trampoline_kernelINS0_14default_configENS1_27scan_by_key_config_selectorIxxEEZZNS1_16scan_by_key_implILNS1_25lookback_scan_determinismE0ELb1ES3_N6thrust23THRUST_200600_302600_NS6detail15normal_iteratorINS9_10device_ptrIxEEEESE_SE_xNS9_4plusIvEENS9_8equal_toIxEExEE10hipError_tPvRmT2_T3_T4_T5_mT6_T7_P12ihipStream_tbENKUlT_T0_E_clISt17integral_constantIbLb1EESZ_EEDaSU_SV_EUlSU_E_NS1_11comp_targetILNS1_3genE10ELNS1_11target_archE1200ELNS1_3gpuE4ELNS1_3repE0EEENS1_30default_config_static_selectorELNS0_4arch9wavefront6targetE0EEEvT1_
		.amdhsa_group_segment_fixed_size 0
		.amdhsa_private_segment_fixed_size 0
		.amdhsa_kernarg_size 136
		.amdhsa_user_sgpr_count 6
		.amdhsa_user_sgpr_private_segment_buffer 1
		.amdhsa_user_sgpr_dispatch_ptr 0
		.amdhsa_user_sgpr_queue_ptr 0
		.amdhsa_user_sgpr_kernarg_segment_ptr 1
		.amdhsa_user_sgpr_dispatch_id 0
		.amdhsa_user_sgpr_flat_scratch_init 0
		.amdhsa_user_sgpr_private_segment_size 0
		.amdhsa_wavefront_size32 1
		.amdhsa_uses_dynamic_stack 0
		.amdhsa_system_sgpr_private_segment_wavefront_offset 0
		.amdhsa_system_sgpr_workgroup_id_x 1
		.amdhsa_system_sgpr_workgroup_id_y 0
		.amdhsa_system_sgpr_workgroup_id_z 0
		.amdhsa_system_sgpr_workgroup_info 0
		.amdhsa_system_vgpr_workitem_id 0
		.amdhsa_next_free_vgpr 1
		.amdhsa_next_free_sgpr 1
		.amdhsa_reserve_vcc 0
		.amdhsa_reserve_flat_scratch 0
		.amdhsa_float_round_mode_32 0
		.amdhsa_float_round_mode_16_64 0
		.amdhsa_float_denorm_mode_32 3
		.amdhsa_float_denorm_mode_16_64 3
		.amdhsa_dx10_clamp 1
		.amdhsa_ieee_mode 1
		.amdhsa_fp16_overflow 0
		.amdhsa_workgroup_processor_mode 1
		.amdhsa_memory_ordered 1
		.amdhsa_forward_progress 1
		.amdhsa_shared_vgpr_count 0
		.amdhsa_exception_fp_ieee_invalid_op 0
		.amdhsa_exception_fp_denorm_src 0
		.amdhsa_exception_fp_ieee_div_zero 0
		.amdhsa_exception_fp_ieee_overflow 0
		.amdhsa_exception_fp_ieee_underflow 0
		.amdhsa_exception_fp_ieee_inexact 0
		.amdhsa_exception_int_div_zero 0
	.end_amdhsa_kernel
	.section	.text._ZN7rocprim17ROCPRIM_400000_NS6detail17trampoline_kernelINS0_14default_configENS1_27scan_by_key_config_selectorIxxEEZZNS1_16scan_by_key_implILNS1_25lookback_scan_determinismE0ELb1ES3_N6thrust23THRUST_200600_302600_NS6detail15normal_iteratorINS9_10device_ptrIxEEEESE_SE_xNS9_4plusIvEENS9_8equal_toIxEExEE10hipError_tPvRmT2_T3_T4_T5_mT6_T7_P12ihipStream_tbENKUlT_T0_E_clISt17integral_constantIbLb1EESZ_EEDaSU_SV_EUlSU_E_NS1_11comp_targetILNS1_3genE10ELNS1_11target_archE1200ELNS1_3gpuE4ELNS1_3repE0EEENS1_30default_config_static_selectorELNS0_4arch9wavefront6targetE0EEEvT1_,"axG",@progbits,_ZN7rocprim17ROCPRIM_400000_NS6detail17trampoline_kernelINS0_14default_configENS1_27scan_by_key_config_selectorIxxEEZZNS1_16scan_by_key_implILNS1_25lookback_scan_determinismE0ELb1ES3_N6thrust23THRUST_200600_302600_NS6detail15normal_iteratorINS9_10device_ptrIxEEEESE_SE_xNS9_4plusIvEENS9_8equal_toIxEExEE10hipError_tPvRmT2_T3_T4_T5_mT6_T7_P12ihipStream_tbENKUlT_T0_E_clISt17integral_constantIbLb1EESZ_EEDaSU_SV_EUlSU_E_NS1_11comp_targetILNS1_3genE10ELNS1_11target_archE1200ELNS1_3gpuE4ELNS1_3repE0EEENS1_30default_config_static_selectorELNS0_4arch9wavefront6targetE0EEEvT1_,comdat
.Lfunc_end440:
	.size	_ZN7rocprim17ROCPRIM_400000_NS6detail17trampoline_kernelINS0_14default_configENS1_27scan_by_key_config_selectorIxxEEZZNS1_16scan_by_key_implILNS1_25lookback_scan_determinismE0ELb1ES3_N6thrust23THRUST_200600_302600_NS6detail15normal_iteratorINS9_10device_ptrIxEEEESE_SE_xNS9_4plusIvEENS9_8equal_toIxEExEE10hipError_tPvRmT2_T3_T4_T5_mT6_T7_P12ihipStream_tbENKUlT_T0_E_clISt17integral_constantIbLb1EESZ_EEDaSU_SV_EUlSU_E_NS1_11comp_targetILNS1_3genE10ELNS1_11target_archE1200ELNS1_3gpuE4ELNS1_3repE0EEENS1_30default_config_static_selectorELNS0_4arch9wavefront6targetE0EEEvT1_, .Lfunc_end440-_ZN7rocprim17ROCPRIM_400000_NS6detail17trampoline_kernelINS0_14default_configENS1_27scan_by_key_config_selectorIxxEEZZNS1_16scan_by_key_implILNS1_25lookback_scan_determinismE0ELb1ES3_N6thrust23THRUST_200600_302600_NS6detail15normal_iteratorINS9_10device_ptrIxEEEESE_SE_xNS9_4plusIvEENS9_8equal_toIxEExEE10hipError_tPvRmT2_T3_T4_T5_mT6_T7_P12ihipStream_tbENKUlT_T0_E_clISt17integral_constantIbLb1EESZ_EEDaSU_SV_EUlSU_E_NS1_11comp_targetILNS1_3genE10ELNS1_11target_archE1200ELNS1_3gpuE4ELNS1_3repE0EEENS1_30default_config_static_selectorELNS0_4arch9wavefront6targetE0EEEvT1_
                                        ; -- End function
	.set _ZN7rocprim17ROCPRIM_400000_NS6detail17trampoline_kernelINS0_14default_configENS1_27scan_by_key_config_selectorIxxEEZZNS1_16scan_by_key_implILNS1_25lookback_scan_determinismE0ELb1ES3_N6thrust23THRUST_200600_302600_NS6detail15normal_iteratorINS9_10device_ptrIxEEEESE_SE_xNS9_4plusIvEENS9_8equal_toIxEExEE10hipError_tPvRmT2_T3_T4_T5_mT6_T7_P12ihipStream_tbENKUlT_T0_E_clISt17integral_constantIbLb1EESZ_EEDaSU_SV_EUlSU_E_NS1_11comp_targetILNS1_3genE10ELNS1_11target_archE1200ELNS1_3gpuE4ELNS1_3repE0EEENS1_30default_config_static_selectorELNS0_4arch9wavefront6targetE0EEEvT1_.num_vgpr, 0
	.set _ZN7rocprim17ROCPRIM_400000_NS6detail17trampoline_kernelINS0_14default_configENS1_27scan_by_key_config_selectorIxxEEZZNS1_16scan_by_key_implILNS1_25lookback_scan_determinismE0ELb1ES3_N6thrust23THRUST_200600_302600_NS6detail15normal_iteratorINS9_10device_ptrIxEEEESE_SE_xNS9_4plusIvEENS9_8equal_toIxEExEE10hipError_tPvRmT2_T3_T4_T5_mT6_T7_P12ihipStream_tbENKUlT_T0_E_clISt17integral_constantIbLb1EESZ_EEDaSU_SV_EUlSU_E_NS1_11comp_targetILNS1_3genE10ELNS1_11target_archE1200ELNS1_3gpuE4ELNS1_3repE0EEENS1_30default_config_static_selectorELNS0_4arch9wavefront6targetE0EEEvT1_.num_agpr, 0
	.set _ZN7rocprim17ROCPRIM_400000_NS6detail17trampoline_kernelINS0_14default_configENS1_27scan_by_key_config_selectorIxxEEZZNS1_16scan_by_key_implILNS1_25lookback_scan_determinismE0ELb1ES3_N6thrust23THRUST_200600_302600_NS6detail15normal_iteratorINS9_10device_ptrIxEEEESE_SE_xNS9_4plusIvEENS9_8equal_toIxEExEE10hipError_tPvRmT2_T3_T4_T5_mT6_T7_P12ihipStream_tbENKUlT_T0_E_clISt17integral_constantIbLb1EESZ_EEDaSU_SV_EUlSU_E_NS1_11comp_targetILNS1_3genE10ELNS1_11target_archE1200ELNS1_3gpuE4ELNS1_3repE0EEENS1_30default_config_static_selectorELNS0_4arch9wavefront6targetE0EEEvT1_.numbered_sgpr, 0
	.set _ZN7rocprim17ROCPRIM_400000_NS6detail17trampoline_kernelINS0_14default_configENS1_27scan_by_key_config_selectorIxxEEZZNS1_16scan_by_key_implILNS1_25lookback_scan_determinismE0ELb1ES3_N6thrust23THRUST_200600_302600_NS6detail15normal_iteratorINS9_10device_ptrIxEEEESE_SE_xNS9_4plusIvEENS9_8equal_toIxEExEE10hipError_tPvRmT2_T3_T4_T5_mT6_T7_P12ihipStream_tbENKUlT_T0_E_clISt17integral_constantIbLb1EESZ_EEDaSU_SV_EUlSU_E_NS1_11comp_targetILNS1_3genE10ELNS1_11target_archE1200ELNS1_3gpuE4ELNS1_3repE0EEENS1_30default_config_static_selectorELNS0_4arch9wavefront6targetE0EEEvT1_.num_named_barrier, 0
	.set _ZN7rocprim17ROCPRIM_400000_NS6detail17trampoline_kernelINS0_14default_configENS1_27scan_by_key_config_selectorIxxEEZZNS1_16scan_by_key_implILNS1_25lookback_scan_determinismE0ELb1ES3_N6thrust23THRUST_200600_302600_NS6detail15normal_iteratorINS9_10device_ptrIxEEEESE_SE_xNS9_4plusIvEENS9_8equal_toIxEExEE10hipError_tPvRmT2_T3_T4_T5_mT6_T7_P12ihipStream_tbENKUlT_T0_E_clISt17integral_constantIbLb1EESZ_EEDaSU_SV_EUlSU_E_NS1_11comp_targetILNS1_3genE10ELNS1_11target_archE1200ELNS1_3gpuE4ELNS1_3repE0EEENS1_30default_config_static_selectorELNS0_4arch9wavefront6targetE0EEEvT1_.private_seg_size, 0
	.set _ZN7rocprim17ROCPRIM_400000_NS6detail17trampoline_kernelINS0_14default_configENS1_27scan_by_key_config_selectorIxxEEZZNS1_16scan_by_key_implILNS1_25lookback_scan_determinismE0ELb1ES3_N6thrust23THRUST_200600_302600_NS6detail15normal_iteratorINS9_10device_ptrIxEEEESE_SE_xNS9_4plusIvEENS9_8equal_toIxEExEE10hipError_tPvRmT2_T3_T4_T5_mT6_T7_P12ihipStream_tbENKUlT_T0_E_clISt17integral_constantIbLb1EESZ_EEDaSU_SV_EUlSU_E_NS1_11comp_targetILNS1_3genE10ELNS1_11target_archE1200ELNS1_3gpuE4ELNS1_3repE0EEENS1_30default_config_static_selectorELNS0_4arch9wavefront6targetE0EEEvT1_.uses_vcc, 0
	.set _ZN7rocprim17ROCPRIM_400000_NS6detail17trampoline_kernelINS0_14default_configENS1_27scan_by_key_config_selectorIxxEEZZNS1_16scan_by_key_implILNS1_25lookback_scan_determinismE0ELb1ES3_N6thrust23THRUST_200600_302600_NS6detail15normal_iteratorINS9_10device_ptrIxEEEESE_SE_xNS9_4plusIvEENS9_8equal_toIxEExEE10hipError_tPvRmT2_T3_T4_T5_mT6_T7_P12ihipStream_tbENKUlT_T0_E_clISt17integral_constantIbLb1EESZ_EEDaSU_SV_EUlSU_E_NS1_11comp_targetILNS1_3genE10ELNS1_11target_archE1200ELNS1_3gpuE4ELNS1_3repE0EEENS1_30default_config_static_selectorELNS0_4arch9wavefront6targetE0EEEvT1_.uses_flat_scratch, 0
	.set _ZN7rocprim17ROCPRIM_400000_NS6detail17trampoline_kernelINS0_14default_configENS1_27scan_by_key_config_selectorIxxEEZZNS1_16scan_by_key_implILNS1_25lookback_scan_determinismE0ELb1ES3_N6thrust23THRUST_200600_302600_NS6detail15normal_iteratorINS9_10device_ptrIxEEEESE_SE_xNS9_4plusIvEENS9_8equal_toIxEExEE10hipError_tPvRmT2_T3_T4_T5_mT6_T7_P12ihipStream_tbENKUlT_T0_E_clISt17integral_constantIbLb1EESZ_EEDaSU_SV_EUlSU_E_NS1_11comp_targetILNS1_3genE10ELNS1_11target_archE1200ELNS1_3gpuE4ELNS1_3repE0EEENS1_30default_config_static_selectorELNS0_4arch9wavefront6targetE0EEEvT1_.has_dyn_sized_stack, 0
	.set _ZN7rocprim17ROCPRIM_400000_NS6detail17trampoline_kernelINS0_14default_configENS1_27scan_by_key_config_selectorIxxEEZZNS1_16scan_by_key_implILNS1_25lookback_scan_determinismE0ELb1ES3_N6thrust23THRUST_200600_302600_NS6detail15normal_iteratorINS9_10device_ptrIxEEEESE_SE_xNS9_4plusIvEENS9_8equal_toIxEExEE10hipError_tPvRmT2_T3_T4_T5_mT6_T7_P12ihipStream_tbENKUlT_T0_E_clISt17integral_constantIbLb1EESZ_EEDaSU_SV_EUlSU_E_NS1_11comp_targetILNS1_3genE10ELNS1_11target_archE1200ELNS1_3gpuE4ELNS1_3repE0EEENS1_30default_config_static_selectorELNS0_4arch9wavefront6targetE0EEEvT1_.has_recursion, 0
	.set _ZN7rocprim17ROCPRIM_400000_NS6detail17trampoline_kernelINS0_14default_configENS1_27scan_by_key_config_selectorIxxEEZZNS1_16scan_by_key_implILNS1_25lookback_scan_determinismE0ELb1ES3_N6thrust23THRUST_200600_302600_NS6detail15normal_iteratorINS9_10device_ptrIxEEEESE_SE_xNS9_4plusIvEENS9_8equal_toIxEExEE10hipError_tPvRmT2_T3_T4_T5_mT6_T7_P12ihipStream_tbENKUlT_T0_E_clISt17integral_constantIbLb1EESZ_EEDaSU_SV_EUlSU_E_NS1_11comp_targetILNS1_3genE10ELNS1_11target_archE1200ELNS1_3gpuE4ELNS1_3repE0EEENS1_30default_config_static_selectorELNS0_4arch9wavefront6targetE0EEEvT1_.has_indirect_call, 0
	.section	.AMDGPU.csdata,"",@progbits
; Kernel info:
; codeLenInByte = 0
; TotalNumSgprs: 0
; NumVgprs: 0
; ScratchSize: 0
; MemoryBound: 0
; FloatMode: 240
; IeeeMode: 1
; LDSByteSize: 0 bytes/workgroup (compile time only)
; SGPRBlocks: 0
; VGPRBlocks: 0
; NumSGPRsForWavesPerEU: 1
; NumVGPRsForWavesPerEU: 1
; Occupancy: 16
; WaveLimiterHint : 0
; COMPUTE_PGM_RSRC2:SCRATCH_EN: 0
; COMPUTE_PGM_RSRC2:USER_SGPR: 6
; COMPUTE_PGM_RSRC2:TRAP_HANDLER: 0
; COMPUTE_PGM_RSRC2:TGID_X_EN: 1
; COMPUTE_PGM_RSRC2:TGID_Y_EN: 0
; COMPUTE_PGM_RSRC2:TGID_Z_EN: 0
; COMPUTE_PGM_RSRC2:TIDIG_COMP_CNT: 0
	.section	.text._ZN7rocprim17ROCPRIM_400000_NS6detail17trampoline_kernelINS0_14default_configENS1_27scan_by_key_config_selectorIxxEEZZNS1_16scan_by_key_implILNS1_25lookback_scan_determinismE0ELb1ES3_N6thrust23THRUST_200600_302600_NS6detail15normal_iteratorINS9_10device_ptrIxEEEESE_SE_xNS9_4plusIvEENS9_8equal_toIxEExEE10hipError_tPvRmT2_T3_T4_T5_mT6_T7_P12ihipStream_tbENKUlT_T0_E_clISt17integral_constantIbLb1EESZ_EEDaSU_SV_EUlSU_E_NS1_11comp_targetILNS1_3genE9ELNS1_11target_archE1100ELNS1_3gpuE3ELNS1_3repE0EEENS1_30default_config_static_selectorELNS0_4arch9wavefront6targetE0EEEvT1_,"axG",@progbits,_ZN7rocprim17ROCPRIM_400000_NS6detail17trampoline_kernelINS0_14default_configENS1_27scan_by_key_config_selectorIxxEEZZNS1_16scan_by_key_implILNS1_25lookback_scan_determinismE0ELb1ES3_N6thrust23THRUST_200600_302600_NS6detail15normal_iteratorINS9_10device_ptrIxEEEESE_SE_xNS9_4plusIvEENS9_8equal_toIxEExEE10hipError_tPvRmT2_T3_T4_T5_mT6_T7_P12ihipStream_tbENKUlT_T0_E_clISt17integral_constantIbLb1EESZ_EEDaSU_SV_EUlSU_E_NS1_11comp_targetILNS1_3genE9ELNS1_11target_archE1100ELNS1_3gpuE3ELNS1_3repE0EEENS1_30default_config_static_selectorELNS0_4arch9wavefront6targetE0EEEvT1_,comdat
	.protected	_ZN7rocprim17ROCPRIM_400000_NS6detail17trampoline_kernelINS0_14default_configENS1_27scan_by_key_config_selectorIxxEEZZNS1_16scan_by_key_implILNS1_25lookback_scan_determinismE0ELb1ES3_N6thrust23THRUST_200600_302600_NS6detail15normal_iteratorINS9_10device_ptrIxEEEESE_SE_xNS9_4plusIvEENS9_8equal_toIxEExEE10hipError_tPvRmT2_T3_T4_T5_mT6_T7_P12ihipStream_tbENKUlT_T0_E_clISt17integral_constantIbLb1EESZ_EEDaSU_SV_EUlSU_E_NS1_11comp_targetILNS1_3genE9ELNS1_11target_archE1100ELNS1_3gpuE3ELNS1_3repE0EEENS1_30default_config_static_selectorELNS0_4arch9wavefront6targetE0EEEvT1_ ; -- Begin function _ZN7rocprim17ROCPRIM_400000_NS6detail17trampoline_kernelINS0_14default_configENS1_27scan_by_key_config_selectorIxxEEZZNS1_16scan_by_key_implILNS1_25lookback_scan_determinismE0ELb1ES3_N6thrust23THRUST_200600_302600_NS6detail15normal_iteratorINS9_10device_ptrIxEEEESE_SE_xNS9_4plusIvEENS9_8equal_toIxEExEE10hipError_tPvRmT2_T3_T4_T5_mT6_T7_P12ihipStream_tbENKUlT_T0_E_clISt17integral_constantIbLb1EESZ_EEDaSU_SV_EUlSU_E_NS1_11comp_targetILNS1_3genE9ELNS1_11target_archE1100ELNS1_3gpuE3ELNS1_3repE0EEENS1_30default_config_static_selectorELNS0_4arch9wavefront6targetE0EEEvT1_
	.globl	_ZN7rocprim17ROCPRIM_400000_NS6detail17trampoline_kernelINS0_14default_configENS1_27scan_by_key_config_selectorIxxEEZZNS1_16scan_by_key_implILNS1_25lookback_scan_determinismE0ELb1ES3_N6thrust23THRUST_200600_302600_NS6detail15normal_iteratorINS9_10device_ptrIxEEEESE_SE_xNS9_4plusIvEENS9_8equal_toIxEExEE10hipError_tPvRmT2_T3_T4_T5_mT6_T7_P12ihipStream_tbENKUlT_T0_E_clISt17integral_constantIbLb1EESZ_EEDaSU_SV_EUlSU_E_NS1_11comp_targetILNS1_3genE9ELNS1_11target_archE1100ELNS1_3gpuE3ELNS1_3repE0EEENS1_30default_config_static_selectorELNS0_4arch9wavefront6targetE0EEEvT1_
	.p2align	8
	.type	_ZN7rocprim17ROCPRIM_400000_NS6detail17trampoline_kernelINS0_14default_configENS1_27scan_by_key_config_selectorIxxEEZZNS1_16scan_by_key_implILNS1_25lookback_scan_determinismE0ELb1ES3_N6thrust23THRUST_200600_302600_NS6detail15normal_iteratorINS9_10device_ptrIxEEEESE_SE_xNS9_4plusIvEENS9_8equal_toIxEExEE10hipError_tPvRmT2_T3_T4_T5_mT6_T7_P12ihipStream_tbENKUlT_T0_E_clISt17integral_constantIbLb1EESZ_EEDaSU_SV_EUlSU_E_NS1_11comp_targetILNS1_3genE9ELNS1_11target_archE1100ELNS1_3gpuE3ELNS1_3repE0EEENS1_30default_config_static_selectorELNS0_4arch9wavefront6targetE0EEEvT1_,@function
_ZN7rocprim17ROCPRIM_400000_NS6detail17trampoline_kernelINS0_14default_configENS1_27scan_by_key_config_selectorIxxEEZZNS1_16scan_by_key_implILNS1_25lookback_scan_determinismE0ELb1ES3_N6thrust23THRUST_200600_302600_NS6detail15normal_iteratorINS9_10device_ptrIxEEEESE_SE_xNS9_4plusIvEENS9_8equal_toIxEExEE10hipError_tPvRmT2_T3_T4_T5_mT6_T7_P12ihipStream_tbENKUlT_T0_E_clISt17integral_constantIbLb1EESZ_EEDaSU_SV_EUlSU_E_NS1_11comp_targetILNS1_3genE9ELNS1_11target_archE1100ELNS1_3gpuE3ELNS1_3repE0EEENS1_30default_config_static_selectorELNS0_4arch9wavefront6targetE0EEEvT1_: ; @_ZN7rocprim17ROCPRIM_400000_NS6detail17trampoline_kernelINS0_14default_configENS1_27scan_by_key_config_selectorIxxEEZZNS1_16scan_by_key_implILNS1_25lookback_scan_determinismE0ELb1ES3_N6thrust23THRUST_200600_302600_NS6detail15normal_iteratorINS9_10device_ptrIxEEEESE_SE_xNS9_4plusIvEENS9_8equal_toIxEExEE10hipError_tPvRmT2_T3_T4_T5_mT6_T7_P12ihipStream_tbENKUlT_T0_E_clISt17integral_constantIbLb1EESZ_EEDaSU_SV_EUlSU_E_NS1_11comp_targetILNS1_3genE9ELNS1_11target_archE1100ELNS1_3gpuE3ELNS1_3repE0EEENS1_30default_config_static_selectorELNS0_4arch9wavefront6targetE0EEEvT1_
; %bb.0:
	.section	.rodata,"a",@progbits
	.p2align	6, 0x0
	.amdhsa_kernel _ZN7rocprim17ROCPRIM_400000_NS6detail17trampoline_kernelINS0_14default_configENS1_27scan_by_key_config_selectorIxxEEZZNS1_16scan_by_key_implILNS1_25lookback_scan_determinismE0ELb1ES3_N6thrust23THRUST_200600_302600_NS6detail15normal_iteratorINS9_10device_ptrIxEEEESE_SE_xNS9_4plusIvEENS9_8equal_toIxEExEE10hipError_tPvRmT2_T3_T4_T5_mT6_T7_P12ihipStream_tbENKUlT_T0_E_clISt17integral_constantIbLb1EESZ_EEDaSU_SV_EUlSU_E_NS1_11comp_targetILNS1_3genE9ELNS1_11target_archE1100ELNS1_3gpuE3ELNS1_3repE0EEENS1_30default_config_static_selectorELNS0_4arch9wavefront6targetE0EEEvT1_
		.amdhsa_group_segment_fixed_size 0
		.amdhsa_private_segment_fixed_size 0
		.amdhsa_kernarg_size 136
		.amdhsa_user_sgpr_count 6
		.amdhsa_user_sgpr_private_segment_buffer 1
		.amdhsa_user_sgpr_dispatch_ptr 0
		.amdhsa_user_sgpr_queue_ptr 0
		.amdhsa_user_sgpr_kernarg_segment_ptr 1
		.amdhsa_user_sgpr_dispatch_id 0
		.amdhsa_user_sgpr_flat_scratch_init 0
		.amdhsa_user_sgpr_private_segment_size 0
		.amdhsa_wavefront_size32 1
		.amdhsa_uses_dynamic_stack 0
		.amdhsa_system_sgpr_private_segment_wavefront_offset 0
		.amdhsa_system_sgpr_workgroup_id_x 1
		.amdhsa_system_sgpr_workgroup_id_y 0
		.amdhsa_system_sgpr_workgroup_id_z 0
		.amdhsa_system_sgpr_workgroup_info 0
		.amdhsa_system_vgpr_workitem_id 0
		.amdhsa_next_free_vgpr 1
		.amdhsa_next_free_sgpr 1
		.amdhsa_reserve_vcc 0
		.amdhsa_reserve_flat_scratch 0
		.amdhsa_float_round_mode_32 0
		.amdhsa_float_round_mode_16_64 0
		.amdhsa_float_denorm_mode_32 3
		.amdhsa_float_denorm_mode_16_64 3
		.amdhsa_dx10_clamp 1
		.amdhsa_ieee_mode 1
		.amdhsa_fp16_overflow 0
		.amdhsa_workgroup_processor_mode 1
		.amdhsa_memory_ordered 1
		.amdhsa_forward_progress 1
		.amdhsa_shared_vgpr_count 0
		.amdhsa_exception_fp_ieee_invalid_op 0
		.amdhsa_exception_fp_denorm_src 0
		.amdhsa_exception_fp_ieee_div_zero 0
		.amdhsa_exception_fp_ieee_overflow 0
		.amdhsa_exception_fp_ieee_underflow 0
		.amdhsa_exception_fp_ieee_inexact 0
		.amdhsa_exception_int_div_zero 0
	.end_amdhsa_kernel
	.section	.text._ZN7rocprim17ROCPRIM_400000_NS6detail17trampoline_kernelINS0_14default_configENS1_27scan_by_key_config_selectorIxxEEZZNS1_16scan_by_key_implILNS1_25lookback_scan_determinismE0ELb1ES3_N6thrust23THRUST_200600_302600_NS6detail15normal_iteratorINS9_10device_ptrIxEEEESE_SE_xNS9_4plusIvEENS9_8equal_toIxEExEE10hipError_tPvRmT2_T3_T4_T5_mT6_T7_P12ihipStream_tbENKUlT_T0_E_clISt17integral_constantIbLb1EESZ_EEDaSU_SV_EUlSU_E_NS1_11comp_targetILNS1_3genE9ELNS1_11target_archE1100ELNS1_3gpuE3ELNS1_3repE0EEENS1_30default_config_static_selectorELNS0_4arch9wavefront6targetE0EEEvT1_,"axG",@progbits,_ZN7rocprim17ROCPRIM_400000_NS6detail17trampoline_kernelINS0_14default_configENS1_27scan_by_key_config_selectorIxxEEZZNS1_16scan_by_key_implILNS1_25lookback_scan_determinismE0ELb1ES3_N6thrust23THRUST_200600_302600_NS6detail15normal_iteratorINS9_10device_ptrIxEEEESE_SE_xNS9_4plusIvEENS9_8equal_toIxEExEE10hipError_tPvRmT2_T3_T4_T5_mT6_T7_P12ihipStream_tbENKUlT_T0_E_clISt17integral_constantIbLb1EESZ_EEDaSU_SV_EUlSU_E_NS1_11comp_targetILNS1_3genE9ELNS1_11target_archE1100ELNS1_3gpuE3ELNS1_3repE0EEENS1_30default_config_static_selectorELNS0_4arch9wavefront6targetE0EEEvT1_,comdat
.Lfunc_end441:
	.size	_ZN7rocprim17ROCPRIM_400000_NS6detail17trampoline_kernelINS0_14default_configENS1_27scan_by_key_config_selectorIxxEEZZNS1_16scan_by_key_implILNS1_25lookback_scan_determinismE0ELb1ES3_N6thrust23THRUST_200600_302600_NS6detail15normal_iteratorINS9_10device_ptrIxEEEESE_SE_xNS9_4plusIvEENS9_8equal_toIxEExEE10hipError_tPvRmT2_T3_T4_T5_mT6_T7_P12ihipStream_tbENKUlT_T0_E_clISt17integral_constantIbLb1EESZ_EEDaSU_SV_EUlSU_E_NS1_11comp_targetILNS1_3genE9ELNS1_11target_archE1100ELNS1_3gpuE3ELNS1_3repE0EEENS1_30default_config_static_selectorELNS0_4arch9wavefront6targetE0EEEvT1_, .Lfunc_end441-_ZN7rocprim17ROCPRIM_400000_NS6detail17trampoline_kernelINS0_14default_configENS1_27scan_by_key_config_selectorIxxEEZZNS1_16scan_by_key_implILNS1_25lookback_scan_determinismE0ELb1ES3_N6thrust23THRUST_200600_302600_NS6detail15normal_iteratorINS9_10device_ptrIxEEEESE_SE_xNS9_4plusIvEENS9_8equal_toIxEExEE10hipError_tPvRmT2_T3_T4_T5_mT6_T7_P12ihipStream_tbENKUlT_T0_E_clISt17integral_constantIbLb1EESZ_EEDaSU_SV_EUlSU_E_NS1_11comp_targetILNS1_3genE9ELNS1_11target_archE1100ELNS1_3gpuE3ELNS1_3repE0EEENS1_30default_config_static_selectorELNS0_4arch9wavefront6targetE0EEEvT1_
                                        ; -- End function
	.set _ZN7rocprim17ROCPRIM_400000_NS6detail17trampoline_kernelINS0_14default_configENS1_27scan_by_key_config_selectorIxxEEZZNS1_16scan_by_key_implILNS1_25lookback_scan_determinismE0ELb1ES3_N6thrust23THRUST_200600_302600_NS6detail15normal_iteratorINS9_10device_ptrIxEEEESE_SE_xNS9_4plusIvEENS9_8equal_toIxEExEE10hipError_tPvRmT2_T3_T4_T5_mT6_T7_P12ihipStream_tbENKUlT_T0_E_clISt17integral_constantIbLb1EESZ_EEDaSU_SV_EUlSU_E_NS1_11comp_targetILNS1_3genE9ELNS1_11target_archE1100ELNS1_3gpuE3ELNS1_3repE0EEENS1_30default_config_static_selectorELNS0_4arch9wavefront6targetE0EEEvT1_.num_vgpr, 0
	.set _ZN7rocprim17ROCPRIM_400000_NS6detail17trampoline_kernelINS0_14default_configENS1_27scan_by_key_config_selectorIxxEEZZNS1_16scan_by_key_implILNS1_25lookback_scan_determinismE0ELb1ES3_N6thrust23THRUST_200600_302600_NS6detail15normal_iteratorINS9_10device_ptrIxEEEESE_SE_xNS9_4plusIvEENS9_8equal_toIxEExEE10hipError_tPvRmT2_T3_T4_T5_mT6_T7_P12ihipStream_tbENKUlT_T0_E_clISt17integral_constantIbLb1EESZ_EEDaSU_SV_EUlSU_E_NS1_11comp_targetILNS1_3genE9ELNS1_11target_archE1100ELNS1_3gpuE3ELNS1_3repE0EEENS1_30default_config_static_selectorELNS0_4arch9wavefront6targetE0EEEvT1_.num_agpr, 0
	.set _ZN7rocprim17ROCPRIM_400000_NS6detail17trampoline_kernelINS0_14default_configENS1_27scan_by_key_config_selectorIxxEEZZNS1_16scan_by_key_implILNS1_25lookback_scan_determinismE0ELb1ES3_N6thrust23THRUST_200600_302600_NS6detail15normal_iteratorINS9_10device_ptrIxEEEESE_SE_xNS9_4plusIvEENS9_8equal_toIxEExEE10hipError_tPvRmT2_T3_T4_T5_mT6_T7_P12ihipStream_tbENKUlT_T0_E_clISt17integral_constantIbLb1EESZ_EEDaSU_SV_EUlSU_E_NS1_11comp_targetILNS1_3genE9ELNS1_11target_archE1100ELNS1_3gpuE3ELNS1_3repE0EEENS1_30default_config_static_selectorELNS0_4arch9wavefront6targetE0EEEvT1_.numbered_sgpr, 0
	.set _ZN7rocprim17ROCPRIM_400000_NS6detail17trampoline_kernelINS0_14default_configENS1_27scan_by_key_config_selectorIxxEEZZNS1_16scan_by_key_implILNS1_25lookback_scan_determinismE0ELb1ES3_N6thrust23THRUST_200600_302600_NS6detail15normal_iteratorINS9_10device_ptrIxEEEESE_SE_xNS9_4plusIvEENS9_8equal_toIxEExEE10hipError_tPvRmT2_T3_T4_T5_mT6_T7_P12ihipStream_tbENKUlT_T0_E_clISt17integral_constantIbLb1EESZ_EEDaSU_SV_EUlSU_E_NS1_11comp_targetILNS1_3genE9ELNS1_11target_archE1100ELNS1_3gpuE3ELNS1_3repE0EEENS1_30default_config_static_selectorELNS0_4arch9wavefront6targetE0EEEvT1_.num_named_barrier, 0
	.set _ZN7rocprim17ROCPRIM_400000_NS6detail17trampoline_kernelINS0_14default_configENS1_27scan_by_key_config_selectorIxxEEZZNS1_16scan_by_key_implILNS1_25lookback_scan_determinismE0ELb1ES3_N6thrust23THRUST_200600_302600_NS6detail15normal_iteratorINS9_10device_ptrIxEEEESE_SE_xNS9_4plusIvEENS9_8equal_toIxEExEE10hipError_tPvRmT2_T3_T4_T5_mT6_T7_P12ihipStream_tbENKUlT_T0_E_clISt17integral_constantIbLb1EESZ_EEDaSU_SV_EUlSU_E_NS1_11comp_targetILNS1_3genE9ELNS1_11target_archE1100ELNS1_3gpuE3ELNS1_3repE0EEENS1_30default_config_static_selectorELNS0_4arch9wavefront6targetE0EEEvT1_.private_seg_size, 0
	.set _ZN7rocprim17ROCPRIM_400000_NS6detail17trampoline_kernelINS0_14default_configENS1_27scan_by_key_config_selectorIxxEEZZNS1_16scan_by_key_implILNS1_25lookback_scan_determinismE0ELb1ES3_N6thrust23THRUST_200600_302600_NS6detail15normal_iteratorINS9_10device_ptrIxEEEESE_SE_xNS9_4plusIvEENS9_8equal_toIxEExEE10hipError_tPvRmT2_T3_T4_T5_mT6_T7_P12ihipStream_tbENKUlT_T0_E_clISt17integral_constantIbLb1EESZ_EEDaSU_SV_EUlSU_E_NS1_11comp_targetILNS1_3genE9ELNS1_11target_archE1100ELNS1_3gpuE3ELNS1_3repE0EEENS1_30default_config_static_selectorELNS0_4arch9wavefront6targetE0EEEvT1_.uses_vcc, 0
	.set _ZN7rocprim17ROCPRIM_400000_NS6detail17trampoline_kernelINS0_14default_configENS1_27scan_by_key_config_selectorIxxEEZZNS1_16scan_by_key_implILNS1_25lookback_scan_determinismE0ELb1ES3_N6thrust23THRUST_200600_302600_NS6detail15normal_iteratorINS9_10device_ptrIxEEEESE_SE_xNS9_4plusIvEENS9_8equal_toIxEExEE10hipError_tPvRmT2_T3_T4_T5_mT6_T7_P12ihipStream_tbENKUlT_T0_E_clISt17integral_constantIbLb1EESZ_EEDaSU_SV_EUlSU_E_NS1_11comp_targetILNS1_3genE9ELNS1_11target_archE1100ELNS1_3gpuE3ELNS1_3repE0EEENS1_30default_config_static_selectorELNS0_4arch9wavefront6targetE0EEEvT1_.uses_flat_scratch, 0
	.set _ZN7rocprim17ROCPRIM_400000_NS6detail17trampoline_kernelINS0_14default_configENS1_27scan_by_key_config_selectorIxxEEZZNS1_16scan_by_key_implILNS1_25lookback_scan_determinismE0ELb1ES3_N6thrust23THRUST_200600_302600_NS6detail15normal_iteratorINS9_10device_ptrIxEEEESE_SE_xNS9_4plusIvEENS9_8equal_toIxEExEE10hipError_tPvRmT2_T3_T4_T5_mT6_T7_P12ihipStream_tbENKUlT_T0_E_clISt17integral_constantIbLb1EESZ_EEDaSU_SV_EUlSU_E_NS1_11comp_targetILNS1_3genE9ELNS1_11target_archE1100ELNS1_3gpuE3ELNS1_3repE0EEENS1_30default_config_static_selectorELNS0_4arch9wavefront6targetE0EEEvT1_.has_dyn_sized_stack, 0
	.set _ZN7rocprim17ROCPRIM_400000_NS6detail17trampoline_kernelINS0_14default_configENS1_27scan_by_key_config_selectorIxxEEZZNS1_16scan_by_key_implILNS1_25lookback_scan_determinismE0ELb1ES3_N6thrust23THRUST_200600_302600_NS6detail15normal_iteratorINS9_10device_ptrIxEEEESE_SE_xNS9_4plusIvEENS9_8equal_toIxEExEE10hipError_tPvRmT2_T3_T4_T5_mT6_T7_P12ihipStream_tbENKUlT_T0_E_clISt17integral_constantIbLb1EESZ_EEDaSU_SV_EUlSU_E_NS1_11comp_targetILNS1_3genE9ELNS1_11target_archE1100ELNS1_3gpuE3ELNS1_3repE0EEENS1_30default_config_static_selectorELNS0_4arch9wavefront6targetE0EEEvT1_.has_recursion, 0
	.set _ZN7rocprim17ROCPRIM_400000_NS6detail17trampoline_kernelINS0_14default_configENS1_27scan_by_key_config_selectorIxxEEZZNS1_16scan_by_key_implILNS1_25lookback_scan_determinismE0ELb1ES3_N6thrust23THRUST_200600_302600_NS6detail15normal_iteratorINS9_10device_ptrIxEEEESE_SE_xNS9_4plusIvEENS9_8equal_toIxEExEE10hipError_tPvRmT2_T3_T4_T5_mT6_T7_P12ihipStream_tbENKUlT_T0_E_clISt17integral_constantIbLb1EESZ_EEDaSU_SV_EUlSU_E_NS1_11comp_targetILNS1_3genE9ELNS1_11target_archE1100ELNS1_3gpuE3ELNS1_3repE0EEENS1_30default_config_static_selectorELNS0_4arch9wavefront6targetE0EEEvT1_.has_indirect_call, 0
	.section	.AMDGPU.csdata,"",@progbits
; Kernel info:
; codeLenInByte = 0
; TotalNumSgprs: 0
; NumVgprs: 0
; ScratchSize: 0
; MemoryBound: 0
; FloatMode: 240
; IeeeMode: 1
; LDSByteSize: 0 bytes/workgroup (compile time only)
; SGPRBlocks: 0
; VGPRBlocks: 0
; NumSGPRsForWavesPerEU: 1
; NumVGPRsForWavesPerEU: 1
; Occupancy: 16
; WaveLimiterHint : 0
; COMPUTE_PGM_RSRC2:SCRATCH_EN: 0
; COMPUTE_PGM_RSRC2:USER_SGPR: 6
; COMPUTE_PGM_RSRC2:TRAP_HANDLER: 0
; COMPUTE_PGM_RSRC2:TGID_X_EN: 1
; COMPUTE_PGM_RSRC2:TGID_Y_EN: 0
; COMPUTE_PGM_RSRC2:TGID_Z_EN: 0
; COMPUTE_PGM_RSRC2:TIDIG_COMP_CNT: 0
	.section	.text._ZN7rocprim17ROCPRIM_400000_NS6detail17trampoline_kernelINS0_14default_configENS1_27scan_by_key_config_selectorIxxEEZZNS1_16scan_by_key_implILNS1_25lookback_scan_determinismE0ELb1ES3_N6thrust23THRUST_200600_302600_NS6detail15normal_iteratorINS9_10device_ptrIxEEEESE_SE_xNS9_4plusIvEENS9_8equal_toIxEExEE10hipError_tPvRmT2_T3_T4_T5_mT6_T7_P12ihipStream_tbENKUlT_T0_E_clISt17integral_constantIbLb1EESZ_EEDaSU_SV_EUlSU_E_NS1_11comp_targetILNS1_3genE8ELNS1_11target_archE1030ELNS1_3gpuE2ELNS1_3repE0EEENS1_30default_config_static_selectorELNS0_4arch9wavefront6targetE0EEEvT1_,"axG",@progbits,_ZN7rocprim17ROCPRIM_400000_NS6detail17trampoline_kernelINS0_14default_configENS1_27scan_by_key_config_selectorIxxEEZZNS1_16scan_by_key_implILNS1_25lookback_scan_determinismE0ELb1ES3_N6thrust23THRUST_200600_302600_NS6detail15normal_iteratorINS9_10device_ptrIxEEEESE_SE_xNS9_4plusIvEENS9_8equal_toIxEExEE10hipError_tPvRmT2_T3_T4_T5_mT6_T7_P12ihipStream_tbENKUlT_T0_E_clISt17integral_constantIbLb1EESZ_EEDaSU_SV_EUlSU_E_NS1_11comp_targetILNS1_3genE8ELNS1_11target_archE1030ELNS1_3gpuE2ELNS1_3repE0EEENS1_30default_config_static_selectorELNS0_4arch9wavefront6targetE0EEEvT1_,comdat
	.protected	_ZN7rocprim17ROCPRIM_400000_NS6detail17trampoline_kernelINS0_14default_configENS1_27scan_by_key_config_selectorIxxEEZZNS1_16scan_by_key_implILNS1_25lookback_scan_determinismE0ELb1ES3_N6thrust23THRUST_200600_302600_NS6detail15normal_iteratorINS9_10device_ptrIxEEEESE_SE_xNS9_4plusIvEENS9_8equal_toIxEExEE10hipError_tPvRmT2_T3_T4_T5_mT6_T7_P12ihipStream_tbENKUlT_T0_E_clISt17integral_constantIbLb1EESZ_EEDaSU_SV_EUlSU_E_NS1_11comp_targetILNS1_3genE8ELNS1_11target_archE1030ELNS1_3gpuE2ELNS1_3repE0EEENS1_30default_config_static_selectorELNS0_4arch9wavefront6targetE0EEEvT1_ ; -- Begin function _ZN7rocprim17ROCPRIM_400000_NS6detail17trampoline_kernelINS0_14default_configENS1_27scan_by_key_config_selectorIxxEEZZNS1_16scan_by_key_implILNS1_25lookback_scan_determinismE0ELb1ES3_N6thrust23THRUST_200600_302600_NS6detail15normal_iteratorINS9_10device_ptrIxEEEESE_SE_xNS9_4plusIvEENS9_8equal_toIxEExEE10hipError_tPvRmT2_T3_T4_T5_mT6_T7_P12ihipStream_tbENKUlT_T0_E_clISt17integral_constantIbLb1EESZ_EEDaSU_SV_EUlSU_E_NS1_11comp_targetILNS1_3genE8ELNS1_11target_archE1030ELNS1_3gpuE2ELNS1_3repE0EEENS1_30default_config_static_selectorELNS0_4arch9wavefront6targetE0EEEvT1_
	.globl	_ZN7rocprim17ROCPRIM_400000_NS6detail17trampoline_kernelINS0_14default_configENS1_27scan_by_key_config_selectorIxxEEZZNS1_16scan_by_key_implILNS1_25lookback_scan_determinismE0ELb1ES3_N6thrust23THRUST_200600_302600_NS6detail15normal_iteratorINS9_10device_ptrIxEEEESE_SE_xNS9_4plusIvEENS9_8equal_toIxEExEE10hipError_tPvRmT2_T3_T4_T5_mT6_T7_P12ihipStream_tbENKUlT_T0_E_clISt17integral_constantIbLb1EESZ_EEDaSU_SV_EUlSU_E_NS1_11comp_targetILNS1_3genE8ELNS1_11target_archE1030ELNS1_3gpuE2ELNS1_3repE0EEENS1_30default_config_static_selectorELNS0_4arch9wavefront6targetE0EEEvT1_
	.p2align	8
	.type	_ZN7rocprim17ROCPRIM_400000_NS6detail17trampoline_kernelINS0_14default_configENS1_27scan_by_key_config_selectorIxxEEZZNS1_16scan_by_key_implILNS1_25lookback_scan_determinismE0ELb1ES3_N6thrust23THRUST_200600_302600_NS6detail15normal_iteratorINS9_10device_ptrIxEEEESE_SE_xNS9_4plusIvEENS9_8equal_toIxEExEE10hipError_tPvRmT2_T3_T4_T5_mT6_T7_P12ihipStream_tbENKUlT_T0_E_clISt17integral_constantIbLb1EESZ_EEDaSU_SV_EUlSU_E_NS1_11comp_targetILNS1_3genE8ELNS1_11target_archE1030ELNS1_3gpuE2ELNS1_3repE0EEENS1_30default_config_static_selectorELNS0_4arch9wavefront6targetE0EEEvT1_,@function
_ZN7rocprim17ROCPRIM_400000_NS6detail17trampoline_kernelINS0_14default_configENS1_27scan_by_key_config_selectorIxxEEZZNS1_16scan_by_key_implILNS1_25lookback_scan_determinismE0ELb1ES3_N6thrust23THRUST_200600_302600_NS6detail15normal_iteratorINS9_10device_ptrIxEEEESE_SE_xNS9_4plusIvEENS9_8equal_toIxEExEE10hipError_tPvRmT2_T3_T4_T5_mT6_T7_P12ihipStream_tbENKUlT_T0_E_clISt17integral_constantIbLb1EESZ_EEDaSU_SV_EUlSU_E_NS1_11comp_targetILNS1_3genE8ELNS1_11target_archE1030ELNS1_3gpuE2ELNS1_3repE0EEENS1_30default_config_static_selectorELNS0_4arch9wavefront6targetE0EEEvT1_: ; @_ZN7rocprim17ROCPRIM_400000_NS6detail17trampoline_kernelINS0_14default_configENS1_27scan_by_key_config_selectorIxxEEZZNS1_16scan_by_key_implILNS1_25lookback_scan_determinismE0ELb1ES3_N6thrust23THRUST_200600_302600_NS6detail15normal_iteratorINS9_10device_ptrIxEEEESE_SE_xNS9_4plusIvEENS9_8equal_toIxEExEE10hipError_tPvRmT2_T3_T4_T5_mT6_T7_P12ihipStream_tbENKUlT_T0_E_clISt17integral_constantIbLb1EESZ_EEDaSU_SV_EUlSU_E_NS1_11comp_targetILNS1_3genE8ELNS1_11target_archE1030ELNS1_3gpuE2ELNS1_3repE0EEENS1_30default_config_static_selectorELNS0_4arch9wavefront6targetE0EEEvT1_
; %bb.0:
	s_endpgm
	.section	.rodata,"a",@progbits
	.p2align	6, 0x0
	.amdhsa_kernel _ZN7rocprim17ROCPRIM_400000_NS6detail17trampoline_kernelINS0_14default_configENS1_27scan_by_key_config_selectorIxxEEZZNS1_16scan_by_key_implILNS1_25lookback_scan_determinismE0ELb1ES3_N6thrust23THRUST_200600_302600_NS6detail15normal_iteratorINS9_10device_ptrIxEEEESE_SE_xNS9_4plusIvEENS9_8equal_toIxEExEE10hipError_tPvRmT2_T3_T4_T5_mT6_T7_P12ihipStream_tbENKUlT_T0_E_clISt17integral_constantIbLb1EESZ_EEDaSU_SV_EUlSU_E_NS1_11comp_targetILNS1_3genE8ELNS1_11target_archE1030ELNS1_3gpuE2ELNS1_3repE0EEENS1_30default_config_static_selectorELNS0_4arch9wavefront6targetE0EEEvT1_
		.amdhsa_group_segment_fixed_size 0
		.amdhsa_private_segment_fixed_size 0
		.amdhsa_kernarg_size 136
		.amdhsa_user_sgpr_count 6
		.amdhsa_user_sgpr_private_segment_buffer 1
		.amdhsa_user_sgpr_dispatch_ptr 0
		.amdhsa_user_sgpr_queue_ptr 0
		.amdhsa_user_sgpr_kernarg_segment_ptr 1
		.amdhsa_user_sgpr_dispatch_id 0
		.amdhsa_user_sgpr_flat_scratch_init 0
		.amdhsa_user_sgpr_private_segment_size 0
		.amdhsa_wavefront_size32 1
		.amdhsa_uses_dynamic_stack 0
		.amdhsa_system_sgpr_private_segment_wavefront_offset 0
		.amdhsa_system_sgpr_workgroup_id_x 1
		.amdhsa_system_sgpr_workgroup_id_y 0
		.amdhsa_system_sgpr_workgroup_id_z 0
		.amdhsa_system_sgpr_workgroup_info 0
		.amdhsa_system_vgpr_workitem_id 0
		.amdhsa_next_free_vgpr 1
		.amdhsa_next_free_sgpr 1
		.amdhsa_reserve_vcc 0
		.amdhsa_reserve_flat_scratch 0
		.amdhsa_float_round_mode_32 0
		.amdhsa_float_round_mode_16_64 0
		.amdhsa_float_denorm_mode_32 3
		.amdhsa_float_denorm_mode_16_64 3
		.amdhsa_dx10_clamp 1
		.amdhsa_ieee_mode 1
		.amdhsa_fp16_overflow 0
		.amdhsa_workgroup_processor_mode 1
		.amdhsa_memory_ordered 1
		.amdhsa_forward_progress 1
		.amdhsa_shared_vgpr_count 0
		.amdhsa_exception_fp_ieee_invalid_op 0
		.amdhsa_exception_fp_denorm_src 0
		.amdhsa_exception_fp_ieee_div_zero 0
		.amdhsa_exception_fp_ieee_overflow 0
		.amdhsa_exception_fp_ieee_underflow 0
		.amdhsa_exception_fp_ieee_inexact 0
		.amdhsa_exception_int_div_zero 0
	.end_amdhsa_kernel
	.section	.text._ZN7rocprim17ROCPRIM_400000_NS6detail17trampoline_kernelINS0_14default_configENS1_27scan_by_key_config_selectorIxxEEZZNS1_16scan_by_key_implILNS1_25lookback_scan_determinismE0ELb1ES3_N6thrust23THRUST_200600_302600_NS6detail15normal_iteratorINS9_10device_ptrIxEEEESE_SE_xNS9_4plusIvEENS9_8equal_toIxEExEE10hipError_tPvRmT2_T3_T4_T5_mT6_T7_P12ihipStream_tbENKUlT_T0_E_clISt17integral_constantIbLb1EESZ_EEDaSU_SV_EUlSU_E_NS1_11comp_targetILNS1_3genE8ELNS1_11target_archE1030ELNS1_3gpuE2ELNS1_3repE0EEENS1_30default_config_static_selectorELNS0_4arch9wavefront6targetE0EEEvT1_,"axG",@progbits,_ZN7rocprim17ROCPRIM_400000_NS6detail17trampoline_kernelINS0_14default_configENS1_27scan_by_key_config_selectorIxxEEZZNS1_16scan_by_key_implILNS1_25lookback_scan_determinismE0ELb1ES3_N6thrust23THRUST_200600_302600_NS6detail15normal_iteratorINS9_10device_ptrIxEEEESE_SE_xNS9_4plusIvEENS9_8equal_toIxEExEE10hipError_tPvRmT2_T3_T4_T5_mT6_T7_P12ihipStream_tbENKUlT_T0_E_clISt17integral_constantIbLb1EESZ_EEDaSU_SV_EUlSU_E_NS1_11comp_targetILNS1_3genE8ELNS1_11target_archE1030ELNS1_3gpuE2ELNS1_3repE0EEENS1_30default_config_static_selectorELNS0_4arch9wavefront6targetE0EEEvT1_,comdat
.Lfunc_end442:
	.size	_ZN7rocprim17ROCPRIM_400000_NS6detail17trampoline_kernelINS0_14default_configENS1_27scan_by_key_config_selectorIxxEEZZNS1_16scan_by_key_implILNS1_25lookback_scan_determinismE0ELb1ES3_N6thrust23THRUST_200600_302600_NS6detail15normal_iteratorINS9_10device_ptrIxEEEESE_SE_xNS9_4plusIvEENS9_8equal_toIxEExEE10hipError_tPvRmT2_T3_T4_T5_mT6_T7_P12ihipStream_tbENKUlT_T0_E_clISt17integral_constantIbLb1EESZ_EEDaSU_SV_EUlSU_E_NS1_11comp_targetILNS1_3genE8ELNS1_11target_archE1030ELNS1_3gpuE2ELNS1_3repE0EEENS1_30default_config_static_selectorELNS0_4arch9wavefront6targetE0EEEvT1_, .Lfunc_end442-_ZN7rocprim17ROCPRIM_400000_NS6detail17trampoline_kernelINS0_14default_configENS1_27scan_by_key_config_selectorIxxEEZZNS1_16scan_by_key_implILNS1_25lookback_scan_determinismE0ELb1ES3_N6thrust23THRUST_200600_302600_NS6detail15normal_iteratorINS9_10device_ptrIxEEEESE_SE_xNS9_4plusIvEENS9_8equal_toIxEExEE10hipError_tPvRmT2_T3_T4_T5_mT6_T7_P12ihipStream_tbENKUlT_T0_E_clISt17integral_constantIbLb1EESZ_EEDaSU_SV_EUlSU_E_NS1_11comp_targetILNS1_3genE8ELNS1_11target_archE1030ELNS1_3gpuE2ELNS1_3repE0EEENS1_30default_config_static_selectorELNS0_4arch9wavefront6targetE0EEEvT1_
                                        ; -- End function
	.set _ZN7rocprim17ROCPRIM_400000_NS6detail17trampoline_kernelINS0_14default_configENS1_27scan_by_key_config_selectorIxxEEZZNS1_16scan_by_key_implILNS1_25lookback_scan_determinismE0ELb1ES3_N6thrust23THRUST_200600_302600_NS6detail15normal_iteratorINS9_10device_ptrIxEEEESE_SE_xNS9_4plusIvEENS9_8equal_toIxEExEE10hipError_tPvRmT2_T3_T4_T5_mT6_T7_P12ihipStream_tbENKUlT_T0_E_clISt17integral_constantIbLb1EESZ_EEDaSU_SV_EUlSU_E_NS1_11comp_targetILNS1_3genE8ELNS1_11target_archE1030ELNS1_3gpuE2ELNS1_3repE0EEENS1_30default_config_static_selectorELNS0_4arch9wavefront6targetE0EEEvT1_.num_vgpr, 0
	.set _ZN7rocprim17ROCPRIM_400000_NS6detail17trampoline_kernelINS0_14default_configENS1_27scan_by_key_config_selectorIxxEEZZNS1_16scan_by_key_implILNS1_25lookback_scan_determinismE0ELb1ES3_N6thrust23THRUST_200600_302600_NS6detail15normal_iteratorINS9_10device_ptrIxEEEESE_SE_xNS9_4plusIvEENS9_8equal_toIxEExEE10hipError_tPvRmT2_T3_T4_T5_mT6_T7_P12ihipStream_tbENKUlT_T0_E_clISt17integral_constantIbLb1EESZ_EEDaSU_SV_EUlSU_E_NS1_11comp_targetILNS1_3genE8ELNS1_11target_archE1030ELNS1_3gpuE2ELNS1_3repE0EEENS1_30default_config_static_selectorELNS0_4arch9wavefront6targetE0EEEvT1_.num_agpr, 0
	.set _ZN7rocprim17ROCPRIM_400000_NS6detail17trampoline_kernelINS0_14default_configENS1_27scan_by_key_config_selectorIxxEEZZNS1_16scan_by_key_implILNS1_25lookback_scan_determinismE0ELb1ES3_N6thrust23THRUST_200600_302600_NS6detail15normal_iteratorINS9_10device_ptrIxEEEESE_SE_xNS9_4plusIvEENS9_8equal_toIxEExEE10hipError_tPvRmT2_T3_T4_T5_mT6_T7_P12ihipStream_tbENKUlT_T0_E_clISt17integral_constantIbLb1EESZ_EEDaSU_SV_EUlSU_E_NS1_11comp_targetILNS1_3genE8ELNS1_11target_archE1030ELNS1_3gpuE2ELNS1_3repE0EEENS1_30default_config_static_selectorELNS0_4arch9wavefront6targetE0EEEvT1_.numbered_sgpr, 0
	.set _ZN7rocprim17ROCPRIM_400000_NS6detail17trampoline_kernelINS0_14default_configENS1_27scan_by_key_config_selectorIxxEEZZNS1_16scan_by_key_implILNS1_25lookback_scan_determinismE0ELb1ES3_N6thrust23THRUST_200600_302600_NS6detail15normal_iteratorINS9_10device_ptrIxEEEESE_SE_xNS9_4plusIvEENS9_8equal_toIxEExEE10hipError_tPvRmT2_T3_T4_T5_mT6_T7_P12ihipStream_tbENKUlT_T0_E_clISt17integral_constantIbLb1EESZ_EEDaSU_SV_EUlSU_E_NS1_11comp_targetILNS1_3genE8ELNS1_11target_archE1030ELNS1_3gpuE2ELNS1_3repE0EEENS1_30default_config_static_selectorELNS0_4arch9wavefront6targetE0EEEvT1_.num_named_barrier, 0
	.set _ZN7rocprim17ROCPRIM_400000_NS6detail17trampoline_kernelINS0_14default_configENS1_27scan_by_key_config_selectorIxxEEZZNS1_16scan_by_key_implILNS1_25lookback_scan_determinismE0ELb1ES3_N6thrust23THRUST_200600_302600_NS6detail15normal_iteratorINS9_10device_ptrIxEEEESE_SE_xNS9_4plusIvEENS9_8equal_toIxEExEE10hipError_tPvRmT2_T3_T4_T5_mT6_T7_P12ihipStream_tbENKUlT_T0_E_clISt17integral_constantIbLb1EESZ_EEDaSU_SV_EUlSU_E_NS1_11comp_targetILNS1_3genE8ELNS1_11target_archE1030ELNS1_3gpuE2ELNS1_3repE0EEENS1_30default_config_static_selectorELNS0_4arch9wavefront6targetE0EEEvT1_.private_seg_size, 0
	.set _ZN7rocprim17ROCPRIM_400000_NS6detail17trampoline_kernelINS0_14default_configENS1_27scan_by_key_config_selectorIxxEEZZNS1_16scan_by_key_implILNS1_25lookback_scan_determinismE0ELb1ES3_N6thrust23THRUST_200600_302600_NS6detail15normal_iteratorINS9_10device_ptrIxEEEESE_SE_xNS9_4plusIvEENS9_8equal_toIxEExEE10hipError_tPvRmT2_T3_T4_T5_mT6_T7_P12ihipStream_tbENKUlT_T0_E_clISt17integral_constantIbLb1EESZ_EEDaSU_SV_EUlSU_E_NS1_11comp_targetILNS1_3genE8ELNS1_11target_archE1030ELNS1_3gpuE2ELNS1_3repE0EEENS1_30default_config_static_selectorELNS0_4arch9wavefront6targetE0EEEvT1_.uses_vcc, 0
	.set _ZN7rocprim17ROCPRIM_400000_NS6detail17trampoline_kernelINS0_14default_configENS1_27scan_by_key_config_selectorIxxEEZZNS1_16scan_by_key_implILNS1_25lookback_scan_determinismE0ELb1ES3_N6thrust23THRUST_200600_302600_NS6detail15normal_iteratorINS9_10device_ptrIxEEEESE_SE_xNS9_4plusIvEENS9_8equal_toIxEExEE10hipError_tPvRmT2_T3_T4_T5_mT6_T7_P12ihipStream_tbENKUlT_T0_E_clISt17integral_constantIbLb1EESZ_EEDaSU_SV_EUlSU_E_NS1_11comp_targetILNS1_3genE8ELNS1_11target_archE1030ELNS1_3gpuE2ELNS1_3repE0EEENS1_30default_config_static_selectorELNS0_4arch9wavefront6targetE0EEEvT1_.uses_flat_scratch, 0
	.set _ZN7rocprim17ROCPRIM_400000_NS6detail17trampoline_kernelINS0_14default_configENS1_27scan_by_key_config_selectorIxxEEZZNS1_16scan_by_key_implILNS1_25lookback_scan_determinismE0ELb1ES3_N6thrust23THRUST_200600_302600_NS6detail15normal_iteratorINS9_10device_ptrIxEEEESE_SE_xNS9_4plusIvEENS9_8equal_toIxEExEE10hipError_tPvRmT2_T3_T4_T5_mT6_T7_P12ihipStream_tbENKUlT_T0_E_clISt17integral_constantIbLb1EESZ_EEDaSU_SV_EUlSU_E_NS1_11comp_targetILNS1_3genE8ELNS1_11target_archE1030ELNS1_3gpuE2ELNS1_3repE0EEENS1_30default_config_static_selectorELNS0_4arch9wavefront6targetE0EEEvT1_.has_dyn_sized_stack, 0
	.set _ZN7rocprim17ROCPRIM_400000_NS6detail17trampoline_kernelINS0_14default_configENS1_27scan_by_key_config_selectorIxxEEZZNS1_16scan_by_key_implILNS1_25lookback_scan_determinismE0ELb1ES3_N6thrust23THRUST_200600_302600_NS6detail15normal_iteratorINS9_10device_ptrIxEEEESE_SE_xNS9_4plusIvEENS9_8equal_toIxEExEE10hipError_tPvRmT2_T3_T4_T5_mT6_T7_P12ihipStream_tbENKUlT_T0_E_clISt17integral_constantIbLb1EESZ_EEDaSU_SV_EUlSU_E_NS1_11comp_targetILNS1_3genE8ELNS1_11target_archE1030ELNS1_3gpuE2ELNS1_3repE0EEENS1_30default_config_static_selectorELNS0_4arch9wavefront6targetE0EEEvT1_.has_recursion, 0
	.set _ZN7rocprim17ROCPRIM_400000_NS6detail17trampoline_kernelINS0_14default_configENS1_27scan_by_key_config_selectorIxxEEZZNS1_16scan_by_key_implILNS1_25lookback_scan_determinismE0ELb1ES3_N6thrust23THRUST_200600_302600_NS6detail15normal_iteratorINS9_10device_ptrIxEEEESE_SE_xNS9_4plusIvEENS9_8equal_toIxEExEE10hipError_tPvRmT2_T3_T4_T5_mT6_T7_P12ihipStream_tbENKUlT_T0_E_clISt17integral_constantIbLb1EESZ_EEDaSU_SV_EUlSU_E_NS1_11comp_targetILNS1_3genE8ELNS1_11target_archE1030ELNS1_3gpuE2ELNS1_3repE0EEENS1_30default_config_static_selectorELNS0_4arch9wavefront6targetE0EEEvT1_.has_indirect_call, 0
	.section	.AMDGPU.csdata,"",@progbits
; Kernel info:
; codeLenInByte = 4
; TotalNumSgprs: 0
; NumVgprs: 0
; ScratchSize: 0
; MemoryBound: 0
; FloatMode: 240
; IeeeMode: 1
; LDSByteSize: 0 bytes/workgroup (compile time only)
; SGPRBlocks: 0
; VGPRBlocks: 0
; NumSGPRsForWavesPerEU: 1
; NumVGPRsForWavesPerEU: 1
; Occupancy: 16
; WaveLimiterHint : 0
; COMPUTE_PGM_RSRC2:SCRATCH_EN: 0
; COMPUTE_PGM_RSRC2:USER_SGPR: 6
; COMPUTE_PGM_RSRC2:TRAP_HANDLER: 0
; COMPUTE_PGM_RSRC2:TGID_X_EN: 1
; COMPUTE_PGM_RSRC2:TGID_Y_EN: 0
; COMPUTE_PGM_RSRC2:TGID_Z_EN: 0
; COMPUTE_PGM_RSRC2:TIDIG_COMP_CNT: 0
	.section	.text._ZN7rocprim17ROCPRIM_400000_NS6detail17trampoline_kernelINS0_14default_configENS1_27scan_by_key_config_selectorIxxEEZZNS1_16scan_by_key_implILNS1_25lookback_scan_determinismE0ELb1ES3_N6thrust23THRUST_200600_302600_NS6detail15normal_iteratorINS9_10device_ptrIxEEEESE_SE_xNS9_4plusIvEENS9_8equal_toIxEExEE10hipError_tPvRmT2_T3_T4_T5_mT6_T7_P12ihipStream_tbENKUlT_T0_E_clISt17integral_constantIbLb1EESY_IbLb0EEEEDaSU_SV_EUlSU_E_NS1_11comp_targetILNS1_3genE0ELNS1_11target_archE4294967295ELNS1_3gpuE0ELNS1_3repE0EEENS1_30default_config_static_selectorELNS0_4arch9wavefront6targetE0EEEvT1_,"axG",@progbits,_ZN7rocprim17ROCPRIM_400000_NS6detail17trampoline_kernelINS0_14default_configENS1_27scan_by_key_config_selectorIxxEEZZNS1_16scan_by_key_implILNS1_25lookback_scan_determinismE0ELb1ES3_N6thrust23THRUST_200600_302600_NS6detail15normal_iteratorINS9_10device_ptrIxEEEESE_SE_xNS9_4plusIvEENS9_8equal_toIxEExEE10hipError_tPvRmT2_T3_T4_T5_mT6_T7_P12ihipStream_tbENKUlT_T0_E_clISt17integral_constantIbLb1EESY_IbLb0EEEEDaSU_SV_EUlSU_E_NS1_11comp_targetILNS1_3genE0ELNS1_11target_archE4294967295ELNS1_3gpuE0ELNS1_3repE0EEENS1_30default_config_static_selectorELNS0_4arch9wavefront6targetE0EEEvT1_,comdat
	.protected	_ZN7rocprim17ROCPRIM_400000_NS6detail17trampoline_kernelINS0_14default_configENS1_27scan_by_key_config_selectorIxxEEZZNS1_16scan_by_key_implILNS1_25lookback_scan_determinismE0ELb1ES3_N6thrust23THRUST_200600_302600_NS6detail15normal_iteratorINS9_10device_ptrIxEEEESE_SE_xNS9_4plusIvEENS9_8equal_toIxEExEE10hipError_tPvRmT2_T3_T4_T5_mT6_T7_P12ihipStream_tbENKUlT_T0_E_clISt17integral_constantIbLb1EESY_IbLb0EEEEDaSU_SV_EUlSU_E_NS1_11comp_targetILNS1_3genE0ELNS1_11target_archE4294967295ELNS1_3gpuE0ELNS1_3repE0EEENS1_30default_config_static_selectorELNS0_4arch9wavefront6targetE0EEEvT1_ ; -- Begin function _ZN7rocprim17ROCPRIM_400000_NS6detail17trampoline_kernelINS0_14default_configENS1_27scan_by_key_config_selectorIxxEEZZNS1_16scan_by_key_implILNS1_25lookback_scan_determinismE0ELb1ES3_N6thrust23THRUST_200600_302600_NS6detail15normal_iteratorINS9_10device_ptrIxEEEESE_SE_xNS9_4plusIvEENS9_8equal_toIxEExEE10hipError_tPvRmT2_T3_T4_T5_mT6_T7_P12ihipStream_tbENKUlT_T0_E_clISt17integral_constantIbLb1EESY_IbLb0EEEEDaSU_SV_EUlSU_E_NS1_11comp_targetILNS1_3genE0ELNS1_11target_archE4294967295ELNS1_3gpuE0ELNS1_3repE0EEENS1_30default_config_static_selectorELNS0_4arch9wavefront6targetE0EEEvT1_
	.globl	_ZN7rocprim17ROCPRIM_400000_NS6detail17trampoline_kernelINS0_14default_configENS1_27scan_by_key_config_selectorIxxEEZZNS1_16scan_by_key_implILNS1_25lookback_scan_determinismE0ELb1ES3_N6thrust23THRUST_200600_302600_NS6detail15normal_iteratorINS9_10device_ptrIxEEEESE_SE_xNS9_4plusIvEENS9_8equal_toIxEExEE10hipError_tPvRmT2_T3_T4_T5_mT6_T7_P12ihipStream_tbENKUlT_T0_E_clISt17integral_constantIbLb1EESY_IbLb0EEEEDaSU_SV_EUlSU_E_NS1_11comp_targetILNS1_3genE0ELNS1_11target_archE4294967295ELNS1_3gpuE0ELNS1_3repE0EEENS1_30default_config_static_selectorELNS0_4arch9wavefront6targetE0EEEvT1_
	.p2align	8
	.type	_ZN7rocprim17ROCPRIM_400000_NS6detail17trampoline_kernelINS0_14default_configENS1_27scan_by_key_config_selectorIxxEEZZNS1_16scan_by_key_implILNS1_25lookback_scan_determinismE0ELb1ES3_N6thrust23THRUST_200600_302600_NS6detail15normal_iteratorINS9_10device_ptrIxEEEESE_SE_xNS9_4plusIvEENS9_8equal_toIxEExEE10hipError_tPvRmT2_T3_T4_T5_mT6_T7_P12ihipStream_tbENKUlT_T0_E_clISt17integral_constantIbLb1EESY_IbLb0EEEEDaSU_SV_EUlSU_E_NS1_11comp_targetILNS1_3genE0ELNS1_11target_archE4294967295ELNS1_3gpuE0ELNS1_3repE0EEENS1_30default_config_static_selectorELNS0_4arch9wavefront6targetE0EEEvT1_,@function
_ZN7rocprim17ROCPRIM_400000_NS6detail17trampoline_kernelINS0_14default_configENS1_27scan_by_key_config_selectorIxxEEZZNS1_16scan_by_key_implILNS1_25lookback_scan_determinismE0ELb1ES3_N6thrust23THRUST_200600_302600_NS6detail15normal_iteratorINS9_10device_ptrIxEEEESE_SE_xNS9_4plusIvEENS9_8equal_toIxEExEE10hipError_tPvRmT2_T3_T4_T5_mT6_T7_P12ihipStream_tbENKUlT_T0_E_clISt17integral_constantIbLb1EESY_IbLb0EEEEDaSU_SV_EUlSU_E_NS1_11comp_targetILNS1_3genE0ELNS1_11target_archE4294967295ELNS1_3gpuE0ELNS1_3repE0EEENS1_30default_config_static_selectorELNS0_4arch9wavefront6targetE0EEEvT1_: ; @_ZN7rocprim17ROCPRIM_400000_NS6detail17trampoline_kernelINS0_14default_configENS1_27scan_by_key_config_selectorIxxEEZZNS1_16scan_by_key_implILNS1_25lookback_scan_determinismE0ELb1ES3_N6thrust23THRUST_200600_302600_NS6detail15normal_iteratorINS9_10device_ptrIxEEEESE_SE_xNS9_4plusIvEENS9_8equal_toIxEExEE10hipError_tPvRmT2_T3_T4_T5_mT6_T7_P12ihipStream_tbENKUlT_T0_E_clISt17integral_constantIbLb1EESY_IbLb0EEEEDaSU_SV_EUlSU_E_NS1_11comp_targetILNS1_3genE0ELNS1_11target_archE4294967295ELNS1_3gpuE0ELNS1_3repE0EEENS1_30default_config_static_selectorELNS0_4arch9wavefront6targetE0EEEvT1_
; %bb.0:
	.section	.rodata,"a",@progbits
	.p2align	6, 0x0
	.amdhsa_kernel _ZN7rocprim17ROCPRIM_400000_NS6detail17trampoline_kernelINS0_14default_configENS1_27scan_by_key_config_selectorIxxEEZZNS1_16scan_by_key_implILNS1_25lookback_scan_determinismE0ELb1ES3_N6thrust23THRUST_200600_302600_NS6detail15normal_iteratorINS9_10device_ptrIxEEEESE_SE_xNS9_4plusIvEENS9_8equal_toIxEExEE10hipError_tPvRmT2_T3_T4_T5_mT6_T7_P12ihipStream_tbENKUlT_T0_E_clISt17integral_constantIbLb1EESY_IbLb0EEEEDaSU_SV_EUlSU_E_NS1_11comp_targetILNS1_3genE0ELNS1_11target_archE4294967295ELNS1_3gpuE0ELNS1_3repE0EEENS1_30default_config_static_selectorELNS0_4arch9wavefront6targetE0EEEvT1_
		.amdhsa_group_segment_fixed_size 0
		.amdhsa_private_segment_fixed_size 0
		.amdhsa_kernarg_size 136
		.amdhsa_user_sgpr_count 6
		.amdhsa_user_sgpr_private_segment_buffer 1
		.amdhsa_user_sgpr_dispatch_ptr 0
		.amdhsa_user_sgpr_queue_ptr 0
		.amdhsa_user_sgpr_kernarg_segment_ptr 1
		.amdhsa_user_sgpr_dispatch_id 0
		.amdhsa_user_sgpr_flat_scratch_init 0
		.amdhsa_user_sgpr_private_segment_size 0
		.amdhsa_wavefront_size32 1
		.amdhsa_uses_dynamic_stack 0
		.amdhsa_system_sgpr_private_segment_wavefront_offset 0
		.amdhsa_system_sgpr_workgroup_id_x 1
		.amdhsa_system_sgpr_workgroup_id_y 0
		.amdhsa_system_sgpr_workgroup_id_z 0
		.amdhsa_system_sgpr_workgroup_info 0
		.amdhsa_system_vgpr_workitem_id 0
		.amdhsa_next_free_vgpr 1
		.amdhsa_next_free_sgpr 1
		.amdhsa_reserve_vcc 0
		.amdhsa_reserve_flat_scratch 0
		.amdhsa_float_round_mode_32 0
		.amdhsa_float_round_mode_16_64 0
		.amdhsa_float_denorm_mode_32 3
		.amdhsa_float_denorm_mode_16_64 3
		.amdhsa_dx10_clamp 1
		.amdhsa_ieee_mode 1
		.amdhsa_fp16_overflow 0
		.amdhsa_workgroup_processor_mode 1
		.amdhsa_memory_ordered 1
		.amdhsa_forward_progress 1
		.amdhsa_shared_vgpr_count 0
		.amdhsa_exception_fp_ieee_invalid_op 0
		.amdhsa_exception_fp_denorm_src 0
		.amdhsa_exception_fp_ieee_div_zero 0
		.amdhsa_exception_fp_ieee_overflow 0
		.amdhsa_exception_fp_ieee_underflow 0
		.amdhsa_exception_fp_ieee_inexact 0
		.amdhsa_exception_int_div_zero 0
	.end_amdhsa_kernel
	.section	.text._ZN7rocprim17ROCPRIM_400000_NS6detail17trampoline_kernelINS0_14default_configENS1_27scan_by_key_config_selectorIxxEEZZNS1_16scan_by_key_implILNS1_25lookback_scan_determinismE0ELb1ES3_N6thrust23THRUST_200600_302600_NS6detail15normal_iteratorINS9_10device_ptrIxEEEESE_SE_xNS9_4plusIvEENS9_8equal_toIxEExEE10hipError_tPvRmT2_T3_T4_T5_mT6_T7_P12ihipStream_tbENKUlT_T0_E_clISt17integral_constantIbLb1EESY_IbLb0EEEEDaSU_SV_EUlSU_E_NS1_11comp_targetILNS1_3genE0ELNS1_11target_archE4294967295ELNS1_3gpuE0ELNS1_3repE0EEENS1_30default_config_static_selectorELNS0_4arch9wavefront6targetE0EEEvT1_,"axG",@progbits,_ZN7rocprim17ROCPRIM_400000_NS6detail17trampoline_kernelINS0_14default_configENS1_27scan_by_key_config_selectorIxxEEZZNS1_16scan_by_key_implILNS1_25lookback_scan_determinismE0ELb1ES3_N6thrust23THRUST_200600_302600_NS6detail15normal_iteratorINS9_10device_ptrIxEEEESE_SE_xNS9_4plusIvEENS9_8equal_toIxEExEE10hipError_tPvRmT2_T3_T4_T5_mT6_T7_P12ihipStream_tbENKUlT_T0_E_clISt17integral_constantIbLb1EESY_IbLb0EEEEDaSU_SV_EUlSU_E_NS1_11comp_targetILNS1_3genE0ELNS1_11target_archE4294967295ELNS1_3gpuE0ELNS1_3repE0EEENS1_30default_config_static_selectorELNS0_4arch9wavefront6targetE0EEEvT1_,comdat
.Lfunc_end443:
	.size	_ZN7rocprim17ROCPRIM_400000_NS6detail17trampoline_kernelINS0_14default_configENS1_27scan_by_key_config_selectorIxxEEZZNS1_16scan_by_key_implILNS1_25lookback_scan_determinismE0ELb1ES3_N6thrust23THRUST_200600_302600_NS6detail15normal_iteratorINS9_10device_ptrIxEEEESE_SE_xNS9_4plusIvEENS9_8equal_toIxEExEE10hipError_tPvRmT2_T3_T4_T5_mT6_T7_P12ihipStream_tbENKUlT_T0_E_clISt17integral_constantIbLb1EESY_IbLb0EEEEDaSU_SV_EUlSU_E_NS1_11comp_targetILNS1_3genE0ELNS1_11target_archE4294967295ELNS1_3gpuE0ELNS1_3repE0EEENS1_30default_config_static_selectorELNS0_4arch9wavefront6targetE0EEEvT1_, .Lfunc_end443-_ZN7rocprim17ROCPRIM_400000_NS6detail17trampoline_kernelINS0_14default_configENS1_27scan_by_key_config_selectorIxxEEZZNS1_16scan_by_key_implILNS1_25lookback_scan_determinismE0ELb1ES3_N6thrust23THRUST_200600_302600_NS6detail15normal_iteratorINS9_10device_ptrIxEEEESE_SE_xNS9_4plusIvEENS9_8equal_toIxEExEE10hipError_tPvRmT2_T3_T4_T5_mT6_T7_P12ihipStream_tbENKUlT_T0_E_clISt17integral_constantIbLb1EESY_IbLb0EEEEDaSU_SV_EUlSU_E_NS1_11comp_targetILNS1_3genE0ELNS1_11target_archE4294967295ELNS1_3gpuE0ELNS1_3repE0EEENS1_30default_config_static_selectorELNS0_4arch9wavefront6targetE0EEEvT1_
                                        ; -- End function
	.set _ZN7rocprim17ROCPRIM_400000_NS6detail17trampoline_kernelINS0_14default_configENS1_27scan_by_key_config_selectorIxxEEZZNS1_16scan_by_key_implILNS1_25lookback_scan_determinismE0ELb1ES3_N6thrust23THRUST_200600_302600_NS6detail15normal_iteratorINS9_10device_ptrIxEEEESE_SE_xNS9_4plusIvEENS9_8equal_toIxEExEE10hipError_tPvRmT2_T3_T4_T5_mT6_T7_P12ihipStream_tbENKUlT_T0_E_clISt17integral_constantIbLb1EESY_IbLb0EEEEDaSU_SV_EUlSU_E_NS1_11comp_targetILNS1_3genE0ELNS1_11target_archE4294967295ELNS1_3gpuE0ELNS1_3repE0EEENS1_30default_config_static_selectorELNS0_4arch9wavefront6targetE0EEEvT1_.num_vgpr, 0
	.set _ZN7rocprim17ROCPRIM_400000_NS6detail17trampoline_kernelINS0_14default_configENS1_27scan_by_key_config_selectorIxxEEZZNS1_16scan_by_key_implILNS1_25lookback_scan_determinismE0ELb1ES3_N6thrust23THRUST_200600_302600_NS6detail15normal_iteratorINS9_10device_ptrIxEEEESE_SE_xNS9_4plusIvEENS9_8equal_toIxEExEE10hipError_tPvRmT2_T3_T4_T5_mT6_T7_P12ihipStream_tbENKUlT_T0_E_clISt17integral_constantIbLb1EESY_IbLb0EEEEDaSU_SV_EUlSU_E_NS1_11comp_targetILNS1_3genE0ELNS1_11target_archE4294967295ELNS1_3gpuE0ELNS1_3repE0EEENS1_30default_config_static_selectorELNS0_4arch9wavefront6targetE0EEEvT1_.num_agpr, 0
	.set _ZN7rocprim17ROCPRIM_400000_NS6detail17trampoline_kernelINS0_14default_configENS1_27scan_by_key_config_selectorIxxEEZZNS1_16scan_by_key_implILNS1_25lookback_scan_determinismE0ELb1ES3_N6thrust23THRUST_200600_302600_NS6detail15normal_iteratorINS9_10device_ptrIxEEEESE_SE_xNS9_4plusIvEENS9_8equal_toIxEExEE10hipError_tPvRmT2_T3_T4_T5_mT6_T7_P12ihipStream_tbENKUlT_T0_E_clISt17integral_constantIbLb1EESY_IbLb0EEEEDaSU_SV_EUlSU_E_NS1_11comp_targetILNS1_3genE0ELNS1_11target_archE4294967295ELNS1_3gpuE0ELNS1_3repE0EEENS1_30default_config_static_selectorELNS0_4arch9wavefront6targetE0EEEvT1_.numbered_sgpr, 0
	.set _ZN7rocprim17ROCPRIM_400000_NS6detail17trampoline_kernelINS0_14default_configENS1_27scan_by_key_config_selectorIxxEEZZNS1_16scan_by_key_implILNS1_25lookback_scan_determinismE0ELb1ES3_N6thrust23THRUST_200600_302600_NS6detail15normal_iteratorINS9_10device_ptrIxEEEESE_SE_xNS9_4plusIvEENS9_8equal_toIxEExEE10hipError_tPvRmT2_T3_T4_T5_mT6_T7_P12ihipStream_tbENKUlT_T0_E_clISt17integral_constantIbLb1EESY_IbLb0EEEEDaSU_SV_EUlSU_E_NS1_11comp_targetILNS1_3genE0ELNS1_11target_archE4294967295ELNS1_3gpuE0ELNS1_3repE0EEENS1_30default_config_static_selectorELNS0_4arch9wavefront6targetE0EEEvT1_.num_named_barrier, 0
	.set _ZN7rocprim17ROCPRIM_400000_NS6detail17trampoline_kernelINS0_14default_configENS1_27scan_by_key_config_selectorIxxEEZZNS1_16scan_by_key_implILNS1_25lookback_scan_determinismE0ELb1ES3_N6thrust23THRUST_200600_302600_NS6detail15normal_iteratorINS9_10device_ptrIxEEEESE_SE_xNS9_4plusIvEENS9_8equal_toIxEExEE10hipError_tPvRmT2_T3_T4_T5_mT6_T7_P12ihipStream_tbENKUlT_T0_E_clISt17integral_constantIbLb1EESY_IbLb0EEEEDaSU_SV_EUlSU_E_NS1_11comp_targetILNS1_3genE0ELNS1_11target_archE4294967295ELNS1_3gpuE0ELNS1_3repE0EEENS1_30default_config_static_selectorELNS0_4arch9wavefront6targetE0EEEvT1_.private_seg_size, 0
	.set _ZN7rocprim17ROCPRIM_400000_NS6detail17trampoline_kernelINS0_14default_configENS1_27scan_by_key_config_selectorIxxEEZZNS1_16scan_by_key_implILNS1_25lookback_scan_determinismE0ELb1ES3_N6thrust23THRUST_200600_302600_NS6detail15normal_iteratorINS9_10device_ptrIxEEEESE_SE_xNS9_4plusIvEENS9_8equal_toIxEExEE10hipError_tPvRmT2_T3_T4_T5_mT6_T7_P12ihipStream_tbENKUlT_T0_E_clISt17integral_constantIbLb1EESY_IbLb0EEEEDaSU_SV_EUlSU_E_NS1_11comp_targetILNS1_3genE0ELNS1_11target_archE4294967295ELNS1_3gpuE0ELNS1_3repE0EEENS1_30default_config_static_selectorELNS0_4arch9wavefront6targetE0EEEvT1_.uses_vcc, 0
	.set _ZN7rocprim17ROCPRIM_400000_NS6detail17trampoline_kernelINS0_14default_configENS1_27scan_by_key_config_selectorIxxEEZZNS1_16scan_by_key_implILNS1_25lookback_scan_determinismE0ELb1ES3_N6thrust23THRUST_200600_302600_NS6detail15normal_iteratorINS9_10device_ptrIxEEEESE_SE_xNS9_4plusIvEENS9_8equal_toIxEExEE10hipError_tPvRmT2_T3_T4_T5_mT6_T7_P12ihipStream_tbENKUlT_T0_E_clISt17integral_constantIbLb1EESY_IbLb0EEEEDaSU_SV_EUlSU_E_NS1_11comp_targetILNS1_3genE0ELNS1_11target_archE4294967295ELNS1_3gpuE0ELNS1_3repE0EEENS1_30default_config_static_selectorELNS0_4arch9wavefront6targetE0EEEvT1_.uses_flat_scratch, 0
	.set _ZN7rocprim17ROCPRIM_400000_NS6detail17trampoline_kernelINS0_14default_configENS1_27scan_by_key_config_selectorIxxEEZZNS1_16scan_by_key_implILNS1_25lookback_scan_determinismE0ELb1ES3_N6thrust23THRUST_200600_302600_NS6detail15normal_iteratorINS9_10device_ptrIxEEEESE_SE_xNS9_4plusIvEENS9_8equal_toIxEExEE10hipError_tPvRmT2_T3_T4_T5_mT6_T7_P12ihipStream_tbENKUlT_T0_E_clISt17integral_constantIbLb1EESY_IbLb0EEEEDaSU_SV_EUlSU_E_NS1_11comp_targetILNS1_3genE0ELNS1_11target_archE4294967295ELNS1_3gpuE0ELNS1_3repE0EEENS1_30default_config_static_selectorELNS0_4arch9wavefront6targetE0EEEvT1_.has_dyn_sized_stack, 0
	.set _ZN7rocprim17ROCPRIM_400000_NS6detail17trampoline_kernelINS0_14default_configENS1_27scan_by_key_config_selectorIxxEEZZNS1_16scan_by_key_implILNS1_25lookback_scan_determinismE0ELb1ES3_N6thrust23THRUST_200600_302600_NS6detail15normal_iteratorINS9_10device_ptrIxEEEESE_SE_xNS9_4plusIvEENS9_8equal_toIxEExEE10hipError_tPvRmT2_T3_T4_T5_mT6_T7_P12ihipStream_tbENKUlT_T0_E_clISt17integral_constantIbLb1EESY_IbLb0EEEEDaSU_SV_EUlSU_E_NS1_11comp_targetILNS1_3genE0ELNS1_11target_archE4294967295ELNS1_3gpuE0ELNS1_3repE0EEENS1_30default_config_static_selectorELNS0_4arch9wavefront6targetE0EEEvT1_.has_recursion, 0
	.set _ZN7rocprim17ROCPRIM_400000_NS6detail17trampoline_kernelINS0_14default_configENS1_27scan_by_key_config_selectorIxxEEZZNS1_16scan_by_key_implILNS1_25lookback_scan_determinismE0ELb1ES3_N6thrust23THRUST_200600_302600_NS6detail15normal_iteratorINS9_10device_ptrIxEEEESE_SE_xNS9_4plusIvEENS9_8equal_toIxEExEE10hipError_tPvRmT2_T3_T4_T5_mT6_T7_P12ihipStream_tbENKUlT_T0_E_clISt17integral_constantIbLb1EESY_IbLb0EEEEDaSU_SV_EUlSU_E_NS1_11comp_targetILNS1_3genE0ELNS1_11target_archE4294967295ELNS1_3gpuE0ELNS1_3repE0EEENS1_30default_config_static_selectorELNS0_4arch9wavefront6targetE0EEEvT1_.has_indirect_call, 0
	.section	.AMDGPU.csdata,"",@progbits
; Kernel info:
; codeLenInByte = 0
; TotalNumSgprs: 0
; NumVgprs: 0
; ScratchSize: 0
; MemoryBound: 0
; FloatMode: 240
; IeeeMode: 1
; LDSByteSize: 0 bytes/workgroup (compile time only)
; SGPRBlocks: 0
; VGPRBlocks: 0
; NumSGPRsForWavesPerEU: 1
; NumVGPRsForWavesPerEU: 1
; Occupancy: 16
; WaveLimiterHint : 0
; COMPUTE_PGM_RSRC2:SCRATCH_EN: 0
; COMPUTE_PGM_RSRC2:USER_SGPR: 6
; COMPUTE_PGM_RSRC2:TRAP_HANDLER: 0
; COMPUTE_PGM_RSRC2:TGID_X_EN: 1
; COMPUTE_PGM_RSRC2:TGID_Y_EN: 0
; COMPUTE_PGM_RSRC2:TGID_Z_EN: 0
; COMPUTE_PGM_RSRC2:TIDIG_COMP_CNT: 0
	.section	.text._ZN7rocprim17ROCPRIM_400000_NS6detail17trampoline_kernelINS0_14default_configENS1_27scan_by_key_config_selectorIxxEEZZNS1_16scan_by_key_implILNS1_25lookback_scan_determinismE0ELb1ES3_N6thrust23THRUST_200600_302600_NS6detail15normal_iteratorINS9_10device_ptrIxEEEESE_SE_xNS9_4plusIvEENS9_8equal_toIxEExEE10hipError_tPvRmT2_T3_T4_T5_mT6_T7_P12ihipStream_tbENKUlT_T0_E_clISt17integral_constantIbLb1EESY_IbLb0EEEEDaSU_SV_EUlSU_E_NS1_11comp_targetILNS1_3genE10ELNS1_11target_archE1201ELNS1_3gpuE5ELNS1_3repE0EEENS1_30default_config_static_selectorELNS0_4arch9wavefront6targetE0EEEvT1_,"axG",@progbits,_ZN7rocprim17ROCPRIM_400000_NS6detail17trampoline_kernelINS0_14default_configENS1_27scan_by_key_config_selectorIxxEEZZNS1_16scan_by_key_implILNS1_25lookback_scan_determinismE0ELb1ES3_N6thrust23THRUST_200600_302600_NS6detail15normal_iteratorINS9_10device_ptrIxEEEESE_SE_xNS9_4plusIvEENS9_8equal_toIxEExEE10hipError_tPvRmT2_T3_T4_T5_mT6_T7_P12ihipStream_tbENKUlT_T0_E_clISt17integral_constantIbLb1EESY_IbLb0EEEEDaSU_SV_EUlSU_E_NS1_11comp_targetILNS1_3genE10ELNS1_11target_archE1201ELNS1_3gpuE5ELNS1_3repE0EEENS1_30default_config_static_selectorELNS0_4arch9wavefront6targetE0EEEvT1_,comdat
	.protected	_ZN7rocprim17ROCPRIM_400000_NS6detail17trampoline_kernelINS0_14default_configENS1_27scan_by_key_config_selectorIxxEEZZNS1_16scan_by_key_implILNS1_25lookback_scan_determinismE0ELb1ES3_N6thrust23THRUST_200600_302600_NS6detail15normal_iteratorINS9_10device_ptrIxEEEESE_SE_xNS9_4plusIvEENS9_8equal_toIxEExEE10hipError_tPvRmT2_T3_T4_T5_mT6_T7_P12ihipStream_tbENKUlT_T0_E_clISt17integral_constantIbLb1EESY_IbLb0EEEEDaSU_SV_EUlSU_E_NS1_11comp_targetILNS1_3genE10ELNS1_11target_archE1201ELNS1_3gpuE5ELNS1_3repE0EEENS1_30default_config_static_selectorELNS0_4arch9wavefront6targetE0EEEvT1_ ; -- Begin function _ZN7rocprim17ROCPRIM_400000_NS6detail17trampoline_kernelINS0_14default_configENS1_27scan_by_key_config_selectorIxxEEZZNS1_16scan_by_key_implILNS1_25lookback_scan_determinismE0ELb1ES3_N6thrust23THRUST_200600_302600_NS6detail15normal_iteratorINS9_10device_ptrIxEEEESE_SE_xNS9_4plusIvEENS9_8equal_toIxEExEE10hipError_tPvRmT2_T3_T4_T5_mT6_T7_P12ihipStream_tbENKUlT_T0_E_clISt17integral_constantIbLb1EESY_IbLb0EEEEDaSU_SV_EUlSU_E_NS1_11comp_targetILNS1_3genE10ELNS1_11target_archE1201ELNS1_3gpuE5ELNS1_3repE0EEENS1_30default_config_static_selectorELNS0_4arch9wavefront6targetE0EEEvT1_
	.globl	_ZN7rocprim17ROCPRIM_400000_NS6detail17trampoline_kernelINS0_14default_configENS1_27scan_by_key_config_selectorIxxEEZZNS1_16scan_by_key_implILNS1_25lookback_scan_determinismE0ELb1ES3_N6thrust23THRUST_200600_302600_NS6detail15normal_iteratorINS9_10device_ptrIxEEEESE_SE_xNS9_4plusIvEENS9_8equal_toIxEExEE10hipError_tPvRmT2_T3_T4_T5_mT6_T7_P12ihipStream_tbENKUlT_T0_E_clISt17integral_constantIbLb1EESY_IbLb0EEEEDaSU_SV_EUlSU_E_NS1_11comp_targetILNS1_3genE10ELNS1_11target_archE1201ELNS1_3gpuE5ELNS1_3repE0EEENS1_30default_config_static_selectorELNS0_4arch9wavefront6targetE0EEEvT1_
	.p2align	8
	.type	_ZN7rocprim17ROCPRIM_400000_NS6detail17trampoline_kernelINS0_14default_configENS1_27scan_by_key_config_selectorIxxEEZZNS1_16scan_by_key_implILNS1_25lookback_scan_determinismE0ELb1ES3_N6thrust23THRUST_200600_302600_NS6detail15normal_iteratorINS9_10device_ptrIxEEEESE_SE_xNS9_4plusIvEENS9_8equal_toIxEExEE10hipError_tPvRmT2_T3_T4_T5_mT6_T7_P12ihipStream_tbENKUlT_T0_E_clISt17integral_constantIbLb1EESY_IbLb0EEEEDaSU_SV_EUlSU_E_NS1_11comp_targetILNS1_3genE10ELNS1_11target_archE1201ELNS1_3gpuE5ELNS1_3repE0EEENS1_30default_config_static_selectorELNS0_4arch9wavefront6targetE0EEEvT1_,@function
_ZN7rocprim17ROCPRIM_400000_NS6detail17trampoline_kernelINS0_14default_configENS1_27scan_by_key_config_selectorIxxEEZZNS1_16scan_by_key_implILNS1_25lookback_scan_determinismE0ELb1ES3_N6thrust23THRUST_200600_302600_NS6detail15normal_iteratorINS9_10device_ptrIxEEEESE_SE_xNS9_4plusIvEENS9_8equal_toIxEExEE10hipError_tPvRmT2_T3_T4_T5_mT6_T7_P12ihipStream_tbENKUlT_T0_E_clISt17integral_constantIbLb1EESY_IbLb0EEEEDaSU_SV_EUlSU_E_NS1_11comp_targetILNS1_3genE10ELNS1_11target_archE1201ELNS1_3gpuE5ELNS1_3repE0EEENS1_30default_config_static_selectorELNS0_4arch9wavefront6targetE0EEEvT1_: ; @_ZN7rocprim17ROCPRIM_400000_NS6detail17trampoline_kernelINS0_14default_configENS1_27scan_by_key_config_selectorIxxEEZZNS1_16scan_by_key_implILNS1_25lookback_scan_determinismE0ELb1ES3_N6thrust23THRUST_200600_302600_NS6detail15normal_iteratorINS9_10device_ptrIxEEEESE_SE_xNS9_4plusIvEENS9_8equal_toIxEExEE10hipError_tPvRmT2_T3_T4_T5_mT6_T7_P12ihipStream_tbENKUlT_T0_E_clISt17integral_constantIbLb1EESY_IbLb0EEEEDaSU_SV_EUlSU_E_NS1_11comp_targetILNS1_3genE10ELNS1_11target_archE1201ELNS1_3gpuE5ELNS1_3repE0EEENS1_30default_config_static_selectorELNS0_4arch9wavefront6targetE0EEEvT1_
; %bb.0:
	.section	.rodata,"a",@progbits
	.p2align	6, 0x0
	.amdhsa_kernel _ZN7rocprim17ROCPRIM_400000_NS6detail17trampoline_kernelINS0_14default_configENS1_27scan_by_key_config_selectorIxxEEZZNS1_16scan_by_key_implILNS1_25lookback_scan_determinismE0ELb1ES3_N6thrust23THRUST_200600_302600_NS6detail15normal_iteratorINS9_10device_ptrIxEEEESE_SE_xNS9_4plusIvEENS9_8equal_toIxEExEE10hipError_tPvRmT2_T3_T4_T5_mT6_T7_P12ihipStream_tbENKUlT_T0_E_clISt17integral_constantIbLb1EESY_IbLb0EEEEDaSU_SV_EUlSU_E_NS1_11comp_targetILNS1_3genE10ELNS1_11target_archE1201ELNS1_3gpuE5ELNS1_3repE0EEENS1_30default_config_static_selectorELNS0_4arch9wavefront6targetE0EEEvT1_
		.amdhsa_group_segment_fixed_size 0
		.amdhsa_private_segment_fixed_size 0
		.amdhsa_kernarg_size 136
		.amdhsa_user_sgpr_count 6
		.amdhsa_user_sgpr_private_segment_buffer 1
		.amdhsa_user_sgpr_dispatch_ptr 0
		.amdhsa_user_sgpr_queue_ptr 0
		.amdhsa_user_sgpr_kernarg_segment_ptr 1
		.amdhsa_user_sgpr_dispatch_id 0
		.amdhsa_user_sgpr_flat_scratch_init 0
		.amdhsa_user_sgpr_private_segment_size 0
		.amdhsa_wavefront_size32 1
		.amdhsa_uses_dynamic_stack 0
		.amdhsa_system_sgpr_private_segment_wavefront_offset 0
		.amdhsa_system_sgpr_workgroup_id_x 1
		.amdhsa_system_sgpr_workgroup_id_y 0
		.amdhsa_system_sgpr_workgroup_id_z 0
		.amdhsa_system_sgpr_workgroup_info 0
		.amdhsa_system_vgpr_workitem_id 0
		.amdhsa_next_free_vgpr 1
		.amdhsa_next_free_sgpr 1
		.amdhsa_reserve_vcc 0
		.amdhsa_reserve_flat_scratch 0
		.amdhsa_float_round_mode_32 0
		.amdhsa_float_round_mode_16_64 0
		.amdhsa_float_denorm_mode_32 3
		.amdhsa_float_denorm_mode_16_64 3
		.amdhsa_dx10_clamp 1
		.amdhsa_ieee_mode 1
		.amdhsa_fp16_overflow 0
		.amdhsa_workgroup_processor_mode 1
		.amdhsa_memory_ordered 1
		.amdhsa_forward_progress 1
		.amdhsa_shared_vgpr_count 0
		.amdhsa_exception_fp_ieee_invalid_op 0
		.amdhsa_exception_fp_denorm_src 0
		.amdhsa_exception_fp_ieee_div_zero 0
		.amdhsa_exception_fp_ieee_overflow 0
		.amdhsa_exception_fp_ieee_underflow 0
		.amdhsa_exception_fp_ieee_inexact 0
		.amdhsa_exception_int_div_zero 0
	.end_amdhsa_kernel
	.section	.text._ZN7rocprim17ROCPRIM_400000_NS6detail17trampoline_kernelINS0_14default_configENS1_27scan_by_key_config_selectorIxxEEZZNS1_16scan_by_key_implILNS1_25lookback_scan_determinismE0ELb1ES3_N6thrust23THRUST_200600_302600_NS6detail15normal_iteratorINS9_10device_ptrIxEEEESE_SE_xNS9_4plusIvEENS9_8equal_toIxEExEE10hipError_tPvRmT2_T3_T4_T5_mT6_T7_P12ihipStream_tbENKUlT_T0_E_clISt17integral_constantIbLb1EESY_IbLb0EEEEDaSU_SV_EUlSU_E_NS1_11comp_targetILNS1_3genE10ELNS1_11target_archE1201ELNS1_3gpuE5ELNS1_3repE0EEENS1_30default_config_static_selectorELNS0_4arch9wavefront6targetE0EEEvT1_,"axG",@progbits,_ZN7rocprim17ROCPRIM_400000_NS6detail17trampoline_kernelINS0_14default_configENS1_27scan_by_key_config_selectorIxxEEZZNS1_16scan_by_key_implILNS1_25lookback_scan_determinismE0ELb1ES3_N6thrust23THRUST_200600_302600_NS6detail15normal_iteratorINS9_10device_ptrIxEEEESE_SE_xNS9_4plusIvEENS9_8equal_toIxEExEE10hipError_tPvRmT2_T3_T4_T5_mT6_T7_P12ihipStream_tbENKUlT_T0_E_clISt17integral_constantIbLb1EESY_IbLb0EEEEDaSU_SV_EUlSU_E_NS1_11comp_targetILNS1_3genE10ELNS1_11target_archE1201ELNS1_3gpuE5ELNS1_3repE0EEENS1_30default_config_static_selectorELNS0_4arch9wavefront6targetE0EEEvT1_,comdat
.Lfunc_end444:
	.size	_ZN7rocprim17ROCPRIM_400000_NS6detail17trampoline_kernelINS0_14default_configENS1_27scan_by_key_config_selectorIxxEEZZNS1_16scan_by_key_implILNS1_25lookback_scan_determinismE0ELb1ES3_N6thrust23THRUST_200600_302600_NS6detail15normal_iteratorINS9_10device_ptrIxEEEESE_SE_xNS9_4plusIvEENS9_8equal_toIxEExEE10hipError_tPvRmT2_T3_T4_T5_mT6_T7_P12ihipStream_tbENKUlT_T0_E_clISt17integral_constantIbLb1EESY_IbLb0EEEEDaSU_SV_EUlSU_E_NS1_11comp_targetILNS1_3genE10ELNS1_11target_archE1201ELNS1_3gpuE5ELNS1_3repE0EEENS1_30default_config_static_selectorELNS0_4arch9wavefront6targetE0EEEvT1_, .Lfunc_end444-_ZN7rocprim17ROCPRIM_400000_NS6detail17trampoline_kernelINS0_14default_configENS1_27scan_by_key_config_selectorIxxEEZZNS1_16scan_by_key_implILNS1_25lookback_scan_determinismE0ELb1ES3_N6thrust23THRUST_200600_302600_NS6detail15normal_iteratorINS9_10device_ptrIxEEEESE_SE_xNS9_4plusIvEENS9_8equal_toIxEExEE10hipError_tPvRmT2_T3_T4_T5_mT6_T7_P12ihipStream_tbENKUlT_T0_E_clISt17integral_constantIbLb1EESY_IbLb0EEEEDaSU_SV_EUlSU_E_NS1_11comp_targetILNS1_3genE10ELNS1_11target_archE1201ELNS1_3gpuE5ELNS1_3repE0EEENS1_30default_config_static_selectorELNS0_4arch9wavefront6targetE0EEEvT1_
                                        ; -- End function
	.set _ZN7rocprim17ROCPRIM_400000_NS6detail17trampoline_kernelINS0_14default_configENS1_27scan_by_key_config_selectorIxxEEZZNS1_16scan_by_key_implILNS1_25lookback_scan_determinismE0ELb1ES3_N6thrust23THRUST_200600_302600_NS6detail15normal_iteratorINS9_10device_ptrIxEEEESE_SE_xNS9_4plusIvEENS9_8equal_toIxEExEE10hipError_tPvRmT2_T3_T4_T5_mT6_T7_P12ihipStream_tbENKUlT_T0_E_clISt17integral_constantIbLb1EESY_IbLb0EEEEDaSU_SV_EUlSU_E_NS1_11comp_targetILNS1_3genE10ELNS1_11target_archE1201ELNS1_3gpuE5ELNS1_3repE0EEENS1_30default_config_static_selectorELNS0_4arch9wavefront6targetE0EEEvT1_.num_vgpr, 0
	.set _ZN7rocprim17ROCPRIM_400000_NS6detail17trampoline_kernelINS0_14default_configENS1_27scan_by_key_config_selectorIxxEEZZNS1_16scan_by_key_implILNS1_25lookback_scan_determinismE0ELb1ES3_N6thrust23THRUST_200600_302600_NS6detail15normal_iteratorINS9_10device_ptrIxEEEESE_SE_xNS9_4plusIvEENS9_8equal_toIxEExEE10hipError_tPvRmT2_T3_T4_T5_mT6_T7_P12ihipStream_tbENKUlT_T0_E_clISt17integral_constantIbLb1EESY_IbLb0EEEEDaSU_SV_EUlSU_E_NS1_11comp_targetILNS1_3genE10ELNS1_11target_archE1201ELNS1_3gpuE5ELNS1_3repE0EEENS1_30default_config_static_selectorELNS0_4arch9wavefront6targetE0EEEvT1_.num_agpr, 0
	.set _ZN7rocprim17ROCPRIM_400000_NS6detail17trampoline_kernelINS0_14default_configENS1_27scan_by_key_config_selectorIxxEEZZNS1_16scan_by_key_implILNS1_25lookback_scan_determinismE0ELb1ES3_N6thrust23THRUST_200600_302600_NS6detail15normal_iteratorINS9_10device_ptrIxEEEESE_SE_xNS9_4plusIvEENS9_8equal_toIxEExEE10hipError_tPvRmT2_T3_T4_T5_mT6_T7_P12ihipStream_tbENKUlT_T0_E_clISt17integral_constantIbLb1EESY_IbLb0EEEEDaSU_SV_EUlSU_E_NS1_11comp_targetILNS1_3genE10ELNS1_11target_archE1201ELNS1_3gpuE5ELNS1_3repE0EEENS1_30default_config_static_selectorELNS0_4arch9wavefront6targetE0EEEvT1_.numbered_sgpr, 0
	.set _ZN7rocprim17ROCPRIM_400000_NS6detail17trampoline_kernelINS0_14default_configENS1_27scan_by_key_config_selectorIxxEEZZNS1_16scan_by_key_implILNS1_25lookback_scan_determinismE0ELb1ES3_N6thrust23THRUST_200600_302600_NS6detail15normal_iteratorINS9_10device_ptrIxEEEESE_SE_xNS9_4plusIvEENS9_8equal_toIxEExEE10hipError_tPvRmT2_T3_T4_T5_mT6_T7_P12ihipStream_tbENKUlT_T0_E_clISt17integral_constantIbLb1EESY_IbLb0EEEEDaSU_SV_EUlSU_E_NS1_11comp_targetILNS1_3genE10ELNS1_11target_archE1201ELNS1_3gpuE5ELNS1_3repE0EEENS1_30default_config_static_selectorELNS0_4arch9wavefront6targetE0EEEvT1_.num_named_barrier, 0
	.set _ZN7rocprim17ROCPRIM_400000_NS6detail17trampoline_kernelINS0_14default_configENS1_27scan_by_key_config_selectorIxxEEZZNS1_16scan_by_key_implILNS1_25lookback_scan_determinismE0ELb1ES3_N6thrust23THRUST_200600_302600_NS6detail15normal_iteratorINS9_10device_ptrIxEEEESE_SE_xNS9_4plusIvEENS9_8equal_toIxEExEE10hipError_tPvRmT2_T3_T4_T5_mT6_T7_P12ihipStream_tbENKUlT_T0_E_clISt17integral_constantIbLb1EESY_IbLb0EEEEDaSU_SV_EUlSU_E_NS1_11comp_targetILNS1_3genE10ELNS1_11target_archE1201ELNS1_3gpuE5ELNS1_3repE0EEENS1_30default_config_static_selectorELNS0_4arch9wavefront6targetE0EEEvT1_.private_seg_size, 0
	.set _ZN7rocprim17ROCPRIM_400000_NS6detail17trampoline_kernelINS0_14default_configENS1_27scan_by_key_config_selectorIxxEEZZNS1_16scan_by_key_implILNS1_25lookback_scan_determinismE0ELb1ES3_N6thrust23THRUST_200600_302600_NS6detail15normal_iteratorINS9_10device_ptrIxEEEESE_SE_xNS9_4plusIvEENS9_8equal_toIxEExEE10hipError_tPvRmT2_T3_T4_T5_mT6_T7_P12ihipStream_tbENKUlT_T0_E_clISt17integral_constantIbLb1EESY_IbLb0EEEEDaSU_SV_EUlSU_E_NS1_11comp_targetILNS1_3genE10ELNS1_11target_archE1201ELNS1_3gpuE5ELNS1_3repE0EEENS1_30default_config_static_selectorELNS0_4arch9wavefront6targetE0EEEvT1_.uses_vcc, 0
	.set _ZN7rocprim17ROCPRIM_400000_NS6detail17trampoline_kernelINS0_14default_configENS1_27scan_by_key_config_selectorIxxEEZZNS1_16scan_by_key_implILNS1_25lookback_scan_determinismE0ELb1ES3_N6thrust23THRUST_200600_302600_NS6detail15normal_iteratorINS9_10device_ptrIxEEEESE_SE_xNS9_4plusIvEENS9_8equal_toIxEExEE10hipError_tPvRmT2_T3_T4_T5_mT6_T7_P12ihipStream_tbENKUlT_T0_E_clISt17integral_constantIbLb1EESY_IbLb0EEEEDaSU_SV_EUlSU_E_NS1_11comp_targetILNS1_3genE10ELNS1_11target_archE1201ELNS1_3gpuE5ELNS1_3repE0EEENS1_30default_config_static_selectorELNS0_4arch9wavefront6targetE0EEEvT1_.uses_flat_scratch, 0
	.set _ZN7rocprim17ROCPRIM_400000_NS6detail17trampoline_kernelINS0_14default_configENS1_27scan_by_key_config_selectorIxxEEZZNS1_16scan_by_key_implILNS1_25lookback_scan_determinismE0ELb1ES3_N6thrust23THRUST_200600_302600_NS6detail15normal_iteratorINS9_10device_ptrIxEEEESE_SE_xNS9_4plusIvEENS9_8equal_toIxEExEE10hipError_tPvRmT2_T3_T4_T5_mT6_T7_P12ihipStream_tbENKUlT_T0_E_clISt17integral_constantIbLb1EESY_IbLb0EEEEDaSU_SV_EUlSU_E_NS1_11comp_targetILNS1_3genE10ELNS1_11target_archE1201ELNS1_3gpuE5ELNS1_3repE0EEENS1_30default_config_static_selectorELNS0_4arch9wavefront6targetE0EEEvT1_.has_dyn_sized_stack, 0
	.set _ZN7rocprim17ROCPRIM_400000_NS6detail17trampoline_kernelINS0_14default_configENS1_27scan_by_key_config_selectorIxxEEZZNS1_16scan_by_key_implILNS1_25lookback_scan_determinismE0ELb1ES3_N6thrust23THRUST_200600_302600_NS6detail15normal_iteratorINS9_10device_ptrIxEEEESE_SE_xNS9_4plusIvEENS9_8equal_toIxEExEE10hipError_tPvRmT2_T3_T4_T5_mT6_T7_P12ihipStream_tbENKUlT_T0_E_clISt17integral_constantIbLb1EESY_IbLb0EEEEDaSU_SV_EUlSU_E_NS1_11comp_targetILNS1_3genE10ELNS1_11target_archE1201ELNS1_3gpuE5ELNS1_3repE0EEENS1_30default_config_static_selectorELNS0_4arch9wavefront6targetE0EEEvT1_.has_recursion, 0
	.set _ZN7rocprim17ROCPRIM_400000_NS6detail17trampoline_kernelINS0_14default_configENS1_27scan_by_key_config_selectorIxxEEZZNS1_16scan_by_key_implILNS1_25lookback_scan_determinismE0ELb1ES3_N6thrust23THRUST_200600_302600_NS6detail15normal_iteratorINS9_10device_ptrIxEEEESE_SE_xNS9_4plusIvEENS9_8equal_toIxEExEE10hipError_tPvRmT2_T3_T4_T5_mT6_T7_P12ihipStream_tbENKUlT_T0_E_clISt17integral_constantIbLb1EESY_IbLb0EEEEDaSU_SV_EUlSU_E_NS1_11comp_targetILNS1_3genE10ELNS1_11target_archE1201ELNS1_3gpuE5ELNS1_3repE0EEENS1_30default_config_static_selectorELNS0_4arch9wavefront6targetE0EEEvT1_.has_indirect_call, 0
	.section	.AMDGPU.csdata,"",@progbits
; Kernel info:
; codeLenInByte = 0
; TotalNumSgprs: 0
; NumVgprs: 0
; ScratchSize: 0
; MemoryBound: 0
; FloatMode: 240
; IeeeMode: 1
; LDSByteSize: 0 bytes/workgroup (compile time only)
; SGPRBlocks: 0
; VGPRBlocks: 0
; NumSGPRsForWavesPerEU: 1
; NumVGPRsForWavesPerEU: 1
; Occupancy: 16
; WaveLimiterHint : 0
; COMPUTE_PGM_RSRC2:SCRATCH_EN: 0
; COMPUTE_PGM_RSRC2:USER_SGPR: 6
; COMPUTE_PGM_RSRC2:TRAP_HANDLER: 0
; COMPUTE_PGM_RSRC2:TGID_X_EN: 1
; COMPUTE_PGM_RSRC2:TGID_Y_EN: 0
; COMPUTE_PGM_RSRC2:TGID_Z_EN: 0
; COMPUTE_PGM_RSRC2:TIDIG_COMP_CNT: 0
	.section	.text._ZN7rocprim17ROCPRIM_400000_NS6detail17trampoline_kernelINS0_14default_configENS1_27scan_by_key_config_selectorIxxEEZZNS1_16scan_by_key_implILNS1_25lookback_scan_determinismE0ELb1ES3_N6thrust23THRUST_200600_302600_NS6detail15normal_iteratorINS9_10device_ptrIxEEEESE_SE_xNS9_4plusIvEENS9_8equal_toIxEExEE10hipError_tPvRmT2_T3_T4_T5_mT6_T7_P12ihipStream_tbENKUlT_T0_E_clISt17integral_constantIbLb1EESY_IbLb0EEEEDaSU_SV_EUlSU_E_NS1_11comp_targetILNS1_3genE5ELNS1_11target_archE942ELNS1_3gpuE9ELNS1_3repE0EEENS1_30default_config_static_selectorELNS0_4arch9wavefront6targetE0EEEvT1_,"axG",@progbits,_ZN7rocprim17ROCPRIM_400000_NS6detail17trampoline_kernelINS0_14default_configENS1_27scan_by_key_config_selectorIxxEEZZNS1_16scan_by_key_implILNS1_25lookback_scan_determinismE0ELb1ES3_N6thrust23THRUST_200600_302600_NS6detail15normal_iteratorINS9_10device_ptrIxEEEESE_SE_xNS9_4plusIvEENS9_8equal_toIxEExEE10hipError_tPvRmT2_T3_T4_T5_mT6_T7_P12ihipStream_tbENKUlT_T0_E_clISt17integral_constantIbLb1EESY_IbLb0EEEEDaSU_SV_EUlSU_E_NS1_11comp_targetILNS1_3genE5ELNS1_11target_archE942ELNS1_3gpuE9ELNS1_3repE0EEENS1_30default_config_static_selectorELNS0_4arch9wavefront6targetE0EEEvT1_,comdat
	.protected	_ZN7rocprim17ROCPRIM_400000_NS6detail17trampoline_kernelINS0_14default_configENS1_27scan_by_key_config_selectorIxxEEZZNS1_16scan_by_key_implILNS1_25lookback_scan_determinismE0ELb1ES3_N6thrust23THRUST_200600_302600_NS6detail15normal_iteratorINS9_10device_ptrIxEEEESE_SE_xNS9_4plusIvEENS9_8equal_toIxEExEE10hipError_tPvRmT2_T3_T4_T5_mT6_T7_P12ihipStream_tbENKUlT_T0_E_clISt17integral_constantIbLb1EESY_IbLb0EEEEDaSU_SV_EUlSU_E_NS1_11comp_targetILNS1_3genE5ELNS1_11target_archE942ELNS1_3gpuE9ELNS1_3repE0EEENS1_30default_config_static_selectorELNS0_4arch9wavefront6targetE0EEEvT1_ ; -- Begin function _ZN7rocprim17ROCPRIM_400000_NS6detail17trampoline_kernelINS0_14default_configENS1_27scan_by_key_config_selectorIxxEEZZNS1_16scan_by_key_implILNS1_25lookback_scan_determinismE0ELb1ES3_N6thrust23THRUST_200600_302600_NS6detail15normal_iteratorINS9_10device_ptrIxEEEESE_SE_xNS9_4plusIvEENS9_8equal_toIxEExEE10hipError_tPvRmT2_T3_T4_T5_mT6_T7_P12ihipStream_tbENKUlT_T0_E_clISt17integral_constantIbLb1EESY_IbLb0EEEEDaSU_SV_EUlSU_E_NS1_11comp_targetILNS1_3genE5ELNS1_11target_archE942ELNS1_3gpuE9ELNS1_3repE0EEENS1_30default_config_static_selectorELNS0_4arch9wavefront6targetE0EEEvT1_
	.globl	_ZN7rocprim17ROCPRIM_400000_NS6detail17trampoline_kernelINS0_14default_configENS1_27scan_by_key_config_selectorIxxEEZZNS1_16scan_by_key_implILNS1_25lookback_scan_determinismE0ELb1ES3_N6thrust23THRUST_200600_302600_NS6detail15normal_iteratorINS9_10device_ptrIxEEEESE_SE_xNS9_4plusIvEENS9_8equal_toIxEExEE10hipError_tPvRmT2_T3_T4_T5_mT6_T7_P12ihipStream_tbENKUlT_T0_E_clISt17integral_constantIbLb1EESY_IbLb0EEEEDaSU_SV_EUlSU_E_NS1_11comp_targetILNS1_3genE5ELNS1_11target_archE942ELNS1_3gpuE9ELNS1_3repE0EEENS1_30default_config_static_selectorELNS0_4arch9wavefront6targetE0EEEvT1_
	.p2align	8
	.type	_ZN7rocprim17ROCPRIM_400000_NS6detail17trampoline_kernelINS0_14default_configENS1_27scan_by_key_config_selectorIxxEEZZNS1_16scan_by_key_implILNS1_25lookback_scan_determinismE0ELb1ES3_N6thrust23THRUST_200600_302600_NS6detail15normal_iteratorINS9_10device_ptrIxEEEESE_SE_xNS9_4plusIvEENS9_8equal_toIxEExEE10hipError_tPvRmT2_T3_T4_T5_mT6_T7_P12ihipStream_tbENKUlT_T0_E_clISt17integral_constantIbLb1EESY_IbLb0EEEEDaSU_SV_EUlSU_E_NS1_11comp_targetILNS1_3genE5ELNS1_11target_archE942ELNS1_3gpuE9ELNS1_3repE0EEENS1_30default_config_static_selectorELNS0_4arch9wavefront6targetE0EEEvT1_,@function
_ZN7rocprim17ROCPRIM_400000_NS6detail17trampoline_kernelINS0_14default_configENS1_27scan_by_key_config_selectorIxxEEZZNS1_16scan_by_key_implILNS1_25lookback_scan_determinismE0ELb1ES3_N6thrust23THRUST_200600_302600_NS6detail15normal_iteratorINS9_10device_ptrIxEEEESE_SE_xNS9_4plusIvEENS9_8equal_toIxEExEE10hipError_tPvRmT2_T3_T4_T5_mT6_T7_P12ihipStream_tbENKUlT_T0_E_clISt17integral_constantIbLb1EESY_IbLb0EEEEDaSU_SV_EUlSU_E_NS1_11comp_targetILNS1_3genE5ELNS1_11target_archE942ELNS1_3gpuE9ELNS1_3repE0EEENS1_30default_config_static_selectorELNS0_4arch9wavefront6targetE0EEEvT1_: ; @_ZN7rocprim17ROCPRIM_400000_NS6detail17trampoline_kernelINS0_14default_configENS1_27scan_by_key_config_selectorIxxEEZZNS1_16scan_by_key_implILNS1_25lookback_scan_determinismE0ELb1ES3_N6thrust23THRUST_200600_302600_NS6detail15normal_iteratorINS9_10device_ptrIxEEEESE_SE_xNS9_4plusIvEENS9_8equal_toIxEExEE10hipError_tPvRmT2_T3_T4_T5_mT6_T7_P12ihipStream_tbENKUlT_T0_E_clISt17integral_constantIbLb1EESY_IbLb0EEEEDaSU_SV_EUlSU_E_NS1_11comp_targetILNS1_3genE5ELNS1_11target_archE942ELNS1_3gpuE9ELNS1_3repE0EEENS1_30default_config_static_selectorELNS0_4arch9wavefront6targetE0EEEvT1_
; %bb.0:
	.section	.rodata,"a",@progbits
	.p2align	6, 0x0
	.amdhsa_kernel _ZN7rocprim17ROCPRIM_400000_NS6detail17trampoline_kernelINS0_14default_configENS1_27scan_by_key_config_selectorIxxEEZZNS1_16scan_by_key_implILNS1_25lookback_scan_determinismE0ELb1ES3_N6thrust23THRUST_200600_302600_NS6detail15normal_iteratorINS9_10device_ptrIxEEEESE_SE_xNS9_4plusIvEENS9_8equal_toIxEExEE10hipError_tPvRmT2_T3_T4_T5_mT6_T7_P12ihipStream_tbENKUlT_T0_E_clISt17integral_constantIbLb1EESY_IbLb0EEEEDaSU_SV_EUlSU_E_NS1_11comp_targetILNS1_3genE5ELNS1_11target_archE942ELNS1_3gpuE9ELNS1_3repE0EEENS1_30default_config_static_selectorELNS0_4arch9wavefront6targetE0EEEvT1_
		.amdhsa_group_segment_fixed_size 0
		.amdhsa_private_segment_fixed_size 0
		.amdhsa_kernarg_size 136
		.amdhsa_user_sgpr_count 6
		.amdhsa_user_sgpr_private_segment_buffer 1
		.amdhsa_user_sgpr_dispatch_ptr 0
		.amdhsa_user_sgpr_queue_ptr 0
		.amdhsa_user_sgpr_kernarg_segment_ptr 1
		.amdhsa_user_sgpr_dispatch_id 0
		.amdhsa_user_sgpr_flat_scratch_init 0
		.amdhsa_user_sgpr_private_segment_size 0
		.amdhsa_wavefront_size32 1
		.amdhsa_uses_dynamic_stack 0
		.amdhsa_system_sgpr_private_segment_wavefront_offset 0
		.amdhsa_system_sgpr_workgroup_id_x 1
		.amdhsa_system_sgpr_workgroup_id_y 0
		.amdhsa_system_sgpr_workgroup_id_z 0
		.amdhsa_system_sgpr_workgroup_info 0
		.amdhsa_system_vgpr_workitem_id 0
		.amdhsa_next_free_vgpr 1
		.amdhsa_next_free_sgpr 1
		.amdhsa_reserve_vcc 0
		.amdhsa_reserve_flat_scratch 0
		.amdhsa_float_round_mode_32 0
		.amdhsa_float_round_mode_16_64 0
		.amdhsa_float_denorm_mode_32 3
		.amdhsa_float_denorm_mode_16_64 3
		.amdhsa_dx10_clamp 1
		.amdhsa_ieee_mode 1
		.amdhsa_fp16_overflow 0
		.amdhsa_workgroup_processor_mode 1
		.amdhsa_memory_ordered 1
		.amdhsa_forward_progress 1
		.amdhsa_shared_vgpr_count 0
		.amdhsa_exception_fp_ieee_invalid_op 0
		.amdhsa_exception_fp_denorm_src 0
		.amdhsa_exception_fp_ieee_div_zero 0
		.amdhsa_exception_fp_ieee_overflow 0
		.amdhsa_exception_fp_ieee_underflow 0
		.amdhsa_exception_fp_ieee_inexact 0
		.amdhsa_exception_int_div_zero 0
	.end_amdhsa_kernel
	.section	.text._ZN7rocprim17ROCPRIM_400000_NS6detail17trampoline_kernelINS0_14default_configENS1_27scan_by_key_config_selectorIxxEEZZNS1_16scan_by_key_implILNS1_25lookback_scan_determinismE0ELb1ES3_N6thrust23THRUST_200600_302600_NS6detail15normal_iteratorINS9_10device_ptrIxEEEESE_SE_xNS9_4plusIvEENS9_8equal_toIxEExEE10hipError_tPvRmT2_T3_T4_T5_mT6_T7_P12ihipStream_tbENKUlT_T0_E_clISt17integral_constantIbLb1EESY_IbLb0EEEEDaSU_SV_EUlSU_E_NS1_11comp_targetILNS1_3genE5ELNS1_11target_archE942ELNS1_3gpuE9ELNS1_3repE0EEENS1_30default_config_static_selectorELNS0_4arch9wavefront6targetE0EEEvT1_,"axG",@progbits,_ZN7rocprim17ROCPRIM_400000_NS6detail17trampoline_kernelINS0_14default_configENS1_27scan_by_key_config_selectorIxxEEZZNS1_16scan_by_key_implILNS1_25lookback_scan_determinismE0ELb1ES3_N6thrust23THRUST_200600_302600_NS6detail15normal_iteratorINS9_10device_ptrIxEEEESE_SE_xNS9_4plusIvEENS9_8equal_toIxEExEE10hipError_tPvRmT2_T3_T4_T5_mT6_T7_P12ihipStream_tbENKUlT_T0_E_clISt17integral_constantIbLb1EESY_IbLb0EEEEDaSU_SV_EUlSU_E_NS1_11comp_targetILNS1_3genE5ELNS1_11target_archE942ELNS1_3gpuE9ELNS1_3repE0EEENS1_30default_config_static_selectorELNS0_4arch9wavefront6targetE0EEEvT1_,comdat
.Lfunc_end445:
	.size	_ZN7rocprim17ROCPRIM_400000_NS6detail17trampoline_kernelINS0_14default_configENS1_27scan_by_key_config_selectorIxxEEZZNS1_16scan_by_key_implILNS1_25lookback_scan_determinismE0ELb1ES3_N6thrust23THRUST_200600_302600_NS6detail15normal_iteratorINS9_10device_ptrIxEEEESE_SE_xNS9_4plusIvEENS9_8equal_toIxEExEE10hipError_tPvRmT2_T3_T4_T5_mT6_T7_P12ihipStream_tbENKUlT_T0_E_clISt17integral_constantIbLb1EESY_IbLb0EEEEDaSU_SV_EUlSU_E_NS1_11comp_targetILNS1_3genE5ELNS1_11target_archE942ELNS1_3gpuE9ELNS1_3repE0EEENS1_30default_config_static_selectorELNS0_4arch9wavefront6targetE0EEEvT1_, .Lfunc_end445-_ZN7rocprim17ROCPRIM_400000_NS6detail17trampoline_kernelINS0_14default_configENS1_27scan_by_key_config_selectorIxxEEZZNS1_16scan_by_key_implILNS1_25lookback_scan_determinismE0ELb1ES3_N6thrust23THRUST_200600_302600_NS6detail15normal_iteratorINS9_10device_ptrIxEEEESE_SE_xNS9_4plusIvEENS9_8equal_toIxEExEE10hipError_tPvRmT2_T3_T4_T5_mT6_T7_P12ihipStream_tbENKUlT_T0_E_clISt17integral_constantIbLb1EESY_IbLb0EEEEDaSU_SV_EUlSU_E_NS1_11comp_targetILNS1_3genE5ELNS1_11target_archE942ELNS1_3gpuE9ELNS1_3repE0EEENS1_30default_config_static_selectorELNS0_4arch9wavefront6targetE0EEEvT1_
                                        ; -- End function
	.set _ZN7rocprim17ROCPRIM_400000_NS6detail17trampoline_kernelINS0_14default_configENS1_27scan_by_key_config_selectorIxxEEZZNS1_16scan_by_key_implILNS1_25lookback_scan_determinismE0ELb1ES3_N6thrust23THRUST_200600_302600_NS6detail15normal_iteratorINS9_10device_ptrIxEEEESE_SE_xNS9_4plusIvEENS9_8equal_toIxEExEE10hipError_tPvRmT2_T3_T4_T5_mT6_T7_P12ihipStream_tbENKUlT_T0_E_clISt17integral_constantIbLb1EESY_IbLb0EEEEDaSU_SV_EUlSU_E_NS1_11comp_targetILNS1_3genE5ELNS1_11target_archE942ELNS1_3gpuE9ELNS1_3repE0EEENS1_30default_config_static_selectorELNS0_4arch9wavefront6targetE0EEEvT1_.num_vgpr, 0
	.set _ZN7rocprim17ROCPRIM_400000_NS6detail17trampoline_kernelINS0_14default_configENS1_27scan_by_key_config_selectorIxxEEZZNS1_16scan_by_key_implILNS1_25lookback_scan_determinismE0ELb1ES3_N6thrust23THRUST_200600_302600_NS6detail15normal_iteratorINS9_10device_ptrIxEEEESE_SE_xNS9_4plusIvEENS9_8equal_toIxEExEE10hipError_tPvRmT2_T3_T4_T5_mT6_T7_P12ihipStream_tbENKUlT_T0_E_clISt17integral_constantIbLb1EESY_IbLb0EEEEDaSU_SV_EUlSU_E_NS1_11comp_targetILNS1_3genE5ELNS1_11target_archE942ELNS1_3gpuE9ELNS1_3repE0EEENS1_30default_config_static_selectorELNS0_4arch9wavefront6targetE0EEEvT1_.num_agpr, 0
	.set _ZN7rocprim17ROCPRIM_400000_NS6detail17trampoline_kernelINS0_14default_configENS1_27scan_by_key_config_selectorIxxEEZZNS1_16scan_by_key_implILNS1_25lookback_scan_determinismE0ELb1ES3_N6thrust23THRUST_200600_302600_NS6detail15normal_iteratorINS9_10device_ptrIxEEEESE_SE_xNS9_4plusIvEENS9_8equal_toIxEExEE10hipError_tPvRmT2_T3_T4_T5_mT6_T7_P12ihipStream_tbENKUlT_T0_E_clISt17integral_constantIbLb1EESY_IbLb0EEEEDaSU_SV_EUlSU_E_NS1_11comp_targetILNS1_3genE5ELNS1_11target_archE942ELNS1_3gpuE9ELNS1_3repE0EEENS1_30default_config_static_selectorELNS0_4arch9wavefront6targetE0EEEvT1_.numbered_sgpr, 0
	.set _ZN7rocprim17ROCPRIM_400000_NS6detail17trampoline_kernelINS0_14default_configENS1_27scan_by_key_config_selectorIxxEEZZNS1_16scan_by_key_implILNS1_25lookback_scan_determinismE0ELb1ES3_N6thrust23THRUST_200600_302600_NS6detail15normal_iteratorINS9_10device_ptrIxEEEESE_SE_xNS9_4plusIvEENS9_8equal_toIxEExEE10hipError_tPvRmT2_T3_T4_T5_mT6_T7_P12ihipStream_tbENKUlT_T0_E_clISt17integral_constantIbLb1EESY_IbLb0EEEEDaSU_SV_EUlSU_E_NS1_11comp_targetILNS1_3genE5ELNS1_11target_archE942ELNS1_3gpuE9ELNS1_3repE0EEENS1_30default_config_static_selectorELNS0_4arch9wavefront6targetE0EEEvT1_.num_named_barrier, 0
	.set _ZN7rocprim17ROCPRIM_400000_NS6detail17trampoline_kernelINS0_14default_configENS1_27scan_by_key_config_selectorIxxEEZZNS1_16scan_by_key_implILNS1_25lookback_scan_determinismE0ELb1ES3_N6thrust23THRUST_200600_302600_NS6detail15normal_iteratorINS9_10device_ptrIxEEEESE_SE_xNS9_4plusIvEENS9_8equal_toIxEExEE10hipError_tPvRmT2_T3_T4_T5_mT6_T7_P12ihipStream_tbENKUlT_T0_E_clISt17integral_constantIbLb1EESY_IbLb0EEEEDaSU_SV_EUlSU_E_NS1_11comp_targetILNS1_3genE5ELNS1_11target_archE942ELNS1_3gpuE9ELNS1_3repE0EEENS1_30default_config_static_selectorELNS0_4arch9wavefront6targetE0EEEvT1_.private_seg_size, 0
	.set _ZN7rocprim17ROCPRIM_400000_NS6detail17trampoline_kernelINS0_14default_configENS1_27scan_by_key_config_selectorIxxEEZZNS1_16scan_by_key_implILNS1_25lookback_scan_determinismE0ELb1ES3_N6thrust23THRUST_200600_302600_NS6detail15normal_iteratorINS9_10device_ptrIxEEEESE_SE_xNS9_4plusIvEENS9_8equal_toIxEExEE10hipError_tPvRmT2_T3_T4_T5_mT6_T7_P12ihipStream_tbENKUlT_T0_E_clISt17integral_constantIbLb1EESY_IbLb0EEEEDaSU_SV_EUlSU_E_NS1_11comp_targetILNS1_3genE5ELNS1_11target_archE942ELNS1_3gpuE9ELNS1_3repE0EEENS1_30default_config_static_selectorELNS0_4arch9wavefront6targetE0EEEvT1_.uses_vcc, 0
	.set _ZN7rocprim17ROCPRIM_400000_NS6detail17trampoline_kernelINS0_14default_configENS1_27scan_by_key_config_selectorIxxEEZZNS1_16scan_by_key_implILNS1_25lookback_scan_determinismE0ELb1ES3_N6thrust23THRUST_200600_302600_NS6detail15normal_iteratorINS9_10device_ptrIxEEEESE_SE_xNS9_4plusIvEENS9_8equal_toIxEExEE10hipError_tPvRmT2_T3_T4_T5_mT6_T7_P12ihipStream_tbENKUlT_T0_E_clISt17integral_constantIbLb1EESY_IbLb0EEEEDaSU_SV_EUlSU_E_NS1_11comp_targetILNS1_3genE5ELNS1_11target_archE942ELNS1_3gpuE9ELNS1_3repE0EEENS1_30default_config_static_selectorELNS0_4arch9wavefront6targetE0EEEvT1_.uses_flat_scratch, 0
	.set _ZN7rocprim17ROCPRIM_400000_NS6detail17trampoline_kernelINS0_14default_configENS1_27scan_by_key_config_selectorIxxEEZZNS1_16scan_by_key_implILNS1_25lookback_scan_determinismE0ELb1ES3_N6thrust23THRUST_200600_302600_NS6detail15normal_iteratorINS9_10device_ptrIxEEEESE_SE_xNS9_4plusIvEENS9_8equal_toIxEExEE10hipError_tPvRmT2_T3_T4_T5_mT6_T7_P12ihipStream_tbENKUlT_T0_E_clISt17integral_constantIbLb1EESY_IbLb0EEEEDaSU_SV_EUlSU_E_NS1_11comp_targetILNS1_3genE5ELNS1_11target_archE942ELNS1_3gpuE9ELNS1_3repE0EEENS1_30default_config_static_selectorELNS0_4arch9wavefront6targetE0EEEvT1_.has_dyn_sized_stack, 0
	.set _ZN7rocprim17ROCPRIM_400000_NS6detail17trampoline_kernelINS0_14default_configENS1_27scan_by_key_config_selectorIxxEEZZNS1_16scan_by_key_implILNS1_25lookback_scan_determinismE0ELb1ES3_N6thrust23THRUST_200600_302600_NS6detail15normal_iteratorINS9_10device_ptrIxEEEESE_SE_xNS9_4plusIvEENS9_8equal_toIxEExEE10hipError_tPvRmT2_T3_T4_T5_mT6_T7_P12ihipStream_tbENKUlT_T0_E_clISt17integral_constantIbLb1EESY_IbLb0EEEEDaSU_SV_EUlSU_E_NS1_11comp_targetILNS1_3genE5ELNS1_11target_archE942ELNS1_3gpuE9ELNS1_3repE0EEENS1_30default_config_static_selectorELNS0_4arch9wavefront6targetE0EEEvT1_.has_recursion, 0
	.set _ZN7rocprim17ROCPRIM_400000_NS6detail17trampoline_kernelINS0_14default_configENS1_27scan_by_key_config_selectorIxxEEZZNS1_16scan_by_key_implILNS1_25lookback_scan_determinismE0ELb1ES3_N6thrust23THRUST_200600_302600_NS6detail15normal_iteratorINS9_10device_ptrIxEEEESE_SE_xNS9_4plusIvEENS9_8equal_toIxEExEE10hipError_tPvRmT2_T3_T4_T5_mT6_T7_P12ihipStream_tbENKUlT_T0_E_clISt17integral_constantIbLb1EESY_IbLb0EEEEDaSU_SV_EUlSU_E_NS1_11comp_targetILNS1_3genE5ELNS1_11target_archE942ELNS1_3gpuE9ELNS1_3repE0EEENS1_30default_config_static_selectorELNS0_4arch9wavefront6targetE0EEEvT1_.has_indirect_call, 0
	.section	.AMDGPU.csdata,"",@progbits
; Kernel info:
; codeLenInByte = 0
; TotalNumSgprs: 0
; NumVgprs: 0
; ScratchSize: 0
; MemoryBound: 0
; FloatMode: 240
; IeeeMode: 1
; LDSByteSize: 0 bytes/workgroup (compile time only)
; SGPRBlocks: 0
; VGPRBlocks: 0
; NumSGPRsForWavesPerEU: 1
; NumVGPRsForWavesPerEU: 1
; Occupancy: 16
; WaveLimiterHint : 0
; COMPUTE_PGM_RSRC2:SCRATCH_EN: 0
; COMPUTE_PGM_RSRC2:USER_SGPR: 6
; COMPUTE_PGM_RSRC2:TRAP_HANDLER: 0
; COMPUTE_PGM_RSRC2:TGID_X_EN: 1
; COMPUTE_PGM_RSRC2:TGID_Y_EN: 0
; COMPUTE_PGM_RSRC2:TGID_Z_EN: 0
; COMPUTE_PGM_RSRC2:TIDIG_COMP_CNT: 0
	.section	.text._ZN7rocprim17ROCPRIM_400000_NS6detail17trampoline_kernelINS0_14default_configENS1_27scan_by_key_config_selectorIxxEEZZNS1_16scan_by_key_implILNS1_25lookback_scan_determinismE0ELb1ES3_N6thrust23THRUST_200600_302600_NS6detail15normal_iteratorINS9_10device_ptrIxEEEESE_SE_xNS9_4plusIvEENS9_8equal_toIxEExEE10hipError_tPvRmT2_T3_T4_T5_mT6_T7_P12ihipStream_tbENKUlT_T0_E_clISt17integral_constantIbLb1EESY_IbLb0EEEEDaSU_SV_EUlSU_E_NS1_11comp_targetILNS1_3genE4ELNS1_11target_archE910ELNS1_3gpuE8ELNS1_3repE0EEENS1_30default_config_static_selectorELNS0_4arch9wavefront6targetE0EEEvT1_,"axG",@progbits,_ZN7rocprim17ROCPRIM_400000_NS6detail17trampoline_kernelINS0_14default_configENS1_27scan_by_key_config_selectorIxxEEZZNS1_16scan_by_key_implILNS1_25lookback_scan_determinismE0ELb1ES3_N6thrust23THRUST_200600_302600_NS6detail15normal_iteratorINS9_10device_ptrIxEEEESE_SE_xNS9_4plusIvEENS9_8equal_toIxEExEE10hipError_tPvRmT2_T3_T4_T5_mT6_T7_P12ihipStream_tbENKUlT_T0_E_clISt17integral_constantIbLb1EESY_IbLb0EEEEDaSU_SV_EUlSU_E_NS1_11comp_targetILNS1_3genE4ELNS1_11target_archE910ELNS1_3gpuE8ELNS1_3repE0EEENS1_30default_config_static_selectorELNS0_4arch9wavefront6targetE0EEEvT1_,comdat
	.protected	_ZN7rocprim17ROCPRIM_400000_NS6detail17trampoline_kernelINS0_14default_configENS1_27scan_by_key_config_selectorIxxEEZZNS1_16scan_by_key_implILNS1_25lookback_scan_determinismE0ELb1ES3_N6thrust23THRUST_200600_302600_NS6detail15normal_iteratorINS9_10device_ptrIxEEEESE_SE_xNS9_4plusIvEENS9_8equal_toIxEExEE10hipError_tPvRmT2_T3_T4_T5_mT6_T7_P12ihipStream_tbENKUlT_T0_E_clISt17integral_constantIbLb1EESY_IbLb0EEEEDaSU_SV_EUlSU_E_NS1_11comp_targetILNS1_3genE4ELNS1_11target_archE910ELNS1_3gpuE8ELNS1_3repE0EEENS1_30default_config_static_selectorELNS0_4arch9wavefront6targetE0EEEvT1_ ; -- Begin function _ZN7rocprim17ROCPRIM_400000_NS6detail17trampoline_kernelINS0_14default_configENS1_27scan_by_key_config_selectorIxxEEZZNS1_16scan_by_key_implILNS1_25lookback_scan_determinismE0ELb1ES3_N6thrust23THRUST_200600_302600_NS6detail15normal_iteratorINS9_10device_ptrIxEEEESE_SE_xNS9_4plusIvEENS9_8equal_toIxEExEE10hipError_tPvRmT2_T3_T4_T5_mT6_T7_P12ihipStream_tbENKUlT_T0_E_clISt17integral_constantIbLb1EESY_IbLb0EEEEDaSU_SV_EUlSU_E_NS1_11comp_targetILNS1_3genE4ELNS1_11target_archE910ELNS1_3gpuE8ELNS1_3repE0EEENS1_30default_config_static_selectorELNS0_4arch9wavefront6targetE0EEEvT1_
	.globl	_ZN7rocprim17ROCPRIM_400000_NS6detail17trampoline_kernelINS0_14default_configENS1_27scan_by_key_config_selectorIxxEEZZNS1_16scan_by_key_implILNS1_25lookback_scan_determinismE0ELb1ES3_N6thrust23THRUST_200600_302600_NS6detail15normal_iteratorINS9_10device_ptrIxEEEESE_SE_xNS9_4plusIvEENS9_8equal_toIxEExEE10hipError_tPvRmT2_T3_T4_T5_mT6_T7_P12ihipStream_tbENKUlT_T0_E_clISt17integral_constantIbLb1EESY_IbLb0EEEEDaSU_SV_EUlSU_E_NS1_11comp_targetILNS1_3genE4ELNS1_11target_archE910ELNS1_3gpuE8ELNS1_3repE0EEENS1_30default_config_static_selectorELNS0_4arch9wavefront6targetE0EEEvT1_
	.p2align	8
	.type	_ZN7rocprim17ROCPRIM_400000_NS6detail17trampoline_kernelINS0_14default_configENS1_27scan_by_key_config_selectorIxxEEZZNS1_16scan_by_key_implILNS1_25lookback_scan_determinismE0ELb1ES3_N6thrust23THRUST_200600_302600_NS6detail15normal_iteratorINS9_10device_ptrIxEEEESE_SE_xNS9_4plusIvEENS9_8equal_toIxEExEE10hipError_tPvRmT2_T3_T4_T5_mT6_T7_P12ihipStream_tbENKUlT_T0_E_clISt17integral_constantIbLb1EESY_IbLb0EEEEDaSU_SV_EUlSU_E_NS1_11comp_targetILNS1_3genE4ELNS1_11target_archE910ELNS1_3gpuE8ELNS1_3repE0EEENS1_30default_config_static_selectorELNS0_4arch9wavefront6targetE0EEEvT1_,@function
_ZN7rocprim17ROCPRIM_400000_NS6detail17trampoline_kernelINS0_14default_configENS1_27scan_by_key_config_selectorIxxEEZZNS1_16scan_by_key_implILNS1_25lookback_scan_determinismE0ELb1ES3_N6thrust23THRUST_200600_302600_NS6detail15normal_iteratorINS9_10device_ptrIxEEEESE_SE_xNS9_4plusIvEENS9_8equal_toIxEExEE10hipError_tPvRmT2_T3_T4_T5_mT6_T7_P12ihipStream_tbENKUlT_T0_E_clISt17integral_constantIbLb1EESY_IbLb0EEEEDaSU_SV_EUlSU_E_NS1_11comp_targetILNS1_3genE4ELNS1_11target_archE910ELNS1_3gpuE8ELNS1_3repE0EEENS1_30default_config_static_selectorELNS0_4arch9wavefront6targetE0EEEvT1_: ; @_ZN7rocprim17ROCPRIM_400000_NS6detail17trampoline_kernelINS0_14default_configENS1_27scan_by_key_config_selectorIxxEEZZNS1_16scan_by_key_implILNS1_25lookback_scan_determinismE0ELb1ES3_N6thrust23THRUST_200600_302600_NS6detail15normal_iteratorINS9_10device_ptrIxEEEESE_SE_xNS9_4plusIvEENS9_8equal_toIxEExEE10hipError_tPvRmT2_T3_T4_T5_mT6_T7_P12ihipStream_tbENKUlT_T0_E_clISt17integral_constantIbLb1EESY_IbLb0EEEEDaSU_SV_EUlSU_E_NS1_11comp_targetILNS1_3genE4ELNS1_11target_archE910ELNS1_3gpuE8ELNS1_3repE0EEENS1_30default_config_static_selectorELNS0_4arch9wavefront6targetE0EEEvT1_
; %bb.0:
	.section	.rodata,"a",@progbits
	.p2align	6, 0x0
	.amdhsa_kernel _ZN7rocprim17ROCPRIM_400000_NS6detail17trampoline_kernelINS0_14default_configENS1_27scan_by_key_config_selectorIxxEEZZNS1_16scan_by_key_implILNS1_25lookback_scan_determinismE0ELb1ES3_N6thrust23THRUST_200600_302600_NS6detail15normal_iteratorINS9_10device_ptrIxEEEESE_SE_xNS9_4plusIvEENS9_8equal_toIxEExEE10hipError_tPvRmT2_T3_T4_T5_mT6_T7_P12ihipStream_tbENKUlT_T0_E_clISt17integral_constantIbLb1EESY_IbLb0EEEEDaSU_SV_EUlSU_E_NS1_11comp_targetILNS1_3genE4ELNS1_11target_archE910ELNS1_3gpuE8ELNS1_3repE0EEENS1_30default_config_static_selectorELNS0_4arch9wavefront6targetE0EEEvT1_
		.amdhsa_group_segment_fixed_size 0
		.amdhsa_private_segment_fixed_size 0
		.amdhsa_kernarg_size 136
		.amdhsa_user_sgpr_count 6
		.amdhsa_user_sgpr_private_segment_buffer 1
		.amdhsa_user_sgpr_dispatch_ptr 0
		.amdhsa_user_sgpr_queue_ptr 0
		.amdhsa_user_sgpr_kernarg_segment_ptr 1
		.amdhsa_user_sgpr_dispatch_id 0
		.amdhsa_user_sgpr_flat_scratch_init 0
		.amdhsa_user_sgpr_private_segment_size 0
		.amdhsa_wavefront_size32 1
		.amdhsa_uses_dynamic_stack 0
		.amdhsa_system_sgpr_private_segment_wavefront_offset 0
		.amdhsa_system_sgpr_workgroup_id_x 1
		.amdhsa_system_sgpr_workgroup_id_y 0
		.amdhsa_system_sgpr_workgroup_id_z 0
		.amdhsa_system_sgpr_workgroup_info 0
		.amdhsa_system_vgpr_workitem_id 0
		.amdhsa_next_free_vgpr 1
		.amdhsa_next_free_sgpr 1
		.amdhsa_reserve_vcc 0
		.amdhsa_reserve_flat_scratch 0
		.amdhsa_float_round_mode_32 0
		.amdhsa_float_round_mode_16_64 0
		.amdhsa_float_denorm_mode_32 3
		.amdhsa_float_denorm_mode_16_64 3
		.amdhsa_dx10_clamp 1
		.amdhsa_ieee_mode 1
		.amdhsa_fp16_overflow 0
		.amdhsa_workgroup_processor_mode 1
		.amdhsa_memory_ordered 1
		.amdhsa_forward_progress 1
		.amdhsa_shared_vgpr_count 0
		.amdhsa_exception_fp_ieee_invalid_op 0
		.amdhsa_exception_fp_denorm_src 0
		.amdhsa_exception_fp_ieee_div_zero 0
		.amdhsa_exception_fp_ieee_overflow 0
		.amdhsa_exception_fp_ieee_underflow 0
		.amdhsa_exception_fp_ieee_inexact 0
		.amdhsa_exception_int_div_zero 0
	.end_amdhsa_kernel
	.section	.text._ZN7rocprim17ROCPRIM_400000_NS6detail17trampoline_kernelINS0_14default_configENS1_27scan_by_key_config_selectorIxxEEZZNS1_16scan_by_key_implILNS1_25lookback_scan_determinismE0ELb1ES3_N6thrust23THRUST_200600_302600_NS6detail15normal_iteratorINS9_10device_ptrIxEEEESE_SE_xNS9_4plusIvEENS9_8equal_toIxEExEE10hipError_tPvRmT2_T3_T4_T5_mT6_T7_P12ihipStream_tbENKUlT_T0_E_clISt17integral_constantIbLb1EESY_IbLb0EEEEDaSU_SV_EUlSU_E_NS1_11comp_targetILNS1_3genE4ELNS1_11target_archE910ELNS1_3gpuE8ELNS1_3repE0EEENS1_30default_config_static_selectorELNS0_4arch9wavefront6targetE0EEEvT1_,"axG",@progbits,_ZN7rocprim17ROCPRIM_400000_NS6detail17trampoline_kernelINS0_14default_configENS1_27scan_by_key_config_selectorIxxEEZZNS1_16scan_by_key_implILNS1_25lookback_scan_determinismE0ELb1ES3_N6thrust23THRUST_200600_302600_NS6detail15normal_iteratorINS9_10device_ptrIxEEEESE_SE_xNS9_4plusIvEENS9_8equal_toIxEExEE10hipError_tPvRmT2_T3_T4_T5_mT6_T7_P12ihipStream_tbENKUlT_T0_E_clISt17integral_constantIbLb1EESY_IbLb0EEEEDaSU_SV_EUlSU_E_NS1_11comp_targetILNS1_3genE4ELNS1_11target_archE910ELNS1_3gpuE8ELNS1_3repE0EEENS1_30default_config_static_selectorELNS0_4arch9wavefront6targetE0EEEvT1_,comdat
.Lfunc_end446:
	.size	_ZN7rocprim17ROCPRIM_400000_NS6detail17trampoline_kernelINS0_14default_configENS1_27scan_by_key_config_selectorIxxEEZZNS1_16scan_by_key_implILNS1_25lookback_scan_determinismE0ELb1ES3_N6thrust23THRUST_200600_302600_NS6detail15normal_iteratorINS9_10device_ptrIxEEEESE_SE_xNS9_4plusIvEENS9_8equal_toIxEExEE10hipError_tPvRmT2_T3_T4_T5_mT6_T7_P12ihipStream_tbENKUlT_T0_E_clISt17integral_constantIbLb1EESY_IbLb0EEEEDaSU_SV_EUlSU_E_NS1_11comp_targetILNS1_3genE4ELNS1_11target_archE910ELNS1_3gpuE8ELNS1_3repE0EEENS1_30default_config_static_selectorELNS0_4arch9wavefront6targetE0EEEvT1_, .Lfunc_end446-_ZN7rocprim17ROCPRIM_400000_NS6detail17trampoline_kernelINS0_14default_configENS1_27scan_by_key_config_selectorIxxEEZZNS1_16scan_by_key_implILNS1_25lookback_scan_determinismE0ELb1ES3_N6thrust23THRUST_200600_302600_NS6detail15normal_iteratorINS9_10device_ptrIxEEEESE_SE_xNS9_4plusIvEENS9_8equal_toIxEExEE10hipError_tPvRmT2_T3_T4_T5_mT6_T7_P12ihipStream_tbENKUlT_T0_E_clISt17integral_constantIbLb1EESY_IbLb0EEEEDaSU_SV_EUlSU_E_NS1_11comp_targetILNS1_3genE4ELNS1_11target_archE910ELNS1_3gpuE8ELNS1_3repE0EEENS1_30default_config_static_selectorELNS0_4arch9wavefront6targetE0EEEvT1_
                                        ; -- End function
	.set _ZN7rocprim17ROCPRIM_400000_NS6detail17trampoline_kernelINS0_14default_configENS1_27scan_by_key_config_selectorIxxEEZZNS1_16scan_by_key_implILNS1_25lookback_scan_determinismE0ELb1ES3_N6thrust23THRUST_200600_302600_NS6detail15normal_iteratorINS9_10device_ptrIxEEEESE_SE_xNS9_4plusIvEENS9_8equal_toIxEExEE10hipError_tPvRmT2_T3_T4_T5_mT6_T7_P12ihipStream_tbENKUlT_T0_E_clISt17integral_constantIbLb1EESY_IbLb0EEEEDaSU_SV_EUlSU_E_NS1_11comp_targetILNS1_3genE4ELNS1_11target_archE910ELNS1_3gpuE8ELNS1_3repE0EEENS1_30default_config_static_selectorELNS0_4arch9wavefront6targetE0EEEvT1_.num_vgpr, 0
	.set _ZN7rocprim17ROCPRIM_400000_NS6detail17trampoline_kernelINS0_14default_configENS1_27scan_by_key_config_selectorIxxEEZZNS1_16scan_by_key_implILNS1_25lookback_scan_determinismE0ELb1ES3_N6thrust23THRUST_200600_302600_NS6detail15normal_iteratorINS9_10device_ptrIxEEEESE_SE_xNS9_4plusIvEENS9_8equal_toIxEExEE10hipError_tPvRmT2_T3_T4_T5_mT6_T7_P12ihipStream_tbENKUlT_T0_E_clISt17integral_constantIbLb1EESY_IbLb0EEEEDaSU_SV_EUlSU_E_NS1_11comp_targetILNS1_3genE4ELNS1_11target_archE910ELNS1_3gpuE8ELNS1_3repE0EEENS1_30default_config_static_selectorELNS0_4arch9wavefront6targetE0EEEvT1_.num_agpr, 0
	.set _ZN7rocprim17ROCPRIM_400000_NS6detail17trampoline_kernelINS0_14default_configENS1_27scan_by_key_config_selectorIxxEEZZNS1_16scan_by_key_implILNS1_25lookback_scan_determinismE0ELb1ES3_N6thrust23THRUST_200600_302600_NS6detail15normal_iteratorINS9_10device_ptrIxEEEESE_SE_xNS9_4plusIvEENS9_8equal_toIxEExEE10hipError_tPvRmT2_T3_T4_T5_mT6_T7_P12ihipStream_tbENKUlT_T0_E_clISt17integral_constantIbLb1EESY_IbLb0EEEEDaSU_SV_EUlSU_E_NS1_11comp_targetILNS1_3genE4ELNS1_11target_archE910ELNS1_3gpuE8ELNS1_3repE0EEENS1_30default_config_static_selectorELNS0_4arch9wavefront6targetE0EEEvT1_.numbered_sgpr, 0
	.set _ZN7rocprim17ROCPRIM_400000_NS6detail17trampoline_kernelINS0_14default_configENS1_27scan_by_key_config_selectorIxxEEZZNS1_16scan_by_key_implILNS1_25lookback_scan_determinismE0ELb1ES3_N6thrust23THRUST_200600_302600_NS6detail15normal_iteratorINS9_10device_ptrIxEEEESE_SE_xNS9_4plusIvEENS9_8equal_toIxEExEE10hipError_tPvRmT2_T3_T4_T5_mT6_T7_P12ihipStream_tbENKUlT_T0_E_clISt17integral_constantIbLb1EESY_IbLb0EEEEDaSU_SV_EUlSU_E_NS1_11comp_targetILNS1_3genE4ELNS1_11target_archE910ELNS1_3gpuE8ELNS1_3repE0EEENS1_30default_config_static_selectorELNS0_4arch9wavefront6targetE0EEEvT1_.num_named_barrier, 0
	.set _ZN7rocprim17ROCPRIM_400000_NS6detail17trampoline_kernelINS0_14default_configENS1_27scan_by_key_config_selectorIxxEEZZNS1_16scan_by_key_implILNS1_25lookback_scan_determinismE0ELb1ES3_N6thrust23THRUST_200600_302600_NS6detail15normal_iteratorINS9_10device_ptrIxEEEESE_SE_xNS9_4plusIvEENS9_8equal_toIxEExEE10hipError_tPvRmT2_T3_T4_T5_mT6_T7_P12ihipStream_tbENKUlT_T0_E_clISt17integral_constantIbLb1EESY_IbLb0EEEEDaSU_SV_EUlSU_E_NS1_11comp_targetILNS1_3genE4ELNS1_11target_archE910ELNS1_3gpuE8ELNS1_3repE0EEENS1_30default_config_static_selectorELNS0_4arch9wavefront6targetE0EEEvT1_.private_seg_size, 0
	.set _ZN7rocprim17ROCPRIM_400000_NS6detail17trampoline_kernelINS0_14default_configENS1_27scan_by_key_config_selectorIxxEEZZNS1_16scan_by_key_implILNS1_25lookback_scan_determinismE0ELb1ES3_N6thrust23THRUST_200600_302600_NS6detail15normal_iteratorINS9_10device_ptrIxEEEESE_SE_xNS9_4plusIvEENS9_8equal_toIxEExEE10hipError_tPvRmT2_T3_T4_T5_mT6_T7_P12ihipStream_tbENKUlT_T0_E_clISt17integral_constantIbLb1EESY_IbLb0EEEEDaSU_SV_EUlSU_E_NS1_11comp_targetILNS1_3genE4ELNS1_11target_archE910ELNS1_3gpuE8ELNS1_3repE0EEENS1_30default_config_static_selectorELNS0_4arch9wavefront6targetE0EEEvT1_.uses_vcc, 0
	.set _ZN7rocprim17ROCPRIM_400000_NS6detail17trampoline_kernelINS0_14default_configENS1_27scan_by_key_config_selectorIxxEEZZNS1_16scan_by_key_implILNS1_25lookback_scan_determinismE0ELb1ES3_N6thrust23THRUST_200600_302600_NS6detail15normal_iteratorINS9_10device_ptrIxEEEESE_SE_xNS9_4plusIvEENS9_8equal_toIxEExEE10hipError_tPvRmT2_T3_T4_T5_mT6_T7_P12ihipStream_tbENKUlT_T0_E_clISt17integral_constantIbLb1EESY_IbLb0EEEEDaSU_SV_EUlSU_E_NS1_11comp_targetILNS1_3genE4ELNS1_11target_archE910ELNS1_3gpuE8ELNS1_3repE0EEENS1_30default_config_static_selectorELNS0_4arch9wavefront6targetE0EEEvT1_.uses_flat_scratch, 0
	.set _ZN7rocprim17ROCPRIM_400000_NS6detail17trampoline_kernelINS0_14default_configENS1_27scan_by_key_config_selectorIxxEEZZNS1_16scan_by_key_implILNS1_25lookback_scan_determinismE0ELb1ES3_N6thrust23THRUST_200600_302600_NS6detail15normal_iteratorINS9_10device_ptrIxEEEESE_SE_xNS9_4plusIvEENS9_8equal_toIxEExEE10hipError_tPvRmT2_T3_T4_T5_mT6_T7_P12ihipStream_tbENKUlT_T0_E_clISt17integral_constantIbLb1EESY_IbLb0EEEEDaSU_SV_EUlSU_E_NS1_11comp_targetILNS1_3genE4ELNS1_11target_archE910ELNS1_3gpuE8ELNS1_3repE0EEENS1_30default_config_static_selectorELNS0_4arch9wavefront6targetE0EEEvT1_.has_dyn_sized_stack, 0
	.set _ZN7rocprim17ROCPRIM_400000_NS6detail17trampoline_kernelINS0_14default_configENS1_27scan_by_key_config_selectorIxxEEZZNS1_16scan_by_key_implILNS1_25lookback_scan_determinismE0ELb1ES3_N6thrust23THRUST_200600_302600_NS6detail15normal_iteratorINS9_10device_ptrIxEEEESE_SE_xNS9_4plusIvEENS9_8equal_toIxEExEE10hipError_tPvRmT2_T3_T4_T5_mT6_T7_P12ihipStream_tbENKUlT_T0_E_clISt17integral_constantIbLb1EESY_IbLb0EEEEDaSU_SV_EUlSU_E_NS1_11comp_targetILNS1_3genE4ELNS1_11target_archE910ELNS1_3gpuE8ELNS1_3repE0EEENS1_30default_config_static_selectorELNS0_4arch9wavefront6targetE0EEEvT1_.has_recursion, 0
	.set _ZN7rocprim17ROCPRIM_400000_NS6detail17trampoline_kernelINS0_14default_configENS1_27scan_by_key_config_selectorIxxEEZZNS1_16scan_by_key_implILNS1_25lookback_scan_determinismE0ELb1ES3_N6thrust23THRUST_200600_302600_NS6detail15normal_iteratorINS9_10device_ptrIxEEEESE_SE_xNS9_4plusIvEENS9_8equal_toIxEExEE10hipError_tPvRmT2_T3_T4_T5_mT6_T7_P12ihipStream_tbENKUlT_T0_E_clISt17integral_constantIbLb1EESY_IbLb0EEEEDaSU_SV_EUlSU_E_NS1_11comp_targetILNS1_3genE4ELNS1_11target_archE910ELNS1_3gpuE8ELNS1_3repE0EEENS1_30default_config_static_selectorELNS0_4arch9wavefront6targetE0EEEvT1_.has_indirect_call, 0
	.section	.AMDGPU.csdata,"",@progbits
; Kernel info:
; codeLenInByte = 0
; TotalNumSgprs: 0
; NumVgprs: 0
; ScratchSize: 0
; MemoryBound: 0
; FloatMode: 240
; IeeeMode: 1
; LDSByteSize: 0 bytes/workgroup (compile time only)
; SGPRBlocks: 0
; VGPRBlocks: 0
; NumSGPRsForWavesPerEU: 1
; NumVGPRsForWavesPerEU: 1
; Occupancy: 16
; WaveLimiterHint : 0
; COMPUTE_PGM_RSRC2:SCRATCH_EN: 0
; COMPUTE_PGM_RSRC2:USER_SGPR: 6
; COMPUTE_PGM_RSRC2:TRAP_HANDLER: 0
; COMPUTE_PGM_RSRC2:TGID_X_EN: 1
; COMPUTE_PGM_RSRC2:TGID_Y_EN: 0
; COMPUTE_PGM_RSRC2:TGID_Z_EN: 0
; COMPUTE_PGM_RSRC2:TIDIG_COMP_CNT: 0
	.section	.text._ZN7rocprim17ROCPRIM_400000_NS6detail17trampoline_kernelINS0_14default_configENS1_27scan_by_key_config_selectorIxxEEZZNS1_16scan_by_key_implILNS1_25lookback_scan_determinismE0ELb1ES3_N6thrust23THRUST_200600_302600_NS6detail15normal_iteratorINS9_10device_ptrIxEEEESE_SE_xNS9_4plusIvEENS9_8equal_toIxEExEE10hipError_tPvRmT2_T3_T4_T5_mT6_T7_P12ihipStream_tbENKUlT_T0_E_clISt17integral_constantIbLb1EESY_IbLb0EEEEDaSU_SV_EUlSU_E_NS1_11comp_targetILNS1_3genE3ELNS1_11target_archE908ELNS1_3gpuE7ELNS1_3repE0EEENS1_30default_config_static_selectorELNS0_4arch9wavefront6targetE0EEEvT1_,"axG",@progbits,_ZN7rocprim17ROCPRIM_400000_NS6detail17trampoline_kernelINS0_14default_configENS1_27scan_by_key_config_selectorIxxEEZZNS1_16scan_by_key_implILNS1_25lookback_scan_determinismE0ELb1ES3_N6thrust23THRUST_200600_302600_NS6detail15normal_iteratorINS9_10device_ptrIxEEEESE_SE_xNS9_4plusIvEENS9_8equal_toIxEExEE10hipError_tPvRmT2_T3_T4_T5_mT6_T7_P12ihipStream_tbENKUlT_T0_E_clISt17integral_constantIbLb1EESY_IbLb0EEEEDaSU_SV_EUlSU_E_NS1_11comp_targetILNS1_3genE3ELNS1_11target_archE908ELNS1_3gpuE7ELNS1_3repE0EEENS1_30default_config_static_selectorELNS0_4arch9wavefront6targetE0EEEvT1_,comdat
	.protected	_ZN7rocprim17ROCPRIM_400000_NS6detail17trampoline_kernelINS0_14default_configENS1_27scan_by_key_config_selectorIxxEEZZNS1_16scan_by_key_implILNS1_25lookback_scan_determinismE0ELb1ES3_N6thrust23THRUST_200600_302600_NS6detail15normal_iteratorINS9_10device_ptrIxEEEESE_SE_xNS9_4plusIvEENS9_8equal_toIxEExEE10hipError_tPvRmT2_T3_T4_T5_mT6_T7_P12ihipStream_tbENKUlT_T0_E_clISt17integral_constantIbLb1EESY_IbLb0EEEEDaSU_SV_EUlSU_E_NS1_11comp_targetILNS1_3genE3ELNS1_11target_archE908ELNS1_3gpuE7ELNS1_3repE0EEENS1_30default_config_static_selectorELNS0_4arch9wavefront6targetE0EEEvT1_ ; -- Begin function _ZN7rocprim17ROCPRIM_400000_NS6detail17trampoline_kernelINS0_14default_configENS1_27scan_by_key_config_selectorIxxEEZZNS1_16scan_by_key_implILNS1_25lookback_scan_determinismE0ELb1ES3_N6thrust23THRUST_200600_302600_NS6detail15normal_iteratorINS9_10device_ptrIxEEEESE_SE_xNS9_4plusIvEENS9_8equal_toIxEExEE10hipError_tPvRmT2_T3_T4_T5_mT6_T7_P12ihipStream_tbENKUlT_T0_E_clISt17integral_constantIbLb1EESY_IbLb0EEEEDaSU_SV_EUlSU_E_NS1_11comp_targetILNS1_3genE3ELNS1_11target_archE908ELNS1_3gpuE7ELNS1_3repE0EEENS1_30default_config_static_selectorELNS0_4arch9wavefront6targetE0EEEvT1_
	.globl	_ZN7rocprim17ROCPRIM_400000_NS6detail17trampoline_kernelINS0_14default_configENS1_27scan_by_key_config_selectorIxxEEZZNS1_16scan_by_key_implILNS1_25lookback_scan_determinismE0ELb1ES3_N6thrust23THRUST_200600_302600_NS6detail15normal_iteratorINS9_10device_ptrIxEEEESE_SE_xNS9_4plusIvEENS9_8equal_toIxEExEE10hipError_tPvRmT2_T3_T4_T5_mT6_T7_P12ihipStream_tbENKUlT_T0_E_clISt17integral_constantIbLb1EESY_IbLb0EEEEDaSU_SV_EUlSU_E_NS1_11comp_targetILNS1_3genE3ELNS1_11target_archE908ELNS1_3gpuE7ELNS1_3repE0EEENS1_30default_config_static_selectorELNS0_4arch9wavefront6targetE0EEEvT1_
	.p2align	8
	.type	_ZN7rocprim17ROCPRIM_400000_NS6detail17trampoline_kernelINS0_14default_configENS1_27scan_by_key_config_selectorIxxEEZZNS1_16scan_by_key_implILNS1_25lookback_scan_determinismE0ELb1ES3_N6thrust23THRUST_200600_302600_NS6detail15normal_iteratorINS9_10device_ptrIxEEEESE_SE_xNS9_4plusIvEENS9_8equal_toIxEExEE10hipError_tPvRmT2_T3_T4_T5_mT6_T7_P12ihipStream_tbENKUlT_T0_E_clISt17integral_constantIbLb1EESY_IbLb0EEEEDaSU_SV_EUlSU_E_NS1_11comp_targetILNS1_3genE3ELNS1_11target_archE908ELNS1_3gpuE7ELNS1_3repE0EEENS1_30default_config_static_selectorELNS0_4arch9wavefront6targetE0EEEvT1_,@function
_ZN7rocprim17ROCPRIM_400000_NS6detail17trampoline_kernelINS0_14default_configENS1_27scan_by_key_config_selectorIxxEEZZNS1_16scan_by_key_implILNS1_25lookback_scan_determinismE0ELb1ES3_N6thrust23THRUST_200600_302600_NS6detail15normal_iteratorINS9_10device_ptrIxEEEESE_SE_xNS9_4plusIvEENS9_8equal_toIxEExEE10hipError_tPvRmT2_T3_T4_T5_mT6_T7_P12ihipStream_tbENKUlT_T0_E_clISt17integral_constantIbLb1EESY_IbLb0EEEEDaSU_SV_EUlSU_E_NS1_11comp_targetILNS1_3genE3ELNS1_11target_archE908ELNS1_3gpuE7ELNS1_3repE0EEENS1_30default_config_static_selectorELNS0_4arch9wavefront6targetE0EEEvT1_: ; @_ZN7rocprim17ROCPRIM_400000_NS6detail17trampoline_kernelINS0_14default_configENS1_27scan_by_key_config_selectorIxxEEZZNS1_16scan_by_key_implILNS1_25lookback_scan_determinismE0ELb1ES3_N6thrust23THRUST_200600_302600_NS6detail15normal_iteratorINS9_10device_ptrIxEEEESE_SE_xNS9_4plusIvEENS9_8equal_toIxEExEE10hipError_tPvRmT2_T3_T4_T5_mT6_T7_P12ihipStream_tbENKUlT_T0_E_clISt17integral_constantIbLb1EESY_IbLb0EEEEDaSU_SV_EUlSU_E_NS1_11comp_targetILNS1_3genE3ELNS1_11target_archE908ELNS1_3gpuE7ELNS1_3repE0EEENS1_30default_config_static_selectorELNS0_4arch9wavefront6targetE0EEEvT1_
; %bb.0:
	.section	.rodata,"a",@progbits
	.p2align	6, 0x0
	.amdhsa_kernel _ZN7rocprim17ROCPRIM_400000_NS6detail17trampoline_kernelINS0_14default_configENS1_27scan_by_key_config_selectorIxxEEZZNS1_16scan_by_key_implILNS1_25lookback_scan_determinismE0ELb1ES3_N6thrust23THRUST_200600_302600_NS6detail15normal_iteratorINS9_10device_ptrIxEEEESE_SE_xNS9_4plusIvEENS9_8equal_toIxEExEE10hipError_tPvRmT2_T3_T4_T5_mT6_T7_P12ihipStream_tbENKUlT_T0_E_clISt17integral_constantIbLb1EESY_IbLb0EEEEDaSU_SV_EUlSU_E_NS1_11comp_targetILNS1_3genE3ELNS1_11target_archE908ELNS1_3gpuE7ELNS1_3repE0EEENS1_30default_config_static_selectorELNS0_4arch9wavefront6targetE0EEEvT1_
		.amdhsa_group_segment_fixed_size 0
		.amdhsa_private_segment_fixed_size 0
		.amdhsa_kernarg_size 136
		.amdhsa_user_sgpr_count 6
		.amdhsa_user_sgpr_private_segment_buffer 1
		.amdhsa_user_sgpr_dispatch_ptr 0
		.amdhsa_user_sgpr_queue_ptr 0
		.amdhsa_user_sgpr_kernarg_segment_ptr 1
		.amdhsa_user_sgpr_dispatch_id 0
		.amdhsa_user_sgpr_flat_scratch_init 0
		.amdhsa_user_sgpr_private_segment_size 0
		.amdhsa_wavefront_size32 1
		.amdhsa_uses_dynamic_stack 0
		.amdhsa_system_sgpr_private_segment_wavefront_offset 0
		.amdhsa_system_sgpr_workgroup_id_x 1
		.amdhsa_system_sgpr_workgroup_id_y 0
		.amdhsa_system_sgpr_workgroup_id_z 0
		.amdhsa_system_sgpr_workgroup_info 0
		.amdhsa_system_vgpr_workitem_id 0
		.amdhsa_next_free_vgpr 1
		.amdhsa_next_free_sgpr 1
		.amdhsa_reserve_vcc 0
		.amdhsa_reserve_flat_scratch 0
		.amdhsa_float_round_mode_32 0
		.amdhsa_float_round_mode_16_64 0
		.amdhsa_float_denorm_mode_32 3
		.amdhsa_float_denorm_mode_16_64 3
		.amdhsa_dx10_clamp 1
		.amdhsa_ieee_mode 1
		.amdhsa_fp16_overflow 0
		.amdhsa_workgroup_processor_mode 1
		.amdhsa_memory_ordered 1
		.amdhsa_forward_progress 1
		.amdhsa_shared_vgpr_count 0
		.amdhsa_exception_fp_ieee_invalid_op 0
		.amdhsa_exception_fp_denorm_src 0
		.amdhsa_exception_fp_ieee_div_zero 0
		.amdhsa_exception_fp_ieee_overflow 0
		.amdhsa_exception_fp_ieee_underflow 0
		.amdhsa_exception_fp_ieee_inexact 0
		.amdhsa_exception_int_div_zero 0
	.end_amdhsa_kernel
	.section	.text._ZN7rocprim17ROCPRIM_400000_NS6detail17trampoline_kernelINS0_14default_configENS1_27scan_by_key_config_selectorIxxEEZZNS1_16scan_by_key_implILNS1_25lookback_scan_determinismE0ELb1ES3_N6thrust23THRUST_200600_302600_NS6detail15normal_iteratorINS9_10device_ptrIxEEEESE_SE_xNS9_4plusIvEENS9_8equal_toIxEExEE10hipError_tPvRmT2_T3_T4_T5_mT6_T7_P12ihipStream_tbENKUlT_T0_E_clISt17integral_constantIbLb1EESY_IbLb0EEEEDaSU_SV_EUlSU_E_NS1_11comp_targetILNS1_3genE3ELNS1_11target_archE908ELNS1_3gpuE7ELNS1_3repE0EEENS1_30default_config_static_selectorELNS0_4arch9wavefront6targetE0EEEvT1_,"axG",@progbits,_ZN7rocprim17ROCPRIM_400000_NS6detail17trampoline_kernelINS0_14default_configENS1_27scan_by_key_config_selectorIxxEEZZNS1_16scan_by_key_implILNS1_25lookback_scan_determinismE0ELb1ES3_N6thrust23THRUST_200600_302600_NS6detail15normal_iteratorINS9_10device_ptrIxEEEESE_SE_xNS9_4plusIvEENS9_8equal_toIxEExEE10hipError_tPvRmT2_T3_T4_T5_mT6_T7_P12ihipStream_tbENKUlT_T0_E_clISt17integral_constantIbLb1EESY_IbLb0EEEEDaSU_SV_EUlSU_E_NS1_11comp_targetILNS1_3genE3ELNS1_11target_archE908ELNS1_3gpuE7ELNS1_3repE0EEENS1_30default_config_static_selectorELNS0_4arch9wavefront6targetE0EEEvT1_,comdat
.Lfunc_end447:
	.size	_ZN7rocprim17ROCPRIM_400000_NS6detail17trampoline_kernelINS0_14default_configENS1_27scan_by_key_config_selectorIxxEEZZNS1_16scan_by_key_implILNS1_25lookback_scan_determinismE0ELb1ES3_N6thrust23THRUST_200600_302600_NS6detail15normal_iteratorINS9_10device_ptrIxEEEESE_SE_xNS9_4plusIvEENS9_8equal_toIxEExEE10hipError_tPvRmT2_T3_T4_T5_mT6_T7_P12ihipStream_tbENKUlT_T0_E_clISt17integral_constantIbLb1EESY_IbLb0EEEEDaSU_SV_EUlSU_E_NS1_11comp_targetILNS1_3genE3ELNS1_11target_archE908ELNS1_3gpuE7ELNS1_3repE0EEENS1_30default_config_static_selectorELNS0_4arch9wavefront6targetE0EEEvT1_, .Lfunc_end447-_ZN7rocprim17ROCPRIM_400000_NS6detail17trampoline_kernelINS0_14default_configENS1_27scan_by_key_config_selectorIxxEEZZNS1_16scan_by_key_implILNS1_25lookback_scan_determinismE0ELb1ES3_N6thrust23THRUST_200600_302600_NS6detail15normal_iteratorINS9_10device_ptrIxEEEESE_SE_xNS9_4plusIvEENS9_8equal_toIxEExEE10hipError_tPvRmT2_T3_T4_T5_mT6_T7_P12ihipStream_tbENKUlT_T0_E_clISt17integral_constantIbLb1EESY_IbLb0EEEEDaSU_SV_EUlSU_E_NS1_11comp_targetILNS1_3genE3ELNS1_11target_archE908ELNS1_3gpuE7ELNS1_3repE0EEENS1_30default_config_static_selectorELNS0_4arch9wavefront6targetE0EEEvT1_
                                        ; -- End function
	.set _ZN7rocprim17ROCPRIM_400000_NS6detail17trampoline_kernelINS0_14default_configENS1_27scan_by_key_config_selectorIxxEEZZNS1_16scan_by_key_implILNS1_25lookback_scan_determinismE0ELb1ES3_N6thrust23THRUST_200600_302600_NS6detail15normal_iteratorINS9_10device_ptrIxEEEESE_SE_xNS9_4plusIvEENS9_8equal_toIxEExEE10hipError_tPvRmT2_T3_T4_T5_mT6_T7_P12ihipStream_tbENKUlT_T0_E_clISt17integral_constantIbLb1EESY_IbLb0EEEEDaSU_SV_EUlSU_E_NS1_11comp_targetILNS1_3genE3ELNS1_11target_archE908ELNS1_3gpuE7ELNS1_3repE0EEENS1_30default_config_static_selectorELNS0_4arch9wavefront6targetE0EEEvT1_.num_vgpr, 0
	.set _ZN7rocprim17ROCPRIM_400000_NS6detail17trampoline_kernelINS0_14default_configENS1_27scan_by_key_config_selectorIxxEEZZNS1_16scan_by_key_implILNS1_25lookback_scan_determinismE0ELb1ES3_N6thrust23THRUST_200600_302600_NS6detail15normal_iteratorINS9_10device_ptrIxEEEESE_SE_xNS9_4plusIvEENS9_8equal_toIxEExEE10hipError_tPvRmT2_T3_T4_T5_mT6_T7_P12ihipStream_tbENKUlT_T0_E_clISt17integral_constantIbLb1EESY_IbLb0EEEEDaSU_SV_EUlSU_E_NS1_11comp_targetILNS1_3genE3ELNS1_11target_archE908ELNS1_3gpuE7ELNS1_3repE0EEENS1_30default_config_static_selectorELNS0_4arch9wavefront6targetE0EEEvT1_.num_agpr, 0
	.set _ZN7rocprim17ROCPRIM_400000_NS6detail17trampoline_kernelINS0_14default_configENS1_27scan_by_key_config_selectorIxxEEZZNS1_16scan_by_key_implILNS1_25lookback_scan_determinismE0ELb1ES3_N6thrust23THRUST_200600_302600_NS6detail15normal_iteratorINS9_10device_ptrIxEEEESE_SE_xNS9_4plusIvEENS9_8equal_toIxEExEE10hipError_tPvRmT2_T3_T4_T5_mT6_T7_P12ihipStream_tbENKUlT_T0_E_clISt17integral_constantIbLb1EESY_IbLb0EEEEDaSU_SV_EUlSU_E_NS1_11comp_targetILNS1_3genE3ELNS1_11target_archE908ELNS1_3gpuE7ELNS1_3repE0EEENS1_30default_config_static_selectorELNS0_4arch9wavefront6targetE0EEEvT1_.numbered_sgpr, 0
	.set _ZN7rocprim17ROCPRIM_400000_NS6detail17trampoline_kernelINS0_14default_configENS1_27scan_by_key_config_selectorIxxEEZZNS1_16scan_by_key_implILNS1_25lookback_scan_determinismE0ELb1ES3_N6thrust23THRUST_200600_302600_NS6detail15normal_iteratorINS9_10device_ptrIxEEEESE_SE_xNS9_4plusIvEENS9_8equal_toIxEExEE10hipError_tPvRmT2_T3_T4_T5_mT6_T7_P12ihipStream_tbENKUlT_T0_E_clISt17integral_constantIbLb1EESY_IbLb0EEEEDaSU_SV_EUlSU_E_NS1_11comp_targetILNS1_3genE3ELNS1_11target_archE908ELNS1_3gpuE7ELNS1_3repE0EEENS1_30default_config_static_selectorELNS0_4arch9wavefront6targetE0EEEvT1_.num_named_barrier, 0
	.set _ZN7rocprim17ROCPRIM_400000_NS6detail17trampoline_kernelINS0_14default_configENS1_27scan_by_key_config_selectorIxxEEZZNS1_16scan_by_key_implILNS1_25lookback_scan_determinismE0ELb1ES3_N6thrust23THRUST_200600_302600_NS6detail15normal_iteratorINS9_10device_ptrIxEEEESE_SE_xNS9_4plusIvEENS9_8equal_toIxEExEE10hipError_tPvRmT2_T3_T4_T5_mT6_T7_P12ihipStream_tbENKUlT_T0_E_clISt17integral_constantIbLb1EESY_IbLb0EEEEDaSU_SV_EUlSU_E_NS1_11comp_targetILNS1_3genE3ELNS1_11target_archE908ELNS1_3gpuE7ELNS1_3repE0EEENS1_30default_config_static_selectorELNS0_4arch9wavefront6targetE0EEEvT1_.private_seg_size, 0
	.set _ZN7rocprim17ROCPRIM_400000_NS6detail17trampoline_kernelINS0_14default_configENS1_27scan_by_key_config_selectorIxxEEZZNS1_16scan_by_key_implILNS1_25lookback_scan_determinismE0ELb1ES3_N6thrust23THRUST_200600_302600_NS6detail15normal_iteratorINS9_10device_ptrIxEEEESE_SE_xNS9_4plusIvEENS9_8equal_toIxEExEE10hipError_tPvRmT2_T3_T4_T5_mT6_T7_P12ihipStream_tbENKUlT_T0_E_clISt17integral_constantIbLb1EESY_IbLb0EEEEDaSU_SV_EUlSU_E_NS1_11comp_targetILNS1_3genE3ELNS1_11target_archE908ELNS1_3gpuE7ELNS1_3repE0EEENS1_30default_config_static_selectorELNS0_4arch9wavefront6targetE0EEEvT1_.uses_vcc, 0
	.set _ZN7rocprim17ROCPRIM_400000_NS6detail17trampoline_kernelINS0_14default_configENS1_27scan_by_key_config_selectorIxxEEZZNS1_16scan_by_key_implILNS1_25lookback_scan_determinismE0ELb1ES3_N6thrust23THRUST_200600_302600_NS6detail15normal_iteratorINS9_10device_ptrIxEEEESE_SE_xNS9_4plusIvEENS9_8equal_toIxEExEE10hipError_tPvRmT2_T3_T4_T5_mT6_T7_P12ihipStream_tbENKUlT_T0_E_clISt17integral_constantIbLb1EESY_IbLb0EEEEDaSU_SV_EUlSU_E_NS1_11comp_targetILNS1_3genE3ELNS1_11target_archE908ELNS1_3gpuE7ELNS1_3repE0EEENS1_30default_config_static_selectorELNS0_4arch9wavefront6targetE0EEEvT1_.uses_flat_scratch, 0
	.set _ZN7rocprim17ROCPRIM_400000_NS6detail17trampoline_kernelINS0_14default_configENS1_27scan_by_key_config_selectorIxxEEZZNS1_16scan_by_key_implILNS1_25lookback_scan_determinismE0ELb1ES3_N6thrust23THRUST_200600_302600_NS6detail15normal_iteratorINS9_10device_ptrIxEEEESE_SE_xNS9_4plusIvEENS9_8equal_toIxEExEE10hipError_tPvRmT2_T3_T4_T5_mT6_T7_P12ihipStream_tbENKUlT_T0_E_clISt17integral_constantIbLb1EESY_IbLb0EEEEDaSU_SV_EUlSU_E_NS1_11comp_targetILNS1_3genE3ELNS1_11target_archE908ELNS1_3gpuE7ELNS1_3repE0EEENS1_30default_config_static_selectorELNS0_4arch9wavefront6targetE0EEEvT1_.has_dyn_sized_stack, 0
	.set _ZN7rocprim17ROCPRIM_400000_NS6detail17trampoline_kernelINS0_14default_configENS1_27scan_by_key_config_selectorIxxEEZZNS1_16scan_by_key_implILNS1_25lookback_scan_determinismE0ELb1ES3_N6thrust23THRUST_200600_302600_NS6detail15normal_iteratorINS9_10device_ptrIxEEEESE_SE_xNS9_4plusIvEENS9_8equal_toIxEExEE10hipError_tPvRmT2_T3_T4_T5_mT6_T7_P12ihipStream_tbENKUlT_T0_E_clISt17integral_constantIbLb1EESY_IbLb0EEEEDaSU_SV_EUlSU_E_NS1_11comp_targetILNS1_3genE3ELNS1_11target_archE908ELNS1_3gpuE7ELNS1_3repE0EEENS1_30default_config_static_selectorELNS0_4arch9wavefront6targetE0EEEvT1_.has_recursion, 0
	.set _ZN7rocprim17ROCPRIM_400000_NS6detail17trampoline_kernelINS0_14default_configENS1_27scan_by_key_config_selectorIxxEEZZNS1_16scan_by_key_implILNS1_25lookback_scan_determinismE0ELb1ES3_N6thrust23THRUST_200600_302600_NS6detail15normal_iteratorINS9_10device_ptrIxEEEESE_SE_xNS9_4plusIvEENS9_8equal_toIxEExEE10hipError_tPvRmT2_T3_T4_T5_mT6_T7_P12ihipStream_tbENKUlT_T0_E_clISt17integral_constantIbLb1EESY_IbLb0EEEEDaSU_SV_EUlSU_E_NS1_11comp_targetILNS1_3genE3ELNS1_11target_archE908ELNS1_3gpuE7ELNS1_3repE0EEENS1_30default_config_static_selectorELNS0_4arch9wavefront6targetE0EEEvT1_.has_indirect_call, 0
	.section	.AMDGPU.csdata,"",@progbits
; Kernel info:
; codeLenInByte = 0
; TotalNumSgprs: 0
; NumVgprs: 0
; ScratchSize: 0
; MemoryBound: 0
; FloatMode: 240
; IeeeMode: 1
; LDSByteSize: 0 bytes/workgroup (compile time only)
; SGPRBlocks: 0
; VGPRBlocks: 0
; NumSGPRsForWavesPerEU: 1
; NumVGPRsForWavesPerEU: 1
; Occupancy: 16
; WaveLimiterHint : 0
; COMPUTE_PGM_RSRC2:SCRATCH_EN: 0
; COMPUTE_PGM_RSRC2:USER_SGPR: 6
; COMPUTE_PGM_RSRC2:TRAP_HANDLER: 0
; COMPUTE_PGM_RSRC2:TGID_X_EN: 1
; COMPUTE_PGM_RSRC2:TGID_Y_EN: 0
; COMPUTE_PGM_RSRC2:TGID_Z_EN: 0
; COMPUTE_PGM_RSRC2:TIDIG_COMP_CNT: 0
	.section	.text._ZN7rocprim17ROCPRIM_400000_NS6detail17trampoline_kernelINS0_14default_configENS1_27scan_by_key_config_selectorIxxEEZZNS1_16scan_by_key_implILNS1_25lookback_scan_determinismE0ELb1ES3_N6thrust23THRUST_200600_302600_NS6detail15normal_iteratorINS9_10device_ptrIxEEEESE_SE_xNS9_4plusIvEENS9_8equal_toIxEExEE10hipError_tPvRmT2_T3_T4_T5_mT6_T7_P12ihipStream_tbENKUlT_T0_E_clISt17integral_constantIbLb1EESY_IbLb0EEEEDaSU_SV_EUlSU_E_NS1_11comp_targetILNS1_3genE2ELNS1_11target_archE906ELNS1_3gpuE6ELNS1_3repE0EEENS1_30default_config_static_selectorELNS0_4arch9wavefront6targetE0EEEvT1_,"axG",@progbits,_ZN7rocprim17ROCPRIM_400000_NS6detail17trampoline_kernelINS0_14default_configENS1_27scan_by_key_config_selectorIxxEEZZNS1_16scan_by_key_implILNS1_25lookback_scan_determinismE0ELb1ES3_N6thrust23THRUST_200600_302600_NS6detail15normal_iteratorINS9_10device_ptrIxEEEESE_SE_xNS9_4plusIvEENS9_8equal_toIxEExEE10hipError_tPvRmT2_T3_T4_T5_mT6_T7_P12ihipStream_tbENKUlT_T0_E_clISt17integral_constantIbLb1EESY_IbLb0EEEEDaSU_SV_EUlSU_E_NS1_11comp_targetILNS1_3genE2ELNS1_11target_archE906ELNS1_3gpuE6ELNS1_3repE0EEENS1_30default_config_static_selectorELNS0_4arch9wavefront6targetE0EEEvT1_,comdat
	.protected	_ZN7rocprim17ROCPRIM_400000_NS6detail17trampoline_kernelINS0_14default_configENS1_27scan_by_key_config_selectorIxxEEZZNS1_16scan_by_key_implILNS1_25lookback_scan_determinismE0ELb1ES3_N6thrust23THRUST_200600_302600_NS6detail15normal_iteratorINS9_10device_ptrIxEEEESE_SE_xNS9_4plusIvEENS9_8equal_toIxEExEE10hipError_tPvRmT2_T3_T4_T5_mT6_T7_P12ihipStream_tbENKUlT_T0_E_clISt17integral_constantIbLb1EESY_IbLb0EEEEDaSU_SV_EUlSU_E_NS1_11comp_targetILNS1_3genE2ELNS1_11target_archE906ELNS1_3gpuE6ELNS1_3repE0EEENS1_30default_config_static_selectorELNS0_4arch9wavefront6targetE0EEEvT1_ ; -- Begin function _ZN7rocprim17ROCPRIM_400000_NS6detail17trampoline_kernelINS0_14default_configENS1_27scan_by_key_config_selectorIxxEEZZNS1_16scan_by_key_implILNS1_25lookback_scan_determinismE0ELb1ES3_N6thrust23THRUST_200600_302600_NS6detail15normal_iteratorINS9_10device_ptrIxEEEESE_SE_xNS9_4plusIvEENS9_8equal_toIxEExEE10hipError_tPvRmT2_T3_T4_T5_mT6_T7_P12ihipStream_tbENKUlT_T0_E_clISt17integral_constantIbLb1EESY_IbLb0EEEEDaSU_SV_EUlSU_E_NS1_11comp_targetILNS1_3genE2ELNS1_11target_archE906ELNS1_3gpuE6ELNS1_3repE0EEENS1_30default_config_static_selectorELNS0_4arch9wavefront6targetE0EEEvT1_
	.globl	_ZN7rocprim17ROCPRIM_400000_NS6detail17trampoline_kernelINS0_14default_configENS1_27scan_by_key_config_selectorIxxEEZZNS1_16scan_by_key_implILNS1_25lookback_scan_determinismE0ELb1ES3_N6thrust23THRUST_200600_302600_NS6detail15normal_iteratorINS9_10device_ptrIxEEEESE_SE_xNS9_4plusIvEENS9_8equal_toIxEExEE10hipError_tPvRmT2_T3_T4_T5_mT6_T7_P12ihipStream_tbENKUlT_T0_E_clISt17integral_constantIbLb1EESY_IbLb0EEEEDaSU_SV_EUlSU_E_NS1_11comp_targetILNS1_3genE2ELNS1_11target_archE906ELNS1_3gpuE6ELNS1_3repE0EEENS1_30default_config_static_selectorELNS0_4arch9wavefront6targetE0EEEvT1_
	.p2align	8
	.type	_ZN7rocprim17ROCPRIM_400000_NS6detail17trampoline_kernelINS0_14default_configENS1_27scan_by_key_config_selectorIxxEEZZNS1_16scan_by_key_implILNS1_25lookback_scan_determinismE0ELb1ES3_N6thrust23THRUST_200600_302600_NS6detail15normal_iteratorINS9_10device_ptrIxEEEESE_SE_xNS9_4plusIvEENS9_8equal_toIxEExEE10hipError_tPvRmT2_T3_T4_T5_mT6_T7_P12ihipStream_tbENKUlT_T0_E_clISt17integral_constantIbLb1EESY_IbLb0EEEEDaSU_SV_EUlSU_E_NS1_11comp_targetILNS1_3genE2ELNS1_11target_archE906ELNS1_3gpuE6ELNS1_3repE0EEENS1_30default_config_static_selectorELNS0_4arch9wavefront6targetE0EEEvT1_,@function
_ZN7rocprim17ROCPRIM_400000_NS6detail17trampoline_kernelINS0_14default_configENS1_27scan_by_key_config_selectorIxxEEZZNS1_16scan_by_key_implILNS1_25lookback_scan_determinismE0ELb1ES3_N6thrust23THRUST_200600_302600_NS6detail15normal_iteratorINS9_10device_ptrIxEEEESE_SE_xNS9_4plusIvEENS9_8equal_toIxEExEE10hipError_tPvRmT2_T3_T4_T5_mT6_T7_P12ihipStream_tbENKUlT_T0_E_clISt17integral_constantIbLb1EESY_IbLb0EEEEDaSU_SV_EUlSU_E_NS1_11comp_targetILNS1_3genE2ELNS1_11target_archE906ELNS1_3gpuE6ELNS1_3repE0EEENS1_30default_config_static_selectorELNS0_4arch9wavefront6targetE0EEEvT1_: ; @_ZN7rocprim17ROCPRIM_400000_NS6detail17trampoline_kernelINS0_14default_configENS1_27scan_by_key_config_selectorIxxEEZZNS1_16scan_by_key_implILNS1_25lookback_scan_determinismE0ELb1ES3_N6thrust23THRUST_200600_302600_NS6detail15normal_iteratorINS9_10device_ptrIxEEEESE_SE_xNS9_4plusIvEENS9_8equal_toIxEExEE10hipError_tPvRmT2_T3_T4_T5_mT6_T7_P12ihipStream_tbENKUlT_T0_E_clISt17integral_constantIbLb1EESY_IbLb0EEEEDaSU_SV_EUlSU_E_NS1_11comp_targetILNS1_3genE2ELNS1_11target_archE906ELNS1_3gpuE6ELNS1_3repE0EEENS1_30default_config_static_selectorELNS0_4arch9wavefront6targetE0EEEvT1_
; %bb.0:
	.section	.rodata,"a",@progbits
	.p2align	6, 0x0
	.amdhsa_kernel _ZN7rocprim17ROCPRIM_400000_NS6detail17trampoline_kernelINS0_14default_configENS1_27scan_by_key_config_selectorIxxEEZZNS1_16scan_by_key_implILNS1_25lookback_scan_determinismE0ELb1ES3_N6thrust23THRUST_200600_302600_NS6detail15normal_iteratorINS9_10device_ptrIxEEEESE_SE_xNS9_4plusIvEENS9_8equal_toIxEExEE10hipError_tPvRmT2_T3_T4_T5_mT6_T7_P12ihipStream_tbENKUlT_T0_E_clISt17integral_constantIbLb1EESY_IbLb0EEEEDaSU_SV_EUlSU_E_NS1_11comp_targetILNS1_3genE2ELNS1_11target_archE906ELNS1_3gpuE6ELNS1_3repE0EEENS1_30default_config_static_selectorELNS0_4arch9wavefront6targetE0EEEvT1_
		.amdhsa_group_segment_fixed_size 0
		.amdhsa_private_segment_fixed_size 0
		.amdhsa_kernarg_size 136
		.amdhsa_user_sgpr_count 6
		.amdhsa_user_sgpr_private_segment_buffer 1
		.amdhsa_user_sgpr_dispatch_ptr 0
		.amdhsa_user_sgpr_queue_ptr 0
		.amdhsa_user_sgpr_kernarg_segment_ptr 1
		.amdhsa_user_sgpr_dispatch_id 0
		.amdhsa_user_sgpr_flat_scratch_init 0
		.amdhsa_user_sgpr_private_segment_size 0
		.amdhsa_wavefront_size32 1
		.amdhsa_uses_dynamic_stack 0
		.amdhsa_system_sgpr_private_segment_wavefront_offset 0
		.amdhsa_system_sgpr_workgroup_id_x 1
		.amdhsa_system_sgpr_workgroup_id_y 0
		.amdhsa_system_sgpr_workgroup_id_z 0
		.amdhsa_system_sgpr_workgroup_info 0
		.amdhsa_system_vgpr_workitem_id 0
		.amdhsa_next_free_vgpr 1
		.amdhsa_next_free_sgpr 1
		.amdhsa_reserve_vcc 0
		.amdhsa_reserve_flat_scratch 0
		.amdhsa_float_round_mode_32 0
		.amdhsa_float_round_mode_16_64 0
		.amdhsa_float_denorm_mode_32 3
		.amdhsa_float_denorm_mode_16_64 3
		.amdhsa_dx10_clamp 1
		.amdhsa_ieee_mode 1
		.amdhsa_fp16_overflow 0
		.amdhsa_workgroup_processor_mode 1
		.amdhsa_memory_ordered 1
		.amdhsa_forward_progress 1
		.amdhsa_shared_vgpr_count 0
		.amdhsa_exception_fp_ieee_invalid_op 0
		.amdhsa_exception_fp_denorm_src 0
		.amdhsa_exception_fp_ieee_div_zero 0
		.amdhsa_exception_fp_ieee_overflow 0
		.amdhsa_exception_fp_ieee_underflow 0
		.amdhsa_exception_fp_ieee_inexact 0
		.amdhsa_exception_int_div_zero 0
	.end_amdhsa_kernel
	.section	.text._ZN7rocprim17ROCPRIM_400000_NS6detail17trampoline_kernelINS0_14default_configENS1_27scan_by_key_config_selectorIxxEEZZNS1_16scan_by_key_implILNS1_25lookback_scan_determinismE0ELb1ES3_N6thrust23THRUST_200600_302600_NS6detail15normal_iteratorINS9_10device_ptrIxEEEESE_SE_xNS9_4plusIvEENS9_8equal_toIxEExEE10hipError_tPvRmT2_T3_T4_T5_mT6_T7_P12ihipStream_tbENKUlT_T0_E_clISt17integral_constantIbLb1EESY_IbLb0EEEEDaSU_SV_EUlSU_E_NS1_11comp_targetILNS1_3genE2ELNS1_11target_archE906ELNS1_3gpuE6ELNS1_3repE0EEENS1_30default_config_static_selectorELNS0_4arch9wavefront6targetE0EEEvT1_,"axG",@progbits,_ZN7rocprim17ROCPRIM_400000_NS6detail17trampoline_kernelINS0_14default_configENS1_27scan_by_key_config_selectorIxxEEZZNS1_16scan_by_key_implILNS1_25lookback_scan_determinismE0ELb1ES3_N6thrust23THRUST_200600_302600_NS6detail15normal_iteratorINS9_10device_ptrIxEEEESE_SE_xNS9_4plusIvEENS9_8equal_toIxEExEE10hipError_tPvRmT2_T3_T4_T5_mT6_T7_P12ihipStream_tbENKUlT_T0_E_clISt17integral_constantIbLb1EESY_IbLb0EEEEDaSU_SV_EUlSU_E_NS1_11comp_targetILNS1_3genE2ELNS1_11target_archE906ELNS1_3gpuE6ELNS1_3repE0EEENS1_30default_config_static_selectorELNS0_4arch9wavefront6targetE0EEEvT1_,comdat
.Lfunc_end448:
	.size	_ZN7rocprim17ROCPRIM_400000_NS6detail17trampoline_kernelINS0_14default_configENS1_27scan_by_key_config_selectorIxxEEZZNS1_16scan_by_key_implILNS1_25lookback_scan_determinismE0ELb1ES3_N6thrust23THRUST_200600_302600_NS6detail15normal_iteratorINS9_10device_ptrIxEEEESE_SE_xNS9_4plusIvEENS9_8equal_toIxEExEE10hipError_tPvRmT2_T3_T4_T5_mT6_T7_P12ihipStream_tbENKUlT_T0_E_clISt17integral_constantIbLb1EESY_IbLb0EEEEDaSU_SV_EUlSU_E_NS1_11comp_targetILNS1_3genE2ELNS1_11target_archE906ELNS1_3gpuE6ELNS1_3repE0EEENS1_30default_config_static_selectorELNS0_4arch9wavefront6targetE0EEEvT1_, .Lfunc_end448-_ZN7rocprim17ROCPRIM_400000_NS6detail17trampoline_kernelINS0_14default_configENS1_27scan_by_key_config_selectorIxxEEZZNS1_16scan_by_key_implILNS1_25lookback_scan_determinismE0ELb1ES3_N6thrust23THRUST_200600_302600_NS6detail15normal_iteratorINS9_10device_ptrIxEEEESE_SE_xNS9_4plusIvEENS9_8equal_toIxEExEE10hipError_tPvRmT2_T3_T4_T5_mT6_T7_P12ihipStream_tbENKUlT_T0_E_clISt17integral_constantIbLb1EESY_IbLb0EEEEDaSU_SV_EUlSU_E_NS1_11comp_targetILNS1_3genE2ELNS1_11target_archE906ELNS1_3gpuE6ELNS1_3repE0EEENS1_30default_config_static_selectorELNS0_4arch9wavefront6targetE0EEEvT1_
                                        ; -- End function
	.set _ZN7rocprim17ROCPRIM_400000_NS6detail17trampoline_kernelINS0_14default_configENS1_27scan_by_key_config_selectorIxxEEZZNS1_16scan_by_key_implILNS1_25lookback_scan_determinismE0ELb1ES3_N6thrust23THRUST_200600_302600_NS6detail15normal_iteratorINS9_10device_ptrIxEEEESE_SE_xNS9_4plusIvEENS9_8equal_toIxEExEE10hipError_tPvRmT2_T3_T4_T5_mT6_T7_P12ihipStream_tbENKUlT_T0_E_clISt17integral_constantIbLb1EESY_IbLb0EEEEDaSU_SV_EUlSU_E_NS1_11comp_targetILNS1_3genE2ELNS1_11target_archE906ELNS1_3gpuE6ELNS1_3repE0EEENS1_30default_config_static_selectorELNS0_4arch9wavefront6targetE0EEEvT1_.num_vgpr, 0
	.set _ZN7rocprim17ROCPRIM_400000_NS6detail17trampoline_kernelINS0_14default_configENS1_27scan_by_key_config_selectorIxxEEZZNS1_16scan_by_key_implILNS1_25lookback_scan_determinismE0ELb1ES3_N6thrust23THRUST_200600_302600_NS6detail15normal_iteratorINS9_10device_ptrIxEEEESE_SE_xNS9_4plusIvEENS9_8equal_toIxEExEE10hipError_tPvRmT2_T3_T4_T5_mT6_T7_P12ihipStream_tbENKUlT_T0_E_clISt17integral_constantIbLb1EESY_IbLb0EEEEDaSU_SV_EUlSU_E_NS1_11comp_targetILNS1_3genE2ELNS1_11target_archE906ELNS1_3gpuE6ELNS1_3repE0EEENS1_30default_config_static_selectorELNS0_4arch9wavefront6targetE0EEEvT1_.num_agpr, 0
	.set _ZN7rocprim17ROCPRIM_400000_NS6detail17trampoline_kernelINS0_14default_configENS1_27scan_by_key_config_selectorIxxEEZZNS1_16scan_by_key_implILNS1_25lookback_scan_determinismE0ELb1ES3_N6thrust23THRUST_200600_302600_NS6detail15normal_iteratorINS9_10device_ptrIxEEEESE_SE_xNS9_4plusIvEENS9_8equal_toIxEExEE10hipError_tPvRmT2_T3_T4_T5_mT6_T7_P12ihipStream_tbENKUlT_T0_E_clISt17integral_constantIbLb1EESY_IbLb0EEEEDaSU_SV_EUlSU_E_NS1_11comp_targetILNS1_3genE2ELNS1_11target_archE906ELNS1_3gpuE6ELNS1_3repE0EEENS1_30default_config_static_selectorELNS0_4arch9wavefront6targetE0EEEvT1_.numbered_sgpr, 0
	.set _ZN7rocprim17ROCPRIM_400000_NS6detail17trampoline_kernelINS0_14default_configENS1_27scan_by_key_config_selectorIxxEEZZNS1_16scan_by_key_implILNS1_25lookback_scan_determinismE0ELb1ES3_N6thrust23THRUST_200600_302600_NS6detail15normal_iteratorINS9_10device_ptrIxEEEESE_SE_xNS9_4plusIvEENS9_8equal_toIxEExEE10hipError_tPvRmT2_T3_T4_T5_mT6_T7_P12ihipStream_tbENKUlT_T0_E_clISt17integral_constantIbLb1EESY_IbLb0EEEEDaSU_SV_EUlSU_E_NS1_11comp_targetILNS1_3genE2ELNS1_11target_archE906ELNS1_3gpuE6ELNS1_3repE0EEENS1_30default_config_static_selectorELNS0_4arch9wavefront6targetE0EEEvT1_.num_named_barrier, 0
	.set _ZN7rocprim17ROCPRIM_400000_NS6detail17trampoline_kernelINS0_14default_configENS1_27scan_by_key_config_selectorIxxEEZZNS1_16scan_by_key_implILNS1_25lookback_scan_determinismE0ELb1ES3_N6thrust23THRUST_200600_302600_NS6detail15normal_iteratorINS9_10device_ptrIxEEEESE_SE_xNS9_4plusIvEENS9_8equal_toIxEExEE10hipError_tPvRmT2_T3_T4_T5_mT6_T7_P12ihipStream_tbENKUlT_T0_E_clISt17integral_constantIbLb1EESY_IbLb0EEEEDaSU_SV_EUlSU_E_NS1_11comp_targetILNS1_3genE2ELNS1_11target_archE906ELNS1_3gpuE6ELNS1_3repE0EEENS1_30default_config_static_selectorELNS0_4arch9wavefront6targetE0EEEvT1_.private_seg_size, 0
	.set _ZN7rocprim17ROCPRIM_400000_NS6detail17trampoline_kernelINS0_14default_configENS1_27scan_by_key_config_selectorIxxEEZZNS1_16scan_by_key_implILNS1_25lookback_scan_determinismE0ELb1ES3_N6thrust23THRUST_200600_302600_NS6detail15normal_iteratorINS9_10device_ptrIxEEEESE_SE_xNS9_4plusIvEENS9_8equal_toIxEExEE10hipError_tPvRmT2_T3_T4_T5_mT6_T7_P12ihipStream_tbENKUlT_T0_E_clISt17integral_constantIbLb1EESY_IbLb0EEEEDaSU_SV_EUlSU_E_NS1_11comp_targetILNS1_3genE2ELNS1_11target_archE906ELNS1_3gpuE6ELNS1_3repE0EEENS1_30default_config_static_selectorELNS0_4arch9wavefront6targetE0EEEvT1_.uses_vcc, 0
	.set _ZN7rocprim17ROCPRIM_400000_NS6detail17trampoline_kernelINS0_14default_configENS1_27scan_by_key_config_selectorIxxEEZZNS1_16scan_by_key_implILNS1_25lookback_scan_determinismE0ELb1ES3_N6thrust23THRUST_200600_302600_NS6detail15normal_iteratorINS9_10device_ptrIxEEEESE_SE_xNS9_4plusIvEENS9_8equal_toIxEExEE10hipError_tPvRmT2_T3_T4_T5_mT6_T7_P12ihipStream_tbENKUlT_T0_E_clISt17integral_constantIbLb1EESY_IbLb0EEEEDaSU_SV_EUlSU_E_NS1_11comp_targetILNS1_3genE2ELNS1_11target_archE906ELNS1_3gpuE6ELNS1_3repE0EEENS1_30default_config_static_selectorELNS0_4arch9wavefront6targetE0EEEvT1_.uses_flat_scratch, 0
	.set _ZN7rocprim17ROCPRIM_400000_NS6detail17trampoline_kernelINS0_14default_configENS1_27scan_by_key_config_selectorIxxEEZZNS1_16scan_by_key_implILNS1_25lookback_scan_determinismE0ELb1ES3_N6thrust23THRUST_200600_302600_NS6detail15normal_iteratorINS9_10device_ptrIxEEEESE_SE_xNS9_4plusIvEENS9_8equal_toIxEExEE10hipError_tPvRmT2_T3_T4_T5_mT6_T7_P12ihipStream_tbENKUlT_T0_E_clISt17integral_constantIbLb1EESY_IbLb0EEEEDaSU_SV_EUlSU_E_NS1_11comp_targetILNS1_3genE2ELNS1_11target_archE906ELNS1_3gpuE6ELNS1_3repE0EEENS1_30default_config_static_selectorELNS0_4arch9wavefront6targetE0EEEvT1_.has_dyn_sized_stack, 0
	.set _ZN7rocprim17ROCPRIM_400000_NS6detail17trampoline_kernelINS0_14default_configENS1_27scan_by_key_config_selectorIxxEEZZNS1_16scan_by_key_implILNS1_25lookback_scan_determinismE0ELb1ES3_N6thrust23THRUST_200600_302600_NS6detail15normal_iteratorINS9_10device_ptrIxEEEESE_SE_xNS9_4plusIvEENS9_8equal_toIxEExEE10hipError_tPvRmT2_T3_T4_T5_mT6_T7_P12ihipStream_tbENKUlT_T0_E_clISt17integral_constantIbLb1EESY_IbLb0EEEEDaSU_SV_EUlSU_E_NS1_11comp_targetILNS1_3genE2ELNS1_11target_archE906ELNS1_3gpuE6ELNS1_3repE0EEENS1_30default_config_static_selectorELNS0_4arch9wavefront6targetE0EEEvT1_.has_recursion, 0
	.set _ZN7rocprim17ROCPRIM_400000_NS6detail17trampoline_kernelINS0_14default_configENS1_27scan_by_key_config_selectorIxxEEZZNS1_16scan_by_key_implILNS1_25lookback_scan_determinismE0ELb1ES3_N6thrust23THRUST_200600_302600_NS6detail15normal_iteratorINS9_10device_ptrIxEEEESE_SE_xNS9_4plusIvEENS9_8equal_toIxEExEE10hipError_tPvRmT2_T3_T4_T5_mT6_T7_P12ihipStream_tbENKUlT_T0_E_clISt17integral_constantIbLb1EESY_IbLb0EEEEDaSU_SV_EUlSU_E_NS1_11comp_targetILNS1_3genE2ELNS1_11target_archE906ELNS1_3gpuE6ELNS1_3repE0EEENS1_30default_config_static_selectorELNS0_4arch9wavefront6targetE0EEEvT1_.has_indirect_call, 0
	.section	.AMDGPU.csdata,"",@progbits
; Kernel info:
; codeLenInByte = 0
; TotalNumSgprs: 0
; NumVgprs: 0
; ScratchSize: 0
; MemoryBound: 0
; FloatMode: 240
; IeeeMode: 1
; LDSByteSize: 0 bytes/workgroup (compile time only)
; SGPRBlocks: 0
; VGPRBlocks: 0
; NumSGPRsForWavesPerEU: 1
; NumVGPRsForWavesPerEU: 1
; Occupancy: 16
; WaveLimiterHint : 0
; COMPUTE_PGM_RSRC2:SCRATCH_EN: 0
; COMPUTE_PGM_RSRC2:USER_SGPR: 6
; COMPUTE_PGM_RSRC2:TRAP_HANDLER: 0
; COMPUTE_PGM_RSRC2:TGID_X_EN: 1
; COMPUTE_PGM_RSRC2:TGID_Y_EN: 0
; COMPUTE_PGM_RSRC2:TGID_Z_EN: 0
; COMPUTE_PGM_RSRC2:TIDIG_COMP_CNT: 0
	.section	.text._ZN7rocprim17ROCPRIM_400000_NS6detail17trampoline_kernelINS0_14default_configENS1_27scan_by_key_config_selectorIxxEEZZNS1_16scan_by_key_implILNS1_25lookback_scan_determinismE0ELb1ES3_N6thrust23THRUST_200600_302600_NS6detail15normal_iteratorINS9_10device_ptrIxEEEESE_SE_xNS9_4plusIvEENS9_8equal_toIxEExEE10hipError_tPvRmT2_T3_T4_T5_mT6_T7_P12ihipStream_tbENKUlT_T0_E_clISt17integral_constantIbLb1EESY_IbLb0EEEEDaSU_SV_EUlSU_E_NS1_11comp_targetILNS1_3genE10ELNS1_11target_archE1200ELNS1_3gpuE4ELNS1_3repE0EEENS1_30default_config_static_selectorELNS0_4arch9wavefront6targetE0EEEvT1_,"axG",@progbits,_ZN7rocprim17ROCPRIM_400000_NS6detail17trampoline_kernelINS0_14default_configENS1_27scan_by_key_config_selectorIxxEEZZNS1_16scan_by_key_implILNS1_25lookback_scan_determinismE0ELb1ES3_N6thrust23THRUST_200600_302600_NS6detail15normal_iteratorINS9_10device_ptrIxEEEESE_SE_xNS9_4plusIvEENS9_8equal_toIxEExEE10hipError_tPvRmT2_T3_T4_T5_mT6_T7_P12ihipStream_tbENKUlT_T0_E_clISt17integral_constantIbLb1EESY_IbLb0EEEEDaSU_SV_EUlSU_E_NS1_11comp_targetILNS1_3genE10ELNS1_11target_archE1200ELNS1_3gpuE4ELNS1_3repE0EEENS1_30default_config_static_selectorELNS0_4arch9wavefront6targetE0EEEvT1_,comdat
	.protected	_ZN7rocprim17ROCPRIM_400000_NS6detail17trampoline_kernelINS0_14default_configENS1_27scan_by_key_config_selectorIxxEEZZNS1_16scan_by_key_implILNS1_25lookback_scan_determinismE0ELb1ES3_N6thrust23THRUST_200600_302600_NS6detail15normal_iteratorINS9_10device_ptrIxEEEESE_SE_xNS9_4plusIvEENS9_8equal_toIxEExEE10hipError_tPvRmT2_T3_T4_T5_mT6_T7_P12ihipStream_tbENKUlT_T0_E_clISt17integral_constantIbLb1EESY_IbLb0EEEEDaSU_SV_EUlSU_E_NS1_11comp_targetILNS1_3genE10ELNS1_11target_archE1200ELNS1_3gpuE4ELNS1_3repE0EEENS1_30default_config_static_selectorELNS0_4arch9wavefront6targetE0EEEvT1_ ; -- Begin function _ZN7rocprim17ROCPRIM_400000_NS6detail17trampoline_kernelINS0_14default_configENS1_27scan_by_key_config_selectorIxxEEZZNS1_16scan_by_key_implILNS1_25lookback_scan_determinismE0ELb1ES3_N6thrust23THRUST_200600_302600_NS6detail15normal_iteratorINS9_10device_ptrIxEEEESE_SE_xNS9_4plusIvEENS9_8equal_toIxEExEE10hipError_tPvRmT2_T3_T4_T5_mT6_T7_P12ihipStream_tbENKUlT_T0_E_clISt17integral_constantIbLb1EESY_IbLb0EEEEDaSU_SV_EUlSU_E_NS1_11comp_targetILNS1_3genE10ELNS1_11target_archE1200ELNS1_3gpuE4ELNS1_3repE0EEENS1_30default_config_static_selectorELNS0_4arch9wavefront6targetE0EEEvT1_
	.globl	_ZN7rocprim17ROCPRIM_400000_NS6detail17trampoline_kernelINS0_14default_configENS1_27scan_by_key_config_selectorIxxEEZZNS1_16scan_by_key_implILNS1_25lookback_scan_determinismE0ELb1ES3_N6thrust23THRUST_200600_302600_NS6detail15normal_iteratorINS9_10device_ptrIxEEEESE_SE_xNS9_4plusIvEENS9_8equal_toIxEExEE10hipError_tPvRmT2_T3_T4_T5_mT6_T7_P12ihipStream_tbENKUlT_T0_E_clISt17integral_constantIbLb1EESY_IbLb0EEEEDaSU_SV_EUlSU_E_NS1_11comp_targetILNS1_3genE10ELNS1_11target_archE1200ELNS1_3gpuE4ELNS1_3repE0EEENS1_30default_config_static_selectorELNS0_4arch9wavefront6targetE0EEEvT1_
	.p2align	8
	.type	_ZN7rocprim17ROCPRIM_400000_NS6detail17trampoline_kernelINS0_14default_configENS1_27scan_by_key_config_selectorIxxEEZZNS1_16scan_by_key_implILNS1_25lookback_scan_determinismE0ELb1ES3_N6thrust23THRUST_200600_302600_NS6detail15normal_iteratorINS9_10device_ptrIxEEEESE_SE_xNS9_4plusIvEENS9_8equal_toIxEExEE10hipError_tPvRmT2_T3_T4_T5_mT6_T7_P12ihipStream_tbENKUlT_T0_E_clISt17integral_constantIbLb1EESY_IbLb0EEEEDaSU_SV_EUlSU_E_NS1_11comp_targetILNS1_3genE10ELNS1_11target_archE1200ELNS1_3gpuE4ELNS1_3repE0EEENS1_30default_config_static_selectorELNS0_4arch9wavefront6targetE0EEEvT1_,@function
_ZN7rocprim17ROCPRIM_400000_NS6detail17trampoline_kernelINS0_14default_configENS1_27scan_by_key_config_selectorIxxEEZZNS1_16scan_by_key_implILNS1_25lookback_scan_determinismE0ELb1ES3_N6thrust23THRUST_200600_302600_NS6detail15normal_iteratorINS9_10device_ptrIxEEEESE_SE_xNS9_4plusIvEENS9_8equal_toIxEExEE10hipError_tPvRmT2_T3_T4_T5_mT6_T7_P12ihipStream_tbENKUlT_T0_E_clISt17integral_constantIbLb1EESY_IbLb0EEEEDaSU_SV_EUlSU_E_NS1_11comp_targetILNS1_3genE10ELNS1_11target_archE1200ELNS1_3gpuE4ELNS1_3repE0EEENS1_30default_config_static_selectorELNS0_4arch9wavefront6targetE0EEEvT1_: ; @_ZN7rocprim17ROCPRIM_400000_NS6detail17trampoline_kernelINS0_14default_configENS1_27scan_by_key_config_selectorIxxEEZZNS1_16scan_by_key_implILNS1_25lookback_scan_determinismE0ELb1ES3_N6thrust23THRUST_200600_302600_NS6detail15normal_iteratorINS9_10device_ptrIxEEEESE_SE_xNS9_4plusIvEENS9_8equal_toIxEExEE10hipError_tPvRmT2_T3_T4_T5_mT6_T7_P12ihipStream_tbENKUlT_T0_E_clISt17integral_constantIbLb1EESY_IbLb0EEEEDaSU_SV_EUlSU_E_NS1_11comp_targetILNS1_3genE10ELNS1_11target_archE1200ELNS1_3gpuE4ELNS1_3repE0EEENS1_30default_config_static_selectorELNS0_4arch9wavefront6targetE0EEEvT1_
; %bb.0:
	.section	.rodata,"a",@progbits
	.p2align	6, 0x0
	.amdhsa_kernel _ZN7rocprim17ROCPRIM_400000_NS6detail17trampoline_kernelINS0_14default_configENS1_27scan_by_key_config_selectorIxxEEZZNS1_16scan_by_key_implILNS1_25lookback_scan_determinismE0ELb1ES3_N6thrust23THRUST_200600_302600_NS6detail15normal_iteratorINS9_10device_ptrIxEEEESE_SE_xNS9_4plusIvEENS9_8equal_toIxEExEE10hipError_tPvRmT2_T3_T4_T5_mT6_T7_P12ihipStream_tbENKUlT_T0_E_clISt17integral_constantIbLb1EESY_IbLb0EEEEDaSU_SV_EUlSU_E_NS1_11comp_targetILNS1_3genE10ELNS1_11target_archE1200ELNS1_3gpuE4ELNS1_3repE0EEENS1_30default_config_static_selectorELNS0_4arch9wavefront6targetE0EEEvT1_
		.amdhsa_group_segment_fixed_size 0
		.amdhsa_private_segment_fixed_size 0
		.amdhsa_kernarg_size 136
		.amdhsa_user_sgpr_count 6
		.amdhsa_user_sgpr_private_segment_buffer 1
		.amdhsa_user_sgpr_dispatch_ptr 0
		.amdhsa_user_sgpr_queue_ptr 0
		.amdhsa_user_sgpr_kernarg_segment_ptr 1
		.amdhsa_user_sgpr_dispatch_id 0
		.amdhsa_user_sgpr_flat_scratch_init 0
		.amdhsa_user_sgpr_private_segment_size 0
		.amdhsa_wavefront_size32 1
		.amdhsa_uses_dynamic_stack 0
		.amdhsa_system_sgpr_private_segment_wavefront_offset 0
		.amdhsa_system_sgpr_workgroup_id_x 1
		.amdhsa_system_sgpr_workgroup_id_y 0
		.amdhsa_system_sgpr_workgroup_id_z 0
		.amdhsa_system_sgpr_workgroup_info 0
		.amdhsa_system_vgpr_workitem_id 0
		.amdhsa_next_free_vgpr 1
		.amdhsa_next_free_sgpr 1
		.amdhsa_reserve_vcc 0
		.amdhsa_reserve_flat_scratch 0
		.amdhsa_float_round_mode_32 0
		.amdhsa_float_round_mode_16_64 0
		.amdhsa_float_denorm_mode_32 3
		.amdhsa_float_denorm_mode_16_64 3
		.amdhsa_dx10_clamp 1
		.amdhsa_ieee_mode 1
		.amdhsa_fp16_overflow 0
		.amdhsa_workgroup_processor_mode 1
		.amdhsa_memory_ordered 1
		.amdhsa_forward_progress 1
		.amdhsa_shared_vgpr_count 0
		.amdhsa_exception_fp_ieee_invalid_op 0
		.amdhsa_exception_fp_denorm_src 0
		.amdhsa_exception_fp_ieee_div_zero 0
		.amdhsa_exception_fp_ieee_overflow 0
		.amdhsa_exception_fp_ieee_underflow 0
		.amdhsa_exception_fp_ieee_inexact 0
		.amdhsa_exception_int_div_zero 0
	.end_amdhsa_kernel
	.section	.text._ZN7rocprim17ROCPRIM_400000_NS6detail17trampoline_kernelINS0_14default_configENS1_27scan_by_key_config_selectorIxxEEZZNS1_16scan_by_key_implILNS1_25lookback_scan_determinismE0ELb1ES3_N6thrust23THRUST_200600_302600_NS6detail15normal_iteratorINS9_10device_ptrIxEEEESE_SE_xNS9_4plusIvEENS9_8equal_toIxEExEE10hipError_tPvRmT2_T3_T4_T5_mT6_T7_P12ihipStream_tbENKUlT_T0_E_clISt17integral_constantIbLb1EESY_IbLb0EEEEDaSU_SV_EUlSU_E_NS1_11comp_targetILNS1_3genE10ELNS1_11target_archE1200ELNS1_3gpuE4ELNS1_3repE0EEENS1_30default_config_static_selectorELNS0_4arch9wavefront6targetE0EEEvT1_,"axG",@progbits,_ZN7rocprim17ROCPRIM_400000_NS6detail17trampoline_kernelINS0_14default_configENS1_27scan_by_key_config_selectorIxxEEZZNS1_16scan_by_key_implILNS1_25lookback_scan_determinismE0ELb1ES3_N6thrust23THRUST_200600_302600_NS6detail15normal_iteratorINS9_10device_ptrIxEEEESE_SE_xNS9_4plusIvEENS9_8equal_toIxEExEE10hipError_tPvRmT2_T3_T4_T5_mT6_T7_P12ihipStream_tbENKUlT_T0_E_clISt17integral_constantIbLb1EESY_IbLb0EEEEDaSU_SV_EUlSU_E_NS1_11comp_targetILNS1_3genE10ELNS1_11target_archE1200ELNS1_3gpuE4ELNS1_3repE0EEENS1_30default_config_static_selectorELNS0_4arch9wavefront6targetE0EEEvT1_,comdat
.Lfunc_end449:
	.size	_ZN7rocprim17ROCPRIM_400000_NS6detail17trampoline_kernelINS0_14default_configENS1_27scan_by_key_config_selectorIxxEEZZNS1_16scan_by_key_implILNS1_25lookback_scan_determinismE0ELb1ES3_N6thrust23THRUST_200600_302600_NS6detail15normal_iteratorINS9_10device_ptrIxEEEESE_SE_xNS9_4plusIvEENS9_8equal_toIxEExEE10hipError_tPvRmT2_T3_T4_T5_mT6_T7_P12ihipStream_tbENKUlT_T0_E_clISt17integral_constantIbLb1EESY_IbLb0EEEEDaSU_SV_EUlSU_E_NS1_11comp_targetILNS1_3genE10ELNS1_11target_archE1200ELNS1_3gpuE4ELNS1_3repE0EEENS1_30default_config_static_selectorELNS0_4arch9wavefront6targetE0EEEvT1_, .Lfunc_end449-_ZN7rocprim17ROCPRIM_400000_NS6detail17trampoline_kernelINS0_14default_configENS1_27scan_by_key_config_selectorIxxEEZZNS1_16scan_by_key_implILNS1_25lookback_scan_determinismE0ELb1ES3_N6thrust23THRUST_200600_302600_NS6detail15normal_iteratorINS9_10device_ptrIxEEEESE_SE_xNS9_4plusIvEENS9_8equal_toIxEExEE10hipError_tPvRmT2_T3_T4_T5_mT6_T7_P12ihipStream_tbENKUlT_T0_E_clISt17integral_constantIbLb1EESY_IbLb0EEEEDaSU_SV_EUlSU_E_NS1_11comp_targetILNS1_3genE10ELNS1_11target_archE1200ELNS1_3gpuE4ELNS1_3repE0EEENS1_30default_config_static_selectorELNS0_4arch9wavefront6targetE0EEEvT1_
                                        ; -- End function
	.set _ZN7rocprim17ROCPRIM_400000_NS6detail17trampoline_kernelINS0_14default_configENS1_27scan_by_key_config_selectorIxxEEZZNS1_16scan_by_key_implILNS1_25lookback_scan_determinismE0ELb1ES3_N6thrust23THRUST_200600_302600_NS6detail15normal_iteratorINS9_10device_ptrIxEEEESE_SE_xNS9_4plusIvEENS9_8equal_toIxEExEE10hipError_tPvRmT2_T3_T4_T5_mT6_T7_P12ihipStream_tbENKUlT_T0_E_clISt17integral_constantIbLb1EESY_IbLb0EEEEDaSU_SV_EUlSU_E_NS1_11comp_targetILNS1_3genE10ELNS1_11target_archE1200ELNS1_3gpuE4ELNS1_3repE0EEENS1_30default_config_static_selectorELNS0_4arch9wavefront6targetE0EEEvT1_.num_vgpr, 0
	.set _ZN7rocprim17ROCPRIM_400000_NS6detail17trampoline_kernelINS0_14default_configENS1_27scan_by_key_config_selectorIxxEEZZNS1_16scan_by_key_implILNS1_25lookback_scan_determinismE0ELb1ES3_N6thrust23THRUST_200600_302600_NS6detail15normal_iteratorINS9_10device_ptrIxEEEESE_SE_xNS9_4plusIvEENS9_8equal_toIxEExEE10hipError_tPvRmT2_T3_T4_T5_mT6_T7_P12ihipStream_tbENKUlT_T0_E_clISt17integral_constantIbLb1EESY_IbLb0EEEEDaSU_SV_EUlSU_E_NS1_11comp_targetILNS1_3genE10ELNS1_11target_archE1200ELNS1_3gpuE4ELNS1_3repE0EEENS1_30default_config_static_selectorELNS0_4arch9wavefront6targetE0EEEvT1_.num_agpr, 0
	.set _ZN7rocprim17ROCPRIM_400000_NS6detail17trampoline_kernelINS0_14default_configENS1_27scan_by_key_config_selectorIxxEEZZNS1_16scan_by_key_implILNS1_25lookback_scan_determinismE0ELb1ES3_N6thrust23THRUST_200600_302600_NS6detail15normal_iteratorINS9_10device_ptrIxEEEESE_SE_xNS9_4plusIvEENS9_8equal_toIxEExEE10hipError_tPvRmT2_T3_T4_T5_mT6_T7_P12ihipStream_tbENKUlT_T0_E_clISt17integral_constantIbLb1EESY_IbLb0EEEEDaSU_SV_EUlSU_E_NS1_11comp_targetILNS1_3genE10ELNS1_11target_archE1200ELNS1_3gpuE4ELNS1_3repE0EEENS1_30default_config_static_selectorELNS0_4arch9wavefront6targetE0EEEvT1_.numbered_sgpr, 0
	.set _ZN7rocprim17ROCPRIM_400000_NS6detail17trampoline_kernelINS0_14default_configENS1_27scan_by_key_config_selectorIxxEEZZNS1_16scan_by_key_implILNS1_25lookback_scan_determinismE0ELb1ES3_N6thrust23THRUST_200600_302600_NS6detail15normal_iteratorINS9_10device_ptrIxEEEESE_SE_xNS9_4plusIvEENS9_8equal_toIxEExEE10hipError_tPvRmT2_T3_T4_T5_mT6_T7_P12ihipStream_tbENKUlT_T0_E_clISt17integral_constantIbLb1EESY_IbLb0EEEEDaSU_SV_EUlSU_E_NS1_11comp_targetILNS1_3genE10ELNS1_11target_archE1200ELNS1_3gpuE4ELNS1_3repE0EEENS1_30default_config_static_selectorELNS0_4arch9wavefront6targetE0EEEvT1_.num_named_barrier, 0
	.set _ZN7rocprim17ROCPRIM_400000_NS6detail17trampoline_kernelINS0_14default_configENS1_27scan_by_key_config_selectorIxxEEZZNS1_16scan_by_key_implILNS1_25lookback_scan_determinismE0ELb1ES3_N6thrust23THRUST_200600_302600_NS6detail15normal_iteratorINS9_10device_ptrIxEEEESE_SE_xNS9_4plusIvEENS9_8equal_toIxEExEE10hipError_tPvRmT2_T3_T4_T5_mT6_T7_P12ihipStream_tbENKUlT_T0_E_clISt17integral_constantIbLb1EESY_IbLb0EEEEDaSU_SV_EUlSU_E_NS1_11comp_targetILNS1_3genE10ELNS1_11target_archE1200ELNS1_3gpuE4ELNS1_3repE0EEENS1_30default_config_static_selectorELNS0_4arch9wavefront6targetE0EEEvT1_.private_seg_size, 0
	.set _ZN7rocprim17ROCPRIM_400000_NS6detail17trampoline_kernelINS0_14default_configENS1_27scan_by_key_config_selectorIxxEEZZNS1_16scan_by_key_implILNS1_25lookback_scan_determinismE0ELb1ES3_N6thrust23THRUST_200600_302600_NS6detail15normal_iteratorINS9_10device_ptrIxEEEESE_SE_xNS9_4plusIvEENS9_8equal_toIxEExEE10hipError_tPvRmT2_T3_T4_T5_mT6_T7_P12ihipStream_tbENKUlT_T0_E_clISt17integral_constantIbLb1EESY_IbLb0EEEEDaSU_SV_EUlSU_E_NS1_11comp_targetILNS1_3genE10ELNS1_11target_archE1200ELNS1_3gpuE4ELNS1_3repE0EEENS1_30default_config_static_selectorELNS0_4arch9wavefront6targetE0EEEvT1_.uses_vcc, 0
	.set _ZN7rocprim17ROCPRIM_400000_NS6detail17trampoline_kernelINS0_14default_configENS1_27scan_by_key_config_selectorIxxEEZZNS1_16scan_by_key_implILNS1_25lookback_scan_determinismE0ELb1ES3_N6thrust23THRUST_200600_302600_NS6detail15normal_iteratorINS9_10device_ptrIxEEEESE_SE_xNS9_4plusIvEENS9_8equal_toIxEExEE10hipError_tPvRmT2_T3_T4_T5_mT6_T7_P12ihipStream_tbENKUlT_T0_E_clISt17integral_constantIbLb1EESY_IbLb0EEEEDaSU_SV_EUlSU_E_NS1_11comp_targetILNS1_3genE10ELNS1_11target_archE1200ELNS1_3gpuE4ELNS1_3repE0EEENS1_30default_config_static_selectorELNS0_4arch9wavefront6targetE0EEEvT1_.uses_flat_scratch, 0
	.set _ZN7rocprim17ROCPRIM_400000_NS6detail17trampoline_kernelINS0_14default_configENS1_27scan_by_key_config_selectorIxxEEZZNS1_16scan_by_key_implILNS1_25lookback_scan_determinismE0ELb1ES3_N6thrust23THRUST_200600_302600_NS6detail15normal_iteratorINS9_10device_ptrIxEEEESE_SE_xNS9_4plusIvEENS9_8equal_toIxEExEE10hipError_tPvRmT2_T3_T4_T5_mT6_T7_P12ihipStream_tbENKUlT_T0_E_clISt17integral_constantIbLb1EESY_IbLb0EEEEDaSU_SV_EUlSU_E_NS1_11comp_targetILNS1_3genE10ELNS1_11target_archE1200ELNS1_3gpuE4ELNS1_3repE0EEENS1_30default_config_static_selectorELNS0_4arch9wavefront6targetE0EEEvT1_.has_dyn_sized_stack, 0
	.set _ZN7rocprim17ROCPRIM_400000_NS6detail17trampoline_kernelINS0_14default_configENS1_27scan_by_key_config_selectorIxxEEZZNS1_16scan_by_key_implILNS1_25lookback_scan_determinismE0ELb1ES3_N6thrust23THRUST_200600_302600_NS6detail15normal_iteratorINS9_10device_ptrIxEEEESE_SE_xNS9_4plusIvEENS9_8equal_toIxEExEE10hipError_tPvRmT2_T3_T4_T5_mT6_T7_P12ihipStream_tbENKUlT_T0_E_clISt17integral_constantIbLb1EESY_IbLb0EEEEDaSU_SV_EUlSU_E_NS1_11comp_targetILNS1_3genE10ELNS1_11target_archE1200ELNS1_3gpuE4ELNS1_3repE0EEENS1_30default_config_static_selectorELNS0_4arch9wavefront6targetE0EEEvT1_.has_recursion, 0
	.set _ZN7rocprim17ROCPRIM_400000_NS6detail17trampoline_kernelINS0_14default_configENS1_27scan_by_key_config_selectorIxxEEZZNS1_16scan_by_key_implILNS1_25lookback_scan_determinismE0ELb1ES3_N6thrust23THRUST_200600_302600_NS6detail15normal_iteratorINS9_10device_ptrIxEEEESE_SE_xNS9_4plusIvEENS9_8equal_toIxEExEE10hipError_tPvRmT2_T3_T4_T5_mT6_T7_P12ihipStream_tbENKUlT_T0_E_clISt17integral_constantIbLb1EESY_IbLb0EEEEDaSU_SV_EUlSU_E_NS1_11comp_targetILNS1_3genE10ELNS1_11target_archE1200ELNS1_3gpuE4ELNS1_3repE0EEENS1_30default_config_static_selectorELNS0_4arch9wavefront6targetE0EEEvT1_.has_indirect_call, 0
	.section	.AMDGPU.csdata,"",@progbits
; Kernel info:
; codeLenInByte = 0
; TotalNumSgprs: 0
; NumVgprs: 0
; ScratchSize: 0
; MemoryBound: 0
; FloatMode: 240
; IeeeMode: 1
; LDSByteSize: 0 bytes/workgroup (compile time only)
; SGPRBlocks: 0
; VGPRBlocks: 0
; NumSGPRsForWavesPerEU: 1
; NumVGPRsForWavesPerEU: 1
; Occupancy: 16
; WaveLimiterHint : 0
; COMPUTE_PGM_RSRC2:SCRATCH_EN: 0
; COMPUTE_PGM_RSRC2:USER_SGPR: 6
; COMPUTE_PGM_RSRC2:TRAP_HANDLER: 0
; COMPUTE_PGM_RSRC2:TGID_X_EN: 1
; COMPUTE_PGM_RSRC2:TGID_Y_EN: 0
; COMPUTE_PGM_RSRC2:TGID_Z_EN: 0
; COMPUTE_PGM_RSRC2:TIDIG_COMP_CNT: 0
	.section	.text._ZN7rocprim17ROCPRIM_400000_NS6detail17trampoline_kernelINS0_14default_configENS1_27scan_by_key_config_selectorIxxEEZZNS1_16scan_by_key_implILNS1_25lookback_scan_determinismE0ELb1ES3_N6thrust23THRUST_200600_302600_NS6detail15normal_iteratorINS9_10device_ptrIxEEEESE_SE_xNS9_4plusIvEENS9_8equal_toIxEExEE10hipError_tPvRmT2_T3_T4_T5_mT6_T7_P12ihipStream_tbENKUlT_T0_E_clISt17integral_constantIbLb1EESY_IbLb0EEEEDaSU_SV_EUlSU_E_NS1_11comp_targetILNS1_3genE9ELNS1_11target_archE1100ELNS1_3gpuE3ELNS1_3repE0EEENS1_30default_config_static_selectorELNS0_4arch9wavefront6targetE0EEEvT1_,"axG",@progbits,_ZN7rocprim17ROCPRIM_400000_NS6detail17trampoline_kernelINS0_14default_configENS1_27scan_by_key_config_selectorIxxEEZZNS1_16scan_by_key_implILNS1_25lookback_scan_determinismE0ELb1ES3_N6thrust23THRUST_200600_302600_NS6detail15normal_iteratorINS9_10device_ptrIxEEEESE_SE_xNS9_4plusIvEENS9_8equal_toIxEExEE10hipError_tPvRmT2_T3_T4_T5_mT6_T7_P12ihipStream_tbENKUlT_T0_E_clISt17integral_constantIbLb1EESY_IbLb0EEEEDaSU_SV_EUlSU_E_NS1_11comp_targetILNS1_3genE9ELNS1_11target_archE1100ELNS1_3gpuE3ELNS1_3repE0EEENS1_30default_config_static_selectorELNS0_4arch9wavefront6targetE0EEEvT1_,comdat
	.protected	_ZN7rocprim17ROCPRIM_400000_NS6detail17trampoline_kernelINS0_14default_configENS1_27scan_by_key_config_selectorIxxEEZZNS1_16scan_by_key_implILNS1_25lookback_scan_determinismE0ELb1ES3_N6thrust23THRUST_200600_302600_NS6detail15normal_iteratorINS9_10device_ptrIxEEEESE_SE_xNS9_4plusIvEENS9_8equal_toIxEExEE10hipError_tPvRmT2_T3_T4_T5_mT6_T7_P12ihipStream_tbENKUlT_T0_E_clISt17integral_constantIbLb1EESY_IbLb0EEEEDaSU_SV_EUlSU_E_NS1_11comp_targetILNS1_3genE9ELNS1_11target_archE1100ELNS1_3gpuE3ELNS1_3repE0EEENS1_30default_config_static_selectorELNS0_4arch9wavefront6targetE0EEEvT1_ ; -- Begin function _ZN7rocprim17ROCPRIM_400000_NS6detail17trampoline_kernelINS0_14default_configENS1_27scan_by_key_config_selectorIxxEEZZNS1_16scan_by_key_implILNS1_25lookback_scan_determinismE0ELb1ES3_N6thrust23THRUST_200600_302600_NS6detail15normal_iteratorINS9_10device_ptrIxEEEESE_SE_xNS9_4plusIvEENS9_8equal_toIxEExEE10hipError_tPvRmT2_T3_T4_T5_mT6_T7_P12ihipStream_tbENKUlT_T0_E_clISt17integral_constantIbLb1EESY_IbLb0EEEEDaSU_SV_EUlSU_E_NS1_11comp_targetILNS1_3genE9ELNS1_11target_archE1100ELNS1_3gpuE3ELNS1_3repE0EEENS1_30default_config_static_selectorELNS0_4arch9wavefront6targetE0EEEvT1_
	.globl	_ZN7rocprim17ROCPRIM_400000_NS6detail17trampoline_kernelINS0_14default_configENS1_27scan_by_key_config_selectorIxxEEZZNS1_16scan_by_key_implILNS1_25lookback_scan_determinismE0ELb1ES3_N6thrust23THRUST_200600_302600_NS6detail15normal_iteratorINS9_10device_ptrIxEEEESE_SE_xNS9_4plusIvEENS9_8equal_toIxEExEE10hipError_tPvRmT2_T3_T4_T5_mT6_T7_P12ihipStream_tbENKUlT_T0_E_clISt17integral_constantIbLb1EESY_IbLb0EEEEDaSU_SV_EUlSU_E_NS1_11comp_targetILNS1_3genE9ELNS1_11target_archE1100ELNS1_3gpuE3ELNS1_3repE0EEENS1_30default_config_static_selectorELNS0_4arch9wavefront6targetE0EEEvT1_
	.p2align	8
	.type	_ZN7rocprim17ROCPRIM_400000_NS6detail17trampoline_kernelINS0_14default_configENS1_27scan_by_key_config_selectorIxxEEZZNS1_16scan_by_key_implILNS1_25lookback_scan_determinismE0ELb1ES3_N6thrust23THRUST_200600_302600_NS6detail15normal_iteratorINS9_10device_ptrIxEEEESE_SE_xNS9_4plusIvEENS9_8equal_toIxEExEE10hipError_tPvRmT2_T3_T4_T5_mT6_T7_P12ihipStream_tbENKUlT_T0_E_clISt17integral_constantIbLb1EESY_IbLb0EEEEDaSU_SV_EUlSU_E_NS1_11comp_targetILNS1_3genE9ELNS1_11target_archE1100ELNS1_3gpuE3ELNS1_3repE0EEENS1_30default_config_static_selectorELNS0_4arch9wavefront6targetE0EEEvT1_,@function
_ZN7rocprim17ROCPRIM_400000_NS6detail17trampoline_kernelINS0_14default_configENS1_27scan_by_key_config_selectorIxxEEZZNS1_16scan_by_key_implILNS1_25lookback_scan_determinismE0ELb1ES3_N6thrust23THRUST_200600_302600_NS6detail15normal_iteratorINS9_10device_ptrIxEEEESE_SE_xNS9_4plusIvEENS9_8equal_toIxEExEE10hipError_tPvRmT2_T3_T4_T5_mT6_T7_P12ihipStream_tbENKUlT_T0_E_clISt17integral_constantIbLb1EESY_IbLb0EEEEDaSU_SV_EUlSU_E_NS1_11comp_targetILNS1_3genE9ELNS1_11target_archE1100ELNS1_3gpuE3ELNS1_3repE0EEENS1_30default_config_static_selectorELNS0_4arch9wavefront6targetE0EEEvT1_: ; @_ZN7rocprim17ROCPRIM_400000_NS6detail17trampoline_kernelINS0_14default_configENS1_27scan_by_key_config_selectorIxxEEZZNS1_16scan_by_key_implILNS1_25lookback_scan_determinismE0ELb1ES3_N6thrust23THRUST_200600_302600_NS6detail15normal_iteratorINS9_10device_ptrIxEEEESE_SE_xNS9_4plusIvEENS9_8equal_toIxEExEE10hipError_tPvRmT2_T3_T4_T5_mT6_T7_P12ihipStream_tbENKUlT_T0_E_clISt17integral_constantIbLb1EESY_IbLb0EEEEDaSU_SV_EUlSU_E_NS1_11comp_targetILNS1_3genE9ELNS1_11target_archE1100ELNS1_3gpuE3ELNS1_3repE0EEENS1_30default_config_static_selectorELNS0_4arch9wavefront6targetE0EEEvT1_
; %bb.0:
	.section	.rodata,"a",@progbits
	.p2align	6, 0x0
	.amdhsa_kernel _ZN7rocprim17ROCPRIM_400000_NS6detail17trampoline_kernelINS0_14default_configENS1_27scan_by_key_config_selectorIxxEEZZNS1_16scan_by_key_implILNS1_25lookback_scan_determinismE0ELb1ES3_N6thrust23THRUST_200600_302600_NS6detail15normal_iteratorINS9_10device_ptrIxEEEESE_SE_xNS9_4plusIvEENS9_8equal_toIxEExEE10hipError_tPvRmT2_T3_T4_T5_mT6_T7_P12ihipStream_tbENKUlT_T0_E_clISt17integral_constantIbLb1EESY_IbLb0EEEEDaSU_SV_EUlSU_E_NS1_11comp_targetILNS1_3genE9ELNS1_11target_archE1100ELNS1_3gpuE3ELNS1_3repE0EEENS1_30default_config_static_selectorELNS0_4arch9wavefront6targetE0EEEvT1_
		.amdhsa_group_segment_fixed_size 0
		.amdhsa_private_segment_fixed_size 0
		.amdhsa_kernarg_size 136
		.amdhsa_user_sgpr_count 6
		.amdhsa_user_sgpr_private_segment_buffer 1
		.amdhsa_user_sgpr_dispatch_ptr 0
		.amdhsa_user_sgpr_queue_ptr 0
		.amdhsa_user_sgpr_kernarg_segment_ptr 1
		.amdhsa_user_sgpr_dispatch_id 0
		.amdhsa_user_sgpr_flat_scratch_init 0
		.amdhsa_user_sgpr_private_segment_size 0
		.amdhsa_wavefront_size32 1
		.amdhsa_uses_dynamic_stack 0
		.amdhsa_system_sgpr_private_segment_wavefront_offset 0
		.amdhsa_system_sgpr_workgroup_id_x 1
		.amdhsa_system_sgpr_workgroup_id_y 0
		.amdhsa_system_sgpr_workgroup_id_z 0
		.amdhsa_system_sgpr_workgroup_info 0
		.amdhsa_system_vgpr_workitem_id 0
		.amdhsa_next_free_vgpr 1
		.amdhsa_next_free_sgpr 1
		.amdhsa_reserve_vcc 0
		.amdhsa_reserve_flat_scratch 0
		.amdhsa_float_round_mode_32 0
		.amdhsa_float_round_mode_16_64 0
		.amdhsa_float_denorm_mode_32 3
		.amdhsa_float_denorm_mode_16_64 3
		.amdhsa_dx10_clamp 1
		.amdhsa_ieee_mode 1
		.amdhsa_fp16_overflow 0
		.amdhsa_workgroup_processor_mode 1
		.amdhsa_memory_ordered 1
		.amdhsa_forward_progress 1
		.amdhsa_shared_vgpr_count 0
		.amdhsa_exception_fp_ieee_invalid_op 0
		.amdhsa_exception_fp_denorm_src 0
		.amdhsa_exception_fp_ieee_div_zero 0
		.amdhsa_exception_fp_ieee_overflow 0
		.amdhsa_exception_fp_ieee_underflow 0
		.amdhsa_exception_fp_ieee_inexact 0
		.amdhsa_exception_int_div_zero 0
	.end_amdhsa_kernel
	.section	.text._ZN7rocprim17ROCPRIM_400000_NS6detail17trampoline_kernelINS0_14default_configENS1_27scan_by_key_config_selectorIxxEEZZNS1_16scan_by_key_implILNS1_25lookback_scan_determinismE0ELb1ES3_N6thrust23THRUST_200600_302600_NS6detail15normal_iteratorINS9_10device_ptrIxEEEESE_SE_xNS9_4plusIvEENS9_8equal_toIxEExEE10hipError_tPvRmT2_T3_T4_T5_mT6_T7_P12ihipStream_tbENKUlT_T0_E_clISt17integral_constantIbLb1EESY_IbLb0EEEEDaSU_SV_EUlSU_E_NS1_11comp_targetILNS1_3genE9ELNS1_11target_archE1100ELNS1_3gpuE3ELNS1_3repE0EEENS1_30default_config_static_selectorELNS0_4arch9wavefront6targetE0EEEvT1_,"axG",@progbits,_ZN7rocprim17ROCPRIM_400000_NS6detail17trampoline_kernelINS0_14default_configENS1_27scan_by_key_config_selectorIxxEEZZNS1_16scan_by_key_implILNS1_25lookback_scan_determinismE0ELb1ES3_N6thrust23THRUST_200600_302600_NS6detail15normal_iteratorINS9_10device_ptrIxEEEESE_SE_xNS9_4plusIvEENS9_8equal_toIxEExEE10hipError_tPvRmT2_T3_T4_T5_mT6_T7_P12ihipStream_tbENKUlT_T0_E_clISt17integral_constantIbLb1EESY_IbLb0EEEEDaSU_SV_EUlSU_E_NS1_11comp_targetILNS1_3genE9ELNS1_11target_archE1100ELNS1_3gpuE3ELNS1_3repE0EEENS1_30default_config_static_selectorELNS0_4arch9wavefront6targetE0EEEvT1_,comdat
.Lfunc_end450:
	.size	_ZN7rocprim17ROCPRIM_400000_NS6detail17trampoline_kernelINS0_14default_configENS1_27scan_by_key_config_selectorIxxEEZZNS1_16scan_by_key_implILNS1_25lookback_scan_determinismE0ELb1ES3_N6thrust23THRUST_200600_302600_NS6detail15normal_iteratorINS9_10device_ptrIxEEEESE_SE_xNS9_4plusIvEENS9_8equal_toIxEExEE10hipError_tPvRmT2_T3_T4_T5_mT6_T7_P12ihipStream_tbENKUlT_T0_E_clISt17integral_constantIbLb1EESY_IbLb0EEEEDaSU_SV_EUlSU_E_NS1_11comp_targetILNS1_3genE9ELNS1_11target_archE1100ELNS1_3gpuE3ELNS1_3repE0EEENS1_30default_config_static_selectorELNS0_4arch9wavefront6targetE0EEEvT1_, .Lfunc_end450-_ZN7rocprim17ROCPRIM_400000_NS6detail17trampoline_kernelINS0_14default_configENS1_27scan_by_key_config_selectorIxxEEZZNS1_16scan_by_key_implILNS1_25lookback_scan_determinismE0ELb1ES3_N6thrust23THRUST_200600_302600_NS6detail15normal_iteratorINS9_10device_ptrIxEEEESE_SE_xNS9_4plusIvEENS9_8equal_toIxEExEE10hipError_tPvRmT2_T3_T4_T5_mT6_T7_P12ihipStream_tbENKUlT_T0_E_clISt17integral_constantIbLb1EESY_IbLb0EEEEDaSU_SV_EUlSU_E_NS1_11comp_targetILNS1_3genE9ELNS1_11target_archE1100ELNS1_3gpuE3ELNS1_3repE0EEENS1_30default_config_static_selectorELNS0_4arch9wavefront6targetE0EEEvT1_
                                        ; -- End function
	.set _ZN7rocprim17ROCPRIM_400000_NS6detail17trampoline_kernelINS0_14default_configENS1_27scan_by_key_config_selectorIxxEEZZNS1_16scan_by_key_implILNS1_25lookback_scan_determinismE0ELb1ES3_N6thrust23THRUST_200600_302600_NS6detail15normal_iteratorINS9_10device_ptrIxEEEESE_SE_xNS9_4plusIvEENS9_8equal_toIxEExEE10hipError_tPvRmT2_T3_T4_T5_mT6_T7_P12ihipStream_tbENKUlT_T0_E_clISt17integral_constantIbLb1EESY_IbLb0EEEEDaSU_SV_EUlSU_E_NS1_11comp_targetILNS1_3genE9ELNS1_11target_archE1100ELNS1_3gpuE3ELNS1_3repE0EEENS1_30default_config_static_selectorELNS0_4arch9wavefront6targetE0EEEvT1_.num_vgpr, 0
	.set _ZN7rocprim17ROCPRIM_400000_NS6detail17trampoline_kernelINS0_14default_configENS1_27scan_by_key_config_selectorIxxEEZZNS1_16scan_by_key_implILNS1_25lookback_scan_determinismE0ELb1ES3_N6thrust23THRUST_200600_302600_NS6detail15normal_iteratorINS9_10device_ptrIxEEEESE_SE_xNS9_4plusIvEENS9_8equal_toIxEExEE10hipError_tPvRmT2_T3_T4_T5_mT6_T7_P12ihipStream_tbENKUlT_T0_E_clISt17integral_constantIbLb1EESY_IbLb0EEEEDaSU_SV_EUlSU_E_NS1_11comp_targetILNS1_3genE9ELNS1_11target_archE1100ELNS1_3gpuE3ELNS1_3repE0EEENS1_30default_config_static_selectorELNS0_4arch9wavefront6targetE0EEEvT1_.num_agpr, 0
	.set _ZN7rocprim17ROCPRIM_400000_NS6detail17trampoline_kernelINS0_14default_configENS1_27scan_by_key_config_selectorIxxEEZZNS1_16scan_by_key_implILNS1_25lookback_scan_determinismE0ELb1ES3_N6thrust23THRUST_200600_302600_NS6detail15normal_iteratorINS9_10device_ptrIxEEEESE_SE_xNS9_4plusIvEENS9_8equal_toIxEExEE10hipError_tPvRmT2_T3_T4_T5_mT6_T7_P12ihipStream_tbENKUlT_T0_E_clISt17integral_constantIbLb1EESY_IbLb0EEEEDaSU_SV_EUlSU_E_NS1_11comp_targetILNS1_3genE9ELNS1_11target_archE1100ELNS1_3gpuE3ELNS1_3repE0EEENS1_30default_config_static_selectorELNS0_4arch9wavefront6targetE0EEEvT1_.numbered_sgpr, 0
	.set _ZN7rocprim17ROCPRIM_400000_NS6detail17trampoline_kernelINS0_14default_configENS1_27scan_by_key_config_selectorIxxEEZZNS1_16scan_by_key_implILNS1_25lookback_scan_determinismE0ELb1ES3_N6thrust23THRUST_200600_302600_NS6detail15normal_iteratorINS9_10device_ptrIxEEEESE_SE_xNS9_4plusIvEENS9_8equal_toIxEExEE10hipError_tPvRmT2_T3_T4_T5_mT6_T7_P12ihipStream_tbENKUlT_T0_E_clISt17integral_constantIbLb1EESY_IbLb0EEEEDaSU_SV_EUlSU_E_NS1_11comp_targetILNS1_3genE9ELNS1_11target_archE1100ELNS1_3gpuE3ELNS1_3repE0EEENS1_30default_config_static_selectorELNS0_4arch9wavefront6targetE0EEEvT1_.num_named_barrier, 0
	.set _ZN7rocprim17ROCPRIM_400000_NS6detail17trampoline_kernelINS0_14default_configENS1_27scan_by_key_config_selectorIxxEEZZNS1_16scan_by_key_implILNS1_25lookback_scan_determinismE0ELb1ES3_N6thrust23THRUST_200600_302600_NS6detail15normal_iteratorINS9_10device_ptrIxEEEESE_SE_xNS9_4plusIvEENS9_8equal_toIxEExEE10hipError_tPvRmT2_T3_T4_T5_mT6_T7_P12ihipStream_tbENKUlT_T0_E_clISt17integral_constantIbLb1EESY_IbLb0EEEEDaSU_SV_EUlSU_E_NS1_11comp_targetILNS1_3genE9ELNS1_11target_archE1100ELNS1_3gpuE3ELNS1_3repE0EEENS1_30default_config_static_selectorELNS0_4arch9wavefront6targetE0EEEvT1_.private_seg_size, 0
	.set _ZN7rocprim17ROCPRIM_400000_NS6detail17trampoline_kernelINS0_14default_configENS1_27scan_by_key_config_selectorIxxEEZZNS1_16scan_by_key_implILNS1_25lookback_scan_determinismE0ELb1ES3_N6thrust23THRUST_200600_302600_NS6detail15normal_iteratorINS9_10device_ptrIxEEEESE_SE_xNS9_4plusIvEENS9_8equal_toIxEExEE10hipError_tPvRmT2_T3_T4_T5_mT6_T7_P12ihipStream_tbENKUlT_T0_E_clISt17integral_constantIbLb1EESY_IbLb0EEEEDaSU_SV_EUlSU_E_NS1_11comp_targetILNS1_3genE9ELNS1_11target_archE1100ELNS1_3gpuE3ELNS1_3repE0EEENS1_30default_config_static_selectorELNS0_4arch9wavefront6targetE0EEEvT1_.uses_vcc, 0
	.set _ZN7rocprim17ROCPRIM_400000_NS6detail17trampoline_kernelINS0_14default_configENS1_27scan_by_key_config_selectorIxxEEZZNS1_16scan_by_key_implILNS1_25lookback_scan_determinismE0ELb1ES3_N6thrust23THRUST_200600_302600_NS6detail15normal_iteratorINS9_10device_ptrIxEEEESE_SE_xNS9_4plusIvEENS9_8equal_toIxEExEE10hipError_tPvRmT2_T3_T4_T5_mT6_T7_P12ihipStream_tbENKUlT_T0_E_clISt17integral_constantIbLb1EESY_IbLb0EEEEDaSU_SV_EUlSU_E_NS1_11comp_targetILNS1_3genE9ELNS1_11target_archE1100ELNS1_3gpuE3ELNS1_3repE0EEENS1_30default_config_static_selectorELNS0_4arch9wavefront6targetE0EEEvT1_.uses_flat_scratch, 0
	.set _ZN7rocprim17ROCPRIM_400000_NS6detail17trampoline_kernelINS0_14default_configENS1_27scan_by_key_config_selectorIxxEEZZNS1_16scan_by_key_implILNS1_25lookback_scan_determinismE0ELb1ES3_N6thrust23THRUST_200600_302600_NS6detail15normal_iteratorINS9_10device_ptrIxEEEESE_SE_xNS9_4plusIvEENS9_8equal_toIxEExEE10hipError_tPvRmT2_T3_T4_T5_mT6_T7_P12ihipStream_tbENKUlT_T0_E_clISt17integral_constantIbLb1EESY_IbLb0EEEEDaSU_SV_EUlSU_E_NS1_11comp_targetILNS1_3genE9ELNS1_11target_archE1100ELNS1_3gpuE3ELNS1_3repE0EEENS1_30default_config_static_selectorELNS0_4arch9wavefront6targetE0EEEvT1_.has_dyn_sized_stack, 0
	.set _ZN7rocprim17ROCPRIM_400000_NS6detail17trampoline_kernelINS0_14default_configENS1_27scan_by_key_config_selectorIxxEEZZNS1_16scan_by_key_implILNS1_25lookback_scan_determinismE0ELb1ES3_N6thrust23THRUST_200600_302600_NS6detail15normal_iteratorINS9_10device_ptrIxEEEESE_SE_xNS9_4plusIvEENS9_8equal_toIxEExEE10hipError_tPvRmT2_T3_T4_T5_mT6_T7_P12ihipStream_tbENKUlT_T0_E_clISt17integral_constantIbLb1EESY_IbLb0EEEEDaSU_SV_EUlSU_E_NS1_11comp_targetILNS1_3genE9ELNS1_11target_archE1100ELNS1_3gpuE3ELNS1_3repE0EEENS1_30default_config_static_selectorELNS0_4arch9wavefront6targetE0EEEvT1_.has_recursion, 0
	.set _ZN7rocprim17ROCPRIM_400000_NS6detail17trampoline_kernelINS0_14default_configENS1_27scan_by_key_config_selectorIxxEEZZNS1_16scan_by_key_implILNS1_25lookback_scan_determinismE0ELb1ES3_N6thrust23THRUST_200600_302600_NS6detail15normal_iteratorINS9_10device_ptrIxEEEESE_SE_xNS9_4plusIvEENS9_8equal_toIxEExEE10hipError_tPvRmT2_T3_T4_T5_mT6_T7_P12ihipStream_tbENKUlT_T0_E_clISt17integral_constantIbLb1EESY_IbLb0EEEEDaSU_SV_EUlSU_E_NS1_11comp_targetILNS1_3genE9ELNS1_11target_archE1100ELNS1_3gpuE3ELNS1_3repE0EEENS1_30default_config_static_selectorELNS0_4arch9wavefront6targetE0EEEvT1_.has_indirect_call, 0
	.section	.AMDGPU.csdata,"",@progbits
; Kernel info:
; codeLenInByte = 0
; TotalNumSgprs: 0
; NumVgprs: 0
; ScratchSize: 0
; MemoryBound: 0
; FloatMode: 240
; IeeeMode: 1
; LDSByteSize: 0 bytes/workgroup (compile time only)
; SGPRBlocks: 0
; VGPRBlocks: 0
; NumSGPRsForWavesPerEU: 1
; NumVGPRsForWavesPerEU: 1
; Occupancy: 16
; WaveLimiterHint : 0
; COMPUTE_PGM_RSRC2:SCRATCH_EN: 0
; COMPUTE_PGM_RSRC2:USER_SGPR: 6
; COMPUTE_PGM_RSRC2:TRAP_HANDLER: 0
; COMPUTE_PGM_RSRC2:TGID_X_EN: 1
; COMPUTE_PGM_RSRC2:TGID_Y_EN: 0
; COMPUTE_PGM_RSRC2:TGID_Z_EN: 0
; COMPUTE_PGM_RSRC2:TIDIG_COMP_CNT: 0
	.section	.text._ZN7rocprim17ROCPRIM_400000_NS6detail17trampoline_kernelINS0_14default_configENS1_27scan_by_key_config_selectorIxxEEZZNS1_16scan_by_key_implILNS1_25lookback_scan_determinismE0ELb1ES3_N6thrust23THRUST_200600_302600_NS6detail15normal_iteratorINS9_10device_ptrIxEEEESE_SE_xNS9_4plusIvEENS9_8equal_toIxEExEE10hipError_tPvRmT2_T3_T4_T5_mT6_T7_P12ihipStream_tbENKUlT_T0_E_clISt17integral_constantIbLb1EESY_IbLb0EEEEDaSU_SV_EUlSU_E_NS1_11comp_targetILNS1_3genE8ELNS1_11target_archE1030ELNS1_3gpuE2ELNS1_3repE0EEENS1_30default_config_static_selectorELNS0_4arch9wavefront6targetE0EEEvT1_,"axG",@progbits,_ZN7rocprim17ROCPRIM_400000_NS6detail17trampoline_kernelINS0_14default_configENS1_27scan_by_key_config_selectorIxxEEZZNS1_16scan_by_key_implILNS1_25lookback_scan_determinismE0ELb1ES3_N6thrust23THRUST_200600_302600_NS6detail15normal_iteratorINS9_10device_ptrIxEEEESE_SE_xNS9_4plusIvEENS9_8equal_toIxEExEE10hipError_tPvRmT2_T3_T4_T5_mT6_T7_P12ihipStream_tbENKUlT_T0_E_clISt17integral_constantIbLb1EESY_IbLb0EEEEDaSU_SV_EUlSU_E_NS1_11comp_targetILNS1_3genE8ELNS1_11target_archE1030ELNS1_3gpuE2ELNS1_3repE0EEENS1_30default_config_static_selectorELNS0_4arch9wavefront6targetE0EEEvT1_,comdat
	.protected	_ZN7rocprim17ROCPRIM_400000_NS6detail17trampoline_kernelINS0_14default_configENS1_27scan_by_key_config_selectorIxxEEZZNS1_16scan_by_key_implILNS1_25lookback_scan_determinismE0ELb1ES3_N6thrust23THRUST_200600_302600_NS6detail15normal_iteratorINS9_10device_ptrIxEEEESE_SE_xNS9_4plusIvEENS9_8equal_toIxEExEE10hipError_tPvRmT2_T3_T4_T5_mT6_T7_P12ihipStream_tbENKUlT_T0_E_clISt17integral_constantIbLb1EESY_IbLb0EEEEDaSU_SV_EUlSU_E_NS1_11comp_targetILNS1_3genE8ELNS1_11target_archE1030ELNS1_3gpuE2ELNS1_3repE0EEENS1_30default_config_static_selectorELNS0_4arch9wavefront6targetE0EEEvT1_ ; -- Begin function _ZN7rocprim17ROCPRIM_400000_NS6detail17trampoline_kernelINS0_14default_configENS1_27scan_by_key_config_selectorIxxEEZZNS1_16scan_by_key_implILNS1_25lookback_scan_determinismE0ELb1ES3_N6thrust23THRUST_200600_302600_NS6detail15normal_iteratorINS9_10device_ptrIxEEEESE_SE_xNS9_4plusIvEENS9_8equal_toIxEExEE10hipError_tPvRmT2_T3_T4_T5_mT6_T7_P12ihipStream_tbENKUlT_T0_E_clISt17integral_constantIbLb1EESY_IbLb0EEEEDaSU_SV_EUlSU_E_NS1_11comp_targetILNS1_3genE8ELNS1_11target_archE1030ELNS1_3gpuE2ELNS1_3repE0EEENS1_30default_config_static_selectorELNS0_4arch9wavefront6targetE0EEEvT1_
	.globl	_ZN7rocprim17ROCPRIM_400000_NS6detail17trampoline_kernelINS0_14default_configENS1_27scan_by_key_config_selectorIxxEEZZNS1_16scan_by_key_implILNS1_25lookback_scan_determinismE0ELb1ES3_N6thrust23THRUST_200600_302600_NS6detail15normal_iteratorINS9_10device_ptrIxEEEESE_SE_xNS9_4plusIvEENS9_8equal_toIxEExEE10hipError_tPvRmT2_T3_T4_T5_mT6_T7_P12ihipStream_tbENKUlT_T0_E_clISt17integral_constantIbLb1EESY_IbLb0EEEEDaSU_SV_EUlSU_E_NS1_11comp_targetILNS1_3genE8ELNS1_11target_archE1030ELNS1_3gpuE2ELNS1_3repE0EEENS1_30default_config_static_selectorELNS0_4arch9wavefront6targetE0EEEvT1_
	.p2align	8
	.type	_ZN7rocprim17ROCPRIM_400000_NS6detail17trampoline_kernelINS0_14default_configENS1_27scan_by_key_config_selectorIxxEEZZNS1_16scan_by_key_implILNS1_25lookback_scan_determinismE0ELb1ES3_N6thrust23THRUST_200600_302600_NS6detail15normal_iteratorINS9_10device_ptrIxEEEESE_SE_xNS9_4plusIvEENS9_8equal_toIxEExEE10hipError_tPvRmT2_T3_T4_T5_mT6_T7_P12ihipStream_tbENKUlT_T0_E_clISt17integral_constantIbLb1EESY_IbLb0EEEEDaSU_SV_EUlSU_E_NS1_11comp_targetILNS1_3genE8ELNS1_11target_archE1030ELNS1_3gpuE2ELNS1_3repE0EEENS1_30default_config_static_selectorELNS0_4arch9wavefront6targetE0EEEvT1_,@function
_ZN7rocprim17ROCPRIM_400000_NS6detail17trampoline_kernelINS0_14default_configENS1_27scan_by_key_config_selectorIxxEEZZNS1_16scan_by_key_implILNS1_25lookback_scan_determinismE0ELb1ES3_N6thrust23THRUST_200600_302600_NS6detail15normal_iteratorINS9_10device_ptrIxEEEESE_SE_xNS9_4plusIvEENS9_8equal_toIxEExEE10hipError_tPvRmT2_T3_T4_T5_mT6_T7_P12ihipStream_tbENKUlT_T0_E_clISt17integral_constantIbLb1EESY_IbLb0EEEEDaSU_SV_EUlSU_E_NS1_11comp_targetILNS1_3genE8ELNS1_11target_archE1030ELNS1_3gpuE2ELNS1_3repE0EEENS1_30default_config_static_selectorELNS0_4arch9wavefront6targetE0EEEvT1_: ; @_ZN7rocprim17ROCPRIM_400000_NS6detail17trampoline_kernelINS0_14default_configENS1_27scan_by_key_config_selectorIxxEEZZNS1_16scan_by_key_implILNS1_25lookback_scan_determinismE0ELb1ES3_N6thrust23THRUST_200600_302600_NS6detail15normal_iteratorINS9_10device_ptrIxEEEESE_SE_xNS9_4plusIvEENS9_8equal_toIxEExEE10hipError_tPvRmT2_T3_T4_T5_mT6_T7_P12ihipStream_tbENKUlT_T0_E_clISt17integral_constantIbLb1EESY_IbLb0EEEEDaSU_SV_EUlSU_E_NS1_11comp_targetILNS1_3genE8ELNS1_11target_archE1030ELNS1_3gpuE2ELNS1_3repE0EEENS1_30default_config_static_selectorELNS0_4arch9wavefront6targetE0EEEvT1_
; %bb.0:
	s_endpgm
	.section	.rodata,"a",@progbits
	.p2align	6, 0x0
	.amdhsa_kernel _ZN7rocprim17ROCPRIM_400000_NS6detail17trampoline_kernelINS0_14default_configENS1_27scan_by_key_config_selectorIxxEEZZNS1_16scan_by_key_implILNS1_25lookback_scan_determinismE0ELb1ES3_N6thrust23THRUST_200600_302600_NS6detail15normal_iteratorINS9_10device_ptrIxEEEESE_SE_xNS9_4plusIvEENS9_8equal_toIxEExEE10hipError_tPvRmT2_T3_T4_T5_mT6_T7_P12ihipStream_tbENKUlT_T0_E_clISt17integral_constantIbLb1EESY_IbLb0EEEEDaSU_SV_EUlSU_E_NS1_11comp_targetILNS1_3genE8ELNS1_11target_archE1030ELNS1_3gpuE2ELNS1_3repE0EEENS1_30default_config_static_selectorELNS0_4arch9wavefront6targetE0EEEvT1_
		.amdhsa_group_segment_fixed_size 0
		.amdhsa_private_segment_fixed_size 0
		.amdhsa_kernarg_size 136
		.amdhsa_user_sgpr_count 6
		.amdhsa_user_sgpr_private_segment_buffer 1
		.amdhsa_user_sgpr_dispatch_ptr 0
		.amdhsa_user_sgpr_queue_ptr 0
		.amdhsa_user_sgpr_kernarg_segment_ptr 1
		.amdhsa_user_sgpr_dispatch_id 0
		.amdhsa_user_sgpr_flat_scratch_init 0
		.amdhsa_user_sgpr_private_segment_size 0
		.amdhsa_wavefront_size32 1
		.amdhsa_uses_dynamic_stack 0
		.amdhsa_system_sgpr_private_segment_wavefront_offset 0
		.amdhsa_system_sgpr_workgroup_id_x 1
		.amdhsa_system_sgpr_workgroup_id_y 0
		.amdhsa_system_sgpr_workgroup_id_z 0
		.amdhsa_system_sgpr_workgroup_info 0
		.amdhsa_system_vgpr_workitem_id 0
		.amdhsa_next_free_vgpr 1
		.amdhsa_next_free_sgpr 1
		.amdhsa_reserve_vcc 0
		.amdhsa_reserve_flat_scratch 0
		.amdhsa_float_round_mode_32 0
		.amdhsa_float_round_mode_16_64 0
		.amdhsa_float_denorm_mode_32 3
		.amdhsa_float_denorm_mode_16_64 3
		.amdhsa_dx10_clamp 1
		.amdhsa_ieee_mode 1
		.amdhsa_fp16_overflow 0
		.amdhsa_workgroup_processor_mode 1
		.amdhsa_memory_ordered 1
		.amdhsa_forward_progress 1
		.amdhsa_shared_vgpr_count 0
		.amdhsa_exception_fp_ieee_invalid_op 0
		.amdhsa_exception_fp_denorm_src 0
		.amdhsa_exception_fp_ieee_div_zero 0
		.amdhsa_exception_fp_ieee_overflow 0
		.amdhsa_exception_fp_ieee_underflow 0
		.amdhsa_exception_fp_ieee_inexact 0
		.amdhsa_exception_int_div_zero 0
	.end_amdhsa_kernel
	.section	.text._ZN7rocprim17ROCPRIM_400000_NS6detail17trampoline_kernelINS0_14default_configENS1_27scan_by_key_config_selectorIxxEEZZNS1_16scan_by_key_implILNS1_25lookback_scan_determinismE0ELb1ES3_N6thrust23THRUST_200600_302600_NS6detail15normal_iteratorINS9_10device_ptrIxEEEESE_SE_xNS9_4plusIvEENS9_8equal_toIxEExEE10hipError_tPvRmT2_T3_T4_T5_mT6_T7_P12ihipStream_tbENKUlT_T0_E_clISt17integral_constantIbLb1EESY_IbLb0EEEEDaSU_SV_EUlSU_E_NS1_11comp_targetILNS1_3genE8ELNS1_11target_archE1030ELNS1_3gpuE2ELNS1_3repE0EEENS1_30default_config_static_selectorELNS0_4arch9wavefront6targetE0EEEvT1_,"axG",@progbits,_ZN7rocprim17ROCPRIM_400000_NS6detail17trampoline_kernelINS0_14default_configENS1_27scan_by_key_config_selectorIxxEEZZNS1_16scan_by_key_implILNS1_25lookback_scan_determinismE0ELb1ES3_N6thrust23THRUST_200600_302600_NS6detail15normal_iteratorINS9_10device_ptrIxEEEESE_SE_xNS9_4plusIvEENS9_8equal_toIxEExEE10hipError_tPvRmT2_T3_T4_T5_mT6_T7_P12ihipStream_tbENKUlT_T0_E_clISt17integral_constantIbLb1EESY_IbLb0EEEEDaSU_SV_EUlSU_E_NS1_11comp_targetILNS1_3genE8ELNS1_11target_archE1030ELNS1_3gpuE2ELNS1_3repE0EEENS1_30default_config_static_selectorELNS0_4arch9wavefront6targetE0EEEvT1_,comdat
.Lfunc_end451:
	.size	_ZN7rocprim17ROCPRIM_400000_NS6detail17trampoline_kernelINS0_14default_configENS1_27scan_by_key_config_selectorIxxEEZZNS1_16scan_by_key_implILNS1_25lookback_scan_determinismE0ELb1ES3_N6thrust23THRUST_200600_302600_NS6detail15normal_iteratorINS9_10device_ptrIxEEEESE_SE_xNS9_4plusIvEENS9_8equal_toIxEExEE10hipError_tPvRmT2_T3_T4_T5_mT6_T7_P12ihipStream_tbENKUlT_T0_E_clISt17integral_constantIbLb1EESY_IbLb0EEEEDaSU_SV_EUlSU_E_NS1_11comp_targetILNS1_3genE8ELNS1_11target_archE1030ELNS1_3gpuE2ELNS1_3repE0EEENS1_30default_config_static_selectorELNS0_4arch9wavefront6targetE0EEEvT1_, .Lfunc_end451-_ZN7rocprim17ROCPRIM_400000_NS6detail17trampoline_kernelINS0_14default_configENS1_27scan_by_key_config_selectorIxxEEZZNS1_16scan_by_key_implILNS1_25lookback_scan_determinismE0ELb1ES3_N6thrust23THRUST_200600_302600_NS6detail15normal_iteratorINS9_10device_ptrIxEEEESE_SE_xNS9_4plusIvEENS9_8equal_toIxEExEE10hipError_tPvRmT2_T3_T4_T5_mT6_T7_P12ihipStream_tbENKUlT_T0_E_clISt17integral_constantIbLb1EESY_IbLb0EEEEDaSU_SV_EUlSU_E_NS1_11comp_targetILNS1_3genE8ELNS1_11target_archE1030ELNS1_3gpuE2ELNS1_3repE0EEENS1_30default_config_static_selectorELNS0_4arch9wavefront6targetE0EEEvT1_
                                        ; -- End function
	.set _ZN7rocprim17ROCPRIM_400000_NS6detail17trampoline_kernelINS0_14default_configENS1_27scan_by_key_config_selectorIxxEEZZNS1_16scan_by_key_implILNS1_25lookback_scan_determinismE0ELb1ES3_N6thrust23THRUST_200600_302600_NS6detail15normal_iteratorINS9_10device_ptrIxEEEESE_SE_xNS9_4plusIvEENS9_8equal_toIxEExEE10hipError_tPvRmT2_T3_T4_T5_mT6_T7_P12ihipStream_tbENKUlT_T0_E_clISt17integral_constantIbLb1EESY_IbLb0EEEEDaSU_SV_EUlSU_E_NS1_11comp_targetILNS1_3genE8ELNS1_11target_archE1030ELNS1_3gpuE2ELNS1_3repE0EEENS1_30default_config_static_selectorELNS0_4arch9wavefront6targetE0EEEvT1_.num_vgpr, 0
	.set _ZN7rocprim17ROCPRIM_400000_NS6detail17trampoline_kernelINS0_14default_configENS1_27scan_by_key_config_selectorIxxEEZZNS1_16scan_by_key_implILNS1_25lookback_scan_determinismE0ELb1ES3_N6thrust23THRUST_200600_302600_NS6detail15normal_iteratorINS9_10device_ptrIxEEEESE_SE_xNS9_4plusIvEENS9_8equal_toIxEExEE10hipError_tPvRmT2_T3_T4_T5_mT6_T7_P12ihipStream_tbENKUlT_T0_E_clISt17integral_constantIbLb1EESY_IbLb0EEEEDaSU_SV_EUlSU_E_NS1_11comp_targetILNS1_3genE8ELNS1_11target_archE1030ELNS1_3gpuE2ELNS1_3repE0EEENS1_30default_config_static_selectorELNS0_4arch9wavefront6targetE0EEEvT1_.num_agpr, 0
	.set _ZN7rocprim17ROCPRIM_400000_NS6detail17trampoline_kernelINS0_14default_configENS1_27scan_by_key_config_selectorIxxEEZZNS1_16scan_by_key_implILNS1_25lookback_scan_determinismE0ELb1ES3_N6thrust23THRUST_200600_302600_NS6detail15normal_iteratorINS9_10device_ptrIxEEEESE_SE_xNS9_4plusIvEENS9_8equal_toIxEExEE10hipError_tPvRmT2_T3_T4_T5_mT6_T7_P12ihipStream_tbENKUlT_T0_E_clISt17integral_constantIbLb1EESY_IbLb0EEEEDaSU_SV_EUlSU_E_NS1_11comp_targetILNS1_3genE8ELNS1_11target_archE1030ELNS1_3gpuE2ELNS1_3repE0EEENS1_30default_config_static_selectorELNS0_4arch9wavefront6targetE0EEEvT1_.numbered_sgpr, 0
	.set _ZN7rocprim17ROCPRIM_400000_NS6detail17trampoline_kernelINS0_14default_configENS1_27scan_by_key_config_selectorIxxEEZZNS1_16scan_by_key_implILNS1_25lookback_scan_determinismE0ELb1ES3_N6thrust23THRUST_200600_302600_NS6detail15normal_iteratorINS9_10device_ptrIxEEEESE_SE_xNS9_4plusIvEENS9_8equal_toIxEExEE10hipError_tPvRmT2_T3_T4_T5_mT6_T7_P12ihipStream_tbENKUlT_T0_E_clISt17integral_constantIbLb1EESY_IbLb0EEEEDaSU_SV_EUlSU_E_NS1_11comp_targetILNS1_3genE8ELNS1_11target_archE1030ELNS1_3gpuE2ELNS1_3repE0EEENS1_30default_config_static_selectorELNS0_4arch9wavefront6targetE0EEEvT1_.num_named_barrier, 0
	.set _ZN7rocprim17ROCPRIM_400000_NS6detail17trampoline_kernelINS0_14default_configENS1_27scan_by_key_config_selectorIxxEEZZNS1_16scan_by_key_implILNS1_25lookback_scan_determinismE0ELb1ES3_N6thrust23THRUST_200600_302600_NS6detail15normal_iteratorINS9_10device_ptrIxEEEESE_SE_xNS9_4plusIvEENS9_8equal_toIxEExEE10hipError_tPvRmT2_T3_T4_T5_mT6_T7_P12ihipStream_tbENKUlT_T0_E_clISt17integral_constantIbLb1EESY_IbLb0EEEEDaSU_SV_EUlSU_E_NS1_11comp_targetILNS1_3genE8ELNS1_11target_archE1030ELNS1_3gpuE2ELNS1_3repE0EEENS1_30default_config_static_selectorELNS0_4arch9wavefront6targetE0EEEvT1_.private_seg_size, 0
	.set _ZN7rocprim17ROCPRIM_400000_NS6detail17trampoline_kernelINS0_14default_configENS1_27scan_by_key_config_selectorIxxEEZZNS1_16scan_by_key_implILNS1_25lookback_scan_determinismE0ELb1ES3_N6thrust23THRUST_200600_302600_NS6detail15normal_iteratorINS9_10device_ptrIxEEEESE_SE_xNS9_4plusIvEENS9_8equal_toIxEExEE10hipError_tPvRmT2_T3_T4_T5_mT6_T7_P12ihipStream_tbENKUlT_T0_E_clISt17integral_constantIbLb1EESY_IbLb0EEEEDaSU_SV_EUlSU_E_NS1_11comp_targetILNS1_3genE8ELNS1_11target_archE1030ELNS1_3gpuE2ELNS1_3repE0EEENS1_30default_config_static_selectorELNS0_4arch9wavefront6targetE0EEEvT1_.uses_vcc, 0
	.set _ZN7rocprim17ROCPRIM_400000_NS6detail17trampoline_kernelINS0_14default_configENS1_27scan_by_key_config_selectorIxxEEZZNS1_16scan_by_key_implILNS1_25lookback_scan_determinismE0ELb1ES3_N6thrust23THRUST_200600_302600_NS6detail15normal_iteratorINS9_10device_ptrIxEEEESE_SE_xNS9_4plusIvEENS9_8equal_toIxEExEE10hipError_tPvRmT2_T3_T4_T5_mT6_T7_P12ihipStream_tbENKUlT_T0_E_clISt17integral_constantIbLb1EESY_IbLb0EEEEDaSU_SV_EUlSU_E_NS1_11comp_targetILNS1_3genE8ELNS1_11target_archE1030ELNS1_3gpuE2ELNS1_3repE0EEENS1_30default_config_static_selectorELNS0_4arch9wavefront6targetE0EEEvT1_.uses_flat_scratch, 0
	.set _ZN7rocprim17ROCPRIM_400000_NS6detail17trampoline_kernelINS0_14default_configENS1_27scan_by_key_config_selectorIxxEEZZNS1_16scan_by_key_implILNS1_25lookback_scan_determinismE0ELb1ES3_N6thrust23THRUST_200600_302600_NS6detail15normal_iteratorINS9_10device_ptrIxEEEESE_SE_xNS9_4plusIvEENS9_8equal_toIxEExEE10hipError_tPvRmT2_T3_T4_T5_mT6_T7_P12ihipStream_tbENKUlT_T0_E_clISt17integral_constantIbLb1EESY_IbLb0EEEEDaSU_SV_EUlSU_E_NS1_11comp_targetILNS1_3genE8ELNS1_11target_archE1030ELNS1_3gpuE2ELNS1_3repE0EEENS1_30default_config_static_selectorELNS0_4arch9wavefront6targetE0EEEvT1_.has_dyn_sized_stack, 0
	.set _ZN7rocprim17ROCPRIM_400000_NS6detail17trampoline_kernelINS0_14default_configENS1_27scan_by_key_config_selectorIxxEEZZNS1_16scan_by_key_implILNS1_25lookback_scan_determinismE0ELb1ES3_N6thrust23THRUST_200600_302600_NS6detail15normal_iteratorINS9_10device_ptrIxEEEESE_SE_xNS9_4plusIvEENS9_8equal_toIxEExEE10hipError_tPvRmT2_T3_T4_T5_mT6_T7_P12ihipStream_tbENKUlT_T0_E_clISt17integral_constantIbLb1EESY_IbLb0EEEEDaSU_SV_EUlSU_E_NS1_11comp_targetILNS1_3genE8ELNS1_11target_archE1030ELNS1_3gpuE2ELNS1_3repE0EEENS1_30default_config_static_selectorELNS0_4arch9wavefront6targetE0EEEvT1_.has_recursion, 0
	.set _ZN7rocprim17ROCPRIM_400000_NS6detail17trampoline_kernelINS0_14default_configENS1_27scan_by_key_config_selectorIxxEEZZNS1_16scan_by_key_implILNS1_25lookback_scan_determinismE0ELb1ES3_N6thrust23THRUST_200600_302600_NS6detail15normal_iteratorINS9_10device_ptrIxEEEESE_SE_xNS9_4plusIvEENS9_8equal_toIxEExEE10hipError_tPvRmT2_T3_T4_T5_mT6_T7_P12ihipStream_tbENKUlT_T0_E_clISt17integral_constantIbLb1EESY_IbLb0EEEEDaSU_SV_EUlSU_E_NS1_11comp_targetILNS1_3genE8ELNS1_11target_archE1030ELNS1_3gpuE2ELNS1_3repE0EEENS1_30default_config_static_selectorELNS0_4arch9wavefront6targetE0EEEvT1_.has_indirect_call, 0
	.section	.AMDGPU.csdata,"",@progbits
; Kernel info:
; codeLenInByte = 4
; TotalNumSgprs: 0
; NumVgprs: 0
; ScratchSize: 0
; MemoryBound: 0
; FloatMode: 240
; IeeeMode: 1
; LDSByteSize: 0 bytes/workgroup (compile time only)
; SGPRBlocks: 0
; VGPRBlocks: 0
; NumSGPRsForWavesPerEU: 1
; NumVGPRsForWavesPerEU: 1
; Occupancy: 16
; WaveLimiterHint : 0
; COMPUTE_PGM_RSRC2:SCRATCH_EN: 0
; COMPUTE_PGM_RSRC2:USER_SGPR: 6
; COMPUTE_PGM_RSRC2:TRAP_HANDLER: 0
; COMPUTE_PGM_RSRC2:TGID_X_EN: 1
; COMPUTE_PGM_RSRC2:TGID_Y_EN: 0
; COMPUTE_PGM_RSRC2:TGID_Z_EN: 0
; COMPUTE_PGM_RSRC2:TIDIG_COMP_CNT: 0
	.section	.text._ZN7rocprim17ROCPRIM_400000_NS6detail17trampoline_kernelINS0_14default_configENS1_27scan_by_key_config_selectorIxxEEZZNS1_16scan_by_key_implILNS1_25lookback_scan_determinismE0ELb1ES3_N6thrust23THRUST_200600_302600_NS6detail15normal_iteratorINS9_10device_ptrIxEEEESE_SE_xNS9_4plusIvEENS9_8equal_toIxEExEE10hipError_tPvRmT2_T3_T4_T5_mT6_T7_P12ihipStream_tbENKUlT_T0_E_clISt17integral_constantIbLb0EESY_IbLb1EEEEDaSU_SV_EUlSU_E_NS1_11comp_targetILNS1_3genE0ELNS1_11target_archE4294967295ELNS1_3gpuE0ELNS1_3repE0EEENS1_30default_config_static_selectorELNS0_4arch9wavefront6targetE0EEEvT1_,"axG",@progbits,_ZN7rocprim17ROCPRIM_400000_NS6detail17trampoline_kernelINS0_14default_configENS1_27scan_by_key_config_selectorIxxEEZZNS1_16scan_by_key_implILNS1_25lookback_scan_determinismE0ELb1ES3_N6thrust23THRUST_200600_302600_NS6detail15normal_iteratorINS9_10device_ptrIxEEEESE_SE_xNS9_4plusIvEENS9_8equal_toIxEExEE10hipError_tPvRmT2_T3_T4_T5_mT6_T7_P12ihipStream_tbENKUlT_T0_E_clISt17integral_constantIbLb0EESY_IbLb1EEEEDaSU_SV_EUlSU_E_NS1_11comp_targetILNS1_3genE0ELNS1_11target_archE4294967295ELNS1_3gpuE0ELNS1_3repE0EEENS1_30default_config_static_selectorELNS0_4arch9wavefront6targetE0EEEvT1_,comdat
	.protected	_ZN7rocprim17ROCPRIM_400000_NS6detail17trampoline_kernelINS0_14default_configENS1_27scan_by_key_config_selectorIxxEEZZNS1_16scan_by_key_implILNS1_25lookback_scan_determinismE0ELb1ES3_N6thrust23THRUST_200600_302600_NS6detail15normal_iteratorINS9_10device_ptrIxEEEESE_SE_xNS9_4plusIvEENS9_8equal_toIxEExEE10hipError_tPvRmT2_T3_T4_T5_mT6_T7_P12ihipStream_tbENKUlT_T0_E_clISt17integral_constantIbLb0EESY_IbLb1EEEEDaSU_SV_EUlSU_E_NS1_11comp_targetILNS1_3genE0ELNS1_11target_archE4294967295ELNS1_3gpuE0ELNS1_3repE0EEENS1_30default_config_static_selectorELNS0_4arch9wavefront6targetE0EEEvT1_ ; -- Begin function _ZN7rocprim17ROCPRIM_400000_NS6detail17trampoline_kernelINS0_14default_configENS1_27scan_by_key_config_selectorIxxEEZZNS1_16scan_by_key_implILNS1_25lookback_scan_determinismE0ELb1ES3_N6thrust23THRUST_200600_302600_NS6detail15normal_iteratorINS9_10device_ptrIxEEEESE_SE_xNS9_4plusIvEENS9_8equal_toIxEExEE10hipError_tPvRmT2_T3_T4_T5_mT6_T7_P12ihipStream_tbENKUlT_T0_E_clISt17integral_constantIbLb0EESY_IbLb1EEEEDaSU_SV_EUlSU_E_NS1_11comp_targetILNS1_3genE0ELNS1_11target_archE4294967295ELNS1_3gpuE0ELNS1_3repE0EEENS1_30default_config_static_selectorELNS0_4arch9wavefront6targetE0EEEvT1_
	.globl	_ZN7rocprim17ROCPRIM_400000_NS6detail17trampoline_kernelINS0_14default_configENS1_27scan_by_key_config_selectorIxxEEZZNS1_16scan_by_key_implILNS1_25lookback_scan_determinismE0ELb1ES3_N6thrust23THRUST_200600_302600_NS6detail15normal_iteratorINS9_10device_ptrIxEEEESE_SE_xNS9_4plusIvEENS9_8equal_toIxEExEE10hipError_tPvRmT2_T3_T4_T5_mT6_T7_P12ihipStream_tbENKUlT_T0_E_clISt17integral_constantIbLb0EESY_IbLb1EEEEDaSU_SV_EUlSU_E_NS1_11comp_targetILNS1_3genE0ELNS1_11target_archE4294967295ELNS1_3gpuE0ELNS1_3repE0EEENS1_30default_config_static_selectorELNS0_4arch9wavefront6targetE0EEEvT1_
	.p2align	8
	.type	_ZN7rocprim17ROCPRIM_400000_NS6detail17trampoline_kernelINS0_14default_configENS1_27scan_by_key_config_selectorIxxEEZZNS1_16scan_by_key_implILNS1_25lookback_scan_determinismE0ELb1ES3_N6thrust23THRUST_200600_302600_NS6detail15normal_iteratorINS9_10device_ptrIxEEEESE_SE_xNS9_4plusIvEENS9_8equal_toIxEExEE10hipError_tPvRmT2_T3_T4_T5_mT6_T7_P12ihipStream_tbENKUlT_T0_E_clISt17integral_constantIbLb0EESY_IbLb1EEEEDaSU_SV_EUlSU_E_NS1_11comp_targetILNS1_3genE0ELNS1_11target_archE4294967295ELNS1_3gpuE0ELNS1_3repE0EEENS1_30default_config_static_selectorELNS0_4arch9wavefront6targetE0EEEvT1_,@function
_ZN7rocprim17ROCPRIM_400000_NS6detail17trampoline_kernelINS0_14default_configENS1_27scan_by_key_config_selectorIxxEEZZNS1_16scan_by_key_implILNS1_25lookback_scan_determinismE0ELb1ES3_N6thrust23THRUST_200600_302600_NS6detail15normal_iteratorINS9_10device_ptrIxEEEESE_SE_xNS9_4plusIvEENS9_8equal_toIxEExEE10hipError_tPvRmT2_T3_T4_T5_mT6_T7_P12ihipStream_tbENKUlT_T0_E_clISt17integral_constantIbLb0EESY_IbLb1EEEEDaSU_SV_EUlSU_E_NS1_11comp_targetILNS1_3genE0ELNS1_11target_archE4294967295ELNS1_3gpuE0ELNS1_3repE0EEENS1_30default_config_static_selectorELNS0_4arch9wavefront6targetE0EEEvT1_: ; @_ZN7rocprim17ROCPRIM_400000_NS6detail17trampoline_kernelINS0_14default_configENS1_27scan_by_key_config_selectorIxxEEZZNS1_16scan_by_key_implILNS1_25lookback_scan_determinismE0ELb1ES3_N6thrust23THRUST_200600_302600_NS6detail15normal_iteratorINS9_10device_ptrIxEEEESE_SE_xNS9_4plusIvEENS9_8equal_toIxEExEE10hipError_tPvRmT2_T3_T4_T5_mT6_T7_P12ihipStream_tbENKUlT_T0_E_clISt17integral_constantIbLb0EESY_IbLb1EEEEDaSU_SV_EUlSU_E_NS1_11comp_targetILNS1_3genE0ELNS1_11target_archE4294967295ELNS1_3gpuE0ELNS1_3repE0EEENS1_30default_config_static_selectorELNS0_4arch9wavefront6targetE0EEEvT1_
; %bb.0:
	.section	.rodata,"a",@progbits
	.p2align	6, 0x0
	.amdhsa_kernel _ZN7rocprim17ROCPRIM_400000_NS6detail17trampoline_kernelINS0_14default_configENS1_27scan_by_key_config_selectorIxxEEZZNS1_16scan_by_key_implILNS1_25lookback_scan_determinismE0ELb1ES3_N6thrust23THRUST_200600_302600_NS6detail15normal_iteratorINS9_10device_ptrIxEEEESE_SE_xNS9_4plusIvEENS9_8equal_toIxEExEE10hipError_tPvRmT2_T3_T4_T5_mT6_T7_P12ihipStream_tbENKUlT_T0_E_clISt17integral_constantIbLb0EESY_IbLb1EEEEDaSU_SV_EUlSU_E_NS1_11comp_targetILNS1_3genE0ELNS1_11target_archE4294967295ELNS1_3gpuE0ELNS1_3repE0EEENS1_30default_config_static_selectorELNS0_4arch9wavefront6targetE0EEEvT1_
		.amdhsa_group_segment_fixed_size 0
		.amdhsa_private_segment_fixed_size 0
		.amdhsa_kernarg_size 136
		.amdhsa_user_sgpr_count 6
		.amdhsa_user_sgpr_private_segment_buffer 1
		.amdhsa_user_sgpr_dispatch_ptr 0
		.amdhsa_user_sgpr_queue_ptr 0
		.amdhsa_user_sgpr_kernarg_segment_ptr 1
		.amdhsa_user_sgpr_dispatch_id 0
		.amdhsa_user_sgpr_flat_scratch_init 0
		.amdhsa_user_sgpr_private_segment_size 0
		.amdhsa_wavefront_size32 1
		.amdhsa_uses_dynamic_stack 0
		.amdhsa_system_sgpr_private_segment_wavefront_offset 0
		.amdhsa_system_sgpr_workgroup_id_x 1
		.amdhsa_system_sgpr_workgroup_id_y 0
		.amdhsa_system_sgpr_workgroup_id_z 0
		.amdhsa_system_sgpr_workgroup_info 0
		.amdhsa_system_vgpr_workitem_id 0
		.amdhsa_next_free_vgpr 1
		.amdhsa_next_free_sgpr 1
		.amdhsa_reserve_vcc 0
		.amdhsa_reserve_flat_scratch 0
		.amdhsa_float_round_mode_32 0
		.amdhsa_float_round_mode_16_64 0
		.amdhsa_float_denorm_mode_32 3
		.amdhsa_float_denorm_mode_16_64 3
		.amdhsa_dx10_clamp 1
		.amdhsa_ieee_mode 1
		.amdhsa_fp16_overflow 0
		.amdhsa_workgroup_processor_mode 1
		.amdhsa_memory_ordered 1
		.amdhsa_forward_progress 1
		.amdhsa_shared_vgpr_count 0
		.amdhsa_exception_fp_ieee_invalid_op 0
		.amdhsa_exception_fp_denorm_src 0
		.amdhsa_exception_fp_ieee_div_zero 0
		.amdhsa_exception_fp_ieee_overflow 0
		.amdhsa_exception_fp_ieee_underflow 0
		.amdhsa_exception_fp_ieee_inexact 0
		.amdhsa_exception_int_div_zero 0
	.end_amdhsa_kernel
	.section	.text._ZN7rocprim17ROCPRIM_400000_NS6detail17trampoline_kernelINS0_14default_configENS1_27scan_by_key_config_selectorIxxEEZZNS1_16scan_by_key_implILNS1_25lookback_scan_determinismE0ELb1ES3_N6thrust23THRUST_200600_302600_NS6detail15normal_iteratorINS9_10device_ptrIxEEEESE_SE_xNS9_4plusIvEENS9_8equal_toIxEExEE10hipError_tPvRmT2_T3_T4_T5_mT6_T7_P12ihipStream_tbENKUlT_T0_E_clISt17integral_constantIbLb0EESY_IbLb1EEEEDaSU_SV_EUlSU_E_NS1_11comp_targetILNS1_3genE0ELNS1_11target_archE4294967295ELNS1_3gpuE0ELNS1_3repE0EEENS1_30default_config_static_selectorELNS0_4arch9wavefront6targetE0EEEvT1_,"axG",@progbits,_ZN7rocprim17ROCPRIM_400000_NS6detail17trampoline_kernelINS0_14default_configENS1_27scan_by_key_config_selectorIxxEEZZNS1_16scan_by_key_implILNS1_25lookback_scan_determinismE0ELb1ES3_N6thrust23THRUST_200600_302600_NS6detail15normal_iteratorINS9_10device_ptrIxEEEESE_SE_xNS9_4plusIvEENS9_8equal_toIxEExEE10hipError_tPvRmT2_T3_T4_T5_mT6_T7_P12ihipStream_tbENKUlT_T0_E_clISt17integral_constantIbLb0EESY_IbLb1EEEEDaSU_SV_EUlSU_E_NS1_11comp_targetILNS1_3genE0ELNS1_11target_archE4294967295ELNS1_3gpuE0ELNS1_3repE0EEENS1_30default_config_static_selectorELNS0_4arch9wavefront6targetE0EEEvT1_,comdat
.Lfunc_end452:
	.size	_ZN7rocprim17ROCPRIM_400000_NS6detail17trampoline_kernelINS0_14default_configENS1_27scan_by_key_config_selectorIxxEEZZNS1_16scan_by_key_implILNS1_25lookback_scan_determinismE0ELb1ES3_N6thrust23THRUST_200600_302600_NS6detail15normal_iteratorINS9_10device_ptrIxEEEESE_SE_xNS9_4plusIvEENS9_8equal_toIxEExEE10hipError_tPvRmT2_T3_T4_T5_mT6_T7_P12ihipStream_tbENKUlT_T0_E_clISt17integral_constantIbLb0EESY_IbLb1EEEEDaSU_SV_EUlSU_E_NS1_11comp_targetILNS1_3genE0ELNS1_11target_archE4294967295ELNS1_3gpuE0ELNS1_3repE0EEENS1_30default_config_static_selectorELNS0_4arch9wavefront6targetE0EEEvT1_, .Lfunc_end452-_ZN7rocprim17ROCPRIM_400000_NS6detail17trampoline_kernelINS0_14default_configENS1_27scan_by_key_config_selectorIxxEEZZNS1_16scan_by_key_implILNS1_25lookback_scan_determinismE0ELb1ES3_N6thrust23THRUST_200600_302600_NS6detail15normal_iteratorINS9_10device_ptrIxEEEESE_SE_xNS9_4plusIvEENS9_8equal_toIxEExEE10hipError_tPvRmT2_T3_T4_T5_mT6_T7_P12ihipStream_tbENKUlT_T0_E_clISt17integral_constantIbLb0EESY_IbLb1EEEEDaSU_SV_EUlSU_E_NS1_11comp_targetILNS1_3genE0ELNS1_11target_archE4294967295ELNS1_3gpuE0ELNS1_3repE0EEENS1_30default_config_static_selectorELNS0_4arch9wavefront6targetE0EEEvT1_
                                        ; -- End function
	.set _ZN7rocprim17ROCPRIM_400000_NS6detail17trampoline_kernelINS0_14default_configENS1_27scan_by_key_config_selectorIxxEEZZNS1_16scan_by_key_implILNS1_25lookback_scan_determinismE0ELb1ES3_N6thrust23THRUST_200600_302600_NS6detail15normal_iteratorINS9_10device_ptrIxEEEESE_SE_xNS9_4plusIvEENS9_8equal_toIxEExEE10hipError_tPvRmT2_T3_T4_T5_mT6_T7_P12ihipStream_tbENKUlT_T0_E_clISt17integral_constantIbLb0EESY_IbLb1EEEEDaSU_SV_EUlSU_E_NS1_11comp_targetILNS1_3genE0ELNS1_11target_archE4294967295ELNS1_3gpuE0ELNS1_3repE0EEENS1_30default_config_static_selectorELNS0_4arch9wavefront6targetE0EEEvT1_.num_vgpr, 0
	.set _ZN7rocprim17ROCPRIM_400000_NS6detail17trampoline_kernelINS0_14default_configENS1_27scan_by_key_config_selectorIxxEEZZNS1_16scan_by_key_implILNS1_25lookback_scan_determinismE0ELb1ES3_N6thrust23THRUST_200600_302600_NS6detail15normal_iteratorINS9_10device_ptrIxEEEESE_SE_xNS9_4plusIvEENS9_8equal_toIxEExEE10hipError_tPvRmT2_T3_T4_T5_mT6_T7_P12ihipStream_tbENKUlT_T0_E_clISt17integral_constantIbLb0EESY_IbLb1EEEEDaSU_SV_EUlSU_E_NS1_11comp_targetILNS1_3genE0ELNS1_11target_archE4294967295ELNS1_3gpuE0ELNS1_3repE0EEENS1_30default_config_static_selectorELNS0_4arch9wavefront6targetE0EEEvT1_.num_agpr, 0
	.set _ZN7rocprim17ROCPRIM_400000_NS6detail17trampoline_kernelINS0_14default_configENS1_27scan_by_key_config_selectorIxxEEZZNS1_16scan_by_key_implILNS1_25lookback_scan_determinismE0ELb1ES3_N6thrust23THRUST_200600_302600_NS6detail15normal_iteratorINS9_10device_ptrIxEEEESE_SE_xNS9_4plusIvEENS9_8equal_toIxEExEE10hipError_tPvRmT2_T3_T4_T5_mT6_T7_P12ihipStream_tbENKUlT_T0_E_clISt17integral_constantIbLb0EESY_IbLb1EEEEDaSU_SV_EUlSU_E_NS1_11comp_targetILNS1_3genE0ELNS1_11target_archE4294967295ELNS1_3gpuE0ELNS1_3repE0EEENS1_30default_config_static_selectorELNS0_4arch9wavefront6targetE0EEEvT1_.numbered_sgpr, 0
	.set _ZN7rocprim17ROCPRIM_400000_NS6detail17trampoline_kernelINS0_14default_configENS1_27scan_by_key_config_selectorIxxEEZZNS1_16scan_by_key_implILNS1_25lookback_scan_determinismE0ELb1ES3_N6thrust23THRUST_200600_302600_NS6detail15normal_iteratorINS9_10device_ptrIxEEEESE_SE_xNS9_4plusIvEENS9_8equal_toIxEExEE10hipError_tPvRmT2_T3_T4_T5_mT6_T7_P12ihipStream_tbENKUlT_T0_E_clISt17integral_constantIbLb0EESY_IbLb1EEEEDaSU_SV_EUlSU_E_NS1_11comp_targetILNS1_3genE0ELNS1_11target_archE4294967295ELNS1_3gpuE0ELNS1_3repE0EEENS1_30default_config_static_selectorELNS0_4arch9wavefront6targetE0EEEvT1_.num_named_barrier, 0
	.set _ZN7rocprim17ROCPRIM_400000_NS6detail17trampoline_kernelINS0_14default_configENS1_27scan_by_key_config_selectorIxxEEZZNS1_16scan_by_key_implILNS1_25lookback_scan_determinismE0ELb1ES3_N6thrust23THRUST_200600_302600_NS6detail15normal_iteratorINS9_10device_ptrIxEEEESE_SE_xNS9_4plusIvEENS9_8equal_toIxEExEE10hipError_tPvRmT2_T3_T4_T5_mT6_T7_P12ihipStream_tbENKUlT_T0_E_clISt17integral_constantIbLb0EESY_IbLb1EEEEDaSU_SV_EUlSU_E_NS1_11comp_targetILNS1_3genE0ELNS1_11target_archE4294967295ELNS1_3gpuE0ELNS1_3repE0EEENS1_30default_config_static_selectorELNS0_4arch9wavefront6targetE0EEEvT1_.private_seg_size, 0
	.set _ZN7rocprim17ROCPRIM_400000_NS6detail17trampoline_kernelINS0_14default_configENS1_27scan_by_key_config_selectorIxxEEZZNS1_16scan_by_key_implILNS1_25lookback_scan_determinismE0ELb1ES3_N6thrust23THRUST_200600_302600_NS6detail15normal_iteratorINS9_10device_ptrIxEEEESE_SE_xNS9_4plusIvEENS9_8equal_toIxEExEE10hipError_tPvRmT2_T3_T4_T5_mT6_T7_P12ihipStream_tbENKUlT_T0_E_clISt17integral_constantIbLb0EESY_IbLb1EEEEDaSU_SV_EUlSU_E_NS1_11comp_targetILNS1_3genE0ELNS1_11target_archE4294967295ELNS1_3gpuE0ELNS1_3repE0EEENS1_30default_config_static_selectorELNS0_4arch9wavefront6targetE0EEEvT1_.uses_vcc, 0
	.set _ZN7rocprim17ROCPRIM_400000_NS6detail17trampoline_kernelINS0_14default_configENS1_27scan_by_key_config_selectorIxxEEZZNS1_16scan_by_key_implILNS1_25lookback_scan_determinismE0ELb1ES3_N6thrust23THRUST_200600_302600_NS6detail15normal_iteratorINS9_10device_ptrIxEEEESE_SE_xNS9_4plusIvEENS9_8equal_toIxEExEE10hipError_tPvRmT2_T3_T4_T5_mT6_T7_P12ihipStream_tbENKUlT_T0_E_clISt17integral_constantIbLb0EESY_IbLb1EEEEDaSU_SV_EUlSU_E_NS1_11comp_targetILNS1_3genE0ELNS1_11target_archE4294967295ELNS1_3gpuE0ELNS1_3repE0EEENS1_30default_config_static_selectorELNS0_4arch9wavefront6targetE0EEEvT1_.uses_flat_scratch, 0
	.set _ZN7rocprim17ROCPRIM_400000_NS6detail17trampoline_kernelINS0_14default_configENS1_27scan_by_key_config_selectorIxxEEZZNS1_16scan_by_key_implILNS1_25lookback_scan_determinismE0ELb1ES3_N6thrust23THRUST_200600_302600_NS6detail15normal_iteratorINS9_10device_ptrIxEEEESE_SE_xNS9_4plusIvEENS9_8equal_toIxEExEE10hipError_tPvRmT2_T3_T4_T5_mT6_T7_P12ihipStream_tbENKUlT_T0_E_clISt17integral_constantIbLb0EESY_IbLb1EEEEDaSU_SV_EUlSU_E_NS1_11comp_targetILNS1_3genE0ELNS1_11target_archE4294967295ELNS1_3gpuE0ELNS1_3repE0EEENS1_30default_config_static_selectorELNS0_4arch9wavefront6targetE0EEEvT1_.has_dyn_sized_stack, 0
	.set _ZN7rocprim17ROCPRIM_400000_NS6detail17trampoline_kernelINS0_14default_configENS1_27scan_by_key_config_selectorIxxEEZZNS1_16scan_by_key_implILNS1_25lookback_scan_determinismE0ELb1ES3_N6thrust23THRUST_200600_302600_NS6detail15normal_iteratorINS9_10device_ptrIxEEEESE_SE_xNS9_4plusIvEENS9_8equal_toIxEExEE10hipError_tPvRmT2_T3_T4_T5_mT6_T7_P12ihipStream_tbENKUlT_T0_E_clISt17integral_constantIbLb0EESY_IbLb1EEEEDaSU_SV_EUlSU_E_NS1_11comp_targetILNS1_3genE0ELNS1_11target_archE4294967295ELNS1_3gpuE0ELNS1_3repE0EEENS1_30default_config_static_selectorELNS0_4arch9wavefront6targetE0EEEvT1_.has_recursion, 0
	.set _ZN7rocprim17ROCPRIM_400000_NS6detail17trampoline_kernelINS0_14default_configENS1_27scan_by_key_config_selectorIxxEEZZNS1_16scan_by_key_implILNS1_25lookback_scan_determinismE0ELb1ES3_N6thrust23THRUST_200600_302600_NS6detail15normal_iteratorINS9_10device_ptrIxEEEESE_SE_xNS9_4plusIvEENS9_8equal_toIxEExEE10hipError_tPvRmT2_T3_T4_T5_mT6_T7_P12ihipStream_tbENKUlT_T0_E_clISt17integral_constantIbLb0EESY_IbLb1EEEEDaSU_SV_EUlSU_E_NS1_11comp_targetILNS1_3genE0ELNS1_11target_archE4294967295ELNS1_3gpuE0ELNS1_3repE0EEENS1_30default_config_static_selectorELNS0_4arch9wavefront6targetE0EEEvT1_.has_indirect_call, 0
	.section	.AMDGPU.csdata,"",@progbits
; Kernel info:
; codeLenInByte = 0
; TotalNumSgprs: 0
; NumVgprs: 0
; ScratchSize: 0
; MemoryBound: 0
; FloatMode: 240
; IeeeMode: 1
; LDSByteSize: 0 bytes/workgroup (compile time only)
; SGPRBlocks: 0
; VGPRBlocks: 0
; NumSGPRsForWavesPerEU: 1
; NumVGPRsForWavesPerEU: 1
; Occupancy: 16
; WaveLimiterHint : 0
; COMPUTE_PGM_RSRC2:SCRATCH_EN: 0
; COMPUTE_PGM_RSRC2:USER_SGPR: 6
; COMPUTE_PGM_RSRC2:TRAP_HANDLER: 0
; COMPUTE_PGM_RSRC2:TGID_X_EN: 1
; COMPUTE_PGM_RSRC2:TGID_Y_EN: 0
; COMPUTE_PGM_RSRC2:TGID_Z_EN: 0
; COMPUTE_PGM_RSRC2:TIDIG_COMP_CNT: 0
	.section	.text._ZN7rocprim17ROCPRIM_400000_NS6detail17trampoline_kernelINS0_14default_configENS1_27scan_by_key_config_selectorIxxEEZZNS1_16scan_by_key_implILNS1_25lookback_scan_determinismE0ELb1ES3_N6thrust23THRUST_200600_302600_NS6detail15normal_iteratorINS9_10device_ptrIxEEEESE_SE_xNS9_4plusIvEENS9_8equal_toIxEExEE10hipError_tPvRmT2_T3_T4_T5_mT6_T7_P12ihipStream_tbENKUlT_T0_E_clISt17integral_constantIbLb0EESY_IbLb1EEEEDaSU_SV_EUlSU_E_NS1_11comp_targetILNS1_3genE10ELNS1_11target_archE1201ELNS1_3gpuE5ELNS1_3repE0EEENS1_30default_config_static_selectorELNS0_4arch9wavefront6targetE0EEEvT1_,"axG",@progbits,_ZN7rocprim17ROCPRIM_400000_NS6detail17trampoline_kernelINS0_14default_configENS1_27scan_by_key_config_selectorIxxEEZZNS1_16scan_by_key_implILNS1_25lookback_scan_determinismE0ELb1ES3_N6thrust23THRUST_200600_302600_NS6detail15normal_iteratorINS9_10device_ptrIxEEEESE_SE_xNS9_4plusIvEENS9_8equal_toIxEExEE10hipError_tPvRmT2_T3_T4_T5_mT6_T7_P12ihipStream_tbENKUlT_T0_E_clISt17integral_constantIbLb0EESY_IbLb1EEEEDaSU_SV_EUlSU_E_NS1_11comp_targetILNS1_3genE10ELNS1_11target_archE1201ELNS1_3gpuE5ELNS1_3repE0EEENS1_30default_config_static_selectorELNS0_4arch9wavefront6targetE0EEEvT1_,comdat
	.protected	_ZN7rocprim17ROCPRIM_400000_NS6detail17trampoline_kernelINS0_14default_configENS1_27scan_by_key_config_selectorIxxEEZZNS1_16scan_by_key_implILNS1_25lookback_scan_determinismE0ELb1ES3_N6thrust23THRUST_200600_302600_NS6detail15normal_iteratorINS9_10device_ptrIxEEEESE_SE_xNS9_4plusIvEENS9_8equal_toIxEExEE10hipError_tPvRmT2_T3_T4_T5_mT6_T7_P12ihipStream_tbENKUlT_T0_E_clISt17integral_constantIbLb0EESY_IbLb1EEEEDaSU_SV_EUlSU_E_NS1_11comp_targetILNS1_3genE10ELNS1_11target_archE1201ELNS1_3gpuE5ELNS1_3repE0EEENS1_30default_config_static_selectorELNS0_4arch9wavefront6targetE0EEEvT1_ ; -- Begin function _ZN7rocprim17ROCPRIM_400000_NS6detail17trampoline_kernelINS0_14default_configENS1_27scan_by_key_config_selectorIxxEEZZNS1_16scan_by_key_implILNS1_25lookback_scan_determinismE0ELb1ES3_N6thrust23THRUST_200600_302600_NS6detail15normal_iteratorINS9_10device_ptrIxEEEESE_SE_xNS9_4plusIvEENS9_8equal_toIxEExEE10hipError_tPvRmT2_T3_T4_T5_mT6_T7_P12ihipStream_tbENKUlT_T0_E_clISt17integral_constantIbLb0EESY_IbLb1EEEEDaSU_SV_EUlSU_E_NS1_11comp_targetILNS1_3genE10ELNS1_11target_archE1201ELNS1_3gpuE5ELNS1_3repE0EEENS1_30default_config_static_selectorELNS0_4arch9wavefront6targetE0EEEvT1_
	.globl	_ZN7rocprim17ROCPRIM_400000_NS6detail17trampoline_kernelINS0_14default_configENS1_27scan_by_key_config_selectorIxxEEZZNS1_16scan_by_key_implILNS1_25lookback_scan_determinismE0ELb1ES3_N6thrust23THRUST_200600_302600_NS6detail15normal_iteratorINS9_10device_ptrIxEEEESE_SE_xNS9_4plusIvEENS9_8equal_toIxEExEE10hipError_tPvRmT2_T3_T4_T5_mT6_T7_P12ihipStream_tbENKUlT_T0_E_clISt17integral_constantIbLb0EESY_IbLb1EEEEDaSU_SV_EUlSU_E_NS1_11comp_targetILNS1_3genE10ELNS1_11target_archE1201ELNS1_3gpuE5ELNS1_3repE0EEENS1_30default_config_static_selectorELNS0_4arch9wavefront6targetE0EEEvT1_
	.p2align	8
	.type	_ZN7rocprim17ROCPRIM_400000_NS6detail17trampoline_kernelINS0_14default_configENS1_27scan_by_key_config_selectorIxxEEZZNS1_16scan_by_key_implILNS1_25lookback_scan_determinismE0ELb1ES3_N6thrust23THRUST_200600_302600_NS6detail15normal_iteratorINS9_10device_ptrIxEEEESE_SE_xNS9_4plusIvEENS9_8equal_toIxEExEE10hipError_tPvRmT2_T3_T4_T5_mT6_T7_P12ihipStream_tbENKUlT_T0_E_clISt17integral_constantIbLb0EESY_IbLb1EEEEDaSU_SV_EUlSU_E_NS1_11comp_targetILNS1_3genE10ELNS1_11target_archE1201ELNS1_3gpuE5ELNS1_3repE0EEENS1_30default_config_static_selectorELNS0_4arch9wavefront6targetE0EEEvT1_,@function
_ZN7rocprim17ROCPRIM_400000_NS6detail17trampoline_kernelINS0_14default_configENS1_27scan_by_key_config_selectorIxxEEZZNS1_16scan_by_key_implILNS1_25lookback_scan_determinismE0ELb1ES3_N6thrust23THRUST_200600_302600_NS6detail15normal_iteratorINS9_10device_ptrIxEEEESE_SE_xNS9_4plusIvEENS9_8equal_toIxEExEE10hipError_tPvRmT2_T3_T4_T5_mT6_T7_P12ihipStream_tbENKUlT_T0_E_clISt17integral_constantIbLb0EESY_IbLb1EEEEDaSU_SV_EUlSU_E_NS1_11comp_targetILNS1_3genE10ELNS1_11target_archE1201ELNS1_3gpuE5ELNS1_3repE0EEENS1_30default_config_static_selectorELNS0_4arch9wavefront6targetE0EEEvT1_: ; @_ZN7rocprim17ROCPRIM_400000_NS6detail17trampoline_kernelINS0_14default_configENS1_27scan_by_key_config_selectorIxxEEZZNS1_16scan_by_key_implILNS1_25lookback_scan_determinismE0ELb1ES3_N6thrust23THRUST_200600_302600_NS6detail15normal_iteratorINS9_10device_ptrIxEEEESE_SE_xNS9_4plusIvEENS9_8equal_toIxEExEE10hipError_tPvRmT2_T3_T4_T5_mT6_T7_P12ihipStream_tbENKUlT_T0_E_clISt17integral_constantIbLb0EESY_IbLb1EEEEDaSU_SV_EUlSU_E_NS1_11comp_targetILNS1_3genE10ELNS1_11target_archE1201ELNS1_3gpuE5ELNS1_3repE0EEENS1_30default_config_static_selectorELNS0_4arch9wavefront6targetE0EEEvT1_
; %bb.0:
	.section	.rodata,"a",@progbits
	.p2align	6, 0x0
	.amdhsa_kernel _ZN7rocprim17ROCPRIM_400000_NS6detail17trampoline_kernelINS0_14default_configENS1_27scan_by_key_config_selectorIxxEEZZNS1_16scan_by_key_implILNS1_25lookback_scan_determinismE0ELb1ES3_N6thrust23THRUST_200600_302600_NS6detail15normal_iteratorINS9_10device_ptrIxEEEESE_SE_xNS9_4plusIvEENS9_8equal_toIxEExEE10hipError_tPvRmT2_T3_T4_T5_mT6_T7_P12ihipStream_tbENKUlT_T0_E_clISt17integral_constantIbLb0EESY_IbLb1EEEEDaSU_SV_EUlSU_E_NS1_11comp_targetILNS1_3genE10ELNS1_11target_archE1201ELNS1_3gpuE5ELNS1_3repE0EEENS1_30default_config_static_selectorELNS0_4arch9wavefront6targetE0EEEvT1_
		.amdhsa_group_segment_fixed_size 0
		.amdhsa_private_segment_fixed_size 0
		.amdhsa_kernarg_size 136
		.amdhsa_user_sgpr_count 6
		.amdhsa_user_sgpr_private_segment_buffer 1
		.amdhsa_user_sgpr_dispatch_ptr 0
		.amdhsa_user_sgpr_queue_ptr 0
		.amdhsa_user_sgpr_kernarg_segment_ptr 1
		.amdhsa_user_sgpr_dispatch_id 0
		.amdhsa_user_sgpr_flat_scratch_init 0
		.amdhsa_user_sgpr_private_segment_size 0
		.amdhsa_wavefront_size32 1
		.amdhsa_uses_dynamic_stack 0
		.amdhsa_system_sgpr_private_segment_wavefront_offset 0
		.amdhsa_system_sgpr_workgroup_id_x 1
		.amdhsa_system_sgpr_workgroup_id_y 0
		.amdhsa_system_sgpr_workgroup_id_z 0
		.amdhsa_system_sgpr_workgroup_info 0
		.amdhsa_system_vgpr_workitem_id 0
		.amdhsa_next_free_vgpr 1
		.amdhsa_next_free_sgpr 1
		.amdhsa_reserve_vcc 0
		.amdhsa_reserve_flat_scratch 0
		.amdhsa_float_round_mode_32 0
		.amdhsa_float_round_mode_16_64 0
		.amdhsa_float_denorm_mode_32 3
		.amdhsa_float_denorm_mode_16_64 3
		.amdhsa_dx10_clamp 1
		.amdhsa_ieee_mode 1
		.amdhsa_fp16_overflow 0
		.amdhsa_workgroup_processor_mode 1
		.amdhsa_memory_ordered 1
		.amdhsa_forward_progress 1
		.amdhsa_shared_vgpr_count 0
		.amdhsa_exception_fp_ieee_invalid_op 0
		.amdhsa_exception_fp_denorm_src 0
		.amdhsa_exception_fp_ieee_div_zero 0
		.amdhsa_exception_fp_ieee_overflow 0
		.amdhsa_exception_fp_ieee_underflow 0
		.amdhsa_exception_fp_ieee_inexact 0
		.amdhsa_exception_int_div_zero 0
	.end_amdhsa_kernel
	.section	.text._ZN7rocprim17ROCPRIM_400000_NS6detail17trampoline_kernelINS0_14default_configENS1_27scan_by_key_config_selectorIxxEEZZNS1_16scan_by_key_implILNS1_25lookback_scan_determinismE0ELb1ES3_N6thrust23THRUST_200600_302600_NS6detail15normal_iteratorINS9_10device_ptrIxEEEESE_SE_xNS9_4plusIvEENS9_8equal_toIxEExEE10hipError_tPvRmT2_T3_T4_T5_mT6_T7_P12ihipStream_tbENKUlT_T0_E_clISt17integral_constantIbLb0EESY_IbLb1EEEEDaSU_SV_EUlSU_E_NS1_11comp_targetILNS1_3genE10ELNS1_11target_archE1201ELNS1_3gpuE5ELNS1_3repE0EEENS1_30default_config_static_selectorELNS0_4arch9wavefront6targetE0EEEvT1_,"axG",@progbits,_ZN7rocprim17ROCPRIM_400000_NS6detail17trampoline_kernelINS0_14default_configENS1_27scan_by_key_config_selectorIxxEEZZNS1_16scan_by_key_implILNS1_25lookback_scan_determinismE0ELb1ES3_N6thrust23THRUST_200600_302600_NS6detail15normal_iteratorINS9_10device_ptrIxEEEESE_SE_xNS9_4plusIvEENS9_8equal_toIxEExEE10hipError_tPvRmT2_T3_T4_T5_mT6_T7_P12ihipStream_tbENKUlT_T0_E_clISt17integral_constantIbLb0EESY_IbLb1EEEEDaSU_SV_EUlSU_E_NS1_11comp_targetILNS1_3genE10ELNS1_11target_archE1201ELNS1_3gpuE5ELNS1_3repE0EEENS1_30default_config_static_selectorELNS0_4arch9wavefront6targetE0EEEvT1_,comdat
.Lfunc_end453:
	.size	_ZN7rocprim17ROCPRIM_400000_NS6detail17trampoline_kernelINS0_14default_configENS1_27scan_by_key_config_selectorIxxEEZZNS1_16scan_by_key_implILNS1_25lookback_scan_determinismE0ELb1ES3_N6thrust23THRUST_200600_302600_NS6detail15normal_iteratorINS9_10device_ptrIxEEEESE_SE_xNS9_4plusIvEENS9_8equal_toIxEExEE10hipError_tPvRmT2_T3_T4_T5_mT6_T7_P12ihipStream_tbENKUlT_T0_E_clISt17integral_constantIbLb0EESY_IbLb1EEEEDaSU_SV_EUlSU_E_NS1_11comp_targetILNS1_3genE10ELNS1_11target_archE1201ELNS1_3gpuE5ELNS1_3repE0EEENS1_30default_config_static_selectorELNS0_4arch9wavefront6targetE0EEEvT1_, .Lfunc_end453-_ZN7rocprim17ROCPRIM_400000_NS6detail17trampoline_kernelINS0_14default_configENS1_27scan_by_key_config_selectorIxxEEZZNS1_16scan_by_key_implILNS1_25lookback_scan_determinismE0ELb1ES3_N6thrust23THRUST_200600_302600_NS6detail15normal_iteratorINS9_10device_ptrIxEEEESE_SE_xNS9_4plusIvEENS9_8equal_toIxEExEE10hipError_tPvRmT2_T3_T4_T5_mT6_T7_P12ihipStream_tbENKUlT_T0_E_clISt17integral_constantIbLb0EESY_IbLb1EEEEDaSU_SV_EUlSU_E_NS1_11comp_targetILNS1_3genE10ELNS1_11target_archE1201ELNS1_3gpuE5ELNS1_3repE0EEENS1_30default_config_static_selectorELNS0_4arch9wavefront6targetE0EEEvT1_
                                        ; -- End function
	.set _ZN7rocprim17ROCPRIM_400000_NS6detail17trampoline_kernelINS0_14default_configENS1_27scan_by_key_config_selectorIxxEEZZNS1_16scan_by_key_implILNS1_25lookback_scan_determinismE0ELb1ES3_N6thrust23THRUST_200600_302600_NS6detail15normal_iteratorINS9_10device_ptrIxEEEESE_SE_xNS9_4plusIvEENS9_8equal_toIxEExEE10hipError_tPvRmT2_T3_T4_T5_mT6_T7_P12ihipStream_tbENKUlT_T0_E_clISt17integral_constantIbLb0EESY_IbLb1EEEEDaSU_SV_EUlSU_E_NS1_11comp_targetILNS1_3genE10ELNS1_11target_archE1201ELNS1_3gpuE5ELNS1_3repE0EEENS1_30default_config_static_selectorELNS0_4arch9wavefront6targetE0EEEvT1_.num_vgpr, 0
	.set _ZN7rocprim17ROCPRIM_400000_NS6detail17trampoline_kernelINS0_14default_configENS1_27scan_by_key_config_selectorIxxEEZZNS1_16scan_by_key_implILNS1_25lookback_scan_determinismE0ELb1ES3_N6thrust23THRUST_200600_302600_NS6detail15normal_iteratorINS9_10device_ptrIxEEEESE_SE_xNS9_4plusIvEENS9_8equal_toIxEExEE10hipError_tPvRmT2_T3_T4_T5_mT6_T7_P12ihipStream_tbENKUlT_T0_E_clISt17integral_constantIbLb0EESY_IbLb1EEEEDaSU_SV_EUlSU_E_NS1_11comp_targetILNS1_3genE10ELNS1_11target_archE1201ELNS1_3gpuE5ELNS1_3repE0EEENS1_30default_config_static_selectorELNS0_4arch9wavefront6targetE0EEEvT1_.num_agpr, 0
	.set _ZN7rocprim17ROCPRIM_400000_NS6detail17trampoline_kernelINS0_14default_configENS1_27scan_by_key_config_selectorIxxEEZZNS1_16scan_by_key_implILNS1_25lookback_scan_determinismE0ELb1ES3_N6thrust23THRUST_200600_302600_NS6detail15normal_iteratorINS9_10device_ptrIxEEEESE_SE_xNS9_4plusIvEENS9_8equal_toIxEExEE10hipError_tPvRmT2_T3_T4_T5_mT6_T7_P12ihipStream_tbENKUlT_T0_E_clISt17integral_constantIbLb0EESY_IbLb1EEEEDaSU_SV_EUlSU_E_NS1_11comp_targetILNS1_3genE10ELNS1_11target_archE1201ELNS1_3gpuE5ELNS1_3repE0EEENS1_30default_config_static_selectorELNS0_4arch9wavefront6targetE0EEEvT1_.numbered_sgpr, 0
	.set _ZN7rocprim17ROCPRIM_400000_NS6detail17trampoline_kernelINS0_14default_configENS1_27scan_by_key_config_selectorIxxEEZZNS1_16scan_by_key_implILNS1_25lookback_scan_determinismE0ELb1ES3_N6thrust23THRUST_200600_302600_NS6detail15normal_iteratorINS9_10device_ptrIxEEEESE_SE_xNS9_4plusIvEENS9_8equal_toIxEExEE10hipError_tPvRmT2_T3_T4_T5_mT6_T7_P12ihipStream_tbENKUlT_T0_E_clISt17integral_constantIbLb0EESY_IbLb1EEEEDaSU_SV_EUlSU_E_NS1_11comp_targetILNS1_3genE10ELNS1_11target_archE1201ELNS1_3gpuE5ELNS1_3repE0EEENS1_30default_config_static_selectorELNS0_4arch9wavefront6targetE0EEEvT1_.num_named_barrier, 0
	.set _ZN7rocprim17ROCPRIM_400000_NS6detail17trampoline_kernelINS0_14default_configENS1_27scan_by_key_config_selectorIxxEEZZNS1_16scan_by_key_implILNS1_25lookback_scan_determinismE0ELb1ES3_N6thrust23THRUST_200600_302600_NS6detail15normal_iteratorINS9_10device_ptrIxEEEESE_SE_xNS9_4plusIvEENS9_8equal_toIxEExEE10hipError_tPvRmT2_T3_T4_T5_mT6_T7_P12ihipStream_tbENKUlT_T0_E_clISt17integral_constantIbLb0EESY_IbLb1EEEEDaSU_SV_EUlSU_E_NS1_11comp_targetILNS1_3genE10ELNS1_11target_archE1201ELNS1_3gpuE5ELNS1_3repE0EEENS1_30default_config_static_selectorELNS0_4arch9wavefront6targetE0EEEvT1_.private_seg_size, 0
	.set _ZN7rocprim17ROCPRIM_400000_NS6detail17trampoline_kernelINS0_14default_configENS1_27scan_by_key_config_selectorIxxEEZZNS1_16scan_by_key_implILNS1_25lookback_scan_determinismE0ELb1ES3_N6thrust23THRUST_200600_302600_NS6detail15normal_iteratorINS9_10device_ptrIxEEEESE_SE_xNS9_4plusIvEENS9_8equal_toIxEExEE10hipError_tPvRmT2_T3_T4_T5_mT6_T7_P12ihipStream_tbENKUlT_T0_E_clISt17integral_constantIbLb0EESY_IbLb1EEEEDaSU_SV_EUlSU_E_NS1_11comp_targetILNS1_3genE10ELNS1_11target_archE1201ELNS1_3gpuE5ELNS1_3repE0EEENS1_30default_config_static_selectorELNS0_4arch9wavefront6targetE0EEEvT1_.uses_vcc, 0
	.set _ZN7rocprim17ROCPRIM_400000_NS6detail17trampoline_kernelINS0_14default_configENS1_27scan_by_key_config_selectorIxxEEZZNS1_16scan_by_key_implILNS1_25lookback_scan_determinismE0ELb1ES3_N6thrust23THRUST_200600_302600_NS6detail15normal_iteratorINS9_10device_ptrIxEEEESE_SE_xNS9_4plusIvEENS9_8equal_toIxEExEE10hipError_tPvRmT2_T3_T4_T5_mT6_T7_P12ihipStream_tbENKUlT_T0_E_clISt17integral_constantIbLb0EESY_IbLb1EEEEDaSU_SV_EUlSU_E_NS1_11comp_targetILNS1_3genE10ELNS1_11target_archE1201ELNS1_3gpuE5ELNS1_3repE0EEENS1_30default_config_static_selectorELNS0_4arch9wavefront6targetE0EEEvT1_.uses_flat_scratch, 0
	.set _ZN7rocprim17ROCPRIM_400000_NS6detail17trampoline_kernelINS0_14default_configENS1_27scan_by_key_config_selectorIxxEEZZNS1_16scan_by_key_implILNS1_25lookback_scan_determinismE0ELb1ES3_N6thrust23THRUST_200600_302600_NS6detail15normal_iteratorINS9_10device_ptrIxEEEESE_SE_xNS9_4plusIvEENS9_8equal_toIxEExEE10hipError_tPvRmT2_T3_T4_T5_mT6_T7_P12ihipStream_tbENKUlT_T0_E_clISt17integral_constantIbLb0EESY_IbLb1EEEEDaSU_SV_EUlSU_E_NS1_11comp_targetILNS1_3genE10ELNS1_11target_archE1201ELNS1_3gpuE5ELNS1_3repE0EEENS1_30default_config_static_selectorELNS0_4arch9wavefront6targetE0EEEvT1_.has_dyn_sized_stack, 0
	.set _ZN7rocprim17ROCPRIM_400000_NS6detail17trampoline_kernelINS0_14default_configENS1_27scan_by_key_config_selectorIxxEEZZNS1_16scan_by_key_implILNS1_25lookback_scan_determinismE0ELb1ES3_N6thrust23THRUST_200600_302600_NS6detail15normal_iteratorINS9_10device_ptrIxEEEESE_SE_xNS9_4plusIvEENS9_8equal_toIxEExEE10hipError_tPvRmT2_T3_T4_T5_mT6_T7_P12ihipStream_tbENKUlT_T0_E_clISt17integral_constantIbLb0EESY_IbLb1EEEEDaSU_SV_EUlSU_E_NS1_11comp_targetILNS1_3genE10ELNS1_11target_archE1201ELNS1_3gpuE5ELNS1_3repE0EEENS1_30default_config_static_selectorELNS0_4arch9wavefront6targetE0EEEvT1_.has_recursion, 0
	.set _ZN7rocprim17ROCPRIM_400000_NS6detail17trampoline_kernelINS0_14default_configENS1_27scan_by_key_config_selectorIxxEEZZNS1_16scan_by_key_implILNS1_25lookback_scan_determinismE0ELb1ES3_N6thrust23THRUST_200600_302600_NS6detail15normal_iteratorINS9_10device_ptrIxEEEESE_SE_xNS9_4plusIvEENS9_8equal_toIxEExEE10hipError_tPvRmT2_T3_T4_T5_mT6_T7_P12ihipStream_tbENKUlT_T0_E_clISt17integral_constantIbLb0EESY_IbLb1EEEEDaSU_SV_EUlSU_E_NS1_11comp_targetILNS1_3genE10ELNS1_11target_archE1201ELNS1_3gpuE5ELNS1_3repE0EEENS1_30default_config_static_selectorELNS0_4arch9wavefront6targetE0EEEvT1_.has_indirect_call, 0
	.section	.AMDGPU.csdata,"",@progbits
; Kernel info:
; codeLenInByte = 0
; TotalNumSgprs: 0
; NumVgprs: 0
; ScratchSize: 0
; MemoryBound: 0
; FloatMode: 240
; IeeeMode: 1
; LDSByteSize: 0 bytes/workgroup (compile time only)
; SGPRBlocks: 0
; VGPRBlocks: 0
; NumSGPRsForWavesPerEU: 1
; NumVGPRsForWavesPerEU: 1
; Occupancy: 16
; WaveLimiterHint : 0
; COMPUTE_PGM_RSRC2:SCRATCH_EN: 0
; COMPUTE_PGM_RSRC2:USER_SGPR: 6
; COMPUTE_PGM_RSRC2:TRAP_HANDLER: 0
; COMPUTE_PGM_RSRC2:TGID_X_EN: 1
; COMPUTE_PGM_RSRC2:TGID_Y_EN: 0
; COMPUTE_PGM_RSRC2:TGID_Z_EN: 0
; COMPUTE_PGM_RSRC2:TIDIG_COMP_CNT: 0
	.section	.text._ZN7rocprim17ROCPRIM_400000_NS6detail17trampoline_kernelINS0_14default_configENS1_27scan_by_key_config_selectorIxxEEZZNS1_16scan_by_key_implILNS1_25lookback_scan_determinismE0ELb1ES3_N6thrust23THRUST_200600_302600_NS6detail15normal_iteratorINS9_10device_ptrIxEEEESE_SE_xNS9_4plusIvEENS9_8equal_toIxEExEE10hipError_tPvRmT2_T3_T4_T5_mT6_T7_P12ihipStream_tbENKUlT_T0_E_clISt17integral_constantIbLb0EESY_IbLb1EEEEDaSU_SV_EUlSU_E_NS1_11comp_targetILNS1_3genE5ELNS1_11target_archE942ELNS1_3gpuE9ELNS1_3repE0EEENS1_30default_config_static_selectorELNS0_4arch9wavefront6targetE0EEEvT1_,"axG",@progbits,_ZN7rocprim17ROCPRIM_400000_NS6detail17trampoline_kernelINS0_14default_configENS1_27scan_by_key_config_selectorIxxEEZZNS1_16scan_by_key_implILNS1_25lookback_scan_determinismE0ELb1ES3_N6thrust23THRUST_200600_302600_NS6detail15normal_iteratorINS9_10device_ptrIxEEEESE_SE_xNS9_4plusIvEENS9_8equal_toIxEExEE10hipError_tPvRmT2_T3_T4_T5_mT6_T7_P12ihipStream_tbENKUlT_T0_E_clISt17integral_constantIbLb0EESY_IbLb1EEEEDaSU_SV_EUlSU_E_NS1_11comp_targetILNS1_3genE5ELNS1_11target_archE942ELNS1_3gpuE9ELNS1_3repE0EEENS1_30default_config_static_selectorELNS0_4arch9wavefront6targetE0EEEvT1_,comdat
	.protected	_ZN7rocprim17ROCPRIM_400000_NS6detail17trampoline_kernelINS0_14default_configENS1_27scan_by_key_config_selectorIxxEEZZNS1_16scan_by_key_implILNS1_25lookback_scan_determinismE0ELb1ES3_N6thrust23THRUST_200600_302600_NS6detail15normal_iteratorINS9_10device_ptrIxEEEESE_SE_xNS9_4plusIvEENS9_8equal_toIxEExEE10hipError_tPvRmT2_T3_T4_T5_mT6_T7_P12ihipStream_tbENKUlT_T0_E_clISt17integral_constantIbLb0EESY_IbLb1EEEEDaSU_SV_EUlSU_E_NS1_11comp_targetILNS1_3genE5ELNS1_11target_archE942ELNS1_3gpuE9ELNS1_3repE0EEENS1_30default_config_static_selectorELNS0_4arch9wavefront6targetE0EEEvT1_ ; -- Begin function _ZN7rocprim17ROCPRIM_400000_NS6detail17trampoline_kernelINS0_14default_configENS1_27scan_by_key_config_selectorIxxEEZZNS1_16scan_by_key_implILNS1_25lookback_scan_determinismE0ELb1ES3_N6thrust23THRUST_200600_302600_NS6detail15normal_iteratorINS9_10device_ptrIxEEEESE_SE_xNS9_4plusIvEENS9_8equal_toIxEExEE10hipError_tPvRmT2_T3_T4_T5_mT6_T7_P12ihipStream_tbENKUlT_T0_E_clISt17integral_constantIbLb0EESY_IbLb1EEEEDaSU_SV_EUlSU_E_NS1_11comp_targetILNS1_3genE5ELNS1_11target_archE942ELNS1_3gpuE9ELNS1_3repE0EEENS1_30default_config_static_selectorELNS0_4arch9wavefront6targetE0EEEvT1_
	.globl	_ZN7rocprim17ROCPRIM_400000_NS6detail17trampoline_kernelINS0_14default_configENS1_27scan_by_key_config_selectorIxxEEZZNS1_16scan_by_key_implILNS1_25lookback_scan_determinismE0ELb1ES3_N6thrust23THRUST_200600_302600_NS6detail15normal_iteratorINS9_10device_ptrIxEEEESE_SE_xNS9_4plusIvEENS9_8equal_toIxEExEE10hipError_tPvRmT2_T3_T4_T5_mT6_T7_P12ihipStream_tbENKUlT_T0_E_clISt17integral_constantIbLb0EESY_IbLb1EEEEDaSU_SV_EUlSU_E_NS1_11comp_targetILNS1_3genE5ELNS1_11target_archE942ELNS1_3gpuE9ELNS1_3repE0EEENS1_30default_config_static_selectorELNS0_4arch9wavefront6targetE0EEEvT1_
	.p2align	8
	.type	_ZN7rocprim17ROCPRIM_400000_NS6detail17trampoline_kernelINS0_14default_configENS1_27scan_by_key_config_selectorIxxEEZZNS1_16scan_by_key_implILNS1_25lookback_scan_determinismE0ELb1ES3_N6thrust23THRUST_200600_302600_NS6detail15normal_iteratorINS9_10device_ptrIxEEEESE_SE_xNS9_4plusIvEENS9_8equal_toIxEExEE10hipError_tPvRmT2_T3_T4_T5_mT6_T7_P12ihipStream_tbENKUlT_T0_E_clISt17integral_constantIbLb0EESY_IbLb1EEEEDaSU_SV_EUlSU_E_NS1_11comp_targetILNS1_3genE5ELNS1_11target_archE942ELNS1_3gpuE9ELNS1_3repE0EEENS1_30default_config_static_selectorELNS0_4arch9wavefront6targetE0EEEvT1_,@function
_ZN7rocprim17ROCPRIM_400000_NS6detail17trampoline_kernelINS0_14default_configENS1_27scan_by_key_config_selectorIxxEEZZNS1_16scan_by_key_implILNS1_25lookback_scan_determinismE0ELb1ES3_N6thrust23THRUST_200600_302600_NS6detail15normal_iteratorINS9_10device_ptrIxEEEESE_SE_xNS9_4plusIvEENS9_8equal_toIxEExEE10hipError_tPvRmT2_T3_T4_T5_mT6_T7_P12ihipStream_tbENKUlT_T0_E_clISt17integral_constantIbLb0EESY_IbLb1EEEEDaSU_SV_EUlSU_E_NS1_11comp_targetILNS1_3genE5ELNS1_11target_archE942ELNS1_3gpuE9ELNS1_3repE0EEENS1_30default_config_static_selectorELNS0_4arch9wavefront6targetE0EEEvT1_: ; @_ZN7rocprim17ROCPRIM_400000_NS6detail17trampoline_kernelINS0_14default_configENS1_27scan_by_key_config_selectorIxxEEZZNS1_16scan_by_key_implILNS1_25lookback_scan_determinismE0ELb1ES3_N6thrust23THRUST_200600_302600_NS6detail15normal_iteratorINS9_10device_ptrIxEEEESE_SE_xNS9_4plusIvEENS9_8equal_toIxEExEE10hipError_tPvRmT2_T3_T4_T5_mT6_T7_P12ihipStream_tbENKUlT_T0_E_clISt17integral_constantIbLb0EESY_IbLb1EEEEDaSU_SV_EUlSU_E_NS1_11comp_targetILNS1_3genE5ELNS1_11target_archE942ELNS1_3gpuE9ELNS1_3repE0EEENS1_30default_config_static_selectorELNS0_4arch9wavefront6targetE0EEEvT1_
; %bb.0:
	.section	.rodata,"a",@progbits
	.p2align	6, 0x0
	.amdhsa_kernel _ZN7rocprim17ROCPRIM_400000_NS6detail17trampoline_kernelINS0_14default_configENS1_27scan_by_key_config_selectorIxxEEZZNS1_16scan_by_key_implILNS1_25lookback_scan_determinismE0ELb1ES3_N6thrust23THRUST_200600_302600_NS6detail15normal_iteratorINS9_10device_ptrIxEEEESE_SE_xNS9_4plusIvEENS9_8equal_toIxEExEE10hipError_tPvRmT2_T3_T4_T5_mT6_T7_P12ihipStream_tbENKUlT_T0_E_clISt17integral_constantIbLb0EESY_IbLb1EEEEDaSU_SV_EUlSU_E_NS1_11comp_targetILNS1_3genE5ELNS1_11target_archE942ELNS1_3gpuE9ELNS1_3repE0EEENS1_30default_config_static_selectorELNS0_4arch9wavefront6targetE0EEEvT1_
		.amdhsa_group_segment_fixed_size 0
		.amdhsa_private_segment_fixed_size 0
		.amdhsa_kernarg_size 136
		.amdhsa_user_sgpr_count 6
		.amdhsa_user_sgpr_private_segment_buffer 1
		.amdhsa_user_sgpr_dispatch_ptr 0
		.amdhsa_user_sgpr_queue_ptr 0
		.amdhsa_user_sgpr_kernarg_segment_ptr 1
		.amdhsa_user_sgpr_dispatch_id 0
		.amdhsa_user_sgpr_flat_scratch_init 0
		.amdhsa_user_sgpr_private_segment_size 0
		.amdhsa_wavefront_size32 1
		.amdhsa_uses_dynamic_stack 0
		.amdhsa_system_sgpr_private_segment_wavefront_offset 0
		.amdhsa_system_sgpr_workgroup_id_x 1
		.amdhsa_system_sgpr_workgroup_id_y 0
		.amdhsa_system_sgpr_workgroup_id_z 0
		.amdhsa_system_sgpr_workgroup_info 0
		.amdhsa_system_vgpr_workitem_id 0
		.amdhsa_next_free_vgpr 1
		.amdhsa_next_free_sgpr 1
		.amdhsa_reserve_vcc 0
		.amdhsa_reserve_flat_scratch 0
		.amdhsa_float_round_mode_32 0
		.amdhsa_float_round_mode_16_64 0
		.amdhsa_float_denorm_mode_32 3
		.amdhsa_float_denorm_mode_16_64 3
		.amdhsa_dx10_clamp 1
		.amdhsa_ieee_mode 1
		.amdhsa_fp16_overflow 0
		.amdhsa_workgroup_processor_mode 1
		.amdhsa_memory_ordered 1
		.amdhsa_forward_progress 1
		.amdhsa_shared_vgpr_count 0
		.amdhsa_exception_fp_ieee_invalid_op 0
		.amdhsa_exception_fp_denorm_src 0
		.amdhsa_exception_fp_ieee_div_zero 0
		.amdhsa_exception_fp_ieee_overflow 0
		.amdhsa_exception_fp_ieee_underflow 0
		.amdhsa_exception_fp_ieee_inexact 0
		.amdhsa_exception_int_div_zero 0
	.end_amdhsa_kernel
	.section	.text._ZN7rocprim17ROCPRIM_400000_NS6detail17trampoline_kernelINS0_14default_configENS1_27scan_by_key_config_selectorIxxEEZZNS1_16scan_by_key_implILNS1_25lookback_scan_determinismE0ELb1ES3_N6thrust23THRUST_200600_302600_NS6detail15normal_iteratorINS9_10device_ptrIxEEEESE_SE_xNS9_4plusIvEENS9_8equal_toIxEExEE10hipError_tPvRmT2_T3_T4_T5_mT6_T7_P12ihipStream_tbENKUlT_T0_E_clISt17integral_constantIbLb0EESY_IbLb1EEEEDaSU_SV_EUlSU_E_NS1_11comp_targetILNS1_3genE5ELNS1_11target_archE942ELNS1_3gpuE9ELNS1_3repE0EEENS1_30default_config_static_selectorELNS0_4arch9wavefront6targetE0EEEvT1_,"axG",@progbits,_ZN7rocprim17ROCPRIM_400000_NS6detail17trampoline_kernelINS0_14default_configENS1_27scan_by_key_config_selectorIxxEEZZNS1_16scan_by_key_implILNS1_25lookback_scan_determinismE0ELb1ES3_N6thrust23THRUST_200600_302600_NS6detail15normal_iteratorINS9_10device_ptrIxEEEESE_SE_xNS9_4plusIvEENS9_8equal_toIxEExEE10hipError_tPvRmT2_T3_T4_T5_mT6_T7_P12ihipStream_tbENKUlT_T0_E_clISt17integral_constantIbLb0EESY_IbLb1EEEEDaSU_SV_EUlSU_E_NS1_11comp_targetILNS1_3genE5ELNS1_11target_archE942ELNS1_3gpuE9ELNS1_3repE0EEENS1_30default_config_static_selectorELNS0_4arch9wavefront6targetE0EEEvT1_,comdat
.Lfunc_end454:
	.size	_ZN7rocprim17ROCPRIM_400000_NS6detail17trampoline_kernelINS0_14default_configENS1_27scan_by_key_config_selectorIxxEEZZNS1_16scan_by_key_implILNS1_25lookback_scan_determinismE0ELb1ES3_N6thrust23THRUST_200600_302600_NS6detail15normal_iteratorINS9_10device_ptrIxEEEESE_SE_xNS9_4plusIvEENS9_8equal_toIxEExEE10hipError_tPvRmT2_T3_T4_T5_mT6_T7_P12ihipStream_tbENKUlT_T0_E_clISt17integral_constantIbLb0EESY_IbLb1EEEEDaSU_SV_EUlSU_E_NS1_11comp_targetILNS1_3genE5ELNS1_11target_archE942ELNS1_3gpuE9ELNS1_3repE0EEENS1_30default_config_static_selectorELNS0_4arch9wavefront6targetE0EEEvT1_, .Lfunc_end454-_ZN7rocprim17ROCPRIM_400000_NS6detail17trampoline_kernelINS0_14default_configENS1_27scan_by_key_config_selectorIxxEEZZNS1_16scan_by_key_implILNS1_25lookback_scan_determinismE0ELb1ES3_N6thrust23THRUST_200600_302600_NS6detail15normal_iteratorINS9_10device_ptrIxEEEESE_SE_xNS9_4plusIvEENS9_8equal_toIxEExEE10hipError_tPvRmT2_T3_T4_T5_mT6_T7_P12ihipStream_tbENKUlT_T0_E_clISt17integral_constantIbLb0EESY_IbLb1EEEEDaSU_SV_EUlSU_E_NS1_11comp_targetILNS1_3genE5ELNS1_11target_archE942ELNS1_3gpuE9ELNS1_3repE0EEENS1_30default_config_static_selectorELNS0_4arch9wavefront6targetE0EEEvT1_
                                        ; -- End function
	.set _ZN7rocprim17ROCPRIM_400000_NS6detail17trampoline_kernelINS0_14default_configENS1_27scan_by_key_config_selectorIxxEEZZNS1_16scan_by_key_implILNS1_25lookback_scan_determinismE0ELb1ES3_N6thrust23THRUST_200600_302600_NS6detail15normal_iteratorINS9_10device_ptrIxEEEESE_SE_xNS9_4plusIvEENS9_8equal_toIxEExEE10hipError_tPvRmT2_T3_T4_T5_mT6_T7_P12ihipStream_tbENKUlT_T0_E_clISt17integral_constantIbLb0EESY_IbLb1EEEEDaSU_SV_EUlSU_E_NS1_11comp_targetILNS1_3genE5ELNS1_11target_archE942ELNS1_3gpuE9ELNS1_3repE0EEENS1_30default_config_static_selectorELNS0_4arch9wavefront6targetE0EEEvT1_.num_vgpr, 0
	.set _ZN7rocprim17ROCPRIM_400000_NS6detail17trampoline_kernelINS0_14default_configENS1_27scan_by_key_config_selectorIxxEEZZNS1_16scan_by_key_implILNS1_25lookback_scan_determinismE0ELb1ES3_N6thrust23THRUST_200600_302600_NS6detail15normal_iteratorINS9_10device_ptrIxEEEESE_SE_xNS9_4plusIvEENS9_8equal_toIxEExEE10hipError_tPvRmT2_T3_T4_T5_mT6_T7_P12ihipStream_tbENKUlT_T0_E_clISt17integral_constantIbLb0EESY_IbLb1EEEEDaSU_SV_EUlSU_E_NS1_11comp_targetILNS1_3genE5ELNS1_11target_archE942ELNS1_3gpuE9ELNS1_3repE0EEENS1_30default_config_static_selectorELNS0_4arch9wavefront6targetE0EEEvT1_.num_agpr, 0
	.set _ZN7rocprim17ROCPRIM_400000_NS6detail17trampoline_kernelINS0_14default_configENS1_27scan_by_key_config_selectorIxxEEZZNS1_16scan_by_key_implILNS1_25lookback_scan_determinismE0ELb1ES3_N6thrust23THRUST_200600_302600_NS6detail15normal_iteratorINS9_10device_ptrIxEEEESE_SE_xNS9_4plusIvEENS9_8equal_toIxEExEE10hipError_tPvRmT2_T3_T4_T5_mT6_T7_P12ihipStream_tbENKUlT_T0_E_clISt17integral_constantIbLb0EESY_IbLb1EEEEDaSU_SV_EUlSU_E_NS1_11comp_targetILNS1_3genE5ELNS1_11target_archE942ELNS1_3gpuE9ELNS1_3repE0EEENS1_30default_config_static_selectorELNS0_4arch9wavefront6targetE0EEEvT1_.numbered_sgpr, 0
	.set _ZN7rocprim17ROCPRIM_400000_NS6detail17trampoline_kernelINS0_14default_configENS1_27scan_by_key_config_selectorIxxEEZZNS1_16scan_by_key_implILNS1_25lookback_scan_determinismE0ELb1ES3_N6thrust23THRUST_200600_302600_NS6detail15normal_iteratorINS9_10device_ptrIxEEEESE_SE_xNS9_4plusIvEENS9_8equal_toIxEExEE10hipError_tPvRmT2_T3_T4_T5_mT6_T7_P12ihipStream_tbENKUlT_T0_E_clISt17integral_constantIbLb0EESY_IbLb1EEEEDaSU_SV_EUlSU_E_NS1_11comp_targetILNS1_3genE5ELNS1_11target_archE942ELNS1_3gpuE9ELNS1_3repE0EEENS1_30default_config_static_selectorELNS0_4arch9wavefront6targetE0EEEvT1_.num_named_barrier, 0
	.set _ZN7rocprim17ROCPRIM_400000_NS6detail17trampoline_kernelINS0_14default_configENS1_27scan_by_key_config_selectorIxxEEZZNS1_16scan_by_key_implILNS1_25lookback_scan_determinismE0ELb1ES3_N6thrust23THRUST_200600_302600_NS6detail15normal_iteratorINS9_10device_ptrIxEEEESE_SE_xNS9_4plusIvEENS9_8equal_toIxEExEE10hipError_tPvRmT2_T3_T4_T5_mT6_T7_P12ihipStream_tbENKUlT_T0_E_clISt17integral_constantIbLb0EESY_IbLb1EEEEDaSU_SV_EUlSU_E_NS1_11comp_targetILNS1_3genE5ELNS1_11target_archE942ELNS1_3gpuE9ELNS1_3repE0EEENS1_30default_config_static_selectorELNS0_4arch9wavefront6targetE0EEEvT1_.private_seg_size, 0
	.set _ZN7rocprim17ROCPRIM_400000_NS6detail17trampoline_kernelINS0_14default_configENS1_27scan_by_key_config_selectorIxxEEZZNS1_16scan_by_key_implILNS1_25lookback_scan_determinismE0ELb1ES3_N6thrust23THRUST_200600_302600_NS6detail15normal_iteratorINS9_10device_ptrIxEEEESE_SE_xNS9_4plusIvEENS9_8equal_toIxEExEE10hipError_tPvRmT2_T3_T4_T5_mT6_T7_P12ihipStream_tbENKUlT_T0_E_clISt17integral_constantIbLb0EESY_IbLb1EEEEDaSU_SV_EUlSU_E_NS1_11comp_targetILNS1_3genE5ELNS1_11target_archE942ELNS1_3gpuE9ELNS1_3repE0EEENS1_30default_config_static_selectorELNS0_4arch9wavefront6targetE0EEEvT1_.uses_vcc, 0
	.set _ZN7rocprim17ROCPRIM_400000_NS6detail17trampoline_kernelINS0_14default_configENS1_27scan_by_key_config_selectorIxxEEZZNS1_16scan_by_key_implILNS1_25lookback_scan_determinismE0ELb1ES3_N6thrust23THRUST_200600_302600_NS6detail15normal_iteratorINS9_10device_ptrIxEEEESE_SE_xNS9_4plusIvEENS9_8equal_toIxEExEE10hipError_tPvRmT2_T3_T4_T5_mT6_T7_P12ihipStream_tbENKUlT_T0_E_clISt17integral_constantIbLb0EESY_IbLb1EEEEDaSU_SV_EUlSU_E_NS1_11comp_targetILNS1_3genE5ELNS1_11target_archE942ELNS1_3gpuE9ELNS1_3repE0EEENS1_30default_config_static_selectorELNS0_4arch9wavefront6targetE0EEEvT1_.uses_flat_scratch, 0
	.set _ZN7rocprim17ROCPRIM_400000_NS6detail17trampoline_kernelINS0_14default_configENS1_27scan_by_key_config_selectorIxxEEZZNS1_16scan_by_key_implILNS1_25lookback_scan_determinismE0ELb1ES3_N6thrust23THRUST_200600_302600_NS6detail15normal_iteratorINS9_10device_ptrIxEEEESE_SE_xNS9_4plusIvEENS9_8equal_toIxEExEE10hipError_tPvRmT2_T3_T4_T5_mT6_T7_P12ihipStream_tbENKUlT_T0_E_clISt17integral_constantIbLb0EESY_IbLb1EEEEDaSU_SV_EUlSU_E_NS1_11comp_targetILNS1_3genE5ELNS1_11target_archE942ELNS1_3gpuE9ELNS1_3repE0EEENS1_30default_config_static_selectorELNS0_4arch9wavefront6targetE0EEEvT1_.has_dyn_sized_stack, 0
	.set _ZN7rocprim17ROCPRIM_400000_NS6detail17trampoline_kernelINS0_14default_configENS1_27scan_by_key_config_selectorIxxEEZZNS1_16scan_by_key_implILNS1_25lookback_scan_determinismE0ELb1ES3_N6thrust23THRUST_200600_302600_NS6detail15normal_iteratorINS9_10device_ptrIxEEEESE_SE_xNS9_4plusIvEENS9_8equal_toIxEExEE10hipError_tPvRmT2_T3_T4_T5_mT6_T7_P12ihipStream_tbENKUlT_T0_E_clISt17integral_constantIbLb0EESY_IbLb1EEEEDaSU_SV_EUlSU_E_NS1_11comp_targetILNS1_3genE5ELNS1_11target_archE942ELNS1_3gpuE9ELNS1_3repE0EEENS1_30default_config_static_selectorELNS0_4arch9wavefront6targetE0EEEvT1_.has_recursion, 0
	.set _ZN7rocprim17ROCPRIM_400000_NS6detail17trampoline_kernelINS0_14default_configENS1_27scan_by_key_config_selectorIxxEEZZNS1_16scan_by_key_implILNS1_25lookback_scan_determinismE0ELb1ES3_N6thrust23THRUST_200600_302600_NS6detail15normal_iteratorINS9_10device_ptrIxEEEESE_SE_xNS9_4plusIvEENS9_8equal_toIxEExEE10hipError_tPvRmT2_T3_T4_T5_mT6_T7_P12ihipStream_tbENKUlT_T0_E_clISt17integral_constantIbLb0EESY_IbLb1EEEEDaSU_SV_EUlSU_E_NS1_11comp_targetILNS1_3genE5ELNS1_11target_archE942ELNS1_3gpuE9ELNS1_3repE0EEENS1_30default_config_static_selectorELNS0_4arch9wavefront6targetE0EEEvT1_.has_indirect_call, 0
	.section	.AMDGPU.csdata,"",@progbits
; Kernel info:
; codeLenInByte = 0
; TotalNumSgprs: 0
; NumVgprs: 0
; ScratchSize: 0
; MemoryBound: 0
; FloatMode: 240
; IeeeMode: 1
; LDSByteSize: 0 bytes/workgroup (compile time only)
; SGPRBlocks: 0
; VGPRBlocks: 0
; NumSGPRsForWavesPerEU: 1
; NumVGPRsForWavesPerEU: 1
; Occupancy: 16
; WaveLimiterHint : 0
; COMPUTE_PGM_RSRC2:SCRATCH_EN: 0
; COMPUTE_PGM_RSRC2:USER_SGPR: 6
; COMPUTE_PGM_RSRC2:TRAP_HANDLER: 0
; COMPUTE_PGM_RSRC2:TGID_X_EN: 1
; COMPUTE_PGM_RSRC2:TGID_Y_EN: 0
; COMPUTE_PGM_RSRC2:TGID_Z_EN: 0
; COMPUTE_PGM_RSRC2:TIDIG_COMP_CNT: 0
	.section	.text._ZN7rocprim17ROCPRIM_400000_NS6detail17trampoline_kernelINS0_14default_configENS1_27scan_by_key_config_selectorIxxEEZZNS1_16scan_by_key_implILNS1_25lookback_scan_determinismE0ELb1ES3_N6thrust23THRUST_200600_302600_NS6detail15normal_iteratorINS9_10device_ptrIxEEEESE_SE_xNS9_4plusIvEENS9_8equal_toIxEExEE10hipError_tPvRmT2_T3_T4_T5_mT6_T7_P12ihipStream_tbENKUlT_T0_E_clISt17integral_constantIbLb0EESY_IbLb1EEEEDaSU_SV_EUlSU_E_NS1_11comp_targetILNS1_3genE4ELNS1_11target_archE910ELNS1_3gpuE8ELNS1_3repE0EEENS1_30default_config_static_selectorELNS0_4arch9wavefront6targetE0EEEvT1_,"axG",@progbits,_ZN7rocprim17ROCPRIM_400000_NS6detail17trampoline_kernelINS0_14default_configENS1_27scan_by_key_config_selectorIxxEEZZNS1_16scan_by_key_implILNS1_25lookback_scan_determinismE0ELb1ES3_N6thrust23THRUST_200600_302600_NS6detail15normal_iteratorINS9_10device_ptrIxEEEESE_SE_xNS9_4plusIvEENS9_8equal_toIxEExEE10hipError_tPvRmT2_T3_T4_T5_mT6_T7_P12ihipStream_tbENKUlT_T0_E_clISt17integral_constantIbLb0EESY_IbLb1EEEEDaSU_SV_EUlSU_E_NS1_11comp_targetILNS1_3genE4ELNS1_11target_archE910ELNS1_3gpuE8ELNS1_3repE0EEENS1_30default_config_static_selectorELNS0_4arch9wavefront6targetE0EEEvT1_,comdat
	.protected	_ZN7rocprim17ROCPRIM_400000_NS6detail17trampoline_kernelINS0_14default_configENS1_27scan_by_key_config_selectorIxxEEZZNS1_16scan_by_key_implILNS1_25lookback_scan_determinismE0ELb1ES3_N6thrust23THRUST_200600_302600_NS6detail15normal_iteratorINS9_10device_ptrIxEEEESE_SE_xNS9_4plusIvEENS9_8equal_toIxEExEE10hipError_tPvRmT2_T3_T4_T5_mT6_T7_P12ihipStream_tbENKUlT_T0_E_clISt17integral_constantIbLb0EESY_IbLb1EEEEDaSU_SV_EUlSU_E_NS1_11comp_targetILNS1_3genE4ELNS1_11target_archE910ELNS1_3gpuE8ELNS1_3repE0EEENS1_30default_config_static_selectorELNS0_4arch9wavefront6targetE0EEEvT1_ ; -- Begin function _ZN7rocprim17ROCPRIM_400000_NS6detail17trampoline_kernelINS0_14default_configENS1_27scan_by_key_config_selectorIxxEEZZNS1_16scan_by_key_implILNS1_25lookback_scan_determinismE0ELb1ES3_N6thrust23THRUST_200600_302600_NS6detail15normal_iteratorINS9_10device_ptrIxEEEESE_SE_xNS9_4plusIvEENS9_8equal_toIxEExEE10hipError_tPvRmT2_T3_T4_T5_mT6_T7_P12ihipStream_tbENKUlT_T0_E_clISt17integral_constantIbLb0EESY_IbLb1EEEEDaSU_SV_EUlSU_E_NS1_11comp_targetILNS1_3genE4ELNS1_11target_archE910ELNS1_3gpuE8ELNS1_3repE0EEENS1_30default_config_static_selectorELNS0_4arch9wavefront6targetE0EEEvT1_
	.globl	_ZN7rocprim17ROCPRIM_400000_NS6detail17trampoline_kernelINS0_14default_configENS1_27scan_by_key_config_selectorIxxEEZZNS1_16scan_by_key_implILNS1_25lookback_scan_determinismE0ELb1ES3_N6thrust23THRUST_200600_302600_NS6detail15normal_iteratorINS9_10device_ptrIxEEEESE_SE_xNS9_4plusIvEENS9_8equal_toIxEExEE10hipError_tPvRmT2_T3_T4_T5_mT6_T7_P12ihipStream_tbENKUlT_T0_E_clISt17integral_constantIbLb0EESY_IbLb1EEEEDaSU_SV_EUlSU_E_NS1_11comp_targetILNS1_3genE4ELNS1_11target_archE910ELNS1_3gpuE8ELNS1_3repE0EEENS1_30default_config_static_selectorELNS0_4arch9wavefront6targetE0EEEvT1_
	.p2align	8
	.type	_ZN7rocprim17ROCPRIM_400000_NS6detail17trampoline_kernelINS0_14default_configENS1_27scan_by_key_config_selectorIxxEEZZNS1_16scan_by_key_implILNS1_25lookback_scan_determinismE0ELb1ES3_N6thrust23THRUST_200600_302600_NS6detail15normal_iteratorINS9_10device_ptrIxEEEESE_SE_xNS9_4plusIvEENS9_8equal_toIxEExEE10hipError_tPvRmT2_T3_T4_T5_mT6_T7_P12ihipStream_tbENKUlT_T0_E_clISt17integral_constantIbLb0EESY_IbLb1EEEEDaSU_SV_EUlSU_E_NS1_11comp_targetILNS1_3genE4ELNS1_11target_archE910ELNS1_3gpuE8ELNS1_3repE0EEENS1_30default_config_static_selectorELNS0_4arch9wavefront6targetE0EEEvT1_,@function
_ZN7rocprim17ROCPRIM_400000_NS6detail17trampoline_kernelINS0_14default_configENS1_27scan_by_key_config_selectorIxxEEZZNS1_16scan_by_key_implILNS1_25lookback_scan_determinismE0ELb1ES3_N6thrust23THRUST_200600_302600_NS6detail15normal_iteratorINS9_10device_ptrIxEEEESE_SE_xNS9_4plusIvEENS9_8equal_toIxEExEE10hipError_tPvRmT2_T3_T4_T5_mT6_T7_P12ihipStream_tbENKUlT_T0_E_clISt17integral_constantIbLb0EESY_IbLb1EEEEDaSU_SV_EUlSU_E_NS1_11comp_targetILNS1_3genE4ELNS1_11target_archE910ELNS1_3gpuE8ELNS1_3repE0EEENS1_30default_config_static_selectorELNS0_4arch9wavefront6targetE0EEEvT1_: ; @_ZN7rocprim17ROCPRIM_400000_NS6detail17trampoline_kernelINS0_14default_configENS1_27scan_by_key_config_selectorIxxEEZZNS1_16scan_by_key_implILNS1_25lookback_scan_determinismE0ELb1ES3_N6thrust23THRUST_200600_302600_NS6detail15normal_iteratorINS9_10device_ptrIxEEEESE_SE_xNS9_4plusIvEENS9_8equal_toIxEExEE10hipError_tPvRmT2_T3_T4_T5_mT6_T7_P12ihipStream_tbENKUlT_T0_E_clISt17integral_constantIbLb0EESY_IbLb1EEEEDaSU_SV_EUlSU_E_NS1_11comp_targetILNS1_3genE4ELNS1_11target_archE910ELNS1_3gpuE8ELNS1_3repE0EEENS1_30default_config_static_selectorELNS0_4arch9wavefront6targetE0EEEvT1_
; %bb.0:
	.section	.rodata,"a",@progbits
	.p2align	6, 0x0
	.amdhsa_kernel _ZN7rocprim17ROCPRIM_400000_NS6detail17trampoline_kernelINS0_14default_configENS1_27scan_by_key_config_selectorIxxEEZZNS1_16scan_by_key_implILNS1_25lookback_scan_determinismE0ELb1ES3_N6thrust23THRUST_200600_302600_NS6detail15normal_iteratorINS9_10device_ptrIxEEEESE_SE_xNS9_4plusIvEENS9_8equal_toIxEExEE10hipError_tPvRmT2_T3_T4_T5_mT6_T7_P12ihipStream_tbENKUlT_T0_E_clISt17integral_constantIbLb0EESY_IbLb1EEEEDaSU_SV_EUlSU_E_NS1_11comp_targetILNS1_3genE4ELNS1_11target_archE910ELNS1_3gpuE8ELNS1_3repE0EEENS1_30default_config_static_selectorELNS0_4arch9wavefront6targetE0EEEvT1_
		.amdhsa_group_segment_fixed_size 0
		.amdhsa_private_segment_fixed_size 0
		.amdhsa_kernarg_size 136
		.amdhsa_user_sgpr_count 6
		.amdhsa_user_sgpr_private_segment_buffer 1
		.amdhsa_user_sgpr_dispatch_ptr 0
		.amdhsa_user_sgpr_queue_ptr 0
		.amdhsa_user_sgpr_kernarg_segment_ptr 1
		.amdhsa_user_sgpr_dispatch_id 0
		.amdhsa_user_sgpr_flat_scratch_init 0
		.amdhsa_user_sgpr_private_segment_size 0
		.amdhsa_wavefront_size32 1
		.amdhsa_uses_dynamic_stack 0
		.amdhsa_system_sgpr_private_segment_wavefront_offset 0
		.amdhsa_system_sgpr_workgroup_id_x 1
		.amdhsa_system_sgpr_workgroup_id_y 0
		.amdhsa_system_sgpr_workgroup_id_z 0
		.amdhsa_system_sgpr_workgroup_info 0
		.amdhsa_system_vgpr_workitem_id 0
		.amdhsa_next_free_vgpr 1
		.amdhsa_next_free_sgpr 1
		.amdhsa_reserve_vcc 0
		.amdhsa_reserve_flat_scratch 0
		.amdhsa_float_round_mode_32 0
		.amdhsa_float_round_mode_16_64 0
		.amdhsa_float_denorm_mode_32 3
		.amdhsa_float_denorm_mode_16_64 3
		.amdhsa_dx10_clamp 1
		.amdhsa_ieee_mode 1
		.amdhsa_fp16_overflow 0
		.amdhsa_workgroup_processor_mode 1
		.amdhsa_memory_ordered 1
		.amdhsa_forward_progress 1
		.amdhsa_shared_vgpr_count 0
		.amdhsa_exception_fp_ieee_invalid_op 0
		.amdhsa_exception_fp_denorm_src 0
		.amdhsa_exception_fp_ieee_div_zero 0
		.amdhsa_exception_fp_ieee_overflow 0
		.amdhsa_exception_fp_ieee_underflow 0
		.amdhsa_exception_fp_ieee_inexact 0
		.amdhsa_exception_int_div_zero 0
	.end_amdhsa_kernel
	.section	.text._ZN7rocprim17ROCPRIM_400000_NS6detail17trampoline_kernelINS0_14default_configENS1_27scan_by_key_config_selectorIxxEEZZNS1_16scan_by_key_implILNS1_25lookback_scan_determinismE0ELb1ES3_N6thrust23THRUST_200600_302600_NS6detail15normal_iteratorINS9_10device_ptrIxEEEESE_SE_xNS9_4plusIvEENS9_8equal_toIxEExEE10hipError_tPvRmT2_T3_T4_T5_mT6_T7_P12ihipStream_tbENKUlT_T0_E_clISt17integral_constantIbLb0EESY_IbLb1EEEEDaSU_SV_EUlSU_E_NS1_11comp_targetILNS1_3genE4ELNS1_11target_archE910ELNS1_3gpuE8ELNS1_3repE0EEENS1_30default_config_static_selectorELNS0_4arch9wavefront6targetE0EEEvT1_,"axG",@progbits,_ZN7rocprim17ROCPRIM_400000_NS6detail17trampoline_kernelINS0_14default_configENS1_27scan_by_key_config_selectorIxxEEZZNS1_16scan_by_key_implILNS1_25lookback_scan_determinismE0ELb1ES3_N6thrust23THRUST_200600_302600_NS6detail15normal_iteratorINS9_10device_ptrIxEEEESE_SE_xNS9_4plusIvEENS9_8equal_toIxEExEE10hipError_tPvRmT2_T3_T4_T5_mT6_T7_P12ihipStream_tbENKUlT_T0_E_clISt17integral_constantIbLb0EESY_IbLb1EEEEDaSU_SV_EUlSU_E_NS1_11comp_targetILNS1_3genE4ELNS1_11target_archE910ELNS1_3gpuE8ELNS1_3repE0EEENS1_30default_config_static_selectorELNS0_4arch9wavefront6targetE0EEEvT1_,comdat
.Lfunc_end455:
	.size	_ZN7rocprim17ROCPRIM_400000_NS6detail17trampoline_kernelINS0_14default_configENS1_27scan_by_key_config_selectorIxxEEZZNS1_16scan_by_key_implILNS1_25lookback_scan_determinismE0ELb1ES3_N6thrust23THRUST_200600_302600_NS6detail15normal_iteratorINS9_10device_ptrIxEEEESE_SE_xNS9_4plusIvEENS9_8equal_toIxEExEE10hipError_tPvRmT2_T3_T4_T5_mT6_T7_P12ihipStream_tbENKUlT_T0_E_clISt17integral_constantIbLb0EESY_IbLb1EEEEDaSU_SV_EUlSU_E_NS1_11comp_targetILNS1_3genE4ELNS1_11target_archE910ELNS1_3gpuE8ELNS1_3repE0EEENS1_30default_config_static_selectorELNS0_4arch9wavefront6targetE0EEEvT1_, .Lfunc_end455-_ZN7rocprim17ROCPRIM_400000_NS6detail17trampoline_kernelINS0_14default_configENS1_27scan_by_key_config_selectorIxxEEZZNS1_16scan_by_key_implILNS1_25lookback_scan_determinismE0ELb1ES3_N6thrust23THRUST_200600_302600_NS6detail15normal_iteratorINS9_10device_ptrIxEEEESE_SE_xNS9_4plusIvEENS9_8equal_toIxEExEE10hipError_tPvRmT2_T3_T4_T5_mT6_T7_P12ihipStream_tbENKUlT_T0_E_clISt17integral_constantIbLb0EESY_IbLb1EEEEDaSU_SV_EUlSU_E_NS1_11comp_targetILNS1_3genE4ELNS1_11target_archE910ELNS1_3gpuE8ELNS1_3repE0EEENS1_30default_config_static_selectorELNS0_4arch9wavefront6targetE0EEEvT1_
                                        ; -- End function
	.set _ZN7rocprim17ROCPRIM_400000_NS6detail17trampoline_kernelINS0_14default_configENS1_27scan_by_key_config_selectorIxxEEZZNS1_16scan_by_key_implILNS1_25lookback_scan_determinismE0ELb1ES3_N6thrust23THRUST_200600_302600_NS6detail15normal_iteratorINS9_10device_ptrIxEEEESE_SE_xNS9_4plusIvEENS9_8equal_toIxEExEE10hipError_tPvRmT2_T3_T4_T5_mT6_T7_P12ihipStream_tbENKUlT_T0_E_clISt17integral_constantIbLb0EESY_IbLb1EEEEDaSU_SV_EUlSU_E_NS1_11comp_targetILNS1_3genE4ELNS1_11target_archE910ELNS1_3gpuE8ELNS1_3repE0EEENS1_30default_config_static_selectorELNS0_4arch9wavefront6targetE0EEEvT1_.num_vgpr, 0
	.set _ZN7rocprim17ROCPRIM_400000_NS6detail17trampoline_kernelINS0_14default_configENS1_27scan_by_key_config_selectorIxxEEZZNS1_16scan_by_key_implILNS1_25lookback_scan_determinismE0ELb1ES3_N6thrust23THRUST_200600_302600_NS6detail15normal_iteratorINS9_10device_ptrIxEEEESE_SE_xNS9_4plusIvEENS9_8equal_toIxEExEE10hipError_tPvRmT2_T3_T4_T5_mT6_T7_P12ihipStream_tbENKUlT_T0_E_clISt17integral_constantIbLb0EESY_IbLb1EEEEDaSU_SV_EUlSU_E_NS1_11comp_targetILNS1_3genE4ELNS1_11target_archE910ELNS1_3gpuE8ELNS1_3repE0EEENS1_30default_config_static_selectorELNS0_4arch9wavefront6targetE0EEEvT1_.num_agpr, 0
	.set _ZN7rocprim17ROCPRIM_400000_NS6detail17trampoline_kernelINS0_14default_configENS1_27scan_by_key_config_selectorIxxEEZZNS1_16scan_by_key_implILNS1_25lookback_scan_determinismE0ELb1ES3_N6thrust23THRUST_200600_302600_NS6detail15normal_iteratorINS9_10device_ptrIxEEEESE_SE_xNS9_4plusIvEENS9_8equal_toIxEExEE10hipError_tPvRmT2_T3_T4_T5_mT6_T7_P12ihipStream_tbENKUlT_T0_E_clISt17integral_constantIbLb0EESY_IbLb1EEEEDaSU_SV_EUlSU_E_NS1_11comp_targetILNS1_3genE4ELNS1_11target_archE910ELNS1_3gpuE8ELNS1_3repE0EEENS1_30default_config_static_selectorELNS0_4arch9wavefront6targetE0EEEvT1_.numbered_sgpr, 0
	.set _ZN7rocprim17ROCPRIM_400000_NS6detail17trampoline_kernelINS0_14default_configENS1_27scan_by_key_config_selectorIxxEEZZNS1_16scan_by_key_implILNS1_25lookback_scan_determinismE0ELb1ES3_N6thrust23THRUST_200600_302600_NS6detail15normal_iteratorINS9_10device_ptrIxEEEESE_SE_xNS9_4plusIvEENS9_8equal_toIxEExEE10hipError_tPvRmT2_T3_T4_T5_mT6_T7_P12ihipStream_tbENKUlT_T0_E_clISt17integral_constantIbLb0EESY_IbLb1EEEEDaSU_SV_EUlSU_E_NS1_11comp_targetILNS1_3genE4ELNS1_11target_archE910ELNS1_3gpuE8ELNS1_3repE0EEENS1_30default_config_static_selectorELNS0_4arch9wavefront6targetE0EEEvT1_.num_named_barrier, 0
	.set _ZN7rocprim17ROCPRIM_400000_NS6detail17trampoline_kernelINS0_14default_configENS1_27scan_by_key_config_selectorIxxEEZZNS1_16scan_by_key_implILNS1_25lookback_scan_determinismE0ELb1ES3_N6thrust23THRUST_200600_302600_NS6detail15normal_iteratorINS9_10device_ptrIxEEEESE_SE_xNS9_4plusIvEENS9_8equal_toIxEExEE10hipError_tPvRmT2_T3_T4_T5_mT6_T7_P12ihipStream_tbENKUlT_T0_E_clISt17integral_constantIbLb0EESY_IbLb1EEEEDaSU_SV_EUlSU_E_NS1_11comp_targetILNS1_3genE4ELNS1_11target_archE910ELNS1_3gpuE8ELNS1_3repE0EEENS1_30default_config_static_selectorELNS0_4arch9wavefront6targetE0EEEvT1_.private_seg_size, 0
	.set _ZN7rocprim17ROCPRIM_400000_NS6detail17trampoline_kernelINS0_14default_configENS1_27scan_by_key_config_selectorIxxEEZZNS1_16scan_by_key_implILNS1_25lookback_scan_determinismE0ELb1ES3_N6thrust23THRUST_200600_302600_NS6detail15normal_iteratorINS9_10device_ptrIxEEEESE_SE_xNS9_4plusIvEENS9_8equal_toIxEExEE10hipError_tPvRmT2_T3_T4_T5_mT6_T7_P12ihipStream_tbENKUlT_T0_E_clISt17integral_constantIbLb0EESY_IbLb1EEEEDaSU_SV_EUlSU_E_NS1_11comp_targetILNS1_3genE4ELNS1_11target_archE910ELNS1_3gpuE8ELNS1_3repE0EEENS1_30default_config_static_selectorELNS0_4arch9wavefront6targetE0EEEvT1_.uses_vcc, 0
	.set _ZN7rocprim17ROCPRIM_400000_NS6detail17trampoline_kernelINS0_14default_configENS1_27scan_by_key_config_selectorIxxEEZZNS1_16scan_by_key_implILNS1_25lookback_scan_determinismE0ELb1ES3_N6thrust23THRUST_200600_302600_NS6detail15normal_iteratorINS9_10device_ptrIxEEEESE_SE_xNS9_4plusIvEENS9_8equal_toIxEExEE10hipError_tPvRmT2_T3_T4_T5_mT6_T7_P12ihipStream_tbENKUlT_T0_E_clISt17integral_constantIbLb0EESY_IbLb1EEEEDaSU_SV_EUlSU_E_NS1_11comp_targetILNS1_3genE4ELNS1_11target_archE910ELNS1_3gpuE8ELNS1_3repE0EEENS1_30default_config_static_selectorELNS0_4arch9wavefront6targetE0EEEvT1_.uses_flat_scratch, 0
	.set _ZN7rocprim17ROCPRIM_400000_NS6detail17trampoline_kernelINS0_14default_configENS1_27scan_by_key_config_selectorIxxEEZZNS1_16scan_by_key_implILNS1_25lookback_scan_determinismE0ELb1ES3_N6thrust23THRUST_200600_302600_NS6detail15normal_iteratorINS9_10device_ptrIxEEEESE_SE_xNS9_4plusIvEENS9_8equal_toIxEExEE10hipError_tPvRmT2_T3_T4_T5_mT6_T7_P12ihipStream_tbENKUlT_T0_E_clISt17integral_constantIbLb0EESY_IbLb1EEEEDaSU_SV_EUlSU_E_NS1_11comp_targetILNS1_3genE4ELNS1_11target_archE910ELNS1_3gpuE8ELNS1_3repE0EEENS1_30default_config_static_selectorELNS0_4arch9wavefront6targetE0EEEvT1_.has_dyn_sized_stack, 0
	.set _ZN7rocprim17ROCPRIM_400000_NS6detail17trampoline_kernelINS0_14default_configENS1_27scan_by_key_config_selectorIxxEEZZNS1_16scan_by_key_implILNS1_25lookback_scan_determinismE0ELb1ES3_N6thrust23THRUST_200600_302600_NS6detail15normal_iteratorINS9_10device_ptrIxEEEESE_SE_xNS9_4plusIvEENS9_8equal_toIxEExEE10hipError_tPvRmT2_T3_T4_T5_mT6_T7_P12ihipStream_tbENKUlT_T0_E_clISt17integral_constantIbLb0EESY_IbLb1EEEEDaSU_SV_EUlSU_E_NS1_11comp_targetILNS1_3genE4ELNS1_11target_archE910ELNS1_3gpuE8ELNS1_3repE0EEENS1_30default_config_static_selectorELNS0_4arch9wavefront6targetE0EEEvT1_.has_recursion, 0
	.set _ZN7rocprim17ROCPRIM_400000_NS6detail17trampoline_kernelINS0_14default_configENS1_27scan_by_key_config_selectorIxxEEZZNS1_16scan_by_key_implILNS1_25lookback_scan_determinismE0ELb1ES3_N6thrust23THRUST_200600_302600_NS6detail15normal_iteratorINS9_10device_ptrIxEEEESE_SE_xNS9_4plusIvEENS9_8equal_toIxEExEE10hipError_tPvRmT2_T3_T4_T5_mT6_T7_P12ihipStream_tbENKUlT_T0_E_clISt17integral_constantIbLb0EESY_IbLb1EEEEDaSU_SV_EUlSU_E_NS1_11comp_targetILNS1_3genE4ELNS1_11target_archE910ELNS1_3gpuE8ELNS1_3repE0EEENS1_30default_config_static_selectorELNS0_4arch9wavefront6targetE0EEEvT1_.has_indirect_call, 0
	.section	.AMDGPU.csdata,"",@progbits
; Kernel info:
; codeLenInByte = 0
; TotalNumSgprs: 0
; NumVgprs: 0
; ScratchSize: 0
; MemoryBound: 0
; FloatMode: 240
; IeeeMode: 1
; LDSByteSize: 0 bytes/workgroup (compile time only)
; SGPRBlocks: 0
; VGPRBlocks: 0
; NumSGPRsForWavesPerEU: 1
; NumVGPRsForWavesPerEU: 1
; Occupancy: 16
; WaveLimiterHint : 0
; COMPUTE_PGM_RSRC2:SCRATCH_EN: 0
; COMPUTE_PGM_RSRC2:USER_SGPR: 6
; COMPUTE_PGM_RSRC2:TRAP_HANDLER: 0
; COMPUTE_PGM_RSRC2:TGID_X_EN: 1
; COMPUTE_PGM_RSRC2:TGID_Y_EN: 0
; COMPUTE_PGM_RSRC2:TGID_Z_EN: 0
; COMPUTE_PGM_RSRC2:TIDIG_COMP_CNT: 0
	.section	.text._ZN7rocprim17ROCPRIM_400000_NS6detail17trampoline_kernelINS0_14default_configENS1_27scan_by_key_config_selectorIxxEEZZNS1_16scan_by_key_implILNS1_25lookback_scan_determinismE0ELb1ES3_N6thrust23THRUST_200600_302600_NS6detail15normal_iteratorINS9_10device_ptrIxEEEESE_SE_xNS9_4plusIvEENS9_8equal_toIxEExEE10hipError_tPvRmT2_T3_T4_T5_mT6_T7_P12ihipStream_tbENKUlT_T0_E_clISt17integral_constantIbLb0EESY_IbLb1EEEEDaSU_SV_EUlSU_E_NS1_11comp_targetILNS1_3genE3ELNS1_11target_archE908ELNS1_3gpuE7ELNS1_3repE0EEENS1_30default_config_static_selectorELNS0_4arch9wavefront6targetE0EEEvT1_,"axG",@progbits,_ZN7rocprim17ROCPRIM_400000_NS6detail17trampoline_kernelINS0_14default_configENS1_27scan_by_key_config_selectorIxxEEZZNS1_16scan_by_key_implILNS1_25lookback_scan_determinismE0ELb1ES3_N6thrust23THRUST_200600_302600_NS6detail15normal_iteratorINS9_10device_ptrIxEEEESE_SE_xNS9_4plusIvEENS9_8equal_toIxEExEE10hipError_tPvRmT2_T3_T4_T5_mT6_T7_P12ihipStream_tbENKUlT_T0_E_clISt17integral_constantIbLb0EESY_IbLb1EEEEDaSU_SV_EUlSU_E_NS1_11comp_targetILNS1_3genE3ELNS1_11target_archE908ELNS1_3gpuE7ELNS1_3repE0EEENS1_30default_config_static_selectorELNS0_4arch9wavefront6targetE0EEEvT1_,comdat
	.protected	_ZN7rocprim17ROCPRIM_400000_NS6detail17trampoline_kernelINS0_14default_configENS1_27scan_by_key_config_selectorIxxEEZZNS1_16scan_by_key_implILNS1_25lookback_scan_determinismE0ELb1ES3_N6thrust23THRUST_200600_302600_NS6detail15normal_iteratorINS9_10device_ptrIxEEEESE_SE_xNS9_4plusIvEENS9_8equal_toIxEExEE10hipError_tPvRmT2_T3_T4_T5_mT6_T7_P12ihipStream_tbENKUlT_T0_E_clISt17integral_constantIbLb0EESY_IbLb1EEEEDaSU_SV_EUlSU_E_NS1_11comp_targetILNS1_3genE3ELNS1_11target_archE908ELNS1_3gpuE7ELNS1_3repE0EEENS1_30default_config_static_selectorELNS0_4arch9wavefront6targetE0EEEvT1_ ; -- Begin function _ZN7rocprim17ROCPRIM_400000_NS6detail17trampoline_kernelINS0_14default_configENS1_27scan_by_key_config_selectorIxxEEZZNS1_16scan_by_key_implILNS1_25lookback_scan_determinismE0ELb1ES3_N6thrust23THRUST_200600_302600_NS6detail15normal_iteratorINS9_10device_ptrIxEEEESE_SE_xNS9_4plusIvEENS9_8equal_toIxEExEE10hipError_tPvRmT2_T3_T4_T5_mT6_T7_P12ihipStream_tbENKUlT_T0_E_clISt17integral_constantIbLb0EESY_IbLb1EEEEDaSU_SV_EUlSU_E_NS1_11comp_targetILNS1_3genE3ELNS1_11target_archE908ELNS1_3gpuE7ELNS1_3repE0EEENS1_30default_config_static_selectorELNS0_4arch9wavefront6targetE0EEEvT1_
	.globl	_ZN7rocprim17ROCPRIM_400000_NS6detail17trampoline_kernelINS0_14default_configENS1_27scan_by_key_config_selectorIxxEEZZNS1_16scan_by_key_implILNS1_25lookback_scan_determinismE0ELb1ES3_N6thrust23THRUST_200600_302600_NS6detail15normal_iteratorINS9_10device_ptrIxEEEESE_SE_xNS9_4plusIvEENS9_8equal_toIxEExEE10hipError_tPvRmT2_T3_T4_T5_mT6_T7_P12ihipStream_tbENKUlT_T0_E_clISt17integral_constantIbLb0EESY_IbLb1EEEEDaSU_SV_EUlSU_E_NS1_11comp_targetILNS1_3genE3ELNS1_11target_archE908ELNS1_3gpuE7ELNS1_3repE0EEENS1_30default_config_static_selectorELNS0_4arch9wavefront6targetE0EEEvT1_
	.p2align	8
	.type	_ZN7rocprim17ROCPRIM_400000_NS6detail17trampoline_kernelINS0_14default_configENS1_27scan_by_key_config_selectorIxxEEZZNS1_16scan_by_key_implILNS1_25lookback_scan_determinismE0ELb1ES3_N6thrust23THRUST_200600_302600_NS6detail15normal_iteratorINS9_10device_ptrIxEEEESE_SE_xNS9_4plusIvEENS9_8equal_toIxEExEE10hipError_tPvRmT2_T3_T4_T5_mT6_T7_P12ihipStream_tbENKUlT_T0_E_clISt17integral_constantIbLb0EESY_IbLb1EEEEDaSU_SV_EUlSU_E_NS1_11comp_targetILNS1_3genE3ELNS1_11target_archE908ELNS1_3gpuE7ELNS1_3repE0EEENS1_30default_config_static_selectorELNS0_4arch9wavefront6targetE0EEEvT1_,@function
_ZN7rocprim17ROCPRIM_400000_NS6detail17trampoline_kernelINS0_14default_configENS1_27scan_by_key_config_selectorIxxEEZZNS1_16scan_by_key_implILNS1_25lookback_scan_determinismE0ELb1ES3_N6thrust23THRUST_200600_302600_NS6detail15normal_iteratorINS9_10device_ptrIxEEEESE_SE_xNS9_4plusIvEENS9_8equal_toIxEExEE10hipError_tPvRmT2_T3_T4_T5_mT6_T7_P12ihipStream_tbENKUlT_T0_E_clISt17integral_constantIbLb0EESY_IbLb1EEEEDaSU_SV_EUlSU_E_NS1_11comp_targetILNS1_3genE3ELNS1_11target_archE908ELNS1_3gpuE7ELNS1_3repE0EEENS1_30default_config_static_selectorELNS0_4arch9wavefront6targetE0EEEvT1_: ; @_ZN7rocprim17ROCPRIM_400000_NS6detail17trampoline_kernelINS0_14default_configENS1_27scan_by_key_config_selectorIxxEEZZNS1_16scan_by_key_implILNS1_25lookback_scan_determinismE0ELb1ES3_N6thrust23THRUST_200600_302600_NS6detail15normal_iteratorINS9_10device_ptrIxEEEESE_SE_xNS9_4plusIvEENS9_8equal_toIxEExEE10hipError_tPvRmT2_T3_T4_T5_mT6_T7_P12ihipStream_tbENKUlT_T0_E_clISt17integral_constantIbLb0EESY_IbLb1EEEEDaSU_SV_EUlSU_E_NS1_11comp_targetILNS1_3genE3ELNS1_11target_archE908ELNS1_3gpuE7ELNS1_3repE0EEENS1_30default_config_static_selectorELNS0_4arch9wavefront6targetE0EEEvT1_
; %bb.0:
	.section	.rodata,"a",@progbits
	.p2align	6, 0x0
	.amdhsa_kernel _ZN7rocprim17ROCPRIM_400000_NS6detail17trampoline_kernelINS0_14default_configENS1_27scan_by_key_config_selectorIxxEEZZNS1_16scan_by_key_implILNS1_25lookback_scan_determinismE0ELb1ES3_N6thrust23THRUST_200600_302600_NS6detail15normal_iteratorINS9_10device_ptrIxEEEESE_SE_xNS9_4plusIvEENS9_8equal_toIxEExEE10hipError_tPvRmT2_T3_T4_T5_mT6_T7_P12ihipStream_tbENKUlT_T0_E_clISt17integral_constantIbLb0EESY_IbLb1EEEEDaSU_SV_EUlSU_E_NS1_11comp_targetILNS1_3genE3ELNS1_11target_archE908ELNS1_3gpuE7ELNS1_3repE0EEENS1_30default_config_static_selectorELNS0_4arch9wavefront6targetE0EEEvT1_
		.amdhsa_group_segment_fixed_size 0
		.amdhsa_private_segment_fixed_size 0
		.amdhsa_kernarg_size 136
		.amdhsa_user_sgpr_count 6
		.amdhsa_user_sgpr_private_segment_buffer 1
		.amdhsa_user_sgpr_dispatch_ptr 0
		.amdhsa_user_sgpr_queue_ptr 0
		.amdhsa_user_sgpr_kernarg_segment_ptr 1
		.amdhsa_user_sgpr_dispatch_id 0
		.amdhsa_user_sgpr_flat_scratch_init 0
		.amdhsa_user_sgpr_private_segment_size 0
		.amdhsa_wavefront_size32 1
		.amdhsa_uses_dynamic_stack 0
		.amdhsa_system_sgpr_private_segment_wavefront_offset 0
		.amdhsa_system_sgpr_workgroup_id_x 1
		.amdhsa_system_sgpr_workgroup_id_y 0
		.amdhsa_system_sgpr_workgroup_id_z 0
		.amdhsa_system_sgpr_workgroup_info 0
		.amdhsa_system_vgpr_workitem_id 0
		.amdhsa_next_free_vgpr 1
		.amdhsa_next_free_sgpr 1
		.amdhsa_reserve_vcc 0
		.amdhsa_reserve_flat_scratch 0
		.amdhsa_float_round_mode_32 0
		.amdhsa_float_round_mode_16_64 0
		.amdhsa_float_denorm_mode_32 3
		.amdhsa_float_denorm_mode_16_64 3
		.amdhsa_dx10_clamp 1
		.amdhsa_ieee_mode 1
		.amdhsa_fp16_overflow 0
		.amdhsa_workgroup_processor_mode 1
		.amdhsa_memory_ordered 1
		.amdhsa_forward_progress 1
		.amdhsa_shared_vgpr_count 0
		.amdhsa_exception_fp_ieee_invalid_op 0
		.amdhsa_exception_fp_denorm_src 0
		.amdhsa_exception_fp_ieee_div_zero 0
		.amdhsa_exception_fp_ieee_overflow 0
		.amdhsa_exception_fp_ieee_underflow 0
		.amdhsa_exception_fp_ieee_inexact 0
		.amdhsa_exception_int_div_zero 0
	.end_amdhsa_kernel
	.section	.text._ZN7rocprim17ROCPRIM_400000_NS6detail17trampoline_kernelINS0_14default_configENS1_27scan_by_key_config_selectorIxxEEZZNS1_16scan_by_key_implILNS1_25lookback_scan_determinismE0ELb1ES3_N6thrust23THRUST_200600_302600_NS6detail15normal_iteratorINS9_10device_ptrIxEEEESE_SE_xNS9_4plusIvEENS9_8equal_toIxEExEE10hipError_tPvRmT2_T3_T4_T5_mT6_T7_P12ihipStream_tbENKUlT_T0_E_clISt17integral_constantIbLb0EESY_IbLb1EEEEDaSU_SV_EUlSU_E_NS1_11comp_targetILNS1_3genE3ELNS1_11target_archE908ELNS1_3gpuE7ELNS1_3repE0EEENS1_30default_config_static_selectorELNS0_4arch9wavefront6targetE0EEEvT1_,"axG",@progbits,_ZN7rocprim17ROCPRIM_400000_NS6detail17trampoline_kernelINS0_14default_configENS1_27scan_by_key_config_selectorIxxEEZZNS1_16scan_by_key_implILNS1_25lookback_scan_determinismE0ELb1ES3_N6thrust23THRUST_200600_302600_NS6detail15normal_iteratorINS9_10device_ptrIxEEEESE_SE_xNS9_4plusIvEENS9_8equal_toIxEExEE10hipError_tPvRmT2_T3_T4_T5_mT6_T7_P12ihipStream_tbENKUlT_T0_E_clISt17integral_constantIbLb0EESY_IbLb1EEEEDaSU_SV_EUlSU_E_NS1_11comp_targetILNS1_3genE3ELNS1_11target_archE908ELNS1_3gpuE7ELNS1_3repE0EEENS1_30default_config_static_selectorELNS0_4arch9wavefront6targetE0EEEvT1_,comdat
.Lfunc_end456:
	.size	_ZN7rocprim17ROCPRIM_400000_NS6detail17trampoline_kernelINS0_14default_configENS1_27scan_by_key_config_selectorIxxEEZZNS1_16scan_by_key_implILNS1_25lookback_scan_determinismE0ELb1ES3_N6thrust23THRUST_200600_302600_NS6detail15normal_iteratorINS9_10device_ptrIxEEEESE_SE_xNS9_4plusIvEENS9_8equal_toIxEExEE10hipError_tPvRmT2_T3_T4_T5_mT6_T7_P12ihipStream_tbENKUlT_T0_E_clISt17integral_constantIbLb0EESY_IbLb1EEEEDaSU_SV_EUlSU_E_NS1_11comp_targetILNS1_3genE3ELNS1_11target_archE908ELNS1_3gpuE7ELNS1_3repE0EEENS1_30default_config_static_selectorELNS0_4arch9wavefront6targetE0EEEvT1_, .Lfunc_end456-_ZN7rocprim17ROCPRIM_400000_NS6detail17trampoline_kernelINS0_14default_configENS1_27scan_by_key_config_selectorIxxEEZZNS1_16scan_by_key_implILNS1_25lookback_scan_determinismE0ELb1ES3_N6thrust23THRUST_200600_302600_NS6detail15normal_iteratorINS9_10device_ptrIxEEEESE_SE_xNS9_4plusIvEENS9_8equal_toIxEExEE10hipError_tPvRmT2_T3_T4_T5_mT6_T7_P12ihipStream_tbENKUlT_T0_E_clISt17integral_constantIbLb0EESY_IbLb1EEEEDaSU_SV_EUlSU_E_NS1_11comp_targetILNS1_3genE3ELNS1_11target_archE908ELNS1_3gpuE7ELNS1_3repE0EEENS1_30default_config_static_selectorELNS0_4arch9wavefront6targetE0EEEvT1_
                                        ; -- End function
	.set _ZN7rocprim17ROCPRIM_400000_NS6detail17trampoline_kernelINS0_14default_configENS1_27scan_by_key_config_selectorIxxEEZZNS1_16scan_by_key_implILNS1_25lookback_scan_determinismE0ELb1ES3_N6thrust23THRUST_200600_302600_NS6detail15normal_iteratorINS9_10device_ptrIxEEEESE_SE_xNS9_4plusIvEENS9_8equal_toIxEExEE10hipError_tPvRmT2_T3_T4_T5_mT6_T7_P12ihipStream_tbENKUlT_T0_E_clISt17integral_constantIbLb0EESY_IbLb1EEEEDaSU_SV_EUlSU_E_NS1_11comp_targetILNS1_3genE3ELNS1_11target_archE908ELNS1_3gpuE7ELNS1_3repE0EEENS1_30default_config_static_selectorELNS0_4arch9wavefront6targetE0EEEvT1_.num_vgpr, 0
	.set _ZN7rocprim17ROCPRIM_400000_NS6detail17trampoline_kernelINS0_14default_configENS1_27scan_by_key_config_selectorIxxEEZZNS1_16scan_by_key_implILNS1_25lookback_scan_determinismE0ELb1ES3_N6thrust23THRUST_200600_302600_NS6detail15normal_iteratorINS9_10device_ptrIxEEEESE_SE_xNS9_4plusIvEENS9_8equal_toIxEExEE10hipError_tPvRmT2_T3_T4_T5_mT6_T7_P12ihipStream_tbENKUlT_T0_E_clISt17integral_constantIbLb0EESY_IbLb1EEEEDaSU_SV_EUlSU_E_NS1_11comp_targetILNS1_3genE3ELNS1_11target_archE908ELNS1_3gpuE7ELNS1_3repE0EEENS1_30default_config_static_selectorELNS0_4arch9wavefront6targetE0EEEvT1_.num_agpr, 0
	.set _ZN7rocprim17ROCPRIM_400000_NS6detail17trampoline_kernelINS0_14default_configENS1_27scan_by_key_config_selectorIxxEEZZNS1_16scan_by_key_implILNS1_25lookback_scan_determinismE0ELb1ES3_N6thrust23THRUST_200600_302600_NS6detail15normal_iteratorINS9_10device_ptrIxEEEESE_SE_xNS9_4plusIvEENS9_8equal_toIxEExEE10hipError_tPvRmT2_T3_T4_T5_mT6_T7_P12ihipStream_tbENKUlT_T0_E_clISt17integral_constantIbLb0EESY_IbLb1EEEEDaSU_SV_EUlSU_E_NS1_11comp_targetILNS1_3genE3ELNS1_11target_archE908ELNS1_3gpuE7ELNS1_3repE0EEENS1_30default_config_static_selectorELNS0_4arch9wavefront6targetE0EEEvT1_.numbered_sgpr, 0
	.set _ZN7rocprim17ROCPRIM_400000_NS6detail17trampoline_kernelINS0_14default_configENS1_27scan_by_key_config_selectorIxxEEZZNS1_16scan_by_key_implILNS1_25lookback_scan_determinismE0ELb1ES3_N6thrust23THRUST_200600_302600_NS6detail15normal_iteratorINS9_10device_ptrIxEEEESE_SE_xNS9_4plusIvEENS9_8equal_toIxEExEE10hipError_tPvRmT2_T3_T4_T5_mT6_T7_P12ihipStream_tbENKUlT_T0_E_clISt17integral_constantIbLb0EESY_IbLb1EEEEDaSU_SV_EUlSU_E_NS1_11comp_targetILNS1_3genE3ELNS1_11target_archE908ELNS1_3gpuE7ELNS1_3repE0EEENS1_30default_config_static_selectorELNS0_4arch9wavefront6targetE0EEEvT1_.num_named_barrier, 0
	.set _ZN7rocprim17ROCPRIM_400000_NS6detail17trampoline_kernelINS0_14default_configENS1_27scan_by_key_config_selectorIxxEEZZNS1_16scan_by_key_implILNS1_25lookback_scan_determinismE0ELb1ES3_N6thrust23THRUST_200600_302600_NS6detail15normal_iteratorINS9_10device_ptrIxEEEESE_SE_xNS9_4plusIvEENS9_8equal_toIxEExEE10hipError_tPvRmT2_T3_T4_T5_mT6_T7_P12ihipStream_tbENKUlT_T0_E_clISt17integral_constantIbLb0EESY_IbLb1EEEEDaSU_SV_EUlSU_E_NS1_11comp_targetILNS1_3genE3ELNS1_11target_archE908ELNS1_3gpuE7ELNS1_3repE0EEENS1_30default_config_static_selectorELNS0_4arch9wavefront6targetE0EEEvT1_.private_seg_size, 0
	.set _ZN7rocprim17ROCPRIM_400000_NS6detail17trampoline_kernelINS0_14default_configENS1_27scan_by_key_config_selectorIxxEEZZNS1_16scan_by_key_implILNS1_25lookback_scan_determinismE0ELb1ES3_N6thrust23THRUST_200600_302600_NS6detail15normal_iteratorINS9_10device_ptrIxEEEESE_SE_xNS9_4plusIvEENS9_8equal_toIxEExEE10hipError_tPvRmT2_T3_T4_T5_mT6_T7_P12ihipStream_tbENKUlT_T0_E_clISt17integral_constantIbLb0EESY_IbLb1EEEEDaSU_SV_EUlSU_E_NS1_11comp_targetILNS1_3genE3ELNS1_11target_archE908ELNS1_3gpuE7ELNS1_3repE0EEENS1_30default_config_static_selectorELNS0_4arch9wavefront6targetE0EEEvT1_.uses_vcc, 0
	.set _ZN7rocprim17ROCPRIM_400000_NS6detail17trampoline_kernelINS0_14default_configENS1_27scan_by_key_config_selectorIxxEEZZNS1_16scan_by_key_implILNS1_25lookback_scan_determinismE0ELb1ES3_N6thrust23THRUST_200600_302600_NS6detail15normal_iteratorINS9_10device_ptrIxEEEESE_SE_xNS9_4plusIvEENS9_8equal_toIxEExEE10hipError_tPvRmT2_T3_T4_T5_mT6_T7_P12ihipStream_tbENKUlT_T0_E_clISt17integral_constantIbLb0EESY_IbLb1EEEEDaSU_SV_EUlSU_E_NS1_11comp_targetILNS1_3genE3ELNS1_11target_archE908ELNS1_3gpuE7ELNS1_3repE0EEENS1_30default_config_static_selectorELNS0_4arch9wavefront6targetE0EEEvT1_.uses_flat_scratch, 0
	.set _ZN7rocprim17ROCPRIM_400000_NS6detail17trampoline_kernelINS0_14default_configENS1_27scan_by_key_config_selectorIxxEEZZNS1_16scan_by_key_implILNS1_25lookback_scan_determinismE0ELb1ES3_N6thrust23THRUST_200600_302600_NS6detail15normal_iteratorINS9_10device_ptrIxEEEESE_SE_xNS9_4plusIvEENS9_8equal_toIxEExEE10hipError_tPvRmT2_T3_T4_T5_mT6_T7_P12ihipStream_tbENKUlT_T0_E_clISt17integral_constantIbLb0EESY_IbLb1EEEEDaSU_SV_EUlSU_E_NS1_11comp_targetILNS1_3genE3ELNS1_11target_archE908ELNS1_3gpuE7ELNS1_3repE0EEENS1_30default_config_static_selectorELNS0_4arch9wavefront6targetE0EEEvT1_.has_dyn_sized_stack, 0
	.set _ZN7rocprim17ROCPRIM_400000_NS6detail17trampoline_kernelINS0_14default_configENS1_27scan_by_key_config_selectorIxxEEZZNS1_16scan_by_key_implILNS1_25lookback_scan_determinismE0ELb1ES3_N6thrust23THRUST_200600_302600_NS6detail15normal_iteratorINS9_10device_ptrIxEEEESE_SE_xNS9_4plusIvEENS9_8equal_toIxEExEE10hipError_tPvRmT2_T3_T4_T5_mT6_T7_P12ihipStream_tbENKUlT_T0_E_clISt17integral_constantIbLb0EESY_IbLb1EEEEDaSU_SV_EUlSU_E_NS1_11comp_targetILNS1_3genE3ELNS1_11target_archE908ELNS1_3gpuE7ELNS1_3repE0EEENS1_30default_config_static_selectorELNS0_4arch9wavefront6targetE0EEEvT1_.has_recursion, 0
	.set _ZN7rocprim17ROCPRIM_400000_NS6detail17trampoline_kernelINS0_14default_configENS1_27scan_by_key_config_selectorIxxEEZZNS1_16scan_by_key_implILNS1_25lookback_scan_determinismE0ELb1ES3_N6thrust23THRUST_200600_302600_NS6detail15normal_iteratorINS9_10device_ptrIxEEEESE_SE_xNS9_4plusIvEENS9_8equal_toIxEExEE10hipError_tPvRmT2_T3_T4_T5_mT6_T7_P12ihipStream_tbENKUlT_T0_E_clISt17integral_constantIbLb0EESY_IbLb1EEEEDaSU_SV_EUlSU_E_NS1_11comp_targetILNS1_3genE3ELNS1_11target_archE908ELNS1_3gpuE7ELNS1_3repE0EEENS1_30default_config_static_selectorELNS0_4arch9wavefront6targetE0EEEvT1_.has_indirect_call, 0
	.section	.AMDGPU.csdata,"",@progbits
; Kernel info:
; codeLenInByte = 0
; TotalNumSgprs: 0
; NumVgprs: 0
; ScratchSize: 0
; MemoryBound: 0
; FloatMode: 240
; IeeeMode: 1
; LDSByteSize: 0 bytes/workgroup (compile time only)
; SGPRBlocks: 0
; VGPRBlocks: 0
; NumSGPRsForWavesPerEU: 1
; NumVGPRsForWavesPerEU: 1
; Occupancy: 16
; WaveLimiterHint : 0
; COMPUTE_PGM_RSRC2:SCRATCH_EN: 0
; COMPUTE_PGM_RSRC2:USER_SGPR: 6
; COMPUTE_PGM_RSRC2:TRAP_HANDLER: 0
; COMPUTE_PGM_RSRC2:TGID_X_EN: 1
; COMPUTE_PGM_RSRC2:TGID_Y_EN: 0
; COMPUTE_PGM_RSRC2:TGID_Z_EN: 0
; COMPUTE_PGM_RSRC2:TIDIG_COMP_CNT: 0
	.section	.text._ZN7rocprim17ROCPRIM_400000_NS6detail17trampoline_kernelINS0_14default_configENS1_27scan_by_key_config_selectorIxxEEZZNS1_16scan_by_key_implILNS1_25lookback_scan_determinismE0ELb1ES3_N6thrust23THRUST_200600_302600_NS6detail15normal_iteratorINS9_10device_ptrIxEEEESE_SE_xNS9_4plusIvEENS9_8equal_toIxEExEE10hipError_tPvRmT2_T3_T4_T5_mT6_T7_P12ihipStream_tbENKUlT_T0_E_clISt17integral_constantIbLb0EESY_IbLb1EEEEDaSU_SV_EUlSU_E_NS1_11comp_targetILNS1_3genE2ELNS1_11target_archE906ELNS1_3gpuE6ELNS1_3repE0EEENS1_30default_config_static_selectorELNS0_4arch9wavefront6targetE0EEEvT1_,"axG",@progbits,_ZN7rocprim17ROCPRIM_400000_NS6detail17trampoline_kernelINS0_14default_configENS1_27scan_by_key_config_selectorIxxEEZZNS1_16scan_by_key_implILNS1_25lookback_scan_determinismE0ELb1ES3_N6thrust23THRUST_200600_302600_NS6detail15normal_iteratorINS9_10device_ptrIxEEEESE_SE_xNS9_4plusIvEENS9_8equal_toIxEExEE10hipError_tPvRmT2_T3_T4_T5_mT6_T7_P12ihipStream_tbENKUlT_T0_E_clISt17integral_constantIbLb0EESY_IbLb1EEEEDaSU_SV_EUlSU_E_NS1_11comp_targetILNS1_3genE2ELNS1_11target_archE906ELNS1_3gpuE6ELNS1_3repE0EEENS1_30default_config_static_selectorELNS0_4arch9wavefront6targetE0EEEvT1_,comdat
	.protected	_ZN7rocprim17ROCPRIM_400000_NS6detail17trampoline_kernelINS0_14default_configENS1_27scan_by_key_config_selectorIxxEEZZNS1_16scan_by_key_implILNS1_25lookback_scan_determinismE0ELb1ES3_N6thrust23THRUST_200600_302600_NS6detail15normal_iteratorINS9_10device_ptrIxEEEESE_SE_xNS9_4plusIvEENS9_8equal_toIxEExEE10hipError_tPvRmT2_T3_T4_T5_mT6_T7_P12ihipStream_tbENKUlT_T0_E_clISt17integral_constantIbLb0EESY_IbLb1EEEEDaSU_SV_EUlSU_E_NS1_11comp_targetILNS1_3genE2ELNS1_11target_archE906ELNS1_3gpuE6ELNS1_3repE0EEENS1_30default_config_static_selectorELNS0_4arch9wavefront6targetE0EEEvT1_ ; -- Begin function _ZN7rocprim17ROCPRIM_400000_NS6detail17trampoline_kernelINS0_14default_configENS1_27scan_by_key_config_selectorIxxEEZZNS1_16scan_by_key_implILNS1_25lookback_scan_determinismE0ELb1ES3_N6thrust23THRUST_200600_302600_NS6detail15normal_iteratorINS9_10device_ptrIxEEEESE_SE_xNS9_4plusIvEENS9_8equal_toIxEExEE10hipError_tPvRmT2_T3_T4_T5_mT6_T7_P12ihipStream_tbENKUlT_T0_E_clISt17integral_constantIbLb0EESY_IbLb1EEEEDaSU_SV_EUlSU_E_NS1_11comp_targetILNS1_3genE2ELNS1_11target_archE906ELNS1_3gpuE6ELNS1_3repE0EEENS1_30default_config_static_selectorELNS0_4arch9wavefront6targetE0EEEvT1_
	.globl	_ZN7rocprim17ROCPRIM_400000_NS6detail17trampoline_kernelINS0_14default_configENS1_27scan_by_key_config_selectorIxxEEZZNS1_16scan_by_key_implILNS1_25lookback_scan_determinismE0ELb1ES3_N6thrust23THRUST_200600_302600_NS6detail15normal_iteratorINS9_10device_ptrIxEEEESE_SE_xNS9_4plusIvEENS9_8equal_toIxEExEE10hipError_tPvRmT2_T3_T4_T5_mT6_T7_P12ihipStream_tbENKUlT_T0_E_clISt17integral_constantIbLb0EESY_IbLb1EEEEDaSU_SV_EUlSU_E_NS1_11comp_targetILNS1_3genE2ELNS1_11target_archE906ELNS1_3gpuE6ELNS1_3repE0EEENS1_30default_config_static_selectorELNS0_4arch9wavefront6targetE0EEEvT1_
	.p2align	8
	.type	_ZN7rocprim17ROCPRIM_400000_NS6detail17trampoline_kernelINS0_14default_configENS1_27scan_by_key_config_selectorIxxEEZZNS1_16scan_by_key_implILNS1_25lookback_scan_determinismE0ELb1ES3_N6thrust23THRUST_200600_302600_NS6detail15normal_iteratorINS9_10device_ptrIxEEEESE_SE_xNS9_4plusIvEENS9_8equal_toIxEExEE10hipError_tPvRmT2_T3_T4_T5_mT6_T7_P12ihipStream_tbENKUlT_T0_E_clISt17integral_constantIbLb0EESY_IbLb1EEEEDaSU_SV_EUlSU_E_NS1_11comp_targetILNS1_3genE2ELNS1_11target_archE906ELNS1_3gpuE6ELNS1_3repE0EEENS1_30default_config_static_selectorELNS0_4arch9wavefront6targetE0EEEvT1_,@function
_ZN7rocprim17ROCPRIM_400000_NS6detail17trampoline_kernelINS0_14default_configENS1_27scan_by_key_config_selectorIxxEEZZNS1_16scan_by_key_implILNS1_25lookback_scan_determinismE0ELb1ES3_N6thrust23THRUST_200600_302600_NS6detail15normal_iteratorINS9_10device_ptrIxEEEESE_SE_xNS9_4plusIvEENS9_8equal_toIxEExEE10hipError_tPvRmT2_T3_T4_T5_mT6_T7_P12ihipStream_tbENKUlT_T0_E_clISt17integral_constantIbLb0EESY_IbLb1EEEEDaSU_SV_EUlSU_E_NS1_11comp_targetILNS1_3genE2ELNS1_11target_archE906ELNS1_3gpuE6ELNS1_3repE0EEENS1_30default_config_static_selectorELNS0_4arch9wavefront6targetE0EEEvT1_: ; @_ZN7rocprim17ROCPRIM_400000_NS6detail17trampoline_kernelINS0_14default_configENS1_27scan_by_key_config_selectorIxxEEZZNS1_16scan_by_key_implILNS1_25lookback_scan_determinismE0ELb1ES3_N6thrust23THRUST_200600_302600_NS6detail15normal_iteratorINS9_10device_ptrIxEEEESE_SE_xNS9_4plusIvEENS9_8equal_toIxEExEE10hipError_tPvRmT2_T3_T4_T5_mT6_T7_P12ihipStream_tbENKUlT_T0_E_clISt17integral_constantIbLb0EESY_IbLb1EEEEDaSU_SV_EUlSU_E_NS1_11comp_targetILNS1_3genE2ELNS1_11target_archE906ELNS1_3gpuE6ELNS1_3repE0EEENS1_30default_config_static_selectorELNS0_4arch9wavefront6targetE0EEEvT1_
; %bb.0:
	.section	.rodata,"a",@progbits
	.p2align	6, 0x0
	.amdhsa_kernel _ZN7rocprim17ROCPRIM_400000_NS6detail17trampoline_kernelINS0_14default_configENS1_27scan_by_key_config_selectorIxxEEZZNS1_16scan_by_key_implILNS1_25lookback_scan_determinismE0ELb1ES3_N6thrust23THRUST_200600_302600_NS6detail15normal_iteratorINS9_10device_ptrIxEEEESE_SE_xNS9_4plusIvEENS9_8equal_toIxEExEE10hipError_tPvRmT2_T3_T4_T5_mT6_T7_P12ihipStream_tbENKUlT_T0_E_clISt17integral_constantIbLb0EESY_IbLb1EEEEDaSU_SV_EUlSU_E_NS1_11comp_targetILNS1_3genE2ELNS1_11target_archE906ELNS1_3gpuE6ELNS1_3repE0EEENS1_30default_config_static_selectorELNS0_4arch9wavefront6targetE0EEEvT1_
		.amdhsa_group_segment_fixed_size 0
		.amdhsa_private_segment_fixed_size 0
		.amdhsa_kernarg_size 136
		.amdhsa_user_sgpr_count 6
		.amdhsa_user_sgpr_private_segment_buffer 1
		.amdhsa_user_sgpr_dispatch_ptr 0
		.amdhsa_user_sgpr_queue_ptr 0
		.amdhsa_user_sgpr_kernarg_segment_ptr 1
		.amdhsa_user_sgpr_dispatch_id 0
		.amdhsa_user_sgpr_flat_scratch_init 0
		.amdhsa_user_sgpr_private_segment_size 0
		.amdhsa_wavefront_size32 1
		.amdhsa_uses_dynamic_stack 0
		.amdhsa_system_sgpr_private_segment_wavefront_offset 0
		.amdhsa_system_sgpr_workgroup_id_x 1
		.amdhsa_system_sgpr_workgroup_id_y 0
		.amdhsa_system_sgpr_workgroup_id_z 0
		.amdhsa_system_sgpr_workgroup_info 0
		.amdhsa_system_vgpr_workitem_id 0
		.amdhsa_next_free_vgpr 1
		.amdhsa_next_free_sgpr 1
		.amdhsa_reserve_vcc 0
		.amdhsa_reserve_flat_scratch 0
		.amdhsa_float_round_mode_32 0
		.amdhsa_float_round_mode_16_64 0
		.amdhsa_float_denorm_mode_32 3
		.amdhsa_float_denorm_mode_16_64 3
		.amdhsa_dx10_clamp 1
		.amdhsa_ieee_mode 1
		.amdhsa_fp16_overflow 0
		.amdhsa_workgroup_processor_mode 1
		.amdhsa_memory_ordered 1
		.amdhsa_forward_progress 1
		.amdhsa_shared_vgpr_count 0
		.amdhsa_exception_fp_ieee_invalid_op 0
		.amdhsa_exception_fp_denorm_src 0
		.amdhsa_exception_fp_ieee_div_zero 0
		.amdhsa_exception_fp_ieee_overflow 0
		.amdhsa_exception_fp_ieee_underflow 0
		.amdhsa_exception_fp_ieee_inexact 0
		.amdhsa_exception_int_div_zero 0
	.end_amdhsa_kernel
	.section	.text._ZN7rocprim17ROCPRIM_400000_NS6detail17trampoline_kernelINS0_14default_configENS1_27scan_by_key_config_selectorIxxEEZZNS1_16scan_by_key_implILNS1_25lookback_scan_determinismE0ELb1ES3_N6thrust23THRUST_200600_302600_NS6detail15normal_iteratorINS9_10device_ptrIxEEEESE_SE_xNS9_4plusIvEENS9_8equal_toIxEExEE10hipError_tPvRmT2_T3_T4_T5_mT6_T7_P12ihipStream_tbENKUlT_T0_E_clISt17integral_constantIbLb0EESY_IbLb1EEEEDaSU_SV_EUlSU_E_NS1_11comp_targetILNS1_3genE2ELNS1_11target_archE906ELNS1_3gpuE6ELNS1_3repE0EEENS1_30default_config_static_selectorELNS0_4arch9wavefront6targetE0EEEvT1_,"axG",@progbits,_ZN7rocprim17ROCPRIM_400000_NS6detail17trampoline_kernelINS0_14default_configENS1_27scan_by_key_config_selectorIxxEEZZNS1_16scan_by_key_implILNS1_25lookback_scan_determinismE0ELb1ES3_N6thrust23THRUST_200600_302600_NS6detail15normal_iteratorINS9_10device_ptrIxEEEESE_SE_xNS9_4plusIvEENS9_8equal_toIxEExEE10hipError_tPvRmT2_T3_T4_T5_mT6_T7_P12ihipStream_tbENKUlT_T0_E_clISt17integral_constantIbLb0EESY_IbLb1EEEEDaSU_SV_EUlSU_E_NS1_11comp_targetILNS1_3genE2ELNS1_11target_archE906ELNS1_3gpuE6ELNS1_3repE0EEENS1_30default_config_static_selectorELNS0_4arch9wavefront6targetE0EEEvT1_,comdat
.Lfunc_end457:
	.size	_ZN7rocprim17ROCPRIM_400000_NS6detail17trampoline_kernelINS0_14default_configENS1_27scan_by_key_config_selectorIxxEEZZNS1_16scan_by_key_implILNS1_25lookback_scan_determinismE0ELb1ES3_N6thrust23THRUST_200600_302600_NS6detail15normal_iteratorINS9_10device_ptrIxEEEESE_SE_xNS9_4plusIvEENS9_8equal_toIxEExEE10hipError_tPvRmT2_T3_T4_T5_mT6_T7_P12ihipStream_tbENKUlT_T0_E_clISt17integral_constantIbLb0EESY_IbLb1EEEEDaSU_SV_EUlSU_E_NS1_11comp_targetILNS1_3genE2ELNS1_11target_archE906ELNS1_3gpuE6ELNS1_3repE0EEENS1_30default_config_static_selectorELNS0_4arch9wavefront6targetE0EEEvT1_, .Lfunc_end457-_ZN7rocprim17ROCPRIM_400000_NS6detail17trampoline_kernelINS0_14default_configENS1_27scan_by_key_config_selectorIxxEEZZNS1_16scan_by_key_implILNS1_25lookback_scan_determinismE0ELb1ES3_N6thrust23THRUST_200600_302600_NS6detail15normal_iteratorINS9_10device_ptrIxEEEESE_SE_xNS9_4plusIvEENS9_8equal_toIxEExEE10hipError_tPvRmT2_T3_T4_T5_mT6_T7_P12ihipStream_tbENKUlT_T0_E_clISt17integral_constantIbLb0EESY_IbLb1EEEEDaSU_SV_EUlSU_E_NS1_11comp_targetILNS1_3genE2ELNS1_11target_archE906ELNS1_3gpuE6ELNS1_3repE0EEENS1_30default_config_static_selectorELNS0_4arch9wavefront6targetE0EEEvT1_
                                        ; -- End function
	.set _ZN7rocprim17ROCPRIM_400000_NS6detail17trampoline_kernelINS0_14default_configENS1_27scan_by_key_config_selectorIxxEEZZNS1_16scan_by_key_implILNS1_25lookback_scan_determinismE0ELb1ES3_N6thrust23THRUST_200600_302600_NS6detail15normal_iteratorINS9_10device_ptrIxEEEESE_SE_xNS9_4plusIvEENS9_8equal_toIxEExEE10hipError_tPvRmT2_T3_T4_T5_mT6_T7_P12ihipStream_tbENKUlT_T0_E_clISt17integral_constantIbLb0EESY_IbLb1EEEEDaSU_SV_EUlSU_E_NS1_11comp_targetILNS1_3genE2ELNS1_11target_archE906ELNS1_3gpuE6ELNS1_3repE0EEENS1_30default_config_static_selectorELNS0_4arch9wavefront6targetE0EEEvT1_.num_vgpr, 0
	.set _ZN7rocprim17ROCPRIM_400000_NS6detail17trampoline_kernelINS0_14default_configENS1_27scan_by_key_config_selectorIxxEEZZNS1_16scan_by_key_implILNS1_25lookback_scan_determinismE0ELb1ES3_N6thrust23THRUST_200600_302600_NS6detail15normal_iteratorINS9_10device_ptrIxEEEESE_SE_xNS9_4plusIvEENS9_8equal_toIxEExEE10hipError_tPvRmT2_T3_T4_T5_mT6_T7_P12ihipStream_tbENKUlT_T0_E_clISt17integral_constantIbLb0EESY_IbLb1EEEEDaSU_SV_EUlSU_E_NS1_11comp_targetILNS1_3genE2ELNS1_11target_archE906ELNS1_3gpuE6ELNS1_3repE0EEENS1_30default_config_static_selectorELNS0_4arch9wavefront6targetE0EEEvT1_.num_agpr, 0
	.set _ZN7rocprim17ROCPRIM_400000_NS6detail17trampoline_kernelINS0_14default_configENS1_27scan_by_key_config_selectorIxxEEZZNS1_16scan_by_key_implILNS1_25lookback_scan_determinismE0ELb1ES3_N6thrust23THRUST_200600_302600_NS6detail15normal_iteratorINS9_10device_ptrIxEEEESE_SE_xNS9_4plusIvEENS9_8equal_toIxEExEE10hipError_tPvRmT2_T3_T4_T5_mT6_T7_P12ihipStream_tbENKUlT_T0_E_clISt17integral_constantIbLb0EESY_IbLb1EEEEDaSU_SV_EUlSU_E_NS1_11comp_targetILNS1_3genE2ELNS1_11target_archE906ELNS1_3gpuE6ELNS1_3repE0EEENS1_30default_config_static_selectorELNS0_4arch9wavefront6targetE0EEEvT1_.numbered_sgpr, 0
	.set _ZN7rocprim17ROCPRIM_400000_NS6detail17trampoline_kernelINS0_14default_configENS1_27scan_by_key_config_selectorIxxEEZZNS1_16scan_by_key_implILNS1_25lookback_scan_determinismE0ELb1ES3_N6thrust23THRUST_200600_302600_NS6detail15normal_iteratorINS9_10device_ptrIxEEEESE_SE_xNS9_4plusIvEENS9_8equal_toIxEExEE10hipError_tPvRmT2_T3_T4_T5_mT6_T7_P12ihipStream_tbENKUlT_T0_E_clISt17integral_constantIbLb0EESY_IbLb1EEEEDaSU_SV_EUlSU_E_NS1_11comp_targetILNS1_3genE2ELNS1_11target_archE906ELNS1_3gpuE6ELNS1_3repE0EEENS1_30default_config_static_selectorELNS0_4arch9wavefront6targetE0EEEvT1_.num_named_barrier, 0
	.set _ZN7rocprim17ROCPRIM_400000_NS6detail17trampoline_kernelINS0_14default_configENS1_27scan_by_key_config_selectorIxxEEZZNS1_16scan_by_key_implILNS1_25lookback_scan_determinismE0ELb1ES3_N6thrust23THRUST_200600_302600_NS6detail15normal_iteratorINS9_10device_ptrIxEEEESE_SE_xNS9_4plusIvEENS9_8equal_toIxEExEE10hipError_tPvRmT2_T3_T4_T5_mT6_T7_P12ihipStream_tbENKUlT_T0_E_clISt17integral_constantIbLb0EESY_IbLb1EEEEDaSU_SV_EUlSU_E_NS1_11comp_targetILNS1_3genE2ELNS1_11target_archE906ELNS1_3gpuE6ELNS1_3repE0EEENS1_30default_config_static_selectorELNS0_4arch9wavefront6targetE0EEEvT1_.private_seg_size, 0
	.set _ZN7rocprim17ROCPRIM_400000_NS6detail17trampoline_kernelINS0_14default_configENS1_27scan_by_key_config_selectorIxxEEZZNS1_16scan_by_key_implILNS1_25lookback_scan_determinismE0ELb1ES3_N6thrust23THRUST_200600_302600_NS6detail15normal_iteratorINS9_10device_ptrIxEEEESE_SE_xNS9_4plusIvEENS9_8equal_toIxEExEE10hipError_tPvRmT2_T3_T4_T5_mT6_T7_P12ihipStream_tbENKUlT_T0_E_clISt17integral_constantIbLb0EESY_IbLb1EEEEDaSU_SV_EUlSU_E_NS1_11comp_targetILNS1_3genE2ELNS1_11target_archE906ELNS1_3gpuE6ELNS1_3repE0EEENS1_30default_config_static_selectorELNS0_4arch9wavefront6targetE0EEEvT1_.uses_vcc, 0
	.set _ZN7rocprim17ROCPRIM_400000_NS6detail17trampoline_kernelINS0_14default_configENS1_27scan_by_key_config_selectorIxxEEZZNS1_16scan_by_key_implILNS1_25lookback_scan_determinismE0ELb1ES3_N6thrust23THRUST_200600_302600_NS6detail15normal_iteratorINS9_10device_ptrIxEEEESE_SE_xNS9_4plusIvEENS9_8equal_toIxEExEE10hipError_tPvRmT2_T3_T4_T5_mT6_T7_P12ihipStream_tbENKUlT_T0_E_clISt17integral_constantIbLb0EESY_IbLb1EEEEDaSU_SV_EUlSU_E_NS1_11comp_targetILNS1_3genE2ELNS1_11target_archE906ELNS1_3gpuE6ELNS1_3repE0EEENS1_30default_config_static_selectorELNS0_4arch9wavefront6targetE0EEEvT1_.uses_flat_scratch, 0
	.set _ZN7rocprim17ROCPRIM_400000_NS6detail17trampoline_kernelINS0_14default_configENS1_27scan_by_key_config_selectorIxxEEZZNS1_16scan_by_key_implILNS1_25lookback_scan_determinismE0ELb1ES3_N6thrust23THRUST_200600_302600_NS6detail15normal_iteratorINS9_10device_ptrIxEEEESE_SE_xNS9_4plusIvEENS9_8equal_toIxEExEE10hipError_tPvRmT2_T3_T4_T5_mT6_T7_P12ihipStream_tbENKUlT_T0_E_clISt17integral_constantIbLb0EESY_IbLb1EEEEDaSU_SV_EUlSU_E_NS1_11comp_targetILNS1_3genE2ELNS1_11target_archE906ELNS1_3gpuE6ELNS1_3repE0EEENS1_30default_config_static_selectorELNS0_4arch9wavefront6targetE0EEEvT1_.has_dyn_sized_stack, 0
	.set _ZN7rocprim17ROCPRIM_400000_NS6detail17trampoline_kernelINS0_14default_configENS1_27scan_by_key_config_selectorIxxEEZZNS1_16scan_by_key_implILNS1_25lookback_scan_determinismE0ELb1ES3_N6thrust23THRUST_200600_302600_NS6detail15normal_iteratorINS9_10device_ptrIxEEEESE_SE_xNS9_4plusIvEENS9_8equal_toIxEExEE10hipError_tPvRmT2_T3_T4_T5_mT6_T7_P12ihipStream_tbENKUlT_T0_E_clISt17integral_constantIbLb0EESY_IbLb1EEEEDaSU_SV_EUlSU_E_NS1_11comp_targetILNS1_3genE2ELNS1_11target_archE906ELNS1_3gpuE6ELNS1_3repE0EEENS1_30default_config_static_selectorELNS0_4arch9wavefront6targetE0EEEvT1_.has_recursion, 0
	.set _ZN7rocprim17ROCPRIM_400000_NS6detail17trampoline_kernelINS0_14default_configENS1_27scan_by_key_config_selectorIxxEEZZNS1_16scan_by_key_implILNS1_25lookback_scan_determinismE0ELb1ES3_N6thrust23THRUST_200600_302600_NS6detail15normal_iteratorINS9_10device_ptrIxEEEESE_SE_xNS9_4plusIvEENS9_8equal_toIxEExEE10hipError_tPvRmT2_T3_T4_T5_mT6_T7_P12ihipStream_tbENKUlT_T0_E_clISt17integral_constantIbLb0EESY_IbLb1EEEEDaSU_SV_EUlSU_E_NS1_11comp_targetILNS1_3genE2ELNS1_11target_archE906ELNS1_3gpuE6ELNS1_3repE0EEENS1_30default_config_static_selectorELNS0_4arch9wavefront6targetE0EEEvT1_.has_indirect_call, 0
	.section	.AMDGPU.csdata,"",@progbits
; Kernel info:
; codeLenInByte = 0
; TotalNumSgprs: 0
; NumVgprs: 0
; ScratchSize: 0
; MemoryBound: 0
; FloatMode: 240
; IeeeMode: 1
; LDSByteSize: 0 bytes/workgroup (compile time only)
; SGPRBlocks: 0
; VGPRBlocks: 0
; NumSGPRsForWavesPerEU: 1
; NumVGPRsForWavesPerEU: 1
; Occupancy: 16
; WaveLimiterHint : 0
; COMPUTE_PGM_RSRC2:SCRATCH_EN: 0
; COMPUTE_PGM_RSRC2:USER_SGPR: 6
; COMPUTE_PGM_RSRC2:TRAP_HANDLER: 0
; COMPUTE_PGM_RSRC2:TGID_X_EN: 1
; COMPUTE_PGM_RSRC2:TGID_Y_EN: 0
; COMPUTE_PGM_RSRC2:TGID_Z_EN: 0
; COMPUTE_PGM_RSRC2:TIDIG_COMP_CNT: 0
	.section	.text._ZN7rocprim17ROCPRIM_400000_NS6detail17trampoline_kernelINS0_14default_configENS1_27scan_by_key_config_selectorIxxEEZZNS1_16scan_by_key_implILNS1_25lookback_scan_determinismE0ELb1ES3_N6thrust23THRUST_200600_302600_NS6detail15normal_iteratorINS9_10device_ptrIxEEEESE_SE_xNS9_4plusIvEENS9_8equal_toIxEExEE10hipError_tPvRmT2_T3_T4_T5_mT6_T7_P12ihipStream_tbENKUlT_T0_E_clISt17integral_constantIbLb0EESY_IbLb1EEEEDaSU_SV_EUlSU_E_NS1_11comp_targetILNS1_3genE10ELNS1_11target_archE1200ELNS1_3gpuE4ELNS1_3repE0EEENS1_30default_config_static_selectorELNS0_4arch9wavefront6targetE0EEEvT1_,"axG",@progbits,_ZN7rocprim17ROCPRIM_400000_NS6detail17trampoline_kernelINS0_14default_configENS1_27scan_by_key_config_selectorIxxEEZZNS1_16scan_by_key_implILNS1_25lookback_scan_determinismE0ELb1ES3_N6thrust23THRUST_200600_302600_NS6detail15normal_iteratorINS9_10device_ptrIxEEEESE_SE_xNS9_4plusIvEENS9_8equal_toIxEExEE10hipError_tPvRmT2_T3_T4_T5_mT6_T7_P12ihipStream_tbENKUlT_T0_E_clISt17integral_constantIbLb0EESY_IbLb1EEEEDaSU_SV_EUlSU_E_NS1_11comp_targetILNS1_3genE10ELNS1_11target_archE1200ELNS1_3gpuE4ELNS1_3repE0EEENS1_30default_config_static_selectorELNS0_4arch9wavefront6targetE0EEEvT1_,comdat
	.protected	_ZN7rocprim17ROCPRIM_400000_NS6detail17trampoline_kernelINS0_14default_configENS1_27scan_by_key_config_selectorIxxEEZZNS1_16scan_by_key_implILNS1_25lookback_scan_determinismE0ELb1ES3_N6thrust23THRUST_200600_302600_NS6detail15normal_iteratorINS9_10device_ptrIxEEEESE_SE_xNS9_4plusIvEENS9_8equal_toIxEExEE10hipError_tPvRmT2_T3_T4_T5_mT6_T7_P12ihipStream_tbENKUlT_T0_E_clISt17integral_constantIbLb0EESY_IbLb1EEEEDaSU_SV_EUlSU_E_NS1_11comp_targetILNS1_3genE10ELNS1_11target_archE1200ELNS1_3gpuE4ELNS1_3repE0EEENS1_30default_config_static_selectorELNS0_4arch9wavefront6targetE0EEEvT1_ ; -- Begin function _ZN7rocprim17ROCPRIM_400000_NS6detail17trampoline_kernelINS0_14default_configENS1_27scan_by_key_config_selectorIxxEEZZNS1_16scan_by_key_implILNS1_25lookback_scan_determinismE0ELb1ES3_N6thrust23THRUST_200600_302600_NS6detail15normal_iteratorINS9_10device_ptrIxEEEESE_SE_xNS9_4plusIvEENS9_8equal_toIxEExEE10hipError_tPvRmT2_T3_T4_T5_mT6_T7_P12ihipStream_tbENKUlT_T0_E_clISt17integral_constantIbLb0EESY_IbLb1EEEEDaSU_SV_EUlSU_E_NS1_11comp_targetILNS1_3genE10ELNS1_11target_archE1200ELNS1_3gpuE4ELNS1_3repE0EEENS1_30default_config_static_selectorELNS0_4arch9wavefront6targetE0EEEvT1_
	.globl	_ZN7rocprim17ROCPRIM_400000_NS6detail17trampoline_kernelINS0_14default_configENS1_27scan_by_key_config_selectorIxxEEZZNS1_16scan_by_key_implILNS1_25lookback_scan_determinismE0ELb1ES3_N6thrust23THRUST_200600_302600_NS6detail15normal_iteratorINS9_10device_ptrIxEEEESE_SE_xNS9_4plusIvEENS9_8equal_toIxEExEE10hipError_tPvRmT2_T3_T4_T5_mT6_T7_P12ihipStream_tbENKUlT_T0_E_clISt17integral_constantIbLb0EESY_IbLb1EEEEDaSU_SV_EUlSU_E_NS1_11comp_targetILNS1_3genE10ELNS1_11target_archE1200ELNS1_3gpuE4ELNS1_3repE0EEENS1_30default_config_static_selectorELNS0_4arch9wavefront6targetE0EEEvT1_
	.p2align	8
	.type	_ZN7rocprim17ROCPRIM_400000_NS6detail17trampoline_kernelINS0_14default_configENS1_27scan_by_key_config_selectorIxxEEZZNS1_16scan_by_key_implILNS1_25lookback_scan_determinismE0ELb1ES3_N6thrust23THRUST_200600_302600_NS6detail15normal_iteratorINS9_10device_ptrIxEEEESE_SE_xNS9_4plusIvEENS9_8equal_toIxEExEE10hipError_tPvRmT2_T3_T4_T5_mT6_T7_P12ihipStream_tbENKUlT_T0_E_clISt17integral_constantIbLb0EESY_IbLb1EEEEDaSU_SV_EUlSU_E_NS1_11comp_targetILNS1_3genE10ELNS1_11target_archE1200ELNS1_3gpuE4ELNS1_3repE0EEENS1_30default_config_static_selectorELNS0_4arch9wavefront6targetE0EEEvT1_,@function
_ZN7rocprim17ROCPRIM_400000_NS6detail17trampoline_kernelINS0_14default_configENS1_27scan_by_key_config_selectorIxxEEZZNS1_16scan_by_key_implILNS1_25lookback_scan_determinismE0ELb1ES3_N6thrust23THRUST_200600_302600_NS6detail15normal_iteratorINS9_10device_ptrIxEEEESE_SE_xNS9_4plusIvEENS9_8equal_toIxEExEE10hipError_tPvRmT2_T3_T4_T5_mT6_T7_P12ihipStream_tbENKUlT_T0_E_clISt17integral_constantIbLb0EESY_IbLb1EEEEDaSU_SV_EUlSU_E_NS1_11comp_targetILNS1_3genE10ELNS1_11target_archE1200ELNS1_3gpuE4ELNS1_3repE0EEENS1_30default_config_static_selectorELNS0_4arch9wavefront6targetE0EEEvT1_: ; @_ZN7rocprim17ROCPRIM_400000_NS6detail17trampoline_kernelINS0_14default_configENS1_27scan_by_key_config_selectorIxxEEZZNS1_16scan_by_key_implILNS1_25lookback_scan_determinismE0ELb1ES3_N6thrust23THRUST_200600_302600_NS6detail15normal_iteratorINS9_10device_ptrIxEEEESE_SE_xNS9_4plusIvEENS9_8equal_toIxEExEE10hipError_tPvRmT2_T3_T4_T5_mT6_T7_P12ihipStream_tbENKUlT_T0_E_clISt17integral_constantIbLb0EESY_IbLb1EEEEDaSU_SV_EUlSU_E_NS1_11comp_targetILNS1_3genE10ELNS1_11target_archE1200ELNS1_3gpuE4ELNS1_3repE0EEENS1_30default_config_static_selectorELNS0_4arch9wavefront6targetE0EEEvT1_
; %bb.0:
	.section	.rodata,"a",@progbits
	.p2align	6, 0x0
	.amdhsa_kernel _ZN7rocprim17ROCPRIM_400000_NS6detail17trampoline_kernelINS0_14default_configENS1_27scan_by_key_config_selectorIxxEEZZNS1_16scan_by_key_implILNS1_25lookback_scan_determinismE0ELb1ES3_N6thrust23THRUST_200600_302600_NS6detail15normal_iteratorINS9_10device_ptrIxEEEESE_SE_xNS9_4plusIvEENS9_8equal_toIxEExEE10hipError_tPvRmT2_T3_T4_T5_mT6_T7_P12ihipStream_tbENKUlT_T0_E_clISt17integral_constantIbLb0EESY_IbLb1EEEEDaSU_SV_EUlSU_E_NS1_11comp_targetILNS1_3genE10ELNS1_11target_archE1200ELNS1_3gpuE4ELNS1_3repE0EEENS1_30default_config_static_selectorELNS0_4arch9wavefront6targetE0EEEvT1_
		.amdhsa_group_segment_fixed_size 0
		.amdhsa_private_segment_fixed_size 0
		.amdhsa_kernarg_size 136
		.amdhsa_user_sgpr_count 6
		.amdhsa_user_sgpr_private_segment_buffer 1
		.amdhsa_user_sgpr_dispatch_ptr 0
		.amdhsa_user_sgpr_queue_ptr 0
		.amdhsa_user_sgpr_kernarg_segment_ptr 1
		.amdhsa_user_sgpr_dispatch_id 0
		.amdhsa_user_sgpr_flat_scratch_init 0
		.amdhsa_user_sgpr_private_segment_size 0
		.amdhsa_wavefront_size32 1
		.amdhsa_uses_dynamic_stack 0
		.amdhsa_system_sgpr_private_segment_wavefront_offset 0
		.amdhsa_system_sgpr_workgroup_id_x 1
		.amdhsa_system_sgpr_workgroup_id_y 0
		.amdhsa_system_sgpr_workgroup_id_z 0
		.amdhsa_system_sgpr_workgroup_info 0
		.amdhsa_system_vgpr_workitem_id 0
		.amdhsa_next_free_vgpr 1
		.amdhsa_next_free_sgpr 1
		.amdhsa_reserve_vcc 0
		.amdhsa_reserve_flat_scratch 0
		.amdhsa_float_round_mode_32 0
		.amdhsa_float_round_mode_16_64 0
		.amdhsa_float_denorm_mode_32 3
		.amdhsa_float_denorm_mode_16_64 3
		.amdhsa_dx10_clamp 1
		.amdhsa_ieee_mode 1
		.amdhsa_fp16_overflow 0
		.amdhsa_workgroup_processor_mode 1
		.amdhsa_memory_ordered 1
		.amdhsa_forward_progress 1
		.amdhsa_shared_vgpr_count 0
		.amdhsa_exception_fp_ieee_invalid_op 0
		.amdhsa_exception_fp_denorm_src 0
		.amdhsa_exception_fp_ieee_div_zero 0
		.amdhsa_exception_fp_ieee_overflow 0
		.amdhsa_exception_fp_ieee_underflow 0
		.amdhsa_exception_fp_ieee_inexact 0
		.amdhsa_exception_int_div_zero 0
	.end_amdhsa_kernel
	.section	.text._ZN7rocprim17ROCPRIM_400000_NS6detail17trampoline_kernelINS0_14default_configENS1_27scan_by_key_config_selectorIxxEEZZNS1_16scan_by_key_implILNS1_25lookback_scan_determinismE0ELb1ES3_N6thrust23THRUST_200600_302600_NS6detail15normal_iteratorINS9_10device_ptrIxEEEESE_SE_xNS9_4plusIvEENS9_8equal_toIxEExEE10hipError_tPvRmT2_T3_T4_T5_mT6_T7_P12ihipStream_tbENKUlT_T0_E_clISt17integral_constantIbLb0EESY_IbLb1EEEEDaSU_SV_EUlSU_E_NS1_11comp_targetILNS1_3genE10ELNS1_11target_archE1200ELNS1_3gpuE4ELNS1_3repE0EEENS1_30default_config_static_selectorELNS0_4arch9wavefront6targetE0EEEvT1_,"axG",@progbits,_ZN7rocprim17ROCPRIM_400000_NS6detail17trampoline_kernelINS0_14default_configENS1_27scan_by_key_config_selectorIxxEEZZNS1_16scan_by_key_implILNS1_25lookback_scan_determinismE0ELb1ES3_N6thrust23THRUST_200600_302600_NS6detail15normal_iteratorINS9_10device_ptrIxEEEESE_SE_xNS9_4plusIvEENS9_8equal_toIxEExEE10hipError_tPvRmT2_T3_T4_T5_mT6_T7_P12ihipStream_tbENKUlT_T0_E_clISt17integral_constantIbLb0EESY_IbLb1EEEEDaSU_SV_EUlSU_E_NS1_11comp_targetILNS1_3genE10ELNS1_11target_archE1200ELNS1_3gpuE4ELNS1_3repE0EEENS1_30default_config_static_selectorELNS0_4arch9wavefront6targetE0EEEvT1_,comdat
.Lfunc_end458:
	.size	_ZN7rocprim17ROCPRIM_400000_NS6detail17trampoline_kernelINS0_14default_configENS1_27scan_by_key_config_selectorIxxEEZZNS1_16scan_by_key_implILNS1_25lookback_scan_determinismE0ELb1ES3_N6thrust23THRUST_200600_302600_NS6detail15normal_iteratorINS9_10device_ptrIxEEEESE_SE_xNS9_4plusIvEENS9_8equal_toIxEExEE10hipError_tPvRmT2_T3_T4_T5_mT6_T7_P12ihipStream_tbENKUlT_T0_E_clISt17integral_constantIbLb0EESY_IbLb1EEEEDaSU_SV_EUlSU_E_NS1_11comp_targetILNS1_3genE10ELNS1_11target_archE1200ELNS1_3gpuE4ELNS1_3repE0EEENS1_30default_config_static_selectorELNS0_4arch9wavefront6targetE0EEEvT1_, .Lfunc_end458-_ZN7rocprim17ROCPRIM_400000_NS6detail17trampoline_kernelINS0_14default_configENS1_27scan_by_key_config_selectorIxxEEZZNS1_16scan_by_key_implILNS1_25lookback_scan_determinismE0ELb1ES3_N6thrust23THRUST_200600_302600_NS6detail15normal_iteratorINS9_10device_ptrIxEEEESE_SE_xNS9_4plusIvEENS9_8equal_toIxEExEE10hipError_tPvRmT2_T3_T4_T5_mT6_T7_P12ihipStream_tbENKUlT_T0_E_clISt17integral_constantIbLb0EESY_IbLb1EEEEDaSU_SV_EUlSU_E_NS1_11comp_targetILNS1_3genE10ELNS1_11target_archE1200ELNS1_3gpuE4ELNS1_3repE0EEENS1_30default_config_static_selectorELNS0_4arch9wavefront6targetE0EEEvT1_
                                        ; -- End function
	.set _ZN7rocprim17ROCPRIM_400000_NS6detail17trampoline_kernelINS0_14default_configENS1_27scan_by_key_config_selectorIxxEEZZNS1_16scan_by_key_implILNS1_25lookback_scan_determinismE0ELb1ES3_N6thrust23THRUST_200600_302600_NS6detail15normal_iteratorINS9_10device_ptrIxEEEESE_SE_xNS9_4plusIvEENS9_8equal_toIxEExEE10hipError_tPvRmT2_T3_T4_T5_mT6_T7_P12ihipStream_tbENKUlT_T0_E_clISt17integral_constantIbLb0EESY_IbLb1EEEEDaSU_SV_EUlSU_E_NS1_11comp_targetILNS1_3genE10ELNS1_11target_archE1200ELNS1_3gpuE4ELNS1_3repE0EEENS1_30default_config_static_selectorELNS0_4arch9wavefront6targetE0EEEvT1_.num_vgpr, 0
	.set _ZN7rocprim17ROCPRIM_400000_NS6detail17trampoline_kernelINS0_14default_configENS1_27scan_by_key_config_selectorIxxEEZZNS1_16scan_by_key_implILNS1_25lookback_scan_determinismE0ELb1ES3_N6thrust23THRUST_200600_302600_NS6detail15normal_iteratorINS9_10device_ptrIxEEEESE_SE_xNS9_4plusIvEENS9_8equal_toIxEExEE10hipError_tPvRmT2_T3_T4_T5_mT6_T7_P12ihipStream_tbENKUlT_T0_E_clISt17integral_constantIbLb0EESY_IbLb1EEEEDaSU_SV_EUlSU_E_NS1_11comp_targetILNS1_3genE10ELNS1_11target_archE1200ELNS1_3gpuE4ELNS1_3repE0EEENS1_30default_config_static_selectorELNS0_4arch9wavefront6targetE0EEEvT1_.num_agpr, 0
	.set _ZN7rocprim17ROCPRIM_400000_NS6detail17trampoline_kernelINS0_14default_configENS1_27scan_by_key_config_selectorIxxEEZZNS1_16scan_by_key_implILNS1_25lookback_scan_determinismE0ELb1ES3_N6thrust23THRUST_200600_302600_NS6detail15normal_iteratorINS9_10device_ptrIxEEEESE_SE_xNS9_4plusIvEENS9_8equal_toIxEExEE10hipError_tPvRmT2_T3_T4_T5_mT6_T7_P12ihipStream_tbENKUlT_T0_E_clISt17integral_constantIbLb0EESY_IbLb1EEEEDaSU_SV_EUlSU_E_NS1_11comp_targetILNS1_3genE10ELNS1_11target_archE1200ELNS1_3gpuE4ELNS1_3repE0EEENS1_30default_config_static_selectorELNS0_4arch9wavefront6targetE0EEEvT1_.numbered_sgpr, 0
	.set _ZN7rocprim17ROCPRIM_400000_NS6detail17trampoline_kernelINS0_14default_configENS1_27scan_by_key_config_selectorIxxEEZZNS1_16scan_by_key_implILNS1_25lookback_scan_determinismE0ELb1ES3_N6thrust23THRUST_200600_302600_NS6detail15normal_iteratorINS9_10device_ptrIxEEEESE_SE_xNS9_4plusIvEENS9_8equal_toIxEExEE10hipError_tPvRmT2_T3_T4_T5_mT6_T7_P12ihipStream_tbENKUlT_T0_E_clISt17integral_constantIbLb0EESY_IbLb1EEEEDaSU_SV_EUlSU_E_NS1_11comp_targetILNS1_3genE10ELNS1_11target_archE1200ELNS1_3gpuE4ELNS1_3repE0EEENS1_30default_config_static_selectorELNS0_4arch9wavefront6targetE0EEEvT1_.num_named_barrier, 0
	.set _ZN7rocprim17ROCPRIM_400000_NS6detail17trampoline_kernelINS0_14default_configENS1_27scan_by_key_config_selectorIxxEEZZNS1_16scan_by_key_implILNS1_25lookback_scan_determinismE0ELb1ES3_N6thrust23THRUST_200600_302600_NS6detail15normal_iteratorINS9_10device_ptrIxEEEESE_SE_xNS9_4plusIvEENS9_8equal_toIxEExEE10hipError_tPvRmT2_T3_T4_T5_mT6_T7_P12ihipStream_tbENKUlT_T0_E_clISt17integral_constantIbLb0EESY_IbLb1EEEEDaSU_SV_EUlSU_E_NS1_11comp_targetILNS1_3genE10ELNS1_11target_archE1200ELNS1_3gpuE4ELNS1_3repE0EEENS1_30default_config_static_selectorELNS0_4arch9wavefront6targetE0EEEvT1_.private_seg_size, 0
	.set _ZN7rocprim17ROCPRIM_400000_NS6detail17trampoline_kernelINS0_14default_configENS1_27scan_by_key_config_selectorIxxEEZZNS1_16scan_by_key_implILNS1_25lookback_scan_determinismE0ELb1ES3_N6thrust23THRUST_200600_302600_NS6detail15normal_iteratorINS9_10device_ptrIxEEEESE_SE_xNS9_4plusIvEENS9_8equal_toIxEExEE10hipError_tPvRmT2_T3_T4_T5_mT6_T7_P12ihipStream_tbENKUlT_T0_E_clISt17integral_constantIbLb0EESY_IbLb1EEEEDaSU_SV_EUlSU_E_NS1_11comp_targetILNS1_3genE10ELNS1_11target_archE1200ELNS1_3gpuE4ELNS1_3repE0EEENS1_30default_config_static_selectorELNS0_4arch9wavefront6targetE0EEEvT1_.uses_vcc, 0
	.set _ZN7rocprim17ROCPRIM_400000_NS6detail17trampoline_kernelINS0_14default_configENS1_27scan_by_key_config_selectorIxxEEZZNS1_16scan_by_key_implILNS1_25lookback_scan_determinismE0ELb1ES3_N6thrust23THRUST_200600_302600_NS6detail15normal_iteratorINS9_10device_ptrIxEEEESE_SE_xNS9_4plusIvEENS9_8equal_toIxEExEE10hipError_tPvRmT2_T3_T4_T5_mT6_T7_P12ihipStream_tbENKUlT_T0_E_clISt17integral_constantIbLb0EESY_IbLb1EEEEDaSU_SV_EUlSU_E_NS1_11comp_targetILNS1_3genE10ELNS1_11target_archE1200ELNS1_3gpuE4ELNS1_3repE0EEENS1_30default_config_static_selectorELNS0_4arch9wavefront6targetE0EEEvT1_.uses_flat_scratch, 0
	.set _ZN7rocprim17ROCPRIM_400000_NS6detail17trampoline_kernelINS0_14default_configENS1_27scan_by_key_config_selectorIxxEEZZNS1_16scan_by_key_implILNS1_25lookback_scan_determinismE0ELb1ES3_N6thrust23THRUST_200600_302600_NS6detail15normal_iteratorINS9_10device_ptrIxEEEESE_SE_xNS9_4plusIvEENS9_8equal_toIxEExEE10hipError_tPvRmT2_T3_T4_T5_mT6_T7_P12ihipStream_tbENKUlT_T0_E_clISt17integral_constantIbLb0EESY_IbLb1EEEEDaSU_SV_EUlSU_E_NS1_11comp_targetILNS1_3genE10ELNS1_11target_archE1200ELNS1_3gpuE4ELNS1_3repE0EEENS1_30default_config_static_selectorELNS0_4arch9wavefront6targetE0EEEvT1_.has_dyn_sized_stack, 0
	.set _ZN7rocprim17ROCPRIM_400000_NS6detail17trampoline_kernelINS0_14default_configENS1_27scan_by_key_config_selectorIxxEEZZNS1_16scan_by_key_implILNS1_25lookback_scan_determinismE0ELb1ES3_N6thrust23THRUST_200600_302600_NS6detail15normal_iteratorINS9_10device_ptrIxEEEESE_SE_xNS9_4plusIvEENS9_8equal_toIxEExEE10hipError_tPvRmT2_T3_T4_T5_mT6_T7_P12ihipStream_tbENKUlT_T0_E_clISt17integral_constantIbLb0EESY_IbLb1EEEEDaSU_SV_EUlSU_E_NS1_11comp_targetILNS1_3genE10ELNS1_11target_archE1200ELNS1_3gpuE4ELNS1_3repE0EEENS1_30default_config_static_selectorELNS0_4arch9wavefront6targetE0EEEvT1_.has_recursion, 0
	.set _ZN7rocprim17ROCPRIM_400000_NS6detail17trampoline_kernelINS0_14default_configENS1_27scan_by_key_config_selectorIxxEEZZNS1_16scan_by_key_implILNS1_25lookback_scan_determinismE0ELb1ES3_N6thrust23THRUST_200600_302600_NS6detail15normal_iteratorINS9_10device_ptrIxEEEESE_SE_xNS9_4plusIvEENS9_8equal_toIxEExEE10hipError_tPvRmT2_T3_T4_T5_mT6_T7_P12ihipStream_tbENKUlT_T0_E_clISt17integral_constantIbLb0EESY_IbLb1EEEEDaSU_SV_EUlSU_E_NS1_11comp_targetILNS1_3genE10ELNS1_11target_archE1200ELNS1_3gpuE4ELNS1_3repE0EEENS1_30default_config_static_selectorELNS0_4arch9wavefront6targetE0EEEvT1_.has_indirect_call, 0
	.section	.AMDGPU.csdata,"",@progbits
; Kernel info:
; codeLenInByte = 0
; TotalNumSgprs: 0
; NumVgprs: 0
; ScratchSize: 0
; MemoryBound: 0
; FloatMode: 240
; IeeeMode: 1
; LDSByteSize: 0 bytes/workgroup (compile time only)
; SGPRBlocks: 0
; VGPRBlocks: 0
; NumSGPRsForWavesPerEU: 1
; NumVGPRsForWavesPerEU: 1
; Occupancy: 16
; WaveLimiterHint : 0
; COMPUTE_PGM_RSRC2:SCRATCH_EN: 0
; COMPUTE_PGM_RSRC2:USER_SGPR: 6
; COMPUTE_PGM_RSRC2:TRAP_HANDLER: 0
; COMPUTE_PGM_RSRC2:TGID_X_EN: 1
; COMPUTE_PGM_RSRC2:TGID_Y_EN: 0
; COMPUTE_PGM_RSRC2:TGID_Z_EN: 0
; COMPUTE_PGM_RSRC2:TIDIG_COMP_CNT: 0
	.section	.text._ZN7rocprim17ROCPRIM_400000_NS6detail17trampoline_kernelINS0_14default_configENS1_27scan_by_key_config_selectorIxxEEZZNS1_16scan_by_key_implILNS1_25lookback_scan_determinismE0ELb1ES3_N6thrust23THRUST_200600_302600_NS6detail15normal_iteratorINS9_10device_ptrIxEEEESE_SE_xNS9_4plusIvEENS9_8equal_toIxEExEE10hipError_tPvRmT2_T3_T4_T5_mT6_T7_P12ihipStream_tbENKUlT_T0_E_clISt17integral_constantIbLb0EESY_IbLb1EEEEDaSU_SV_EUlSU_E_NS1_11comp_targetILNS1_3genE9ELNS1_11target_archE1100ELNS1_3gpuE3ELNS1_3repE0EEENS1_30default_config_static_selectorELNS0_4arch9wavefront6targetE0EEEvT1_,"axG",@progbits,_ZN7rocprim17ROCPRIM_400000_NS6detail17trampoline_kernelINS0_14default_configENS1_27scan_by_key_config_selectorIxxEEZZNS1_16scan_by_key_implILNS1_25lookback_scan_determinismE0ELb1ES3_N6thrust23THRUST_200600_302600_NS6detail15normal_iteratorINS9_10device_ptrIxEEEESE_SE_xNS9_4plusIvEENS9_8equal_toIxEExEE10hipError_tPvRmT2_T3_T4_T5_mT6_T7_P12ihipStream_tbENKUlT_T0_E_clISt17integral_constantIbLb0EESY_IbLb1EEEEDaSU_SV_EUlSU_E_NS1_11comp_targetILNS1_3genE9ELNS1_11target_archE1100ELNS1_3gpuE3ELNS1_3repE0EEENS1_30default_config_static_selectorELNS0_4arch9wavefront6targetE0EEEvT1_,comdat
	.protected	_ZN7rocprim17ROCPRIM_400000_NS6detail17trampoline_kernelINS0_14default_configENS1_27scan_by_key_config_selectorIxxEEZZNS1_16scan_by_key_implILNS1_25lookback_scan_determinismE0ELb1ES3_N6thrust23THRUST_200600_302600_NS6detail15normal_iteratorINS9_10device_ptrIxEEEESE_SE_xNS9_4plusIvEENS9_8equal_toIxEExEE10hipError_tPvRmT2_T3_T4_T5_mT6_T7_P12ihipStream_tbENKUlT_T0_E_clISt17integral_constantIbLb0EESY_IbLb1EEEEDaSU_SV_EUlSU_E_NS1_11comp_targetILNS1_3genE9ELNS1_11target_archE1100ELNS1_3gpuE3ELNS1_3repE0EEENS1_30default_config_static_selectorELNS0_4arch9wavefront6targetE0EEEvT1_ ; -- Begin function _ZN7rocprim17ROCPRIM_400000_NS6detail17trampoline_kernelINS0_14default_configENS1_27scan_by_key_config_selectorIxxEEZZNS1_16scan_by_key_implILNS1_25lookback_scan_determinismE0ELb1ES3_N6thrust23THRUST_200600_302600_NS6detail15normal_iteratorINS9_10device_ptrIxEEEESE_SE_xNS9_4plusIvEENS9_8equal_toIxEExEE10hipError_tPvRmT2_T3_T4_T5_mT6_T7_P12ihipStream_tbENKUlT_T0_E_clISt17integral_constantIbLb0EESY_IbLb1EEEEDaSU_SV_EUlSU_E_NS1_11comp_targetILNS1_3genE9ELNS1_11target_archE1100ELNS1_3gpuE3ELNS1_3repE0EEENS1_30default_config_static_selectorELNS0_4arch9wavefront6targetE0EEEvT1_
	.globl	_ZN7rocprim17ROCPRIM_400000_NS6detail17trampoline_kernelINS0_14default_configENS1_27scan_by_key_config_selectorIxxEEZZNS1_16scan_by_key_implILNS1_25lookback_scan_determinismE0ELb1ES3_N6thrust23THRUST_200600_302600_NS6detail15normal_iteratorINS9_10device_ptrIxEEEESE_SE_xNS9_4plusIvEENS9_8equal_toIxEExEE10hipError_tPvRmT2_T3_T4_T5_mT6_T7_P12ihipStream_tbENKUlT_T0_E_clISt17integral_constantIbLb0EESY_IbLb1EEEEDaSU_SV_EUlSU_E_NS1_11comp_targetILNS1_3genE9ELNS1_11target_archE1100ELNS1_3gpuE3ELNS1_3repE0EEENS1_30default_config_static_selectorELNS0_4arch9wavefront6targetE0EEEvT1_
	.p2align	8
	.type	_ZN7rocprim17ROCPRIM_400000_NS6detail17trampoline_kernelINS0_14default_configENS1_27scan_by_key_config_selectorIxxEEZZNS1_16scan_by_key_implILNS1_25lookback_scan_determinismE0ELb1ES3_N6thrust23THRUST_200600_302600_NS6detail15normal_iteratorINS9_10device_ptrIxEEEESE_SE_xNS9_4plusIvEENS9_8equal_toIxEExEE10hipError_tPvRmT2_T3_T4_T5_mT6_T7_P12ihipStream_tbENKUlT_T0_E_clISt17integral_constantIbLb0EESY_IbLb1EEEEDaSU_SV_EUlSU_E_NS1_11comp_targetILNS1_3genE9ELNS1_11target_archE1100ELNS1_3gpuE3ELNS1_3repE0EEENS1_30default_config_static_selectorELNS0_4arch9wavefront6targetE0EEEvT1_,@function
_ZN7rocprim17ROCPRIM_400000_NS6detail17trampoline_kernelINS0_14default_configENS1_27scan_by_key_config_selectorIxxEEZZNS1_16scan_by_key_implILNS1_25lookback_scan_determinismE0ELb1ES3_N6thrust23THRUST_200600_302600_NS6detail15normal_iteratorINS9_10device_ptrIxEEEESE_SE_xNS9_4plusIvEENS9_8equal_toIxEExEE10hipError_tPvRmT2_T3_T4_T5_mT6_T7_P12ihipStream_tbENKUlT_T0_E_clISt17integral_constantIbLb0EESY_IbLb1EEEEDaSU_SV_EUlSU_E_NS1_11comp_targetILNS1_3genE9ELNS1_11target_archE1100ELNS1_3gpuE3ELNS1_3repE0EEENS1_30default_config_static_selectorELNS0_4arch9wavefront6targetE0EEEvT1_: ; @_ZN7rocprim17ROCPRIM_400000_NS6detail17trampoline_kernelINS0_14default_configENS1_27scan_by_key_config_selectorIxxEEZZNS1_16scan_by_key_implILNS1_25lookback_scan_determinismE0ELb1ES3_N6thrust23THRUST_200600_302600_NS6detail15normal_iteratorINS9_10device_ptrIxEEEESE_SE_xNS9_4plusIvEENS9_8equal_toIxEExEE10hipError_tPvRmT2_T3_T4_T5_mT6_T7_P12ihipStream_tbENKUlT_T0_E_clISt17integral_constantIbLb0EESY_IbLb1EEEEDaSU_SV_EUlSU_E_NS1_11comp_targetILNS1_3genE9ELNS1_11target_archE1100ELNS1_3gpuE3ELNS1_3repE0EEENS1_30default_config_static_selectorELNS0_4arch9wavefront6targetE0EEEvT1_
; %bb.0:
	.section	.rodata,"a",@progbits
	.p2align	6, 0x0
	.amdhsa_kernel _ZN7rocprim17ROCPRIM_400000_NS6detail17trampoline_kernelINS0_14default_configENS1_27scan_by_key_config_selectorIxxEEZZNS1_16scan_by_key_implILNS1_25lookback_scan_determinismE0ELb1ES3_N6thrust23THRUST_200600_302600_NS6detail15normal_iteratorINS9_10device_ptrIxEEEESE_SE_xNS9_4plusIvEENS9_8equal_toIxEExEE10hipError_tPvRmT2_T3_T4_T5_mT6_T7_P12ihipStream_tbENKUlT_T0_E_clISt17integral_constantIbLb0EESY_IbLb1EEEEDaSU_SV_EUlSU_E_NS1_11comp_targetILNS1_3genE9ELNS1_11target_archE1100ELNS1_3gpuE3ELNS1_3repE0EEENS1_30default_config_static_selectorELNS0_4arch9wavefront6targetE0EEEvT1_
		.amdhsa_group_segment_fixed_size 0
		.amdhsa_private_segment_fixed_size 0
		.amdhsa_kernarg_size 136
		.amdhsa_user_sgpr_count 6
		.amdhsa_user_sgpr_private_segment_buffer 1
		.amdhsa_user_sgpr_dispatch_ptr 0
		.amdhsa_user_sgpr_queue_ptr 0
		.amdhsa_user_sgpr_kernarg_segment_ptr 1
		.amdhsa_user_sgpr_dispatch_id 0
		.amdhsa_user_sgpr_flat_scratch_init 0
		.amdhsa_user_sgpr_private_segment_size 0
		.amdhsa_wavefront_size32 1
		.amdhsa_uses_dynamic_stack 0
		.amdhsa_system_sgpr_private_segment_wavefront_offset 0
		.amdhsa_system_sgpr_workgroup_id_x 1
		.amdhsa_system_sgpr_workgroup_id_y 0
		.amdhsa_system_sgpr_workgroup_id_z 0
		.amdhsa_system_sgpr_workgroup_info 0
		.amdhsa_system_vgpr_workitem_id 0
		.amdhsa_next_free_vgpr 1
		.amdhsa_next_free_sgpr 1
		.amdhsa_reserve_vcc 0
		.amdhsa_reserve_flat_scratch 0
		.amdhsa_float_round_mode_32 0
		.amdhsa_float_round_mode_16_64 0
		.amdhsa_float_denorm_mode_32 3
		.amdhsa_float_denorm_mode_16_64 3
		.amdhsa_dx10_clamp 1
		.amdhsa_ieee_mode 1
		.amdhsa_fp16_overflow 0
		.amdhsa_workgroup_processor_mode 1
		.amdhsa_memory_ordered 1
		.amdhsa_forward_progress 1
		.amdhsa_shared_vgpr_count 0
		.amdhsa_exception_fp_ieee_invalid_op 0
		.amdhsa_exception_fp_denorm_src 0
		.amdhsa_exception_fp_ieee_div_zero 0
		.amdhsa_exception_fp_ieee_overflow 0
		.amdhsa_exception_fp_ieee_underflow 0
		.amdhsa_exception_fp_ieee_inexact 0
		.amdhsa_exception_int_div_zero 0
	.end_amdhsa_kernel
	.section	.text._ZN7rocprim17ROCPRIM_400000_NS6detail17trampoline_kernelINS0_14default_configENS1_27scan_by_key_config_selectorIxxEEZZNS1_16scan_by_key_implILNS1_25lookback_scan_determinismE0ELb1ES3_N6thrust23THRUST_200600_302600_NS6detail15normal_iteratorINS9_10device_ptrIxEEEESE_SE_xNS9_4plusIvEENS9_8equal_toIxEExEE10hipError_tPvRmT2_T3_T4_T5_mT6_T7_P12ihipStream_tbENKUlT_T0_E_clISt17integral_constantIbLb0EESY_IbLb1EEEEDaSU_SV_EUlSU_E_NS1_11comp_targetILNS1_3genE9ELNS1_11target_archE1100ELNS1_3gpuE3ELNS1_3repE0EEENS1_30default_config_static_selectorELNS0_4arch9wavefront6targetE0EEEvT1_,"axG",@progbits,_ZN7rocprim17ROCPRIM_400000_NS6detail17trampoline_kernelINS0_14default_configENS1_27scan_by_key_config_selectorIxxEEZZNS1_16scan_by_key_implILNS1_25lookback_scan_determinismE0ELb1ES3_N6thrust23THRUST_200600_302600_NS6detail15normal_iteratorINS9_10device_ptrIxEEEESE_SE_xNS9_4plusIvEENS9_8equal_toIxEExEE10hipError_tPvRmT2_T3_T4_T5_mT6_T7_P12ihipStream_tbENKUlT_T0_E_clISt17integral_constantIbLb0EESY_IbLb1EEEEDaSU_SV_EUlSU_E_NS1_11comp_targetILNS1_3genE9ELNS1_11target_archE1100ELNS1_3gpuE3ELNS1_3repE0EEENS1_30default_config_static_selectorELNS0_4arch9wavefront6targetE0EEEvT1_,comdat
.Lfunc_end459:
	.size	_ZN7rocprim17ROCPRIM_400000_NS6detail17trampoline_kernelINS0_14default_configENS1_27scan_by_key_config_selectorIxxEEZZNS1_16scan_by_key_implILNS1_25lookback_scan_determinismE0ELb1ES3_N6thrust23THRUST_200600_302600_NS6detail15normal_iteratorINS9_10device_ptrIxEEEESE_SE_xNS9_4plusIvEENS9_8equal_toIxEExEE10hipError_tPvRmT2_T3_T4_T5_mT6_T7_P12ihipStream_tbENKUlT_T0_E_clISt17integral_constantIbLb0EESY_IbLb1EEEEDaSU_SV_EUlSU_E_NS1_11comp_targetILNS1_3genE9ELNS1_11target_archE1100ELNS1_3gpuE3ELNS1_3repE0EEENS1_30default_config_static_selectorELNS0_4arch9wavefront6targetE0EEEvT1_, .Lfunc_end459-_ZN7rocprim17ROCPRIM_400000_NS6detail17trampoline_kernelINS0_14default_configENS1_27scan_by_key_config_selectorIxxEEZZNS1_16scan_by_key_implILNS1_25lookback_scan_determinismE0ELb1ES3_N6thrust23THRUST_200600_302600_NS6detail15normal_iteratorINS9_10device_ptrIxEEEESE_SE_xNS9_4plusIvEENS9_8equal_toIxEExEE10hipError_tPvRmT2_T3_T4_T5_mT6_T7_P12ihipStream_tbENKUlT_T0_E_clISt17integral_constantIbLb0EESY_IbLb1EEEEDaSU_SV_EUlSU_E_NS1_11comp_targetILNS1_3genE9ELNS1_11target_archE1100ELNS1_3gpuE3ELNS1_3repE0EEENS1_30default_config_static_selectorELNS0_4arch9wavefront6targetE0EEEvT1_
                                        ; -- End function
	.set _ZN7rocprim17ROCPRIM_400000_NS6detail17trampoline_kernelINS0_14default_configENS1_27scan_by_key_config_selectorIxxEEZZNS1_16scan_by_key_implILNS1_25lookback_scan_determinismE0ELb1ES3_N6thrust23THRUST_200600_302600_NS6detail15normal_iteratorINS9_10device_ptrIxEEEESE_SE_xNS9_4plusIvEENS9_8equal_toIxEExEE10hipError_tPvRmT2_T3_T4_T5_mT6_T7_P12ihipStream_tbENKUlT_T0_E_clISt17integral_constantIbLb0EESY_IbLb1EEEEDaSU_SV_EUlSU_E_NS1_11comp_targetILNS1_3genE9ELNS1_11target_archE1100ELNS1_3gpuE3ELNS1_3repE0EEENS1_30default_config_static_selectorELNS0_4arch9wavefront6targetE0EEEvT1_.num_vgpr, 0
	.set _ZN7rocprim17ROCPRIM_400000_NS6detail17trampoline_kernelINS0_14default_configENS1_27scan_by_key_config_selectorIxxEEZZNS1_16scan_by_key_implILNS1_25lookback_scan_determinismE0ELb1ES3_N6thrust23THRUST_200600_302600_NS6detail15normal_iteratorINS9_10device_ptrIxEEEESE_SE_xNS9_4plusIvEENS9_8equal_toIxEExEE10hipError_tPvRmT2_T3_T4_T5_mT6_T7_P12ihipStream_tbENKUlT_T0_E_clISt17integral_constantIbLb0EESY_IbLb1EEEEDaSU_SV_EUlSU_E_NS1_11comp_targetILNS1_3genE9ELNS1_11target_archE1100ELNS1_3gpuE3ELNS1_3repE0EEENS1_30default_config_static_selectorELNS0_4arch9wavefront6targetE0EEEvT1_.num_agpr, 0
	.set _ZN7rocprim17ROCPRIM_400000_NS6detail17trampoline_kernelINS0_14default_configENS1_27scan_by_key_config_selectorIxxEEZZNS1_16scan_by_key_implILNS1_25lookback_scan_determinismE0ELb1ES3_N6thrust23THRUST_200600_302600_NS6detail15normal_iteratorINS9_10device_ptrIxEEEESE_SE_xNS9_4plusIvEENS9_8equal_toIxEExEE10hipError_tPvRmT2_T3_T4_T5_mT6_T7_P12ihipStream_tbENKUlT_T0_E_clISt17integral_constantIbLb0EESY_IbLb1EEEEDaSU_SV_EUlSU_E_NS1_11comp_targetILNS1_3genE9ELNS1_11target_archE1100ELNS1_3gpuE3ELNS1_3repE0EEENS1_30default_config_static_selectorELNS0_4arch9wavefront6targetE0EEEvT1_.numbered_sgpr, 0
	.set _ZN7rocprim17ROCPRIM_400000_NS6detail17trampoline_kernelINS0_14default_configENS1_27scan_by_key_config_selectorIxxEEZZNS1_16scan_by_key_implILNS1_25lookback_scan_determinismE0ELb1ES3_N6thrust23THRUST_200600_302600_NS6detail15normal_iteratorINS9_10device_ptrIxEEEESE_SE_xNS9_4plusIvEENS9_8equal_toIxEExEE10hipError_tPvRmT2_T3_T4_T5_mT6_T7_P12ihipStream_tbENKUlT_T0_E_clISt17integral_constantIbLb0EESY_IbLb1EEEEDaSU_SV_EUlSU_E_NS1_11comp_targetILNS1_3genE9ELNS1_11target_archE1100ELNS1_3gpuE3ELNS1_3repE0EEENS1_30default_config_static_selectorELNS0_4arch9wavefront6targetE0EEEvT1_.num_named_barrier, 0
	.set _ZN7rocprim17ROCPRIM_400000_NS6detail17trampoline_kernelINS0_14default_configENS1_27scan_by_key_config_selectorIxxEEZZNS1_16scan_by_key_implILNS1_25lookback_scan_determinismE0ELb1ES3_N6thrust23THRUST_200600_302600_NS6detail15normal_iteratorINS9_10device_ptrIxEEEESE_SE_xNS9_4plusIvEENS9_8equal_toIxEExEE10hipError_tPvRmT2_T3_T4_T5_mT6_T7_P12ihipStream_tbENKUlT_T0_E_clISt17integral_constantIbLb0EESY_IbLb1EEEEDaSU_SV_EUlSU_E_NS1_11comp_targetILNS1_3genE9ELNS1_11target_archE1100ELNS1_3gpuE3ELNS1_3repE0EEENS1_30default_config_static_selectorELNS0_4arch9wavefront6targetE0EEEvT1_.private_seg_size, 0
	.set _ZN7rocprim17ROCPRIM_400000_NS6detail17trampoline_kernelINS0_14default_configENS1_27scan_by_key_config_selectorIxxEEZZNS1_16scan_by_key_implILNS1_25lookback_scan_determinismE0ELb1ES3_N6thrust23THRUST_200600_302600_NS6detail15normal_iteratorINS9_10device_ptrIxEEEESE_SE_xNS9_4plusIvEENS9_8equal_toIxEExEE10hipError_tPvRmT2_T3_T4_T5_mT6_T7_P12ihipStream_tbENKUlT_T0_E_clISt17integral_constantIbLb0EESY_IbLb1EEEEDaSU_SV_EUlSU_E_NS1_11comp_targetILNS1_3genE9ELNS1_11target_archE1100ELNS1_3gpuE3ELNS1_3repE0EEENS1_30default_config_static_selectorELNS0_4arch9wavefront6targetE0EEEvT1_.uses_vcc, 0
	.set _ZN7rocprim17ROCPRIM_400000_NS6detail17trampoline_kernelINS0_14default_configENS1_27scan_by_key_config_selectorIxxEEZZNS1_16scan_by_key_implILNS1_25lookback_scan_determinismE0ELb1ES3_N6thrust23THRUST_200600_302600_NS6detail15normal_iteratorINS9_10device_ptrIxEEEESE_SE_xNS9_4plusIvEENS9_8equal_toIxEExEE10hipError_tPvRmT2_T3_T4_T5_mT6_T7_P12ihipStream_tbENKUlT_T0_E_clISt17integral_constantIbLb0EESY_IbLb1EEEEDaSU_SV_EUlSU_E_NS1_11comp_targetILNS1_3genE9ELNS1_11target_archE1100ELNS1_3gpuE3ELNS1_3repE0EEENS1_30default_config_static_selectorELNS0_4arch9wavefront6targetE0EEEvT1_.uses_flat_scratch, 0
	.set _ZN7rocprim17ROCPRIM_400000_NS6detail17trampoline_kernelINS0_14default_configENS1_27scan_by_key_config_selectorIxxEEZZNS1_16scan_by_key_implILNS1_25lookback_scan_determinismE0ELb1ES3_N6thrust23THRUST_200600_302600_NS6detail15normal_iteratorINS9_10device_ptrIxEEEESE_SE_xNS9_4plusIvEENS9_8equal_toIxEExEE10hipError_tPvRmT2_T3_T4_T5_mT6_T7_P12ihipStream_tbENKUlT_T0_E_clISt17integral_constantIbLb0EESY_IbLb1EEEEDaSU_SV_EUlSU_E_NS1_11comp_targetILNS1_3genE9ELNS1_11target_archE1100ELNS1_3gpuE3ELNS1_3repE0EEENS1_30default_config_static_selectorELNS0_4arch9wavefront6targetE0EEEvT1_.has_dyn_sized_stack, 0
	.set _ZN7rocprim17ROCPRIM_400000_NS6detail17trampoline_kernelINS0_14default_configENS1_27scan_by_key_config_selectorIxxEEZZNS1_16scan_by_key_implILNS1_25lookback_scan_determinismE0ELb1ES3_N6thrust23THRUST_200600_302600_NS6detail15normal_iteratorINS9_10device_ptrIxEEEESE_SE_xNS9_4plusIvEENS9_8equal_toIxEExEE10hipError_tPvRmT2_T3_T4_T5_mT6_T7_P12ihipStream_tbENKUlT_T0_E_clISt17integral_constantIbLb0EESY_IbLb1EEEEDaSU_SV_EUlSU_E_NS1_11comp_targetILNS1_3genE9ELNS1_11target_archE1100ELNS1_3gpuE3ELNS1_3repE0EEENS1_30default_config_static_selectorELNS0_4arch9wavefront6targetE0EEEvT1_.has_recursion, 0
	.set _ZN7rocprim17ROCPRIM_400000_NS6detail17trampoline_kernelINS0_14default_configENS1_27scan_by_key_config_selectorIxxEEZZNS1_16scan_by_key_implILNS1_25lookback_scan_determinismE0ELb1ES3_N6thrust23THRUST_200600_302600_NS6detail15normal_iteratorINS9_10device_ptrIxEEEESE_SE_xNS9_4plusIvEENS9_8equal_toIxEExEE10hipError_tPvRmT2_T3_T4_T5_mT6_T7_P12ihipStream_tbENKUlT_T0_E_clISt17integral_constantIbLb0EESY_IbLb1EEEEDaSU_SV_EUlSU_E_NS1_11comp_targetILNS1_3genE9ELNS1_11target_archE1100ELNS1_3gpuE3ELNS1_3repE0EEENS1_30default_config_static_selectorELNS0_4arch9wavefront6targetE0EEEvT1_.has_indirect_call, 0
	.section	.AMDGPU.csdata,"",@progbits
; Kernel info:
; codeLenInByte = 0
; TotalNumSgprs: 0
; NumVgprs: 0
; ScratchSize: 0
; MemoryBound: 0
; FloatMode: 240
; IeeeMode: 1
; LDSByteSize: 0 bytes/workgroup (compile time only)
; SGPRBlocks: 0
; VGPRBlocks: 0
; NumSGPRsForWavesPerEU: 1
; NumVGPRsForWavesPerEU: 1
; Occupancy: 16
; WaveLimiterHint : 0
; COMPUTE_PGM_RSRC2:SCRATCH_EN: 0
; COMPUTE_PGM_RSRC2:USER_SGPR: 6
; COMPUTE_PGM_RSRC2:TRAP_HANDLER: 0
; COMPUTE_PGM_RSRC2:TGID_X_EN: 1
; COMPUTE_PGM_RSRC2:TGID_Y_EN: 0
; COMPUTE_PGM_RSRC2:TGID_Z_EN: 0
; COMPUTE_PGM_RSRC2:TIDIG_COMP_CNT: 0
	.section	.text._ZN7rocprim17ROCPRIM_400000_NS6detail17trampoline_kernelINS0_14default_configENS1_27scan_by_key_config_selectorIxxEEZZNS1_16scan_by_key_implILNS1_25lookback_scan_determinismE0ELb1ES3_N6thrust23THRUST_200600_302600_NS6detail15normal_iteratorINS9_10device_ptrIxEEEESE_SE_xNS9_4plusIvEENS9_8equal_toIxEExEE10hipError_tPvRmT2_T3_T4_T5_mT6_T7_P12ihipStream_tbENKUlT_T0_E_clISt17integral_constantIbLb0EESY_IbLb1EEEEDaSU_SV_EUlSU_E_NS1_11comp_targetILNS1_3genE8ELNS1_11target_archE1030ELNS1_3gpuE2ELNS1_3repE0EEENS1_30default_config_static_selectorELNS0_4arch9wavefront6targetE0EEEvT1_,"axG",@progbits,_ZN7rocprim17ROCPRIM_400000_NS6detail17trampoline_kernelINS0_14default_configENS1_27scan_by_key_config_selectorIxxEEZZNS1_16scan_by_key_implILNS1_25lookback_scan_determinismE0ELb1ES3_N6thrust23THRUST_200600_302600_NS6detail15normal_iteratorINS9_10device_ptrIxEEEESE_SE_xNS9_4plusIvEENS9_8equal_toIxEExEE10hipError_tPvRmT2_T3_T4_T5_mT6_T7_P12ihipStream_tbENKUlT_T0_E_clISt17integral_constantIbLb0EESY_IbLb1EEEEDaSU_SV_EUlSU_E_NS1_11comp_targetILNS1_3genE8ELNS1_11target_archE1030ELNS1_3gpuE2ELNS1_3repE0EEENS1_30default_config_static_selectorELNS0_4arch9wavefront6targetE0EEEvT1_,comdat
	.protected	_ZN7rocprim17ROCPRIM_400000_NS6detail17trampoline_kernelINS0_14default_configENS1_27scan_by_key_config_selectorIxxEEZZNS1_16scan_by_key_implILNS1_25lookback_scan_determinismE0ELb1ES3_N6thrust23THRUST_200600_302600_NS6detail15normal_iteratorINS9_10device_ptrIxEEEESE_SE_xNS9_4plusIvEENS9_8equal_toIxEExEE10hipError_tPvRmT2_T3_T4_T5_mT6_T7_P12ihipStream_tbENKUlT_T0_E_clISt17integral_constantIbLb0EESY_IbLb1EEEEDaSU_SV_EUlSU_E_NS1_11comp_targetILNS1_3genE8ELNS1_11target_archE1030ELNS1_3gpuE2ELNS1_3repE0EEENS1_30default_config_static_selectorELNS0_4arch9wavefront6targetE0EEEvT1_ ; -- Begin function _ZN7rocprim17ROCPRIM_400000_NS6detail17trampoline_kernelINS0_14default_configENS1_27scan_by_key_config_selectorIxxEEZZNS1_16scan_by_key_implILNS1_25lookback_scan_determinismE0ELb1ES3_N6thrust23THRUST_200600_302600_NS6detail15normal_iteratorINS9_10device_ptrIxEEEESE_SE_xNS9_4plusIvEENS9_8equal_toIxEExEE10hipError_tPvRmT2_T3_T4_T5_mT6_T7_P12ihipStream_tbENKUlT_T0_E_clISt17integral_constantIbLb0EESY_IbLb1EEEEDaSU_SV_EUlSU_E_NS1_11comp_targetILNS1_3genE8ELNS1_11target_archE1030ELNS1_3gpuE2ELNS1_3repE0EEENS1_30default_config_static_selectorELNS0_4arch9wavefront6targetE0EEEvT1_
	.globl	_ZN7rocprim17ROCPRIM_400000_NS6detail17trampoline_kernelINS0_14default_configENS1_27scan_by_key_config_selectorIxxEEZZNS1_16scan_by_key_implILNS1_25lookback_scan_determinismE0ELb1ES3_N6thrust23THRUST_200600_302600_NS6detail15normal_iteratorINS9_10device_ptrIxEEEESE_SE_xNS9_4plusIvEENS9_8equal_toIxEExEE10hipError_tPvRmT2_T3_T4_T5_mT6_T7_P12ihipStream_tbENKUlT_T0_E_clISt17integral_constantIbLb0EESY_IbLb1EEEEDaSU_SV_EUlSU_E_NS1_11comp_targetILNS1_3genE8ELNS1_11target_archE1030ELNS1_3gpuE2ELNS1_3repE0EEENS1_30default_config_static_selectorELNS0_4arch9wavefront6targetE0EEEvT1_
	.p2align	8
	.type	_ZN7rocprim17ROCPRIM_400000_NS6detail17trampoline_kernelINS0_14default_configENS1_27scan_by_key_config_selectorIxxEEZZNS1_16scan_by_key_implILNS1_25lookback_scan_determinismE0ELb1ES3_N6thrust23THRUST_200600_302600_NS6detail15normal_iteratorINS9_10device_ptrIxEEEESE_SE_xNS9_4plusIvEENS9_8equal_toIxEExEE10hipError_tPvRmT2_T3_T4_T5_mT6_T7_P12ihipStream_tbENKUlT_T0_E_clISt17integral_constantIbLb0EESY_IbLb1EEEEDaSU_SV_EUlSU_E_NS1_11comp_targetILNS1_3genE8ELNS1_11target_archE1030ELNS1_3gpuE2ELNS1_3repE0EEENS1_30default_config_static_selectorELNS0_4arch9wavefront6targetE0EEEvT1_,@function
_ZN7rocprim17ROCPRIM_400000_NS6detail17trampoline_kernelINS0_14default_configENS1_27scan_by_key_config_selectorIxxEEZZNS1_16scan_by_key_implILNS1_25lookback_scan_determinismE0ELb1ES3_N6thrust23THRUST_200600_302600_NS6detail15normal_iteratorINS9_10device_ptrIxEEEESE_SE_xNS9_4plusIvEENS9_8equal_toIxEExEE10hipError_tPvRmT2_T3_T4_T5_mT6_T7_P12ihipStream_tbENKUlT_T0_E_clISt17integral_constantIbLb0EESY_IbLb1EEEEDaSU_SV_EUlSU_E_NS1_11comp_targetILNS1_3genE8ELNS1_11target_archE1030ELNS1_3gpuE2ELNS1_3repE0EEENS1_30default_config_static_selectorELNS0_4arch9wavefront6targetE0EEEvT1_: ; @_ZN7rocprim17ROCPRIM_400000_NS6detail17trampoline_kernelINS0_14default_configENS1_27scan_by_key_config_selectorIxxEEZZNS1_16scan_by_key_implILNS1_25lookback_scan_determinismE0ELb1ES3_N6thrust23THRUST_200600_302600_NS6detail15normal_iteratorINS9_10device_ptrIxEEEESE_SE_xNS9_4plusIvEENS9_8equal_toIxEExEE10hipError_tPvRmT2_T3_T4_T5_mT6_T7_P12ihipStream_tbENKUlT_T0_E_clISt17integral_constantIbLb0EESY_IbLb1EEEEDaSU_SV_EUlSU_E_NS1_11comp_targetILNS1_3genE8ELNS1_11target_archE1030ELNS1_3gpuE2ELNS1_3repE0EEENS1_30default_config_static_selectorELNS0_4arch9wavefront6targetE0EEEvT1_
; %bb.0:
	s_clause 0x3
	s_load_dwordx8 s[36:43], s[4:5], 0x0
	s_load_dwordx2 s[44:45], s[4:5], 0x20
	s_load_dwordx8 s[20:27], s[4:5], 0x30
	s_load_dwordx2 s[46:47], s[4:5], 0x50
	v_cmp_ne_u32_e64 s2, 0, v0
	v_cmp_eq_u32_e64 s0, 0, v0
	s_and_saveexec_b32 s1, s0
	s_cbranch_execz .LBB460_4
; %bb.1:
	s_mov_b32 s6, exec_lo
	s_mov_b32 s3, exec_lo
	v_mbcnt_lo_u32_b32 v1, s6, 0
                                        ; implicit-def: $vgpr2
	v_cmpx_eq_u32_e32 0, v1
	s_cbranch_execz .LBB460_3
; %bb.2:
	s_load_dwordx2 s[8:9], s[4:5], 0x80
	s_bcnt1_i32_b32 s6, s6
	v_mov_b32_e32 v2, 0
	v_mov_b32_e32 v3, s6
	s_waitcnt lgkmcnt(0)
	global_atomic_add v2, v2, v3, s[8:9] glc
.LBB460_3:
	s_or_b32 exec_lo, exec_lo, s3
	s_waitcnt vmcnt(0)
	v_readfirstlane_b32 s3, v2
	v_mov_b32_e32 v2, 0
	v_add_nc_u32_e32 v1, s3, v1
	ds_write_b32 v2, v1
.LBB460_4:
	s_or_b32 exec_lo, exec_lo, s1
	v_mov_b32_e32 v2, 0
	s_clause 0x1
	s_load_dword s1, s[4:5], 0x58
	s_load_dwordx4 s[28:31], s[4:5], 0x60
	s_waitcnt lgkmcnt(0)
	s_barrier
	buffer_gl0_inv
	ds_read_b32 v5, v2
	s_lshl_b64 s[34:35], s[38:39], 3
	s_waitcnt lgkmcnt(0)
	s_add_u32 s6, s36, s34
	s_addc_u32 s7, s37, s35
	s_add_u32 s8, s40, s34
	s_addc_u32 s9, s41, s35
	s_barrier
	buffer_gl0_inv
	s_barrier
	buffer_gl0_inv
	s_mul_i32 s3, s47, s1
	s_mul_hi_u32 s4, s46, s1
	s_mul_i32 s1, s46, s1
	s_add_i32 s4, s4, s3
	v_mul_lo_u32 v1, 0xd00, v5
	v_add_co_u32 v3, s1, s1, v5
	v_add_co_ci_u32_e64 v4, null, s4, 0, s1
	s_add_u32 s4, s28, -1
	s_addc_u32 s5, s29, -1
	v_readfirstlane_b32 s27, v5
	v_lshlrev_b64 v[49:50], 3, v[1:2]
	v_cmp_le_u64_e64 s1, s[4:5], v[3:4]
	s_mul_i32 s19, s4, 0xfffff300
	v_add_co_u32 v53, vcc_lo, s6, v49
	v_add_co_ci_u32_e64 v54, null, s7, v50, vcc_lo
	v_add_co_u32 v90, vcc_lo, s8, v49
	v_add_co_ci_u32_e64 v91, null, s9, v50, vcc_lo
	s_and_b32 vcc_lo, exec_lo, s1
	s_cbranch_vccz .LBB460_45
; %bb.5:
	flat_load_dwordx2 v[1:2], v[53:54]
	s_add_i32 s28, s19, s26
	v_cmp_gt_u32_e32 vcc_lo, s28, v0
	s_waitcnt vmcnt(0) lgkmcnt(0)
	v_mov_b32_e32 v4, v2
	v_mov_b32_e32 v3, v1
	s_and_saveexec_b32 s4, vcc_lo
	s_cbranch_execz .LBB460_7
; %bb.6:
	v_lshlrev_b32_e32 v3, 3, v0
	v_add_co_u32 v3, s3, v53, v3
	v_add_co_ci_u32_e64 v4, null, 0, v54, s3
	flat_load_dwordx2 v[3:4], v[3:4]
.LBB460_7:
	s_or_b32 exec_lo, exec_lo, s4
	v_or_b32_e32 v5, 0x100, v0
	v_cmp_gt_u32_e64 s3, s28, v5
	v_lshlrev_b32_e32 v29, 3, v5
	v_mov_b32_e32 v6, v2
	v_mov_b32_e32 v5, v1
	s_and_saveexec_b32 s5, s3
	s_cbranch_execz .LBB460_9
; %bb.8:
	v_add_co_u32 v5, s4, v53, v29
	v_add_co_ci_u32_e64 v6, null, 0, v54, s4
	flat_load_dwordx2 v[5:6], v[5:6]
.LBB460_9:
	s_or_b32 exec_lo, exec_lo, s5
	v_or_b32_e32 v7, 0x200, v0
	v_cmp_gt_u32_e64 s4, s28, v7
	v_lshlrev_b32_e32 v31, 3, v7
	v_mov_b32_e32 v8, v2
	v_mov_b32_e32 v7, v1
	s_and_saveexec_b32 s6, s4
	s_cbranch_execz .LBB460_11
; %bb.10:
	v_add_co_u32 v7, s5, v53, v31
	v_add_co_ci_u32_e64 v8, null, 0, v54, s5
	flat_load_dwordx2 v[7:8], v[7:8]
.LBB460_11:
	;; [unrolled: 13-line block ×11, first 2 shown]
	s_or_b32 exec_lo, exec_lo, s15
	v_or_b32_e32 v27, 0xc00, v0
	v_cmp_gt_u32_e64 s14, s28, v27
	v_lshlrev_b32_e32 v55, 3, v27
	s_and_saveexec_b32 s16, s14
	s_cbranch_execz .LBB460_31
; %bb.30:
	v_add_co_u32 v1, s15, v53, v55
	v_add_co_ci_u32_e64 v2, null, 0, v54, s15
	flat_load_dwordx2 v[1:2], v[1:2]
.LBB460_31:
	s_or_b32 exec_lo, exec_lo, s16
	v_lshlrev_b32_e32 v56, 3, v0
	s_mov_b32 s16, exec_lo
	s_waitcnt vmcnt(0) lgkmcnt(0)
	ds_write2st64_b64 v56, v[3:4], v[5:6] offset1:4
	ds_write2st64_b64 v56, v[7:8], v[9:10] offset0:8 offset1:12
	ds_write2st64_b64 v56, v[11:12], v[13:14] offset0:16 offset1:20
	ds_write2st64_b64 v56, v[15:16], v[17:18] offset0:24 offset1:28
	ds_write2st64_b64 v56, v[19:20], v[21:22] offset0:32 offset1:36
	ds_write2st64_b64 v56, v[23:24], v[25:26] offset0:40 offset1:44
	ds_write_b64 v56, v[1:2] offset:24576
	s_waitcnt lgkmcnt(0)
	s_barrier
	buffer_gl0_inv
	flat_load_dwordx2 v[77:78], v[53:54]
	v_mad_u32_u24 v104, 0x60, v0, v56
	ds_read_b64 v[79:80], v104
	ds_read2_b64 v[21:24], v104 offset0:1 offset1:2
	ds_read2_b64 v[17:20], v104 offset0:3 offset1:4
	;; [unrolled: 1-line block ×6, first 2 shown]
	v_mad_i32_i24 v25, 0xffffffa0, v0, v104
	s_waitcnt lgkmcnt(6)
	ds_write_b64 v25, v[79:80] offset:28672
	s_waitcnt vmcnt(0) lgkmcnt(0)
	s_barrier
	buffer_gl0_inv
	v_cmpx_ne_u32_e32 0xff, v0
; %bb.32:
	v_mul_i32_i24_e32 v25, 0xffffffa0, v0
	v_add_nc_u32_e32 v25, v104, v25
	ds_read_b64 v[77:78], v25 offset:28680
; %bb.33:
	s_or_b32 exec_lo, exec_lo, s16
	s_waitcnt lgkmcnt(0)
	s_barrier
	buffer_gl0_inv
                                        ; implicit-def: $vgpr25_vgpr26
	s_and_saveexec_b32 s15, vcc_lo
	s_cbranch_execz .LBB460_46
; %bb.34:
	v_add_co_u32 v25, vcc_lo, v90, v56
	v_add_co_ci_u32_e64 v26, null, 0, v91, vcc_lo
	flat_load_dwordx2 v[25:26], v[25:26]
	s_or_b32 exec_lo, exec_lo, s15
                                        ; implicit-def: $vgpr27_vgpr28
	s_and_saveexec_b32 s15, s3
	s_cbranch_execnz .LBB460_47
.LBB460_35:
	s_or_b32 exec_lo, exec_lo, s15
                                        ; implicit-def: $vgpr29_vgpr30
	s_and_saveexec_b32 s3, s4
	s_cbranch_execz .LBB460_48
.LBB460_36:
	v_add_co_u32 v29, vcc_lo, v90, v31
	v_add_co_ci_u32_e64 v30, null, 0, v91, vcc_lo
	flat_load_dwordx2 v[29:30], v[29:30]
	s_or_b32 exec_lo, exec_lo, s3
                                        ; implicit-def: $vgpr31_vgpr32
	s_and_saveexec_b32 s3, s5
	s_cbranch_execnz .LBB460_49
.LBB460_37:
	s_or_b32 exec_lo, exec_lo, s3
                                        ; implicit-def: $vgpr33_vgpr34
	s_and_saveexec_b32 s3, s6
	s_cbranch_execz .LBB460_50
.LBB460_38:
	v_add_co_u32 v33, vcc_lo, v90, v35
	v_add_co_ci_u32_e64 v34, null, 0, v91, vcc_lo
	flat_load_dwordx2 v[33:34], v[33:34]
	s_or_b32 exec_lo, exec_lo, s3
                                        ; implicit-def: $vgpr35_vgpr36
	s_and_saveexec_b32 s3, s7
	s_cbranch_execnz .LBB460_51
.LBB460_39:
	s_or_b32 exec_lo, exec_lo, s3
                                        ; implicit-def: $vgpr37_vgpr38
	s_and_saveexec_b32 s3, s8
	s_cbranch_execz .LBB460_52
.LBB460_40:
	v_add_co_u32 v37, vcc_lo, v90, v39
	v_add_co_ci_u32_e64 v38, null, 0, v91, vcc_lo
	flat_load_dwordx2 v[37:38], v[37:38]
	s_or_b32 exec_lo, exec_lo, s3
                                        ; implicit-def: $vgpr39_vgpr40
	s_and_saveexec_b32 s3, s9
	s_cbranch_execnz .LBB460_53
.LBB460_41:
	s_or_b32 exec_lo, exec_lo, s3
                                        ; implicit-def: $vgpr41_vgpr42
	s_and_saveexec_b32 s3, s10
	s_cbranch_execz .LBB460_54
.LBB460_42:
	v_add_co_u32 v41, vcc_lo, v90, v43
	v_add_co_ci_u32_e64 v42, null, 0, v91, vcc_lo
	flat_load_dwordx2 v[41:42], v[41:42]
	s_or_b32 exec_lo, exec_lo, s3
                                        ; implicit-def: $vgpr43_vgpr44
	s_and_saveexec_b32 s3, s11
	s_cbranch_execnz .LBB460_55
.LBB460_43:
	s_or_b32 exec_lo, exec_lo, s3
                                        ; implicit-def: $vgpr45_vgpr46
	s_and_saveexec_b32 s3, s12
	s_cbranch_execz .LBB460_56
.LBB460_44:
	v_add_co_u32 v45, vcc_lo, v90, v47
	v_add_co_ci_u32_e64 v46, null, 0, v91, vcc_lo
	flat_load_dwordx2 v[45:46], v[45:46]
	s_or_b32 exec_lo, exec_lo, s3
                                        ; implicit-def: $vgpr47_vgpr48
	s_and_saveexec_b32 s3, s13
	s_cbranch_execz .LBB460_58
	s_branch .LBB460_57
.LBB460_45:
	s_mov_b32 s3, 0
                                        ; implicit-def: $sgpr16
                                        ; implicit-def: $vgpr51_vgpr52
                                        ; implicit-def: $vgpr95
                                        ; implicit-def: $vgpr59_vgpr60
                                        ; implicit-def: $vgpr96
                                        ; implicit-def: $vgpr71_vgpr72
                                        ; implicit-def: $vgpr97
                                        ; implicit-def: $vgpr75_vgpr76
                                        ; implicit-def: $vgpr98
                                        ; implicit-def: $vgpr69_vgpr70
                                        ; implicit-def: $vgpr99
                                        ; implicit-def: $vgpr73_vgpr74
                                        ; implicit-def: $vgpr100
                                        ; implicit-def: $vgpr65_vgpr66
                                        ; implicit-def: $vgpr101
                                        ; implicit-def: $vgpr67_vgpr68
                                        ; implicit-def: $vgpr102
                                        ; implicit-def: $vgpr63_vgpr64
                                        ; implicit-def: $vgpr103
                                        ; implicit-def: $vgpr61_vgpr62
                                        ; implicit-def: $vgpr105
                                        ; implicit-def: $vgpr57_vgpr58
                                        ; implicit-def: $vgpr106
                                        ; implicit-def: $vgpr55_vgpr56
                                        ; implicit-def: $vgpr108
                                        ; implicit-def: $vgpr39_vgpr40
                                        ; implicit-def: $vgpr81
                                        ; implicit-def: $vgpr25_vgpr26
                                        ; implicit-def: $vgpr82
                                        ; implicit-def: $vgpr29_vgpr30
                                        ; implicit-def: $vgpr83
                                        ; implicit-def: $vgpr31_vgpr32
                                        ; implicit-def: $vgpr84
                                        ; implicit-def: $vgpr33_vgpr34
                                        ; implicit-def: $vgpr85
                                        ; implicit-def: $vgpr35_vgpr36
                                        ; implicit-def: $vgpr86
                                        ; implicit-def: $vgpr37_vgpr38
                                        ; implicit-def: $vgpr88
                                        ; implicit-def: $vgpr41_vgpr42
                                        ; implicit-def: $vgpr89
                                        ; implicit-def: $vgpr43_vgpr44
                                        ; implicit-def: $vgpr92
                                        ; implicit-def: $vgpr45_vgpr46
                                        ; implicit-def: $vgpr93
                                        ; implicit-def: $vgpr47_vgpr48
                                        ; implicit-def: $vgpr94
                                        ; implicit-def: $vgpr27_vgpr28
                                        ; implicit-def: $vgpr87
	v_lshlrev_b32_e32 v77, 3, v0
	s_cbranch_execz .LBB460_92
	s_branch .LBB460_87
.LBB460_46:
	s_or_b32 exec_lo, exec_lo, s15
                                        ; implicit-def: $vgpr27_vgpr28
	s_and_saveexec_b32 s15, s3
	s_cbranch_execz .LBB460_35
.LBB460_47:
	v_add_co_u32 v27, vcc_lo, v90, v29
	v_add_co_ci_u32_e64 v28, null, 0, v91, vcc_lo
	flat_load_dwordx2 v[27:28], v[27:28]
	s_or_b32 exec_lo, exec_lo, s15
                                        ; implicit-def: $vgpr29_vgpr30
	s_and_saveexec_b32 s3, s4
	s_cbranch_execnz .LBB460_36
.LBB460_48:
	s_or_b32 exec_lo, exec_lo, s3
                                        ; implicit-def: $vgpr31_vgpr32
	s_and_saveexec_b32 s3, s5
	s_cbranch_execz .LBB460_37
.LBB460_49:
	v_add_co_u32 v31, vcc_lo, v90, v33
	v_add_co_ci_u32_e64 v32, null, 0, v91, vcc_lo
	flat_load_dwordx2 v[31:32], v[31:32]
	s_or_b32 exec_lo, exec_lo, s3
                                        ; implicit-def: $vgpr33_vgpr34
	s_and_saveexec_b32 s3, s6
	s_cbranch_execnz .LBB460_38
.LBB460_50:
	s_or_b32 exec_lo, exec_lo, s3
                                        ; implicit-def: $vgpr35_vgpr36
	s_and_saveexec_b32 s3, s7
	s_cbranch_execz .LBB460_39
.LBB460_51:
	v_add_co_u32 v35, vcc_lo, v90, v37
	v_add_co_ci_u32_e64 v36, null, 0, v91, vcc_lo
	flat_load_dwordx2 v[35:36], v[35:36]
	s_or_b32 exec_lo, exec_lo, s3
                                        ; implicit-def: $vgpr37_vgpr38
	s_and_saveexec_b32 s3, s8
	s_cbranch_execnz .LBB460_40
.LBB460_52:
	s_or_b32 exec_lo, exec_lo, s3
                                        ; implicit-def: $vgpr39_vgpr40
	s_and_saveexec_b32 s3, s9
	s_cbranch_execz .LBB460_41
.LBB460_53:
	v_add_co_u32 v39, vcc_lo, v90, v41
	v_add_co_ci_u32_e64 v40, null, 0, v91, vcc_lo
	flat_load_dwordx2 v[39:40], v[39:40]
	s_or_b32 exec_lo, exec_lo, s3
                                        ; implicit-def: $vgpr41_vgpr42
	s_and_saveexec_b32 s3, s10
	s_cbranch_execnz .LBB460_42
.LBB460_54:
	s_or_b32 exec_lo, exec_lo, s3
                                        ; implicit-def: $vgpr43_vgpr44
	s_and_saveexec_b32 s3, s11
	s_cbranch_execz .LBB460_43
.LBB460_55:
	v_add_co_u32 v43, vcc_lo, v90, v45
	v_add_co_ci_u32_e64 v44, null, 0, v91, vcc_lo
	flat_load_dwordx2 v[43:44], v[43:44]
	s_or_b32 exec_lo, exec_lo, s3
                                        ; implicit-def: $vgpr45_vgpr46
	s_and_saveexec_b32 s3, s12
	s_cbranch_execnz .LBB460_44
.LBB460_56:
	s_or_b32 exec_lo, exec_lo, s3
                                        ; implicit-def: $vgpr47_vgpr48
	s_and_saveexec_b32 s3, s13
	s_cbranch_execz .LBB460_58
.LBB460_57:
	v_add_co_u32 v47, vcc_lo, v90, v51
	v_add_co_ci_u32_e64 v48, null, 0, v91, vcc_lo
	flat_load_dwordx2 v[47:48], v[47:48]
.LBB460_58:
	s_or_b32 exec_lo, exec_lo, s3
	v_mul_u32_u24_e32 v107, 13, v0
                                        ; implicit-def: $vgpr51_vgpr52
	s_and_saveexec_b32 s3, s14
	s_cbranch_execz .LBB460_60
; %bb.59:
	v_add_co_u32 v51, vcc_lo, v90, v55
	v_add_co_ci_u32_e64 v52, null, 0, v91, vcc_lo
	flat_load_dwordx2 v[51:52], v[51:52]
.LBB460_60:
	s_or_b32 exec_lo, exec_lo, s3
	s_waitcnt vmcnt(0) lgkmcnt(0)
	ds_write2st64_b64 v56, v[25:26], v[27:28] offset1:4
	ds_write2st64_b64 v56, v[29:30], v[31:32] offset0:8 offset1:12
	ds_write2st64_b64 v56, v[33:34], v[35:36] offset0:16 offset1:20
	;; [unrolled: 1-line block ×5, first 2 shown]
	ds_write_b64 v56, v[51:52] offset:24576
	v_mov_b32_e32 v51, 0
	v_mov_b32_e32 v59, 0
	;; [unrolled: 1-line block ×24, first 2 shown]
	v_cmp_gt_u32_e32 vcc_lo, s28, v107
	v_mov_b32_e32 v95, 0
	v_mov_b32_e32 v52, 0
	;; [unrolled: 1-line block ×48, first 2 shown]
	s_mov_b32 s15, 0
	s_mov_b32 s3, 0
	s_waitcnt lgkmcnt(0)
	s_barrier
	buffer_gl0_inv
                                        ; implicit-def: $sgpr16
	s_and_saveexec_b32 s17, vcc_lo
	s_cbranch_execz .LBB460_86
; %bb.61:
	ds_read_b64 v[25:26], v104
	v_cmp_ne_u64_e32 vcc_lo, v[79:80], v[21:22]
	v_add_nc_u32_e32 v27, 1, v107
	v_mov_b32_e32 v59, 0
	v_mov_b32_e32 v71, 0
	;; [unrolled: 1-line block ×7, first 2 shown]
	v_cmp_gt_u32_e64 s3, s28, v27
	v_mov_b32_e32 v63, 0
	v_mov_b32_e32 v61, 0
	v_mov_b32_e32 v57, 0
	v_mov_b32_e32 v55, 0
	v_mov_b32_e32 v39, 0
	v_mov_b32_e32 v29, 0
	v_mov_b32_e32 v31, 0
	v_mov_b32_e32 v33, 0
	v_mov_b32_e32 v35, 0
	s_waitcnt lgkmcnt(0)
	v_cndmask_b32_e64 v52, v26, s45, vcc_lo
	v_cndmask_b32_e64 v51, v25, s44, vcc_lo
	v_mov_b32_e32 v25, 0
	v_mov_b32_e32 v37, 0
	;; [unrolled: 1-line block ×52, first 2 shown]
	s_mov_b32 s4, 0
                                        ; implicit-def: $sgpr16
	s_and_saveexec_b32 s18, s3
	s_cbranch_execz .LBB460_85
; %bb.62:
	ds_read2_b64 v[25:28], v104 offset0:1 offset1:2
	v_cmp_ne_u64_e64 s3, v[21:22], v[23:24]
	v_add_nc_u32_e32 v21, 2, v107
	v_mov_b32_e32 v59, 0
	v_mov_b32_e32 v71, 0
	v_mov_b32_e32 v75, 0
	v_mov_b32_e32 v69, 0
	v_mov_b32_e32 v73, 0
	v_mov_b32_e32 v65, 0
	v_mov_b32_e32 v67, 0
	v_mov_b32_e32 v63, 0
	v_mov_b32_e32 v61, 0
	v_mov_b32_e32 v57, 0
	v_mov_b32_e32 v39, 0
	v_mov_b32_e32 v29, 0
	v_mov_b32_e32 v31, 0
	v_mov_b32_e32 v33, 0
	v_mov_b32_e32 v35, 0
	v_mov_b32_e32 v37, 0
	v_mov_b32_e32 v41, 0
	s_waitcnt lgkmcnt(0)
	v_cndmask_b32_e64 v56, v26, s45, s3
	v_cndmask_b32_e64 v55, v25, s44, s3
	v_mov_b32_e32 v25, 0
	v_mov_b32_e32 v43, 0
	;; [unrolled: 1-line block ×19, first 2 shown]
	v_cmp_gt_u32_e64 s4, s28, v21
	v_mov_b32_e32 v64, 0
	v_mov_b32_e32 v103, 0
	v_mov_b32_e32 v62, 0
	v_mov_b32_e32 v105, 0
	v_mov_b32_e32 v58, 0
	v_mov_b32_e32 v40, 0
	v_mov_b32_e32 v81, 0
	v_mov_b32_e32 v26, 0
	v_mov_b32_e32 v82, 0
	v_mov_b32_e32 v30, 0
	v_mov_b32_e32 v83, 0
	v_mov_b32_e32 v32, 0
	v_mov_b32_e32 v84, 0
	v_mov_b32_e32 v34, 0
	v_mov_b32_e32 v85, 0
	v_mov_b32_e32 v36, 0
	v_mov_b32_e32 v86, 0
	v_mov_b32_e32 v38, 0
	v_mov_b32_e32 v88, 0
	v_mov_b32_e32 v42, 0
	v_mov_b32_e32 v89, 0
	v_mov_b32_e32 v44, 0
	v_mov_b32_e32 v92, 0
	v_mov_b32_e32 v46, 0
	v_mov_b32_e32 v48, 0
	v_mov_b32_e32 v93, 0
	s_mov_b32 s5, 0
                                        ; implicit-def: $sgpr16
	s_and_saveexec_b32 s29, s4
	s_cbranch_execz .LBB460_84
; %bb.63:
	v_cmp_ne_u64_e64 s4, v[23:24], v[17:18]
	v_add_nc_u32_e32 v21, 3, v107
	v_mov_b32_e32 v59, 0
	v_mov_b32_e32 v71, 0
	;; [unrolled: 1-line block ×19, first 2 shown]
	v_cndmask_b32_e64 v58, v28, s45, s4
	v_mov_b32_e32 v60, 0
	v_mov_b32_e32 v95, 0
	v_cmp_gt_u32_e64 s5, s28, v21
	v_cndmask_b32_e64 v57, v27, s44, s4
	v_mov_b32_e32 v96, 0
	v_mov_b32_e32 v72, 0
	;; [unrolled: 1-line block ×35, first 2 shown]
	s_mov_b32 s6, 0
                                        ; implicit-def: $sgpr16
	s_and_saveexec_b32 s33, s5
	s_cbranch_execz .LBB460_83
; %bb.64:
	ds_read2_b64 v[21:24], v104 offset0:3 offset1:4
	v_cmp_ne_u64_e64 s5, v[17:18], v[19:20]
	v_add_nc_u32_e32 v17, 4, v107
	v_mov_b32_e32 v59, 0
	v_mov_b32_e32 v71, 0
	;; [unrolled: 1-line block ×32, first 2 shown]
	v_cmp_gt_u32_e64 s6, s28, v17
	s_waitcnt lgkmcnt(0)
	v_cndmask_b32_e64 v62, v22, s45, s5
	v_cndmask_b32_e64 v61, v21, s44, s5
	v_mov_b32_e32 v64, 0
	v_mov_b32_e32 v40, 0
	;; [unrolled: 1-line block ×18, first 2 shown]
	s_mov_b32 s7, 0
                                        ; implicit-def: $sgpr16
	s_and_saveexec_b32 s36, s6
	s_cbranch_execz .LBB460_82
; %bb.65:
	v_cmp_ne_u64_e64 s6, v[19:20], v[13:14]
	v_add_nc_u32_e32 v17, 5, v107
	v_mov_b32_e32 v59, 0
	v_mov_b32_e32 v71, 0
	;; [unrolled: 1-line block ×15, first 2 shown]
	v_cndmask_b32_e64 v64, v24, s45, s6
	v_mov_b32_e32 v60, 0
	v_mov_b32_e32 v95, 0
	v_cmp_gt_u32_e64 s7, s28, v17
	v_cndmask_b32_e64 v63, v23, s44, s6
	v_mov_b32_e32 v96, 0
	v_mov_b32_e32 v72, 0
	;; [unrolled: 1-line block ×27, first 2 shown]
	s_mov_b32 s8, 0
                                        ; implicit-def: $sgpr16
	s_and_saveexec_b32 s37, s7
	s_cbranch_execz .LBB460_81
; %bb.66:
	ds_read2_b64 v[17:20], v104 offset0:5 offset1:6
	v_cmp_ne_u64_e64 s7, v[13:14], v[15:16]
	v_mov_b32_e32 v59, 0
	v_mov_b32_e32 v71, 0
	;; [unrolled: 1-line block ×13, first 2 shown]
	v_add_nc_u32_e32 v13, 6, v107
	v_mov_b32_e32 v60, 0
	v_mov_b32_e32 v95, 0
	;; [unrolled: 1-line block ×15, first 2 shown]
	s_waitcnt lgkmcnt(0)
	v_cndmask_b32_e64 v68, v18, s45, s7
	v_cndmask_b32_e64 v67, v17, s44, s7
	v_mov_b32_e32 v82, 0
	v_mov_b32_e32 v30, 0
	;; [unrolled: 1-line block ×10, first 2 shown]
	s_mov_b32 s9, 0
	s_mov_b32 s38, exec_lo
                                        ; implicit-def: $sgpr16
	v_cmpx_gt_u32_e64 s28, v13
	s_cbranch_execz .LBB460_80
; %bb.67:
	v_cmp_ne_u64_e64 s8, v[15:16], v[9:10]
	v_add_nc_u32_e32 v13, 7, v107
	v_mov_b32_e32 v59, 0
	v_mov_b32_e32 v71, 0
	;; [unrolled: 1-line block ×11, first 2 shown]
	v_cndmask_b32_e64 v66, v20, s45, s8
	v_mov_b32_e32 v60, 0
	v_mov_b32_e32 v95, 0
	v_cmp_gt_u32_e64 s9, s28, v13
	v_cndmask_b32_e64 v65, v19, s44, s8
	v_mov_b32_e32 v96, 0
	v_mov_b32_e32 v72, 0
	;; [unrolled: 1-line block ×19, first 2 shown]
	s_mov_b32 s10, 0
                                        ; implicit-def: $sgpr16
	s_and_saveexec_b32 s39, s9
	s_cbranch_execz .LBB460_79
; %bb.68:
	ds_read2_b64 v[13:16], v104 offset0:7 offset1:8
	v_cmp_ne_u64_e64 s9, v[9:10], v[11:12]
	v_mov_b32_e32 v59, 0
	v_mov_b32_e32 v71, 0
	;; [unrolled: 1-line block ×9, first 2 shown]
	v_add_nc_u32_e32 v9, 8, v107
	v_mov_b32_e32 v60, 0
	v_mov_b32_e32 v95, 0
	;; [unrolled: 1-line block ×15, first 2 shown]
	s_waitcnt lgkmcnt(0)
	v_cndmask_b32_e64 v74, v14, s45, s9
	v_cndmask_b32_e64 v73, v13, s44, s9
	v_mov_b32_e32 v34, 0
	v_mov_b32_e32 v84, 0
	s_mov_b32 s11, 0
	s_mov_b32 s40, exec_lo
                                        ; implicit-def: $sgpr16
	v_cmpx_gt_u32_e64 s28, v9
	s_cbranch_execz .LBB460_78
; %bb.69:
	v_cmp_ne_u64_e64 s10, v[11:12], v[5:6]
	v_mov_b32_e32 v59, 0
	v_mov_b32_e32 v71, 0
	;; [unrolled: 1-line block ×7, first 2 shown]
	v_add_nc_u32_e32 v9, 9, v107
	v_cndmask_b32_e64 v70, v16, s45, s10
	v_mov_b32_e32 v60, 0
	v_mov_b32_e32 v95, 0
	v_cndmask_b32_e64 v69, v15, s44, s10
	v_mov_b32_e32 v96, 0
	v_mov_b32_e32 v72, 0
	;; [unrolled: 1-line block ×11, first 2 shown]
	s_mov_b32 s12, 0
	s_mov_b32 s41, exec_lo
                                        ; implicit-def: $sgpr16
	v_cmpx_gt_u32_e64 s28, v9
	s_cbranch_execz .LBB460_77
; %bb.70:
	ds_read2_b64 v[9:12], v104 offset0:9 offset1:10
	v_cmp_ne_u64_e64 s11, v[5:6], v[7:8]
	v_mov_b32_e32 v59, 0
	v_mov_b32_e32 v71, 0
	;; [unrolled: 1-line block ×4, first 2 shown]
	v_add_nc_u32_e32 v5, 10, v107
	v_mov_b32_e32 v60, 0
	v_mov_b32_e32 v95, 0
	;; [unrolled: 1-line block ×7, first 2 shown]
	s_mov_b32 s13, 0
	s_mov_b32 s48, exec_lo
                                        ; implicit-def: $sgpr16
	s_waitcnt lgkmcnt(0)
	v_cndmask_b32_e64 v76, v10, s45, s11
	v_cndmask_b32_e64 v75, v9, s44, s11
	v_cmpx_gt_u32_e64 s28, v5
	s_cbranch_execz .LBB460_76
; %bb.71:
	v_cmp_ne_u64_e64 s12, v[7:8], v[1:2]
	v_mov_b32_e32 v59, 0
	v_mov_b32_e32 v39, 0
	v_add_nc_u32_e32 v5, 11, v107
	v_mov_b32_e32 v60, 0
	v_mov_b32_e32 v40, 0
	v_cndmask_b32_e64 v72, v12, s45, s12
	v_cndmask_b32_e64 v71, v11, s44, s12
	v_mov_b32_e32 v95, 0
	s_mov_b32 s14, 0
	s_mov_b32 s49, exec_lo
                                        ; implicit-def: $sgpr16
	v_cmpx_gt_u32_e64 s28, v5
	s_cbranch_execz .LBB460_75
; %bb.72:
	ds_read2_b64 v[5:8], v104 offset0:11 offset1:12
	v_cmp_ne_u64_e64 s13, v[1:2], v[3:4]
	v_add_nc_u32_e32 v1, 12, v107
	v_mov_b32_e32 v39, 0
	v_mov_b32_e32 v40, 0
                                        ; implicit-def: $sgpr16
	v_cmp_gt_u32_e64 s14, s28, v1
	s_mov_b32 s28, 0
	s_waitcnt lgkmcnt(0)
	v_cndmask_b32_e64 v60, v6, s45, s13
	v_cndmask_b32_e64 v59, v5, s44, s13
	s_and_saveexec_b32 s50, s14
	s_xor_b32 s14, exec_lo, s50
; %bb.73:
	v_cmp_ne_u64_e64 s16, v[3:4], v[77:78]
	s_mov_b32 s28, exec_lo
	v_cndmask_b32_e64 v40, v8, s45, s16
	v_cndmask_b32_e64 v39, v7, s44, s16
; %bb.74:
	s_or_b32 exec_lo, exec_lo, s14
	v_cndmask_b32_e64 v95, 0, 1, s13
	s_and_b32 s14, s28, exec_lo
.LBB460_75:
	s_or_b32 exec_lo, exec_lo, s49
	v_cndmask_b32_e64 v96, 0, 1, s12
	v_mov_b32_e32 v29, v71
	v_mov_b32_e32 v30, v72
	s_and_b32 s13, s14, exec_lo
	v_mov_b32_e32 v82, v96
.LBB460_76:
	s_or_b32 exec_lo, exec_lo, s48
	v_cndmask_b32_e64 v97, 0, 1, s11
	v_mov_b32_e32 v25, v59
	v_mov_b32_e32 v31, v75
	;; [unrolled: 1-line block ×6, first 2 shown]
	s_and_b32 s12, s13, exec_lo
.LBB460_77:
	s_or_b32 exec_lo, exec_lo, s41
	v_cndmask_b32_e64 v98, 0, 1, s10
	v_mov_b32_e32 v33, v69
	v_mov_b32_e32 v34, v70
	s_and_b32 s11, s12, exec_lo
	v_mov_b32_e32 v84, v98
.LBB460_78:
	s_or_b32 exec_lo, exec_lo, s40
	v_cndmask_b32_e64 v99, 0, 1, s9
	v_mov_b32_e32 v35, v73
	v_mov_b32_e32 v36, v74
	s_and_b32 s10, s11, exec_lo
	v_mov_b32_e32 v85, v99
.LBB460_79:
	s_or_b32 exec_lo, exec_lo, s39
	v_cndmask_b32_e64 v100, 0, 1, s8
	v_mov_b32_e32 v37, v65
	v_mov_b32_e32 v38, v66
	s_and_b32 s9, s10, exec_lo
	v_mov_b32_e32 v86, v100
.LBB460_80:
	s_or_b32 exec_lo, exec_lo, s38
	v_cndmask_b32_e64 v101, 0, 1, s7
	v_mov_b32_e32 v41, v67
	v_mov_b32_e32 v42, v68
	s_and_b32 s8, s9, exec_lo
	v_mov_b32_e32 v88, v101
.LBB460_81:
	s_or_b32 exec_lo, exec_lo, s37
	v_cndmask_b32_e64 v102, 0, 1, s6
	v_mov_b32_e32 v43, v63
	v_mov_b32_e32 v44, v64
	s_and_b32 s7, s8, exec_lo
	v_mov_b32_e32 v89, v102
.LBB460_82:
	s_or_b32 exec_lo, exec_lo, s36
	v_cndmask_b32_e64 v103, 0, 1, s5
	v_mov_b32_e32 v45, v61
	v_mov_b32_e32 v46, v62
	s_and_b32 s6, s7, exec_lo
	v_mov_b32_e32 v92, v103
.LBB460_83:
	s_or_b32 exec_lo, exec_lo, s33
	v_cndmask_b32_e64 v105, 0, 1, s4
	v_mov_b32_e32 v47, v57
	v_mov_b32_e32 v48, v58
	s_and_b32 s5, s6, exec_lo
	v_mov_b32_e32 v93, v105
.LBB460_84:
	s_or_b32 exec_lo, exec_lo, s29
	v_cndmask_b32_e64 v106, 0, 1, s3
	v_mov_b32_e32 v27, v55
	v_mov_b32_e32 v28, v56
	s_and_b32 s4, s5, exec_lo
	v_mov_b32_e32 v94, v106
.LBB460_85:
	s_or_b32 exec_lo, exec_lo, s18
	v_cndmask_b32_e64 v108, 0, 1, vcc_lo
	s_and_b32 s3, s4, exec_lo
	v_mov_b32_e32 v87, v108
.LBB460_86:
	s_or_b32 exec_lo, exec_lo, s17
	v_lshlrev_b32_e32 v77, 3, v0
	s_and_b32 vcc_lo, exec_lo, s15
	s_cbranch_vccz .LBB460_92
.LBB460_87:
	v_add_co_u32 v1, vcc_lo, v53, v77
	v_add_co_ci_u32_e64 v2, null, 0, v54, vcc_lo
	v_mad_u32_u24 v55, 0x60, v0, v77
	v_add_co_u32 v3, vcc_lo, 0x800, v1
	v_add_co_ci_u32_e64 v4, null, 0, v2, vcc_lo
	v_add_co_u32 v5, vcc_lo, 0x1000, v1
	v_add_co_ci_u32_e64 v6, null, 0, v2, vcc_lo
	;; [unrolled: 2-line block ×10, first 2 shown]
	v_add_co_u32 v25, vcc_lo, 0x5800, v1
	s_clause 0x7
	flat_load_dwordx2 v[17:18], v[1:2]
	flat_load_dwordx2 v[3:4], v[3:4]
	;; [unrolled: 1-line block ×8, first 2 shown]
	v_add_co_ci_u32_e64 v26, null, 0, v2, vcc_lo
	v_add_co_u32 v1, vcc_lo, 0x6000, v1
	v_add_co_ci_u32_e64 v2, null, 0, v2, vcc_lo
	s_clause 0x4
	flat_load_dwordx2 v[19:20], v[19:20]
	flat_load_dwordx2 v[21:22], v[21:22]
	;; [unrolled: 1-line block ×5, first 2 shown]
	v_add_co_u32 v27, vcc_lo, 0x6800, v53
	v_add_co_ci_u32_e64 v28, null, 0, v54, vcc_lo
	s_mov_b32 s3, exec_lo
	s_waitcnt vmcnt(11) lgkmcnt(11)
	ds_write2st64_b64 v77, v[17:18], v[3:4] offset1:4
	s_waitcnt vmcnt(9) lgkmcnt(10)
	ds_write2st64_b64 v77, v[5:6], v[7:8] offset0:8 offset1:12
	s_waitcnt vmcnt(7) lgkmcnt(9)
	ds_write2st64_b64 v77, v[9:10], v[11:12] offset0:16 offset1:20
	;; [unrolled: 2-line block ×5, first 2 shown]
	s_waitcnt vmcnt(0) lgkmcnt(6)
	ds_write_b64 v77, v[1:2] offset:24576
	s_waitcnt lgkmcnt(0)
	s_barrier
	buffer_gl0_inv
	flat_load_dwordx2 v[53:54], v[27:28]
	ds_read_b64 v[51:52], v55
	ds_read2_b64 v[21:24], v55 offset0:1 offset1:2
	ds_read2_b64 v[17:20], v55 offset0:3 offset1:4
	;; [unrolled: 1-line block ×6, first 2 shown]
	v_mad_i32_i24 v25, 0xffffffa0, v0, v55
	s_waitcnt lgkmcnt(6)
	ds_write_b64 v25, v[51:52] offset:28672
	s_waitcnt vmcnt(0) lgkmcnt(0)
	s_barrier
	buffer_gl0_inv
	v_cmpx_ne_u32_e32 0xff, v0
; %bb.88:
	v_mul_i32_i24_e32 v25, 0xffffffa0, v0
	v_add_nc_u32_e32 v25, v55, v25
	ds_read_b64 v[53:54], v25 offset:28680
; %bb.89:
	s_or_b32 exec_lo, exec_lo, s3
	v_add_co_u32 v25, vcc_lo, v90, v77
	v_add_co_ci_u32_e64 v26, null, 0, v91, vcc_lo
	s_waitcnt lgkmcnt(0)
	v_add_co_u32 v27, vcc_lo, 0x800, v25
	v_add_co_ci_u32_e64 v28, null, 0, v26, vcc_lo
	v_add_co_u32 v29, vcc_lo, 0x1000, v25
	v_add_co_ci_u32_e64 v30, null, 0, v26, vcc_lo
	;; [unrolled: 2-line block ×10, first 2 shown]
	v_add_co_u32 v56, vcc_lo, 0x5800, v25
	s_barrier
	buffer_gl0_inv
	s_clause 0x7
	flat_load_dwordx2 v[41:42], v[25:26]
	flat_load_dwordx2 v[27:28], v[27:28]
	flat_load_dwordx2 v[29:30], v[29:30]
	flat_load_dwordx2 v[31:32], v[31:32]
	flat_load_dwordx2 v[33:34], v[33:34]
	flat_load_dwordx2 v[35:36], v[35:36]
	flat_load_dwordx2 v[37:38], v[37:38]
	flat_load_dwordx2 v[39:40], v[39:40]
	v_add_co_ci_u32_e64 v57, null, 0, v26, vcc_lo
	v_add_co_u32 v25, vcc_lo, 0x6000, v25
	v_add_co_ci_u32_e64 v26, null, 0, v26, vcc_lo
	s_clause 0x4
	flat_load_dwordx2 v[43:44], v[43:44]
	flat_load_dwordx2 v[45:46], v[45:46]
	;; [unrolled: 1-line block ×5, first 2 shown]
	v_cmp_ne_u64_e32 vcc_lo, v[51:52], v[21:22]
	v_cmp_eq_u64_e64 s3, v[51:52], v[21:22]
	v_mov_b32_e32 v52, s45
	v_mov_b32_e32 v51, s44
	s_waitcnt vmcnt(11) lgkmcnt(11)
	ds_write2st64_b64 v77, v[41:42], v[27:28] offset1:4
	s_waitcnt vmcnt(9) lgkmcnt(10)
	ds_write2st64_b64 v77, v[29:30], v[31:32] offset0:8 offset1:12
	s_waitcnt vmcnt(7) lgkmcnt(9)
	ds_write2st64_b64 v77, v[33:34], v[35:36] offset0:16 offset1:20
	;; [unrolled: 2-line block ×5, first 2 shown]
	s_waitcnt vmcnt(0) lgkmcnt(6)
	ds_write_b64 v77, v[25:26] offset:24576
	s_waitcnt lgkmcnt(0)
	s_barrier
	buffer_gl0_inv
	ds_read2_b64 v[45:48], v55 offset0:1 offset1:2
	ds_read2_b64 v[41:44], v55 offset0:3 offset1:4
	;; [unrolled: 1-line block ×6, first 2 shown]
	s_and_saveexec_b32 s4, s3
; %bb.90:
	ds_read_b64 v[51:52], v55
; %bb.91:
	s_or_b32 exec_lo, exec_lo, s4
	v_cndmask_b32_e64 v108, 0, 1, vcc_lo
	v_cmp_ne_u64_e32 vcc_lo, v[21:22], v[23:24]
	v_cmp_ne_u64_e64 s3, v[23:24], v[17:18]
	v_cmp_ne_u64_e64 s4, v[17:18], v[19:20]
	;; [unrolled: 1-line block ×11, first 2 shown]
	s_waitcnt lgkmcnt(5)
	v_cndmask_b32_e64 v55, v45, s44, vcc_lo
	v_cndmask_b32_e64 v57, v47, s44, s3
	s_waitcnt lgkmcnt(4)
	v_cndmask_b32_e64 v61, v41, s44, s4
	v_cndmask_b32_e64 v63, v43, s44, s5
	s_waitcnt lgkmcnt(3)
	v_cndmask_b32_e64 v67, v37, s44, s6
	;; [unrolled: 3-line block ×4, first 2 shown]
	s_waitcnt lgkmcnt(0)
	v_cndmask_b32_e64 v59, v25, s44, s12
	v_cndmask_b32_e64 v71, v31, s44, s11
	v_cndmask_b32_e64 v106, 0, 1, vcc_lo
	v_cndmask_b32_e64 v105, 0, 1, s3
	v_cndmask_b32_e64 v103, 0, 1, s4
	;; [unrolled: 1-line block ×10, first 2 shown]
	v_cndmask_b32_e64 v56, v46, s45, vcc_lo
	v_cndmask_b32_e64 v58, v48, s45, s3
	v_cndmask_b32_e64 v62, v42, s45, s4
	;; [unrolled: 1-line block ×12, first 2 shown]
	v_mov_b32_e32 v25, v59
	v_mov_b32_e32 v29, v71
	;; [unrolled: 1-line block ×34, first 2 shown]
	s_mov_b32 s3, -1
.LBB460_92:
	v_mov_b32_e32 v12, 0
	s_and_saveexec_b32 s4, s3
	s_cbranch_execz .LBB460_94
; %bb.93:
	v_mov_b32_e32 v27, v55
	v_mov_b32_e32 v47, v57
	;; [unrolled: 1-line block ×11, first 2 shown]
	v_cndmask_b32_e64 v12, 0, 1, s16
	v_mov_b32_e32 v87, v108
	v_mov_b32_e32 v28, v56
	;; [unrolled: 1-line block ×23, first 2 shown]
.LBB460_94:
	s_or_b32 exec_lo, exec_lo, s4
	v_and_b32_e32 v21, 1, v92
	v_and_b32_e32 v18, 1, v86
	;; [unrolled: 1-line block ×4, first 2 shown]
	v_or_b32_e32 v13, v93, v94
	v_or_b32_e32 v15, v88, v89
	;; [unrolled: 1-line block ×4, first 2 shown]
	v_cmp_eq_u32_e64 s16, 1, v21
	v_cmp_eq_u32_e64 s15, 1, v18
	;; [unrolled: 1-line block ×3, first 2 shown]
	v_cmp_eq_u16_e64 s14, 0, v12
	v_and_b32_e32 v17, 1, v12
	v_mbcnt_lo_u32_b32 v11, -1, 0
	s_cmp_lg_u32 s27, 0
	v_cmp_eq_u32_e32 vcc_lo, 1, v20
	s_barrier
	buffer_gl0_inv
	s_cbranch_scc0 .LBB460_152
; %bb.95:
	v_mov_b32_e32 v1, 0
	v_cmp_eq_u32_e64 s18, 1, v17
	v_cmp_eq_u16_sdwa s12, v94, v1 src0_sel:BYTE_0 src1_sel:DWORD
	v_cmp_eq_u16_sdwa s11, v93, v1 src0_sel:BYTE_0 src1_sel:DWORD
	;; [unrolled: 1-line block ×5, first 2 shown]
	v_cndmask_b32_e64 v3, 0, v51, s12
	v_cndmask_b32_e64 v2, 0, v52, s12
	v_cmp_eq_u16_sdwa s7, v86, v1 src0_sel:BYTE_0 src1_sel:DWORD
	v_cmp_eq_u16_sdwa s6, v85, v1 src0_sel:BYTE_0 src1_sel:DWORD
	;; [unrolled: 1-line block ×3, first 2 shown]
	v_add_co_u32 v3, s3, v3, v27
	v_add_co_ci_u32_e64 v2, null, v2, v28, s3
	v_cmp_eq_u16_sdwa s4, v83, v1 src0_sel:BYTE_0 src1_sel:DWORD
	v_cndmask_b32_e64 v3, 0, v3, s11
	v_cmp_ne_u16_sdwa s28, v13, v1 src0_sel:BYTE_0 src1_sel:DWORD
	v_cndmask_b32_e64 v2, 0, v2, s11
	v_cmp_ne_u16_sdwa s29, v15, v1 src0_sel:BYTE_0 src1_sel:DWORD
	v_cmp_ne_u16_sdwa s33, v16, v1 src0_sel:BYTE_0 src1_sel:DWORD
	v_add_co_u32 v3, s3, v3, v47
	v_add_co_ci_u32_e64 v2, null, v2, v48, s3
	v_cmp_ne_u16_sdwa s36, v14, v1 src0_sel:BYTE_0 src1_sel:DWORD
	v_cndmask_b32_e64 v3, 0, v3, s10
	s_or_b32 s16, s28, s16
	v_cndmask_b32_e64 v2, 0, v2, s10
	s_or_b32 s28, s29, s15
	s_or_b32 s17, s33, s17
	v_add_co_u32 v3, s3, v3, v45
	v_add_co_ci_u32_e64 v2, null, v2, v46, s3
	s_or_b32 s18, s36, s18
	v_cndmask_b32_e64 v3, 0, v3, s9
	s_or_b32 s17, s18, s17
	v_cndmask_b32_e64 v2, 0, v2, s9
	s_or_b32 s17, s17, s28
	v_add_co_u32 v3, s3, v3, v43
	v_add_co_ci_u32_e64 v2, null, v2, v44, s3
	v_cndmask_b32_e64 v3, 0, v3, s8
	v_cndmask_b32_e64 v2, 0, v2, s8
	v_add_co_u32 v3, s3, v3, v41
	v_add_co_ci_u32_e64 v2, null, v2, v42, s3
	v_cndmask_b32_e64 v3, 0, v3, s7
	v_cndmask_b32_e64 v2, 0, v2, s7
	;; [unrolled: 4-line block ×5, first 2 shown]
	v_add_co_u32 v3, s3, v3, v31
	v_add_co_ci_u32_e64 v2, null, v2, v32, s3
	v_cmp_eq_u16_sdwa s3, v82, v1 src0_sel:BYTE_0 src1_sel:DWORD
	v_cndmask_b32_e64 v3, 0, v3, s3
	v_cndmask_b32_e64 v2, 0, v2, s3
	v_add_co_u32 v3, s13, v3, v29
	v_add_co_ci_u32_e64 v2, null, v2, v30, s13
	v_cmp_eq_u16_sdwa s13, v81, v1 src0_sel:BYTE_0 src1_sel:DWORD
	v_cndmask_b32_e64 v1, 0, v2, s13
	v_cndmask_b32_e64 v2, 0, v3, s13
	v_add_co_u32 v2, s15, v2, v25
	v_add_co_ci_u32_e64 v1, null, v1, v26, s15
	s_or_b32 s15, s17, s16
	v_cndmask_b32_e64 v3, 0, v2, s14
	s_or_b32 s15, s15, vcc_lo
	v_cndmask_b32_e64 v1, 0, v1, s14
	v_cndmask_b32_e64 v2, 0, 1, s15
	;; [unrolled: 1-line block ×3, first 2 shown]
	v_add_co_u32 v3, vcc_lo, v3, v39
	v_add_co_ci_u32_e64 v4, null, v1, v40, vcc_lo
	v_and_b32_e32 v1, 15, v11
	v_mov_b32_dpp v8, v2 row_shr:1 row_mask:0xf bank_mask:0xf
	v_mov_b32_dpp v6, v3 row_shr:1 row_mask:0xf bank_mask:0xf
	;; [unrolled: 1-line block ×3, first 2 shown]
	s_mov_b32 s14, exec_lo
	v_cmpx_ne_u32_e32 0, v1
	s_cbranch_execz .LBB460_97
; %bb.96:
	v_and_b32_e32 v2, 1, v8
	v_cndmask_b32_e64 v6, v6, 0, s15
	v_cndmask_b32_e64 v7, v7, 0, s15
	v_or_b32_e32 v5, v2, v5
	v_add_co_u32 v3, vcc_lo, v6, v3
	v_add_co_ci_u32_e64 v4, null, v7, v4, vcc_lo
	v_and_b32_e32 v2, 0xffff, v5
.LBB460_97:
	s_or_b32 exec_lo, exec_lo, s14
	v_mov_b32_dpp v6, v3 row_shr:2 row_mask:0xf bank_mask:0xf
	v_mov_b32_dpp v7, v4 row_shr:2 row_mask:0xf bank_mask:0xf
	v_mov_b32_dpp v8, v2 row_shr:2 row_mask:0xf bank_mask:0xf
	s_mov_b32 s16, exec_lo
	v_cmpx_lt_u32_e32 1, v1
	s_cbranch_execz .LBB460_99
; %bb.98:
	v_cmp_eq_u16_e32 vcc_lo, 0, v5
	v_and_b32_e32 v2, 1, v5
	v_and_b32_e32 v5, 1, v8
	v_cndmask_b32_e32 v7, 0, v7, vcc_lo
	v_cndmask_b32_e32 v6, 0, v6, vcc_lo
	v_cmp_eq_u32_e32 vcc_lo, 1, v2
	v_cmp_eq_u32_e64 s14, 1, v5
	v_add_co_u32 v3, s15, v6, v3
	s_or_b32 s14, vcc_lo, s14
	v_add_co_ci_u32_e64 v4, null, v7, v4, s15
	v_cndmask_b32_e64 v5, 0, 1, s14
	v_cndmask_b32_e64 v2, 0, 1, s14
.LBB460_99:
	s_or_b32 exec_lo, exec_lo, s16
	v_mov_b32_dpp v6, v3 row_shr:4 row_mask:0xf bank_mask:0xf
	v_mov_b32_dpp v7, v4 row_shr:4 row_mask:0xf bank_mask:0xf
	v_mov_b32_dpp v8, v2 row_shr:4 row_mask:0xf bank_mask:0xf
	s_mov_b32 s16, exec_lo
	v_cmpx_lt_u32_e32 3, v1
	s_cbranch_execz .LBB460_101
; %bb.100:
	v_cmp_eq_u16_e32 vcc_lo, 0, v5
	v_and_b32_e32 v2, 1, v5
	v_and_b32_e32 v5, 1, v8
	v_cndmask_b32_e32 v7, 0, v7, vcc_lo
	v_cndmask_b32_e32 v6, 0, v6, vcc_lo
	v_cmp_eq_u32_e32 vcc_lo, 1, v2
	v_cmp_eq_u32_e64 s14, 1, v5
	v_add_co_u32 v3, s15, v6, v3
	s_or_b32 s14, vcc_lo, s14
	v_add_co_ci_u32_e64 v4, null, v7, v4, s15
	v_cndmask_b32_e64 v5, 0, 1, s14
	v_cndmask_b32_e64 v2, 0, 1, s14
.LBB460_101:
	;; [unrolled: 21-line block ×3, first 2 shown]
	s_or_b32 exec_lo, exec_lo, s16
	ds_swizzle_b32 v1, v3 offset:swizzle(BROADCAST,32,15)
	ds_swizzle_b32 v6, v4 offset:swizzle(BROADCAST,32,15)
	;; [unrolled: 1-line block ×3, first 2 shown]
	v_and_b32_e32 v7, 16, v11
	s_mov_b32 s16, exec_lo
	v_cmpx_ne_u32_e32 0, v7
	s_cbranch_execz .LBB460_105
; %bb.104:
	v_cmp_eq_u16_e32 vcc_lo, 0, v5
	v_and_b32_e32 v5, 1, v5
	s_waitcnt lgkmcnt(0)
	v_and_b32_e32 v2, 1, v2
	v_cndmask_b32_e32 v6, 0, v6, vcc_lo
	v_cndmask_b32_e32 v1, 0, v1, vcc_lo
	v_cmp_eq_u32_e32 vcc_lo, 1, v5
	v_cmp_eq_u32_e64 s14, 1, v2
	v_add_co_u32 v3, s15, v1, v3
	s_or_b32 s14, vcc_lo, s14
	v_add_co_ci_u32_e64 v4, null, v6, v4, s15
	v_cndmask_b32_e64 v5, 0, 1, s14
.LBB460_105:
	s_or_b32 exec_lo, exec_lo, s16
	s_waitcnt lgkmcnt(0)
	v_lshrrev_b32_e32 v2, 5, v0
	v_or_b32_e32 v1, 31, v0
	s_mov_b32 s14, exec_lo
	v_lshlrev_b32_e32 v6, 4, v2
	v_cmpx_eq_u32_e64 v0, v1
	s_cbranch_execz .LBB460_107
; %bb.106:
	ds_write_b64 v6, v[3:4]
	ds_write_b8 v6, v5 offset:8
.LBB460_107:
	s_or_b32 exec_lo, exec_lo, s14
	s_mov_b32 s16, exec_lo
	s_waitcnt lgkmcnt(0)
	s_barrier
	buffer_gl0_inv
	v_cmpx_gt_u32_e32 8, v0
	s_cbranch_execz .LBB460_115
; %bb.108:
	v_lshlrev_b32_e32 v7, 4, v0
	v_and_b32_e32 v8, 7, v11
	s_mov_b32 s14, exec_lo
	ds_read_b64 v[1:2], v7
	ds_read_b32 v23, v7 offset:8
	s_waitcnt lgkmcnt(1)
	v_mov_b32_dpp v24, v1 row_shr:1 row_mask:0xf bank_mask:0xf
	v_mov_b32_dpp v53, v2 row_shr:1 row_mask:0xf bank_mask:0xf
	s_waitcnt lgkmcnt(0)
	v_and_b32_e32 v10, 0xffffff00, v23
	v_mov_b32_dpp v54, v23 row_shr:1 row_mask:0xf bank_mask:0xf
	v_mov_b32_e32 v22, v23
	v_mov_b32_e32 v9, v23
	v_cmpx_ne_u32_e32 0, v8
	s_cbranch_execz .LBB460_110
; %bb.109:
	v_mov_b32_e32 v9, 0
	v_cmp_eq_u16_sdwa vcc_lo, v23, v9 src0_sel:BYTE_0 src1_sel:DWORD
	v_or_b32_e32 v9, v54, v23
	v_cndmask_b32_e32 v24, 0, v24, vcc_lo
	v_cndmask_b32_e32 v23, 0, v53, vcc_lo
	v_and_b32_e32 v22, 1, v9
	v_and_b32_e32 v9, 1, v9
	v_add_co_u32 v1, vcc_lo, v24, v1
	v_add_co_ci_u32_e64 v2, null, v23, v2, vcc_lo
	v_or_b32_e32 v23, v9, v10
.LBB460_110:
	s_or_b32 exec_lo, exec_lo, s14
	v_mov_b32_dpp v24, v1 row_shr:2 row_mask:0xf bank_mask:0xf
	v_mov_b32_dpp v53, v2 row_shr:2 row_mask:0xf bank_mask:0xf
	;; [unrolled: 1-line block ×3, first 2 shown]
	s_mov_b32 s17, exec_lo
	v_cmpx_lt_u32_e32 1, v8
	s_cbranch_execz .LBB460_112
; %bb.111:
	v_mov_b32_e32 v22, 0
	v_and_b32_e32 v23, 1, v9
	v_and_b32_e32 v54, 1, v54
	v_cmp_eq_u16_sdwa vcc_lo, v9, v22 src0_sel:BYTE_0 src1_sel:DWORD
	v_cmp_eq_u32_e64 s14, 1, v23
	v_cmp_eq_u32_e64 s15, 1, v54
	v_cndmask_b32_e32 v23, 0, v24, vcc_lo
	v_cndmask_b32_e32 v9, 0, v53, vcc_lo
	s_or_b32 s14, s14, s15
	v_cndmask_b32_e64 v22, 0, 1, s14
	v_cndmask_b32_e64 v24, 0, 1, s14
	v_add_co_u32 v1, vcc_lo, v23, v1
	v_add_co_ci_u32_e64 v2, null, v9, v2, vcc_lo
	v_or_b32_e32 v23, v10, v24
	v_mov_b32_e32 v9, v22
.LBB460_112:
	s_or_b32 exec_lo, exec_lo, s17
	v_mov_b32_dpp v10, v1 row_shr:4 row_mask:0xf bank_mask:0xf
	v_mov_b32_dpp v24, v2 row_shr:4 row_mask:0xf bank_mask:0xf
	;; [unrolled: 1-line block ×3, first 2 shown]
	s_mov_b32 s17, exec_lo
	v_cmpx_lt_u32_e32 3, v8
	s_cbranch_execz .LBB460_114
; %bb.113:
	v_mov_b32_e32 v8, 0
	v_cmp_eq_u16_sdwa vcc_lo, v9, v8 src0_sel:BYTE_0 src1_sel:DWORD
	v_and_b32_e32 v8, 1, v9
	v_and_b32_e32 v9, 1, v23
	v_cndmask_b32_e32 v22, 0, v24, vcc_lo
	v_cndmask_b32_e32 v10, 0, v10, vcc_lo
	v_cmp_eq_u32_e32 vcc_lo, 1, v8
	v_cmp_eq_u32_e64 s14, 1, v9
	v_add_co_u32 v1, s15, v10, v1
	s_or_b32 s14, vcc_lo, s14
	v_add_co_ci_u32_e64 v2, null, v22, v2, s15
	v_cndmask_b32_e64 v22, 0, 1, s14
.LBB460_114:
	s_or_b32 exec_lo, exec_lo, s17
	ds_write_b64 v7, v[1:2]
	ds_write_b8 v7, v22 offset:8
.LBB460_115:
	s_or_b32 exec_lo, exec_lo, s16
	v_mov_b32_e32 v1, 0
	v_mov_b32_e32 v2, 0
	v_mov_b32_e32 v22, 0
	s_mov_b32 s15, exec_lo
	v_cmp_gt_u32_e32 vcc_lo, 32, v0
	s_waitcnt lgkmcnt(0)
	s_barrier
	buffer_gl0_inv
	v_cmpx_lt_u32_e32 31, v0
	s_cbranch_execz .LBB460_117
; %bb.116:
	v_add_nc_u32_e32 v1, -16, v6
	v_add_nc_u32_e32 v6, -8, v6
	v_cmp_eq_u16_e64 s14, 0, v5
	ds_read_b64 v[1:2], v1
	ds_read_u8 v22, v6
	s_waitcnt lgkmcnt(1)
	v_cndmask_b32_e64 v7, 0, v1, s14
	v_cndmask_b32_e64 v6, 0, v2, s14
	s_waitcnt lgkmcnt(0)
	v_or_b32_e32 v5, v22, v5
	v_add_co_u32 v3, s14, v3, v7
	v_add_co_ci_u32_e64 v4, null, v4, v6, s14
.LBB460_117:
	s_or_b32 exec_lo, exec_lo, s15
	v_sub_co_u32 v6, s14, v11, 1
	v_and_b32_e32 v5, 0xff, v5
	v_cmp_gt_i32_e64 s15, 0, v6
	v_cndmask_b32_e64 v6, v6, v11, s15
	v_lshlrev_b32_e32 v6, 2, v6
	ds_bpermute_b32 v24, v6, v3
	ds_bpermute_b32 v23, v6, v4
	;; [unrolled: 1-line block ×3, first 2 shown]
	s_and_saveexec_b32 s17, vcc_lo
	s_cbranch_execz .LBB460_157
; %bb.118:
	v_mov_b32_e32 v7, 0
	ds_read_b64 v[3:4], v7 offset:112
	ds_read_u8 v53, v7 offset:120
	s_and_saveexec_b32 s15, s14
	s_cbranch_execz .LBB460_120
; %bb.119:
	s_add_i32 s28, s27, 32
	s_mov_b32 s29, 0
	v_mov_b32_e32 v5, 1
	s_lshl_b64 s[36:37], s[28:29], 4
	v_mov_b32_e32 v6, s28
	s_add_u32 s36, s20, s36
	s_addc_u32 s37, s21, s37
	s_waitcnt lgkmcnt(1)
	global_store_dwordx2 v7, v[3:4], s[36:37]
	s_waitcnt lgkmcnt(0)
	global_store_byte v7, v53, s[36:37] offset:8
	s_waitcnt_vscnt null, 0x0
	buffer_gl1_inv
	buffer_gl0_inv
	global_store_byte v6, v5, s[24:25]
.LBB460_120:
	s_or_b32 exec_lo, exec_lo, s15
	v_xad_u32 v5, v11, -1, s27
	s_mov_b32 s16, 0
	s_mov_b32 s15, exec_lo
	v_add_nc_u32_e32 v6, 32, v5
	global_load_ubyte v54, v6, s[24:25] glc dlc
	s_waitcnt vmcnt(0)
	v_cmpx_eq_u16_e32 0, v54
	s_cbranch_execz .LBB460_124
; %bb.121:
	v_add_co_u32 v8, s18, s24, v6
	v_add_co_ci_u32_e64 v9, null, s25, 0, s18
.LBB460_122:                            ; =>This Inner Loop Header: Depth=1
	global_load_ubyte v54, v[8:9], off glc dlc
	s_waitcnt vmcnt(0)
	v_cmp_ne_u16_e32 vcc_lo, 0, v54
	s_or_b32 s16, vcc_lo, s16
	s_andn2_b32 exec_lo, exec_lo, s16
	s_cbranch_execnz .LBB460_122
; %bb.123:
	s_or_b32 exec_lo, exec_lo, s16
.LBB460_124:
	s_or_b32 exec_lo, exec_lo, s15
	v_cmp_eq_u16_e32 vcc_lo, 1, v54
	v_mov_b32_e32 v9, s20
	v_mov_b32_e32 v8, s21
	v_lshlrev_b64 v[6:7], 4, v[6:7]
	s_waitcnt lgkmcnt(0)
	s_waitcnt_vscnt null, 0x0
	buffer_gl1_inv
	buffer_gl0_inv
	v_lshlrev_b32_e64 v57, v11, -1
	v_cndmask_b32_e32 v9, s22, v9, vcc_lo
	v_cndmask_b32_e32 v8, s23, v8, vcc_lo
	s_mov_b32 s15, exec_lo
	v_add_co_u32 v6, vcc_lo, v9, v6
	v_add_co_ci_u32_e64 v7, null, v8, v7, vcc_lo
	v_cmp_ne_u32_e32 vcc_lo, 31, v11
	s_clause 0x1
	global_load_ubyte v68, v[6:7], off offset:8
	global_load_dwordx2 v[9:10], v[6:7], off
	v_add_co_ci_u32_e64 v6, null, 0, v11, vcc_lo
	v_cmp_eq_u16_e32 vcc_lo, 2, v54
	v_lshlrev_b32_e32 v56, 2, v6
	v_and_or_b32 v6, vcc_lo, v57, 0x80000000
	v_ffbl_b32_e32 v6, v6
	s_waitcnt vmcnt(1)
	v_and_b32_e32 v7, 1, v68
	s_waitcnt vmcnt(0)
	ds_bpermute_b32 v8, v56, v9
	ds_bpermute_b32 v58, v56, v10
	;; [unrolled: 1-line block ×3, first 2 shown]
	v_cmpx_lt_u32_e64 v11, v6
	s_cbranch_execz .LBB460_126
; %bb.125:
	v_mov_b32_e32 v7, 0
	v_cmp_eq_u16_sdwa vcc_lo, v68, v7 src0_sel:BYTE_0 src1_sel:DWORD
	s_waitcnt lgkmcnt(0)
	v_and_b32_e32 v7, 1, v59
	v_cndmask_b32_e32 v8, 0, v8, vcc_lo
	v_cndmask_b32_e32 v58, 0, v58, vcc_lo
	v_or_b32_e32 v68, v7, v68
	v_add_co_u32 v9, vcc_lo, v8, v9
	v_add_co_ci_u32_e64 v10, null, v58, v10, vcc_lo
	v_and_b32_e32 v7, 0xff, v68
.LBB460_126:
	s_or_b32 exec_lo, exec_lo, s15
	v_cmp_gt_u32_e32 vcc_lo, 30, v11
	s_waitcnt lgkmcnt(0)
	v_add_nc_u32_e32 v59, 2, v11
	s_mov_b32 s18, exec_lo
	v_cndmask_b32_e64 v8, 0, 2, vcc_lo
	v_add_lshl_u32 v58, v8, v11, 2
	ds_bpermute_b32 v8, v58, v9
	ds_bpermute_b32 v60, v58, v10
	ds_bpermute_b32 v61, v58, v7
	v_cmpx_le_u32_e64 v59, v6
	s_cbranch_execz .LBB460_128
; %bb.127:
	v_mov_b32_e32 v7, 0
	v_and_b32_e32 v62, 1, v68
	s_waitcnt lgkmcnt(0)
	v_and_b32_e32 v61, 1, v61
	v_cmp_eq_u16_sdwa vcc_lo, v68, v7 src0_sel:BYTE_0 src1_sel:DWORD
	v_cmp_eq_u32_e64 s15, 1, v62
	v_cmp_eq_u32_e64 s16, 1, v61
	v_cndmask_b32_e32 v8, 0, v8, vcc_lo
	v_cndmask_b32_e32 v7, 0, v60, vcc_lo
	s_or_b32 s15, s15, s16
	v_cndmask_b32_e64 v68, 0, 1, s15
	v_add_co_u32 v9, vcc_lo, v8, v9
	v_add_co_ci_u32_e64 v10, null, v7, v10, vcc_lo
	v_cndmask_b32_e64 v7, 0, 1, s15
.LBB460_128:
	s_or_b32 exec_lo, exec_lo, s18
	v_cmp_gt_u32_e32 vcc_lo, 28, v11
	s_waitcnt lgkmcnt(0)
	v_add_nc_u32_e32 v61, 4, v11
	s_mov_b32 s18, exec_lo
	v_cndmask_b32_e64 v8, 0, 4, vcc_lo
	v_add_lshl_u32 v60, v8, v11, 2
	ds_bpermute_b32 v8, v60, v9
	ds_bpermute_b32 v62, v60, v10
	ds_bpermute_b32 v63, v60, v7
	v_cmpx_le_u32_e64 v61, v6
	s_cbranch_execz .LBB460_130
; %bb.129:
	v_mov_b32_e32 v7, 0
	v_and_b32_e32 v64, 1, v68
	s_waitcnt lgkmcnt(0)
	v_and_b32_e32 v63, 1, v63
	v_cmp_eq_u16_sdwa vcc_lo, v68, v7 src0_sel:BYTE_0 src1_sel:DWORD
	v_cmp_eq_u32_e64 s15, 1, v64
	v_cmp_eq_u32_e64 s16, 1, v63
	v_cndmask_b32_e32 v8, 0, v8, vcc_lo
	v_cndmask_b32_e32 v7, 0, v62, vcc_lo
	s_or_b32 s15, s15, s16
	v_cndmask_b32_e64 v68, 0, 1, s15
	v_add_co_u32 v9, vcc_lo, v8, v9
	v_add_co_ci_u32_e64 v10, null, v7, v10, vcc_lo
	v_cndmask_b32_e64 v7, 0, 1, s15
.LBB460_130:
	;; [unrolled: 28-line block ×3, first 2 shown]
	s_or_b32 exec_lo, exec_lo, s18
	s_waitcnt lgkmcnt(0)
	v_lshl_or_b32 v65, v11, 2, 64
	v_add_nc_u32_e32 v66, 16, v11
	s_mov_b32 s18, exec_lo
	ds_bpermute_b32 v8, v65, v9
	ds_bpermute_b32 v64, v65, v10
	;; [unrolled: 1-line block ×3, first 2 shown]
	v_cmpx_le_u32_e64 v66, v6
	s_cbranch_execz .LBB460_134
; %bb.133:
	v_mov_b32_e32 v6, 0
	s_waitcnt lgkmcnt(0)
	v_and_b32_e32 v7, 1, v7
	v_cmp_eq_u16_sdwa vcc_lo, v68, v6 src0_sel:BYTE_0 src1_sel:DWORD
	v_and_b32_e32 v6, 1, v68
	v_cmp_eq_u32_e64 s15, 1, v7
	v_cndmask_b32_e32 v64, 0, v64, vcc_lo
	v_cndmask_b32_e32 v8, 0, v8, vcc_lo
	v_cmp_eq_u32_e32 vcc_lo, 1, v6
	v_add_co_u32 v9, s16, v8, v9
	s_or_b32 s15, vcc_lo, s15
	v_add_co_ci_u32_e64 v10, null, v64, v10, s16
	v_cndmask_b32_e64 v68, 0, 1, s15
.LBB460_134:
	s_or_b32 exec_lo, exec_lo, s18
	v_mov_b32_e32 v6, 0
	v_mov_b32_e32 v67, 2
	s_branch .LBB460_137
.LBB460_135:                            ;   in Loop: Header=BB460_137 Depth=1
	s_or_b32 exec_lo, exec_lo, s28
	v_cmp_eq_u16_sdwa vcc_lo, v64, v6 src0_sel:BYTE_0 src1_sel:DWORD
	v_and_b32_e32 v68, 1, v64
	v_subrev_nc_u32_e32 v5, 32, v5
	v_cndmask_b32_e32 v9, 0, v9, vcc_lo
	v_cndmask_b32_e32 v10, 0, v10, vcc_lo
	v_cmp_eq_u32_e32 vcc_lo, 1, v68
	v_add_co_u32 v9, s15, v9, v7
	v_add_co_ci_u32_e64 v10, null, v10, v8, s15
	s_or_b32 s15, vcc_lo, s18
	v_cndmask_b32_e64 v68, 0, 1, s15
	s_mov_b32 s15, 0
.LBB460_136:                            ;   in Loop: Header=BB460_137 Depth=1
	s_and_b32 vcc_lo, exec_lo, s15
	s_cbranch_vccnz .LBB460_153
.LBB460_137:                            ; =>This Loop Header: Depth=1
                                        ;     Child Loop BB460_140 Depth 2
	v_cmp_ne_u16_sdwa s15, v54, v67 src0_sel:BYTE_0 src1_sel:DWORD
	s_waitcnt lgkmcnt(0)
	v_mov_b32_e32 v7, v9
	v_mov_b32_e32 v64, v68
	;; [unrolled: 1-line block ×3, first 2 shown]
                                        ; implicit-def: $vgpr68
                                        ; implicit-def: $vgpr9_vgpr10
                                        ; implicit-def: $vgpr54
	s_cmp_lg_u32 s15, exec_lo
	s_mov_b32 s15, -1
	s_cbranch_scc1 .LBB460_136
; %bb.138:                              ;   in Loop: Header=BB460_137 Depth=1
	global_load_ubyte v54, v5, s[24:25] glc dlc
	s_mov_b32 s15, exec_lo
	s_waitcnt vmcnt(0)
	v_cmpx_eq_u16_e32 0, v54
	s_cbranch_execz .LBB460_142
; %bb.139:                              ;   in Loop: Header=BB460_137 Depth=1
	v_add_co_u32 v9, s16, s24, v5
	v_add_co_ci_u32_e64 v10, null, s25, 0, s16
	s_mov_b32 s16, 0
.LBB460_140:                            ;   Parent Loop BB460_137 Depth=1
                                        ; =>  This Inner Loop Header: Depth=2
	global_load_ubyte v54, v[9:10], off glc dlc
	s_waitcnt vmcnt(0)
	v_cmp_ne_u16_e32 vcc_lo, 0, v54
	s_or_b32 s16, vcc_lo, s16
	s_andn2_b32 exec_lo, exec_lo, s16
	s_cbranch_execnz .LBB460_140
; %bb.141:                              ;   in Loop: Header=BB460_137 Depth=1
	s_or_b32 exec_lo, exec_lo, s16
.LBB460_142:                            ;   in Loop: Header=BB460_137 Depth=1
	s_or_b32 exec_lo, exec_lo, s15
	v_cmp_eq_u16_e32 vcc_lo, 1, v54
	v_mov_b32_e32 v69, s20
	v_mov_b32_e32 v68, s21
	v_lshlrev_b64 v[9:10], 4, v[5:6]
	buffer_gl1_inv
	buffer_gl0_inv
	s_mov_b32 s15, exec_lo
	v_cndmask_b32_e32 v69, s22, v69, vcc_lo
	v_cndmask_b32_e32 v68, s23, v68, vcc_lo
	v_add_co_u32 v9, vcc_lo, v69, v9
	v_add_co_ci_u32_e64 v10, null, v68, v10, vcc_lo
	v_cmp_eq_u16_e32 vcc_lo, 2, v54
	s_clause 0x1
	global_load_ubyte v69, v[9:10], off offset:8
	global_load_dwordx2 v[9:10], v[9:10], off
	v_and_or_b32 v68, vcc_lo, v57, 0x80000000
	v_ffbl_b32_e32 v68, v68
	s_waitcnt vmcnt(1)
	v_and_b32_e32 v70, 1, v69
	s_waitcnt vmcnt(0)
	ds_bpermute_b32 v71, v56, v9
	ds_bpermute_b32 v72, v56, v10
	;; [unrolled: 1-line block ×3, first 2 shown]
	v_cmpx_lt_u32_e64 v11, v68
	s_cbranch_execz .LBB460_144
; %bb.143:                              ;   in Loop: Header=BB460_137 Depth=1
	v_cmp_eq_u16_sdwa vcc_lo, v69, v6 src0_sel:BYTE_0 src1_sel:DWORD
	s_waitcnt lgkmcnt(0)
	v_and_b32_e32 v70, 1, v73
	v_cndmask_b32_e32 v71, 0, v71, vcc_lo
	v_cndmask_b32_e32 v72, 0, v72, vcc_lo
	v_or_b32_e32 v69, v70, v69
	v_add_co_u32 v9, vcc_lo, v71, v9
	v_add_co_ci_u32_e64 v10, null, v72, v10, vcc_lo
	v_and_b32_e32 v70, 0xff, v69
.LBB460_144:                            ;   in Loop: Header=BB460_137 Depth=1
	s_or_b32 exec_lo, exec_lo, s15
	s_waitcnt lgkmcnt(2)
	ds_bpermute_b32 v71, v58, v9
	s_waitcnt lgkmcnt(2)
	ds_bpermute_b32 v72, v58, v10
	;; [unrolled: 2-line block ×3, first 2 shown]
	v_and_b32_e32 v74, 1, v69
	s_mov_b32 s16, exec_lo
	v_cmp_eq_u32_e64 s18, 1, v74
	v_cmpx_le_u32_e64 v59, v68
	s_cbranch_execz .LBB460_146
; %bb.145:                              ;   in Loop: Header=BB460_137 Depth=1
	v_cmp_eq_u16_sdwa vcc_lo, v69, v6 src0_sel:BYTE_0 src1_sel:DWORD
	s_waitcnt lgkmcnt(0)
	v_and_b32_e32 v69, 1, v73
	v_cndmask_b32_e32 v71, 0, v71, vcc_lo
	v_cndmask_b32_e32 v70, 0, v72, vcc_lo
	v_cmp_eq_u32_e32 vcc_lo, 1, v69
	v_add_co_u32 v9, s15, v71, v9
	v_add_co_ci_u32_e64 v10, null, v70, v10, s15
	s_or_b32 s15, s18, vcc_lo
	s_andn2_b32 s18, s18, exec_lo
	v_cndmask_b32_e64 v69, 0, 1, s15
	v_cndmask_b32_e64 v70, 0, 1, s15
	s_and_b32 s15, s15, exec_lo
	s_or_b32 s18, s18, s15
.LBB460_146:                            ;   in Loop: Header=BB460_137 Depth=1
	s_or_b32 exec_lo, exec_lo, s16
	s_waitcnt lgkmcnt(2)
	ds_bpermute_b32 v71, v60, v9
	s_waitcnt lgkmcnt(2)
	ds_bpermute_b32 v72, v60, v10
	;; [unrolled: 2-line block ×3, first 2 shown]
	s_mov_b32 s28, exec_lo
	v_cmpx_le_u32_e64 v61, v68
	s_cbranch_execz .LBB460_148
; %bb.147:                              ;   in Loop: Header=BB460_137 Depth=1
	v_cmp_eq_u16_sdwa vcc_lo, v69, v6 src0_sel:BYTE_0 src1_sel:DWORD
	v_and_b32_e32 v69, 1, v69
	s_waitcnt lgkmcnt(0)
	v_and_b32_e32 v70, 1, v73
	v_cndmask_b32_e32 v72, 0, v72, vcc_lo
	v_cndmask_b32_e32 v71, 0, v71, vcc_lo
	v_cmp_eq_u32_e32 vcc_lo, 1, v69
	v_cmp_eq_u32_e64 s15, 1, v70
	v_add_co_u32 v9, s16, v71, v9
	s_or_b32 s15, vcc_lo, s15
	v_add_co_ci_u32_e64 v10, null, v72, v10, s16
	v_cndmask_b32_e64 v69, 0, 1, s15
	v_cndmask_b32_e64 v70, 0, 1, s15
	s_andn2_b32 s16, s18, exec_lo
	s_and_b32 s15, s15, exec_lo
	s_or_b32 s18, s16, s15
.LBB460_148:                            ;   in Loop: Header=BB460_137 Depth=1
	s_or_b32 exec_lo, exec_lo, s28
	s_waitcnt lgkmcnt(2)
	ds_bpermute_b32 v71, v62, v9
	s_waitcnt lgkmcnt(2)
	ds_bpermute_b32 v72, v62, v10
	s_waitcnt lgkmcnt(2)
	ds_bpermute_b32 v73, v62, v70
	s_mov_b32 s28, exec_lo
	v_cmpx_le_u32_e64 v63, v68
	s_cbranch_execz .LBB460_150
; %bb.149:                              ;   in Loop: Header=BB460_137 Depth=1
	v_cmp_eq_u16_sdwa vcc_lo, v69, v6 src0_sel:BYTE_0 src1_sel:DWORD
	v_and_b32_e32 v69, 1, v69
	s_waitcnt lgkmcnt(0)
	v_and_b32_e32 v70, 1, v73
	v_cndmask_b32_e32 v72, 0, v72, vcc_lo
	v_cndmask_b32_e32 v71, 0, v71, vcc_lo
	v_cmp_eq_u32_e32 vcc_lo, 1, v69
	v_cmp_eq_u32_e64 s15, 1, v70
	v_add_co_u32 v9, s16, v71, v9
	s_or_b32 s15, vcc_lo, s15
	v_add_co_ci_u32_e64 v10, null, v72, v10, s16
	v_cndmask_b32_e64 v69, 0, 1, s15
	v_cndmask_b32_e64 v70, 0, 1, s15
	s_andn2_b32 s16, s18, exec_lo
	s_and_b32 s15, s15, exec_lo
	s_or_b32 s18, s16, s15
.LBB460_150:                            ;   in Loop: Header=BB460_137 Depth=1
	s_or_b32 exec_lo, exec_lo, s28
	s_waitcnt lgkmcnt(2)
	ds_bpermute_b32 v71, v65, v9
	s_waitcnt lgkmcnt(2)
	ds_bpermute_b32 v72, v65, v10
	ds_bpermute_b32 v70, v65, v70
	s_mov_b32 s28, exec_lo
	v_cmpx_le_u32_e64 v66, v68
	s_cbranch_execz .LBB460_135
; %bb.151:                              ;   in Loop: Header=BB460_137 Depth=1
	v_cmp_eq_u16_sdwa vcc_lo, v69, v6 src0_sel:BYTE_0 src1_sel:DWORD
	v_and_b32_e32 v68, 1, v69
	s_waitcnt lgkmcnt(0)
	v_and_b32_e32 v69, 1, v70
	v_cndmask_b32_e32 v71, 0, v71, vcc_lo
	v_cndmask_b32_e32 v70, 0, v72, vcc_lo
	v_cmp_eq_u32_e32 vcc_lo, 1, v68
	v_cmp_eq_u32_e64 s15, 1, v69
	v_add_co_u32 v9, s16, v71, v9
	v_add_co_ci_u32_e64 v10, null, v70, v10, s16
	s_or_b32 s15, vcc_lo, s15
	s_andn2_b32 s16, s18, exec_lo
	s_and_b32 s15, s15, exec_lo
	s_or_b32 s18, s16, s15
	s_branch .LBB460_135
.LBB460_152:
                                        ; implicit-def: $vgpr53_vgpr54
                                        ; implicit-def: $vgpr3_vgpr4
                                        ; implicit-def: $vgpr75_vgpr76
                                        ; implicit-def: $vgpr71_vgpr72
                                        ; implicit-def: $vgpr67_vgpr68
                                        ; implicit-def: $vgpr61_vgpr62
                                        ; implicit-def: $vgpr63_vgpr64
                                        ; implicit-def: $vgpr73_vgpr74
                                        ; implicit-def: $vgpr69_vgpr70
                                        ; implicit-def: $vgpr65_vgpr66
                                        ; implicit-def: $vgpr59_vgpr60
                                        ; implicit-def: $vgpr57_vgpr58
                                        ; implicit-def: $vgpr55_vgpr56
	s_cbranch_execnz .LBB460_160
	s_branch .LBB460_187
.LBB460_153:
	s_and_saveexec_b32 s15, s14
	s_cbranch_execz .LBB460_155
; %bb.154:
	v_mov_b32_e32 v5, 0
	v_or_b32_e32 v6, v53, v64
	s_mov_b32 s21, 0
	s_add_i32 s20, s27, 32
	v_mov_b32_e32 v9, 2
	v_cmp_eq_u32_sdwa vcc_lo, v53, v5 src0_sel:BYTE_0 src1_sel:DWORD
	s_lshl_b64 s[28:29], s[20:21], 4
	v_mov_b32_e32 v54, s20
	v_and_b32_e32 v6, 1, v6
	s_add_u32 s20, s22, s28
	v_cndmask_b32_e32 v53, 0, v7, vcc_lo
	v_cndmask_b32_e32 v10, 0, v8, vcc_lo
	s_addc_u32 s21, s23, s29
	v_add_co_u32 v3, vcc_lo, v53, v3
	v_add_co_ci_u32_e64 v4, null, v10, v4, vcc_lo
	global_store_byte v5, v6, s[20:21] offset:8
	global_store_dwordx2 v5, v[3:4], s[20:21]
	s_waitcnt lgkmcnt(0)
	s_waitcnt_vscnt null, 0x0
	buffer_gl1_inv
	buffer_gl0_inv
	global_store_byte v54, v9, s[24:25]
.LBB460_155:
	s_or_b32 exec_lo, exec_lo, s15
	s_and_b32 exec_lo, exec_lo, s0
	s_cbranch_execz .LBB460_157
; %bb.156:
	v_mov_b32_e32 v3, 0
	ds_write_b64 v3, v[7:8] offset:112
	ds_write_b8 v3, v64 offset:120
.LBB460_157:
	s_or_b32 exec_lo, exec_lo, s17
	v_mov_b32_e32 v3, 0
	s_waitcnt lgkmcnt(0)
	s_waitcnt_vscnt null, 0x0
	s_barrier
	buffer_gl0_inv
	ds_read_b64 v[53:54], v3 offset:112
	s_and_saveexec_b32 s15, s2
	s_cbranch_execz .LBB460_159
; %bb.158:
	v_cndmask_b32_e64 v4, v55, v22, s14
	v_cndmask_b32_e64 v1, v24, v1, s14
	;; [unrolled: 1-line block ×3, first 2 shown]
	v_cmp_eq_u16_sdwa vcc_lo, v4, v3 src0_sel:BYTE_0 src1_sel:DWORD
	s_waitcnt lgkmcnt(0)
	v_cndmask_b32_e32 v5, 0, v53, vcc_lo
	v_cndmask_b32_e32 v4, 0, v54, vcc_lo
	v_add_co_u32 v53, vcc_lo, v1, v5
	v_add_co_ci_u32_e64 v54, null, v2, v4, vcc_lo
.LBB460_159:
	s_or_b32 exec_lo, exec_lo, s15
	v_cmp_eq_u16_sdwa vcc_lo, v87, v3 src0_sel:BYTE_0 src1_sel:DWORD
	s_waitcnt lgkmcnt(0)
	v_cndmask_b32_e32 v2, 0, v53, vcc_lo
	v_cndmask_b32_e32 v1, 0, v54, vcc_lo
	v_add_co_u32 v55, vcc_lo, v2, v51
	v_add_co_ci_u32_e64 v56, null, v1, v52, vcc_lo
	v_cndmask_b32_e64 v1, 0, v55, s12
	v_cndmask_b32_e64 v2, 0, v56, s12
	v_add_co_u32 v57, vcc_lo, v1, v27
	v_add_co_ci_u32_e64 v58, null, v2, v28, vcc_lo
	v_cndmask_b32_e64 v1, 0, v57, s11
	v_cndmask_b32_e64 v2, 0, v58, s11
	;; [unrolled: 4-line block ×11, first 2 shown]
	s_branch .LBB460_187
.LBB460_160:
	s_cmp_eq_u64 s[46:47], 0
	v_mov_b32_e32 v1, s44
	s_cselect_b32 s2, -1, 0
	s_cmp_eq_u64 s[30:31], 0
	v_mov_b32_e32 v2, s45
	s_cselect_b32 s3, -1, 0
	s_or_b32 s2, s2, s3
	s_and_b32 vcc_lo, exec_lo, s2
	s_cbranch_vccnz .LBB460_162
; %bb.161:
	v_mov_b32_e32 v1, 0
	global_load_dwordx2 v[1:2], v1, s[30:31]
.LBB460_162:
	v_mov_b32_e32 v3, 0
	v_cmp_eq_u32_e64 s13, 1, v21
	v_cmp_eq_u32_e64 s15, 1, v19
	;; [unrolled: 1-line block ×4, first 2 shown]
	v_cmp_eq_u16_sdwa s10, v94, v3 src0_sel:BYTE_0 src1_sel:DWORD
	v_cmp_eq_u16_sdwa s9, v93, v3 src0_sel:BYTE_0 src1_sel:DWORD
	v_cmp_eq_u16_sdwa s7, v92, v3 src0_sel:BYTE_0 src1_sel:DWORD
	v_cmp_eq_u16_sdwa s8, v89, v3 src0_sel:BYTE_0 src1_sel:DWORD
	v_cmp_eq_u16_sdwa s6, v88, v3 src0_sel:BYTE_0 src1_sel:DWORD
	v_cndmask_b32_e64 v5, 0, v51, s10
	v_cndmask_b32_e64 v4, 0, v52, s10
	v_cmp_eq_u16_sdwa s4, v86, v3 src0_sel:BYTE_0 src1_sel:DWORD
	v_cmp_eq_u16_sdwa s5, v85, v3 src0_sel:BYTE_0 src1_sel:DWORD
	;; [unrolled: 1-line block ×3, first 2 shown]
	v_add_co_u32 v5, vcc_lo, v5, v27
	v_add_co_ci_u32_e64 v4, null, v4, v28, vcc_lo
	v_cmp_ne_u16_sdwa s17, v13, v3 src0_sel:BYTE_0 src1_sel:DWORD
	v_cndmask_b32_e64 v5, 0, v5, s9
	v_cmp_ne_u16_sdwa s20, v16, v3 src0_sel:BYTE_0 src1_sel:DWORD
	v_cndmask_b32_e64 v4, 0, v4, s9
	v_cmp_ne_u16_sdwa s21, v14, v3 src0_sel:BYTE_0 src1_sel:DWORD
	v_cmp_ne_u16_sdwa s18, v15, v3 src0_sel:BYTE_0 src1_sel:DWORD
	v_add_co_u32 v5, vcc_lo, v5, v47
	v_add_co_ci_u32_e64 v4, null, v4, v48, vcc_lo
	s_or_b32 s17, s17, s13
	v_cndmask_b32_e64 v5, 0, v5, s7
	s_or_b32 s13, s20, s15
	v_cndmask_b32_e64 v4, 0, v4, s7
	s_or_b32 s15, s21, s16
	s_or_b32 s14, s18, s14
	v_add_co_u32 v5, vcc_lo, v5, v45
	v_add_co_ci_u32_e64 v4, null, v4, v46, vcc_lo
	s_or_b32 s15, s15, s13
	v_cndmask_b32_e64 v5, 0, v5, s8
	v_cmp_eq_u32_e64 s12, 1, v20
	v_cndmask_b32_e64 v4, 0, v4, s8
	s_or_b32 s14, s15, s14
	s_or_b32 s14, s14, s17
	v_add_co_u32 v5, vcc_lo, v5, v43
	v_add_co_ci_u32_e64 v4, null, v4, v44, vcc_lo
	v_cndmask_b32_e64 v5, 0, v5, s6
	v_cndmask_b32_e64 v4, 0, v4, s6
	v_add_co_u32 v5, vcc_lo, v5, v41
	v_add_co_ci_u32_e64 v4, null, v4, v42, vcc_lo
	v_cndmask_b32_e64 v5, 0, v5, s4
	v_cndmask_b32_e64 v4, 0, v4, s4
	;; [unrolled: 4-line block ×4, first 2 shown]
	v_add_co_u32 v5, vcc_lo, v5, v33
	v_add_co_ci_u32_e64 v4, null, v4, v34, vcc_lo
	v_cmp_eq_u16_sdwa vcc_lo, v83, v3 src0_sel:BYTE_0 src1_sel:DWORD
	v_cndmask_b32_e32 v5, 0, v5, vcc_lo
	v_cndmask_b32_e32 v4, 0, v4, vcc_lo
	v_add_co_u32 v5, s3, v5, v31
	v_add_co_ci_u32_e64 v4, null, v4, v32, s3
	v_cmp_eq_u16_sdwa s3, v82, v3 src0_sel:BYTE_0 src1_sel:DWORD
	v_cndmask_b32_e64 v5, 0, v5, s3
	v_cndmask_b32_e64 v4, 0, v4, s3
	v_add_co_u32 v5, s11, v5, v29
	v_add_co_ci_u32_e64 v4, null, v4, v30, s11
	v_cmp_eq_u16_sdwa s11, v81, v3 src0_sel:BYTE_0 src1_sel:DWORD
	v_cndmask_b32_e64 v3, 0, v4, s11
	v_cndmask_b32_e64 v4, 0, v5, s11
	v_add_co_u32 v4, s13, v4, v25
	v_add_co_ci_u32_e64 v3, null, v3, v26, s13
	v_cmp_eq_u16_e64 s13, 0, v12
	v_cndmask_b32_e64 v5, 0, v3, s13
	v_cndmask_b32_e64 v3, 0, v4, s13
	s_or_b32 s13, s14, s12
	s_mov_b32 s14, exec_lo
	v_cndmask_b32_e64 v6, 0, 1, s13
	v_cndmask_b32_e64 v7, 0, 1, s13
	v_add_co_u32 v3, s12, v3, v39
	v_add_co_ci_u32_e64 v4, null, v5, v40, s12
	v_and_b32_e32 v5, 15, v11
	v_mov_b32_dpp v10, v6 row_shr:1 row_mask:0xf bank_mask:0xf
	v_mov_b32_dpp v8, v3 row_shr:1 row_mask:0xf bank_mask:0xf
	;; [unrolled: 1-line block ×3, first 2 shown]
	v_cmpx_ne_u32_e32 0, v5
	s_cbranch_execz .LBB460_164
; %bb.163:
	v_and_b32_e32 v6, 1, v10
	v_cndmask_b32_e64 v8, v8, 0, s13
	v_cndmask_b32_e64 v9, v9, 0, s13
	v_or_b32_e32 v7, v6, v7
	v_add_co_u32 v3, s12, v8, v3
	v_add_co_ci_u32_e64 v4, null, v9, v4, s12
	v_and_b32_e32 v6, 0xffff, v7
.LBB460_164:
	s_or_b32 exec_lo, exec_lo, s14
	v_mov_b32_dpp v8, v3 row_shr:2 row_mask:0xf bank_mask:0xf
	v_mov_b32_dpp v9, v4 row_shr:2 row_mask:0xf bank_mask:0xf
	v_mov_b32_dpp v10, v6 row_shr:2 row_mask:0xf bank_mask:0xf
	s_mov_b32 s15, exec_lo
	v_cmpx_lt_u32_e32 1, v5
	s_cbranch_execz .LBB460_166
; %bb.165:
	v_cmp_eq_u16_e64 s12, 0, v7
	v_and_b32_e32 v6, 1, v7
	v_and_b32_e32 v7, 1, v10
	v_cndmask_b32_e64 v9, 0, v9, s12
	v_cndmask_b32_e64 v8, 0, v8, s12
	v_cmp_eq_u32_e64 s12, 1, v6
	v_cmp_eq_u32_e64 s13, 1, v7
	v_add_co_u32 v3, s14, v8, v3
	s_or_b32 s12, s12, s13
	v_add_co_ci_u32_e64 v4, null, v9, v4, s14
	v_cndmask_b32_e64 v7, 0, 1, s12
	v_cndmask_b32_e64 v6, 0, 1, s12
.LBB460_166:
	s_or_b32 exec_lo, exec_lo, s15
	v_mov_b32_dpp v8, v3 row_shr:4 row_mask:0xf bank_mask:0xf
	v_mov_b32_dpp v9, v4 row_shr:4 row_mask:0xf bank_mask:0xf
	v_mov_b32_dpp v10, v6 row_shr:4 row_mask:0xf bank_mask:0xf
	s_mov_b32 s15, exec_lo
	v_cmpx_lt_u32_e32 3, v5
	s_cbranch_execz .LBB460_168
; %bb.167:
	v_cmp_eq_u16_e64 s12, 0, v7
	v_and_b32_e32 v6, 1, v7
	v_and_b32_e32 v7, 1, v10
	v_cndmask_b32_e64 v9, 0, v9, s12
	v_cndmask_b32_e64 v8, 0, v8, s12
	v_cmp_eq_u32_e64 s12, 1, v6
	v_cmp_eq_u32_e64 s13, 1, v7
	v_add_co_u32 v3, s14, v8, v3
	s_or_b32 s12, s12, s13
	v_add_co_ci_u32_e64 v4, null, v9, v4, s14
	v_cndmask_b32_e64 v7, 0, 1, s12
	v_cndmask_b32_e64 v6, 0, 1, s12
.LBB460_168:
	;; [unrolled: 21-line block ×3, first 2 shown]
	s_or_b32 exec_lo, exec_lo, s15
	ds_swizzle_b32 v5, v3 offset:swizzle(BROADCAST,32,15)
	ds_swizzle_b32 v8, v4 offset:swizzle(BROADCAST,32,15)
	;; [unrolled: 1-line block ×3, first 2 shown]
	v_and_b32_e32 v9, 16, v11
	s_mov_b32 s15, exec_lo
	v_cmpx_ne_u32_e32 0, v9
	s_cbranch_execz .LBB460_172
; %bb.171:
	v_cmp_eq_u16_e64 s12, 0, v7
	v_and_b32_e32 v7, 1, v7
	s_waitcnt lgkmcnt(0)
	v_and_b32_e32 v6, 1, v6
	v_cndmask_b32_e64 v8, 0, v8, s12
	v_cndmask_b32_e64 v5, 0, v5, s12
	v_cmp_eq_u32_e64 s12, 1, v7
	v_cmp_eq_u32_e64 s13, 1, v6
	v_add_co_u32 v3, s14, v5, v3
	s_or_b32 s12, s12, s13
	v_add_co_ci_u32_e64 v4, null, v8, v4, s14
	v_cndmask_b32_e64 v7, 0, 1, s12
.LBB460_172:
	s_or_b32 exec_lo, exec_lo, s15
	s_waitcnt lgkmcnt(0)
	v_lshrrev_b32_e32 v6, 5, v0
	v_or_b32_e32 v5, 31, v0
	s_mov_b32 s13, exec_lo
	v_lshlrev_b32_e32 v8, 4, v6
	v_cmpx_eq_u32_e64 v0, v5
	s_cbranch_execz .LBB460_174
; %bb.173:
	ds_write_b64 v8, v[3:4]
	ds_write_b8 v8, v7 offset:8
.LBB460_174:
	s_or_b32 exec_lo, exec_lo, s13
	s_mov_b32 s15, exec_lo
	s_waitcnt vmcnt(0) lgkmcnt(0)
	s_barrier
	buffer_gl0_inv
	v_cmpx_gt_u32_e32 8, v0
	s_cbranch_execz .LBB460_182
; %bb.175:
	v_lshlrev_b32_e32 v9, 4, v0
	v_and_b32_e32 v10, 7, v11
	s_mov_b32 s13, exec_lo
	ds_read_b64 v[5:6], v9
	ds_read_b32 v15, v9 offset:8
	s_waitcnt lgkmcnt(1)
	v_mov_b32_dpp v16, v5 row_shr:1 row_mask:0xf bank_mask:0xf
	v_mov_b32_dpp v17, v6 row_shr:1 row_mask:0xf bank_mask:0xf
	s_waitcnt lgkmcnt(0)
	v_and_b32_e32 v13, 0xffffff00, v15
	v_mov_b32_dpp v18, v15 row_shr:1 row_mask:0xf bank_mask:0xf
	v_mov_b32_e32 v14, v15
	v_mov_b32_e32 v12, v15
	v_cmpx_ne_u32_e32 0, v10
	s_cbranch_execz .LBB460_177
; %bb.176:
	v_mov_b32_e32 v12, 0
	v_cmp_eq_u16_sdwa s12, v15, v12 src0_sel:BYTE_0 src1_sel:DWORD
	v_or_b32_e32 v12, v18, v15
	v_cndmask_b32_e64 v16, 0, v16, s12
	v_cndmask_b32_e64 v15, 0, v17, s12
	v_and_b32_e32 v14, 1, v12
	v_and_b32_e32 v12, 1, v12
	v_add_co_u32 v5, s12, v16, v5
	v_add_co_ci_u32_e64 v6, null, v15, v6, s12
	v_or_b32_e32 v15, v12, v13
.LBB460_177:
	s_or_b32 exec_lo, exec_lo, s13
	v_mov_b32_dpp v16, v5 row_shr:2 row_mask:0xf bank_mask:0xf
	v_mov_b32_dpp v17, v6 row_shr:2 row_mask:0xf bank_mask:0xf
	;; [unrolled: 1-line block ×3, first 2 shown]
	s_mov_b32 s16, exec_lo
	v_cmpx_lt_u32_e32 1, v10
	s_cbranch_execz .LBB460_179
; %bb.178:
	v_mov_b32_e32 v14, 0
	v_and_b32_e32 v15, 1, v12
	v_and_b32_e32 v18, 1, v18
	v_cmp_eq_u16_sdwa s12, v12, v14 src0_sel:BYTE_0 src1_sel:DWORD
	v_cmp_eq_u32_e64 s13, 1, v15
	v_cmp_eq_u32_e64 s14, 1, v18
	v_cndmask_b32_e64 v12, 0, v17, s12
	v_cndmask_b32_e64 v15, 0, v16, s12
	s_or_b32 s12, s13, s14
	v_cndmask_b32_e64 v14, 0, 1, s12
	v_cndmask_b32_e64 v16, 0, 1, s12
	v_add_co_u32 v5, s12, v15, v5
	v_add_co_ci_u32_e64 v6, null, v12, v6, s12
	v_or_b32_e32 v15, v13, v16
	v_mov_b32_e32 v12, v14
.LBB460_179:
	s_or_b32 exec_lo, exec_lo, s16
	v_mov_b32_dpp v13, v5 row_shr:4 row_mask:0xf bank_mask:0xf
	v_mov_b32_dpp v16, v6 row_shr:4 row_mask:0xf bank_mask:0xf
	;; [unrolled: 1-line block ×3, first 2 shown]
	s_mov_b32 s16, exec_lo
	v_cmpx_lt_u32_e32 3, v10
	s_cbranch_execz .LBB460_181
; %bb.180:
	v_mov_b32_e32 v10, 0
	v_cmp_eq_u16_sdwa s12, v12, v10 src0_sel:BYTE_0 src1_sel:DWORD
	v_and_b32_e32 v10, 1, v12
	v_and_b32_e32 v12, 1, v15
	v_cndmask_b32_e64 v14, 0, v16, s12
	v_cndmask_b32_e64 v13, 0, v13, s12
	v_cmp_eq_u32_e64 s12, 1, v10
	v_cmp_eq_u32_e64 s13, 1, v12
	v_add_co_u32 v5, s14, v13, v5
	s_or_b32 s12, s12, s13
	v_add_co_ci_u32_e64 v6, null, v14, v6, s14
	v_cndmask_b32_e64 v14, 0, 1, s12
.LBB460_181:
	s_or_b32 exec_lo, exec_lo, s16
	ds_write_b64 v9, v[5:6]
	ds_write_b8 v9, v14 offset:8
.LBB460_182:
	s_or_b32 exec_lo, exec_lo, s15
	v_mov_b32_e32 v6, v2
	v_mov_b32_e32 v5, v1
	s_mov_b32 s13, exec_lo
	s_waitcnt lgkmcnt(0)
	s_barrier
	buffer_gl0_inv
	v_cmpx_lt_u32_e32 31, v0
	s_cbranch_execz .LBB460_184
; %bb.183:
	v_add_nc_u32_e32 v5, -8, v8
	ds_read_u8 v9, v5
	v_add_nc_u32_e32 v5, -16, v8
	ds_read_b64 v[5:6], v5
	s_waitcnt lgkmcnt(1)
	v_cmp_eq_u16_e64 s12, 0, v9
	v_cndmask_b32_e64 v9, 0, v1, s12
	v_cndmask_b32_e64 v8, 0, v2, s12
	s_waitcnt lgkmcnt(0)
	v_add_co_u32 v5, s12, v9, v5
	v_add_co_ci_u32_e64 v6, null, v8, v6, s12
.LBB460_184:
	s_or_b32 exec_lo, exec_lo, s13
	v_cmp_eq_u16_e64 s12, 0, v7
	v_sub_co_u32 v7, s13, v11, 1
	v_cndmask_b32_e64 v8, 0, v6, s12
	v_cndmask_b32_e64 v9, 0, v5, s12
	v_cmp_gt_i32_e64 s12, 0, v7
	v_cndmask_b32_e64 v7, v7, v11, s12
	v_add_co_u32 v3, s12, v9, v3
	v_add_co_ci_u32_e64 v4, null, v8, v4, s12
	v_lshlrev_b32_e32 v7, 2, v7
	ds_bpermute_b32 v3, v7, v3
	ds_bpermute_b32 v4, v7, v4
	s_waitcnt lgkmcnt(1)
	v_cndmask_b32_e64 v53, v3, v5, s13
	v_mov_b32_e32 v5, 0
	s_waitcnt lgkmcnt(0)
	v_cndmask_b32_e64 v54, v4, v6, s13
	v_cndmask_b32_e64 v3, v53, v1, s0
	v_cmp_eq_u16_sdwa s12, v87, v5 src0_sel:BYTE_0 src1_sel:DWORD
	v_cndmask_b32_e64 v4, v54, v2, s0
	v_cndmask_b32_e64 v3, 0, v3, s12
	;; [unrolled: 1-line block ×3, first 2 shown]
	v_add_co_u32 v55, s12, v3, v51
	v_add_co_ci_u32_e64 v56, null, v4, v52, s12
	v_cndmask_b32_e64 v3, 0, v55, s10
	v_cndmask_b32_e64 v4, 0, v56, s10
	v_add_co_u32 v57, s10, v3, v27
	v_add_co_ci_u32_e64 v58, null, v4, v28, s10
	v_cndmask_b32_e64 v3, 0, v57, s9
	v_cndmask_b32_e64 v4, 0, v58, s9
	;; [unrolled: 4-line block ×8, first 2 shown]
	v_add_co_u32 v71, s2, v3, v33
	v_add_co_ci_u32_e64 v72, null, v4, v34, s2
	v_cndmask_b32_e32 v3, 0, v71, vcc_lo
	v_cndmask_b32_e32 v4, 0, v72, vcc_lo
	v_add_co_u32 v73, vcc_lo, v3, v31
	v_add_co_ci_u32_e64 v74, null, v4, v32, vcc_lo
	v_cndmask_b32_e64 v3, 0, v73, s3
	v_cndmask_b32_e64 v4, 0, v74, s3
	v_add_co_u32 v75, vcc_lo, v3, v29
	v_add_co_ci_u32_e64 v76, null, v4, v30, vcc_lo
	v_cndmask_b32_e64 v3, 0, v75, s11
	v_cndmask_b32_e64 v4, 0, v76, s11
	s_and_saveexec_b32 s2, s0
	s_cbranch_execz .LBB460_186
; %bb.185:
	ds_read_u8 v8, v5 offset:120
	ds_read_b64 v[6:7], v5 offset:112
	v_mov_b32_e32 v54, v2
	v_mov_b32_e32 v53, v1
	s_waitcnt lgkmcnt(1)
	v_cmp_eq_u32_sdwa vcc_lo, v8, v5 src0_sel:WORD_0 src1_sel:DWORD
	v_cndmask_b32_e32 v10, 0, v1, vcc_lo
	v_cndmask_b32_e32 v9, 0, v2, vcc_lo
	s_waitcnt lgkmcnt(0)
	v_add_co_u32 v6, vcc_lo, v10, v6
	v_add_co_ci_u32_e64 v7, null, v9, v7, vcc_lo
	v_mov_b32_e32 v9, 2
	global_store_byte v5, v8, s[22:23] offset:520
	global_store_dwordx2 v5, v[6:7], s[22:23] offset:512
	s_waitcnt_vscnt null, 0x0
	buffer_gl1_inv
	buffer_gl0_inv
	global_store_byte v5, v9, s[24:25] offset:32
.LBB460_186:
	s_or_b32 exec_lo, exec_lo, s2
.LBB460_187:
	s_add_u32 s0, s42, s34
	v_add_co_u32 v25, vcc_lo, v3, v25
	s_addc_u32 s2, s43, s35
	v_add_co_ci_u32_e64 v26, null, v4, v26, vcc_lo
	v_add_co_u32 v29, vcc_lo, s0, v49
	v_add_co_ci_u32_e64 v30, null, s2, v50, vcc_lo
	s_and_b32 vcc_lo, exec_lo, s1
	s_cbranch_vccz .LBB460_231
; %bb.188:
	v_mul_u32_u24_e32 v1, 13, v0
	s_add_i32 s19, s19, s26
	s_mov_b32 s0, exec_lo
	v_cmpx_gt_u32_e64 s19, v1
	s_cbranch_execz .LBB460_206
; %bb.189:
	v_add_nc_u32_e32 v2, 1, v1
	s_mov_b32 s1, exec_lo
	v_cmpx_gt_u32_e64 s19, v2
	s_cbranch_execz .LBB460_205
; %bb.190:
	v_add_nc_u32_e32 v2, 2, v1
	;; [unrolled: 5-line block ×8, first 2 shown]
	s_mov_b32 s8, exec_lo
	v_cmpx_gt_u32_e64 s19, v2
; %bb.197:
	v_add_nc_u32_e32 v2, 9, v1
	s_mov_b32 s9, exec_lo
	v_cmpx_gt_u32_e64 s19, v2
	s_or_b32 exec_lo, exec_lo, s9
; %bb.198:
	s_or_b32 exec_lo, exec_lo, s8
.LBB460_199:
	s_or_b32 exec_lo, exec_lo, s7
.LBB460_200:
	s_or_b32 exec_lo, exec_lo, s6
.LBB460_201:
	s_or_b32 exec_lo, exec_lo, s5
.LBB460_202:
	s_or_b32 exec_lo, exec_lo, s4
.LBB460_203:
	s_or_b32 exec_lo, exec_lo, s3
.LBB460_204:
	s_or_b32 exec_lo, exec_lo, s2
.LBB460_205:
	s_or_b32 exec_lo, exec_lo, s1
.LBB460_206:
	s_or_b32 exec_lo, exec_lo, s0
	v_lshlrev_b32_e32 v31, 3, v1
	s_waitcnt_vscnt null, 0x0
	s_barrier
	buffer_gl0_inv
	v_add_co_u32 v27, vcc_lo, v29, v77
	v_mad_i32_i24 v1, 0xffffffa0, v0, v31
	ds_write2_b64 v31, v[53:54], v[55:56] offset1:1
	ds_write2_b64 v31, v[57:58], v[63:64] offset0:2 offset1:3
	ds_write2_b64 v31, v[59:60], v[61:62] offset0:4 offset1:5
	ds_write2_b64 v31, v[65:66], v[67:68] offset0:6 offset1:7
	ds_write2_b64 v31, v[69:70], v[71:72] offset0:8 offset1:9
	ds_write2_b64 v31, v[73:74], v[75:76] offset0:10 offset1:11
	ds_write_b64 v31, v[25:26] offset:96
	s_waitcnt lgkmcnt(0)
	s_barrier
	buffer_gl0_inv
	ds_read2st64_b64 v[21:24], v1 offset0:4 offset1:8
	ds_read2st64_b64 v[17:20], v1 offset0:12 offset1:16
	;; [unrolled: 1-line block ×6, first 2 shown]
	v_add_co_ci_u32_e64 v28, null, 0, v30, vcc_lo
	s_mov_b32 s0, exec_lo
	v_cmpx_gt_u32_e64 s19, v0
	s_cbranch_execz .LBB460_208
; %bb.207:
	v_mul_i32_i24_e32 v32, 0xffffffa0, v0
	v_add_nc_u32_e32 v31, v31, v32
	ds_read_b64 v[31:32], v31
	s_waitcnt lgkmcnt(0)
	flat_store_dwordx2 v[27:28], v[31:32]
.LBB460_208:
	s_or_b32 exec_lo, exec_lo, s0
	v_or_b32_e32 v31, 0x100, v0
	s_mov_b32 s0, exec_lo
	v_cmpx_gt_u32_e64 s19, v31
	s_cbranch_execz .LBB460_210
; %bb.209:
	v_add_co_u32 v31, vcc_lo, 0x800, v27
	v_add_co_ci_u32_e64 v32, null, 0, v28, vcc_lo
	s_waitcnt lgkmcnt(5)
	flat_store_dwordx2 v[31:32], v[21:22]
.LBB460_210:
	s_or_b32 exec_lo, exec_lo, s0
	s_waitcnt lgkmcnt(5)
	v_or_b32_e32 v21, 0x200, v0
	s_mov_b32 s0, exec_lo
	v_cmpx_gt_u32_e64 s19, v21
	s_cbranch_execz .LBB460_212
; %bb.211:
	v_add_co_u32 v21, vcc_lo, 0x1000, v27
	v_add_co_ci_u32_e64 v22, null, 0, v28, vcc_lo
	flat_store_dwordx2 v[21:22], v[23:24]
.LBB460_212:
	s_or_b32 exec_lo, exec_lo, s0
	v_or_b32_e32 v21, 0x300, v0
	s_mov_b32 s0, exec_lo
	v_cmpx_gt_u32_e64 s19, v21
	s_cbranch_execz .LBB460_214
; %bb.213:
	v_add_co_u32 v21, vcc_lo, 0x1800, v27
	v_add_co_ci_u32_e64 v22, null, 0, v28, vcc_lo
	s_waitcnt lgkmcnt(4)
	flat_store_dwordx2 v[21:22], v[17:18]
.LBB460_214:
	s_or_b32 exec_lo, exec_lo, s0
	s_waitcnt lgkmcnt(4)
	v_or_b32_e32 v17, 0x400, v0
	s_mov_b32 s0, exec_lo
	v_cmpx_gt_u32_e64 s19, v17
	s_cbranch_execz .LBB460_216
; %bb.215:
	v_add_co_u32 v17, vcc_lo, 0x2000, v27
	v_add_co_ci_u32_e64 v18, null, 0, v28, vcc_lo
	flat_store_dwordx2 v[17:18], v[19:20]
.LBB460_216:
	;; [unrolled: 22-line block ×5, first 2 shown]
	s_or_b32 exec_lo, exec_lo, s0
	v_or_b32_e32 v5, 0xb00, v0
	s_mov_b32 s0, exec_lo
	v_cmpx_gt_u32_e64 s19, v5
	s_cbranch_execz .LBB460_230
; %bb.229:
	v_add_co_u32 v5, vcc_lo, 0x5800, v27
	v_add_co_ci_u32_e64 v6, null, 0, v28, vcc_lo
	s_waitcnt lgkmcnt(0)
	flat_store_dwordx2 v[5:6], v[1:2]
.LBB460_230:
	s_or_b32 exec_lo, exec_lo, s0
	s_waitcnt lgkmcnt(0)
	v_or_b32_e32 v1, 0xc00, v0
	v_cmp_gt_u32_e64 s0, s19, v1
	s_branch .LBB460_233
.LBB460_231:
	s_mov_b32 s0, 0
                                        ; implicit-def: $vgpr3_vgpr4
	s_cbranch_execz .LBB460_233
; %bb.232:
	v_mul_i32_i24_e32 v2, 0xffffffa0, v0
	v_mul_u32_u24_e32 v1, 0x68, v0
	s_waitcnt_vscnt null, 0x0
	s_barrier
	buffer_gl0_inv
	v_mad_u32_u24 v3, 0x68, v0, v2
	ds_write2_b64 v1, v[53:54], v[55:56] offset1:1
	ds_write2_b64 v1, v[57:58], v[63:64] offset0:2 offset1:3
	ds_write2_b64 v1, v[59:60], v[61:62] offset0:4 offset1:5
	ds_write2_b64 v1, v[65:66], v[67:68] offset0:6 offset1:7
	ds_write2_b64 v1, v[69:70], v[71:72] offset0:8 offset1:9
	ds_write2_b64 v1, v[73:74], v[75:76] offset0:10 offset1:11
	ds_write_b64 v1, v[25:26] offset:96
	s_waitcnt lgkmcnt(0)
	s_barrier
	buffer_gl0_inv
	ds_read2st64_b64 v[5:8], v3 offset1:4
	ds_read2st64_b64 v[9:12], v3 offset0:8 offset1:12
	ds_read2st64_b64 v[13:16], v3 offset0:16 offset1:20
	;; [unrolled: 1-line block ×3, first 2 shown]
	v_add_co_u32 v1, vcc_lo, v29, v77
	v_add_co_ci_u32_e64 v2, null, 0, v30, vcc_lo
	ds_read2st64_b64 v[21:24], v3 offset0:32 offset1:36
	v_add_co_u32 v31, vcc_lo, 0x800, v1
	v_add_co_ci_u32_e64 v32, null, 0, v2, vcc_lo
	v_add_co_u32 v33, vcc_lo, 0x1000, v1
	v_add_co_ci_u32_e64 v34, null, 0, v2, vcc_lo
	ds_read2st64_b64 v[25:28], v3 offset0:40 offset1:44
	ds_read_b64 v[3:4], v3 offset:24576
	s_or_b32 s0, s0, exec_lo
	s_waitcnt lgkmcnt(6)
	flat_store_dwordx2 v[1:2], v[5:6]
	flat_store_dwordx2 v[31:32], v[7:8]
	s_waitcnt lgkmcnt(7)
	flat_store_dwordx2 v[33:34], v[9:10]
	v_add_co_u32 v5, vcc_lo, 0x1800, v1
	v_add_co_ci_u32_e64 v6, null, 0, v2, vcc_lo
	v_add_co_u32 v7, vcc_lo, 0x2000, v1
	v_add_co_ci_u32_e64 v8, null, 0, v2, vcc_lo
	;; [unrolled: 2-line block ×5, first 2 shown]
	flat_store_dwordx2 v[5:6], v[11:12]
	s_waitcnt lgkmcnt(8)
	flat_store_dwordx2 v[7:8], v[13:14]
	flat_store_dwordx2 v[9:10], v[15:16]
	s_waitcnt lgkmcnt(9)
	flat_store_dwordx2 v[31:32], v[17:18]
	flat_store_dwordx2 v[33:34], v[19:20]
	v_add_co_u32 v5, vcc_lo, 0x4000, v1
	v_add_co_ci_u32_e64 v6, null, 0, v2, vcc_lo
	v_add_co_u32 v7, vcc_lo, 0x4800, v1
	v_add_co_ci_u32_e64 v8, null, 0, v2, vcc_lo
	;; [unrolled: 2-line block ×4, first 2 shown]
	s_waitcnt lgkmcnt(10)
	flat_store_dwordx2 v[5:6], v[21:22]
	flat_store_dwordx2 v[7:8], v[23:24]
	s_waitcnt lgkmcnt(11)
	flat_store_dwordx2 v[9:10], v[25:26]
	flat_store_dwordx2 v[1:2], v[27:28]
.LBB460_233:
	s_and_saveexec_b32 s1, s0
	s_cbranch_execz .LBB460_235
; %bb.234:
	v_lshlrev_b32_e32 v0, 3, v0
	v_add_co_u32 v0, vcc_lo, v29, v0
	v_add_co_ci_u32_e64 v1, null, 0, v30, vcc_lo
	v_add_co_u32 v0, vcc_lo, 0x6000, v0
	v_add_co_ci_u32_e64 v1, null, 0, v1, vcc_lo
	s_waitcnt lgkmcnt(12)
	flat_store_dwordx2 v[0:1], v[3:4]
	s_endpgm
.LBB460_235:
	s_endpgm
	.section	.rodata,"a",@progbits
	.p2align	6, 0x0
	.amdhsa_kernel _ZN7rocprim17ROCPRIM_400000_NS6detail17trampoline_kernelINS0_14default_configENS1_27scan_by_key_config_selectorIxxEEZZNS1_16scan_by_key_implILNS1_25lookback_scan_determinismE0ELb1ES3_N6thrust23THRUST_200600_302600_NS6detail15normal_iteratorINS9_10device_ptrIxEEEESE_SE_xNS9_4plusIvEENS9_8equal_toIxEExEE10hipError_tPvRmT2_T3_T4_T5_mT6_T7_P12ihipStream_tbENKUlT_T0_E_clISt17integral_constantIbLb0EESY_IbLb1EEEEDaSU_SV_EUlSU_E_NS1_11comp_targetILNS1_3genE8ELNS1_11target_archE1030ELNS1_3gpuE2ELNS1_3repE0EEENS1_30default_config_static_selectorELNS0_4arch9wavefront6targetE0EEEvT1_
		.amdhsa_group_segment_fixed_size 30720
		.amdhsa_private_segment_fixed_size 0
		.amdhsa_kernarg_size 136
		.amdhsa_user_sgpr_count 6
		.amdhsa_user_sgpr_private_segment_buffer 1
		.amdhsa_user_sgpr_dispatch_ptr 0
		.amdhsa_user_sgpr_queue_ptr 0
		.amdhsa_user_sgpr_kernarg_segment_ptr 1
		.amdhsa_user_sgpr_dispatch_id 0
		.amdhsa_user_sgpr_flat_scratch_init 0
		.amdhsa_user_sgpr_private_segment_size 0
		.amdhsa_wavefront_size32 1
		.amdhsa_uses_dynamic_stack 0
		.amdhsa_system_sgpr_private_segment_wavefront_offset 0
		.amdhsa_system_sgpr_workgroup_id_x 1
		.amdhsa_system_sgpr_workgroup_id_y 0
		.amdhsa_system_sgpr_workgroup_id_z 0
		.amdhsa_system_sgpr_workgroup_info 0
		.amdhsa_system_vgpr_workitem_id 0
		.amdhsa_next_free_vgpr 113
		.amdhsa_next_free_sgpr 51
		.amdhsa_reserve_vcc 1
		.amdhsa_reserve_flat_scratch 1
		.amdhsa_float_round_mode_32 0
		.amdhsa_float_round_mode_16_64 0
		.amdhsa_float_denorm_mode_32 3
		.amdhsa_float_denorm_mode_16_64 3
		.amdhsa_dx10_clamp 1
		.amdhsa_ieee_mode 1
		.amdhsa_fp16_overflow 0
		.amdhsa_workgroup_processor_mode 1
		.amdhsa_memory_ordered 1
		.amdhsa_forward_progress 1
		.amdhsa_shared_vgpr_count 0
		.amdhsa_exception_fp_ieee_invalid_op 0
		.amdhsa_exception_fp_denorm_src 0
		.amdhsa_exception_fp_ieee_div_zero 0
		.amdhsa_exception_fp_ieee_overflow 0
		.amdhsa_exception_fp_ieee_underflow 0
		.amdhsa_exception_fp_ieee_inexact 0
		.amdhsa_exception_int_div_zero 0
	.end_amdhsa_kernel
	.section	.text._ZN7rocprim17ROCPRIM_400000_NS6detail17trampoline_kernelINS0_14default_configENS1_27scan_by_key_config_selectorIxxEEZZNS1_16scan_by_key_implILNS1_25lookback_scan_determinismE0ELb1ES3_N6thrust23THRUST_200600_302600_NS6detail15normal_iteratorINS9_10device_ptrIxEEEESE_SE_xNS9_4plusIvEENS9_8equal_toIxEExEE10hipError_tPvRmT2_T3_T4_T5_mT6_T7_P12ihipStream_tbENKUlT_T0_E_clISt17integral_constantIbLb0EESY_IbLb1EEEEDaSU_SV_EUlSU_E_NS1_11comp_targetILNS1_3genE8ELNS1_11target_archE1030ELNS1_3gpuE2ELNS1_3repE0EEENS1_30default_config_static_selectorELNS0_4arch9wavefront6targetE0EEEvT1_,"axG",@progbits,_ZN7rocprim17ROCPRIM_400000_NS6detail17trampoline_kernelINS0_14default_configENS1_27scan_by_key_config_selectorIxxEEZZNS1_16scan_by_key_implILNS1_25lookback_scan_determinismE0ELb1ES3_N6thrust23THRUST_200600_302600_NS6detail15normal_iteratorINS9_10device_ptrIxEEEESE_SE_xNS9_4plusIvEENS9_8equal_toIxEExEE10hipError_tPvRmT2_T3_T4_T5_mT6_T7_P12ihipStream_tbENKUlT_T0_E_clISt17integral_constantIbLb0EESY_IbLb1EEEEDaSU_SV_EUlSU_E_NS1_11comp_targetILNS1_3genE8ELNS1_11target_archE1030ELNS1_3gpuE2ELNS1_3repE0EEENS1_30default_config_static_selectorELNS0_4arch9wavefront6targetE0EEEvT1_,comdat
.Lfunc_end460:
	.size	_ZN7rocprim17ROCPRIM_400000_NS6detail17trampoline_kernelINS0_14default_configENS1_27scan_by_key_config_selectorIxxEEZZNS1_16scan_by_key_implILNS1_25lookback_scan_determinismE0ELb1ES3_N6thrust23THRUST_200600_302600_NS6detail15normal_iteratorINS9_10device_ptrIxEEEESE_SE_xNS9_4plusIvEENS9_8equal_toIxEExEE10hipError_tPvRmT2_T3_T4_T5_mT6_T7_P12ihipStream_tbENKUlT_T0_E_clISt17integral_constantIbLb0EESY_IbLb1EEEEDaSU_SV_EUlSU_E_NS1_11comp_targetILNS1_3genE8ELNS1_11target_archE1030ELNS1_3gpuE2ELNS1_3repE0EEENS1_30default_config_static_selectorELNS0_4arch9wavefront6targetE0EEEvT1_, .Lfunc_end460-_ZN7rocprim17ROCPRIM_400000_NS6detail17trampoline_kernelINS0_14default_configENS1_27scan_by_key_config_selectorIxxEEZZNS1_16scan_by_key_implILNS1_25lookback_scan_determinismE0ELb1ES3_N6thrust23THRUST_200600_302600_NS6detail15normal_iteratorINS9_10device_ptrIxEEEESE_SE_xNS9_4plusIvEENS9_8equal_toIxEExEE10hipError_tPvRmT2_T3_T4_T5_mT6_T7_P12ihipStream_tbENKUlT_T0_E_clISt17integral_constantIbLb0EESY_IbLb1EEEEDaSU_SV_EUlSU_E_NS1_11comp_targetILNS1_3genE8ELNS1_11target_archE1030ELNS1_3gpuE2ELNS1_3repE0EEENS1_30default_config_static_selectorELNS0_4arch9wavefront6targetE0EEEvT1_
                                        ; -- End function
	.set _ZN7rocprim17ROCPRIM_400000_NS6detail17trampoline_kernelINS0_14default_configENS1_27scan_by_key_config_selectorIxxEEZZNS1_16scan_by_key_implILNS1_25lookback_scan_determinismE0ELb1ES3_N6thrust23THRUST_200600_302600_NS6detail15normal_iteratorINS9_10device_ptrIxEEEESE_SE_xNS9_4plusIvEENS9_8equal_toIxEExEE10hipError_tPvRmT2_T3_T4_T5_mT6_T7_P12ihipStream_tbENKUlT_T0_E_clISt17integral_constantIbLb0EESY_IbLb1EEEEDaSU_SV_EUlSU_E_NS1_11comp_targetILNS1_3genE8ELNS1_11target_archE1030ELNS1_3gpuE2ELNS1_3repE0EEENS1_30default_config_static_selectorELNS0_4arch9wavefront6targetE0EEEvT1_.num_vgpr, 109
	.set _ZN7rocprim17ROCPRIM_400000_NS6detail17trampoline_kernelINS0_14default_configENS1_27scan_by_key_config_selectorIxxEEZZNS1_16scan_by_key_implILNS1_25lookback_scan_determinismE0ELb1ES3_N6thrust23THRUST_200600_302600_NS6detail15normal_iteratorINS9_10device_ptrIxEEEESE_SE_xNS9_4plusIvEENS9_8equal_toIxEExEE10hipError_tPvRmT2_T3_T4_T5_mT6_T7_P12ihipStream_tbENKUlT_T0_E_clISt17integral_constantIbLb0EESY_IbLb1EEEEDaSU_SV_EUlSU_E_NS1_11comp_targetILNS1_3genE8ELNS1_11target_archE1030ELNS1_3gpuE2ELNS1_3repE0EEENS1_30default_config_static_selectorELNS0_4arch9wavefront6targetE0EEEvT1_.num_agpr, 0
	.set _ZN7rocprim17ROCPRIM_400000_NS6detail17trampoline_kernelINS0_14default_configENS1_27scan_by_key_config_selectorIxxEEZZNS1_16scan_by_key_implILNS1_25lookback_scan_determinismE0ELb1ES3_N6thrust23THRUST_200600_302600_NS6detail15normal_iteratorINS9_10device_ptrIxEEEESE_SE_xNS9_4plusIvEENS9_8equal_toIxEExEE10hipError_tPvRmT2_T3_T4_T5_mT6_T7_P12ihipStream_tbENKUlT_T0_E_clISt17integral_constantIbLb0EESY_IbLb1EEEEDaSU_SV_EUlSU_E_NS1_11comp_targetILNS1_3genE8ELNS1_11target_archE1030ELNS1_3gpuE2ELNS1_3repE0EEENS1_30default_config_static_selectorELNS0_4arch9wavefront6targetE0EEEvT1_.numbered_sgpr, 51
	.set _ZN7rocprim17ROCPRIM_400000_NS6detail17trampoline_kernelINS0_14default_configENS1_27scan_by_key_config_selectorIxxEEZZNS1_16scan_by_key_implILNS1_25lookback_scan_determinismE0ELb1ES3_N6thrust23THRUST_200600_302600_NS6detail15normal_iteratorINS9_10device_ptrIxEEEESE_SE_xNS9_4plusIvEENS9_8equal_toIxEExEE10hipError_tPvRmT2_T3_T4_T5_mT6_T7_P12ihipStream_tbENKUlT_T0_E_clISt17integral_constantIbLb0EESY_IbLb1EEEEDaSU_SV_EUlSU_E_NS1_11comp_targetILNS1_3genE8ELNS1_11target_archE1030ELNS1_3gpuE2ELNS1_3repE0EEENS1_30default_config_static_selectorELNS0_4arch9wavefront6targetE0EEEvT1_.num_named_barrier, 0
	.set _ZN7rocprim17ROCPRIM_400000_NS6detail17trampoline_kernelINS0_14default_configENS1_27scan_by_key_config_selectorIxxEEZZNS1_16scan_by_key_implILNS1_25lookback_scan_determinismE0ELb1ES3_N6thrust23THRUST_200600_302600_NS6detail15normal_iteratorINS9_10device_ptrIxEEEESE_SE_xNS9_4plusIvEENS9_8equal_toIxEExEE10hipError_tPvRmT2_T3_T4_T5_mT6_T7_P12ihipStream_tbENKUlT_T0_E_clISt17integral_constantIbLb0EESY_IbLb1EEEEDaSU_SV_EUlSU_E_NS1_11comp_targetILNS1_3genE8ELNS1_11target_archE1030ELNS1_3gpuE2ELNS1_3repE0EEENS1_30default_config_static_selectorELNS0_4arch9wavefront6targetE0EEEvT1_.private_seg_size, 0
	.set _ZN7rocprim17ROCPRIM_400000_NS6detail17trampoline_kernelINS0_14default_configENS1_27scan_by_key_config_selectorIxxEEZZNS1_16scan_by_key_implILNS1_25lookback_scan_determinismE0ELb1ES3_N6thrust23THRUST_200600_302600_NS6detail15normal_iteratorINS9_10device_ptrIxEEEESE_SE_xNS9_4plusIvEENS9_8equal_toIxEExEE10hipError_tPvRmT2_T3_T4_T5_mT6_T7_P12ihipStream_tbENKUlT_T0_E_clISt17integral_constantIbLb0EESY_IbLb1EEEEDaSU_SV_EUlSU_E_NS1_11comp_targetILNS1_3genE8ELNS1_11target_archE1030ELNS1_3gpuE2ELNS1_3repE0EEENS1_30default_config_static_selectorELNS0_4arch9wavefront6targetE0EEEvT1_.uses_vcc, 1
	.set _ZN7rocprim17ROCPRIM_400000_NS6detail17trampoline_kernelINS0_14default_configENS1_27scan_by_key_config_selectorIxxEEZZNS1_16scan_by_key_implILNS1_25lookback_scan_determinismE0ELb1ES3_N6thrust23THRUST_200600_302600_NS6detail15normal_iteratorINS9_10device_ptrIxEEEESE_SE_xNS9_4plusIvEENS9_8equal_toIxEExEE10hipError_tPvRmT2_T3_T4_T5_mT6_T7_P12ihipStream_tbENKUlT_T0_E_clISt17integral_constantIbLb0EESY_IbLb1EEEEDaSU_SV_EUlSU_E_NS1_11comp_targetILNS1_3genE8ELNS1_11target_archE1030ELNS1_3gpuE2ELNS1_3repE0EEENS1_30default_config_static_selectorELNS0_4arch9wavefront6targetE0EEEvT1_.uses_flat_scratch, 1
	.set _ZN7rocprim17ROCPRIM_400000_NS6detail17trampoline_kernelINS0_14default_configENS1_27scan_by_key_config_selectorIxxEEZZNS1_16scan_by_key_implILNS1_25lookback_scan_determinismE0ELb1ES3_N6thrust23THRUST_200600_302600_NS6detail15normal_iteratorINS9_10device_ptrIxEEEESE_SE_xNS9_4plusIvEENS9_8equal_toIxEExEE10hipError_tPvRmT2_T3_T4_T5_mT6_T7_P12ihipStream_tbENKUlT_T0_E_clISt17integral_constantIbLb0EESY_IbLb1EEEEDaSU_SV_EUlSU_E_NS1_11comp_targetILNS1_3genE8ELNS1_11target_archE1030ELNS1_3gpuE2ELNS1_3repE0EEENS1_30default_config_static_selectorELNS0_4arch9wavefront6targetE0EEEvT1_.has_dyn_sized_stack, 0
	.set _ZN7rocprim17ROCPRIM_400000_NS6detail17trampoline_kernelINS0_14default_configENS1_27scan_by_key_config_selectorIxxEEZZNS1_16scan_by_key_implILNS1_25lookback_scan_determinismE0ELb1ES3_N6thrust23THRUST_200600_302600_NS6detail15normal_iteratorINS9_10device_ptrIxEEEESE_SE_xNS9_4plusIvEENS9_8equal_toIxEExEE10hipError_tPvRmT2_T3_T4_T5_mT6_T7_P12ihipStream_tbENKUlT_T0_E_clISt17integral_constantIbLb0EESY_IbLb1EEEEDaSU_SV_EUlSU_E_NS1_11comp_targetILNS1_3genE8ELNS1_11target_archE1030ELNS1_3gpuE2ELNS1_3repE0EEENS1_30default_config_static_selectorELNS0_4arch9wavefront6targetE0EEEvT1_.has_recursion, 0
	.set _ZN7rocprim17ROCPRIM_400000_NS6detail17trampoline_kernelINS0_14default_configENS1_27scan_by_key_config_selectorIxxEEZZNS1_16scan_by_key_implILNS1_25lookback_scan_determinismE0ELb1ES3_N6thrust23THRUST_200600_302600_NS6detail15normal_iteratorINS9_10device_ptrIxEEEESE_SE_xNS9_4plusIvEENS9_8equal_toIxEExEE10hipError_tPvRmT2_T3_T4_T5_mT6_T7_P12ihipStream_tbENKUlT_T0_E_clISt17integral_constantIbLb0EESY_IbLb1EEEEDaSU_SV_EUlSU_E_NS1_11comp_targetILNS1_3genE8ELNS1_11target_archE1030ELNS1_3gpuE2ELNS1_3repE0EEENS1_30default_config_static_selectorELNS0_4arch9wavefront6targetE0EEEvT1_.has_indirect_call, 0
	.section	.AMDGPU.csdata,"",@progbits
; Kernel info:
; codeLenInByte = 15828
; TotalNumSgprs: 53
; NumVgprs: 109
; ScratchSize: 0
; MemoryBound: 0
; FloatMode: 240
; IeeeMode: 1
; LDSByteSize: 30720 bytes/workgroup (compile time only)
; SGPRBlocks: 0
; VGPRBlocks: 14
; NumSGPRsForWavesPerEU: 53
; NumVGPRsForWavesPerEU: 113
; Occupancy: 8
; WaveLimiterHint : 1
; COMPUTE_PGM_RSRC2:SCRATCH_EN: 0
; COMPUTE_PGM_RSRC2:USER_SGPR: 6
; COMPUTE_PGM_RSRC2:TRAP_HANDLER: 0
; COMPUTE_PGM_RSRC2:TGID_X_EN: 1
; COMPUTE_PGM_RSRC2:TGID_Y_EN: 0
; COMPUTE_PGM_RSRC2:TGID_Z_EN: 0
; COMPUTE_PGM_RSRC2:TIDIG_COMP_CNT: 0
	.section	.text._ZN7rocprim17ROCPRIM_400000_NS6detail17trampoline_kernelINS0_14default_configENS1_27scan_by_key_config_selectorIiiEEZZNS1_16scan_by_key_implILNS1_25lookback_scan_determinismE0ELb1ES3_N6thrust23THRUST_200600_302600_NS6detail15normal_iteratorINS9_10device_ptrIiEEEESE_SE_iNS9_4plusIvEENS9_8equal_toIvEEiEE10hipError_tPvRmT2_T3_T4_T5_mT6_T7_P12ihipStream_tbENKUlT_T0_E_clISt17integral_constantIbLb0EESZ_EEDaSU_SV_EUlSU_E_NS1_11comp_targetILNS1_3genE0ELNS1_11target_archE4294967295ELNS1_3gpuE0ELNS1_3repE0EEENS1_30default_config_static_selectorELNS0_4arch9wavefront6targetE0EEEvT1_,"axG",@progbits,_ZN7rocprim17ROCPRIM_400000_NS6detail17trampoline_kernelINS0_14default_configENS1_27scan_by_key_config_selectorIiiEEZZNS1_16scan_by_key_implILNS1_25lookback_scan_determinismE0ELb1ES3_N6thrust23THRUST_200600_302600_NS6detail15normal_iteratorINS9_10device_ptrIiEEEESE_SE_iNS9_4plusIvEENS9_8equal_toIvEEiEE10hipError_tPvRmT2_T3_T4_T5_mT6_T7_P12ihipStream_tbENKUlT_T0_E_clISt17integral_constantIbLb0EESZ_EEDaSU_SV_EUlSU_E_NS1_11comp_targetILNS1_3genE0ELNS1_11target_archE4294967295ELNS1_3gpuE0ELNS1_3repE0EEENS1_30default_config_static_selectorELNS0_4arch9wavefront6targetE0EEEvT1_,comdat
	.protected	_ZN7rocprim17ROCPRIM_400000_NS6detail17trampoline_kernelINS0_14default_configENS1_27scan_by_key_config_selectorIiiEEZZNS1_16scan_by_key_implILNS1_25lookback_scan_determinismE0ELb1ES3_N6thrust23THRUST_200600_302600_NS6detail15normal_iteratorINS9_10device_ptrIiEEEESE_SE_iNS9_4plusIvEENS9_8equal_toIvEEiEE10hipError_tPvRmT2_T3_T4_T5_mT6_T7_P12ihipStream_tbENKUlT_T0_E_clISt17integral_constantIbLb0EESZ_EEDaSU_SV_EUlSU_E_NS1_11comp_targetILNS1_3genE0ELNS1_11target_archE4294967295ELNS1_3gpuE0ELNS1_3repE0EEENS1_30default_config_static_selectorELNS0_4arch9wavefront6targetE0EEEvT1_ ; -- Begin function _ZN7rocprim17ROCPRIM_400000_NS6detail17trampoline_kernelINS0_14default_configENS1_27scan_by_key_config_selectorIiiEEZZNS1_16scan_by_key_implILNS1_25lookback_scan_determinismE0ELb1ES3_N6thrust23THRUST_200600_302600_NS6detail15normal_iteratorINS9_10device_ptrIiEEEESE_SE_iNS9_4plusIvEENS9_8equal_toIvEEiEE10hipError_tPvRmT2_T3_T4_T5_mT6_T7_P12ihipStream_tbENKUlT_T0_E_clISt17integral_constantIbLb0EESZ_EEDaSU_SV_EUlSU_E_NS1_11comp_targetILNS1_3genE0ELNS1_11target_archE4294967295ELNS1_3gpuE0ELNS1_3repE0EEENS1_30default_config_static_selectorELNS0_4arch9wavefront6targetE0EEEvT1_
	.globl	_ZN7rocprim17ROCPRIM_400000_NS6detail17trampoline_kernelINS0_14default_configENS1_27scan_by_key_config_selectorIiiEEZZNS1_16scan_by_key_implILNS1_25lookback_scan_determinismE0ELb1ES3_N6thrust23THRUST_200600_302600_NS6detail15normal_iteratorINS9_10device_ptrIiEEEESE_SE_iNS9_4plusIvEENS9_8equal_toIvEEiEE10hipError_tPvRmT2_T3_T4_T5_mT6_T7_P12ihipStream_tbENKUlT_T0_E_clISt17integral_constantIbLb0EESZ_EEDaSU_SV_EUlSU_E_NS1_11comp_targetILNS1_3genE0ELNS1_11target_archE4294967295ELNS1_3gpuE0ELNS1_3repE0EEENS1_30default_config_static_selectorELNS0_4arch9wavefront6targetE0EEEvT1_
	.p2align	8
	.type	_ZN7rocprim17ROCPRIM_400000_NS6detail17trampoline_kernelINS0_14default_configENS1_27scan_by_key_config_selectorIiiEEZZNS1_16scan_by_key_implILNS1_25lookback_scan_determinismE0ELb1ES3_N6thrust23THRUST_200600_302600_NS6detail15normal_iteratorINS9_10device_ptrIiEEEESE_SE_iNS9_4plusIvEENS9_8equal_toIvEEiEE10hipError_tPvRmT2_T3_T4_T5_mT6_T7_P12ihipStream_tbENKUlT_T0_E_clISt17integral_constantIbLb0EESZ_EEDaSU_SV_EUlSU_E_NS1_11comp_targetILNS1_3genE0ELNS1_11target_archE4294967295ELNS1_3gpuE0ELNS1_3repE0EEENS1_30default_config_static_selectorELNS0_4arch9wavefront6targetE0EEEvT1_,@function
_ZN7rocprim17ROCPRIM_400000_NS6detail17trampoline_kernelINS0_14default_configENS1_27scan_by_key_config_selectorIiiEEZZNS1_16scan_by_key_implILNS1_25lookback_scan_determinismE0ELb1ES3_N6thrust23THRUST_200600_302600_NS6detail15normal_iteratorINS9_10device_ptrIiEEEESE_SE_iNS9_4plusIvEENS9_8equal_toIvEEiEE10hipError_tPvRmT2_T3_T4_T5_mT6_T7_P12ihipStream_tbENKUlT_T0_E_clISt17integral_constantIbLb0EESZ_EEDaSU_SV_EUlSU_E_NS1_11comp_targetILNS1_3genE0ELNS1_11target_archE4294967295ELNS1_3gpuE0ELNS1_3repE0EEENS1_30default_config_static_selectorELNS0_4arch9wavefront6targetE0EEEvT1_: ; @_ZN7rocprim17ROCPRIM_400000_NS6detail17trampoline_kernelINS0_14default_configENS1_27scan_by_key_config_selectorIiiEEZZNS1_16scan_by_key_implILNS1_25lookback_scan_determinismE0ELb1ES3_N6thrust23THRUST_200600_302600_NS6detail15normal_iteratorINS9_10device_ptrIiEEEESE_SE_iNS9_4plusIvEENS9_8equal_toIvEEiEE10hipError_tPvRmT2_T3_T4_T5_mT6_T7_P12ihipStream_tbENKUlT_T0_E_clISt17integral_constantIbLb0EESZ_EEDaSU_SV_EUlSU_E_NS1_11comp_targetILNS1_3genE0ELNS1_11target_archE4294967295ELNS1_3gpuE0ELNS1_3repE0EEENS1_30default_config_static_selectorELNS0_4arch9wavefront6targetE0EEEvT1_
; %bb.0:
	.section	.rodata,"a",@progbits
	.p2align	6, 0x0
	.amdhsa_kernel _ZN7rocprim17ROCPRIM_400000_NS6detail17trampoline_kernelINS0_14default_configENS1_27scan_by_key_config_selectorIiiEEZZNS1_16scan_by_key_implILNS1_25lookback_scan_determinismE0ELb1ES3_N6thrust23THRUST_200600_302600_NS6detail15normal_iteratorINS9_10device_ptrIiEEEESE_SE_iNS9_4plusIvEENS9_8equal_toIvEEiEE10hipError_tPvRmT2_T3_T4_T5_mT6_T7_P12ihipStream_tbENKUlT_T0_E_clISt17integral_constantIbLb0EESZ_EEDaSU_SV_EUlSU_E_NS1_11comp_targetILNS1_3genE0ELNS1_11target_archE4294967295ELNS1_3gpuE0ELNS1_3repE0EEENS1_30default_config_static_selectorELNS0_4arch9wavefront6targetE0EEEvT1_
		.amdhsa_group_segment_fixed_size 0
		.amdhsa_private_segment_fixed_size 0
		.amdhsa_kernarg_size 112
		.amdhsa_user_sgpr_count 6
		.amdhsa_user_sgpr_private_segment_buffer 1
		.amdhsa_user_sgpr_dispatch_ptr 0
		.amdhsa_user_sgpr_queue_ptr 0
		.amdhsa_user_sgpr_kernarg_segment_ptr 1
		.amdhsa_user_sgpr_dispatch_id 0
		.amdhsa_user_sgpr_flat_scratch_init 0
		.amdhsa_user_sgpr_private_segment_size 0
		.amdhsa_wavefront_size32 1
		.amdhsa_uses_dynamic_stack 0
		.amdhsa_system_sgpr_private_segment_wavefront_offset 0
		.amdhsa_system_sgpr_workgroup_id_x 1
		.amdhsa_system_sgpr_workgroup_id_y 0
		.amdhsa_system_sgpr_workgroup_id_z 0
		.amdhsa_system_sgpr_workgroup_info 0
		.amdhsa_system_vgpr_workitem_id 0
		.amdhsa_next_free_vgpr 1
		.amdhsa_next_free_sgpr 1
		.amdhsa_reserve_vcc 0
		.amdhsa_reserve_flat_scratch 0
		.amdhsa_float_round_mode_32 0
		.amdhsa_float_round_mode_16_64 0
		.amdhsa_float_denorm_mode_32 3
		.amdhsa_float_denorm_mode_16_64 3
		.amdhsa_dx10_clamp 1
		.amdhsa_ieee_mode 1
		.amdhsa_fp16_overflow 0
		.amdhsa_workgroup_processor_mode 1
		.amdhsa_memory_ordered 1
		.amdhsa_forward_progress 1
		.amdhsa_shared_vgpr_count 0
		.amdhsa_exception_fp_ieee_invalid_op 0
		.amdhsa_exception_fp_denorm_src 0
		.amdhsa_exception_fp_ieee_div_zero 0
		.amdhsa_exception_fp_ieee_overflow 0
		.amdhsa_exception_fp_ieee_underflow 0
		.amdhsa_exception_fp_ieee_inexact 0
		.amdhsa_exception_int_div_zero 0
	.end_amdhsa_kernel
	.section	.text._ZN7rocprim17ROCPRIM_400000_NS6detail17trampoline_kernelINS0_14default_configENS1_27scan_by_key_config_selectorIiiEEZZNS1_16scan_by_key_implILNS1_25lookback_scan_determinismE0ELb1ES3_N6thrust23THRUST_200600_302600_NS6detail15normal_iteratorINS9_10device_ptrIiEEEESE_SE_iNS9_4plusIvEENS9_8equal_toIvEEiEE10hipError_tPvRmT2_T3_T4_T5_mT6_T7_P12ihipStream_tbENKUlT_T0_E_clISt17integral_constantIbLb0EESZ_EEDaSU_SV_EUlSU_E_NS1_11comp_targetILNS1_3genE0ELNS1_11target_archE4294967295ELNS1_3gpuE0ELNS1_3repE0EEENS1_30default_config_static_selectorELNS0_4arch9wavefront6targetE0EEEvT1_,"axG",@progbits,_ZN7rocprim17ROCPRIM_400000_NS6detail17trampoline_kernelINS0_14default_configENS1_27scan_by_key_config_selectorIiiEEZZNS1_16scan_by_key_implILNS1_25lookback_scan_determinismE0ELb1ES3_N6thrust23THRUST_200600_302600_NS6detail15normal_iteratorINS9_10device_ptrIiEEEESE_SE_iNS9_4plusIvEENS9_8equal_toIvEEiEE10hipError_tPvRmT2_T3_T4_T5_mT6_T7_P12ihipStream_tbENKUlT_T0_E_clISt17integral_constantIbLb0EESZ_EEDaSU_SV_EUlSU_E_NS1_11comp_targetILNS1_3genE0ELNS1_11target_archE4294967295ELNS1_3gpuE0ELNS1_3repE0EEENS1_30default_config_static_selectorELNS0_4arch9wavefront6targetE0EEEvT1_,comdat
.Lfunc_end461:
	.size	_ZN7rocprim17ROCPRIM_400000_NS6detail17trampoline_kernelINS0_14default_configENS1_27scan_by_key_config_selectorIiiEEZZNS1_16scan_by_key_implILNS1_25lookback_scan_determinismE0ELb1ES3_N6thrust23THRUST_200600_302600_NS6detail15normal_iteratorINS9_10device_ptrIiEEEESE_SE_iNS9_4plusIvEENS9_8equal_toIvEEiEE10hipError_tPvRmT2_T3_T4_T5_mT6_T7_P12ihipStream_tbENKUlT_T0_E_clISt17integral_constantIbLb0EESZ_EEDaSU_SV_EUlSU_E_NS1_11comp_targetILNS1_3genE0ELNS1_11target_archE4294967295ELNS1_3gpuE0ELNS1_3repE0EEENS1_30default_config_static_selectorELNS0_4arch9wavefront6targetE0EEEvT1_, .Lfunc_end461-_ZN7rocprim17ROCPRIM_400000_NS6detail17trampoline_kernelINS0_14default_configENS1_27scan_by_key_config_selectorIiiEEZZNS1_16scan_by_key_implILNS1_25lookback_scan_determinismE0ELb1ES3_N6thrust23THRUST_200600_302600_NS6detail15normal_iteratorINS9_10device_ptrIiEEEESE_SE_iNS9_4plusIvEENS9_8equal_toIvEEiEE10hipError_tPvRmT2_T3_T4_T5_mT6_T7_P12ihipStream_tbENKUlT_T0_E_clISt17integral_constantIbLb0EESZ_EEDaSU_SV_EUlSU_E_NS1_11comp_targetILNS1_3genE0ELNS1_11target_archE4294967295ELNS1_3gpuE0ELNS1_3repE0EEENS1_30default_config_static_selectorELNS0_4arch9wavefront6targetE0EEEvT1_
                                        ; -- End function
	.set _ZN7rocprim17ROCPRIM_400000_NS6detail17trampoline_kernelINS0_14default_configENS1_27scan_by_key_config_selectorIiiEEZZNS1_16scan_by_key_implILNS1_25lookback_scan_determinismE0ELb1ES3_N6thrust23THRUST_200600_302600_NS6detail15normal_iteratorINS9_10device_ptrIiEEEESE_SE_iNS9_4plusIvEENS9_8equal_toIvEEiEE10hipError_tPvRmT2_T3_T4_T5_mT6_T7_P12ihipStream_tbENKUlT_T0_E_clISt17integral_constantIbLb0EESZ_EEDaSU_SV_EUlSU_E_NS1_11comp_targetILNS1_3genE0ELNS1_11target_archE4294967295ELNS1_3gpuE0ELNS1_3repE0EEENS1_30default_config_static_selectorELNS0_4arch9wavefront6targetE0EEEvT1_.num_vgpr, 0
	.set _ZN7rocprim17ROCPRIM_400000_NS6detail17trampoline_kernelINS0_14default_configENS1_27scan_by_key_config_selectorIiiEEZZNS1_16scan_by_key_implILNS1_25lookback_scan_determinismE0ELb1ES3_N6thrust23THRUST_200600_302600_NS6detail15normal_iteratorINS9_10device_ptrIiEEEESE_SE_iNS9_4plusIvEENS9_8equal_toIvEEiEE10hipError_tPvRmT2_T3_T4_T5_mT6_T7_P12ihipStream_tbENKUlT_T0_E_clISt17integral_constantIbLb0EESZ_EEDaSU_SV_EUlSU_E_NS1_11comp_targetILNS1_3genE0ELNS1_11target_archE4294967295ELNS1_3gpuE0ELNS1_3repE0EEENS1_30default_config_static_selectorELNS0_4arch9wavefront6targetE0EEEvT1_.num_agpr, 0
	.set _ZN7rocprim17ROCPRIM_400000_NS6detail17trampoline_kernelINS0_14default_configENS1_27scan_by_key_config_selectorIiiEEZZNS1_16scan_by_key_implILNS1_25lookback_scan_determinismE0ELb1ES3_N6thrust23THRUST_200600_302600_NS6detail15normal_iteratorINS9_10device_ptrIiEEEESE_SE_iNS9_4plusIvEENS9_8equal_toIvEEiEE10hipError_tPvRmT2_T3_T4_T5_mT6_T7_P12ihipStream_tbENKUlT_T0_E_clISt17integral_constantIbLb0EESZ_EEDaSU_SV_EUlSU_E_NS1_11comp_targetILNS1_3genE0ELNS1_11target_archE4294967295ELNS1_3gpuE0ELNS1_3repE0EEENS1_30default_config_static_selectorELNS0_4arch9wavefront6targetE0EEEvT1_.numbered_sgpr, 0
	.set _ZN7rocprim17ROCPRIM_400000_NS6detail17trampoline_kernelINS0_14default_configENS1_27scan_by_key_config_selectorIiiEEZZNS1_16scan_by_key_implILNS1_25lookback_scan_determinismE0ELb1ES3_N6thrust23THRUST_200600_302600_NS6detail15normal_iteratorINS9_10device_ptrIiEEEESE_SE_iNS9_4plusIvEENS9_8equal_toIvEEiEE10hipError_tPvRmT2_T3_T4_T5_mT6_T7_P12ihipStream_tbENKUlT_T0_E_clISt17integral_constantIbLb0EESZ_EEDaSU_SV_EUlSU_E_NS1_11comp_targetILNS1_3genE0ELNS1_11target_archE4294967295ELNS1_3gpuE0ELNS1_3repE0EEENS1_30default_config_static_selectorELNS0_4arch9wavefront6targetE0EEEvT1_.num_named_barrier, 0
	.set _ZN7rocprim17ROCPRIM_400000_NS6detail17trampoline_kernelINS0_14default_configENS1_27scan_by_key_config_selectorIiiEEZZNS1_16scan_by_key_implILNS1_25lookback_scan_determinismE0ELb1ES3_N6thrust23THRUST_200600_302600_NS6detail15normal_iteratorINS9_10device_ptrIiEEEESE_SE_iNS9_4plusIvEENS9_8equal_toIvEEiEE10hipError_tPvRmT2_T3_T4_T5_mT6_T7_P12ihipStream_tbENKUlT_T0_E_clISt17integral_constantIbLb0EESZ_EEDaSU_SV_EUlSU_E_NS1_11comp_targetILNS1_3genE0ELNS1_11target_archE4294967295ELNS1_3gpuE0ELNS1_3repE0EEENS1_30default_config_static_selectorELNS0_4arch9wavefront6targetE0EEEvT1_.private_seg_size, 0
	.set _ZN7rocprim17ROCPRIM_400000_NS6detail17trampoline_kernelINS0_14default_configENS1_27scan_by_key_config_selectorIiiEEZZNS1_16scan_by_key_implILNS1_25lookback_scan_determinismE0ELb1ES3_N6thrust23THRUST_200600_302600_NS6detail15normal_iteratorINS9_10device_ptrIiEEEESE_SE_iNS9_4plusIvEENS9_8equal_toIvEEiEE10hipError_tPvRmT2_T3_T4_T5_mT6_T7_P12ihipStream_tbENKUlT_T0_E_clISt17integral_constantIbLb0EESZ_EEDaSU_SV_EUlSU_E_NS1_11comp_targetILNS1_3genE0ELNS1_11target_archE4294967295ELNS1_3gpuE0ELNS1_3repE0EEENS1_30default_config_static_selectorELNS0_4arch9wavefront6targetE0EEEvT1_.uses_vcc, 0
	.set _ZN7rocprim17ROCPRIM_400000_NS6detail17trampoline_kernelINS0_14default_configENS1_27scan_by_key_config_selectorIiiEEZZNS1_16scan_by_key_implILNS1_25lookback_scan_determinismE0ELb1ES3_N6thrust23THRUST_200600_302600_NS6detail15normal_iteratorINS9_10device_ptrIiEEEESE_SE_iNS9_4plusIvEENS9_8equal_toIvEEiEE10hipError_tPvRmT2_T3_T4_T5_mT6_T7_P12ihipStream_tbENKUlT_T0_E_clISt17integral_constantIbLb0EESZ_EEDaSU_SV_EUlSU_E_NS1_11comp_targetILNS1_3genE0ELNS1_11target_archE4294967295ELNS1_3gpuE0ELNS1_3repE0EEENS1_30default_config_static_selectorELNS0_4arch9wavefront6targetE0EEEvT1_.uses_flat_scratch, 0
	.set _ZN7rocprim17ROCPRIM_400000_NS6detail17trampoline_kernelINS0_14default_configENS1_27scan_by_key_config_selectorIiiEEZZNS1_16scan_by_key_implILNS1_25lookback_scan_determinismE0ELb1ES3_N6thrust23THRUST_200600_302600_NS6detail15normal_iteratorINS9_10device_ptrIiEEEESE_SE_iNS9_4plusIvEENS9_8equal_toIvEEiEE10hipError_tPvRmT2_T3_T4_T5_mT6_T7_P12ihipStream_tbENKUlT_T0_E_clISt17integral_constantIbLb0EESZ_EEDaSU_SV_EUlSU_E_NS1_11comp_targetILNS1_3genE0ELNS1_11target_archE4294967295ELNS1_3gpuE0ELNS1_3repE0EEENS1_30default_config_static_selectorELNS0_4arch9wavefront6targetE0EEEvT1_.has_dyn_sized_stack, 0
	.set _ZN7rocprim17ROCPRIM_400000_NS6detail17trampoline_kernelINS0_14default_configENS1_27scan_by_key_config_selectorIiiEEZZNS1_16scan_by_key_implILNS1_25lookback_scan_determinismE0ELb1ES3_N6thrust23THRUST_200600_302600_NS6detail15normal_iteratorINS9_10device_ptrIiEEEESE_SE_iNS9_4plusIvEENS9_8equal_toIvEEiEE10hipError_tPvRmT2_T3_T4_T5_mT6_T7_P12ihipStream_tbENKUlT_T0_E_clISt17integral_constantIbLb0EESZ_EEDaSU_SV_EUlSU_E_NS1_11comp_targetILNS1_3genE0ELNS1_11target_archE4294967295ELNS1_3gpuE0ELNS1_3repE0EEENS1_30default_config_static_selectorELNS0_4arch9wavefront6targetE0EEEvT1_.has_recursion, 0
	.set _ZN7rocprim17ROCPRIM_400000_NS6detail17trampoline_kernelINS0_14default_configENS1_27scan_by_key_config_selectorIiiEEZZNS1_16scan_by_key_implILNS1_25lookback_scan_determinismE0ELb1ES3_N6thrust23THRUST_200600_302600_NS6detail15normal_iteratorINS9_10device_ptrIiEEEESE_SE_iNS9_4plusIvEENS9_8equal_toIvEEiEE10hipError_tPvRmT2_T3_T4_T5_mT6_T7_P12ihipStream_tbENKUlT_T0_E_clISt17integral_constantIbLb0EESZ_EEDaSU_SV_EUlSU_E_NS1_11comp_targetILNS1_3genE0ELNS1_11target_archE4294967295ELNS1_3gpuE0ELNS1_3repE0EEENS1_30default_config_static_selectorELNS0_4arch9wavefront6targetE0EEEvT1_.has_indirect_call, 0
	.section	.AMDGPU.csdata,"",@progbits
; Kernel info:
; codeLenInByte = 0
; TotalNumSgprs: 0
; NumVgprs: 0
; ScratchSize: 0
; MemoryBound: 0
; FloatMode: 240
; IeeeMode: 1
; LDSByteSize: 0 bytes/workgroup (compile time only)
; SGPRBlocks: 0
; VGPRBlocks: 0
; NumSGPRsForWavesPerEU: 1
; NumVGPRsForWavesPerEU: 1
; Occupancy: 16
; WaveLimiterHint : 0
; COMPUTE_PGM_RSRC2:SCRATCH_EN: 0
; COMPUTE_PGM_RSRC2:USER_SGPR: 6
; COMPUTE_PGM_RSRC2:TRAP_HANDLER: 0
; COMPUTE_PGM_RSRC2:TGID_X_EN: 1
; COMPUTE_PGM_RSRC2:TGID_Y_EN: 0
; COMPUTE_PGM_RSRC2:TGID_Z_EN: 0
; COMPUTE_PGM_RSRC2:TIDIG_COMP_CNT: 0
	.section	.text._ZN7rocprim17ROCPRIM_400000_NS6detail17trampoline_kernelINS0_14default_configENS1_27scan_by_key_config_selectorIiiEEZZNS1_16scan_by_key_implILNS1_25lookback_scan_determinismE0ELb1ES3_N6thrust23THRUST_200600_302600_NS6detail15normal_iteratorINS9_10device_ptrIiEEEESE_SE_iNS9_4plusIvEENS9_8equal_toIvEEiEE10hipError_tPvRmT2_T3_T4_T5_mT6_T7_P12ihipStream_tbENKUlT_T0_E_clISt17integral_constantIbLb0EESZ_EEDaSU_SV_EUlSU_E_NS1_11comp_targetILNS1_3genE10ELNS1_11target_archE1201ELNS1_3gpuE5ELNS1_3repE0EEENS1_30default_config_static_selectorELNS0_4arch9wavefront6targetE0EEEvT1_,"axG",@progbits,_ZN7rocprim17ROCPRIM_400000_NS6detail17trampoline_kernelINS0_14default_configENS1_27scan_by_key_config_selectorIiiEEZZNS1_16scan_by_key_implILNS1_25lookback_scan_determinismE0ELb1ES3_N6thrust23THRUST_200600_302600_NS6detail15normal_iteratorINS9_10device_ptrIiEEEESE_SE_iNS9_4plusIvEENS9_8equal_toIvEEiEE10hipError_tPvRmT2_T3_T4_T5_mT6_T7_P12ihipStream_tbENKUlT_T0_E_clISt17integral_constantIbLb0EESZ_EEDaSU_SV_EUlSU_E_NS1_11comp_targetILNS1_3genE10ELNS1_11target_archE1201ELNS1_3gpuE5ELNS1_3repE0EEENS1_30default_config_static_selectorELNS0_4arch9wavefront6targetE0EEEvT1_,comdat
	.protected	_ZN7rocprim17ROCPRIM_400000_NS6detail17trampoline_kernelINS0_14default_configENS1_27scan_by_key_config_selectorIiiEEZZNS1_16scan_by_key_implILNS1_25lookback_scan_determinismE0ELb1ES3_N6thrust23THRUST_200600_302600_NS6detail15normal_iteratorINS9_10device_ptrIiEEEESE_SE_iNS9_4plusIvEENS9_8equal_toIvEEiEE10hipError_tPvRmT2_T3_T4_T5_mT6_T7_P12ihipStream_tbENKUlT_T0_E_clISt17integral_constantIbLb0EESZ_EEDaSU_SV_EUlSU_E_NS1_11comp_targetILNS1_3genE10ELNS1_11target_archE1201ELNS1_3gpuE5ELNS1_3repE0EEENS1_30default_config_static_selectorELNS0_4arch9wavefront6targetE0EEEvT1_ ; -- Begin function _ZN7rocprim17ROCPRIM_400000_NS6detail17trampoline_kernelINS0_14default_configENS1_27scan_by_key_config_selectorIiiEEZZNS1_16scan_by_key_implILNS1_25lookback_scan_determinismE0ELb1ES3_N6thrust23THRUST_200600_302600_NS6detail15normal_iteratorINS9_10device_ptrIiEEEESE_SE_iNS9_4plusIvEENS9_8equal_toIvEEiEE10hipError_tPvRmT2_T3_T4_T5_mT6_T7_P12ihipStream_tbENKUlT_T0_E_clISt17integral_constantIbLb0EESZ_EEDaSU_SV_EUlSU_E_NS1_11comp_targetILNS1_3genE10ELNS1_11target_archE1201ELNS1_3gpuE5ELNS1_3repE0EEENS1_30default_config_static_selectorELNS0_4arch9wavefront6targetE0EEEvT1_
	.globl	_ZN7rocprim17ROCPRIM_400000_NS6detail17trampoline_kernelINS0_14default_configENS1_27scan_by_key_config_selectorIiiEEZZNS1_16scan_by_key_implILNS1_25lookback_scan_determinismE0ELb1ES3_N6thrust23THRUST_200600_302600_NS6detail15normal_iteratorINS9_10device_ptrIiEEEESE_SE_iNS9_4plusIvEENS9_8equal_toIvEEiEE10hipError_tPvRmT2_T3_T4_T5_mT6_T7_P12ihipStream_tbENKUlT_T0_E_clISt17integral_constantIbLb0EESZ_EEDaSU_SV_EUlSU_E_NS1_11comp_targetILNS1_3genE10ELNS1_11target_archE1201ELNS1_3gpuE5ELNS1_3repE0EEENS1_30default_config_static_selectorELNS0_4arch9wavefront6targetE0EEEvT1_
	.p2align	8
	.type	_ZN7rocprim17ROCPRIM_400000_NS6detail17trampoline_kernelINS0_14default_configENS1_27scan_by_key_config_selectorIiiEEZZNS1_16scan_by_key_implILNS1_25lookback_scan_determinismE0ELb1ES3_N6thrust23THRUST_200600_302600_NS6detail15normal_iteratorINS9_10device_ptrIiEEEESE_SE_iNS9_4plusIvEENS9_8equal_toIvEEiEE10hipError_tPvRmT2_T3_T4_T5_mT6_T7_P12ihipStream_tbENKUlT_T0_E_clISt17integral_constantIbLb0EESZ_EEDaSU_SV_EUlSU_E_NS1_11comp_targetILNS1_3genE10ELNS1_11target_archE1201ELNS1_3gpuE5ELNS1_3repE0EEENS1_30default_config_static_selectorELNS0_4arch9wavefront6targetE0EEEvT1_,@function
_ZN7rocprim17ROCPRIM_400000_NS6detail17trampoline_kernelINS0_14default_configENS1_27scan_by_key_config_selectorIiiEEZZNS1_16scan_by_key_implILNS1_25lookback_scan_determinismE0ELb1ES3_N6thrust23THRUST_200600_302600_NS6detail15normal_iteratorINS9_10device_ptrIiEEEESE_SE_iNS9_4plusIvEENS9_8equal_toIvEEiEE10hipError_tPvRmT2_T3_T4_T5_mT6_T7_P12ihipStream_tbENKUlT_T0_E_clISt17integral_constantIbLb0EESZ_EEDaSU_SV_EUlSU_E_NS1_11comp_targetILNS1_3genE10ELNS1_11target_archE1201ELNS1_3gpuE5ELNS1_3repE0EEENS1_30default_config_static_selectorELNS0_4arch9wavefront6targetE0EEEvT1_: ; @_ZN7rocprim17ROCPRIM_400000_NS6detail17trampoline_kernelINS0_14default_configENS1_27scan_by_key_config_selectorIiiEEZZNS1_16scan_by_key_implILNS1_25lookback_scan_determinismE0ELb1ES3_N6thrust23THRUST_200600_302600_NS6detail15normal_iteratorINS9_10device_ptrIiEEEESE_SE_iNS9_4plusIvEENS9_8equal_toIvEEiEE10hipError_tPvRmT2_T3_T4_T5_mT6_T7_P12ihipStream_tbENKUlT_T0_E_clISt17integral_constantIbLb0EESZ_EEDaSU_SV_EUlSU_E_NS1_11comp_targetILNS1_3genE10ELNS1_11target_archE1201ELNS1_3gpuE5ELNS1_3repE0EEENS1_30default_config_static_selectorELNS0_4arch9wavefront6targetE0EEEvT1_
; %bb.0:
	.section	.rodata,"a",@progbits
	.p2align	6, 0x0
	.amdhsa_kernel _ZN7rocprim17ROCPRIM_400000_NS6detail17trampoline_kernelINS0_14default_configENS1_27scan_by_key_config_selectorIiiEEZZNS1_16scan_by_key_implILNS1_25lookback_scan_determinismE0ELb1ES3_N6thrust23THRUST_200600_302600_NS6detail15normal_iteratorINS9_10device_ptrIiEEEESE_SE_iNS9_4plusIvEENS9_8equal_toIvEEiEE10hipError_tPvRmT2_T3_T4_T5_mT6_T7_P12ihipStream_tbENKUlT_T0_E_clISt17integral_constantIbLb0EESZ_EEDaSU_SV_EUlSU_E_NS1_11comp_targetILNS1_3genE10ELNS1_11target_archE1201ELNS1_3gpuE5ELNS1_3repE0EEENS1_30default_config_static_selectorELNS0_4arch9wavefront6targetE0EEEvT1_
		.amdhsa_group_segment_fixed_size 0
		.amdhsa_private_segment_fixed_size 0
		.amdhsa_kernarg_size 112
		.amdhsa_user_sgpr_count 6
		.amdhsa_user_sgpr_private_segment_buffer 1
		.amdhsa_user_sgpr_dispatch_ptr 0
		.amdhsa_user_sgpr_queue_ptr 0
		.amdhsa_user_sgpr_kernarg_segment_ptr 1
		.amdhsa_user_sgpr_dispatch_id 0
		.amdhsa_user_sgpr_flat_scratch_init 0
		.amdhsa_user_sgpr_private_segment_size 0
		.amdhsa_wavefront_size32 1
		.amdhsa_uses_dynamic_stack 0
		.amdhsa_system_sgpr_private_segment_wavefront_offset 0
		.amdhsa_system_sgpr_workgroup_id_x 1
		.amdhsa_system_sgpr_workgroup_id_y 0
		.amdhsa_system_sgpr_workgroup_id_z 0
		.amdhsa_system_sgpr_workgroup_info 0
		.amdhsa_system_vgpr_workitem_id 0
		.amdhsa_next_free_vgpr 1
		.amdhsa_next_free_sgpr 1
		.amdhsa_reserve_vcc 0
		.amdhsa_reserve_flat_scratch 0
		.amdhsa_float_round_mode_32 0
		.amdhsa_float_round_mode_16_64 0
		.amdhsa_float_denorm_mode_32 3
		.amdhsa_float_denorm_mode_16_64 3
		.amdhsa_dx10_clamp 1
		.amdhsa_ieee_mode 1
		.amdhsa_fp16_overflow 0
		.amdhsa_workgroup_processor_mode 1
		.amdhsa_memory_ordered 1
		.amdhsa_forward_progress 1
		.amdhsa_shared_vgpr_count 0
		.amdhsa_exception_fp_ieee_invalid_op 0
		.amdhsa_exception_fp_denorm_src 0
		.amdhsa_exception_fp_ieee_div_zero 0
		.amdhsa_exception_fp_ieee_overflow 0
		.amdhsa_exception_fp_ieee_underflow 0
		.amdhsa_exception_fp_ieee_inexact 0
		.amdhsa_exception_int_div_zero 0
	.end_amdhsa_kernel
	.section	.text._ZN7rocprim17ROCPRIM_400000_NS6detail17trampoline_kernelINS0_14default_configENS1_27scan_by_key_config_selectorIiiEEZZNS1_16scan_by_key_implILNS1_25lookback_scan_determinismE0ELb1ES3_N6thrust23THRUST_200600_302600_NS6detail15normal_iteratorINS9_10device_ptrIiEEEESE_SE_iNS9_4plusIvEENS9_8equal_toIvEEiEE10hipError_tPvRmT2_T3_T4_T5_mT6_T7_P12ihipStream_tbENKUlT_T0_E_clISt17integral_constantIbLb0EESZ_EEDaSU_SV_EUlSU_E_NS1_11comp_targetILNS1_3genE10ELNS1_11target_archE1201ELNS1_3gpuE5ELNS1_3repE0EEENS1_30default_config_static_selectorELNS0_4arch9wavefront6targetE0EEEvT1_,"axG",@progbits,_ZN7rocprim17ROCPRIM_400000_NS6detail17trampoline_kernelINS0_14default_configENS1_27scan_by_key_config_selectorIiiEEZZNS1_16scan_by_key_implILNS1_25lookback_scan_determinismE0ELb1ES3_N6thrust23THRUST_200600_302600_NS6detail15normal_iteratorINS9_10device_ptrIiEEEESE_SE_iNS9_4plusIvEENS9_8equal_toIvEEiEE10hipError_tPvRmT2_T3_T4_T5_mT6_T7_P12ihipStream_tbENKUlT_T0_E_clISt17integral_constantIbLb0EESZ_EEDaSU_SV_EUlSU_E_NS1_11comp_targetILNS1_3genE10ELNS1_11target_archE1201ELNS1_3gpuE5ELNS1_3repE0EEENS1_30default_config_static_selectorELNS0_4arch9wavefront6targetE0EEEvT1_,comdat
.Lfunc_end462:
	.size	_ZN7rocprim17ROCPRIM_400000_NS6detail17trampoline_kernelINS0_14default_configENS1_27scan_by_key_config_selectorIiiEEZZNS1_16scan_by_key_implILNS1_25lookback_scan_determinismE0ELb1ES3_N6thrust23THRUST_200600_302600_NS6detail15normal_iteratorINS9_10device_ptrIiEEEESE_SE_iNS9_4plusIvEENS9_8equal_toIvEEiEE10hipError_tPvRmT2_T3_T4_T5_mT6_T7_P12ihipStream_tbENKUlT_T0_E_clISt17integral_constantIbLb0EESZ_EEDaSU_SV_EUlSU_E_NS1_11comp_targetILNS1_3genE10ELNS1_11target_archE1201ELNS1_3gpuE5ELNS1_3repE0EEENS1_30default_config_static_selectorELNS0_4arch9wavefront6targetE0EEEvT1_, .Lfunc_end462-_ZN7rocprim17ROCPRIM_400000_NS6detail17trampoline_kernelINS0_14default_configENS1_27scan_by_key_config_selectorIiiEEZZNS1_16scan_by_key_implILNS1_25lookback_scan_determinismE0ELb1ES3_N6thrust23THRUST_200600_302600_NS6detail15normal_iteratorINS9_10device_ptrIiEEEESE_SE_iNS9_4plusIvEENS9_8equal_toIvEEiEE10hipError_tPvRmT2_T3_T4_T5_mT6_T7_P12ihipStream_tbENKUlT_T0_E_clISt17integral_constantIbLb0EESZ_EEDaSU_SV_EUlSU_E_NS1_11comp_targetILNS1_3genE10ELNS1_11target_archE1201ELNS1_3gpuE5ELNS1_3repE0EEENS1_30default_config_static_selectorELNS0_4arch9wavefront6targetE0EEEvT1_
                                        ; -- End function
	.set _ZN7rocprim17ROCPRIM_400000_NS6detail17trampoline_kernelINS0_14default_configENS1_27scan_by_key_config_selectorIiiEEZZNS1_16scan_by_key_implILNS1_25lookback_scan_determinismE0ELb1ES3_N6thrust23THRUST_200600_302600_NS6detail15normal_iteratorINS9_10device_ptrIiEEEESE_SE_iNS9_4plusIvEENS9_8equal_toIvEEiEE10hipError_tPvRmT2_T3_T4_T5_mT6_T7_P12ihipStream_tbENKUlT_T0_E_clISt17integral_constantIbLb0EESZ_EEDaSU_SV_EUlSU_E_NS1_11comp_targetILNS1_3genE10ELNS1_11target_archE1201ELNS1_3gpuE5ELNS1_3repE0EEENS1_30default_config_static_selectorELNS0_4arch9wavefront6targetE0EEEvT1_.num_vgpr, 0
	.set _ZN7rocprim17ROCPRIM_400000_NS6detail17trampoline_kernelINS0_14default_configENS1_27scan_by_key_config_selectorIiiEEZZNS1_16scan_by_key_implILNS1_25lookback_scan_determinismE0ELb1ES3_N6thrust23THRUST_200600_302600_NS6detail15normal_iteratorINS9_10device_ptrIiEEEESE_SE_iNS9_4plusIvEENS9_8equal_toIvEEiEE10hipError_tPvRmT2_T3_T4_T5_mT6_T7_P12ihipStream_tbENKUlT_T0_E_clISt17integral_constantIbLb0EESZ_EEDaSU_SV_EUlSU_E_NS1_11comp_targetILNS1_3genE10ELNS1_11target_archE1201ELNS1_3gpuE5ELNS1_3repE0EEENS1_30default_config_static_selectorELNS0_4arch9wavefront6targetE0EEEvT1_.num_agpr, 0
	.set _ZN7rocprim17ROCPRIM_400000_NS6detail17trampoline_kernelINS0_14default_configENS1_27scan_by_key_config_selectorIiiEEZZNS1_16scan_by_key_implILNS1_25lookback_scan_determinismE0ELb1ES3_N6thrust23THRUST_200600_302600_NS6detail15normal_iteratorINS9_10device_ptrIiEEEESE_SE_iNS9_4plusIvEENS9_8equal_toIvEEiEE10hipError_tPvRmT2_T3_T4_T5_mT6_T7_P12ihipStream_tbENKUlT_T0_E_clISt17integral_constantIbLb0EESZ_EEDaSU_SV_EUlSU_E_NS1_11comp_targetILNS1_3genE10ELNS1_11target_archE1201ELNS1_3gpuE5ELNS1_3repE0EEENS1_30default_config_static_selectorELNS0_4arch9wavefront6targetE0EEEvT1_.numbered_sgpr, 0
	.set _ZN7rocprim17ROCPRIM_400000_NS6detail17trampoline_kernelINS0_14default_configENS1_27scan_by_key_config_selectorIiiEEZZNS1_16scan_by_key_implILNS1_25lookback_scan_determinismE0ELb1ES3_N6thrust23THRUST_200600_302600_NS6detail15normal_iteratorINS9_10device_ptrIiEEEESE_SE_iNS9_4plusIvEENS9_8equal_toIvEEiEE10hipError_tPvRmT2_T3_T4_T5_mT6_T7_P12ihipStream_tbENKUlT_T0_E_clISt17integral_constantIbLb0EESZ_EEDaSU_SV_EUlSU_E_NS1_11comp_targetILNS1_3genE10ELNS1_11target_archE1201ELNS1_3gpuE5ELNS1_3repE0EEENS1_30default_config_static_selectorELNS0_4arch9wavefront6targetE0EEEvT1_.num_named_barrier, 0
	.set _ZN7rocprim17ROCPRIM_400000_NS6detail17trampoline_kernelINS0_14default_configENS1_27scan_by_key_config_selectorIiiEEZZNS1_16scan_by_key_implILNS1_25lookback_scan_determinismE0ELb1ES3_N6thrust23THRUST_200600_302600_NS6detail15normal_iteratorINS9_10device_ptrIiEEEESE_SE_iNS9_4plusIvEENS9_8equal_toIvEEiEE10hipError_tPvRmT2_T3_T4_T5_mT6_T7_P12ihipStream_tbENKUlT_T0_E_clISt17integral_constantIbLb0EESZ_EEDaSU_SV_EUlSU_E_NS1_11comp_targetILNS1_3genE10ELNS1_11target_archE1201ELNS1_3gpuE5ELNS1_3repE0EEENS1_30default_config_static_selectorELNS0_4arch9wavefront6targetE0EEEvT1_.private_seg_size, 0
	.set _ZN7rocprim17ROCPRIM_400000_NS6detail17trampoline_kernelINS0_14default_configENS1_27scan_by_key_config_selectorIiiEEZZNS1_16scan_by_key_implILNS1_25lookback_scan_determinismE0ELb1ES3_N6thrust23THRUST_200600_302600_NS6detail15normal_iteratorINS9_10device_ptrIiEEEESE_SE_iNS9_4plusIvEENS9_8equal_toIvEEiEE10hipError_tPvRmT2_T3_T4_T5_mT6_T7_P12ihipStream_tbENKUlT_T0_E_clISt17integral_constantIbLb0EESZ_EEDaSU_SV_EUlSU_E_NS1_11comp_targetILNS1_3genE10ELNS1_11target_archE1201ELNS1_3gpuE5ELNS1_3repE0EEENS1_30default_config_static_selectorELNS0_4arch9wavefront6targetE0EEEvT1_.uses_vcc, 0
	.set _ZN7rocprim17ROCPRIM_400000_NS6detail17trampoline_kernelINS0_14default_configENS1_27scan_by_key_config_selectorIiiEEZZNS1_16scan_by_key_implILNS1_25lookback_scan_determinismE0ELb1ES3_N6thrust23THRUST_200600_302600_NS6detail15normal_iteratorINS9_10device_ptrIiEEEESE_SE_iNS9_4plusIvEENS9_8equal_toIvEEiEE10hipError_tPvRmT2_T3_T4_T5_mT6_T7_P12ihipStream_tbENKUlT_T0_E_clISt17integral_constantIbLb0EESZ_EEDaSU_SV_EUlSU_E_NS1_11comp_targetILNS1_3genE10ELNS1_11target_archE1201ELNS1_3gpuE5ELNS1_3repE0EEENS1_30default_config_static_selectorELNS0_4arch9wavefront6targetE0EEEvT1_.uses_flat_scratch, 0
	.set _ZN7rocprim17ROCPRIM_400000_NS6detail17trampoline_kernelINS0_14default_configENS1_27scan_by_key_config_selectorIiiEEZZNS1_16scan_by_key_implILNS1_25lookback_scan_determinismE0ELb1ES3_N6thrust23THRUST_200600_302600_NS6detail15normal_iteratorINS9_10device_ptrIiEEEESE_SE_iNS9_4plusIvEENS9_8equal_toIvEEiEE10hipError_tPvRmT2_T3_T4_T5_mT6_T7_P12ihipStream_tbENKUlT_T0_E_clISt17integral_constantIbLb0EESZ_EEDaSU_SV_EUlSU_E_NS1_11comp_targetILNS1_3genE10ELNS1_11target_archE1201ELNS1_3gpuE5ELNS1_3repE0EEENS1_30default_config_static_selectorELNS0_4arch9wavefront6targetE0EEEvT1_.has_dyn_sized_stack, 0
	.set _ZN7rocprim17ROCPRIM_400000_NS6detail17trampoline_kernelINS0_14default_configENS1_27scan_by_key_config_selectorIiiEEZZNS1_16scan_by_key_implILNS1_25lookback_scan_determinismE0ELb1ES3_N6thrust23THRUST_200600_302600_NS6detail15normal_iteratorINS9_10device_ptrIiEEEESE_SE_iNS9_4plusIvEENS9_8equal_toIvEEiEE10hipError_tPvRmT2_T3_T4_T5_mT6_T7_P12ihipStream_tbENKUlT_T0_E_clISt17integral_constantIbLb0EESZ_EEDaSU_SV_EUlSU_E_NS1_11comp_targetILNS1_3genE10ELNS1_11target_archE1201ELNS1_3gpuE5ELNS1_3repE0EEENS1_30default_config_static_selectorELNS0_4arch9wavefront6targetE0EEEvT1_.has_recursion, 0
	.set _ZN7rocprim17ROCPRIM_400000_NS6detail17trampoline_kernelINS0_14default_configENS1_27scan_by_key_config_selectorIiiEEZZNS1_16scan_by_key_implILNS1_25lookback_scan_determinismE0ELb1ES3_N6thrust23THRUST_200600_302600_NS6detail15normal_iteratorINS9_10device_ptrIiEEEESE_SE_iNS9_4plusIvEENS9_8equal_toIvEEiEE10hipError_tPvRmT2_T3_T4_T5_mT6_T7_P12ihipStream_tbENKUlT_T0_E_clISt17integral_constantIbLb0EESZ_EEDaSU_SV_EUlSU_E_NS1_11comp_targetILNS1_3genE10ELNS1_11target_archE1201ELNS1_3gpuE5ELNS1_3repE0EEENS1_30default_config_static_selectorELNS0_4arch9wavefront6targetE0EEEvT1_.has_indirect_call, 0
	.section	.AMDGPU.csdata,"",@progbits
; Kernel info:
; codeLenInByte = 0
; TotalNumSgprs: 0
; NumVgprs: 0
; ScratchSize: 0
; MemoryBound: 0
; FloatMode: 240
; IeeeMode: 1
; LDSByteSize: 0 bytes/workgroup (compile time only)
; SGPRBlocks: 0
; VGPRBlocks: 0
; NumSGPRsForWavesPerEU: 1
; NumVGPRsForWavesPerEU: 1
; Occupancy: 16
; WaveLimiterHint : 0
; COMPUTE_PGM_RSRC2:SCRATCH_EN: 0
; COMPUTE_PGM_RSRC2:USER_SGPR: 6
; COMPUTE_PGM_RSRC2:TRAP_HANDLER: 0
; COMPUTE_PGM_RSRC2:TGID_X_EN: 1
; COMPUTE_PGM_RSRC2:TGID_Y_EN: 0
; COMPUTE_PGM_RSRC2:TGID_Z_EN: 0
; COMPUTE_PGM_RSRC2:TIDIG_COMP_CNT: 0
	.section	.text._ZN7rocprim17ROCPRIM_400000_NS6detail17trampoline_kernelINS0_14default_configENS1_27scan_by_key_config_selectorIiiEEZZNS1_16scan_by_key_implILNS1_25lookback_scan_determinismE0ELb1ES3_N6thrust23THRUST_200600_302600_NS6detail15normal_iteratorINS9_10device_ptrIiEEEESE_SE_iNS9_4plusIvEENS9_8equal_toIvEEiEE10hipError_tPvRmT2_T3_T4_T5_mT6_T7_P12ihipStream_tbENKUlT_T0_E_clISt17integral_constantIbLb0EESZ_EEDaSU_SV_EUlSU_E_NS1_11comp_targetILNS1_3genE5ELNS1_11target_archE942ELNS1_3gpuE9ELNS1_3repE0EEENS1_30default_config_static_selectorELNS0_4arch9wavefront6targetE0EEEvT1_,"axG",@progbits,_ZN7rocprim17ROCPRIM_400000_NS6detail17trampoline_kernelINS0_14default_configENS1_27scan_by_key_config_selectorIiiEEZZNS1_16scan_by_key_implILNS1_25lookback_scan_determinismE0ELb1ES3_N6thrust23THRUST_200600_302600_NS6detail15normal_iteratorINS9_10device_ptrIiEEEESE_SE_iNS9_4plusIvEENS9_8equal_toIvEEiEE10hipError_tPvRmT2_T3_T4_T5_mT6_T7_P12ihipStream_tbENKUlT_T0_E_clISt17integral_constantIbLb0EESZ_EEDaSU_SV_EUlSU_E_NS1_11comp_targetILNS1_3genE5ELNS1_11target_archE942ELNS1_3gpuE9ELNS1_3repE0EEENS1_30default_config_static_selectorELNS0_4arch9wavefront6targetE0EEEvT1_,comdat
	.protected	_ZN7rocprim17ROCPRIM_400000_NS6detail17trampoline_kernelINS0_14default_configENS1_27scan_by_key_config_selectorIiiEEZZNS1_16scan_by_key_implILNS1_25lookback_scan_determinismE0ELb1ES3_N6thrust23THRUST_200600_302600_NS6detail15normal_iteratorINS9_10device_ptrIiEEEESE_SE_iNS9_4plusIvEENS9_8equal_toIvEEiEE10hipError_tPvRmT2_T3_T4_T5_mT6_T7_P12ihipStream_tbENKUlT_T0_E_clISt17integral_constantIbLb0EESZ_EEDaSU_SV_EUlSU_E_NS1_11comp_targetILNS1_3genE5ELNS1_11target_archE942ELNS1_3gpuE9ELNS1_3repE0EEENS1_30default_config_static_selectorELNS0_4arch9wavefront6targetE0EEEvT1_ ; -- Begin function _ZN7rocprim17ROCPRIM_400000_NS6detail17trampoline_kernelINS0_14default_configENS1_27scan_by_key_config_selectorIiiEEZZNS1_16scan_by_key_implILNS1_25lookback_scan_determinismE0ELb1ES3_N6thrust23THRUST_200600_302600_NS6detail15normal_iteratorINS9_10device_ptrIiEEEESE_SE_iNS9_4plusIvEENS9_8equal_toIvEEiEE10hipError_tPvRmT2_T3_T4_T5_mT6_T7_P12ihipStream_tbENKUlT_T0_E_clISt17integral_constantIbLb0EESZ_EEDaSU_SV_EUlSU_E_NS1_11comp_targetILNS1_3genE5ELNS1_11target_archE942ELNS1_3gpuE9ELNS1_3repE0EEENS1_30default_config_static_selectorELNS0_4arch9wavefront6targetE0EEEvT1_
	.globl	_ZN7rocprim17ROCPRIM_400000_NS6detail17trampoline_kernelINS0_14default_configENS1_27scan_by_key_config_selectorIiiEEZZNS1_16scan_by_key_implILNS1_25lookback_scan_determinismE0ELb1ES3_N6thrust23THRUST_200600_302600_NS6detail15normal_iteratorINS9_10device_ptrIiEEEESE_SE_iNS9_4plusIvEENS9_8equal_toIvEEiEE10hipError_tPvRmT2_T3_T4_T5_mT6_T7_P12ihipStream_tbENKUlT_T0_E_clISt17integral_constantIbLb0EESZ_EEDaSU_SV_EUlSU_E_NS1_11comp_targetILNS1_3genE5ELNS1_11target_archE942ELNS1_3gpuE9ELNS1_3repE0EEENS1_30default_config_static_selectorELNS0_4arch9wavefront6targetE0EEEvT1_
	.p2align	8
	.type	_ZN7rocprim17ROCPRIM_400000_NS6detail17trampoline_kernelINS0_14default_configENS1_27scan_by_key_config_selectorIiiEEZZNS1_16scan_by_key_implILNS1_25lookback_scan_determinismE0ELb1ES3_N6thrust23THRUST_200600_302600_NS6detail15normal_iteratorINS9_10device_ptrIiEEEESE_SE_iNS9_4plusIvEENS9_8equal_toIvEEiEE10hipError_tPvRmT2_T3_T4_T5_mT6_T7_P12ihipStream_tbENKUlT_T0_E_clISt17integral_constantIbLb0EESZ_EEDaSU_SV_EUlSU_E_NS1_11comp_targetILNS1_3genE5ELNS1_11target_archE942ELNS1_3gpuE9ELNS1_3repE0EEENS1_30default_config_static_selectorELNS0_4arch9wavefront6targetE0EEEvT1_,@function
_ZN7rocprim17ROCPRIM_400000_NS6detail17trampoline_kernelINS0_14default_configENS1_27scan_by_key_config_selectorIiiEEZZNS1_16scan_by_key_implILNS1_25lookback_scan_determinismE0ELb1ES3_N6thrust23THRUST_200600_302600_NS6detail15normal_iteratorINS9_10device_ptrIiEEEESE_SE_iNS9_4plusIvEENS9_8equal_toIvEEiEE10hipError_tPvRmT2_T3_T4_T5_mT6_T7_P12ihipStream_tbENKUlT_T0_E_clISt17integral_constantIbLb0EESZ_EEDaSU_SV_EUlSU_E_NS1_11comp_targetILNS1_3genE5ELNS1_11target_archE942ELNS1_3gpuE9ELNS1_3repE0EEENS1_30default_config_static_selectorELNS0_4arch9wavefront6targetE0EEEvT1_: ; @_ZN7rocprim17ROCPRIM_400000_NS6detail17trampoline_kernelINS0_14default_configENS1_27scan_by_key_config_selectorIiiEEZZNS1_16scan_by_key_implILNS1_25lookback_scan_determinismE0ELb1ES3_N6thrust23THRUST_200600_302600_NS6detail15normal_iteratorINS9_10device_ptrIiEEEESE_SE_iNS9_4plusIvEENS9_8equal_toIvEEiEE10hipError_tPvRmT2_T3_T4_T5_mT6_T7_P12ihipStream_tbENKUlT_T0_E_clISt17integral_constantIbLb0EESZ_EEDaSU_SV_EUlSU_E_NS1_11comp_targetILNS1_3genE5ELNS1_11target_archE942ELNS1_3gpuE9ELNS1_3repE0EEENS1_30default_config_static_selectorELNS0_4arch9wavefront6targetE0EEEvT1_
; %bb.0:
	.section	.rodata,"a",@progbits
	.p2align	6, 0x0
	.amdhsa_kernel _ZN7rocprim17ROCPRIM_400000_NS6detail17trampoline_kernelINS0_14default_configENS1_27scan_by_key_config_selectorIiiEEZZNS1_16scan_by_key_implILNS1_25lookback_scan_determinismE0ELb1ES3_N6thrust23THRUST_200600_302600_NS6detail15normal_iteratorINS9_10device_ptrIiEEEESE_SE_iNS9_4plusIvEENS9_8equal_toIvEEiEE10hipError_tPvRmT2_T3_T4_T5_mT6_T7_P12ihipStream_tbENKUlT_T0_E_clISt17integral_constantIbLb0EESZ_EEDaSU_SV_EUlSU_E_NS1_11comp_targetILNS1_3genE5ELNS1_11target_archE942ELNS1_3gpuE9ELNS1_3repE0EEENS1_30default_config_static_selectorELNS0_4arch9wavefront6targetE0EEEvT1_
		.amdhsa_group_segment_fixed_size 0
		.amdhsa_private_segment_fixed_size 0
		.amdhsa_kernarg_size 112
		.amdhsa_user_sgpr_count 6
		.amdhsa_user_sgpr_private_segment_buffer 1
		.amdhsa_user_sgpr_dispatch_ptr 0
		.amdhsa_user_sgpr_queue_ptr 0
		.amdhsa_user_sgpr_kernarg_segment_ptr 1
		.amdhsa_user_sgpr_dispatch_id 0
		.amdhsa_user_sgpr_flat_scratch_init 0
		.amdhsa_user_sgpr_private_segment_size 0
		.amdhsa_wavefront_size32 1
		.amdhsa_uses_dynamic_stack 0
		.amdhsa_system_sgpr_private_segment_wavefront_offset 0
		.amdhsa_system_sgpr_workgroup_id_x 1
		.amdhsa_system_sgpr_workgroup_id_y 0
		.amdhsa_system_sgpr_workgroup_id_z 0
		.amdhsa_system_sgpr_workgroup_info 0
		.amdhsa_system_vgpr_workitem_id 0
		.amdhsa_next_free_vgpr 1
		.amdhsa_next_free_sgpr 1
		.amdhsa_reserve_vcc 0
		.amdhsa_reserve_flat_scratch 0
		.amdhsa_float_round_mode_32 0
		.amdhsa_float_round_mode_16_64 0
		.amdhsa_float_denorm_mode_32 3
		.amdhsa_float_denorm_mode_16_64 3
		.amdhsa_dx10_clamp 1
		.amdhsa_ieee_mode 1
		.amdhsa_fp16_overflow 0
		.amdhsa_workgroup_processor_mode 1
		.amdhsa_memory_ordered 1
		.amdhsa_forward_progress 1
		.amdhsa_shared_vgpr_count 0
		.amdhsa_exception_fp_ieee_invalid_op 0
		.amdhsa_exception_fp_denorm_src 0
		.amdhsa_exception_fp_ieee_div_zero 0
		.amdhsa_exception_fp_ieee_overflow 0
		.amdhsa_exception_fp_ieee_underflow 0
		.amdhsa_exception_fp_ieee_inexact 0
		.amdhsa_exception_int_div_zero 0
	.end_amdhsa_kernel
	.section	.text._ZN7rocprim17ROCPRIM_400000_NS6detail17trampoline_kernelINS0_14default_configENS1_27scan_by_key_config_selectorIiiEEZZNS1_16scan_by_key_implILNS1_25lookback_scan_determinismE0ELb1ES3_N6thrust23THRUST_200600_302600_NS6detail15normal_iteratorINS9_10device_ptrIiEEEESE_SE_iNS9_4plusIvEENS9_8equal_toIvEEiEE10hipError_tPvRmT2_T3_T4_T5_mT6_T7_P12ihipStream_tbENKUlT_T0_E_clISt17integral_constantIbLb0EESZ_EEDaSU_SV_EUlSU_E_NS1_11comp_targetILNS1_3genE5ELNS1_11target_archE942ELNS1_3gpuE9ELNS1_3repE0EEENS1_30default_config_static_selectorELNS0_4arch9wavefront6targetE0EEEvT1_,"axG",@progbits,_ZN7rocprim17ROCPRIM_400000_NS6detail17trampoline_kernelINS0_14default_configENS1_27scan_by_key_config_selectorIiiEEZZNS1_16scan_by_key_implILNS1_25lookback_scan_determinismE0ELb1ES3_N6thrust23THRUST_200600_302600_NS6detail15normal_iteratorINS9_10device_ptrIiEEEESE_SE_iNS9_4plusIvEENS9_8equal_toIvEEiEE10hipError_tPvRmT2_T3_T4_T5_mT6_T7_P12ihipStream_tbENKUlT_T0_E_clISt17integral_constantIbLb0EESZ_EEDaSU_SV_EUlSU_E_NS1_11comp_targetILNS1_3genE5ELNS1_11target_archE942ELNS1_3gpuE9ELNS1_3repE0EEENS1_30default_config_static_selectorELNS0_4arch9wavefront6targetE0EEEvT1_,comdat
.Lfunc_end463:
	.size	_ZN7rocprim17ROCPRIM_400000_NS6detail17trampoline_kernelINS0_14default_configENS1_27scan_by_key_config_selectorIiiEEZZNS1_16scan_by_key_implILNS1_25lookback_scan_determinismE0ELb1ES3_N6thrust23THRUST_200600_302600_NS6detail15normal_iteratorINS9_10device_ptrIiEEEESE_SE_iNS9_4plusIvEENS9_8equal_toIvEEiEE10hipError_tPvRmT2_T3_T4_T5_mT6_T7_P12ihipStream_tbENKUlT_T0_E_clISt17integral_constantIbLb0EESZ_EEDaSU_SV_EUlSU_E_NS1_11comp_targetILNS1_3genE5ELNS1_11target_archE942ELNS1_3gpuE9ELNS1_3repE0EEENS1_30default_config_static_selectorELNS0_4arch9wavefront6targetE0EEEvT1_, .Lfunc_end463-_ZN7rocprim17ROCPRIM_400000_NS6detail17trampoline_kernelINS0_14default_configENS1_27scan_by_key_config_selectorIiiEEZZNS1_16scan_by_key_implILNS1_25lookback_scan_determinismE0ELb1ES3_N6thrust23THRUST_200600_302600_NS6detail15normal_iteratorINS9_10device_ptrIiEEEESE_SE_iNS9_4plusIvEENS9_8equal_toIvEEiEE10hipError_tPvRmT2_T3_T4_T5_mT6_T7_P12ihipStream_tbENKUlT_T0_E_clISt17integral_constantIbLb0EESZ_EEDaSU_SV_EUlSU_E_NS1_11comp_targetILNS1_3genE5ELNS1_11target_archE942ELNS1_3gpuE9ELNS1_3repE0EEENS1_30default_config_static_selectorELNS0_4arch9wavefront6targetE0EEEvT1_
                                        ; -- End function
	.set _ZN7rocprim17ROCPRIM_400000_NS6detail17trampoline_kernelINS0_14default_configENS1_27scan_by_key_config_selectorIiiEEZZNS1_16scan_by_key_implILNS1_25lookback_scan_determinismE0ELb1ES3_N6thrust23THRUST_200600_302600_NS6detail15normal_iteratorINS9_10device_ptrIiEEEESE_SE_iNS9_4plusIvEENS9_8equal_toIvEEiEE10hipError_tPvRmT2_T3_T4_T5_mT6_T7_P12ihipStream_tbENKUlT_T0_E_clISt17integral_constantIbLb0EESZ_EEDaSU_SV_EUlSU_E_NS1_11comp_targetILNS1_3genE5ELNS1_11target_archE942ELNS1_3gpuE9ELNS1_3repE0EEENS1_30default_config_static_selectorELNS0_4arch9wavefront6targetE0EEEvT1_.num_vgpr, 0
	.set _ZN7rocprim17ROCPRIM_400000_NS6detail17trampoline_kernelINS0_14default_configENS1_27scan_by_key_config_selectorIiiEEZZNS1_16scan_by_key_implILNS1_25lookback_scan_determinismE0ELb1ES3_N6thrust23THRUST_200600_302600_NS6detail15normal_iteratorINS9_10device_ptrIiEEEESE_SE_iNS9_4plusIvEENS9_8equal_toIvEEiEE10hipError_tPvRmT2_T3_T4_T5_mT6_T7_P12ihipStream_tbENKUlT_T0_E_clISt17integral_constantIbLb0EESZ_EEDaSU_SV_EUlSU_E_NS1_11comp_targetILNS1_3genE5ELNS1_11target_archE942ELNS1_3gpuE9ELNS1_3repE0EEENS1_30default_config_static_selectorELNS0_4arch9wavefront6targetE0EEEvT1_.num_agpr, 0
	.set _ZN7rocprim17ROCPRIM_400000_NS6detail17trampoline_kernelINS0_14default_configENS1_27scan_by_key_config_selectorIiiEEZZNS1_16scan_by_key_implILNS1_25lookback_scan_determinismE0ELb1ES3_N6thrust23THRUST_200600_302600_NS6detail15normal_iteratorINS9_10device_ptrIiEEEESE_SE_iNS9_4plusIvEENS9_8equal_toIvEEiEE10hipError_tPvRmT2_T3_T4_T5_mT6_T7_P12ihipStream_tbENKUlT_T0_E_clISt17integral_constantIbLb0EESZ_EEDaSU_SV_EUlSU_E_NS1_11comp_targetILNS1_3genE5ELNS1_11target_archE942ELNS1_3gpuE9ELNS1_3repE0EEENS1_30default_config_static_selectorELNS0_4arch9wavefront6targetE0EEEvT1_.numbered_sgpr, 0
	.set _ZN7rocprim17ROCPRIM_400000_NS6detail17trampoline_kernelINS0_14default_configENS1_27scan_by_key_config_selectorIiiEEZZNS1_16scan_by_key_implILNS1_25lookback_scan_determinismE0ELb1ES3_N6thrust23THRUST_200600_302600_NS6detail15normal_iteratorINS9_10device_ptrIiEEEESE_SE_iNS9_4plusIvEENS9_8equal_toIvEEiEE10hipError_tPvRmT2_T3_T4_T5_mT6_T7_P12ihipStream_tbENKUlT_T0_E_clISt17integral_constantIbLb0EESZ_EEDaSU_SV_EUlSU_E_NS1_11comp_targetILNS1_3genE5ELNS1_11target_archE942ELNS1_3gpuE9ELNS1_3repE0EEENS1_30default_config_static_selectorELNS0_4arch9wavefront6targetE0EEEvT1_.num_named_barrier, 0
	.set _ZN7rocprim17ROCPRIM_400000_NS6detail17trampoline_kernelINS0_14default_configENS1_27scan_by_key_config_selectorIiiEEZZNS1_16scan_by_key_implILNS1_25lookback_scan_determinismE0ELb1ES3_N6thrust23THRUST_200600_302600_NS6detail15normal_iteratorINS9_10device_ptrIiEEEESE_SE_iNS9_4plusIvEENS9_8equal_toIvEEiEE10hipError_tPvRmT2_T3_T4_T5_mT6_T7_P12ihipStream_tbENKUlT_T0_E_clISt17integral_constantIbLb0EESZ_EEDaSU_SV_EUlSU_E_NS1_11comp_targetILNS1_3genE5ELNS1_11target_archE942ELNS1_3gpuE9ELNS1_3repE0EEENS1_30default_config_static_selectorELNS0_4arch9wavefront6targetE0EEEvT1_.private_seg_size, 0
	.set _ZN7rocprim17ROCPRIM_400000_NS6detail17trampoline_kernelINS0_14default_configENS1_27scan_by_key_config_selectorIiiEEZZNS1_16scan_by_key_implILNS1_25lookback_scan_determinismE0ELb1ES3_N6thrust23THRUST_200600_302600_NS6detail15normal_iteratorINS9_10device_ptrIiEEEESE_SE_iNS9_4plusIvEENS9_8equal_toIvEEiEE10hipError_tPvRmT2_T3_T4_T5_mT6_T7_P12ihipStream_tbENKUlT_T0_E_clISt17integral_constantIbLb0EESZ_EEDaSU_SV_EUlSU_E_NS1_11comp_targetILNS1_3genE5ELNS1_11target_archE942ELNS1_3gpuE9ELNS1_3repE0EEENS1_30default_config_static_selectorELNS0_4arch9wavefront6targetE0EEEvT1_.uses_vcc, 0
	.set _ZN7rocprim17ROCPRIM_400000_NS6detail17trampoline_kernelINS0_14default_configENS1_27scan_by_key_config_selectorIiiEEZZNS1_16scan_by_key_implILNS1_25lookback_scan_determinismE0ELb1ES3_N6thrust23THRUST_200600_302600_NS6detail15normal_iteratorINS9_10device_ptrIiEEEESE_SE_iNS9_4plusIvEENS9_8equal_toIvEEiEE10hipError_tPvRmT2_T3_T4_T5_mT6_T7_P12ihipStream_tbENKUlT_T0_E_clISt17integral_constantIbLb0EESZ_EEDaSU_SV_EUlSU_E_NS1_11comp_targetILNS1_3genE5ELNS1_11target_archE942ELNS1_3gpuE9ELNS1_3repE0EEENS1_30default_config_static_selectorELNS0_4arch9wavefront6targetE0EEEvT1_.uses_flat_scratch, 0
	.set _ZN7rocprim17ROCPRIM_400000_NS6detail17trampoline_kernelINS0_14default_configENS1_27scan_by_key_config_selectorIiiEEZZNS1_16scan_by_key_implILNS1_25lookback_scan_determinismE0ELb1ES3_N6thrust23THRUST_200600_302600_NS6detail15normal_iteratorINS9_10device_ptrIiEEEESE_SE_iNS9_4plusIvEENS9_8equal_toIvEEiEE10hipError_tPvRmT2_T3_T4_T5_mT6_T7_P12ihipStream_tbENKUlT_T0_E_clISt17integral_constantIbLb0EESZ_EEDaSU_SV_EUlSU_E_NS1_11comp_targetILNS1_3genE5ELNS1_11target_archE942ELNS1_3gpuE9ELNS1_3repE0EEENS1_30default_config_static_selectorELNS0_4arch9wavefront6targetE0EEEvT1_.has_dyn_sized_stack, 0
	.set _ZN7rocprim17ROCPRIM_400000_NS6detail17trampoline_kernelINS0_14default_configENS1_27scan_by_key_config_selectorIiiEEZZNS1_16scan_by_key_implILNS1_25lookback_scan_determinismE0ELb1ES3_N6thrust23THRUST_200600_302600_NS6detail15normal_iteratorINS9_10device_ptrIiEEEESE_SE_iNS9_4plusIvEENS9_8equal_toIvEEiEE10hipError_tPvRmT2_T3_T4_T5_mT6_T7_P12ihipStream_tbENKUlT_T0_E_clISt17integral_constantIbLb0EESZ_EEDaSU_SV_EUlSU_E_NS1_11comp_targetILNS1_3genE5ELNS1_11target_archE942ELNS1_3gpuE9ELNS1_3repE0EEENS1_30default_config_static_selectorELNS0_4arch9wavefront6targetE0EEEvT1_.has_recursion, 0
	.set _ZN7rocprim17ROCPRIM_400000_NS6detail17trampoline_kernelINS0_14default_configENS1_27scan_by_key_config_selectorIiiEEZZNS1_16scan_by_key_implILNS1_25lookback_scan_determinismE0ELb1ES3_N6thrust23THRUST_200600_302600_NS6detail15normal_iteratorINS9_10device_ptrIiEEEESE_SE_iNS9_4plusIvEENS9_8equal_toIvEEiEE10hipError_tPvRmT2_T3_T4_T5_mT6_T7_P12ihipStream_tbENKUlT_T0_E_clISt17integral_constantIbLb0EESZ_EEDaSU_SV_EUlSU_E_NS1_11comp_targetILNS1_3genE5ELNS1_11target_archE942ELNS1_3gpuE9ELNS1_3repE0EEENS1_30default_config_static_selectorELNS0_4arch9wavefront6targetE0EEEvT1_.has_indirect_call, 0
	.section	.AMDGPU.csdata,"",@progbits
; Kernel info:
; codeLenInByte = 0
; TotalNumSgprs: 0
; NumVgprs: 0
; ScratchSize: 0
; MemoryBound: 0
; FloatMode: 240
; IeeeMode: 1
; LDSByteSize: 0 bytes/workgroup (compile time only)
; SGPRBlocks: 0
; VGPRBlocks: 0
; NumSGPRsForWavesPerEU: 1
; NumVGPRsForWavesPerEU: 1
; Occupancy: 16
; WaveLimiterHint : 0
; COMPUTE_PGM_RSRC2:SCRATCH_EN: 0
; COMPUTE_PGM_RSRC2:USER_SGPR: 6
; COMPUTE_PGM_RSRC2:TRAP_HANDLER: 0
; COMPUTE_PGM_RSRC2:TGID_X_EN: 1
; COMPUTE_PGM_RSRC2:TGID_Y_EN: 0
; COMPUTE_PGM_RSRC2:TGID_Z_EN: 0
; COMPUTE_PGM_RSRC2:TIDIG_COMP_CNT: 0
	.section	.text._ZN7rocprim17ROCPRIM_400000_NS6detail17trampoline_kernelINS0_14default_configENS1_27scan_by_key_config_selectorIiiEEZZNS1_16scan_by_key_implILNS1_25lookback_scan_determinismE0ELb1ES3_N6thrust23THRUST_200600_302600_NS6detail15normal_iteratorINS9_10device_ptrIiEEEESE_SE_iNS9_4plusIvEENS9_8equal_toIvEEiEE10hipError_tPvRmT2_T3_T4_T5_mT6_T7_P12ihipStream_tbENKUlT_T0_E_clISt17integral_constantIbLb0EESZ_EEDaSU_SV_EUlSU_E_NS1_11comp_targetILNS1_3genE4ELNS1_11target_archE910ELNS1_3gpuE8ELNS1_3repE0EEENS1_30default_config_static_selectorELNS0_4arch9wavefront6targetE0EEEvT1_,"axG",@progbits,_ZN7rocprim17ROCPRIM_400000_NS6detail17trampoline_kernelINS0_14default_configENS1_27scan_by_key_config_selectorIiiEEZZNS1_16scan_by_key_implILNS1_25lookback_scan_determinismE0ELb1ES3_N6thrust23THRUST_200600_302600_NS6detail15normal_iteratorINS9_10device_ptrIiEEEESE_SE_iNS9_4plusIvEENS9_8equal_toIvEEiEE10hipError_tPvRmT2_T3_T4_T5_mT6_T7_P12ihipStream_tbENKUlT_T0_E_clISt17integral_constantIbLb0EESZ_EEDaSU_SV_EUlSU_E_NS1_11comp_targetILNS1_3genE4ELNS1_11target_archE910ELNS1_3gpuE8ELNS1_3repE0EEENS1_30default_config_static_selectorELNS0_4arch9wavefront6targetE0EEEvT1_,comdat
	.protected	_ZN7rocprim17ROCPRIM_400000_NS6detail17trampoline_kernelINS0_14default_configENS1_27scan_by_key_config_selectorIiiEEZZNS1_16scan_by_key_implILNS1_25lookback_scan_determinismE0ELb1ES3_N6thrust23THRUST_200600_302600_NS6detail15normal_iteratorINS9_10device_ptrIiEEEESE_SE_iNS9_4plusIvEENS9_8equal_toIvEEiEE10hipError_tPvRmT2_T3_T4_T5_mT6_T7_P12ihipStream_tbENKUlT_T0_E_clISt17integral_constantIbLb0EESZ_EEDaSU_SV_EUlSU_E_NS1_11comp_targetILNS1_3genE4ELNS1_11target_archE910ELNS1_3gpuE8ELNS1_3repE0EEENS1_30default_config_static_selectorELNS0_4arch9wavefront6targetE0EEEvT1_ ; -- Begin function _ZN7rocprim17ROCPRIM_400000_NS6detail17trampoline_kernelINS0_14default_configENS1_27scan_by_key_config_selectorIiiEEZZNS1_16scan_by_key_implILNS1_25lookback_scan_determinismE0ELb1ES3_N6thrust23THRUST_200600_302600_NS6detail15normal_iteratorINS9_10device_ptrIiEEEESE_SE_iNS9_4plusIvEENS9_8equal_toIvEEiEE10hipError_tPvRmT2_T3_T4_T5_mT6_T7_P12ihipStream_tbENKUlT_T0_E_clISt17integral_constantIbLb0EESZ_EEDaSU_SV_EUlSU_E_NS1_11comp_targetILNS1_3genE4ELNS1_11target_archE910ELNS1_3gpuE8ELNS1_3repE0EEENS1_30default_config_static_selectorELNS0_4arch9wavefront6targetE0EEEvT1_
	.globl	_ZN7rocprim17ROCPRIM_400000_NS6detail17trampoline_kernelINS0_14default_configENS1_27scan_by_key_config_selectorIiiEEZZNS1_16scan_by_key_implILNS1_25lookback_scan_determinismE0ELb1ES3_N6thrust23THRUST_200600_302600_NS6detail15normal_iteratorINS9_10device_ptrIiEEEESE_SE_iNS9_4plusIvEENS9_8equal_toIvEEiEE10hipError_tPvRmT2_T3_T4_T5_mT6_T7_P12ihipStream_tbENKUlT_T0_E_clISt17integral_constantIbLb0EESZ_EEDaSU_SV_EUlSU_E_NS1_11comp_targetILNS1_3genE4ELNS1_11target_archE910ELNS1_3gpuE8ELNS1_3repE0EEENS1_30default_config_static_selectorELNS0_4arch9wavefront6targetE0EEEvT1_
	.p2align	8
	.type	_ZN7rocprim17ROCPRIM_400000_NS6detail17trampoline_kernelINS0_14default_configENS1_27scan_by_key_config_selectorIiiEEZZNS1_16scan_by_key_implILNS1_25lookback_scan_determinismE0ELb1ES3_N6thrust23THRUST_200600_302600_NS6detail15normal_iteratorINS9_10device_ptrIiEEEESE_SE_iNS9_4plusIvEENS9_8equal_toIvEEiEE10hipError_tPvRmT2_T3_T4_T5_mT6_T7_P12ihipStream_tbENKUlT_T0_E_clISt17integral_constantIbLb0EESZ_EEDaSU_SV_EUlSU_E_NS1_11comp_targetILNS1_3genE4ELNS1_11target_archE910ELNS1_3gpuE8ELNS1_3repE0EEENS1_30default_config_static_selectorELNS0_4arch9wavefront6targetE0EEEvT1_,@function
_ZN7rocprim17ROCPRIM_400000_NS6detail17trampoline_kernelINS0_14default_configENS1_27scan_by_key_config_selectorIiiEEZZNS1_16scan_by_key_implILNS1_25lookback_scan_determinismE0ELb1ES3_N6thrust23THRUST_200600_302600_NS6detail15normal_iteratorINS9_10device_ptrIiEEEESE_SE_iNS9_4plusIvEENS9_8equal_toIvEEiEE10hipError_tPvRmT2_T3_T4_T5_mT6_T7_P12ihipStream_tbENKUlT_T0_E_clISt17integral_constantIbLb0EESZ_EEDaSU_SV_EUlSU_E_NS1_11comp_targetILNS1_3genE4ELNS1_11target_archE910ELNS1_3gpuE8ELNS1_3repE0EEENS1_30default_config_static_selectorELNS0_4arch9wavefront6targetE0EEEvT1_: ; @_ZN7rocprim17ROCPRIM_400000_NS6detail17trampoline_kernelINS0_14default_configENS1_27scan_by_key_config_selectorIiiEEZZNS1_16scan_by_key_implILNS1_25lookback_scan_determinismE0ELb1ES3_N6thrust23THRUST_200600_302600_NS6detail15normal_iteratorINS9_10device_ptrIiEEEESE_SE_iNS9_4plusIvEENS9_8equal_toIvEEiEE10hipError_tPvRmT2_T3_T4_T5_mT6_T7_P12ihipStream_tbENKUlT_T0_E_clISt17integral_constantIbLb0EESZ_EEDaSU_SV_EUlSU_E_NS1_11comp_targetILNS1_3genE4ELNS1_11target_archE910ELNS1_3gpuE8ELNS1_3repE0EEENS1_30default_config_static_selectorELNS0_4arch9wavefront6targetE0EEEvT1_
; %bb.0:
	.section	.rodata,"a",@progbits
	.p2align	6, 0x0
	.amdhsa_kernel _ZN7rocprim17ROCPRIM_400000_NS6detail17trampoline_kernelINS0_14default_configENS1_27scan_by_key_config_selectorIiiEEZZNS1_16scan_by_key_implILNS1_25lookback_scan_determinismE0ELb1ES3_N6thrust23THRUST_200600_302600_NS6detail15normal_iteratorINS9_10device_ptrIiEEEESE_SE_iNS9_4plusIvEENS9_8equal_toIvEEiEE10hipError_tPvRmT2_T3_T4_T5_mT6_T7_P12ihipStream_tbENKUlT_T0_E_clISt17integral_constantIbLb0EESZ_EEDaSU_SV_EUlSU_E_NS1_11comp_targetILNS1_3genE4ELNS1_11target_archE910ELNS1_3gpuE8ELNS1_3repE0EEENS1_30default_config_static_selectorELNS0_4arch9wavefront6targetE0EEEvT1_
		.amdhsa_group_segment_fixed_size 0
		.amdhsa_private_segment_fixed_size 0
		.amdhsa_kernarg_size 112
		.amdhsa_user_sgpr_count 6
		.amdhsa_user_sgpr_private_segment_buffer 1
		.amdhsa_user_sgpr_dispatch_ptr 0
		.amdhsa_user_sgpr_queue_ptr 0
		.amdhsa_user_sgpr_kernarg_segment_ptr 1
		.amdhsa_user_sgpr_dispatch_id 0
		.amdhsa_user_sgpr_flat_scratch_init 0
		.amdhsa_user_sgpr_private_segment_size 0
		.amdhsa_wavefront_size32 1
		.amdhsa_uses_dynamic_stack 0
		.amdhsa_system_sgpr_private_segment_wavefront_offset 0
		.amdhsa_system_sgpr_workgroup_id_x 1
		.amdhsa_system_sgpr_workgroup_id_y 0
		.amdhsa_system_sgpr_workgroup_id_z 0
		.amdhsa_system_sgpr_workgroup_info 0
		.amdhsa_system_vgpr_workitem_id 0
		.amdhsa_next_free_vgpr 1
		.amdhsa_next_free_sgpr 1
		.amdhsa_reserve_vcc 0
		.amdhsa_reserve_flat_scratch 0
		.amdhsa_float_round_mode_32 0
		.amdhsa_float_round_mode_16_64 0
		.amdhsa_float_denorm_mode_32 3
		.amdhsa_float_denorm_mode_16_64 3
		.amdhsa_dx10_clamp 1
		.amdhsa_ieee_mode 1
		.amdhsa_fp16_overflow 0
		.amdhsa_workgroup_processor_mode 1
		.amdhsa_memory_ordered 1
		.amdhsa_forward_progress 1
		.amdhsa_shared_vgpr_count 0
		.amdhsa_exception_fp_ieee_invalid_op 0
		.amdhsa_exception_fp_denorm_src 0
		.amdhsa_exception_fp_ieee_div_zero 0
		.amdhsa_exception_fp_ieee_overflow 0
		.amdhsa_exception_fp_ieee_underflow 0
		.amdhsa_exception_fp_ieee_inexact 0
		.amdhsa_exception_int_div_zero 0
	.end_amdhsa_kernel
	.section	.text._ZN7rocprim17ROCPRIM_400000_NS6detail17trampoline_kernelINS0_14default_configENS1_27scan_by_key_config_selectorIiiEEZZNS1_16scan_by_key_implILNS1_25lookback_scan_determinismE0ELb1ES3_N6thrust23THRUST_200600_302600_NS6detail15normal_iteratorINS9_10device_ptrIiEEEESE_SE_iNS9_4plusIvEENS9_8equal_toIvEEiEE10hipError_tPvRmT2_T3_T4_T5_mT6_T7_P12ihipStream_tbENKUlT_T0_E_clISt17integral_constantIbLb0EESZ_EEDaSU_SV_EUlSU_E_NS1_11comp_targetILNS1_3genE4ELNS1_11target_archE910ELNS1_3gpuE8ELNS1_3repE0EEENS1_30default_config_static_selectorELNS0_4arch9wavefront6targetE0EEEvT1_,"axG",@progbits,_ZN7rocprim17ROCPRIM_400000_NS6detail17trampoline_kernelINS0_14default_configENS1_27scan_by_key_config_selectorIiiEEZZNS1_16scan_by_key_implILNS1_25lookback_scan_determinismE0ELb1ES3_N6thrust23THRUST_200600_302600_NS6detail15normal_iteratorINS9_10device_ptrIiEEEESE_SE_iNS9_4plusIvEENS9_8equal_toIvEEiEE10hipError_tPvRmT2_T3_T4_T5_mT6_T7_P12ihipStream_tbENKUlT_T0_E_clISt17integral_constantIbLb0EESZ_EEDaSU_SV_EUlSU_E_NS1_11comp_targetILNS1_3genE4ELNS1_11target_archE910ELNS1_3gpuE8ELNS1_3repE0EEENS1_30default_config_static_selectorELNS0_4arch9wavefront6targetE0EEEvT1_,comdat
.Lfunc_end464:
	.size	_ZN7rocprim17ROCPRIM_400000_NS6detail17trampoline_kernelINS0_14default_configENS1_27scan_by_key_config_selectorIiiEEZZNS1_16scan_by_key_implILNS1_25lookback_scan_determinismE0ELb1ES3_N6thrust23THRUST_200600_302600_NS6detail15normal_iteratorINS9_10device_ptrIiEEEESE_SE_iNS9_4plusIvEENS9_8equal_toIvEEiEE10hipError_tPvRmT2_T3_T4_T5_mT6_T7_P12ihipStream_tbENKUlT_T0_E_clISt17integral_constantIbLb0EESZ_EEDaSU_SV_EUlSU_E_NS1_11comp_targetILNS1_3genE4ELNS1_11target_archE910ELNS1_3gpuE8ELNS1_3repE0EEENS1_30default_config_static_selectorELNS0_4arch9wavefront6targetE0EEEvT1_, .Lfunc_end464-_ZN7rocprim17ROCPRIM_400000_NS6detail17trampoline_kernelINS0_14default_configENS1_27scan_by_key_config_selectorIiiEEZZNS1_16scan_by_key_implILNS1_25lookback_scan_determinismE0ELb1ES3_N6thrust23THRUST_200600_302600_NS6detail15normal_iteratorINS9_10device_ptrIiEEEESE_SE_iNS9_4plusIvEENS9_8equal_toIvEEiEE10hipError_tPvRmT2_T3_T4_T5_mT6_T7_P12ihipStream_tbENKUlT_T0_E_clISt17integral_constantIbLb0EESZ_EEDaSU_SV_EUlSU_E_NS1_11comp_targetILNS1_3genE4ELNS1_11target_archE910ELNS1_3gpuE8ELNS1_3repE0EEENS1_30default_config_static_selectorELNS0_4arch9wavefront6targetE0EEEvT1_
                                        ; -- End function
	.set _ZN7rocprim17ROCPRIM_400000_NS6detail17trampoline_kernelINS0_14default_configENS1_27scan_by_key_config_selectorIiiEEZZNS1_16scan_by_key_implILNS1_25lookback_scan_determinismE0ELb1ES3_N6thrust23THRUST_200600_302600_NS6detail15normal_iteratorINS9_10device_ptrIiEEEESE_SE_iNS9_4plusIvEENS9_8equal_toIvEEiEE10hipError_tPvRmT2_T3_T4_T5_mT6_T7_P12ihipStream_tbENKUlT_T0_E_clISt17integral_constantIbLb0EESZ_EEDaSU_SV_EUlSU_E_NS1_11comp_targetILNS1_3genE4ELNS1_11target_archE910ELNS1_3gpuE8ELNS1_3repE0EEENS1_30default_config_static_selectorELNS0_4arch9wavefront6targetE0EEEvT1_.num_vgpr, 0
	.set _ZN7rocprim17ROCPRIM_400000_NS6detail17trampoline_kernelINS0_14default_configENS1_27scan_by_key_config_selectorIiiEEZZNS1_16scan_by_key_implILNS1_25lookback_scan_determinismE0ELb1ES3_N6thrust23THRUST_200600_302600_NS6detail15normal_iteratorINS9_10device_ptrIiEEEESE_SE_iNS9_4plusIvEENS9_8equal_toIvEEiEE10hipError_tPvRmT2_T3_T4_T5_mT6_T7_P12ihipStream_tbENKUlT_T0_E_clISt17integral_constantIbLb0EESZ_EEDaSU_SV_EUlSU_E_NS1_11comp_targetILNS1_3genE4ELNS1_11target_archE910ELNS1_3gpuE8ELNS1_3repE0EEENS1_30default_config_static_selectorELNS0_4arch9wavefront6targetE0EEEvT1_.num_agpr, 0
	.set _ZN7rocprim17ROCPRIM_400000_NS6detail17trampoline_kernelINS0_14default_configENS1_27scan_by_key_config_selectorIiiEEZZNS1_16scan_by_key_implILNS1_25lookback_scan_determinismE0ELb1ES3_N6thrust23THRUST_200600_302600_NS6detail15normal_iteratorINS9_10device_ptrIiEEEESE_SE_iNS9_4plusIvEENS9_8equal_toIvEEiEE10hipError_tPvRmT2_T3_T4_T5_mT6_T7_P12ihipStream_tbENKUlT_T0_E_clISt17integral_constantIbLb0EESZ_EEDaSU_SV_EUlSU_E_NS1_11comp_targetILNS1_3genE4ELNS1_11target_archE910ELNS1_3gpuE8ELNS1_3repE0EEENS1_30default_config_static_selectorELNS0_4arch9wavefront6targetE0EEEvT1_.numbered_sgpr, 0
	.set _ZN7rocprim17ROCPRIM_400000_NS6detail17trampoline_kernelINS0_14default_configENS1_27scan_by_key_config_selectorIiiEEZZNS1_16scan_by_key_implILNS1_25lookback_scan_determinismE0ELb1ES3_N6thrust23THRUST_200600_302600_NS6detail15normal_iteratorINS9_10device_ptrIiEEEESE_SE_iNS9_4plusIvEENS9_8equal_toIvEEiEE10hipError_tPvRmT2_T3_T4_T5_mT6_T7_P12ihipStream_tbENKUlT_T0_E_clISt17integral_constantIbLb0EESZ_EEDaSU_SV_EUlSU_E_NS1_11comp_targetILNS1_3genE4ELNS1_11target_archE910ELNS1_3gpuE8ELNS1_3repE0EEENS1_30default_config_static_selectorELNS0_4arch9wavefront6targetE0EEEvT1_.num_named_barrier, 0
	.set _ZN7rocprim17ROCPRIM_400000_NS6detail17trampoline_kernelINS0_14default_configENS1_27scan_by_key_config_selectorIiiEEZZNS1_16scan_by_key_implILNS1_25lookback_scan_determinismE0ELb1ES3_N6thrust23THRUST_200600_302600_NS6detail15normal_iteratorINS9_10device_ptrIiEEEESE_SE_iNS9_4plusIvEENS9_8equal_toIvEEiEE10hipError_tPvRmT2_T3_T4_T5_mT6_T7_P12ihipStream_tbENKUlT_T0_E_clISt17integral_constantIbLb0EESZ_EEDaSU_SV_EUlSU_E_NS1_11comp_targetILNS1_3genE4ELNS1_11target_archE910ELNS1_3gpuE8ELNS1_3repE0EEENS1_30default_config_static_selectorELNS0_4arch9wavefront6targetE0EEEvT1_.private_seg_size, 0
	.set _ZN7rocprim17ROCPRIM_400000_NS6detail17trampoline_kernelINS0_14default_configENS1_27scan_by_key_config_selectorIiiEEZZNS1_16scan_by_key_implILNS1_25lookback_scan_determinismE0ELb1ES3_N6thrust23THRUST_200600_302600_NS6detail15normal_iteratorINS9_10device_ptrIiEEEESE_SE_iNS9_4plusIvEENS9_8equal_toIvEEiEE10hipError_tPvRmT2_T3_T4_T5_mT6_T7_P12ihipStream_tbENKUlT_T0_E_clISt17integral_constantIbLb0EESZ_EEDaSU_SV_EUlSU_E_NS1_11comp_targetILNS1_3genE4ELNS1_11target_archE910ELNS1_3gpuE8ELNS1_3repE0EEENS1_30default_config_static_selectorELNS0_4arch9wavefront6targetE0EEEvT1_.uses_vcc, 0
	.set _ZN7rocprim17ROCPRIM_400000_NS6detail17trampoline_kernelINS0_14default_configENS1_27scan_by_key_config_selectorIiiEEZZNS1_16scan_by_key_implILNS1_25lookback_scan_determinismE0ELb1ES3_N6thrust23THRUST_200600_302600_NS6detail15normal_iteratorINS9_10device_ptrIiEEEESE_SE_iNS9_4plusIvEENS9_8equal_toIvEEiEE10hipError_tPvRmT2_T3_T4_T5_mT6_T7_P12ihipStream_tbENKUlT_T0_E_clISt17integral_constantIbLb0EESZ_EEDaSU_SV_EUlSU_E_NS1_11comp_targetILNS1_3genE4ELNS1_11target_archE910ELNS1_3gpuE8ELNS1_3repE0EEENS1_30default_config_static_selectorELNS0_4arch9wavefront6targetE0EEEvT1_.uses_flat_scratch, 0
	.set _ZN7rocprim17ROCPRIM_400000_NS6detail17trampoline_kernelINS0_14default_configENS1_27scan_by_key_config_selectorIiiEEZZNS1_16scan_by_key_implILNS1_25lookback_scan_determinismE0ELb1ES3_N6thrust23THRUST_200600_302600_NS6detail15normal_iteratorINS9_10device_ptrIiEEEESE_SE_iNS9_4plusIvEENS9_8equal_toIvEEiEE10hipError_tPvRmT2_T3_T4_T5_mT6_T7_P12ihipStream_tbENKUlT_T0_E_clISt17integral_constantIbLb0EESZ_EEDaSU_SV_EUlSU_E_NS1_11comp_targetILNS1_3genE4ELNS1_11target_archE910ELNS1_3gpuE8ELNS1_3repE0EEENS1_30default_config_static_selectorELNS0_4arch9wavefront6targetE0EEEvT1_.has_dyn_sized_stack, 0
	.set _ZN7rocprim17ROCPRIM_400000_NS6detail17trampoline_kernelINS0_14default_configENS1_27scan_by_key_config_selectorIiiEEZZNS1_16scan_by_key_implILNS1_25lookback_scan_determinismE0ELb1ES3_N6thrust23THRUST_200600_302600_NS6detail15normal_iteratorINS9_10device_ptrIiEEEESE_SE_iNS9_4plusIvEENS9_8equal_toIvEEiEE10hipError_tPvRmT2_T3_T4_T5_mT6_T7_P12ihipStream_tbENKUlT_T0_E_clISt17integral_constantIbLb0EESZ_EEDaSU_SV_EUlSU_E_NS1_11comp_targetILNS1_3genE4ELNS1_11target_archE910ELNS1_3gpuE8ELNS1_3repE0EEENS1_30default_config_static_selectorELNS0_4arch9wavefront6targetE0EEEvT1_.has_recursion, 0
	.set _ZN7rocprim17ROCPRIM_400000_NS6detail17trampoline_kernelINS0_14default_configENS1_27scan_by_key_config_selectorIiiEEZZNS1_16scan_by_key_implILNS1_25lookback_scan_determinismE0ELb1ES3_N6thrust23THRUST_200600_302600_NS6detail15normal_iteratorINS9_10device_ptrIiEEEESE_SE_iNS9_4plusIvEENS9_8equal_toIvEEiEE10hipError_tPvRmT2_T3_T4_T5_mT6_T7_P12ihipStream_tbENKUlT_T0_E_clISt17integral_constantIbLb0EESZ_EEDaSU_SV_EUlSU_E_NS1_11comp_targetILNS1_3genE4ELNS1_11target_archE910ELNS1_3gpuE8ELNS1_3repE0EEENS1_30default_config_static_selectorELNS0_4arch9wavefront6targetE0EEEvT1_.has_indirect_call, 0
	.section	.AMDGPU.csdata,"",@progbits
; Kernel info:
; codeLenInByte = 0
; TotalNumSgprs: 0
; NumVgprs: 0
; ScratchSize: 0
; MemoryBound: 0
; FloatMode: 240
; IeeeMode: 1
; LDSByteSize: 0 bytes/workgroup (compile time only)
; SGPRBlocks: 0
; VGPRBlocks: 0
; NumSGPRsForWavesPerEU: 1
; NumVGPRsForWavesPerEU: 1
; Occupancy: 16
; WaveLimiterHint : 0
; COMPUTE_PGM_RSRC2:SCRATCH_EN: 0
; COMPUTE_PGM_RSRC2:USER_SGPR: 6
; COMPUTE_PGM_RSRC2:TRAP_HANDLER: 0
; COMPUTE_PGM_RSRC2:TGID_X_EN: 1
; COMPUTE_PGM_RSRC2:TGID_Y_EN: 0
; COMPUTE_PGM_RSRC2:TGID_Z_EN: 0
; COMPUTE_PGM_RSRC2:TIDIG_COMP_CNT: 0
	.section	.text._ZN7rocprim17ROCPRIM_400000_NS6detail17trampoline_kernelINS0_14default_configENS1_27scan_by_key_config_selectorIiiEEZZNS1_16scan_by_key_implILNS1_25lookback_scan_determinismE0ELb1ES3_N6thrust23THRUST_200600_302600_NS6detail15normal_iteratorINS9_10device_ptrIiEEEESE_SE_iNS9_4plusIvEENS9_8equal_toIvEEiEE10hipError_tPvRmT2_T3_T4_T5_mT6_T7_P12ihipStream_tbENKUlT_T0_E_clISt17integral_constantIbLb0EESZ_EEDaSU_SV_EUlSU_E_NS1_11comp_targetILNS1_3genE3ELNS1_11target_archE908ELNS1_3gpuE7ELNS1_3repE0EEENS1_30default_config_static_selectorELNS0_4arch9wavefront6targetE0EEEvT1_,"axG",@progbits,_ZN7rocprim17ROCPRIM_400000_NS6detail17trampoline_kernelINS0_14default_configENS1_27scan_by_key_config_selectorIiiEEZZNS1_16scan_by_key_implILNS1_25lookback_scan_determinismE0ELb1ES3_N6thrust23THRUST_200600_302600_NS6detail15normal_iteratorINS9_10device_ptrIiEEEESE_SE_iNS9_4plusIvEENS9_8equal_toIvEEiEE10hipError_tPvRmT2_T3_T4_T5_mT6_T7_P12ihipStream_tbENKUlT_T0_E_clISt17integral_constantIbLb0EESZ_EEDaSU_SV_EUlSU_E_NS1_11comp_targetILNS1_3genE3ELNS1_11target_archE908ELNS1_3gpuE7ELNS1_3repE0EEENS1_30default_config_static_selectorELNS0_4arch9wavefront6targetE0EEEvT1_,comdat
	.protected	_ZN7rocprim17ROCPRIM_400000_NS6detail17trampoline_kernelINS0_14default_configENS1_27scan_by_key_config_selectorIiiEEZZNS1_16scan_by_key_implILNS1_25lookback_scan_determinismE0ELb1ES3_N6thrust23THRUST_200600_302600_NS6detail15normal_iteratorINS9_10device_ptrIiEEEESE_SE_iNS9_4plusIvEENS9_8equal_toIvEEiEE10hipError_tPvRmT2_T3_T4_T5_mT6_T7_P12ihipStream_tbENKUlT_T0_E_clISt17integral_constantIbLb0EESZ_EEDaSU_SV_EUlSU_E_NS1_11comp_targetILNS1_3genE3ELNS1_11target_archE908ELNS1_3gpuE7ELNS1_3repE0EEENS1_30default_config_static_selectorELNS0_4arch9wavefront6targetE0EEEvT1_ ; -- Begin function _ZN7rocprim17ROCPRIM_400000_NS6detail17trampoline_kernelINS0_14default_configENS1_27scan_by_key_config_selectorIiiEEZZNS1_16scan_by_key_implILNS1_25lookback_scan_determinismE0ELb1ES3_N6thrust23THRUST_200600_302600_NS6detail15normal_iteratorINS9_10device_ptrIiEEEESE_SE_iNS9_4plusIvEENS9_8equal_toIvEEiEE10hipError_tPvRmT2_T3_T4_T5_mT6_T7_P12ihipStream_tbENKUlT_T0_E_clISt17integral_constantIbLb0EESZ_EEDaSU_SV_EUlSU_E_NS1_11comp_targetILNS1_3genE3ELNS1_11target_archE908ELNS1_3gpuE7ELNS1_3repE0EEENS1_30default_config_static_selectorELNS0_4arch9wavefront6targetE0EEEvT1_
	.globl	_ZN7rocprim17ROCPRIM_400000_NS6detail17trampoline_kernelINS0_14default_configENS1_27scan_by_key_config_selectorIiiEEZZNS1_16scan_by_key_implILNS1_25lookback_scan_determinismE0ELb1ES3_N6thrust23THRUST_200600_302600_NS6detail15normal_iteratorINS9_10device_ptrIiEEEESE_SE_iNS9_4plusIvEENS9_8equal_toIvEEiEE10hipError_tPvRmT2_T3_T4_T5_mT6_T7_P12ihipStream_tbENKUlT_T0_E_clISt17integral_constantIbLb0EESZ_EEDaSU_SV_EUlSU_E_NS1_11comp_targetILNS1_3genE3ELNS1_11target_archE908ELNS1_3gpuE7ELNS1_3repE0EEENS1_30default_config_static_selectorELNS0_4arch9wavefront6targetE0EEEvT1_
	.p2align	8
	.type	_ZN7rocprim17ROCPRIM_400000_NS6detail17trampoline_kernelINS0_14default_configENS1_27scan_by_key_config_selectorIiiEEZZNS1_16scan_by_key_implILNS1_25lookback_scan_determinismE0ELb1ES3_N6thrust23THRUST_200600_302600_NS6detail15normal_iteratorINS9_10device_ptrIiEEEESE_SE_iNS9_4plusIvEENS9_8equal_toIvEEiEE10hipError_tPvRmT2_T3_T4_T5_mT6_T7_P12ihipStream_tbENKUlT_T0_E_clISt17integral_constantIbLb0EESZ_EEDaSU_SV_EUlSU_E_NS1_11comp_targetILNS1_3genE3ELNS1_11target_archE908ELNS1_3gpuE7ELNS1_3repE0EEENS1_30default_config_static_selectorELNS0_4arch9wavefront6targetE0EEEvT1_,@function
_ZN7rocprim17ROCPRIM_400000_NS6detail17trampoline_kernelINS0_14default_configENS1_27scan_by_key_config_selectorIiiEEZZNS1_16scan_by_key_implILNS1_25lookback_scan_determinismE0ELb1ES3_N6thrust23THRUST_200600_302600_NS6detail15normal_iteratorINS9_10device_ptrIiEEEESE_SE_iNS9_4plusIvEENS9_8equal_toIvEEiEE10hipError_tPvRmT2_T3_T4_T5_mT6_T7_P12ihipStream_tbENKUlT_T0_E_clISt17integral_constantIbLb0EESZ_EEDaSU_SV_EUlSU_E_NS1_11comp_targetILNS1_3genE3ELNS1_11target_archE908ELNS1_3gpuE7ELNS1_3repE0EEENS1_30default_config_static_selectorELNS0_4arch9wavefront6targetE0EEEvT1_: ; @_ZN7rocprim17ROCPRIM_400000_NS6detail17trampoline_kernelINS0_14default_configENS1_27scan_by_key_config_selectorIiiEEZZNS1_16scan_by_key_implILNS1_25lookback_scan_determinismE0ELb1ES3_N6thrust23THRUST_200600_302600_NS6detail15normal_iteratorINS9_10device_ptrIiEEEESE_SE_iNS9_4plusIvEENS9_8equal_toIvEEiEE10hipError_tPvRmT2_T3_T4_T5_mT6_T7_P12ihipStream_tbENKUlT_T0_E_clISt17integral_constantIbLb0EESZ_EEDaSU_SV_EUlSU_E_NS1_11comp_targetILNS1_3genE3ELNS1_11target_archE908ELNS1_3gpuE7ELNS1_3repE0EEENS1_30default_config_static_selectorELNS0_4arch9wavefront6targetE0EEEvT1_
; %bb.0:
	.section	.rodata,"a",@progbits
	.p2align	6, 0x0
	.amdhsa_kernel _ZN7rocprim17ROCPRIM_400000_NS6detail17trampoline_kernelINS0_14default_configENS1_27scan_by_key_config_selectorIiiEEZZNS1_16scan_by_key_implILNS1_25lookback_scan_determinismE0ELb1ES3_N6thrust23THRUST_200600_302600_NS6detail15normal_iteratorINS9_10device_ptrIiEEEESE_SE_iNS9_4plusIvEENS9_8equal_toIvEEiEE10hipError_tPvRmT2_T3_T4_T5_mT6_T7_P12ihipStream_tbENKUlT_T0_E_clISt17integral_constantIbLb0EESZ_EEDaSU_SV_EUlSU_E_NS1_11comp_targetILNS1_3genE3ELNS1_11target_archE908ELNS1_3gpuE7ELNS1_3repE0EEENS1_30default_config_static_selectorELNS0_4arch9wavefront6targetE0EEEvT1_
		.amdhsa_group_segment_fixed_size 0
		.amdhsa_private_segment_fixed_size 0
		.amdhsa_kernarg_size 112
		.amdhsa_user_sgpr_count 6
		.amdhsa_user_sgpr_private_segment_buffer 1
		.amdhsa_user_sgpr_dispatch_ptr 0
		.amdhsa_user_sgpr_queue_ptr 0
		.amdhsa_user_sgpr_kernarg_segment_ptr 1
		.amdhsa_user_sgpr_dispatch_id 0
		.amdhsa_user_sgpr_flat_scratch_init 0
		.amdhsa_user_sgpr_private_segment_size 0
		.amdhsa_wavefront_size32 1
		.amdhsa_uses_dynamic_stack 0
		.amdhsa_system_sgpr_private_segment_wavefront_offset 0
		.amdhsa_system_sgpr_workgroup_id_x 1
		.amdhsa_system_sgpr_workgroup_id_y 0
		.amdhsa_system_sgpr_workgroup_id_z 0
		.amdhsa_system_sgpr_workgroup_info 0
		.amdhsa_system_vgpr_workitem_id 0
		.amdhsa_next_free_vgpr 1
		.amdhsa_next_free_sgpr 1
		.amdhsa_reserve_vcc 0
		.amdhsa_reserve_flat_scratch 0
		.amdhsa_float_round_mode_32 0
		.amdhsa_float_round_mode_16_64 0
		.amdhsa_float_denorm_mode_32 3
		.amdhsa_float_denorm_mode_16_64 3
		.amdhsa_dx10_clamp 1
		.amdhsa_ieee_mode 1
		.amdhsa_fp16_overflow 0
		.amdhsa_workgroup_processor_mode 1
		.amdhsa_memory_ordered 1
		.amdhsa_forward_progress 1
		.amdhsa_shared_vgpr_count 0
		.amdhsa_exception_fp_ieee_invalid_op 0
		.amdhsa_exception_fp_denorm_src 0
		.amdhsa_exception_fp_ieee_div_zero 0
		.amdhsa_exception_fp_ieee_overflow 0
		.amdhsa_exception_fp_ieee_underflow 0
		.amdhsa_exception_fp_ieee_inexact 0
		.amdhsa_exception_int_div_zero 0
	.end_amdhsa_kernel
	.section	.text._ZN7rocprim17ROCPRIM_400000_NS6detail17trampoline_kernelINS0_14default_configENS1_27scan_by_key_config_selectorIiiEEZZNS1_16scan_by_key_implILNS1_25lookback_scan_determinismE0ELb1ES3_N6thrust23THRUST_200600_302600_NS6detail15normal_iteratorINS9_10device_ptrIiEEEESE_SE_iNS9_4plusIvEENS9_8equal_toIvEEiEE10hipError_tPvRmT2_T3_T4_T5_mT6_T7_P12ihipStream_tbENKUlT_T0_E_clISt17integral_constantIbLb0EESZ_EEDaSU_SV_EUlSU_E_NS1_11comp_targetILNS1_3genE3ELNS1_11target_archE908ELNS1_3gpuE7ELNS1_3repE0EEENS1_30default_config_static_selectorELNS0_4arch9wavefront6targetE0EEEvT1_,"axG",@progbits,_ZN7rocprim17ROCPRIM_400000_NS6detail17trampoline_kernelINS0_14default_configENS1_27scan_by_key_config_selectorIiiEEZZNS1_16scan_by_key_implILNS1_25lookback_scan_determinismE0ELb1ES3_N6thrust23THRUST_200600_302600_NS6detail15normal_iteratorINS9_10device_ptrIiEEEESE_SE_iNS9_4plusIvEENS9_8equal_toIvEEiEE10hipError_tPvRmT2_T3_T4_T5_mT6_T7_P12ihipStream_tbENKUlT_T0_E_clISt17integral_constantIbLb0EESZ_EEDaSU_SV_EUlSU_E_NS1_11comp_targetILNS1_3genE3ELNS1_11target_archE908ELNS1_3gpuE7ELNS1_3repE0EEENS1_30default_config_static_selectorELNS0_4arch9wavefront6targetE0EEEvT1_,comdat
.Lfunc_end465:
	.size	_ZN7rocprim17ROCPRIM_400000_NS6detail17trampoline_kernelINS0_14default_configENS1_27scan_by_key_config_selectorIiiEEZZNS1_16scan_by_key_implILNS1_25lookback_scan_determinismE0ELb1ES3_N6thrust23THRUST_200600_302600_NS6detail15normal_iteratorINS9_10device_ptrIiEEEESE_SE_iNS9_4plusIvEENS9_8equal_toIvEEiEE10hipError_tPvRmT2_T3_T4_T5_mT6_T7_P12ihipStream_tbENKUlT_T0_E_clISt17integral_constantIbLb0EESZ_EEDaSU_SV_EUlSU_E_NS1_11comp_targetILNS1_3genE3ELNS1_11target_archE908ELNS1_3gpuE7ELNS1_3repE0EEENS1_30default_config_static_selectorELNS0_4arch9wavefront6targetE0EEEvT1_, .Lfunc_end465-_ZN7rocprim17ROCPRIM_400000_NS6detail17trampoline_kernelINS0_14default_configENS1_27scan_by_key_config_selectorIiiEEZZNS1_16scan_by_key_implILNS1_25lookback_scan_determinismE0ELb1ES3_N6thrust23THRUST_200600_302600_NS6detail15normal_iteratorINS9_10device_ptrIiEEEESE_SE_iNS9_4plusIvEENS9_8equal_toIvEEiEE10hipError_tPvRmT2_T3_T4_T5_mT6_T7_P12ihipStream_tbENKUlT_T0_E_clISt17integral_constantIbLb0EESZ_EEDaSU_SV_EUlSU_E_NS1_11comp_targetILNS1_3genE3ELNS1_11target_archE908ELNS1_3gpuE7ELNS1_3repE0EEENS1_30default_config_static_selectorELNS0_4arch9wavefront6targetE0EEEvT1_
                                        ; -- End function
	.set _ZN7rocprim17ROCPRIM_400000_NS6detail17trampoline_kernelINS0_14default_configENS1_27scan_by_key_config_selectorIiiEEZZNS1_16scan_by_key_implILNS1_25lookback_scan_determinismE0ELb1ES3_N6thrust23THRUST_200600_302600_NS6detail15normal_iteratorINS9_10device_ptrIiEEEESE_SE_iNS9_4plusIvEENS9_8equal_toIvEEiEE10hipError_tPvRmT2_T3_T4_T5_mT6_T7_P12ihipStream_tbENKUlT_T0_E_clISt17integral_constantIbLb0EESZ_EEDaSU_SV_EUlSU_E_NS1_11comp_targetILNS1_3genE3ELNS1_11target_archE908ELNS1_3gpuE7ELNS1_3repE0EEENS1_30default_config_static_selectorELNS0_4arch9wavefront6targetE0EEEvT1_.num_vgpr, 0
	.set _ZN7rocprim17ROCPRIM_400000_NS6detail17trampoline_kernelINS0_14default_configENS1_27scan_by_key_config_selectorIiiEEZZNS1_16scan_by_key_implILNS1_25lookback_scan_determinismE0ELb1ES3_N6thrust23THRUST_200600_302600_NS6detail15normal_iteratorINS9_10device_ptrIiEEEESE_SE_iNS9_4plusIvEENS9_8equal_toIvEEiEE10hipError_tPvRmT2_T3_T4_T5_mT6_T7_P12ihipStream_tbENKUlT_T0_E_clISt17integral_constantIbLb0EESZ_EEDaSU_SV_EUlSU_E_NS1_11comp_targetILNS1_3genE3ELNS1_11target_archE908ELNS1_3gpuE7ELNS1_3repE0EEENS1_30default_config_static_selectorELNS0_4arch9wavefront6targetE0EEEvT1_.num_agpr, 0
	.set _ZN7rocprim17ROCPRIM_400000_NS6detail17trampoline_kernelINS0_14default_configENS1_27scan_by_key_config_selectorIiiEEZZNS1_16scan_by_key_implILNS1_25lookback_scan_determinismE0ELb1ES3_N6thrust23THRUST_200600_302600_NS6detail15normal_iteratorINS9_10device_ptrIiEEEESE_SE_iNS9_4plusIvEENS9_8equal_toIvEEiEE10hipError_tPvRmT2_T3_T4_T5_mT6_T7_P12ihipStream_tbENKUlT_T0_E_clISt17integral_constantIbLb0EESZ_EEDaSU_SV_EUlSU_E_NS1_11comp_targetILNS1_3genE3ELNS1_11target_archE908ELNS1_3gpuE7ELNS1_3repE0EEENS1_30default_config_static_selectorELNS0_4arch9wavefront6targetE0EEEvT1_.numbered_sgpr, 0
	.set _ZN7rocprim17ROCPRIM_400000_NS6detail17trampoline_kernelINS0_14default_configENS1_27scan_by_key_config_selectorIiiEEZZNS1_16scan_by_key_implILNS1_25lookback_scan_determinismE0ELb1ES3_N6thrust23THRUST_200600_302600_NS6detail15normal_iteratorINS9_10device_ptrIiEEEESE_SE_iNS9_4plusIvEENS9_8equal_toIvEEiEE10hipError_tPvRmT2_T3_T4_T5_mT6_T7_P12ihipStream_tbENKUlT_T0_E_clISt17integral_constantIbLb0EESZ_EEDaSU_SV_EUlSU_E_NS1_11comp_targetILNS1_3genE3ELNS1_11target_archE908ELNS1_3gpuE7ELNS1_3repE0EEENS1_30default_config_static_selectorELNS0_4arch9wavefront6targetE0EEEvT1_.num_named_barrier, 0
	.set _ZN7rocprim17ROCPRIM_400000_NS6detail17trampoline_kernelINS0_14default_configENS1_27scan_by_key_config_selectorIiiEEZZNS1_16scan_by_key_implILNS1_25lookback_scan_determinismE0ELb1ES3_N6thrust23THRUST_200600_302600_NS6detail15normal_iteratorINS9_10device_ptrIiEEEESE_SE_iNS9_4plusIvEENS9_8equal_toIvEEiEE10hipError_tPvRmT2_T3_T4_T5_mT6_T7_P12ihipStream_tbENKUlT_T0_E_clISt17integral_constantIbLb0EESZ_EEDaSU_SV_EUlSU_E_NS1_11comp_targetILNS1_3genE3ELNS1_11target_archE908ELNS1_3gpuE7ELNS1_3repE0EEENS1_30default_config_static_selectorELNS0_4arch9wavefront6targetE0EEEvT1_.private_seg_size, 0
	.set _ZN7rocprim17ROCPRIM_400000_NS6detail17trampoline_kernelINS0_14default_configENS1_27scan_by_key_config_selectorIiiEEZZNS1_16scan_by_key_implILNS1_25lookback_scan_determinismE0ELb1ES3_N6thrust23THRUST_200600_302600_NS6detail15normal_iteratorINS9_10device_ptrIiEEEESE_SE_iNS9_4plusIvEENS9_8equal_toIvEEiEE10hipError_tPvRmT2_T3_T4_T5_mT6_T7_P12ihipStream_tbENKUlT_T0_E_clISt17integral_constantIbLb0EESZ_EEDaSU_SV_EUlSU_E_NS1_11comp_targetILNS1_3genE3ELNS1_11target_archE908ELNS1_3gpuE7ELNS1_3repE0EEENS1_30default_config_static_selectorELNS0_4arch9wavefront6targetE0EEEvT1_.uses_vcc, 0
	.set _ZN7rocprim17ROCPRIM_400000_NS6detail17trampoline_kernelINS0_14default_configENS1_27scan_by_key_config_selectorIiiEEZZNS1_16scan_by_key_implILNS1_25lookback_scan_determinismE0ELb1ES3_N6thrust23THRUST_200600_302600_NS6detail15normal_iteratorINS9_10device_ptrIiEEEESE_SE_iNS9_4plusIvEENS9_8equal_toIvEEiEE10hipError_tPvRmT2_T3_T4_T5_mT6_T7_P12ihipStream_tbENKUlT_T0_E_clISt17integral_constantIbLb0EESZ_EEDaSU_SV_EUlSU_E_NS1_11comp_targetILNS1_3genE3ELNS1_11target_archE908ELNS1_3gpuE7ELNS1_3repE0EEENS1_30default_config_static_selectorELNS0_4arch9wavefront6targetE0EEEvT1_.uses_flat_scratch, 0
	.set _ZN7rocprim17ROCPRIM_400000_NS6detail17trampoline_kernelINS0_14default_configENS1_27scan_by_key_config_selectorIiiEEZZNS1_16scan_by_key_implILNS1_25lookback_scan_determinismE0ELb1ES3_N6thrust23THRUST_200600_302600_NS6detail15normal_iteratorINS9_10device_ptrIiEEEESE_SE_iNS9_4plusIvEENS9_8equal_toIvEEiEE10hipError_tPvRmT2_T3_T4_T5_mT6_T7_P12ihipStream_tbENKUlT_T0_E_clISt17integral_constantIbLb0EESZ_EEDaSU_SV_EUlSU_E_NS1_11comp_targetILNS1_3genE3ELNS1_11target_archE908ELNS1_3gpuE7ELNS1_3repE0EEENS1_30default_config_static_selectorELNS0_4arch9wavefront6targetE0EEEvT1_.has_dyn_sized_stack, 0
	.set _ZN7rocprim17ROCPRIM_400000_NS6detail17trampoline_kernelINS0_14default_configENS1_27scan_by_key_config_selectorIiiEEZZNS1_16scan_by_key_implILNS1_25lookback_scan_determinismE0ELb1ES3_N6thrust23THRUST_200600_302600_NS6detail15normal_iteratorINS9_10device_ptrIiEEEESE_SE_iNS9_4plusIvEENS9_8equal_toIvEEiEE10hipError_tPvRmT2_T3_T4_T5_mT6_T7_P12ihipStream_tbENKUlT_T0_E_clISt17integral_constantIbLb0EESZ_EEDaSU_SV_EUlSU_E_NS1_11comp_targetILNS1_3genE3ELNS1_11target_archE908ELNS1_3gpuE7ELNS1_3repE0EEENS1_30default_config_static_selectorELNS0_4arch9wavefront6targetE0EEEvT1_.has_recursion, 0
	.set _ZN7rocprim17ROCPRIM_400000_NS6detail17trampoline_kernelINS0_14default_configENS1_27scan_by_key_config_selectorIiiEEZZNS1_16scan_by_key_implILNS1_25lookback_scan_determinismE0ELb1ES3_N6thrust23THRUST_200600_302600_NS6detail15normal_iteratorINS9_10device_ptrIiEEEESE_SE_iNS9_4plusIvEENS9_8equal_toIvEEiEE10hipError_tPvRmT2_T3_T4_T5_mT6_T7_P12ihipStream_tbENKUlT_T0_E_clISt17integral_constantIbLb0EESZ_EEDaSU_SV_EUlSU_E_NS1_11comp_targetILNS1_3genE3ELNS1_11target_archE908ELNS1_3gpuE7ELNS1_3repE0EEENS1_30default_config_static_selectorELNS0_4arch9wavefront6targetE0EEEvT1_.has_indirect_call, 0
	.section	.AMDGPU.csdata,"",@progbits
; Kernel info:
; codeLenInByte = 0
; TotalNumSgprs: 0
; NumVgprs: 0
; ScratchSize: 0
; MemoryBound: 0
; FloatMode: 240
; IeeeMode: 1
; LDSByteSize: 0 bytes/workgroup (compile time only)
; SGPRBlocks: 0
; VGPRBlocks: 0
; NumSGPRsForWavesPerEU: 1
; NumVGPRsForWavesPerEU: 1
; Occupancy: 16
; WaveLimiterHint : 0
; COMPUTE_PGM_RSRC2:SCRATCH_EN: 0
; COMPUTE_PGM_RSRC2:USER_SGPR: 6
; COMPUTE_PGM_RSRC2:TRAP_HANDLER: 0
; COMPUTE_PGM_RSRC2:TGID_X_EN: 1
; COMPUTE_PGM_RSRC2:TGID_Y_EN: 0
; COMPUTE_PGM_RSRC2:TGID_Z_EN: 0
; COMPUTE_PGM_RSRC2:TIDIG_COMP_CNT: 0
	.section	.text._ZN7rocprim17ROCPRIM_400000_NS6detail17trampoline_kernelINS0_14default_configENS1_27scan_by_key_config_selectorIiiEEZZNS1_16scan_by_key_implILNS1_25lookback_scan_determinismE0ELb1ES3_N6thrust23THRUST_200600_302600_NS6detail15normal_iteratorINS9_10device_ptrIiEEEESE_SE_iNS9_4plusIvEENS9_8equal_toIvEEiEE10hipError_tPvRmT2_T3_T4_T5_mT6_T7_P12ihipStream_tbENKUlT_T0_E_clISt17integral_constantIbLb0EESZ_EEDaSU_SV_EUlSU_E_NS1_11comp_targetILNS1_3genE2ELNS1_11target_archE906ELNS1_3gpuE6ELNS1_3repE0EEENS1_30default_config_static_selectorELNS0_4arch9wavefront6targetE0EEEvT1_,"axG",@progbits,_ZN7rocprim17ROCPRIM_400000_NS6detail17trampoline_kernelINS0_14default_configENS1_27scan_by_key_config_selectorIiiEEZZNS1_16scan_by_key_implILNS1_25lookback_scan_determinismE0ELb1ES3_N6thrust23THRUST_200600_302600_NS6detail15normal_iteratorINS9_10device_ptrIiEEEESE_SE_iNS9_4plusIvEENS9_8equal_toIvEEiEE10hipError_tPvRmT2_T3_T4_T5_mT6_T7_P12ihipStream_tbENKUlT_T0_E_clISt17integral_constantIbLb0EESZ_EEDaSU_SV_EUlSU_E_NS1_11comp_targetILNS1_3genE2ELNS1_11target_archE906ELNS1_3gpuE6ELNS1_3repE0EEENS1_30default_config_static_selectorELNS0_4arch9wavefront6targetE0EEEvT1_,comdat
	.protected	_ZN7rocprim17ROCPRIM_400000_NS6detail17trampoline_kernelINS0_14default_configENS1_27scan_by_key_config_selectorIiiEEZZNS1_16scan_by_key_implILNS1_25lookback_scan_determinismE0ELb1ES3_N6thrust23THRUST_200600_302600_NS6detail15normal_iteratorINS9_10device_ptrIiEEEESE_SE_iNS9_4plusIvEENS9_8equal_toIvEEiEE10hipError_tPvRmT2_T3_T4_T5_mT6_T7_P12ihipStream_tbENKUlT_T0_E_clISt17integral_constantIbLb0EESZ_EEDaSU_SV_EUlSU_E_NS1_11comp_targetILNS1_3genE2ELNS1_11target_archE906ELNS1_3gpuE6ELNS1_3repE0EEENS1_30default_config_static_selectorELNS0_4arch9wavefront6targetE0EEEvT1_ ; -- Begin function _ZN7rocprim17ROCPRIM_400000_NS6detail17trampoline_kernelINS0_14default_configENS1_27scan_by_key_config_selectorIiiEEZZNS1_16scan_by_key_implILNS1_25lookback_scan_determinismE0ELb1ES3_N6thrust23THRUST_200600_302600_NS6detail15normal_iteratorINS9_10device_ptrIiEEEESE_SE_iNS9_4plusIvEENS9_8equal_toIvEEiEE10hipError_tPvRmT2_T3_T4_T5_mT6_T7_P12ihipStream_tbENKUlT_T0_E_clISt17integral_constantIbLb0EESZ_EEDaSU_SV_EUlSU_E_NS1_11comp_targetILNS1_3genE2ELNS1_11target_archE906ELNS1_3gpuE6ELNS1_3repE0EEENS1_30default_config_static_selectorELNS0_4arch9wavefront6targetE0EEEvT1_
	.globl	_ZN7rocprim17ROCPRIM_400000_NS6detail17trampoline_kernelINS0_14default_configENS1_27scan_by_key_config_selectorIiiEEZZNS1_16scan_by_key_implILNS1_25lookback_scan_determinismE0ELb1ES3_N6thrust23THRUST_200600_302600_NS6detail15normal_iteratorINS9_10device_ptrIiEEEESE_SE_iNS9_4plusIvEENS9_8equal_toIvEEiEE10hipError_tPvRmT2_T3_T4_T5_mT6_T7_P12ihipStream_tbENKUlT_T0_E_clISt17integral_constantIbLb0EESZ_EEDaSU_SV_EUlSU_E_NS1_11comp_targetILNS1_3genE2ELNS1_11target_archE906ELNS1_3gpuE6ELNS1_3repE0EEENS1_30default_config_static_selectorELNS0_4arch9wavefront6targetE0EEEvT1_
	.p2align	8
	.type	_ZN7rocprim17ROCPRIM_400000_NS6detail17trampoline_kernelINS0_14default_configENS1_27scan_by_key_config_selectorIiiEEZZNS1_16scan_by_key_implILNS1_25lookback_scan_determinismE0ELb1ES3_N6thrust23THRUST_200600_302600_NS6detail15normal_iteratorINS9_10device_ptrIiEEEESE_SE_iNS9_4plusIvEENS9_8equal_toIvEEiEE10hipError_tPvRmT2_T3_T4_T5_mT6_T7_P12ihipStream_tbENKUlT_T0_E_clISt17integral_constantIbLb0EESZ_EEDaSU_SV_EUlSU_E_NS1_11comp_targetILNS1_3genE2ELNS1_11target_archE906ELNS1_3gpuE6ELNS1_3repE0EEENS1_30default_config_static_selectorELNS0_4arch9wavefront6targetE0EEEvT1_,@function
_ZN7rocprim17ROCPRIM_400000_NS6detail17trampoline_kernelINS0_14default_configENS1_27scan_by_key_config_selectorIiiEEZZNS1_16scan_by_key_implILNS1_25lookback_scan_determinismE0ELb1ES3_N6thrust23THRUST_200600_302600_NS6detail15normal_iteratorINS9_10device_ptrIiEEEESE_SE_iNS9_4plusIvEENS9_8equal_toIvEEiEE10hipError_tPvRmT2_T3_T4_T5_mT6_T7_P12ihipStream_tbENKUlT_T0_E_clISt17integral_constantIbLb0EESZ_EEDaSU_SV_EUlSU_E_NS1_11comp_targetILNS1_3genE2ELNS1_11target_archE906ELNS1_3gpuE6ELNS1_3repE0EEENS1_30default_config_static_selectorELNS0_4arch9wavefront6targetE0EEEvT1_: ; @_ZN7rocprim17ROCPRIM_400000_NS6detail17trampoline_kernelINS0_14default_configENS1_27scan_by_key_config_selectorIiiEEZZNS1_16scan_by_key_implILNS1_25lookback_scan_determinismE0ELb1ES3_N6thrust23THRUST_200600_302600_NS6detail15normal_iteratorINS9_10device_ptrIiEEEESE_SE_iNS9_4plusIvEENS9_8equal_toIvEEiEE10hipError_tPvRmT2_T3_T4_T5_mT6_T7_P12ihipStream_tbENKUlT_T0_E_clISt17integral_constantIbLb0EESZ_EEDaSU_SV_EUlSU_E_NS1_11comp_targetILNS1_3genE2ELNS1_11target_archE906ELNS1_3gpuE6ELNS1_3repE0EEENS1_30default_config_static_selectorELNS0_4arch9wavefront6targetE0EEEvT1_
; %bb.0:
	.section	.rodata,"a",@progbits
	.p2align	6, 0x0
	.amdhsa_kernel _ZN7rocprim17ROCPRIM_400000_NS6detail17trampoline_kernelINS0_14default_configENS1_27scan_by_key_config_selectorIiiEEZZNS1_16scan_by_key_implILNS1_25lookback_scan_determinismE0ELb1ES3_N6thrust23THRUST_200600_302600_NS6detail15normal_iteratorINS9_10device_ptrIiEEEESE_SE_iNS9_4plusIvEENS9_8equal_toIvEEiEE10hipError_tPvRmT2_T3_T4_T5_mT6_T7_P12ihipStream_tbENKUlT_T0_E_clISt17integral_constantIbLb0EESZ_EEDaSU_SV_EUlSU_E_NS1_11comp_targetILNS1_3genE2ELNS1_11target_archE906ELNS1_3gpuE6ELNS1_3repE0EEENS1_30default_config_static_selectorELNS0_4arch9wavefront6targetE0EEEvT1_
		.amdhsa_group_segment_fixed_size 0
		.amdhsa_private_segment_fixed_size 0
		.amdhsa_kernarg_size 112
		.amdhsa_user_sgpr_count 6
		.amdhsa_user_sgpr_private_segment_buffer 1
		.amdhsa_user_sgpr_dispatch_ptr 0
		.amdhsa_user_sgpr_queue_ptr 0
		.amdhsa_user_sgpr_kernarg_segment_ptr 1
		.amdhsa_user_sgpr_dispatch_id 0
		.amdhsa_user_sgpr_flat_scratch_init 0
		.amdhsa_user_sgpr_private_segment_size 0
		.amdhsa_wavefront_size32 1
		.amdhsa_uses_dynamic_stack 0
		.amdhsa_system_sgpr_private_segment_wavefront_offset 0
		.amdhsa_system_sgpr_workgroup_id_x 1
		.amdhsa_system_sgpr_workgroup_id_y 0
		.amdhsa_system_sgpr_workgroup_id_z 0
		.amdhsa_system_sgpr_workgroup_info 0
		.amdhsa_system_vgpr_workitem_id 0
		.amdhsa_next_free_vgpr 1
		.amdhsa_next_free_sgpr 1
		.amdhsa_reserve_vcc 0
		.amdhsa_reserve_flat_scratch 0
		.amdhsa_float_round_mode_32 0
		.amdhsa_float_round_mode_16_64 0
		.amdhsa_float_denorm_mode_32 3
		.amdhsa_float_denorm_mode_16_64 3
		.amdhsa_dx10_clamp 1
		.amdhsa_ieee_mode 1
		.amdhsa_fp16_overflow 0
		.amdhsa_workgroup_processor_mode 1
		.amdhsa_memory_ordered 1
		.amdhsa_forward_progress 1
		.amdhsa_shared_vgpr_count 0
		.amdhsa_exception_fp_ieee_invalid_op 0
		.amdhsa_exception_fp_denorm_src 0
		.amdhsa_exception_fp_ieee_div_zero 0
		.amdhsa_exception_fp_ieee_overflow 0
		.amdhsa_exception_fp_ieee_underflow 0
		.amdhsa_exception_fp_ieee_inexact 0
		.amdhsa_exception_int_div_zero 0
	.end_amdhsa_kernel
	.section	.text._ZN7rocprim17ROCPRIM_400000_NS6detail17trampoline_kernelINS0_14default_configENS1_27scan_by_key_config_selectorIiiEEZZNS1_16scan_by_key_implILNS1_25lookback_scan_determinismE0ELb1ES3_N6thrust23THRUST_200600_302600_NS6detail15normal_iteratorINS9_10device_ptrIiEEEESE_SE_iNS9_4plusIvEENS9_8equal_toIvEEiEE10hipError_tPvRmT2_T3_T4_T5_mT6_T7_P12ihipStream_tbENKUlT_T0_E_clISt17integral_constantIbLb0EESZ_EEDaSU_SV_EUlSU_E_NS1_11comp_targetILNS1_3genE2ELNS1_11target_archE906ELNS1_3gpuE6ELNS1_3repE0EEENS1_30default_config_static_selectorELNS0_4arch9wavefront6targetE0EEEvT1_,"axG",@progbits,_ZN7rocprim17ROCPRIM_400000_NS6detail17trampoline_kernelINS0_14default_configENS1_27scan_by_key_config_selectorIiiEEZZNS1_16scan_by_key_implILNS1_25lookback_scan_determinismE0ELb1ES3_N6thrust23THRUST_200600_302600_NS6detail15normal_iteratorINS9_10device_ptrIiEEEESE_SE_iNS9_4plusIvEENS9_8equal_toIvEEiEE10hipError_tPvRmT2_T3_T4_T5_mT6_T7_P12ihipStream_tbENKUlT_T0_E_clISt17integral_constantIbLb0EESZ_EEDaSU_SV_EUlSU_E_NS1_11comp_targetILNS1_3genE2ELNS1_11target_archE906ELNS1_3gpuE6ELNS1_3repE0EEENS1_30default_config_static_selectorELNS0_4arch9wavefront6targetE0EEEvT1_,comdat
.Lfunc_end466:
	.size	_ZN7rocprim17ROCPRIM_400000_NS6detail17trampoline_kernelINS0_14default_configENS1_27scan_by_key_config_selectorIiiEEZZNS1_16scan_by_key_implILNS1_25lookback_scan_determinismE0ELb1ES3_N6thrust23THRUST_200600_302600_NS6detail15normal_iteratorINS9_10device_ptrIiEEEESE_SE_iNS9_4plusIvEENS9_8equal_toIvEEiEE10hipError_tPvRmT2_T3_T4_T5_mT6_T7_P12ihipStream_tbENKUlT_T0_E_clISt17integral_constantIbLb0EESZ_EEDaSU_SV_EUlSU_E_NS1_11comp_targetILNS1_3genE2ELNS1_11target_archE906ELNS1_3gpuE6ELNS1_3repE0EEENS1_30default_config_static_selectorELNS0_4arch9wavefront6targetE0EEEvT1_, .Lfunc_end466-_ZN7rocprim17ROCPRIM_400000_NS6detail17trampoline_kernelINS0_14default_configENS1_27scan_by_key_config_selectorIiiEEZZNS1_16scan_by_key_implILNS1_25lookback_scan_determinismE0ELb1ES3_N6thrust23THRUST_200600_302600_NS6detail15normal_iteratorINS9_10device_ptrIiEEEESE_SE_iNS9_4plusIvEENS9_8equal_toIvEEiEE10hipError_tPvRmT2_T3_T4_T5_mT6_T7_P12ihipStream_tbENKUlT_T0_E_clISt17integral_constantIbLb0EESZ_EEDaSU_SV_EUlSU_E_NS1_11comp_targetILNS1_3genE2ELNS1_11target_archE906ELNS1_3gpuE6ELNS1_3repE0EEENS1_30default_config_static_selectorELNS0_4arch9wavefront6targetE0EEEvT1_
                                        ; -- End function
	.set _ZN7rocprim17ROCPRIM_400000_NS6detail17trampoline_kernelINS0_14default_configENS1_27scan_by_key_config_selectorIiiEEZZNS1_16scan_by_key_implILNS1_25lookback_scan_determinismE0ELb1ES3_N6thrust23THRUST_200600_302600_NS6detail15normal_iteratorINS9_10device_ptrIiEEEESE_SE_iNS9_4plusIvEENS9_8equal_toIvEEiEE10hipError_tPvRmT2_T3_T4_T5_mT6_T7_P12ihipStream_tbENKUlT_T0_E_clISt17integral_constantIbLb0EESZ_EEDaSU_SV_EUlSU_E_NS1_11comp_targetILNS1_3genE2ELNS1_11target_archE906ELNS1_3gpuE6ELNS1_3repE0EEENS1_30default_config_static_selectorELNS0_4arch9wavefront6targetE0EEEvT1_.num_vgpr, 0
	.set _ZN7rocprim17ROCPRIM_400000_NS6detail17trampoline_kernelINS0_14default_configENS1_27scan_by_key_config_selectorIiiEEZZNS1_16scan_by_key_implILNS1_25lookback_scan_determinismE0ELb1ES3_N6thrust23THRUST_200600_302600_NS6detail15normal_iteratorINS9_10device_ptrIiEEEESE_SE_iNS9_4plusIvEENS9_8equal_toIvEEiEE10hipError_tPvRmT2_T3_T4_T5_mT6_T7_P12ihipStream_tbENKUlT_T0_E_clISt17integral_constantIbLb0EESZ_EEDaSU_SV_EUlSU_E_NS1_11comp_targetILNS1_3genE2ELNS1_11target_archE906ELNS1_3gpuE6ELNS1_3repE0EEENS1_30default_config_static_selectorELNS0_4arch9wavefront6targetE0EEEvT1_.num_agpr, 0
	.set _ZN7rocprim17ROCPRIM_400000_NS6detail17trampoline_kernelINS0_14default_configENS1_27scan_by_key_config_selectorIiiEEZZNS1_16scan_by_key_implILNS1_25lookback_scan_determinismE0ELb1ES3_N6thrust23THRUST_200600_302600_NS6detail15normal_iteratorINS9_10device_ptrIiEEEESE_SE_iNS9_4plusIvEENS9_8equal_toIvEEiEE10hipError_tPvRmT2_T3_T4_T5_mT6_T7_P12ihipStream_tbENKUlT_T0_E_clISt17integral_constantIbLb0EESZ_EEDaSU_SV_EUlSU_E_NS1_11comp_targetILNS1_3genE2ELNS1_11target_archE906ELNS1_3gpuE6ELNS1_3repE0EEENS1_30default_config_static_selectorELNS0_4arch9wavefront6targetE0EEEvT1_.numbered_sgpr, 0
	.set _ZN7rocprim17ROCPRIM_400000_NS6detail17trampoline_kernelINS0_14default_configENS1_27scan_by_key_config_selectorIiiEEZZNS1_16scan_by_key_implILNS1_25lookback_scan_determinismE0ELb1ES3_N6thrust23THRUST_200600_302600_NS6detail15normal_iteratorINS9_10device_ptrIiEEEESE_SE_iNS9_4plusIvEENS9_8equal_toIvEEiEE10hipError_tPvRmT2_T3_T4_T5_mT6_T7_P12ihipStream_tbENKUlT_T0_E_clISt17integral_constantIbLb0EESZ_EEDaSU_SV_EUlSU_E_NS1_11comp_targetILNS1_3genE2ELNS1_11target_archE906ELNS1_3gpuE6ELNS1_3repE0EEENS1_30default_config_static_selectorELNS0_4arch9wavefront6targetE0EEEvT1_.num_named_barrier, 0
	.set _ZN7rocprim17ROCPRIM_400000_NS6detail17trampoline_kernelINS0_14default_configENS1_27scan_by_key_config_selectorIiiEEZZNS1_16scan_by_key_implILNS1_25lookback_scan_determinismE0ELb1ES3_N6thrust23THRUST_200600_302600_NS6detail15normal_iteratorINS9_10device_ptrIiEEEESE_SE_iNS9_4plusIvEENS9_8equal_toIvEEiEE10hipError_tPvRmT2_T3_T4_T5_mT6_T7_P12ihipStream_tbENKUlT_T0_E_clISt17integral_constantIbLb0EESZ_EEDaSU_SV_EUlSU_E_NS1_11comp_targetILNS1_3genE2ELNS1_11target_archE906ELNS1_3gpuE6ELNS1_3repE0EEENS1_30default_config_static_selectorELNS0_4arch9wavefront6targetE0EEEvT1_.private_seg_size, 0
	.set _ZN7rocprim17ROCPRIM_400000_NS6detail17trampoline_kernelINS0_14default_configENS1_27scan_by_key_config_selectorIiiEEZZNS1_16scan_by_key_implILNS1_25lookback_scan_determinismE0ELb1ES3_N6thrust23THRUST_200600_302600_NS6detail15normal_iteratorINS9_10device_ptrIiEEEESE_SE_iNS9_4plusIvEENS9_8equal_toIvEEiEE10hipError_tPvRmT2_T3_T4_T5_mT6_T7_P12ihipStream_tbENKUlT_T0_E_clISt17integral_constantIbLb0EESZ_EEDaSU_SV_EUlSU_E_NS1_11comp_targetILNS1_3genE2ELNS1_11target_archE906ELNS1_3gpuE6ELNS1_3repE0EEENS1_30default_config_static_selectorELNS0_4arch9wavefront6targetE0EEEvT1_.uses_vcc, 0
	.set _ZN7rocprim17ROCPRIM_400000_NS6detail17trampoline_kernelINS0_14default_configENS1_27scan_by_key_config_selectorIiiEEZZNS1_16scan_by_key_implILNS1_25lookback_scan_determinismE0ELb1ES3_N6thrust23THRUST_200600_302600_NS6detail15normal_iteratorINS9_10device_ptrIiEEEESE_SE_iNS9_4plusIvEENS9_8equal_toIvEEiEE10hipError_tPvRmT2_T3_T4_T5_mT6_T7_P12ihipStream_tbENKUlT_T0_E_clISt17integral_constantIbLb0EESZ_EEDaSU_SV_EUlSU_E_NS1_11comp_targetILNS1_3genE2ELNS1_11target_archE906ELNS1_3gpuE6ELNS1_3repE0EEENS1_30default_config_static_selectorELNS0_4arch9wavefront6targetE0EEEvT1_.uses_flat_scratch, 0
	.set _ZN7rocprim17ROCPRIM_400000_NS6detail17trampoline_kernelINS0_14default_configENS1_27scan_by_key_config_selectorIiiEEZZNS1_16scan_by_key_implILNS1_25lookback_scan_determinismE0ELb1ES3_N6thrust23THRUST_200600_302600_NS6detail15normal_iteratorINS9_10device_ptrIiEEEESE_SE_iNS9_4plusIvEENS9_8equal_toIvEEiEE10hipError_tPvRmT2_T3_T4_T5_mT6_T7_P12ihipStream_tbENKUlT_T0_E_clISt17integral_constantIbLb0EESZ_EEDaSU_SV_EUlSU_E_NS1_11comp_targetILNS1_3genE2ELNS1_11target_archE906ELNS1_3gpuE6ELNS1_3repE0EEENS1_30default_config_static_selectorELNS0_4arch9wavefront6targetE0EEEvT1_.has_dyn_sized_stack, 0
	.set _ZN7rocprim17ROCPRIM_400000_NS6detail17trampoline_kernelINS0_14default_configENS1_27scan_by_key_config_selectorIiiEEZZNS1_16scan_by_key_implILNS1_25lookback_scan_determinismE0ELb1ES3_N6thrust23THRUST_200600_302600_NS6detail15normal_iteratorINS9_10device_ptrIiEEEESE_SE_iNS9_4plusIvEENS9_8equal_toIvEEiEE10hipError_tPvRmT2_T3_T4_T5_mT6_T7_P12ihipStream_tbENKUlT_T0_E_clISt17integral_constantIbLb0EESZ_EEDaSU_SV_EUlSU_E_NS1_11comp_targetILNS1_3genE2ELNS1_11target_archE906ELNS1_3gpuE6ELNS1_3repE0EEENS1_30default_config_static_selectorELNS0_4arch9wavefront6targetE0EEEvT1_.has_recursion, 0
	.set _ZN7rocprim17ROCPRIM_400000_NS6detail17trampoline_kernelINS0_14default_configENS1_27scan_by_key_config_selectorIiiEEZZNS1_16scan_by_key_implILNS1_25lookback_scan_determinismE0ELb1ES3_N6thrust23THRUST_200600_302600_NS6detail15normal_iteratorINS9_10device_ptrIiEEEESE_SE_iNS9_4plusIvEENS9_8equal_toIvEEiEE10hipError_tPvRmT2_T3_T4_T5_mT6_T7_P12ihipStream_tbENKUlT_T0_E_clISt17integral_constantIbLb0EESZ_EEDaSU_SV_EUlSU_E_NS1_11comp_targetILNS1_3genE2ELNS1_11target_archE906ELNS1_3gpuE6ELNS1_3repE0EEENS1_30default_config_static_selectorELNS0_4arch9wavefront6targetE0EEEvT1_.has_indirect_call, 0
	.section	.AMDGPU.csdata,"",@progbits
; Kernel info:
; codeLenInByte = 0
; TotalNumSgprs: 0
; NumVgprs: 0
; ScratchSize: 0
; MemoryBound: 0
; FloatMode: 240
; IeeeMode: 1
; LDSByteSize: 0 bytes/workgroup (compile time only)
; SGPRBlocks: 0
; VGPRBlocks: 0
; NumSGPRsForWavesPerEU: 1
; NumVGPRsForWavesPerEU: 1
; Occupancy: 16
; WaveLimiterHint : 0
; COMPUTE_PGM_RSRC2:SCRATCH_EN: 0
; COMPUTE_PGM_RSRC2:USER_SGPR: 6
; COMPUTE_PGM_RSRC2:TRAP_HANDLER: 0
; COMPUTE_PGM_RSRC2:TGID_X_EN: 1
; COMPUTE_PGM_RSRC2:TGID_Y_EN: 0
; COMPUTE_PGM_RSRC2:TGID_Z_EN: 0
; COMPUTE_PGM_RSRC2:TIDIG_COMP_CNT: 0
	.section	.text._ZN7rocprim17ROCPRIM_400000_NS6detail17trampoline_kernelINS0_14default_configENS1_27scan_by_key_config_selectorIiiEEZZNS1_16scan_by_key_implILNS1_25lookback_scan_determinismE0ELb1ES3_N6thrust23THRUST_200600_302600_NS6detail15normal_iteratorINS9_10device_ptrIiEEEESE_SE_iNS9_4plusIvEENS9_8equal_toIvEEiEE10hipError_tPvRmT2_T3_T4_T5_mT6_T7_P12ihipStream_tbENKUlT_T0_E_clISt17integral_constantIbLb0EESZ_EEDaSU_SV_EUlSU_E_NS1_11comp_targetILNS1_3genE10ELNS1_11target_archE1200ELNS1_3gpuE4ELNS1_3repE0EEENS1_30default_config_static_selectorELNS0_4arch9wavefront6targetE0EEEvT1_,"axG",@progbits,_ZN7rocprim17ROCPRIM_400000_NS6detail17trampoline_kernelINS0_14default_configENS1_27scan_by_key_config_selectorIiiEEZZNS1_16scan_by_key_implILNS1_25lookback_scan_determinismE0ELb1ES3_N6thrust23THRUST_200600_302600_NS6detail15normal_iteratorINS9_10device_ptrIiEEEESE_SE_iNS9_4plusIvEENS9_8equal_toIvEEiEE10hipError_tPvRmT2_T3_T4_T5_mT6_T7_P12ihipStream_tbENKUlT_T0_E_clISt17integral_constantIbLb0EESZ_EEDaSU_SV_EUlSU_E_NS1_11comp_targetILNS1_3genE10ELNS1_11target_archE1200ELNS1_3gpuE4ELNS1_3repE0EEENS1_30default_config_static_selectorELNS0_4arch9wavefront6targetE0EEEvT1_,comdat
	.protected	_ZN7rocprim17ROCPRIM_400000_NS6detail17trampoline_kernelINS0_14default_configENS1_27scan_by_key_config_selectorIiiEEZZNS1_16scan_by_key_implILNS1_25lookback_scan_determinismE0ELb1ES3_N6thrust23THRUST_200600_302600_NS6detail15normal_iteratorINS9_10device_ptrIiEEEESE_SE_iNS9_4plusIvEENS9_8equal_toIvEEiEE10hipError_tPvRmT2_T3_T4_T5_mT6_T7_P12ihipStream_tbENKUlT_T0_E_clISt17integral_constantIbLb0EESZ_EEDaSU_SV_EUlSU_E_NS1_11comp_targetILNS1_3genE10ELNS1_11target_archE1200ELNS1_3gpuE4ELNS1_3repE0EEENS1_30default_config_static_selectorELNS0_4arch9wavefront6targetE0EEEvT1_ ; -- Begin function _ZN7rocprim17ROCPRIM_400000_NS6detail17trampoline_kernelINS0_14default_configENS1_27scan_by_key_config_selectorIiiEEZZNS1_16scan_by_key_implILNS1_25lookback_scan_determinismE0ELb1ES3_N6thrust23THRUST_200600_302600_NS6detail15normal_iteratorINS9_10device_ptrIiEEEESE_SE_iNS9_4plusIvEENS9_8equal_toIvEEiEE10hipError_tPvRmT2_T3_T4_T5_mT6_T7_P12ihipStream_tbENKUlT_T0_E_clISt17integral_constantIbLb0EESZ_EEDaSU_SV_EUlSU_E_NS1_11comp_targetILNS1_3genE10ELNS1_11target_archE1200ELNS1_3gpuE4ELNS1_3repE0EEENS1_30default_config_static_selectorELNS0_4arch9wavefront6targetE0EEEvT1_
	.globl	_ZN7rocprim17ROCPRIM_400000_NS6detail17trampoline_kernelINS0_14default_configENS1_27scan_by_key_config_selectorIiiEEZZNS1_16scan_by_key_implILNS1_25lookback_scan_determinismE0ELb1ES3_N6thrust23THRUST_200600_302600_NS6detail15normal_iteratorINS9_10device_ptrIiEEEESE_SE_iNS9_4plusIvEENS9_8equal_toIvEEiEE10hipError_tPvRmT2_T3_T4_T5_mT6_T7_P12ihipStream_tbENKUlT_T0_E_clISt17integral_constantIbLb0EESZ_EEDaSU_SV_EUlSU_E_NS1_11comp_targetILNS1_3genE10ELNS1_11target_archE1200ELNS1_3gpuE4ELNS1_3repE0EEENS1_30default_config_static_selectorELNS0_4arch9wavefront6targetE0EEEvT1_
	.p2align	8
	.type	_ZN7rocprim17ROCPRIM_400000_NS6detail17trampoline_kernelINS0_14default_configENS1_27scan_by_key_config_selectorIiiEEZZNS1_16scan_by_key_implILNS1_25lookback_scan_determinismE0ELb1ES3_N6thrust23THRUST_200600_302600_NS6detail15normal_iteratorINS9_10device_ptrIiEEEESE_SE_iNS9_4plusIvEENS9_8equal_toIvEEiEE10hipError_tPvRmT2_T3_T4_T5_mT6_T7_P12ihipStream_tbENKUlT_T0_E_clISt17integral_constantIbLb0EESZ_EEDaSU_SV_EUlSU_E_NS1_11comp_targetILNS1_3genE10ELNS1_11target_archE1200ELNS1_3gpuE4ELNS1_3repE0EEENS1_30default_config_static_selectorELNS0_4arch9wavefront6targetE0EEEvT1_,@function
_ZN7rocprim17ROCPRIM_400000_NS6detail17trampoline_kernelINS0_14default_configENS1_27scan_by_key_config_selectorIiiEEZZNS1_16scan_by_key_implILNS1_25lookback_scan_determinismE0ELb1ES3_N6thrust23THRUST_200600_302600_NS6detail15normal_iteratorINS9_10device_ptrIiEEEESE_SE_iNS9_4plusIvEENS9_8equal_toIvEEiEE10hipError_tPvRmT2_T3_T4_T5_mT6_T7_P12ihipStream_tbENKUlT_T0_E_clISt17integral_constantIbLb0EESZ_EEDaSU_SV_EUlSU_E_NS1_11comp_targetILNS1_3genE10ELNS1_11target_archE1200ELNS1_3gpuE4ELNS1_3repE0EEENS1_30default_config_static_selectorELNS0_4arch9wavefront6targetE0EEEvT1_: ; @_ZN7rocprim17ROCPRIM_400000_NS6detail17trampoline_kernelINS0_14default_configENS1_27scan_by_key_config_selectorIiiEEZZNS1_16scan_by_key_implILNS1_25lookback_scan_determinismE0ELb1ES3_N6thrust23THRUST_200600_302600_NS6detail15normal_iteratorINS9_10device_ptrIiEEEESE_SE_iNS9_4plusIvEENS9_8equal_toIvEEiEE10hipError_tPvRmT2_T3_T4_T5_mT6_T7_P12ihipStream_tbENKUlT_T0_E_clISt17integral_constantIbLb0EESZ_EEDaSU_SV_EUlSU_E_NS1_11comp_targetILNS1_3genE10ELNS1_11target_archE1200ELNS1_3gpuE4ELNS1_3repE0EEENS1_30default_config_static_selectorELNS0_4arch9wavefront6targetE0EEEvT1_
; %bb.0:
	.section	.rodata,"a",@progbits
	.p2align	6, 0x0
	.amdhsa_kernel _ZN7rocprim17ROCPRIM_400000_NS6detail17trampoline_kernelINS0_14default_configENS1_27scan_by_key_config_selectorIiiEEZZNS1_16scan_by_key_implILNS1_25lookback_scan_determinismE0ELb1ES3_N6thrust23THRUST_200600_302600_NS6detail15normal_iteratorINS9_10device_ptrIiEEEESE_SE_iNS9_4plusIvEENS9_8equal_toIvEEiEE10hipError_tPvRmT2_T3_T4_T5_mT6_T7_P12ihipStream_tbENKUlT_T0_E_clISt17integral_constantIbLb0EESZ_EEDaSU_SV_EUlSU_E_NS1_11comp_targetILNS1_3genE10ELNS1_11target_archE1200ELNS1_3gpuE4ELNS1_3repE0EEENS1_30default_config_static_selectorELNS0_4arch9wavefront6targetE0EEEvT1_
		.amdhsa_group_segment_fixed_size 0
		.amdhsa_private_segment_fixed_size 0
		.amdhsa_kernarg_size 112
		.amdhsa_user_sgpr_count 6
		.amdhsa_user_sgpr_private_segment_buffer 1
		.amdhsa_user_sgpr_dispatch_ptr 0
		.amdhsa_user_sgpr_queue_ptr 0
		.amdhsa_user_sgpr_kernarg_segment_ptr 1
		.amdhsa_user_sgpr_dispatch_id 0
		.amdhsa_user_sgpr_flat_scratch_init 0
		.amdhsa_user_sgpr_private_segment_size 0
		.amdhsa_wavefront_size32 1
		.amdhsa_uses_dynamic_stack 0
		.amdhsa_system_sgpr_private_segment_wavefront_offset 0
		.amdhsa_system_sgpr_workgroup_id_x 1
		.amdhsa_system_sgpr_workgroup_id_y 0
		.amdhsa_system_sgpr_workgroup_id_z 0
		.amdhsa_system_sgpr_workgroup_info 0
		.amdhsa_system_vgpr_workitem_id 0
		.amdhsa_next_free_vgpr 1
		.amdhsa_next_free_sgpr 1
		.amdhsa_reserve_vcc 0
		.amdhsa_reserve_flat_scratch 0
		.amdhsa_float_round_mode_32 0
		.amdhsa_float_round_mode_16_64 0
		.amdhsa_float_denorm_mode_32 3
		.amdhsa_float_denorm_mode_16_64 3
		.amdhsa_dx10_clamp 1
		.amdhsa_ieee_mode 1
		.amdhsa_fp16_overflow 0
		.amdhsa_workgroup_processor_mode 1
		.amdhsa_memory_ordered 1
		.amdhsa_forward_progress 1
		.amdhsa_shared_vgpr_count 0
		.amdhsa_exception_fp_ieee_invalid_op 0
		.amdhsa_exception_fp_denorm_src 0
		.amdhsa_exception_fp_ieee_div_zero 0
		.amdhsa_exception_fp_ieee_overflow 0
		.amdhsa_exception_fp_ieee_underflow 0
		.amdhsa_exception_fp_ieee_inexact 0
		.amdhsa_exception_int_div_zero 0
	.end_amdhsa_kernel
	.section	.text._ZN7rocprim17ROCPRIM_400000_NS6detail17trampoline_kernelINS0_14default_configENS1_27scan_by_key_config_selectorIiiEEZZNS1_16scan_by_key_implILNS1_25lookback_scan_determinismE0ELb1ES3_N6thrust23THRUST_200600_302600_NS6detail15normal_iteratorINS9_10device_ptrIiEEEESE_SE_iNS9_4plusIvEENS9_8equal_toIvEEiEE10hipError_tPvRmT2_T3_T4_T5_mT6_T7_P12ihipStream_tbENKUlT_T0_E_clISt17integral_constantIbLb0EESZ_EEDaSU_SV_EUlSU_E_NS1_11comp_targetILNS1_3genE10ELNS1_11target_archE1200ELNS1_3gpuE4ELNS1_3repE0EEENS1_30default_config_static_selectorELNS0_4arch9wavefront6targetE0EEEvT1_,"axG",@progbits,_ZN7rocprim17ROCPRIM_400000_NS6detail17trampoline_kernelINS0_14default_configENS1_27scan_by_key_config_selectorIiiEEZZNS1_16scan_by_key_implILNS1_25lookback_scan_determinismE0ELb1ES3_N6thrust23THRUST_200600_302600_NS6detail15normal_iteratorINS9_10device_ptrIiEEEESE_SE_iNS9_4plusIvEENS9_8equal_toIvEEiEE10hipError_tPvRmT2_T3_T4_T5_mT6_T7_P12ihipStream_tbENKUlT_T0_E_clISt17integral_constantIbLb0EESZ_EEDaSU_SV_EUlSU_E_NS1_11comp_targetILNS1_3genE10ELNS1_11target_archE1200ELNS1_3gpuE4ELNS1_3repE0EEENS1_30default_config_static_selectorELNS0_4arch9wavefront6targetE0EEEvT1_,comdat
.Lfunc_end467:
	.size	_ZN7rocprim17ROCPRIM_400000_NS6detail17trampoline_kernelINS0_14default_configENS1_27scan_by_key_config_selectorIiiEEZZNS1_16scan_by_key_implILNS1_25lookback_scan_determinismE0ELb1ES3_N6thrust23THRUST_200600_302600_NS6detail15normal_iteratorINS9_10device_ptrIiEEEESE_SE_iNS9_4plusIvEENS9_8equal_toIvEEiEE10hipError_tPvRmT2_T3_T4_T5_mT6_T7_P12ihipStream_tbENKUlT_T0_E_clISt17integral_constantIbLb0EESZ_EEDaSU_SV_EUlSU_E_NS1_11comp_targetILNS1_3genE10ELNS1_11target_archE1200ELNS1_3gpuE4ELNS1_3repE0EEENS1_30default_config_static_selectorELNS0_4arch9wavefront6targetE0EEEvT1_, .Lfunc_end467-_ZN7rocprim17ROCPRIM_400000_NS6detail17trampoline_kernelINS0_14default_configENS1_27scan_by_key_config_selectorIiiEEZZNS1_16scan_by_key_implILNS1_25lookback_scan_determinismE0ELb1ES3_N6thrust23THRUST_200600_302600_NS6detail15normal_iteratorINS9_10device_ptrIiEEEESE_SE_iNS9_4plusIvEENS9_8equal_toIvEEiEE10hipError_tPvRmT2_T3_T4_T5_mT6_T7_P12ihipStream_tbENKUlT_T0_E_clISt17integral_constantIbLb0EESZ_EEDaSU_SV_EUlSU_E_NS1_11comp_targetILNS1_3genE10ELNS1_11target_archE1200ELNS1_3gpuE4ELNS1_3repE0EEENS1_30default_config_static_selectorELNS0_4arch9wavefront6targetE0EEEvT1_
                                        ; -- End function
	.set _ZN7rocprim17ROCPRIM_400000_NS6detail17trampoline_kernelINS0_14default_configENS1_27scan_by_key_config_selectorIiiEEZZNS1_16scan_by_key_implILNS1_25lookback_scan_determinismE0ELb1ES3_N6thrust23THRUST_200600_302600_NS6detail15normal_iteratorINS9_10device_ptrIiEEEESE_SE_iNS9_4plusIvEENS9_8equal_toIvEEiEE10hipError_tPvRmT2_T3_T4_T5_mT6_T7_P12ihipStream_tbENKUlT_T0_E_clISt17integral_constantIbLb0EESZ_EEDaSU_SV_EUlSU_E_NS1_11comp_targetILNS1_3genE10ELNS1_11target_archE1200ELNS1_3gpuE4ELNS1_3repE0EEENS1_30default_config_static_selectorELNS0_4arch9wavefront6targetE0EEEvT1_.num_vgpr, 0
	.set _ZN7rocprim17ROCPRIM_400000_NS6detail17trampoline_kernelINS0_14default_configENS1_27scan_by_key_config_selectorIiiEEZZNS1_16scan_by_key_implILNS1_25lookback_scan_determinismE0ELb1ES3_N6thrust23THRUST_200600_302600_NS6detail15normal_iteratorINS9_10device_ptrIiEEEESE_SE_iNS9_4plusIvEENS9_8equal_toIvEEiEE10hipError_tPvRmT2_T3_T4_T5_mT6_T7_P12ihipStream_tbENKUlT_T0_E_clISt17integral_constantIbLb0EESZ_EEDaSU_SV_EUlSU_E_NS1_11comp_targetILNS1_3genE10ELNS1_11target_archE1200ELNS1_3gpuE4ELNS1_3repE0EEENS1_30default_config_static_selectorELNS0_4arch9wavefront6targetE0EEEvT1_.num_agpr, 0
	.set _ZN7rocprim17ROCPRIM_400000_NS6detail17trampoline_kernelINS0_14default_configENS1_27scan_by_key_config_selectorIiiEEZZNS1_16scan_by_key_implILNS1_25lookback_scan_determinismE0ELb1ES3_N6thrust23THRUST_200600_302600_NS6detail15normal_iteratorINS9_10device_ptrIiEEEESE_SE_iNS9_4plusIvEENS9_8equal_toIvEEiEE10hipError_tPvRmT2_T3_T4_T5_mT6_T7_P12ihipStream_tbENKUlT_T0_E_clISt17integral_constantIbLb0EESZ_EEDaSU_SV_EUlSU_E_NS1_11comp_targetILNS1_3genE10ELNS1_11target_archE1200ELNS1_3gpuE4ELNS1_3repE0EEENS1_30default_config_static_selectorELNS0_4arch9wavefront6targetE0EEEvT1_.numbered_sgpr, 0
	.set _ZN7rocprim17ROCPRIM_400000_NS6detail17trampoline_kernelINS0_14default_configENS1_27scan_by_key_config_selectorIiiEEZZNS1_16scan_by_key_implILNS1_25lookback_scan_determinismE0ELb1ES3_N6thrust23THRUST_200600_302600_NS6detail15normal_iteratorINS9_10device_ptrIiEEEESE_SE_iNS9_4plusIvEENS9_8equal_toIvEEiEE10hipError_tPvRmT2_T3_T4_T5_mT6_T7_P12ihipStream_tbENKUlT_T0_E_clISt17integral_constantIbLb0EESZ_EEDaSU_SV_EUlSU_E_NS1_11comp_targetILNS1_3genE10ELNS1_11target_archE1200ELNS1_3gpuE4ELNS1_3repE0EEENS1_30default_config_static_selectorELNS0_4arch9wavefront6targetE0EEEvT1_.num_named_barrier, 0
	.set _ZN7rocprim17ROCPRIM_400000_NS6detail17trampoline_kernelINS0_14default_configENS1_27scan_by_key_config_selectorIiiEEZZNS1_16scan_by_key_implILNS1_25lookback_scan_determinismE0ELb1ES3_N6thrust23THRUST_200600_302600_NS6detail15normal_iteratorINS9_10device_ptrIiEEEESE_SE_iNS9_4plusIvEENS9_8equal_toIvEEiEE10hipError_tPvRmT2_T3_T4_T5_mT6_T7_P12ihipStream_tbENKUlT_T0_E_clISt17integral_constantIbLb0EESZ_EEDaSU_SV_EUlSU_E_NS1_11comp_targetILNS1_3genE10ELNS1_11target_archE1200ELNS1_3gpuE4ELNS1_3repE0EEENS1_30default_config_static_selectorELNS0_4arch9wavefront6targetE0EEEvT1_.private_seg_size, 0
	.set _ZN7rocprim17ROCPRIM_400000_NS6detail17trampoline_kernelINS0_14default_configENS1_27scan_by_key_config_selectorIiiEEZZNS1_16scan_by_key_implILNS1_25lookback_scan_determinismE0ELb1ES3_N6thrust23THRUST_200600_302600_NS6detail15normal_iteratorINS9_10device_ptrIiEEEESE_SE_iNS9_4plusIvEENS9_8equal_toIvEEiEE10hipError_tPvRmT2_T3_T4_T5_mT6_T7_P12ihipStream_tbENKUlT_T0_E_clISt17integral_constantIbLb0EESZ_EEDaSU_SV_EUlSU_E_NS1_11comp_targetILNS1_3genE10ELNS1_11target_archE1200ELNS1_3gpuE4ELNS1_3repE0EEENS1_30default_config_static_selectorELNS0_4arch9wavefront6targetE0EEEvT1_.uses_vcc, 0
	.set _ZN7rocprim17ROCPRIM_400000_NS6detail17trampoline_kernelINS0_14default_configENS1_27scan_by_key_config_selectorIiiEEZZNS1_16scan_by_key_implILNS1_25lookback_scan_determinismE0ELb1ES3_N6thrust23THRUST_200600_302600_NS6detail15normal_iteratorINS9_10device_ptrIiEEEESE_SE_iNS9_4plusIvEENS9_8equal_toIvEEiEE10hipError_tPvRmT2_T3_T4_T5_mT6_T7_P12ihipStream_tbENKUlT_T0_E_clISt17integral_constantIbLb0EESZ_EEDaSU_SV_EUlSU_E_NS1_11comp_targetILNS1_3genE10ELNS1_11target_archE1200ELNS1_3gpuE4ELNS1_3repE0EEENS1_30default_config_static_selectorELNS0_4arch9wavefront6targetE0EEEvT1_.uses_flat_scratch, 0
	.set _ZN7rocprim17ROCPRIM_400000_NS6detail17trampoline_kernelINS0_14default_configENS1_27scan_by_key_config_selectorIiiEEZZNS1_16scan_by_key_implILNS1_25lookback_scan_determinismE0ELb1ES3_N6thrust23THRUST_200600_302600_NS6detail15normal_iteratorINS9_10device_ptrIiEEEESE_SE_iNS9_4plusIvEENS9_8equal_toIvEEiEE10hipError_tPvRmT2_T3_T4_T5_mT6_T7_P12ihipStream_tbENKUlT_T0_E_clISt17integral_constantIbLb0EESZ_EEDaSU_SV_EUlSU_E_NS1_11comp_targetILNS1_3genE10ELNS1_11target_archE1200ELNS1_3gpuE4ELNS1_3repE0EEENS1_30default_config_static_selectorELNS0_4arch9wavefront6targetE0EEEvT1_.has_dyn_sized_stack, 0
	.set _ZN7rocprim17ROCPRIM_400000_NS6detail17trampoline_kernelINS0_14default_configENS1_27scan_by_key_config_selectorIiiEEZZNS1_16scan_by_key_implILNS1_25lookback_scan_determinismE0ELb1ES3_N6thrust23THRUST_200600_302600_NS6detail15normal_iteratorINS9_10device_ptrIiEEEESE_SE_iNS9_4plusIvEENS9_8equal_toIvEEiEE10hipError_tPvRmT2_T3_T4_T5_mT6_T7_P12ihipStream_tbENKUlT_T0_E_clISt17integral_constantIbLb0EESZ_EEDaSU_SV_EUlSU_E_NS1_11comp_targetILNS1_3genE10ELNS1_11target_archE1200ELNS1_3gpuE4ELNS1_3repE0EEENS1_30default_config_static_selectorELNS0_4arch9wavefront6targetE0EEEvT1_.has_recursion, 0
	.set _ZN7rocprim17ROCPRIM_400000_NS6detail17trampoline_kernelINS0_14default_configENS1_27scan_by_key_config_selectorIiiEEZZNS1_16scan_by_key_implILNS1_25lookback_scan_determinismE0ELb1ES3_N6thrust23THRUST_200600_302600_NS6detail15normal_iteratorINS9_10device_ptrIiEEEESE_SE_iNS9_4plusIvEENS9_8equal_toIvEEiEE10hipError_tPvRmT2_T3_T4_T5_mT6_T7_P12ihipStream_tbENKUlT_T0_E_clISt17integral_constantIbLb0EESZ_EEDaSU_SV_EUlSU_E_NS1_11comp_targetILNS1_3genE10ELNS1_11target_archE1200ELNS1_3gpuE4ELNS1_3repE0EEENS1_30default_config_static_selectorELNS0_4arch9wavefront6targetE0EEEvT1_.has_indirect_call, 0
	.section	.AMDGPU.csdata,"",@progbits
; Kernel info:
; codeLenInByte = 0
; TotalNumSgprs: 0
; NumVgprs: 0
; ScratchSize: 0
; MemoryBound: 0
; FloatMode: 240
; IeeeMode: 1
; LDSByteSize: 0 bytes/workgroup (compile time only)
; SGPRBlocks: 0
; VGPRBlocks: 0
; NumSGPRsForWavesPerEU: 1
; NumVGPRsForWavesPerEU: 1
; Occupancy: 16
; WaveLimiterHint : 0
; COMPUTE_PGM_RSRC2:SCRATCH_EN: 0
; COMPUTE_PGM_RSRC2:USER_SGPR: 6
; COMPUTE_PGM_RSRC2:TRAP_HANDLER: 0
; COMPUTE_PGM_RSRC2:TGID_X_EN: 1
; COMPUTE_PGM_RSRC2:TGID_Y_EN: 0
; COMPUTE_PGM_RSRC2:TGID_Z_EN: 0
; COMPUTE_PGM_RSRC2:TIDIG_COMP_CNT: 0
	.section	.text._ZN7rocprim17ROCPRIM_400000_NS6detail17trampoline_kernelINS0_14default_configENS1_27scan_by_key_config_selectorIiiEEZZNS1_16scan_by_key_implILNS1_25lookback_scan_determinismE0ELb1ES3_N6thrust23THRUST_200600_302600_NS6detail15normal_iteratorINS9_10device_ptrIiEEEESE_SE_iNS9_4plusIvEENS9_8equal_toIvEEiEE10hipError_tPvRmT2_T3_T4_T5_mT6_T7_P12ihipStream_tbENKUlT_T0_E_clISt17integral_constantIbLb0EESZ_EEDaSU_SV_EUlSU_E_NS1_11comp_targetILNS1_3genE9ELNS1_11target_archE1100ELNS1_3gpuE3ELNS1_3repE0EEENS1_30default_config_static_selectorELNS0_4arch9wavefront6targetE0EEEvT1_,"axG",@progbits,_ZN7rocprim17ROCPRIM_400000_NS6detail17trampoline_kernelINS0_14default_configENS1_27scan_by_key_config_selectorIiiEEZZNS1_16scan_by_key_implILNS1_25lookback_scan_determinismE0ELb1ES3_N6thrust23THRUST_200600_302600_NS6detail15normal_iteratorINS9_10device_ptrIiEEEESE_SE_iNS9_4plusIvEENS9_8equal_toIvEEiEE10hipError_tPvRmT2_T3_T4_T5_mT6_T7_P12ihipStream_tbENKUlT_T0_E_clISt17integral_constantIbLb0EESZ_EEDaSU_SV_EUlSU_E_NS1_11comp_targetILNS1_3genE9ELNS1_11target_archE1100ELNS1_3gpuE3ELNS1_3repE0EEENS1_30default_config_static_selectorELNS0_4arch9wavefront6targetE0EEEvT1_,comdat
	.protected	_ZN7rocprim17ROCPRIM_400000_NS6detail17trampoline_kernelINS0_14default_configENS1_27scan_by_key_config_selectorIiiEEZZNS1_16scan_by_key_implILNS1_25lookback_scan_determinismE0ELb1ES3_N6thrust23THRUST_200600_302600_NS6detail15normal_iteratorINS9_10device_ptrIiEEEESE_SE_iNS9_4plusIvEENS9_8equal_toIvEEiEE10hipError_tPvRmT2_T3_T4_T5_mT6_T7_P12ihipStream_tbENKUlT_T0_E_clISt17integral_constantIbLb0EESZ_EEDaSU_SV_EUlSU_E_NS1_11comp_targetILNS1_3genE9ELNS1_11target_archE1100ELNS1_3gpuE3ELNS1_3repE0EEENS1_30default_config_static_selectorELNS0_4arch9wavefront6targetE0EEEvT1_ ; -- Begin function _ZN7rocprim17ROCPRIM_400000_NS6detail17trampoline_kernelINS0_14default_configENS1_27scan_by_key_config_selectorIiiEEZZNS1_16scan_by_key_implILNS1_25lookback_scan_determinismE0ELb1ES3_N6thrust23THRUST_200600_302600_NS6detail15normal_iteratorINS9_10device_ptrIiEEEESE_SE_iNS9_4plusIvEENS9_8equal_toIvEEiEE10hipError_tPvRmT2_T3_T4_T5_mT6_T7_P12ihipStream_tbENKUlT_T0_E_clISt17integral_constantIbLb0EESZ_EEDaSU_SV_EUlSU_E_NS1_11comp_targetILNS1_3genE9ELNS1_11target_archE1100ELNS1_3gpuE3ELNS1_3repE0EEENS1_30default_config_static_selectorELNS0_4arch9wavefront6targetE0EEEvT1_
	.globl	_ZN7rocprim17ROCPRIM_400000_NS6detail17trampoline_kernelINS0_14default_configENS1_27scan_by_key_config_selectorIiiEEZZNS1_16scan_by_key_implILNS1_25lookback_scan_determinismE0ELb1ES3_N6thrust23THRUST_200600_302600_NS6detail15normal_iteratorINS9_10device_ptrIiEEEESE_SE_iNS9_4plusIvEENS9_8equal_toIvEEiEE10hipError_tPvRmT2_T3_T4_T5_mT6_T7_P12ihipStream_tbENKUlT_T0_E_clISt17integral_constantIbLb0EESZ_EEDaSU_SV_EUlSU_E_NS1_11comp_targetILNS1_3genE9ELNS1_11target_archE1100ELNS1_3gpuE3ELNS1_3repE0EEENS1_30default_config_static_selectorELNS0_4arch9wavefront6targetE0EEEvT1_
	.p2align	8
	.type	_ZN7rocprim17ROCPRIM_400000_NS6detail17trampoline_kernelINS0_14default_configENS1_27scan_by_key_config_selectorIiiEEZZNS1_16scan_by_key_implILNS1_25lookback_scan_determinismE0ELb1ES3_N6thrust23THRUST_200600_302600_NS6detail15normal_iteratorINS9_10device_ptrIiEEEESE_SE_iNS9_4plusIvEENS9_8equal_toIvEEiEE10hipError_tPvRmT2_T3_T4_T5_mT6_T7_P12ihipStream_tbENKUlT_T0_E_clISt17integral_constantIbLb0EESZ_EEDaSU_SV_EUlSU_E_NS1_11comp_targetILNS1_3genE9ELNS1_11target_archE1100ELNS1_3gpuE3ELNS1_3repE0EEENS1_30default_config_static_selectorELNS0_4arch9wavefront6targetE0EEEvT1_,@function
_ZN7rocprim17ROCPRIM_400000_NS6detail17trampoline_kernelINS0_14default_configENS1_27scan_by_key_config_selectorIiiEEZZNS1_16scan_by_key_implILNS1_25lookback_scan_determinismE0ELb1ES3_N6thrust23THRUST_200600_302600_NS6detail15normal_iteratorINS9_10device_ptrIiEEEESE_SE_iNS9_4plusIvEENS9_8equal_toIvEEiEE10hipError_tPvRmT2_T3_T4_T5_mT6_T7_P12ihipStream_tbENKUlT_T0_E_clISt17integral_constantIbLb0EESZ_EEDaSU_SV_EUlSU_E_NS1_11comp_targetILNS1_3genE9ELNS1_11target_archE1100ELNS1_3gpuE3ELNS1_3repE0EEENS1_30default_config_static_selectorELNS0_4arch9wavefront6targetE0EEEvT1_: ; @_ZN7rocprim17ROCPRIM_400000_NS6detail17trampoline_kernelINS0_14default_configENS1_27scan_by_key_config_selectorIiiEEZZNS1_16scan_by_key_implILNS1_25lookback_scan_determinismE0ELb1ES3_N6thrust23THRUST_200600_302600_NS6detail15normal_iteratorINS9_10device_ptrIiEEEESE_SE_iNS9_4plusIvEENS9_8equal_toIvEEiEE10hipError_tPvRmT2_T3_T4_T5_mT6_T7_P12ihipStream_tbENKUlT_T0_E_clISt17integral_constantIbLb0EESZ_EEDaSU_SV_EUlSU_E_NS1_11comp_targetILNS1_3genE9ELNS1_11target_archE1100ELNS1_3gpuE3ELNS1_3repE0EEENS1_30default_config_static_selectorELNS0_4arch9wavefront6targetE0EEEvT1_
; %bb.0:
	.section	.rodata,"a",@progbits
	.p2align	6, 0x0
	.amdhsa_kernel _ZN7rocprim17ROCPRIM_400000_NS6detail17trampoline_kernelINS0_14default_configENS1_27scan_by_key_config_selectorIiiEEZZNS1_16scan_by_key_implILNS1_25lookback_scan_determinismE0ELb1ES3_N6thrust23THRUST_200600_302600_NS6detail15normal_iteratorINS9_10device_ptrIiEEEESE_SE_iNS9_4plusIvEENS9_8equal_toIvEEiEE10hipError_tPvRmT2_T3_T4_T5_mT6_T7_P12ihipStream_tbENKUlT_T0_E_clISt17integral_constantIbLb0EESZ_EEDaSU_SV_EUlSU_E_NS1_11comp_targetILNS1_3genE9ELNS1_11target_archE1100ELNS1_3gpuE3ELNS1_3repE0EEENS1_30default_config_static_selectorELNS0_4arch9wavefront6targetE0EEEvT1_
		.amdhsa_group_segment_fixed_size 0
		.amdhsa_private_segment_fixed_size 0
		.amdhsa_kernarg_size 112
		.amdhsa_user_sgpr_count 6
		.amdhsa_user_sgpr_private_segment_buffer 1
		.amdhsa_user_sgpr_dispatch_ptr 0
		.amdhsa_user_sgpr_queue_ptr 0
		.amdhsa_user_sgpr_kernarg_segment_ptr 1
		.amdhsa_user_sgpr_dispatch_id 0
		.amdhsa_user_sgpr_flat_scratch_init 0
		.amdhsa_user_sgpr_private_segment_size 0
		.amdhsa_wavefront_size32 1
		.amdhsa_uses_dynamic_stack 0
		.amdhsa_system_sgpr_private_segment_wavefront_offset 0
		.amdhsa_system_sgpr_workgroup_id_x 1
		.amdhsa_system_sgpr_workgroup_id_y 0
		.amdhsa_system_sgpr_workgroup_id_z 0
		.amdhsa_system_sgpr_workgroup_info 0
		.amdhsa_system_vgpr_workitem_id 0
		.amdhsa_next_free_vgpr 1
		.amdhsa_next_free_sgpr 1
		.amdhsa_reserve_vcc 0
		.amdhsa_reserve_flat_scratch 0
		.amdhsa_float_round_mode_32 0
		.amdhsa_float_round_mode_16_64 0
		.amdhsa_float_denorm_mode_32 3
		.amdhsa_float_denorm_mode_16_64 3
		.amdhsa_dx10_clamp 1
		.amdhsa_ieee_mode 1
		.amdhsa_fp16_overflow 0
		.amdhsa_workgroup_processor_mode 1
		.amdhsa_memory_ordered 1
		.amdhsa_forward_progress 1
		.amdhsa_shared_vgpr_count 0
		.amdhsa_exception_fp_ieee_invalid_op 0
		.amdhsa_exception_fp_denorm_src 0
		.amdhsa_exception_fp_ieee_div_zero 0
		.amdhsa_exception_fp_ieee_overflow 0
		.amdhsa_exception_fp_ieee_underflow 0
		.amdhsa_exception_fp_ieee_inexact 0
		.amdhsa_exception_int_div_zero 0
	.end_amdhsa_kernel
	.section	.text._ZN7rocprim17ROCPRIM_400000_NS6detail17trampoline_kernelINS0_14default_configENS1_27scan_by_key_config_selectorIiiEEZZNS1_16scan_by_key_implILNS1_25lookback_scan_determinismE0ELb1ES3_N6thrust23THRUST_200600_302600_NS6detail15normal_iteratorINS9_10device_ptrIiEEEESE_SE_iNS9_4plusIvEENS9_8equal_toIvEEiEE10hipError_tPvRmT2_T3_T4_T5_mT6_T7_P12ihipStream_tbENKUlT_T0_E_clISt17integral_constantIbLb0EESZ_EEDaSU_SV_EUlSU_E_NS1_11comp_targetILNS1_3genE9ELNS1_11target_archE1100ELNS1_3gpuE3ELNS1_3repE0EEENS1_30default_config_static_selectorELNS0_4arch9wavefront6targetE0EEEvT1_,"axG",@progbits,_ZN7rocprim17ROCPRIM_400000_NS6detail17trampoline_kernelINS0_14default_configENS1_27scan_by_key_config_selectorIiiEEZZNS1_16scan_by_key_implILNS1_25lookback_scan_determinismE0ELb1ES3_N6thrust23THRUST_200600_302600_NS6detail15normal_iteratorINS9_10device_ptrIiEEEESE_SE_iNS9_4plusIvEENS9_8equal_toIvEEiEE10hipError_tPvRmT2_T3_T4_T5_mT6_T7_P12ihipStream_tbENKUlT_T0_E_clISt17integral_constantIbLb0EESZ_EEDaSU_SV_EUlSU_E_NS1_11comp_targetILNS1_3genE9ELNS1_11target_archE1100ELNS1_3gpuE3ELNS1_3repE0EEENS1_30default_config_static_selectorELNS0_4arch9wavefront6targetE0EEEvT1_,comdat
.Lfunc_end468:
	.size	_ZN7rocprim17ROCPRIM_400000_NS6detail17trampoline_kernelINS0_14default_configENS1_27scan_by_key_config_selectorIiiEEZZNS1_16scan_by_key_implILNS1_25lookback_scan_determinismE0ELb1ES3_N6thrust23THRUST_200600_302600_NS6detail15normal_iteratorINS9_10device_ptrIiEEEESE_SE_iNS9_4plusIvEENS9_8equal_toIvEEiEE10hipError_tPvRmT2_T3_T4_T5_mT6_T7_P12ihipStream_tbENKUlT_T0_E_clISt17integral_constantIbLb0EESZ_EEDaSU_SV_EUlSU_E_NS1_11comp_targetILNS1_3genE9ELNS1_11target_archE1100ELNS1_3gpuE3ELNS1_3repE0EEENS1_30default_config_static_selectorELNS0_4arch9wavefront6targetE0EEEvT1_, .Lfunc_end468-_ZN7rocprim17ROCPRIM_400000_NS6detail17trampoline_kernelINS0_14default_configENS1_27scan_by_key_config_selectorIiiEEZZNS1_16scan_by_key_implILNS1_25lookback_scan_determinismE0ELb1ES3_N6thrust23THRUST_200600_302600_NS6detail15normal_iteratorINS9_10device_ptrIiEEEESE_SE_iNS9_4plusIvEENS9_8equal_toIvEEiEE10hipError_tPvRmT2_T3_T4_T5_mT6_T7_P12ihipStream_tbENKUlT_T0_E_clISt17integral_constantIbLb0EESZ_EEDaSU_SV_EUlSU_E_NS1_11comp_targetILNS1_3genE9ELNS1_11target_archE1100ELNS1_3gpuE3ELNS1_3repE0EEENS1_30default_config_static_selectorELNS0_4arch9wavefront6targetE0EEEvT1_
                                        ; -- End function
	.set _ZN7rocprim17ROCPRIM_400000_NS6detail17trampoline_kernelINS0_14default_configENS1_27scan_by_key_config_selectorIiiEEZZNS1_16scan_by_key_implILNS1_25lookback_scan_determinismE0ELb1ES3_N6thrust23THRUST_200600_302600_NS6detail15normal_iteratorINS9_10device_ptrIiEEEESE_SE_iNS9_4plusIvEENS9_8equal_toIvEEiEE10hipError_tPvRmT2_T3_T4_T5_mT6_T7_P12ihipStream_tbENKUlT_T0_E_clISt17integral_constantIbLb0EESZ_EEDaSU_SV_EUlSU_E_NS1_11comp_targetILNS1_3genE9ELNS1_11target_archE1100ELNS1_3gpuE3ELNS1_3repE0EEENS1_30default_config_static_selectorELNS0_4arch9wavefront6targetE0EEEvT1_.num_vgpr, 0
	.set _ZN7rocprim17ROCPRIM_400000_NS6detail17trampoline_kernelINS0_14default_configENS1_27scan_by_key_config_selectorIiiEEZZNS1_16scan_by_key_implILNS1_25lookback_scan_determinismE0ELb1ES3_N6thrust23THRUST_200600_302600_NS6detail15normal_iteratorINS9_10device_ptrIiEEEESE_SE_iNS9_4plusIvEENS9_8equal_toIvEEiEE10hipError_tPvRmT2_T3_T4_T5_mT6_T7_P12ihipStream_tbENKUlT_T0_E_clISt17integral_constantIbLb0EESZ_EEDaSU_SV_EUlSU_E_NS1_11comp_targetILNS1_3genE9ELNS1_11target_archE1100ELNS1_3gpuE3ELNS1_3repE0EEENS1_30default_config_static_selectorELNS0_4arch9wavefront6targetE0EEEvT1_.num_agpr, 0
	.set _ZN7rocprim17ROCPRIM_400000_NS6detail17trampoline_kernelINS0_14default_configENS1_27scan_by_key_config_selectorIiiEEZZNS1_16scan_by_key_implILNS1_25lookback_scan_determinismE0ELb1ES3_N6thrust23THRUST_200600_302600_NS6detail15normal_iteratorINS9_10device_ptrIiEEEESE_SE_iNS9_4plusIvEENS9_8equal_toIvEEiEE10hipError_tPvRmT2_T3_T4_T5_mT6_T7_P12ihipStream_tbENKUlT_T0_E_clISt17integral_constantIbLb0EESZ_EEDaSU_SV_EUlSU_E_NS1_11comp_targetILNS1_3genE9ELNS1_11target_archE1100ELNS1_3gpuE3ELNS1_3repE0EEENS1_30default_config_static_selectorELNS0_4arch9wavefront6targetE0EEEvT1_.numbered_sgpr, 0
	.set _ZN7rocprim17ROCPRIM_400000_NS6detail17trampoline_kernelINS0_14default_configENS1_27scan_by_key_config_selectorIiiEEZZNS1_16scan_by_key_implILNS1_25lookback_scan_determinismE0ELb1ES3_N6thrust23THRUST_200600_302600_NS6detail15normal_iteratorINS9_10device_ptrIiEEEESE_SE_iNS9_4plusIvEENS9_8equal_toIvEEiEE10hipError_tPvRmT2_T3_T4_T5_mT6_T7_P12ihipStream_tbENKUlT_T0_E_clISt17integral_constantIbLb0EESZ_EEDaSU_SV_EUlSU_E_NS1_11comp_targetILNS1_3genE9ELNS1_11target_archE1100ELNS1_3gpuE3ELNS1_3repE0EEENS1_30default_config_static_selectorELNS0_4arch9wavefront6targetE0EEEvT1_.num_named_barrier, 0
	.set _ZN7rocprim17ROCPRIM_400000_NS6detail17trampoline_kernelINS0_14default_configENS1_27scan_by_key_config_selectorIiiEEZZNS1_16scan_by_key_implILNS1_25lookback_scan_determinismE0ELb1ES3_N6thrust23THRUST_200600_302600_NS6detail15normal_iteratorINS9_10device_ptrIiEEEESE_SE_iNS9_4plusIvEENS9_8equal_toIvEEiEE10hipError_tPvRmT2_T3_T4_T5_mT6_T7_P12ihipStream_tbENKUlT_T0_E_clISt17integral_constantIbLb0EESZ_EEDaSU_SV_EUlSU_E_NS1_11comp_targetILNS1_3genE9ELNS1_11target_archE1100ELNS1_3gpuE3ELNS1_3repE0EEENS1_30default_config_static_selectorELNS0_4arch9wavefront6targetE0EEEvT1_.private_seg_size, 0
	.set _ZN7rocprim17ROCPRIM_400000_NS6detail17trampoline_kernelINS0_14default_configENS1_27scan_by_key_config_selectorIiiEEZZNS1_16scan_by_key_implILNS1_25lookback_scan_determinismE0ELb1ES3_N6thrust23THRUST_200600_302600_NS6detail15normal_iteratorINS9_10device_ptrIiEEEESE_SE_iNS9_4plusIvEENS9_8equal_toIvEEiEE10hipError_tPvRmT2_T3_T4_T5_mT6_T7_P12ihipStream_tbENKUlT_T0_E_clISt17integral_constantIbLb0EESZ_EEDaSU_SV_EUlSU_E_NS1_11comp_targetILNS1_3genE9ELNS1_11target_archE1100ELNS1_3gpuE3ELNS1_3repE0EEENS1_30default_config_static_selectorELNS0_4arch9wavefront6targetE0EEEvT1_.uses_vcc, 0
	.set _ZN7rocprim17ROCPRIM_400000_NS6detail17trampoline_kernelINS0_14default_configENS1_27scan_by_key_config_selectorIiiEEZZNS1_16scan_by_key_implILNS1_25lookback_scan_determinismE0ELb1ES3_N6thrust23THRUST_200600_302600_NS6detail15normal_iteratorINS9_10device_ptrIiEEEESE_SE_iNS9_4plusIvEENS9_8equal_toIvEEiEE10hipError_tPvRmT2_T3_T4_T5_mT6_T7_P12ihipStream_tbENKUlT_T0_E_clISt17integral_constantIbLb0EESZ_EEDaSU_SV_EUlSU_E_NS1_11comp_targetILNS1_3genE9ELNS1_11target_archE1100ELNS1_3gpuE3ELNS1_3repE0EEENS1_30default_config_static_selectorELNS0_4arch9wavefront6targetE0EEEvT1_.uses_flat_scratch, 0
	.set _ZN7rocprim17ROCPRIM_400000_NS6detail17trampoline_kernelINS0_14default_configENS1_27scan_by_key_config_selectorIiiEEZZNS1_16scan_by_key_implILNS1_25lookback_scan_determinismE0ELb1ES3_N6thrust23THRUST_200600_302600_NS6detail15normal_iteratorINS9_10device_ptrIiEEEESE_SE_iNS9_4plusIvEENS9_8equal_toIvEEiEE10hipError_tPvRmT2_T3_T4_T5_mT6_T7_P12ihipStream_tbENKUlT_T0_E_clISt17integral_constantIbLb0EESZ_EEDaSU_SV_EUlSU_E_NS1_11comp_targetILNS1_3genE9ELNS1_11target_archE1100ELNS1_3gpuE3ELNS1_3repE0EEENS1_30default_config_static_selectorELNS0_4arch9wavefront6targetE0EEEvT1_.has_dyn_sized_stack, 0
	.set _ZN7rocprim17ROCPRIM_400000_NS6detail17trampoline_kernelINS0_14default_configENS1_27scan_by_key_config_selectorIiiEEZZNS1_16scan_by_key_implILNS1_25lookback_scan_determinismE0ELb1ES3_N6thrust23THRUST_200600_302600_NS6detail15normal_iteratorINS9_10device_ptrIiEEEESE_SE_iNS9_4plusIvEENS9_8equal_toIvEEiEE10hipError_tPvRmT2_T3_T4_T5_mT6_T7_P12ihipStream_tbENKUlT_T0_E_clISt17integral_constantIbLb0EESZ_EEDaSU_SV_EUlSU_E_NS1_11comp_targetILNS1_3genE9ELNS1_11target_archE1100ELNS1_3gpuE3ELNS1_3repE0EEENS1_30default_config_static_selectorELNS0_4arch9wavefront6targetE0EEEvT1_.has_recursion, 0
	.set _ZN7rocprim17ROCPRIM_400000_NS6detail17trampoline_kernelINS0_14default_configENS1_27scan_by_key_config_selectorIiiEEZZNS1_16scan_by_key_implILNS1_25lookback_scan_determinismE0ELb1ES3_N6thrust23THRUST_200600_302600_NS6detail15normal_iteratorINS9_10device_ptrIiEEEESE_SE_iNS9_4plusIvEENS9_8equal_toIvEEiEE10hipError_tPvRmT2_T3_T4_T5_mT6_T7_P12ihipStream_tbENKUlT_T0_E_clISt17integral_constantIbLb0EESZ_EEDaSU_SV_EUlSU_E_NS1_11comp_targetILNS1_3genE9ELNS1_11target_archE1100ELNS1_3gpuE3ELNS1_3repE0EEENS1_30default_config_static_selectorELNS0_4arch9wavefront6targetE0EEEvT1_.has_indirect_call, 0
	.section	.AMDGPU.csdata,"",@progbits
; Kernel info:
; codeLenInByte = 0
; TotalNumSgprs: 0
; NumVgprs: 0
; ScratchSize: 0
; MemoryBound: 0
; FloatMode: 240
; IeeeMode: 1
; LDSByteSize: 0 bytes/workgroup (compile time only)
; SGPRBlocks: 0
; VGPRBlocks: 0
; NumSGPRsForWavesPerEU: 1
; NumVGPRsForWavesPerEU: 1
; Occupancy: 16
; WaveLimiterHint : 0
; COMPUTE_PGM_RSRC2:SCRATCH_EN: 0
; COMPUTE_PGM_RSRC2:USER_SGPR: 6
; COMPUTE_PGM_RSRC2:TRAP_HANDLER: 0
; COMPUTE_PGM_RSRC2:TGID_X_EN: 1
; COMPUTE_PGM_RSRC2:TGID_Y_EN: 0
; COMPUTE_PGM_RSRC2:TGID_Z_EN: 0
; COMPUTE_PGM_RSRC2:TIDIG_COMP_CNT: 0
	.section	.text._ZN7rocprim17ROCPRIM_400000_NS6detail17trampoline_kernelINS0_14default_configENS1_27scan_by_key_config_selectorIiiEEZZNS1_16scan_by_key_implILNS1_25lookback_scan_determinismE0ELb1ES3_N6thrust23THRUST_200600_302600_NS6detail15normal_iteratorINS9_10device_ptrIiEEEESE_SE_iNS9_4plusIvEENS9_8equal_toIvEEiEE10hipError_tPvRmT2_T3_T4_T5_mT6_T7_P12ihipStream_tbENKUlT_T0_E_clISt17integral_constantIbLb0EESZ_EEDaSU_SV_EUlSU_E_NS1_11comp_targetILNS1_3genE8ELNS1_11target_archE1030ELNS1_3gpuE2ELNS1_3repE0EEENS1_30default_config_static_selectorELNS0_4arch9wavefront6targetE0EEEvT1_,"axG",@progbits,_ZN7rocprim17ROCPRIM_400000_NS6detail17trampoline_kernelINS0_14default_configENS1_27scan_by_key_config_selectorIiiEEZZNS1_16scan_by_key_implILNS1_25lookback_scan_determinismE0ELb1ES3_N6thrust23THRUST_200600_302600_NS6detail15normal_iteratorINS9_10device_ptrIiEEEESE_SE_iNS9_4plusIvEENS9_8equal_toIvEEiEE10hipError_tPvRmT2_T3_T4_T5_mT6_T7_P12ihipStream_tbENKUlT_T0_E_clISt17integral_constantIbLb0EESZ_EEDaSU_SV_EUlSU_E_NS1_11comp_targetILNS1_3genE8ELNS1_11target_archE1030ELNS1_3gpuE2ELNS1_3repE0EEENS1_30default_config_static_selectorELNS0_4arch9wavefront6targetE0EEEvT1_,comdat
	.protected	_ZN7rocprim17ROCPRIM_400000_NS6detail17trampoline_kernelINS0_14default_configENS1_27scan_by_key_config_selectorIiiEEZZNS1_16scan_by_key_implILNS1_25lookback_scan_determinismE0ELb1ES3_N6thrust23THRUST_200600_302600_NS6detail15normal_iteratorINS9_10device_ptrIiEEEESE_SE_iNS9_4plusIvEENS9_8equal_toIvEEiEE10hipError_tPvRmT2_T3_T4_T5_mT6_T7_P12ihipStream_tbENKUlT_T0_E_clISt17integral_constantIbLb0EESZ_EEDaSU_SV_EUlSU_E_NS1_11comp_targetILNS1_3genE8ELNS1_11target_archE1030ELNS1_3gpuE2ELNS1_3repE0EEENS1_30default_config_static_selectorELNS0_4arch9wavefront6targetE0EEEvT1_ ; -- Begin function _ZN7rocprim17ROCPRIM_400000_NS6detail17trampoline_kernelINS0_14default_configENS1_27scan_by_key_config_selectorIiiEEZZNS1_16scan_by_key_implILNS1_25lookback_scan_determinismE0ELb1ES3_N6thrust23THRUST_200600_302600_NS6detail15normal_iteratorINS9_10device_ptrIiEEEESE_SE_iNS9_4plusIvEENS9_8equal_toIvEEiEE10hipError_tPvRmT2_T3_T4_T5_mT6_T7_P12ihipStream_tbENKUlT_T0_E_clISt17integral_constantIbLb0EESZ_EEDaSU_SV_EUlSU_E_NS1_11comp_targetILNS1_3genE8ELNS1_11target_archE1030ELNS1_3gpuE2ELNS1_3repE0EEENS1_30default_config_static_selectorELNS0_4arch9wavefront6targetE0EEEvT1_
	.globl	_ZN7rocprim17ROCPRIM_400000_NS6detail17trampoline_kernelINS0_14default_configENS1_27scan_by_key_config_selectorIiiEEZZNS1_16scan_by_key_implILNS1_25lookback_scan_determinismE0ELb1ES3_N6thrust23THRUST_200600_302600_NS6detail15normal_iteratorINS9_10device_ptrIiEEEESE_SE_iNS9_4plusIvEENS9_8equal_toIvEEiEE10hipError_tPvRmT2_T3_T4_T5_mT6_T7_P12ihipStream_tbENKUlT_T0_E_clISt17integral_constantIbLb0EESZ_EEDaSU_SV_EUlSU_E_NS1_11comp_targetILNS1_3genE8ELNS1_11target_archE1030ELNS1_3gpuE2ELNS1_3repE0EEENS1_30default_config_static_selectorELNS0_4arch9wavefront6targetE0EEEvT1_
	.p2align	8
	.type	_ZN7rocprim17ROCPRIM_400000_NS6detail17trampoline_kernelINS0_14default_configENS1_27scan_by_key_config_selectorIiiEEZZNS1_16scan_by_key_implILNS1_25lookback_scan_determinismE0ELb1ES3_N6thrust23THRUST_200600_302600_NS6detail15normal_iteratorINS9_10device_ptrIiEEEESE_SE_iNS9_4plusIvEENS9_8equal_toIvEEiEE10hipError_tPvRmT2_T3_T4_T5_mT6_T7_P12ihipStream_tbENKUlT_T0_E_clISt17integral_constantIbLb0EESZ_EEDaSU_SV_EUlSU_E_NS1_11comp_targetILNS1_3genE8ELNS1_11target_archE1030ELNS1_3gpuE2ELNS1_3repE0EEENS1_30default_config_static_selectorELNS0_4arch9wavefront6targetE0EEEvT1_,@function
_ZN7rocprim17ROCPRIM_400000_NS6detail17trampoline_kernelINS0_14default_configENS1_27scan_by_key_config_selectorIiiEEZZNS1_16scan_by_key_implILNS1_25lookback_scan_determinismE0ELb1ES3_N6thrust23THRUST_200600_302600_NS6detail15normal_iteratorINS9_10device_ptrIiEEEESE_SE_iNS9_4plusIvEENS9_8equal_toIvEEiEE10hipError_tPvRmT2_T3_T4_T5_mT6_T7_P12ihipStream_tbENKUlT_T0_E_clISt17integral_constantIbLb0EESZ_EEDaSU_SV_EUlSU_E_NS1_11comp_targetILNS1_3genE8ELNS1_11target_archE1030ELNS1_3gpuE2ELNS1_3repE0EEENS1_30default_config_static_selectorELNS0_4arch9wavefront6targetE0EEEvT1_: ; @_ZN7rocprim17ROCPRIM_400000_NS6detail17trampoline_kernelINS0_14default_configENS1_27scan_by_key_config_selectorIiiEEZZNS1_16scan_by_key_implILNS1_25lookback_scan_determinismE0ELb1ES3_N6thrust23THRUST_200600_302600_NS6detail15normal_iteratorINS9_10device_ptrIiEEEESE_SE_iNS9_4plusIvEENS9_8equal_toIvEEiEE10hipError_tPvRmT2_T3_T4_T5_mT6_T7_P12ihipStream_tbENKUlT_T0_E_clISt17integral_constantIbLb0EESZ_EEDaSU_SV_EUlSU_E_NS1_11comp_targetILNS1_3genE8ELNS1_11target_archE1030ELNS1_3gpuE2ELNS1_3repE0EEENS1_30default_config_static_selectorELNS0_4arch9wavefront6targetE0EEEvT1_
; %bb.0:
	s_clause 0x5
	s_load_dwordx8 s[8:15], s[4:5], 0x0
	s_load_dwordx2 s[24:25], s[4:5], 0x38
	s_load_dword s2, s[4:5], 0x40
	s_load_dwordx4 s[20:23], s[4:5], 0x48
	s_load_dword s26, s[4:5], 0x20
	s_load_dwordx4 s[16:19], s[4:5], 0x28
	s_mov_b32 s1, 0
	s_mul_i32 s0, s6, 0x300
	s_waitcnt lgkmcnt(0)
	s_barrier
	buffer_gl0_inv
	s_lshl_b64 s[4:5], s[10:11], 2
	s_add_u32 s10, s8, s4
	s_addc_u32 s11, s9, s5
	s_mul_i32 s3, s25, s2
	s_mul_hi_u32 s7, s24, s2
	s_add_u32 s12, s12, s4
	s_addc_u32 s13, s13, s5
	s_lshl_b64 s[8:9], s[0:1], 2
	s_add_i32 s7, s7, s3
	s_add_u32 s10, s10, s8
	s_addc_u32 s11, s11, s9
	s_mul_i32 s0, s24, s2
	s_add_u32 s3, s12, s8
	s_addc_u32 s13, s13, s9
	s_add_u32 s28, s0, s6
	s_addc_u32 s29, s7, 0
	s_add_u32 s20, s20, -1
	s_addc_u32 s21, s21, -1
	s_mul_i32 s12, s20, 0xfffffd00
	v_cmp_ge_u64_e64 s7, s[28:29], s[20:21]
	s_and_b32 vcc_lo, exec_lo, s7
	s_cbranch_vccz .LBB469_20
; %bb.1:
	v_mov_b32_e32 v1, s10
	v_mov_b32_e32 v2, s11
	s_add_i32 s19, s12, s18
	v_cmp_gt_u32_e32 vcc_lo, s19, v0
	flat_load_dword v1, v[1:2]
	s_waitcnt vmcnt(0) lgkmcnt(0)
	v_mov_b32_e32 v2, v1
	s_and_saveexec_b32 s0, vcc_lo
	s_cbranch_execz .LBB469_3
; %bb.2:
	v_lshlrev_b32_e32 v2, 2, v0
	v_add_co_u32 v2, s1, s10, v2
	v_add_co_ci_u32_e64 v3, null, s11, 0, s1
	flat_load_dword v2, v[2:3]
.LBB469_3:
	s_or_b32 exec_lo, exec_lo, s0
	v_or_b32_e32 v3, 0x100, v0
	v_cmp_gt_u32_e64 s0, s19, v3
	v_mov_b32_e32 v3, v1
	s_and_saveexec_b32 s1, s0
	s_cbranch_execz .LBB469_5
; %bb.4:
	v_lshlrev_b32_e32 v3, 2, v0
	v_add_co_u32 v3, s2, s10, v3
	v_add_co_ci_u32_e64 v4, null, s11, 0, s2
	flat_load_dword v3, v[3:4] offset:1024
.LBB469_5:
	s_or_b32 exec_lo, exec_lo, s1
	v_or_b32_e32 v4, 0x200, v0
	v_cmp_gt_u32_e64 s1, s19, v4
	v_lshlrev_b32_e32 v9, 2, v4
	s_and_saveexec_b32 s2, s1
	s_cbranch_execz .LBB469_7
; %bb.6:
	v_add_co_u32 v4, s20, s10, v9
	v_add_co_ci_u32_e64 v5, null, s11, 0, s20
	flat_load_dword v1, v[4:5]
.LBB469_7:
	s_or_b32 exec_lo, exec_lo, s2
	v_mov_b32_e32 v4, s10
	v_lshlrev_b32_e32 v10, 2, v0
	v_mov_b32_e32 v5, s11
	s_mov_b32 s20, exec_lo
	s_waitcnt vmcnt(0) lgkmcnt(0)
	ds_write2st64_b32 v10, v2, v3 offset1:4
	ds_write_b32 v10, v1 offset:2048
	s_waitcnt lgkmcnt(0)
	s_barrier
	buffer_gl0_inv
	flat_load_dword v8, v[4:5]
	v_lshlrev_b32_e32 v1, 3, v0
	v_add_nc_u32_e32 v6, v10, v1
	ds_read_b32 v7, v6
	ds_read2_b32 v[4:5], v6 offset0:1 offset1:2
	s_waitcnt lgkmcnt(1)
	ds_write_b32 v10, v7 offset:4096
	s_waitcnt vmcnt(0) lgkmcnt(0)
	s_barrier
	buffer_gl0_inv
	v_cmpx_ne_u32_e32 0xff, v0
; %bb.8:
	v_sub_nc_u32_e32 v1, 0, v1
	v_add_nc_u32_e32 v1, v6, v1
	ds_read_b32 v8, v1 offset:4100
; %bb.9:
	s_or_b32 exec_lo, exec_lo, s20
	v_mov_b32_e32 v1, 0
	s_waitcnt lgkmcnt(0)
	s_barrier
	buffer_gl0_inv
	v_mov_b32_e32 v2, v1
	v_mov_b32_e32 v3, v1
	s_and_saveexec_b32 s2, vcc_lo
	s_cbranch_execnz .LBB469_90
; %bb.10:
	s_or_b32 exec_lo, exec_lo, s2
	s_and_saveexec_b32 s2, s0
	s_cbranch_execnz .LBB469_91
.LBB469_11:
	s_or_b32 exec_lo, exec_lo, s2
	v_mul_u32_u24_e32 v13, 3, v0
	s_and_saveexec_b32 s0, s1
	s_cbranch_execz .LBB469_13
.LBB469_12:
	v_add_co_u32 v11, s1, s3, v9
	v_add_co_ci_u32_e64 v12, null, s13, 0, s1
	flat_load_dword v3, v[11:12]
.LBB469_13:
	s_or_b32 exec_lo, exec_lo, s0
	s_waitcnt vmcnt(0) lgkmcnt(0)
	ds_write2st64_b32 v10, v1, v2 offset1:4
	ds_write_b32 v10, v3 offset:2048
	v_mov_b32_e32 v9, 0
	v_mov_b32_e32 v1, 0
	;; [unrolled: 1-line block ×6, first 2 shown]
	s_mov_b32 s2, 0
	s_mov_b32 s1, 0
	s_mov_b32 s20, exec_lo
	s_waitcnt lgkmcnt(0)
	s_barrier
	buffer_gl0_inv
                                        ; implicit-def: $sgpr0
                                        ; implicit-def: $vgpr3
	v_cmpx_gt_u32_e64 s19, v13
	s_cbranch_execz .LBB469_19
; %bb.14:
	ds_read_b32 v3, v6
	v_cmp_ne_u32_e32 vcc_lo, v7, v4
	v_mov_b32_e32 v1, 0
	v_add_nc_u32_e32 v11, 1, v13
	v_mov_b32_e32 v2, 0
	s_mov_b32 s21, 0
	v_cndmask_b32_e64 v10, 0, 1, vcc_lo
	v_cmp_eq_u32_e32 vcc_lo, v7, v4
	s_mov_b32 s1, exec_lo
                                        ; implicit-def: $sgpr0
	s_waitcnt lgkmcnt(0)
	v_cndmask_b32_e32 v9, s26, v3, vcc_lo
                                        ; implicit-def: $vgpr3
	v_cmpx_gt_u32_e64 s19, v11
	s_cbranch_execz .LBB469_18
; %bb.15:
	ds_read2_b32 v[6:7], v6 offset0:1 offset1:2
	v_cmp_ne_u32_e32 vcc_lo, v4, v5
	v_add_nc_u32_e32 v3, 2, v13
                                        ; implicit-def: $sgpr0
	v_cndmask_b32_e64 v2, 0, 1, vcc_lo
	v_cmp_eq_u32_e32 vcc_lo, v4, v5
	s_waitcnt lgkmcnt(0)
	v_cndmask_b32_e32 v1, s26, v6, vcc_lo
	v_cmp_gt_u32_e32 vcc_lo, s19, v3
	s_mov_b32 s19, 0
                                        ; implicit-def: $vgpr3
	s_and_saveexec_b32 s21, vcc_lo
	s_xor_b32 s21, exec_lo, s21
; %bb.16:
	v_cmp_ne_u32_e64 s0, v5, v8
	s_mov_b32 s19, exec_lo
	v_cndmask_b32_e64 v3, v7, s26, s0
; %bb.17:
	s_or_b32 exec_lo, exec_lo, s21
	s_and_b32 s21, s19, exec_lo
.LBB469_18:
	s_or_b32 exec_lo, exec_lo, s1
	v_mov_b32_e32 v12, v2
	v_mov_b32_e32 v11, v1
	s_and_b32 s1, s21, exec_lo
.LBB469_19:
	s_or_b32 exec_lo, exec_lo, s20
	v_lshlrev_b32_e32 v18, 2, v0
	v_lshlrev_b32_e32 v19, 3, v0
	s_and_b32 vcc_lo, exec_lo, s2
	s_cbranch_vccnz .LBB469_21
	s_branch .LBB469_24
.LBB469_20:
                                        ; implicit-def: $sgpr0
                                        ; implicit-def: $vgpr3
                                        ; implicit-def: $vgpr9_vgpr10
                                        ; implicit-def: $vgpr1_vgpr2
                                        ; implicit-def: $vgpr11_vgpr12
	v_lshlrev_b32_e32 v18, 2, v0
	v_lshlrev_b32_e32 v19, 3, v0
	s_cbranch_execz .LBB469_24
.LBB469_21:
	v_add_co_u32 v1, s0, s10, v18
	v_add_co_ci_u32_e64 v2, null, s11, 0, s0
	v_add_co_u32 v3, vcc_lo, 0x800, v1
	v_add_co_ci_u32_e64 v4, null, 0, v2, vcc_lo
	s_clause 0x2
	flat_load_dword v5, v[1:2]
	flat_load_dword v6, v[1:2] offset:1024
	flat_load_dword v3, v[3:4]
	v_add_co_u32 v1, s0, 0x800, s10
	v_add_co_ci_u32_e64 v2, null, 0, s11, s0
	s_mov_b32 s0, exec_lo
	s_waitcnt vmcnt(1) lgkmcnt(1)
	ds_write2st64_b32 v18, v5, v6 offset1:4
	s_waitcnt vmcnt(0) lgkmcnt(1)
	ds_write_b32 v18, v3 offset:2048
	s_waitcnt lgkmcnt(0)
	s_barrier
	buffer_gl0_inv
	flat_load_dword v5, v[1:2] offset:1024
	v_add_nc_u32_e32 v1, v18, v19
	ds_read_b32 v6, v1
	ds_read2_b32 v[3:4], v1 offset0:1 offset1:2
	s_waitcnt lgkmcnt(1)
	ds_write_b32 v18, v6 offset:4096
	s_waitcnt vmcnt(0) lgkmcnt(0)
	s_barrier
	buffer_gl0_inv
	v_cmpx_ne_u32_e32 0xff, v0
; %bb.22:
	v_sub_nc_u32_e32 v2, 0, v19
	v_add_nc_u32_e32 v2, v1, v2
	ds_read_b32 v5, v2 offset:4100
; %bb.23:
	s_or_b32 exec_lo, exec_lo, s0
	v_add_co_u32 v7, s0, s3, v18
	v_add_co_ci_u32_e64 v8, null, s13, 0, s0
	s_waitcnt lgkmcnt(0)
	v_add_co_u32 v9, vcc_lo, 0x800, v7
	v_add_co_ci_u32_e64 v10, null, 0, v8, vcc_lo
	s_barrier
	buffer_gl0_inv
	s_clause 0x2
	flat_load_dword v2, v[7:8]
	flat_load_dword v7, v[7:8] offset:1024
	flat_load_dword v8, v[9:10]
	v_cmp_eq_u32_e32 vcc_lo, v6, v3
	v_cmp_ne_u32_e64 s0, v4, v5
	s_mov_b32 s1, -1
	s_waitcnt vmcnt(1) lgkmcnt(1)
	ds_write2st64_b32 v18, v2, v7 offset1:4
	s_waitcnt vmcnt(0) lgkmcnt(1)
	ds_write_b32 v18, v8 offset:2048
	s_waitcnt lgkmcnt(0)
	s_barrier
	buffer_gl0_inv
	ds_read2_b32 v[7:8], v1 offset1:1
	ds_read_b32 v11, v1 offset:8
	s_waitcnt lgkmcnt(1)
	v_cndmask_b32_e32 v9, s26, v7, vcc_lo
	v_cmp_eq_u32_e32 vcc_lo, v3, v4
	v_cndmask_b32_e32 v1, s26, v8, vcc_lo
	v_cmp_ne_u32_e32 vcc_lo, v3, v4
	v_cndmask_b32_e64 v2, 0, 1, vcc_lo
	v_cmp_ne_u32_e32 vcc_lo, v6, v3
	s_waitcnt lgkmcnt(0)
	v_cndmask_b32_e64 v3, v11, s26, s0
	v_mov_b32_e32 v12, v2
	v_cndmask_b32_e64 v10, 0, 1, vcc_lo
	v_mov_b32_e32 v11, v1
.LBB469_24:
	v_mov_b32_e32 v13, 0
	v_mov_b32_e32 v14, 0
	s_and_saveexec_b32 s2, s1
; %bb.25:
	v_cndmask_b32_e64 v4, 0, 1, s0
	v_mov_b32_e32 v12, v2
	v_mov_b32_e32 v11, v1
	;; [unrolled: 1-line block ×4, first 2 shown]
; %bb.26:
	s_or_b32 exec_lo, exec_lo, s2
	v_or_b32_e32 v23, v12, v14
	v_mbcnt_lo_u32_b32 v20, -1, 0
	v_lshrrev_b32_e32 v21, 5, v0
	v_or_b32_e32 v22, 31, v0
	s_cmp_lg_u32 s6, 0
	s_mov_b32 s2, 0
	s_barrier
	buffer_gl0_inv
	s_cbranch_scc0 .LBB469_52
; %bb.27:
	v_and_b32_e32 v2, 0xff, v23
	v_mov_b32_e32 v1, 0
	s_mov_b32 s3, 1
	v_cmp_gt_u64_e64 s0, s[2:3], v[11:12]
	v_cmp_eq_u64_e32 vcc_lo, 0, v[1:2]
	v_cndmask_b32_e64 v3, 0, v9, s0
	v_cndmask_b32_e32 v2, 1, v10, vcc_lo
	v_cmp_gt_u64_e32 vcc_lo, s[2:3], v[13:14]
	v_add_nc_u32_e32 v3, v3, v11
	v_and_b32_e32 v4, 0xff, v2
	v_and_b32_e32 v6, 1, v2
	v_cndmask_b32_e32 v3, 0, v3, vcc_lo
	v_mov_b32_dpp v5, v4 row_shr:1 row_mask:0xf bank_mask:0xf
	v_cmp_eq_u32_e32 vcc_lo, 1, v6
	v_and_b32_e32 v6, 15, v20
	v_add_nc_u32_e32 v3, v3, v13
	v_and_b32_e32 v5, 1, v5
	v_mov_b32_dpp v7, v3 row_shr:1 row_mask:0xf bank_mask:0xf
	v_cndmask_b32_e64 v5, v5, 1, vcc_lo
	v_cmp_eq_u16_e32 vcc_lo, 0, v4
	v_and_b32_e32 v8, 0xffff, v5
	v_cndmask_b32_e32 v7, 0, v7, vcc_lo
	v_cmp_eq_u32_e32 vcc_lo, 0, v6
	v_cndmask_b32_e32 v4, v8, v4, vcc_lo
	v_cndmask_b32_e32 v2, v5, v2, vcc_lo
	v_cndmask_b32_e64 v7, v7, 0, vcc_lo
	v_mov_b32_dpp v5, v4 row_shr:2 row_mask:0xf bank_mask:0xf
	v_and_b32_e32 v8, 1, v2
	v_add_nc_u32_e32 v3, v7, v3
	v_cmp_eq_u16_sdwa s2, v2, v1 src0_sel:BYTE_0 src1_sel:DWORD
	v_and_b32_e32 v5, 1, v5
	v_cmp_eq_u32_e32 vcc_lo, 1, v8
	v_cndmask_b32_e64 v5, v5, 1, vcc_lo
	v_cmp_lt_u32_e32 vcc_lo, 1, v6
	v_and_b32_e32 v8, 0xffff, v5
	v_cndmask_b32_e32 v5, v2, v5, vcc_lo
	v_mov_b32_dpp v2, v3 row_shr:2 row_mask:0xf bank_mask:0xf
	v_cndmask_b32_e32 v4, v4, v8, vcc_lo
	v_and_b32_e32 v7, 1, v5
	s_and_b32 vcc_lo, vcc_lo, s2
	v_cndmask_b32_e32 v2, 0, v2, vcc_lo
	v_mov_b32_dpp v8, v4 row_shr:4 row_mask:0xf bank_mask:0xf
	v_cmp_eq_u32_e64 s1, 1, v7
	v_cmp_lt_u32_e32 vcc_lo, 3, v6
	v_add_nc_u32_e32 v2, v2, v3
	v_and_b32_e32 v8, 1, v8
	v_cndmask_b32_e64 v7, v8, 1, s1
	v_cmp_eq_u16_sdwa s1, v5, v1 src0_sel:BYTE_0 src1_sel:DWORD
	v_and_b32_e32 v8, 0xffff, v7
	v_cndmask_b32_e32 v3, v5, v7, vcc_lo
	v_mov_b32_dpp v5, v2 row_shr:4 row_mask:0xf bank_mask:0xf
	v_cndmask_b32_e32 v4, v4, v8, vcc_lo
	s_and_b32 vcc_lo, vcc_lo, s1
	v_and_b32_e32 v8, 1, v3
	v_cndmask_b32_e32 v5, 0, v5, vcc_lo
	v_cmp_eq_u16_sdwa s1, v3, v1 src0_sel:BYTE_0 src1_sel:DWORD
	v_mov_b32_dpp v7, v4 row_shr:8 row_mask:0xf bank_mask:0xf
	v_cmp_eq_u32_e32 vcc_lo, 1, v8
	v_add_nc_u32_e32 v2, v5, v2
	v_and_b32_e32 v7, 1, v7
	v_cndmask_b32_e64 v5, v7, 1, vcc_lo
	v_cmp_lt_u32_e32 vcc_lo, 7, v6
	v_mov_b32_dpp v6, v2 row_shr:8 row_mask:0xf bank_mask:0xf
	s_and_b32 s1, vcc_lo, s1
	v_cndmask_b32_e32 v7, v3, v5, vcc_lo
	v_cndmask_b32_e64 v3, 0, v6, s1
	v_and_b32_e32 v5, 0xffff, v5
	v_and_b32_e32 v6, 16, v20
	v_add_nc_u32_e32 v2, v3, v2
	v_cndmask_b32_e32 v3, v4, v5, vcc_lo
	v_cmp_eq_u16_sdwa vcc_lo, v7, v1 src0_sel:BYTE_0 src1_sel:DWORD
	v_bfe_i32 v5, v20, 4, 1
	v_cmp_eq_u32_e64 s1, 0, v6
	ds_swizzle_b32 v4, v2 offset:swizzle(BROADCAST,32,15)
	ds_swizzle_b32 v3, v3 offset:swizzle(BROADCAST,32,15)
	s_waitcnt lgkmcnt(1)
	v_cndmask_b32_e32 v1, 0, v4, vcc_lo
	v_and_b32_e32 v4, 1, v7
	s_waitcnt lgkmcnt(0)
	v_and_b32_e32 v3, 1, v3
	v_and_b32_e32 v1, v5, v1
	v_cmp_eq_u32_e32 vcc_lo, 1, v4
	v_lshlrev_b32_e32 v5, 3, v21
	v_cndmask_b32_e64 v4, v3, 1, vcc_lo
	v_add_nc_u32_e32 v3, v1, v2
	v_cndmask_b32_e64 v4, v4, v7, s1
	s_mov_b32 s1, exec_lo
	v_cmpx_eq_u32_e64 v0, v22
	s_cbranch_execz .LBB469_29
; %bb.28:
	ds_write_b32 v5, v3
	ds_write_b8 v5, v4 offset:4
.LBB469_29:
	s_or_b32 exec_lo, exec_lo, s1
	s_mov_b32 s1, exec_lo
	s_waitcnt lgkmcnt(0)
	s_barrier
	buffer_gl0_inv
	v_cmpx_gt_u32_e32 8, v0
	s_cbranch_execz .LBB469_35
; %bb.30:
	ds_read_b64 v[1:2], v19
	v_and_b32_e32 v6, 7, v20
	s_mov_b32 s2, exec_lo
	s_waitcnt lgkmcnt(0)
	v_and_b32_e32 v7, 0xffffff00, v2
	v_mov_b32_dpp v15, v1 row_shr:1 row_mask:0xf bank_mask:0xf
	v_mov_b32_dpp v16, v2 row_shr:1 row_mask:0xf bank_mask:0xf
	v_mov_b32_e32 v8, v2
	v_cmpx_ne_u32_e32 0, v6
	s_cbranch_execz .LBB469_32
; %bb.31:
	v_mov_b32_e32 v8, 0
	v_and_b32_e32 v17, 1, v2
	v_and_b32_e32 v16, 1, v16
	v_cmp_eq_u16_sdwa vcc_lo, v2, v8 src0_sel:BYTE_0 src1_sel:DWORD
	v_cndmask_b32_e32 v2, 0, v15, vcc_lo
	v_cmp_eq_u32_e32 vcc_lo, 1, v17
	v_add_nc_u32_e32 v1, v2, v1
	v_cndmask_b32_e64 v15, v16, 1, vcc_lo
	v_or_b32_sdwa v8, v7, v15 dst_sel:DWORD dst_unused:UNUSED_PAD src0_sel:DWORD src1_sel:WORD_0
	v_mov_b32_e32 v2, v15
.LBB469_32:
	s_or_b32 exec_lo, exec_lo, s2
	v_mov_b32_dpp v15, v1 row_shr:2 row_mask:0xf bank_mask:0xf
	v_mov_b32_dpp v16, v8 row_shr:2 row_mask:0xf bank_mask:0xf
	s_mov_b32 s2, exec_lo
	v_cmpx_lt_u32_e32 1, v6
	s_cbranch_execz .LBB469_34
; %bb.33:
	v_mov_b32_e32 v8, 0
	v_and_b32_e32 v17, 1, v2
	v_and_b32_e32 v16, 1, v16
	v_cmp_eq_u16_sdwa vcc_lo, v2, v8 src0_sel:BYTE_0 src1_sel:DWORD
	v_cndmask_b32_e32 v2, 0, v15, vcc_lo
	v_cmp_eq_u32_e32 vcc_lo, 1, v17
	v_add_nc_u32_e32 v1, v2, v1
	v_cndmask_b32_e64 v15, v16, 1, vcc_lo
	v_or_b32_sdwa v8, v7, v15 dst_sel:DWORD dst_unused:UNUSED_PAD src0_sel:DWORD src1_sel:WORD_0
	v_mov_b32_e32 v2, v15
.LBB469_34:
	s_or_b32 exec_lo, exec_lo, s2
	v_mov_b32_dpp v7, v8 row_shr:4 row_mask:0xf bank_mask:0xf
	v_and_b32_e32 v15, 1, v2
	v_mov_b32_e32 v8, 0
	v_and_b32_e32 v7, 1, v7
	v_cmp_eq_u32_e32 vcc_lo, 1, v15
	v_cmp_eq_u16_sdwa s2, v2, v8 src0_sel:BYTE_0 src1_sel:DWORD
	v_cndmask_b32_e64 v7, v7, 1, vcc_lo
	v_cmp_lt_u32_e32 vcc_lo, 3, v6
	v_mov_b32_dpp v6, v1 row_shr:4 row_mask:0xf bank_mask:0xf
	v_cndmask_b32_e32 v2, v2, v7, vcc_lo
	s_and_b32 vcc_lo, vcc_lo, s2
	v_cndmask_b32_e32 v6, 0, v6, vcc_lo
	v_add_nc_u32_e32 v1, v6, v1
	ds_write_b32 v19, v1
	ds_write_b8 v19, v2 offset:4
.LBB469_35:
	s_or_b32 exec_lo, exec_lo, s1
	v_mov_b32_e32 v25, 0
	v_mov_b32_e32 v24, 0
	s_mov_b32 s2, exec_lo
	v_cmp_gt_u32_e32 vcc_lo, 32, v0
	s_waitcnt lgkmcnt(0)
	s_barrier
	buffer_gl0_inv
	v_cmpx_lt_u32_e32 31, v0
	s_cbranch_execz .LBB469_37
; %bb.36:
	v_add_nc_u32_e32 v1, -8, v5
	v_and_b32_e32 v2, 1, v4
	ds_read_b32 v24, v1
	v_add_nc_u32_e32 v1, -4, v5
	ds_read_u8 v25, v1
	v_mov_b32_e32 v1, 0
	v_cmp_eq_u16_sdwa s1, v4, v1 src0_sel:BYTE_0 src1_sel:DWORD
	s_waitcnt lgkmcnt(1)
	v_cndmask_b32_e64 v1, 0, v24, s1
	v_cmp_eq_u32_e64 s1, 1, v2
	v_add_nc_u32_e32 v3, v1, v3
	s_waitcnt lgkmcnt(0)
	v_cndmask_b32_e64 v4, v25, 1, s1
.LBB469_37:
	s_or_b32 exec_lo, exec_lo, s2
	v_sub_co_u32 v1, s1, v20, 1
	v_and_b32_e32 v2, 0xff, v4
	v_cmp_gt_i32_e64 s2, 0, v1
	v_cndmask_b32_e64 v1, v1, v20, s2
	v_lshlrev_b32_e32 v1, 2, v1
	ds_bpermute_b32 v26, v1, v3
	ds_bpermute_b32 v27, v1, v2
	s_and_saveexec_b32 s3, vcc_lo
	s_cbranch_execz .LBB469_57
; %bb.38:
	v_mov_b32_e32 v4, 0
	ds_read_b64 v[1:2], v4 offset:56
	s_and_saveexec_b32 s2, s1
	s_cbranch_execz .LBB469_40
; %bb.39:
	s_add_i32 s10, s6, 32
	s_mov_b32 s11, 0
	v_mov_b32_e32 v3, 1
	s_lshl_b64 s[10:11], s[10:11], 4
	s_add_u32 s10, s16, s10
	s_addc_u32 s11, s17, s11
	v_mov_b32_e32 v5, s10
	v_mov_b32_e32 v6, s11
	s_waitcnt lgkmcnt(0)
	;;#ASMSTART
	global_store_dwordx4 v[5:6], v[1:4] off	
s_waitcnt vmcnt(0)
	;;#ASMEND
.LBB469_40:
	s_or_b32 exec_lo, exec_lo, s2
	v_xad_u32 v15, v20, -1, s6
	s_mov_b32 s10, 0
	v_add_nc_u32_e32 v3, 32, v15
	v_lshlrev_b64 v[5:6], 4, v[3:4]
	v_add_co_u32 v16, vcc_lo, s16, v5
	v_add_co_ci_u32_e64 v17, null, s17, v6, vcc_lo
	;;#ASMSTART
	global_load_dwordx4 v[5:8], v[16:17] off glc dlc	
s_waitcnt vmcnt(0)
	;;#ASMEND
	v_and_b32_e32 v6, 0xff, v6
	v_cmp_eq_u16_sdwa s11, v7, v4 src0_sel:BYTE_0 src1_sel:DWORD
	s_and_saveexec_b32 s2, s11
	s_cbranch_execz .LBB469_44
; %bb.41:
	v_mov_b32_e32 v3, 0
.LBB469_42:                             ; =>This Inner Loop Header: Depth=1
	;;#ASMSTART
	global_load_dwordx4 v[5:8], v[16:17] off glc dlc	
s_waitcnt vmcnt(0)
	;;#ASMEND
	v_cmp_ne_u16_sdwa s11, v7, v3 src0_sel:BYTE_0 src1_sel:DWORD
	s_or_b32 s10, s11, s10
	s_andn2_b32 exec_lo, exec_lo, s10
	s_cbranch_execnz .LBB469_42
; %bb.43:
	s_or_b32 exec_lo, exec_lo, s10
	v_and_b32_e32 v6, 0xff, v6
.LBB469_44:
	s_or_b32 exec_lo, exec_lo, s2
	v_cmp_ne_u32_e32 vcc_lo, 31, v20
	v_mov_b32_e32 v28, 2
	v_lshlrev_b32_e64 v29, v20, -1
	v_and_b32_e32 v8, 1, v6
	s_mov_b32 s10, 0
	v_add_co_ci_u32_e64 v3, null, 0, v20, vcc_lo
	v_cmp_eq_u16_sdwa s2, v7, v28 src0_sel:BYTE_0 src1_sel:DWORD
	v_cmp_eq_u32_e32 vcc_lo, 1, v8
	s_mov_b32 s11, 1
	v_lshlrev_b32_e32 v17, 2, v3
	v_add_nc_u32_e32 v37, 8, v20
	v_and_or_b32 v4, s2, v29, 0x80000000
	v_cmp_gt_u64_e64 s2, s[10:11], v[5:6]
	v_lshl_or_b32 v38, v20, 2, 64
	ds_bpermute_b32 v3, v17, v6
	ds_bpermute_b32 v16, v17, v5
	v_ffbl_b32_e32 v4, v4
	v_add_nc_u32_e32 v39, 16, v20
	s_waitcnt lgkmcnt(1)
	v_and_b32_e32 v3, 1, v3
	v_cndmask_b32_e64 v3, v3, 1, vcc_lo
	v_cmp_gt_u32_e32 vcc_lo, 30, v20
	v_and_b32_e32 v31, 0xffff, v3
	v_cndmask_b32_e64 v8, 0, 2, vcc_lo
	v_cmp_lt_u32_e32 vcc_lo, v20, v4
	v_add_lshl_u32 v30, v8, v20, 2
	v_cndmask_b32_e32 v8, v6, v31, vcc_lo
	v_cndmask_b32_e32 v3, v6, v3, vcc_lo
	s_and_b32 vcc_lo, vcc_lo, s2
	s_waitcnt lgkmcnt(0)
	v_cndmask_b32_e32 v6, 0, v16, vcc_lo
	ds_bpermute_b32 v31, v30, v8
	v_and_b32_e32 v16, 1, v3
	v_add_nc_u32_e32 v5, v6, v5
	v_cmp_eq_u32_e32 vcc_lo, 1, v16
	v_mov_b32_e32 v16, 0
	ds_bpermute_b32 v6, v30, v5
	v_cmp_eq_u16_sdwa s2, v3, v16 src0_sel:BYTE_0 src1_sel:DWORD
	s_waitcnt lgkmcnt(1)
	v_and_b32_e32 v32, 1, v31
	v_add_nc_u32_e32 v31, 2, v20
	v_cndmask_b32_e64 v33, v32, 1, vcc_lo
	v_cmp_gt_u32_e32 vcc_lo, 28, v20
	v_and_b32_e32 v34, 0xffff, v33
	v_cndmask_b32_e64 v32, 0, 4, vcc_lo
	v_cmp_gt_u32_e32 vcc_lo, v31, v4
	v_add_lshl_u32 v32, v32, v20, 2
	v_cndmask_b32_e32 v8, v34, v8, vcc_lo
	v_cndmask_b32_e32 v35, v33, v3, vcc_lo
	s_waitcnt lgkmcnt(0)
	v_cndmask_b32_e64 v3, 0, v6, s2
	v_add_nc_u32_e32 v33, 4, v20
	ds_bpermute_b32 v6, v32, v8
	v_and_b32_e32 v34, 1, v35
	v_cndmask_b32_e64 v3, v3, 0, vcc_lo
	v_cmp_eq_u16_sdwa s2, v35, v16 src0_sel:BYTE_0 src1_sel:DWORD
	v_cmp_eq_u32_e32 vcc_lo, 1, v34
	v_add_nc_u32_e32 v3, v3, v5
	ds_bpermute_b32 v5, v32, v3
	s_waitcnt lgkmcnt(1)
	v_and_b32_e32 v6, 1, v6
	v_cndmask_b32_e64 v6, v6, 1, vcc_lo
	v_cmp_gt_u32_e32 vcc_lo, 24, v20
	v_and_b32_e32 v36, 0xffff, v6
	v_cndmask_b32_e64 v34, 0, 8, vcc_lo
	v_cmp_gt_u32_e32 vcc_lo, v33, v4
	s_waitcnt lgkmcnt(0)
	v_cndmask_b32_e64 v5, 0, v5, s2
	v_add_lshl_u32 v34, v34, v20, 2
	v_cndmask_b32_e32 v8, v36, v8, vcc_lo
	v_cndmask_b32_e32 v6, v6, v35, vcc_lo
	v_cndmask_b32_e64 v5, v5, 0, vcc_lo
	ds_bpermute_b32 v35, v34, v8
	v_and_b32_e32 v36, 1, v6
	v_add_nc_u32_e32 v3, v5, v3
	v_cmp_eq_u32_e32 vcc_lo, 1, v36
	ds_bpermute_b32 v5, v34, v3
	s_waitcnt lgkmcnt(1)
	v_and_b32_e32 v35, 1, v35
	v_cndmask_b32_e64 v35, v35, 1, vcc_lo
	v_cmp_eq_u16_sdwa vcc_lo, v6, v16 src0_sel:BYTE_0 src1_sel:DWORD
	v_and_b32_e32 v36, 0xffff, v35
	s_waitcnt lgkmcnt(0)
	v_cndmask_b32_e32 v5, 0, v5, vcc_lo
	v_cmp_gt_u32_e32 vcc_lo, v37, v4
	v_cndmask_b32_e64 v5, v5, 0, vcc_lo
	v_cndmask_b32_e32 v8, v36, v8, vcc_lo
	v_cndmask_b32_e32 v6, v35, v6, vcc_lo
	v_add_nc_u32_e32 v3, v5, v3
	ds_bpermute_b32 v5, v38, v8
	v_and_b32_e32 v35, 1, v6
	v_cmp_eq_u16_sdwa vcc_lo, v6, v16 src0_sel:BYTE_0 src1_sel:DWORD
	ds_bpermute_b32 v8, v38, v3
	s_waitcnt lgkmcnt(1)
	v_and_b32_e32 v5, 1, v5
	s_waitcnt lgkmcnt(0)
	v_cndmask_b32_e32 v8, 0, v8, vcc_lo
	v_cmp_eq_u32_e32 vcc_lo, 1, v35
	v_cndmask_b32_e64 v5, v5, 1, vcc_lo
	v_cmp_gt_u32_e32 vcc_lo, v39, v4
	v_cndmask_b32_e32 v4, v5, v6, vcc_lo
	v_cndmask_b32_e64 v5, v8, 0, vcc_lo
	v_add_nc_u32_e32 v3, v5, v3
	s_branch .LBB469_48
.LBB469_45:                             ;   in Loop: Header=BB469_48 Depth=1
	s_or_b32 exec_lo, exec_lo, s13
	v_and_b32_e32 v6, 0xff, v6
.LBB469_46:                             ;   in Loop: Header=BB469_48 Depth=1
	s_or_b32 exec_lo, exec_lo, s2
	ds_bpermute_b32 v3, v17, v6
	v_cmp_eq_u16_sdwa s2, v7, v28 src0_sel:BYTE_0 src1_sel:DWORD
	v_and_b32_e32 v4, 1, v6
	v_subrev_nc_u32_e32 v15, 32, v15
	v_and_or_b32 v8, s2, v29, 0x80000000
	v_cmp_eq_u32_e32 vcc_lo, 1, v4
	v_cmp_gt_u64_e64 s2, s[10:11], v[5:6]
	v_ffbl_b32_e32 v4, v8
	ds_bpermute_b32 v8, v17, v5
	s_waitcnt lgkmcnt(1)
	v_and_b32_e32 v3, 1, v3
	v_cndmask_b32_e64 v3, v3, 1, vcc_lo
	v_cmp_lt_u32_e32 vcc_lo, v20, v4
	v_and_b32_e32 v40, 0xffff, v3
	v_cndmask_b32_e32 v3, v6, v3, vcc_lo
	v_cndmask_b32_e32 v40, v6, v40, vcc_lo
	s_and_b32 vcc_lo, vcc_lo, s2
	v_cmp_eq_u16_sdwa s2, v3, v16 src0_sel:BYTE_0 src1_sel:DWORD
	s_waitcnt lgkmcnt(0)
	v_cndmask_b32_e32 v6, 0, v8, vcc_lo
	v_and_b32_e32 v8, 1, v3
	ds_bpermute_b32 v41, v30, v40
	v_add_nc_u32_e32 v5, v6, v5
	v_cmp_eq_u32_e32 vcc_lo, 1, v8
	ds_bpermute_b32 v6, v30, v5
	s_waitcnt lgkmcnt(1)
	v_and_b32_e32 v41, 1, v41
	v_cndmask_b32_e64 v8, v41, 1, vcc_lo
	v_cmp_gt_u32_e32 vcc_lo, v31, v4
	v_and_b32_e32 v41, 0xffff, v8
	v_cndmask_b32_e32 v8, v8, v3, vcc_lo
	s_waitcnt lgkmcnt(0)
	v_cndmask_b32_e64 v3, 0, v6, s2
	v_cndmask_b32_e32 v40, v41, v40, vcc_lo
	v_and_b32_e32 v41, 1, v8
	v_cndmask_b32_e64 v3, v3, 0, vcc_lo
	v_cmp_eq_u16_sdwa s2, v8, v16 src0_sel:BYTE_0 src1_sel:DWORD
	ds_bpermute_b32 v6, v32, v40
	v_cmp_eq_u32_e32 vcc_lo, 1, v41
	v_add_nc_u32_e32 v3, v3, v5
	ds_bpermute_b32 v5, v32, v3
	s_waitcnt lgkmcnt(1)
	v_and_b32_e32 v6, 1, v6
	v_cndmask_b32_e64 v6, v6, 1, vcc_lo
	v_cmp_gt_u32_e32 vcc_lo, v33, v4
	s_waitcnt lgkmcnt(0)
	v_cndmask_b32_e64 v5, 0, v5, s2
	s_mov_b32 s2, 0
	v_and_b32_e32 v41, 0xffff, v6
	v_cndmask_b32_e32 v6, v6, v8, vcc_lo
	v_cndmask_b32_e64 v5, v5, 0, vcc_lo
	v_cndmask_b32_e32 v8, v41, v40, vcc_lo
	v_and_b32_e32 v41, 1, v6
	v_add_nc_u32_e32 v3, v5, v3
	ds_bpermute_b32 v40, v34, v8
	v_cmp_eq_u32_e32 vcc_lo, 1, v41
	ds_bpermute_b32 v5, v34, v3
	s_waitcnt lgkmcnt(1)
	v_and_b32_e32 v40, 1, v40
	v_cndmask_b32_e64 v40, v40, 1, vcc_lo
	v_cmp_eq_u16_sdwa vcc_lo, v6, v16 src0_sel:BYTE_0 src1_sel:DWORD
	v_and_b32_e32 v41, 0xffff, v40
	s_waitcnt lgkmcnt(0)
	v_cndmask_b32_e32 v5, 0, v5, vcc_lo
	v_cmp_gt_u32_e32 vcc_lo, v37, v4
	v_cndmask_b32_e64 v5, v5, 0, vcc_lo
	v_cndmask_b32_e32 v8, v41, v8, vcc_lo
	v_cndmask_b32_e32 v6, v40, v6, vcc_lo
	v_add_nc_u32_e32 v3, v5, v3
	ds_bpermute_b32 v5, v38, v8
	v_and_b32_e32 v40, 1, v6
	ds_bpermute_b32 v8, v38, v3
	v_cmp_eq_u32_e32 vcc_lo, 1, v40
	s_waitcnt lgkmcnt(1)
	v_cndmask_b32_e64 v5, v5, 1, vcc_lo
	v_cmp_eq_u16_sdwa vcc_lo, v6, v16 src0_sel:BYTE_0 src1_sel:DWORD
	s_waitcnt lgkmcnt(0)
	v_cndmask_b32_e32 v8, 0, v8, vcc_lo
	v_cmp_gt_u32_e32 vcc_lo, v39, v4
	v_cndmask_b32_e32 v4, v5, v6, vcc_lo
	v_cndmask_b32_e64 v5, v8, 0, vcc_lo
	v_cmp_eq_u16_sdwa vcc_lo, v35, v16 src0_sel:BYTE_0 src1_sel:DWORD
	v_and_b32_e32 v4, 1, v4
	v_add_nc_u32_e32 v3, v5, v3
	v_and_b32_e32 v5, 1, v35
	v_cndmask_b32_e32 v3, 0, v3, vcc_lo
	v_cmp_eq_u32_e32 vcc_lo, 1, v5
	v_add_nc_u32_e32 v3, v3, v36
	v_cndmask_b32_e64 v4, v4, 1, vcc_lo
.LBB469_47:                             ;   in Loop: Header=BB469_48 Depth=1
	s_and_b32 vcc_lo, exec_lo, s2
	s_cbranch_vccnz .LBB469_53
.LBB469_48:                             ; =>This Loop Header: Depth=1
                                        ;     Child Loop BB469_51 Depth 2
	v_cmp_ne_u16_sdwa s2, v7, v28 src0_sel:BYTE_0 src1_sel:DWORD
	v_mov_b32_e32 v35, v4
	v_mov_b32_e32 v36, v3
                                        ; implicit-def: $vgpr4
                                        ; implicit-def: $vgpr3
                                        ; implicit-def: $vgpr7
	s_cmp_lg_u32 s2, exec_lo
	s_mov_b32 s2, -1
	s_cbranch_scc1 .LBB469_47
; %bb.49:                               ;   in Loop: Header=BB469_48 Depth=1
	v_lshlrev_b64 v[3:4], 4, v[15:16]
	v_add_co_u32 v3, vcc_lo, s16, v3
	v_add_co_ci_u32_e64 v4, null, s17, v4, vcc_lo
	;;#ASMSTART
	global_load_dwordx4 v[5:8], v[3:4] off glc dlc	
s_waitcnt vmcnt(0)
	;;#ASMEND
	v_and_b32_e32 v6, 0xff, v6
	v_cmp_eq_u16_sdwa s13, v7, v16 src0_sel:BYTE_0 src1_sel:DWORD
	s_and_saveexec_b32 s2, s13
	s_cbranch_execz .LBB469_46
; %bb.50:                               ;   in Loop: Header=BB469_48 Depth=1
	s_mov_b32 s13, 0
.LBB469_51:                             ;   Parent Loop BB469_48 Depth=1
                                        ; =>  This Inner Loop Header: Depth=2
	;;#ASMSTART
	global_load_dwordx4 v[5:8], v[3:4] off glc dlc	
s_waitcnt vmcnt(0)
	;;#ASMEND
	v_cmp_ne_u16_sdwa s19, v7, v16 src0_sel:BYTE_0 src1_sel:DWORD
	s_or_b32 s13, s19, s13
	s_andn2_b32 exec_lo, exec_lo, s13
	s_cbranch_execnz .LBB469_51
	s_branch .LBB469_45
.LBB469_52:
                                        ; implicit-def: $vgpr6
                                        ; implicit-def: $vgpr5
                                        ; implicit-def: $vgpr7
	s_cbranch_execnz .LBB469_58
	s_branch .LBB469_73
.LBB469_53:
	s_and_saveexec_b32 s2, s1
	s_cbranch_execz .LBB469_55
; %bb.54:
	v_mov_b32_e32 v4, 0
	v_and_b32_e32 v3, 1, v2
	s_mov_b32 s11, 0
	s_add_i32 s10, s6, 32
	v_and_b32_e32 v5, 1, v35
	v_cmp_eq_u32_sdwa vcc_lo, v2, v4 src0_sel:BYTE_0 src1_sel:DWORD
	s_lshl_b64 s[10:11], s[10:11], 4
	s_add_u32 s10, s16, s10
	s_addc_u32 s11, s17, s11
	v_cndmask_b32_e32 v2, 0, v36, vcc_lo
	v_cmp_eq_u32_e32 vcc_lo, 1, v3
	v_mov_b32_e32 v3, 2
	v_add_nc_u32_e32 v1, v2, v1
	v_cndmask_b32_e64 v2, v5, 1, vcc_lo
	v_mov_b32_e32 v5, s10
	v_mov_b32_e32 v6, s11
	;;#ASMSTART
	global_store_dwordx4 v[5:6], v[1:4] off	
s_waitcnt vmcnt(0)
	;;#ASMEND
.LBB469_55:
	s_or_b32 exec_lo, exec_lo, s2
	v_cmp_eq_u32_e32 vcc_lo, 0, v0
	s_and_b32 exec_lo, exec_lo, vcc_lo
	s_cbranch_execz .LBB469_57
; %bb.56:
	v_mov_b32_e32 v1, 0
	ds_write_b32 v1, v36 offset:56
	ds_write_b8 v1, v35 offset:60
.LBB469_57:
	s_or_b32 exec_lo, exec_lo, s3
	v_mov_b32_e32 v1, 0
	s_waitcnt lgkmcnt(0)
	s_barrier
	buffer_gl0_inv
	v_cndmask_b32_e64 v2, v27, v25, s1
	ds_read_b32 v3, v1 offset:56
	v_cndmask_b32_e64 v4, v26, v24, s1
	v_cmp_eq_u16_sdwa vcc_lo, v2, v1 src0_sel:BYTE_0 src1_sel:DWORD
	s_waitcnt lgkmcnt(0)
	v_cndmask_b32_e32 v2, 0, v3, vcc_lo
	v_cmp_eq_u32_e32 vcc_lo, 0, v0
	v_add_nc_u32_e32 v4, v2, v4
	v_and_b32_e32 v2, 0xff, v10
	v_cndmask_b32_e32 v6, v4, v3, vcc_lo
	v_cmp_eq_u64_e32 vcc_lo, 0, v[1:2]
	v_cndmask_b32_e32 v1, 0, v6, vcc_lo
	v_add_nc_u32_e32 v5, v1, v9
	v_cndmask_b32_e64 v1, 0, v5, s0
	v_add_nc_u32_e32 v7, v1, v11
	s_branch .LBB469_73
.LBB469_58:
	s_cmp_eq_u64 s[24:25], 0
	v_mov_b32_e32 v3, s26
	s_cselect_b32 s0, -1, 0
	s_cmp_eq_u64 s[22:23], 0
	s_cselect_b32 s1, -1, 0
	s_or_b32 s0, s0, s1
	s_and_b32 vcc_lo, exec_lo, s0
	s_cbranch_vccnz .LBB469_60
; %bb.59:
	v_mov_b32_e32 v1, 0
	global_load_dword v3, v1, s[22:23]
.LBB469_60:
	v_and_b32_e32 v2, 0xff, v23
	v_mov_b32_e32 v1, 0
	s_mov_b32 s2, 0
	s_mov_b32 s3, 1
	v_cmp_gt_u64_e32 vcc_lo, s[2:3], v[11:12]
	v_cmp_eq_u64_e64 s0, 0, v[1:2]
	v_cndmask_b32_e32 v4, 0, v9, vcc_lo
	v_cndmask_b32_e64 v2, 1, v10, s0
	v_cmp_gt_u64_e64 s0, s[2:3], v[13:14]
	v_add_nc_u32_e32 v4, v4, v11
	v_and_b32_e32 v5, 0xff, v2
	v_and_b32_e32 v7, 1, v2
	v_cndmask_b32_e64 v4, 0, v4, s0
	v_mov_b32_dpp v6, v5 row_shr:1 row_mask:0xf bank_mask:0xf
	v_cmp_eq_u32_e64 s0, 1, v7
	v_and_b32_e32 v7, 15, v20
	v_add_nc_u32_e32 v4, v4, v13
	v_and_b32_e32 v6, 1, v6
	v_mov_b32_dpp v8, v4 row_shr:1 row_mask:0xf bank_mask:0xf
	v_cndmask_b32_e64 v6, v6, 1, s0
	v_cmp_eq_u16_e64 s0, 0, v5
	v_and_b32_e32 v12, 0xffff, v6
	v_cndmask_b32_e64 v8, 0, v8, s0
	v_cmp_eq_u32_e64 s0, 0, v7
	v_cndmask_b32_e64 v5, v12, v5, s0
	v_cndmask_b32_e64 v2, v6, v2, s0
	;; [unrolled: 1-line block ×3, first 2 shown]
	v_mov_b32_dpp v6, v5 row_shr:2 row_mask:0xf bank_mask:0xf
	v_and_b32_e32 v12, 1, v2
	v_add_nc_u32_e32 v4, v8, v4
	v_cmp_eq_u16_sdwa s2, v2, v1 src0_sel:BYTE_0 src1_sel:DWORD
	v_and_b32_e32 v6, 1, v6
	v_cmp_eq_u32_e64 s0, 1, v12
	v_cndmask_b32_e64 v6, v6, 1, s0
	v_cmp_lt_u32_e64 s0, 1, v7
	v_and_b32_e32 v12, 0xffff, v6
	v_cndmask_b32_e64 v6, v2, v6, s0
	v_mov_b32_dpp v2, v4 row_shr:2 row_mask:0xf bank_mask:0xf
	v_cndmask_b32_e64 v5, v5, v12, s0
	v_and_b32_e32 v8, 1, v6
	s_and_b32 s0, s0, s2
	v_cndmask_b32_e64 v2, 0, v2, s0
	v_mov_b32_dpp v12, v5 row_shr:4 row_mask:0xf bank_mask:0xf
	v_cmp_eq_u32_e64 s1, 1, v8
	v_cmp_lt_u32_e64 s0, 3, v7
	v_add_nc_u32_e32 v2, v2, v4
	v_and_b32_e32 v12, 1, v12
	v_cndmask_b32_e64 v8, v12, 1, s1
	v_cmp_eq_u16_sdwa s1, v6, v1 src0_sel:BYTE_0 src1_sel:DWORD
	v_and_b32_e32 v12, 0xffff, v8
	v_cndmask_b32_e64 v4, v6, v8, s0
	v_mov_b32_dpp v6, v2 row_shr:4 row_mask:0xf bank_mask:0xf
	v_cndmask_b32_e64 v5, v5, v12, s0
	s_and_b32 s0, s0, s1
	v_and_b32_e32 v12, 1, v4
	v_cndmask_b32_e64 v6, 0, v6, s0
	v_cmp_eq_u16_sdwa s1, v4, v1 src0_sel:BYTE_0 src1_sel:DWORD
	v_mov_b32_dpp v8, v5 row_shr:8 row_mask:0xf bank_mask:0xf
	v_cmp_eq_u32_e64 s0, 1, v12
	v_add_nc_u32_e32 v2, v6, v2
	v_and_b32_e32 v8, 1, v8
	v_cndmask_b32_e64 v6, v8, 1, s0
	v_cmp_lt_u32_e64 s0, 7, v7
	v_mov_b32_dpp v7, v2 row_shr:8 row_mask:0xf bank_mask:0xf
	s_and_b32 s1, s0, s1
	v_cndmask_b32_e64 v8, v4, v6, s0
	v_cndmask_b32_e64 v4, 0, v7, s1
	v_and_b32_e32 v6, 0xffff, v6
	v_and_b32_e32 v7, 16, v20
	v_add_nc_u32_e32 v2, v4, v2
	v_cndmask_b32_e64 v4, v5, v6, s0
	v_cmp_eq_u16_sdwa s0, v8, v1 src0_sel:BYTE_0 src1_sel:DWORD
	v_bfe_i32 v6, v20, 4, 1
	v_cmp_eq_u32_e64 s1, 0, v7
	ds_swizzle_b32 v5, v2 offset:swizzle(BROADCAST,32,15)
	ds_swizzle_b32 v4, v4 offset:swizzle(BROADCAST,32,15)
	s_waitcnt lgkmcnt(1)
	v_cndmask_b32_e64 v1, 0, v5, s0
	v_and_b32_e32 v5, 1, v8
	s_waitcnt lgkmcnt(0)
	v_and_b32_e32 v4, 1, v4
	v_and_b32_e32 v1, v6, v1
	v_cmp_eq_u32_e64 s0, 1, v5
	v_lshlrev_b32_e32 v6, 3, v21
	v_cndmask_b32_e64 v5, v4, 1, s0
	v_add_nc_u32_e32 v4, v1, v2
	v_cndmask_b32_e64 v5, v5, v8, s1
	s_mov_b32 s1, exec_lo
	v_cmpx_eq_u32_e64 v0, v22
	s_cbranch_execz .LBB469_62
; %bb.61:
	ds_write_b32 v6, v4
	ds_write_b8 v6, v5 offset:4
.LBB469_62:
	s_or_b32 exec_lo, exec_lo, s1
	s_mov_b32 s1, exec_lo
	s_waitcnt vmcnt(0) lgkmcnt(0)
	s_barrier
	buffer_gl0_inv
	v_cmpx_gt_u32_e32 8, v0
	s_cbranch_execz .LBB469_68
; %bb.63:
	ds_read_b64 v[1:2], v19
	v_and_b32_e32 v7, 7, v20
	s_mov_b32 s2, exec_lo
	s_waitcnt lgkmcnt(0)
	v_and_b32_e32 v8, 0xffffff00, v2
	v_mov_b32_dpp v13, v1 row_shr:1 row_mask:0xf bank_mask:0xf
	v_mov_b32_dpp v14, v2 row_shr:1 row_mask:0xf bank_mask:0xf
	v_mov_b32_e32 v12, v2
	v_cmpx_ne_u32_e32 0, v7
	s_cbranch_execz .LBB469_65
; %bb.64:
	v_mov_b32_e32 v12, 0
	v_and_b32_e32 v15, 1, v2
	v_and_b32_e32 v14, 1, v14
	v_cmp_eq_u16_sdwa s0, v2, v12 src0_sel:BYTE_0 src1_sel:DWORD
	v_cndmask_b32_e64 v2, 0, v13, s0
	v_cmp_eq_u32_e64 s0, 1, v15
	v_add_nc_u32_e32 v1, v2, v1
	v_cndmask_b32_e64 v13, v14, 1, s0
	v_or_b32_sdwa v12, v8, v13 dst_sel:DWORD dst_unused:UNUSED_PAD src0_sel:DWORD src1_sel:WORD_0
	v_mov_b32_e32 v2, v13
.LBB469_65:
	s_or_b32 exec_lo, exec_lo, s2
	v_mov_b32_dpp v13, v1 row_shr:2 row_mask:0xf bank_mask:0xf
	v_mov_b32_dpp v14, v12 row_shr:2 row_mask:0xf bank_mask:0xf
	s_mov_b32 s2, exec_lo
	v_cmpx_lt_u32_e32 1, v7
	s_cbranch_execz .LBB469_67
; %bb.66:
	v_mov_b32_e32 v12, 0
	v_and_b32_e32 v15, 1, v2
	v_and_b32_e32 v14, 1, v14
	v_cmp_eq_u16_sdwa s0, v2, v12 src0_sel:BYTE_0 src1_sel:DWORD
	v_cndmask_b32_e64 v2, 0, v13, s0
	v_cmp_eq_u32_e64 s0, 1, v15
	v_add_nc_u32_e32 v1, v2, v1
	v_cndmask_b32_e64 v13, v14, 1, s0
	v_or_b32_sdwa v12, v8, v13 dst_sel:DWORD dst_unused:UNUSED_PAD src0_sel:DWORD src1_sel:WORD_0
	v_mov_b32_e32 v2, v13
.LBB469_67:
	s_or_b32 exec_lo, exec_lo, s2
	v_mov_b32_dpp v8, v12 row_shr:4 row_mask:0xf bank_mask:0xf
	v_and_b32_e32 v13, 1, v2
	v_mov_b32_e32 v12, 0
	v_and_b32_e32 v8, 1, v8
	v_cmp_eq_u32_e64 s0, 1, v13
	v_cmp_eq_u16_sdwa s2, v2, v12 src0_sel:BYTE_0 src1_sel:DWORD
	v_cndmask_b32_e64 v8, v8, 1, s0
	v_cmp_lt_u32_e64 s0, 3, v7
	v_mov_b32_dpp v7, v1 row_shr:4 row_mask:0xf bank_mask:0xf
	v_cndmask_b32_e64 v2, v2, v8, s0
	s_and_b32 s0, s0, s2
	v_cndmask_b32_e64 v7, 0, v7, s0
	v_add_nc_u32_e32 v1, v7, v1
	ds_write_b32 v19, v1
	ds_write_b8 v19, v2 offset:4
.LBB469_68:
	s_or_b32 exec_lo, exec_lo, s1
	v_mov_b32_e32 v2, v3
	s_mov_b32 s1, exec_lo
	s_waitcnt lgkmcnt(0)
	s_barrier
	buffer_gl0_inv
	v_cmpx_lt_u32_e32 31, v0
	s_cbranch_execz .LBB469_70
; %bb.69:
	v_add_nc_u32_e32 v1, -4, v6
	v_add_nc_u32_e32 v2, -8, v6
	ds_read_u8 v1, v1
	ds_read_b32 v2, v2
	s_waitcnt lgkmcnt(1)
	v_cmp_eq_u16_e64 s0, 0, v1
	v_cndmask_b32_e64 v1, 0, v3, s0
	s_waitcnt lgkmcnt(0)
	v_add_nc_u32_e32 v2, v1, v2
.LBB469_70:
	s_or_b32 exec_lo, exec_lo, s1
	v_mov_b32_e32 v1, 0
	v_sub_co_u32 v6, s0, v20, 1
	v_cmp_eq_u16_sdwa s1, v5, v1 src0_sel:BYTE_0 src1_sel:DWORD
	v_cndmask_b32_e64 v5, 0, v2, s1
	v_cmp_gt_i32_e64 s1, 0, v6
	v_add_nc_u32_e32 v4, v5, v4
	v_cndmask_b32_e64 v6, v6, v20, s1
	v_lshlrev_b32_e32 v5, 2, v6
	ds_bpermute_b32 v4, v5, v4
	s_waitcnt lgkmcnt(0)
	v_cndmask_b32_e64 v6, v4, v2, s0
	v_and_b32_e32 v2, 0xff, v10
	v_cmp_eq_u32_e64 s0, 0, v0
	v_cmp_eq_u64_e64 s1, 0, v[1:2]
	v_cndmask_b32_e64 v4, v6, v3, s0
	v_cndmask_b32_e64 v2, 0, v4, s1
	v_add_nc_u32_e32 v5, v2, v9
	v_cndmask_b32_e32 v2, 0, v5, vcc_lo
	s_and_saveexec_b32 s1, s0
	s_cbranch_execz .LBB469_72
; %bb.71:
	ds_read_u8 v4, v1 offset:60
	ds_read_b32 v6, v1 offset:56
	v_mov_b32_e32 v9, v1
	s_add_u32 s2, s16, 0x200
	s_addc_u32 s3, s17, 0
	v_mov_b32_e32 v10, v1
	v_mov_b32_e32 v13, s3
	;; [unrolled: 1-line block ×3, first 2 shown]
	s_waitcnt lgkmcnt(1)
	v_and_b32_e32 v8, 0xffff, v4
	v_cmp_eq_u64_e32 vcc_lo, 0, v[8:9]
	v_mov_b32_e32 v9, 2
	v_cndmask_b32_e32 v4, 0, v3, vcc_lo
	s_waitcnt lgkmcnt(0)
	v_add_nc_u32_e32 v7, v4, v6
	v_mov_b32_e32 v6, v3
	;;#ASMSTART
	global_store_dwordx4 v[12:13], v[7:10] off	
s_waitcnt vmcnt(0)
	;;#ASMEND
.LBB469_72:
	s_or_b32 exec_lo, exec_lo, s1
	v_add_nc_u32_e32 v7, v2, v11
.LBB469_73:
	s_add_u32 s0, s14, s4
	v_mov_b32_e32 v3, 0
	s_addc_u32 s1, s15, s5
	s_add_u32 s0, s0, s8
	s_addc_u32 s1, s1, s9
	s_and_b32 vcc_lo, exec_lo, s7
	s_cbranch_vccz .LBB469_85
; %bb.74:
	v_mul_u32_u24_e32 v1, 3, v0
	v_mov_b32_e32 v4, 0
	v_mov_b32_e32 v2, 0
	s_add_i32 s12, s12, s18
	s_mov_b32 s2, exec_lo
	v_cmpx_gt_u32_e64 s12, v1
	s_cbranch_execz .LBB469_80
; %bb.75:
	v_add_nc_u32_e32 v3, 1, v1
	v_mov_b32_e32 v2, 0
	v_mov_b32_e32 v4, 0
	s_mov_b32 s3, exec_lo
	v_cmpx_gt_u32_e64 s12, v3
	s_cbranch_execz .LBB469_79
; %bb.76:
	v_add_nc_u32_e32 v2, 2, v1
	v_cmp_gt_u32_e32 vcc_lo, s12, v2
	v_mov_b32_e32 v2, 0
	s_and_saveexec_b32 s4, vcc_lo
; %bb.77:
	v_mov_b32_e32 v2, v7
; %bb.78:
	s_or_b32 exec_lo, exec_lo, s4
	v_mov_b32_e32 v4, v5
.LBB469_79:
	s_or_b32 exec_lo, exec_lo, s3
	v_mov_b32_e32 v3, v6
.LBB469_80:
	s_or_b32 exec_lo, exec_lo, s2
	v_lshlrev_b32_e32 v8, 2, v1
	s_barrier
	buffer_gl0_inv
	v_sub_nc_u32_e32 v1, v8, v19
	ds_write2_b32 v8, v3, v4 offset1:1
	ds_write_b32 v8, v2 offset:8
	s_waitcnt lgkmcnt(0)
	s_barrier
	buffer_gl0_inv
	ds_read2st64_b32 v[1:2], v1 offset0:4 offset1:8
	v_add_co_u32 v3, s2, s0, v18
	v_add_co_ci_u32_e64 v4, null, s1, 0, s2
	s_mov_b32 s2, exec_lo
	v_cmpx_gt_u32_e64 s12, v0
	s_cbranch_execz .LBB469_82
; %bb.81:
	v_sub_nc_u32_e32 v9, 0, v19
	v_add_nc_u32_e32 v8, v8, v9
	ds_read_b32 v8, v8
	s_waitcnt lgkmcnt(0)
	flat_store_dword v[3:4], v8
.LBB469_82:
	s_or_b32 exec_lo, exec_lo, s2
	v_or_b32_e32 v8, 0x100, v0
	s_mov_b32 s2, exec_lo
	v_cmpx_gt_u32_e64 s12, v8
	s_cbranch_execz .LBB469_84
; %bb.83:
	s_waitcnt lgkmcnt(0)
	flat_store_dword v[3:4], v1 offset:1024
.LBB469_84:
	s_or_b32 exec_lo, exec_lo, s2
	s_waitcnt lgkmcnt(0)
	v_or_b32_e32 v1, 0x200, v0
	v_cmp_gt_u32_e64 s2, s12, v1
	s_branch .LBB469_87
.LBB469_85:
	s_mov_b32 s2, 0
                                        ; implicit-def: $vgpr2
	s_cbranch_execz .LBB469_87
; %bb.86:
	v_mul_u32_u24_e32 v1, 12, v0
	s_waitcnt_vscnt null, 0x0
	s_barrier
	buffer_gl0_inv
	s_or_b32 s2, s2, exec_lo
	v_sub_nc_u32_e32 v2, v1, v19
	ds_write2_b32 v1, v6, v5 offset1:1
	ds_write_b32 v1, v7 offset:8
	s_waitcnt lgkmcnt(0)
	s_barrier
	buffer_gl0_inv
	ds_read2st64_b32 v[3:4], v2 offset1:4
	ds_read_b32 v2, v2 offset:2048
	v_add_co_u32 v5, s3, s0, v18
	v_add_co_ci_u32_e64 v6, null, s1, 0, s3
	s_waitcnt lgkmcnt(1)
	flat_store_dword v[5:6], v3
	flat_store_dword v[5:6], v4 offset:1024
.LBB469_87:
	s_and_saveexec_b32 s3, s2
	s_cbranch_execnz .LBB469_89
; %bb.88:
	s_endpgm
.LBB469_89:
	v_lshlrev_b32_e32 v0, 2, v0
	v_add_co_u32 v0, s0, s0, v0
	v_add_co_ci_u32_e64 v1, null, s1, 0, s0
	v_add_co_u32 v0, vcc_lo, 0x800, v0
	v_add_co_ci_u32_e64 v1, null, 0, v1, vcc_lo
	s_waitcnt lgkmcnt(2)
	flat_store_dword v[0:1], v2
	s_endpgm
.LBB469_90:
	v_add_co_u32 v2, s20, s3, v10
	v_add_co_ci_u32_e64 v3, null, s13, 0, s20
	v_mov_b32_e32 v12, v1
	v_mov_b32_e32 v13, v1
	flat_load_dword v11, v[2:3]
	s_waitcnt vmcnt(0) lgkmcnt(0)
	v_mov_b32_e32 v1, v11
	v_mov_b32_e32 v2, v12
	;; [unrolled: 1-line block ×3, first 2 shown]
	s_or_b32 exec_lo, exec_lo, s2
	s_and_saveexec_b32 s2, s0
	s_cbranch_execz .LBB469_11
.LBB469_91:
	v_add_co_u32 v11, s0, s3, v10
	v_add_co_ci_u32_e64 v12, null, s13, 0, s0
	flat_load_dword v2, v[11:12] offset:1024
	s_or_b32 exec_lo, exec_lo, s2
	v_mul_u32_u24_e32 v13, 3, v0
	s_and_saveexec_b32 s0, s1
	s_cbranch_execnz .LBB469_12
	s_branch .LBB469_13
	.section	.rodata,"a",@progbits
	.p2align	6, 0x0
	.amdhsa_kernel _ZN7rocprim17ROCPRIM_400000_NS6detail17trampoline_kernelINS0_14default_configENS1_27scan_by_key_config_selectorIiiEEZZNS1_16scan_by_key_implILNS1_25lookback_scan_determinismE0ELb1ES3_N6thrust23THRUST_200600_302600_NS6detail15normal_iteratorINS9_10device_ptrIiEEEESE_SE_iNS9_4plusIvEENS9_8equal_toIvEEiEE10hipError_tPvRmT2_T3_T4_T5_mT6_T7_P12ihipStream_tbENKUlT_T0_E_clISt17integral_constantIbLb0EESZ_EEDaSU_SV_EUlSU_E_NS1_11comp_targetILNS1_3genE8ELNS1_11target_archE1030ELNS1_3gpuE2ELNS1_3repE0EEENS1_30default_config_static_selectorELNS0_4arch9wavefront6targetE0EEEvT1_
		.amdhsa_group_segment_fixed_size 5120
		.amdhsa_private_segment_fixed_size 0
		.amdhsa_kernarg_size 112
		.amdhsa_user_sgpr_count 6
		.amdhsa_user_sgpr_private_segment_buffer 1
		.amdhsa_user_sgpr_dispatch_ptr 0
		.amdhsa_user_sgpr_queue_ptr 0
		.amdhsa_user_sgpr_kernarg_segment_ptr 1
		.amdhsa_user_sgpr_dispatch_id 0
		.amdhsa_user_sgpr_flat_scratch_init 0
		.amdhsa_user_sgpr_private_segment_size 0
		.amdhsa_wavefront_size32 1
		.amdhsa_uses_dynamic_stack 0
		.amdhsa_system_sgpr_private_segment_wavefront_offset 0
		.amdhsa_system_sgpr_workgroup_id_x 1
		.amdhsa_system_sgpr_workgroup_id_y 0
		.amdhsa_system_sgpr_workgroup_id_z 0
		.amdhsa_system_sgpr_workgroup_info 0
		.amdhsa_system_vgpr_workitem_id 0
		.amdhsa_next_free_vgpr 42
		.amdhsa_next_free_sgpr 30
		.amdhsa_reserve_vcc 1
		.amdhsa_reserve_flat_scratch 1
		.amdhsa_float_round_mode_32 0
		.amdhsa_float_round_mode_16_64 0
		.amdhsa_float_denorm_mode_32 3
		.amdhsa_float_denorm_mode_16_64 3
		.amdhsa_dx10_clamp 1
		.amdhsa_ieee_mode 1
		.amdhsa_fp16_overflow 0
		.amdhsa_workgroup_processor_mode 1
		.amdhsa_memory_ordered 1
		.amdhsa_forward_progress 1
		.amdhsa_shared_vgpr_count 0
		.amdhsa_exception_fp_ieee_invalid_op 0
		.amdhsa_exception_fp_denorm_src 0
		.amdhsa_exception_fp_ieee_div_zero 0
		.amdhsa_exception_fp_ieee_overflow 0
		.amdhsa_exception_fp_ieee_underflow 0
		.amdhsa_exception_fp_ieee_inexact 0
		.amdhsa_exception_int_div_zero 0
	.end_amdhsa_kernel
	.section	.text._ZN7rocprim17ROCPRIM_400000_NS6detail17trampoline_kernelINS0_14default_configENS1_27scan_by_key_config_selectorIiiEEZZNS1_16scan_by_key_implILNS1_25lookback_scan_determinismE0ELb1ES3_N6thrust23THRUST_200600_302600_NS6detail15normal_iteratorINS9_10device_ptrIiEEEESE_SE_iNS9_4plusIvEENS9_8equal_toIvEEiEE10hipError_tPvRmT2_T3_T4_T5_mT6_T7_P12ihipStream_tbENKUlT_T0_E_clISt17integral_constantIbLb0EESZ_EEDaSU_SV_EUlSU_E_NS1_11comp_targetILNS1_3genE8ELNS1_11target_archE1030ELNS1_3gpuE2ELNS1_3repE0EEENS1_30default_config_static_selectorELNS0_4arch9wavefront6targetE0EEEvT1_,"axG",@progbits,_ZN7rocprim17ROCPRIM_400000_NS6detail17trampoline_kernelINS0_14default_configENS1_27scan_by_key_config_selectorIiiEEZZNS1_16scan_by_key_implILNS1_25lookback_scan_determinismE0ELb1ES3_N6thrust23THRUST_200600_302600_NS6detail15normal_iteratorINS9_10device_ptrIiEEEESE_SE_iNS9_4plusIvEENS9_8equal_toIvEEiEE10hipError_tPvRmT2_T3_T4_T5_mT6_T7_P12ihipStream_tbENKUlT_T0_E_clISt17integral_constantIbLb0EESZ_EEDaSU_SV_EUlSU_E_NS1_11comp_targetILNS1_3genE8ELNS1_11target_archE1030ELNS1_3gpuE2ELNS1_3repE0EEENS1_30default_config_static_selectorELNS0_4arch9wavefront6targetE0EEEvT1_,comdat
.Lfunc_end469:
	.size	_ZN7rocprim17ROCPRIM_400000_NS6detail17trampoline_kernelINS0_14default_configENS1_27scan_by_key_config_selectorIiiEEZZNS1_16scan_by_key_implILNS1_25lookback_scan_determinismE0ELb1ES3_N6thrust23THRUST_200600_302600_NS6detail15normal_iteratorINS9_10device_ptrIiEEEESE_SE_iNS9_4plusIvEENS9_8equal_toIvEEiEE10hipError_tPvRmT2_T3_T4_T5_mT6_T7_P12ihipStream_tbENKUlT_T0_E_clISt17integral_constantIbLb0EESZ_EEDaSU_SV_EUlSU_E_NS1_11comp_targetILNS1_3genE8ELNS1_11target_archE1030ELNS1_3gpuE2ELNS1_3repE0EEENS1_30default_config_static_selectorELNS0_4arch9wavefront6targetE0EEEvT1_, .Lfunc_end469-_ZN7rocprim17ROCPRIM_400000_NS6detail17trampoline_kernelINS0_14default_configENS1_27scan_by_key_config_selectorIiiEEZZNS1_16scan_by_key_implILNS1_25lookback_scan_determinismE0ELb1ES3_N6thrust23THRUST_200600_302600_NS6detail15normal_iteratorINS9_10device_ptrIiEEEESE_SE_iNS9_4plusIvEENS9_8equal_toIvEEiEE10hipError_tPvRmT2_T3_T4_T5_mT6_T7_P12ihipStream_tbENKUlT_T0_E_clISt17integral_constantIbLb0EESZ_EEDaSU_SV_EUlSU_E_NS1_11comp_targetILNS1_3genE8ELNS1_11target_archE1030ELNS1_3gpuE2ELNS1_3repE0EEENS1_30default_config_static_selectorELNS0_4arch9wavefront6targetE0EEEvT1_
                                        ; -- End function
	.set _ZN7rocprim17ROCPRIM_400000_NS6detail17trampoline_kernelINS0_14default_configENS1_27scan_by_key_config_selectorIiiEEZZNS1_16scan_by_key_implILNS1_25lookback_scan_determinismE0ELb1ES3_N6thrust23THRUST_200600_302600_NS6detail15normal_iteratorINS9_10device_ptrIiEEEESE_SE_iNS9_4plusIvEENS9_8equal_toIvEEiEE10hipError_tPvRmT2_T3_T4_T5_mT6_T7_P12ihipStream_tbENKUlT_T0_E_clISt17integral_constantIbLb0EESZ_EEDaSU_SV_EUlSU_E_NS1_11comp_targetILNS1_3genE8ELNS1_11target_archE1030ELNS1_3gpuE2ELNS1_3repE0EEENS1_30default_config_static_selectorELNS0_4arch9wavefront6targetE0EEEvT1_.num_vgpr, 42
	.set _ZN7rocprim17ROCPRIM_400000_NS6detail17trampoline_kernelINS0_14default_configENS1_27scan_by_key_config_selectorIiiEEZZNS1_16scan_by_key_implILNS1_25lookback_scan_determinismE0ELb1ES3_N6thrust23THRUST_200600_302600_NS6detail15normal_iteratorINS9_10device_ptrIiEEEESE_SE_iNS9_4plusIvEENS9_8equal_toIvEEiEE10hipError_tPvRmT2_T3_T4_T5_mT6_T7_P12ihipStream_tbENKUlT_T0_E_clISt17integral_constantIbLb0EESZ_EEDaSU_SV_EUlSU_E_NS1_11comp_targetILNS1_3genE8ELNS1_11target_archE1030ELNS1_3gpuE2ELNS1_3repE0EEENS1_30default_config_static_selectorELNS0_4arch9wavefront6targetE0EEEvT1_.num_agpr, 0
	.set _ZN7rocprim17ROCPRIM_400000_NS6detail17trampoline_kernelINS0_14default_configENS1_27scan_by_key_config_selectorIiiEEZZNS1_16scan_by_key_implILNS1_25lookback_scan_determinismE0ELb1ES3_N6thrust23THRUST_200600_302600_NS6detail15normal_iteratorINS9_10device_ptrIiEEEESE_SE_iNS9_4plusIvEENS9_8equal_toIvEEiEE10hipError_tPvRmT2_T3_T4_T5_mT6_T7_P12ihipStream_tbENKUlT_T0_E_clISt17integral_constantIbLb0EESZ_EEDaSU_SV_EUlSU_E_NS1_11comp_targetILNS1_3genE8ELNS1_11target_archE1030ELNS1_3gpuE2ELNS1_3repE0EEENS1_30default_config_static_selectorELNS0_4arch9wavefront6targetE0EEEvT1_.numbered_sgpr, 30
	.set _ZN7rocprim17ROCPRIM_400000_NS6detail17trampoline_kernelINS0_14default_configENS1_27scan_by_key_config_selectorIiiEEZZNS1_16scan_by_key_implILNS1_25lookback_scan_determinismE0ELb1ES3_N6thrust23THRUST_200600_302600_NS6detail15normal_iteratorINS9_10device_ptrIiEEEESE_SE_iNS9_4plusIvEENS9_8equal_toIvEEiEE10hipError_tPvRmT2_T3_T4_T5_mT6_T7_P12ihipStream_tbENKUlT_T0_E_clISt17integral_constantIbLb0EESZ_EEDaSU_SV_EUlSU_E_NS1_11comp_targetILNS1_3genE8ELNS1_11target_archE1030ELNS1_3gpuE2ELNS1_3repE0EEENS1_30default_config_static_selectorELNS0_4arch9wavefront6targetE0EEEvT1_.num_named_barrier, 0
	.set _ZN7rocprim17ROCPRIM_400000_NS6detail17trampoline_kernelINS0_14default_configENS1_27scan_by_key_config_selectorIiiEEZZNS1_16scan_by_key_implILNS1_25lookback_scan_determinismE0ELb1ES3_N6thrust23THRUST_200600_302600_NS6detail15normal_iteratorINS9_10device_ptrIiEEEESE_SE_iNS9_4plusIvEENS9_8equal_toIvEEiEE10hipError_tPvRmT2_T3_T4_T5_mT6_T7_P12ihipStream_tbENKUlT_T0_E_clISt17integral_constantIbLb0EESZ_EEDaSU_SV_EUlSU_E_NS1_11comp_targetILNS1_3genE8ELNS1_11target_archE1030ELNS1_3gpuE2ELNS1_3repE0EEENS1_30default_config_static_selectorELNS0_4arch9wavefront6targetE0EEEvT1_.private_seg_size, 0
	.set _ZN7rocprim17ROCPRIM_400000_NS6detail17trampoline_kernelINS0_14default_configENS1_27scan_by_key_config_selectorIiiEEZZNS1_16scan_by_key_implILNS1_25lookback_scan_determinismE0ELb1ES3_N6thrust23THRUST_200600_302600_NS6detail15normal_iteratorINS9_10device_ptrIiEEEESE_SE_iNS9_4plusIvEENS9_8equal_toIvEEiEE10hipError_tPvRmT2_T3_T4_T5_mT6_T7_P12ihipStream_tbENKUlT_T0_E_clISt17integral_constantIbLb0EESZ_EEDaSU_SV_EUlSU_E_NS1_11comp_targetILNS1_3genE8ELNS1_11target_archE1030ELNS1_3gpuE2ELNS1_3repE0EEENS1_30default_config_static_selectorELNS0_4arch9wavefront6targetE0EEEvT1_.uses_vcc, 1
	.set _ZN7rocprim17ROCPRIM_400000_NS6detail17trampoline_kernelINS0_14default_configENS1_27scan_by_key_config_selectorIiiEEZZNS1_16scan_by_key_implILNS1_25lookback_scan_determinismE0ELb1ES3_N6thrust23THRUST_200600_302600_NS6detail15normal_iteratorINS9_10device_ptrIiEEEESE_SE_iNS9_4plusIvEENS9_8equal_toIvEEiEE10hipError_tPvRmT2_T3_T4_T5_mT6_T7_P12ihipStream_tbENKUlT_T0_E_clISt17integral_constantIbLb0EESZ_EEDaSU_SV_EUlSU_E_NS1_11comp_targetILNS1_3genE8ELNS1_11target_archE1030ELNS1_3gpuE2ELNS1_3repE0EEENS1_30default_config_static_selectorELNS0_4arch9wavefront6targetE0EEEvT1_.uses_flat_scratch, 1
	.set _ZN7rocprim17ROCPRIM_400000_NS6detail17trampoline_kernelINS0_14default_configENS1_27scan_by_key_config_selectorIiiEEZZNS1_16scan_by_key_implILNS1_25lookback_scan_determinismE0ELb1ES3_N6thrust23THRUST_200600_302600_NS6detail15normal_iteratorINS9_10device_ptrIiEEEESE_SE_iNS9_4plusIvEENS9_8equal_toIvEEiEE10hipError_tPvRmT2_T3_T4_T5_mT6_T7_P12ihipStream_tbENKUlT_T0_E_clISt17integral_constantIbLb0EESZ_EEDaSU_SV_EUlSU_E_NS1_11comp_targetILNS1_3genE8ELNS1_11target_archE1030ELNS1_3gpuE2ELNS1_3repE0EEENS1_30default_config_static_selectorELNS0_4arch9wavefront6targetE0EEEvT1_.has_dyn_sized_stack, 0
	.set _ZN7rocprim17ROCPRIM_400000_NS6detail17trampoline_kernelINS0_14default_configENS1_27scan_by_key_config_selectorIiiEEZZNS1_16scan_by_key_implILNS1_25lookback_scan_determinismE0ELb1ES3_N6thrust23THRUST_200600_302600_NS6detail15normal_iteratorINS9_10device_ptrIiEEEESE_SE_iNS9_4plusIvEENS9_8equal_toIvEEiEE10hipError_tPvRmT2_T3_T4_T5_mT6_T7_P12ihipStream_tbENKUlT_T0_E_clISt17integral_constantIbLb0EESZ_EEDaSU_SV_EUlSU_E_NS1_11comp_targetILNS1_3genE8ELNS1_11target_archE1030ELNS1_3gpuE2ELNS1_3repE0EEENS1_30default_config_static_selectorELNS0_4arch9wavefront6targetE0EEEvT1_.has_recursion, 0
	.set _ZN7rocprim17ROCPRIM_400000_NS6detail17trampoline_kernelINS0_14default_configENS1_27scan_by_key_config_selectorIiiEEZZNS1_16scan_by_key_implILNS1_25lookback_scan_determinismE0ELb1ES3_N6thrust23THRUST_200600_302600_NS6detail15normal_iteratorINS9_10device_ptrIiEEEESE_SE_iNS9_4plusIvEENS9_8equal_toIvEEiEE10hipError_tPvRmT2_T3_T4_T5_mT6_T7_P12ihipStream_tbENKUlT_T0_E_clISt17integral_constantIbLb0EESZ_EEDaSU_SV_EUlSU_E_NS1_11comp_targetILNS1_3genE8ELNS1_11target_archE1030ELNS1_3gpuE2ELNS1_3repE0EEENS1_30default_config_static_selectorELNS0_4arch9wavefront6targetE0EEEvT1_.has_indirect_call, 0
	.section	.AMDGPU.csdata,"",@progbits
; Kernel info:
; codeLenInByte = 6184
; TotalNumSgprs: 32
; NumVgprs: 42
; ScratchSize: 0
; MemoryBound: 0
; FloatMode: 240
; IeeeMode: 1
; LDSByteSize: 5120 bytes/workgroup (compile time only)
; SGPRBlocks: 0
; VGPRBlocks: 5
; NumSGPRsForWavesPerEU: 32
; NumVGPRsForWavesPerEU: 42
; Occupancy: 16
; WaveLimiterHint : 1
; COMPUTE_PGM_RSRC2:SCRATCH_EN: 0
; COMPUTE_PGM_RSRC2:USER_SGPR: 6
; COMPUTE_PGM_RSRC2:TRAP_HANDLER: 0
; COMPUTE_PGM_RSRC2:TGID_X_EN: 1
; COMPUTE_PGM_RSRC2:TGID_Y_EN: 0
; COMPUTE_PGM_RSRC2:TGID_Z_EN: 0
; COMPUTE_PGM_RSRC2:TIDIG_COMP_CNT: 0
	.section	.text._ZN7rocprim17ROCPRIM_400000_NS6detail17trampoline_kernelINS0_14default_configENS1_27scan_by_key_config_selectorIiiEEZZNS1_16scan_by_key_implILNS1_25lookback_scan_determinismE0ELb1ES3_N6thrust23THRUST_200600_302600_NS6detail15normal_iteratorINS9_10device_ptrIiEEEESE_SE_iNS9_4plusIvEENS9_8equal_toIvEEiEE10hipError_tPvRmT2_T3_T4_T5_mT6_T7_P12ihipStream_tbENKUlT_T0_E_clISt17integral_constantIbLb1EESZ_EEDaSU_SV_EUlSU_E_NS1_11comp_targetILNS1_3genE0ELNS1_11target_archE4294967295ELNS1_3gpuE0ELNS1_3repE0EEENS1_30default_config_static_selectorELNS0_4arch9wavefront6targetE0EEEvT1_,"axG",@progbits,_ZN7rocprim17ROCPRIM_400000_NS6detail17trampoline_kernelINS0_14default_configENS1_27scan_by_key_config_selectorIiiEEZZNS1_16scan_by_key_implILNS1_25lookback_scan_determinismE0ELb1ES3_N6thrust23THRUST_200600_302600_NS6detail15normal_iteratorINS9_10device_ptrIiEEEESE_SE_iNS9_4plusIvEENS9_8equal_toIvEEiEE10hipError_tPvRmT2_T3_T4_T5_mT6_T7_P12ihipStream_tbENKUlT_T0_E_clISt17integral_constantIbLb1EESZ_EEDaSU_SV_EUlSU_E_NS1_11comp_targetILNS1_3genE0ELNS1_11target_archE4294967295ELNS1_3gpuE0ELNS1_3repE0EEENS1_30default_config_static_selectorELNS0_4arch9wavefront6targetE0EEEvT1_,comdat
	.protected	_ZN7rocprim17ROCPRIM_400000_NS6detail17trampoline_kernelINS0_14default_configENS1_27scan_by_key_config_selectorIiiEEZZNS1_16scan_by_key_implILNS1_25lookback_scan_determinismE0ELb1ES3_N6thrust23THRUST_200600_302600_NS6detail15normal_iteratorINS9_10device_ptrIiEEEESE_SE_iNS9_4plusIvEENS9_8equal_toIvEEiEE10hipError_tPvRmT2_T3_T4_T5_mT6_T7_P12ihipStream_tbENKUlT_T0_E_clISt17integral_constantIbLb1EESZ_EEDaSU_SV_EUlSU_E_NS1_11comp_targetILNS1_3genE0ELNS1_11target_archE4294967295ELNS1_3gpuE0ELNS1_3repE0EEENS1_30default_config_static_selectorELNS0_4arch9wavefront6targetE0EEEvT1_ ; -- Begin function _ZN7rocprim17ROCPRIM_400000_NS6detail17trampoline_kernelINS0_14default_configENS1_27scan_by_key_config_selectorIiiEEZZNS1_16scan_by_key_implILNS1_25lookback_scan_determinismE0ELb1ES3_N6thrust23THRUST_200600_302600_NS6detail15normal_iteratorINS9_10device_ptrIiEEEESE_SE_iNS9_4plusIvEENS9_8equal_toIvEEiEE10hipError_tPvRmT2_T3_T4_T5_mT6_T7_P12ihipStream_tbENKUlT_T0_E_clISt17integral_constantIbLb1EESZ_EEDaSU_SV_EUlSU_E_NS1_11comp_targetILNS1_3genE0ELNS1_11target_archE4294967295ELNS1_3gpuE0ELNS1_3repE0EEENS1_30default_config_static_selectorELNS0_4arch9wavefront6targetE0EEEvT1_
	.globl	_ZN7rocprim17ROCPRIM_400000_NS6detail17trampoline_kernelINS0_14default_configENS1_27scan_by_key_config_selectorIiiEEZZNS1_16scan_by_key_implILNS1_25lookback_scan_determinismE0ELb1ES3_N6thrust23THRUST_200600_302600_NS6detail15normal_iteratorINS9_10device_ptrIiEEEESE_SE_iNS9_4plusIvEENS9_8equal_toIvEEiEE10hipError_tPvRmT2_T3_T4_T5_mT6_T7_P12ihipStream_tbENKUlT_T0_E_clISt17integral_constantIbLb1EESZ_EEDaSU_SV_EUlSU_E_NS1_11comp_targetILNS1_3genE0ELNS1_11target_archE4294967295ELNS1_3gpuE0ELNS1_3repE0EEENS1_30default_config_static_selectorELNS0_4arch9wavefront6targetE0EEEvT1_
	.p2align	8
	.type	_ZN7rocprim17ROCPRIM_400000_NS6detail17trampoline_kernelINS0_14default_configENS1_27scan_by_key_config_selectorIiiEEZZNS1_16scan_by_key_implILNS1_25lookback_scan_determinismE0ELb1ES3_N6thrust23THRUST_200600_302600_NS6detail15normal_iteratorINS9_10device_ptrIiEEEESE_SE_iNS9_4plusIvEENS9_8equal_toIvEEiEE10hipError_tPvRmT2_T3_T4_T5_mT6_T7_P12ihipStream_tbENKUlT_T0_E_clISt17integral_constantIbLb1EESZ_EEDaSU_SV_EUlSU_E_NS1_11comp_targetILNS1_3genE0ELNS1_11target_archE4294967295ELNS1_3gpuE0ELNS1_3repE0EEENS1_30default_config_static_selectorELNS0_4arch9wavefront6targetE0EEEvT1_,@function
_ZN7rocprim17ROCPRIM_400000_NS6detail17trampoline_kernelINS0_14default_configENS1_27scan_by_key_config_selectorIiiEEZZNS1_16scan_by_key_implILNS1_25lookback_scan_determinismE0ELb1ES3_N6thrust23THRUST_200600_302600_NS6detail15normal_iteratorINS9_10device_ptrIiEEEESE_SE_iNS9_4plusIvEENS9_8equal_toIvEEiEE10hipError_tPvRmT2_T3_T4_T5_mT6_T7_P12ihipStream_tbENKUlT_T0_E_clISt17integral_constantIbLb1EESZ_EEDaSU_SV_EUlSU_E_NS1_11comp_targetILNS1_3genE0ELNS1_11target_archE4294967295ELNS1_3gpuE0ELNS1_3repE0EEENS1_30default_config_static_selectorELNS0_4arch9wavefront6targetE0EEEvT1_: ; @_ZN7rocprim17ROCPRIM_400000_NS6detail17trampoline_kernelINS0_14default_configENS1_27scan_by_key_config_selectorIiiEEZZNS1_16scan_by_key_implILNS1_25lookback_scan_determinismE0ELb1ES3_N6thrust23THRUST_200600_302600_NS6detail15normal_iteratorINS9_10device_ptrIiEEEESE_SE_iNS9_4plusIvEENS9_8equal_toIvEEiEE10hipError_tPvRmT2_T3_T4_T5_mT6_T7_P12ihipStream_tbENKUlT_T0_E_clISt17integral_constantIbLb1EESZ_EEDaSU_SV_EUlSU_E_NS1_11comp_targetILNS1_3genE0ELNS1_11target_archE4294967295ELNS1_3gpuE0ELNS1_3repE0EEENS1_30default_config_static_selectorELNS0_4arch9wavefront6targetE0EEEvT1_
; %bb.0:
	.section	.rodata,"a",@progbits
	.p2align	6, 0x0
	.amdhsa_kernel _ZN7rocprim17ROCPRIM_400000_NS6detail17trampoline_kernelINS0_14default_configENS1_27scan_by_key_config_selectorIiiEEZZNS1_16scan_by_key_implILNS1_25lookback_scan_determinismE0ELb1ES3_N6thrust23THRUST_200600_302600_NS6detail15normal_iteratorINS9_10device_ptrIiEEEESE_SE_iNS9_4plusIvEENS9_8equal_toIvEEiEE10hipError_tPvRmT2_T3_T4_T5_mT6_T7_P12ihipStream_tbENKUlT_T0_E_clISt17integral_constantIbLb1EESZ_EEDaSU_SV_EUlSU_E_NS1_11comp_targetILNS1_3genE0ELNS1_11target_archE4294967295ELNS1_3gpuE0ELNS1_3repE0EEENS1_30default_config_static_selectorELNS0_4arch9wavefront6targetE0EEEvT1_
		.amdhsa_group_segment_fixed_size 0
		.amdhsa_private_segment_fixed_size 0
		.amdhsa_kernarg_size 112
		.amdhsa_user_sgpr_count 6
		.amdhsa_user_sgpr_private_segment_buffer 1
		.amdhsa_user_sgpr_dispatch_ptr 0
		.amdhsa_user_sgpr_queue_ptr 0
		.amdhsa_user_sgpr_kernarg_segment_ptr 1
		.amdhsa_user_sgpr_dispatch_id 0
		.amdhsa_user_sgpr_flat_scratch_init 0
		.amdhsa_user_sgpr_private_segment_size 0
		.amdhsa_wavefront_size32 1
		.amdhsa_uses_dynamic_stack 0
		.amdhsa_system_sgpr_private_segment_wavefront_offset 0
		.amdhsa_system_sgpr_workgroup_id_x 1
		.amdhsa_system_sgpr_workgroup_id_y 0
		.amdhsa_system_sgpr_workgroup_id_z 0
		.amdhsa_system_sgpr_workgroup_info 0
		.amdhsa_system_vgpr_workitem_id 0
		.amdhsa_next_free_vgpr 1
		.amdhsa_next_free_sgpr 1
		.amdhsa_reserve_vcc 0
		.amdhsa_reserve_flat_scratch 0
		.amdhsa_float_round_mode_32 0
		.amdhsa_float_round_mode_16_64 0
		.amdhsa_float_denorm_mode_32 3
		.amdhsa_float_denorm_mode_16_64 3
		.amdhsa_dx10_clamp 1
		.amdhsa_ieee_mode 1
		.amdhsa_fp16_overflow 0
		.amdhsa_workgroup_processor_mode 1
		.amdhsa_memory_ordered 1
		.amdhsa_forward_progress 1
		.amdhsa_shared_vgpr_count 0
		.amdhsa_exception_fp_ieee_invalid_op 0
		.amdhsa_exception_fp_denorm_src 0
		.amdhsa_exception_fp_ieee_div_zero 0
		.amdhsa_exception_fp_ieee_overflow 0
		.amdhsa_exception_fp_ieee_underflow 0
		.amdhsa_exception_fp_ieee_inexact 0
		.amdhsa_exception_int_div_zero 0
	.end_amdhsa_kernel
	.section	.text._ZN7rocprim17ROCPRIM_400000_NS6detail17trampoline_kernelINS0_14default_configENS1_27scan_by_key_config_selectorIiiEEZZNS1_16scan_by_key_implILNS1_25lookback_scan_determinismE0ELb1ES3_N6thrust23THRUST_200600_302600_NS6detail15normal_iteratorINS9_10device_ptrIiEEEESE_SE_iNS9_4plusIvEENS9_8equal_toIvEEiEE10hipError_tPvRmT2_T3_T4_T5_mT6_T7_P12ihipStream_tbENKUlT_T0_E_clISt17integral_constantIbLb1EESZ_EEDaSU_SV_EUlSU_E_NS1_11comp_targetILNS1_3genE0ELNS1_11target_archE4294967295ELNS1_3gpuE0ELNS1_3repE0EEENS1_30default_config_static_selectorELNS0_4arch9wavefront6targetE0EEEvT1_,"axG",@progbits,_ZN7rocprim17ROCPRIM_400000_NS6detail17trampoline_kernelINS0_14default_configENS1_27scan_by_key_config_selectorIiiEEZZNS1_16scan_by_key_implILNS1_25lookback_scan_determinismE0ELb1ES3_N6thrust23THRUST_200600_302600_NS6detail15normal_iteratorINS9_10device_ptrIiEEEESE_SE_iNS9_4plusIvEENS9_8equal_toIvEEiEE10hipError_tPvRmT2_T3_T4_T5_mT6_T7_P12ihipStream_tbENKUlT_T0_E_clISt17integral_constantIbLb1EESZ_EEDaSU_SV_EUlSU_E_NS1_11comp_targetILNS1_3genE0ELNS1_11target_archE4294967295ELNS1_3gpuE0ELNS1_3repE0EEENS1_30default_config_static_selectorELNS0_4arch9wavefront6targetE0EEEvT1_,comdat
.Lfunc_end470:
	.size	_ZN7rocprim17ROCPRIM_400000_NS6detail17trampoline_kernelINS0_14default_configENS1_27scan_by_key_config_selectorIiiEEZZNS1_16scan_by_key_implILNS1_25lookback_scan_determinismE0ELb1ES3_N6thrust23THRUST_200600_302600_NS6detail15normal_iteratorINS9_10device_ptrIiEEEESE_SE_iNS9_4plusIvEENS9_8equal_toIvEEiEE10hipError_tPvRmT2_T3_T4_T5_mT6_T7_P12ihipStream_tbENKUlT_T0_E_clISt17integral_constantIbLb1EESZ_EEDaSU_SV_EUlSU_E_NS1_11comp_targetILNS1_3genE0ELNS1_11target_archE4294967295ELNS1_3gpuE0ELNS1_3repE0EEENS1_30default_config_static_selectorELNS0_4arch9wavefront6targetE0EEEvT1_, .Lfunc_end470-_ZN7rocprim17ROCPRIM_400000_NS6detail17trampoline_kernelINS0_14default_configENS1_27scan_by_key_config_selectorIiiEEZZNS1_16scan_by_key_implILNS1_25lookback_scan_determinismE0ELb1ES3_N6thrust23THRUST_200600_302600_NS6detail15normal_iteratorINS9_10device_ptrIiEEEESE_SE_iNS9_4plusIvEENS9_8equal_toIvEEiEE10hipError_tPvRmT2_T3_T4_T5_mT6_T7_P12ihipStream_tbENKUlT_T0_E_clISt17integral_constantIbLb1EESZ_EEDaSU_SV_EUlSU_E_NS1_11comp_targetILNS1_3genE0ELNS1_11target_archE4294967295ELNS1_3gpuE0ELNS1_3repE0EEENS1_30default_config_static_selectorELNS0_4arch9wavefront6targetE0EEEvT1_
                                        ; -- End function
	.set _ZN7rocprim17ROCPRIM_400000_NS6detail17trampoline_kernelINS0_14default_configENS1_27scan_by_key_config_selectorIiiEEZZNS1_16scan_by_key_implILNS1_25lookback_scan_determinismE0ELb1ES3_N6thrust23THRUST_200600_302600_NS6detail15normal_iteratorINS9_10device_ptrIiEEEESE_SE_iNS9_4plusIvEENS9_8equal_toIvEEiEE10hipError_tPvRmT2_T3_T4_T5_mT6_T7_P12ihipStream_tbENKUlT_T0_E_clISt17integral_constantIbLb1EESZ_EEDaSU_SV_EUlSU_E_NS1_11comp_targetILNS1_3genE0ELNS1_11target_archE4294967295ELNS1_3gpuE0ELNS1_3repE0EEENS1_30default_config_static_selectorELNS0_4arch9wavefront6targetE0EEEvT1_.num_vgpr, 0
	.set _ZN7rocprim17ROCPRIM_400000_NS6detail17trampoline_kernelINS0_14default_configENS1_27scan_by_key_config_selectorIiiEEZZNS1_16scan_by_key_implILNS1_25lookback_scan_determinismE0ELb1ES3_N6thrust23THRUST_200600_302600_NS6detail15normal_iteratorINS9_10device_ptrIiEEEESE_SE_iNS9_4plusIvEENS9_8equal_toIvEEiEE10hipError_tPvRmT2_T3_T4_T5_mT6_T7_P12ihipStream_tbENKUlT_T0_E_clISt17integral_constantIbLb1EESZ_EEDaSU_SV_EUlSU_E_NS1_11comp_targetILNS1_3genE0ELNS1_11target_archE4294967295ELNS1_3gpuE0ELNS1_3repE0EEENS1_30default_config_static_selectorELNS0_4arch9wavefront6targetE0EEEvT1_.num_agpr, 0
	.set _ZN7rocprim17ROCPRIM_400000_NS6detail17trampoline_kernelINS0_14default_configENS1_27scan_by_key_config_selectorIiiEEZZNS1_16scan_by_key_implILNS1_25lookback_scan_determinismE0ELb1ES3_N6thrust23THRUST_200600_302600_NS6detail15normal_iteratorINS9_10device_ptrIiEEEESE_SE_iNS9_4plusIvEENS9_8equal_toIvEEiEE10hipError_tPvRmT2_T3_T4_T5_mT6_T7_P12ihipStream_tbENKUlT_T0_E_clISt17integral_constantIbLb1EESZ_EEDaSU_SV_EUlSU_E_NS1_11comp_targetILNS1_3genE0ELNS1_11target_archE4294967295ELNS1_3gpuE0ELNS1_3repE0EEENS1_30default_config_static_selectorELNS0_4arch9wavefront6targetE0EEEvT1_.numbered_sgpr, 0
	.set _ZN7rocprim17ROCPRIM_400000_NS6detail17trampoline_kernelINS0_14default_configENS1_27scan_by_key_config_selectorIiiEEZZNS1_16scan_by_key_implILNS1_25lookback_scan_determinismE0ELb1ES3_N6thrust23THRUST_200600_302600_NS6detail15normal_iteratorINS9_10device_ptrIiEEEESE_SE_iNS9_4plusIvEENS9_8equal_toIvEEiEE10hipError_tPvRmT2_T3_T4_T5_mT6_T7_P12ihipStream_tbENKUlT_T0_E_clISt17integral_constantIbLb1EESZ_EEDaSU_SV_EUlSU_E_NS1_11comp_targetILNS1_3genE0ELNS1_11target_archE4294967295ELNS1_3gpuE0ELNS1_3repE0EEENS1_30default_config_static_selectorELNS0_4arch9wavefront6targetE0EEEvT1_.num_named_barrier, 0
	.set _ZN7rocprim17ROCPRIM_400000_NS6detail17trampoline_kernelINS0_14default_configENS1_27scan_by_key_config_selectorIiiEEZZNS1_16scan_by_key_implILNS1_25lookback_scan_determinismE0ELb1ES3_N6thrust23THRUST_200600_302600_NS6detail15normal_iteratorINS9_10device_ptrIiEEEESE_SE_iNS9_4plusIvEENS9_8equal_toIvEEiEE10hipError_tPvRmT2_T3_T4_T5_mT6_T7_P12ihipStream_tbENKUlT_T0_E_clISt17integral_constantIbLb1EESZ_EEDaSU_SV_EUlSU_E_NS1_11comp_targetILNS1_3genE0ELNS1_11target_archE4294967295ELNS1_3gpuE0ELNS1_3repE0EEENS1_30default_config_static_selectorELNS0_4arch9wavefront6targetE0EEEvT1_.private_seg_size, 0
	.set _ZN7rocprim17ROCPRIM_400000_NS6detail17trampoline_kernelINS0_14default_configENS1_27scan_by_key_config_selectorIiiEEZZNS1_16scan_by_key_implILNS1_25lookback_scan_determinismE0ELb1ES3_N6thrust23THRUST_200600_302600_NS6detail15normal_iteratorINS9_10device_ptrIiEEEESE_SE_iNS9_4plusIvEENS9_8equal_toIvEEiEE10hipError_tPvRmT2_T3_T4_T5_mT6_T7_P12ihipStream_tbENKUlT_T0_E_clISt17integral_constantIbLb1EESZ_EEDaSU_SV_EUlSU_E_NS1_11comp_targetILNS1_3genE0ELNS1_11target_archE4294967295ELNS1_3gpuE0ELNS1_3repE0EEENS1_30default_config_static_selectorELNS0_4arch9wavefront6targetE0EEEvT1_.uses_vcc, 0
	.set _ZN7rocprim17ROCPRIM_400000_NS6detail17trampoline_kernelINS0_14default_configENS1_27scan_by_key_config_selectorIiiEEZZNS1_16scan_by_key_implILNS1_25lookback_scan_determinismE0ELb1ES3_N6thrust23THRUST_200600_302600_NS6detail15normal_iteratorINS9_10device_ptrIiEEEESE_SE_iNS9_4plusIvEENS9_8equal_toIvEEiEE10hipError_tPvRmT2_T3_T4_T5_mT6_T7_P12ihipStream_tbENKUlT_T0_E_clISt17integral_constantIbLb1EESZ_EEDaSU_SV_EUlSU_E_NS1_11comp_targetILNS1_3genE0ELNS1_11target_archE4294967295ELNS1_3gpuE0ELNS1_3repE0EEENS1_30default_config_static_selectorELNS0_4arch9wavefront6targetE0EEEvT1_.uses_flat_scratch, 0
	.set _ZN7rocprim17ROCPRIM_400000_NS6detail17trampoline_kernelINS0_14default_configENS1_27scan_by_key_config_selectorIiiEEZZNS1_16scan_by_key_implILNS1_25lookback_scan_determinismE0ELb1ES3_N6thrust23THRUST_200600_302600_NS6detail15normal_iteratorINS9_10device_ptrIiEEEESE_SE_iNS9_4plusIvEENS9_8equal_toIvEEiEE10hipError_tPvRmT2_T3_T4_T5_mT6_T7_P12ihipStream_tbENKUlT_T0_E_clISt17integral_constantIbLb1EESZ_EEDaSU_SV_EUlSU_E_NS1_11comp_targetILNS1_3genE0ELNS1_11target_archE4294967295ELNS1_3gpuE0ELNS1_3repE0EEENS1_30default_config_static_selectorELNS0_4arch9wavefront6targetE0EEEvT1_.has_dyn_sized_stack, 0
	.set _ZN7rocprim17ROCPRIM_400000_NS6detail17trampoline_kernelINS0_14default_configENS1_27scan_by_key_config_selectorIiiEEZZNS1_16scan_by_key_implILNS1_25lookback_scan_determinismE0ELb1ES3_N6thrust23THRUST_200600_302600_NS6detail15normal_iteratorINS9_10device_ptrIiEEEESE_SE_iNS9_4plusIvEENS9_8equal_toIvEEiEE10hipError_tPvRmT2_T3_T4_T5_mT6_T7_P12ihipStream_tbENKUlT_T0_E_clISt17integral_constantIbLb1EESZ_EEDaSU_SV_EUlSU_E_NS1_11comp_targetILNS1_3genE0ELNS1_11target_archE4294967295ELNS1_3gpuE0ELNS1_3repE0EEENS1_30default_config_static_selectorELNS0_4arch9wavefront6targetE0EEEvT1_.has_recursion, 0
	.set _ZN7rocprim17ROCPRIM_400000_NS6detail17trampoline_kernelINS0_14default_configENS1_27scan_by_key_config_selectorIiiEEZZNS1_16scan_by_key_implILNS1_25lookback_scan_determinismE0ELb1ES3_N6thrust23THRUST_200600_302600_NS6detail15normal_iteratorINS9_10device_ptrIiEEEESE_SE_iNS9_4plusIvEENS9_8equal_toIvEEiEE10hipError_tPvRmT2_T3_T4_T5_mT6_T7_P12ihipStream_tbENKUlT_T0_E_clISt17integral_constantIbLb1EESZ_EEDaSU_SV_EUlSU_E_NS1_11comp_targetILNS1_3genE0ELNS1_11target_archE4294967295ELNS1_3gpuE0ELNS1_3repE0EEENS1_30default_config_static_selectorELNS0_4arch9wavefront6targetE0EEEvT1_.has_indirect_call, 0
	.section	.AMDGPU.csdata,"",@progbits
; Kernel info:
; codeLenInByte = 0
; TotalNumSgprs: 0
; NumVgprs: 0
; ScratchSize: 0
; MemoryBound: 0
; FloatMode: 240
; IeeeMode: 1
; LDSByteSize: 0 bytes/workgroup (compile time only)
; SGPRBlocks: 0
; VGPRBlocks: 0
; NumSGPRsForWavesPerEU: 1
; NumVGPRsForWavesPerEU: 1
; Occupancy: 16
; WaveLimiterHint : 0
; COMPUTE_PGM_RSRC2:SCRATCH_EN: 0
; COMPUTE_PGM_RSRC2:USER_SGPR: 6
; COMPUTE_PGM_RSRC2:TRAP_HANDLER: 0
; COMPUTE_PGM_RSRC2:TGID_X_EN: 1
; COMPUTE_PGM_RSRC2:TGID_Y_EN: 0
; COMPUTE_PGM_RSRC2:TGID_Z_EN: 0
; COMPUTE_PGM_RSRC2:TIDIG_COMP_CNT: 0
	.section	.text._ZN7rocprim17ROCPRIM_400000_NS6detail17trampoline_kernelINS0_14default_configENS1_27scan_by_key_config_selectorIiiEEZZNS1_16scan_by_key_implILNS1_25lookback_scan_determinismE0ELb1ES3_N6thrust23THRUST_200600_302600_NS6detail15normal_iteratorINS9_10device_ptrIiEEEESE_SE_iNS9_4plusIvEENS9_8equal_toIvEEiEE10hipError_tPvRmT2_T3_T4_T5_mT6_T7_P12ihipStream_tbENKUlT_T0_E_clISt17integral_constantIbLb1EESZ_EEDaSU_SV_EUlSU_E_NS1_11comp_targetILNS1_3genE10ELNS1_11target_archE1201ELNS1_3gpuE5ELNS1_3repE0EEENS1_30default_config_static_selectorELNS0_4arch9wavefront6targetE0EEEvT1_,"axG",@progbits,_ZN7rocprim17ROCPRIM_400000_NS6detail17trampoline_kernelINS0_14default_configENS1_27scan_by_key_config_selectorIiiEEZZNS1_16scan_by_key_implILNS1_25lookback_scan_determinismE0ELb1ES3_N6thrust23THRUST_200600_302600_NS6detail15normal_iteratorINS9_10device_ptrIiEEEESE_SE_iNS9_4plusIvEENS9_8equal_toIvEEiEE10hipError_tPvRmT2_T3_T4_T5_mT6_T7_P12ihipStream_tbENKUlT_T0_E_clISt17integral_constantIbLb1EESZ_EEDaSU_SV_EUlSU_E_NS1_11comp_targetILNS1_3genE10ELNS1_11target_archE1201ELNS1_3gpuE5ELNS1_3repE0EEENS1_30default_config_static_selectorELNS0_4arch9wavefront6targetE0EEEvT1_,comdat
	.protected	_ZN7rocprim17ROCPRIM_400000_NS6detail17trampoline_kernelINS0_14default_configENS1_27scan_by_key_config_selectorIiiEEZZNS1_16scan_by_key_implILNS1_25lookback_scan_determinismE0ELb1ES3_N6thrust23THRUST_200600_302600_NS6detail15normal_iteratorINS9_10device_ptrIiEEEESE_SE_iNS9_4plusIvEENS9_8equal_toIvEEiEE10hipError_tPvRmT2_T3_T4_T5_mT6_T7_P12ihipStream_tbENKUlT_T0_E_clISt17integral_constantIbLb1EESZ_EEDaSU_SV_EUlSU_E_NS1_11comp_targetILNS1_3genE10ELNS1_11target_archE1201ELNS1_3gpuE5ELNS1_3repE0EEENS1_30default_config_static_selectorELNS0_4arch9wavefront6targetE0EEEvT1_ ; -- Begin function _ZN7rocprim17ROCPRIM_400000_NS6detail17trampoline_kernelINS0_14default_configENS1_27scan_by_key_config_selectorIiiEEZZNS1_16scan_by_key_implILNS1_25lookback_scan_determinismE0ELb1ES3_N6thrust23THRUST_200600_302600_NS6detail15normal_iteratorINS9_10device_ptrIiEEEESE_SE_iNS9_4plusIvEENS9_8equal_toIvEEiEE10hipError_tPvRmT2_T3_T4_T5_mT6_T7_P12ihipStream_tbENKUlT_T0_E_clISt17integral_constantIbLb1EESZ_EEDaSU_SV_EUlSU_E_NS1_11comp_targetILNS1_3genE10ELNS1_11target_archE1201ELNS1_3gpuE5ELNS1_3repE0EEENS1_30default_config_static_selectorELNS0_4arch9wavefront6targetE0EEEvT1_
	.globl	_ZN7rocprim17ROCPRIM_400000_NS6detail17trampoline_kernelINS0_14default_configENS1_27scan_by_key_config_selectorIiiEEZZNS1_16scan_by_key_implILNS1_25lookback_scan_determinismE0ELb1ES3_N6thrust23THRUST_200600_302600_NS6detail15normal_iteratorINS9_10device_ptrIiEEEESE_SE_iNS9_4plusIvEENS9_8equal_toIvEEiEE10hipError_tPvRmT2_T3_T4_T5_mT6_T7_P12ihipStream_tbENKUlT_T0_E_clISt17integral_constantIbLb1EESZ_EEDaSU_SV_EUlSU_E_NS1_11comp_targetILNS1_3genE10ELNS1_11target_archE1201ELNS1_3gpuE5ELNS1_3repE0EEENS1_30default_config_static_selectorELNS0_4arch9wavefront6targetE0EEEvT1_
	.p2align	8
	.type	_ZN7rocprim17ROCPRIM_400000_NS6detail17trampoline_kernelINS0_14default_configENS1_27scan_by_key_config_selectorIiiEEZZNS1_16scan_by_key_implILNS1_25lookback_scan_determinismE0ELb1ES3_N6thrust23THRUST_200600_302600_NS6detail15normal_iteratorINS9_10device_ptrIiEEEESE_SE_iNS9_4plusIvEENS9_8equal_toIvEEiEE10hipError_tPvRmT2_T3_T4_T5_mT6_T7_P12ihipStream_tbENKUlT_T0_E_clISt17integral_constantIbLb1EESZ_EEDaSU_SV_EUlSU_E_NS1_11comp_targetILNS1_3genE10ELNS1_11target_archE1201ELNS1_3gpuE5ELNS1_3repE0EEENS1_30default_config_static_selectorELNS0_4arch9wavefront6targetE0EEEvT1_,@function
_ZN7rocprim17ROCPRIM_400000_NS6detail17trampoline_kernelINS0_14default_configENS1_27scan_by_key_config_selectorIiiEEZZNS1_16scan_by_key_implILNS1_25lookback_scan_determinismE0ELb1ES3_N6thrust23THRUST_200600_302600_NS6detail15normal_iteratorINS9_10device_ptrIiEEEESE_SE_iNS9_4plusIvEENS9_8equal_toIvEEiEE10hipError_tPvRmT2_T3_T4_T5_mT6_T7_P12ihipStream_tbENKUlT_T0_E_clISt17integral_constantIbLb1EESZ_EEDaSU_SV_EUlSU_E_NS1_11comp_targetILNS1_3genE10ELNS1_11target_archE1201ELNS1_3gpuE5ELNS1_3repE0EEENS1_30default_config_static_selectorELNS0_4arch9wavefront6targetE0EEEvT1_: ; @_ZN7rocprim17ROCPRIM_400000_NS6detail17trampoline_kernelINS0_14default_configENS1_27scan_by_key_config_selectorIiiEEZZNS1_16scan_by_key_implILNS1_25lookback_scan_determinismE0ELb1ES3_N6thrust23THRUST_200600_302600_NS6detail15normal_iteratorINS9_10device_ptrIiEEEESE_SE_iNS9_4plusIvEENS9_8equal_toIvEEiEE10hipError_tPvRmT2_T3_T4_T5_mT6_T7_P12ihipStream_tbENKUlT_T0_E_clISt17integral_constantIbLb1EESZ_EEDaSU_SV_EUlSU_E_NS1_11comp_targetILNS1_3genE10ELNS1_11target_archE1201ELNS1_3gpuE5ELNS1_3repE0EEENS1_30default_config_static_selectorELNS0_4arch9wavefront6targetE0EEEvT1_
; %bb.0:
	.section	.rodata,"a",@progbits
	.p2align	6, 0x0
	.amdhsa_kernel _ZN7rocprim17ROCPRIM_400000_NS6detail17trampoline_kernelINS0_14default_configENS1_27scan_by_key_config_selectorIiiEEZZNS1_16scan_by_key_implILNS1_25lookback_scan_determinismE0ELb1ES3_N6thrust23THRUST_200600_302600_NS6detail15normal_iteratorINS9_10device_ptrIiEEEESE_SE_iNS9_4plusIvEENS9_8equal_toIvEEiEE10hipError_tPvRmT2_T3_T4_T5_mT6_T7_P12ihipStream_tbENKUlT_T0_E_clISt17integral_constantIbLb1EESZ_EEDaSU_SV_EUlSU_E_NS1_11comp_targetILNS1_3genE10ELNS1_11target_archE1201ELNS1_3gpuE5ELNS1_3repE0EEENS1_30default_config_static_selectorELNS0_4arch9wavefront6targetE0EEEvT1_
		.amdhsa_group_segment_fixed_size 0
		.amdhsa_private_segment_fixed_size 0
		.amdhsa_kernarg_size 112
		.amdhsa_user_sgpr_count 6
		.amdhsa_user_sgpr_private_segment_buffer 1
		.amdhsa_user_sgpr_dispatch_ptr 0
		.amdhsa_user_sgpr_queue_ptr 0
		.amdhsa_user_sgpr_kernarg_segment_ptr 1
		.amdhsa_user_sgpr_dispatch_id 0
		.amdhsa_user_sgpr_flat_scratch_init 0
		.amdhsa_user_sgpr_private_segment_size 0
		.amdhsa_wavefront_size32 1
		.amdhsa_uses_dynamic_stack 0
		.amdhsa_system_sgpr_private_segment_wavefront_offset 0
		.amdhsa_system_sgpr_workgroup_id_x 1
		.amdhsa_system_sgpr_workgroup_id_y 0
		.amdhsa_system_sgpr_workgroup_id_z 0
		.amdhsa_system_sgpr_workgroup_info 0
		.amdhsa_system_vgpr_workitem_id 0
		.amdhsa_next_free_vgpr 1
		.amdhsa_next_free_sgpr 1
		.amdhsa_reserve_vcc 0
		.amdhsa_reserve_flat_scratch 0
		.amdhsa_float_round_mode_32 0
		.amdhsa_float_round_mode_16_64 0
		.amdhsa_float_denorm_mode_32 3
		.amdhsa_float_denorm_mode_16_64 3
		.amdhsa_dx10_clamp 1
		.amdhsa_ieee_mode 1
		.amdhsa_fp16_overflow 0
		.amdhsa_workgroup_processor_mode 1
		.amdhsa_memory_ordered 1
		.amdhsa_forward_progress 1
		.amdhsa_shared_vgpr_count 0
		.amdhsa_exception_fp_ieee_invalid_op 0
		.amdhsa_exception_fp_denorm_src 0
		.amdhsa_exception_fp_ieee_div_zero 0
		.amdhsa_exception_fp_ieee_overflow 0
		.amdhsa_exception_fp_ieee_underflow 0
		.amdhsa_exception_fp_ieee_inexact 0
		.amdhsa_exception_int_div_zero 0
	.end_amdhsa_kernel
	.section	.text._ZN7rocprim17ROCPRIM_400000_NS6detail17trampoline_kernelINS0_14default_configENS1_27scan_by_key_config_selectorIiiEEZZNS1_16scan_by_key_implILNS1_25lookback_scan_determinismE0ELb1ES3_N6thrust23THRUST_200600_302600_NS6detail15normal_iteratorINS9_10device_ptrIiEEEESE_SE_iNS9_4plusIvEENS9_8equal_toIvEEiEE10hipError_tPvRmT2_T3_T4_T5_mT6_T7_P12ihipStream_tbENKUlT_T0_E_clISt17integral_constantIbLb1EESZ_EEDaSU_SV_EUlSU_E_NS1_11comp_targetILNS1_3genE10ELNS1_11target_archE1201ELNS1_3gpuE5ELNS1_3repE0EEENS1_30default_config_static_selectorELNS0_4arch9wavefront6targetE0EEEvT1_,"axG",@progbits,_ZN7rocprim17ROCPRIM_400000_NS6detail17trampoline_kernelINS0_14default_configENS1_27scan_by_key_config_selectorIiiEEZZNS1_16scan_by_key_implILNS1_25lookback_scan_determinismE0ELb1ES3_N6thrust23THRUST_200600_302600_NS6detail15normal_iteratorINS9_10device_ptrIiEEEESE_SE_iNS9_4plusIvEENS9_8equal_toIvEEiEE10hipError_tPvRmT2_T3_T4_T5_mT6_T7_P12ihipStream_tbENKUlT_T0_E_clISt17integral_constantIbLb1EESZ_EEDaSU_SV_EUlSU_E_NS1_11comp_targetILNS1_3genE10ELNS1_11target_archE1201ELNS1_3gpuE5ELNS1_3repE0EEENS1_30default_config_static_selectorELNS0_4arch9wavefront6targetE0EEEvT1_,comdat
.Lfunc_end471:
	.size	_ZN7rocprim17ROCPRIM_400000_NS6detail17trampoline_kernelINS0_14default_configENS1_27scan_by_key_config_selectorIiiEEZZNS1_16scan_by_key_implILNS1_25lookback_scan_determinismE0ELb1ES3_N6thrust23THRUST_200600_302600_NS6detail15normal_iteratorINS9_10device_ptrIiEEEESE_SE_iNS9_4plusIvEENS9_8equal_toIvEEiEE10hipError_tPvRmT2_T3_T4_T5_mT6_T7_P12ihipStream_tbENKUlT_T0_E_clISt17integral_constantIbLb1EESZ_EEDaSU_SV_EUlSU_E_NS1_11comp_targetILNS1_3genE10ELNS1_11target_archE1201ELNS1_3gpuE5ELNS1_3repE0EEENS1_30default_config_static_selectorELNS0_4arch9wavefront6targetE0EEEvT1_, .Lfunc_end471-_ZN7rocprim17ROCPRIM_400000_NS6detail17trampoline_kernelINS0_14default_configENS1_27scan_by_key_config_selectorIiiEEZZNS1_16scan_by_key_implILNS1_25lookback_scan_determinismE0ELb1ES3_N6thrust23THRUST_200600_302600_NS6detail15normal_iteratorINS9_10device_ptrIiEEEESE_SE_iNS9_4plusIvEENS9_8equal_toIvEEiEE10hipError_tPvRmT2_T3_T4_T5_mT6_T7_P12ihipStream_tbENKUlT_T0_E_clISt17integral_constantIbLb1EESZ_EEDaSU_SV_EUlSU_E_NS1_11comp_targetILNS1_3genE10ELNS1_11target_archE1201ELNS1_3gpuE5ELNS1_3repE0EEENS1_30default_config_static_selectorELNS0_4arch9wavefront6targetE0EEEvT1_
                                        ; -- End function
	.set _ZN7rocprim17ROCPRIM_400000_NS6detail17trampoline_kernelINS0_14default_configENS1_27scan_by_key_config_selectorIiiEEZZNS1_16scan_by_key_implILNS1_25lookback_scan_determinismE0ELb1ES3_N6thrust23THRUST_200600_302600_NS6detail15normal_iteratorINS9_10device_ptrIiEEEESE_SE_iNS9_4plusIvEENS9_8equal_toIvEEiEE10hipError_tPvRmT2_T3_T4_T5_mT6_T7_P12ihipStream_tbENKUlT_T0_E_clISt17integral_constantIbLb1EESZ_EEDaSU_SV_EUlSU_E_NS1_11comp_targetILNS1_3genE10ELNS1_11target_archE1201ELNS1_3gpuE5ELNS1_3repE0EEENS1_30default_config_static_selectorELNS0_4arch9wavefront6targetE0EEEvT1_.num_vgpr, 0
	.set _ZN7rocprim17ROCPRIM_400000_NS6detail17trampoline_kernelINS0_14default_configENS1_27scan_by_key_config_selectorIiiEEZZNS1_16scan_by_key_implILNS1_25lookback_scan_determinismE0ELb1ES3_N6thrust23THRUST_200600_302600_NS6detail15normal_iteratorINS9_10device_ptrIiEEEESE_SE_iNS9_4plusIvEENS9_8equal_toIvEEiEE10hipError_tPvRmT2_T3_T4_T5_mT6_T7_P12ihipStream_tbENKUlT_T0_E_clISt17integral_constantIbLb1EESZ_EEDaSU_SV_EUlSU_E_NS1_11comp_targetILNS1_3genE10ELNS1_11target_archE1201ELNS1_3gpuE5ELNS1_3repE0EEENS1_30default_config_static_selectorELNS0_4arch9wavefront6targetE0EEEvT1_.num_agpr, 0
	.set _ZN7rocprim17ROCPRIM_400000_NS6detail17trampoline_kernelINS0_14default_configENS1_27scan_by_key_config_selectorIiiEEZZNS1_16scan_by_key_implILNS1_25lookback_scan_determinismE0ELb1ES3_N6thrust23THRUST_200600_302600_NS6detail15normal_iteratorINS9_10device_ptrIiEEEESE_SE_iNS9_4plusIvEENS9_8equal_toIvEEiEE10hipError_tPvRmT2_T3_T4_T5_mT6_T7_P12ihipStream_tbENKUlT_T0_E_clISt17integral_constantIbLb1EESZ_EEDaSU_SV_EUlSU_E_NS1_11comp_targetILNS1_3genE10ELNS1_11target_archE1201ELNS1_3gpuE5ELNS1_3repE0EEENS1_30default_config_static_selectorELNS0_4arch9wavefront6targetE0EEEvT1_.numbered_sgpr, 0
	.set _ZN7rocprim17ROCPRIM_400000_NS6detail17trampoline_kernelINS0_14default_configENS1_27scan_by_key_config_selectorIiiEEZZNS1_16scan_by_key_implILNS1_25lookback_scan_determinismE0ELb1ES3_N6thrust23THRUST_200600_302600_NS6detail15normal_iteratorINS9_10device_ptrIiEEEESE_SE_iNS9_4plusIvEENS9_8equal_toIvEEiEE10hipError_tPvRmT2_T3_T4_T5_mT6_T7_P12ihipStream_tbENKUlT_T0_E_clISt17integral_constantIbLb1EESZ_EEDaSU_SV_EUlSU_E_NS1_11comp_targetILNS1_3genE10ELNS1_11target_archE1201ELNS1_3gpuE5ELNS1_3repE0EEENS1_30default_config_static_selectorELNS0_4arch9wavefront6targetE0EEEvT1_.num_named_barrier, 0
	.set _ZN7rocprim17ROCPRIM_400000_NS6detail17trampoline_kernelINS0_14default_configENS1_27scan_by_key_config_selectorIiiEEZZNS1_16scan_by_key_implILNS1_25lookback_scan_determinismE0ELb1ES3_N6thrust23THRUST_200600_302600_NS6detail15normal_iteratorINS9_10device_ptrIiEEEESE_SE_iNS9_4plusIvEENS9_8equal_toIvEEiEE10hipError_tPvRmT2_T3_T4_T5_mT6_T7_P12ihipStream_tbENKUlT_T0_E_clISt17integral_constantIbLb1EESZ_EEDaSU_SV_EUlSU_E_NS1_11comp_targetILNS1_3genE10ELNS1_11target_archE1201ELNS1_3gpuE5ELNS1_3repE0EEENS1_30default_config_static_selectorELNS0_4arch9wavefront6targetE0EEEvT1_.private_seg_size, 0
	.set _ZN7rocprim17ROCPRIM_400000_NS6detail17trampoline_kernelINS0_14default_configENS1_27scan_by_key_config_selectorIiiEEZZNS1_16scan_by_key_implILNS1_25lookback_scan_determinismE0ELb1ES3_N6thrust23THRUST_200600_302600_NS6detail15normal_iteratorINS9_10device_ptrIiEEEESE_SE_iNS9_4plusIvEENS9_8equal_toIvEEiEE10hipError_tPvRmT2_T3_T4_T5_mT6_T7_P12ihipStream_tbENKUlT_T0_E_clISt17integral_constantIbLb1EESZ_EEDaSU_SV_EUlSU_E_NS1_11comp_targetILNS1_3genE10ELNS1_11target_archE1201ELNS1_3gpuE5ELNS1_3repE0EEENS1_30default_config_static_selectorELNS0_4arch9wavefront6targetE0EEEvT1_.uses_vcc, 0
	.set _ZN7rocprim17ROCPRIM_400000_NS6detail17trampoline_kernelINS0_14default_configENS1_27scan_by_key_config_selectorIiiEEZZNS1_16scan_by_key_implILNS1_25lookback_scan_determinismE0ELb1ES3_N6thrust23THRUST_200600_302600_NS6detail15normal_iteratorINS9_10device_ptrIiEEEESE_SE_iNS9_4plusIvEENS9_8equal_toIvEEiEE10hipError_tPvRmT2_T3_T4_T5_mT6_T7_P12ihipStream_tbENKUlT_T0_E_clISt17integral_constantIbLb1EESZ_EEDaSU_SV_EUlSU_E_NS1_11comp_targetILNS1_3genE10ELNS1_11target_archE1201ELNS1_3gpuE5ELNS1_3repE0EEENS1_30default_config_static_selectorELNS0_4arch9wavefront6targetE0EEEvT1_.uses_flat_scratch, 0
	.set _ZN7rocprim17ROCPRIM_400000_NS6detail17trampoline_kernelINS0_14default_configENS1_27scan_by_key_config_selectorIiiEEZZNS1_16scan_by_key_implILNS1_25lookback_scan_determinismE0ELb1ES3_N6thrust23THRUST_200600_302600_NS6detail15normal_iteratorINS9_10device_ptrIiEEEESE_SE_iNS9_4plusIvEENS9_8equal_toIvEEiEE10hipError_tPvRmT2_T3_T4_T5_mT6_T7_P12ihipStream_tbENKUlT_T0_E_clISt17integral_constantIbLb1EESZ_EEDaSU_SV_EUlSU_E_NS1_11comp_targetILNS1_3genE10ELNS1_11target_archE1201ELNS1_3gpuE5ELNS1_3repE0EEENS1_30default_config_static_selectorELNS0_4arch9wavefront6targetE0EEEvT1_.has_dyn_sized_stack, 0
	.set _ZN7rocprim17ROCPRIM_400000_NS6detail17trampoline_kernelINS0_14default_configENS1_27scan_by_key_config_selectorIiiEEZZNS1_16scan_by_key_implILNS1_25lookback_scan_determinismE0ELb1ES3_N6thrust23THRUST_200600_302600_NS6detail15normal_iteratorINS9_10device_ptrIiEEEESE_SE_iNS9_4plusIvEENS9_8equal_toIvEEiEE10hipError_tPvRmT2_T3_T4_T5_mT6_T7_P12ihipStream_tbENKUlT_T0_E_clISt17integral_constantIbLb1EESZ_EEDaSU_SV_EUlSU_E_NS1_11comp_targetILNS1_3genE10ELNS1_11target_archE1201ELNS1_3gpuE5ELNS1_3repE0EEENS1_30default_config_static_selectorELNS0_4arch9wavefront6targetE0EEEvT1_.has_recursion, 0
	.set _ZN7rocprim17ROCPRIM_400000_NS6detail17trampoline_kernelINS0_14default_configENS1_27scan_by_key_config_selectorIiiEEZZNS1_16scan_by_key_implILNS1_25lookback_scan_determinismE0ELb1ES3_N6thrust23THRUST_200600_302600_NS6detail15normal_iteratorINS9_10device_ptrIiEEEESE_SE_iNS9_4plusIvEENS9_8equal_toIvEEiEE10hipError_tPvRmT2_T3_T4_T5_mT6_T7_P12ihipStream_tbENKUlT_T0_E_clISt17integral_constantIbLb1EESZ_EEDaSU_SV_EUlSU_E_NS1_11comp_targetILNS1_3genE10ELNS1_11target_archE1201ELNS1_3gpuE5ELNS1_3repE0EEENS1_30default_config_static_selectorELNS0_4arch9wavefront6targetE0EEEvT1_.has_indirect_call, 0
	.section	.AMDGPU.csdata,"",@progbits
; Kernel info:
; codeLenInByte = 0
; TotalNumSgprs: 0
; NumVgprs: 0
; ScratchSize: 0
; MemoryBound: 0
; FloatMode: 240
; IeeeMode: 1
; LDSByteSize: 0 bytes/workgroup (compile time only)
; SGPRBlocks: 0
; VGPRBlocks: 0
; NumSGPRsForWavesPerEU: 1
; NumVGPRsForWavesPerEU: 1
; Occupancy: 16
; WaveLimiterHint : 0
; COMPUTE_PGM_RSRC2:SCRATCH_EN: 0
; COMPUTE_PGM_RSRC2:USER_SGPR: 6
; COMPUTE_PGM_RSRC2:TRAP_HANDLER: 0
; COMPUTE_PGM_RSRC2:TGID_X_EN: 1
; COMPUTE_PGM_RSRC2:TGID_Y_EN: 0
; COMPUTE_PGM_RSRC2:TGID_Z_EN: 0
; COMPUTE_PGM_RSRC2:TIDIG_COMP_CNT: 0
	.section	.text._ZN7rocprim17ROCPRIM_400000_NS6detail17trampoline_kernelINS0_14default_configENS1_27scan_by_key_config_selectorIiiEEZZNS1_16scan_by_key_implILNS1_25lookback_scan_determinismE0ELb1ES3_N6thrust23THRUST_200600_302600_NS6detail15normal_iteratorINS9_10device_ptrIiEEEESE_SE_iNS9_4plusIvEENS9_8equal_toIvEEiEE10hipError_tPvRmT2_T3_T4_T5_mT6_T7_P12ihipStream_tbENKUlT_T0_E_clISt17integral_constantIbLb1EESZ_EEDaSU_SV_EUlSU_E_NS1_11comp_targetILNS1_3genE5ELNS1_11target_archE942ELNS1_3gpuE9ELNS1_3repE0EEENS1_30default_config_static_selectorELNS0_4arch9wavefront6targetE0EEEvT1_,"axG",@progbits,_ZN7rocprim17ROCPRIM_400000_NS6detail17trampoline_kernelINS0_14default_configENS1_27scan_by_key_config_selectorIiiEEZZNS1_16scan_by_key_implILNS1_25lookback_scan_determinismE0ELb1ES3_N6thrust23THRUST_200600_302600_NS6detail15normal_iteratorINS9_10device_ptrIiEEEESE_SE_iNS9_4plusIvEENS9_8equal_toIvEEiEE10hipError_tPvRmT2_T3_T4_T5_mT6_T7_P12ihipStream_tbENKUlT_T0_E_clISt17integral_constantIbLb1EESZ_EEDaSU_SV_EUlSU_E_NS1_11comp_targetILNS1_3genE5ELNS1_11target_archE942ELNS1_3gpuE9ELNS1_3repE0EEENS1_30default_config_static_selectorELNS0_4arch9wavefront6targetE0EEEvT1_,comdat
	.protected	_ZN7rocprim17ROCPRIM_400000_NS6detail17trampoline_kernelINS0_14default_configENS1_27scan_by_key_config_selectorIiiEEZZNS1_16scan_by_key_implILNS1_25lookback_scan_determinismE0ELb1ES3_N6thrust23THRUST_200600_302600_NS6detail15normal_iteratorINS9_10device_ptrIiEEEESE_SE_iNS9_4plusIvEENS9_8equal_toIvEEiEE10hipError_tPvRmT2_T3_T4_T5_mT6_T7_P12ihipStream_tbENKUlT_T0_E_clISt17integral_constantIbLb1EESZ_EEDaSU_SV_EUlSU_E_NS1_11comp_targetILNS1_3genE5ELNS1_11target_archE942ELNS1_3gpuE9ELNS1_3repE0EEENS1_30default_config_static_selectorELNS0_4arch9wavefront6targetE0EEEvT1_ ; -- Begin function _ZN7rocprim17ROCPRIM_400000_NS6detail17trampoline_kernelINS0_14default_configENS1_27scan_by_key_config_selectorIiiEEZZNS1_16scan_by_key_implILNS1_25lookback_scan_determinismE0ELb1ES3_N6thrust23THRUST_200600_302600_NS6detail15normal_iteratorINS9_10device_ptrIiEEEESE_SE_iNS9_4plusIvEENS9_8equal_toIvEEiEE10hipError_tPvRmT2_T3_T4_T5_mT6_T7_P12ihipStream_tbENKUlT_T0_E_clISt17integral_constantIbLb1EESZ_EEDaSU_SV_EUlSU_E_NS1_11comp_targetILNS1_3genE5ELNS1_11target_archE942ELNS1_3gpuE9ELNS1_3repE0EEENS1_30default_config_static_selectorELNS0_4arch9wavefront6targetE0EEEvT1_
	.globl	_ZN7rocprim17ROCPRIM_400000_NS6detail17trampoline_kernelINS0_14default_configENS1_27scan_by_key_config_selectorIiiEEZZNS1_16scan_by_key_implILNS1_25lookback_scan_determinismE0ELb1ES3_N6thrust23THRUST_200600_302600_NS6detail15normal_iteratorINS9_10device_ptrIiEEEESE_SE_iNS9_4plusIvEENS9_8equal_toIvEEiEE10hipError_tPvRmT2_T3_T4_T5_mT6_T7_P12ihipStream_tbENKUlT_T0_E_clISt17integral_constantIbLb1EESZ_EEDaSU_SV_EUlSU_E_NS1_11comp_targetILNS1_3genE5ELNS1_11target_archE942ELNS1_3gpuE9ELNS1_3repE0EEENS1_30default_config_static_selectorELNS0_4arch9wavefront6targetE0EEEvT1_
	.p2align	8
	.type	_ZN7rocprim17ROCPRIM_400000_NS6detail17trampoline_kernelINS0_14default_configENS1_27scan_by_key_config_selectorIiiEEZZNS1_16scan_by_key_implILNS1_25lookback_scan_determinismE0ELb1ES3_N6thrust23THRUST_200600_302600_NS6detail15normal_iteratorINS9_10device_ptrIiEEEESE_SE_iNS9_4plusIvEENS9_8equal_toIvEEiEE10hipError_tPvRmT2_T3_T4_T5_mT6_T7_P12ihipStream_tbENKUlT_T0_E_clISt17integral_constantIbLb1EESZ_EEDaSU_SV_EUlSU_E_NS1_11comp_targetILNS1_3genE5ELNS1_11target_archE942ELNS1_3gpuE9ELNS1_3repE0EEENS1_30default_config_static_selectorELNS0_4arch9wavefront6targetE0EEEvT1_,@function
_ZN7rocprim17ROCPRIM_400000_NS6detail17trampoline_kernelINS0_14default_configENS1_27scan_by_key_config_selectorIiiEEZZNS1_16scan_by_key_implILNS1_25lookback_scan_determinismE0ELb1ES3_N6thrust23THRUST_200600_302600_NS6detail15normal_iteratorINS9_10device_ptrIiEEEESE_SE_iNS9_4plusIvEENS9_8equal_toIvEEiEE10hipError_tPvRmT2_T3_T4_T5_mT6_T7_P12ihipStream_tbENKUlT_T0_E_clISt17integral_constantIbLb1EESZ_EEDaSU_SV_EUlSU_E_NS1_11comp_targetILNS1_3genE5ELNS1_11target_archE942ELNS1_3gpuE9ELNS1_3repE0EEENS1_30default_config_static_selectorELNS0_4arch9wavefront6targetE0EEEvT1_: ; @_ZN7rocprim17ROCPRIM_400000_NS6detail17trampoline_kernelINS0_14default_configENS1_27scan_by_key_config_selectorIiiEEZZNS1_16scan_by_key_implILNS1_25lookback_scan_determinismE0ELb1ES3_N6thrust23THRUST_200600_302600_NS6detail15normal_iteratorINS9_10device_ptrIiEEEESE_SE_iNS9_4plusIvEENS9_8equal_toIvEEiEE10hipError_tPvRmT2_T3_T4_T5_mT6_T7_P12ihipStream_tbENKUlT_T0_E_clISt17integral_constantIbLb1EESZ_EEDaSU_SV_EUlSU_E_NS1_11comp_targetILNS1_3genE5ELNS1_11target_archE942ELNS1_3gpuE9ELNS1_3repE0EEENS1_30default_config_static_selectorELNS0_4arch9wavefront6targetE0EEEvT1_
; %bb.0:
	.section	.rodata,"a",@progbits
	.p2align	6, 0x0
	.amdhsa_kernel _ZN7rocprim17ROCPRIM_400000_NS6detail17trampoline_kernelINS0_14default_configENS1_27scan_by_key_config_selectorIiiEEZZNS1_16scan_by_key_implILNS1_25lookback_scan_determinismE0ELb1ES3_N6thrust23THRUST_200600_302600_NS6detail15normal_iteratorINS9_10device_ptrIiEEEESE_SE_iNS9_4plusIvEENS9_8equal_toIvEEiEE10hipError_tPvRmT2_T3_T4_T5_mT6_T7_P12ihipStream_tbENKUlT_T0_E_clISt17integral_constantIbLb1EESZ_EEDaSU_SV_EUlSU_E_NS1_11comp_targetILNS1_3genE5ELNS1_11target_archE942ELNS1_3gpuE9ELNS1_3repE0EEENS1_30default_config_static_selectorELNS0_4arch9wavefront6targetE0EEEvT1_
		.amdhsa_group_segment_fixed_size 0
		.amdhsa_private_segment_fixed_size 0
		.amdhsa_kernarg_size 112
		.amdhsa_user_sgpr_count 6
		.amdhsa_user_sgpr_private_segment_buffer 1
		.amdhsa_user_sgpr_dispatch_ptr 0
		.amdhsa_user_sgpr_queue_ptr 0
		.amdhsa_user_sgpr_kernarg_segment_ptr 1
		.amdhsa_user_sgpr_dispatch_id 0
		.amdhsa_user_sgpr_flat_scratch_init 0
		.amdhsa_user_sgpr_private_segment_size 0
		.amdhsa_wavefront_size32 1
		.amdhsa_uses_dynamic_stack 0
		.amdhsa_system_sgpr_private_segment_wavefront_offset 0
		.amdhsa_system_sgpr_workgroup_id_x 1
		.amdhsa_system_sgpr_workgroup_id_y 0
		.amdhsa_system_sgpr_workgroup_id_z 0
		.amdhsa_system_sgpr_workgroup_info 0
		.amdhsa_system_vgpr_workitem_id 0
		.amdhsa_next_free_vgpr 1
		.amdhsa_next_free_sgpr 1
		.amdhsa_reserve_vcc 0
		.amdhsa_reserve_flat_scratch 0
		.amdhsa_float_round_mode_32 0
		.amdhsa_float_round_mode_16_64 0
		.amdhsa_float_denorm_mode_32 3
		.amdhsa_float_denorm_mode_16_64 3
		.amdhsa_dx10_clamp 1
		.amdhsa_ieee_mode 1
		.amdhsa_fp16_overflow 0
		.amdhsa_workgroup_processor_mode 1
		.amdhsa_memory_ordered 1
		.amdhsa_forward_progress 1
		.amdhsa_shared_vgpr_count 0
		.amdhsa_exception_fp_ieee_invalid_op 0
		.amdhsa_exception_fp_denorm_src 0
		.amdhsa_exception_fp_ieee_div_zero 0
		.amdhsa_exception_fp_ieee_overflow 0
		.amdhsa_exception_fp_ieee_underflow 0
		.amdhsa_exception_fp_ieee_inexact 0
		.amdhsa_exception_int_div_zero 0
	.end_amdhsa_kernel
	.section	.text._ZN7rocprim17ROCPRIM_400000_NS6detail17trampoline_kernelINS0_14default_configENS1_27scan_by_key_config_selectorIiiEEZZNS1_16scan_by_key_implILNS1_25lookback_scan_determinismE0ELb1ES3_N6thrust23THRUST_200600_302600_NS6detail15normal_iteratorINS9_10device_ptrIiEEEESE_SE_iNS9_4plusIvEENS9_8equal_toIvEEiEE10hipError_tPvRmT2_T3_T4_T5_mT6_T7_P12ihipStream_tbENKUlT_T0_E_clISt17integral_constantIbLb1EESZ_EEDaSU_SV_EUlSU_E_NS1_11comp_targetILNS1_3genE5ELNS1_11target_archE942ELNS1_3gpuE9ELNS1_3repE0EEENS1_30default_config_static_selectorELNS0_4arch9wavefront6targetE0EEEvT1_,"axG",@progbits,_ZN7rocprim17ROCPRIM_400000_NS6detail17trampoline_kernelINS0_14default_configENS1_27scan_by_key_config_selectorIiiEEZZNS1_16scan_by_key_implILNS1_25lookback_scan_determinismE0ELb1ES3_N6thrust23THRUST_200600_302600_NS6detail15normal_iteratorINS9_10device_ptrIiEEEESE_SE_iNS9_4plusIvEENS9_8equal_toIvEEiEE10hipError_tPvRmT2_T3_T4_T5_mT6_T7_P12ihipStream_tbENKUlT_T0_E_clISt17integral_constantIbLb1EESZ_EEDaSU_SV_EUlSU_E_NS1_11comp_targetILNS1_3genE5ELNS1_11target_archE942ELNS1_3gpuE9ELNS1_3repE0EEENS1_30default_config_static_selectorELNS0_4arch9wavefront6targetE0EEEvT1_,comdat
.Lfunc_end472:
	.size	_ZN7rocprim17ROCPRIM_400000_NS6detail17trampoline_kernelINS0_14default_configENS1_27scan_by_key_config_selectorIiiEEZZNS1_16scan_by_key_implILNS1_25lookback_scan_determinismE0ELb1ES3_N6thrust23THRUST_200600_302600_NS6detail15normal_iteratorINS9_10device_ptrIiEEEESE_SE_iNS9_4plusIvEENS9_8equal_toIvEEiEE10hipError_tPvRmT2_T3_T4_T5_mT6_T7_P12ihipStream_tbENKUlT_T0_E_clISt17integral_constantIbLb1EESZ_EEDaSU_SV_EUlSU_E_NS1_11comp_targetILNS1_3genE5ELNS1_11target_archE942ELNS1_3gpuE9ELNS1_3repE0EEENS1_30default_config_static_selectorELNS0_4arch9wavefront6targetE0EEEvT1_, .Lfunc_end472-_ZN7rocprim17ROCPRIM_400000_NS6detail17trampoline_kernelINS0_14default_configENS1_27scan_by_key_config_selectorIiiEEZZNS1_16scan_by_key_implILNS1_25lookback_scan_determinismE0ELb1ES3_N6thrust23THRUST_200600_302600_NS6detail15normal_iteratorINS9_10device_ptrIiEEEESE_SE_iNS9_4plusIvEENS9_8equal_toIvEEiEE10hipError_tPvRmT2_T3_T4_T5_mT6_T7_P12ihipStream_tbENKUlT_T0_E_clISt17integral_constantIbLb1EESZ_EEDaSU_SV_EUlSU_E_NS1_11comp_targetILNS1_3genE5ELNS1_11target_archE942ELNS1_3gpuE9ELNS1_3repE0EEENS1_30default_config_static_selectorELNS0_4arch9wavefront6targetE0EEEvT1_
                                        ; -- End function
	.set _ZN7rocprim17ROCPRIM_400000_NS6detail17trampoline_kernelINS0_14default_configENS1_27scan_by_key_config_selectorIiiEEZZNS1_16scan_by_key_implILNS1_25lookback_scan_determinismE0ELb1ES3_N6thrust23THRUST_200600_302600_NS6detail15normal_iteratorINS9_10device_ptrIiEEEESE_SE_iNS9_4plusIvEENS9_8equal_toIvEEiEE10hipError_tPvRmT2_T3_T4_T5_mT6_T7_P12ihipStream_tbENKUlT_T0_E_clISt17integral_constantIbLb1EESZ_EEDaSU_SV_EUlSU_E_NS1_11comp_targetILNS1_3genE5ELNS1_11target_archE942ELNS1_3gpuE9ELNS1_3repE0EEENS1_30default_config_static_selectorELNS0_4arch9wavefront6targetE0EEEvT1_.num_vgpr, 0
	.set _ZN7rocprim17ROCPRIM_400000_NS6detail17trampoline_kernelINS0_14default_configENS1_27scan_by_key_config_selectorIiiEEZZNS1_16scan_by_key_implILNS1_25lookback_scan_determinismE0ELb1ES3_N6thrust23THRUST_200600_302600_NS6detail15normal_iteratorINS9_10device_ptrIiEEEESE_SE_iNS9_4plusIvEENS9_8equal_toIvEEiEE10hipError_tPvRmT2_T3_T4_T5_mT6_T7_P12ihipStream_tbENKUlT_T0_E_clISt17integral_constantIbLb1EESZ_EEDaSU_SV_EUlSU_E_NS1_11comp_targetILNS1_3genE5ELNS1_11target_archE942ELNS1_3gpuE9ELNS1_3repE0EEENS1_30default_config_static_selectorELNS0_4arch9wavefront6targetE0EEEvT1_.num_agpr, 0
	.set _ZN7rocprim17ROCPRIM_400000_NS6detail17trampoline_kernelINS0_14default_configENS1_27scan_by_key_config_selectorIiiEEZZNS1_16scan_by_key_implILNS1_25lookback_scan_determinismE0ELb1ES3_N6thrust23THRUST_200600_302600_NS6detail15normal_iteratorINS9_10device_ptrIiEEEESE_SE_iNS9_4plusIvEENS9_8equal_toIvEEiEE10hipError_tPvRmT2_T3_T4_T5_mT6_T7_P12ihipStream_tbENKUlT_T0_E_clISt17integral_constantIbLb1EESZ_EEDaSU_SV_EUlSU_E_NS1_11comp_targetILNS1_3genE5ELNS1_11target_archE942ELNS1_3gpuE9ELNS1_3repE0EEENS1_30default_config_static_selectorELNS0_4arch9wavefront6targetE0EEEvT1_.numbered_sgpr, 0
	.set _ZN7rocprim17ROCPRIM_400000_NS6detail17trampoline_kernelINS0_14default_configENS1_27scan_by_key_config_selectorIiiEEZZNS1_16scan_by_key_implILNS1_25lookback_scan_determinismE0ELb1ES3_N6thrust23THRUST_200600_302600_NS6detail15normal_iteratorINS9_10device_ptrIiEEEESE_SE_iNS9_4plusIvEENS9_8equal_toIvEEiEE10hipError_tPvRmT2_T3_T4_T5_mT6_T7_P12ihipStream_tbENKUlT_T0_E_clISt17integral_constantIbLb1EESZ_EEDaSU_SV_EUlSU_E_NS1_11comp_targetILNS1_3genE5ELNS1_11target_archE942ELNS1_3gpuE9ELNS1_3repE0EEENS1_30default_config_static_selectorELNS0_4arch9wavefront6targetE0EEEvT1_.num_named_barrier, 0
	.set _ZN7rocprim17ROCPRIM_400000_NS6detail17trampoline_kernelINS0_14default_configENS1_27scan_by_key_config_selectorIiiEEZZNS1_16scan_by_key_implILNS1_25lookback_scan_determinismE0ELb1ES3_N6thrust23THRUST_200600_302600_NS6detail15normal_iteratorINS9_10device_ptrIiEEEESE_SE_iNS9_4plusIvEENS9_8equal_toIvEEiEE10hipError_tPvRmT2_T3_T4_T5_mT6_T7_P12ihipStream_tbENKUlT_T0_E_clISt17integral_constantIbLb1EESZ_EEDaSU_SV_EUlSU_E_NS1_11comp_targetILNS1_3genE5ELNS1_11target_archE942ELNS1_3gpuE9ELNS1_3repE0EEENS1_30default_config_static_selectorELNS0_4arch9wavefront6targetE0EEEvT1_.private_seg_size, 0
	.set _ZN7rocprim17ROCPRIM_400000_NS6detail17trampoline_kernelINS0_14default_configENS1_27scan_by_key_config_selectorIiiEEZZNS1_16scan_by_key_implILNS1_25lookback_scan_determinismE0ELb1ES3_N6thrust23THRUST_200600_302600_NS6detail15normal_iteratorINS9_10device_ptrIiEEEESE_SE_iNS9_4plusIvEENS9_8equal_toIvEEiEE10hipError_tPvRmT2_T3_T4_T5_mT6_T7_P12ihipStream_tbENKUlT_T0_E_clISt17integral_constantIbLb1EESZ_EEDaSU_SV_EUlSU_E_NS1_11comp_targetILNS1_3genE5ELNS1_11target_archE942ELNS1_3gpuE9ELNS1_3repE0EEENS1_30default_config_static_selectorELNS0_4arch9wavefront6targetE0EEEvT1_.uses_vcc, 0
	.set _ZN7rocprim17ROCPRIM_400000_NS6detail17trampoline_kernelINS0_14default_configENS1_27scan_by_key_config_selectorIiiEEZZNS1_16scan_by_key_implILNS1_25lookback_scan_determinismE0ELb1ES3_N6thrust23THRUST_200600_302600_NS6detail15normal_iteratorINS9_10device_ptrIiEEEESE_SE_iNS9_4plusIvEENS9_8equal_toIvEEiEE10hipError_tPvRmT2_T3_T4_T5_mT6_T7_P12ihipStream_tbENKUlT_T0_E_clISt17integral_constantIbLb1EESZ_EEDaSU_SV_EUlSU_E_NS1_11comp_targetILNS1_3genE5ELNS1_11target_archE942ELNS1_3gpuE9ELNS1_3repE0EEENS1_30default_config_static_selectorELNS0_4arch9wavefront6targetE0EEEvT1_.uses_flat_scratch, 0
	.set _ZN7rocprim17ROCPRIM_400000_NS6detail17trampoline_kernelINS0_14default_configENS1_27scan_by_key_config_selectorIiiEEZZNS1_16scan_by_key_implILNS1_25lookback_scan_determinismE0ELb1ES3_N6thrust23THRUST_200600_302600_NS6detail15normal_iteratorINS9_10device_ptrIiEEEESE_SE_iNS9_4plusIvEENS9_8equal_toIvEEiEE10hipError_tPvRmT2_T3_T4_T5_mT6_T7_P12ihipStream_tbENKUlT_T0_E_clISt17integral_constantIbLb1EESZ_EEDaSU_SV_EUlSU_E_NS1_11comp_targetILNS1_3genE5ELNS1_11target_archE942ELNS1_3gpuE9ELNS1_3repE0EEENS1_30default_config_static_selectorELNS0_4arch9wavefront6targetE0EEEvT1_.has_dyn_sized_stack, 0
	.set _ZN7rocprim17ROCPRIM_400000_NS6detail17trampoline_kernelINS0_14default_configENS1_27scan_by_key_config_selectorIiiEEZZNS1_16scan_by_key_implILNS1_25lookback_scan_determinismE0ELb1ES3_N6thrust23THRUST_200600_302600_NS6detail15normal_iteratorINS9_10device_ptrIiEEEESE_SE_iNS9_4plusIvEENS9_8equal_toIvEEiEE10hipError_tPvRmT2_T3_T4_T5_mT6_T7_P12ihipStream_tbENKUlT_T0_E_clISt17integral_constantIbLb1EESZ_EEDaSU_SV_EUlSU_E_NS1_11comp_targetILNS1_3genE5ELNS1_11target_archE942ELNS1_3gpuE9ELNS1_3repE0EEENS1_30default_config_static_selectorELNS0_4arch9wavefront6targetE0EEEvT1_.has_recursion, 0
	.set _ZN7rocprim17ROCPRIM_400000_NS6detail17trampoline_kernelINS0_14default_configENS1_27scan_by_key_config_selectorIiiEEZZNS1_16scan_by_key_implILNS1_25lookback_scan_determinismE0ELb1ES3_N6thrust23THRUST_200600_302600_NS6detail15normal_iteratorINS9_10device_ptrIiEEEESE_SE_iNS9_4plusIvEENS9_8equal_toIvEEiEE10hipError_tPvRmT2_T3_T4_T5_mT6_T7_P12ihipStream_tbENKUlT_T0_E_clISt17integral_constantIbLb1EESZ_EEDaSU_SV_EUlSU_E_NS1_11comp_targetILNS1_3genE5ELNS1_11target_archE942ELNS1_3gpuE9ELNS1_3repE0EEENS1_30default_config_static_selectorELNS0_4arch9wavefront6targetE0EEEvT1_.has_indirect_call, 0
	.section	.AMDGPU.csdata,"",@progbits
; Kernel info:
; codeLenInByte = 0
; TotalNumSgprs: 0
; NumVgprs: 0
; ScratchSize: 0
; MemoryBound: 0
; FloatMode: 240
; IeeeMode: 1
; LDSByteSize: 0 bytes/workgroup (compile time only)
; SGPRBlocks: 0
; VGPRBlocks: 0
; NumSGPRsForWavesPerEU: 1
; NumVGPRsForWavesPerEU: 1
; Occupancy: 16
; WaveLimiterHint : 0
; COMPUTE_PGM_RSRC2:SCRATCH_EN: 0
; COMPUTE_PGM_RSRC2:USER_SGPR: 6
; COMPUTE_PGM_RSRC2:TRAP_HANDLER: 0
; COMPUTE_PGM_RSRC2:TGID_X_EN: 1
; COMPUTE_PGM_RSRC2:TGID_Y_EN: 0
; COMPUTE_PGM_RSRC2:TGID_Z_EN: 0
; COMPUTE_PGM_RSRC2:TIDIG_COMP_CNT: 0
	.section	.text._ZN7rocprim17ROCPRIM_400000_NS6detail17trampoline_kernelINS0_14default_configENS1_27scan_by_key_config_selectorIiiEEZZNS1_16scan_by_key_implILNS1_25lookback_scan_determinismE0ELb1ES3_N6thrust23THRUST_200600_302600_NS6detail15normal_iteratorINS9_10device_ptrIiEEEESE_SE_iNS9_4plusIvEENS9_8equal_toIvEEiEE10hipError_tPvRmT2_T3_T4_T5_mT6_T7_P12ihipStream_tbENKUlT_T0_E_clISt17integral_constantIbLb1EESZ_EEDaSU_SV_EUlSU_E_NS1_11comp_targetILNS1_3genE4ELNS1_11target_archE910ELNS1_3gpuE8ELNS1_3repE0EEENS1_30default_config_static_selectorELNS0_4arch9wavefront6targetE0EEEvT1_,"axG",@progbits,_ZN7rocprim17ROCPRIM_400000_NS6detail17trampoline_kernelINS0_14default_configENS1_27scan_by_key_config_selectorIiiEEZZNS1_16scan_by_key_implILNS1_25lookback_scan_determinismE0ELb1ES3_N6thrust23THRUST_200600_302600_NS6detail15normal_iteratorINS9_10device_ptrIiEEEESE_SE_iNS9_4plusIvEENS9_8equal_toIvEEiEE10hipError_tPvRmT2_T3_T4_T5_mT6_T7_P12ihipStream_tbENKUlT_T0_E_clISt17integral_constantIbLb1EESZ_EEDaSU_SV_EUlSU_E_NS1_11comp_targetILNS1_3genE4ELNS1_11target_archE910ELNS1_3gpuE8ELNS1_3repE0EEENS1_30default_config_static_selectorELNS0_4arch9wavefront6targetE0EEEvT1_,comdat
	.protected	_ZN7rocprim17ROCPRIM_400000_NS6detail17trampoline_kernelINS0_14default_configENS1_27scan_by_key_config_selectorIiiEEZZNS1_16scan_by_key_implILNS1_25lookback_scan_determinismE0ELb1ES3_N6thrust23THRUST_200600_302600_NS6detail15normal_iteratorINS9_10device_ptrIiEEEESE_SE_iNS9_4plusIvEENS9_8equal_toIvEEiEE10hipError_tPvRmT2_T3_T4_T5_mT6_T7_P12ihipStream_tbENKUlT_T0_E_clISt17integral_constantIbLb1EESZ_EEDaSU_SV_EUlSU_E_NS1_11comp_targetILNS1_3genE4ELNS1_11target_archE910ELNS1_3gpuE8ELNS1_3repE0EEENS1_30default_config_static_selectorELNS0_4arch9wavefront6targetE0EEEvT1_ ; -- Begin function _ZN7rocprim17ROCPRIM_400000_NS6detail17trampoline_kernelINS0_14default_configENS1_27scan_by_key_config_selectorIiiEEZZNS1_16scan_by_key_implILNS1_25lookback_scan_determinismE0ELb1ES3_N6thrust23THRUST_200600_302600_NS6detail15normal_iteratorINS9_10device_ptrIiEEEESE_SE_iNS9_4plusIvEENS9_8equal_toIvEEiEE10hipError_tPvRmT2_T3_T4_T5_mT6_T7_P12ihipStream_tbENKUlT_T0_E_clISt17integral_constantIbLb1EESZ_EEDaSU_SV_EUlSU_E_NS1_11comp_targetILNS1_3genE4ELNS1_11target_archE910ELNS1_3gpuE8ELNS1_3repE0EEENS1_30default_config_static_selectorELNS0_4arch9wavefront6targetE0EEEvT1_
	.globl	_ZN7rocprim17ROCPRIM_400000_NS6detail17trampoline_kernelINS0_14default_configENS1_27scan_by_key_config_selectorIiiEEZZNS1_16scan_by_key_implILNS1_25lookback_scan_determinismE0ELb1ES3_N6thrust23THRUST_200600_302600_NS6detail15normal_iteratorINS9_10device_ptrIiEEEESE_SE_iNS9_4plusIvEENS9_8equal_toIvEEiEE10hipError_tPvRmT2_T3_T4_T5_mT6_T7_P12ihipStream_tbENKUlT_T0_E_clISt17integral_constantIbLb1EESZ_EEDaSU_SV_EUlSU_E_NS1_11comp_targetILNS1_3genE4ELNS1_11target_archE910ELNS1_3gpuE8ELNS1_3repE0EEENS1_30default_config_static_selectorELNS0_4arch9wavefront6targetE0EEEvT1_
	.p2align	8
	.type	_ZN7rocprim17ROCPRIM_400000_NS6detail17trampoline_kernelINS0_14default_configENS1_27scan_by_key_config_selectorIiiEEZZNS1_16scan_by_key_implILNS1_25lookback_scan_determinismE0ELb1ES3_N6thrust23THRUST_200600_302600_NS6detail15normal_iteratorINS9_10device_ptrIiEEEESE_SE_iNS9_4plusIvEENS9_8equal_toIvEEiEE10hipError_tPvRmT2_T3_T4_T5_mT6_T7_P12ihipStream_tbENKUlT_T0_E_clISt17integral_constantIbLb1EESZ_EEDaSU_SV_EUlSU_E_NS1_11comp_targetILNS1_3genE4ELNS1_11target_archE910ELNS1_3gpuE8ELNS1_3repE0EEENS1_30default_config_static_selectorELNS0_4arch9wavefront6targetE0EEEvT1_,@function
_ZN7rocprim17ROCPRIM_400000_NS6detail17trampoline_kernelINS0_14default_configENS1_27scan_by_key_config_selectorIiiEEZZNS1_16scan_by_key_implILNS1_25lookback_scan_determinismE0ELb1ES3_N6thrust23THRUST_200600_302600_NS6detail15normal_iteratorINS9_10device_ptrIiEEEESE_SE_iNS9_4plusIvEENS9_8equal_toIvEEiEE10hipError_tPvRmT2_T3_T4_T5_mT6_T7_P12ihipStream_tbENKUlT_T0_E_clISt17integral_constantIbLb1EESZ_EEDaSU_SV_EUlSU_E_NS1_11comp_targetILNS1_3genE4ELNS1_11target_archE910ELNS1_3gpuE8ELNS1_3repE0EEENS1_30default_config_static_selectorELNS0_4arch9wavefront6targetE0EEEvT1_: ; @_ZN7rocprim17ROCPRIM_400000_NS6detail17trampoline_kernelINS0_14default_configENS1_27scan_by_key_config_selectorIiiEEZZNS1_16scan_by_key_implILNS1_25lookback_scan_determinismE0ELb1ES3_N6thrust23THRUST_200600_302600_NS6detail15normal_iteratorINS9_10device_ptrIiEEEESE_SE_iNS9_4plusIvEENS9_8equal_toIvEEiEE10hipError_tPvRmT2_T3_T4_T5_mT6_T7_P12ihipStream_tbENKUlT_T0_E_clISt17integral_constantIbLb1EESZ_EEDaSU_SV_EUlSU_E_NS1_11comp_targetILNS1_3genE4ELNS1_11target_archE910ELNS1_3gpuE8ELNS1_3repE0EEENS1_30default_config_static_selectorELNS0_4arch9wavefront6targetE0EEEvT1_
; %bb.0:
	.section	.rodata,"a",@progbits
	.p2align	6, 0x0
	.amdhsa_kernel _ZN7rocprim17ROCPRIM_400000_NS6detail17trampoline_kernelINS0_14default_configENS1_27scan_by_key_config_selectorIiiEEZZNS1_16scan_by_key_implILNS1_25lookback_scan_determinismE0ELb1ES3_N6thrust23THRUST_200600_302600_NS6detail15normal_iteratorINS9_10device_ptrIiEEEESE_SE_iNS9_4plusIvEENS9_8equal_toIvEEiEE10hipError_tPvRmT2_T3_T4_T5_mT6_T7_P12ihipStream_tbENKUlT_T0_E_clISt17integral_constantIbLb1EESZ_EEDaSU_SV_EUlSU_E_NS1_11comp_targetILNS1_3genE4ELNS1_11target_archE910ELNS1_3gpuE8ELNS1_3repE0EEENS1_30default_config_static_selectorELNS0_4arch9wavefront6targetE0EEEvT1_
		.amdhsa_group_segment_fixed_size 0
		.amdhsa_private_segment_fixed_size 0
		.amdhsa_kernarg_size 112
		.amdhsa_user_sgpr_count 6
		.amdhsa_user_sgpr_private_segment_buffer 1
		.amdhsa_user_sgpr_dispatch_ptr 0
		.amdhsa_user_sgpr_queue_ptr 0
		.amdhsa_user_sgpr_kernarg_segment_ptr 1
		.amdhsa_user_sgpr_dispatch_id 0
		.amdhsa_user_sgpr_flat_scratch_init 0
		.amdhsa_user_sgpr_private_segment_size 0
		.amdhsa_wavefront_size32 1
		.amdhsa_uses_dynamic_stack 0
		.amdhsa_system_sgpr_private_segment_wavefront_offset 0
		.amdhsa_system_sgpr_workgroup_id_x 1
		.amdhsa_system_sgpr_workgroup_id_y 0
		.amdhsa_system_sgpr_workgroup_id_z 0
		.amdhsa_system_sgpr_workgroup_info 0
		.amdhsa_system_vgpr_workitem_id 0
		.amdhsa_next_free_vgpr 1
		.amdhsa_next_free_sgpr 1
		.amdhsa_reserve_vcc 0
		.amdhsa_reserve_flat_scratch 0
		.amdhsa_float_round_mode_32 0
		.amdhsa_float_round_mode_16_64 0
		.amdhsa_float_denorm_mode_32 3
		.amdhsa_float_denorm_mode_16_64 3
		.amdhsa_dx10_clamp 1
		.amdhsa_ieee_mode 1
		.amdhsa_fp16_overflow 0
		.amdhsa_workgroup_processor_mode 1
		.amdhsa_memory_ordered 1
		.amdhsa_forward_progress 1
		.amdhsa_shared_vgpr_count 0
		.amdhsa_exception_fp_ieee_invalid_op 0
		.amdhsa_exception_fp_denorm_src 0
		.amdhsa_exception_fp_ieee_div_zero 0
		.amdhsa_exception_fp_ieee_overflow 0
		.amdhsa_exception_fp_ieee_underflow 0
		.amdhsa_exception_fp_ieee_inexact 0
		.amdhsa_exception_int_div_zero 0
	.end_amdhsa_kernel
	.section	.text._ZN7rocprim17ROCPRIM_400000_NS6detail17trampoline_kernelINS0_14default_configENS1_27scan_by_key_config_selectorIiiEEZZNS1_16scan_by_key_implILNS1_25lookback_scan_determinismE0ELb1ES3_N6thrust23THRUST_200600_302600_NS6detail15normal_iteratorINS9_10device_ptrIiEEEESE_SE_iNS9_4plusIvEENS9_8equal_toIvEEiEE10hipError_tPvRmT2_T3_T4_T5_mT6_T7_P12ihipStream_tbENKUlT_T0_E_clISt17integral_constantIbLb1EESZ_EEDaSU_SV_EUlSU_E_NS1_11comp_targetILNS1_3genE4ELNS1_11target_archE910ELNS1_3gpuE8ELNS1_3repE0EEENS1_30default_config_static_selectorELNS0_4arch9wavefront6targetE0EEEvT1_,"axG",@progbits,_ZN7rocprim17ROCPRIM_400000_NS6detail17trampoline_kernelINS0_14default_configENS1_27scan_by_key_config_selectorIiiEEZZNS1_16scan_by_key_implILNS1_25lookback_scan_determinismE0ELb1ES3_N6thrust23THRUST_200600_302600_NS6detail15normal_iteratorINS9_10device_ptrIiEEEESE_SE_iNS9_4plusIvEENS9_8equal_toIvEEiEE10hipError_tPvRmT2_T3_T4_T5_mT6_T7_P12ihipStream_tbENKUlT_T0_E_clISt17integral_constantIbLb1EESZ_EEDaSU_SV_EUlSU_E_NS1_11comp_targetILNS1_3genE4ELNS1_11target_archE910ELNS1_3gpuE8ELNS1_3repE0EEENS1_30default_config_static_selectorELNS0_4arch9wavefront6targetE0EEEvT1_,comdat
.Lfunc_end473:
	.size	_ZN7rocprim17ROCPRIM_400000_NS6detail17trampoline_kernelINS0_14default_configENS1_27scan_by_key_config_selectorIiiEEZZNS1_16scan_by_key_implILNS1_25lookback_scan_determinismE0ELb1ES3_N6thrust23THRUST_200600_302600_NS6detail15normal_iteratorINS9_10device_ptrIiEEEESE_SE_iNS9_4plusIvEENS9_8equal_toIvEEiEE10hipError_tPvRmT2_T3_T4_T5_mT6_T7_P12ihipStream_tbENKUlT_T0_E_clISt17integral_constantIbLb1EESZ_EEDaSU_SV_EUlSU_E_NS1_11comp_targetILNS1_3genE4ELNS1_11target_archE910ELNS1_3gpuE8ELNS1_3repE0EEENS1_30default_config_static_selectorELNS0_4arch9wavefront6targetE0EEEvT1_, .Lfunc_end473-_ZN7rocprim17ROCPRIM_400000_NS6detail17trampoline_kernelINS0_14default_configENS1_27scan_by_key_config_selectorIiiEEZZNS1_16scan_by_key_implILNS1_25lookback_scan_determinismE0ELb1ES3_N6thrust23THRUST_200600_302600_NS6detail15normal_iteratorINS9_10device_ptrIiEEEESE_SE_iNS9_4plusIvEENS9_8equal_toIvEEiEE10hipError_tPvRmT2_T3_T4_T5_mT6_T7_P12ihipStream_tbENKUlT_T0_E_clISt17integral_constantIbLb1EESZ_EEDaSU_SV_EUlSU_E_NS1_11comp_targetILNS1_3genE4ELNS1_11target_archE910ELNS1_3gpuE8ELNS1_3repE0EEENS1_30default_config_static_selectorELNS0_4arch9wavefront6targetE0EEEvT1_
                                        ; -- End function
	.set _ZN7rocprim17ROCPRIM_400000_NS6detail17trampoline_kernelINS0_14default_configENS1_27scan_by_key_config_selectorIiiEEZZNS1_16scan_by_key_implILNS1_25lookback_scan_determinismE0ELb1ES3_N6thrust23THRUST_200600_302600_NS6detail15normal_iteratorINS9_10device_ptrIiEEEESE_SE_iNS9_4plusIvEENS9_8equal_toIvEEiEE10hipError_tPvRmT2_T3_T4_T5_mT6_T7_P12ihipStream_tbENKUlT_T0_E_clISt17integral_constantIbLb1EESZ_EEDaSU_SV_EUlSU_E_NS1_11comp_targetILNS1_3genE4ELNS1_11target_archE910ELNS1_3gpuE8ELNS1_3repE0EEENS1_30default_config_static_selectorELNS0_4arch9wavefront6targetE0EEEvT1_.num_vgpr, 0
	.set _ZN7rocprim17ROCPRIM_400000_NS6detail17trampoline_kernelINS0_14default_configENS1_27scan_by_key_config_selectorIiiEEZZNS1_16scan_by_key_implILNS1_25lookback_scan_determinismE0ELb1ES3_N6thrust23THRUST_200600_302600_NS6detail15normal_iteratorINS9_10device_ptrIiEEEESE_SE_iNS9_4plusIvEENS9_8equal_toIvEEiEE10hipError_tPvRmT2_T3_T4_T5_mT6_T7_P12ihipStream_tbENKUlT_T0_E_clISt17integral_constantIbLb1EESZ_EEDaSU_SV_EUlSU_E_NS1_11comp_targetILNS1_3genE4ELNS1_11target_archE910ELNS1_3gpuE8ELNS1_3repE0EEENS1_30default_config_static_selectorELNS0_4arch9wavefront6targetE0EEEvT1_.num_agpr, 0
	.set _ZN7rocprim17ROCPRIM_400000_NS6detail17trampoline_kernelINS0_14default_configENS1_27scan_by_key_config_selectorIiiEEZZNS1_16scan_by_key_implILNS1_25lookback_scan_determinismE0ELb1ES3_N6thrust23THRUST_200600_302600_NS6detail15normal_iteratorINS9_10device_ptrIiEEEESE_SE_iNS9_4plusIvEENS9_8equal_toIvEEiEE10hipError_tPvRmT2_T3_T4_T5_mT6_T7_P12ihipStream_tbENKUlT_T0_E_clISt17integral_constantIbLb1EESZ_EEDaSU_SV_EUlSU_E_NS1_11comp_targetILNS1_3genE4ELNS1_11target_archE910ELNS1_3gpuE8ELNS1_3repE0EEENS1_30default_config_static_selectorELNS0_4arch9wavefront6targetE0EEEvT1_.numbered_sgpr, 0
	.set _ZN7rocprim17ROCPRIM_400000_NS6detail17trampoline_kernelINS0_14default_configENS1_27scan_by_key_config_selectorIiiEEZZNS1_16scan_by_key_implILNS1_25lookback_scan_determinismE0ELb1ES3_N6thrust23THRUST_200600_302600_NS6detail15normal_iteratorINS9_10device_ptrIiEEEESE_SE_iNS9_4plusIvEENS9_8equal_toIvEEiEE10hipError_tPvRmT2_T3_T4_T5_mT6_T7_P12ihipStream_tbENKUlT_T0_E_clISt17integral_constantIbLb1EESZ_EEDaSU_SV_EUlSU_E_NS1_11comp_targetILNS1_3genE4ELNS1_11target_archE910ELNS1_3gpuE8ELNS1_3repE0EEENS1_30default_config_static_selectorELNS0_4arch9wavefront6targetE0EEEvT1_.num_named_barrier, 0
	.set _ZN7rocprim17ROCPRIM_400000_NS6detail17trampoline_kernelINS0_14default_configENS1_27scan_by_key_config_selectorIiiEEZZNS1_16scan_by_key_implILNS1_25lookback_scan_determinismE0ELb1ES3_N6thrust23THRUST_200600_302600_NS6detail15normal_iteratorINS9_10device_ptrIiEEEESE_SE_iNS9_4plusIvEENS9_8equal_toIvEEiEE10hipError_tPvRmT2_T3_T4_T5_mT6_T7_P12ihipStream_tbENKUlT_T0_E_clISt17integral_constantIbLb1EESZ_EEDaSU_SV_EUlSU_E_NS1_11comp_targetILNS1_3genE4ELNS1_11target_archE910ELNS1_3gpuE8ELNS1_3repE0EEENS1_30default_config_static_selectorELNS0_4arch9wavefront6targetE0EEEvT1_.private_seg_size, 0
	.set _ZN7rocprim17ROCPRIM_400000_NS6detail17trampoline_kernelINS0_14default_configENS1_27scan_by_key_config_selectorIiiEEZZNS1_16scan_by_key_implILNS1_25lookback_scan_determinismE0ELb1ES3_N6thrust23THRUST_200600_302600_NS6detail15normal_iteratorINS9_10device_ptrIiEEEESE_SE_iNS9_4plusIvEENS9_8equal_toIvEEiEE10hipError_tPvRmT2_T3_T4_T5_mT6_T7_P12ihipStream_tbENKUlT_T0_E_clISt17integral_constantIbLb1EESZ_EEDaSU_SV_EUlSU_E_NS1_11comp_targetILNS1_3genE4ELNS1_11target_archE910ELNS1_3gpuE8ELNS1_3repE0EEENS1_30default_config_static_selectorELNS0_4arch9wavefront6targetE0EEEvT1_.uses_vcc, 0
	.set _ZN7rocprim17ROCPRIM_400000_NS6detail17trampoline_kernelINS0_14default_configENS1_27scan_by_key_config_selectorIiiEEZZNS1_16scan_by_key_implILNS1_25lookback_scan_determinismE0ELb1ES3_N6thrust23THRUST_200600_302600_NS6detail15normal_iteratorINS9_10device_ptrIiEEEESE_SE_iNS9_4plusIvEENS9_8equal_toIvEEiEE10hipError_tPvRmT2_T3_T4_T5_mT6_T7_P12ihipStream_tbENKUlT_T0_E_clISt17integral_constantIbLb1EESZ_EEDaSU_SV_EUlSU_E_NS1_11comp_targetILNS1_3genE4ELNS1_11target_archE910ELNS1_3gpuE8ELNS1_3repE0EEENS1_30default_config_static_selectorELNS0_4arch9wavefront6targetE0EEEvT1_.uses_flat_scratch, 0
	.set _ZN7rocprim17ROCPRIM_400000_NS6detail17trampoline_kernelINS0_14default_configENS1_27scan_by_key_config_selectorIiiEEZZNS1_16scan_by_key_implILNS1_25lookback_scan_determinismE0ELb1ES3_N6thrust23THRUST_200600_302600_NS6detail15normal_iteratorINS9_10device_ptrIiEEEESE_SE_iNS9_4plusIvEENS9_8equal_toIvEEiEE10hipError_tPvRmT2_T3_T4_T5_mT6_T7_P12ihipStream_tbENKUlT_T0_E_clISt17integral_constantIbLb1EESZ_EEDaSU_SV_EUlSU_E_NS1_11comp_targetILNS1_3genE4ELNS1_11target_archE910ELNS1_3gpuE8ELNS1_3repE0EEENS1_30default_config_static_selectorELNS0_4arch9wavefront6targetE0EEEvT1_.has_dyn_sized_stack, 0
	.set _ZN7rocprim17ROCPRIM_400000_NS6detail17trampoline_kernelINS0_14default_configENS1_27scan_by_key_config_selectorIiiEEZZNS1_16scan_by_key_implILNS1_25lookback_scan_determinismE0ELb1ES3_N6thrust23THRUST_200600_302600_NS6detail15normal_iteratorINS9_10device_ptrIiEEEESE_SE_iNS9_4plusIvEENS9_8equal_toIvEEiEE10hipError_tPvRmT2_T3_T4_T5_mT6_T7_P12ihipStream_tbENKUlT_T0_E_clISt17integral_constantIbLb1EESZ_EEDaSU_SV_EUlSU_E_NS1_11comp_targetILNS1_3genE4ELNS1_11target_archE910ELNS1_3gpuE8ELNS1_3repE0EEENS1_30default_config_static_selectorELNS0_4arch9wavefront6targetE0EEEvT1_.has_recursion, 0
	.set _ZN7rocprim17ROCPRIM_400000_NS6detail17trampoline_kernelINS0_14default_configENS1_27scan_by_key_config_selectorIiiEEZZNS1_16scan_by_key_implILNS1_25lookback_scan_determinismE0ELb1ES3_N6thrust23THRUST_200600_302600_NS6detail15normal_iteratorINS9_10device_ptrIiEEEESE_SE_iNS9_4plusIvEENS9_8equal_toIvEEiEE10hipError_tPvRmT2_T3_T4_T5_mT6_T7_P12ihipStream_tbENKUlT_T0_E_clISt17integral_constantIbLb1EESZ_EEDaSU_SV_EUlSU_E_NS1_11comp_targetILNS1_3genE4ELNS1_11target_archE910ELNS1_3gpuE8ELNS1_3repE0EEENS1_30default_config_static_selectorELNS0_4arch9wavefront6targetE0EEEvT1_.has_indirect_call, 0
	.section	.AMDGPU.csdata,"",@progbits
; Kernel info:
; codeLenInByte = 0
; TotalNumSgprs: 0
; NumVgprs: 0
; ScratchSize: 0
; MemoryBound: 0
; FloatMode: 240
; IeeeMode: 1
; LDSByteSize: 0 bytes/workgroup (compile time only)
; SGPRBlocks: 0
; VGPRBlocks: 0
; NumSGPRsForWavesPerEU: 1
; NumVGPRsForWavesPerEU: 1
; Occupancy: 16
; WaveLimiterHint : 0
; COMPUTE_PGM_RSRC2:SCRATCH_EN: 0
; COMPUTE_PGM_RSRC2:USER_SGPR: 6
; COMPUTE_PGM_RSRC2:TRAP_HANDLER: 0
; COMPUTE_PGM_RSRC2:TGID_X_EN: 1
; COMPUTE_PGM_RSRC2:TGID_Y_EN: 0
; COMPUTE_PGM_RSRC2:TGID_Z_EN: 0
; COMPUTE_PGM_RSRC2:TIDIG_COMP_CNT: 0
	.section	.text._ZN7rocprim17ROCPRIM_400000_NS6detail17trampoline_kernelINS0_14default_configENS1_27scan_by_key_config_selectorIiiEEZZNS1_16scan_by_key_implILNS1_25lookback_scan_determinismE0ELb1ES3_N6thrust23THRUST_200600_302600_NS6detail15normal_iteratorINS9_10device_ptrIiEEEESE_SE_iNS9_4plusIvEENS9_8equal_toIvEEiEE10hipError_tPvRmT2_T3_T4_T5_mT6_T7_P12ihipStream_tbENKUlT_T0_E_clISt17integral_constantIbLb1EESZ_EEDaSU_SV_EUlSU_E_NS1_11comp_targetILNS1_3genE3ELNS1_11target_archE908ELNS1_3gpuE7ELNS1_3repE0EEENS1_30default_config_static_selectorELNS0_4arch9wavefront6targetE0EEEvT1_,"axG",@progbits,_ZN7rocprim17ROCPRIM_400000_NS6detail17trampoline_kernelINS0_14default_configENS1_27scan_by_key_config_selectorIiiEEZZNS1_16scan_by_key_implILNS1_25lookback_scan_determinismE0ELb1ES3_N6thrust23THRUST_200600_302600_NS6detail15normal_iteratorINS9_10device_ptrIiEEEESE_SE_iNS9_4plusIvEENS9_8equal_toIvEEiEE10hipError_tPvRmT2_T3_T4_T5_mT6_T7_P12ihipStream_tbENKUlT_T0_E_clISt17integral_constantIbLb1EESZ_EEDaSU_SV_EUlSU_E_NS1_11comp_targetILNS1_3genE3ELNS1_11target_archE908ELNS1_3gpuE7ELNS1_3repE0EEENS1_30default_config_static_selectorELNS0_4arch9wavefront6targetE0EEEvT1_,comdat
	.protected	_ZN7rocprim17ROCPRIM_400000_NS6detail17trampoline_kernelINS0_14default_configENS1_27scan_by_key_config_selectorIiiEEZZNS1_16scan_by_key_implILNS1_25lookback_scan_determinismE0ELb1ES3_N6thrust23THRUST_200600_302600_NS6detail15normal_iteratorINS9_10device_ptrIiEEEESE_SE_iNS9_4plusIvEENS9_8equal_toIvEEiEE10hipError_tPvRmT2_T3_T4_T5_mT6_T7_P12ihipStream_tbENKUlT_T0_E_clISt17integral_constantIbLb1EESZ_EEDaSU_SV_EUlSU_E_NS1_11comp_targetILNS1_3genE3ELNS1_11target_archE908ELNS1_3gpuE7ELNS1_3repE0EEENS1_30default_config_static_selectorELNS0_4arch9wavefront6targetE0EEEvT1_ ; -- Begin function _ZN7rocprim17ROCPRIM_400000_NS6detail17trampoline_kernelINS0_14default_configENS1_27scan_by_key_config_selectorIiiEEZZNS1_16scan_by_key_implILNS1_25lookback_scan_determinismE0ELb1ES3_N6thrust23THRUST_200600_302600_NS6detail15normal_iteratorINS9_10device_ptrIiEEEESE_SE_iNS9_4plusIvEENS9_8equal_toIvEEiEE10hipError_tPvRmT2_T3_T4_T5_mT6_T7_P12ihipStream_tbENKUlT_T0_E_clISt17integral_constantIbLb1EESZ_EEDaSU_SV_EUlSU_E_NS1_11comp_targetILNS1_3genE3ELNS1_11target_archE908ELNS1_3gpuE7ELNS1_3repE0EEENS1_30default_config_static_selectorELNS0_4arch9wavefront6targetE0EEEvT1_
	.globl	_ZN7rocprim17ROCPRIM_400000_NS6detail17trampoline_kernelINS0_14default_configENS1_27scan_by_key_config_selectorIiiEEZZNS1_16scan_by_key_implILNS1_25lookback_scan_determinismE0ELb1ES3_N6thrust23THRUST_200600_302600_NS6detail15normal_iteratorINS9_10device_ptrIiEEEESE_SE_iNS9_4plusIvEENS9_8equal_toIvEEiEE10hipError_tPvRmT2_T3_T4_T5_mT6_T7_P12ihipStream_tbENKUlT_T0_E_clISt17integral_constantIbLb1EESZ_EEDaSU_SV_EUlSU_E_NS1_11comp_targetILNS1_3genE3ELNS1_11target_archE908ELNS1_3gpuE7ELNS1_3repE0EEENS1_30default_config_static_selectorELNS0_4arch9wavefront6targetE0EEEvT1_
	.p2align	8
	.type	_ZN7rocprim17ROCPRIM_400000_NS6detail17trampoline_kernelINS0_14default_configENS1_27scan_by_key_config_selectorIiiEEZZNS1_16scan_by_key_implILNS1_25lookback_scan_determinismE0ELb1ES3_N6thrust23THRUST_200600_302600_NS6detail15normal_iteratorINS9_10device_ptrIiEEEESE_SE_iNS9_4plusIvEENS9_8equal_toIvEEiEE10hipError_tPvRmT2_T3_T4_T5_mT6_T7_P12ihipStream_tbENKUlT_T0_E_clISt17integral_constantIbLb1EESZ_EEDaSU_SV_EUlSU_E_NS1_11comp_targetILNS1_3genE3ELNS1_11target_archE908ELNS1_3gpuE7ELNS1_3repE0EEENS1_30default_config_static_selectorELNS0_4arch9wavefront6targetE0EEEvT1_,@function
_ZN7rocprim17ROCPRIM_400000_NS6detail17trampoline_kernelINS0_14default_configENS1_27scan_by_key_config_selectorIiiEEZZNS1_16scan_by_key_implILNS1_25lookback_scan_determinismE0ELb1ES3_N6thrust23THRUST_200600_302600_NS6detail15normal_iteratorINS9_10device_ptrIiEEEESE_SE_iNS9_4plusIvEENS9_8equal_toIvEEiEE10hipError_tPvRmT2_T3_T4_T5_mT6_T7_P12ihipStream_tbENKUlT_T0_E_clISt17integral_constantIbLb1EESZ_EEDaSU_SV_EUlSU_E_NS1_11comp_targetILNS1_3genE3ELNS1_11target_archE908ELNS1_3gpuE7ELNS1_3repE0EEENS1_30default_config_static_selectorELNS0_4arch9wavefront6targetE0EEEvT1_: ; @_ZN7rocprim17ROCPRIM_400000_NS6detail17trampoline_kernelINS0_14default_configENS1_27scan_by_key_config_selectorIiiEEZZNS1_16scan_by_key_implILNS1_25lookback_scan_determinismE0ELb1ES3_N6thrust23THRUST_200600_302600_NS6detail15normal_iteratorINS9_10device_ptrIiEEEESE_SE_iNS9_4plusIvEENS9_8equal_toIvEEiEE10hipError_tPvRmT2_T3_T4_T5_mT6_T7_P12ihipStream_tbENKUlT_T0_E_clISt17integral_constantIbLb1EESZ_EEDaSU_SV_EUlSU_E_NS1_11comp_targetILNS1_3genE3ELNS1_11target_archE908ELNS1_3gpuE7ELNS1_3repE0EEENS1_30default_config_static_selectorELNS0_4arch9wavefront6targetE0EEEvT1_
; %bb.0:
	.section	.rodata,"a",@progbits
	.p2align	6, 0x0
	.amdhsa_kernel _ZN7rocprim17ROCPRIM_400000_NS6detail17trampoline_kernelINS0_14default_configENS1_27scan_by_key_config_selectorIiiEEZZNS1_16scan_by_key_implILNS1_25lookback_scan_determinismE0ELb1ES3_N6thrust23THRUST_200600_302600_NS6detail15normal_iteratorINS9_10device_ptrIiEEEESE_SE_iNS9_4plusIvEENS9_8equal_toIvEEiEE10hipError_tPvRmT2_T3_T4_T5_mT6_T7_P12ihipStream_tbENKUlT_T0_E_clISt17integral_constantIbLb1EESZ_EEDaSU_SV_EUlSU_E_NS1_11comp_targetILNS1_3genE3ELNS1_11target_archE908ELNS1_3gpuE7ELNS1_3repE0EEENS1_30default_config_static_selectorELNS0_4arch9wavefront6targetE0EEEvT1_
		.amdhsa_group_segment_fixed_size 0
		.amdhsa_private_segment_fixed_size 0
		.amdhsa_kernarg_size 112
		.amdhsa_user_sgpr_count 6
		.amdhsa_user_sgpr_private_segment_buffer 1
		.amdhsa_user_sgpr_dispatch_ptr 0
		.amdhsa_user_sgpr_queue_ptr 0
		.amdhsa_user_sgpr_kernarg_segment_ptr 1
		.amdhsa_user_sgpr_dispatch_id 0
		.amdhsa_user_sgpr_flat_scratch_init 0
		.amdhsa_user_sgpr_private_segment_size 0
		.amdhsa_wavefront_size32 1
		.amdhsa_uses_dynamic_stack 0
		.amdhsa_system_sgpr_private_segment_wavefront_offset 0
		.amdhsa_system_sgpr_workgroup_id_x 1
		.amdhsa_system_sgpr_workgroup_id_y 0
		.amdhsa_system_sgpr_workgroup_id_z 0
		.amdhsa_system_sgpr_workgroup_info 0
		.amdhsa_system_vgpr_workitem_id 0
		.amdhsa_next_free_vgpr 1
		.amdhsa_next_free_sgpr 1
		.amdhsa_reserve_vcc 0
		.amdhsa_reserve_flat_scratch 0
		.amdhsa_float_round_mode_32 0
		.amdhsa_float_round_mode_16_64 0
		.amdhsa_float_denorm_mode_32 3
		.amdhsa_float_denorm_mode_16_64 3
		.amdhsa_dx10_clamp 1
		.amdhsa_ieee_mode 1
		.amdhsa_fp16_overflow 0
		.amdhsa_workgroup_processor_mode 1
		.amdhsa_memory_ordered 1
		.amdhsa_forward_progress 1
		.amdhsa_shared_vgpr_count 0
		.amdhsa_exception_fp_ieee_invalid_op 0
		.amdhsa_exception_fp_denorm_src 0
		.amdhsa_exception_fp_ieee_div_zero 0
		.amdhsa_exception_fp_ieee_overflow 0
		.amdhsa_exception_fp_ieee_underflow 0
		.amdhsa_exception_fp_ieee_inexact 0
		.amdhsa_exception_int_div_zero 0
	.end_amdhsa_kernel
	.section	.text._ZN7rocprim17ROCPRIM_400000_NS6detail17trampoline_kernelINS0_14default_configENS1_27scan_by_key_config_selectorIiiEEZZNS1_16scan_by_key_implILNS1_25lookback_scan_determinismE0ELb1ES3_N6thrust23THRUST_200600_302600_NS6detail15normal_iteratorINS9_10device_ptrIiEEEESE_SE_iNS9_4plusIvEENS9_8equal_toIvEEiEE10hipError_tPvRmT2_T3_T4_T5_mT6_T7_P12ihipStream_tbENKUlT_T0_E_clISt17integral_constantIbLb1EESZ_EEDaSU_SV_EUlSU_E_NS1_11comp_targetILNS1_3genE3ELNS1_11target_archE908ELNS1_3gpuE7ELNS1_3repE0EEENS1_30default_config_static_selectorELNS0_4arch9wavefront6targetE0EEEvT1_,"axG",@progbits,_ZN7rocprim17ROCPRIM_400000_NS6detail17trampoline_kernelINS0_14default_configENS1_27scan_by_key_config_selectorIiiEEZZNS1_16scan_by_key_implILNS1_25lookback_scan_determinismE0ELb1ES3_N6thrust23THRUST_200600_302600_NS6detail15normal_iteratorINS9_10device_ptrIiEEEESE_SE_iNS9_4plusIvEENS9_8equal_toIvEEiEE10hipError_tPvRmT2_T3_T4_T5_mT6_T7_P12ihipStream_tbENKUlT_T0_E_clISt17integral_constantIbLb1EESZ_EEDaSU_SV_EUlSU_E_NS1_11comp_targetILNS1_3genE3ELNS1_11target_archE908ELNS1_3gpuE7ELNS1_3repE0EEENS1_30default_config_static_selectorELNS0_4arch9wavefront6targetE0EEEvT1_,comdat
.Lfunc_end474:
	.size	_ZN7rocprim17ROCPRIM_400000_NS6detail17trampoline_kernelINS0_14default_configENS1_27scan_by_key_config_selectorIiiEEZZNS1_16scan_by_key_implILNS1_25lookback_scan_determinismE0ELb1ES3_N6thrust23THRUST_200600_302600_NS6detail15normal_iteratorINS9_10device_ptrIiEEEESE_SE_iNS9_4plusIvEENS9_8equal_toIvEEiEE10hipError_tPvRmT2_T3_T4_T5_mT6_T7_P12ihipStream_tbENKUlT_T0_E_clISt17integral_constantIbLb1EESZ_EEDaSU_SV_EUlSU_E_NS1_11comp_targetILNS1_3genE3ELNS1_11target_archE908ELNS1_3gpuE7ELNS1_3repE0EEENS1_30default_config_static_selectorELNS0_4arch9wavefront6targetE0EEEvT1_, .Lfunc_end474-_ZN7rocprim17ROCPRIM_400000_NS6detail17trampoline_kernelINS0_14default_configENS1_27scan_by_key_config_selectorIiiEEZZNS1_16scan_by_key_implILNS1_25lookback_scan_determinismE0ELb1ES3_N6thrust23THRUST_200600_302600_NS6detail15normal_iteratorINS9_10device_ptrIiEEEESE_SE_iNS9_4plusIvEENS9_8equal_toIvEEiEE10hipError_tPvRmT2_T3_T4_T5_mT6_T7_P12ihipStream_tbENKUlT_T0_E_clISt17integral_constantIbLb1EESZ_EEDaSU_SV_EUlSU_E_NS1_11comp_targetILNS1_3genE3ELNS1_11target_archE908ELNS1_3gpuE7ELNS1_3repE0EEENS1_30default_config_static_selectorELNS0_4arch9wavefront6targetE0EEEvT1_
                                        ; -- End function
	.set _ZN7rocprim17ROCPRIM_400000_NS6detail17trampoline_kernelINS0_14default_configENS1_27scan_by_key_config_selectorIiiEEZZNS1_16scan_by_key_implILNS1_25lookback_scan_determinismE0ELb1ES3_N6thrust23THRUST_200600_302600_NS6detail15normal_iteratorINS9_10device_ptrIiEEEESE_SE_iNS9_4plusIvEENS9_8equal_toIvEEiEE10hipError_tPvRmT2_T3_T4_T5_mT6_T7_P12ihipStream_tbENKUlT_T0_E_clISt17integral_constantIbLb1EESZ_EEDaSU_SV_EUlSU_E_NS1_11comp_targetILNS1_3genE3ELNS1_11target_archE908ELNS1_3gpuE7ELNS1_3repE0EEENS1_30default_config_static_selectorELNS0_4arch9wavefront6targetE0EEEvT1_.num_vgpr, 0
	.set _ZN7rocprim17ROCPRIM_400000_NS6detail17trampoline_kernelINS0_14default_configENS1_27scan_by_key_config_selectorIiiEEZZNS1_16scan_by_key_implILNS1_25lookback_scan_determinismE0ELb1ES3_N6thrust23THRUST_200600_302600_NS6detail15normal_iteratorINS9_10device_ptrIiEEEESE_SE_iNS9_4plusIvEENS9_8equal_toIvEEiEE10hipError_tPvRmT2_T3_T4_T5_mT6_T7_P12ihipStream_tbENKUlT_T0_E_clISt17integral_constantIbLb1EESZ_EEDaSU_SV_EUlSU_E_NS1_11comp_targetILNS1_3genE3ELNS1_11target_archE908ELNS1_3gpuE7ELNS1_3repE0EEENS1_30default_config_static_selectorELNS0_4arch9wavefront6targetE0EEEvT1_.num_agpr, 0
	.set _ZN7rocprim17ROCPRIM_400000_NS6detail17trampoline_kernelINS0_14default_configENS1_27scan_by_key_config_selectorIiiEEZZNS1_16scan_by_key_implILNS1_25lookback_scan_determinismE0ELb1ES3_N6thrust23THRUST_200600_302600_NS6detail15normal_iteratorINS9_10device_ptrIiEEEESE_SE_iNS9_4plusIvEENS9_8equal_toIvEEiEE10hipError_tPvRmT2_T3_T4_T5_mT6_T7_P12ihipStream_tbENKUlT_T0_E_clISt17integral_constantIbLb1EESZ_EEDaSU_SV_EUlSU_E_NS1_11comp_targetILNS1_3genE3ELNS1_11target_archE908ELNS1_3gpuE7ELNS1_3repE0EEENS1_30default_config_static_selectorELNS0_4arch9wavefront6targetE0EEEvT1_.numbered_sgpr, 0
	.set _ZN7rocprim17ROCPRIM_400000_NS6detail17trampoline_kernelINS0_14default_configENS1_27scan_by_key_config_selectorIiiEEZZNS1_16scan_by_key_implILNS1_25lookback_scan_determinismE0ELb1ES3_N6thrust23THRUST_200600_302600_NS6detail15normal_iteratorINS9_10device_ptrIiEEEESE_SE_iNS9_4plusIvEENS9_8equal_toIvEEiEE10hipError_tPvRmT2_T3_T4_T5_mT6_T7_P12ihipStream_tbENKUlT_T0_E_clISt17integral_constantIbLb1EESZ_EEDaSU_SV_EUlSU_E_NS1_11comp_targetILNS1_3genE3ELNS1_11target_archE908ELNS1_3gpuE7ELNS1_3repE0EEENS1_30default_config_static_selectorELNS0_4arch9wavefront6targetE0EEEvT1_.num_named_barrier, 0
	.set _ZN7rocprim17ROCPRIM_400000_NS6detail17trampoline_kernelINS0_14default_configENS1_27scan_by_key_config_selectorIiiEEZZNS1_16scan_by_key_implILNS1_25lookback_scan_determinismE0ELb1ES3_N6thrust23THRUST_200600_302600_NS6detail15normal_iteratorINS9_10device_ptrIiEEEESE_SE_iNS9_4plusIvEENS9_8equal_toIvEEiEE10hipError_tPvRmT2_T3_T4_T5_mT6_T7_P12ihipStream_tbENKUlT_T0_E_clISt17integral_constantIbLb1EESZ_EEDaSU_SV_EUlSU_E_NS1_11comp_targetILNS1_3genE3ELNS1_11target_archE908ELNS1_3gpuE7ELNS1_3repE0EEENS1_30default_config_static_selectorELNS0_4arch9wavefront6targetE0EEEvT1_.private_seg_size, 0
	.set _ZN7rocprim17ROCPRIM_400000_NS6detail17trampoline_kernelINS0_14default_configENS1_27scan_by_key_config_selectorIiiEEZZNS1_16scan_by_key_implILNS1_25lookback_scan_determinismE0ELb1ES3_N6thrust23THRUST_200600_302600_NS6detail15normal_iteratorINS9_10device_ptrIiEEEESE_SE_iNS9_4plusIvEENS9_8equal_toIvEEiEE10hipError_tPvRmT2_T3_T4_T5_mT6_T7_P12ihipStream_tbENKUlT_T0_E_clISt17integral_constantIbLb1EESZ_EEDaSU_SV_EUlSU_E_NS1_11comp_targetILNS1_3genE3ELNS1_11target_archE908ELNS1_3gpuE7ELNS1_3repE0EEENS1_30default_config_static_selectorELNS0_4arch9wavefront6targetE0EEEvT1_.uses_vcc, 0
	.set _ZN7rocprim17ROCPRIM_400000_NS6detail17trampoline_kernelINS0_14default_configENS1_27scan_by_key_config_selectorIiiEEZZNS1_16scan_by_key_implILNS1_25lookback_scan_determinismE0ELb1ES3_N6thrust23THRUST_200600_302600_NS6detail15normal_iteratorINS9_10device_ptrIiEEEESE_SE_iNS9_4plusIvEENS9_8equal_toIvEEiEE10hipError_tPvRmT2_T3_T4_T5_mT6_T7_P12ihipStream_tbENKUlT_T0_E_clISt17integral_constantIbLb1EESZ_EEDaSU_SV_EUlSU_E_NS1_11comp_targetILNS1_3genE3ELNS1_11target_archE908ELNS1_3gpuE7ELNS1_3repE0EEENS1_30default_config_static_selectorELNS0_4arch9wavefront6targetE0EEEvT1_.uses_flat_scratch, 0
	.set _ZN7rocprim17ROCPRIM_400000_NS6detail17trampoline_kernelINS0_14default_configENS1_27scan_by_key_config_selectorIiiEEZZNS1_16scan_by_key_implILNS1_25lookback_scan_determinismE0ELb1ES3_N6thrust23THRUST_200600_302600_NS6detail15normal_iteratorINS9_10device_ptrIiEEEESE_SE_iNS9_4plusIvEENS9_8equal_toIvEEiEE10hipError_tPvRmT2_T3_T4_T5_mT6_T7_P12ihipStream_tbENKUlT_T0_E_clISt17integral_constantIbLb1EESZ_EEDaSU_SV_EUlSU_E_NS1_11comp_targetILNS1_3genE3ELNS1_11target_archE908ELNS1_3gpuE7ELNS1_3repE0EEENS1_30default_config_static_selectorELNS0_4arch9wavefront6targetE0EEEvT1_.has_dyn_sized_stack, 0
	.set _ZN7rocprim17ROCPRIM_400000_NS6detail17trampoline_kernelINS0_14default_configENS1_27scan_by_key_config_selectorIiiEEZZNS1_16scan_by_key_implILNS1_25lookback_scan_determinismE0ELb1ES3_N6thrust23THRUST_200600_302600_NS6detail15normal_iteratorINS9_10device_ptrIiEEEESE_SE_iNS9_4plusIvEENS9_8equal_toIvEEiEE10hipError_tPvRmT2_T3_T4_T5_mT6_T7_P12ihipStream_tbENKUlT_T0_E_clISt17integral_constantIbLb1EESZ_EEDaSU_SV_EUlSU_E_NS1_11comp_targetILNS1_3genE3ELNS1_11target_archE908ELNS1_3gpuE7ELNS1_3repE0EEENS1_30default_config_static_selectorELNS0_4arch9wavefront6targetE0EEEvT1_.has_recursion, 0
	.set _ZN7rocprim17ROCPRIM_400000_NS6detail17trampoline_kernelINS0_14default_configENS1_27scan_by_key_config_selectorIiiEEZZNS1_16scan_by_key_implILNS1_25lookback_scan_determinismE0ELb1ES3_N6thrust23THRUST_200600_302600_NS6detail15normal_iteratorINS9_10device_ptrIiEEEESE_SE_iNS9_4plusIvEENS9_8equal_toIvEEiEE10hipError_tPvRmT2_T3_T4_T5_mT6_T7_P12ihipStream_tbENKUlT_T0_E_clISt17integral_constantIbLb1EESZ_EEDaSU_SV_EUlSU_E_NS1_11comp_targetILNS1_3genE3ELNS1_11target_archE908ELNS1_3gpuE7ELNS1_3repE0EEENS1_30default_config_static_selectorELNS0_4arch9wavefront6targetE0EEEvT1_.has_indirect_call, 0
	.section	.AMDGPU.csdata,"",@progbits
; Kernel info:
; codeLenInByte = 0
; TotalNumSgprs: 0
; NumVgprs: 0
; ScratchSize: 0
; MemoryBound: 0
; FloatMode: 240
; IeeeMode: 1
; LDSByteSize: 0 bytes/workgroup (compile time only)
; SGPRBlocks: 0
; VGPRBlocks: 0
; NumSGPRsForWavesPerEU: 1
; NumVGPRsForWavesPerEU: 1
; Occupancy: 16
; WaveLimiterHint : 0
; COMPUTE_PGM_RSRC2:SCRATCH_EN: 0
; COMPUTE_PGM_RSRC2:USER_SGPR: 6
; COMPUTE_PGM_RSRC2:TRAP_HANDLER: 0
; COMPUTE_PGM_RSRC2:TGID_X_EN: 1
; COMPUTE_PGM_RSRC2:TGID_Y_EN: 0
; COMPUTE_PGM_RSRC2:TGID_Z_EN: 0
; COMPUTE_PGM_RSRC2:TIDIG_COMP_CNT: 0
	.section	.text._ZN7rocprim17ROCPRIM_400000_NS6detail17trampoline_kernelINS0_14default_configENS1_27scan_by_key_config_selectorIiiEEZZNS1_16scan_by_key_implILNS1_25lookback_scan_determinismE0ELb1ES3_N6thrust23THRUST_200600_302600_NS6detail15normal_iteratorINS9_10device_ptrIiEEEESE_SE_iNS9_4plusIvEENS9_8equal_toIvEEiEE10hipError_tPvRmT2_T3_T4_T5_mT6_T7_P12ihipStream_tbENKUlT_T0_E_clISt17integral_constantIbLb1EESZ_EEDaSU_SV_EUlSU_E_NS1_11comp_targetILNS1_3genE2ELNS1_11target_archE906ELNS1_3gpuE6ELNS1_3repE0EEENS1_30default_config_static_selectorELNS0_4arch9wavefront6targetE0EEEvT1_,"axG",@progbits,_ZN7rocprim17ROCPRIM_400000_NS6detail17trampoline_kernelINS0_14default_configENS1_27scan_by_key_config_selectorIiiEEZZNS1_16scan_by_key_implILNS1_25lookback_scan_determinismE0ELb1ES3_N6thrust23THRUST_200600_302600_NS6detail15normal_iteratorINS9_10device_ptrIiEEEESE_SE_iNS9_4plusIvEENS9_8equal_toIvEEiEE10hipError_tPvRmT2_T3_T4_T5_mT6_T7_P12ihipStream_tbENKUlT_T0_E_clISt17integral_constantIbLb1EESZ_EEDaSU_SV_EUlSU_E_NS1_11comp_targetILNS1_3genE2ELNS1_11target_archE906ELNS1_3gpuE6ELNS1_3repE0EEENS1_30default_config_static_selectorELNS0_4arch9wavefront6targetE0EEEvT1_,comdat
	.protected	_ZN7rocprim17ROCPRIM_400000_NS6detail17trampoline_kernelINS0_14default_configENS1_27scan_by_key_config_selectorIiiEEZZNS1_16scan_by_key_implILNS1_25lookback_scan_determinismE0ELb1ES3_N6thrust23THRUST_200600_302600_NS6detail15normal_iteratorINS9_10device_ptrIiEEEESE_SE_iNS9_4plusIvEENS9_8equal_toIvEEiEE10hipError_tPvRmT2_T3_T4_T5_mT6_T7_P12ihipStream_tbENKUlT_T0_E_clISt17integral_constantIbLb1EESZ_EEDaSU_SV_EUlSU_E_NS1_11comp_targetILNS1_3genE2ELNS1_11target_archE906ELNS1_3gpuE6ELNS1_3repE0EEENS1_30default_config_static_selectorELNS0_4arch9wavefront6targetE0EEEvT1_ ; -- Begin function _ZN7rocprim17ROCPRIM_400000_NS6detail17trampoline_kernelINS0_14default_configENS1_27scan_by_key_config_selectorIiiEEZZNS1_16scan_by_key_implILNS1_25lookback_scan_determinismE0ELb1ES3_N6thrust23THRUST_200600_302600_NS6detail15normal_iteratorINS9_10device_ptrIiEEEESE_SE_iNS9_4plusIvEENS9_8equal_toIvEEiEE10hipError_tPvRmT2_T3_T4_T5_mT6_T7_P12ihipStream_tbENKUlT_T0_E_clISt17integral_constantIbLb1EESZ_EEDaSU_SV_EUlSU_E_NS1_11comp_targetILNS1_3genE2ELNS1_11target_archE906ELNS1_3gpuE6ELNS1_3repE0EEENS1_30default_config_static_selectorELNS0_4arch9wavefront6targetE0EEEvT1_
	.globl	_ZN7rocprim17ROCPRIM_400000_NS6detail17trampoline_kernelINS0_14default_configENS1_27scan_by_key_config_selectorIiiEEZZNS1_16scan_by_key_implILNS1_25lookback_scan_determinismE0ELb1ES3_N6thrust23THRUST_200600_302600_NS6detail15normal_iteratorINS9_10device_ptrIiEEEESE_SE_iNS9_4plusIvEENS9_8equal_toIvEEiEE10hipError_tPvRmT2_T3_T4_T5_mT6_T7_P12ihipStream_tbENKUlT_T0_E_clISt17integral_constantIbLb1EESZ_EEDaSU_SV_EUlSU_E_NS1_11comp_targetILNS1_3genE2ELNS1_11target_archE906ELNS1_3gpuE6ELNS1_3repE0EEENS1_30default_config_static_selectorELNS0_4arch9wavefront6targetE0EEEvT1_
	.p2align	8
	.type	_ZN7rocprim17ROCPRIM_400000_NS6detail17trampoline_kernelINS0_14default_configENS1_27scan_by_key_config_selectorIiiEEZZNS1_16scan_by_key_implILNS1_25lookback_scan_determinismE0ELb1ES3_N6thrust23THRUST_200600_302600_NS6detail15normal_iteratorINS9_10device_ptrIiEEEESE_SE_iNS9_4plusIvEENS9_8equal_toIvEEiEE10hipError_tPvRmT2_T3_T4_T5_mT6_T7_P12ihipStream_tbENKUlT_T0_E_clISt17integral_constantIbLb1EESZ_EEDaSU_SV_EUlSU_E_NS1_11comp_targetILNS1_3genE2ELNS1_11target_archE906ELNS1_3gpuE6ELNS1_3repE0EEENS1_30default_config_static_selectorELNS0_4arch9wavefront6targetE0EEEvT1_,@function
_ZN7rocprim17ROCPRIM_400000_NS6detail17trampoline_kernelINS0_14default_configENS1_27scan_by_key_config_selectorIiiEEZZNS1_16scan_by_key_implILNS1_25lookback_scan_determinismE0ELb1ES3_N6thrust23THRUST_200600_302600_NS6detail15normal_iteratorINS9_10device_ptrIiEEEESE_SE_iNS9_4plusIvEENS9_8equal_toIvEEiEE10hipError_tPvRmT2_T3_T4_T5_mT6_T7_P12ihipStream_tbENKUlT_T0_E_clISt17integral_constantIbLb1EESZ_EEDaSU_SV_EUlSU_E_NS1_11comp_targetILNS1_3genE2ELNS1_11target_archE906ELNS1_3gpuE6ELNS1_3repE0EEENS1_30default_config_static_selectorELNS0_4arch9wavefront6targetE0EEEvT1_: ; @_ZN7rocprim17ROCPRIM_400000_NS6detail17trampoline_kernelINS0_14default_configENS1_27scan_by_key_config_selectorIiiEEZZNS1_16scan_by_key_implILNS1_25lookback_scan_determinismE0ELb1ES3_N6thrust23THRUST_200600_302600_NS6detail15normal_iteratorINS9_10device_ptrIiEEEESE_SE_iNS9_4plusIvEENS9_8equal_toIvEEiEE10hipError_tPvRmT2_T3_T4_T5_mT6_T7_P12ihipStream_tbENKUlT_T0_E_clISt17integral_constantIbLb1EESZ_EEDaSU_SV_EUlSU_E_NS1_11comp_targetILNS1_3genE2ELNS1_11target_archE906ELNS1_3gpuE6ELNS1_3repE0EEENS1_30default_config_static_selectorELNS0_4arch9wavefront6targetE0EEEvT1_
; %bb.0:
	.section	.rodata,"a",@progbits
	.p2align	6, 0x0
	.amdhsa_kernel _ZN7rocprim17ROCPRIM_400000_NS6detail17trampoline_kernelINS0_14default_configENS1_27scan_by_key_config_selectorIiiEEZZNS1_16scan_by_key_implILNS1_25lookback_scan_determinismE0ELb1ES3_N6thrust23THRUST_200600_302600_NS6detail15normal_iteratorINS9_10device_ptrIiEEEESE_SE_iNS9_4plusIvEENS9_8equal_toIvEEiEE10hipError_tPvRmT2_T3_T4_T5_mT6_T7_P12ihipStream_tbENKUlT_T0_E_clISt17integral_constantIbLb1EESZ_EEDaSU_SV_EUlSU_E_NS1_11comp_targetILNS1_3genE2ELNS1_11target_archE906ELNS1_3gpuE6ELNS1_3repE0EEENS1_30default_config_static_selectorELNS0_4arch9wavefront6targetE0EEEvT1_
		.amdhsa_group_segment_fixed_size 0
		.amdhsa_private_segment_fixed_size 0
		.amdhsa_kernarg_size 112
		.amdhsa_user_sgpr_count 6
		.amdhsa_user_sgpr_private_segment_buffer 1
		.amdhsa_user_sgpr_dispatch_ptr 0
		.amdhsa_user_sgpr_queue_ptr 0
		.amdhsa_user_sgpr_kernarg_segment_ptr 1
		.amdhsa_user_sgpr_dispatch_id 0
		.amdhsa_user_sgpr_flat_scratch_init 0
		.amdhsa_user_sgpr_private_segment_size 0
		.amdhsa_wavefront_size32 1
		.amdhsa_uses_dynamic_stack 0
		.amdhsa_system_sgpr_private_segment_wavefront_offset 0
		.amdhsa_system_sgpr_workgroup_id_x 1
		.amdhsa_system_sgpr_workgroup_id_y 0
		.amdhsa_system_sgpr_workgroup_id_z 0
		.amdhsa_system_sgpr_workgroup_info 0
		.amdhsa_system_vgpr_workitem_id 0
		.amdhsa_next_free_vgpr 1
		.amdhsa_next_free_sgpr 1
		.amdhsa_reserve_vcc 0
		.amdhsa_reserve_flat_scratch 0
		.amdhsa_float_round_mode_32 0
		.amdhsa_float_round_mode_16_64 0
		.amdhsa_float_denorm_mode_32 3
		.amdhsa_float_denorm_mode_16_64 3
		.amdhsa_dx10_clamp 1
		.amdhsa_ieee_mode 1
		.amdhsa_fp16_overflow 0
		.amdhsa_workgroup_processor_mode 1
		.amdhsa_memory_ordered 1
		.amdhsa_forward_progress 1
		.amdhsa_shared_vgpr_count 0
		.amdhsa_exception_fp_ieee_invalid_op 0
		.amdhsa_exception_fp_denorm_src 0
		.amdhsa_exception_fp_ieee_div_zero 0
		.amdhsa_exception_fp_ieee_overflow 0
		.amdhsa_exception_fp_ieee_underflow 0
		.amdhsa_exception_fp_ieee_inexact 0
		.amdhsa_exception_int_div_zero 0
	.end_amdhsa_kernel
	.section	.text._ZN7rocprim17ROCPRIM_400000_NS6detail17trampoline_kernelINS0_14default_configENS1_27scan_by_key_config_selectorIiiEEZZNS1_16scan_by_key_implILNS1_25lookback_scan_determinismE0ELb1ES3_N6thrust23THRUST_200600_302600_NS6detail15normal_iteratorINS9_10device_ptrIiEEEESE_SE_iNS9_4plusIvEENS9_8equal_toIvEEiEE10hipError_tPvRmT2_T3_T4_T5_mT6_T7_P12ihipStream_tbENKUlT_T0_E_clISt17integral_constantIbLb1EESZ_EEDaSU_SV_EUlSU_E_NS1_11comp_targetILNS1_3genE2ELNS1_11target_archE906ELNS1_3gpuE6ELNS1_3repE0EEENS1_30default_config_static_selectorELNS0_4arch9wavefront6targetE0EEEvT1_,"axG",@progbits,_ZN7rocprim17ROCPRIM_400000_NS6detail17trampoline_kernelINS0_14default_configENS1_27scan_by_key_config_selectorIiiEEZZNS1_16scan_by_key_implILNS1_25lookback_scan_determinismE0ELb1ES3_N6thrust23THRUST_200600_302600_NS6detail15normal_iteratorINS9_10device_ptrIiEEEESE_SE_iNS9_4plusIvEENS9_8equal_toIvEEiEE10hipError_tPvRmT2_T3_T4_T5_mT6_T7_P12ihipStream_tbENKUlT_T0_E_clISt17integral_constantIbLb1EESZ_EEDaSU_SV_EUlSU_E_NS1_11comp_targetILNS1_3genE2ELNS1_11target_archE906ELNS1_3gpuE6ELNS1_3repE0EEENS1_30default_config_static_selectorELNS0_4arch9wavefront6targetE0EEEvT1_,comdat
.Lfunc_end475:
	.size	_ZN7rocprim17ROCPRIM_400000_NS6detail17trampoline_kernelINS0_14default_configENS1_27scan_by_key_config_selectorIiiEEZZNS1_16scan_by_key_implILNS1_25lookback_scan_determinismE0ELb1ES3_N6thrust23THRUST_200600_302600_NS6detail15normal_iteratorINS9_10device_ptrIiEEEESE_SE_iNS9_4plusIvEENS9_8equal_toIvEEiEE10hipError_tPvRmT2_T3_T4_T5_mT6_T7_P12ihipStream_tbENKUlT_T0_E_clISt17integral_constantIbLb1EESZ_EEDaSU_SV_EUlSU_E_NS1_11comp_targetILNS1_3genE2ELNS1_11target_archE906ELNS1_3gpuE6ELNS1_3repE0EEENS1_30default_config_static_selectorELNS0_4arch9wavefront6targetE0EEEvT1_, .Lfunc_end475-_ZN7rocprim17ROCPRIM_400000_NS6detail17trampoline_kernelINS0_14default_configENS1_27scan_by_key_config_selectorIiiEEZZNS1_16scan_by_key_implILNS1_25lookback_scan_determinismE0ELb1ES3_N6thrust23THRUST_200600_302600_NS6detail15normal_iteratorINS9_10device_ptrIiEEEESE_SE_iNS9_4plusIvEENS9_8equal_toIvEEiEE10hipError_tPvRmT2_T3_T4_T5_mT6_T7_P12ihipStream_tbENKUlT_T0_E_clISt17integral_constantIbLb1EESZ_EEDaSU_SV_EUlSU_E_NS1_11comp_targetILNS1_3genE2ELNS1_11target_archE906ELNS1_3gpuE6ELNS1_3repE0EEENS1_30default_config_static_selectorELNS0_4arch9wavefront6targetE0EEEvT1_
                                        ; -- End function
	.set _ZN7rocprim17ROCPRIM_400000_NS6detail17trampoline_kernelINS0_14default_configENS1_27scan_by_key_config_selectorIiiEEZZNS1_16scan_by_key_implILNS1_25lookback_scan_determinismE0ELb1ES3_N6thrust23THRUST_200600_302600_NS6detail15normal_iteratorINS9_10device_ptrIiEEEESE_SE_iNS9_4plusIvEENS9_8equal_toIvEEiEE10hipError_tPvRmT2_T3_T4_T5_mT6_T7_P12ihipStream_tbENKUlT_T0_E_clISt17integral_constantIbLb1EESZ_EEDaSU_SV_EUlSU_E_NS1_11comp_targetILNS1_3genE2ELNS1_11target_archE906ELNS1_3gpuE6ELNS1_3repE0EEENS1_30default_config_static_selectorELNS0_4arch9wavefront6targetE0EEEvT1_.num_vgpr, 0
	.set _ZN7rocprim17ROCPRIM_400000_NS6detail17trampoline_kernelINS0_14default_configENS1_27scan_by_key_config_selectorIiiEEZZNS1_16scan_by_key_implILNS1_25lookback_scan_determinismE0ELb1ES3_N6thrust23THRUST_200600_302600_NS6detail15normal_iteratorINS9_10device_ptrIiEEEESE_SE_iNS9_4plusIvEENS9_8equal_toIvEEiEE10hipError_tPvRmT2_T3_T4_T5_mT6_T7_P12ihipStream_tbENKUlT_T0_E_clISt17integral_constantIbLb1EESZ_EEDaSU_SV_EUlSU_E_NS1_11comp_targetILNS1_3genE2ELNS1_11target_archE906ELNS1_3gpuE6ELNS1_3repE0EEENS1_30default_config_static_selectorELNS0_4arch9wavefront6targetE0EEEvT1_.num_agpr, 0
	.set _ZN7rocprim17ROCPRIM_400000_NS6detail17trampoline_kernelINS0_14default_configENS1_27scan_by_key_config_selectorIiiEEZZNS1_16scan_by_key_implILNS1_25lookback_scan_determinismE0ELb1ES3_N6thrust23THRUST_200600_302600_NS6detail15normal_iteratorINS9_10device_ptrIiEEEESE_SE_iNS9_4plusIvEENS9_8equal_toIvEEiEE10hipError_tPvRmT2_T3_T4_T5_mT6_T7_P12ihipStream_tbENKUlT_T0_E_clISt17integral_constantIbLb1EESZ_EEDaSU_SV_EUlSU_E_NS1_11comp_targetILNS1_3genE2ELNS1_11target_archE906ELNS1_3gpuE6ELNS1_3repE0EEENS1_30default_config_static_selectorELNS0_4arch9wavefront6targetE0EEEvT1_.numbered_sgpr, 0
	.set _ZN7rocprim17ROCPRIM_400000_NS6detail17trampoline_kernelINS0_14default_configENS1_27scan_by_key_config_selectorIiiEEZZNS1_16scan_by_key_implILNS1_25lookback_scan_determinismE0ELb1ES3_N6thrust23THRUST_200600_302600_NS6detail15normal_iteratorINS9_10device_ptrIiEEEESE_SE_iNS9_4plusIvEENS9_8equal_toIvEEiEE10hipError_tPvRmT2_T3_T4_T5_mT6_T7_P12ihipStream_tbENKUlT_T0_E_clISt17integral_constantIbLb1EESZ_EEDaSU_SV_EUlSU_E_NS1_11comp_targetILNS1_3genE2ELNS1_11target_archE906ELNS1_3gpuE6ELNS1_3repE0EEENS1_30default_config_static_selectorELNS0_4arch9wavefront6targetE0EEEvT1_.num_named_barrier, 0
	.set _ZN7rocprim17ROCPRIM_400000_NS6detail17trampoline_kernelINS0_14default_configENS1_27scan_by_key_config_selectorIiiEEZZNS1_16scan_by_key_implILNS1_25lookback_scan_determinismE0ELb1ES3_N6thrust23THRUST_200600_302600_NS6detail15normal_iteratorINS9_10device_ptrIiEEEESE_SE_iNS9_4plusIvEENS9_8equal_toIvEEiEE10hipError_tPvRmT2_T3_T4_T5_mT6_T7_P12ihipStream_tbENKUlT_T0_E_clISt17integral_constantIbLb1EESZ_EEDaSU_SV_EUlSU_E_NS1_11comp_targetILNS1_3genE2ELNS1_11target_archE906ELNS1_3gpuE6ELNS1_3repE0EEENS1_30default_config_static_selectorELNS0_4arch9wavefront6targetE0EEEvT1_.private_seg_size, 0
	.set _ZN7rocprim17ROCPRIM_400000_NS6detail17trampoline_kernelINS0_14default_configENS1_27scan_by_key_config_selectorIiiEEZZNS1_16scan_by_key_implILNS1_25lookback_scan_determinismE0ELb1ES3_N6thrust23THRUST_200600_302600_NS6detail15normal_iteratorINS9_10device_ptrIiEEEESE_SE_iNS9_4plusIvEENS9_8equal_toIvEEiEE10hipError_tPvRmT2_T3_T4_T5_mT6_T7_P12ihipStream_tbENKUlT_T0_E_clISt17integral_constantIbLb1EESZ_EEDaSU_SV_EUlSU_E_NS1_11comp_targetILNS1_3genE2ELNS1_11target_archE906ELNS1_3gpuE6ELNS1_3repE0EEENS1_30default_config_static_selectorELNS0_4arch9wavefront6targetE0EEEvT1_.uses_vcc, 0
	.set _ZN7rocprim17ROCPRIM_400000_NS6detail17trampoline_kernelINS0_14default_configENS1_27scan_by_key_config_selectorIiiEEZZNS1_16scan_by_key_implILNS1_25lookback_scan_determinismE0ELb1ES3_N6thrust23THRUST_200600_302600_NS6detail15normal_iteratorINS9_10device_ptrIiEEEESE_SE_iNS9_4plusIvEENS9_8equal_toIvEEiEE10hipError_tPvRmT2_T3_T4_T5_mT6_T7_P12ihipStream_tbENKUlT_T0_E_clISt17integral_constantIbLb1EESZ_EEDaSU_SV_EUlSU_E_NS1_11comp_targetILNS1_3genE2ELNS1_11target_archE906ELNS1_3gpuE6ELNS1_3repE0EEENS1_30default_config_static_selectorELNS0_4arch9wavefront6targetE0EEEvT1_.uses_flat_scratch, 0
	.set _ZN7rocprim17ROCPRIM_400000_NS6detail17trampoline_kernelINS0_14default_configENS1_27scan_by_key_config_selectorIiiEEZZNS1_16scan_by_key_implILNS1_25lookback_scan_determinismE0ELb1ES3_N6thrust23THRUST_200600_302600_NS6detail15normal_iteratorINS9_10device_ptrIiEEEESE_SE_iNS9_4plusIvEENS9_8equal_toIvEEiEE10hipError_tPvRmT2_T3_T4_T5_mT6_T7_P12ihipStream_tbENKUlT_T0_E_clISt17integral_constantIbLb1EESZ_EEDaSU_SV_EUlSU_E_NS1_11comp_targetILNS1_3genE2ELNS1_11target_archE906ELNS1_3gpuE6ELNS1_3repE0EEENS1_30default_config_static_selectorELNS0_4arch9wavefront6targetE0EEEvT1_.has_dyn_sized_stack, 0
	.set _ZN7rocprim17ROCPRIM_400000_NS6detail17trampoline_kernelINS0_14default_configENS1_27scan_by_key_config_selectorIiiEEZZNS1_16scan_by_key_implILNS1_25lookback_scan_determinismE0ELb1ES3_N6thrust23THRUST_200600_302600_NS6detail15normal_iteratorINS9_10device_ptrIiEEEESE_SE_iNS9_4plusIvEENS9_8equal_toIvEEiEE10hipError_tPvRmT2_T3_T4_T5_mT6_T7_P12ihipStream_tbENKUlT_T0_E_clISt17integral_constantIbLb1EESZ_EEDaSU_SV_EUlSU_E_NS1_11comp_targetILNS1_3genE2ELNS1_11target_archE906ELNS1_3gpuE6ELNS1_3repE0EEENS1_30default_config_static_selectorELNS0_4arch9wavefront6targetE0EEEvT1_.has_recursion, 0
	.set _ZN7rocprim17ROCPRIM_400000_NS6detail17trampoline_kernelINS0_14default_configENS1_27scan_by_key_config_selectorIiiEEZZNS1_16scan_by_key_implILNS1_25lookback_scan_determinismE0ELb1ES3_N6thrust23THRUST_200600_302600_NS6detail15normal_iteratorINS9_10device_ptrIiEEEESE_SE_iNS9_4plusIvEENS9_8equal_toIvEEiEE10hipError_tPvRmT2_T3_T4_T5_mT6_T7_P12ihipStream_tbENKUlT_T0_E_clISt17integral_constantIbLb1EESZ_EEDaSU_SV_EUlSU_E_NS1_11comp_targetILNS1_3genE2ELNS1_11target_archE906ELNS1_3gpuE6ELNS1_3repE0EEENS1_30default_config_static_selectorELNS0_4arch9wavefront6targetE0EEEvT1_.has_indirect_call, 0
	.section	.AMDGPU.csdata,"",@progbits
; Kernel info:
; codeLenInByte = 0
; TotalNumSgprs: 0
; NumVgprs: 0
; ScratchSize: 0
; MemoryBound: 0
; FloatMode: 240
; IeeeMode: 1
; LDSByteSize: 0 bytes/workgroup (compile time only)
; SGPRBlocks: 0
; VGPRBlocks: 0
; NumSGPRsForWavesPerEU: 1
; NumVGPRsForWavesPerEU: 1
; Occupancy: 16
; WaveLimiterHint : 0
; COMPUTE_PGM_RSRC2:SCRATCH_EN: 0
; COMPUTE_PGM_RSRC2:USER_SGPR: 6
; COMPUTE_PGM_RSRC2:TRAP_HANDLER: 0
; COMPUTE_PGM_RSRC2:TGID_X_EN: 1
; COMPUTE_PGM_RSRC2:TGID_Y_EN: 0
; COMPUTE_PGM_RSRC2:TGID_Z_EN: 0
; COMPUTE_PGM_RSRC2:TIDIG_COMP_CNT: 0
	.section	.text._ZN7rocprim17ROCPRIM_400000_NS6detail17trampoline_kernelINS0_14default_configENS1_27scan_by_key_config_selectorIiiEEZZNS1_16scan_by_key_implILNS1_25lookback_scan_determinismE0ELb1ES3_N6thrust23THRUST_200600_302600_NS6detail15normal_iteratorINS9_10device_ptrIiEEEESE_SE_iNS9_4plusIvEENS9_8equal_toIvEEiEE10hipError_tPvRmT2_T3_T4_T5_mT6_T7_P12ihipStream_tbENKUlT_T0_E_clISt17integral_constantIbLb1EESZ_EEDaSU_SV_EUlSU_E_NS1_11comp_targetILNS1_3genE10ELNS1_11target_archE1200ELNS1_3gpuE4ELNS1_3repE0EEENS1_30default_config_static_selectorELNS0_4arch9wavefront6targetE0EEEvT1_,"axG",@progbits,_ZN7rocprim17ROCPRIM_400000_NS6detail17trampoline_kernelINS0_14default_configENS1_27scan_by_key_config_selectorIiiEEZZNS1_16scan_by_key_implILNS1_25lookback_scan_determinismE0ELb1ES3_N6thrust23THRUST_200600_302600_NS6detail15normal_iteratorINS9_10device_ptrIiEEEESE_SE_iNS9_4plusIvEENS9_8equal_toIvEEiEE10hipError_tPvRmT2_T3_T4_T5_mT6_T7_P12ihipStream_tbENKUlT_T0_E_clISt17integral_constantIbLb1EESZ_EEDaSU_SV_EUlSU_E_NS1_11comp_targetILNS1_3genE10ELNS1_11target_archE1200ELNS1_3gpuE4ELNS1_3repE0EEENS1_30default_config_static_selectorELNS0_4arch9wavefront6targetE0EEEvT1_,comdat
	.protected	_ZN7rocprim17ROCPRIM_400000_NS6detail17trampoline_kernelINS0_14default_configENS1_27scan_by_key_config_selectorIiiEEZZNS1_16scan_by_key_implILNS1_25lookback_scan_determinismE0ELb1ES3_N6thrust23THRUST_200600_302600_NS6detail15normal_iteratorINS9_10device_ptrIiEEEESE_SE_iNS9_4plusIvEENS9_8equal_toIvEEiEE10hipError_tPvRmT2_T3_T4_T5_mT6_T7_P12ihipStream_tbENKUlT_T0_E_clISt17integral_constantIbLb1EESZ_EEDaSU_SV_EUlSU_E_NS1_11comp_targetILNS1_3genE10ELNS1_11target_archE1200ELNS1_3gpuE4ELNS1_3repE0EEENS1_30default_config_static_selectorELNS0_4arch9wavefront6targetE0EEEvT1_ ; -- Begin function _ZN7rocprim17ROCPRIM_400000_NS6detail17trampoline_kernelINS0_14default_configENS1_27scan_by_key_config_selectorIiiEEZZNS1_16scan_by_key_implILNS1_25lookback_scan_determinismE0ELb1ES3_N6thrust23THRUST_200600_302600_NS6detail15normal_iteratorINS9_10device_ptrIiEEEESE_SE_iNS9_4plusIvEENS9_8equal_toIvEEiEE10hipError_tPvRmT2_T3_T4_T5_mT6_T7_P12ihipStream_tbENKUlT_T0_E_clISt17integral_constantIbLb1EESZ_EEDaSU_SV_EUlSU_E_NS1_11comp_targetILNS1_3genE10ELNS1_11target_archE1200ELNS1_3gpuE4ELNS1_3repE0EEENS1_30default_config_static_selectorELNS0_4arch9wavefront6targetE0EEEvT1_
	.globl	_ZN7rocprim17ROCPRIM_400000_NS6detail17trampoline_kernelINS0_14default_configENS1_27scan_by_key_config_selectorIiiEEZZNS1_16scan_by_key_implILNS1_25lookback_scan_determinismE0ELb1ES3_N6thrust23THRUST_200600_302600_NS6detail15normal_iteratorINS9_10device_ptrIiEEEESE_SE_iNS9_4plusIvEENS9_8equal_toIvEEiEE10hipError_tPvRmT2_T3_T4_T5_mT6_T7_P12ihipStream_tbENKUlT_T0_E_clISt17integral_constantIbLb1EESZ_EEDaSU_SV_EUlSU_E_NS1_11comp_targetILNS1_3genE10ELNS1_11target_archE1200ELNS1_3gpuE4ELNS1_3repE0EEENS1_30default_config_static_selectorELNS0_4arch9wavefront6targetE0EEEvT1_
	.p2align	8
	.type	_ZN7rocprim17ROCPRIM_400000_NS6detail17trampoline_kernelINS0_14default_configENS1_27scan_by_key_config_selectorIiiEEZZNS1_16scan_by_key_implILNS1_25lookback_scan_determinismE0ELb1ES3_N6thrust23THRUST_200600_302600_NS6detail15normal_iteratorINS9_10device_ptrIiEEEESE_SE_iNS9_4plusIvEENS9_8equal_toIvEEiEE10hipError_tPvRmT2_T3_T4_T5_mT6_T7_P12ihipStream_tbENKUlT_T0_E_clISt17integral_constantIbLb1EESZ_EEDaSU_SV_EUlSU_E_NS1_11comp_targetILNS1_3genE10ELNS1_11target_archE1200ELNS1_3gpuE4ELNS1_3repE0EEENS1_30default_config_static_selectorELNS0_4arch9wavefront6targetE0EEEvT1_,@function
_ZN7rocprim17ROCPRIM_400000_NS6detail17trampoline_kernelINS0_14default_configENS1_27scan_by_key_config_selectorIiiEEZZNS1_16scan_by_key_implILNS1_25lookback_scan_determinismE0ELb1ES3_N6thrust23THRUST_200600_302600_NS6detail15normal_iteratorINS9_10device_ptrIiEEEESE_SE_iNS9_4plusIvEENS9_8equal_toIvEEiEE10hipError_tPvRmT2_T3_T4_T5_mT6_T7_P12ihipStream_tbENKUlT_T0_E_clISt17integral_constantIbLb1EESZ_EEDaSU_SV_EUlSU_E_NS1_11comp_targetILNS1_3genE10ELNS1_11target_archE1200ELNS1_3gpuE4ELNS1_3repE0EEENS1_30default_config_static_selectorELNS0_4arch9wavefront6targetE0EEEvT1_: ; @_ZN7rocprim17ROCPRIM_400000_NS6detail17trampoline_kernelINS0_14default_configENS1_27scan_by_key_config_selectorIiiEEZZNS1_16scan_by_key_implILNS1_25lookback_scan_determinismE0ELb1ES3_N6thrust23THRUST_200600_302600_NS6detail15normal_iteratorINS9_10device_ptrIiEEEESE_SE_iNS9_4plusIvEENS9_8equal_toIvEEiEE10hipError_tPvRmT2_T3_T4_T5_mT6_T7_P12ihipStream_tbENKUlT_T0_E_clISt17integral_constantIbLb1EESZ_EEDaSU_SV_EUlSU_E_NS1_11comp_targetILNS1_3genE10ELNS1_11target_archE1200ELNS1_3gpuE4ELNS1_3repE0EEENS1_30default_config_static_selectorELNS0_4arch9wavefront6targetE0EEEvT1_
; %bb.0:
	.section	.rodata,"a",@progbits
	.p2align	6, 0x0
	.amdhsa_kernel _ZN7rocprim17ROCPRIM_400000_NS6detail17trampoline_kernelINS0_14default_configENS1_27scan_by_key_config_selectorIiiEEZZNS1_16scan_by_key_implILNS1_25lookback_scan_determinismE0ELb1ES3_N6thrust23THRUST_200600_302600_NS6detail15normal_iteratorINS9_10device_ptrIiEEEESE_SE_iNS9_4plusIvEENS9_8equal_toIvEEiEE10hipError_tPvRmT2_T3_T4_T5_mT6_T7_P12ihipStream_tbENKUlT_T0_E_clISt17integral_constantIbLb1EESZ_EEDaSU_SV_EUlSU_E_NS1_11comp_targetILNS1_3genE10ELNS1_11target_archE1200ELNS1_3gpuE4ELNS1_3repE0EEENS1_30default_config_static_selectorELNS0_4arch9wavefront6targetE0EEEvT1_
		.amdhsa_group_segment_fixed_size 0
		.amdhsa_private_segment_fixed_size 0
		.amdhsa_kernarg_size 112
		.amdhsa_user_sgpr_count 6
		.amdhsa_user_sgpr_private_segment_buffer 1
		.amdhsa_user_sgpr_dispatch_ptr 0
		.amdhsa_user_sgpr_queue_ptr 0
		.amdhsa_user_sgpr_kernarg_segment_ptr 1
		.amdhsa_user_sgpr_dispatch_id 0
		.amdhsa_user_sgpr_flat_scratch_init 0
		.amdhsa_user_sgpr_private_segment_size 0
		.amdhsa_wavefront_size32 1
		.amdhsa_uses_dynamic_stack 0
		.amdhsa_system_sgpr_private_segment_wavefront_offset 0
		.amdhsa_system_sgpr_workgroup_id_x 1
		.amdhsa_system_sgpr_workgroup_id_y 0
		.amdhsa_system_sgpr_workgroup_id_z 0
		.amdhsa_system_sgpr_workgroup_info 0
		.amdhsa_system_vgpr_workitem_id 0
		.amdhsa_next_free_vgpr 1
		.amdhsa_next_free_sgpr 1
		.amdhsa_reserve_vcc 0
		.amdhsa_reserve_flat_scratch 0
		.amdhsa_float_round_mode_32 0
		.amdhsa_float_round_mode_16_64 0
		.amdhsa_float_denorm_mode_32 3
		.amdhsa_float_denorm_mode_16_64 3
		.amdhsa_dx10_clamp 1
		.amdhsa_ieee_mode 1
		.amdhsa_fp16_overflow 0
		.amdhsa_workgroup_processor_mode 1
		.amdhsa_memory_ordered 1
		.amdhsa_forward_progress 1
		.amdhsa_shared_vgpr_count 0
		.amdhsa_exception_fp_ieee_invalid_op 0
		.amdhsa_exception_fp_denorm_src 0
		.amdhsa_exception_fp_ieee_div_zero 0
		.amdhsa_exception_fp_ieee_overflow 0
		.amdhsa_exception_fp_ieee_underflow 0
		.amdhsa_exception_fp_ieee_inexact 0
		.amdhsa_exception_int_div_zero 0
	.end_amdhsa_kernel
	.section	.text._ZN7rocprim17ROCPRIM_400000_NS6detail17trampoline_kernelINS0_14default_configENS1_27scan_by_key_config_selectorIiiEEZZNS1_16scan_by_key_implILNS1_25lookback_scan_determinismE0ELb1ES3_N6thrust23THRUST_200600_302600_NS6detail15normal_iteratorINS9_10device_ptrIiEEEESE_SE_iNS9_4plusIvEENS9_8equal_toIvEEiEE10hipError_tPvRmT2_T3_T4_T5_mT6_T7_P12ihipStream_tbENKUlT_T0_E_clISt17integral_constantIbLb1EESZ_EEDaSU_SV_EUlSU_E_NS1_11comp_targetILNS1_3genE10ELNS1_11target_archE1200ELNS1_3gpuE4ELNS1_3repE0EEENS1_30default_config_static_selectorELNS0_4arch9wavefront6targetE0EEEvT1_,"axG",@progbits,_ZN7rocprim17ROCPRIM_400000_NS6detail17trampoline_kernelINS0_14default_configENS1_27scan_by_key_config_selectorIiiEEZZNS1_16scan_by_key_implILNS1_25lookback_scan_determinismE0ELb1ES3_N6thrust23THRUST_200600_302600_NS6detail15normal_iteratorINS9_10device_ptrIiEEEESE_SE_iNS9_4plusIvEENS9_8equal_toIvEEiEE10hipError_tPvRmT2_T3_T4_T5_mT6_T7_P12ihipStream_tbENKUlT_T0_E_clISt17integral_constantIbLb1EESZ_EEDaSU_SV_EUlSU_E_NS1_11comp_targetILNS1_3genE10ELNS1_11target_archE1200ELNS1_3gpuE4ELNS1_3repE0EEENS1_30default_config_static_selectorELNS0_4arch9wavefront6targetE0EEEvT1_,comdat
.Lfunc_end476:
	.size	_ZN7rocprim17ROCPRIM_400000_NS6detail17trampoline_kernelINS0_14default_configENS1_27scan_by_key_config_selectorIiiEEZZNS1_16scan_by_key_implILNS1_25lookback_scan_determinismE0ELb1ES3_N6thrust23THRUST_200600_302600_NS6detail15normal_iteratorINS9_10device_ptrIiEEEESE_SE_iNS9_4plusIvEENS9_8equal_toIvEEiEE10hipError_tPvRmT2_T3_T4_T5_mT6_T7_P12ihipStream_tbENKUlT_T0_E_clISt17integral_constantIbLb1EESZ_EEDaSU_SV_EUlSU_E_NS1_11comp_targetILNS1_3genE10ELNS1_11target_archE1200ELNS1_3gpuE4ELNS1_3repE0EEENS1_30default_config_static_selectorELNS0_4arch9wavefront6targetE0EEEvT1_, .Lfunc_end476-_ZN7rocprim17ROCPRIM_400000_NS6detail17trampoline_kernelINS0_14default_configENS1_27scan_by_key_config_selectorIiiEEZZNS1_16scan_by_key_implILNS1_25lookback_scan_determinismE0ELb1ES3_N6thrust23THRUST_200600_302600_NS6detail15normal_iteratorINS9_10device_ptrIiEEEESE_SE_iNS9_4plusIvEENS9_8equal_toIvEEiEE10hipError_tPvRmT2_T3_T4_T5_mT6_T7_P12ihipStream_tbENKUlT_T0_E_clISt17integral_constantIbLb1EESZ_EEDaSU_SV_EUlSU_E_NS1_11comp_targetILNS1_3genE10ELNS1_11target_archE1200ELNS1_3gpuE4ELNS1_3repE0EEENS1_30default_config_static_selectorELNS0_4arch9wavefront6targetE0EEEvT1_
                                        ; -- End function
	.set _ZN7rocprim17ROCPRIM_400000_NS6detail17trampoline_kernelINS0_14default_configENS1_27scan_by_key_config_selectorIiiEEZZNS1_16scan_by_key_implILNS1_25lookback_scan_determinismE0ELb1ES3_N6thrust23THRUST_200600_302600_NS6detail15normal_iteratorINS9_10device_ptrIiEEEESE_SE_iNS9_4plusIvEENS9_8equal_toIvEEiEE10hipError_tPvRmT2_T3_T4_T5_mT6_T7_P12ihipStream_tbENKUlT_T0_E_clISt17integral_constantIbLb1EESZ_EEDaSU_SV_EUlSU_E_NS1_11comp_targetILNS1_3genE10ELNS1_11target_archE1200ELNS1_3gpuE4ELNS1_3repE0EEENS1_30default_config_static_selectorELNS0_4arch9wavefront6targetE0EEEvT1_.num_vgpr, 0
	.set _ZN7rocprim17ROCPRIM_400000_NS6detail17trampoline_kernelINS0_14default_configENS1_27scan_by_key_config_selectorIiiEEZZNS1_16scan_by_key_implILNS1_25lookback_scan_determinismE0ELb1ES3_N6thrust23THRUST_200600_302600_NS6detail15normal_iteratorINS9_10device_ptrIiEEEESE_SE_iNS9_4plusIvEENS9_8equal_toIvEEiEE10hipError_tPvRmT2_T3_T4_T5_mT6_T7_P12ihipStream_tbENKUlT_T0_E_clISt17integral_constantIbLb1EESZ_EEDaSU_SV_EUlSU_E_NS1_11comp_targetILNS1_3genE10ELNS1_11target_archE1200ELNS1_3gpuE4ELNS1_3repE0EEENS1_30default_config_static_selectorELNS0_4arch9wavefront6targetE0EEEvT1_.num_agpr, 0
	.set _ZN7rocprim17ROCPRIM_400000_NS6detail17trampoline_kernelINS0_14default_configENS1_27scan_by_key_config_selectorIiiEEZZNS1_16scan_by_key_implILNS1_25lookback_scan_determinismE0ELb1ES3_N6thrust23THRUST_200600_302600_NS6detail15normal_iteratorINS9_10device_ptrIiEEEESE_SE_iNS9_4plusIvEENS9_8equal_toIvEEiEE10hipError_tPvRmT2_T3_T4_T5_mT6_T7_P12ihipStream_tbENKUlT_T0_E_clISt17integral_constantIbLb1EESZ_EEDaSU_SV_EUlSU_E_NS1_11comp_targetILNS1_3genE10ELNS1_11target_archE1200ELNS1_3gpuE4ELNS1_3repE0EEENS1_30default_config_static_selectorELNS0_4arch9wavefront6targetE0EEEvT1_.numbered_sgpr, 0
	.set _ZN7rocprim17ROCPRIM_400000_NS6detail17trampoline_kernelINS0_14default_configENS1_27scan_by_key_config_selectorIiiEEZZNS1_16scan_by_key_implILNS1_25lookback_scan_determinismE0ELb1ES3_N6thrust23THRUST_200600_302600_NS6detail15normal_iteratorINS9_10device_ptrIiEEEESE_SE_iNS9_4plusIvEENS9_8equal_toIvEEiEE10hipError_tPvRmT2_T3_T4_T5_mT6_T7_P12ihipStream_tbENKUlT_T0_E_clISt17integral_constantIbLb1EESZ_EEDaSU_SV_EUlSU_E_NS1_11comp_targetILNS1_3genE10ELNS1_11target_archE1200ELNS1_3gpuE4ELNS1_3repE0EEENS1_30default_config_static_selectorELNS0_4arch9wavefront6targetE0EEEvT1_.num_named_barrier, 0
	.set _ZN7rocprim17ROCPRIM_400000_NS6detail17trampoline_kernelINS0_14default_configENS1_27scan_by_key_config_selectorIiiEEZZNS1_16scan_by_key_implILNS1_25lookback_scan_determinismE0ELb1ES3_N6thrust23THRUST_200600_302600_NS6detail15normal_iteratorINS9_10device_ptrIiEEEESE_SE_iNS9_4plusIvEENS9_8equal_toIvEEiEE10hipError_tPvRmT2_T3_T4_T5_mT6_T7_P12ihipStream_tbENKUlT_T0_E_clISt17integral_constantIbLb1EESZ_EEDaSU_SV_EUlSU_E_NS1_11comp_targetILNS1_3genE10ELNS1_11target_archE1200ELNS1_3gpuE4ELNS1_3repE0EEENS1_30default_config_static_selectorELNS0_4arch9wavefront6targetE0EEEvT1_.private_seg_size, 0
	.set _ZN7rocprim17ROCPRIM_400000_NS6detail17trampoline_kernelINS0_14default_configENS1_27scan_by_key_config_selectorIiiEEZZNS1_16scan_by_key_implILNS1_25lookback_scan_determinismE0ELb1ES3_N6thrust23THRUST_200600_302600_NS6detail15normal_iteratorINS9_10device_ptrIiEEEESE_SE_iNS9_4plusIvEENS9_8equal_toIvEEiEE10hipError_tPvRmT2_T3_T4_T5_mT6_T7_P12ihipStream_tbENKUlT_T0_E_clISt17integral_constantIbLb1EESZ_EEDaSU_SV_EUlSU_E_NS1_11comp_targetILNS1_3genE10ELNS1_11target_archE1200ELNS1_3gpuE4ELNS1_3repE0EEENS1_30default_config_static_selectorELNS0_4arch9wavefront6targetE0EEEvT1_.uses_vcc, 0
	.set _ZN7rocprim17ROCPRIM_400000_NS6detail17trampoline_kernelINS0_14default_configENS1_27scan_by_key_config_selectorIiiEEZZNS1_16scan_by_key_implILNS1_25lookback_scan_determinismE0ELb1ES3_N6thrust23THRUST_200600_302600_NS6detail15normal_iteratorINS9_10device_ptrIiEEEESE_SE_iNS9_4plusIvEENS9_8equal_toIvEEiEE10hipError_tPvRmT2_T3_T4_T5_mT6_T7_P12ihipStream_tbENKUlT_T0_E_clISt17integral_constantIbLb1EESZ_EEDaSU_SV_EUlSU_E_NS1_11comp_targetILNS1_3genE10ELNS1_11target_archE1200ELNS1_3gpuE4ELNS1_3repE0EEENS1_30default_config_static_selectorELNS0_4arch9wavefront6targetE0EEEvT1_.uses_flat_scratch, 0
	.set _ZN7rocprim17ROCPRIM_400000_NS6detail17trampoline_kernelINS0_14default_configENS1_27scan_by_key_config_selectorIiiEEZZNS1_16scan_by_key_implILNS1_25lookback_scan_determinismE0ELb1ES3_N6thrust23THRUST_200600_302600_NS6detail15normal_iteratorINS9_10device_ptrIiEEEESE_SE_iNS9_4plusIvEENS9_8equal_toIvEEiEE10hipError_tPvRmT2_T3_T4_T5_mT6_T7_P12ihipStream_tbENKUlT_T0_E_clISt17integral_constantIbLb1EESZ_EEDaSU_SV_EUlSU_E_NS1_11comp_targetILNS1_3genE10ELNS1_11target_archE1200ELNS1_3gpuE4ELNS1_3repE0EEENS1_30default_config_static_selectorELNS0_4arch9wavefront6targetE0EEEvT1_.has_dyn_sized_stack, 0
	.set _ZN7rocprim17ROCPRIM_400000_NS6detail17trampoline_kernelINS0_14default_configENS1_27scan_by_key_config_selectorIiiEEZZNS1_16scan_by_key_implILNS1_25lookback_scan_determinismE0ELb1ES3_N6thrust23THRUST_200600_302600_NS6detail15normal_iteratorINS9_10device_ptrIiEEEESE_SE_iNS9_4plusIvEENS9_8equal_toIvEEiEE10hipError_tPvRmT2_T3_T4_T5_mT6_T7_P12ihipStream_tbENKUlT_T0_E_clISt17integral_constantIbLb1EESZ_EEDaSU_SV_EUlSU_E_NS1_11comp_targetILNS1_3genE10ELNS1_11target_archE1200ELNS1_3gpuE4ELNS1_3repE0EEENS1_30default_config_static_selectorELNS0_4arch9wavefront6targetE0EEEvT1_.has_recursion, 0
	.set _ZN7rocprim17ROCPRIM_400000_NS6detail17trampoline_kernelINS0_14default_configENS1_27scan_by_key_config_selectorIiiEEZZNS1_16scan_by_key_implILNS1_25lookback_scan_determinismE0ELb1ES3_N6thrust23THRUST_200600_302600_NS6detail15normal_iteratorINS9_10device_ptrIiEEEESE_SE_iNS9_4plusIvEENS9_8equal_toIvEEiEE10hipError_tPvRmT2_T3_T4_T5_mT6_T7_P12ihipStream_tbENKUlT_T0_E_clISt17integral_constantIbLb1EESZ_EEDaSU_SV_EUlSU_E_NS1_11comp_targetILNS1_3genE10ELNS1_11target_archE1200ELNS1_3gpuE4ELNS1_3repE0EEENS1_30default_config_static_selectorELNS0_4arch9wavefront6targetE0EEEvT1_.has_indirect_call, 0
	.section	.AMDGPU.csdata,"",@progbits
; Kernel info:
; codeLenInByte = 0
; TotalNumSgprs: 0
; NumVgprs: 0
; ScratchSize: 0
; MemoryBound: 0
; FloatMode: 240
; IeeeMode: 1
; LDSByteSize: 0 bytes/workgroup (compile time only)
; SGPRBlocks: 0
; VGPRBlocks: 0
; NumSGPRsForWavesPerEU: 1
; NumVGPRsForWavesPerEU: 1
; Occupancy: 16
; WaveLimiterHint : 0
; COMPUTE_PGM_RSRC2:SCRATCH_EN: 0
; COMPUTE_PGM_RSRC2:USER_SGPR: 6
; COMPUTE_PGM_RSRC2:TRAP_HANDLER: 0
; COMPUTE_PGM_RSRC2:TGID_X_EN: 1
; COMPUTE_PGM_RSRC2:TGID_Y_EN: 0
; COMPUTE_PGM_RSRC2:TGID_Z_EN: 0
; COMPUTE_PGM_RSRC2:TIDIG_COMP_CNT: 0
	.section	.text._ZN7rocprim17ROCPRIM_400000_NS6detail17trampoline_kernelINS0_14default_configENS1_27scan_by_key_config_selectorIiiEEZZNS1_16scan_by_key_implILNS1_25lookback_scan_determinismE0ELb1ES3_N6thrust23THRUST_200600_302600_NS6detail15normal_iteratorINS9_10device_ptrIiEEEESE_SE_iNS9_4plusIvEENS9_8equal_toIvEEiEE10hipError_tPvRmT2_T3_T4_T5_mT6_T7_P12ihipStream_tbENKUlT_T0_E_clISt17integral_constantIbLb1EESZ_EEDaSU_SV_EUlSU_E_NS1_11comp_targetILNS1_3genE9ELNS1_11target_archE1100ELNS1_3gpuE3ELNS1_3repE0EEENS1_30default_config_static_selectorELNS0_4arch9wavefront6targetE0EEEvT1_,"axG",@progbits,_ZN7rocprim17ROCPRIM_400000_NS6detail17trampoline_kernelINS0_14default_configENS1_27scan_by_key_config_selectorIiiEEZZNS1_16scan_by_key_implILNS1_25lookback_scan_determinismE0ELb1ES3_N6thrust23THRUST_200600_302600_NS6detail15normal_iteratorINS9_10device_ptrIiEEEESE_SE_iNS9_4plusIvEENS9_8equal_toIvEEiEE10hipError_tPvRmT2_T3_T4_T5_mT6_T7_P12ihipStream_tbENKUlT_T0_E_clISt17integral_constantIbLb1EESZ_EEDaSU_SV_EUlSU_E_NS1_11comp_targetILNS1_3genE9ELNS1_11target_archE1100ELNS1_3gpuE3ELNS1_3repE0EEENS1_30default_config_static_selectorELNS0_4arch9wavefront6targetE0EEEvT1_,comdat
	.protected	_ZN7rocprim17ROCPRIM_400000_NS6detail17trampoline_kernelINS0_14default_configENS1_27scan_by_key_config_selectorIiiEEZZNS1_16scan_by_key_implILNS1_25lookback_scan_determinismE0ELb1ES3_N6thrust23THRUST_200600_302600_NS6detail15normal_iteratorINS9_10device_ptrIiEEEESE_SE_iNS9_4plusIvEENS9_8equal_toIvEEiEE10hipError_tPvRmT2_T3_T4_T5_mT6_T7_P12ihipStream_tbENKUlT_T0_E_clISt17integral_constantIbLb1EESZ_EEDaSU_SV_EUlSU_E_NS1_11comp_targetILNS1_3genE9ELNS1_11target_archE1100ELNS1_3gpuE3ELNS1_3repE0EEENS1_30default_config_static_selectorELNS0_4arch9wavefront6targetE0EEEvT1_ ; -- Begin function _ZN7rocprim17ROCPRIM_400000_NS6detail17trampoline_kernelINS0_14default_configENS1_27scan_by_key_config_selectorIiiEEZZNS1_16scan_by_key_implILNS1_25lookback_scan_determinismE0ELb1ES3_N6thrust23THRUST_200600_302600_NS6detail15normal_iteratorINS9_10device_ptrIiEEEESE_SE_iNS9_4plusIvEENS9_8equal_toIvEEiEE10hipError_tPvRmT2_T3_T4_T5_mT6_T7_P12ihipStream_tbENKUlT_T0_E_clISt17integral_constantIbLb1EESZ_EEDaSU_SV_EUlSU_E_NS1_11comp_targetILNS1_3genE9ELNS1_11target_archE1100ELNS1_3gpuE3ELNS1_3repE0EEENS1_30default_config_static_selectorELNS0_4arch9wavefront6targetE0EEEvT1_
	.globl	_ZN7rocprim17ROCPRIM_400000_NS6detail17trampoline_kernelINS0_14default_configENS1_27scan_by_key_config_selectorIiiEEZZNS1_16scan_by_key_implILNS1_25lookback_scan_determinismE0ELb1ES3_N6thrust23THRUST_200600_302600_NS6detail15normal_iteratorINS9_10device_ptrIiEEEESE_SE_iNS9_4plusIvEENS9_8equal_toIvEEiEE10hipError_tPvRmT2_T3_T4_T5_mT6_T7_P12ihipStream_tbENKUlT_T0_E_clISt17integral_constantIbLb1EESZ_EEDaSU_SV_EUlSU_E_NS1_11comp_targetILNS1_3genE9ELNS1_11target_archE1100ELNS1_3gpuE3ELNS1_3repE0EEENS1_30default_config_static_selectorELNS0_4arch9wavefront6targetE0EEEvT1_
	.p2align	8
	.type	_ZN7rocprim17ROCPRIM_400000_NS6detail17trampoline_kernelINS0_14default_configENS1_27scan_by_key_config_selectorIiiEEZZNS1_16scan_by_key_implILNS1_25lookback_scan_determinismE0ELb1ES3_N6thrust23THRUST_200600_302600_NS6detail15normal_iteratorINS9_10device_ptrIiEEEESE_SE_iNS9_4plusIvEENS9_8equal_toIvEEiEE10hipError_tPvRmT2_T3_T4_T5_mT6_T7_P12ihipStream_tbENKUlT_T0_E_clISt17integral_constantIbLb1EESZ_EEDaSU_SV_EUlSU_E_NS1_11comp_targetILNS1_3genE9ELNS1_11target_archE1100ELNS1_3gpuE3ELNS1_3repE0EEENS1_30default_config_static_selectorELNS0_4arch9wavefront6targetE0EEEvT1_,@function
_ZN7rocprim17ROCPRIM_400000_NS6detail17trampoline_kernelINS0_14default_configENS1_27scan_by_key_config_selectorIiiEEZZNS1_16scan_by_key_implILNS1_25lookback_scan_determinismE0ELb1ES3_N6thrust23THRUST_200600_302600_NS6detail15normal_iteratorINS9_10device_ptrIiEEEESE_SE_iNS9_4plusIvEENS9_8equal_toIvEEiEE10hipError_tPvRmT2_T3_T4_T5_mT6_T7_P12ihipStream_tbENKUlT_T0_E_clISt17integral_constantIbLb1EESZ_EEDaSU_SV_EUlSU_E_NS1_11comp_targetILNS1_3genE9ELNS1_11target_archE1100ELNS1_3gpuE3ELNS1_3repE0EEENS1_30default_config_static_selectorELNS0_4arch9wavefront6targetE0EEEvT1_: ; @_ZN7rocprim17ROCPRIM_400000_NS6detail17trampoline_kernelINS0_14default_configENS1_27scan_by_key_config_selectorIiiEEZZNS1_16scan_by_key_implILNS1_25lookback_scan_determinismE0ELb1ES3_N6thrust23THRUST_200600_302600_NS6detail15normal_iteratorINS9_10device_ptrIiEEEESE_SE_iNS9_4plusIvEENS9_8equal_toIvEEiEE10hipError_tPvRmT2_T3_T4_T5_mT6_T7_P12ihipStream_tbENKUlT_T0_E_clISt17integral_constantIbLb1EESZ_EEDaSU_SV_EUlSU_E_NS1_11comp_targetILNS1_3genE9ELNS1_11target_archE1100ELNS1_3gpuE3ELNS1_3repE0EEENS1_30default_config_static_selectorELNS0_4arch9wavefront6targetE0EEEvT1_
; %bb.0:
	.section	.rodata,"a",@progbits
	.p2align	6, 0x0
	.amdhsa_kernel _ZN7rocprim17ROCPRIM_400000_NS6detail17trampoline_kernelINS0_14default_configENS1_27scan_by_key_config_selectorIiiEEZZNS1_16scan_by_key_implILNS1_25lookback_scan_determinismE0ELb1ES3_N6thrust23THRUST_200600_302600_NS6detail15normal_iteratorINS9_10device_ptrIiEEEESE_SE_iNS9_4plusIvEENS9_8equal_toIvEEiEE10hipError_tPvRmT2_T3_T4_T5_mT6_T7_P12ihipStream_tbENKUlT_T0_E_clISt17integral_constantIbLb1EESZ_EEDaSU_SV_EUlSU_E_NS1_11comp_targetILNS1_3genE9ELNS1_11target_archE1100ELNS1_3gpuE3ELNS1_3repE0EEENS1_30default_config_static_selectorELNS0_4arch9wavefront6targetE0EEEvT1_
		.amdhsa_group_segment_fixed_size 0
		.amdhsa_private_segment_fixed_size 0
		.amdhsa_kernarg_size 112
		.amdhsa_user_sgpr_count 6
		.amdhsa_user_sgpr_private_segment_buffer 1
		.amdhsa_user_sgpr_dispatch_ptr 0
		.amdhsa_user_sgpr_queue_ptr 0
		.amdhsa_user_sgpr_kernarg_segment_ptr 1
		.amdhsa_user_sgpr_dispatch_id 0
		.amdhsa_user_sgpr_flat_scratch_init 0
		.amdhsa_user_sgpr_private_segment_size 0
		.amdhsa_wavefront_size32 1
		.amdhsa_uses_dynamic_stack 0
		.amdhsa_system_sgpr_private_segment_wavefront_offset 0
		.amdhsa_system_sgpr_workgroup_id_x 1
		.amdhsa_system_sgpr_workgroup_id_y 0
		.amdhsa_system_sgpr_workgroup_id_z 0
		.amdhsa_system_sgpr_workgroup_info 0
		.amdhsa_system_vgpr_workitem_id 0
		.amdhsa_next_free_vgpr 1
		.amdhsa_next_free_sgpr 1
		.amdhsa_reserve_vcc 0
		.amdhsa_reserve_flat_scratch 0
		.amdhsa_float_round_mode_32 0
		.amdhsa_float_round_mode_16_64 0
		.amdhsa_float_denorm_mode_32 3
		.amdhsa_float_denorm_mode_16_64 3
		.amdhsa_dx10_clamp 1
		.amdhsa_ieee_mode 1
		.amdhsa_fp16_overflow 0
		.amdhsa_workgroup_processor_mode 1
		.amdhsa_memory_ordered 1
		.amdhsa_forward_progress 1
		.amdhsa_shared_vgpr_count 0
		.amdhsa_exception_fp_ieee_invalid_op 0
		.amdhsa_exception_fp_denorm_src 0
		.amdhsa_exception_fp_ieee_div_zero 0
		.amdhsa_exception_fp_ieee_overflow 0
		.amdhsa_exception_fp_ieee_underflow 0
		.amdhsa_exception_fp_ieee_inexact 0
		.amdhsa_exception_int_div_zero 0
	.end_amdhsa_kernel
	.section	.text._ZN7rocprim17ROCPRIM_400000_NS6detail17trampoline_kernelINS0_14default_configENS1_27scan_by_key_config_selectorIiiEEZZNS1_16scan_by_key_implILNS1_25lookback_scan_determinismE0ELb1ES3_N6thrust23THRUST_200600_302600_NS6detail15normal_iteratorINS9_10device_ptrIiEEEESE_SE_iNS9_4plusIvEENS9_8equal_toIvEEiEE10hipError_tPvRmT2_T3_T4_T5_mT6_T7_P12ihipStream_tbENKUlT_T0_E_clISt17integral_constantIbLb1EESZ_EEDaSU_SV_EUlSU_E_NS1_11comp_targetILNS1_3genE9ELNS1_11target_archE1100ELNS1_3gpuE3ELNS1_3repE0EEENS1_30default_config_static_selectorELNS0_4arch9wavefront6targetE0EEEvT1_,"axG",@progbits,_ZN7rocprim17ROCPRIM_400000_NS6detail17trampoline_kernelINS0_14default_configENS1_27scan_by_key_config_selectorIiiEEZZNS1_16scan_by_key_implILNS1_25lookback_scan_determinismE0ELb1ES3_N6thrust23THRUST_200600_302600_NS6detail15normal_iteratorINS9_10device_ptrIiEEEESE_SE_iNS9_4plusIvEENS9_8equal_toIvEEiEE10hipError_tPvRmT2_T3_T4_T5_mT6_T7_P12ihipStream_tbENKUlT_T0_E_clISt17integral_constantIbLb1EESZ_EEDaSU_SV_EUlSU_E_NS1_11comp_targetILNS1_3genE9ELNS1_11target_archE1100ELNS1_3gpuE3ELNS1_3repE0EEENS1_30default_config_static_selectorELNS0_4arch9wavefront6targetE0EEEvT1_,comdat
.Lfunc_end477:
	.size	_ZN7rocprim17ROCPRIM_400000_NS6detail17trampoline_kernelINS0_14default_configENS1_27scan_by_key_config_selectorIiiEEZZNS1_16scan_by_key_implILNS1_25lookback_scan_determinismE0ELb1ES3_N6thrust23THRUST_200600_302600_NS6detail15normal_iteratorINS9_10device_ptrIiEEEESE_SE_iNS9_4plusIvEENS9_8equal_toIvEEiEE10hipError_tPvRmT2_T3_T4_T5_mT6_T7_P12ihipStream_tbENKUlT_T0_E_clISt17integral_constantIbLb1EESZ_EEDaSU_SV_EUlSU_E_NS1_11comp_targetILNS1_3genE9ELNS1_11target_archE1100ELNS1_3gpuE3ELNS1_3repE0EEENS1_30default_config_static_selectorELNS0_4arch9wavefront6targetE0EEEvT1_, .Lfunc_end477-_ZN7rocprim17ROCPRIM_400000_NS6detail17trampoline_kernelINS0_14default_configENS1_27scan_by_key_config_selectorIiiEEZZNS1_16scan_by_key_implILNS1_25lookback_scan_determinismE0ELb1ES3_N6thrust23THRUST_200600_302600_NS6detail15normal_iteratorINS9_10device_ptrIiEEEESE_SE_iNS9_4plusIvEENS9_8equal_toIvEEiEE10hipError_tPvRmT2_T3_T4_T5_mT6_T7_P12ihipStream_tbENKUlT_T0_E_clISt17integral_constantIbLb1EESZ_EEDaSU_SV_EUlSU_E_NS1_11comp_targetILNS1_3genE9ELNS1_11target_archE1100ELNS1_3gpuE3ELNS1_3repE0EEENS1_30default_config_static_selectorELNS0_4arch9wavefront6targetE0EEEvT1_
                                        ; -- End function
	.set _ZN7rocprim17ROCPRIM_400000_NS6detail17trampoline_kernelINS0_14default_configENS1_27scan_by_key_config_selectorIiiEEZZNS1_16scan_by_key_implILNS1_25lookback_scan_determinismE0ELb1ES3_N6thrust23THRUST_200600_302600_NS6detail15normal_iteratorINS9_10device_ptrIiEEEESE_SE_iNS9_4plusIvEENS9_8equal_toIvEEiEE10hipError_tPvRmT2_T3_T4_T5_mT6_T7_P12ihipStream_tbENKUlT_T0_E_clISt17integral_constantIbLb1EESZ_EEDaSU_SV_EUlSU_E_NS1_11comp_targetILNS1_3genE9ELNS1_11target_archE1100ELNS1_3gpuE3ELNS1_3repE0EEENS1_30default_config_static_selectorELNS0_4arch9wavefront6targetE0EEEvT1_.num_vgpr, 0
	.set _ZN7rocprim17ROCPRIM_400000_NS6detail17trampoline_kernelINS0_14default_configENS1_27scan_by_key_config_selectorIiiEEZZNS1_16scan_by_key_implILNS1_25lookback_scan_determinismE0ELb1ES3_N6thrust23THRUST_200600_302600_NS6detail15normal_iteratorINS9_10device_ptrIiEEEESE_SE_iNS9_4plusIvEENS9_8equal_toIvEEiEE10hipError_tPvRmT2_T3_T4_T5_mT6_T7_P12ihipStream_tbENKUlT_T0_E_clISt17integral_constantIbLb1EESZ_EEDaSU_SV_EUlSU_E_NS1_11comp_targetILNS1_3genE9ELNS1_11target_archE1100ELNS1_3gpuE3ELNS1_3repE0EEENS1_30default_config_static_selectorELNS0_4arch9wavefront6targetE0EEEvT1_.num_agpr, 0
	.set _ZN7rocprim17ROCPRIM_400000_NS6detail17trampoline_kernelINS0_14default_configENS1_27scan_by_key_config_selectorIiiEEZZNS1_16scan_by_key_implILNS1_25lookback_scan_determinismE0ELb1ES3_N6thrust23THRUST_200600_302600_NS6detail15normal_iteratorINS9_10device_ptrIiEEEESE_SE_iNS9_4plusIvEENS9_8equal_toIvEEiEE10hipError_tPvRmT2_T3_T4_T5_mT6_T7_P12ihipStream_tbENKUlT_T0_E_clISt17integral_constantIbLb1EESZ_EEDaSU_SV_EUlSU_E_NS1_11comp_targetILNS1_3genE9ELNS1_11target_archE1100ELNS1_3gpuE3ELNS1_3repE0EEENS1_30default_config_static_selectorELNS0_4arch9wavefront6targetE0EEEvT1_.numbered_sgpr, 0
	.set _ZN7rocprim17ROCPRIM_400000_NS6detail17trampoline_kernelINS0_14default_configENS1_27scan_by_key_config_selectorIiiEEZZNS1_16scan_by_key_implILNS1_25lookback_scan_determinismE0ELb1ES3_N6thrust23THRUST_200600_302600_NS6detail15normal_iteratorINS9_10device_ptrIiEEEESE_SE_iNS9_4plusIvEENS9_8equal_toIvEEiEE10hipError_tPvRmT2_T3_T4_T5_mT6_T7_P12ihipStream_tbENKUlT_T0_E_clISt17integral_constantIbLb1EESZ_EEDaSU_SV_EUlSU_E_NS1_11comp_targetILNS1_3genE9ELNS1_11target_archE1100ELNS1_3gpuE3ELNS1_3repE0EEENS1_30default_config_static_selectorELNS0_4arch9wavefront6targetE0EEEvT1_.num_named_barrier, 0
	.set _ZN7rocprim17ROCPRIM_400000_NS6detail17trampoline_kernelINS0_14default_configENS1_27scan_by_key_config_selectorIiiEEZZNS1_16scan_by_key_implILNS1_25lookback_scan_determinismE0ELb1ES3_N6thrust23THRUST_200600_302600_NS6detail15normal_iteratorINS9_10device_ptrIiEEEESE_SE_iNS9_4plusIvEENS9_8equal_toIvEEiEE10hipError_tPvRmT2_T3_T4_T5_mT6_T7_P12ihipStream_tbENKUlT_T0_E_clISt17integral_constantIbLb1EESZ_EEDaSU_SV_EUlSU_E_NS1_11comp_targetILNS1_3genE9ELNS1_11target_archE1100ELNS1_3gpuE3ELNS1_3repE0EEENS1_30default_config_static_selectorELNS0_4arch9wavefront6targetE0EEEvT1_.private_seg_size, 0
	.set _ZN7rocprim17ROCPRIM_400000_NS6detail17trampoline_kernelINS0_14default_configENS1_27scan_by_key_config_selectorIiiEEZZNS1_16scan_by_key_implILNS1_25lookback_scan_determinismE0ELb1ES3_N6thrust23THRUST_200600_302600_NS6detail15normal_iteratorINS9_10device_ptrIiEEEESE_SE_iNS9_4plusIvEENS9_8equal_toIvEEiEE10hipError_tPvRmT2_T3_T4_T5_mT6_T7_P12ihipStream_tbENKUlT_T0_E_clISt17integral_constantIbLb1EESZ_EEDaSU_SV_EUlSU_E_NS1_11comp_targetILNS1_3genE9ELNS1_11target_archE1100ELNS1_3gpuE3ELNS1_3repE0EEENS1_30default_config_static_selectorELNS0_4arch9wavefront6targetE0EEEvT1_.uses_vcc, 0
	.set _ZN7rocprim17ROCPRIM_400000_NS6detail17trampoline_kernelINS0_14default_configENS1_27scan_by_key_config_selectorIiiEEZZNS1_16scan_by_key_implILNS1_25lookback_scan_determinismE0ELb1ES3_N6thrust23THRUST_200600_302600_NS6detail15normal_iteratorINS9_10device_ptrIiEEEESE_SE_iNS9_4plusIvEENS9_8equal_toIvEEiEE10hipError_tPvRmT2_T3_T4_T5_mT6_T7_P12ihipStream_tbENKUlT_T0_E_clISt17integral_constantIbLb1EESZ_EEDaSU_SV_EUlSU_E_NS1_11comp_targetILNS1_3genE9ELNS1_11target_archE1100ELNS1_3gpuE3ELNS1_3repE0EEENS1_30default_config_static_selectorELNS0_4arch9wavefront6targetE0EEEvT1_.uses_flat_scratch, 0
	.set _ZN7rocprim17ROCPRIM_400000_NS6detail17trampoline_kernelINS0_14default_configENS1_27scan_by_key_config_selectorIiiEEZZNS1_16scan_by_key_implILNS1_25lookback_scan_determinismE0ELb1ES3_N6thrust23THRUST_200600_302600_NS6detail15normal_iteratorINS9_10device_ptrIiEEEESE_SE_iNS9_4plusIvEENS9_8equal_toIvEEiEE10hipError_tPvRmT2_T3_T4_T5_mT6_T7_P12ihipStream_tbENKUlT_T0_E_clISt17integral_constantIbLb1EESZ_EEDaSU_SV_EUlSU_E_NS1_11comp_targetILNS1_3genE9ELNS1_11target_archE1100ELNS1_3gpuE3ELNS1_3repE0EEENS1_30default_config_static_selectorELNS0_4arch9wavefront6targetE0EEEvT1_.has_dyn_sized_stack, 0
	.set _ZN7rocprim17ROCPRIM_400000_NS6detail17trampoline_kernelINS0_14default_configENS1_27scan_by_key_config_selectorIiiEEZZNS1_16scan_by_key_implILNS1_25lookback_scan_determinismE0ELb1ES3_N6thrust23THRUST_200600_302600_NS6detail15normal_iteratorINS9_10device_ptrIiEEEESE_SE_iNS9_4plusIvEENS9_8equal_toIvEEiEE10hipError_tPvRmT2_T3_T4_T5_mT6_T7_P12ihipStream_tbENKUlT_T0_E_clISt17integral_constantIbLb1EESZ_EEDaSU_SV_EUlSU_E_NS1_11comp_targetILNS1_3genE9ELNS1_11target_archE1100ELNS1_3gpuE3ELNS1_3repE0EEENS1_30default_config_static_selectorELNS0_4arch9wavefront6targetE0EEEvT1_.has_recursion, 0
	.set _ZN7rocprim17ROCPRIM_400000_NS6detail17trampoline_kernelINS0_14default_configENS1_27scan_by_key_config_selectorIiiEEZZNS1_16scan_by_key_implILNS1_25lookback_scan_determinismE0ELb1ES3_N6thrust23THRUST_200600_302600_NS6detail15normal_iteratorINS9_10device_ptrIiEEEESE_SE_iNS9_4plusIvEENS9_8equal_toIvEEiEE10hipError_tPvRmT2_T3_T4_T5_mT6_T7_P12ihipStream_tbENKUlT_T0_E_clISt17integral_constantIbLb1EESZ_EEDaSU_SV_EUlSU_E_NS1_11comp_targetILNS1_3genE9ELNS1_11target_archE1100ELNS1_3gpuE3ELNS1_3repE0EEENS1_30default_config_static_selectorELNS0_4arch9wavefront6targetE0EEEvT1_.has_indirect_call, 0
	.section	.AMDGPU.csdata,"",@progbits
; Kernel info:
; codeLenInByte = 0
; TotalNumSgprs: 0
; NumVgprs: 0
; ScratchSize: 0
; MemoryBound: 0
; FloatMode: 240
; IeeeMode: 1
; LDSByteSize: 0 bytes/workgroup (compile time only)
; SGPRBlocks: 0
; VGPRBlocks: 0
; NumSGPRsForWavesPerEU: 1
; NumVGPRsForWavesPerEU: 1
; Occupancy: 16
; WaveLimiterHint : 0
; COMPUTE_PGM_RSRC2:SCRATCH_EN: 0
; COMPUTE_PGM_RSRC2:USER_SGPR: 6
; COMPUTE_PGM_RSRC2:TRAP_HANDLER: 0
; COMPUTE_PGM_RSRC2:TGID_X_EN: 1
; COMPUTE_PGM_RSRC2:TGID_Y_EN: 0
; COMPUTE_PGM_RSRC2:TGID_Z_EN: 0
; COMPUTE_PGM_RSRC2:TIDIG_COMP_CNT: 0
	.section	.text._ZN7rocprim17ROCPRIM_400000_NS6detail17trampoline_kernelINS0_14default_configENS1_27scan_by_key_config_selectorIiiEEZZNS1_16scan_by_key_implILNS1_25lookback_scan_determinismE0ELb1ES3_N6thrust23THRUST_200600_302600_NS6detail15normal_iteratorINS9_10device_ptrIiEEEESE_SE_iNS9_4plusIvEENS9_8equal_toIvEEiEE10hipError_tPvRmT2_T3_T4_T5_mT6_T7_P12ihipStream_tbENKUlT_T0_E_clISt17integral_constantIbLb1EESZ_EEDaSU_SV_EUlSU_E_NS1_11comp_targetILNS1_3genE8ELNS1_11target_archE1030ELNS1_3gpuE2ELNS1_3repE0EEENS1_30default_config_static_selectorELNS0_4arch9wavefront6targetE0EEEvT1_,"axG",@progbits,_ZN7rocprim17ROCPRIM_400000_NS6detail17trampoline_kernelINS0_14default_configENS1_27scan_by_key_config_selectorIiiEEZZNS1_16scan_by_key_implILNS1_25lookback_scan_determinismE0ELb1ES3_N6thrust23THRUST_200600_302600_NS6detail15normal_iteratorINS9_10device_ptrIiEEEESE_SE_iNS9_4plusIvEENS9_8equal_toIvEEiEE10hipError_tPvRmT2_T3_T4_T5_mT6_T7_P12ihipStream_tbENKUlT_T0_E_clISt17integral_constantIbLb1EESZ_EEDaSU_SV_EUlSU_E_NS1_11comp_targetILNS1_3genE8ELNS1_11target_archE1030ELNS1_3gpuE2ELNS1_3repE0EEENS1_30default_config_static_selectorELNS0_4arch9wavefront6targetE0EEEvT1_,comdat
	.protected	_ZN7rocprim17ROCPRIM_400000_NS6detail17trampoline_kernelINS0_14default_configENS1_27scan_by_key_config_selectorIiiEEZZNS1_16scan_by_key_implILNS1_25lookback_scan_determinismE0ELb1ES3_N6thrust23THRUST_200600_302600_NS6detail15normal_iteratorINS9_10device_ptrIiEEEESE_SE_iNS9_4plusIvEENS9_8equal_toIvEEiEE10hipError_tPvRmT2_T3_T4_T5_mT6_T7_P12ihipStream_tbENKUlT_T0_E_clISt17integral_constantIbLb1EESZ_EEDaSU_SV_EUlSU_E_NS1_11comp_targetILNS1_3genE8ELNS1_11target_archE1030ELNS1_3gpuE2ELNS1_3repE0EEENS1_30default_config_static_selectorELNS0_4arch9wavefront6targetE0EEEvT1_ ; -- Begin function _ZN7rocprim17ROCPRIM_400000_NS6detail17trampoline_kernelINS0_14default_configENS1_27scan_by_key_config_selectorIiiEEZZNS1_16scan_by_key_implILNS1_25lookback_scan_determinismE0ELb1ES3_N6thrust23THRUST_200600_302600_NS6detail15normal_iteratorINS9_10device_ptrIiEEEESE_SE_iNS9_4plusIvEENS9_8equal_toIvEEiEE10hipError_tPvRmT2_T3_T4_T5_mT6_T7_P12ihipStream_tbENKUlT_T0_E_clISt17integral_constantIbLb1EESZ_EEDaSU_SV_EUlSU_E_NS1_11comp_targetILNS1_3genE8ELNS1_11target_archE1030ELNS1_3gpuE2ELNS1_3repE0EEENS1_30default_config_static_selectorELNS0_4arch9wavefront6targetE0EEEvT1_
	.globl	_ZN7rocprim17ROCPRIM_400000_NS6detail17trampoline_kernelINS0_14default_configENS1_27scan_by_key_config_selectorIiiEEZZNS1_16scan_by_key_implILNS1_25lookback_scan_determinismE0ELb1ES3_N6thrust23THRUST_200600_302600_NS6detail15normal_iteratorINS9_10device_ptrIiEEEESE_SE_iNS9_4plusIvEENS9_8equal_toIvEEiEE10hipError_tPvRmT2_T3_T4_T5_mT6_T7_P12ihipStream_tbENKUlT_T0_E_clISt17integral_constantIbLb1EESZ_EEDaSU_SV_EUlSU_E_NS1_11comp_targetILNS1_3genE8ELNS1_11target_archE1030ELNS1_3gpuE2ELNS1_3repE0EEENS1_30default_config_static_selectorELNS0_4arch9wavefront6targetE0EEEvT1_
	.p2align	8
	.type	_ZN7rocprim17ROCPRIM_400000_NS6detail17trampoline_kernelINS0_14default_configENS1_27scan_by_key_config_selectorIiiEEZZNS1_16scan_by_key_implILNS1_25lookback_scan_determinismE0ELb1ES3_N6thrust23THRUST_200600_302600_NS6detail15normal_iteratorINS9_10device_ptrIiEEEESE_SE_iNS9_4plusIvEENS9_8equal_toIvEEiEE10hipError_tPvRmT2_T3_T4_T5_mT6_T7_P12ihipStream_tbENKUlT_T0_E_clISt17integral_constantIbLb1EESZ_EEDaSU_SV_EUlSU_E_NS1_11comp_targetILNS1_3genE8ELNS1_11target_archE1030ELNS1_3gpuE2ELNS1_3repE0EEENS1_30default_config_static_selectorELNS0_4arch9wavefront6targetE0EEEvT1_,@function
_ZN7rocprim17ROCPRIM_400000_NS6detail17trampoline_kernelINS0_14default_configENS1_27scan_by_key_config_selectorIiiEEZZNS1_16scan_by_key_implILNS1_25lookback_scan_determinismE0ELb1ES3_N6thrust23THRUST_200600_302600_NS6detail15normal_iteratorINS9_10device_ptrIiEEEESE_SE_iNS9_4plusIvEENS9_8equal_toIvEEiEE10hipError_tPvRmT2_T3_T4_T5_mT6_T7_P12ihipStream_tbENKUlT_T0_E_clISt17integral_constantIbLb1EESZ_EEDaSU_SV_EUlSU_E_NS1_11comp_targetILNS1_3genE8ELNS1_11target_archE1030ELNS1_3gpuE2ELNS1_3repE0EEENS1_30default_config_static_selectorELNS0_4arch9wavefront6targetE0EEEvT1_: ; @_ZN7rocprim17ROCPRIM_400000_NS6detail17trampoline_kernelINS0_14default_configENS1_27scan_by_key_config_selectorIiiEEZZNS1_16scan_by_key_implILNS1_25lookback_scan_determinismE0ELb1ES3_N6thrust23THRUST_200600_302600_NS6detail15normal_iteratorINS9_10device_ptrIiEEEESE_SE_iNS9_4plusIvEENS9_8equal_toIvEEiEE10hipError_tPvRmT2_T3_T4_T5_mT6_T7_P12ihipStream_tbENKUlT_T0_E_clISt17integral_constantIbLb1EESZ_EEDaSU_SV_EUlSU_E_NS1_11comp_targetILNS1_3genE8ELNS1_11target_archE1030ELNS1_3gpuE2ELNS1_3repE0EEENS1_30default_config_static_selectorELNS0_4arch9wavefront6targetE0EEEvT1_
; %bb.0:
	s_endpgm
	.section	.rodata,"a",@progbits
	.p2align	6, 0x0
	.amdhsa_kernel _ZN7rocprim17ROCPRIM_400000_NS6detail17trampoline_kernelINS0_14default_configENS1_27scan_by_key_config_selectorIiiEEZZNS1_16scan_by_key_implILNS1_25lookback_scan_determinismE0ELb1ES3_N6thrust23THRUST_200600_302600_NS6detail15normal_iteratorINS9_10device_ptrIiEEEESE_SE_iNS9_4plusIvEENS9_8equal_toIvEEiEE10hipError_tPvRmT2_T3_T4_T5_mT6_T7_P12ihipStream_tbENKUlT_T0_E_clISt17integral_constantIbLb1EESZ_EEDaSU_SV_EUlSU_E_NS1_11comp_targetILNS1_3genE8ELNS1_11target_archE1030ELNS1_3gpuE2ELNS1_3repE0EEENS1_30default_config_static_selectorELNS0_4arch9wavefront6targetE0EEEvT1_
		.amdhsa_group_segment_fixed_size 0
		.amdhsa_private_segment_fixed_size 0
		.amdhsa_kernarg_size 112
		.amdhsa_user_sgpr_count 6
		.amdhsa_user_sgpr_private_segment_buffer 1
		.amdhsa_user_sgpr_dispatch_ptr 0
		.amdhsa_user_sgpr_queue_ptr 0
		.amdhsa_user_sgpr_kernarg_segment_ptr 1
		.amdhsa_user_sgpr_dispatch_id 0
		.amdhsa_user_sgpr_flat_scratch_init 0
		.amdhsa_user_sgpr_private_segment_size 0
		.amdhsa_wavefront_size32 1
		.amdhsa_uses_dynamic_stack 0
		.amdhsa_system_sgpr_private_segment_wavefront_offset 0
		.amdhsa_system_sgpr_workgroup_id_x 1
		.amdhsa_system_sgpr_workgroup_id_y 0
		.amdhsa_system_sgpr_workgroup_id_z 0
		.amdhsa_system_sgpr_workgroup_info 0
		.amdhsa_system_vgpr_workitem_id 0
		.amdhsa_next_free_vgpr 1
		.amdhsa_next_free_sgpr 1
		.amdhsa_reserve_vcc 0
		.amdhsa_reserve_flat_scratch 0
		.amdhsa_float_round_mode_32 0
		.amdhsa_float_round_mode_16_64 0
		.amdhsa_float_denorm_mode_32 3
		.amdhsa_float_denorm_mode_16_64 3
		.amdhsa_dx10_clamp 1
		.amdhsa_ieee_mode 1
		.amdhsa_fp16_overflow 0
		.amdhsa_workgroup_processor_mode 1
		.amdhsa_memory_ordered 1
		.amdhsa_forward_progress 1
		.amdhsa_shared_vgpr_count 0
		.amdhsa_exception_fp_ieee_invalid_op 0
		.amdhsa_exception_fp_denorm_src 0
		.amdhsa_exception_fp_ieee_div_zero 0
		.amdhsa_exception_fp_ieee_overflow 0
		.amdhsa_exception_fp_ieee_underflow 0
		.amdhsa_exception_fp_ieee_inexact 0
		.amdhsa_exception_int_div_zero 0
	.end_amdhsa_kernel
	.section	.text._ZN7rocprim17ROCPRIM_400000_NS6detail17trampoline_kernelINS0_14default_configENS1_27scan_by_key_config_selectorIiiEEZZNS1_16scan_by_key_implILNS1_25lookback_scan_determinismE0ELb1ES3_N6thrust23THRUST_200600_302600_NS6detail15normal_iteratorINS9_10device_ptrIiEEEESE_SE_iNS9_4plusIvEENS9_8equal_toIvEEiEE10hipError_tPvRmT2_T3_T4_T5_mT6_T7_P12ihipStream_tbENKUlT_T0_E_clISt17integral_constantIbLb1EESZ_EEDaSU_SV_EUlSU_E_NS1_11comp_targetILNS1_3genE8ELNS1_11target_archE1030ELNS1_3gpuE2ELNS1_3repE0EEENS1_30default_config_static_selectorELNS0_4arch9wavefront6targetE0EEEvT1_,"axG",@progbits,_ZN7rocprim17ROCPRIM_400000_NS6detail17trampoline_kernelINS0_14default_configENS1_27scan_by_key_config_selectorIiiEEZZNS1_16scan_by_key_implILNS1_25lookback_scan_determinismE0ELb1ES3_N6thrust23THRUST_200600_302600_NS6detail15normal_iteratorINS9_10device_ptrIiEEEESE_SE_iNS9_4plusIvEENS9_8equal_toIvEEiEE10hipError_tPvRmT2_T3_T4_T5_mT6_T7_P12ihipStream_tbENKUlT_T0_E_clISt17integral_constantIbLb1EESZ_EEDaSU_SV_EUlSU_E_NS1_11comp_targetILNS1_3genE8ELNS1_11target_archE1030ELNS1_3gpuE2ELNS1_3repE0EEENS1_30default_config_static_selectorELNS0_4arch9wavefront6targetE0EEEvT1_,comdat
.Lfunc_end478:
	.size	_ZN7rocprim17ROCPRIM_400000_NS6detail17trampoline_kernelINS0_14default_configENS1_27scan_by_key_config_selectorIiiEEZZNS1_16scan_by_key_implILNS1_25lookback_scan_determinismE0ELb1ES3_N6thrust23THRUST_200600_302600_NS6detail15normal_iteratorINS9_10device_ptrIiEEEESE_SE_iNS9_4plusIvEENS9_8equal_toIvEEiEE10hipError_tPvRmT2_T3_T4_T5_mT6_T7_P12ihipStream_tbENKUlT_T0_E_clISt17integral_constantIbLb1EESZ_EEDaSU_SV_EUlSU_E_NS1_11comp_targetILNS1_3genE8ELNS1_11target_archE1030ELNS1_3gpuE2ELNS1_3repE0EEENS1_30default_config_static_selectorELNS0_4arch9wavefront6targetE0EEEvT1_, .Lfunc_end478-_ZN7rocprim17ROCPRIM_400000_NS6detail17trampoline_kernelINS0_14default_configENS1_27scan_by_key_config_selectorIiiEEZZNS1_16scan_by_key_implILNS1_25lookback_scan_determinismE0ELb1ES3_N6thrust23THRUST_200600_302600_NS6detail15normal_iteratorINS9_10device_ptrIiEEEESE_SE_iNS9_4plusIvEENS9_8equal_toIvEEiEE10hipError_tPvRmT2_T3_T4_T5_mT6_T7_P12ihipStream_tbENKUlT_T0_E_clISt17integral_constantIbLb1EESZ_EEDaSU_SV_EUlSU_E_NS1_11comp_targetILNS1_3genE8ELNS1_11target_archE1030ELNS1_3gpuE2ELNS1_3repE0EEENS1_30default_config_static_selectorELNS0_4arch9wavefront6targetE0EEEvT1_
                                        ; -- End function
	.set _ZN7rocprim17ROCPRIM_400000_NS6detail17trampoline_kernelINS0_14default_configENS1_27scan_by_key_config_selectorIiiEEZZNS1_16scan_by_key_implILNS1_25lookback_scan_determinismE0ELb1ES3_N6thrust23THRUST_200600_302600_NS6detail15normal_iteratorINS9_10device_ptrIiEEEESE_SE_iNS9_4plusIvEENS9_8equal_toIvEEiEE10hipError_tPvRmT2_T3_T4_T5_mT6_T7_P12ihipStream_tbENKUlT_T0_E_clISt17integral_constantIbLb1EESZ_EEDaSU_SV_EUlSU_E_NS1_11comp_targetILNS1_3genE8ELNS1_11target_archE1030ELNS1_3gpuE2ELNS1_3repE0EEENS1_30default_config_static_selectorELNS0_4arch9wavefront6targetE0EEEvT1_.num_vgpr, 0
	.set _ZN7rocprim17ROCPRIM_400000_NS6detail17trampoline_kernelINS0_14default_configENS1_27scan_by_key_config_selectorIiiEEZZNS1_16scan_by_key_implILNS1_25lookback_scan_determinismE0ELb1ES3_N6thrust23THRUST_200600_302600_NS6detail15normal_iteratorINS9_10device_ptrIiEEEESE_SE_iNS9_4plusIvEENS9_8equal_toIvEEiEE10hipError_tPvRmT2_T3_T4_T5_mT6_T7_P12ihipStream_tbENKUlT_T0_E_clISt17integral_constantIbLb1EESZ_EEDaSU_SV_EUlSU_E_NS1_11comp_targetILNS1_3genE8ELNS1_11target_archE1030ELNS1_3gpuE2ELNS1_3repE0EEENS1_30default_config_static_selectorELNS0_4arch9wavefront6targetE0EEEvT1_.num_agpr, 0
	.set _ZN7rocprim17ROCPRIM_400000_NS6detail17trampoline_kernelINS0_14default_configENS1_27scan_by_key_config_selectorIiiEEZZNS1_16scan_by_key_implILNS1_25lookback_scan_determinismE0ELb1ES3_N6thrust23THRUST_200600_302600_NS6detail15normal_iteratorINS9_10device_ptrIiEEEESE_SE_iNS9_4plusIvEENS9_8equal_toIvEEiEE10hipError_tPvRmT2_T3_T4_T5_mT6_T7_P12ihipStream_tbENKUlT_T0_E_clISt17integral_constantIbLb1EESZ_EEDaSU_SV_EUlSU_E_NS1_11comp_targetILNS1_3genE8ELNS1_11target_archE1030ELNS1_3gpuE2ELNS1_3repE0EEENS1_30default_config_static_selectorELNS0_4arch9wavefront6targetE0EEEvT1_.numbered_sgpr, 0
	.set _ZN7rocprim17ROCPRIM_400000_NS6detail17trampoline_kernelINS0_14default_configENS1_27scan_by_key_config_selectorIiiEEZZNS1_16scan_by_key_implILNS1_25lookback_scan_determinismE0ELb1ES3_N6thrust23THRUST_200600_302600_NS6detail15normal_iteratorINS9_10device_ptrIiEEEESE_SE_iNS9_4plusIvEENS9_8equal_toIvEEiEE10hipError_tPvRmT2_T3_T4_T5_mT6_T7_P12ihipStream_tbENKUlT_T0_E_clISt17integral_constantIbLb1EESZ_EEDaSU_SV_EUlSU_E_NS1_11comp_targetILNS1_3genE8ELNS1_11target_archE1030ELNS1_3gpuE2ELNS1_3repE0EEENS1_30default_config_static_selectorELNS0_4arch9wavefront6targetE0EEEvT1_.num_named_barrier, 0
	.set _ZN7rocprim17ROCPRIM_400000_NS6detail17trampoline_kernelINS0_14default_configENS1_27scan_by_key_config_selectorIiiEEZZNS1_16scan_by_key_implILNS1_25lookback_scan_determinismE0ELb1ES3_N6thrust23THRUST_200600_302600_NS6detail15normal_iteratorINS9_10device_ptrIiEEEESE_SE_iNS9_4plusIvEENS9_8equal_toIvEEiEE10hipError_tPvRmT2_T3_T4_T5_mT6_T7_P12ihipStream_tbENKUlT_T0_E_clISt17integral_constantIbLb1EESZ_EEDaSU_SV_EUlSU_E_NS1_11comp_targetILNS1_3genE8ELNS1_11target_archE1030ELNS1_3gpuE2ELNS1_3repE0EEENS1_30default_config_static_selectorELNS0_4arch9wavefront6targetE0EEEvT1_.private_seg_size, 0
	.set _ZN7rocprim17ROCPRIM_400000_NS6detail17trampoline_kernelINS0_14default_configENS1_27scan_by_key_config_selectorIiiEEZZNS1_16scan_by_key_implILNS1_25lookback_scan_determinismE0ELb1ES3_N6thrust23THRUST_200600_302600_NS6detail15normal_iteratorINS9_10device_ptrIiEEEESE_SE_iNS9_4plusIvEENS9_8equal_toIvEEiEE10hipError_tPvRmT2_T3_T4_T5_mT6_T7_P12ihipStream_tbENKUlT_T0_E_clISt17integral_constantIbLb1EESZ_EEDaSU_SV_EUlSU_E_NS1_11comp_targetILNS1_3genE8ELNS1_11target_archE1030ELNS1_3gpuE2ELNS1_3repE0EEENS1_30default_config_static_selectorELNS0_4arch9wavefront6targetE0EEEvT1_.uses_vcc, 0
	.set _ZN7rocprim17ROCPRIM_400000_NS6detail17trampoline_kernelINS0_14default_configENS1_27scan_by_key_config_selectorIiiEEZZNS1_16scan_by_key_implILNS1_25lookback_scan_determinismE0ELb1ES3_N6thrust23THRUST_200600_302600_NS6detail15normal_iteratorINS9_10device_ptrIiEEEESE_SE_iNS9_4plusIvEENS9_8equal_toIvEEiEE10hipError_tPvRmT2_T3_T4_T5_mT6_T7_P12ihipStream_tbENKUlT_T0_E_clISt17integral_constantIbLb1EESZ_EEDaSU_SV_EUlSU_E_NS1_11comp_targetILNS1_3genE8ELNS1_11target_archE1030ELNS1_3gpuE2ELNS1_3repE0EEENS1_30default_config_static_selectorELNS0_4arch9wavefront6targetE0EEEvT1_.uses_flat_scratch, 0
	.set _ZN7rocprim17ROCPRIM_400000_NS6detail17trampoline_kernelINS0_14default_configENS1_27scan_by_key_config_selectorIiiEEZZNS1_16scan_by_key_implILNS1_25lookback_scan_determinismE0ELb1ES3_N6thrust23THRUST_200600_302600_NS6detail15normal_iteratorINS9_10device_ptrIiEEEESE_SE_iNS9_4plusIvEENS9_8equal_toIvEEiEE10hipError_tPvRmT2_T3_T4_T5_mT6_T7_P12ihipStream_tbENKUlT_T0_E_clISt17integral_constantIbLb1EESZ_EEDaSU_SV_EUlSU_E_NS1_11comp_targetILNS1_3genE8ELNS1_11target_archE1030ELNS1_3gpuE2ELNS1_3repE0EEENS1_30default_config_static_selectorELNS0_4arch9wavefront6targetE0EEEvT1_.has_dyn_sized_stack, 0
	.set _ZN7rocprim17ROCPRIM_400000_NS6detail17trampoline_kernelINS0_14default_configENS1_27scan_by_key_config_selectorIiiEEZZNS1_16scan_by_key_implILNS1_25lookback_scan_determinismE0ELb1ES3_N6thrust23THRUST_200600_302600_NS6detail15normal_iteratorINS9_10device_ptrIiEEEESE_SE_iNS9_4plusIvEENS9_8equal_toIvEEiEE10hipError_tPvRmT2_T3_T4_T5_mT6_T7_P12ihipStream_tbENKUlT_T0_E_clISt17integral_constantIbLb1EESZ_EEDaSU_SV_EUlSU_E_NS1_11comp_targetILNS1_3genE8ELNS1_11target_archE1030ELNS1_3gpuE2ELNS1_3repE0EEENS1_30default_config_static_selectorELNS0_4arch9wavefront6targetE0EEEvT1_.has_recursion, 0
	.set _ZN7rocprim17ROCPRIM_400000_NS6detail17trampoline_kernelINS0_14default_configENS1_27scan_by_key_config_selectorIiiEEZZNS1_16scan_by_key_implILNS1_25lookback_scan_determinismE0ELb1ES3_N6thrust23THRUST_200600_302600_NS6detail15normal_iteratorINS9_10device_ptrIiEEEESE_SE_iNS9_4plusIvEENS9_8equal_toIvEEiEE10hipError_tPvRmT2_T3_T4_T5_mT6_T7_P12ihipStream_tbENKUlT_T0_E_clISt17integral_constantIbLb1EESZ_EEDaSU_SV_EUlSU_E_NS1_11comp_targetILNS1_3genE8ELNS1_11target_archE1030ELNS1_3gpuE2ELNS1_3repE0EEENS1_30default_config_static_selectorELNS0_4arch9wavefront6targetE0EEEvT1_.has_indirect_call, 0
	.section	.AMDGPU.csdata,"",@progbits
; Kernel info:
; codeLenInByte = 4
; TotalNumSgprs: 0
; NumVgprs: 0
; ScratchSize: 0
; MemoryBound: 0
; FloatMode: 240
; IeeeMode: 1
; LDSByteSize: 0 bytes/workgroup (compile time only)
; SGPRBlocks: 0
; VGPRBlocks: 0
; NumSGPRsForWavesPerEU: 1
; NumVGPRsForWavesPerEU: 1
; Occupancy: 16
; WaveLimiterHint : 0
; COMPUTE_PGM_RSRC2:SCRATCH_EN: 0
; COMPUTE_PGM_RSRC2:USER_SGPR: 6
; COMPUTE_PGM_RSRC2:TRAP_HANDLER: 0
; COMPUTE_PGM_RSRC2:TGID_X_EN: 1
; COMPUTE_PGM_RSRC2:TGID_Y_EN: 0
; COMPUTE_PGM_RSRC2:TGID_Z_EN: 0
; COMPUTE_PGM_RSRC2:TIDIG_COMP_CNT: 0
	.section	.text._ZN7rocprim17ROCPRIM_400000_NS6detail17trampoline_kernelINS0_14default_configENS1_27scan_by_key_config_selectorIiiEEZZNS1_16scan_by_key_implILNS1_25lookback_scan_determinismE0ELb1ES3_N6thrust23THRUST_200600_302600_NS6detail15normal_iteratorINS9_10device_ptrIiEEEESE_SE_iNS9_4plusIvEENS9_8equal_toIvEEiEE10hipError_tPvRmT2_T3_T4_T5_mT6_T7_P12ihipStream_tbENKUlT_T0_E_clISt17integral_constantIbLb1EESY_IbLb0EEEEDaSU_SV_EUlSU_E_NS1_11comp_targetILNS1_3genE0ELNS1_11target_archE4294967295ELNS1_3gpuE0ELNS1_3repE0EEENS1_30default_config_static_selectorELNS0_4arch9wavefront6targetE0EEEvT1_,"axG",@progbits,_ZN7rocprim17ROCPRIM_400000_NS6detail17trampoline_kernelINS0_14default_configENS1_27scan_by_key_config_selectorIiiEEZZNS1_16scan_by_key_implILNS1_25lookback_scan_determinismE0ELb1ES3_N6thrust23THRUST_200600_302600_NS6detail15normal_iteratorINS9_10device_ptrIiEEEESE_SE_iNS9_4plusIvEENS9_8equal_toIvEEiEE10hipError_tPvRmT2_T3_T4_T5_mT6_T7_P12ihipStream_tbENKUlT_T0_E_clISt17integral_constantIbLb1EESY_IbLb0EEEEDaSU_SV_EUlSU_E_NS1_11comp_targetILNS1_3genE0ELNS1_11target_archE4294967295ELNS1_3gpuE0ELNS1_3repE0EEENS1_30default_config_static_selectorELNS0_4arch9wavefront6targetE0EEEvT1_,comdat
	.protected	_ZN7rocprim17ROCPRIM_400000_NS6detail17trampoline_kernelINS0_14default_configENS1_27scan_by_key_config_selectorIiiEEZZNS1_16scan_by_key_implILNS1_25lookback_scan_determinismE0ELb1ES3_N6thrust23THRUST_200600_302600_NS6detail15normal_iteratorINS9_10device_ptrIiEEEESE_SE_iNS9_4plusIvEENS9_8equal_toIvEEiEE10hipError_tPvRmT2_T3_T4_T5_mT6_T7_P12ihipStream_tbENKUlT_T0_E_clISt17integral_constantIbLb1EESY_IbLb0EEEEDaSU_SV_EUlSU_E_NS1_11comp_targetILNS1_3genE0ELNS1_11target_archE4294967295ELNS1_3gpuE0ELNS1_3repE0EEENS1_30default_config_static_selectorELNS0_4arch9wavefront6targetE0EEEvT1_ ; -- Begin function _ZN7rocprim17ROCPRIM_400000_NS6detail17trampoline_kernelINS0_14default_configENS1_27scan_by_key_config_selectorIiiEEZZNS1_16scan_by_key_implILNS1_25lookback_scan_determinismE0ELb1ES3_N6thrust23THRUST_200600_302600_NS6detail15normal_iteratorINS9_10device_ptrIiEEEESE_SE_iNS9_4plusIvEENS9_8equal_toIvEEiEE10hipError_tPvRmT2_T3_T4_T5_mT6_T7_P12ihipStream_tbENKUlT_T0_E_clISt17integral_constantIbLb1EESY_IbLb0EEEEDaSU_SV_EUlSU_E_NS1_11comp_targetILNS1_3genE0ELNS1_11target_archE4294967295ELNS1_3gpuE0ELNS1_3repE0EEENS1_30default_config_static_selectorELNS0_4arch9wavefront6targetE0EEEvT1_
	.globl	_ZN7rocprim17ROCPRIM_400000_NS6detail17trampoline_kernelINS0_14default_configENS1_27scan_by_key_config_selectorIiiEEZZNS1_16scan_by_key_implILNS1_25lookback_scan_determinismE0ELb1ES3_N6thrust23THRUST_200600_302600_NS6detail15normal_iteratorINS9_10device_ptrIiEEEESE_SE_iNS9_4plusIvEENS9_8equal_toIvEEiEE10hipError_tPvRmT2_T3_T4_T5_mT6_T7_P12ihipStream_tbENKUlT_T0_E_clISt17integral_constantIbLb1EESY_IbLb0EEEEDaSU_SV_EUlSU_E_NS1_11comp_targetILNS1_3genE0ELNS1_11target_archE4294967295ELNS1_3gpuE0ELNS1_3repE0EEENS1_30default_config_static_selectorELNS0_4arch9wavefront6targetE0EEEvT1_
	.p2align	8
	.type	_ZN7rocprim17ROCPRIM_400000_NS6detail17trampoline_kernelINS0_14default_configENS1_27scan_by_key_config_selectorIiiEEZZNS1_16scan_by_key_implILNS1_25lookback_scan_determinismE0ELb1ES3_N6thrust23THRUST_200600_302600_NS6detail15normal_iteratorINS9_10device_ptrIiEEEESE_SE_iNS9_4plusIvEENS9_8equal_toIvEEiEE10hipError_tPvRmT2_T3_T4_T5_mT6_T7_P12ihipStream_tbENKUlT_T0_E_clISt17integral_constantIbLb1EESY_IbLb0EEEEDaSU_SV_EUlSU_E_NS1_11comp_targetILNS1_3genE0ELNS1_11target_archE4294967295ELNS1_3gpuE0ELNS1_3repE0EEENS1_30default_config_static_selectorELNS0_4arch9wavefront6targetE0EEEvT1_,@function
_ZN7rocprim17ROCPRIM_400000_NS6detail17trampoline_kernelINS0_14default_configENS1_27scan_by_key_config_selectorIiiEEZZNS1_16scan_by_key_implILNS1_25lookback_scan_determinismE0ELb1ES3_N6thrust23THRUST_200600_302600_NS6detail15normal_iteratorINS9_10device_ptrIiEEEESE_SE_iNS9_4plusIvEENS9_8equal_toIvEEiEE10hipError_tPvRmT2_T3_T4_T5_mT6_T7_P12ihipStream_tbENKUlT_T0_E_clISt17integral_constantIbLb1EESY_IbLb0EEEEDaSU_SV_EUlSU_E_NS1_11comp_targetILNS1_3genE0ELNS1_11target_archE4294967295ELNS1_3gpuE0ELNS1_3repE0EEENS1_30default_config_static_selectorELNS0_4arch9wavefront6targetE0EEEvT1_: ; @_ZN7rocprim17ROCPRIM_400000_NS6detail17trampoline_kernelINS0_14default_configENS1_27scan_by_key_config_selectorIiiEEZZNS1_16scan_by_key_implILNS1_25lookback_scan_determinismE0ELb1ES3_N6thrust23THRUST_200600_302600_NS6detail15normal_iteratorINS9_10device_ptrIiEEEESE_SE_iNS9_4plusIvEENS9_8equal_toIvEEiEE10hipError_tPvRmT2_T3_T4_T5_mT6_T7_P12ihipStream_tbENKUlT_T0_E_clISt17integral_constantIbLb1EESY_IbLb0EEEEDaSU_SV_EUlSU_E_NS1_11comp_targetILNS1_3genE0ELNS1_11target_archE4294967295ELNS1_3gpuE0ELNS1_3repE0EEENS1_30default_config_static_selectorELNS0_4arch9wavefront6targetE0EEEvT1_
; %bb.0:
	.section	.rodata,"a",@progbits
	.p2align	6, 0x0
	.amdhsa_kernel _ZN7rocprim17ROCPRIM_400000_NS6detail17trampoline_kernelINS0_14default_configENS1_27scan_by_key_config_selectorIiiEEZZNS1_16scan_by_key_implILNS1_25lookback_scan_determinismE0ELb1ES3_N6thrust23THRUST_200600_302600_NS6detail15normal_iteratorINS9_10device_ptrIiEEEESE_SE_iNS9_4plusIvEENS9_8equal_toIvEEiEE10hipError_tPvRmT2_T3_T4_T5_mT6_T7_P12ihipStream_tbENKUlT_T0_E_clISt17integral_constantIbLb1EESY_IbLb0EEEEDaSU_SV_EUlSU_E_NS1_11comp_targetILNS1_3genE0ELNS1_11target_archE4294967295ELNS1_3gpuE0ELNS1_3repE0EEENS1_30default_config_static_selectorELNS0_4arch9wavefront6targetE0EEEvT1_
		.amdhsa_group_segment_fixed_size 0
		.amdhsa_private_segment_fixed_size 0
		.amdhsa_kernarg_size 112
		.amdhsa_user_sgpr_count 6
		.amdhsa_user_sgpr_private_segment_buffer 1
		.amdhsa_user_sgpr_dispatch_ptr 0
		.amdhsa_user_sgpr_queue_ptr 0
		.amdhsa_user_sgpr_kernarg_segment_ptr 1
		.amdhsa_user_sgpr_dispatch_id 0
		.amdhsa_user_sgpr_flat_scratch_init 0
		.amdhsa_user_sgpr_private_segment_size 0
		.amdhsa_wavefront_size32 1
		.amdhsa_uses_dynamic_stack 0
		.amdhsa_system_sgpr_private_segment_wavefront_offset 0
		.amdhsa_system_sgpr_workgroup_id_x 1
		.amdhsa_system_sgpr_workgroup_id_y 0
		.amdhsa_system_sgpr_workgroup_id_z 0
		.amdhsa_system_sgpr_workgroup_info 0
		.amdhsa_system_vgpr_workitem_id 0
		.amdhsa_next_free_vgpr 1
		.amdhsa_next_free_sgpr 1
		.amdhsa_reserve_vcc 0
		.amdhsa_reserve_flat_scratch 0
		.amdhsa_float_round_mode_32 0
		.amdhsa_float_round_mode_16_64 0
		.amdhsa_float_denorm_mode_32 3
		.amdhsa_float_denorm_mode_16_64 3
		.amdhsa_dx10_clamp 1
		.amdhsa_ieee_mode 1
		.amdhsa_fp16_overflow 0
		.amdhsa_workgroup_processor_mode 1
		.amdhsa_memory_ordered 1
		.amdhsa_forward_progress 1
		.amdhsa_shared_vgpr_count 0
		.amdhsa_exception_fp_ieee_invalid_op 0
		.amdhsa_exception_fp_denorm_src 0
		.amdhsa_exception_fp_ieee_div_zero 0
		.amdhsa_exception_fp_ieee_overflow 0
		.amdhsa_exception_fp_ieee_underflow 0
		.amdhsa_exception_fp_ieee_inexact 0
		.amdhsa_exception_int_div_zero 0
	.end_amdhsa_kernel
	.section	.text._ZN7rocprim17ROCPRIM_400000_NS6detail17trampoline_kernelINS0_14default_configENS1_27scan_by_key_config_selectorIiiEEZZNS1_16scan_by_key_implILNS1_25lookback_scan_determinismE0ELb1ES3_N6thrust23THRUST_200600_302600_NS6detail15normal_iteratorINS9_10device_ptrIiEEEESE_SE_iNS9_4plusIvEENS9_8equal_toIvEEiEE10hipError_tPvRmT2_T3_T4_T5_mT6_T7_P12ihipStream_tbENKUlT_T0_E_clISt17integral_constantIbLb1EESY_IbLb0EEEEDaSU_SV_EUlSU_E_NS1_11comp_targetILNS1_3genE0ELNS1_11target_archE4294967295ELNS1_3gpuE0ELNS1_3repE0EEENS1_30default_config_static_selectorELNS0_4arch9wavefront6targetE0EEEvT1_,"axG",@progbits,_ZN7rocprim17ROCPRIM_400000_NS6detail17trampoline_kernelINS0_14default_configENS1_27scan_by_key_config_selectorIiiEEZZNS1_16scan_by_key_implILNS1_25lookback_scan_determinismE0ELb1ES3_N6thrust23THRUST_200600_302600_NS6detail15normal_iteratorINS9_10device_ptrIiEEEESE_SE_iNS9_4plusIvEENS9_8equal_toIvEEiEE10hipError_tPvRmT2_T3_T4_T5_mT6_T7_P12ihipStream_tbENKUlT_T0_E_clISt17integral_constantIbLb1EESY_IbLb0EEEEDaSU_SV_EUlSU_E_NS1_11comp_targetILNS1_3genE0ELNS1_11target_archE4294967295ELNS1_3gpuE0ELNS1_3repE0EEENS1_30default_config_static_selectorELNS0_4arch9wavefront6targetE0EEEvT1_,comdat
.Lfunc_end479:
	.size	_ZN7rocprim17ROCPRIM_400000_NS6detail17trampoline_kernelINS0_14default_configENS1_27scan_by_key_config_selectorIiiEEZZNS1_16scan_by_key_implILNS1_25lookback_scan_determinismE0ELb1ES3_N6thrust23THRUST_200600_302600_NS6detail15normal_iteratorINS9_10device_ptrIiEEEESE_SE_iNS9_4plusIvEENS9_8equal_toIvEEiEE10hipError_tPvRmT2_T3_T4_T5_mT6_T7_P12ihipStream_tbENKUlT_T0_E_clISt17integral_constantIbLb1EESY_IbLb0EEEEDaSU_SV_EUlSU_E_NS1_11comp_targetILNS1_3genE0ELNS1_11target_archE4294967295ELNS1_3gpuE0ELNS1_3repE0EEENS1_30default_config_static_selectorELNS0_4arch9wavefront6targetE0EEEvT1_, .Lfunc_end479-_ZN7rocprim17ROCPRIM_400000_NS6detail17trampoline_kernelINS0_14default_configENS1_27scan_by_key_config_selectorIiiEEZZNS1_16scan_by_key_implILNS1_25lookback_scan_determinismE0ELb1ES3_N6thrust23THRUST_200600_302600_NS6detail15normal_iteratorINS9_10device_ptrIiEEEESE_SE_iNS9_4plusIvEENS9_8equal_toIvEEiEE10hipError_tPvRmT2_T3_T4_T5_mT6_T7_P12ihipStream_tbENKUlT_T0_E_clISt17integral_constantIbLb1EESY_IbLb0EEEEDaSU_SV_EUlSU_E_NS1_11comp_targetILNS1_3genE0ELNS1_11target_archE4294967295ELNS1_3gpuE0ELNS1_3repE0EEENS1_30default_config_static_selectorELNS0_4arch9wavefront6targetE0EEEvT1_
                                        ; -- End function
	.set _ZN7rocprim17ROCPRIM_400000_NS6detail17trampoline_kernelINS0_14default_configENS1_27scan_by_key_config_selectorIiiEEZZNS1_16scan_by_key_implILNS1_25lookback_scan_determinismE0ELb1ES3_N6thrust23THRUST_200600_302600_NS6detail15normal_iteratorINS9_10device_ptrIiEEEESE_SE_iNS9_4plusIvEENS9_8equal_toIvEEiEE10hipError_tPvRmT2_T3_T4_T5_mT6_T7_P12ihipStream_tbENKUlT_T0_E_clISt17integral_constantIbLb1EESY_IbLb0EEEEDaSU_SV_EUlSU_E_NS1_11comp_targetILNS1_3genE0ELNS1_11target_archE4294967295ELNS1_3gpuE0ELNS1_3repE0EEENS1_30default_config_static_selectorELNS0_4arch9wavefront6targetE0EEEvT1_.num_vgpr, 0
	.set _ZN7rocprim17ROCPRIM_400000_NS6detail17trampoline_kernelINS0_14default_configENS1_27scan_by_key_config_selectorIiiEEZZNS1_16scan_by_key_implILNS1_25lookback_scan_determinismE0ELb1ES3_N6thrust23THRUST_200600_302600_NS6detail15normal_iteratorINS9_10device_ptrIiEEEESE_SE_iNS9_4plusIvEENS9_8equal_toIvEEiEE10hipError_tPvRmT2_T3_T4_T5_mT6_T7_P12ihipStream_tbENKUlT_T0_E_clISt17integral_constantIbLb1EESY_IbLb0EEEEDaSU_SV_EUlSU_E_NS1_11comp_targetILNS1_3genE0ELNS1_11target_archE4294967295ELNS1_3gpuE0ELNS1_3repE0EEENS1_30default_config_static_selectorELNS0_4arch9wavefront6targetE0EEEvT1_.num_agpr, 0
	.set _ZN7rocprim17ROCPRIM_400000_NS6detail17trampoline_kernelINS0_14default_configENS1_27scan_by_key_config_selectorIiiEEZZNS1_16scan_by_key_implILNS1_25lookback_scan_determinismE0ELb1ES3_N6thrust23THRUST_200600_302600_NS6detail15normal_iteratorINS9_10device_ptrIiEEEESE_SE_iNS9_4plusIvEENS9_8equal_toIvEEiEE10hipError_tPvRmT2_T3_T4_T5_mT6_T7_P12ihipStream_tbENKUlT_T0_E_clISt17integral_constantIbLb1EESY_IbLb0EEEEDaSU_SV_EUlSU_E_NS1_11comp_targetILNS1_3genE0ELNS1_11target_archE4294967295ELNS1_3gpuE0ELNS1_3repE0EEENS1_30default_config_static_selectorELNS0_4arch9wavefront6targetE0EEEvT1_.numbered_sgpr, 0
	.set _ZN7rocprim17ROCPRIM_400000_NS6detail17trampoline_kernelINS0_14default_configENS1_27scan_by_key_config_selectorIiiEEZZNS1_16scan_by_key_implILNS1_25lookback_scan_determinismE0ELb1ES3_N6thrust23THRUST_200600_302600_NS6detail15normal_iteratorINS9_10device_ptrIiEEEESE_SE_iNS9_4plusIvEENS9_8equal_toIvEEiEE10hipError_tPvRmT2_T3_T4_T5_mT6_T7_P12ihipStream_tbENKUlT_T0_E_clISt17integral_constantIbLb1EESY_IbLb0EEEEDaSU_SV_EUlSU_E_NS1_11comp_targetILNS1_3genE0ELNS1_11target_archE4294967295ELNS1_3gpuE0ELNS1_3repE0EEENS1_30default_config_static_selectorELNS0_4arch9wavefront6targetE0EEEvT1_.num_named_barrier, 0
	.set _ZN7rocprim17ROCPRIM_400000_NS6detail17trampoline_kernelINS0_14default_configENS1_27scan_by_key_config_selectorIiiEEZZNS1_16scan_by_key_implILNS1_25lookback_scan_determinismE0ELb1ES3_N6thrust23THRUST_200600_302600_NS6detail15normal_iteratorINS9_10device_ptrIiEEEESE_SE_iNS9_4plusIvEENS9_8equal_toIvEEiEE10hipError_tPvRmT2_T3_T4_T5_mT6_T7_P12ihipStream_tbENKUlT_T0_E_clISt17integral_constantIbLb1EESY_IbLb0EEEEDaSU_SV_EUlSU_E_NS1_11comp_targetILNS1_3genE0ELNS1_11target_archE4294967295ELNS1_3gpuE0ELNS1_3repE0EEENS1_30default_config_static_selectorELNS0_4arch9wavefront6targetE0EEEvT1_.private_seg_size, 0
	.set _ZN7rocprim17ROCPRIM_400000_NS6detail17trampoline_kernelINS0_14default_configENS1_27scan_by_key_config_selectorIiiEEZZNS1_16scan_by_key_implILNS1_25lookback_scan_determinismE0ELb1ES3_N6thrust23THRUST_200600_302600_NS6detail15normal_iteratorINS9_10device_ptrIiEEEESE_SE_iNS9_4plusIvEENS9_8equal_toIvEEiEE10hipError_tPvRmT2_T3_T4_T5_mT6_T7_P12ihipStream_tbENKUlT_T0_E_clISt17integral_constantIbLb1EESY_IbLb0EEEEDaSU_SV_EUlSU_E_NS1_11comp_targetILNS1_3genE0ELNS1_11target_archE4294967295ELNS1_3gpuE0ELNS1_3repE0EEENS1_30default_config_static_selectorELNS0_4arch9wavefront6targetE0EEEvT1_.uses_vcc, 0
	.set _ZN7rocprim17ROCPRIM_400000_NS6detail17trampoline_kernelINS0_14default_configENS1_27scan_by_key_config_selectorIiiEEZZNS1_16scan_by_key_implILNS1_25lookback_scan_determinismE0ELb1ES3_N6thrust23THRUST_200600_302600_NS6detail15normal_iteratorINS9_10device_ptrIiEEEESE_SE_iNS9_4plusIvEENS9_8equal_toIvEEiEE10hipError_tPvRmT2_T3_T4_T5_mT6_T7_P12ihipStream_tbENKUlT_T0_E_clISt17integral_constantIbLb1EESY_IbLb0EEEEDaSU_SV_EUlSU_E_NS1_11comp_targetILNS1_3genE0ELNS1_11target_archE4294967295ELNS1_3gpuE0ELNS1_3repE0EEENS1_30default_config_static_selectorELNS0_4arch9wavefront6targetE0EEEvT1_.uses_flat_scratch, 0
	.set _ZN7rocprim17ROCPRIM_400000_NS6detail17trampoline_kernelINS0_14default_configENS1_27scan_by_key_config_selectorIiiEEZZNS1_16scan_by_key_implILNS1_25lookback_scan_determinismE0ELb1ES3_N6thrust23THRUST_200600_302600_NS6detail15normal_iteratorINS9_10device_ptrIiEEEESE_SE_iNS9_4plusIvEENS9_8equal_toIvEEiEE10hipError_tPvRmT2_T3_T4_T5_mT6_T7_P12ihipStream_tbENKUlT_T0_E_clISt17integral_constantIbLb1EESY_IbLb0EEEEDaSU_SV_EUlSU_E_NS1_11comp_targetILNS1_3genE0ELNS1_11target_archE4294967295ELNS1_3gpuE0ELNS1_3repE0EEENS1_30default_config_static_selectorELNS0_4arch9wavefront6targetE0EEEvT1_.has_dyn_sized_stack, 0
	.set _ZN7rocprim17ROCPRIM_400000_NS6detail17trampoline_kernelINS0_14default_configENS1_27scan_by_key_config_selectorIiiEEZZNS1_16scan_by_key_implILNS1_25lookback_scan_determinismE0ELb1ES3_N6thrust23THRUST_200600_302600_NS6detail15normal_iteratorINS9_10device_ptrIiEEEESE_SE_iNS9_4plusIvEENS9_8equal_toIvEEiEE10hipError_tPvRmT2_T3_T4_T5_mT6_T7_P12ihipStream_tbENKUlT_T0_E_clISt17integral_constantIbLb1EESY_IbLb0EEEEDaSU_SV_EUlSU_E_NS1_11comp_targetILNS1_3genE0ELNS1_11target_archE4294967295ELNS1_3gpuE0ELNS1_3repE0EEENS1_30default_config_static_selectorELNS0_4arch9wavefront6targetE0EEEvT1_.has_recursion, 0
	.set _ZN7rocprim17ROCPRIM_400000_NS6detail17trampoline_kernelINS0_14default_configENS1_27scan_by_key_config_selectorIiiEEZZNS1_16scan_by_key_implILNS1_25lookback_scan_determinismE0ELb1ES3_N6thrust23THRUST_200600_302600_NS6detail15normal_iteratorINS9_10device_ptrIiEEEESE_SE_iNS9_4plusIvEENS9_8equal_toIvEEiEE10hipError_tPvRmT2_T3_T4_T5_mT6_T7_P12ihipStream_tbENKUlT_T0_E_clISt17integral_constantIbLb1EESY_IbLb0EEEEDaSU_SV_EUlSU_E_NS1_11comp_targetILNS1_3genE0ELNS1_11target_archE4294967295ELNS1_3gpuE0ELNS1_3repE0EEENS1_30default_config_static_selectorELNS0_4arch9wavefront6targetE0EEEvT1_.has_indirect_call, 0
	.section	.AMDGPU.csdata,"",@progbits
; Kernel info:
; codeLenInByte = 0
; TotalNumSgprs: 0
; NumVgprs: 0
; ScratchSize: 0
; MemoryBound: 0
; FloatMode: 240
; IeeeMode: 1
; LDSByteSize: 0 bytes/workgroup (compile time only)
; SGPRBlocks: 0
; VGPRBlocks: 0
; NumSGPRsForWavesPerEU: 1
; NumVGPRsForWavesPerEU: 1
; Occupancy: 16
; WaveLimiterHint : 0
; COMPUTE_PGM_RSRC2:SCRATCH_EN: 0
; COMPUTE_PGM_RSRC2:USER_SGPR: 6
; COMPUTE_PGM_RSRC2:TRAP_HANDLER: 0
; COMPUTE_PGM_RSRC2:TGID_X_EN: 1
; COMPUTE_PGM_RSRC2:TGID_Y_EN: 0
; COMPUTE_PGM_RSRC2:TGID_Z_EN: 0
; COMPUTE_PGM_RSRC2:TIDIG_COMP_CNT: 0
	.section	.text._ZN7rocprim17ROCPRIM_400000_NS6detail17trampoline_kernelINS0_14default_configENS1_27scan_by_key_config_selectorIiiEEZZNS1_16scan_by_key_implILNS1_25lookback_scan_determinismE0ELb1ES3_N6thrust23THRUST_200600_302600_NS6detail15normal_iteratorINS9_10device_ptrIiEEEESE_SE_iNS9_4plusIvEENS9_8equal_toIvEEiEE10hipError_tPvRmT2_T3_T4_T5_mT6_T7_P12ihipStream_tbENKUlT_T0_E_clISt17integral_constantIbLb1EESY_IbLb0EEEEDaSU_SV_EUlSU_E_NS1_11comp_targetILNS1_3genE10ELNS1_11target_archE1201ELNS1_3gpuE5ELNS1_3repE0EEENS1_30default_config_static_selectorELNS0_4arch9wavefront6targetE0EEEvT1_,"axG",@progbits,_ZN7rocprim17ROCPRIM_400000_NS6detail17trampoline_kernelINS0_14default_configENS1_27scan_by_key_config_selectorIiiEEZZNS1_16scan_by_key_implILNS1_25lookback_scan_determinismE0ELb1ES3_N6thrust23THRUST_200600_302600_NS6detail15normal_iteratorINS9_10device_ptrIiEEEESE_SE_iNS9_4plusIvEENS9_8equal_toIvEEiEE10hipError_tPvRmT2_T3_T4_T5_mT6_T7_P12ihipStream_tbENKUlT_T0_E_clISt17integral_constantIbLb1EESY_IbLb0EEEEDaSU_SV_EUlSU_E_NS1_11comp_targetILNS1_3genE10ELNS1_11target_archE1201ELNS1_3gpuE5ELNS1_3repE0EEENS1_30default_config_static_selectorELNS0_4arch9wavefront6targetE0EEEvT1_,comdat
	.protected	_ZN7rocprim17ROCPRIM_400000_NS6detail17trampoline_kernelINS0_14default_configENS1_27scan_by_key_config_selectorIiiEEZZNS1_16scan_by_key_implILNS1_25lookback_scan_determinismE0ELb1ES3_N6thrust23THRUST_200600_302600_NS6detail15normal_iteratorINS9_10device_ptrIiEEEESE_SE_iNS9_4plusIvEENS9_8equal_toIvEEiEE10hipError_tPvRmT2_T3_T4_T5_mT6_T7_P12ihipStream_tbENKUlT_T0_E_clISt17integral_constantIbLb1EESY_IbLb0EEEEDaSU_SV_EUlSU_E_NS1_11comp_targetILNS1_3genE10ELNS1_11target_archE1201ELNS1_3gpuE5ELNS1_3repE0EEENS1_30default_config_static_selectorELNS0_4arch9wavefront6targetE0EEEvT1_ ; -- Begin function _ZN7rocprim17ROCPRIM_400000_NS6detail17trampoline_kernelINS0_14default_configENS1_27scan_by_key_config_selectorIiiEEZZNS1_16scan_by_key_implILNS1_25lookback_scan_determinismE0ELb1ES3_N6thrust23THRUST_200600_302600_NS6detail15normal_iteratorINS9_10device_ptrIiEEEESE_SE_iNS9_4plusIvEENS9_8equal_toIvEEiEE10hipError_tPvRmT2_T3_T4_T5_mT6_T7_P12ihipStream_tbENKUlT_T0_E_clISt17integral_constantIbLb1EESY_IbLb0EEEEDaSU_SV_EUlSU_E_NS1_11comp_targetILNS1_3genE10ELNS1_11target_archE1201ELNS1_3gpuE5ELNS1_3repE0EEENS1_30default_config_static_selectorELNS0_4arch9wavefront6targetE0EEEvT1_
	.globl	_ZN7rocprim17ROCPRIM_400000_NS6detail17trampoline_kernelINS0_14default_configENS1_27scan_by_key_config_selectorIiiEEZZNS1_16scan_by_key_implILNS1_25lookback_scan_determinismE0ELb1ES3_N6thrust23THRUST_200600_302600_NS6detail15normal_iteratorINS9_10device_ptrIiEEEESE_SE_iNS9_4plusIvEENS9_8equal_toIvEEiEE10hipError_tPvRmT2_T3_T4_T5_mT6_T7_P12ihipStream_tbENKUlT_T0_E_clISt17integral_constantIbLb1EESY_IbLb0EEEEDaSU_SV_EUlSU_E_NS1_11comp_targetILNS1_3genE10ELNS1_11target_archE1201ELNS1_3gpuE5ELNS1_3repE0EEENS1_30default_config_static_selectorELNS0_4arch9wavefront6targetE0EEEvT1_
	.p2align	8
	.type	_ZN7rocprim17ROCPRIM_400000_NS6detail17trampoline_kernelINS0_14default_configENS1_27scan_by_key_config_selectorIiiEEZZNS1_16scan_by_key_implILNS1_25lookback_scan_determinismE0ELb1ES3_N6thrust23THRUST_200600_302600_NS6detail15normal_iteratorINS9_10device_ptrIiEEEESE_SE_iNS9_4plusIvEENS9_8equal_toIvEEiEE10hipError_tPvRmT2_T3_T4_T5_mT6_T7_P12ihipStream_tbENKUlT_T0_E_clISt17integral_constantIbLb1EESY_IbLb0EEEEDaSU_SV_EUlSU_E_NS1_11comp_targetILNS1_3genE10ELNS1_11target_archE1201ELNS1_3gpuE5ELNS1_3repE0EEENS1_30default_config_static_selectorELNS0_4arch9wavefront6targetE0EEEvT1_,@function
_ZN7rocprim17ROCPRIM_400000_NS6detail17trampoline_kernelINS0_14default_configENS1_27scan_by_key_config_selectorIiiEEZZNS1_16scan_by_key_implILNS1_25lookback_scan_determinismE0ELb1ES3_N6thrust23THRUST_200600_302600_NS6detail15normal_iteratorINS9_10device_ptrIiEEEESE_SE_iNS9_4plusIvEENS9_8equal_toIvEEiEE10hipError_tPvRmT2_T3_T4_T5_mT6_T7_P12ihipStream_tbENKUlT_T0_E_clISt17integral_constantIbLb1EESY_IbLb0EEEEDaSU_SV_EUlSU_E_NS1_11comp_targetILNS1_3genE10ELNS1_11target_archE1201ELNS1_3gpuE5ELNS1_3repE0EEENS1_30default_config_static_selectorELNS0_4arch9wavefront6targetE0EEEvT1_: ; @_ZN7rocprim17ROCPRIM_400000_NS6detail17trampoline_kernelINS0_14default_configENS1_27scan_by_key_config_selectorIiiEEZZNS1_16scan_by_key_implILNS1_25lookback_scan_determinismE0ELb1ES3_N6thrust23THRUST_200600_302600_NS6detail15normal_iteratorINS9_10device_ptrIiEEEESE_SE_iNS9_4plusIvEENS9_8equal_toIvEEiEE10hipError_tPvRmT2_T3_T4_T5_mT6_T7_P12ihipStream_tbENKUlT_T0_E_clISt17integral_constantIbLb1EESY_IbLb0EEEEDaSU_SV_EUlSU_E_NS1_11comp_targetILNS1_3genE10ELNS1_11target_archE1201ELNS1_3gpuE5ELNS1_3repE0EEENS1_30default_config_static_selectorELNS0_4arch9wavefront6targetE0EEEvT1_
; %bb.0:
	.section	.rodata,"a",@progbits
	.p2align	6, 0x0
	.amdhsa_kernel _ZN7rocprim17ROCPRIM_400000_NS6detail17trampoline_kernelINS0_14default_configENS1_27scan_by_key_config_selectorIiiEEZZNS1_16scan_by_key_implILNS1_25lookback_scan_determinismE0ELb1ES3_N6thrust23THRUST_200600_302600_NS6detail15normal_iteratorINS9_10device_ptrIiEEEESE_SE_iNS9_4plusIvEENS9_8equal_toIvEEiEE10hipError_tPvRmT2_T3_T4_T5_mT6_T7_P12ihipStream_tbENKUlT_T0_E_clISt17integral_constantIbLb1EESY_IbLb0EEEEDaSU_SV_EUlSU_E_NS1_11comp_targetILNS1_3genE10ELNS1_11target_archE1201ELNS1_3gpuE5ELNS1_3repE0EEENS1_30default_config_static_selectorELNS0_4arch9wavefront6targetE0EEEvT1_
		.amdhsa_group_segment_fixed_size 0
		.amdhsa_private_segment_fixed_size 0
		.amdhsa_kernarg_size 112
		.amdhsa_user_sgpr_count 6
		.amdhsa_user_sgpr_private_segment_buffer 1
		.amdhsa_user_sgpr_dispatch_ptr 0
		.amdhsa_user_sgpr_queue_ptr 0
		.amdhsa_user_sgpr_kernarg_segment_ptr 1
		.amdhsa_user_sgpr_dispatch_id 0
		.amdhsa_user_sgpr_flat_scratch_init 0
		.amdhsa_user_sgpr_private_segment_size 0
		.amdhsa_wavefront_size32 1
		.amdhsa_uses_dynamic_stack 0
		.amdhsa_system_sgpr_private_segment_wavefront_offset 0
		.amdhsa_system_sgpr_workgroup_id_x 1
		.amdhsa_system_sgpr_workgroup_id_y 0
		.amdhsa_system_sgpr_workgroup_id_z 0
		.amdhsa_system_sgpr_workgroup_info 0
		.amdhsa_system_vgpr_workitem_id 0
		.amdhsa_next_free_vgpr 1
		.amdhsa_next_free_sgpr 1
		.amdhsa_reserve_vcc 0
		.amdhsa_reserve_flat_scratch 0
		.amdhsa_float_round_mode_32 0
		.amdhsa_float_round_mode_16_64 0
		.amdhsa_float_denorm_mode_32 3
		.amdhsa_float_denorm_mode_16_64 3
		.amdhsa_dx10_clamp 1
		.amdhsa_ieee_mode 1
		.amdhsa_fp16_overflow 0
		.amdhsa_workgroup_processor_mode 1
		.amdhsa_memory_ordered 1
		.amdhsa_forward_progress 1
		.amdhsa_shared_vgpr_count 0
		.amdhsa_exception_fp_ieee_invalid_op 0
		.amdhsa_exception_fp_denorm_src 0
		.amdhsa_exception_fp_ieee_div_zero 0
		.amdhsa_exception_fp_ieee_overflow 0
		.amdhsa_exception_fp_ieee_underflow 0
		.amdhsa_exception_fp_ieee_inexact 0
		.amdhsa_exception_int_div_zero 0
	.end_amdhsa_kernel
	.section	.text._ZN7rocprim17ROCPRIM_400000_NS6detail17trampoline_kernelINS0_14default_configENS1_27scan_by_key_config_selectorIiiEEZZNS1_16scan_by_key_implILNS1_25lookback_scan_determinismE0ELb1ES3_N6thrust23THRUST_200600_302600_NS6detail15normal_iteratorINS9_10device_ptrIiEEEESE_SE_iNS9_4plusIvEENS9_8equal_toIvEEiEE10hipError_tPvRmT2_T3_T4_T5_mT6_T7_P12ihipStream_tbENKUlT_T0_E_clISt17integral_constantIbLb1EESY_IbLb0EEEEDaSU_SV_EUlSU_E_NS1_11comp_targetILNS1_3genE10ELNS1_11target_archE1201ELNS1_3gpuE5ELNS1_3repE0EEENS1_30default_config_static_selectorELNS0_4arch9wavefront6targetE0EEEvT1_,"axG",@progbits,_ZN7rocprim17ROCPRIM_400000_NS6detail17trampoline_kernelINS0_14default_configENS1_27scan_by_key_config_selectorIiiEEZZNS1_16scan_by_key_implILNS1_25lookback_scan_determinismE0ELb1ES3_N6thrust23THRUST_200600_302600_NS6detail15normal_iteratorINS9_10device_ptrIiEEEESE_SE_iNS9_4plusIvEENS9_8equal_toIvEEiEE10hipError_tPvRmT2_T3_T4_T5_mT6_T7_P12ihipStream_tbENKUlT_T0_E_clISt17integral_constantIbLb1EESY_IbLb0EEEEDaSU_SV_EUlSU_E_NS1_11comp_targetILNS1_3genE10ELNS1_11target_archE1201ELNS1_3gpuE5ELNS1_3repE0EEENS1_30default_config_static_selectorELNS0_4arch9wavefront6targetE0EEEvT1_,comdat
.Lfunc_end480:
	.size	_ZN7rocprim17ROCPRIM_400000_NS6detail17trampoline_kernelINS0_14default_configENS1_27scan_by_key_config_selectorIiiEEZZNS1_16scan_by_key_implILNS1_25lookback_scan_determinismE0ELb1ES3_N6thrust23THRUST_200600_302600_NS6detail15normal_iteratorINS9_10device_ptrIiEEEESE_SE_iNS9_4plusIvEENS9_8equal_toIvEEiEE10hipError_tPvRmT2_T3_T4_T5_mT6_T7_P12ihipStream_tbENKUlT_T0_E_clISt17integral_constantIbLb1EESY_IbLb0EEEEDaSU_SV_EUlSU_E_NS1_11comp_targetILNS1_3genE10ELNS1_11target_archE1201ELNS1_3gpuE5ELNS1_3repE0EEENS1_30default_config_static_selectorELNS0_4arch9wavefront6targetE0EEEvT1_, .Lfunc_end480-_ZN7rocprim17ROCPRIM_400000_NS6detail17trampoline_kernelINS0_14default_configENS1_27scan_by_key_config_selectorIiiEEZZNS1_16scan_by_key_implILNS1_25lookback_scan_determinismE0ELb1ES3_N6thrust23THRUST_200600_302600_NS6detail15normal_iteratorINS9_10device_ptrIiEEEESE_SE_iNS9_4plusIvEENS9_8equal_toIvEEiEE10hipError_tPvRmT2_T3_T4_T5_mT6_T7_P12ihipStream_tbENKUlT_T0_E_clISt17integral_constantIbLb1EESY_IbLb0EEEEDaSU_SV_EUlSU_E_NS1_11comp_targetILNS1_3genE10ELNS1_11target_archE1201ELNS1_3gpuE5ELNS1_3repE0EEENS1_30default_config_static_selectorELNS0_4arch9wavefront6targetE0EEEvT1_
                                        ; -- End function
	.set _ZN7rocprim17ROCPRIM_400000_NS6detail17trampoline_kernelINS0_14default_configENS1_27scan_by_key_config_selectorIiiEEZZNS1_16scan_by_key_implILNS1_25lookback_scan_determinismE0ELb1ES3_N6thrust23THRUST_200600_302600_NS6detail15normal_iteratorINS9_10device_ptrIiEEEESE_SE_iNS9_4plusIvEENS9_8equal_toIvEEiEE10hipError_tPvRmT2_T3_T4_T5_mT6_T7_P12ihipStream_tbENKUlT_T0_E_clISt17integral_constantIbLb1EESY_IbLb0EEEEDaSU_SV_EUlSU_E_NS1_11comp_targetILNS1_3genE10ELNS1_11target_archE1201ELNS1_3gpuE5ELNS1_3repE0EEENS1_30default_config_static_selectorELNS0_4arch9wavefront6targetE0EEEvT1_.num_vgpr, 0
	.set _ZN7rocprim17ROCPRIM_400000_NS6detail17trampoline_kernelINS0_14default_configENS1_27scan_by_key_config_selectorIiiEEZZNS1_16scan_by_key_implILNS1_25lookback_scan_determinismE0ELb1ES3_N6thrust23THRUST_200600_302600_NS6detail15normal_iteratorINS9_10device_ptrIiEEEESE_SE_iNS9_4plusIvEENS9_8equal_toIvEEiEE10hipError_tPvRmT2_T3_T4_T5_mT6_T7_P12ihipStream_tbENKUlT_T0_E_clISt17integral_constantIbLb1EESY_IbLb0EEEEDaSU_SV_EUlSU_E_NS1_11comp_targetILNS1_3genE10ELNS1_11target_archE1201ELNS1_3gpuE5ELNS1_3repE0EEENS1_30default_config_static_selectorELNS0_4arch9wavefront6targetE0EEEvT1_.num_agpr, 0
	.set _ZN7rocprim17ROCPRIM_400000_NS6detail17trampoline_kernelINS0_14default_configENS1_27scan_by_key_config_selectorIiiEEZZNS1_16scan_by_key_implILNS1_25lookback_scan_determinismE0ELb1ES3_N6thrust23THRUST_200600_302600_NS6detail15normal_iteratorINS9_10device_ptrIiEEEESE_SE_iNS9_4plusIvEENS9_8equal_toIvEEiEE10hipError_tPvRmT2_T3_T4_T5_mT6_T7_P12ihipStream_tbENKUlT_T0_E_clISt17integral_constantIbLb1EESY_IbLb0EEEEDaSU_SV_EUlSU_E_NS1_11comp_targetILNS1_3genE10ELNS1_11target_archE1201ELNS1_3gpuE5ELNS1_3repE0EEENS1_30default_config_static_selectorELNS0_4arch9wavefront6targetE0EEEvT1_.numbered_sgpr, 0
	.set _ZN7rocprim17ROCPRIM_400000_NS6detail17trampoline_kernelINS0_14default_configENS1_27scan_by_key_config_selectorIiiEEZZNS1_16scan_by_key_implILNS1_25lookback_scan_determinismE0ELb1ES3_N6thrust23THRUST_200600_302600_NS6detail15normal_iteratorINS9_10device_ptrIiEEEESE_SE_iNS9_4plusIvEENS9_8equal_toIvEEiEE10hipError_tPvRmT2_T3_T4_T5_mT6_T7_P12ihipStream_tbENKUlT_T0_E_clISt17integral_constantIbLb1EESY_IbLb0EEEEDaSU_SV_EUlSU_E_NS1_11comp_targetILNS1_3genE10ELNS1_11target_archE1201ELNS1_3gpuE5ELNS1_3repE0EEENS1_30default_config_static_selectorELNS0_4arch9wavefront6targetE0EEEvT1_.num_named_barrier, 0
	.set _ZN7rocprim17ROCPRIM_400000_NS6detail17trampoline_kernelINS0_14default_configENS1_27scan_by_key_config_selectorIiiEEZZNS1_16scan_by_key_implILNS1_25lookback_scan_determinismE0ELb1ES3_N6thrust23THRUST_200600_302600_NS6detail15normal_iteratorINS9_10device_ptrIiEEEESE_SE_iNS9_4plusIvEENS9_8equal_toIvEEiEE10hipError_tPvRmT2_T3_T4_T5_mT6_T7_P12ihipStream_tbENKUlT_T0_E_clISt17integral_constantIbLb1EESY_IbLb0EEEEDaSU_SV_EUlSU_E_NS1_11comp_targetILNS1_3genE10ELNS1_11target_archE1201ELNS1_3gpuE5ELNS1_3repE0EEENS1_30default_config_static_selectorELNS0_4arch9wavefront6targetE0EEEvT1_.private_seg_size, 0
	.set _ZN7rocprim17ROCPRIM_400000_NS6detail17trampoline_kernelINS0_14default_configENS1_27scan_by_key_config_selectorIiiEEZZNS1_16scan_by_key_implILNS1_25lookback_scan_determinismE0ELb1ES3_N6thrust23THRUST_200600_302600_NS6detail15normal_iteratorINS9_10device_ptrIiEEEESE_SE_iNS9_4plusIvEENS9_8equal_toIvEEiEE10hipError_tPvRmT2_T3_T4_T5_mT6_T7_P12ihipStream_tbENKUlT_T0_E_clISt17integral_constantIbLb1EESY_IbLb0EEEEDaSU_SV_EUlSU_E_NS1_11comp_targetILNS1_3genE10ELNS1_11target_archE1201ELNS1_3gpuE5ELNS1_3repE0EEENS1_30default_config_static_selectorELNS0_4arch9wavefront6targetE0EEEvT1_.uses_vcc, 0
	.set _ZN7rocprim17ROCPRIM_400000_NS6detail17trampoline_kernelINS0_14default_configENS1_27scan_by_key_config_selectorIiiEEZZNS1_16scan_by_key_implILNS1_25lookback_scan_determinismE0ELb1ES3_N6thrust23THRUST_200600_302600_NS6detail15normal_iteratorINS9_10device_ptrIiEEEESE_SE_iNS9_4plusIvEENS9_8equal_toIvEEiEE10hipError_tPvRmT2_T3_T4_T5_mT6_T7_P12ihipStream_tbENKUlT_T0_E_clISt17integral_constantIbLb1EESY_IbLb0EEEEDaSU_SV_EUlSU_E_NS1_11comp_targetILNS1_3genE10ELNS1_11target_archE1201ELNS1_3gpuE5ELNS1_3repE0EEENS1_30default_config_static_selectorELNS0_4arch9wavefront6targetE0EEEvT1_.uses_flat_scratch, 0
	.set _ZN7rocprim17ROCPRIM_400000_NS6detail17trampoline_kernelINS0_14default_configENS1_27scan_by_key_config_selectorIiiEEZZNS1_16scan_by_key_implILNS1_25lookback_scan_determinismE0ELb1ES3_N6thrust23THRUST_200600_302600_NS6detail15normal_iteratorINS9_10device_ptrIiEEEESE_SE_iNS9_4plusIvEENS9_8equal_toIvEEiEE10hipError_tPvRmT2_T3_T4_T5_mT6_T7_P12ihipStream_tbENKUlT_T0_E_clISt17integral_constantIbLb1EESY_IbLb0EEEEDaSU_SV_EUlSU_E_NS1_11comp_targetILNS1_3genE10ELNS1_11target_archE1201ELNS1_3gpuE5ELNS1_3repE0EEENS1_30default_config_static_selectorELNS0_4arch9wavefront6targetE0EEEvT1_.has_dyn_sized_stack, 0
	.set _ZN7rocprim17ROCPRIM_400000_NS6detail17trampoline_kernelINS0_14default_configENS1_27scan_by_key_config_selectorIiiEEZZNS1_16scan_by_key_implILNS1_25lookback_scan_determinismE0ELb1ES3_N6thrust23THRUST_200600_302600_NS6detail15normal_iteratorINS9_10device_ptrIiEEEESE_SE_iNS9_4plusIvEENS9_8equal_toIvEEiEE10hipError_tPvRmT2_T3_T4_T5_mT6_T7_P12ihipStream_tbENKUlT_T0_E_clISt17integral_constantIbLb1EESY_IbLb0EEEEDaSU_SV_EUlSU_E_NS1_11comp_targetILNS1_3genE10ELNS1_11target_archE1201ELNS1_3gpuE5ELNS1_3repE0EEENS1_30default_config_static_selectorELNS0_4arch9wavefront6targetE0EEEvT1_.has_recursion, 0
	.set _ZN7rocprim17ROCPRIM_400000_NS6detail17trampoline_kernelINS0_14default_configENS1_27scan_by_key_config_selectorIiiEEZZNS1_16scan_by_key_implILNS1_25lookback_scan_determinismE0ELb1ES3_N6thrust23THRUST_200600_302600_NS6detail15normal_iteratorINS9_10device_ptrIiEEEESE_SE_iNS9_4plusIvEENS9_8equal_toIvEEiEE10hipError_tPvRmT2_T3_T4_T5_mT6_T7_P12ihipStream_tbENKUlT_T0_E_clISt17integral_constantIbLb1EESY_IbLb0EEEEDaSU_SV_EUlSU_E_NS1_11comp_targetILNS1_3genE10ELNS1_11target_archE1201ELNS1_3gpuE5ELNS1_3repE0EEENS1_30default_config_static_selectorELNS0_4arch9wavefront6targetE0EEEvT1_.has_indirect_call, 0
	.section	.AMDGPU.csdata,"",@progbits
; Kernel info:
; codeLenInByte = 0
; TotalNumSgprs: 0
; NumVgprs: 0
; ScratchSize: 0
; MemoryBound: 0
; FloatMode: 240
; IeeeMode: 1
; LDSByteSize: 0 bytes/workgroup (compile time only)
; SGPRBlocks: 0
; VGPRBlocks: 0
; NumSGPRsForWavesPerEU: 1
; NumVGPRsForWavesPerEU: 1
; Occupancy: 16
; WaveLimiterHint : 0
; COMPUTE_PGM_RSRC2:SCRATCH_EN: 0
; COMPUTE_PGM_RSRC2:USER_SGPR: 6
; COMPUTE_PGM_RSRC2:TRAP_HANDLER: 0
; COMPUTE_PGM_RSRC2:TGID_X_EN: 1
; COMPUTE_PGM_RSRC2:TGID_Y_EN: 0
; COMPUTE_PGM_RSRC2:TGID_Z_EN: 0
; COMPUTE_PGM_RSRC2:TIDIG_COMP_CNT: 0
	.section	.text._ZN7rocprim17ROCPRIM_400000_NS6detail17trampoline_kernelINS0_14default_configENS1_27scan_by_key_config_selectorIiiEEZZNS1_16scan_by_key_implILNS1_25lookback_scan_determinismE0ELb1ES3_N6thrust23THRUST_200600_302600_NS6detail15normal_iteratorINS9_10device_ptrIiEEEESE_SE_iNS9_4plusIvEENS9_8equal_toIvEEiEE10hipError_tPvRmT2_T3_T4_T5_mT6_T7_P12ihipStream_tbENKUlT_T0_E_clISt17integral_constantIbLb1EESY_IbLb0EEEEDaSU_SV_EUlSU_E_NS1_11comp_targetILNS1_3genE5ELNS1_11target_archE942ELNS1_3gpuE9ELNS1_3repE0EEENS1_30default_config_static_selectorELNS0_4arch9wavefront6targetE0EEEvT1_,"axG",@progbits,_ZN7rocprim17ROCPRIM_400000_NS6detail17trampoline_kernelINS0_14default_configENS1_27scan_by_key_config_selectorIiiEEZZNS1_16scan_by_key_implILNS1_25lookback_scan_determinismE0ELb1ES3_N6thrust23THRUST_200600_302600_NS6detail15normal_iteratorINS9_10device_ptrIiEEEESE_SE_iNS9_4plusIvEENS9_8equal_toIvEEiEE10hipError_tPvRmT2_T3_T4_T5_mT6_T7_P12ihipStream_tbENKUlT_T0_E_clISt17integral_constantIbLb1EESY_IbLb0EEEEDaSU_SV_EUlSU_E_NS1_11comp_targetILNS1_3genE5ELNS1_11target_archE942ELNS1_3gpuE9ELNS1_3repE0EEENS1_30default_config_static_selectorELNS0_4arch9wavefront6targetE0EEEvT1_,comdat
	.protected	_ZN7rocprim17ROCPRIM_400000_NS6detail17trampoline_kernelINS0_14default_configENS1_27scan_by_key_config_selectorIiiEEZZNS1_16scan_by_key_implILNS1_25lookback_scan_determinismE0ELb1ES3_N6thrust23THRUST_200600_302600_NS6detail15normal_iteratorINS9_10device_ptrIiEEEESE_SE_iNS9_4plusIvEENS9_8equal_toIvEEiEE10hipError_tPvRmT2_T3_T4_T5_mT6_T7_P12ihipStream_tbENKUlT_T0_E_clISt17integral_constantIbLb1EESY_IbLb0EEEEDaSU_SV_EUlSU_E_NS1_11comp_targetILNS1_3genE5ELNS1_11target_archE942ELNS1_3gpuE9ELNS1_3repE0EEENS1_30default_config_static_selectorELNS0_4arch9wavefront6targetE0EEEvT1_ ; -- Begin function _ZN7rocprim17ROCPRIM_400000_NS6detail17trampoline_kernelINS0_14default_configENS1_27scan_by_key_config_selectorIiiEEZZNS1_16scan_by_key_implILNS1_25lookback_scan_determinismE0ELb1ES3_N6thrust23THRUST_200600_302600_NS6detail15normal_iteratorINS9_10device_ptrIiEEEESE_SE_iNS9_4plusIvEENS9_8equal_toIvEEiEE10hipError_tPvRmT2_T3_T4_T5_mT6_T7_P12ihipStream_tbENKUlT_T0_E_clISt17integral_constantIbLb1EESY_IbLb0EEEEDaSU_SV_EUlSU_E_NS1_11comp_targetILNS1_3genE5ELNS1_11target_archE942ELNS1_3gpuE9ELNS1_3repE0EEENS1_30default_config_static_selectorELNS0_4arch9wavefront6targetE0EEEvT1_
	.globl	_ZN7rocprim17ROCPRIM_400000_NS6detail17trampoline_kernelINS0_14default_configENS1_27scan_by_key_config_selectorIiiEEZZNS1_16scan_by_key_implILNS1_25lookback_scan_determinismE0ELb1ES3_N6thrust23THRUST_200600_302600_NS6detail15normal_iteratorINS9_10device_ptrIiEEEESE_SE_iNS9_4plusIvEENS9_8equal_toIvEEiEE10hipError_tPvRmT2_T3_T4_T5_mT6_T7_P12ihipStream_tbENKUlT_T0_E_clISt17integral_constantIbLb1EESY_IbLb0EEEEDaSU_SV_EUlSU_E_NS1_11comp_targetILNS1_3genE5ELNS1_11target_archE942ELNS1_3gpuE9ELNS1_3repE0EEENS1_30default_config_static_selectorELNS0_4arch9wavefront6targetE0EEEvT1_
	.p2align	8
	.type	_ZN7rocprim17ROCPRIM_400000_NS6detail17trampoline_kernelINS0_14default_configENS1_27scan_by_key_config_selectorIiiEEZZNS1_16scan_by_key_implILNS1_25lookback_scan_determinismE0ELb1ES3_N6thrust23THRUST_200600_302600_NS6detail15normal_iteratorINS9_10device_ptrIiEEEESE_SE_iNS9_4plusIvEENS9_8equal_toIvEEiEE10hipError_tPvRmT2_T3_T4_T5_mT6_T7_P12ihipStream_tbENKUlT_T0_E_clISt17integral_constantIbLb1EESY_IbLb0EEEEDaSU_SV_EUlSU_E_NS1_11comp_targetILNS1_3genE5ELNS1_11target_archE942ELNS1_3gpuE9ELNS1_3repE0EEENS1_30default_config_static_selectorELNS0_4arch9wavefront6targetE0EEEvT1_,@function
_ZN7rocprim17ROCPRIM_400000_NS6detail17trampoline_kernelINS0_14default_configENS1_27scan_by_key_config_selectorIiiEEZZNS1_16scan_by_key_implILNS1_25lookback_scan_determinismE0ELb1ES3_N6thrust23THRUST_200600_302600_NS6detail15normal_iteratorINS9_10device_ptrIiEEEESE_SE_iNS9_4plusIvEENS9_8equal_toIvEEiEE10hipError_tPvRmT2_T3_T4_T5_mT6_T7_P12ihipStream_tbENKUlT_T0_E_clISt17integral_constantIbLb1EESY_IbLb0EEEEDaSU_SV_EUlSU_E_NS1_11comp_targetILNS1_3genE5ELNS1_11target_archE942ELNS1_3gpuE9ELNS1_3repE0EEENS1_30default_config_static_selectorELNS0_4arch9wavefront6targetE0EEEvT1_: ; @_ZN7rocprim17ROCPRIM_400000_NS6detail17trampoline_kernelINS0_14default_configENS1_27scan_by_key_config_selectorIiiEEZZNS1_16scan_by_key_implILNS1_25lookback_scan_determinismE0ELb1ES3_N6thrust23THRUST_200600_302600_NS6detail15normal_iteratorINS9_10device_ptrIiEEEESE_SE_iNS9_4plusIvEENS9_8equal_toIvEEiEE10hipError_tPvRmT2_T3_T4_T5_mT6_T7_P12ihipStream_tbENKUlT_T0_E_clISt17integral_constantIbLb1EESY_IbLb0EEEEDaSU_SV_EUlSU_E_NS1_11comp_targetILNS1_3genE5ELNS1_11target_archE942ELNS1_3gpuE9ELNS1_3repE0EEENS1_30default_config_static_selectorELNS0_4arch9wavefront6targetE0EEEvT1_
; %bb.0:
	.section	.rodata,"a",@progbits
	.p2align	6, 0x0
	.amdhsa_kernel _ZN7rocprim17ROCPRIM_400000_NS6detail17trampoline_kernelINS0_14default_configENS1_27scan_by_key_config_selectorIiiEEZZNS1_16scan_by_key_implILNS1_25lookback_scan_determinismE0ELb1ES3_N6thrust23THRUST_200600_302600_NS6detail15normal_iteratorINS9_10device_ptrIiEEEESE_SE_iNS9_4plusIvEENS9_8equal_toIvEEiEE10hipError_tPvRmT2_T3_T4_T5_mT6_T7_P12ihipStream_tbENKUlT_T0_E_clISt17integral_constantIbLb1EESY_IbLb0EEEEDaSU_SV_EUlSU_E_NS1_11comp_targetILNS1_3genE5ELNS1_11target_archE942ELNS1_3gpuE9ELNS1_3repE0EEENS1_30default_config_static_selectorELNS0_4arch9wavefront6targetE0EEEvT1_
		.amdhsa_group_segment_fixed_size 0
		.amdhsa_private_segment_fixed_size 0
		.amdhsa_kernarg_size 112
		.amdhsa_user_sgpr_count 6
		.amdhsa_user_sgpr_private_segment_buffer 1
		.amdhsa_user_sgpr_dispatch_ptr 0
		.amdhsa_user_sgpr_queue_ptr 0
		.amdhsa_user_sgpr_kernarg_segment_ptr 1
		.amdhsa_user_sgpr_dispatch_id 0
		.amdhsa_user_sgpr_flat_scratch_init 0
		.amdhsa_user_sgpr_private_segment_size 0
		.amdhsa_wavefront_size32 1
		.amdhsa_uses_dynamic_stack 0
		.amdhsa_system_sgpr_private_segment_wavefront_offset 0
		.amdhsa_system_sgpr_workgroup_id_x 1
		.amdhsa_system_sgpr_workgroup_id_y 0
		.amdhsa_system_sgpr_workgroup_id_z 0
		.amdhsa_system_sgpr_workgroup_info 0
		.amdhsa_system_vgpr_workitem_id 0
		.amdhsa_next_free_vgpr 1
		.amdhsa_next_free_sgpr 1
		.amdhsa_reserve_vcc 0
		.amdhsa_reserve_flat_scratch 0
		.amdhsa_float_round_mode_32 0
		.amdhsa_float_round_mode_16_64 0
		.amdhsa_float_denorm_mode_32 3
		.amdhsa_float_denorm_mode_16_64 3
		.amdhsa_dx10_clamp 1
		.amdhsa_ieee_mode 1
		.amdhsa_fp16_overflow 0
		.amdhsa_workgroup_processor_mode 1
		.amdhsa_memory_ordered 1
		.amdhsa_forward_progress 1
		.amdhsa_shared_vgpr_count 0
		.amdhsa_exception_fp_ieee_invalid_op 0
		.amdhsa_exception_fp_denorm_src 0
		.amdhsa_exception_fp_ieee_div_zero 0
		.amdhsa_exception_fp_ieee_overflow 0
		.amdhsa_exception_fp_ieee_underflow 0
		.amdhsa_exception_fp_ieee_inexact 0
		.amdhsa_exception_int_div_zero 0
	.end_amdhsa_kernel
	.section	.text._ZN7rocprim17ROCPRIM_400000_NS6detail17trampoline_kernelINS0_14default_configENS1_27scan_by_key_config_selectorIiiEEZZNS1_16scan_by_key_implILNS1_25lookback_scan_determinismE0ELb1ES3_N6thrust23THRUST_200600_302600_NS6detail15normal_iteratorINS9_10device_ptrIiEEEESE_SE_iNS9_4plusIvEENS9_8equal_toIvEEiEE10hipError_tPvRmT2_T3_T4_T5_mT6_T7_P12ihipStream_tbENKUlT_T0_E_clISt17integral_constantIbLb1EESY_IbLb0EEEEDaSU_SV_EUlSU_E_NS1_11comp_targetILNS1_3genE5ELNS1_11target_archE942ELNS1_3gpuE9ELNS1_3repE0EEENS1_30default_config_static_selectorELNS0_4arch9wavefront6targetE0EEEvT1_,"axG",@progbits,_ZN7rocprim17ROCPRIM_400000_NS6detail17trampoline_kernelINS0_14default_configENS1_27scan_by_key_config_selectorIiiEEZZNS1_16scan_by_key_implILNS1_25lookback_scan_determinismE0ELb1ES3_N6thrust23THRUST_200600_302600_NS6detail15normal_iteratorINS9_10device_ptrIiEEEESE_SE_iNS9_4plusIvEENS9_8equal_toIvEEiEE10hipError_tPvRmT2_T3_T4_T5_mT6_T7_P12ihipStream_tbENKUlT_T0_E_clISt17integral_constantIbLb1EESY_IbLb0EEEEDaSU_SV_EUlSU_E_NS1_11comp_targetILNS1_3genE5ELNS1_11target_archE942ELNS1_3gpuE9ELNS1_3repE0EEENS1_30default_config_static_selectorELNS0_4arch9wavefront6targetE0EEEvT1_,comdat
.Lfunc_end481:
	.size	_ZN7rocprim17ROCPRIM_400000_NS6detail17trampoline_kernelINS0_14default_configENS1_27scan_by_key_config_selectorIiiEEZZNS1_16scan_by_key_implILNS1_25lookback_scan_determinismE0ELb1ES3_N6thrust23THRUST_200600_302600_NS6detail15normal_iteratorINS9_10device_ptrIiEEEESE_SE_iNS9_4plusIvEENS9_8equal_toIvEEiEE10hipError_tPvRmT2_T3_T4_T5_mT6_T7_P12ihipStream_tbENKUlT_T0_E_clISt17integral_constantIbLb1EESY_IbLb0EEEEDaSU_SV_EUlSU_E_NS1_11comp_targetILNS1_3genE5ELNS1_11target_archE942ELNS1_3gpuE9ELNS1_3repE0EEENS1_30default_config_static_selectorELNS0_4arch9wavefront6targetE0EEEvT1_, .Lfunc_end481-_ZN7rocprim17ROCPRIM_400000_NS6detail17trampoline_kernelINS0_14default_configENS1_27scan_by_key_config_selectorIiiEEZZNS1_16scan_by_key_implILNS1_25lookback_scan_determinismE0ELb1ES3_N6thrust23THRUST_200600_302600_NS6detail15normal_iteratorINS9_10device_ptrIiEEEESE_SE_iNS9_4plusIvEENS9_8equal_toIvEEiEE10hipError_tPvRmT2_T3_T4_T5_mT6_T7_P12ihipStream_tbENKUlT_T0_E_clISt17integral_constantIbLb1EESY_IbLb0EEEEDaSU_SV_EUlSU_E_NS1_11comp_targetILNS1_3genE5ELNS1_11target_archE942ELNS1_3gpuE9ELNS1_3repE0EEENS1_30default_config_static_selectorELNS0_4arch9wavefront6targetE0EEEvT1_
                                        ; -- End function
	.set _ZN7rocprim17ROCPRIM_400000_NS6detail17trampoline_kernelINS0_14default_configENS1_27scan_by_key_config_selectorIiiEEZZNS1_16scan_by_key_implILNS1_25lookback_scan_determinismE0ELb1ES3_N6thrust23THRUST_200600_302600_NS6detail15normal_iteratorINS9_10device_ptrIiEEEESE_SE_iNS9_4plusIvEENS9_8equal_toIvEEiEE10hipError_tPvRmT2_T3_T4_T5_mT6_T7_P12ihipStream_tbENKUlT_T0_E_clISt17integral_constantIbLb1EESY_IbLb0EEEEDaSU_SV_EUlSU_E_NS1_11comp_targetILNS1_3genE5ELNS1_11target_archE942ELNS1_3gpuE9ELNS1_3repE0EEENS1_30default_config_static_selectorELNS0_4arch9wavefront6targetE0EEEvT1_.num_vgpr, 0
	.set _ZN7rocprim17ROCPRIM_400000_NS6detail17trampoline_kernelINS0_14default_configENS1_27scan_by_key_config_selectorIiiEEZZNS1_16scan_by_key_implILNS1_25lookback_scan_determinismE0ELb1ES3_N6thrust23THRUST_200600_302600_NS6detail15normal_iteratorINS9_10device_ptrIiEEEESE_SE_iNS9_4plusIvEENS9_8equal_toIvEEiEE10hipError_tPvRmT2_T3_T4_T5_mT6_T7_P12ihipStream_tbENKUlT_T0_E_clISt17integral_constantIbLb1EESY_IbLb0EEEEDaSU_SV_EUlSU_E_NS1_11comp_targetILNS1_3genE5ELNS1_11target_archE942ELNS1_3gpuE9ELNS1_3repE0EEENS1_30default_config_static_selectorELNS0_4arch9wavefront6targetE0EEEvT1_.num_agpr, 0
	.set _ZN7rocprim17ROCPRIM_400000_NS6detail17trampoline_kernelINS0_14default_configENS1_27scan_by_key_config_selectorIiiEEZZNS1_16scan_by_key_implILNS1_25lookback_scan_determinismE0ELb1ES3_N6thrust23THRUST_200600_302600_NS6detail15normal_iteratorINS9_10device_ptrIiEEEESE_SE_iNS9_4plusIvEENS9_8equal_toIvEEiEE10hipError_tPvRmT2_T3_T4_T5_mT6_T7_P12ihipStream_tbENKUlT_T0_E_clISt17integral_constantIbLb1EESY_IbLb0EEEEDaSU_SV_EUlSU_E_NS1_11comp_targetILNS1_3genE5ELNS1_11target_archE942ELNS1_3gpuE9ELNS1_3repE0EEENS1_30default_config_static_selectorELNS0_4arch9wavefront6targetE0EEEvT1_.numbered_sgpr, 0
	.set _ZN7rocprim17ROCPRIM_400000_NS6detail17trampoline_kernelINS0_14default_configENS1_27scan_by_key_config_selectorIiiEEZZNS1_16scan_by_key_implILNS1_25lookback_scan_determinismE0ELb1ES3_N6thrust23THRUST_200600_302600_NS6detail15normal_iteratorINS9_10device_ptrIiEEEESE_SE_iNS9_4plusIvEENS9_8equal_toIvEEiEE10hipError_tPvRmT2_T3_T4_T5_mT6_T7_P12ihipStream_tbENKUlT_T0_E_clISt17integral_constantIbLb1EESY_IbLb0EEEEDaSU_SV_EUlSU_E_NS1_11comp_targetILNS1_3genE5ELNS1_11target_archE942ELNS1_3gpuE9ELNS1_3repE0EEENS1_30default_config_static_selectorELNS0_4arch9wavefront6targetE0EEEvT1_.num_named_barrier, 0
	.set _ZN7rocprim17ROCPRIM_400000_NS6detail17trampoline_kernelINS0_14default_configENS1_27scan_by_key_config_selectorIiiEEZZNS1_16scan_by_key_implILNS1_25lookback_scan_determinismE0ELb1ES3_N6thrust23THRUST_200600_302600_NS6detail15normal_iteratorINS9_10device_ptrIiEEEESE_SE_iNS9_4plusIvEENS9_8equal_toIvEEiEE10hipError_tPvRmT2_T3_T4_T5_mT6_T7_P12ihipStream_tbENKUlT_T0_E_clISt17integral_constantIbLb1EESY_IbLb0EEEEDaSU_SV_EUlSU_E_NS1_11comp_targetILNS1_3genE5ELNS1_11target_archE942ELNS1_3gpuE9ELNS1_3repE0EEENS1_30default_config_static_selectorELNS0_4arch9wavefront6targetE0EEEvT1_.private_seg_size, 0
	.set _ZN7rocprim17ROCPRIM_400000_NS6detail17trampoline_kernelINS0_14default_configENS1_27scan_by_key_config_selectorIiiEEZZNS1_16scan_by_key_implILNS1_25lookback_scan_determinismE0ELb1ES3_N6thrust23THRUST_200600_302600_NS6detail15normal_iteratorINS9_10device_ptrIiEEEESE_SE_iNS9_4plusIvEENS9_8equal_toIvEEiEE10hipError_tPvRmT2_T3_T4_T5_mT6_T7_P12ihipStream_tbENKUlT_T0_E_clISt17integral_constantIbLb1EESY_IbLb0EEEEDaSU_SV_EUlSU_E_NS1_11comp_targetILNS1_3genE5ELNS1_11target_archE942ELNS1_3gpuE9ELNS1_3repE0EEENS1_30default_config_static_selectorELNS0_4arch9wavefront6targetE0EEEvT1_.uses_vcc, 0
	.set _ZN7rocprim17ROCPRIM_400000_NS6detail17trampoline_kernelINS0_14default_configENS1_27scan_by_key_config_selectorIiiEEZZNS1_16scan_by_key_implILNS1_25lookback_scan_determinismE0ELb1ES3_N6thrust23THRUST_200600_302600_NS6detail15normal_iteratorINS9_10device_ptrIiEEEESE_SE_iNS9_4plusIvEENS9_8equal_toIvEEiEE10hipError_tPvRmT2_T3_T4_T5_mT6_T7_P12ihipStream_tbENKUlT_T0_E_clISt17integral_constantIbLb1EESY_IbLb0EEEEDaSU_SV_EUlSU_E_NS1_11comp_targetILNS1_3genE5ELNS1_11target_archE942ELNS1_3gpuE9ELNS1_3repE0EEENS1_30default_config_static_selectorELNS0_4arch9wavefront6targetE0EEEvT1_.uses_flat_scratch, 0
	.set _ZN7rocprim17ROCPRIM_400000_NS6detail17trampoline_kernelINS0_14default_configENS1_27scan_by_key_config_selectorIiiEEZZNS1_16scan_by_key_implILNS1_25lookback_scan_determinismE0ELb1ES3_N6thrust23THRUST_200600_302600_NS6detail15normal_iteratorINS9_10device_ptrIiEEEESE_SE_iNS9_4plusIvEENS9_8equal_toIvEEiEE10hipError_tPvRmT2_T3_T4_T5_mT6_T7_P12ihipStream_tbENKUlT_T0_E_clISt17integral_constantIbLb1EESY_IbLb0EEEEDaSU_SV_EUlSU_E_NS1_11comp_targetILNS1_3genE5ELNS1_11target_archE942ELNS1_3gpuE9ELNS1_3repE0EEENS1_30default_config_static_selectorELNS0_4arch9wavefront6targetE0EEEvT1_.has_dyn_sized_stack, 0
	.set _ZN7rocprim17ROCPRIM_400000_NS6detail17trampoline_kernelINS0_14default_configENS1_27scan_by_key_config_selectorIiiEEZZNS1_16scan_by_key_implILNS1_25lookback_scan_determinismE0ELb1ES3_N6thrust23THRUST_200600_302600_NS6detail15normal_iteratorINS9_10device_ptrIiEEEESE_SE_iNS9_4plusIvEENS9_8equal_toIvEEiEE10hipError_tPvRmT2_T3_T4_T5_mT6_T7_P12ihipStream_tbENKUlT_T0_E_clISt17integral_constantIbLb1EESY_IbLb0EEEEDaSU_SV_EUlSU_E_NS1_11comp_targetILNS1_3genE5ELNS1_11target_archE942ELNS1_3gpuE9ELNS1_3repE0EEENS1_30default_config_static_selectorELNS0_4arch9wavefront6targetE0EEEvT1_.has_recursion, 0
	.set _ZN7rocprim17ROCPRIM_400000_NS6detail17trampoline_kernelINS0_14default_configENS1_27scan_by_key_config_selectorIiiEEZZNS1_16scan_by_key_implILNS1_25lookback_scan_determinismE0ELb1ES3_N6thrust23THRUST_200600_302600_NS6detail15normal_iteratorINS9_10device_ptrIiEEEESE_SE_iNS9_4plusIvEENS9_8equal_toIvEEiEE10hipError_tPvRmT2_T3_T4_T5_mT6_T7_P12ihipStream_tbENKUlT_T0_E_clISt17integral_constantIbLb1EESY_IbLb0EEEEDaSU_SV_EUlSU_E_NS1_11comp_targetILNS1_3genE5ELNS1_11target_archE942ELNS1_3gpuE9ELNS1_3repE0EEENS1_30default_config_static_selectorELNS0_4arch9wavefront6targetE0EEEvT1_.has_indirect_call, 0
	.section	.AMDGPU.csdata,"",@progbits
; Kernel info:
; codeLenInByte = 0
; TotalNumSgprs: 0
; NumVgprs: 0
; ScratchSize: 0
; MemoryBound: 0
; FloatMode: 240
; IeeeMode: 1
; LDSByteSize: 0 bytes/workgroup (compile time only)
; SGPRBlocks: 0
; VGPRBlocks: 0
; NumSGPRsForWavesPerEU: 1
; NumVGPRsForWavesPerEU: 1
; Occupancy: 16
; WaveLimiterHint : 0
; COMPUTE_PGM_RSRC2:SCRATCH_EN: 0
; COMPUTE_PGM_RSRC2:USER_SGPR: 6
; COMPUTE_PGM_RSRC2:TRAP_HANDLER: 0
; COMPUTE_PGM_RSRC2:TGID_X_EN: 1
; COMPUTE_PGM_RSRC2:TGID_Y_EN: 0
; COMPUTE_PGM_RSRC2:TGID_Z_EN: 0
; COMPUTE_PGM_RSRC2:TIDIG_COMP_CNT: 0
	.section	.text._ZN7rocprim17ROCPRIM_400000_NS6detail17trampoline_kernelINS0_14default_configENS1_27scan_by_key_config_selectorIiiEEZZNS1_16scan_by_key_implILNS1_25lookback_scan_determinismE0ELb1ES3_N6thrust23THRUST_200600_302600_NS6detail15normal_iteratorINS9_10device_ptrIiEEEESE_SE_iNS9_4plusIvEENS9_8equal_toIvEEiEE10hipError_tPvRmT2_T3_T4_T5_mT6_T7_P12ihipStream_tbENKUlT_T0_E_clISt17integral_constantIbLb1EESY_IbLb0EEEEDaSU_SV_EUlSU_E_NS1_11comp_targetILNS1_3genE4ELNS1_11target_archE910ELNS1_3gpuE8ELNS1_3repE0EEENS1_30default_config_static_selectorELNS0_4arch9wavefront6targetE0EEEvT1_,"axG",@progbits,_ZN7rocprim17ROCPRIM_400000_NS6detail17trampoline_kernelINS0_14default_configENS1_27scan_by_key_config_selectorIiiEEZZNS1_16scan_by_key_implILNS1_25lookback_scan_determinismE0ELb1ES3_N6thrust23THRUST_200600_302600_NS6detail15normal_iteratorINS9_10device_ptrIiEEEESE_SE_iNS9_4plusIvEENS9_8equal_toIvEEiEE10hipError_tPvRmT2_T3_T4_T5_mT6_T7_P12ihipStream_tbENKUlT_T0_E_clISt17integral_constantIbLb1EESY_IbLb0EEEEDaSU_SV_EUlSU_E_NS1_11comp_targetILNS1_3genE4ELNS1_11target_archE910ELNS1_3gpuE8ELNS1_3repE0EEENS1_30default_config_static_selectorELNS0_4arch9wavefront6targetE0EEEvT1_,comdat
	.protected	_ZN7rocprim17ROCPRIM_400000_NS6detail17trampoline_kernelINS0_14default_configENS1_27scan_by_key_config_selectorIiiEEZZNS1_16scan_by_key_implILNS1_25lookback_scan_determinismE0ELb1ES3_N6thrust23THRUST_200600_302600_NS6detail15normal_iteratorINS9_10device_ptrIiEEEESE_SE_iNS9_4plusIvEENS9_8equal_toIvEEiEE10hipError_tPvRmT2_T3_T4_T5_mT6_T7_P12ihipStream_tbENKUlT_T0_E_clISt17integral_constantIbLb1EESY_IbLb0EEEEDaSU_SV_EUlSU_E_NS1_11comp_targetILNS1_3genE4ELNS1_11target_archE910ELNS1_3gpuE8ELNS1_3repE0EEENS1_30default_config_static_selectorELNS0_4arch9wavefront6targetE0EEEvT1_ ; -- Begin function _ZN7rocprim17ROCPRIM_400000_NS6detail17trampoline_kernelINS0_14default_configENS1_27scan_by_key_config_selectorIiiEEZZNS1_16scan_by_key_implILNS1_25lookback_scan_determinismE0ELb1ES3_N6thrust23THRUST_200600_302600_NS6detail15normal_iteratorINS9_10device_ptrIiEEEESE_SE_iNS9_4plusIvEENS9_8equal_toIvEEiEE10hipError_tPvRmT2_T3_T4_T5_mT6_T7_P12ihipStream_tbENKUlT_T0_E_clISt17integral_constantIbLb1EESY_IbLb0EEEEDaSU_SV_EUlSU_E_NS1_11comp_targetILNS1_3genE4ELNS1_11target_archE910ELNS1_3gpuE8ELNS1_3repE0EEENS1_30default_config_static_selectorELNS0_4arch9wavefront6targetE0EEEvT1_
	.globl	_ZN7rocprim17ROCPRIM_400000_NS6detail17trampoline_kernelINS0_14default_configENS1_27scan_by_key_config_selectorIiiEEZZNS1_16scan_by_key_implILNS1_25lookback_scan_determinismE0ELb1ES3_N6thrust23THRUST_200600_302600_NS6detail15normal_iteratorINS9_10device_ptrIiEEEESE_SE_iNS9_4plusIvEENS9_8equal_toIvEEiEE10hipError_tPvRmT2_T3_T4_T5_mT6_T7_P12ihipStream_tbENKUlT_T0_E_clISt17integral_constantIbLb1EESY_IbLb0EEEEDaSU_SV_EUlSU_E_NS1_11comp_targetILNS1_3genE4ELNS1_11target_archE910ELNS1_3gpuE8ELNS1_3repE0EEENS1_30default_config_static_selectorELNS0_4arch9wavefront6targetE0EEEvT1_
	.p2align	8
	.type	_ZN7rocprim17ROCPRIM_400000_NS6detail17trampoline_kernelINS0_14default_configENS1_27scan_by_key_config_selectorIiiEEZZNS1_16scan_by_key_implILNS1_25lookback_scan_determinismE0ELb1ES3_N6thrust23THRUST_200600_302600_NS6detail15normal_iteratorINS9_10device_ptrIiEEEESE_SE_iNS9_4plusIvEENS9_8equal_toIvEEiEE10hipError_tPvRmT2_T3_T4_T5_mT6_T7_P12ihipStream_tbENKUlT_T0_E_clISt17integral_constantIbLb1EESY_IbLb0EEEEDaSU_SV_EUlSU_E_NS1_11comp_targetILNS1_3genE4ELNS1_11target_archE910ELNS1_3gpuE8ELNS1_3repE0EEENS1_30default_config_static_selectorELNS0_4arch9wavefront6targetE0EEEvT1_,@function
_ZN7rocprim17ROCPRIM_400000_NS6detail17trampoline_kernelINS0_14default_configENS1_27scan_by_key_config_selectorIiiEEZZNS1_16scan_by_key_implILNS1_25lookback_scan_determinismE0ELb1ES3_N6thrust23THRUST_200600_302600_NS6detail15normal_iteratorINS9_10device_ptrIiEEEESE_SE_iNS9_4plusIvEENS9_8equal_toIvEEiEE10hipError_tPvRmT2_T3_T4_T5_mT6_T7_P12ihipStream_tbENKUlT_T0_E_clISt17integral_constantIbLb1EESY_IbLb0EEEEDaSU_SV_EUlSU_E_NS1_11comp_targetILNS1_3genE4ELNS1_11target_archE910ELNS1_3gpuE8ELNS1_3repE0EEENS1_30default_config_static_selectorELNS0_4arch9wavefront6targetE0EEEvT1_: ; @_ZN7rocprim17ROCPRIM_400000_NS6detail17trampoline_kernelINS0_14default_configENS1_27scan_by_key_config_selectorIiiEEZZNS1_16scan_by_key_implILNS1_25lookback_scan_determinismE0ELb1ES3_N6thrust23THRUST_200600_302600_NS6detail15normal_iteratorINS9_10device_ptrIiEEEESE_SE_iNS9_4plusIvEENS9_8equal_toIvEEiEE10hipError_tPvRmT2_T3_T4_T5_mT6_T7_P12ihipStream_tbENKUlT_T0_E_clISt17integral_constantIbLb1EESY_IbLb0EEEEDaSU_SV_EUlSU_E_NS1_11comp_targetILNS1_3genE4ELNS1_11target_archE910ELNS1_3gpuE8ELNS1_3repE0EEENS1_30default_config_static_selectorELNS0_4arch9wavefront6targetE0EEEvT1_
; %bb.0:
	.section	.rodata,"a",@progbits
	.p2align	6, 0x0
	.amdhsa_kernel _ZN7rocprim17ROCPRIM_400000_NS6detail17trampoline_kernelINS0_14default_configENS1_27scan_by_key_config_selectorIiiEEZZNS1_16scan_by_key_implILNS1_25lookback_scan_determinismE0ELb1ES3_N6thrust23THRUST_200600_302600_NS6detail15normal_iteratorINS9_10device_ptrIiEEEESE_SE_iNS9_4plusIvEENS9_8equal_toIvEEiEE10hipError_tPvRmT2_T3_T4_T5_mT6_T7_P12ihipStream_tbENKUlT_T0_E_clISt17integral_constantIbLb1EESY_IbLb0EEEEDaSU_SV_EUlSU_E_NS1_11comp_targetILNS1_3genE4ELNS1_11target_archE910ELNS1_3gpuE8ELNS1_3repE0EEENS1_30default_config_static_selectorELNS0_4arch9wavefront6targetE0EEEvT1_
		.amdhsa_group_segment_fixed_size 0
		.amdhsa_private_segment_fixed_size 0
		.amdhsa_kernarg_size 112
		.amdhsa_user_sgpr_count 6
		.amdhsa_user_sgpr_private_segment_buffer 1
		.amdhsa_user_sgpr_dispatch_ptr 0
		.amdhsa_user_sgpr_queue_ptr 0
		.amdhsa_user_sgpr_kernarg_segment_ptr 1
		.amdhsa_user_sgpr_dispatch_id 0
		.amdhsa_user_sgpr_flat_scratch_init 0
		.amdhsa_user_sgpr_private_segment_size 0
		.amdhsa_wavefront_size32 1
		.amdhsa_uses_dynamic_stack 0
		.amdhsa_system_sgpr_private_segment_wavefront_offset 0
		.amdhsa_system_sgpr_workgroup_id_x 1
		.amdhsa_system_sgpr_workgroup_id_y 0
		.amdhsa_system_sgpr_workgroup_id_z 0
		.amdhsa_system_sgpr_workgroup_info 0
		.amdhsa_system_vgpr_workitem_id 0
		.amdhsa_next_free_vgpr 1
		.amdhsa_next_free_sgpr 1
		.amdhsa_reserve_vcc 0
		.amdhsa_reserve_flat_scratch 0
		.amdhsa_float_round_mode_32 0
		.amdhsa_float_round_mode_16_64 0
		.amdhsa_float_denorm_mode_32 3
		.amdhsa_float_denorm_mode_16_64 3
		.amdhsa_dx10_clamp 1
		.amdhsa_ieee_mode 1
		.amdhsa_fp16_overflow 0
		.amdhsa_workgroup_processor_mode 1
		.amdhsa_memory_ordered 1
		.amdhsa_forward_progress 1
		.amdhsa_shared_vgpr_count 0
		.amdhsa_exception_fp_ieee_invalid_op 0
		.amdhsa_exception_fp_denorm_src 0
		.amdhsa_exception_fp_ieee_div_zero 0
		.amdhsa_exception_fp_ieee_overflow 0
		.amdhsa_exception_fp_ieee_underflow 0
		.amdhsa_exception_fp_ieee_inexact 0
		.amdhsa_exception_int_div_zero 0
	.end_amdhsa_kernel
	.section	.text._ZN7rocprim17ROCPRIM_400000_NS6detail17trampoline_kernelINS0_14default_configENS1_27scan_by_key_config_selectorIiiEEZZNS1_16scan_by_key_implILNS1_25lookback_scan_determinismE0ELb1ES3_N6thrust23THRUST_200600_302600_NS6detail15normal_iteratorINS9_10device_ptrIiEEEESE_SE_iNS9_4plusIvEENS9_8equal_toIvEEiEE10hipError_tPvRmT2_T3_T4_T5_mT6_T7_P12ihipStream_tbENKUlT_T0_E_clISt17integral_constantIbLb1EESY_IbLb0EEEEDaSU_SV_EUlSU_E_NS1_11comp_targetILNS1_3genE4ELNS1_11target_archE910ELNS1_3gpuE8ELNS1_3repE0EEENS1_30default_config_static_selectorELNS0_4arch9wavefront6targetE0EEEvT1_,"axG",@progbits,_ZN7rocprim17ROCPRIM_400000_NS6detail17trampoline_kernelINS0_14default_configENS1_27scan_by_key_config_selectorIiiEEZZNS1_16scan_by_key_implILNS1_25lookback_scan_determinismE0ELb1ES3_N6thrust23THRUST_200600_302600_NS6detail15normal_iteratorINS9_10device_ptrIiEEEESE_SE_iNS9_4plusIvEENS9_8equal_toIvEEiEE10hipError_tPvRmT2_T3_T4_T5_mT6_T7_P12ihipStream_tbENKUlT_T0_E_clISt17integral_constantIbLb1EESY_IbLb0EEEEDaSU_SV_EUlSU_E_NS1_11comp_targetILNS1_3genE4ELNS1_11target_archE910ELNS1_3gpuE8ELNS1_3repE0EEENS1_30default_config_static_selectorELNS0_4arch9wavefront6targetE0EEEvT1_,comdat
.Lfunc_end482:
	.size	_ZN7rocprim17ROCPRIM_400000_NS6detail17trampoline_kernelINS0_14default_configENS1_27scan_by_key_config_selectorIiiEEZZNS1_16scan_by_key_implILNS1_25lookback_scan_determinismE0ELb1ES3_N6thrust23THRUST_200600_302600_NS6detail15normal_iteratorINS9_10device_ptrIiEEEESE_SE_iNS9_4plusIvEENS9_8equal_toIvEEiEE10hipError_tPvRmT2_T3_T4_T5_mT6_T7_P12ihipStream_tbENKUlT_T0_E_clISt17integral_constantIbLb1EESY_IbLb0EEEEDaSU_SV_EUlSU_E_NS1_11comp_targetILNS1_3genE4ELNS1_11target_archE910ELNS1_3gpuE8ELNS1_3repE0EEENS1_30default_config_static_selectorELNS0_4arch9wavefront6targetE0EEEvT1_, .Lfunc_end482-_ZN7rocprim17ROCPRIM_400000_NS6detail17trampoline_kernelINS0_14default_configENS1_27scan_by_key_config_selectorIiiEEZZNS1_16scan_by_key_implILNS1_25lookback_scan_determinismE0ELb1ES3_N6thrust23THRUST_200600_302600_NS6detail15normal_iteratorINS9_10device_ptrIiEEEESE_SE_iNS9_4plusIvEENS9_8equal_toIvEEiEE10hipError_tPvRmT2_T3_T4_T5_mT6_T7_P12ihipStream_tbENKUlT_T0_E_clISt17integral_constantIbLb1EESY_IbLb0EEEEDaSU_SV_EUlSU_E_NS1_11comp_targetILNS1_3genE4ELNS1_11target_archE910ELNS1_3gpuE8ELNS1_3repE0EEENS1_30default_config_static_selectorELNS0_4arch9wavefront6targetE0EEEvT1_
                                        ; -- End function
	.set _ZN7rocprim17ROCPRIM_400000_NS6detail17trampoline_kernelINS0_14default_configENS1_27scan_by_key_config_selectorIiiEEZZNS1_16scan_by_key_implILNS1_25lookback_scan_determinismE0ELb1ES3_N6thrust23THRUST_200600_302600_NS6detail15normal_iteratorINS9_10device_ptrIiEEEESE_SE_iNS9_4plusIvEENS9_8equal_toIvEEiEE10hipError_tPvRmT2_T3_T4_T5_mT6_T7_P12ihipStream_tbENKUlT_T0_E_clISt17integral_constantIbLb1EESY_IbLb0EEEEDaSU_SV_EUlSU_E_NS1_11comp_targetILNS1_3genE4ELNS1_11target_archE910ELNS1_3gpuE8ELNS1_3repE0EEENS1_30default_config_static_selectorELNS0_4arch9wavefront6targetE0EEEvT1_.num_vgpr, 0
	.set _ZN7rocprim17ROCPRIM_400000_NS6detail17trampoline_kernelINS0_14default_configENS1_27scan_by_key_config_selectorIiiEEZZNS1_16scan_by_key_implILNS1_25lookback_scan_determinismE0ELb1ES3_N6thrust23THRUST_200600_302600_NS6detail15normal_iteratorINS9_10device_ptrIiEEEESE_SE_iNS9_4plusIvEENS9_8equal_toIvEEiEE10hipError_tPvRmT2_T3_T4_T5_mT6_T7_P12ihipStream_tbENKUlT_T0_E_clISt17integral_constantIbLb1EESY_IbLb0EEEEDaSU_SV_EUlSU_E_NS1_11comp_targetILNS1_3genE4ELNS1_11target_archE910ELNS1_3gpuE8ELNS1_3repE0EEENS1_30default_config_static_selectorELNS0_4arch9wavefront6targetE0EEEvT1_.num_agpr, 0
	.set _ZN7rocprim17ROCPRIM_400000_NS6detail17trampoline_kernelINS0_14default_configENS1_27scan_by_key_config_selectorIiiEEZZNS1_16scan_by_key_implILNS1_25lookback_scan_determinismE0ELb1ES3_N6thrust23THRUST_200600_302600_NS6detail15normal_iteratorINS9_10device_ptrIiEEEESE_SE_iNS9_4plusIvEENS9_8equal_toIvEEiEE10hipError_tPvRmT2_T3_T4_T5_mT6_T7_P12ihipStream_tbENKUlT_T0_E_clISt17integral_constantIbLb1EESY_IbLb0EEEEDaSU_SV_EUlSU_E_NS1_11comp_targetILNS1_3genE4ELNS1_11target_archE910ELNS1_3gpuE8ELNS1_3repE0EEENS1_30default_config_static_selectorELNS0_4arch9wavefront6targetE0EEEvT1_.numbered_sgpr, 0
	.set _ZN7rocprim17ROCPRIM_400000_NS6detail17trampoline_kernelINS0_14default_configENS1_27scan_by_key_config_selectorIiiEEZZNS1_16scan_by_key_implILNS1_25lookback_scan_determinismE0ELb1ES3_N6thrust23THRUST_200600_302600_NS6detail15normal_iteratorINS9_10device_ptrIiEEEESE_SE_iNS9_4plusIvEENS9_8equal_toIvEEiEE10hipError_tPvRmT2_T3_T4_T5_mT6_T7_P12ihipStream_tbENKUlT_T0_E_clISt17integral_constantIbLb1EESY_IbLb0EEEEDaSU_SV_EUlSU_E_NS1_11comp_targetILNS1_3genE4ELNS1_11target_archE910ELNS1_3gpuE8ELNS1_3repE0EEENS1_30default_config_static_selectorELNS0_4arch9wavefront6targetE0EEEvT1_.num_named_barrier, 0
	.set _ZN7rocprim17ROCPRIM_400000_NS6detail17trampoline_kernelINS0_14default_configENS1_27scan_by_key_config_selectorIiiEEZZNS1_16scan_by_key_implILNS1_25lookback_scan_determinismE0ELb1ES3_N6thrust23THRUST_200600_302600_NS6detail15normal_iteratorINS9_10device_ptrIiEEEESE_SE_iNS9_4plusIvEENS9_8equal_toIvEEiEE10hipError_tPvRmT2_T3_T4_T5_mT6_T7_P12ihipStream_tbENKUlT_T0_E_clISt17integral_constantIbLb1EESY_IbLb0EEEEDaSU_SV_EUlSU_E_NS1_11comp_targetILNS1_3genE4ELNS1_11target_archE910ELNS1_3gpuE8ELNS1_3repE0EEENS1_30default_config_static_selectorELNS0_4arch9wavefront6targetE0EEEvT1_.private_seg_size, 0
	.set _ZN7rocprim17ROCPRIM_400000_NS6detail17trampoline_kernelINS0_14default_configENS1_27scan_by_key_config_selectorIiiEEZZNS1_16scan_by_key_implILNS1_25lookback_scan_determinismE0ELb1ES3_N6thrust23THRUST_200600_302600_NS6detail15normal_iteratorINS9_10device_ptrIiEEEESE_SE_iNS9_4plusIvEENS9_8equal_toIvEEiEE10hipError_tPvRmT2_T3_T4_T5_mT6_T7_P12ihipStream_tbENKUlT_T0_E_clISt17integral_constantIbLb1EESY_IbLb0EEEEDaSU_SV_EUlSU_E_NS1_11comp_targetILNS1_3genE4ELNS1_11target_archE910ELNS1_3gpuE8ELNS1_3repE0EEENS1_30default_config_static_selectorELNS0_4arch9wavefront6targetE0EEEvT1_.uses_vcc, 0
	.set _ZN7rocprim17ROCPRIM_400000_NS6detail17trampoline_kernelINS0_14default_configENS1_27scan_by_key_config_selectorIiiEEZZNS1_16scan_by_key_implILNS1_25lookback_scan_determinismE0ELb1ES3_N6thrust23THRUST_200600_302600_NS6detail15normal_iteratorINS9_10device_ptrIiEEEESE_SE_iNS9_4plusIvEENS9_8equal_toIvEEiEE10hipError_tPvRmT2_T3_T4_T5_mT6_T7_P12ihipStream_tbENKUlT_T0_E_clISt17integral_constantIbLb1EESY_IbLb0EEEEDaSU_SV_EUlSU_E_NS1_11comp_targetILNS1_3genE4ELNS1_11target_archE910ELNS1_3gpuE8ELNS1_3repE0EEENS1_30default_config_static_selectorELNS0_4arch9wavefront6targetE0EEEvT1_.uses_flat_scratch, 0
	.set _ZN7rocprim17ROCPRIM_400000_NS6detail17trampoline_kernelINS0_14default_configENS1_27scan_by_key_config_selectorIiiEEZZNS1_16scan_by_key_implILNS1_25lookback_scan_determinismE0ELb1ES3_N6thrust23THRUST_200600_302600_NS6detail15normal_iteratorINS9_10device_ptrIiEEEESE_SE_iNS9_4plusIvEENS9_8equal_toIvEEiEE10hipError_tPvRmT2_T3_T4_T5_mT6_T7_P12ihipStream_tbENKUlT_T0_E_clISt17integral_constantIbLb1EESY_IbLb0EEEEDaSU_SV_EUlSU_E_NS1_11comp_targetILNS1_3genE4ELNS1_11target_archE910ELNS1_3gpuE8ELNS1_3repE0EEENS1_30default_config_static_selectorELNS0_4arch9wavefront6targetE0EEEvT1_.has_dyn_sized_stack, 0
	.set _ZN7rocprim17ROCPRIM_400000_NS6detail17trampoline_kernelINS0_14default_configENS1_27scan_by_key_config_selectorIiiEEZZNS1_16scan_by_key_implILNS1_25lookback_scan_determinismE0ELb1ES3_N6thrust23THRUST_200600_302600_NS6detail15normal_iteratorINS9_10device_ptrIiEEEESE_SE_iNS9_4plusIvEENS9_8equal_toIvEEiEE10hipError_tPvRmT2_T3_T4_T5_mT6_T7_P12ihipStream_tbENKUlT_T0_E_clISt17integral_constantIbLb1EESY_IbLb0EEEEDaSU_SV_EUlSU_E_NS1_11comp_targetILNS1_3genE4ELNS1_11target_archE910ELNS1_3gpuE8ELNS1_3repE0EEENS1_30default_config_static_selectorELNS0_4arch9wavefront6targetE0EEEvT1_.has_recursion, 0
	.set _ZN7rocprim17ROCPRIM_400000_NS6detail17trampoline_kernelINS0_14default_configENS1_27scan_by_key_config_selectorIiiEEZZNS1_16scan_by_key_implILNS1_25lookback_scan_determinismE0ELb1ES3_N6thrust23THRUST_200600_302600_NS6detail15normal_iteratorINS9_10device_ptrIiEEEESE_SE_iNS9_4plusIvEENS9_8equal_toIvEEiEE10hipError_tPvRmT2_T3_T4_T5_mT6_T7_P12ihipStream_tbENKUlT_T0_E_clISt17integral_constantIbLb1EESY_IbLb0EEEEDaSU_SV_EUlSU_E_NS1_11comp_targetILNS1_3genE4ELNS1_11target_archE910ELNS1_3gpuE8ELNS1_3repE0EEENS1_30default_config_static_selectorELNS0_4arch9wavefront6targetE0EEEvT1_.has_indirect_call, 0
	.section	.AMDGPU.csdata,"",@progbits
; Kernel info:
; codeLenInByte = 0
; TotalNumSgprs: 0
; NumVgprs: 0
; ScratchSize: 0
; MemoryBound: 0
; FloatMode: 240
; IeeeMode: 1
; LDSByteSize: 0 bytes/workgroup (compile time only)
; SGPRBlocks: 0
; VGPRBlocks: 0
; NumSGPRsForWavesPerEU: 1
; NumVGPRsForWavesPerEU: 1
; Occupancy: 16
; WaveLimiterHint : 0
; COMPUTE_PGM_RSRC2:SCRATCH_EN: 0
; COMPUTE_PGM_RSRC2:USER_SGPR: 6
; COMPUTE_PGM_RSRC2:TRAP_HANDLER: 0
; COMPUTE_PGM_RSRC2:TGID_X_EN: 1
; COMPUTE_PGM_RSRC2:TGID_Y_EN: 0
; COMPUTE_PGM_RSRC2:TGID_Z_EN: 0
; COMPUTE_PGM_RSRC2:TIDIG_COMP_CNT: 0
	.section	.text._ZN7rocprim17ROCPRIM_400000_NS6detail17trampoline_kernelINS0_14default_configENS1_27scan_by_key_config_selectorIiiEEZZNS1_16scan_by_key_implILNS1_25lookback_scan_determinismE0ELb1ES3_N6thrust23THRUST_200600_302600_NS6detail15normal_iteratorINS9_10device_ptrIiEEEESE_SE_iNS9_4plusIvEENS9_8equal_toIvEEiEE10hipError_tPvRmT2_T3_T4_T5_mT6_T7_P12ihipStream_tbENKUlT_T0_E_clISt17integral_constantIbLb1EESY_IbLb0EEEEDaSU_SV_EUlSU_E_NS1_11comp_targetILNS1_3genE3ELNS1_11target_archE908ELNS1_3gpuE7ELNS1_3repE0EEENS1_30default_config_static_selectorELNS0_4arch9wavefront6targetE0EEEvT1_,"axG",@progbits,_ZN7rocprim17ROCPRIM_400000_NS6detail17trampoline_kernelINS0_14default_configENS1_27scan_by_key_config_selectorIiiEEZZNS1_16scan_by_key_implILNS1_25lookback_scan_determinismE0ELb1ES3_N6thrust23THRUST_200600_302600_NS6detail15normal_iteratorINS9_10device_ptrIiEEEESE_SE_iNS9_4plusIvEENS9_8equal_toIvEEiEE10hipError_tPvRmT2_T3_T4_T5_mT6_T7_P12ihipStream_tbENKUlT_T0_E_clISt17integral_constantIbLb1EESY_IbLb0EEEEDaSU_SV_EUlSU_E_NS1_11comp_targetILNS1_3genE3ELNS1_11target_archE908ELNS1_3gpuE7ELNS1_3repE0EEENS1_30default_config_static_selectorELNS0_4arch9wavefront6targetE0EEEvT1_,comdat
	.protected	_ZN7rocprim17ROCPRIM_400000_NS6detail17trampoline_kernelINS0_14default_configENS1_27scan_by_key_config_selectorIiiEEZZNS1_16scan_by_key_implILNS1_25lookback_scan_determinismE0ELb1ES3_N6thrust23THRUST_200600_302600_NS6detail15normal_iteratorINS9_10device_ptrIiEEEESE_SE_iNS9_4plusIvEENS9_8equal_toIvEEiEE10hipError_tPvRmT2_T3_T4_T5_mT6_T7_P12ihipStream_tbENKUlT_T0_E_clISt17integral_constantIbLb1EESY_IbLb0EEEEDaSU_SV_EUlSU_E_NS1_11comp_targetILNS1_3genE3ELNS1_11target_archE908ELNS1_3gpuE7ELNS1_3repE0EEENS1_30default_config_static_selectorELNS0_4arch9wavefront6targetE0EEEvT1_ ; -- Begin function _ZN7rocprim17ROCPRIM_400000_NS6detail17trampoline_kernelINS0_14default_configENS1_27scan_by_key_config_selectorIiiEEZZNS1_16scan_by_key_implILNS1_25lookback_scan_determinismE0ELb1ES3_N6thrust23THRUST_200600_302600_NS6detail15normal_iteratorINS9_10device_ptrIiEEEESE_SE_iNS9_4plusIvEENS9_8equal_toIvEEiEE10hipError_tPvRmT2_T3_T4_T5_mT6_T7_P12ihipStream_tbENKUlT_T0_E_clISt17integral_constantIbLb1EESY_IbLb0EEEEDaSU_SV_EUlSU_E_NS1_11comp_targetILNS1_3genE3ELNS1_11target_archE908ELNS1_3gpuE7ELNS1_3repE0EEENS1_30default_config_static_selectorELNS0_4arch9wavefront6targetE0EEEvT1_
	.globl	_ZN7rocprim17ROCPRIM_400000_NS6detail17trampoline_kernelINS0_14default_configENS1_27scan_by_key_config_selectorIiiEEZZNS1_16scan_by_key_implILNS1_25lookback_scan_determinismE0ELb1ES3_N6thrust23THRUST_200600_302600_NS6detail15normal_iteratorINS9_10device_ptrIiEEEESE_SE_iNS9_4plusIvEENS9_8equal_toIvEEiEE10hipError_tPvRmT2_T3_T4_T5_mT6_T7_P12ihipStream_tbENKUlT_T0_E_clISt17integral_constantIbLb1EESY_IbLb0EEEEDaSU_SV_EUlSU_E_NS1_11comp_targetILNS1_3genE3ELNS1_11target_archE908ELNS1_3gpuE7ELNS1_3repE0EEENS1_30default_config_static_selectorELNS0_4arch9wavefront6targetE0EEEvT1_
	.p2align	8
	.type	_ZN7rocprim17ROCPRIM_400000_NS6detail17trampoline_kernelINS0_14default_configENS1_27scan_by_key_config_selectorIiiEEZZNS1_16scan_by_key_implILNS1_25lookback_scan_determinismE0ELb1ES3_N6thrust23THRUST_200600_302600_NS6detail15normal_iteratorINS9_10device_ptrIiEEEESE_SE_iNS9_4plusIvEENS9_8equal_toIvEEiEE10hipError_tPvRmT2_T3_T4_T5_mT6_T7_P12ihipStream_tbENKUlT_T0_E_clISt17integral_constantIbLb1EESY_IbLb0EEEEDaSU_SV_EUlSU_E_NS1_11comp_targetILNS1_3genE3ELNS1_11target_archE908ELNS1_3gpuE7ELNS1_3repE0EEENS1_30default_config_static_selectorELNS0_4arch9wavefront6targetE0EEEvT1_,@function
_ZN7rocprim17ROCPRIM_400000_NS6detail17trampoline_kernelINS0_14default_configENS1_27scan_by_key_config_selectorIiiEEZZNS1_16scan_by_key_implILNS1_25lookback_scan_determinismE0ELb1ES3_N6thrust23THRUST_200600_302600_NS6detail15normal_iteratorINS9_10device_ptrIiEEEESE_SE_iNS9_4plusIvEENS9_8equal_toIvEEiEE10hipError_tPvRmT2_T3_T4_T5_mT6_T7_P12ihipStream_tbENKUlT_T0_E_clISt17integral_constantIbLb1EESY_IbLb0EEEEDaSU_SV_EUlSU_E_NS1_11comp_targetILNS1_3genE3ELNS1_11target_archE908ELNS1_3gpuE7ELNS1_3repE0EEENS1_30default_config_static_selectorELNS0_4arch9wavefront6targetE0EEEvT1_: ; @_ZN7rocprim17ROCPRIM_400000_NS6detail17trampoline_kernelINS0_14default_configENS1_27scan_by_key_config_selectorIiiEEZZNS1_16scan_by_key_implILNS1_25lookback_scan_determinismE0ELb1ES3_N6thrust23THRUST_200600_302600_NS6detail15normal_iteratorINS9_10device_ptrIiEEEESE_SE_iNS9_4plusIvEENS9_8equal_toIvEEiEE10hipError_tPvRmT2_T3_T4_T5_mT6_T7_P12ihipStream_tbENKUlT_T0_E_clISt17integral_constantIbLb1EESY_IbLb0EEEEDaSU_SV_EUlSU_E_NS1_11comp_targetILNS1_3genE3ELNS1_11target_archE908ELNS1_3gpuE7ELNS1_3repE0EEENS1_30default_config_static_selectorELNS0_4arch9wavefront6targetE0EEEvT1_
; %bb.0:
	.section	.rodata,"a",@progbits
	.p2align	6, 0x0
	.amdhsa_kernel _ZN7rocprim17ROCPRIM_400000_NS6detail17trampoline_kernelINS0_14default_configENS1_27scan_by_key_config_selectorIiiEEZZNS1_16scan_by_key_implILNS1_25lookback_scan_determinismE0ELb1ES3_N6thrust23THRUST_200600_302600_NS6detail15normal_iteratorINS9_10device_ptrIiEEEESE_SE_iNS9_4plusIvEENS9_8equal_toIvEEiEE10hipError_tPvRmT2_T3_T4_T5_mT6_T7_P12ihipStream_tbENKUlT_T0_E_clISt17integral_constantIbLb1EESY_IbLb0EEEEDaSU_SV_EUlSU_E_NS1_11comp_targetILNS1_3genE3ELNS1_11target_archE908ELNS1_3gpuE7ELNS1_3repE0EEENS1_30default_config_static_selectorELNS0_4arch9wavefront6targetE0EEEvT1_
		.amdhsa_group_segment_fixed_size 0
		.amdhsa_private_segment_fixed_size 0
		.amdhsa_kernarg_size 112
		.amdhsa_user_sgpr_count 6
		.amdhsa_user_sgpr_private_segment_buffer 1
		.amdhsa_user_sgpr_dispatch_ptr 0
		.amdhsa_user_sgpr_queue_ptr 0
		.amdhsa_user_sgpr_kernarg_segment_ptr 1
		.amdhsa_user_sgpr_dispatch_id 0
		.amdhsa_user_sgpr_flat_scratch_init 0
		.amdhsa_user_sgpr_private_segment_size 0
		.amdhsa_wavefront_size32 1
		.amdhsa_uses_dynamic_stack 0
		.amdhsa_system_sgpr_private_segment_wavefront_offset 0
		.amdhsa_system_sgpr_workgroup_id_x 1
		.amdhsa_system_sgpr_workgroup_id_y 0
		.amdhsa_system_sgpr_workgroup_id_z 0
		.amdhsa_system_sgpr_workgroup_info 0
		.amdhsa_system_vgpr_workitem_id 0
		.amdhsa_next_free_vgpr 1
		.amdhsa_next_free_sgpr 1
		.amdhsa_reserve_vcc 0
		.amdhsa_reserve_flat_scratch 0
		.amdhsa_float_round_mode_32 0
		.amdhsa_float_round_mode_16_64 0
		.amdhsa_float_denorm_mode_32 3
		.amdhsa_float_denorm_mode_16_64 3
		.amdhsa_dx10_clamp 1
		.amdhsa_ieee_mode 1
		.amdhsa_fp16_overflow 0
		.amdhsa_workgroup_processor_mode 1
		.amdhsa_memory_ordered 1
		.amdhsa_forward_progress 1
		.amdhsa_shared_vgpr_count 0
		.amdhsa_exception_fp_ieee_invalid_op 0
		.amdhsa_exception_fp_denorm_src 0
		.amdhsa_exception_fp_ieee_div_zero 0
		.amdhsa_exception_fp_ieee_overflow 0
		.amdhsa_exception_fp_ieee_underflow 0
		.amdhsa_exception_fp_ieee_inexact 0
		.amdhsa_exception_int_div_zero 0
	.end_amdhsa_kernel
	.section	.text._ZN7rocprim17ROCPRIM_400000_NS6detail17trampoline_kernelINS0_14default_configENS1_27scan_by_key_config_selectorIiiEEZZNS1_16scan_by_key_implILNS1_25lookback_scan_determinismE0ELb1ES3_N6thrust23THRUST_200600_302600_NS6detail15normal_iteratorINS9_10device_ptrIiEEEESE_SE_iNS9_4plusIvEENS9_8equal_toIvEEiEE10hipError_tPvRmT2_T3_T4_T5_mT6_T7_P12ihipStream_tbENKUlT_T0_E_clISt17integral_constantIbLb1EESY_IbLb0EEEEDaSU_SV_EUlSU_E_NS1_11comp_targetILNS1_3genE3ELNS1_11target_archE908ELNS1_3gpuE7ELNS1_3repE0EEENS1_30default_config_static_selectorELNS0_4arch9wavefront6targetE0EEEvT1_,"axG",@progbits,_ZN7rocprim17ROCPRIM_400000_NS6detail17trampoline_kernelINS0_14default_configENS1_27scan_by_key_config_selectorIiiEEZZNS1_16scan_by_key_implILNS1_25lookback_scan_determinismE0ELb1ES3_N6thrust23THRUST_200600_302600_NS6detail15normal_iteratorINS9_10device_ptrIiEEEESE_SE_iNS9_4plusIvEENS9_8equal_toIvEEiEE10hipError_tPvRmT2_T3_T4_T5_mT6_T7_P12ihipStream_tbENKUlT_T0_E_clISt17integral_constantIbLb1EESY_IbLb0EEEEDaSU_SV_EUlSU_E_NS1_11comp_targetILNS1_3genE3ELNS1_11target_archE908ELNS1_3gpuE7ELNS1_3repE0EEENS1_30default_config_static_selectorELNS0_4arch9wavefront6targetE0EEEvT1_,comdat
.Lfunc_end483:
	.size	_ZN7rocprim17ROCPRIM_400000_NS6detail17trampoline_kernelINS0_14default_configENS1_27scan_by_key_config_selectorIiiEEZZNS1_16scan_by_key_implILNS1_25lookback_scan_determinismE0ELb1ES3_N6thrust23THRUST_200600_302600_NS6detail15normal_iteratorINS9_10device_ptrIiEEEESE_SE_iNS9_4plusIvEENS9_8equal_toIvEEiEE10hipError_tPvRmT2_T3_T4_T5_mT6_T7_P12ihipStream_tbENKUlT_T0_E_clISt17integral_constantIbLb1EESY_IbLb0EEEEDaSU_SV_EUlSU_E_NS1_11comp_targetILNS1_3genE3ELNS1_11target_archE908ELNS1_3gpuE7ELNS1_3repE0EEENS1_30default_config_static_selectorELNS0_4arch9wavefront6targetE0EEEvT1_, .Lfunc_end483-_ZN7rocprim17ROCPRIM_400000_NS6detail17trampoline_kernelINS0_14default_configENS1_27scan_by_key_config_selectorIiiEEZZNS1_16scan_by_key_implILNS1_25lookback_scan_determinismE0ELb1ES3_N6thrust23THRUST_200600_302600_NS6detail15normal_iteratorINS9_10device_ptrIiEEEESE_SE_iNS9_4plusIvEENS9_8equal_toIvEEiEE10hipError_tPvRmT2_T3_T4_T5_mT6_T7_P12ihipStream_tbENKUlT_T0_E_clISt17integral_constantIbLb1EESY_IbLb0EEEEDaSU_SV_EUlSU_E_NS1_11comp_targetILNS1_3genE3ELNS1_11target_archE908ELNS1_3gpuE7ELNS1_3repE0EEENS1_30default_config_static_selectorELNS0_4arch9wavefront6targetE0EEEvT1_
                                        ; -- End function
	.set _ZN7rocprim17ROCPRIM_400000_NS6detail17trampoline_kernelINS0_14default_configENS1_27scan_by_key_config_selectorIiiEEZZNS1_16scan_by_key_implILNS1_25lookback_scan_determinismE0ELb1ES3_N6thrust23THRUST_200600_302600_NS6detail15normal_iteratorINS9_10device_ptrIiEEEESE_SE_iNS9_4plusIvEENS9_8equal_toIvEEiEE10hipError_tPvRmT2_T3_T4_T5_mT6_T7_P12ihipStream_tbENKUlT_T0_E_clISt17integral_constantIbLb1EESY_IbLb0EEEEDaSU_SV_EUlSU_E_NS1_11comp_targetILNS1_3genE3ELNS1_11target_archE908ELNS1_3gpuE7ELNS1_3repE0EEENS1_30default_config_static_selectorELNS0_4arch9wavefront6targetE0EEEvT1_.num_vgpr, 0
	.set _ZN7rocprim17ROCPRIM_400000_NS6detail17trampoline_kernelINS0_14default_configENS1_27scan_by_key_config_selectorIiiEEZZNS1_16scan_by_key_implILNS1_25lookback_scan_determinismE0ELb1ES3_N6thrust23THRUST_200600_302600_NS6detail15normal_iteratorINS9_10device_ptrIiEEEESE_SE_iNS9_4plusIvEENS9_8equal_toIvEEiEE10hipError_tPvRmT2_T3_T4_T5_mT6_T7_P12ihipStream_tbENKUlT_T0_E_clISt17integral_constantIbLb1EESY_IbLb0EEEEDaSU_SV_EUlSU_E_NS1_11comp_targetILNS1_3genE3ELNS1_11target_archE908ELNS1_3gpuE7ELNS1_3repE0EEENS1_30default_config_static_selectorELNS0_4arch9wavefront6targetE0EEEvT1_.num_agpr, 0
	.set _ZN7rocprim17ROCPRIM_400000_NS6detail17trampoline_kernelINS0_14default_configENS1_27scan_by_key_config_selectorIiiEEZZNS1_16scan_by_key_implILNS1_25lookback_scan_determinismE0ELb1ES3_N6thrust23THRUST_200600_302600_NS6detail15normal_iteratorINS9_10device_ptrIiEEEESE_SE_iNS9_4plusIvEENS9_8equal_toIvEEiEE10hipError_tPvRmT2_T3_T4_T5_mT6_T7_P12ihipStream_tbENKUlT_T0_E_clISt17integral_constantIbLb1EESY_IbLb0EEEEDaSU_SV_EUlSU_E_NS1_11comp_targetILNS1_3genE3ELNS1_11target_archE908ELNS1_3gpuE7ELNS1_3repE0EEENS1_30default_config_static_selectorELNS0_4arch9wavefront6targetE0EEEvT1_.numbered_sgpr, 0
	.set _ZN7rocprim17ROCPRIM_400000_NS6detail17trampoline_kernelINS0_14default_configENS1_27scan_by_key_config_selectorIiiEEZZNS1_16scan_by_key_implILNS1_25lookback_scan_determinismE0ELb1ES3_N6thrust23THRUST_200600_302600_NS6detail15normal_iteratorINS9_10device_ptrIiEEEESE_SE_iNS9_4plusIvEENS9_8equal_toIvEEiEE10hipError_tPvRmT2_T3_T4_T5_mT6_T7_P12ihipStream_tbENKUlT_T0_E_clISt17integral_constantIbLb1EESY_IbLb0EEEEDaSU_SV_EUlSU_E_NS1_11comp_targetILNS1_3genE3ELNS1_11target_archE908ELNS1_3gpuE7ELNS1_3repE0EEENS1_30default_config_static_selectorELNS0_4arch9wavefront6targetE0EEEvT1_.num_named_barrier, 0
	.set _ZN7rocprim17ROCPRIM_400000_NS6detail17trampoline_kernelINS0_14default_configENS1_27scan_by_key_config_selectorIiiEEZZNS1_16scan_by_key_implILNS1_25lookback_scan_determinismE0ELb1ES3_N6thrust23THRUST_200600_302600_NS6detail15normal_iteratorINS9_10device_ptrIiEEEESE_SE_iNS9_4plusIvEENS9_8equal_toIvEEiEE10hipError_tPvRmT2_T3_T4_T5_mT6_T7_P12ihipStream_tbENKUlT_T0_E_clISt17integral_constantIbLb1EESY_IbLb0EEEEDaSU_SV_EUlSU_E_NS1_11comp_targetILNS1_3genE3ELNS1_11target_archE908ELNS1_3gpuE7ELNS1_3repE0EEENS1_30default_config_static_selectorELNS0_4arch9wavefront6targetE0EEEvT1_.private_seg_size, 0
	.set _ZN7rocprim17ROCPRIM_400000_NS6detail17trampoline_kernelINS0_14default_configENS1_27scan_by_key_config_selectorIiiEEZZNS1_16scan_by_key_implILNS1_25lookback_scan_determinismE0ELb1ES3_N6thrust23THRUST_200600_302600_NS6detail15normal_iteratorINS9_10device_ptrIiEEEESE_SE_iNS9_4plusIvEENS9_8equal_toIvEEiEE10hipError_tPvRmT2_T3_T4_T5_mT6_T7_P12ihipStream_tbENKUlT_T0_E_clISt17integral_constantIbLb1EESY_IbLb0EEEEDaSU_SV_EUlSU_E_NS1_11comp_targetILNS1_3genE3ELNS1_11target_archE908ELNS1_3gpuE7ELNS1_3repE0EEENS1_30default_config_static_selectorELNS0_4arch9wavefront6targetE0EEEvT1_.uses_vcc, 0
	.set _ZN7rocprim17ROCPRIM_400000_NS6detail17trampoline_kernelINS0_14default_configENS1_27scan_by_key_config_selectorIiiEEZZNS1_16scan_by_key_implILNS1_25lookback_scan_determinismE0ELb1ES3_N6thrust23THRUST_200600_302600_NS6detail15normal_iteratorINS9_10device_ptrIiEEEESE_SE_iNS9_4plusIvEENS9_8equal_toIvEEiEE10hipError_tPvRmT2_T3_T4_T5_mT6_T7_P12ihipStream_tbENKUlT_T0_E_clISt17integral_constantIbLb1EESY_IbLb0EEEEDaSU_SV_EUlSU_E_NS1_11comp_targetILNS1_3genE3ELNS1_11target_archE908ELNS1_3gpuE7ELNS1_3repE0EEENS1_30default_config_static_selectorELNS0_4arch9wavefront6targetE0EEEvT1_.uses_flat_scratch, 0
	.set _ZN7rocprim17ROCPRIM_400000_NS6detail17trampoline_kernelINS0_14default_configENS1_27scan_by_key_config_selectorIiiEEZZNS1_16scan_by_key_implILNS1_25lookback_scan_determinismE0ELb1ES3_N6thrust23THRUST_200600_302600_NS6detail15normal_iteratorINS9_10device_ptrIiEEEESE_SE_iNS9_4plusIvEENS9_8equal_toIvEEiEE10hipError_tPvRmT2_T3_T4_T5_mT6_T7_P12ihipStream_tbENKUlT_T0_E_clISt17integral_constantIbLb1EESY_IbLb0EEEEDaSU_SV_EUlSU_E_NS1_11comp_targetILNS1_3genE3ELNS1_11target_archE908ELNS1_3gpuE7ELNS1_3repE0EEENS1_30default_config_static_selectorELNS0_4arch9wavefront6targetE0EEEvT1_.has_dyn_sized_stack, 0
	.set _ZN7rocprim17ROCPRIM_400000_NS6detail17trampoline_kernelINS0_14default_configENS1_27scan_by_key_config_selectorIiiEEZZNS1_16scan_by_key_implILNS1_25lookback_scan_determinismE0ELb1ES3_N6thrust23THRUST_200600_302600_NS6detail15normal_iteratorINS9_10device_ptrIiEEEESE_SE_iNS9_4plusIvEENS9_8equal_toIvEEiEE10hipError_tPvRmT2_T3_T4_T5_mT6_T7_P12ihipStream_tbENKUlT_T0_E_clISt17integral_constantIbLb1EESY_IbLb0EEEEDaSU_SV_EUlSU_E_NS1_11comp_targetILNS1_3genE3ELNS1_11target_archE908ELNS1_3gpuE7ELNS1_3repE0EEENS1_30default_config_static_selectorELNS0_4arch9wavefront6targetE0EEEvT1_.has_recursion, 0
	.set _ZN7rocprim17ROCPRIM_400000_NS6detail17trampoline_kernelINS0_14default_configENS1_27scan_by_key_config_selectorIiiEEZZNS1_16scan_by_key_implILNS1_25lookback_scan_determinismE0ELb1ES3_N6thrust23THRUST_200600_302600_NS6detail15normal_iteratorINS9_10device_ptrIiEEEESE_SE_iNS9_4plusIvEENS9_8equal_toIvEEiEE10hipError_tPvRmT2_T3_T4_T5_mT6_T7_P12ihipStream_tbENKUlT_T0_E_clISt17integral_constantIbLb1EESY_IbLb0EEEEDaSU_SV_EUlSU_E_NS1_11comp_targetILNS1_3genE3ELNS1_11target_archE908ELNS1_3gpuE7ELNS1_3repE0EEENS1_30default_config_static_selectorELNS0_4arch9wavefront6targetE0EEEvT1_.has_indirect_call, 0
	.section	.AMDGPU.csdata,"",@progbits
; Kernel info:
; codeLenInByte = 0
; TotalNumSgprs: 0
; NumVgprs: 0
; ScratchSize: 0
; MemoryBound: 0
; FloatMode: 240
; IeeeMode: 1
; LDSByteSize: 0 bytes/workgroup (compile time only)
; SGPRBlocks: 0
; VGPRBlocks: 0
; NumSGPRsForWavesPerEU: 1
; NumVGPRsForWavesPerEU: 1
; Occupancy: 16
; WaveLimiterHint : 0
; COMPUTE_PGM_RSRC2:SCRATCH_EN: 0
; COMPUTE_PGM_RSRC2:USER_SGPR: 6
; COMPUTE_PGM_RSRC2:TRAP_HANDLER: 0
; COMPUTE_PGM_RSRC2:TGID_X_EN: 1
; COMPUTE_PGM_RSRC2:TGID_Y_EN: 0
; COMPUTE_PGM_RSRC2:TGID_Z_EN: 0
; COMPUTE_PGM_RSRC2:TIDIG_COMP_CNT: 0
	.section	.text._ZN7rocprim17ROCPRIM_400000_NS6detail17trampoline_kernelINS0_14default_configENS1_27scan_by_key_config_selectorIiiEEZZNS1_16scan_by_key_implILNS1_25lookback_scan_determinismE0ELb1ES3_N6thrust23THRUST_200600_302600_NS6detail15normal_iteratorINS9_10device_ptrIiEEEESE_SE_iNS9_4plusIvEENS9_8equal_toIvEEiEE10hipError_tPvRmT2_T3_T4_T5_mT6_T7_P12ihipStream_tbENKUlT_T0_E_clISt17integral_constantIbLb1EESY_IbLb0EEEEDaSU_SV_EUlSU_E_NS1_11comp_targetILNS1_3genE2ELNS1_11target_archE906ELNS1_3gpuE6ELNS1_3repE0EEENS1_30default_config_static_selectorELNS0_4arch9wavefront6targetE0EEEvT1_,"axG",@progbits,_ZN7rocprim17ROCPRIM_400000_NS6detail17trampoline_kernelINS0_14default_configENS1_27scan_by_key_config_selectorIiiEEZZNS1_16scan_by_key_implILNS1_25lookback_scan_determinismE0ELb1ES3_N6thrust23THRUST_200600_302600_NS6detail15normal_iteratorINS9_10device_ptrIiEEEESE_SE_iNS9_4plusIvEENS9_8equal_toIvEEiEE10hipError_tPvRmT2_T3_T4_T5_mT6_T7_P12ihipStream_tbENKUlT_T0_E_clISt17integral_constantIbLb1EESY_IbLb0EEEEDaSU_SV_EUlSU_E_NS1_11comp_targetILNS1_3genE2ELNS1_11target_archE906ELNS1_3gpuE6ELNS1_3repE0EEENS1_30default_config_static_selectorELNS0_4arch9wavefront6targetE0EEEvT1_,comdat
	.protected	_ZN7rocprim17ROCPRIM_400000_NS6detail17trampoline_kernelINS0_14default_configENS1_27scan_by_key_config_selectorIiiEEZZNS1_16scan_by_key_implILNS1_25lookback_scan_determinismE0ELb1ES3_N6thrust23THRUST_200600_302600_NS6detail15normal_iteratorINS9_10device_ptrIiEEEESE_SE_iNS9_4plusIvEENS9_8equal_toIvEEiEE10hipError_tPvRmT2_T3_T4_T5_mT6_T7_P12ihipStream_tbENKUlT_T0_E_clISt17integral_constantIbLb1EESY_IbLb0EEEEDaSU_SV_EUlSU_E_NS1_11comp_targetILNS1_3genE2ELNS1_11target_archE906ELNS1_3gpuE6ELNS1_3repE0EEENS1_30default_config_static_selectorELNS0_4arch9wavefront6targetE0EEEvT1_ ; -- Begin function _ZN7rocprim17ROCPRIM_400000_NS6detail17trampoline_kernelINS0_14default_configENS1_27scan_by_key_config_selectorIiiEEZZNS1_16scan_by_key_implILNS1_25lookback_scan_determinismE0ELb1ES3_N6thrust23THRUST_200600_302600_NS6detail15normal_iteratorINS9_10device_ptrIiEEEESE_SE_iNS9_4plusIvEENS9_8equal_toIvEEiEE10hipError_tPvRmT2_T3_T4_T5_mT6_T7_P12ihipStream_tbENKUlT_T0_E_clISt17integral_constantIbLb1EESY_IbLb0EEEEDaSU_SV_EUlSU_E_NS1_11comp_targetILNS1_3genE2ELNS1_11target_archE906ELNS1_3gpuE6ELNS1_3repE0EEENS1_30default_config_static_selectorELNS0_4arch9wavefront6targetE0EEEvT1_
	.globl	_ZN7rocprim17ROCPRIM_400000_NS6detail17trampoline_kernelINS0_14default_configENS1_27scan_by_key_config_selectorIiiEEZZNS1_16scan_by_key_implILNS1_25lookback_scan_determinismE0ELb1ES3_N6thrust23THRUST_200600_302600_NS6detail15normal_iteratorINS9_10device_ptrIiEEEESE_SE_iNS9_4plusIvEENS9_8equal_toIvEEiEE10hipError_tPvRmT2_T3_T4_T5_mT6_T7_P12ihipStream_tbENKUlT_T0_E_clISt17integral_constantIbLb1EESY_IbLb0EEEEDaSU_SV_EUlSU_E_NS1_11comp_targetILNS1_3genE2ELNS1_11target_archE906ELNS1_3gpuE6ELNS1_3repE0EEENS1_30default_config_static_selectorELNS0_4arch9wavefront6targetE0EEEvT1_
	.p2align	8
	.type	_ZN7rocprim17ROCPRIM_400000_NS6detail17trampoline_kernelINS0_14default_configENS1_27scan_by_key_config_selectorIiiEEZZNS1_16scan_by_key_implILNS1_25lookback_scan_determinismE0ELb1ES3_N6thrust23THRUST_200600_302600_NS6detail15normal_iteratorINS9_10device_ptrIiEEEESE_SE_iNS9_4plusIvEENS9_8equal_toIvEEiEE10hipError_tPvRmT2_T3_T4_T5_mT6_T7_P12ihipStream_tbENKUlT_T0_E_clISt17integral_constantIbLb1EESY_IbLb0EEEEDaSU_SV_EUlSU_E_NS1_11comp_targetILNS1_3genE2ELNS1_11target_archE906ELNS1_3gpuE6ELNS1_3repE0EEENS1_30default_config_static_selectorELNS0_4arch9wavefront6targetE0EEEvT1_,@function
_ZN7rocprim17ROCPRIM_400000_NS6detail17trampoline_kernelINS0_14default_configENS1_27scan_by_key_config_selectorIiiEEZZNS1_16scan_by_key_implILNS1_25lookback_scan_determinismE0ELb1ES3_N6thrust23THRUST_200600_302600_NS6detail15normal_iteratorINS9_10device_ptrIiEEEESE_SE_iNS9_4plusIvEENS9_8equal_toIvEEiEE10hipError_tPvRmT2_T3_T4_T5_mT6_T7_P12ihipStream_tbENKUlT_T0_E_clISt17integral_constantIbLb1EESY_IbLb0EEEEDaSU_SV_EUlSU_E_NS1_11comp_targetILNS1_3genE2ELNS1_11target_archE906ELNS1_3gpuE6ELNS1_3repE0EEENS1_30default_config_static_selectorELNS0_4arch9wavefront6targetE0EEEvT1_: ; @_ZN7rocprim17ROCPRIM_400000_NS6detail17trampoline_kernelINS0_14default_configENS1_27scan_by_key_config_selectorIiiEEZZNS1_16scan_by_key_implILNS1_25lookback_scan_determinismE0ELb1ES3_N6thrust23THRUST_200600_302600_NS6detail15normal_iteratorINS9_10device_ptrIiEEEESE_SE_iNS9_4plusIvEENS9_8equal_toIvEEiEE10hipError_tPvRmT2_T3_T4_T5_mT6_T7_P12ihipStream_tbENKUlT_T0_E_clISt17integral_constantIbLb1EESY_IbLb0EEEEDaSU_SV_EUlSU_E_NS1_11comp_targetILNS1_3genE2ELNS1_11target_archE906ELNS1_3gpuE6ELNS1_3repE0EEENS1_30default_config_static_selectorELNS0_4arch9wavefront6targetE0EEEvT1_
; %bb.0:
	.section	.rodata,"a",@progbits
	.p2align	6, 0x0
	.amdhsa_kernel _ZN7rocprim17ROCPRIM_400000_NS6detail17trampoline_kernelINS0_14default_configENS1_27scan_by_key_config_selectorIiiEEZZNS1_16scan_by_key_implILNS1_25lookback_scan_determinismE0ELb1ES3_N6thrust23THRUST_200600_302600_NS6detail15normal_iteratorINS9_10device_ptrIiEEEESE_SE_iNS9_4plusIvEENS9_8equal_toIvEEiEE10hipError_tPvRmT2_T3_T4_T5_mT6_T7_P12ihipStream_tbENKUlT_T0_E_clISt17integral_constantIbLb1EESY_IbLb0EEEEDaSU_SV_EUlSU_E_NS1_11comp_targetILNS1_3genE2ELNS1_11target_archE906ELNS1_3gpuE6ELNS1_3repE0EEENS1_30default_config_static_selectorELNS0_4arch9wavefront6targetE0EEEvT1_
		.amdhsa_group_segment_fixed_size 0
		.amdhsa_private_segment_fixed_size 0
		.amdhsa_kernarg_size 112
		.amdhsa_user_sgpr_count 6
		.amdhsa_user_sgpr_private_segment_buffer 1
		.amdhsa_user_sgpr_dispatch_ptr 0
		.amdhsa_user_sgpr_queue_ptr 0
		.amdhsa_user_sgpr_kernarg_segment_ptr 1
		.amdhsa_user_sgpr_dispatch_id 0
		.amdhsa_user_sgpr_flat_scratch_init 0
		.amdhsa_user_sgpr_private_segment_size 0
		.amdhsa_wavefront_size32 1
		.amdhsa_uses_dynamic_stack 0
		.amdhsa_system_sgpr_private_segment_wavefront_offset 0
		.amdhsa_system_sgpr_workgroup_id_x 1
		.amdhsa_system_sgpr_workgroup_id_y 0
		.amdhsa_system_sgpr_workgroup_id_z 0
		.amdhsa_system_sgpr_workgroup_info 0
		.amdhsa_system_vgpr_workitem_id 0
		.amdhsa_next_free_vgpr 1
		.amdhsa_next_free_sgpr 1
		.amdhsa_reserve_vcc 0
		.amdhsa_reserve_flat_scratch 0
		.amdhsa_float_round_mode_32 0
		.amdhsa_float_round_mode_16_64 0
		.amdhsa_float_denorm_mode_32 3
		.amdhsa_float_denorm_mode_16_64 3
		.amdhsa_dx10_clamp 1
		.amdhsa_ieee_mode 1
		.amdhsa_fp16_overflow 0
		.amdhsa_workgroup_processor_mode 1
		.amdhsa_memory_ordered 1
		.amdhsa_forward_progress 1
		.amdhsa_shared_vgpr_count 0
		.amdhsa_exception_fp_ieee_invalid_op 0
		.amdhsa_exception_fp_denorm_src 0
		.amdhsa_exception_fp_ieee_div_zero 0
		.amdhsa_exception_fp_ieee_overflow 0
		.amdhsa_exception_fp_ieee_underflow 0
		.amdhsa_exception_fp_ieee_inexact 0
		.amdhsa_exception_int_div_zero 0
	.end_amdhsa_kernel
	.section	.text._ZN7rocprim17ROCPRIM_400000_NS6detail17trampoline_kernelINS0_14default_configENS1_27scan_by_key_config_selectorIiiEEZZNS1_16scan_by_key_implILNS1_25lookback_scan_determinismE0ELb1ES3_N6thrust23THRUST_200600_302600_NS6detail15normal_iteratorINS9_10device_ptrIiEEEESE_SE_iNS9_4plusIvEENS9_8equal_toIvEEiEE10hipError_tPvRmT2_T3_T4_T5_mT6_T7_P12ihipStream_tbENKUlT_T0_E_clISt17integral_constantIbLb1EESY_IbLb0EEEEDaSU_SV_EUlSU_E_NS1_11comp_targetILNS1_3genE2ELNS1_11target_archE906ELNS1_3gpuE6ELNS1_3repE0EEENS1_30default_config_static_selectorELNS0_4arch9wavefront6targetE0EEEvT1_,"axG",@progbits,_ZN7rocprim17ROCPRIM_400000_NS6detail17trampoline_kernelINS0_14default_configENS1_27scan_by_key_config_selectorIiiEEZZNS1_16scan_by_key_implILNS1_25lookback_scan_determinismE0ELb1ES3_N6thrust23THRUST_200600_302600_NS6detail15normal_iteratorINS9_10device_ptrIiEEEESE_SE_iNS9_4plusIvEENS9_8equal_toIvEEiEE10hipError_tPvRmT2_T3_T4_T5_mT6_T7_P12ihipStream_tbENKUlT_T0_E_clISt17integral_constantIbLb1EESY_IbLb0EEEEDaSU_SV_EUlSU_E_NS1_11comp_targetILNS1_3genE2ELNS1_11target_archE906ELNS1_3gpuE6ELNS1_3repE0EEENS1_30default_config_static_selectorELNS0_4arch9wavefront6targetE0EEEvT1_,comdat
.Lfunc_end484:
	.size	_ZN7rocprim17ROCPRIM_400000_NS6detail17trampoline_kernelINS0_14default_configENS1_27scan_by_key_config_selectorIiiEEZZNS1_16scan_by_key_implILNS1_25lookback_scan_determinismE0ELb1ES3_N6thrust23THRUST_200600_302600_NS6detail15normal_iteratorINS9_10device_ptrIiEEEESE_SE_iNS9_4plusIvEENS9_8equal_toIvEEiEE10hipError_tPvRmT2_T3_T4_T5_mT6_T7_P12ihipStream_tbENKUlT_T0_E_clISt17integral_constantIbLb1EESY_IbLb0EEEEDaSU_SV_EUlSU_E_NS1_11comp_targetILNS1_3genE2ELNS1_11target_archE906ELNS1_3gpuE6ELNS1_3repE0EEENS1_30default_config_static_selectorELNS0_4arch9wavefront6targetE0EEEvT1_, .Lfunc_end484-_ZN7rocprim17ROCPRIM_400000_NS6detail17trampoline_kernelINS0_14default_configENS1_27scan_by_key_config_selectorIiiEEZZNS1_16scan_by_key_implILNS1_25lookback_scan_determinismE0ELb1ES3_N6thrust23THRUST_200600_302600_NS6detail15normal_iteratorINS9_10device_ptrIiEEEESE_SE_iNS9_4plusIvEENS9_8equal_toIvEEiEE10hipError_tPvRmT2_T3_T4_T5_mT6_T7_P12ihipStream_tbENKUlT_T0_E_clISt17integral_constantIbLb1EESY_IbLb0EEEEDaSU_SV_EUlSU_E_NS1_11comp_targetILNS1_3genE2ELNS1_11target_archE906ELNS1_3gpuE6ELNS1_3repE0EEENS1_30default_config_static_selectorELNS0_4arch9wavefront6targetE0EEEvT1_
                                        ; -- End function
	.set _ZN7rocprim17ROCPRIM_400000_NS6detail17trampoline_kernelINS0_14default_configENS1_27scan_by_key_config_selectorIiiEEZZNS1_16scan_by_key_implILNS1_25lookback_scan_determinismE0ELb1ES3_N6thrust23THRUST_200600_302600_NS6detail15normal_iteratorINS9_10device_ptrIiEEEESE_SE_iNS9_4plusIvEENS9_8equal_toIvEEiEE10hipError_tPvRmT2_T3_T4_T5_mT6_T7_P12ihipStream_tbENKUlT_T0_E_clISt17integral_constantIbLb1EESY_IbLb0EEEEDaSU_SV_EUlSU_E_NS1_11comp_targetILNS1_3genE2ELNS1_11target_archE906ELNS1_3gpuE6ELNS1_3repE0EEENS1_30default_config_static_selectorELNS0_4arch9wavefront6targetE0EEEvT1_.num_vgpr, 0
	.set _ZN7rocprim17ROCPRIM_400000_NS6detail17trampoline_kernelINS0_14default_configENS1_27scan_by_key_config_selectorIiiEEZZNS1_16scan_by_key_implILNS1_25lookback_scan_determinismE0ELb1ES3_N6thrust23THRUST_200600_302600_NS6detail15normal_iteratorINS9_10device_ptrIiEEEESE_SE_iNS9_4plusIvEENS9_8equal_toIvEEiEE10hipError_tPvRmT2_T3_T4_T5_mT6_T7_P12ihipStream_tbENKUlT_T0_E_clISt17integral_constantIbLb1EESY_IbLb0EEEEDaSU_SV_EUlSU_E_NS1_11comp_targetILNS1_3genE2ELNS1_11target_archE906ELNS1_3gpuE6ELNS1_3repE0EEENS1_30default_config_static_selectorELNS0_4arch9wavefront6targetE0EEEvT1_.num_agpr, 0
	.set _ZN7rocprim17ROCPRIM_400000_NS6detail17trampoline_kernelINS0_14default_configENS1_27scan_by_key_config_selectorIiiEEZZNS1_16scan_by_key_implILNS1_25lookback_scan_determinismE0ELb1ES3_N6thrust23THRUST_200600_302600_NS6detail15normal_iteratorINS9_10device_ptrIiEEEESE_SE_iNS9_4plusIvEENS9_8equal_toIvEEiEE10hipError_tPvRmT2_T3_T4_T5_mT6_T7_P12ihipStream_tbENKUlT_T0_E_clISt17integral_constantIbLb1EESY_IbLb0EEEEDaSU_SV_EUlSU_E_NS1_11comp_targetILNS1_3genE2ELNS1_11target_archE906ELNS1_3gpuE6ELNS1_3repE0EEENS1_30default_config_static_selectorELNS0_4arch9wavefront6targetE0EEEvT1_.numbered_sgpr, 0
	.set _ZN7rocprim17ROCPRIM_400000_NS6detail17trampoline_kernelINS0_14default_configENS1_27scan_by_key_config_selectorIiiEEZZNS1_16scan_by_key_implILNS1_25lookback_scan_determinismE0ELb1ES3_N6thrust23THRUST_200600_302600_NS6detail15normal_iteratorINS9_10device_ptrIiEEEESE_SE_iNS9_4plusIvEENS9_8equal_toIvEEiEE10hipError_tPvRmT2_T3_T4_T5_mT6_T7_P12ihipStream_tbENKUlT_T0_E_clISt17integral_constantIbLb1EESY_IbLb0EEEEDaSU_SV_EUlSU_E_NS1_11comp_targetILNS1_3genE2ELNS1_11target_archE906ELNS1_3gpuE6ELNS1_3repE0EEENS1_30default_config_static_selectorELNS0_4arch9wavefront6targetE0EEEvT1_.num_named_barrier, 0
	.set _ZN7rocprim17ROCPRIM_400000_NS6detail17trampoline_kernelINS0_14default_configENS1_27scan_by_key_config_selectorIiiEEZZNS1_16scan_by_key_implILNS1_25lookback_scan_determinismE0ELb1ES3_N6thrust23THRUST_200600_302600_NS6detail15normal_iteratorINS9_10device_ptrIiEEEESE_SE_iNS9_4plusIvEENS9_8equal_toIvEEiEE10hipError_tPvRmT2_T3_T4_T5_mT6_T7_P12ihipStream_tbENKUlT_T0_E_clISt17integral_constantIbLb1EESY_IbLb0EEEEDaSU_SV_EUlSU_E_NS1_11comp_targetILNS1_3genE2ELNS1_11target_archE906ELNS1_3gpuE6ELNS1_3repE0EEENS1_30default_config_static_selectorELNS0_4arch9wavefront6targetE0EEEvT1_.private_seg_size, 0
	.set _ZN7rocprim17ROCPRIM_400000_NS6detail17trampoline_kernelINS0_14default_configENS1_27scan_by_key_config_selectorIiiEEZZNS1_16scan_by_key_implILNS1_25lookback_scan_determinismE0ELb1ES3_N6thrust23THRUST_200600_302600_NS6detail15normal_iteratorINS9_10device_ptrIiEEEESE_SE_iNS9_4plusIvEENS9_8equal_toIvEEiEE10hipError_tPvRmT2_T3_T4_T5_mT6_T7_P12ihipStream_tbENKUlT_T0_E_clISt17integral_constantIbLb1EESY_IbLb0EEEEDaSU_SV_EUlSU_E_NS1_11comp_targetILNS1_3genE2ELNS1_11target_archE906ELNS1_3gpuE6ELNS1_3repE0EEENS1_30default_config_static_selectorELNS0_4arch9wavefront6targetE0EEEvT1_.uses_vcc, 0
	.set _ZN7rocprim17ROCPRIM_400000_NS6detail17trampoline_kernelINS0_14default_configENS1_27scan_by_key_config_selectorIiiEEZZNS1_16scan_by_key_implILNS1_25lookback_scan_determinismE0ELb1ES3_N6thrust23THRUST_200600_302600_NS6detail15normal_iteratorINS9_10device_ptrIiEEEESE_SE_iNS9_4plusIvEENS9_8equal_toIvEEiEE10hipError_tPvRmT2_T3_T4_T5_mT6_T7_P12ihipStream_tbENKUlT_T0_E_clISt17integral_constantIbLb1EESY_IbLb0EEEEDaSU_SV_EUlSU_E_NS1_11comp_targetILNS1_3genE2ELNS1_11target_archE906ELNS1_3gpuE6ELNS1_3repE0EEENS1_30default_config_static_selectorELNS0_4arch9wavefront6targetE0EEEvT1_.uses_flat_scratch, 0
	.set _ZN7rocprim17ROCPRIM_400000_NS6detail17trampoline_kernelINS0_14default_configENS1_27scan_by_key_config_selectorIiiEEZZNS1_16scan_by_key_implILNS1_25lookback_scan_determinismE0ELb1ES3_N6thrust23THRUST_200600_302600_NS6detail15normal_iteratorINS9_10device_ptrIiEEEESE_SE_iNS9_4plusIvEENS9_8equal_toIvEEiEE10hipError_tPvRmT2_T3_T4_T5_mT6_T7_P12ihipStream_tbENKUlT_T0_E_clISt17integral_constantIbLb1EESY_IbLb0EEEEDaSU_SV_EUlSU_E_NS1_11comp_targetILNS1_3genE2ELNS1_11target_archE906ELNS1_3gpuE6ELNS1_3repE0EEENS1_30default_config_static_selectorELNS0_4arch9wavefront6targetE0EEEvT1_.has_dyn_sized_stack, 0
	.set _ZN7rocprim17ROCPRIM_400000_NS6detail17trampoline_kernelINS0_14default_configENS1_27scan_by_key_config_selectorIiiEEZZNS1_16scan_by_key_implILNS1_25lookback_scan_determinismE0ELb1ES3_N6thrust23THRUST_200600_302600_NS6detail15normal_iteratorINS9_10device_ptrIiEEEESE_SE_iNS9_4plusIvEENS9_8equal_toIvEEiEE10hipError_tPvRmT2_T3_T4_T5_mT6_T7_P12ihipStream_tbENKUlT_T0_E_clISt17integral_constantIbLb1EESY_IbLb0EEEEDaSU_SV_EUlSU_E_NS1_11comp_targetILNS1_3genE2ELNS1_11target_archE906ELNS1_3gpuE6ELNS1_3repE0EEENS1_30default_config_static_selectorELNS0_4arch9wavefront6targetE0EEEvT1_.has_recursion, 0
	.set _ZN7rocprim17ROCPRIM_400000_NS6detail17trampoline_kernelINS0_14default_configENS1_27scan_by_key_config_selectorIiiEEZZNS1_16scan_by_key_implILNS1_25lookback_scan_determinismE0ELb1ES3_N6thrust23THRUST_200600_302600_NS6detail15normal_iteratorINS9_10device_ptrIiEEEESE_SE_iNS9_4plusIvEENS9_8equal_toIvEEiEE10hipError_tPvRmT2_T3_T4_T5_mT6_T7_P12ihipStream_tbENKUlT_T0_E_clISt17integral_constantIbLb1EESY_IbLb0EEEEDaSU_SV_EUlSU_E_NS1_11comp_targetILNS1_3genE2ELNS1_11target_archE906ELNS1_3gpuE6ELNS1_3repE0EEENS1_30default_config_static_selectorELNS0_4arch9wavefront6targetE0EEEvT1_.has_indirect_call, 0
	.section	.AMDGPU.csdata,"",@progbits
; Kernel info:
; codeLenInByte = 0
; TotalNumSgprs: 0
; NumVgprs: 0
; ScratchSize: 0
; MemoryBound: 0
; FloatMode: 240
; IeeeMode: 1
; LDSByteSize: 0 bytes/workgroup (compile time only)
; SGPRBlocks: 0
; VGPRBlocks: 0
; NumSGPRsForWavesPerEU: 1
; NumVGPRsForWavesPerEU: 1
; Occupancy: 16
; WaveLimiterHint : 0
; COMPUTE_PGM_RSRC2:SCRATCH_EN: 0
; COMPUTE_PGM_RSRC2:USER_SGPR: 6
; COMPUTE_PGM_RSRC2:TRAP_HANDLER: 0
; COMPUTE_PGM_RSRC2:TGID_X_EN: 1
; COMPUTE_PGM_RSRC2:TGID_Y_EN: 0
; COMPUTE_PGM_RSRC2:TGID_Z_EN: 0
; COMPUTE_PGM_RSRC2:TIDIG_COMP_CNT: 0
	.section	.text._ZN7rocprim17ROCPRIM_400000_NS6detail17trampoline_kernelINS0_14default_configENS1_27scan_by_key_config_selectorIiiEEZZNS1_16scan_by_key_implILNS1_25lookback_scan_determinismE0ELb1ES3_N6thrust23THRUST_200600_302600_NS6detail15normal_iteratorINS9_10device_ptrIiEEEESE_SE_iNS9_4plusIvEENS9_8equal_toIvEEiEE10hipError_tPvRmT2_T3_T4_T5_mT6_T7_P12ihipStream_tbENKUlT_T0_E_clISt17integral_constantIbLb1EESY_IbLb0EEEEDaSU_SV_EUlSU_E_NS1_11comp_targetILNS1_3genE10ELNS1_11target_archE1200ELNS1_3gpuE4ELNS1_3repE0EEENS1_30default_config_static_selectorELNS0_4arch9wavefront6targetE0EEEvT1_,"axG",@progbits,_ZN7rocprim17ROCPRIM_400000_NS6detail17trampoline_kernelINS0_14default_configENS1_27scan_by_key_config_selectorIiiEEZZNS1_16scan_by_key_implILNS1_25lookback_scan_determinismE0ELb1ES3_N6thrust23THRUST_200600_302600_NS6detail15normal_iteratorINS9_10device_ptrIiEEEESE_SE_iNS9_4plusIvEENS9_8equal_toIvEEiEE10hipError_tPvRmT2_T3_T4_T5_mT6_T7_P12ihipStream_tbENKUlT_T0_E_clISt17integral_constantIbLb1EESY_IbLb0EEEEDaSU_SV_EUlSU_E_NS1_11comp_targetILNS1_3genE10ELNS1_11target_archE1200ELNS1_3gpuE4ELNS1_3repE0EEENS1_30default_config_static_selectorELNS0_4arch9wavefront6targetE0EEEvT1_,comdat
	.protected	_ZN7rocprim17ROCPRIM_400000_NS6detail17trampoline_kernelINS0_14default_configENS1_27scan_by_key_config_selectorIiiEEZZNS1_16scan_by_key_implILNS1_25lookback_scan_determinismE0ELb1ES3_N6thrust23THRUST_200600_302600_NS6detail15normal_iteratorINS9_10device_ptrIiEEEESE_SE_iNS9_4plusIvEENS9_8equal_toIvEEiEE10hipError_tPvRmT2_T3_T4_T5_mT6_T7_P12ihipStream_tbENKUlT_T0_E_clISt17integral_constantIbLb1EESY_IbLb0EEEEDaSU_SV_EUlSU_E_NS1_11comp_targetILNS1_3genE10ELNS1_11target_archE1200ELNS1_3gpuE4ELNS1_3repE0EEENS1_30default_config_static_selectorELNS0_4arch9wavefront6targetE0EEEvT1_ ; -- Begin function _ZN7rocprim17ROCPRIM_400000_NS6detail17trampoline_kernelINS0_14default_configENS1_27scan_by_key_config_selectorIiiEEZZNS1_16scan_by_key_implILNS1_25lookback_scan_determinismE0ELb1ES3_N6thrust23THRUST_200600_302600_NS6detail15normal_iteratorINS9_10device_ptrIiEEEESE_SE_iNS9_4plusIvEENS9_8equal_toIvEEiEE10hipError_tPvRmT2_T3_T4_T5_mT6_T7_P12ihipStream_tbENKUlT_T0_E_clISt17integral_constantIbLb1EESY_IbLb0EEEEDaSU_SV_EUlSU_E_NS1_11comp_targetILNS1_3genE10ELNS1_11target_archE1200ELNS1_3gpuE4ELNS1_3repE0EEENS1_30default_config_static_selectorELNS0_4arch9wavefront6targetE0EEEvT1_
	.globl	_ZN7rocprim17ROCPRIM_400000_NS6detail17trampoline_kernelINS0_14default_configENS1_27scan_by_key_config_selectorIiiEEZZNS1_16scan_by_key_implILNS1_25lookback_scan_determinismE0ELb1ES3_N6thrust23THRUST_200600_302600_NS6detail15normal_iteratorINS9_10device_ptrIiEEEESE_SE_iNS9_4plusIvEENS9_8equal_toIvEEiEE10hipError_tPvRmT2_T3_T4_T5_mT6_T7_P12ihipStream_tbENKUlT_T0_E_clISt17integral_constantIbLb1EESY_IbLb0EEEEDaSU_SV_EUlSU_E_NS1_11comp_targetILNS1_3genE10ELNS1_11target_archE1200ELNS1_3gpuE4ELNS1_3repE0EEENS1_30default_config_static_selectorELNS0_4arch9wavefront6targetE0EEEvT1_
	.p2align	8
	.type	_ZN7rocprim17ROCPRIM_400000_NS6detail17trampoline_kernelINS0_14default_configENS1_27scan_by_key_config_selectorIiiEEZZNS1_16scan_by_key_implILNS1_25lookback_scan_determinismE0ELb1ES3_N6thrust23THRUST_200600_302600_NS6detail15normal_iteratorINS9_10device_ptrIiEEEESE_SE_iNS9_4plusIvEENS9_8equal_toIvEEiEE10hipError_tPvRmT2_T3_T4_T5_mT6_T7_P12ihipStream_tbENKUlT_T0_E_clISt17integral_constantIbLb1EESY_IbLb0EEEEDaSU_SV_EUlSU_E_NS1_11comp_targetILNS1_3genE10ELNS1_11target_archE1200ELNS1_3gpuE4ELNS1_3repE0EEENS1_30default_config_static_selectorELNS0_4arch9wavefront6targetE0EEEvT1_,@function
_ZN7rocprim17ROCPRIM_400000_NS6detail17trampoline_kernelINS0_14default_configENS1_27scan_by_key_config_selectorIiiEEZZNS1_16scan_by_key_implILNS1_25lookback_scan_determinismE0ELb1ES3_N6thrust23THRUST_200600_302600_NS6detail15normal_iteratorINS9_10device_ptrIiEEEESE_SE_iNS9_4plusIvEENS9_8equal_toIvEEiEE10hipError_tPvRmT2_T3_T4_T5_mT6_T7_P12ihipStream_tbENKUlT_T0_E_clISt17integral_constantIbLb1EESY_IbLb0EEEEDaSU_SV_EUlSU_E_NS1_11comp_targetILNS1_3genE10ELNS1_11target_archE1200ELNS1_3gpuE4ELNS1_3repE0EEENS1_30default_config_static_selectorELNS0_4arch9wavefront6targetE0EEEvT1_: ; @_ZN7rocprim17ROCPRIM_400000_NS6detail17trampoline_kernelINS0_14default_configENS1_27scan_by_key_config_selectorIiiEEZZNS1_16scan_by_key_implILNS1_25lookback_scan_determinismE0ELb1ES3_N6thrust23THRUST_200600_302600_NS6detail15normal_iteratorINS9_10device_ptrIiEEEESE_SE_iNS9_4plusIvEENS9_8equal_toIvEEiEE10hipError_tPvRmT2_T3_T4_T5_mT6_T7_P12ihipStream_tbENKUlT_T0_E_clISt17integral_constantIbLb1EESY_IbLb0EEEEDaSU_SV_EUlSU_E_NS1_11comp_targetILNS1_3genE10ELNS1_11target_archE1200ELNS1_3gpuE4ELNS1_3repE0EEENS1_30default_config_static_selectorELNS0_4arch9wavefront6targetE0EEEvT1_
; %bb.0:
	.section	.rodata,"a",@progbits
	.p2align	6, 0x0
	.amdhsa_kernel _ZN7rocprim17ROCPRIM_400000_NS6detail17trampoline_kernelINS0_14default_configENS1_27scan_by_key_config_selectorIiiEEZZNS1_16scan_by_key_implILNS1_25lookback_scan_determinismE0ELb1ES3_N6thrust23THRUST_200600_302600_NS6detail15normal_iteratorINS9_10device_ptrIiEEEESE_SE_iNS9_4plusIvEENS9_8equal_toIvEEiEE10hipError_tPvRmT2_T3_T4_T5_mT6_T7_P12ihipStream_tbENKUlT_T0_E_clISt17integral_constantIbLb1EESY_IbLb0EEEEDaSU_SV_EUlSU_E_NS1_11comp_targetILNS1_3genE10ELNS1_11target_archE1200ELNS1_3gpuE4ELNS1_3repE0EEENS1_30default_config_static_selectorELNS0_4arch9wavefront6targetE0EEEvT1_
		.amdhsa_group_segment_fixed_size 0
		.amdhsa_private_segment_fixed_size 0
		.amdhsa_kernarg_size 112
		.amdhsa_user_sgpr_count 6
		.amdhsa_user_sgpr_private_segment_buffer 1
		.amdhsa_user_sgpr_dispatch_ptr 0
		.amdhsa_user_sgpr_queue_ptr 0
		.amdhsa_user_sgpr_kernarg_segment_ptr 1
		.amdhsa_user_sgpr_dispatch_id 0
		.amdhsa_user_sgpr_flat_scratch_init 0
		.amdhsa_user_sgpr_private_segment_size 0
		.amdhsa_wavefront_size32 1
		.amdhsa_uses_dynamic_stack 0
		.amdhsa_system_sgpr_private_segment_wavefront_offset 0
		.amdhsa_system_sgpr_workgroup_id_x 1
		.amdhsa_system_sgpr_workgroup_id_y 0
		.amdhsa_system_sgpr_workgroup_id_z 0
		.amdhsa_system_sgpr_workgroup_info 0
		.amdhsa_system_vgpr_workitem_id 0
		.amdhsa_next_free_vgpr 1
		.amdhsa_next_free_sgpr 1
		.amdhsa_reserve_vcc 0
		.amdhsa_reserve_flat_scratch 0
		.amdhsa_float_round_mode_32 0
		.amdhsa_float_round_mode_16_64 0
		.amdhsa_float_denorm_mode_32 3
		.amdhsa_float_denorm_mode_16_64 3
		.amdhsa_dx10_clamp 1
		.amdhsa_ieee_mode 1
		.amdhsa_fp16_overflow 0
		.amdhsa_workgroup_processor_mode 1
		.amdhsa_memory_ordered 1
		.amdhsa_forward_progress 1
		.amdhsa_shared_vgpr_count 0
		.amdhsa_exception_fp_ieee_invalid_op 0
		.amdhsa_exception_fp_denorm_src 0
		.amdhsa_exception_fp_ieee_div_zero 0
		.amdhsa_exception_fp_ieee_overflow 0
		.amdhsa_exception_fp_ieee_underflow 0
		.amdhsa_exception_fp_ieee_inexact 0
		.amdhsa_exception_int_div_zero 0
	.end_amdhsa_kernel
	.section	.text._ZN7rocprim17ROCPRIM_400000_NS6detail17trampoline_kernelINS0_14default_configENS1_27scan_by_key_config_selectorIiiEEZZNS1_16scan_by_key_implILNS1_25lookback_scan_determinismE0ELb1ES3_N6thrust23THRUST_200600_302600_NS6detail15normal_iteratorINS9_10device_ptrIiEEEESE_SE_iNS9_4plusIvEENS9_8equal_toIvEEiEE10hipError_tPvRmT2_T3_T4_T5_mT6_T7_P12ihipStream_tbENKUlT_T0_E_clISt17integral_constantIbLb1EESY_IbLb0EEEEDaSU_SV_EUlSU_E_NS1_11comp_targetILNS1_3genE10ELNS1_11target_archE1200ELNS1_3gpuE4ELNS1_3repE0EEENS1_30default_config_static_selectorELNS0_4arch9wavefront6targetE0EEEvT1_,"axG",@progbits,_ZN7rocprim17ROCPRIM_400000_NS6detail17trampoline_kernelINS0_14default_configENS1_27scan_by_key_config_selectorIiiEEZZNS1_16scan_by_key_implILNS1_25lookback_scan_determinismE0ELb1ES3_N6thrust23THRUST_200600_302600_NS6detail15normal_iteratorINS9_10device_ptrIiEEEESE_SE_iNS9_4plusIvEENS9_8equal_toIvEEiEE10hipError_tPvRmT2_T3_T4_T5_mT6_T7_P12ihipStream_tbENKUlT_T0_E_clISt17integral_constantIbLb1EESY_IbLb0EEEEDaSU_SV_EUlSU_E_NS1_11comp_targetILNS1_3genE10ELNS1_11target_archE1200ELNS1_3gpuE4ELNS1_3repE0EEENS1_30default_config_static_selectorELNS0_4arch9wavefront6targetE0EEEvT1_,comdat
.Lfunc_end485:
	.size	_ZN7rocprim17ROCPRIM_400000_NS6detail17trampoline_kernelINS0_14default_configENS1_27scan_by_key_config_selectorIiiEEZZNS1_16scan_by_key_implILNS1_25lookback_scan_determinismE0ELb1ES3_N6thrust23THRUST_200600_302600_NS6detail15normal_iteratorINS9_10device_ptrIiEEEESE_SE_iNS9_4plusIvEENS9_8equal_toIvEEiEE10hipError_tPvRmT2_T3_T4_T5_mT6_T7_P12ihipStream_tbENKUlT_T0_E_clISt17integral_constantIbLb1EESY_IbLb0EEEEDaSU_SV_EUlSU_E_NS1_11comp_targetILNS1_3genE10ELNS1_11target_archE1200ELNS1_3gpuE4ELNS1_3repE0EEENS1_30default_config_static_selectorELNS0_4arch9wavefront6targetE0EEEvT1_, .Lfunc_end485-_ZN7rocprim17ROCPRIM_400000_NS6detail17trampoline_kernelINS0_14default_configENS1_27scan_by_key_config_selectorIiiEEZZNS1_16scan_by_key_implILNS1_25lookback_scan_determinismE0ELb1ES3_N6thrust23THRUST_200600_302600_NS6detail15normal_iteratorINS9_10device_ptrIiEEEESE_SE_iNS9_4plusIvEENS9_8equal_toIvEEiEE10hipError_tPvRmT2_T3_T4_T5_mT6_T7_P12ihipStream_tbENKUlT_T0_E_clISt17integral_constantIbLb1EESY_IbLb0EEEEDaSU_SV_EUlSU_E_NS1_11comp_targetILNS1_3genE10ELNS1_11target_archE1200ELNS1_3gpuE4ELNS1_3repE0EEENS1_30default_config_static_selectorELNS0_4arch9wavefront6targetE0EEEvT1_
                                        ; -- End function
	.set _ZN7rocprim17ROCPRIM_400000_NS6detail17trampoline_kernelINS0_14default_configENS1_27scan_by_key_config_selectorIiiEEZZNS1_16scan_by_key_implILNS1_25lookback_scan_determinismE0ELb1ES3_N6thrust23THRUST_200600_302600_NS6detail15normal_iteratorINS9_10device_ptrIiEEEESE_SE_iNS9_4plusIvEENS9_8equal_toIvEEiEE10hipError_tPvRmT2_T3_T4_T5_mT6_T7_P12ihipStream_tbENKUlT_T0_E_clISt17integral_constantIbLb1EESY_IbLb0EEEEDaSU_SV_EUlSU_E_NS1_11comp_targetILNS1_3genE10ELNS1_11target_archE1200ELNS1_3gpuE4ELNS1_3repE0EEENS1_30default_config_static_selectorELNS0_4arch9wavefront6targetE0EEEvT1_.num_vgpr, 0
	.set _ZN7rocprim17ROCPRIM_400000_NS6detail17trampoline_kernelINS0_14default_configENS1_27scan_by_key_config_selectorIiiEEZZNS1_16scan_by_key_implILNS1_25lookback_scan_determinismE0ELb1ES3_N6thrust23THRUST_200600_302600_NS6detail15normal_iteratorINS9_10device_ptrIiEEEESE_SE_iNS9_4plusIvEENS9_8equal_toIvEEiEE10hipError_tPvRmT2_T3_T4_T5_mT6_T7_P12ihipStream_tbENKUlT_T0_E_clISt17integral_constantIbLb1EESY_IbLb0EEEEDaSU_SV_EUlSU_E_NS1_11comp_targetILNS1_3genE10ELNS1_11target_archE1200ELNS1_3gpuE4ELNS1_3repE0EEENS1_30default_config_static_selectorELNS0_4arch9wavefront6targetE0EEEvT1_.num_agpr, 0
	.set _ZN7rocprim17ROCPRIM_400000_NS6detail17trampoline_kernelINS0_14default_configENS1_27scan_by_key_config_selectorIiiEEZZNS1_16scan_by_key_implILNS1_25lookback_scan_determinismE0ELb1ES3_N6thrust23THRUST_200600_302600_NS6detail15normal_iteratorINS9_10device_ptrIiEEEESE_SE_iNS9_4plusIvEENS9_8equal_toIvEEiEE10hipError_tPvRmT2_T3_T4_T5_mT6_T7_P12ihipStream_tbENKUlT_T0_E_clISt17integral_constantIbLb1EESY_IbLb0EEEEDaSU_SV_EUlSU_E_NS1_11comp_targetILNS1_3genE10ELNS1_11target_archE1200ELNS1_3gpuE4ELNS1_3repE0EEENS1_30default_config_static_selectorELNS0_4arch9wavefront6targetE0EEEvT1_.numbered_sgpr, 0
	.set _ZN7rocprim17ROCPRIM_400000_NS6detail17trampoline_kernelINS0_14default_configENS1_27scan_by_key_config_selectorIiiEEZZNS1_16scan_by_key_implILNS1_25lookback_scan_determinismE0ELb1ES3_N6thrust23THRUST_200600_302600_NS6detail15normal_iteratorINS9_10device_ptrIiEEEESE_SE_iNS9_4plusIvEENS9_8equal_toIvEEiEE10hipError_tPvRmT2_T3_T4_T5_mT6_T7_P12ihipStream_tbENKUlT_T0_E_clISt17integral_constantIbLb1EESY_IbLb0EEEEDaSU_SV_EUlSU_E_NS1_11comp_targetILNS1_3genE10ELNS1_11target_archE1200ELNS1_3gpuE4ELNS1_3repE0EEENS1_30default_config_static_selectorELNS0_4arch9wavefront6targetE0EEEvT1_.num_named_barrier, 0
	.set _ZN7rocprim17ROCPRIM_400000_NS6detail17trampoline_kernelINS0_14default_configENS1_27scan_by_key_config_selectorIiiEEZZNS1_16scan_by_key_implILNS1_25lookback_scan_determinismE0ELb1ES3_N6thrust23THRUST_200600_302600_NS6detail15normal_iteratorINS9_10device_ptrIiEEEESE_SE_iNS9_4plusIvEENS9_8equal_toIvEEiEE10hipError_tPvRmT2_T3_T4_T5_mT6_T7_P12ihipStream_tbENKUlT_T0_E_clISt17integral_constantIbLb1EESY_IbLb0EEEEDaSU_SV_EUlSU_E_NS1_11comp_targetILNS1_3genE10ELNS1_11target_archE1200ELNS1_3gpuE4ELNS1_3repE0EEENS1_30default_config_static_selectorELNS0_4arch9wavefront6targetE0EEEvT1_.private_seg_size, 0
	.set _ZN7rocprim17ROCPRIM_400000_NS6detail17trampoline_kernelINS0_14default_configENS1_27scan_by_key_config_selectorIiiEEZZNS1_16scan_by_key_implILNS1_25lookback_scan_determinismE0ELb1ES3_N6thrust23THRUST_200600_302600_NS6detail15normal_iteratorINS9_10device_ptrIiEEEESE_SE_iNS9_4plusIvEENS9_8equal_toIvEEiEE10hipError_tPvRmT2_T3_T4_T5_mT6_T7_P12ihipStream_tbENKUlT_T0_E_clISt17integral_constantIbLb1EESY_IbLb0EEEEDaSU_SV_EUlSU_E_NS1_11comp_targetILNS1_3genE10ELNS1_11target_archE1200ELNS1_3gpuE4ELNS1_3repE0EEENS1_30default_config_static_selectorELNS0_4arch9wavefront6targetE0EEEvT1_.uses_vcc, 0
	.set _ZN7rocprim17ROCPRIM_400000_NS6detail17trampoline_kernelINS0_14default_configENS1_27scan_by_key_config_selectorIiiEEZZNS1_16scan_by_key_implILNS1_25lookback_scan_determinismE0ELb1ES3_N6thrust23THRUST_200600_302600_NS6detail15normal_iteratorINS9_10device_ptrIiEEEESE_SE_iNS9_4plusIvEENS9_8equal_toIvEEiEE10hipError_tPvRmT2_T3_T4_T5_mT6_T7_P12ihipStream_tbENKUlT_T0_E_clISt17integral_constantIbLb1EESY_IbLb0EEEEDaSU_SV_EUlSU_E_NS1_11comp_targetILNS1_3genE10ELNS1_11target_archE1200ELNS1_3gpuE4ELNS1_3repE0EEENS1_30default_config_static_selectorELNS0_4arch9wavefront6targetE0EEEvT1_.uses_flat_scratch, 0
	.set _ZN7rocprim17ROCPRIM_400000_NS6detail17trampoline_kernelINS0_14default_configENS1_27scan_by_key_config_selectorIiiEEZZNS1_16scan_by_key_implILNS1_25lookback_scan_determinismE0ELb1ES3_N6thrust23THRUST_200600_302600_NS6detail15normal_iteratorINS9_10device_ptrIiEEEESE_SE_iNS9_4plusIvEENS9_8equal_toIvEEiEE10hipError_tPvRmT2_T3_T4_T5_mT6_T7_P12ihipStream_tbENKUlT_T0_E_clISt17integral_constantIbLb1EESY_IbLb0EEEEDaSU_SV_EUlSU_E_NS1_11comp_targetILNS1_3genE10ELNS1_11target_archE1200ELNS1_3gpuE4ELNS1_3repE0EEENS1_30default_config_static_selectorELNS0_4arch9wavefront6targetE0EEEvT1_.has_dyn_sized_stack, 0
	.set _ZN7rocprim17ROCPRIM_400000_NS6detail17trampoline_kernelINS0_14default_configENS1_27scan_by_key_config_selectorIiiEEZZNS1_16scan_by_key_implILNS1_25lookback_scan_determinismE0ELb1ES3_N6thrust23THRUST_200600_302600_NS6detail15normal_iteratorINS9_10device_ptrIiEEEESE_SE_iNS9_4plusIvEENS9_8equal_toIvEEiEE10hipError_tPvRmT2_T3_T4_T5_mT6_T7_P12ihipStream_tbENKUlT_T0_E_clISt17integral_constantIbLb1EESY_IbLb0EEEEDaSU_SV_EUlSU_E_NS1_11comp_targetILNS1_3genE10ELNS1_11target_archE1200ELNS1_3gpuE4ELNS1_3repE0EEENS1_30default_config_static_selectorELNS0_4arch9wavefront6targetE0EEEvT1_.has_recursion, 0
	.set _ZN7rocprim17ROCPRIM_400000_NS6detail17trampoline_kernelINS0_14default_configENS1_27scan_by_key_config_selectorIiiEEZZNS1_16scan_by_key_implILNS1_25lookback_scan_determinismE0ELb1ES3_N6thrust23THRUST_200600_302600_NS6detail15normal_iteratorINS9_10device_ptrIiEEEESE_SE_iNS9_4plusIvEENS9_8equal_toIvEEiEE10hipError_tPvRmT2_T3_T4_T5_mT6_T7_P12ihipStream_tbENKUlT_T0_E_clISt17integral_constantIbLb1EESY_IbLb0EEEEDaSU_SV_EUlSU_E_NS1_11comp_targetILNS1_3genE10ELNS1_11target_archE1200ELNS1_3gpuE4ELNS1_3repE0EEENS1_30default_config_static_selectorELNS0_4arch9wavefront6targetE0EEEvT1_.has_indirect_call, 0
	.section	.AMDGPU.csdata,"",@progbits
; Kernel info:
; codeLenInByte = 0
; TotalNumSgprs: 0
; NumVgprs: 0
; ScratchSize: 0
; MemoryBound: 0
; FloatMode: 240
; IeeeMode: 1
; LDSByteSize: 0 bytes/workgroup (compile time only)
; SGPRBlocks: 0
; VGPRBlocks: 0
; NumSGPRsForWavesPerEU: 1
; NumVGPRsForWavesPerEU: 1
; Occupancy: 16
; WaveLimiterHint : 0
; COMPUTE_PGM_RSRC2:SCRATCH_EN: 0
; COMPUTE_PGM_RSRC2:USER_SGPR: 6
; COMPUTE_PGM_RSRC2:TRAP_HANDLER: 0
; COMPUTE_PGM_RSRC2:TGID_X_EN: 1
; COMPUTE_PGM_RSRC2:TGID_Y_EN: 0
; COMPUTE_PGM_RSRC2:TGID_Z_EN: 0
; COMPUTE_PGM_RSRC2:TIDIG_COMP_CNT: 0
	.section	.text._ZN7rocprim17ROCPRIM_400000_NS6detail17trampoline_kernelINS0_14default_configENS1_27scan_by_key_config_selectorIiiEEZZNS1_16scan_by_key_implILNS1_25lookback_scan_determinismE0ELb1ES3_N6thrust23THRUST_200600_302600_NS6detail15normal_iteratorINS9_10device_ptrIiEEEESE_SE_iNS9_4plusIvEENS9_8equal_toIvEEiEE10hipError_tPvRmT2_T3_T4_T5_mT6_T7_P12ihipStream_tbENKUlT_T0_E_clISt17integral_constantIbLb1EESY_IbLb0EEEEDaSU_SV_EUlSU_E_NS1_11comp_targetILNS1_3genE9ELNS1_11target_archE1100ELNS1_3gpuE3ELNS1_3repE0EEENS1_30default_config_static_selectorELNS0_4arch9wavefront6targetE0EEEvT1_,"axG",@progbits,_ZN7rocprim17ROCPRIM_400000_NS6detail17trampoline_kernelINS0_14default_configENS1_27scan_by_key_config_selectorIiiEEZZNS1_16scan_by_key_implILNS1_25lookback_scan_determinismE0ELb1ES3_N6thrust23THRUST_200600_302600_NS6detail15normal_iteratorINS9_10device_ptrIiEEEESE_SE_iNS9_4plusIvEENS9_8equal_toIvEEiEE10hipError_tPvRmT2_T3_T4_T5_mT6_T7_P12ihipStream_tbENKUlT_T0_E_clISt17integral_constantIbLb1EESY_IbLb0EEEEDaSU_SV_EUlSU_E_NS1_11comp_targetILNS1_3genE9ELNS1_11target_archE1100ELNS1_3gpuE3ELNS1_3repE0EEENS1_30default_config_static_selectorELNS0_4arch9wavefront6targetE0EEEvT1_,comdat
	.protected	_ZN7rocprim17ROCPRIM_400000_NS6detail17trampoline_kernelINS0_14default_configENS1_27scan_by_key_config_selectorIiiEEZZNS1_16scan_by_key_implILNS1_25lookback_scan_determinismE0ELb1ES3_N6thrust23THRUST_200600_302600_NS6detail15normal_iteratorINS9_10device_ptrIiEEEESE_SE_iNS9_4plusIvEENS9_8equal_toIvEEiEE10hipError_tPvRmT2_T3_T4_T5_mT6_T7_P12ihipStream_tbENKUlT_T0_E_clISt17integral_constantIbLb1EESY_IbLb0EEEEDaSU_SV_EUlSU_E_NS1_11comp_targetILNS1_3genE9ELNS1_11target_archE1100ELNS1_3gpuE3ELNS1_3repE0EEENS1_30default_config_static_selectorELNS0_4arch9wavefront6targetE0EEEvT1_ ; -- Begin function _ZN7rocprim17ROCPRIM_400000_NS6detail17trampoline_kernelINS0_14default_configENS1_27scan_by_key_config_selectorIiiEEZZNS1_16scan_by_key_implILNS1_25lookback_scan_determinismE0ELb1ES3_N6thrust23THRUST_200600_302600_NS6detail15normal_iteratorINS9_10device_ptrIiEEEESE_SE_iNS9_4plusIvEENS9_8equal_toIvEEiEE10hipError_tPvRmT2_T3_T4_T5_mT6_T7_P12ihipStream_tbENKUlT_T0_E_clISt17integral_constantIbLb1EESY_IbLb0EEEEDaSU_SV_EUlSU_E_NS1_11comp_targetILNS1_3genE9ELNS1_11target_archE1100ELNS1_3gpuE3ELNS1_3repE0EEENS1_30default_config_static_selectorELNS0_4arch9wavefront6targetE0EEEvT1_
	.globl	_ZN7rocprim17ROCPRIM_400000_NS6detail17trampoline_kernelINS0_14default_configENS1_27scan_by_key_config_selectorIiiEEZZNS1_16scan_by_key_implILNS1_25lookback_scan_determinismE0ELb1ES3_N6thrust23THRUST_200600_302600_NS6detail15normal_iteratorINS9_10device_ptrIiEEEESE_SE_iNS9_4plusIvEENS9_8equal_toIvEEiEE10hipError_tPvRmT2_T3_T4_T5_mT6_T7_P12ihipStream_tbENKUlT_T0_E_clISt17integral_constantIbLb1EESY_IbLb0EEEEDaSU_SV_EUlSU_E_NS1_11comp_targetILNS1_3genE9ELNS1_11target_archE1100ELNS1_3gpuE3ELNS1_3repE0EEENS1_30default_config_static_selectorELNS0_4arch9wavefront6targetE0EEEvT1_
	.p2align	8
	.type	_ZN7rocprim17ROCPRIM_400000_NS6detail17trampoline_kernelINS0_14default_configENS1_27scan_by_key_config_selectorIiiEEZZNS1_16scan_by_key_implILNS1_25lookback_scan_determinismE0ELb1ES3_N6thrust23THRUST_200600_302600_NS6detail15normal_iteratorINS9_10device_ptrIiEEEESE_SE_iNS9_4plusIvEENS9_8equal_toIvEEiEE10hipError_tPvRmT2_T3_T4_T5_mT6_T7_P12ihipStream_tbENKUlT_T0_E_clISt17integral_constantIbLb1EESY_IbLb0EEEEDaSU_SV_EUlSU_E_NS1_11comp_targetILNS1_3genE9ELNS1_11target_archE1100ELNS1_3gpuE3ELNS1_3repE0EEENS1_30default_config_static_selectorELNS0_4arch9wavefront6targetE0EEEvT1_,@function
_ZN7rocprim17ROCPRIM_400000_NS6detail17trampoline_kernelINS0_14default_configENS1_27scan_by_key_config_selectorIiiEEZZNS1_16scan_by_key_implILNS1_25lookback_scan_determinismE0ELb1ES3_N6thrust23THRUST_200600_302600_NS6detail15normal_iteratorINS9_10device_ptrIiEEEESE_SE_iNS9_4plusIvEENS9_8equal_toIvEEiEE10hipError_tPvRmT2_T3_T4_T5_mT6_T7_P12ihipStream_tbENKUlT_T0_E_clISt17integral_constantIbLb1EESY_IbLb0EEEEDaSU_SV_EUlSU_E_NS1_11comp_targetILNS1_3genE9ELNS1_11target_archE1100ELNS1_3gpuE3ELNS1_3repE0EEENS1_30default_config_static_selectorELNS0_4arch9wavefront6targetE0EEEvT1_: ; @_ZN7rocprim17ROCPRIM_400000_NS6detail17trampoline_kernelINS0_14default_configENS1_27scan_by_key_config_selectorIiiEEZZNS1_16scan_by_key_implILNS1_25lookback_scan_determinismE0ELb1ES3_N6thrust23THRUST_200600_302600_NS6detail15normal_iteratorINS9_10device_ptrIiEEEESE_SE_iNS9_4plusIvEENS9_8equal_toIvEEiEE10hipError_tPvRmT2_T3_T4_T5_mT6_T7_P12ihipStream_tbENKUlT_T0_E_clISt17integral_constantIbLb1EESY_IbLb0EEEEDaSU_SV_EUlSU_E_NS1_11comp_targetILNS1_3genE9ELNS1_11target_archE1100ELNS1_3gpuE3ELNS1_3repE0EEENS1_30default_config_static_selectorELNS0_4arch9wavefront6targetE0EEEvT1_
; %bb.0:
	.section	.rodata,"a",@progbits
	.p2align	6, 0x0
	.amdhsa_kernel _ZN7rocprim17ROCPRIM_400000_NS6detail17trampoline_kernelINS0_14default_configENS1_27scan_by_key_config_selectorIiiEEZZNS1_16scan_by_key_implILNS1_25lookback_scan_determinismE0ELb1ES3_N6thrust23THRUST_200600_302600_NS6detail15normal_iteratorINS9_10device_ptrIiEEEESE_SE_iNS9_4plusIvEENS9_8equal_toIvEEiEE10hipError_tPvRmT2_T3_T4_T5_mT6_T7_P12ihipStream_tbENKUlT_T0_E_clISt17integral_constantIbLb1EESY_IbLb0EEEEDaSU_SV_EUlSU_E_NS1_11comp_targetILNS1_3genE9ELNS1_11target_archE1100ELNS1_3gpuE3ELNS1_3repE0EEENS1_30default_config_static_selectorELNS0_4arch9wavefront6targetE0EEEvT1_
		.amdhsa_group_segment_fixed_size 0
		.amdhsa_private_segment_fixed_size 0
		.amdhsa_kernarg_size 112
		.amdhsa_user_sgpr_count 6
		.amdhsa_user_sgpr_private_segment_buffer 1
		.amdhsa_user_sgpr_dispatch_ptr 0
		.amdhsa_user_sgpr_queue_ptr 0
		.amdhsa_user_sgpr_kernarg_segment_ptr 1
		.amdhsa_user_sgpr_dispatch_id 0
		.amdhsa_user_sgpr_flat_scratch_init 0
		.amdhsa_user_sgpr_private_segment_size 0
		.amdhsa_wavefront_size32 1
		.amdhsa_uses_dynamic_stack 0
		.amdhsa_system_sgpr_private_segment_wavefront_offset 0
		.amdhsa_system_sgpr_workgroup_id_x 1
		.amdhsa_system_sgpr_workgroup_id_y 0
		.amdhsa_system_sgpr_workgroup_id_z 0
		.amdhsa_system_sgpr_workgroup_info 0
		.amdhsa_system_vgpr_workitem_id 0
		.amdhsa_next_free_vgpr 1
		.amdhsa_next_free_sgpr 1
		.amdhsa_reserve_vcc 0
		.amdhsa_reserve_flat_scratch 0
		.amdhsa_float_round_mode_32 0
		.amdhsa_float_round_mode_16_64 0
		.amdhsa_float_denorm_mode_32 3
		.amdhsa_float_denorm_mode_16_64 3
		.amdhsa_dx10_clamp 1
		.amdhsa_ieee_mode 1
		.amdhsa_fp16_overflow 0
		.amdhsa_workgroup_processor_mode 1
		.amdhsa_memory_ordered 1
		.amdhsa_forward_progress 1
		.amdhsa_shared_vgpr_count 0
		.amdhsa_exception_fp_ieee_invalid_op 0
		.amdhsa_exception_fp_denorm_src 0
		.amdhsa_exception_fp_ieee_div_zero 0
		.amdhsa_exception_fp_ieee_overflow 0
		.amdhsa_exception_fp_ieee_underflow 0
		.amdhsa_exception_fp_ieee_inexact 0
		.amdhsa_exception_int_div_zero 0
	.end_amdhsa_kernel
	.section	.text._ZN7rocprim17ROCPRIM_400000_NS6detail17trampoline_kernelINS0_14default_configENS1_27scan_by_key_config_selectorIiiEEZZNS1_16scan_by_key_implILNS1_25lookback_scan_determinismE0ELb1ES3_N6thrust23THRUST_200600_302600_NS6detail15normal_iteratorINS9_10device_ptrIiEEEESE_SE_iNS9_4plusIvEENS9_8equal_toIvEEiEE10hipError_tPvRmT2_T3_T4_T5_mT6_T7_P12ihipStream_tbENKUlT_T0_E_clISt17integral_constantIbLb1EESY_IbLb0EEEEDaSU_SV_EUlSU_E_NS1_11comp_targetILNS1_3genE9ELNS1_11target_archE1100ELNS1_3gpuE3ELNS1_3repE0EEENS1_30default_config_static_selectorELNS0_4arch9wavefront6targetE0EEEvT1_,"axG",@progbits,_ZN7rocprim17ROCPRIM_400000_NS6detail17trampoline_kernelINS0_14default_configENS1_27scan_by_key_config_selectorIiiEEZZNS1_16scan_by_key_implILNS1_25lookback_scan_determinismE0ELb1ES3_N6thrust23THRUST_200600_302600_NS6detail15normal_iteratorINS9_10device_ptrIiEEEESE_SE_iNS9_4plusIvEENS9_8equal_toIvEEiEE10hipError_tPvRmT2_T3_T4_T5_mT6_T7_P12ihipStream_tbENKUlT_T0_E_clISt17integral_constantIbLb1EESY_IbLb0EEEEDaSU_SV_EUlSU_E_NS1_11comp_targetILNS1_3genE9ELNS1_11target_archE1100ELNS1_3gpuE3ELNS1_3repE0EEENS1_30default_config_static_selectorELNS0_4arch9wavefront6targetE0EEEvT1_,comdat
.Lfunc_end486:
	.size	_ZN7rocprim17ROCPRIM_400000_NS6detail17trampoline_kernelINS0_14default_configENS1_27scan_by_key_config_selectorIiiEEZZNS1_16scan_by_key_implILNS1_25lookback_scan_determinismE0ELb1ES3_N6thrust23THRUST_200600_302600_NS6detail15normal_iteratorINS9_10device_ptrIiEEEESE_SE_iNS9_4plusIvEENS9_8equal_toIvEEiEE10hipError_tPvRmT2_T3_T4_T5_mT6_T7_P12ihipStream_tbENKUlT_T0_E_clISt17integral_constantIbLb1EESY_IbLb0EEEEDaSU_SV_EUlSU_E_NS1_11comp_targetILNS1_3genE9ELNS1_11target_archE1100ELNS1_3gpuE3ELNS1_3repE0EEENS1_30default_config_static_selectorELNS0_4arch9wavefront6targetE0EEEvT1_, .Lfunc_end486-_ZN7rocprim17ROCPRIM_400000_NS6detail17trampoline_kernelINS0_14default_configENS1_27scan_by_key_config_selectorIiiEEZZNS1_16scan_by_key_implILNS1_25lookback_scan_determinismE0ELb1ES3_N6thrust23THRUST_200600_302600_NS6detail15normal_iteratorINS9_10device_ptrIiEEEESE_SE_iNS9_4plusIvEENS9_8equal_toIvEEiEE10hipError_tPvRmT2_T3_T4_T5_mT6_T7_P12ihipStream_tbENKUlT_T0_E_clISt17integral_constantIbLb1EESY_IbLb0EEEEDaSU_SV_EUlSU_E_NS1_11comp_targetILNS1_3genE9ELNS1_11target_archE1100ELNS1_3gpuE3ELNS1_3repE0EEENS1_30default_config_static_selectorELNS0_4arch9wavefront6targetE0EEEvT1_
                                        ; -- End function
	.set _ZN7rocprim17ROCPRIM_400000_NS6detail17trampoline_kernelINS0_14default_configENS1_27scan_by_key_config_selectorIiiEEZZNS1_16scan_by_key_implILNS1_25lookback_scan_determinismE0ELb1ES3_N6thrust23THRUST_200600_302600_NS6detail15normal_iteratorINS9_10device_ptrIiEEEESE_SE_iNS9_4plusIvEENS9_8equal_toIvEEiEE10hipError_tPvRmT2_T3_T4_T5_mT6_T7_P12ihipStream_tbENKUlT_T0_E_clISt17integral_constantIbLb1EESY_IbLb0EEEEDaSU_SV_EUlSU_E_NS1_11comp_targetILNS1_3genE9ELNS1_11target_archE1100ELNS1_3gpuE3ELNS1_3repE0EEENS1_30default_config_static_selectorELNS0_4arch9wavefront6targetE0EEEvT1_.num_vgpr, 0
	.set _ZN7rocprim17ROCPRIM_400000_NS6detail17trampoline_kernelINS0_14default_configENS1_27scan_by_key_config_selectorIiiEEZZNS1_16scan_by_key_implILNS1_25lookback_scan_determinismE0ELb1ES3_N6thrust23THRUST_200600_302600_NS6detail15normal_iteratorINS9_10device_ptrIiEEEESE_SE_iNS9_4plusIvEENS9_8equal_toIvEEiEE10hipError_tPvRmT2_T3_T4_T5_mT6_T7_P12ihipStream_tbENKUlT_T0_E_clISt17integral_constantIbLb1EESY_IbLb0EEEEDaSU_SV_EUlSU_E_NS1_11comp_targetILNS1_3genE9ELNS1_11target_archE1100ELNS1_3gpuE3ELNS1_3repE0EEENS1_30default_config_static_selectorELNS0_4arch9wavefront6targetE0EEEvT1_.num_agpr, 0
	.set _ZN7rocprim17ROCPRIM_400000_NS6detail17trampoline_kernelINS0_14default_configENS1_27scan_by_key_config_selectorIiiEEZZNS1_16scan_by_key_implILNS1_25lookback_scan_determinismE0ELb1ES3_N6thrust23THRUST_200600_302600_NS6detail15normal_iteratorINS9_10device_ptrIiEEEESE_SE_iNS9_4plusIvEENS9_8equal_toIvEEiEE10hipError_tPvRmT2_T3_T4_T5_mT6_T7_P12ihipStream_tbENKUlT_T0_E_clISt17integral_constantIbLb1EESY_IbLb0EEEEDaSU_SV_EUlSU_E_NS1_11comp_targetILNS1_3genE9ELNS1_11target_archE1100ELNS1_3gpuE3ELNS1_3repE0EEENS1_30default_config_static_selectorELNS0_4arch9wavefront6targetE0EEEvT1_.numbered_sgpr, 0
	.set _ZN7rocprim17ROCPRIM_400000_NS6detail17trampoline_kernelINS0_14default_configENS1_27scan_by_key_config_selectorIiiEEZZNS1_16scan_by_key_implILNS1_25lookback_scan_determinismE0ELb1ES3_N6thrust23THRUST_200600_302600_NS6detail15normal_iteratorINS9_10device_ptrIiEEEESE_SE_iNS9_4plusIvEENS9_8equal_toIvEEiEE10hipError_tPvRmT2_T3_T4_T5_mT6_T7_P12ihipStream_tbENKUlT_T0_E_clISt17integral_constantIbLb1EESY_IbLb0EEEEDaSU_SV_EUlSU_E_NS1_11comp_targetILNS1_3genE9ELNS1_11target_archE1100ELNS1_3gpuE3ELNS1_3repE0EEENS1_30default_config_static_selectorELNS0_4arch9wavefront6targetE0EEEvT1_.num_named_barrier, 0
	.set _ZN7rocprim17ROCPRIM_400000_NS6detail17trampoline_kernelINS0_14default_configENS1_27scan_by_key_config_selectorIiiEEZZNS1_16scan_by_key_implILNS1_25lookback_scan_determinismE0ELb1ES3_N6thrust23THRUST_200600_302600_NS6detail15normal_iteratorINS9_10device_ptrIiEEEESE_SE_iNS9_4plusIvEENS9_8equal_toIvEEiEE10hipError_tPvRmT2_T3_T4_T5_mT6_T7_P12ihipStream_tbENKUlT_T0_E_clISt17integral_constantIbLb1EESY_IbLb0EEEEDaSU_SV_EUlSU_E_NS1_11comp_targetILNS1_3genE9ELNS1_11target_archE1100ELNS1_3gpuE3ELNS1_3repE0EEENS1_30default_config_static_selectorELNS0_4arch9wavefront6targetE0EEEvT1_.private_seg_size, 0
	.set _ZN7rocprim17ROCPRIM_400000_NS6detail17trampoline_kernelINS0_14default_configENS1_27scan_by_key_config_selectorIiiEEZZNS1_16scan_by_key_implILNS1_25lookback_scan_determinismE0ELb1ES3_N6thrust23THRUST_200600_302600_NS6detail15normal_iteratorINS9_10device_ptrIiEEEESE_SE_iNS9_4plusIvEENS9_8equal_toIvEEiEE10hipError_tPvRmT2_T3_T4_T5_mT6_T7_P12ihipStream_tbENKUlT_T0_E_clISt17integral_constantIbLb1EESY_IbLb0EEEEDaSU_SV_EUlSU_E_NS1_11comp_targetILNS1_3genE9ELNS1_11target_archE1100ELNS1_3gpuE3ELNS1_3repE0EEENS1_30default_config_static_selectorELNS0_4arch9wavefront6targetE0EEEvT1_.uses_vcc, 0
	.set _ZN7rocprim17ROCPRIM_400000_NS6detail17trampoline_kernelINS0_14default_configENS1_27scan_by_key_config_selectorIiiEEZZNS1_16scan_by_key_implILNS1_25lookback_scan_determinismE0ELb1ES3_N6thrust23THRUST_200600_302600_NS6detail15normal_iteratorINS9_10device_ptrIiEEEESE_SE_iNS9_4plusIvEENS9_8equal_toIvEEiEE10hipError_tPvRmT2_T3_T4_T5_mT6_T7_P12ihipStream_tbENKUlT_T0_E_clISt17integral_constantIbLb1EESY_IbLb0EEEEDaSU_SV_EUlSU_E_NS1_11comp_targetILNS1_3genE9ELNS1_11target_archE1100ELNS1_3gpuE3ELNS1_3repE0EEENS1_30default_config_static_selectorELNS0_4arch9wavefront6targetE0EEEvT1_.uses_flat_scratch, 0
	.set _ZN7rocprim17ROCPRIM_400000_NS6detail17trampoline_kernelINS0_14default_configENS1_27scan_by_key_config_selectorIiiEEZZNS1_16scan_by_key_implILNS1_25lookback_scan_determinismE0ELb1ES3_N6thrust23THRUST_200600_302600_NS6detail15normal_iteratorINS9_10device_ptrIiEEEESE_SE_iNS9_4plusIvEENS9_8equal_toIvEEiEE10hipError_tPvRmT2_T3_T4_T5_mT6_T7_P12ihipStream_tbENKUlT_T0_E_clISt17integral_constantIbLb1EESY_IbLb0EEEEDaSU_SV_EUlSU_E_NS1_11comp_targetILNS1_3genE9ELNS1_11target_archE1100ELNS1_3gpuE3ELNS1_3repE0EEENS1_30default_config_static_selectorELNS0_4arch9wavefront6targetE0EEEvT1_.has_dyn_sized_stack, 0
	.set _ZN7rocprim17ROCPRIM_400000_NS6detail17trampoline_kernelINS0_14default_configENS1_27scan_by_key_config_selectorIiiEEZZNS1_16scan_by_key_implILNS1_25lookback_scan_determinismE0ELb1ES3_N6thrust23THRUST_200600_302600_NS6detail15normal_iteratorINS9_10device_ptrIiEEEESE_SE_iNS9_4plusIvEENS9_8equal_toIvEEiEE10hipError_tPvRmT2_T3_T4_T5_mT6_T7_P12ihipStream_tbENKUlT_T0_E_clISt17integral_constantIbLb1EESY_IbLb0EEEEDaSU_SV_EUlSU_E_NS1_11comp_targetILNS1_3genE9ELNS1_11target_archE1100ELNS1_3gpuE3ELNS1_3repE0EEENS1_30default_config_static_selectorELNS0_4arch9wavefront6targetE0EEEvT1_.has_recursion, 0
	.set _ZN7rocprim17ROCPRIM_400000_NS6detail17trampoline_kernelINS0_14default_configENS1_27scan_by_key_config_selectorIiiEEZZNS1_16scan_by_key_implILNS1_25lookback_scan_determinismE0ELb1ES3_N6thrust23THRUST_200600_302600_NS6detail15normal_iteratorINS9_10device_ptrIiEEEESE_SE_iNS9_4plusIvEENS9_8equal_toIvEEiEE10hipError_tPvRmT2_T3_T4_T5_mT6_T7_P12ihipStream_tbENKUlT_T0_E_clISt17integral_constantIbLb1EESY_IbLb0EEEEDaSU_SV_EUlSU_E_NS1_11comp_targetILNS1_3genE9ELNS1_11target_archE1100ELNS1_3gpuE3ELNS1_3repE0EEENS1_30default_config_static_selectorELNS0_4arch9wavefront6targetE0EEEvT1_.has_indirect_call, 0
	.section	.AMDGPU.csdata,"",@progbits
; Kernel info:
; codeLenInByte = 0
; TotalNumSgprs: 0
; NumVgprs: 0
; ScratchSize: 0
; MemoryBound: 0
; FloatMode: 240
; IeeeMode: 1
; LDSByteSize: 0 bytes/workgroup (compile time only)
; SGPRBlocks: 0
; VGPRBlocks: 0
; NumSGPRsForWavesPerEU: 1
; NumVGPRsForWavesPerEU: 1
; Occupancy: 16
; WaveLimiterHint : 0
; COMPUTE_PGM_RSRC2:SCRATCH_EN: 0
; COMPUTE_PGM_RSRC2:USER_SGPR: 6
; COMPUTE_PGM_RSRC2:TRAP_HANDLER: 0
; COMPUTE_PGM_RSRC2:TGID_X_EN: 1
; COMPUTE_PGM_RSRC2:TGID_Y_EN: 0
; COMPUTE_PGM_RSRC2:TGID_Z_EN: 0
; COMPUTE_PGM_RSRC2:TIDIG_COMP_CNT: 0
	.section	.text._ZN7rocprim17ROCPRIM_400000_NS6detail17trampoline_kernelINS0_14default_configENS1_27scan_by_key_config_selectorIiiEEZZNS1_16scan_by_key_implILNS1_25lookback_scan_determinismE0ELb1ES3_N6thrust23THRUST_200600_302600_NS6detail15normal_iteratorINS9_10device_ptrIiEEEESE_SE_iNS9_4plusIvEENS9_8equal_toIvEEiEE10hipError_tPvRmT2_T3_T4_T5_mT6_T7_P12ihipStream_tbENKUlT_T0_E_clISt17integral_constantIbLb1EESY_IbLb0EEEEDaSU_SV_EUlSU_E_NS1_11comp_targetILNS1_3genE8ELNS1_11target_archE1030ELNS1_3gpuE2ELNS1_3repE0EEENS1_30default_config_static_selectorELNS0_4arch9wavefront6targetE0EEEvT1_,"axG",@progbits,_ZN7rocprim17ROCPRIM_400000_NS6detail17trampoline_kernelINS0_14default_configENS1_27scan_by_key_config_selectorIiiEEZZNS1_16scan_by_key_implILNS1_25lookback_scan_determinismE0ELb1ES3_N6thrust23THRUST_200600_302600_NS6detail15normal_iteratorINS9_10device_ptrIiEEEESE_SE_iNS9_4plusIvEENS9_8equal_toIvEEiEE10hipError_tPvRmT2_T3_T4_T5_mT6_T7_P12ihipStream_tbENKUlT_T0_E_clISt17integral_constantIbLb1EESY_IbLb0EEEEDaSU_SV_EUlSU_E_NS1_11comp_targetILNS1_3genE8ELNS1_11target_archE1030ELNS1_3gpuE2ELNS1_3repE0EEENS1_30default_config_static_selectorELNS0_4arch9wavefront6targetE0EEEvT1_,comdat
	.protected	_ZN7rocprim17ROCPRIM_400000_NS6detail17trampoline_kernelINS0_14default_configENS1_27scan_by_key_config_selectorIiiEEZZNS1_16scan_by_key_implILNS1_25lookback_scan_determinismE0ELb1ES3_N6thrust23THRUST_200600_302600_NS6detail15normal_iteratorINS9_10device_ptrIiEEEESE_SE_iNS9_4plusIvEENS9_8equal_toIvEEiEE10hipError_tPvRmT2_T3_T4_T5_mT6_T7_P12ihipStream_tbENKUlT_T0_E_clISt17integral_constantIbLb1EESY_IbLb0EEEEDaSU_SV_EUlSU_E_NS1_11comp_targetILNS1_3genE8ELNS1_11target_archE1030ELNS1_3gpuE2ELNS1_3repE0EEENS1_30default_config_static_selectorELNS0_4arch9wavefront6targetE0EEEvT1_ ; -- Begin function _ZN7rocprim17ROCPRIM_400000_NS6detail17trampoline_kernelINS0_14default_configENS1_27scan_by_key_config_selectorIiiEEZZNS1_16scan_by_key_implILNS1_25lookback_scan_determinismE0ELb1ES3_N6thrust23THRUST_200600_302600_NS6detail15normal_iteratorINS9_10device_ptrIiEEEESE_SE_iNS9_4plusIvEENS9_8equal_toIvEEiEE10hipError_tPvRmT2_T3_T4_T5_mT6_T7_P12ihipStream_tbENKUlT_T0_E_clISt17integral_constantIbLb1EESY_IbLb0EEEEDaSU_SV_EUlSU_E_NS1_11comp_targetILNS1_3genE8ELNS1_11target_archE1030ELNS1_3gpuE2ELNS1_3repE0EEENS1_30default_config_static_selectorELNS0_4arch9wavefront6targetE0EEEvT1_
	.globl	_ZN7rocprim17ROCPRIM_400000_NS6detail17trampoline_kernelINS0_14default_configENS1_27scan_by_key_config_selectorIiiEEZZNS1_16scan_by_key_implILNS1_25lookback_scan_determinismE0ELb1ES3_N6thrust23THRUST_200600_302600_NS6detail15normal_iteratorINS9_10device_ptrIiEEEESE_SE_iNS9_4plusIvEENS9_8equal_toIvEEiEE10hipError_tPvRmT2_T3_T4_T5_mT6_T7_P12ihipStream_tbENKUlT_T0_E_clISt17integral_constantIbLb1EESY_IbLb0EEEEDaSU_SV_EUlSU_E_NS1_11comp_targetILNS1_3genE8ELNS1_11target_archE1030ELNS1_3gpuE2ELNS1_3repE0EEENS1_30default_config_static_selectorELNS0_4arch9wavefront6targetE0EEEvT1_
	.p2align	8
	.type	_ZN7rocprim17ROCPRIM_400000_NS6detail17trampoline_kernelINS0_14default_configENS1_27scan_by_key_config_selectorIiiEEZZNS1_16scan_by_key_implILNS1_25lookback_scan_determinismE0ELb1ES3_N6thrust23THRUST_200600_302600_NS6detail15normal_iteratorINS9_10device_ptrIiEEEESE_SE_iNS9_4plusIvEENS9_8equal_toIvEEiEE10hipError_tPvRmT2_T3_T4_T5_mT6_T7_P12ihipStream_tbENKUlT_T0_E_clISt17integral_constantIbLb1EESY_IbLb0EEEEDaSU_SV_EUlSU_E_NS1_11comp_targetILNS1_3genE8ELNS1_11target_archE1030ELNS1_3gpuE2ELNS1_3repE0EEENS1_30default_config_static_selectorELNS0_4arch9wavefront6targetE0EEEvT1_,@function
_ZN7rocprim17ROCPRIM_400000_NS6detail17trampoline_kernelINS0_14default_configENS1_27scan_by_key_config_selectorIiiEEZZNS1_16scan_by_key_implILNS1_25lookback_scan_determinismE0ELb1ES3_N6thrust23THRUST_200600_302600_NS6detail15normal_iteratorINS9_10device_ptrIiEEEESE_SE_iNS9_4plusIvEENS9_8equal_toIvEEiEE10hipError_tPvRmT2_T3_T4_T5_mT6_T7_P12ihipStream_tbENKUlT_T0_E_clISt17integral_constantIbLb1EESY_IbLb0EEEEDaSU_SV_EUlSU_E_NS1_11comp_targetILNS1_3genE8ELNS1_11target_archE1030ELNS1_3gpuE2ELNS1_3repE0EEENS1_30default_config_static_selectorELNS0_4arch9wavefront6targetE0EEEvT1_: ; @_ZN7rocprim17ROCPRIM_400000_NS6detail17trampoline_kernelINS0_14default_configENS1_27scan_by_key_config_selectorIiiEEZZNS1_16scan_by_key_implILNS1_25lookback_scan_determinismE0ELb1ES3_N6thrust23THRUST_200600_302600_NS6detail15normal_iteratorINS9_10device_ptrIiEEEESE_SE_iNS9_4plusIvEENS9_8equal_toIvEEiEE10hipError_tPvRmT2_T3_T4_T5_mT6_T7_P12ihipStream_tbENKUlT_T0_E_clISt17integral_constantIbLb1EESY_IbLb0EEEEDaSU_SV_EUlSU_E_NS1_11comp_targetILNS1_3genE8ELNS1_11target_archE1030ELNS1_3gpuE2ELNS1_3repE0EEENS1_30default_config_static_selectorELNS0_4arch9wavefront6targetE0EEEvT1_
; %bb.0:
	s_endpgm
	.section	.rodata,"a",@progbits
	.p2align	6, 0x0
	.amdhsa_kernel _ZN7rocprim17ROCPRIM_400000_NS6detail17trampoline_kernelINS0_14default_configENS1_27scan_by_key_config_selectorIiiEEZZNS1_16scan_by_key_implILNS1_25lookback_scan_determinismE0ELb1ES3_N6thrust23THRUST_200600_302600_NS6detail15normal_iteratorINS9_10device_ptrIiEEEESE_SE_iNS9_4plusIvEENS9_8equal_toIvEEiEE10hipError_tPvRmT2_T3_T4_T5_mT6_T7_P12ihipStream_tbENKUlT_T0_E_clISt17integral_constantIbLb1EESY_IbLb0EEEEDaSU_SV_EUlSU_E_NS1_11comp_targetILNS1_3genE8ELNS1_11target_archE1030ELNS1_3gpuE2ELNS1_3repE0EEENS1_30default_config_static_selectorELNS0_4arch9wavefront6targetE0EEEvT1_
		.amdhsa_group_segment_fixed_size 0
		.amdhsa_private_segment_fixed_size 0
		.amdhsa_kernarg_size 112
		.amdhsa_user_sgpr_count 6
		.amdhsa_user_sgpr_private_segment_buffer 1
		.amdhsa_user_sgpr_dispatch_ptr 0
		.amdhsa_user_sgpr_queue_ptr 0
		.amdhsa_user_sgpr_kernarg_segment_ptr 1
		.amdhsa_user_sgpr_dispatch_id 0
		.amdhsa_user_sgpr_flat_scratch_init 0
		.amdhsa_user_sgpr_private_segment_size 0
		.amdhsa_wavefront_size32 1
		.amdhsa_uses_dynamic_stack 0
		.amdhsa_system_sgpr_private_segment_wavefront_offset 0
		.amdhsa_system_sgpr_workgroup_id_x 1
		.amdhsa_system_sgpr_workgroup_id_y 0
		.amdhsa_system_sgpr_workgroup_id_z 0
		.amdhsa_system_sgpr_workgroup_info 0
		.amdhsa_system_vgpr_workitem_id 0
		.amdhsa_next_free_vgpr 1
		.amdhsa_next_free_sgpr 1
		.amdhsa_reserve_vcc 0
		.amdhsa_reserve_flat_scratch 0
		.amdhsa_float_round_mode_32 0
		.amdhsa_float_round_mode_16_64 0
		.amdhsa_float_denorm_mode_32 3
		.amdhsa_float_denorm_mode_16_64 3
		.amdhsa_dx10_clamp 1
		.amdhsa_ieee_mode 1
		.amdhsa_fp16_overflow 0
		.amdhsa_workgroup_processor_mode 1
		.amdhsa_memory_ordered 1
		.amdhsa_forward_progress 1
		.amdhsa_shared_vgpr_count 0
		.amdhsa_exception_fp_ieee_invalid_op 0
		.amdhsa_exception_fp_denorm_src 0
		.amdhsa_exception_fp_ieee_div_zero 0
		.amdhsa_exception_fp_ieee_overflow 0
		.amdhsa_exception_fp_ieee_underflow 0
		.amdhsa_exception_fp_ieee_inexact 0
		.amdhsa_exception_int_div_zero 0
	.end_amdhsa_kernel
	.section	.text._ZN7rocprim17ROCPRIM_400000_NS6detail17trampoline_kernelINS0_14default_configENS1_27scan_by_key_config_selectorIiiEEZZNS1_16scan_by_key_implILNS1_25lookback_scan_determinismE0ELb1ES3_N6thrust23THRUST_200600_302600_NS6detail15normal_iteratorINS9_10device_ptrIiEEEESE_SE_iNS9_4plusIvEENS9_8equal_toIvEEiEE10hipError_tPvRmT2_T3_T4_T5_mT6_T7_P12ihipStream_tbENKUlT_T0_E_clISt17integral_constantIbLb1EESY_IbLb0EEEEDaSU_SV_EUlSU_E_NS1_11comp_targetILNS1_3genE8ELNS1_11target_archE1030ELNS1_3gpuE2ELNS1_3repE0EEENS1_30default_config_static_selectorELNS0_4arch9wavefront6targetE0EEEvT1_,"axG",@progbits,_ZN7rocprim17ROCPRIM_400000_NS6detail17trampoline_kernelINS0_14default_configENS1_27scan_by_key_config_selectorIiiEEZZNS1_16scan_by_key_implILNS1_25lookback_scan_determinismE0ELb1ES3_N6thrust23THRUST_200600_302600_NS6detail15normal_iteratorINS9_10device_ptrIiEEEESE_SE_iNS9_4plusIvEENS9_8equal_toIvEEiEE10hipError_tPvRmT2_T3_T4_T5_mT6_T7_P12ihipStream_tbENKUlT_T0_E_clISt17integral_constantIbLb1EESY_IbLb0EEEEDaSU_SV_EUlSU_E_NS1_11comp_targetILNS1_3genE8ELNS1_11target_archE1030ELNS1_3gpuE2ELNS1_3repE0EEENS1_30default_config_static_selectorELNS0_4arch9wavefront6targetE0EEEvT1_,comdat
.Lfunc_end487:
	.size	_ZN7rocprim17ROCPRIM_400000_NS6detail17trampoline_kernelINS0_14default_configENS1_27scan_by_key_config_selectorIiiEEZZNS1_16scan_by_key_implILNS1_25lookback_scan_determinismE0ELb1ES3_N6thrust23THRUST_200600_302600_NS6detail15normal_iteratorINS9_10device_ptrIiEEEESE_SE_iNS9_4plusIvEENS9_8equal_toIvEEiEE10hipError_tPvRmT2_T3_T4_T5_mT6_T7_P12ihipStream_tbENKUlT_T0_E_clISt17integral_constantIbLb1EESY_IbLb0EEEEDaSU_SV_EUlSU_E_NS1_11comp_targetILNS1_3genE8ELNS1_11target_archE1030ELNS1_3gpuE2ELNS1_3repE0EEENS1_30default_config_static_selectorELNS0_4arch9wavefront6targetE0EEEvT1_, .Lfunc_end487-_ZN7rocprim17ROCPRIM_400000_NS6detail17trampoline_kernelINS0_14default_configENS1_27scan_by_key_config_selectorIiiEEZZNS1_16scan_by_key_implILNS1_25lookback_scan_determinismE0ELb1ES3_N6thrust23THRUST_200600_302600_NS6detail15normal_iteratorINS9_10device_ptrIiEEEESE_SE_iNS9_4plusIvEENS9_8equal_toIvEEiEE10hipError_tPvRmT2_T3_T4_T5_mT6_T7_P12ihipStream_tbENKUlT_T0_E_clISt17integral_constantIbLb1EESY_IbLb0EEEEDaSU_SV_EUlSU_E_NS1_11comp_targetILNS1_3genE8ELNS1_11target_archE1030ELNS1_3gpuE2ELNS1_3repE0EEENS1_30default_config_static_selectorELNS0_4arch9wavefront6targetE0EEEvT1_
                                        ; -- End function
	.set _ZN7rocprim17ROCPRIM_400000_NS6detail17trampoline_kernelINS0_14default_configENS1_27scan_by_key_config_selectorIiiEEZZNS1_16scan_by_key_implILNS1_25lookback_scan_determinismE0ELb1ES3_N6thrust23THRUST_200600_302600_NS6detail15normal_iteratorINS9_10device_ptrIiEEEESE_SE_iNS9_4plusIvEENS9_8equal_toIvEEiEE10hipError_tPvRmT2_T3_T4_T5_mT6_T7_P12ihipStream_tbENKUlT_T0_E_clISt17integral_constantIbLb1EESY_IbLb0EEEEDaSU_SV_EUlSU_E_NS1_11comp_targetILNS1_3genE8ELNS1_11target_archE1030ELNS1_3gpuE2ELNS1_3repE0EEENS1_30default_config_static_selectorELNS0_4arch9wavefront6targetE0EEEvT1_.num_vgpr, 0
	.set _ZN7rocprim17ROCPRIM_400000_NS6detail17trampoline_kernelINS0_14default_configENS1_27scan_by_key_config_selectorIiiEEZZNS1_16scan_by_key_implILNS1_25lookback_scan_determinismE0ELb1ES3_N6thrust23THRUST_200600_302600_NS6detail15normal_iteratorINS9_10device_ptrIiEEEESE_SE_iNS9_4plusIvEENS9_8equal_toIvEEiEE10hipError_tPvRmT2_T3_T4_T5_mT6_T7_P12ihipStream_tbENKUlT_T0_E_clISt17integral_constantIbLb1EESY_IbLb0EEEEDaSU_SV_EUlSU_E_NS1_11comp_targetILNS1_3genE8ELNS1_11target_archE1030ELNS1_3gpuE2ELNS1_3repE0EEENS1_30default_config_static_selectorELNS0_4arch9wavefront6targetE0EEEvT1_.num_agpr, 0
	.set _ZN7rocprim17ROCPRIM_400000_NS6detail17trampoline_kernelINS0_14default_configENS1_27scan_by_key_config_selectorIiiEEZZNS1_16scan_by_key_implILNS1_25lookback_scan_determinismE0ELb1ES3_N6thrust23THRUST_200600_302600_NS6detail15normal_iteratorINS9_10device_ptrIiEEEESE_SE_iNS9_4plusIvEENS9_8equal_toIvEEiEE10hipError_tPvRmT2_T3_T4_T5_mT6_T7_P12ihipStream_tbENKUlT_T0_E_clISt17integral_constantIbLb1EESY_IbLb0EEEEDaSU_SV_EUlSU_E_NS1_11comp_targetILNS1_3genE8ELNS1_11target_archE1030ELNS1_3gpuE2ELNS1_3repE0EEENS1_30default_config_static_selectorELNS0_4arch9wavefront6targetE0EEEvT1_.numbered_sgpr, 0
	.set _ZN7rocprim17ROCPRIM_400000_NS6detail17trampoline_kernelINS0_14default_configENS1_27scan_by_key_config_selectorIiiEEZZNS1_16scan_by_key_implILNS1_25lookback_scan_determinismE0ELb1ES3_N6thrust23THRUST_200600_302600_NS6detail15normal_iteratorINS9_10device_ptrIiEEEESE_SE_iNS9_4plusIvEENS9_8equal_toIvEEiEE10hipError_tPvRmT2_T3_T4_T5_mT6_T7_P12ihipStream_tbENKUlT_T0_E_clISt17integral_constantIbLb1EESY_IbLb0EEEEDaSU_SV_EUlSU_E_NS1_11comp_targetILNS1_3genE8ELNS1_11target_archE1030ELNS1_3gpuE2ELNS1_3repE0EEENS1_30default_config_static_selectorELNS0_4arch9wavefront6targetE0EEEvT1_.num_named_barrier, 0
	.set _ZN7rocprim17ROCPRIM_400000_NS6detail17trampoline_kernelINS0_14default_configENS1_27scan_by_key_config_selectorIiiEEZZNS1_16scan_by_key_implILNS1_25lookback_scan_determinismE0ELb1ES3_N6thrust23THRUST_200600_302600_NS6detail15normal_iteratorINS9_10device_ptrIiEEEESE_SE_iNS9_4plusIvEENS9_8equal_toIvEEiEE10hipError_tPvRmT2_T3_T4_T5_mT6_T7_P12ihipStream_tbENKUlT_T0_E_clISt17integral_constantIbLb1EESY_IbLb0EEEEDaSU_SV_EUlSU_E_NS1_11comp_targetILNS1_3genE8ELNS1_11target_archE1030ELNS1_3gpuE2ELNS1_3repE0EEENS1_30default_config_static_selectorELNS0_4arch9wavefront6targetE0EEEvT1_.private_seg_size, 0
	.set _ZN7rocprim17ROCPRIM_400000_NS6detail17trampoline_kernelINS0_14default_configENS1_27scan_by_key_config_selectorIiiEEZZNS1_16scan_by_key_implILNS1_25lookback_scan_determinismE0ELb1ES3_N6thrust23THRUST_200600_302600_NS6detail15normal_iteratorINS9_10device_ptrIiEEEESE_SE_iNS9_4plusIvEENS9_8equal_toIvEEiEE10hipError_tPvRmT2_T3_T4_T5_mT6_T7_P12ihipStream_tbENKUlT_T0_E_clISt17integral_constantIbLb1EESY_IbLb0EEEEDaSU_SV_EUlSU_E_NS1_11comp_targetILNS1_3genE8ELNS1_11target_archE1030ELNS1_3gpuE2ELNS1_3repE0EEENS1_30default_config_static_selectorELNS0_4arch9wavefront6targetE0EEEvT1_.uses_vcc, 0
	.set _ZN7rocprim17ROCPRIM_400000_NS6detail17trampoline_kernelINS0_14default_configENS1_27scan_by_key_config_selectorIiiEEZZNS1_16scan_by_key_implILNS1_25lookback_scan_determinismE0ELb1ES3_N6thrust23THRUST_200600_302600_NS6detail15normal_iteratorINS9_10device_ptrIiEEEESE_SE_iNS9_4plusIvEENS9_8equal_toIvEEiEE10hipError_tPvRmT2_T3_T4_T5_mT6_T7_P12ihipStream_tbENKUlT_T0_E_clISt17integral_constantIbLb1EESY_IbLb0EEEEDaSU_SV_EUlSU_E_NS1_11comp_targetILNS1_3genE8ELNS1_11target_archE1030ELNS1_3gpuE2ELNS1_3repE0EEENS1_30default_config_static_selectorELNS0_4arch9wavefront6targetE0EEEvT1_.uses_flat_scratch, 0
	.set _ZN7rocprim17ROCPRIM_400000_NS6detail17trampoline_kernelINS0_14default_configENS1_27scan_by_key_config_selectorIiiEEZZNS1_16scan_by_key_implILNS1_25lookback_scan_determinismE0ELb1ES3_N6thrust23THRUST_200600_302600_NS6detail15normal_iteratorINS9_10device_ptrIiEEEESE_SE_iNS9_4plusIvEENS9_8equal_toIvEEiEE10hipError_tPvRmT2_T3_T4_T5_mT6_T7_P12ihipStream_tbENKUlT_T0_E_clISt17integral_constantIbLb1EESY_IbLb0EEEEDaSU_SV_EUlSU_E_NS1_11comp_targetILNS1_3genE8ELNS1_11target_archE1030ELNS1_3gpuE2ELNS1_3repE0EEENS1_30default_config_static_selectorELNS0_4arch9wavefront6targetE0EEEvT1_.has_dyn_sized_stack, 0
	.set _ZN7rocprim17ROCPRIM_400000_NS6detail17trampoline_kernelINS0_14default_configENS1_27scan_by_key_config_selectorIiiEEZZNS1_16scan_by_key_implILNS1_25lookback_scan_determinismE0ELb1ES3_N6thrust23THRUST_200600_302600_NS6detail15normal_iteratorINS9_10device_ptrIiEEEESE_SE_iNS9_4plusIvEENS9_8equal_toIvEEiEE10hipError_tPvRmT2_T3_T4_T5_mT6_T7_P12ihipStream_tbENKUlT_T0_E_clISt17integral_constantIbLb1EESY_IbLb0EEEEDaSU_SV_EUlSU_E_NS1_11comp_targetILNS1_3genE8ELNS1_11target_archE1030ELNS1_3gpuE2ELNS1_3repE0EEENS1_30default_config_static_selectorELNS0_4arch9wavefront6targetE0EEEvT1_.has_recursion, 0
	.set _ZN7rocprim17ROCPRIM_400000_NS6detail17trampoline_kernelINS0_14default_configENS1_27scan_by_key_config_selectorIiiEEZZNS1_16scan_by_key_implILNS1_25lookback_scan_determinismE0ELb1ES3_N6thrust23THRUST_200600_302600_NS6detail15normal_iteratorINS9_10device_ptrIiEEEESE_SE_iNS9_4plusIvEENS9_8equal_toIvEEiEE10hipError_tPvRmT2_T3_T4_T5_mT6_T7_P12ihipStream_tbENKUlT_T0_E_clISt17integral_constantIbLb1EESY_IbLb0EEEEDaSU_SV_EUlSU_E_NS1_11comp_targetILNS1_3genE8ELNS1_11target_archE1030ELNS1_3gpuE2ELNS1_3repE0EEENS1_30default_config_static_selectorELNS0_4arch9wavefront6targetE0EEEvT1_.has_indirect_call, 0
	.section	.AMDGPU.csdata,"",@progbits
; Kernel info:
; codeLenInByte = 4
; TotalNumSgprs: 0
; NumVgprs: 0
; ScratchSize: 0
; MemoryBound: 0
; FloatMode: 240
; IeeeMode: 1
; LDSByteSize: 0 bytes/workgroup (compile time only)
; SGPRBlocks: 0
; VGPRBlocks: 0
; NumSGPRsForWavesPerEU: 1
; NumVGPRsForWavesPerEU: 1
; Occupancy: 16
; WaveLimiterHint : 0
; COMPUTE_PGM_RSRC2:SCRATCH_EN: 0
; COMPUTE_PGM_RSRC2:USER_SGPR: 6
; COMPUTE_PGM_RSRC2:TRAP_HANDLER: 0
; COMPUTE_PGM_RSRC2:TGID_X_EN: 1
; COMPUTE_PGM_RSRC2:TGID_Y_EN: 0
; COMPUTE_PGM_RSRC2:TGID_Z_EN: 0
; COMPUTE_PGM_RSRC2:TIDIG_COMP_CNT: 0
	.section	.text._ZN7rocprim17ROCPRIM_400000_NS6detail17trampoline_kernelINS0_14default_configENS1_27scan_by_key_config_selectorIiiEEZZNS1_16scan_by_key_implILNS1_25lookback_scan_determinismE0ELb1ES3_N6thrust23THRUST_200600_302600_NS6detail15normal_iteratorINS9_10device_ptrIiEEEESE_SE_iNS9_4plusIvEENS9_8equal_toIvEEiEE10hipError_tPvRmT2_T3_T4_T5_mT6_T7_P12ihipStream_tbENKUlT_T0_E_clISt17integral_constantIbLb0EESY_IbLb1EEEEDaSU_SV_EUlSU_E_NS1_11comp_targetILNS1_3genE0ELNS1_11target_archE4294967295ELNS1_3gpuE0ELNS1_3repE0EEENS1_30default_config_static_selectorELNS0_4arch9wavefront6targetE0EEEvT1_,"axG",@progbits,_ZN7rocprim17ROCPRIM_400000_NS6detail17trampoline_kernelINS0_14default_configENS1_27scan_by_key_config_selectorIiiEEZZNS1_16scan_by_key_implILNS1_25lookback_scan_determinismE0ELb1ES3_N6thrust23THRUST_200600_302600_NS6detail15normal_iteratorINS9_10device_ptrIiEEEESE_SE_iNS9_4plusIvEENS9_8equal_toIvEEiEE10hipError_tPvRmT2_T3_T4_T5_mT6_T7_P12ihipStream_tbENKUlT_T0_E_clISt17integral_constantIbLb0EESY_IbLb1EEEEDaSU_SV_EUlSU_E_NS1_11comp_targetILNS1_3genE0ELNS1_11target_archE4294967295ELNS1_3gpuE0ELNS1_3repE0EEENS1_30default_config_static_selectorELNS0_4arch9wavefront6targetE0EEEvT1_,comdat
	.protected	_ZN7rocprim17ROCPRIM_400000_NS6detail17trampoline_kernelINS0_14default_configENS1_27scan_by_key_config_selectorIiiEEZZNS1_16scan_by_key_implILNS1_25lookback_scan_determinismE0ELb1ES3_N6thrust23THRUST_200600_302600_NS6detail15normal_iteratorINS9_10device_ptrIiEEEESE_SE_iNS9_4plusIvEENS9_8equal_toIvEEiEE10hipError_tPvRmT2_T3_T4_T5_mT6_T7_P12ihipStream_tbENKUlT_T0_E_clISt17integral_constantIbLb0EESY_IbLb1EEEEDaSU_SV_EUlSU_E_NS1_11comp_targetILNS1_3genE0ELNS1_11target_archE4294967295ELNS1_3gpuE0ELNS1_3repE0EEENS1_30default_config_static_selectorELNS0_4arch9wavefront6targetE0EEEvT1_ ; -- Begin function _ZN7rocprim17ROCPRIM_400000_NS6detail17trampoline_kernelINS0_14default_configENS1_27scan_by_key_config_selectorIiiEEZZNS1_16scan_by_key_implILNS1_25lookback_scan_determinismE0ELb1ES3_N6thrust23THRUST_200600_302600_NS6detail15normal_iteratorINS9_10device_ptrIiEEEESE_SE_iNS9_4plusIvEENS9_8equal_toIvEEiEE10hipError_tPvRmT2_T3_T4_T5_mT6_T7_P12ihipStream_tbENKUlT_T0_E_clISt17integral_constantIbLb0EESY_IbLb1EEEEDaSU_SV_EUlSU_E_NS1_11comp_targetILNS1_3genE0ELNS1_11target_archE4294967295ELNS1_3gpuE0ELNS1_3repE0EEENS1_30default_config_static_selectorELNS0_4arch9wavefront6targetE0EEEvT1_
	.globl	_ZN7rocprim17ROCPRIM_400000_NS6detail17trampoline_kernelINS0_14default_configENS1_27scan_by_key_config_selectorIiiEEZZNS1_16scan_by_key_implILNS1_25lookback_scan_determinismE0ELb1ES3_N6thrust23THRUST_200600_302600_NS6detail15normal_iteratorINS9_10device_ptrIiEEEESE_SE_iNS9_4plusIvEENS9_8equal_toIvEEiEE10hipError_tPvRmT2_T3_T4_T5_mT6_T7_P12ihipStream_tbENKUlT_T0_E_clISt17integral_constantIbLb0EESY_IbLb1EEEEDaSU_SV_EUlSU_E_NS1_11comp_targetILNS1_3genE0ELNS1_11target_archE4294967295ELNS1_3gpuE0ELNS1_3repE0EEENS1_30default_config_static_selectorELNS0_4arch9wavefront6targetE0EEEvT1_
	.p2align	8
	.type	_ZN7rocprim17ROCPRIM_400000_NS6detail17trampoline_kernelINS0_14default_configENS1_27scan_by_key_config_selectorIiiEEZZNS1_16scan_by_key_implILNS1_25lookback_scan_determinismE0ELb1ES3_N6thrust23THRUST_200600_302600_NS6detail15normal_iteratorINS9_10device_ptrIiEEEESE_SE_iNS9_4plusIvEENS9_8equal_toIvEEiEE10hipError_tPvRmT2_T3_T4_T5_mT6_T7_P12ihipStream_tbENKUlT_T0_E_clISt17integral_constantIbLb0EESY_IbLb1EEEEDaSU_SV_EUlSU_E_NS1_11comp_targetILNS1_3genE0ELNS1_11target_archE4294967295ELNS1_3gpuE0ELNS1_3repE0EEENS1_30default_config_static_selectorELNS0_4arch9wavefront6targetE0EEEvT1_,@function
_ZN7rocprim17ROCPRIM_400000_NS6detail17trampoline_kernelINS0_14default_configENS1_27scan_by_key_config_selectorIiiEEZZNS1_16scan_by_key_implILNS1_25lookback_scan_determinismE0ELb1ES3_N6thrust23THRUST_200600_302600_NS6detail15normal_iteratorINS9_10device_ptrIiEEEESE_SE_iNS9_4plusIvEENS9_8equal_toIvEEiEE10hipError_tPvRmT2_T3_T4_T5_mT6_T7_P12ihipStream_tbENKUlT_T0_E_clISt17integral_constantIbLb0EESY_IbLb1EEEEDaSU_SV_EUlSU_E_NS1_11comp_targetILNS1_3genE0ELNS1_11target_archE4294967295ELNS1_3gpuE0ELNS1_3repE0EEENS1_30default_config_static_selectorELNS0_4arch9wavefront6targetE0EEEvT1_: ; @_ZN7rocprim17ROCPRIM_400000_NS6detail17trampoline_kernelINS0_14default_configENS1_27scan_by_key_config_selectorIiiEEZZNS1_16scan_by_key_implILNS1_25lookback_scan_determinismE0ELb1ES3_N6thrust23THRUST_200600_302600_NS6detail15normal_iteratorINS9_10device_ptrIiEEEESE_SE_iNS9_4plusIvEENS9_8equal_toIvEEiEE10hipError_tPvRmT2_T3_T4_T5_mT6_T7_P12ihipStream_tbENKUlT_T0_E_clISt17integral_constantIbLb0EESY_IbLb1EEEEDaSU_SV_EUlSU_E_NS1_11comp_targetILNS1_3genE0ELNS1_11target_archE4294967295ELNS1_3gpuE0ELNS1_3repE0EEENS1_30default_config_static_selectorELNS0_4arch9wavefront6targetE0EEEvT1_
; %bb.0:
	.section	.rodata,"a",@progbits
	.p2align	6, 0x0
	.amdhsa_kernel _ZN7rocprim17ROCPRIM_400000_NS6detail17trampoline_kernelINS0_14default_configENS1_27scan_by_key_config_selectorIiiEEZZNS1_16scan_by_key_implILNS1_25lookback_scan_determinismE0ELb1ES3_N6thrust23THRUST_200600_302600_NS6detail15normal_iteratorINS9_10device_ptrIiEEEESE_SE_iNS9_4plusIvEENS9_8equal_toIvEEiEE10hipError_tPvRmT2_T3_T4_T5_mT6_T7_P12ihipStream_tbENKUlT_T0_E_clISt17integral_constantIbLb0EESY_IbLb1EEEEDaSU_SV_EUlSU_E_NS1_11comp_targetILNS1_3genE0ELNS1_11target_archE4294967295ELNS1_3gpuE0ELNS1_3repE0EEENS1_30default_config_static_selectorELNS0_4arch9wavefront6targetE0EEEvT1_
		.amdhsa_group_segment_fixed_size 0
		.amdhsa_private_segment_fixed_size 0
		.amdhsa_kernarg_size 112
		.amdhsa_user_sgpr_count 6
		.amdhsa_user_sgpr_private_segment_buffer 1
		.amdhsa_user_sgpr_dispatch_ptr 0
		.amdhsa_user_sgpr_queue_ptr 0
		.amdhsa_user_sgpr_kernarg_segment_ptr 1
		.amdhsa_user_sgpr_dispatch_id 0
		.amdhsa_user_sgpr_flat_scratch_init 0
		.amdhsa_user_sgpr_private_segment_size 0
		.amdhsa_wavefront_size32 1
		.amdhsa_uses_dynamic_stack 0
		.amdhsa_system_sgpr_private_segment_wavefront_offset 0
		.amdhsa_system_sgpr_workgroup_id_x 1
		.amdhsa_system_sgpr_workgroup_id_y 0
		.amdhsa_system_sgpr_workgroup_id_z 0
		.amdhsa_system_sgpr_workgroup_info 0
		.amdhsa_system_vgpr_workitem_id 0
		.amdhsa_next_free_vgpr 1
		.amdhsa_next_free_sgpr 1
		.amdhsa_reserve_vcc 0
		.amdhsa_reserve_flat_scratch 0
		.amdhsa_float_round_mode_32 0
		.amdhsa_float_round_mode_16_64 0
		.amdhsa_float_denorm_mode_32 3
		.amdhsa_float_denorm_mode_16_64 3
		.amdhsa_dx10_clamp 1
		.amdhsa_ieee_mode 1
		.amdhsa_fp16_overflow 0
		.amdhsa_workgroup_processor_mode 1
		.amdhsa_memory_ordered 1
		.amdhsa_forward_progress 1
		.amdhsa_shared_vgpr_count 0
		.amdhsa_exception_fp_ieee_invalid_op 0
		.amdhsa_exception_fp_denorm_src 0
		.amdhsa_exception_fp_ieee_div_zero 0
		.amdhsa_exception_fp_ieee_overflow 0
		.amdhsa_exception_fp_ieee_underflow 0
		.amdhsa_exception_fp_ieee_inexact 0
		.amdhsa_exception_int_div_zero 0
	.end_amdhsa_kernel
	.section	.text._ZN7rocprim17ROCPRIM_400000_NS6detail17trampoline_kernelINS0_14default_configENS1_27scan_by_key_config_selectorIiiEEZZNS1_16scan_by_key_implILNS1_25lookback_scan_determinismE0ELb1ES3_N6thrust23THRUST_200600_302600_NS6detail15normal_iteratorINS9_10device_ptrIiEEEESE_SE_iNS9_4plusIvEENS9_8equal_toIvEEiEE10hipError_tPvRmT2_T3_T4_T5_mT6_T7_P12ihipStream_tbENKUlT_T0_E_clISt17integral_constantIbLb0EESY_IbLb1EEEEDaSU_SV_EUlSU_E_NS1_11comp_targetILNS1_3genE0ELNS1_11target_archE4294967295ELNS1_3gpuE0ELNS1_3repE0EEENS1_30default_config_static_selectorELNS0_4arch9wavefront6targetE0EEEvT1_,"axG",@progbits,_ZN7rocprim17ROCPRIM_400000_NS6detail17trampoline_kernelINS0_14default_configENS1_27scan_by_key_config_selectorIiiEEZZNS1_16scan_by_key_implILNS1_25lookback_scan_determinismE0ELb1ES3_N6thrust23THRUST_200600_302600_NS6detail15normal_iteratorINS9_10device_ptrIiEEEESE_SE_iNS9_4plusIvEENS9_8equal_toIvEEiEE10hipError_tPvRmT2_T3_T4_T5_mT6_T7_P12ihipStream_tbENKUlT_T0_E_clISt17integral_constantIbLb0EESY_IbLb1EEEEDaSU_SV_EUlSU_E_NS1_11comp_targetILNS1_3genE0ELNS1_11target_archE4294967295ELNS1_3gpuE0ELNS1_3repE0EEENS1_30default_config_static_selectorELNS0_4arch9wavefront6targetE0EEEvT1_,comdat
.Lfunc_end488:
	.size	_ZN7rocprim17ROCPRIM_400000_NS6detail17trampoline_kernelINS0_14default_configENS1_27scan_by_key_config_selectorIiiEEZZNS1_16scan_by_key_implILNS1_25lookback_scan_determinismE0ELb1ES3_N6thrust23THRUST_200600_302600_NS6detail15normal_iteratorINS9_10device_ptrIiEEEESE_SE_iNS9_4plusIvEENS9_8equal_toIvEEiEE10hipError_tPvRmT2_T3_T4_T5_mT6_T7_P12ihipStream_tbENKUlT_T0_E_clISt17integral_constantIbLb0EESY_IbLb1EEEEDaSU_SV_EUlSU_E_NS1_11comp_targetILNS1_3genE0ELNS1_11target_archE4294967295ELNS1_3gpuE0ELNS1_3repE0EEENS1_30default_config_static_selectorELNS0_4arch9wavefront6targetE0EEEvT1_, .Lfunc_end488-_ZN7rocprim17ROCPRIM_400000_NS6detail17trampoline_kernelINS0_14default_configENS1_27scan_by_key_config_selectorIiiEEZZNS1_16scan_by_key_implILNS1_25lookback_scan_determinismE0ELb1ES3_N6thrust23THRUST_200600_302600_NS6detail15normal_iteratorINS9_10device_ptrIiEEEESE_SE_iNS9_4plusIvEENS9_8equal_toIvEEiEE10hipError_tPvRmT2_T3_T4_T5_mT6_T7_P12ihipStream_tbENKUlT_T0_E_clISt17integral_constantIbLb0EESY_IbLb1EEEEDaSU_SV_EUlSU_E_NS1_11comp_targetILNS1_3genE0ELNS1_11target_archE4294967295ELNS1_3gpuE0ELNS1_3repE0EEENS1_30default_config_static_selectorELNS0_4arch9wavefront6targetE0EEEvT1_
                                        ; -- End function
	.set _ZN7rocprim17ROCPRIM_400000_NS6detail17trampoline_kernelINS0_14default_configENS1_27scan_by_key_config_selectorIiiEEZZNS1_16scan_by_key_implILNS1_25lookback_scan_determinismE0ELb1ES3_N6thrust23THRUST_200600_302600_NS6detail15normal_iteratorINS9_10device_ptrIiEEEESE_SE_iNS9_4plusIvEENS9_8equal_toIvEEiEE10hipError_tPvRmT2_T3_T4_T5_mT6_T7_P12ihipStream_tbENKUlT_T0_E_clISt17integral_constantIbLb0EESY_IbLb1EEEEDaSU_SV_EUlSU_E_NS1_11comp_targetILNS1_3genE0ELNS1_11target_archE4294967295ELNS1_3gpuE0ELNS1_3repE0EEENS1_30default_config_static_selectorELNS0_4arch9wavefront6targetE0EEEvT1_.num_vgpr, 0
	.set _ZN7rocprim17ROCPRIM_400000_NS6detail17trampoline_kernelINS0_14default_configENS1_27scan_by_key_config_selectorIiiEEZZNS1_16scan_by_key_implILNS1_25lookback_scan_determinismE0ELb1ES3_N6thrust23THRUST_200600_302600_NS6detail15normal_iteratorINS9_10device_ptrIiEEEESE_SE_iNS9_4plusIvEENS9_8equal_toIvEEiEE10hipError_tPvRmT2_T3_T4_T5_mT6_T7_P12ihipStream_tbENKUlT_T0_E_clISt17integral_constantIbLb0EESY_IbLb1EEEEDaSU_SV_EUlSU_E_NS1_11comp_targetILNS1_3genE0ELNS1_11target_archE4294967295ELNS1_3gpuE0ELNS1_3repE0EEENS1_30default_config_static_selectorELNS0_4arch9wavefront6targetE0EEEvT1_.num_agpr, 0
	.set _ZN7rocprim17ROCPRIM_400000_NS6detail17trampoline_kernelINS0_14default_configENS1_27scan_by_key_config_selectorIiiEEZZNS1_16scan_by_key_implILNS1_25lookback_scan_determinismE0ELb1ES3_N6thrust23THRUST_200600_302600_NS6detail15normal_iteratorINS9_10device_ptrIiEEEESE_SE_iNS9_4plusIvEENS9_8equal_toIvEEiEE10hipError_tPvRmT2_T3_T4_T5_mT6_T7_P12ihipStream_tbENKUlT_T0_E_clISt17integral_constantIbLb0EESY_IbLb1EEEEDaSU_SV_EUlSU_E_NS1_11comp_targetILNS1_3genE0ELNS1_11target_archE4294967295ELNS1_3gpuE0ELNS1_3repE0EEENS1_30default_config_static_selectorELNS0_4arch9wavefront6targetE0EEEvT1_.numbered_sgpr, 0
	.set _ZN7rocprim17ROCPRIM_400000_NS6detail17trampoline_kernelINS0_14default_configENS1_27scan_by_key_config_selectorIiiEEZZNS1_16scan_by_key_implILNS1_25lookback_scan_determinismE0ELb1ES3_N6thrust23THRUST_200600_302600_NS6detail15normal_iteratorINS9_10device_ptrIiEEEESE_SE_iNS9_4plusIvEENS9_8equal_toIvEEiEE10hipError_tPvRmT2_T3_T4_T5_mT6_T7_P12ihipStream_tbENKUlT_T0_E_clISt17integral_constantIbLb0EESY_IbLb1EEEEDaSU_SV_EUlSU_E_NS1_11comp_targetILNS1_3genE0ELNS1_11target_archE4294967295ELNS1_3gpuE0ELNS1_3repE0EEENS1_30default_config_static_selectorELNS0_4arch9wavefront6targetE0EEEvT1_.num_named_barrier, 0
	.set _ZN7rocprim17ROCPRIM_400000_NS6detail17trampoline_kernelINS0_14default_configENS1_27scan_by_key_config_selectorIiiEEZZNS1_16scan_by_key_implILNS1_25lookback_scan_determinismE0ELb1ES3_N6thrust23THRUST_200600_302600_NS6detail15normal_iteratorINS9_10device_ptrIiEEEESE_SE_iNS9_4plusIvEENS9_8equal_toIvEEiEE10hipError_tPvRmT2_T3_T4_T5_mT6_T7_P12ihipStream_tbENKUlT_T0_E_clISt17integral_constantIbLb0EESY_IbLb1EEEEDaSU_SV_EUlSU_E_NS1_11comp_targetILNS1_3genE0ELNS1_11target_archE4294967295ELNS1_3gpuE0ELNS1_3repE0EEENS1_30default_config_static_selectorELNS0_4arch9wavefront6targetE0EEEvT1_.private_seg_size, 0
	.set _ZN7rocprim17ROCPRIM_400000_NS6detail17trampoline_kernelINS0_14default_configENS1_27scan_by_key_config_selectorIiiEEZZNS1_16scan_by_key_implILNS1_25lookback_scan_determinismE0ELb1ES3_N6thrust23THRUST_200600_302600_NS6detail15normal_iteratorINS9_10device_ptrIiEEEESE_SE_iNS9_4plusIvEENS9_8equal_toIvEEiEE10hipError_tPvRmT2_T3_T4_T5_mT6_T7_P12ihipStream_tbENKUlT_T0_E_clISt17integral_constantIbLb0EESY_IbLb1EEEEDaSU_SV_EUlSU_E_NS1_11comp_targetILNS1_3genE0ELNS1_11target_archE4294967295ELNS1_3gpuE0ELNS1_3repE0EEENS1_30default_config_static_selectorELNS0_4arch9wavefront6targetE0EEEvT1_.uses_vcc, 0
	.set _ZN7rocprim17ROCPRIM_400000_NS6detail17trampoline_kernelINS0_14default_configENS1_27scan_by_key_config_selectorIiiEEZZNS1_16scan_by_key_implILNS1_25lookback_scan_determinismE0ELb1ES3_N6thrust23THRUST_200600_302600_NS6detail15normal_iteratorINS9_10device_ptrIiEEEESE_SE_iNS9_4plusIvEENS9_8equal_toIvEEiEE10hipError_tPvRmT2_T3_T4_T5_mT6_T7_P12ihipStream_tbENKUlT_T0_E_clISt17integral_constantIbLb0EESY_IbLb1EEEEDaSU_SV_EUlSU_E_NS1_11comp_targetILNS1_3genE0ELNS1_11target_archE4294967295ELNS1_3gpuE0ELNS1_3repE0EEENS1_30default_config_static_selectorELNS0_4arch9wavefront6targetE0EEEvT1_.uses_flat_scratch, 0
	.set _ZN7rocprim17ROCPRIM_400000_NS6detail17trampoline_kernelINS0_14default_configENS1_27scan_by_key_config_selectorIiiEEZZNS1_16scan_by_key_implILNS1_25lookback_scan_determinismE0ELb1ES3_N6thrust23THRUST_200600_302600_NS6detail15normal_iteratorINS9_10device_ptrIiEEEESE_SE_iNS9_4plusIvEENS9_8equal_toIvEEiEE10hipError_tPvRmT2_T3_T4_T5_mT6_T7_P12ihipStream_tbENKUlT_T0_E_clISt17integral_constantIbLb0EESY_IbLb1EEEEDaSU_SV_EUlSU_E_NS1_11comp_targetILNS1_3genE0ELNS1_11target_archE4294967295ELNS1_3gpuE0ELNS1_3repE0EEENS1_30default_config_static_selectorELNS0_4arch9wavefront6targetE0EEEvT1_.has_dyn_sized_stack, 0
	.set _ZN7rocprim17ROCPRIM_400000_NS6detail17trampoline_kernelINS0_14default_configENS1_27scan_by_key_config_selectorIiiEEZZNS1_16scan_by_key_implILNS1_25lookback_scan_determinismE0ELb1ES3_N6thrust23THRUST_200600_302600_NS6detail15normal_iteratorINS9_10device_ptrIiEEEESE_SE_iNS9_4plusIvEENS9_8equal_toIvEEiEE10hipError_tPvRmT2_T3_T4_T5_mT6_T7_P12ihipStream_tbENKUlT_T0_E_clISt17integral_constantIbLb0EESY_IbLb1EEEEDaSU_SV_EUlSU_E_NS1_11comp_targetILNS1_3genE0ELNS1_11target_archE4294967295ELNS1_3gpuE0ELNS1_3repE0EEENS1_30default_config_static_selectorELNS0_4arch9wavefront6targetE0EEEvT1_.has_recursion, 0
	.set _ZN7rocprim17ROCPRIM_400000_NS6detail17trampoline_kernelINS0_14default_configENS1_27scan_by_key_config_selectorIiiEEZZNS1_16scan_by_key_implILNS1_25lookback_scan_determinismE0ELb1ES3_N6thrust23THRUST_200600_302600_NS6detail15normal_iteratorINS9_10device_ptrIiEEEESE_SE_iNS9_4plusIvEENS9_8equal_toIvEEiEE10hipError_tPvRmT2_T3_T4_T5_mT6_T7_P12ihipStream_tbENKUlT_T0_E_clISt17integral_constantIbLb0EESY_IbLb1EEEEDaSU_SV_EUlSU_E_NS1_11comp_targetILNS1_3genE0ELNS1_11target_archE4294967295ELNS1_3gpuE0ELNS1_3repE0EEENS1_30default_config_static_selectorELNS0_4arch9wavefront6targetE0EEEvT1_.has_indirect_call, 0
	.section	.AMDGPU.csdata,"",@progbits
; Kernel info:
; codeLenInByte = 0
; TotalNumSgprs: 0
; NumVgprs: 0
; ScratchSize: 0
; MemoryBound: 0
; FloatMode: 240
; IeeeMode: 1
; LDSByteSize: 0 bytes/workgroup (compile time only)
; SGPRBlocks: 0
; VGPRBlocks: 0
; NumSGPRsForWavesPerEU: 1
; NumVGPRsForWavesPerEU: 1
; Occupancy: 16
; WaveLimiterHint : 0
; COMPUTE_PGM_RSRC2:SCRATCH_EN: 0
; COMPUTE_PGM_RSRC2:USER_SGPR: 6
; COMPUTE_PGM_RSRC2:TRAP_HANDLER: 0
; COMPUTE_PGM_RSRC2:TGID_X_EN: 1
; COMPUTE_PGM_RSRC2:TGID_Y_EN: 0
; COMPUTE_PGM_RSRC2:TGID_Z_EN: 0
; COMPUTE_PGM_RSRC2:TIDIG_COMP_CNT: 0
	.section	.text._ZN7rocprim17ROCPRIM_400000_NS6detail17trampoline_kernelINS0_14default_configENS1_27scan_by_key_config_selectorIiiEEZZNS1_16scan_by_key_implILNS1_25lookback_scan_determinismE0ELb1ES3_N6thrust23THRUST_200600_302600_NS6detail15normal_iteratorINS9_10device_ptrIiEEEESE_SE_iNS9_4plusIvEENS9_8equal_toIvEEiEE10hipError_tPvRmT2_T3_T4_T5_mT6_T7_P12ihipStream_tbENKUlT_T0_E_clISt17integral_constantIbLb0EESY_IbLb1EEEEDaSU_SV_EUlSU_E_NS1_11comp_targetILNS1_3genE10ELNS1_11target_archE1201ELNS1_3gpuE5ELNS1_3repE0EEENS1_30default_config_static_selectorELNS0_4arch9wavefront6targetE0EEEvT1_,"axG",@progbits,_ZN7rocprim17ROCPRIM_400000_NS6detail17trampoline_kernelINS0_14default_configENS1_27scan_by_key_config_selectorIiiEEZZNS1_16scan_by_key_implILNS1_25lookback_scan_determinismE0ELb1ES3_N6thrust23THRUST_200600_302600_NS6detail15normal_iteratorINS9_10device_ptrIiEEEESE_SE_iNS9_4plusIvEENS9_8equal_toIvEEiEE10hipError_tPvRmT2_T3_T4_T5_mT6_T7_P12ihipStream_tbENKUlT_T0_E_clISt17integral_constantIbLb0EESY_IbLb1EEEEDaSU_SV_EUlSU_E_NS1_11comp_targetILNS1_3genE10ELNS1_11target_archE1201ELNS1_3gpuE5ELNS1_3repE0EEENS1_30default_config_static_selectorELNS0_4arch9wavefront6targetE0EEEvT1_,comdat
	.protected	_ZN7rocprim17ROCPRIM_400000_NS6detail17trampoline_kernelINS0_14default_configENS1_27scan_by_key_config_selectorIiiEEZZNS1_16scan_by_key_implILNS1_25lookback_scan_determinismE0ELb1ES3_N6thrust23THRUST_200600_302600_NS6detail15normal_iteratorINS9_10device_ptrIiEEEESE_SE_iNS9_4plusIvEENS9_8equal_toIvEEiEE10hipError_tPvRmT2_T3_T4_T5_mT6_T7_P12ihipStream_tbENKUlT_T0_E_clISt17integral_constantIbLb0EESY_IbLb1EEEEDaSU_SV_EUlSU_E_NS1_11comp_targetILNS1_3genE10ELNS1_11target_archE1201ELNS1_3gpuE5ELNS1_3repE0EEENS1_30default_config_static_selectorELNS0_4arch9wavefront6targetE0EEEvT1_ ; -- Begin function _ZN7rocprim17ROCPRIM_400000_NS6detail17trampoline_kernelINS0_14default_configENS1_27scan_by_key_config_selectorIiiEEZZNS1_16scan_by_key_implILNS1_25lookback_scan_determinismE0ELb1ES3_N6thrust23THRUST_200600_302600_NS6detail15normal_iteratorINS9_10device_ptrIiEEEESE_SE_iNS9_4plusIvEENS9_8equal_toIvEEiEE10hipError_tPvRmT2_T3_T4_T5_mT6_T7_P12ihipStream_tbENKUlT_T0_E_clISt17integral_constantIbLb0EESY_IbLb1EEEEDaSU_SV_EUlSU_E_NS1_11comp_targetILNS1_3genE10ELNS1_11target_archE1201ELNS1_3gpuE5ELNS1_3repE0EEENS1_30default_config_static_selectorELNS0_4arch9wavefront6targetE0EEEvT1_
	.globl	_ZN7rocprim17ROCPRIM_400000_NS6detail17trampoline_kernelINS0_14default_configENS1_27scan_by_key_config_selectorIiiEEZZNS1_16scan_by_key_implILNS1_25lookback_scan_determinismE0ELb1ES3_N6thrust23THRUST_200600_302600_NS6detail15normal_iteratorINS9_10device_ptrIiEEEESE_SE_iNS9_4plusIvEENS9_8equal_toIvEEiEE10hipError_tPvRmT2_T3_T4_T5_mT6_T7_P12ihipStream_tbENKUlT_T0_E_clISt17integral_constantIbLb0EESY_IbLb1EEEEDaSU_SV_EUlSU_E_NS1_11comp_targetILNS1_3genE10ELNS1_11target_archE1201ELNS1_3gpuE5ELNS1_3repE0EEENS1_30default_config_static_selectorELNS0_4arch9wavefront6targetE0EEEvT1_
	.p2align	8
	.type	_ZN7rocprim17ROCPRIM_400000_NS6detail17trampoline_kernelINS0_14default_configENS1_27scan_by_key_config_selectorIiiEEZZNS1_16scan_by_key_implILNS1_25lookback_scan_determinismE0ELb1ES3_N6thrust23THRUST_200600_302600_NS6detail15normal_iteratorINS9_10device_ptrIiEEEESE_SE_iNS9_4plusIvEENS9_8equal_toIvEEiEE10hipError_tPvRmT2_T3_T4_T5_mT6_T7_P12ihipStream_tbENKUlT_T0_E_clISt17integral_constantIbLb0EESY_IbLb1EEEEDaSU_SV_EUlSU_E_NS1_11comp_targetILNS1_3genE10ELNS1_11target_archE1201ELNS1_3gpuE5ELNS1_3repE0EEENS1_30default_config_static_selectorELNS0_4arch9wavefront6targetE0EEEvT1_,@function
_ZN7rocprim17ROCPRIM_400000_NS6detail17trampoline_kernelINS0_14default_configENS1_27scan_by_key_config_selectorIiiEEZZNS1_16scan_by_key_implILNS1_25lookback_scan_determinismE0ELb1ES3_N6thrust23THRUST_200600_302600_NS6detail15normal_iteratorINS9_10device_ptrIiEEEESE_SE_iNS9_4plusIvEENS9_8equal_toIvEEiEE10hipError_tPvRmT2_T3_T4_T5_mT6_T7_P12ihipStream_tbENKUlT_T0_E_clISt17integral_constantIbLb0EESY_IbLb1EEEEDaSU_SV_EUlSU_E_NS1_11comp_targetILNS1_3genE10ELNS1_11target_archE1201ELNS1_3gpuE5ELNS1_3repE0EEENS1_30default_config_static_selectorELNS0_4arch9wavefront6targetE0EEEvT1_: ; @_ZN7rocprim17ROCPRIM_400000_NS6detail17trampoline_kernelINS0_14default_configENS1_27scan_by_key_config_selectorIiiEEZZNS1_16scan_by_key_implILNS1_25lookback_scan_determinismE0ELb1ES3_N6thrust23THRUST_200600_302600_NS6detail15normal_iteratorINS9_10device_ptrIiEEEESE_SE_iNS9_4plusIvEENS9_8equal_toIvEEiEE10hipError_tPvRmT2_T3_T4_T5_mT6_T7_P12ihipStream_tbENKUlT_T0_E_clISt17integral_constantIbLb0EESY_IbLb1EEEEDaSU_SV_EUlSU_E_NS1_11comp_targetILNS1_3genE10ELNS1_11target_archE1201ELNS1_3gpuE5ELNS1_3repE0EEENS1_30default_config_static_selectorELNS0_4arch9wavefront6targetE0EEEvT1_
; %bb.0:
	.section	.rodata,"a",@progbits
	.p2align	6, 0x0
	.amdhsa_kernel _ZN7rocprim17ROCPRIM_400000_NS6detail17trampoline_kernelINS0_14default_configENS1_27scan_by_key_config_selectorIiiEEZZNS1_16scan_by_key_implILNS1_25lookback_scan_determinismE0ELb1ES3_N6thrust23THRUST_200600_302600_NS6detail15normal_iteratorINS9_10device_ptrIiEEEESE_SE_iNS9_4plusIvEENS9_8equal_toIvEEiEE10hipError_tPvRmT2_T3_T4_T5_mT6_T7_P12ihipStream_tbENKUlT_T0_E_clISt17integral_constantIbLb0EESY_IbLb1EEEEDaSU_SV_EUlSU_E_NS1_11comp_targetILNS1_3genE10ELNS1_11target_archE1201ELNS1_3gpuE5ELNS1_3repE0EEENS1_30default_config_static_selectorELNS0_4arch9wavefront6targetE0EEEvT1_
		.amdhsa_group_segment_fixed_size 0
		.amdhsa_private_segment_fixed_size 0
		.amdhsa_kernarg_size 112
		.amdhsa_user_sgpr_count 6
		.amdhsa_user_sgpr_private_segment_buffer 1
		.amdhsa_user_sgpr_dispatch_ptr 0
		.amdhsa_user_sgpr_queue_ptr 0
		.amdhsa_user_sgpr_kernarg_segment_ptr 1
		.amdhsa_user_sgpr_dispatch_id 0
		.amdhsa_user_sgpr_flat_scratch_init 0
		.amdhsa_user_sgpr_private_segment_size 0
		.amdhsa_wavefront_size32 1
		.amdhsa_uses_dynamic_stack 0
		.amdhsa_system_sgpr_private_segment_wavefront_offset 0
		.amdhsa_system_sgpr_workgroup_id_x 1
		.amdhsa_system_sgpr_workgroup_id_y 0
		.amdhsa_system_sgpr_workgroup_id_z 0
		.amdhsa_system_sgpr_workgroup_info 0
		.amdhsa_system_vgpr_workitem_id 0
		.amdhsa_next_free_vgpr 1
		.amdhsa_next_free_sgpr 1
		.amdhsa_reserve_vcc 0
		.amdhsa_reserve_flat_scratch 0
		.amdhsa_float_round_mode_32 0
		.amdhsa_float_round_mode_16_64 0
		.amdhsa_float_denorm_mode_32 3
		.amdhsa_float_denorm_mode_16_64 3
		.amdhsa_dx10_clamp 1
		.amdhsa_ieee_mode 1
		.amdhsa_fp16_overflow 0
		.amdhsa_workgroup_processor_mode 1
		.amdhsa_memory_ordered 1
		.amdhsa_forward_progress 1
		.amdhsa_shared_vgpr_count 0
		.amdhsa_exception_fp_ieee_invalid_op 0
		.amdhsa_exception_fp_denorm_src 0
		.amdhsa_exception_fp_ieee_div_zero 0
		.amdhsa_exception_fp_ieee_overflow 0
		.amdhsa_exception_fp_ieee_underflow 0
		.amdhsa_exception_fp_ieee_inexact 0
		.amdhsa_exception_int_div_zero 0
	.end_amdhsa_kernel
	.section	.text._ZN7rocprim17ROCPRIM_400000_NS6detail17trampoline_kernelINS0_14default_configENS1_27scan_by_key_config_selectorIiiEEZZNS1_16scan_by_key_implILNS1_25lookback_scan_determinismE0ELb1ES3_N6thrust23THRUST_200600_302600_NS6detail15normal_iteratorINS9_10device_ptrIiEEEESE_SE_iNS9_4plusIvEENS9_8equal_toIvEEiEE10hipError_tPvRmT2_T3_T4_T5_mT6_T7_P12ihipStream_tbENKUlT_T0_E_clISt17integral_constantIbLb0EESY_IbLb1EEEEDaSU_SV_EUlSU_E_NS1_11comp_targetILNS1_3genE10ELNS1_11target_archE1201ELNS1_3gpuE5ELNS1_3repE0EEENS1_30default_config_static_selectorELNS0_4arch9wavefront6targetE0EEEvT1_,"axG",@progbits,_ZN7rocprim17ROCPRIM_400000_NS6detail17trampoline_kernelINS0_14default_configENS1_27scan_by_key_config_selectorIiiEEZZNS1_16scan_by_key_implILNS1_25lookback_scan_determinismE0ELb1ES3_N6thrust23THRUST_200600_302600_NS6detail15normal_iteratorINS9_10device_ptrIiEEEESE_SE_iNS9_4plusIvEENS9_8equal_toIvEEiEE10hipError_tPvRmT2_T3_T4_T5_mT6_T7_P12ihipStream_tbENKUlT_T0_E_clISt17integral_constantIbLb0EESY_IbLb1EEEEDaSU_SV_EUlSU_E_NS1_11comp_targetILNS1_3genE10ELNS1_11target_archE1201ELNS1_3gpuE5ELNS1_3repE0EEENS1_30default_config_static_selectorELNS0_4arch9wavefront6targetE0EEEvT1_,comdat
.Lfunc_end489:
	.size	_ZN7rocprim17ROCPRIM_400000_NS6detail17trampoline_kernelINS0_14default_configENS1_27scan_by_key_config_selectorIiiEEZZNS1_16scan_by_key_implILNS1_25lookback_scan_determinismE0ELb1ES3_N6thrust23THRUST_200600_302600_NS6detail15normal_iteratorINS9_10device_ptrIiEEEESE_SE_iNS9_4plusIvEENS9_8equal_toIvEEiEE10hipError_tPvRmT2_T3_T4_T5_mT6_T7_P12ihipStream_tbENKUlT_T0_E_clISt17integral_constantIbLb0EESY_IbLb1EEEEDaSU_SV_EUlSU_E_NS1_11comp_targetILNS1_3genE10ELNS1_11target_archE1201ELNS1_3gpuE5ELNS1_3repE0EEENS1_30default_config_static_selectorELNS0_4arch9wavefront6targetE0EEEvT1_, .Lfunc_end489-_ZN7rocprim17ROCPRIM_400000_NS6detail17trampoline_kernelINS0_14default_configENS1_27scan_by_key_config_selectorIiiEEZZNS1_16scan_by_key_implILNS1_25lookback_scan_determinismE0ELb1ES3_N6thrust23THRUST_200600_302600_NS6detail15normal_iteratorINS9_10device_ptrIiEEEESE_SE_iNS9_4plusIvEENS9_8equal_toIvEEiEE10hipError_tPvRmT2_T3_T4_T5_mT6_T7_P12ihipStream_tbENKUlT_T0_E_clISt17integral_constantIbLb0EESY_IbLb1EEEEDaSU_SV_EUlSU_E_NS1_11comp_targetILNS1_3genE10ELNS1_11target_archE1201ELNS1_3gpuE5ELNS1_3repE0EEENS1_30default_config_static_selectorELNS0_4arch9wavefront6targetE0EEEvT1_
                                        ; -- End function
	.set _ZN7rocprim17ROCPRIM_400000_NS6detail17trampoline_kernelINS0_14default_configENS1_27scan_by_key_config_selectorIiiEEZZNS1_16scan_by_key_implILNS1_25lookback_scan_determinismE0ELb1ES3_N6thrust23THRUST_200600_302600_NS6detail15normal_iteratorINS9_10device_ptrIiEEEESE_SE_iNS9_4plusIvEENS9_8equal_toIvEEiEE10hipError_tPvRmT2_T3_T4_T5_mT6_T7_P12ihipStream_tbENKUlT_T0_E_clISt17integral_constantIbLb0EESY_IbLb1EEEEDaSU_SV_EUlSU_E_NS1_11comp_targetILNS1_3genE10ELNS1_11target_archE1201ELNS1_3gpuE5ELNS1_3repE0EEENS1_30default_config_static_selectorELNS0_4arch9wavefront6targetE0EEEvT1_.num_vgpr, 0
	.set _ZN7rocprim17ROCPRIM_400000_NS6detail17trampoline_kernelINS0_14default_configENS1_27scan_by_key_config_selectorIiiEEZZNS1_16scan_by_key_implILNS1_25lookback_scan_determinismE0ELb1ES3_N6thrust23THRUST_200600_302600_NS6detail15normal_iteratorINS9_10device_ptrIiEEEESE_SE_iNS9_4plusIvEENS9_8equal_toIvEEiEE10hipError_tPvRmT2_T3_T4_T5_mT6_T7_P12ihipStream_tbENKUlT_T0_E_clISt17integral_constantIbLb0EESY_IbLb1EEEEDaSU_SV_EUlSU_E_NS1_11comp_targetILNS1_3genE10ELNS1_11target_archE1201ELNS1_3gpuE5ELNS1_3repE0EEENS1_30default_config_static_selectorELNS0_4arch9wavefront6targetE0EEEvT1_.num_agpr, 0
	.set _ZN7rocprim17ROCPRIM_400000_NS6detail17trampoline_kernelINS0_14default_configENS1_27scan_by_key_config_selectorIiiEEZZNS1_16scan_by_key_implILNS1_25lookback_scan_determinismE0ELb1ES3_N6thrust23THRUST_200600_302600_NS6detail15normal_iteratorINS9_10device_ptrIiEEEESE_SE_iNS9_4plusIvEENS9_8equal_toIvEEiEE10hipError_tPvRmT2_T3_T4_T5_mT6_T7_P12ihipStream_tbENKUlT_T0_E_clISt17integral_constantIbLb0EESY_IbLb1EEEEDaSU_SV_EUlSU_E_NS1_11comp_targetILNS1_3genE10ELNS1_11target_archE1201ELNS1_3gpuE5ELNS1_3repE0EEENS1_30default_config_static_selectorELNS0_4arch9wavefront6targetE0EEEvT1_.numbered_sgpr, 0
	.set _ZN7rocprim17ROCPRIM_400000_NS6detail17trampoline_kernelINS0_14default_configENS1_27scan_by_key_config_selectorIiiEEZZNS1_16scan_by_key_implILNS1_25lookback_scan_determinismE0ELb1ES3_N6thrust23THRUST_200600_302600_NS6detail15normal_iteratorINS9_10device_ptrIiEEEESE_SE_iNS9_4plusIvEENS9_8equal_toIvEEiEE10hipError_tPvRmT2_T3_T4_T5_mT6_T7_P12ihipStream_tbENKUlT_T0_E_clISt17integral_constantIbLb0EESY_IbLb1EEEEDaSU_SV_EUlSU_E_NS1_11comp_targetILNS1_3genE10ELNS1_11target_archE1201ELNS1_3gpuE5ELNS1_3repE0EEENS1_30default_config_static_selectorELNS0_4arch9wavefront6targetE0EEEvT1_.num_named_barrier, 0
	.set _ZN7rocprim17ROCPRIM_400000_NS6detail17trampoline_kernelINS0_14default_configENS1_27scan_by_key_config_selectorIiiEEZZNS1_16scan_by_key_implILNS1_25lookback_scan_determinismE0ELb1ES3_N6thrust23THRUST_200600_302600_NS6detail15normal_iteratorINS9_10device_ptrIiEEEESE_SE_iNS9_4plusIvEENS9_8equal_toIvEEiEE10hipError_tPvRmT2_T3_T4_T5_mT6_T7_P12ihipStream_tbENKUlT_T0_E_clISt17integral_constantIbLb0EESY_IbLb1EEEEDaSU_SV_EUlSU_E_NS1_11comp_targetILNS1_3genE10ELNS1_11target_archE1201ELNS1_3gpuE5ELNS1_3repE0EEENS1_30default_config_static_selectorELNS0_4arch9wavefront6targetE0EEEvT1_.private_seg_size, 0
	.set _ZN7rocprim17ROCPRIM_400000_NS6detail17trampoline_kernelINS0_14default_configENS1_27scan_by_key_config_selectorIiiEEZZNS1_16scan_by_key_implILNS1_25lookback_scan_determinismE0ELb1ES3_N6thrust23THRUST_200600_302600_NS6detail15normal_iteratorINS9_10device_ptrIiEEEESE_SE_iNS9_4plusIvEENS9_8equal_toIvEEiEE10hipError_tPvRmT2_T3_T4_T5_mT6_T7_P12ihipStream_tbENKUlT_T0_E_clISt17integral_constantIbLb0EESY_IbLb1EEEEDaSU_SV_EUlSU_E_NS1_11comp_targetILNS1_3genE10ELNS1_11target_archE1201ELNS1_3gpuE5ELNS1_3repE0EEENS1_30default_config_static_selectorELNS0_4arch9wavefront6targetE0EEEvT1_.uses_vcc, 0
	.set _ZN7rocprim17ROCPRIM_400000_NS6detail17trampoline_kernelINS0_14default_configENS1_27scan_by_key_config_selectorIiiEEZZNS1_16scan_by_key_implILNS1_25lookback_scan_determinismE0ELb1ES3_N6thrust23THRUST_200600_302600_NS6detail15normal_iteratorINS9_10device_ptrIiEEEESE_SE_iNS9_4plusIvEENS9_8equal_toIvEEiEE10hipError_tPvRmT2_T3_T4_T5_mT6_T7_P12ihipStream_tbENKUlT_T0_E_clISt17integral_constantIbLb0EESY_IbLb1EEEEDaSU_SV_EUlSU_E_NS1_11comp_targetILNS1_3genE10ELNS1_11target_archE1201ELNS1_3gpuE5ELNS1_3repE0EEENS1_30default_config_static_selectorELNS0_4arch9wavefront6targetE0EEEvT1_.uses_flat_scratch, 0
	.set _ZN7rocprim17ROCPRIM_400000_NS6detail17trampoline_kernelINS0_14default_configENS1_27scan_by_key_config_selectorIiiEEZZNS1_16scan_by_key_implILNS1_25lookback_scan_determinismE0ELb1ES3_N6thrust23THRUST_200600_302600_NS6detail15normal_iteratorINS9_10device_ptrIiEEEESE_SE_iNS9_4plusIvEENS9_8equal_toIvEEiEE10hipError_tPvRmT2_T3_T4_T5_mT6_T7_P12ihipStream_tbENKUlT_T0_E_clISt17integral_constantIbLb0EESY_IbLb1EEEEDaSU_SV_EUlSU_E_NS1_11comp_targetILNS1_3genE10ELNS1_11target_archE1201ELNS1_3gpuE5ELNS1_3repE0EEENS1_30default_config_static_selectorELNS0_4arch9wavefront6targetE0EEEvT1_.has_dyn_sized_stack, 0
	.set _ZN7rocprim17ROCPRIM_400000_NS6detail17trampoline_kernelINS0_14default_configENS1_27scan_by_key_config_selectorIiiEEZZNS1_16scan_by_key_implILNS1_25lookback_scan_determinismE0ELb1ES3_N6thrust23THRUST_200600_302600_NS6detail15normal_iteratorINS9_10device_ptrIiEEEESE_SE_iNS9_4plusIvEENS9_8equal_toIvEEiEE10hipError_tPvRmT2_T3_T4_T5_mT6_T7_P12ihipStream_tbENKUlT_T0_E_clISt17integral_constantIbLb0EESY_IbLb1EEEEDaSU_SV_EUlSU_E_NS1_11comp_targetILNS1_3genE10ELNS1_11target_archE1201ELNS1_3gpuE5ELNS1_3repE0EEENS1_30default_config_static_selectorELNS0_4arch9wavefront6targetE0EEEvT1_.has_recursion, 0
	.set _ZN7rocprim17ROCPRIM_400000_NS6detail17trampoline_kernelINS0_14default_configENS1_27scan_by_key_config_selectorIiiEEZZNS1_16scan_by_key_implILNS1_25lookback_scan_determinismE0ELb1ES3_N6thrust23THRUST_200600_302600_NS6detail15normal_iteratorINS9_10device_ptrIiEEEESE_SE_iNS9_4plusIvEENS9_8equal_toIvEEiEE10hipError_tPvRmT2_T3_T4_T5_mT6_T7_P12ihipStream_tbENKUlT_T0_E_clISt17integral_constantIbLb0EESY_IbLb1EEEEDaSU_SV_EUlSU_E_NS1_11comp_targetILNS1_3genE10ELNS1_11target_archE1201ELNS1_3gpuE5ELNS1_3repE0EEENS1_30default_config_static_selectorELNS0_4arch9wavefront6targetE0EEEvT1_.has_indirect_call, 0
	.section	.AMDGPU.csdata,"",@progbits
; Kernel info:
; codeLenInByte = 0
; TotalNumSgprs: 0
; NumVgprs: 0
; ScratchSize: 0
; MemoryBound: 0
; FloatMode: 240
; IeeeMode: 1
; LDSByteSize: 0 bytes/workgroup (compile time only)
; SGPRBlocks: 0
; VGPRBlocks: 0
; NumSGPRsForWavesPerEU: 1
; NumVGPRsForWavesPerEU: 1
; Occupancy: 16
; WaveLimiterHint : 0
; COMPUTE_PGM_RSRC2:SCRATCH_EN: 0
; COMPUTE_PGM_RSRC2:USER_SGPR: 6
; COMPUTE_PGM_RSRC2:TRAP_HANDLER: 0
; COMPUTE_PGM_RSRC2:TGID_X_EN: 1
; COMPUTE_PGM_RSRC2:TGID_Y_EN: 0
; COMPUTE_PGM_RSRC2:TGID_Z_EN: 0
; COMPUTE_PGM_RSRC2:TIDIG_COMP_CNT: 0
	.section	.text._ZN7rocprim17ROCPRIM_400000_NS6detail17trampoline_kernelINS0_14default_configENS1_27scan_by_key_config_selectorIiiEEZZNS1_16scan_by_key_implILNS1_25lookback_scan_determinismE0ELb1ES3_N6thrust23THRUST_200600_302600_NS6detail15normal_iteratorINS9_10device_ptrIiEEEESE_SE_iNS9_4plusIvEENS9_8equal_toIvEEiEE10hipError_tPvRmT2_T3_T4_T5_mT6_T7_P12ihipStream_tbENKUlT_T0_E_clISt17integral_constantIbLb0EESY_IbLb1EEEEDaSU_SV_EUlSU_E_NS1_11comp_targetILNS1_3genE5ELNS1_11target_archE942ELNS1_3gpuE9ELNS1_3repE0EEENS1_30default_config_static_selectorELNS0_4arch9wavefront6targetE0EEEvT1_,"axG",@progbits,_ZN7rocprim17ROCPRIM_400000_NS6detail17trampoline_kernelINS0_14default_configENS1_27scan_by_key_config_selectorIiiEEZZNS1_16scan_by_key_implILNS1_25lookback_scan_determinismE0ELb1ES3_N6thrust23THRUST_200600_302600_NS6detail15normal_iteratorINS9_10device_ptrIiEEEESE_SE_iNS9_4plusIvEENS9_8equal_toIvEEiEE10hipError_tPvRmT2_T3_T4_T5_mT6_T7_P12ihipStream_tbENKUlT_T0_E_clISt17integral_constantIbLb0EESY_IbLb1EEEEDaSU_SV_EUlSU_E_NS1_11comp_targetILNS1_3genE5ELNS1_11target_archE942ELNS1_3gpuE9ELNS1_3repE0EEENS1_30default_config_static_selectorELNS0_4arch9wavefront6targetE0EEEvT1_,comdat
	.protected	_ZN7rocprim17ROCPRIM_400000_NS6detail17trampoline_kernelINS0_14default_configENS1_27scan_by_key_config_selectorIiiEEZZNS1_16scan_by_key_implILNS1_25lookback_scan_determinismE0ELb1ES3_N6thrust23THRUST_200600_302600_NS6detail15normal_iteratorINS9_10device_ptrIiEEEESE_SE_iNS9_4plusIvEENS9_8equal_toIvEEiEE10hipError_tPvRmT2_T3_T4_T5_mT6_T7_P12ihipStream_tbENKUlT_T0_E_clISt17integral_constantIbLb0EESY_IbLb1EEEEDaSU_SV_EUlSU_E_NS1_11comp_targetILNS1_3genE5ELNS1_11target_archE942ELNS1_3gpuE9ELNS1_3repE0EEENS1_30default_config_static_selectorELNS0_4arch9wavefront6targetE0EEEvT1_ ; -- Begin function _ZN7rocprim17ROCPRIM_400000_NS6detail17trampoline_kernelINS0_14default_configENS1_27scan_by_key_config_selectorIiiEEZZNS1_16scan_by_key_implILNS1_25lookback_scan_determinismE0ELb1ES3_N6thrust23THRUST_200600_302600_NS6detail15normal_iteratorINS9_10device_ptrIiEEEESE_SE_iNS9_4plusIvEENS9_8equal_toIvEEiEE10hipError_tPvRmT2_T3_T4_T5_mT6_T7_P12ihipStream_tbENKUlT_T0_E_clISt17integral_constantIbLb0EESY_IbLb1EEEEDaSU_SV_EUlSU_E_NS1_11comp_targetILNS1_3genE5ELNS1_11target_archE942ELNS1_3gpuE9ELNS1_3repE0EEENS1_30default_config_static_selectorELNS0_4arch9wavefront6targetE0EEEvT1_
	.globl	_ZN7rocprim17ROCPRIM_400000_NS6detail17trampoline_kernelINS0_14default_configENS1_27scan_by_key_config_selectorIiiEEZZNS1_16scan_by_key_implILNS1_25lookback_scan_determinismE0ELb1ES3_N6thrust23THRUST_200600_302600_NS6detail15normal_iteratorINS9_10device_ptrIiEEEESE_SE_iNS9_4plusIvEENS9_8equal_toIvEEiEE10hipError_tPvRmT2_T3_T4_T5_mT6_T7_P12ihipStream_tbENKUlT_T0_E_clISt17integral_constantIbLb0EESY_IbLb1EEEEDaSU_SV_EUlSU_E_NS1_11comp_targetILNS1_3genE5ELNS1_11target_archE942ELNS1_3gpuE9ELNS1_3repE0EEENS1_30default_config_static_selectorELNS0_4arch9wavefront6targetE0EEEvT1_
	.p2align	8
	.type	_ZN7rocprim17ROCPRIM_400000_NS6detail17trampoline_kernelINS0_14default_configENS1_27scan_by_key_config_selectorIiiEEZZNS1_16scan_by_key_implILNS1_25lookback_scan_determinismE0ELb1ES3_N6thrust23THRUST_200600_302600_NS6detail15normal_iteratorINS9_10device_ptrIiEEEESE_SE_iNS9_4plusIvEENS9_8equal_toIvEEiEE10hipError_tPvRmT2_T3_T4_T5_mT6_T7_P12ihipStream_tbENKUlT_T0_E_clISt17integral_constantIbLb0EESY_IbLb1EEEEDaSU_SV_EUlSU_E_NS1_11comp_targetILNS1_3genE5ELNS1_11target_archE942ELNS1_3gpuE9ELNS1_3repE0EEENS1_30default_config_static_selectorELNS0_4arch9wavefront6targetE0EEEvT1_,@function
_ZN7rocprim17ROCPRIM_400000_NS6detail17trampoline_kernelINS0_14default_configENS1_27scan_by_key_config_selectorIiiEEZZNS1_16scan_by_key_implILNS1_25lookback_scan_determinismE0ELb1ES3_N6thrust23THRUST_200600_302600_NS6detail15normal_iteratorINS9_10device_ptrIiEEEESE_SE_iNS9_4plusIvEENS9_8equal_toIvEEiEE10hipError_tPvRmT2_T3_T4_T5_mT6_T7_P12ihipStream_tbENKUlT_T0_E_clISt17integral_constantIbLb0EESY_IbLb1EEEEDaSU_SV_EUlSU_E_NS1_11comp_targetILNS1_3genE5ELNS1_11target_archE942ELNS1_3gpuE9ELNS1_3repE0EEENS1_30default_config_static_selectorELNS0_4arch9wavefront6targetE0EEEvT1_: ; @_ZN7rocprim17ROCPRIM_400000_NS6detail17trampoline_kernelINS0_14default_configENS1_27scan_by_key_config_selectorIiiEEZZNS1_16scan_by_key_implILNS1_25lookback_scan_determinismE0ELb1ES3_N6thrust23THRUST_200600_302600_NS6detail15normal_iteratorINS9_10device_ptrIiEEEESE_SE_iNS9_4plusIvEENS9_8equal_toIvEEiEE10hipError_tPvRmT2_T3_T4_T5_mT6_T7_P12ihipStream_tbENKUlT_T0_E_clISt17integral_constantIbLb0EESY_IbLb1EEEEDaSU_SV_EUlSU_E_NS1_11comp_targetILNS1_3genE5ELNS1_11target_archE942ELNS1_3gpuE9ELNS1_3repE0EEENS1_30default_config_static_selectorELNS0_4arch9wavefront6targetE0EEEvT1_
; %bb.0:
	.section	.rodata,"a",@progbits
	.p2align	6, 0x0
	.amdhsa_kernel _ZN7rocprim17ROCPRIM_400000_NS6detail17trampoline_kernelINS0_14default_configENS1_27scan_by_key_config_selectorIiiEEZZNS1_16scan_by_key_implILNS1_25lookback_scan_determinismE0ELb1ES3_N6thrust23THRUST_200600_302600_NS6detail15normal_iteratorINS9_10device_ptrIiEEEESE_SE_iNS9_4plusIvEENS9_8equal_toIvEEiEE10hipError_tPvRmT2_T3_T4_T5_mT6_T7_P12ihipStream_tbENKUlT_T0_E_clISt17integral_constantIbLb0EESY_IbLb1EEEEDaSU_SV_EUlSU_E_NS1_11comp_targetILNS1_3genE5ELNS1_11target_archE942ELNS1_3gpuE9ELNS1_3repE0EEENS1_30default_config_static_selectorELNS0_4arch9wavefront6targetE0EEEvT1_
		.amdhsa_group_segment_fixed_size 0
		.amdhsa_private_segment_fixed_size 0
		.amdhsa_kernarg_size 112
		.amdhsa_user_sgpr_count 6
		.amdhsa_user_sgpr_private_segment_buffer 1
		.amdhsa_user_sgpr_dispatch_ptr 0
		.amdhsa_user_sgpr_queue_ptr 0
		.amdhsa_user_sgpr_kernarg_segment_ptr 1
		.amdhsa_user_sgpr_dispatch_id 0
		.amdhsa_user_sgpr_flat_scratch_init 0
		.amdhsa_user_sgpr_private_segment_size 0
		.amdhsa_wavefront_size32 1
		.amdhsa_uses_dynamic_stack 0
		.amdhsa_system_sgpr_private_segment_wavefront_offset 0
		.amdhsa_system_sgpr_workgroup_id_x 1
		.amdhsa_system_sgpr_workgroup_id_y 0
		.amdhsa_system_sgpr_workgroup_id_z 0
		.amdhsa_system_sgpr_workgroup_info 0
		.amdhsa_system_vgpr_workitem_id 0
		.amdhsa_next_free_vgpr 1
		.amdhsa_next_free_sgpr 1
		.amdhsa_reserve_vcc 0
		.amdhsa_reserve_flat_scratch 0
		.amdhsa_float_round_mode_32 0
		.amdhsa_float_round_mode_16_64 0
		.amdhsa_float_denorm_mode_32 3
		.amdhsa_float_denorm_mode_16_64 3
		.amdhsa_dx10_clamp 1
		.amdhsa_ieee_mode 1
		.amdhsa_fp16_overflow 0
		.amdhsa_workgroup_processor_mode 1
		.amdhsa_memory_ordered 1
		.amdhsa_forward_progress 1
		.amdhsa_shared_vgpr_count 0
		.amdhsa_exception_fp_ieee_invalid_op 0
		.amdhsa_exception_fp_denorm_src 0
		.amdhsa_exception_fp_ieee_div_zero 0
		.amdhsa_exception_fp_ieee_overflow 0
		.amdhsa_exception_fp_ieee_underflow 0
		.amdhsa_exception_fp_ieee_inexact 0
		.amdhsa_exception_int_div_zero 0
	.end_amdhsa_kernel
	.section	.text._ZN7rocprim17ROCPRIM_400000_NS6detail17trampoline_kernelINS0_14default_configENS1_27scan_by_key_config_selectorIiiEEZZNS1_16scan_by_key_implILNS1_25lookback_scan_determinismE0ELb1ES3_N6thrust23THRUST_200600_302600_NS6detail15normal_iteratorINS9_10device_ptrIiEEEESE_SE_iNS9_4plusIvEENS9_8equal_toIvEEiEE10hipError_tPvRmT2_T3_T4_T5_mT6_T7_P12ihipStream_tbENKUlT_T0_E_clISt17integral_constantIbLb0EESY_IbLb1EEEEDaSU_SV_EUlSU_E_NS1_11comp_targetILNS1_3genE5ELNS1_11target_archE942ELNS1_3gpuE9ELNS1_3repE0EEENS1_30default_config_static_selectorELNS0_4arch9wavefront6targetE0EEEvT1_,"axG",@progbits,_ZN7rocprim17ROCPRIM_400000_NS6detail17trampoline_kernelINS0_14default_configENS1_27scan_by_key_config_selectorIiiEEZZNS1_16scan_by_key_implILNS1_25lookback_scan_determinismE0ELb1ES3_N6thrust23THRUST_200600_302600_NS6detail15normal_iteratorINS9_10device_ptrIiEEEESE_SE_iNS9_4plusIvEENS9_8equal_toIvEEiEE10hipError_tPvRmT2_T3_T4_T5_mT6_T7_P12ihipStream_tbENKUlT_T0_E_clISt17integral_constantIbLb0EESY_IbLb1EEEEDaSU_SV_EUlSU_E_NS1_11comp_targetILNS1_3genE5ELNS1_11target_archE942ELNS1_3gpuE9ELNS1_3repE0EEENS1_30default_config_static_selectorELNS0_4arch9wavefront6targetE0EEEvT1_,comdat
.Lfunc_end490:
	.size	_ZN7rocprim17ROCPRIM_400000_NS6detail17trampoline_kernelINS0_14default_configENS1_27scan_by_key_config_selectorIiiEEZZNS1_16scan_by_key_implILNS1_25lookback_scan_determinismE0ELb1ES3_N6thrust23THRUST_200600_302600_NS6detail15normal_iteratorINS9_10device_ptrIiEEEESE_SE_iNS9_4plusIvEENS9_8equal_toIvEEiEE10hipError_tPvRmT2_T3_T4_T5_mT6_T7_P12ihipStream_tbENKUlT_T0_E_clISt17integral_constantIbLb0EESY_IbLb1EEEEDaSU_SV_EUlSU_E_NS1_11comp_targetILNS1_3genE5ELNS1_11target_archE942ELNS1_3gpuE9ELNS1_3repE0EEENS1_30default_config_static_selectorELNS0_4arch9wavefront6targetE0EEEvT1_, .Lfunc_end490-_ZN7rocprim17ROCPRIM_400000_NS6detail17trampoline_kernelINS0_14default_configENS1_27scan_by_key_config_selectorIiiEEZZNS1_16scan_by_key_implILNS1_25lookback_scan_determinismE0ELb1ES3_N6thrust23THRUST_200600_302600_NS6detail15normal_iteratorINS9_10device_ptrIiEEEESE_SE_iNS9_4plusIvEENS9_8equal_toIvEEiEE10hipError_tPvRmT2_T3_T4_T5_mT6_T7_P12ihipStream_tbENKUlT_T0_E_clISt17integral_constantIbLb0EESY_IbLb1EEEEDaSU_SV_EUlSU_E_NS1_11comp_targetILNS1_3genE5ELNS1_11target_archE942ELNS1_3gpuE9ELNS1_3repE0EEENS1_30default_config_static_selectorELNS0_4arch9wavefront6targetE0EEEvT1_
                                        ; -- End function
	.set _ZN7rocprim17ROCPRIM_400000_NS6detail17trampoline_kernelINS0_14default_configENS1_27scan_by_key_config_selectorIiiEEZZNS1_16scan_by_key_implILNS1_25lookback_scan_determinismE0ELb1ES3_N6thrust23THRUST_200600_302600_NS6detail15normal_iteratorINS9_10device_ptrIiEEEESE_SE_iNS9_4plusIvEENS9_8equal_toIvEEiEE10hipError_tPvRmT2_T3_T4_T5_mT6_T7_P12ihipStream_tbENKUlT_T0_E_clISt17integral_constantIbLb0EESY_IbLb1EEEEDaSU_SV_EUlSU_E_NS1_11comp_targetILNS1_3genE5ELNS1_11target_archE942ELNS1_3gpuE9ELNS1_3repE0EEENS1_30default_config_static_selectorELNS0_4arch9wavefront6targetE0EEEvT1_.num_vgpr, 0
	.set _ZN7rocprim17ROCPRIM_400000_NS6detail17trampoline_kernelINS0_14default_configENS1_27scan_by_key_config_selectorIiiEEZZNS1_16scan_by_key_implILNS1_25lookback_scan_determinismE0ELb1ES3_N6thrust23THRUST_200600_302600_NS6detail15normal_iteratorINS9_10device_ptrIiEEEESE_SE_iNS9_4plusIvEENS9_8equal_toIvEEiEE10hipError_tPvRmT2_T3_T4_T5_mT6_T7_P12ihipStream_tbENKUlT_T0_E_clISt17integral_constantIbLb0EESY_IbLb1EEEEDaSU_SV_EUlSU_E_NS1_11comp_targetILNS1_3genE5ELNS1_11target_archE942ELNS1_3gpuE9ELNS1_3repE0EEENS1_30default_config_static_selectorELNS0_4arch9wavefront6targetE0EEEvT1_.num_agpr, 0
	.set _ZN7rocprim17ROCPRIM_400000_NS6detail17trampoline_kernelINS0_14default_configENS1_27scan_by_key_config_selectorIiiEEZZNS1_16scan_by_key_implILNS1_25lookback_scan_determinismE0ELb1ES3_N6thrust23THRUST_200600_302600_NS6detail15normal_iteratorINS9_10device_ptrIiEEEESE_SE_iNS9_4plusIvEENS9_8equal_toIvEEiEE10hipError_tPvRmT2_T3_T4_T5_mT6_T7_P12ihipStream_tbENKUlT_T0_E_clISt17integral_constantIbLb0EESY_IbLb1EEEEDaSU_SV_EUlSU_E_NS1_11comp_targetILNS1_3genE5ELNS1_11target_archE942ELNS1_3gpuE9ELNS1_3repE0EEENS1_30default_config_static_selectorELNS0_4arch9wavefront6targetE0EEEvT1_.numbered_sgpr, 0
	.set _ZN7rocprim17ROCPRIM_400000_NS6detail17trampoline_kernelINS0_14default_configENS1_27scan_by_key_config_selectorIiiEEZZNS1_16scan_by_key_implILNS1_25lookback_scan_determinismE0ELb1ES3_N6thrust23THRUST_200600_302600_NS6detail15normal_iteratorINS9_10device_ptrIiEEEESE_SE_iNS9_4plusIvEENS9_8equal_toIvEEiEE10hipError_tPvRmT2_T3_T4_T5_mT6_T7_P12ihipStream_tbENKUlT_T0_E_clISt17integral_constantIbLb0EESY_IbLb1EEEEDaSU_SV_EUlSU_E_NS1_11comp_targetILNS1_3genE5ELNS1_11target_archE942ELNS1_3gpuE9ELNS1_3repE0EEENS1_30default_config_static_selectorELNS0_4arch9wavefront6targetE0EEEvT1_.num_named_barrier, 0
	.set _ZN7rocprim17ROCPRIM_400000_NS6detail17trampoline_kernelINS0_14default_configENS1_27scan_by_key_config_selectorIiiEEZZNS1_16scan_by_key_implILNS1_25lookback_scan_determinismE0ELb1ES3_N6thrust23THRUST_200600_302600_NS6detail15normal_iteratorINS9_10device_ptrIiEEEESE_SE_iNS9_4plusIvEENS9_8equal_toIvEEiEE10hipError_tPvRmT2_T3_T4_T5_mT6_T7_P12ihipStream_tbENKUlT_T0_E_clISt17integral_constantIbLb0EESY_IbLb1EEEEDaSU_SV_EUlSU_E_NS1_11comp_targetILNS1_3genE5ELNS1_11target_archE942ELNS1_3gpuE9ELNS1_3repE0EEENS1_30default_config_static_selectorELNS0_4arch9wavefront6targetE0EEEvT1_.private_seg_size, 0
	.set _ZN7rocprim17ROCPRIM_400000_NS6detail17trampoline_kernelINS0_14default_configENS1_27scan_by_key_config_selectorIiiEEZZNS1_16scan_by_key_implILNS1_25lookback_scan_determinismE0ELb1ES3_N6thrust23THRUST_200600_302600_NS6detail15normal_iteratorINS9_10device_ptrIiEEEESE_SE_iNS9_4plusIvEENS9_8equal_toIvEEiEE10hipError_tPvRmT2_T3_T4_T5_mT6_T7_P12ihipStream_tbENKUlT_T0_E_clISt17integral_constantIbLb0EESY_IbLb1EEEEDaSU_SV_EUlSU_E_NS1_11comp_targetILNS1_3genE5ELNS1_11target_archE942ELNS1_3gpuE9ELNS1_3repE0EEENS1_30default_config_static_selectorELNS0_4arch9wavefront6targetE0EEEvT1_.uses_vcc, 0
	.set _ZN7rocprim17ROCPRIM_400000_NS6detail17trampoline_kernelINS0_14default_configENS1_27scan_by_key_config_selectorIiiEEZZNS1_16scan_by_key_implILNS1_25lookback_scan_determinismE0ELb1ES3_N6thrust23THRUST_200600_302600_NS6detail15normal_iteratorINS9_10device_ptrIiEEEESE_SE_iNS9_4plusIvEENS9_8equal_toIvEEiEE10hipError_tPvRmT2_T3_T4_T5_mT6_T7_P12ihipStream_tbENKUlT_T0_E_clISt17integral_constantIbLb0EESY_IbLb1EEEEDaSU_SV_EUlSU_E_NS1_11comp_targetILNS1_3genE5ELNS1_11target_archE942ELNS1_3gpuE9ELNS1_3repE0EEENS1_30default_config_static_selectorELNS0_4arch9wavefront6targetE0EEEvT1_.uses_flat_scratch, 0
	.set _ZN7rocprim17ROCPRIM_400000_NS6detail17trampoline_kernelINS0_14default_configENS1_27scan_by_key_config_selectorIiiEEZZNS1_16scan_by_key_implILNS1_25lookback_scan_determinismE0ELb1ES3_N6thrust23THRUST_200600_302600_NS6detail15normal_iteratorINS9_10device_ptrIiEEEESE_SE_iNS9_4plusIvEENS9_8equal_toIvEEiEE10hipError_tPvRmT2_T3_T4_T5_mT6_T7_P12ihipStream_tbENKUlT_T0_E_clISt17integral_constantIbLb0EESY_IbLb1EEEEDaSU_SV_EUlSU_E_NS1_11comp_targetILNS1_3genE5ELNS1_11target_archE942ELNS1_3gpuE9ELNS1_3repE0EEENS1_30default_config_static_selectorELNS0_4arch9wavefront6targetE0EEEvT1_.has_dyn_sized_stack, 0
	.set _ZN7rocprim17ROCPRIM_400000_NS6detail17trampoline_kernelINS0_14default_configENS1_27scan_by_key_config_selectorIiiEEZZNS1_16scan_by_key_implILNS1_25lookback_scan_determinismE0ELb1ES3_N6thrust23THRUST_200600_302600_NS6detail15normal_iteratorINS9_10device_ptrIiEEEESE_SE_iNS9_4plusIvEENS9_8equal_toIvEEiEE10hipError_tPvRmT2_T3_T4_T5_mT6_T7_P12ihipStream_tbENKUlT_T0_E_clISt17integral_constantIbLb0EESY_IbLb1EEEEDaSU_SV_EUlSU_E_NS1_11comp_targetILNS1_3genE5ELNS1_11target_archE942ELNS1_3gpuE9ELNS1_3repE0EEENS1_30default_config_static_selectorELNS0_4arch9wavefront6targetE0EEEvT1_.has_recursion, 0
	.set _ZN7rocprim17ROCPRIM_400000_NS6detail17trampoline_kernelINS0_14default_configENS1_27scan_by_key_config_selectorIiiEEZZNS1_16scan_by_key_implILNS1_25lookback_scan_determinismE0ELb1ES3_N6thrust23THRUST_200600_302600_NS6detail15normal_iteratorINS9_10device_ptrIiEEEESE_SE_iNS9_4plusIvEENS9_8equal_toIvEEiEE10hipError_tPvRmT2_T3_T4_T5_mT6_T7_P12ihipStream_tbENKUlT_T0_E_clISt17integral_constantIbLb0EESY_IbLb1EEEEDaSU_SV_EUlSU_E_NS1_11comp_targetILNS1_3genE5ELNS1_11target_archE942ELNS1_3gpuE9ELNS1_3repE0EEENS1_30default_config_static_selectorELNS0_4arch9wavefront6targetE0EEEvT1_.has_indirect_call, 0
	.section	.AMDGPU.csdata,"",@progbits
; Kernel info:
; codeLenInByte = 0
; TotalNumSgprs: 0
; NumVgprs: 0
; ScratchSize: 0
; MemoryBound: 0
; FloatMode: 240
; IeeeMode: 1
; LDSByteSize: 0 bytes/workgroup (compile time only)
; SGPRBlocks: 0
; VGPRBlocks: 0
; NumSGPRsForWavesPerEU: 1
; NumVGPRsForWavesPerEU: 1
; Occupancy: 16
; WaveLimiterHint : 0
; COMPUTE_PGM_RSRC2:SCRATCH_EN: 0
; COMPUTE_PGM_RSRC2:USER_SGPR: 6
; COMPUTE_PGM_RSRC2:TRAP_HANDLER: 0
; COMPUTE_PGM_RSRC2:TGID_X_EN: 1
; COMPUTE_PGM_RSRC2:TGID_Y_EN: 0
; COMPUTE_PGM_RSRC2:TGID_Z_EN: 0
; COMPUTE_PGM_RSRC2:TIDIG_COMP_CNT: 0
	.section	.text._ZN7rocprim17ROCPRIM_400000_NS6detail17trampoline_kernelINS0_14default_configENS1_27scan_by_key_config_selectorIiiEEZZNS1_16scan_by_key_implILNS1_25lookback_scan_determinismE0ELb1ES3_N6thrust23THRUST_200600_302600_NS6detail15normal_iteratorINS9_10device_ptrIiEEEESE_SE_iNS9_4plusIvEENS9_8equal_toIvEEiEE10hipError_tPvRmT2_T3_T4_T5_mT6_T7_P12ihipStream_tbENKUlT_T0_E_clISt17integral_constantIbLb0EESY_IbLb1EEEEDaSU_SV_EUlSU_E_NS1_11comp_targetILNS1_3genE4ELNS1_11target_archE910ELNS1_3gpuE8ELNS1_3repE0EEENS1_30default_config_static_selectorELNS0_4arch9wavefront6targetE0EEEvT1_,"axG",@progbits,_ZN7rocprim17ROCPRIM_400000_NS6detail17trampoline_kernelINS0_14default_configENS1_27scan_by_key_config_selectorIiiEEZZNS1_16scan_by_key_implILNS1_25lookback_scan_determinismE0ELb1ES3_N6thrust23THRUST_200600_302600_NS6detail15normal_iteratorINS9_10device_ptrIiEEEESE_SE_iNS9_4plusIvEENS9_8equal_toIvEEiEE10hipError_tPvRmT2_T3_T4_T5_mT6_T7_P12ihipStream_tbENKUlT_T0_E_clISt17integral_constantIbLb0EESY_IbLb1EEEEDaSU_SV_EUlSU_E_NS1_11comp_targetILNS1_3genE4ELNS1_11target_archE910ELNS1_3gpuE8ELNS1_3repE0EEENS1_30default_config_static_selectorELNS0_4arch9wavefront6targetE0EEEvT1_,comdat
	.protected	_ZN7rocprim17ROCPRIM_400000_NS6detail17trampoline_kernelINS0_14default_configENS1_27scan_by_key_config_selectorIiiEEZZNS1_16scan_by_key_implILNS1_25lookback_scan_determinismE0ELb1ES3_N6thrust23THRUST_200600_302600_NS6detail15normal_iteratorINS9_10device_ptrIiEEEESE_SE_iNS9_4plusIvEENS9_8equal_toIvEEiEE10hipError_tPvRmT2_T3_T4_T5_mT6_T7_P12ihipStream_tbENKUlT_T0_E_clISt17integral_constantIbLb0EESY_IbLb1EEEEDaSU_SV_EUlSU_E_NS1_11comp_targetILNS1_3genE4ELNS1_11target_archE910ELNS1_3gpuE8ELNS1_3repE0EEENS1_30default_config_static_selectorELNS0_4arch9wavefront6targetE0EEEvT1_ ; -- Begin function _ZN7rocprim17ROCPRIM_400000_NS6detail17trampoline_kernelINS0_14default_configENS1_27scan_by_key_config_selectorIiiEEZZNS1_16scan_by_key_implILNS1_25lookback_scan_determinismE0ELb1ES3_N6thrust23THRUST_200600_302600_NS6detail15normal_iteratorINS9_10device_ptrIiEEEESE_SE_iNS9_4plusIvEENS9_8equal_toIvEEiEE10hipError_tPvRmT2_T3_T4_T5_mT6_T7_P12ihipStream_tbENKUlT_T0_E_clISt17integral_constantIbLb0EESY_IbLb1EEEEDaSU_SV_EUlSU_E_NS1_11comp_targetILNS1_3genE4ELNS1_11target_archE910ELNS1_3gpuE8ELNS1_3repE0EEENS1_30default_config_static_selectorELNS0_4arch9wavefront6targetE0EEEvT1_
	.globl	_ZN7rocprim17ROCPRIM_400000_NS6detail17trampoline_kernelINS0_14default_configENS1_27scan_by_key_config_selectorIiiEEZZNS1_16scan_by_key_implILNS1_25lookback_scan_determinismE0ELb1ES3_N6thrust23THRUST_200600_302600_NS6detail15normal_iteratorINS9_10device_ptrIiEEEESE_SE_iNS9_4plusIvEENS9_8equal_toIvEEiEE10hipError_tPvRmT2_T3_T4_T5_mT6_T7_P12ihipStream_tbENKUlT_T0_E_clISt17integral_constantIbLb0EESY_IbLb1EEEEDaSU_SV_EUlSU_E_NS1_11comp_targetILNS1_3genE4ELNS1_11target_archE910ELNS1_3gpuE8ELNS1_3repE0EEENS1_30default_config_static_selectorELNS0_4arch9wavefront6targetE0EEEvT1_
	.p2align	8
	.type	_ZN7rocprim17ROCPRIM_400000_NS6detail17trampoline_kernelINS0_14default_configENS1_27scan_by_key_config_selectorIiiEEZZNS1_16scan_by_key_implILNS1_25lookback_scan_determinismE0ELb1ES3_N6thrust23THRUST_200600_302600_NS6detail15normal_iteratorINS9_10device_ptrIiEEEESE_SE_iNS9_4plusIvEENS9_8equal_toIvEEiEE10hipError_tPvRmT2_T3_T4_T5_mT6_T7_P12ihipStream_tbENKUlT_T0_E_clISt17integral_constantIbLb0EESY_IbLb1EEEEDaSU_SV_EUlSU_E_NS1_11comp_targetILNS1_3genE4ELNS1_11target_archE910ELNS1_3gpuE8ELNS1_3repE0EEENS1_30default_config_static_selectorELNS0_4arch9wavefront6targetE0EEEvT1_,@function
_ZN7rocprim17ROCPRIM_400000_NS6detail17trampoline_kernelINS0_14default_configENS1_27scan_by_key_config_selectorIiiEEZZNS1_16scan_by_key_implILNS1_25lookback_scan_determinismE0ELb1ES3_N6thrust23THRUST_200600_302600_NS6detail15normal_iteratorINS9_10device_ptrIiEEEESE_SE_iNS9_4plusIvEENS9_8equal_toIvEEiEE10hipError_tPvRmT2_T3_T4_T5_mT6_T7_P12ihipStream_tbENKUlT_T0_E_clISt17integral_constantIbLb0EESY_IbLb1EEEEDaSU_SV_EUlSU_E_NS1_11comp_targetILNS1_3genE4ELNS1_11target_archE910ELNS1_3gpuE8ELNS1_3repE0EEENS1_30default_config_static_selectorELNS0_4arch9wavefront6targetE0EEEvT1_: ; @_ZN7rocprim17ROCPRIM_400000_NS6detail17trampoline_kernelINS0_14default_configENS1_27scan_by_key_config_selectorIiiEEZZNS1_16scan_by_key_implILNS1_25lookback_scan_determinismE0ELb1ES3_N6thrust23THRUST_200600_302600_NS6detail15normal_iteratorINS9_10device_ptrIiEEEESE_SE_iNS9_4plusIvEENS9_8equal_toIvEEiEE10hipError_tPvRmT2_T3_T4_T5_mT6_T7_P12ihipStream_tbENKUlT_T0_E_clISt17integral_constantIbLb0EESY_IbLb1EEEEDaSU_SV_EUlSU_E_NS1_11comp_targetILNS1_3genE4ELNS1_11target_archE910ELNS1_3gpuE8ELNS1_3repE0EEENS1_30default_config_static_selectorELNS0_4arch9wavefront6targetE0EEEvT1_
; %bb.0:
	.section	.rodata,"a",@progbits
	.p2align	6, 0x0
	.amdhsa_kernel _ZN7rocprim17ROCPRIM_400000_NS6detail17trampoline_kernelINS0_14default_configENS1_27scan_by_key_config_selectorIiiEEZZNS1_16scan_by_key_implILNS1_25lookback_scan_determinismE0ELb1ES3_N6thrust23THRUST_200600_302600_NS6detail15normal_iteratorINS9_10device_ptrIiEEEESE_SE_iNS9_4plusIvEENS9_8equal_toIvEEiEE10hipError_tPvRmT2_T3_T4_T5_mT6_T7_P12ihipStream_tbENKUlT_T0_E_clISt17integral_constantIbLb0EESY_IbLb1EEEEDaSU_SV_EUlSU_E_NS1_11comp_targetILNS1_3genE4ELNS1_11target_archE910ELNS1_3gpuE8ELNS1_3repE0EEENS1_30default_config_static_selectorELNS0_4arch9wavefront6targetE0EEEvT1_
		.amdhsa_group_segment_fixed_size 0
		.amdhsa_private_segment_fixed_size 0
		.amdhsa_kernarg_size 112
		.amdhsa_user_sgpr_count 6
		.amdhsa_user_sgpr_private_segment_buffer 1
		.amdhsa_user_sgpr_dispatch_ptr 0
		.amdhsa_user_sgpr_queue_ptr 0
		.amdhsa_user_sgpr_kernarg_segment_ptr 1
		.amdhsa_user_sgpr_dispatch_id 0
		.amdhsa_user_sgpr_flat_scratch_init 0
		.amdhsa_user_sgpr_private_segment_size 0
		.amdhsa_wavefront_size32 1
		.amdhsa_uses_dynamic_stack 0
		.amdhsa_system_sgpr_private_segment_wavefront_offset 0
		.amdhsa_system_sgpr_workgroup_id_x 1
		.amdhsa_system_sgpr_workgroup_id_y 0
		.amdhsa_system_sgpr_workgroup_id_z 0
		.amdhsa_system_sgpr_workgroup_info 0
		.amdhsa_system_vgpr_workitem_id 0
		.amdhsa_next_free_vgpr 1
		.amdhsa_next_free_sgpr 1
		.amdhsa_reserve_vcc 0
		.amdhsa_reserve_flat_scratch 0
		.amdhsa_float_round_mode_32 0
		.amdhsa_float_round_mode_16_64 0
		.amdhsa_float_denorm_mode_32 3
		.amdhsa_float_denorm_mode_16_64 3
		.amdhsa_dx10_clamp 1
		.amdhsa_ieee_mode 1
		.amdhsa_fp16_overflow 0
		.amdhsa_workgroup_processor_mode 1
		.amdhsa_memory_ordered 1
		.amdhsa_forward_progress 1
		.amdhsa_shared_vgpr_count 0
		.amdhsa_exception_fp_ieee_invalid_op 0
		.amdhsa_exception_fp_denorm_src 0
		.amdhsa_exception_fp_ieee_div_zero 0
		.amdhsa_exception_fp_ieee_overflow 0
		.amdhsa_exception_fp_ieee_underflow 0
		.amdhsa_exception_fp_ieee_inexact 0
		.amdhsa_exception_int_div_zero 0
	.end_amdhsa_kernel
	.section	.text._ZN7rocprim17ROCPRIM_400000_NS6detail17trampoline_kernelINS0_14default_configENS1_27scan_by_key_config_selectorIiiEEZZNS1_16scan_by_key_implILNS1_25lookback_scan_determinismE0ELb1ES3_N6thrust23THRUST_200600_302600_NS6detail15normal_iteratorINS9_10device_ptrIiEEEESE_SE_iNS9_4plusIvEENS9_8equal_toIvEEiEE10hipError_tPvRmT2_T3_T4_T5_mT6_T7_P12ihipStream_tbENKUlT_T0_E_clISt17integral_constantIbLb0EESY_IbLb1EEEEDaSU_SV_EUlSU_E_NS1_11comp_targetILNS1_3genE4ELNS1_11target_archE910ELNS1_3gpuE8ELNS1_3repE0EEENS1_30default_config_static_selectorELNS0_4arch9wavefront6targetE0EEEvT1_,"axG",@progbits,_ZN7rocprim17ROCPRIM_400000_NS6detail17trampoline_kernelINS0_14default_configENS1_27scan_by_key_config_selectorIiiEEZZNS1_16scan_by_key_implILNS1_25lookback_scan_determinismE0ELb1ES3_N6thrust23THRUST_200600_302600_NS6detail15normal_iteratorINS9_10device_ptrIiEEEESE_SE_iNS9_4plusIvEENS9_8equal_toIvEEiEE10hipError_tPvRmT2_T3_T4_T5_mT6_T7_P12ihipStream_tbENKUlT_T0_E_clISt17integral_constantIbLb0EESY_IbLb1EEEEDaSU_SV_EUlSU_E_NS1_11comp_targetILNS1_3genE4ELNS1_11target_archE910ELNS1_3gpuE8ELNS1_3repE0EEENS1_30default_config_static_selectorELNS0_4arch9wavefront6targetE0EEEvT1_,comdat
.Lfunc_end491:
	.size	_ZN7rocprim17ROCPRIM_400000_NS6detail17trampoline_kernelINS0_14default_configENS1_27scan_by_key_config_selectorIiiEEZZNS1_16scan_by_key_implILNS1_25lookback_scan_determinismE0ELb1ES3_N6thrust23THRUST_200600_302600_NS6detail15normal_iteratorINS9_10device_ptrIiEEEESE_SE_iNS9_4plusIvEENS9_8equal_toIvEEiEE10hipError_tPvRmT2_T3_T4_T5_mT6_T7_P12ihipStream_tbENKUlT_T0_E_clISt17integral_constantIbLb0EESY_IbLb1EEEEDaSU_SV_EUlSU_E_NS1_11comp_targetILNS1_3genE4ELNS1_11target_archE910ELNS1_3gpuE8ELNS1_3repE0EEENS1_30default_config_static_selectorELNS0_4arch9wavefront6targetE0EEEvT1_, .Lfunc_end491-_ZN7rocprim17ROCPRIM_400000_NS6detail17trampoline_kernelINS0_14default_configENS1_27scan_by_key_config_selectorIiiEEZZNS1_16scan_by_key_implILNS1_25lookback_scan_determinismE0ELb1ES3_N6thrust23THRUST_200600_302600_NS6detail15normal_iteratorINS9_10device_ptrIiEEEESE_SE_iNS9_4plusIvEENS9_8equal_toIvEEiEE10hipError_tPvRmT2_T3_T4_T5_mT6_T7_P12ihipStream_tbENKUlT_T0_E_clISt17integral_constantIbLb0EESY_IbLb1EEEEDaSU_SV_EUlSU_E_NS1_11comp_targetILNS1_3genE4ELNS1_11target_archE910ELNS1_3gpuE8ELNS1_3repE0EEENS1_30default_config_static_selectorELNS0_4arch9wavefront6targetE0EEEvT1_
                                        ; -- End function
	.set _ZN7rocprim17ROCPRIM_400000_NS6detail17trampoline_kernelINS0_14default_configENS1_27scan_by_key_config_selectorIiiEEZZNS1_16scan_by_key_implILNS1_25lookback_scan_determinismE0ELb1ES3_N6thrust23THRUST_200600_302600_NS6detail15normal_iteratorINS9_10device_ptrIiEEEESE_SE_iNS9_4plusIvEENS9_8equal_toIvEEiEE10hipError_tPvRmT2_T3_T4_T5_mT6_T7_P12ihipStream_tbENKUlT_T0_E_clISt17integral_constantIbLb0EESY_IbLb1EEEEDaSU_SV_EUlSU_E_NS1_11comp_targetILNS1_3genE4ELNS1_11target_archE910ELNS1_3gpuE8ELNS1_3repE0EEENS1_30default_config_static_selectorELNS0_4arch9wavefront6targetE0EEEvT1_.num_vgpr, 0
	.set _ZN7rocprim17ROCPRIM_400000_NS6detail17trampoline_kernelINS0_14default_configENS1_27scan_by_key_config_selectorIiiEEZZNS1_16scan_by_key_implILNS1_25lookback_scan_determinismE0ELb1ES3_N6thrust23THRUST_200600_302600_NS6detail15normal_iteratorINS9_10device_ptrIiEEEESE_SE_iNS9_4plusIvEENS9_8equal_toIvEEiEE10hipError_tPvRmT2_T3_T4_T5_mT6_T7_P12ihipStream_tbENKUlT_T0_E_clISt17integral_constantIbLb0EESY_IbLb1EEEEDaSU_SV_EUlSU_E_NS1_11comp_targetILNS1_3genE4ELNS1_11target_archE910ELNS1_3gpuE8ELNS1_3repE0EEENS1_30default_config_static_selectorELNS0_4arch9wavefront6targetE0EEEvT1_.num_agpr, 0
	.set _ZN7rocprim17ROCPRIM_400000_NS6detail17trampoline_kernelINS0_14default_configENS1_27scan_by_key_config_selectorIiiEEZZNS1_16scan_by_key_implILNS1_25lookback_scan_determinismE0ELb1ES3_N6thrust23THRUST_200600_302600_NS6detail15normal_iteratorINS9_10device_ptrIiEEEESE_SE_iNS9_4plusIvEENS9_8equal_toIvEEiEE10hipError_tPvRmT2_T3_T4_T5_mT6_T7_P12ihipStream_tbENKUlT_T0_E_clISt17integral_constantIbLb0EESY_IbLb1EEEEDaSU_SV_EUlSU_E_NS1_11comp_targetILNS1_3genE4ELNS1_11target_archE910ELNS1_3gpuE8ELNS1_3repE0EEENS1_30default_config_static_selectorELNS0_4arch9wavefront6targetE0EEEvT1_.numbered_sgpr, 0
	.set _ZN7rocprim17ROCPRIM_400000_NS6detail17trampoline_kernelINS0_14default_configENS1_27scan_by_key_config_selectorIiiEEZZNS1_16scan_by_key_implILNS1_25lookback_scan_determinismE0ELb1ES3_N6thrust23THRUST_200600_302600_NS6detail15normal_iteratorINS9_10device_ptrIiEEEESE_SE_iNS9_4plusIvEENS9_8equal_toIvEEiEE10hipError_tPvRmT2_T3_T4_T5_mT6_T7_P12ihipStream_tbENKUlT_T0_E_clISt17integral_constantIbLb0EESY_IbLb1EEEEDaSU_SV_EUlSU_E_NS1_11comp_targetILNS1_3genE4ELNS1_11target_archE910ELNS1_3gpuE8ELNS1_3repE0EEENS1_30default_config_static_selectorELNS0_4arch9wavefront6targetE0EEEvT1_.num_named_barrier, 0
	.set _ZN7rocprim17ROCPRIM_400000_NS6detail17trampoline_kernelINS0_14default_configENS1_27scan_by_key_config_selectorIiiEEZZNS1_16scan_by_key_implILNS1_25lookback_scan_determinismE0ELb1ES3_N6thrust23THRUST_200600_302600_NS6detail15normal_iteratorINS9_10device_ptrIiEEEESE_SE_iNS9_4plusIvEENS9_8equal_toIvEEiEE10hipError_tPvRmT2_T3_T4_T5_mT6_T7_P12ihipStream_tbENKUlT_T0_E_clISt17integral_constantIbLb0EESY_IbLb1EEEEDaSU_SV_EUlSU_E_NS1_11comp_targetILNS1_3genE4ELNS1_11target_archE910ELNS1_3gpuE8ELNS1_3repE0EEENS1_30default_config_static_selectorELNS0_4arch9wavefront6targetE0EEEvT1_.private_seg_size, 0
	.set _ZN7rocprim17ROCPRIM_400000_NS6detail17trampoline_kernelINS0_14default_configENS1_27scan_by_key_config_selectorIiiEEZZNS1_16scan_by_key_implILNS1_25lookback_scan_determinismE0ELb1ES3_N6thrust23THRUST_200600_302600_NS6detail15normal_iteratorINS9_10device_ptrIiEEEESE_SE_iNS9_4plusIvEENS9_8equal_toIvEEiEE10hipError_tPvRmT2_T3_T4_T5_mT6_T7_P12ihipStream_tbENKUlT_T0_E_clISt17integral_constantIbLb0EESY_IbLb1EEEEDaSU_SV_EUlSU_E_NS1_11comp_targetILNS1_3genE4ELNS1_11target_archE910ELNS1_3gpuE8ELNS1_3repE0EEENS1_30default_config_static_selectorELNS0_4arch9wavefront6targetE0EEEvT1_.uses_vcc, 0
	.set _ZN7rocprim17ROCPRIM_400000_NS6detail17trampoline_kernelINS0_14default_configENS1_27scan_by_key_config_selectorIiiEEZZNS1_16scan_by_key_implILNS1_25lookback_scan_determinismE0ELb1ES3_N6thrust23THRUST_200600_302600_NS6detail15normal_iteratorINS9_10device_ptrIiEEEESE_SE_iNS9_4plusIvEENS9_8equal_toIvEEiEE10hipError_tPvRmT2_T3_T4_T5_mT6_T7_P12ihipStream_tbENKUlT_T0_E_clISt17integral_constantIbLb0EESY_IbLb1EEEEDaSU_SV_EUlSU_E_NS1_11comp_targetILNS1_3genE4ELNS1_11target_archE910ELNS1_3gpuE8ELNS1_3repE0EEENS1_30default_config_static_selectorELNS0_4arch9wavefront6targetE0EEEvT1_.uses_flat_scratch, 0
	.set _ZN7rocprim17ROCPRIM_400000_NS6detail17trampoline_kernelINS0_14default_configENS1_27scan_by_key_config_selectorIiiEEZZNS1_16scan_by_key_implILNS1_25lookback_scan_determinismE0ELb1ES3_N6thrust23THRUST_200600_302600_NS6detail15normal_iteratorINS9_10device_ptrIiEEEESE_SE_iNS9_4plusIvEENS9_8equal_toIvEEiEE10hipError_tPvRmT2_T3_T4_T5_mT6_T7_P12ihipStream_tbENKUlT_T0_E_clISt17integral_constantIbLb0EESY_IbLb1EEEEDaSU_SV_EUlSU_E_NS1_11comp_targetILNS1_3genE4ELNS1_11target_archE910ELNS1_3gpuE8ELNS1_3repE0EEENS1_30default_config_static_selectorELNS0_4arch9wavefront6targetE0EEEvT1_.has_dyn_sized_stack, 0
	.set _ZN7rocprim17ROCPRIM_400000_NS6detail17trampoline_kernelINS0_14default_configENS1_27scan_by_key_config_selectorIiiEEZZNS1_16scan_by_key_implILNS1_25lookback_scan_determinismE0ELb1ES3_N6thrust23THRUST_200600_302600_NS6detail15normal_iteratorINS9_10device_ptrIiEEEESE_SE_iNS9_4plusIvEENS9_8equal_toIvEEiEE10hipError_tPvRmT2_T3_T4_T5_mT6_T7_P12ihipStream_tbENKUlT_T0_E_clISt17integral_constantIbLb0EESY_IbLb1EEEEDaSU_SV_EUlSU_E_NS1_11comp_targetILNS1_3genE4ELNS1_11target_archE910ELNS1_3gpuE8ELNS1_3repE0EEENS1_30default_config_static_selectorELNS0_4arch9wavefront6targetE0EEEvT1_.has_recursion, 0
	.set _ZN7rocprim17ROCPRIM_400000_NS6detail17trampoline_kernelINS0_14default_configENS1_27scan_by_key_config_selectorIiiEEZZNS1_16scan_by_key_implILNS1_25lookback_scan_determinismE0ELb1ES3_N6thrust23THRUST_200600_302600_NS6detail15normal_iteratorINS9_10device_ptrIiEEEESE_SE_iNS9_4plusIvEENS9_8equal_toIvEEiEE10hipError_tPvRmT2_T3_T4_T5_mT6_T7_P12ihipStream_tbENKUlT_T0_E_clISt17integral_constantIbLb0EESY_IbLb1EEEEDaSU_SV_EUlSU_E_NS1_11comp_targetILNS1_3genE4ELNS1_11target_archE910ELNS1_3gpuE8ELNS1_3repE0EEENS1_30default_config_static_selectorELNS0_4arch9wavefront6targetE0EEEvT1_.has_indirect_call, 0
	.section	.AMDGPU.csdata,"",@progbits
; Kernel info:
; codeLenInByte = 0
; TotalNumSgprs: 0
; NumVgprs: 0
; ScratchSize: 0
; MemoryBound: 0
; FloatMode: 240
; IeeeMode: 1
; LDSByteSize: 0 bytes/workgroup (compile time only)
; SGPRBlocks: 0
; VGPRBlocks: 0
; NumSGPRsForWavesPerEU: 1
; NumVGPRsForWavesPerEU: 1
; Occupancy: 16
; WaveLimiterHint : 0
; COMPUTE_PGM_RSRC2:SCRATCH_EN: 0
; COMPUTE_PGM_RSRC2:USER_SGPR: 6
; COMPUTE_PGM_RSRC2:TRAP_HANDLER: 0
; COMPUTE_PGM_RSRC2:TGID_X_EN: 1
; COMPUTE_PGM_RSRC2:TGID_Y_EN: 0
; COMPUTE_PGM_RSRC2:TGID_Z_EN: 0
; COMPUTE_PGM_RSRC2:TIDIG_COMP_CNT: 0
	.section	.text._ZN7rocprim17ROCPRIM_400000_NS6detail17trampoline_kernelINS0_14default_configENS1_27scan_by_key_config_selectorIiiEEZZNS1_16scan_by_key_implILNS1_25lookback_scan_determinismE0ELb1ES3_N6thrust23THRUST_200600_302600_NS6detail15normal_iteratorINS9_10device_ptrIiEEEESE_SE_iNS9_4plusIvEENS9_8equal_toIvEEiEE10hipError_tPvRmT2_T3_T4_T5_mT6_T7_P12ihipStream_tbENKUlT_T0_E_clISt17integral_constantIbLb0EESY_IbLb1EEEEDaSU_SV_EUlSU_E_NS1_11comp_targetILNS1_3genE3ELNS1_11target_archE908ELNS1_3gpuE7ELNS1_3repE0EEENS1_30default_config_static_selectorELNS0_4arch9wavefront6targetE0EEEvT1_,"axG",@progbits,_ZN7rocprim17ROCPRIM_400000_NS6detail17trampoline_kernelINS0_14default_configENS1_27scan_by_key_config_selectorIiiEEZZNS1_16scan_by_key_implILNS1_25lookback_scan_determinismE0ELb1ES3_N6thrust23THRUST_200600_302600_NS6detail15normal_iteratorINS9_10device_ptrIiEEEESE_SE_iNS9_4plusIvEENS9_8equal_toIvEEiEE10hipError_tPvRmT2_T3_T4_T5_mT6_T7_P12ihipStream_tbENKUlT_T0_E_clISt17integral_constantIbLb0EESY_IbLb1EEEEDaSU_SV_EUlSU_E_NS1_11comp_targetILNS1_3genE3ELNS1_11target_archE908ELNS1_3gpuE7ELNS1_3repE0EEENS1_30default_config_static_selectorELNS0_4arch9wavefront6targetE0EEEvT1_,comdat
	.protected	_ZN7rocprim17ROCPRIM_400000_NS6detail17trampoline_kernelINS0_14default_configENS1_27scan_by_key_config_selectorIiiEEZZNS1_16scan_by_key_implILNS1_25lookback_scan_determinismE0ELb1ES3_N6thrust23THRUST_200600_302600_NS6detail15normal_iteratorINS9_10device_ptrIiEEEESE_SE_iNS9_4plusIvEENS9_8equal_toIvEEiEE10hipError_tPvRmT2_T3_T4_T5_mT6_T7_P12ihipStream_tbENKUlT_T0_E_clISt17integral_constantIbLb0EESY_IbLb1EEEEDaSU_SV_EUlSU_E_NS1_11comp_targetILNS1_3genE3ELNS1_11target_archE908ELNS1_3gpuE7ELNS1_3repE0EEENS1_30default_config_static_selectorELNS0_4arch9wavefront6targetE0EEEvT1_ ; -- Begin function _ZN7rocprim17ROCPRIM_400000_NS6detail17trampoline_kernelINS0_14default_configENS1_27scan_by_key_config_selectorIiiEEZZNS1_16scan_by_key_implILNS1_25lookback_scan_determinismE0ELb1ES3_N6thrust23THRUST_200600_302600_NS6detail15normal_iteratorINS9_10device_ptrIiEEEESE_SE_iNS9_4plusIvEENS9_8equal_toIvEEiEE10hipError_tPvRmT2_T3_T4_T5_mT6_T7_P12ihipStream_tbENKUlT_T0_E_clISt17integral_constantIbLb0EESY_IbLb1EEEEDaSU_SV_EUlSU_E_NS1_11comp_targetILNS1_3genE3ELNS1_11target_archE908ELNS1_3gpuE7ELNS1_3repE0EEENS1_30default_config_static_selectorELNS0_4arch9wavefront6targetE0EEEvT1_
	.globl	_ZN7rocprim17ROCPRIM_400000_NS6detail17trampoline_kernelINS0_14default_configENS1_27scan_by_key_config_selectorIiiEEZZNS1_16scan_by_key_implILNS1_25lookback_scan_determinismE0ELb1ES3_N6thrust23THRUST_200600_302600_NS6detail15normal_iteratorINS9_10device_ptrIiEEEESE_SE_iNS9_4plusIvEENS9_8equal_toIvEEiEE10hipError_tPvRmT2_T3_T4_T5_mT6_T7_P12ihipStream_tbENKUlT_T0_E_clISt17integral_constantIbLb0EESY_IbLb1EEEEDaSU_SV_EUlSU_E_NS1_11comp_targetILNS1_3genE3ELNS1_11target_archE908ELNS1_3gpuE7ELNS1_3repE0EEENS1_30default_config_static_selectorELNS0_4arch9wavefront6targetE0EEEvT1_
	.p2align	8
	.type	_ZN7rocprim17ROCPRIM_400000_NS6detail17trampoline_kernelINS0_14default_configENS1_27scan_by_key_config_selectorIiiEEZZNS1_16scan_by_key_implILNS1_25lookback_scan_determinismE0ELb1ES3_N6thrust23THRUST_200600_302600_NS6detail15normal_iteratorINS9_10device_ptrIiEEEESE_SE_iNS9_4plusIvEENS9_8equal_toIvEEiEE10hipError_tPvRmT2_T3_T4_T5_mT6_T7_P12ihipStream_tbENKUlT_T0_E_clISt17integral_constantIbLb0EESY_IbLb1EEEEDaSU_SV_EUlSU_E_NS1_11comp_targetILNS1_3genE3ELNS1_11target_archE908ELNS1_3gpuE7ELNS1_3repE0EEENS1_30default_config_static_selectorELNS0_4arch9wavefront6targetE0EEEvT1_,@function
_ZN7rocprim17ROCPRIM_400000_NS6detail17trampoline_kernelINS0_14default_configENS1_27scan_by_key_config_selectorIiiEEZZNS1_16scan_by_key_implILNS1_25lookback_scan_determinismE0ELb1ES3_N6thrust23THRUST_200600_302600_NS6detail15normal_iteratorINS9_10device_ptrIiEEEESE_SE_iNS9_4plusIvEENS9_8equal_toIvEEiEE10hipError_tPvRmT2_T3_T4_T5_mT6_T7_P12ihipStream_tbENKUlT_T0_E_clISt17integral_constantIbLb0EESY_IbLb1EEEEDaSU_SV_EUlSU_E_NS1_11comp_targetILNS1_3genE3ELNS1_11target_archE908ELNS1_3gpuE7ELNS1_3repE0EEENS1_30default_config_static_selectorELNS0_4arch9wavefront6targetE0EEEvT1_: ; @_ZN7rocprim17ROCPRIM_400000_NS6detail17trampoline_kernelINS0_14default_configENS1_27scan_by_key_config_selectorIiiEEZZNS1_16scan_by_key_implILNS1_25lookback_scan_determinismE0ELb1ES3_N6thrust23THRUST_200600_302600_NS6detail15normal_iteratorINS9_10device_ptrIiEEEESE_SE_iNS9_4plusIvEENS9_8equal_toIvEEiEE10hipError_tPvRmT2_T3_T4_T5_mT6_T7_P12ihipStream_tbENKUlT_T0_E_clISt17integral_constantIbLb0EESY_IbLb1EEEEDaSU_SV_EUlSU_E_NS1_11comp_targetILNS1_3genE3ELNS1_11target_archE908ELNS1_3gpuE7ELNS1_3repE0EEENS1_30default_config_static_selectorELNS0_4arch9wavefront6targetE0EEEvT1_
; %bb.0:
	.section	.rodata,"a",@progbits
	.p2align	6, 0x0
	.amdhsa_kernel _ZN7rocprim17ROCPRIM_400000_NS6detail17trampoline_kernelINS0_14default_configENS1_27scan_by_key_config_selectorIiiEEZZNS1_16scan_by_key_implILNS1_25lookback_scan_determinismE0ELb1ES3_N6thrust23THRUST_200600_302600_NS6detail15normal_iteratorINS9_10device_ptrIiEEEESE_SE_iNS9_4plusIvEENS9_8equal_toIvEEiEE10hipError_tPvRmT2_T3_T4_T5_mT6_T7_P12ihipStream_tbENKUlT_T0_E_clISt17integral_constantIbLb0EESY_IbLb1EEEEDaSU_SV_EUlSU_E_NS1_11comp_targetILNS1_3genE3ELNS1_11target_archE908ELNS1_3gpuE7ELNS1_3repE0EEENS1_30default_config_static_selectorELNS0_4arch9wavefront6targetE0EEEvT1_
		.amdhsa_group_segment_fixed_size 0
		.amdhsa_private_segment_fixed_size 0
		.amdhsa_kernarg_size 112
		.amdhsa_user_sgpr_count 6
		.amdhsa_user_sgpr_private_segment_buffer 1
		.amdhsa_user_sgpr_dispatch_ptr 0
		.amdhsa_user_sgpr_queue_ptr 0
		.amdhsa_user_sgpr_kernarg_segment_ptr 1
		.amdhsa_user_sgpr_dispatch_id 0
		.amdhsa_user_sgpr_flat_scratch_init 0
		.amdhsa_user_sgpr_private_segment_size 0
		.amdhsa_wavefront_size32 1
		.amdhsa_uses_dynamic_stack 0
		.amdhsa_system_sgpr_private_segment_wavefront_offset 0
		.amdhsa_system_sgpr_workgroup_id_x 1
		.amdhsa_system_sgpr_workgroup_id_y 0
		.amdhsa_system_sgpr_workgroup_id_z 0
		.amdhsa_system_sgpr_workgroup_info 0
		.amdhsa_system_vgpr_workitem_id 0
		.amdhsa_next_free_vgpr 1
		.amdhsa_next_free_sgpr 1
		.amdhsa_reserve_vcc 0
		.amdhsa_reserve_flat_scratch 0
		.amdhsa_float_round_mode_32 0
		.amdhsa_float_round_mode_16_64 0
		.amdhsa_float_denorm_mode_32 3
		.amdhsa_float_denorm_mode_16_64 3
		.amdhsa_dx10_clamp 1
		.amdhsa_ieee_mode 1
		.amdhsa_fp16_overflow 0
		.amdhsa_workgroup_processor_mode 1
		.amdhsa_memory_ordered 1
		.amdhsa_forward_progress 1
		.amdhsa_shared_vgpr_count 0
		.amdhsa_exception_fp_ieee_invalid_op 0
		.amdhsa_exception_fp_denorm_src 0
		.amdhsa_exception_fp_ieee_div_zero 0
		.amdhsa_exception_fp_ieee_overflow 0
		.amdhsa_exception_fp_ieee_underflow 0
		.amdhsa_exception_fp_ieee_inexact 0
		.amdhsa_exception_int_div_zero 0
	.end_amdhsa_kernel
	.section	.text._ZN7rocprim17ROCPRIM_400000_NS6detail17trampoline_kernelINS0_14default_configENS1_27scan_by_key_config_selectorIiiEEZZNS1_16scan_by_key_implILNS1_25lookback_scan_determinismE0ELb1ES3_N6thrust23THRUST_200600_302600_NS6detail15normal_iteratorINS9_10device_ptrIiEEEESE_SE_iNS9_4plusIvEENS9_8equal_toIvEEiEE10hipError_tPvRmT2_T3_T4_T5_mT6_T7_P12ihipStream_tbENKUlT_T0_E_clISt17integral_constantIbLb0EESY_IbLb1EEEEDaSU_SV_EUlSU_E_NS1_11comp_targetILNS1_3genE3ELNS1_11target_archE908ELNS1_3gpuE7ELNS1_3repE0EEENS1_30default_config_static_selectorELNS0_4arch9wavefront6targetE0EEEvT1_,"axG",@progbits,_ZN7rocprim17ROCPRIM_400000_NS6detail17trampoline_kernelINS0_14default_configENS1_27scan_by_key_config_selectorIiiEEZZNS1_16scan_by_key_implILNS1_25lookback_scan_determinismE0ELb1ES3_N6thrust23THRUST_200600_302600_NS6detail15normal_iteratorINS9_10device_ptrIiEEEESE_SE_iNS9_4plusIvEENS9_8equal_toIvEEiEE10hipError_tPvRmT2_T3_T4_T5_mT6_T7_P12ihipStream_tbENKUlT_T0_E_clISt17integral_constantIbLb0EESY_IbLb1EEEEDaSU_SV_EUlSU_E_NS1_11comp_targetILNS1_3genE3ELNS1_11target_archE908ELNS1_3gpuE7ELNS1_3repE0EEENS1_30default_config_static_selectorELNS0_4arch9wavefront6targetE0EEEvT1_,comdat
.Lfunc_end492:
	.size	_ZN7rocprim17ROCPRIM_400000_NS6detail17trampoline_kernelINS0_14default_configENS1_27scan_by_key_config_selectorIiiEEZZNS1_16scan_by_key_implILNS1_25lookback_scan_determinismE0ELb1ES3_N6thrust23THRUST_200600_302600_NS6detail15normal_iteratorINS9_10device_ptrIiEEEESE_SE_iNS9_4plusIvEENS9_8equal_toIvEEiEE10hipError_tPvRmT2_T3_T4_T5_mT6_T7_P12ihipStream_tbENKUlT_T0_E_clISt17integral_constantIbLb0EESY_IbLb1EEEEDaSU_SV_EUlSU_E_NS1_11comp_targetILNS1_3genE3ELNS1_11target_archE908ELNS1_3gpuE7ELNS1_3repE0EEENS1_30default_config_static_selectorELNS0_4arch9wavefront6targetE0EEEvT1_, .Lfunc_end492-_ZN7rocprim17ROCPRIM_400000_NS6detail17trampoline_kernelINS0_14default_configENS1_27scan_by_key_config_selectorIiiEEZZNS1_16scan_by_key_implILNS1_25lookback_scan_determinismE0ELb1ES3_N6thrust23THRUST_200600_302600_NS6detail15normal_iteratorINS9_10device_ptrIiEEEESE_SE_iNS9_4plusIvEENS9_8equal_toIvEEiEE10hipError_tPvRmT2_T3_T4_T5_mT6_T7_P12ihipStream_tbENKUlT_T0_E_clISt17integral_constantIbLb0EESY_IbLb1EEEEDaSU_SV_EUlSU_E_NS1_11comp_targetILNS1_3genE3ELNS1_11target_archE908ELNS1_3gpuE7ELNS1_3repE0EEENS1_30default_config_static_selectorELNS0_4arch9wavefront6targetE0EEEvT1_
                                        ; -- End function
	.set _ZN7rocprim17ROCPRIM_400000_NS6detail17trampoline_kernelINS0_14default_configENS1_27scan_by_key_config_selectorIiiEEZZNS1_16scan_by_key_implILNS1_25lookback_scan_determinismE0ELb1ES3_N6thrust23THRUST_200600_302600_NS6detail15normal_iteratorINS9_10device_ptrIiEEEESE_SE_iNS9_4plusIvEENS9_8equal_toIvEEiEE10hipError_tPvRmT2_T3_T4_T5_mT6_T7_P12ihipStream_tbENKUlT_T0_E_clISt17integral_constantIbLb0EESY_IbLb1EEEEDaSU_SV_EUlSU_E_NS1_11comp_targetILNS1_3genE3ELNS1_11target_archE908ELNS1_3gpuE7ELNS1_3repE0EEENS1_30default_config_static_selectorELNS0_4arch9wavefront6targetE0EEEvT1_.num_vgpr, 0
	.set _ZN7rocprim17ROCPRIM_400000_NS6detail17trampoline_kernelINS0_14default_configENS1_27scan_by_key_config_selectorIiiEEZZNS1_16scan_by_key_implILNS1_25lookback_scan_determinismE0ELb1ES3_N6thrust23THRUST_200600_302600_NS6detail15normal_iteratorINS9_10device_ptrIiEEEESE_SE_iNS9_4plusIvEENS9_8equal_toIvEEiEE10hipError_tPvRmT2_T3_T4_T5_mT6_T7_P12ihipStream_tbENKUlT_T0_E_clISt17integral_constantIbLb0EESY_IbLb1EEEEDaSU_SV_EUlSU_E_NS1_11comp_targetILNS1_3genE3ELNS1_11target_archE908ELNS1_3gpuE7ELNS1_3repE0EEENS1_30default_config_static_selectorELNS0_4arch9wavefront6targetE0EEEvT1_.num_agpr, 0
	.set _ZN7rocprim17ROCPRIM_400000_NS6detail17trampoline_kernelINS0_14default_configENS1_27scan_by_key_config_selectorIiiEEZZNS1_16scan_by_key_implILNS1_25lookback_scan_determinismE0ELb1ES3_N6thrust23THRUST_200600_302600_NS6detail15normal_iteratorINS9_10device_ptrIiEEEESE_SE_iNS9_4plusIvEENS9_8equal_toIvEEiEE10hipError_tPvRmT2_T3_T4_T5_mT6_T7_P12ihipStream_tbENKUlT_T0_E_clISt17integral_constantIbLb0EESY_IbLb1EEEEDaSU_SV_EUlSU_E_NS1_11comp_targetILNS1_3genE3ELNS1_11target_archE908ELNS1_3gpuE7ELNS1_3repE0EEENS1_30default_config_static_selectorELNS0_4arch9wavefront6targetE0EEEvT1_.numbered_sgpr, 0
	.set _ZN7rocprim17ROCPRIM_400000_NS6detail17trampoline_kernelINS0_14default_configENS1_27scan_by_key_config_selectorIiiEEZZNS1_16scan_by_key_implILNS1_25lookback_scan_determinismE0ELb1ES3_N6thrust23THRUST_200600_302600_NS6detail15normal_iteratorINS9_10device_ptrIiEEEESE_SE_iNS9_4plusIvEENS9_8equal_toIvEEiEE10hipError_tPvRmT2_T3_T4_T5_mT6_T7_P12ihipStream_tbENKUlT_T0_E_clISt17integral_constantIbLb0EESY_IbLb1EEEEDaSU_SV_EUlSU_E_NS1_11comp_targetILNS1_3genE3ELNS1_11target_archE908ELNS1_3gpuE7ELNS1_3repE0EEENS1_30default_config_static_selectorELNS0_4arch9wavefront6targetE0EEEvT1_.num_named_barrier, 0
	.set _ZN7rocprim17ROCPRIM_400000_NS6detail17trampoline_kernelINS0_14default_configENS1_27scan_by_key_config_selectorIiiEEZZNS1_16scan_by_key_implILNS1_25lookback_scan_determinismE0ELb1ES3_N6thrust23THRUST_200600_302600_NS6detail15normal_iteratorINS9_10device_ptrIiEEEESE_SE_iNS9_4plusIvEENS9_8equal_toIvEEiEE10hipError_tPvRmT2_T3_T4_T5_mT6_T7_P12ihipStream_tbENKUlT_T0_E_clISt17integral_constantIbLb0EESY_IbLb1EEEEDaSU_SV_EUlSU_E_NS1_11comp_targetILNS1_3genE3ELNS1_11target_archE908ELNS1_3gpuE7ELNS1_3repE0EEENS1_30default_config_static_selectorELNS0_4arch9wavefront6targetE0EEEvT1_.private_seg_size, 0
	.set _ZN7rocprim17ROCPRIM_400000_NS6detail17trampoline_kernelINS0_14default_configENS1_27scan_by_key_config_selectorIiiEEZZNS1_16scan_by_key_implILNS1_25lookback_scan_determinismE0ELb1ES3_N6thrust23THRUST_200600_302600_NS6detail15normal_iteratorINS9_10device_ptrIiEEEESE_SE_iNS9_4plusIvEENS9_8equal_toIvEEiEE10hipError_tPvRmT2_T3_T4_T5_mT6_T7_P12ihipStream_tbENKUlT_T0_E_clISt17integral_constantIbLb0EESY_IbLb1EEEEDaSU_SV_EUlSU_E_NS1_11comp_targetILNS1_3genE3ELNS1_11target_archE908ELNS1_3gpuE7ELNS1_3repE0EEENS1_30default_config_static_selectorELNS0_4arch9wavefront6targetE0EEEvT1_.uses_vcc, 0
	.set _ZN7rocprim17ROCPRIM_400000_NS6detail17trampoline_kernelINS0_14default_configENS1_27scan_by_key_config_selectorIiiEEZZNS1_16scan_by_key_implILNS1_25lookback_scan_determinismE0ELb1ES3_N6thrust23THRUST_200600_302600_NS6detail15normal_iteratorINS9_10device_ptrIiEEEESE_SE_iNS9_4plusIvEENS9_8equal_toIvEEiEE10hipError_tPvRmT2_T3_T4_T5_mT6_T7_P12ihipStream_tbENKUlT_T0_E_clISt17integral_constantIbLb0EESY_IbLb1EEEEDaSU_SV_EUlSU_E_NS1_11comp_targetILNS1_3genE3ELNS1_11target_archE908ELNS1_3gpuE7ELNS1_3repE0EEENS1_30default_config_static_selectorELNS0_4arch9wavefront6targetE0EEEvT1_.uses_flat_scratch, 0
	.set _ZN7rocprim17ROCPRIM_400000_NS6detail17trampoline_kernelINS0_14default_configENS1_27scan_by_key_config_selectorIiiEEZZNS1_16scan_by_key_implILNS1_25lookback_scan_determinismE0ELb1ES3_N6thrust23THRUST_200600_302600_NS6detail15normal_iteratorINS9_10device_ptrIiEEEESE_SE_iNS9_4plusIvEENS9_8equal_toIvEEiEE10hipError_tPvRmT2_T3_T4_T5_mT6_T7_P12ihipStream_tbENKUlT_T0_E_clISt17integral_constantIbLb0EESY_IbLb1EEEEDaSU_SV_EUlSU_E_NS1_11comp_targetILNS1_3genE3ELNS1_11target_archE908ELNS1_3gpuE7ELNS1_3repE0EEENS1_30default_config_static_selectorELNS0_4arch9wavefront6targetE0EEEvT1_.has_dyn_sized_stack, 0
	.set _ZN7rocprim17ROCPRIM_400000_NS6detail17trampoline_kernelINS0_14default_configENS1_27scan_by_key_config_selectorIiiEEZZNS1_16scan_by_key_implILNS1_25lookback_scan_determinismE0ELb1ES3_N6thrust23THRUST_200600_302600_NS6detail15normal_iteratorINS9_10device_ptrIiEEEESE_SE_iNS9_4plusIvEENS9_8equal_toIvEEiEE10hipError_tPvRmT2_T3_T4_T5_mT6_T7_P12ihipStream_tbENKUlT_T0_E_clISt17integral_constantIbLb0EESY_IbLb1EEEEDaSU_SV_EUlSU_E_NS1_11comp_targetILNS1_3genE3ELNS1_11target_archE908ELNS1_3gpuE7ELNS1_3repE0EEENS1_30default_config_static_selectorELNS0_4arch9wavefront6targetE0EEEvT1_.has_recursion, 0
	.set _ZN7rocprim17ROCPRIM_400000_NS6detail17trampoline_kernelINS0_14default_configENS1_27scan_by_key_config_selectorIiiEEZZNS1_16scan_by_key_implILNS1_25lookback_scan_determinismE0ELb1ES3_N6thrust23THRUST_200600_302600_NS6detail15normal_iteratorINS9_10device_ptrIiEEEESE_SE_iNS9_4plusIvEENS9_8equal_toIvEEiEE10hipError_tPvRmT2_T3_T4_T5_mT6_T7_P12ihipStream_tbENKUlT_T0_E_clISt17integral_constantIbLb0EESY_IbLb1EEEEDaSU_SV_EUlSU_E_NS1_11comp_targetILNS1_3genE3ELNS1_11target_archE908ELNS1_3gpuE7ELNS1_3repE0EEENS1_30default_config_static_selectorELNS0_4arch9wavefront6targetE0EEEvT1_.has_indirect_call, 0
	.section	.AMDGPU.csdata,"",@progbits
; Kernel info:
; codeLenInByte = 0
; TotalNumSgprs: 0
; NumVgprs: 0
; ScratchSize: 0
; MemoryBound: 0
; FloatMode: 240
; IeeeMode: 1
; LDSByteSize: 0 bytes/workgroup (compile time only)
; SGPRBlocks: 0
; VGPRBlocks: 0
; NumSGPRsForWavesPerEU: 1
; NumVGPRsForWavesPerEU: 1
; Occupancy: 16
; WaveLimiterHint : 0
; COMPUTE_PGM_RSRC2:SCRATCH_EN: 0
; COMPUTE_PGM_RSRC2:USER_SGPR: 6
; COMPUTE_PGM_RSRC2:TRAP_HANDLER: 0
; COMPUTE_PGM_RSRC2:TGID_X_EN: 1
; COMPUTE_PGM_RSRC2:TGID_Y_EN: 0
; COMPUTE_PGM_RSRC2:TGID_Z_EN: 0
; COMPUTE_PGM_RSRC2:TIDIG_COMP_CNT: 0
	.section	.text._ZN7rocprim17ROCPRIM_400000_NS6detail17trampoline_kernelINS0_14default_configENS1_27scan_by_key_config_selectorIiiEEZZNS1_16scan_by_key_implILNS1_25lookback_scan_determinismE0ELb1ES3_N6thrust23THRUST_200600_302600_NS6detail15normal_iteratorINS9_10device_ptrIiEEEESE_SE_iNS9_4plusIvEENS9_8equal_toIvEEiEE10hipError_tPvRmT2_T3_T4_T5_mT6_T7_P12ihipStream_tbENKUlT_T0_E_clISt17integral_constantIbLb0EESY_IbLb1EEEEDaSU_SV_EUlSU_E_NS1_11comp_targetILNS1_3genE2ELNS1_11target_archE906ELNS1_3gpuE6ELNS1_3repE0EEENS1_30default_config_static_selectorELNS0_4arch9wavefront6targetE0EEEvT1_,"axG",@progbits,_ZN7rocprim17ROCPRIM_400000_NS6detail17trampoline_kernelINS0_14default_configENS1_27scan_by_key_config_selectorIiiEEZZNS1_16scan_by_key_implILNS1_25lookback_scan_determinismE0ELb1ES3_N6thrust23THRUST_200600_302600_NS6detail15normal_iteratorINS9_10device_ptrIiEEEESE_SE_iNS9_4plusIvEENS9_8equal_toIvEEiEE10hipError_tPvRmT2_T3_T4_T5_mT6_T7_P12ihipStream_tbENKUlT_T0_E_clISt17integral_constantIbLb0EESY_IbLb1EEEEDaSU_SV_EUlSU_E_NS1_11comp_targetILNS1_3genE2ELNS1_11target_archE906ELNS1_3gpuE6ELNS1_3repE0EEENS1_30default_config_static_selectorELNS0_4arch9wavefront6targetE0EEEvT1_,comdat
	.protected	_ZN7rocprim17ROCPRIM_400000_NS6detail17trampoline_kernelINS0_14default_configENS1_27scan_by_key_config_selectorIiiEEZZNS1_16scan_by_key_implILNS1_25lookback_scan_determinismE0ELb1ES3_N6thrust23THRUST_200600_302600_NS6detail15normal_iteratorINS9_10device_ptrIiEEEESE_SE_iNS9_4plusIvEENS9_8equal_toIvEEiEE10hipError_tPvRmT2_T3_T4_T5_mT6_T7_P12ihipStream_tbENKUlT_T0_E_clISt17integral_constantIbLb0EESY_IbLb1EEEEDaSU_SV_EUlSU_E_NS1_11comp_targetILNS1_3genE2ELNS1_11target_archE906ELNS1_3gpuE6ELNS1_3repE0EEENS1_30default_config_static_selectorELNS0_4arch9wavefront6targetE0EEEvT1_ ; -- Begin function _ZN7rocprim17ROCPRIM_400000_NS6detail17trampoline_kernelINS0_14default_configENS1_27scan_by_key_config_selectorIiiEEZZNS1_16scan_by_key_implILNS1_25lookback_scan_determinismE0ELb1ES3_N6thrust23THRUST_200600_302600_NS6detail15normal_iteratorINS9_10device_ptrIiEEEESE_SE_iNS9_4plusIvEENS9_8equal_toIvEEiEE10hipError_tPvRmT2_T3_T4_T5_mT6_T7_P12ihipStream_tbENKUlT_T0_E_clISt17integral_constantIbLb0EESY_IbLb1EEEEDaSU_SV_EUlSU_E_NS1_11comp_targetILNS1_3genE2ELNS1_11target_archE906ELNS1_3gpuE6ELNS1_3repE0EEENS1_30default_config_static_selectorELNS0_4arch9wavefront6targetE0EEEvT1_
	.globl	_ZN7rocprim17ROCPRIM_400000_NS6detail17trampoline_kernelINS0_14default_configENS1_27scan_by_key_config_selectorIiiEEZZNS1_16scan_by_key_implILNS1_25lookback_scan_determinismE0ELb1ES3_N6thrust23THRUST_200600_302600_NS6detail15normal_iteratorINS9_10device_ptrIiEEEESE_SE_iNS9_4plusIvEENS9_8equal_toIvEEiEE10hipError_tPvRmT2_T3_T4_T5_mT6_T7_P12ihipStream_tbENKUlT_T0_E_clISt17integral_constantIbLb0EESY_IbLb1EEEEDaSU_SV_EUlSU_E_NS1_11comp_targetILNS1_3genE2ELNS1_11target_archE906ELNS1_3gpuE6ELNS1_3repE0EEENS1_30default_config_static_selectorELNS0_4arch9wavefront6targetE0EEEvT1_
	.p2align	8
	.type	_ZN7rocprim17ROCPRIM_400000_NS6detail17trampoline_kernelINS0_14default_configENS1_27scan_by_key_config_selectorIiiEEZZNS1_16scan_by_key_implILNS1_25lookback_scan_determinismE0ELb1ES3_N6thrust23THRUST_200600_302600_NS6detail15normal_iteratorINS9_10device_ptrIiEEEESE_SE_iNS9_4plusIvEENS9_8equal_toIvEEiEE10hipError_tPvRmT2_T3_T4_T5_mT6_T7_P12ihipStream_tbENKUlT_T0_E_clISt17integral_constantIbLb0EESY_IbLb1EEEEDaSU_SV_EUlSU_E_NS1_11comp_targetILNS1_3genE2ELNS1_11target_archE906ELNS1_3gpuE6ELNS1_3repE0EEENS1_30default_config_static_selectorELNS0_4arch9wavefront6targetE0EEEvT1_,@function
_ZN7rocprim17ROCPRIM_400000_NS6detail17trampoline_kernelINS0_14default_configENS1_27scan_by_key_config_selectorIiiEEZZNS1_16scan_by_key_implILNS1_25lookback_scan_determinismE0ELb1ES3_N6thrust23THRUST_200600_302600_NS6detail15normal_iteratorINS9_10device_ptrIiEEEESE_SE_iNS9_4plusIvEENS9_8equal_toIvEEiEE10hipError_tPvRmT2_T3_T4_T5_mT6_T7_P12ihipStream_tbENKUlT_T0_E_clISt17integral_constantIbLb0EESY_IbLb1EEEEDaSU_SV_EUlSU_E_NS1_11comp_targetILNS1_3genE2ELNS1_11target_archE906ELNS1_3gpuE6ELNS1_3repE0EEENS1_30default_config_static_selectorELNS0_4arch9wavefront6targetE0EEEvT1_: ; @_ZN7rocprim17ROCPRIM_400000_NS6detail17trampoline_kernelINS0_14default_configENS1_27scan_by_key_config_selectorIiiEEZZNS1_16scan_by_key_implILNS1_25lookback_scan_determinismE0ELb1ES3_N6thrust23THRUST_200600_302600_NS6detail15normal_iteratorINS9_10device_ptrIiEEEESE_SE_iNS9_4plusIvEENS9_8equal_toIvEEiEE10hipError_tPvRmT2_T3_T4_T5_mT6_T7_P12ihipStream_tbENKUlT_T0_E_clISt17integral_constantIbLb0EESY_IbLb1EEEEDaSU_SV_EUlSU_E_NS1_11comp_targetILNS1_3genE2ELNS1_11target_archE906ELNS1_3gpuE6ELNS1_3repE0EEENS1_30default_config_static_selectorELNS0_4arch9wavefront6targetE0EEEvT1_
; %bb.0:
	.section	.rodata,"a",@progbits
	.p2align	6, 0x0
	.amdhsa_kernel _ZN7rocprim17ROCPRIM_400000_NS6detail17trampoline_kernelINS0_14default_configENS1_27scan_by_key_config_selectorIiiEEZZNS1_16scan_by_key_implILNS1_25lookback_scan_determinismE0ELb1ES3_N6thrust23THRUST_200600_302600_NS6detail15normal_iteratorINS9_10device_ptrIiEEEESE_SE_iNS9_4plusIvEENS9_8equal_toIvEEiEE10hipError_tPvRmT2_T3_T4_T5_mT6_T7_P12ihipStream_tbENKUlT_T0_E_clISt17integral_constantIbLb0EESY_IbLb1EEEEDaSU_SV_EUlSU_E_NS1_11comp_targetILNS1_3genE2ELNS1_11target_archE906ELNS1_3gpuE6ELNS1_3repE0EEENS1_30default_config_static_selectorELNS0_4arch9wavefront6targetE0EEEvT1_
		.amdhsa_group_segment_fixed_size 0
		.amdhsa_private_segment_fixed_size 0
		.amdhsa_kernarg_size 112
		.amdhsa_user_sgpr_count 6
		.amdhsa_user_sgpr_private_segment_buffer 1
		.amdhsa_user_sgpr_dispatch_ptr 0
		.amdhsa_user_sgpr_queue_ptr 0
		.amdhsa_user_sgpr_kernarg_segment_ptr 1
		.amdhsa_user_sgpr_dispatch_id 0
		.amdhsa_user_sgpr_flat_scratch_init 0
		.amdhsa_user_sgpr_private_segment_size 0
		.amdhsa_wavefront_size32 1
		.amdhsa_uses_dynamic_stack 0
		.amdhsa_system_sgpr_private_segment_wavefront_offset 0
		.amdhsa_system_sgpr_workgroup_id_x 1
		.amdhsa_system_sgpr_workgroup_id_y 0
		.amdhsa_system_sgpr_workgroup_id_z 0
		.amdhsa_system_sgpr_workgroup_info 0
		.amdhsa_system_vgpr_workitem_id 0
		.amdhsa_next_free_vgpr 1
		.amdhsa_next_free_sgpr 1
		.amdhsa_reserve_vcc 0
		.amdhsa_reserve_flat_scratch 0
		.amdhsa_float_round_mode_32 0
		.amdhsa_float_round_mode_16_64 0
		.amdhsa_float_denorm_mode_32 3
		.amdhsa_float_denorm_mode_16_64 3
		.amdhsa_dx10_clamp 1
		.amdhsa_ieee_mode 1
		.amdhsa_fp16_overflow 0
		.amdhsa_workgroup_processor_mode 1
		.amdhsa_memory_ordered 1
		.amdhsa_forward_progress 1
		.amdhsa_shared_vgpr_count 0
		.amdhsa_exception_fp_ieee_invalid_op 0
		.amdhsa_exception_fp_denorm_src 0
		.amdhsa_exception_fp_ieee_div_zero 0
		.amdhsa_exception_fp_ieee_overflow 0
		.amdhsa_exception_fp_ieee_underflow 0
		.amdhsa_exception_fp_ieee_inexact 0
		.amdhsa_exception_int_div_zero 0
	.end_amdhsa_kernel
	.section	.text._ZN7rocprim17ROCPRIM_400000_NS6detail17trampoline_kernelINS0_14default_configENS1_27scan_by_key_config_selectorIiiEEZZNS1_16scan_by_key_implILNS1_25lookback_scan_determinismE0ELb1ES3_N6thrust23THRUST_200600_302600_NS6detail15normal_iteratorINS9_10device_ptrIiEEEESE_SE_iNS9_4plusIvEENS9_8equal_toIvEEiEE10hipError_tPvRmT2_T3_T4_T5_mT6_T7_P12ihipStream_tbENKUlT_T0_E_clISt17integral_constantIbLb0EESY_IbLb1EEEEDaSU_SV_EUlSU_E_NS1_11comp_targetILNS1_3genE2ELNS1_11target_archE906ELNS1_3gpuE6ELNS1_3repE0EEENS1_30default_config_static_selectorELNS0_4arch9wavefront6targetE0EEEvT1_,"axG",@progbits,_ZN7rocprim17ROCPRIM_400000_NS6detail17trampoline_kernelINS0_14default_configENS1_27scan_by_key_config_selectorIiiEEZZNS1_16scan_by_key_implILNS1_25lookback_scan_determinismE0ELb1ES3_N6thrust23THRUST_200600_302600_NS6detail15normal_iteratorINS9_10device_ptrIiEEEESE_SE_iNS9_4plusIvEENS9_8equal_toIvEEiEE10hipError_tPvRmT2_T3_T4_T5_mT6_T7_P12ihipStream_tbENKUlT_T0_E_clISt17integral_constantIbLb0EESY_IbLb1EEEEDaSU_SV_EUlSU_E_NS1_11comp_targetILNS1_3genE2ELNS1_11target_archE906ELNS1_3gpuE6ELNS1_3repE0EEENS1_30default_config_static_selectorELNS0_4arch9wavefront6targetE0EEEvT1_,comdat
.Lfunc_end493:
	.size	_ZN7rocprim17ROCPRIM_400000_NS6detail17trampoline_kernelINS0_14default_configENS1_27scan_by_key_config_selectorIiiEEZZNS1_16scan_by_key_implILNS1_25lookback_scan_determinismE0ELb1ES3_N6thrust23THRUST_200600_302600_NS6detail15normal_iteratorINS9_10device_ptrIiEEEESE_SE_iNS9_4plusIvEENS9_8equal_toIvEEiEE10hipError_tPvRmT2_T3_T4_T5_mT6_T7_P12ihipStream_tbENKUlT_T0_E_clISt17integral_constantIbLb0EESY_IbLb1EEEEDaSU_SV_EUlSU_E_NS1_11comp_targetILNS1_3genE2ELNS1_11target_archE906ELNS1_3gpuE6ELNS1_3repE0EEENS1_30default_config_static_selectorELNS0_4arch9wavefront6targetE0EEEvT1_, .Lfunc_end493-_ZN7rocprim17ROCPRIM_400000_NS6detail17trampoline_kernelINS0_14default_configENS1_27scan_by_key_config_selectorIiiEEZZNS1_16scan_by_key_implILNS1_25lookback_scan_determinismE0ELb1ES3_N6thrust23THRUST_200600_302600_NS6detail15normal_iteratorINS9_10device_ptrIiEEEESE_SE_iNS9_4plusIvEENS9_8equal_toIvEEiEE10hipError_tPvRmT2_T3_T4_T5_mT6_T7_P12ihipStream_tbENKUlT_T0_E_clISt17integral_constantIbLb0EESY_IbLb1EEEEDaSU_SV_EUlSU_E_NS1_11comp_targetILNS1_3genE2ELNS1_11target_archE906ELNS1_3gpuE6ELNS1_3repE0EEENS1_30default_config_static_selectorELNS0_4arch9wavefront6targetE0EEEvT1_
                                        ; -- End function
	.set _ZN7rocprim17ROCPRIM_400000_NS6detail17trampoline_kernelINS0_14default_configENS1_27scan_by_key_config_selectorIiiEEZZNS1_16scan_by_key_implILNS1_25lookback_scan_determinismE0ELb1ES3_N6thrust23THRUST_200600_302600_NS6detail15normal_iteratorINS9_10device_ptrIiEEEESE_SE_iNS9_4plusIvEENS9_8equal_toIvEEiEE10hipError_tPvRmT2_T3_T4_T5_mT6_T7_P12ihipStream_tbENKUlT_T0_E_clISt17integral_constantIbLb0EESY_IbLb1EEEEDaSU_SV_EUlSU_E_NS1_11comp_targetILNS1_3genE2ELNS1_11target_archE906ELNS1_3gpuE6ELNS1_3repE0EEENS1_30default_config_static_selectorELNS0_4arch9wavefront6targetE0EEEvT1_.num_vgpr, 0
	.set _ZN7rocprim17ROCPRIM_400000_NS6detail17trampoline_kernelINS0_14default_configENS1_27scan_by_key_config_selectorIiiEEZZNS1_16scan_by_key_implILNS1_25lookback_scan_determinismE0ELb1ES3_N6thrust23THRUST_200600_302600_NS6detail15normal_iteratorINS9_10device_ptrIiEEEESE_SE_iNS9_4plusIvEENS9_8equal_toIvEEiEE10hipError_tPvRmT2_T3_T4_T5_mT6_T7_P12ihipStream_tbENKUlT_T0_E_clISt17integral_constantIbLb0EESY_IbLb1EEEEDaSU_SV_EUlSU_E_NS1_11comp_targetILNS1_3genE2ELNS1_11target_archE906ELNS1_3gpuE6ELNS1_3repE0EEENS1_30default_config_static_selectorELNS0_4arch9wavefront6targetE0EEEvT1_.num_agpr, 0
	.set _ZN7rocprim17ROCPRIM_400000_NS6detail17trampoline_kernelINS0_14default_configENS1_27scan_by_key_config_selectorIiiEEZZNS1_16scan_by_key_implILNS1_25lookback_scan_determinismE0ELb1ES3_N6thrust23THRUST_200600_302600_NS6detail15normal_iteratorINS9_10device_ptrIiEEEESE_SE_iNS9_4plusIvEENS9_8equal_toIvEEiEE10hipError_tPvRmT2_T3_T4_T5_mT6_T7_P12ihipStream_tbENKUlT_T0_E_clISt17integral_constantIbLb0EESY_IbLb1EEEEDaSU_SV_EUlSU_E_NS1_11comp_targetILNS1_3genE2ELNS1_11target_archE906ELNS1_3gpuE6ELNS1_3repE0EEENS1_30default_config_static_selectorELNS0_4arch9wavefront6targetE0EEEvT1_.numbered_sgpr, 0
	.set _ZN7rocprim17ROCPRIM_400000_NS6detail17trampoline_kernelINS0_14default_configENS1_27scan_by_key_config_selectorIiiEEZZNS1_16scan_by_key_implILNS1_25lookback_scan_determinismE0ELb1ES3_N6thrust23THRUST_200600_302600_NS6detail15normal_iteratorINS9_10device_ptrIiEEEESE_SE_iNS9_4plusIvEENS9_8equal_toIvEEiEE10hipError_tPvRmT2_T3_T4_T5_mT6_T7_P12ihipStream_tbENKUlT_T0_E_clISt17integral_constantIbLb0EESY_IbLb1EEEEDaSU_SV_EUlSU_E_NS1_11comp_targetILNS1_3genE2ELNS1_11target_archE906ELNS1_3gpuE6ELNS1_3repE0EEENS1_30default_config_static_selectorELNS0_4arch9wavefront6targetE0EEEvT1_.num_named_barrier, 0
	.set _ZN7rocprim17ROCPRIM_400000_NS6detail17trampoline_kernelINS0_14default_configENS1_27scan_by_key_config_selectorIiiEEZZNS1_16scan_by_key_implILNS1_25lookback_scan_determinismE0ELb1ES3_N6thrust23THRUST_200600_302600_NS6detail15normal_iteratorINS9_10device_ptrIiEEEESE_SE_iNS9_4plusIvEENS9_8equal_toIvEEiEE10hipError_tPvRmT2_T3_T4_T5_mT6_T7_P12ihipStream_tbENKUlT_T0_E_clISt17integral_constantIbLb0EESY_IbLb1EEEEDaSU_SV_EUlSU_E_NS1_11comp_targetILNS1_3genE2ELNS1_11target_archE906ELNS1_3gpuE6ELNS1_3repE0EEENS1_30default_config_static_selectorELNS0_4arch9wavefront6targetE0EEEvT1_.private_seg_size, 0
	.set _ZN7rocprim17ROCPRIM_400000_NS6detail17trampoline_kernelINS0_14default_configENS1_27scan_by_key_config_selectorIiiEEZZNS1_16scan_by_key_implILNS1_25lookback_scan_determinismE0ELb1ES3_N6thrust23THRUST_200600_302600_NS6detail15normal_iteratorINS9_10device_ptrIiEEEESE_SE_iNS9_4plusIvEENS9_8equal_toIvEEiEE10hipError_tPvRmT2_T3_T4_T5_mT6_T7_P12ihipStream_tbENKUlT_T0_E_clISt17integral_constantIbLb0EESY_IbLb1EEEEDaSU_SV_EUlSU_E_NS1_11comp_targetILNS1_3genE2ELNS1_11target_archE906ELNS1_3gpuE6ELNS1_3repE0EEENS1_30default_config_static_selectorELNS0_4arch9wavefront6targetE0EEEvT1_.uses_vcc, 0
	.set _ZN7rocprim17ROCPRIM_400000_NS6detail17trampoline_kernelINS0_14default_configENS1_27scan_by_key_config_selectorIiiEEZZNS1_16scan_by_key_implILNS1_25lookback_scan_determinismE0ELb1ES3_N6thrust23THRUST_200600_302600_NS6detail15normal_iteratorINS9_10device_ptrIiEEEESE_SE_iNS9_4plusIvEENS9_8equal_toIvEEiEE10hipError_tPvRmT2_T3_T4_T5_mT6_T7_P12ihipStream_tbENKUlT_T0_E_clISt17integral_constantIbLb0EESY_IbLb1EEEEDaSU_SV_EUlSU_E_NS1_11comp_targetILNS1_3genE2ELNS1_11target_archE906ELNS1_3gpuE6ELNS1_3repE0EEENS1_30default_config_static_selectorELNS0_4arch9wavefront6targetE0EEEvT1_.uses_flat_scratch, 0
	.set _ZN7rocprim17ROCPRIM_400000_NS6detail17trampoline_kernelINS0_14default_configENS1_27scan_by_key_config_selectorIiiEEZZNS1_16scan_by_key_implILNS1_25lookback_scan_determinismE0ELb1ES3_N6thrust23THRUST_200600_302600_NS6detail15normal_iteratorINS9_10device_ptrIiEEEESE_SE_iNS9_4plusIvEENS9_8equal_toIvEEiEE10hipError_tPvRmT2_T3_T4_T5_mT6_T7_P12ihipStream_tbENKUlT_T0_E_clISt17integral_constantIbLb0EESY_IbLb1EEEEDaSU_SV_EUlSU_E_NS1_11comp_targetILNS1_3genE2ELNS1_11target_archE906ELNS1_3gpuE6ELNS1_3repE0EEENS1_30default_config_static_selectorELNS0_4arch9wavefront6targetE0EEEvT1_.has_dyn_sized_stack, 0
	.set _ZN7rocprim17ROCPRIM_400000_NS6detail17trampoline_kernelINS0_14default_configENS1_27scan_by_key_config_selectorIiiEEZZNS1_16scan_by_key_implILNS1_25lookback_scan_determinismE0ELb1ES3_N6thrust23THRUST_200600_302600_NS6detail15normal_iteratorINS9_10device_ptrIiEEEESE_SE_iNS9_4plusIvEENS9_8equal_toIvEEiEE10hipError_tPvRmT2_T3_T4_T5_mT6_T7_P12ihipStream_tbENKUlT_T0_E_clISt17integral_constantIbLb0EESY_IbLb1EEEEDaSU_SV_EUlSU_E_NS1_11comp_targetILNS1_3genE2ELNS1_11target_archE906ELNS1_3gpuE6ELNS1_3repE0EEENS1_30default_config_static_selectorELNS0_4arch9wavefront6targetE0EEEvT1_.has_recursion, 0
	.set _ZN7rocprim17ROCPRIM_400000_NS6detail17trampoline_kernelINS0_14default_configENS1_27scan_by_key_config_selectorIiiEEZZNS1_16scan_by_key_implILNS1_25lookback_scan_determinismE0ELb1ES3_N6thrust23THRUST_200600_302600_NS6detail15normal_iteratorINS9_10device_ptrIiEEEESE_SE_iNS9_4plusIvEENS9_8equal_toIvEEiEE10hipError_tPvRmT2_T3_T4_T5_mT6_T7_P12ihipStream_tbENKUlT_T0_E_clISt17integral_constantIbLb0EESY_IbLb1EEEEDaSU_SV_EUlSU_E_NS1_11comp_targetILNS1_3genE2ELNS1_11target_archE906ELNS1_3gpuE6ELNS1_3repE0EEENS1_30default_config_static_selectorELNS0_4arch9wavefront6targetE0EEEvT1_.has_indirect_call, 0
	.section	.AMDGPU.csdata,"",@progbits
; Kernel info:
; codeLenInByte = 0
; TotalNumSgprs: 0
; NumVgprs: 0
; ScratchSize: 0
; MemoryBound: 0
; FloatMode: 240
; IeeeMode: 1
; LDSByteSize: 0 bytes/workgroup (compile time only)
; SGPRBlocks: 0
; VGPRBlocks: 0
; NumSGPRsForWavesPerEU: 1
; NumVGPRsForWavesPerEU: 1
; Occupancy: 16
; WaveLimiterHint : 0
; COMPUTE_PGM_RSRC2:SCRATCH_EN: 0
; COMPUTE_PGM_RSRC2:USER_SGPR: 6
; COMPUTE_PGM_RSRC2:TRAP_HANDLER: 0
; COMPUTE_PGM_RSRC2:TGID_X_EN: 1
; COMPUTE_PGM_RSRC2:TGID_Y_EN: 0
; COMPUTE_PGM_RSRC2:TGID_Z_EN: 0
; COMPUTE_PGM_RSRC2:TIDIG_COMP_CNT: 0
	.section	.text._ZN7rocprim17ROCPRIM_400000_NS6detail17trampoline_kernelINS0_14default_configENS1_27scan_by_key_config_selectorIiiEEZZNS1_16scan_by_key_implILNS1_25lookback_scan_determinismE0ELb1ES3_N6thrust23THRUST_200600_302600_NS6detail15normal_iteratorINS9_10device_ptrIiEEEESE_SE_iNS9_4plusIvEENS9_8equal_toIvEEiEE10hipError_tPvRmT2_T3_T4_T5_mT6_T7_P12ihipStream_tbENKUlT_T0_E_clISt17integral_constantIbLb0EESY_IbLb1EEEEDaSU_SV_EUlSU_E_NS1_11comp_targetILNS1_3genE10ELNS1_11target_archE1200ELNS1_3gpuE4ELNS1_3repE0EEENS1_30default_config_static_selectorELNS0_4arch9wavefront6targetE0EEEvT1_,"axG",@progbits,_ZN7rocprim17ROCPRIM_400000_NS6detail17trampoline_kernelINS0_14default_configENS1_27scan_by_key_config_selectorIiiEEZZNS1_16scan_by_key_implILNS1_25lookback_scan_determinismE0ELb1ES3_N6thrust23THRUST_200600_302600_NS6detail15normal_iteratorINS9_10device_ptrIiEEEESE_SE_iNS9_4plusIvEENS9_8equal_toIvEEiEE10hipError_tPvRmT2_T3_T4_T5_mT6_T7_P12ihipStream_tbENKUlT_T0_E_clISt17integral_constantIbLb0EESY_IbLb1EEEEDaSU_SV_EUlSU_E_NS1_11comp_targetILNS1_3genE10ELNS1_11target_archE1200ELNS1_3gpuE4ELNS1_3repE0EEENS1_30default_config_static_selectorELNS0_4arch9wavefront6targetE0EEEvT1_,comdat
	.protected	_ZN7rocprim17ROCPRIM_400000_NS6detail17trampoline_kernelINS0_14default_configENS1_27scan_by_key_config_selectorIiiEEZZNS1_16scan_by_key_implILNS1_25lookback_scan_determinismE0ELb1ES3_N6thrust23THRUST_200600_302600_NS6detail15normal_iteratorINS9_10device_ptrIiEEEESE_SE_iNS9_4plusIvEENS9_8equal_toIvEEiEE10hipError_tPvRmT2_T3_T4_T5_mT6_T7_P12ihipStream_tbENKUlT_T0_E_clISt17integral_constantIbLb0EESY_IbLb1EEEEDaSU_SV_EUlSU_E_NS1_11comp_targetILNS1_3genE10ELNS1_11target_archE1200ELNS1_3gpuE4ELNS1_3repE0EEENS1_30default_config_static_selectorELNS0_4arch9wavefront6targetE0EEEvT1_ ; -- Begin function _ZN7rocprim17ROCPRIM_400000_NS6detail17trampoline_kernelINS0_14default_configENS1_27scan_by_key_config_selectorIiiEEZZNS1_16scan_by_key_implILNS1_25lookback_scan_determinismE0ELb1ES3_N6thrust23THRUST_200600_302600_NS6detail15normal_iteratorINS9_10device_ptrIiEEEESE_SE_iNS9_4plusIvEENS9_8equal_toIvEEiEE10hipError_tPvRmT2_T3_T4_T5_mT6_T7_P12ihipStream_tbENKUlT_T0_E_clISt17integral_constantIbLb0EESY_IbLb1EEEEDaSU_SV_EUlSU_E_NS1_11comp_targetILNS1_3genE10ELNS1_11target_archE1200ELNS1_3gpuE4ELNS1_3repE0EEENS1_30default_config_static_selectorELNS0_4arch9wavefront6targetE0EEEvT1_
	.globl	_ZN7rocprim17ROCPRIM_400000_NS6detail17trampoline_kernelINS0_14default_configENS1_27scan_by_key_config_selectorIiiEEZZNS1_16scan_by_key_implILNS1_25lookback_scan_determinismE0ELb1ES3_N6thrust23THRUST_200600_302600_NS6detail15normal_iteratorINS9_10device_ptrIiEEEESE_SE_iNS9_4plusIvEENS9_8equal_toIvEEiEE10hipError_tPvRmT2_T3_T4_T5_mT6_T7_P12ihipStream_tbENKUlT_T0_E_clISt17integral_constantIbLb0EESY_IbLb1EEEEDaSU_SV_EUlSU_E_NS1_11comp_targetILNS1_3genE10ELNS1_11target_archE1200ELNS1_3gpuE4ELNS1_3repE0EEENS1_30default_config_static_selectorELNS0_4arch9wavefront6targetE0EEEvT1_
	.p2align	8
	.type	_ZN7rocprim17ROCPRIM_400000_NS6detail17trampoline_kernelINS0_14default_configENS1_27scan_by_key_config_selectorIiiEEZZNS1_16scan_by_key_implILNS1_25lookback_scan_determinismE0ELb1ES3_N6thrust23THRUST_200600_302600_NS6detail15normal_iteratorINS9_10device_ptrIiEEEESE_SE_iNS9_4plusIvEENS9_8equal_toIvEEiEE10hipError_tPvRmT2_T3_T4_T5_mT6_T7_P12ihipStream_tbENKUlT_T0_E_clISt17integral_constantIbLb0EESY_IbLb1EEEEDaSU_SV_EUlSU_E_NS1_11comp_targetILNS1_3genE10ELNS1_11target_archE1200ELNS1_3gpuE4ELNS1_3repE0EEENS1_30default_config_static_selectorELNS0_4arch9wavefront6targetE0EEEvT1_,@function
_ZN7rocprim17ROCPRIM_400000_NS6detail17trampoline_kernelINS0_14default_configENS1_27scan_by_key_config_selectorIiiEEZZNS1_16scan_by_key_implILNS1_25lookback_scan_determinismE0ELb1ES3_N6thrust23THRUST_200600_302600_NS6detail15normal_iteratorINS9_10device_ptrIiEEEESE_SE_iNS9_4plusIvEENS9_8equal_toIvEEiEE10hipError_tPvRmT2_T3_T4_T5_mT6_T7_P12ihipStream_tbENKUlT_T0_E_clISt17integral_constantIbLb0EESY_IbLb1EEEEDaSU_SV_EUlSU_E_NS1_11comp_targetILNS1_3genE10ELNS1_11target_archE1200ELNS1_3gpuE4ELNS1_3repE0EEENS1_30default_config_static_selectorELNS0_4arch9wavefront6targetE0EEEvT1_: ; @_ZN7rocprim17ROCPRIM_400000_NS6detail17trampoline_kernelINS0_14default_configENS1_27scan_by_key_config_selectorIiiEEZZNS1_16scan_by_key_implILNS1_25lookback_scan_determinismE0ELb1ES3_N6thrust23THRUST_200600_302600_NS6detail15normal_iteratorINS9_10device_ptrIiEEEESE_SE_iNS9_4plusIvEENS9_8equal_toIvEEiEE10hipError_tPvRmT2_T3_T4_T5_mT6_T7_P12ihipStream_tbENKUlT_T0_E_clISt17integral_constantIbLb0EESY_IbLb1EEEEDaSU_SV_EUlSU_E_NS1_11comp_targetILNS1_3genE10ELNS1_11target_archE1200ELNS1_3gpuE4ELNS1_3repE0EEENS1_30default_config_static_selectorELNS0_4arch9wavefront6targetE0EEEvT1_
; %bb.0:
	.section	.rodata,"a",@progbits
	.p2align	6, 0x0
	.amdhsa_kernel _ZN7rocprim17ROCPRIM_400000_NS6detail17trampoline_kernelINS0_14default_configENS1_27scan_by_key_config_selectorIiiEEZZNS1_16scan_by_key_implILNS1_25lookback_scan_determinismE0ELb1ES3_N6thrust23THRUST_200600_302600_NS6detail15normal_iteratorINS9_10device_ptrIiEEEESE_SE_iNS9_4plusIvEENS9_8equal_toIvEEiEE10hipError_tPvRmT2_T3_T4_T5_mT6_T7_P12ihipStream_tbENKUlT_T0_E_clISt17integral_constantIbLb0EESY_IbLb1EEEEDaSU_SV_EUlSU_E_NS1_11comp_targetILNS1_3genE10ELNS1_11target_archE1200ELNS1_3gpuE4ELNS1_3repE0EEENS1_30default_config_static_selectorELNS0_4arch9wavefront6targetE0EEEvT1_
		.amdhsa_group_segment_fixed_size 0
		.amdhsa_private_segment_fixed_size 0
		.amdhsa_kernarg_size 112
		.amdhsa_user_sgpr_count 6
		.amdhsa_user_sgpr_private_segment_buffer 1
		.amdhsa_user_sgpr_dispatch_ptr 0
		.amdhsa_user_sgpr_queue_ptr 0
		.amdhsa_user_sgpr_kernarg_segment_ptr 1
		.amdhsa_user_sgpr_dispatch_id 0
		.amdhsa_user_sgpr_flat_scratch_init 0
		.amdhsa_user_sgpr_private_segment_size 0
		.amdhsa_wavefront_size32 1
		.amdhsa_uses_dynamic_stack 0
		.amdhsa_system_sgpr_private_segment_wavefront_offset 0
		.amdhsa_system_sgpr_workgroup_id_x 1
		.amdhsa_system_sgpr_workgroup_id_y 0
		.amdhsa_system_sgpr_workgroup_id_z 0
		.amdhsa_system_sgpr_workgroup_info 0
		.amdhsa_system_vgpr_workitem_id 0
		.amdhsa_next_free_vgpr 1
		.amdhsa_next_free_sgpr 1
		.amdhsa_reserve_vcc 0
		.amdhsa_reserve_flat_scratch 0
		.amdhsa_float_round_mode_32 0
		.amdhsa_float_round_mode_16_64 0
		.amdhsa_float_denorm_mode_32 3
		.amdhsa_float_denorm_mode_16_64 3
		.amdhsa_dx10_clamp 1
		.amdhsa_ieee_mode 1
		.amdhsa_fp16_overflow 0
		.amdhsa_workgroup_processor_mode 1
		.amdhsa_memory_ordered 1
		.amdhsa_forward_progress 1
		.amdhsa_shared_vgpr_count 0
		.amdhsa_exception_fp_ieee_invalid_op 0
		.amdhsa_exception_fp_denorm_src 0
		.amdhsa_exception_fp_ieee_div_zero 0
		.amdhsa_exception_fp_ieee_overflow 0
		.amdhsa_exception_fp_ieee_underflow 0
		.amdhsa_exception_fp_ieee_inexact 0
		.amdhsa_exception_int_div_zero 0
	.end_amdhsa_kernel
	.section	.text._ZN7rocprim17ROCPRIM_400000_NS6detail17trampoline_kernelINS0_14default_configENS1_27scan_by_key_config_selectorIiiEEZZNS1_16scan_by_key_implILNS1_25lookback_scan_determinismE0ELb1ES3_N6thrust23THRUST_200600_302600_NS6detail15normal_iteratorINS9_10device_ptrIiEEEESE_SE_iNS9_4plusIvEENS9_8equal_toIvEEiEE10hipError_tPvRmT2_T3_T4_T5_mT6_T7_P12ihipStream_tbENKUlT_T0_E_clISt17integral_constantIbLb0EESY_IbLb1EEEEDaSU_SV_EUlSU_E_NS1_11comp_targetILNS1_3genE10ELNS1_11target_archE1200ELNS1_3gpuE4ELNS1_3repE0EEENS1_30default_config_static_selectorELNS0_4arch9wavefront6targetE0EEEvT1_,"axG",@progbits,_ZN7rocprim17ROCPRIM_400000_NS6detail17trampoline_kernelINS0_14default_configENS1_27scan_by_key_config_selectorIiiEEZZNS1_16scan_by_key_implILNS1_25lookback_scan_determinismE0ELb1ES3_N6thrust23THRUST_200600_302600_NS6detail15normal_iteratorINS9_10device_ptrIiEEEESE_SE_iNS9_4plusIvEENS9_8equal_toIvEEiEE10hipError_tPvRmT2_T3_T4_T5_mT6_T7_P12ihipStream_tbENKUlT_T0_E_clISt17integral_constantIbLb0EESY_IbLb1EEEEDaSU_SV_EUlSU_E_NS1_11comp_targetILNS1_3genE10ELNS1_11target_archE1200ELNS1_3gpuE4ELNS1_3repE0EEENS1_30default_config_static_selectorELNS0_4arch9wavefront6targetE0EEEvT1_,comdat
.Lfunc_end494:
	.size	_ZN7rocprim17ROCPRIM_400000_NS6detail17trampoline_kernelINS0_14default_configENS1_27scan_by_key_config_selectorIiiEEZZNS1_16scan_by_key_implILNS1_25lookback_scan_determinismE0ELb1ES3_N6thrust23THRUST_200600_302600_NS6detail15normal_iteratorINS9_10device_ptrIiEEEESE_SE_iNS9_4plusIvEENS9_8equal_toIvEEiEE10hipError_tPvRmT2_T3_T4_T5_mT6_T7_P12ihipStream_tbENKUlT_T0_E_clISt17integral_constantIbLb0EESY_IbLb1EEEEDaSU_SV_EUlSU_E_NS1_11comp_targetILNS1_3genE10ELNS1_11target_archE1200ELNS1_3gpuE4ELNS1_3repE0EEENS1_30default_config_static_selectorELNS0_4arch9wavefront6targetE0EEEvT1_, .Lfunc_end494-_ZN7rocprim17ROCPRIM_400000_NS6detail17trampoline_kernelINS0_14default_configENS1_27scan_by_key_config_selectorIiiEEZZNS1_16scan_by_key_implILNS1_25lookback_scan_determinismE0ELb1ES3_N6thrust23THRUST_200600_302600_NS6detail15normal_iteratorINS9_10device_ptrIiEEEESE_SE_iNS9_4plusIvEENS9_8equal_toIvEEiEE10hipError_tPvRmT2_T3_T4_T5_mT6_T7_P12ihipStream_tbENKUlT_T0_E_clISt17integral_constantIbLb0EESY_IbLb1EEEEDaSU_SV_EUlSU_E_NS1_11comp_targetILNS1_3genE10ELNS1_11target_archE1200ELNS1_3gpuE4ELNS1_3repE0EEENS1_30default_config_static_selectorELNS0_4arch9wavefront6targetE0EEEvT1_
                                        ; -- End function
	.set _ZN7rocprim17ROCPRIM_400000_NS6detail17trampoline_kernelINS0_14default_configENS1_27scan_by_key_config_selectorIiiEEZZNS1_16scan_by_key_implILNS1_25lookback_scan_determinismE0ELb1ES3_N6thrust23THRUST_200600_302600_NS6detail15normal_iteratorINS9_10device_ptrIiEEEESE_SE_iNS9_4plusIvEENS9_8equal_toIvEEiEE10hipError_tPvRmT2_T3_T4_T5_mT6_T7_P12ihipStream_tbENKUlT_T0_E_clISt17integral_constantIbLb0EESY_IbLb1EEEEDaSU_SV_EUlSU_E_NS1_11comp_targetILNS1_3genE10ELNS1_11target_archE1200ELNS1_3gpuE4ELNS1_3repE0EEENS1_30default_config_static_selectorELNS0_4arch9wavefront6targetE0EEEvT1_.num_vgpr, 0
	.set _ZN7rocprim17ROCPRIM_400000_NS6detail17trampoline_kernelINS0_14default_configENS1_27scan_by_key_config_selectorIiiEEZZNS1_16scan_by_key_implILNS1_25lookback_scan_determinismE0ELb1ES3_N6thrust23THRUST_200600_302600_NS6detail15normal_iteratorINS9_10device_ptrIiEEEESE_SE_iNS9_4plusIvEENS9_8equal_toIvEEiEE10hipError_tPvRmT2_T3_T4_T5_mT6_T7_P12ihipStream_tbENKUlT_T0_E_clISt17integral_constantIbLb0EESY_IbLb1EEEEDaSU_SV_EUlSU_E_NS1_11comp_targetILNS1_3genE10ELNS1_11target_archE1200ELNS1_3gpuE4ELNS1_3repE0EEENS1_30default_config_static_selectorELNS0_4arch9wavefront6targetE0EEEvT1_.num_agpr, 0
	.set _ZN7rocprim17ROCPRIM_400000_NS6detail17trampoline_kernelINS0_14default_configENS1_27scan_by_key_config_selectorIiiEEZZNS1_16scan_by_key_implILNS1_25lookback_scan_determinismE0ELb1ES3_N6thrust23THRUST_200600_302600_NS6detail15normal_iteratorINS9_10device_ptrIiEEEESE_SE_iNS9_4plusIvEENS9_8equal_toIvEEiEE10hipError_tPvRmT2_T3_T4_T5_mT6_T7_P12ihipStream_tbENKUlT_T0_E_clISt17integral_constantIbLb0EESY_IbLb1EEEEDaSU_SV_EUlSU_E_NS1_11comp_targetILNS1_3genE10ELNS1_11target_archE1200ELNS1_3gpuE4ELNS1_3repE0EEENS1_30default_config_static_selectorELNS0_4arch9wavefront6targetE0EEEvT1_.numbered_sgpr, 0
	.set _ZN7rocprim17ROCPRIM_400000_NS6detail17trampoline_kernelINS0_14default_configENS1_27scan_by_key_config_selectorIiiEEZZNS1_16scan_by_key_implILNS1_25lookback_scan_determinismE0ELb1ES3_N6thrust23THRUST_200600_302600_NS6detail15normal_iteratorINS9_10device_ptrIiEEEESE_SE_iNS9_4plusIvEENS9_8equal_toIvEEiEE10hipError_tPvRmT2_T3_T4_T5_mT6_T7_P12ihipStream_tbENKUlT_T0_E_clISt17integral_constantIbLb0EESY_IbLb1EEEEDaSU_SV_EUlSU_E_NS1_11comp_targetILNS1_3genE10ELNS1_11target_archE1200ELNS1_3gpuE4ELNS1_3repE0EEENS1_30default_config_static_selectorELNS0_4arch9wavefront6targetE0EEEvT1_.num_named_barrier, 0
	.set _ZN7rocprim17ROCPRIM_400000_NS6detail17trampoline_kernelINS0_14default_configENS1_27scan_by_key_config_selectorIiiEEZZNS1_16scan_by_key_implILNS1_25lookback_scan_determinismE0ELb1ES3_N6thrust23THRUST_200600_302600_NS6detail15normal_iteratorINS9_10device_ptrIiEEEESE_SE_iNS9_4plusIvEENS9_8equal_toIvEEiEE10hipError_tPvRmT2_T3_T4_T5_mT6_T7_P12ihipStream_tbENKUlT_T0_E_clISt17integral_constantIbLb0EESY_IbLb1EEEEDaSU_SV_EUlSU_E_NS1_11comp_targetILNS1_3genE10ELNS1_11target_archE1200ELNS1_3gpuE4ELNS1_3repE0EEENS1_30default_config_static_selectorELNS0_4arch9wavefront6targetE0EEEvT1_.private_seg_size, 0
	.set _ZN7rocprim17ROCPRIM_400000_NS6detail17trampoline_kernelINS0_14default_configENS1_27scan_by_key_config_selectorIiiEEZZNS1_16scan_by_key_implILNS1_25lookback_scan_determinismE0ELb1ES3_N6thrust23THRUST_200600_302600_NS6detail15normal_iteratorINS9_10device_ptrIiEEEESE_SE_iNS9_4plusIvEENS9_8equal_toIvEEiEE10hipError_tPvRmT2_T3_T4_T5_mT6_T7_P12ihipStream_tbENKUlT_T0_E_clISt17integral_constantIbLb0EESY_IbLb1EEEEDaSU_SV_EUlSU_E_NS1_11comp_targetILNS1_3genE10ELNS1_11target_archE1200ELNS1_3gpuE4ELNS1_3repE0EEENS1_30default_config_static_selectorELNS0_4arch9wavefront6targetE0EEEvT1_.uses_vcc, 0
	.set _ZN7rocprim17ROCPRIM_400000_NS6detail17trampoline_kernelINS0_14default_configENS1_27scan_by_key_config_selectorIiiEEZZNS1_16scan_by_key_implILNS1_25lookback_scan_determinismE0ELb1ES3_N6thrust23THRUST_200600_302600_NS6detail15normal_iteratorINS9_10device_ptrIiEEEESE_SE_iNS9_4plusIvEENS9_8equal_toIvEEiEE10hipError_tPvRmT2_T3_T4_T5_mT6_T7_P12ihipStream_tbENKUlT_T0_E_clISt17integral_constantIbLb0EESY_IbLb1EEEEDaSU_SV_EUlSU_E_NS1_11comp_targetILNS1_3genE10ELNS1_11target_archE1200ELNS1_3gpuE4ELNS1_3repE0EEENS1_30default_config_static_selectorELNS0_4arch9wavefront6targetE0EEEvT1_.uses_flat_scratch, 0
	.set _ZN7rocprim17ROCPRIM_400000_NS6detail17trampoline_kernelINS0_14default_configENS1_27scan_by_key_config_selectorIiiEEZZNS1_16scan_by_key_implILNS1_25lookback_scan_determinismE0ELb1ES3_N6thrust23THRUST_200600_302600_NS6detail15normal_iteratorINS9_10device_ptrIiEEEESE_SE_iNS9_4plusIvEENS9_8equal_toIvEEiEE10hipError_tPvRmT2_T3_T4_T5_mT6_T7_P12ihipStream_tbENKUlT_T0_E_clISt17integral_constantIbLb0EESY_IbLb1EEEEDaSU_SV_EUlSU_E_NS1_11comp_targetILNS1_3genE10ELNS1_11target_archE1200ELNS1_3gpuE4ELNS1_3repE0EEENS1_30default_config_static_selectorELNS0_4arch9wavefront6targetE0EEEvT1_.has_dyn_sized_stack, 0
	.set _ZN7rocprim17ROCPRIM_400000_NS6detail17trampoline_kernelINS0_14default_configENS1_27scan_by_key_config_selectorIiiEEZZNS1_16scan_by_key_implILNS1_25lookback_scan_determinismE0ELb1ES3_N6thrust23THRUST_200600_302600_NS6detail15normal_iteratorINS9_10device_ptrIiEEEESE_SE_iNS9_4plusIvEENS9_8equal_toIvEEiEE10hipError_tPvRmT2_T3_T4_T5_mT6_T7_P12ihipStream_tbENKUlT_T0_E_clISt17integral_constantIbLb0EESY_IbLb1EEEEDaSU_SV_EUlSU_E_NS1_11comp_targetILNS1_3genE10ELNS1_11target_archE1200ELNS1_3gpuE4ELNS1_3repE0EEENS1_30default_config_static_selectorELNS0_4arch9wavefront6targetE0EEEvT1_.has_recursion, 0
	.set _ZN7rocprim17ROCPRIM_400000_NS6detail17trampoline_kernelINS0_14default_configENS1_27scan_by_key_config_selectorIiiEEZZNS1_16scan_by_key_implILNS1_25lookback_scan_determinismE0ELb1ES3_N6thrust23THRUST_200600_302600_NS6detail15normal_iteratorINS9_10device_ptrIiEEEESE_SE_iNS9_4plusIvEENS9_8equal_toIvEEiEE10hipError_tPvRmT2_T3_T4_T5_mT6_T7_P12ihipStream_tbENKUlT_T0_E_clISt17integral_constantIbLb0EESY_IbLb1EEEEDaSU_SV_EUlSU_E_NS1_11comp_targetILNS1_3genE10ELNS1_11target_archE1200ELNS1_3gpuE4ELNS1_3repE0EEENS1_30default_config_static_selectorELNS0_4arch9wavefront6targetE0EEEvT1_.has_indirect_call, 0
	.section	.AMDGPU.csdata,"",@progbits
; Kernel info:
; codeLenInByte = 0
; TotalNumSgprs: 0
; NumVgprs: 0
; ScratchSize: 0
; MemoryBound: 0
; FloatMode: 240
; IeeeMode: 1
; LDSByteSize: 0 bytes/workgroup (compile time only)
; SGPRBlocks: 0
; VGPRBlocks: 0
; NumSGPRsForWavesPerEU: 1
; NumVGPRsForWavesPerEU: 1
; Occupancy: 16
; WaveLimiterHint : 0
; COMPUTE_PGM_RSRC2:SCRATCH_EN: 0
; COMPUTE_PGM_RSRC2:USER_SGPR: 6
; COMPUTE_PGM_RSRC2:TRAP_HANDLER: 0
; COMPUTE_PGM_RSRC2:TGID_X_EN: 1
; COMPUTE_PGM_RSRC2:TGID_Y_EN: 0
; COMPUTE_PGM_RSRC2:TGID_Z_EN: 0
; COMPUTE_PGM_RSRC2:TIDIG_COMP_CNT: 0
	.section	.text._ZN7rocprim17ROCPRIM_400000_NS6detail17trampoline_kernelINS0_14default_configENS1_27scan_by_key_config_selectorIiiEEZZNS1_16scan_by_key_implILNS1_25lookback_scan_determinismE0ELb1ES3_N6thrust23THRUST_200600_302600_NS6detail15normal_iteratorINS9_10device_ptrIiEEEESE_SE_iNS9_4plusIvEENS9_8equal_toIvEEiEE10hipError_tPvRmT2_T3_T4_T5_mT6_T7_P12ihipStream_tbENKUlT_T0_E_clISt17integral_constantIbLb0EESY_IbLb1EEEEDaSU_SV_EUlSU_E_NS1_11comp_targetILNS1_3genE9ELNS1_11target_archE1100ELNS1_3gpuE3ELNS1_3repE0EEENS1_30default_config_static_selectorELNS0_4arch9wavefront6targetE0EEEvT1_,"axG",@progbits,_ZN7rocprim17ROCPRIM_400000_NS6detail17trampoline_kernelINS0_14default_configENS1_27scan_by_key_config_selectorIiiEEZZNS1_16scan_by_key_implILNS1_25lookback_scan_determinismE0ELb1ES3_N6thrust23THRUST_200600_302600_NS6detail15normal_iteratorINS9_10device_ptrIiEEEESE_SE_iNS9_4plusIvEENS9_8equal_toIvEEiEE10hipError_tPvRmT2_T3_T4_T5_mT6_T7_P12ihipStream_tbENKUlT_T0_E_clISt17integral_constantIbLb0EESY_IbLb1EEEEDaSU_SV_EUlSU_E_NS1_11comp_targetILNS1_3genE9ELNS1_11target_archE1100ELNS1_3gpuE3ELNS1_3repE0EEENS1_30default_config_static_selectorELNS0_4arch9wavefront6targetE0EEEvT1_,comdat
	.protected	_ZN7rocprim17ROCPRIM_400000_NS6detail17trampoline_kernelINS0_14default_configENS1_27scan_by_key_config_selectorIiiEEZZNS1_16scan_by_key_implILNS1_25lookback_scan_determinismE0ELb1ES3_N6thrust23THRUST_200600_302600_NS6detail15normal_iteratorINS9_10device_ptrIiEEEESE_SE_iNS9_4plusIvEENS9_8equal_toIvEEiEE10hipError_tPvRmT2_T3_T4_T5_mT6_T7_P12ihipStream_tbENKUlT_T0_E_clISt17integral_constantIbLb0EESY_IbLb1EEEEDaSU_SV_EUlSU_E_NS1_11comp_targetILNS1_3genE9ELNS1_11target_archE1100ELNS1_3gpuE3ELNS1_3repE0EEENS1_30default_config_static_selectorELNS0_4arch9wavefront6targetE0EEEvT1_ ; -- Begin function _ZN7rocprim17ROCPRIM_400000_NS6detail17trampoline_kernelINS0_14default_configENS1_27scan_by_key_config_selectorIiiEEZZNS1_16scan_by_key_implILNS1_25lookback_scan_determinismE0ELb1ES3_N6thrust23THRUST_200600_302600_NS6detail15normal_iteratorINS9_10device_ptrIiEEEESE_SE_iNS9_4plusIvEENS9_8equal_toIvEEiEE10hipError_tPvRmT2_T3_T4_T5_mT6_T7_P12ihipStream_tbENKUlT_T0_E_clISt17integral_constantIbLb0EESY_IbLb1EEEEDaSU_SV_EUlSU_E_NS1_11comp_targetILNS1_3genE9ELNS1_11target_archE1100ELNS1_3gpuE3ELNS1_3repE0EEENS1_30default_config_static_selectorELNS0_4arch9wavefront6targetE0EEEvT1_
	.globl	_ZN7rocprim17ROCPRIM_400000_NS6detail17trampoline_kernelINS0_14default_configENS1_27scan_by_key_config_selectorIiiEEZZNS1_16scan_by_key_implILNS1_25lookback_scan_determinismE0ELb1ES3_N6thrust23THRUST_200600_302600_NS6detail15normal_iteratorINS9_10device_ptrIiEEEESE_SE_iNS9_4plusIvEENS9_8equal_toIvEEiEE10hipError_tPvRmT2_T3_T4_T5_mT6_T7_P12ihipStream_tbENKUlT_T0_E_clISt17integral_constantIbLb0EESY_IbLb1EEEEDaSU_SV_EUlSU_E_NS1_11comp_targetILNS1_3genE9ELNS1_11target_archE1100ELNS1_3gpuE3ELNS1_3repE0EEENS1_30default_config_static_selectorELNS0_4arch9wavefront6targetE0EEEvT1_
	.p2align	8
	.type	_ZN7rocprim17ROCPRIM_400000_NS6detail17trampoline_kernelINS0_14default_configENS1_27scan_by_key_config_selectorIiiEEZZNS1_16scan_by_key_implILNS1_25lookback_scan_determinismE0ELb1ES3_N6thrust23THRUST_200600_302600_NS6detail15normal_iteratorINS9_10device_ptrIiEEEESE_SE_iNS9_4plusIvEENS9_8equal_toIvEEiEE10hipError_tPvRmT2_T3_T4_T5_mT6_T7_P12ihipStream_tbENKUlT_T0_E_clISt17integral_constantIbLb0EESY_IbLb1EEEEDaSU_SV_EUlSU_E_NS1_11comp_targetILNS1_3genE9ELNS1_11target_archE1100ELNS1_3gpuE3ELNS1_3repE0EEENS1_30default_config_static_selectorELNS0_4arch9wavefront6targetE0EEEvT1_,@function
_ZN7rocprim17ROCPRIM_400000_NS6detail17trampoline_kernelINS0_14default_configENS1_27scan_by_key_config_selectorIiiEEZZNS1_16scan_by_key_implILNS1_25lookback_scan_determinismE0ELb1ES3_N6thrust23THRUST_200600_302600_NS6detail15normal_iteratorINS9_10device_ptrIiEEEESE_SE_iNS9_4plusIvEENS9_8equal_toIvEEiEE10hipError_tPvRmT2_T3_T4_T5_mT6_T7_P12ihipStream_tbENKUlT_T0_E_clISt17integral_constantIbLb0EESY_IbLb1EEEEDaSU_SV_EUlSU_E_NS1_11comp_targetILNS1_3genE9ELNS1_11target_archE1100ELNS1_3gpuE3ELNS1_3repE0EEENS1_30default_config_static_selectorELNS0_4arch9wavefront6targetE0EEEvT1_: ; @_ZN7rocprim17ROCPRIM_400000_NS6detail17trampoline_kernelINS0_14default_configENS1_27scan_by_key_config_selectorIiiEEZZNS1_16scan_by_key_implILNS1_25lookback_scan_determinismE0ELb1ES3_N6thrust23THRUST_200600_302600_NS6detail15normal_iteratorINS9_10device_ptrIiEEEESE_SE_iNS9_4plusIvEENS9_8equal_toIvEEiEE10hipError_tPvRmT2_T3_T4_T5_mT6_T7_P12ihipStream_tbENKUlT_T0_E_clISt17integral_constantIbLb0EESY_IbLb1EEEEDaSU_SV_EUlSU_E_NS1_11comp_targetILNS1_3genE9ELNS1_11target_archE1100ELNS1_3gpuE3ELNS1_3repE0EEENS1_30default_config_static_selectorELNS0_4arch9wavefront6targetE0EEEvT1_
; %bb.0:
	.section	.rodata,"a",@progbits
	.p2align	6, 0x0
	.amdhsa_kernel _ZN7rocprim17ROCPRIM_400000_NS6detail17trampoline_kernelINS0_14default_configENS1_27scan_by_key_config_selectorIiiEEZZNS1_16scan_by_key_implILNS1_25lookback_scan_determinismE0ELb1ES3_N6thrust23THRUST_200600_302600_NS6detail15normal_iteratorINS9_10device_ptrIiEEEESE_SE_iNS9_4plusIvEENS9_8equal_toIvEEiEE10hipError_tPvRmT2_T3_T4_T5_mT6_T7_P12ihipStream_tbENKUlT_T0_E_clISt17integral_constantIbLb0EESY_IbLb1EEEEDaSU_SV_EUlSU_E_NS1_11comp_targetILNS1_3genE9ELNS1_11target_archE1100ELNS1_3gpuE3ELNS1_3repE0EEENS1_30default_config_static_selectorELNS0_4arch9wavefront6targetE0EEEvT1_
		.amdhsa_group_segment_fixed_size 0
		.amdhsa_private_segment_fixed_size 0
		.amdhsa_kernarg_size 112
		.amdhsa_user_sgpr_count 6
		.amdhsa_user_sgpr_private_segment_buffer 1
		.amdhsa_user_sgpr_dispatch_ptr 0
		.amdhsa_user_sgpr_queue_ptr 0
		.amdhsa_user_sgpr_kernarg_segment_ptr 1
		.amdhsa_user_sgpr_dispatch_id 0
		.amdhsa_user_sgpr_flat_scratch_init 0
		.amdhsa_user_sgpr_private_segment_size 0
		.amdhsa_wavefront_size32 1
		.amdhsa_uses_dynamic_stack 0
		.amdhsa_system_sgpr_private_segment_wavefront_offset 0
		.amdhsa_system_sgpr_workgroup_id_x 1
		.amdhsa_system_sgpr_workgroup_id_y 0
		.amdhsa_system_sgpr_workgroup_id_z 0
		.amdhsa_system_sgpr_workgroup_info 0
		.amdhsa_system_vgpr_workitem_id 0
		.amdhsa_next_free_vgpr 1
		.amdhsa_next_free_sgpr 1
		.amdhsa_reserve_vcc 0
		.amdhsa_reserve_flat_scratch 0
		.amdhsa_float_round_mode_32 0
		.amdhsa_float_round_mode_16_64 0
		.amdhsa_float_denorm_mode_32 3
		.amdhsa_float_denorm_mode_16_64 3
		.amdhsa_dx10_clamp 1
		.amdhsa_ieee_mode 1
		.amdhsa_fp16_overflow 0
		.amdhsa_workgroup_processor_mode 1
		.amdhsa_memory_ordered 1
		.amdhsa_forward_progress 1
		.amdhsa_shared_vgpr_count 0
		.amdhsa_exception_fp_ieee_invalid_op 0
		.amdhsa_exception_fp_denorm_src 0
		.amdhsa_exception_fp_ieee_div_zero 0
		.amdhsa_exception_fp_ieee_overflow 0
		.amdhsa_exception_fp_ieee_underflow 0
		.amdhsa_exception_fp_ieee_inexact 0
		.amdhsa_exception_int_div_zero 0
	.end_amdhsa_kernel
	.section	.text._ZN7rocprim17ROCPRIM_400000_NS6detail17trampoline_kernelINS0_14default_configENS1_27scan_by_key_config_selectorIiiEEZZNS1_16scan_by_key_implILNS1_25lookback_scan_determinismE0ELb1ES3_N6thrust23THRUST_200600_302600_NS6detail15normal_iteratorINS9_10device_ptrIiEEEESE_SE_iNS9_4plusIvEENS9_8equal_toIvEEiEE10hipError_tPvRmT2_T3_T4_T5_mT6_T7_P12ihipStream_tbENKUlT_T0_E_clISt17integral_constantIbLb0EESY_IbLb1EEEEDaSU_SV_EUlSU_E_NS1_11comp_targetILNS1_3genE9ELNS1_11target_archE1100ELNS1_3gpuE3ELNS1_3repE0EEENS1_30default_config_static_selectorELNS0_4arch9wavefront6targetE0EEEvT1_,"axG",@progbits,_ZN7rocprim17ROCPRIM_400000_NS6detail17trampoline_kernelINS0_14default_configENS1_27scan_by_key_config_selectorIiiEEZZNS1_16scan_by_key_implILNS1_25lookback_scan_determinismE0ELb1ES3_N6thrust23THRUST_200600_302600_NS6detail15normal_iteratorINS9_10device_ptrIiEEEESE_SE_iNS9_4plusIvEENS9_8equal_toIvEEiEE10hipError_tPvRmT2_T3_T4_T5_mT6_T7_P12ihipStream_tbENKUlT_T0_E_clISt17integral_constantIbLb0EESY_IbLb1EEEEDaSU_SV_EUlSU_E_NS1_11comp_targetILNS1_3genE9ELNS1_11target_archE1100ELNS1_3gpuE3ELNS1_3repE0EEENS1_30default_config_static_selectorELNS0_4arch9wavefront6targetE0EEEvT1_,comdat
.Lfunc_end495:
	.size	_ZN7rocprim17ROCPRIM_400000_NS6detail17trampoline_kernelINS0_14default_configENS1_27scan_by_key_config_selectorIiiEEZZNS1_16scan_by_key_implILNS1_25lookback_scan_determinismE0ELb1ES3_N6thrust23THRUST_200600_302600_NS6detail15normal_iteratorINS9_10device_ptrIiEEEESE_SE_iNS9_4plusIvEENS9_8equal_toIvEEiEE10hipError_tPvRmT2_T3_T4_T5_mT6_T7_P12ihipStream_tbENKUlT_T0_E_clISt17integral_constantIbLb0EESY_IbLb1EEEEDaSU_SV_EUlSU_E_NS1_11comp_targetILNS1_3genE9ELNS1_11target_archE1100ELNS1_3gpuE3ELNS1_3repE0EEENS1_30default_config_static_selectorELNS0_4arch9wavefront6targetE0EEEvT1_, .Lfunc_end495-_ZN7rocprim17ROCPRIM_400000_NS6detail17trampoline_kernelINS0_14default_configENS1_27scan_by_key_config_selectorIiiEEZZNS1_16scan_by_key_implILNS1_25lookback_scan_determinismE0ELb1ES3_N6thrust23THRUST_200600_302600_NS6detail15normal_iteratorINS9_10device_ptrIiEEEESE_SE_iNS9_4plusIvEENS9_8equal_toIvEEiEE10hipError_tPvRmT2_T3_T4_T5_mT6_T7_P12ihipStream_tbENKUlT_T0_E_clISt17integral_constantIbLb0EESY_IbLb1EEEEDaSU_SV_EUlSU_E_NS1_11comp_targetILNS1_3genE9ELNS1_11target_archE1100ELNS1_3gpuE3ELNS1_3repE0EEENS1_30default_config_static_selectorELNS0_4arch9wavefront6targetE0EEEvT1_
                                        ; -- End function
	.set _ZN7rocprim17ROCPRIM_400000_NS6detail17trampoline_kernelINS0_14default_configENS1_27scan_by_key_config_selectorIiiEEZZNS1_16scan_by_key_implILNS1_25lookback_scan_determinismE0ELb1ES3_N6thrust23THRUST_200600_302600_NS6detail15normal_iteratorINS9_10device_ptrIiEEEESE_SE_iNS9_4plusIvEENS9_8equal_toIvEEiEE10hipError_tPvRmT2_T3_T4_T5_mT6_T7_P12ihipStream_tbENKUlT_T0_E_clISt17integral_constantIbLb0EESY_IbLb1EEEEDaSU_SV_EUlSU_E_NS1_11comp_targetILNS1_3genE9ELNS1_11target_archE1100ELNS1_3gpuE3ELNS1_3repE0EEENS1_30default_config_static_selectorELNS0_4arch9wavefront6targetE0EEEvT1_.num_vgpr, 0
	.set _ZN7rocprim17ROCPRIM_400000_NS6detail17trampoline_kernelINS0_14default_configENS1_27scan_by_key_config_selectorIiiEEZZNS1_16scan_by_key_implILNS1_25lookback_scan_determinismE0ELb1ES3_N6thrust23THRUST_200600_302600_NS6detail15normal_iteratorINS9_10device_ptrIiEEEESE_SE_iNS9_4plusIvEENS9_8equal_toIvEEiEE10hipError_tPvRmT2_T3_T4_T5_mT6_T7_P12ihipStream_tbENKUlT_T0_E_clISt17integral_constantIbLb0EESY_IbLb1EEEEDaSU_SV_EUlSU_E_NS1_11comp_targetILNS1_3genE9ELNS1_11target_archE1100ELNS1_3gpuE3ELNS1_3repE0EEENS1_30default_config_static_selectorELNS0_4arch9wavefront6targetE0EEEvT1_.num_agpr, 0
	.set _ZN7rocprim17ROCPRIM_400000_NS6detail17trampoline_kernelINS0_14default_configENS1_27scan_by_key_config_selectorIiiEEZZNS1_16scan_by_key_implILNS1_25lookback_scan_determinismE0ELb1ES3_N6thrust23THRUST_200600_302600_NS6detail15normal_iteratorINS9_10device_ptrIiEEEESE_SE_iNS9_4plusIvEENS9_8equal_toIvEEiEE10hipError_tPvRmT2_T3_T4_T5_mT6_T7_P12ihipStream_tbENKUlT_T0_E_clISt17integral_constantIbLb0EESY_IbLb1EEEEDaSU_SV_EUlSU_E_NS1_11comp_targetILNS1_3genE9ELNS1_11target_archE1100ELNS1_3gpuE3ELNS1_3repE0EEENS1_30default_config_static_selectorELNS0_4arch9wavefront6targetE0EEEvT1_.numbered_sgpr, 0
	.set _ZN7rocprim17ROCPRIM_400000_NS6detail17trampoline_kernelINS0_14default_configENS1_27scan_by_key_config_selectorIiiEEZZNS1_16scan_by_key_implILNS1_25lookback_scan_determinismE0ELb1ES3_N6thrust23THRUST_200600_302600_NS6detail15normal_iteratorINS9_10device_ptrIiEEEESE_SE_iNS9_4plusIvEENS9_8equal_toIvEEiEE10hipError_tPvRmT2_T3_T4_T5_mT6_T7_P12ihipStream_tbENKUlT_T0_E_clISt17integral_constantIbLb0EESY_IbLb1EEEEDaSU_SV_EUlSU_E_NS1_11comp_targetILNS1_3genE9ELNS1_11target_archE1100ELNS1_3gpuE3ELNS1_3repE0EEENS1_30default_config_static_selectorELNS0_4arch9wavefront6targetE0EEEvT1_.num_named_barrier, 0
	.set _ZN7rocprim17ROCPRIM_400000_NS6detail17trampoline_kernelINS0_14default_configENS1_27scan_by_key_config_selectorIiiEEZZNS1_16scan_by_key_implILNS1_25lookback_scan_determinismE0ELb1ES3_N6thrust23THRUST_200600_302600_NS6detail15normal_iteratorINS9_10device_ptrIiEEEESE_SE_iNS9_4plusIvEENS9_8equal_toIvEEiEE10hipError_tPvRmT2_T3_T4_T5_mT6_T7_P12ihipStream_tbENKUlT_T0_E_clISt17integral_constantIbLb0EESY_IbLb1EEEEDaSU_SV_EUlSU_E_NS1_11comp_targetILNS1_3genE9ELNS1_11target_archE1100ELNS1_3gpuE3ELNS1_3repE0EEENS1_30default_config_static_selectorELNS0_4arch9wavefront6targetE0EEEvT1_.private_seg_size, 0
	.set _ZN7rocprim17ROCPRIM_400000_NS6detail17trampoline_kernelINS0_14default_configENS1_27scan_by_key_config_selectorIiiEEZZNS1_16scan_by_key_implILNS1_25lookback_scan_determinismE0ELb1ES3_N6thrust23THRUST_200600_302600_NS6detail15normal_iteratorINS9_10device_ptrIiEEEESE_SE_iNS9_4plusIvEENS9_8equal_toIvEEiEE10hipError_tPvRmT2_T3_T4_T5_mT6_T7_P12ihipStream_tbENKUlT_T0_E_clISt17integral_constantIbLb0EESY_IbLb1EEEEDaSU_SV_EUlSU_E_NS1_11comp_targetILNS1_3genE9ELNS1_11target_archE1100ELNS1_3gpuE3ELNS1_3repE0EEENS1_30default_config_static_selectorELNS0_4arch9wavefront6targetE0EEEvT1_.uses_vcc, 0
	.set _ZN7rocprim17ROCPRIM_400000_NS6detail17trampoline_kernelINS0_14default_configENS1_27scan_by_key_config_selectorIiiEEZZNS1_16scan_by_key_implILNS1_25lookback_scan_determinismE0ELb1ES3_N6thrust23THRUST_200600_302600_NS6detail15normal_iteratorINS9_10device_ptrIiEEEESE_SE_iNS9_4plusIvEENS9_8equal_toIvEEiEE10hipError_tPvRmT2_T3_T4_T5_mT6_T7_P12ihipStream_tbENKUlT_T0_E_clISt17integral_constantIbLb0EESY_IbLb1EEEEDaSU_SV_EUlSU_E_NS1_11comp_targetILNS1_3genE9ELNS1_11target_archE1100ELNS1_3gpuE3ELNS1_3repE0EEENS1_30default_config_static_selectorELNS0_4arch9wavefront6targetE0EEEvT1_.uses_flat_scratch, 0
	.set _ZN7rocprim17ROCPRIM_400000_NS6detail17trampoline_kernelINS0_14default_configENS1_27scan_by_key_config_selectorIiiEEZZNS1_16scan_by_key_implILNS1_25lookback_scan_determinismE0ELb1ES3_N6thrust23THRUST_200600_302600_NS6detail15normal_iteratorINS9_10device_ptrIiEEEESE_SE_iNS9_4plusIvEENS9_8equal_toIvEEiEE10hipError_tPvRmT2_T3_T4_T5_mT6_T7_P12ihipStream_tbENKUlT_T0_E_clISt17integral_constantIbLb0EESY_IbLb1EEEEDaSU_SV_EUlSU_E_NS1_11comp_targetILNS1_3genE9ELNS1_11target_archE1100ELNS1_3gpuE3ELNS1_3repE0EEENS1_30default_config_static_selectorELNS0_4arch9wavefront6targetE0EEEvT1_.has_dyn_sized_stack, 0
	.set _ZN7rocprim17ROCPRIM_400000_NS6detail17trampoline_kernelINS0_14default_configENS1_27scan_by_key_config_selectorIiiEEZZNS1_16scan_by_key_implILNS1_25lookback_scan_determinismE0ELb1ES3_N6thrust23THRUST_200600_302600_NS6detail15normal_iteratorINS9_10device_ptrIiEEEESE_SE_iNS9_4plusIvEENS9_8equal_toIvEEiEE10hipError_tPvRmT2_T3_T4_T5_mT6_T7_P12ihipStream_tbENKUlT_T0_E_clISt17integral_constantIbLb0EESY_IbLb1EEEEDaSU_SV_EUlSU_E_NS1_11comp_targetILNS1_3genE9ELNS1_11target_archE1100ELNS1_3gpuE3ELNS1_3repE0EEENS1_30default_config_static_selectorELNS0_4arch9wavefront6targetE0EEEvT1_.has_recursion, 0
	.set _ZN7rocprim17ROCPRIM_400000_NS6detail17trampoline_kernelINS0_14default_configENS1_27scan_by_key_config_selectorIiiEEZZNS1_16scan_by_key_implILNS1_25lookback_scan_determinismE0ELb1ES3_N6thrust23THRUST_200600_302600_NS6detail15normal_iteratorINS9_10device_ptrIiEEEESE_SE_iNS9_4plusIvEENS9_8equal_toIvEEiEE10hipError_tPvRmT2_T3_T4_T5_mT6_T7_P12ihipStream_tbENKUlT_T0_E_clISt17integral_constantIbLb0EESY_IbLb1EEEEDaSU_SV_EUlSU_E_NS1_11comp_targetILNS1_3genE9ELNS1_11target_archE1100ELNS1_3gpuE3ELNS1_3repE0EEENS1_30default_config_static_selectorELNS0_4arch9wavefront6targetE0EEEvT1_.has_indirect_call, 0
	.section	.AMDGPU.csdata,"",@progbits
; Kernel info:
; codeLenInByte = 0
; TotalNumSgprs: 0
; NumVgprs: 0
; ScratchSize: 0
; MemoryBound: 0
; FloatMode: 240
; IeeeMode: 1
; LDSByteSize: 0 bytes/workgroup (compile time only)
; SGPRBlocks: 0
; VGPRBlocks: 0
; NumSGPRsForWavesPerEU: 1
; NumVGPRsForWavesPerEU: 1
; Occupancy: 16
; WaveLimiterHint : 0
; COMPUTE_PGM_RSRC2:SCRATCH_EN: 0
; COMPUTE_PGM_RSRC2:USER_SGPR: 6
; COMPUTE_PGM_RSRC2:TRAP_HANDLER: 0
; COMPUTE_PGM_RSRC2:TGID_X_EN: 1
; COMPUTE_PGM_RSRC2:TGID_Y_EN: 0
; COMPUTE_PGM_RSRC2:TGID_Z_EN: 0
; COMPUTE_PGM_RSRC2:TIDIG_COMP_CNT: 0
	.section	.text._ZN7rocprim17ROCPRIM_400000_NS6detail17trampoline_kernelINS0_14default_configENS1_27scan_by_key_config_selectorIiiEEZZNS1_16scan_by_key_implILNS1_25lookback_scan_determinismE0ELb1ES3_N6thrust23THRUST_200600_302600_NS6detail15normal_iteratorINS9_10device_ptrIiEEEESE_SE_iNS9_4plusIvEENS9_8equal_toIvEEiEE10hipError_tPvRmT2_T3_T4_T5_mT6_T7_P12ihipStream_tbENKUlT_T0_E_clISt17integral_constantIbLb0EESY_IbLb1EEEEDaSU_SV_EUlSU_E_NS1_11comp_targetILNS1_3genE8ELNS1_11target_archE1030ELNS1_3gpuE2ELNS1_3repE0EEENS1_30default_config_static_selectorELNS0_4arch9wavefront6targetE0EEEvT1_,"axG",@progbits,_ZN7rocprim17ROCPRIM_400000_NS6detail17trampoline_kernelINS0_14default_configENS1_27scan_by_key_config_selectorIiiEEZZNS1_16scan_by_key_implILNS1_25lookback_scan_determinismE0ELb1ES3_N6thrust23THRUST_200600_302600_NS6detail15normal_iteratorINS9_10device_ptrIiEEEESE_SE_iNS9_4plusIvEENS9_8equal_toIvEEiEE10hipError_tPvRmT2_T3_T4_T5_mT6_T7_P12ihipStream_tbENKUlT_T0_E_clISt17integral_constantIbLb0EESY_IbLb1EEEEDaSU_SV_EUlSU_E_NS1_11comp_targetILNS1_3genE8ELNS1_11target_archE1030ELNS1_3gpuE2ELNS1_3repE0EEENS1_30default_config_static_selectorELNS0_4arch9wavefront6targetE0EEEvT1_,comdat
	.protected	_ZN7rocprim17ROCPRIM_400000_NS6detail17trampoline_kernelINS0_14default_configENS1_27scan_by_key_config_selectorIiiEEZZNS1_16scan_by_key_implILNS1_25lookback_scan_determinismE0ELb1ES3_N6thrust23THRUST_200600_302600_NS6detail15normal_iteratorINS9_10device_ptrIiEEEESE_SE_iNS9_4plusIvEENS9_8equal_toIvEEiEE10hipError_tPvRmT2_T3_T4_T5_mT6_T7_P12ihipStream_tbENKUlT_T0_E_clISt17integral_constantIbLb0EESY_IbLb1EEEEDaSU_SV_EUlSU_E_NS1_11comp_targetILNS1_3genE8ELNS1_11target_archE1030ELNS1_3gpuE2ELNS1_3repE0EEENS1_30default_config_static_selectorELNS0_4arch9wavefront6targetE0EEEvT1_ ; -- Begin function _ZN7rocprim17ROCPRIM_400000_NS6detail17trampoline_kernelINS0_14default_configENS1_27scan_by_key_config_selectorIiiEEZZNS1_16scan_by_key_implILNS1_25lookback_scan_determinismE0ELb1ES3_N6thrust23THRUST_200600_302600_NS6detail15normal_iteratorINS9_10device_ptrIiEEEESE_SE_iNS9_4plusIvEENS9_8equal_toIvEEiEE10hipError_tPvRmT2_T3_T4_T5_mT6_T7_P12ihipStream_tbENKUlT_T0_E_clISt17integral_constantIbLb0EESY_IbLb1EEEEDaSU_SV_EUlSU_E_NS1_11comp_targetILNS1_3genE8ELNS1_11target_archE1030ELNS1_3gpuE2ELNS1_3repE0EEENS1_30default_config_static_selectorELNS0_4arch9wavefront6targetE0EEEvT1_
	.globl	_ZN7rocprim17ROCPRIM_400000_NS6detail17trampoline_kernelINS0_14default_configENS1_27scan_by_key_config_selectorIiiEEZZNS1_16scan_by_key_implILNS1_25lookback_scan_determinismE0ELb1ES3_N6thrust23THRUST_200600_302600_NS6detail15normal_iteratorINS9_10device_ptrIiEEEESE_SE_iNS9_4plusIvEENS9_8equal_toIvEEiEE10hipError_tPvRmT2_T3_T4_T5_mT6_T7_P12ihipStream_tbENKUlT_T0_E_clISt17integral_constantIbLb0EESY_IbLb1EEEEDaSU_SV_EUlSU_E_NS1_11comp_targetILNS1_3genE8ELNS1_11target_archE1030ELNS1_3gpuE2ELNS1_3repE0EEENS1_30default_config_static_selectorELNS0_4arch9wavefront6targetE0EEEvT1_
	.p2align	8
	.type	_ZN7rocprim17ROCPRIM_400000_NS6detail17trampoline_kernelINS0_14default_configENS1_27scan_by_key_config_selectorIiiEEZZNS1_16scan_by_key_implILNS1_25lookback_scan_determinismE0ELb1ES3_N6thrust23THRUST_200600_302600_NS6detail15normal_iteratorINS9_10device_ptrIiEEEESE_SE_iNS9_4plusIvEENS9_8equal_toIvEEiEE10hipError_tPvRmT2_T3_T4_T5_mT6_T7_P12ihipStream_tbENKUlT_T0_E_clISt17integral_constantIbLb0EESY_IbLb1EEEEDaSU_SV_EUlSU_E_NS1_11comp_targetILNS1_3genE8ELNS1_11target_archE1030ELNS1_3gpuE2ELNS1_3repE0EEENS1_30default_config_static_selectorELNS0_4arch9wavefront6targetE0EEEvT1_,@function
_ZN7rocprim17ROCPRIM_400000_NS6detail17trampoline_kernelINS0_14default_configENS1_27scan_by_key_config_selectorIiiEEZZNS1_16scan_by_key_implILNS1_25lookback_scan_determinismE0ELb1ES3_N6thrust23THRUST_200600_302600_NS6detail15normal_iteratorINS9_10device_ptrIiEEEESE_SE_iNS9_4plusIvEENS9_8equal_toIvEEiEE10hipError_tPvRmT2_T3_T4_T5_mT6_T7_P12ihipStream_tbENKUlT_T0_E_clISt17integral_constantIbLb0EESY_IbLb1EEEEDaSU_SV_EUlSU_E_NS1_11comp_targetILNS1_3genE8ELNS1_11target_archE1030ELNS1_3gpuE2ELNS1_3repE0EEENS1_30default_config_static_selectorELNS0_4arch9wavefront6targetE0EEEvT1_: ; @_ZN7rocprim17ROCPRIM_400000_NS6detail17trampoline_kernelINS0_14default_configENS1_27scan_by_key_config_selectorIiiEEZZNS1_16scan_by_key_implILNS1_25lookback_scan_determinismE0ELb1ES3_N6thrust23THRUST_200600_302600_NS6detail15normal_iteratorINS9_10device_ptrIiEEEESE_SE_iNS9_4plusIvEENS9_8equal_toIvEEiEE10hipError_tPvRmT2_T3_T4_T5_mT6_T7_P12ihipStream_tbENKUlT_T0_E_clISt17integral_constantIbLb0EESY_IbLb1EEEEDaSU_SV_EUlSU_E_NS1_11comp_targetILNS1_3genE8ELNS1_11target_archE1030ELNS1_3gpuE2ELNS1_3repE0EEENS1_30default_config_static_selectorELNS0_4arch9wavefront6targetE0EEEvT1_
; %bb.0:
	s_clause 0x2
	s_load_dword s22, s[4:5], 0x20
	s_load_dwordx4 s[16:19], s[4:5], 0x28
	s_load_dwordx2 s[20:21], s[4:5], 0x38
	v_cmp_eq_u32_e64 s0, 0, v0
	s_and_saveexec_b32 s1, s0
	s_cbranch_execz .LBB496_4
; %bb.1:
	s_mov_b32 s3, exec_lo
	s_mov_b32 s2, exec_lo
	v_mbcnt_lo_u32_b32 v1, s3, 0
                                        ; implicit-def: $vgpr2
	v_cmpx_eq_u32_e32 0, v1
	s_cbranch_execz .LBB496_3
; %bb.2:
	s_load_dwordx2 s[6:7], s[4:5], 0x68
	s_bcnt1_i32_b32 s3, s3
	v_mov_b32_e32 v2, 0
	v_mov_b32_e32 v3, s3
	s_waitcnt lgkmcnt(0)
	global_atomic_add v2, v2, v3, s[6:7] glc
.LBB496_3:
	s_or_b32 exec_lo, exec_lo, s2
	s_waitcnt vmcnt(0)
	v_readfirstlane_b32 s2, v2
	v_mov_b32_e32 v2, 0
	v_add_nc_u32_e32 v1, s2, v1
	ds_write_b32 v2, v1
.LBB496_4:
	s_or_b32 exec_lo, exec_lo, s1
	v_mov_b32_e32 v2, 0
	s_clause 0x2
	s_load_dwordx8 s[8:15], s[4:5], 0x0
	s_load_dword s1, s[4:5], 0x40
	s_load_dwordx4 s[4:7], s[4:5], 0x48
	s_waitcnt lgkmcnt(0)
	s_barrier
	buffer_gl0_inv
	ds_read_b32 v5, v2
	s_waitcnt lgkmcnt(0)
	s_barrier
	buffer_gl0_inv
	s_barrier
	buffer_gl0_inv
	s_lshl_b64 s[10:11], s[10:11], 2
	s_mul_i32 s2, s21, s1
	s_add_u32 s8, s8, s10
	s_mul_hi_u32 s3, s20, s1
	s_mul_i32 s1, s20, s1
	s_addc_u32 s9, s9, s11
	v_mul_lo_u32 v1, 0x300, v5
	s_add_u32 s12, s12, s10
	s_addc_u32 s19, s13, s11
	s_add_i32 s3, s3, s2
	v_add_co_u32 v3, s1, s1, v5
	v_add_co_ci_u32_e64 v4, null, s3, 0, s1
	v_lshlrev_b64 v[9:10], 2, v[1:2]
	s_add_u32 s2, s4, -1
	s_addc_u32 s3, s5, -1
	v_readfirstlane_b32 s13, v5
	v_cmp_le_u64_e64 s1, s[2:3], v[3:4]
	v_add_co_u32 v4, vcc_lo, s8, v9
	v_add_co_ci_u32_e64 v5, null, s9, v10, vcc_lo
	v_add_co_u32 v8, vcc_lo, s12, v9
	v_add_co_ci_u32_e64 v15, null, s19, v10, vcc_lo
	s_and_b32 vcc_lo, exec_lo, s1
	s_mul_i32 s12, s2, 0xfffffd00
	s_cbranch_vccz .LBB496_24
; %bb.5:
	flat_load_dword v1, v[4:5]
	s_add_i32 s5, s12, s18
	v_cmp_gt_u32_e32 vcc_lo, s5, v0
	s_waitcnt vmcnt(0) lgkmcnt(0)
	v_mov_b32_e32 v2, v1
	s_and_saveexec_b32 s3, vcc_lo
	s_cbranch_execz .LBB496_7
; %bb.6:
	v_lshlrev_b32_e32 v2, 2, v0
	v_add_co_u32 v2, s2, v4, v2
	v_add_co_ci_u32_e64 v3, null, 0, v5, s2
	flat_load_dword v2, v[2:3]
.LBB496_7:
	s_or_b32 exec_lo, exec_lo, s3
	v_or_b32_e32 v3, 0x100, v0
	v_cmp_gt_u32_e64 s2, s5, v3
	v_mov_b32_e32 v3, v1
	s_and_saveexec_b32 s4, s2
	s_cbranch_execz .LBB496_9
; %bb.8:
	v_lshlrev_b32_e32 v3, 2, v0
	v_add_co_u32 v6, s3, v4, v3
	v_add_co_ci_u32_e64 v7, null, 0, v5, s3
	flat_load_dword v3, v[6:7] offset:1024
.LBB496_9:
	s_or_b32 exec_lo, exec_lo, s4
	v_or_b32_e32 v6, 0x200, v0
	v_cmp_gt_u32_e64 s3, s5, v6
	v_lshlrev_b32_e32 v11, 2, v6
	s_and_saveexec_b32 s8, s3
	s_cbranch_execz .LBB496_11
; %bb.10:
	v_add_co_u32 v6, s4, v4, v11
	v_add_co_ci_u32_e64 v7, null, 0, v5, s4
	flat_load_dword v1, v[6:7]
.LBB496_11:
	s_or_b32 exec_lo, exec_lo, s8
	v_lshlrev_b32_e32 v12, 2, v0
	s_mov_b32 s8, exec_lo
	s_waitcnt vmcnt(0) lgkmcnt(0)
	ds_write2st64_b32 v12, v2, v3 offset1:4
	ds_write_b32 v12, v1 offset:2048
	s_waitcnt lgkmcnt(0)
	s_barrier
	buffer_gl0_inv
	flat_load_dword v16, v[4:5]
	v_lshlrev_b32_e32 v1, 3, v0
	v_add_nc_u32_e32 v17, v12, v1
	ds_read_b32 v18, v17
	ds_read2_b32 v[6:7], v17 offset0:1 offset1:2
	s_waitcnt lgkmcnt(1)
	ds_write_b32 v12, v18 offset:4096
	s_waitcnt vmcnt(0) lgkmcnt(0)
	s_barrier
	buffer_gl0_inv
	v_cmpx_ne_u32_e32 0xff, v0
; %bb.12:
	v_sub_nc_u32_e32 v1, 0, v1
	v_add_nc_u32_e32 v1, v17, v1
	ds_read_b32 v16, v1 offset:4100
; %bb.13:
	s_or_b32 exec_lo, exec_lo, s8
	v_mov_b32_e32 v1, 0
	s_waitcnt lgkmcnt(0)
	s_barrier
	buffer_gl0_inv
	v_mov_b32_e32 v2, v1
	v_mov_b32_e32 v3, v1
	s_and_saveexec_b32 s4, vcc_lo
	s_cbranch_execnz .LBB496_94
; %bb.14:
	s_or_b32 exec_lo, exec_lo, s4
	s_and_saveexec_b32 s4, s2
	s_cbranch_execnz .LBB496_95
.LBB496_15:
	s_or_b32 exec_lo, exec_lo, s4
	v_mul_u32_u24_e32 v19, 3, v0
	s_and_saveexec_b32 s2, s3
	s_cbranch_execz .LBB496_17
.LBB496_16:
	v_add_co_u32 v13, vcc_lo, v8, v11
	v_add_co_ci_u32_e64 v14, null, 0, v15, vcc_lo
	flat_load_dword v3, v[13:14]
.LBB496_17:
	s_or_b32 exec_lo, exec_lo, s2
	s_waitcnt vmcnt(0) lgkmcnt(0)
	ds_write2st64_b32 v12, v1, v2 offset1:4
	ds_write_b32 v12, v3 offset:2048
	v_mov_b32_e32 v11, 0
	v_mov_b32_e32 v1, 0
	;; [unrolled: 1-line block ×6, first 2 shown]
	s_mov_b32 s3, 0
	s_mov_b32 s8, 0
	s_mov_b32 s4, exec_lo
	s_waitcnt lgkmcnt(0)
	s_barrier
	buffer_gl0_inv
                                        ; implicit-def: $sgpr2
                                        ; implicit-def: $vgpr3
	v_cmpx_gt_u32_e64 s5, v19
	s_cbranch_execz .LBB496_23
; %bb.18:
	ds_read_b32 v3, v17
	v_cmp_ne_u32_e32 vcc_lo, v18, v6
	v_mov_b32_e32 v1, 0
	v_add_nc_u32_e32 v13, 1, v19
	v_mov_b32_e32 v2, 0
	s_mov_b32 s9, 0
	v_cndmask_b32_e64 v12, 0, 1, vcc_lo
	v_cmp_eq_u32_e32 vcc_lo, v18, v6
	s_mov_b32 s8, exec_lo
                                        ; implicit-def: $sgpr2
	s_waitcnt lgkmcnt(0)
	v_cndmask_b32_e32 v11, s22, v3, vcc_lo
                                        ; implicit-def: $vgpr3
	v_cmpx_gt_u32_e64 s5, v13
	s_cbranch_execz .LBB496_22
; %bb.19:
	ds_read2_b32 v[13:14], v17 offset0:1 offset1:2
	v_cmp_ne_u32_e32 vcc_lo, v6, v7
	v_add_nc_u32_e32 v3, 2, v19
                                        ; implicit-def: $sgpr2
	v_cndmask_b32_e64 v2, 0, 1, vcc_lo
	v_cmp_eq_u32_e32 vcc_lo, v6, v7
	s_waitcnt lgkmcnt(0)
	v_cndmask_b32_e32 v1, s22, v13, vcc_lo
	v_cmp_gt_u32_e32 vcc_lo, s5, v3
	s_mov_b32 s5, 0
                                        ; implicit-def: $vgpr3
	s_and_saveexec_b32 s9, vcc_lo
	s_xor_b32 s9, exec_lo, s9
; %bb.20:
	v_cmp_ne_u32_e64 s2, v7, v16
	s_mov_b32 s5, exec_lo
	v_cndmask_b32_e64 v3, v14, s22, s2
; %bb.21:
	s_or_b32 exec_lo, exec_lo, s9
	s_and_b32 s9, s5, exec_lo
.LBB496_22:
	s_or_b32 exec_lo, exec_lo, s8
	v_mov_b32_e32 v14, v2
	v_mov_b32_e32 v13, v1
	s_and_b32 s8, s9, exec_lo
.LBB496_23:
	s_or_b32 exec_lo, exec_lo, s4
	v_lshlrev_b32_e32 v20, 2, v0
	v_lshlrev_b32_e32 v21, 3, v0
	s_and_b32 vcc_lo, exec_lo, s3
	s_cbranch_vccnz .LBB496_25
	s_branch .LBB496_28
.LBB496_24:
	s_mov_b32 s8, 0
                                        ; implicit-def: $sgpr2
                                        ; implicit-def: $vgpr3
                                        ; implicit-def: $vgpr11_vgpr12
                                        ; implicit-def: $vgpr1_vgpr2
                                        ; implicit-def: $vgpr13_vgpr14
	v_lshlrev_b32_e32 v20, 2, v0
	v_lshlrev_b32_e32 v21, 3, v0
	s_cbranch_execz .LBB496_28
.LBB496_25:
	v_add_co_u32 v1, vcc_lo, v4, v20
	v_add_co_ci_u32_e64 v2, null, 0, v5, vcc_lo
	s_mov_b32 s2, exec_lo
	v_add_co_u32 v6, vcc_lo, 0x800, v1
	v_add_co_ci_u32_e64 v7, null, 0, v2, vcc_lo
	s_clause 0x2
	flat_load_dword v3, v[1:2]
	flat_load_dword v11, v[1:2] offset:1024
	flat_load_dword v6, v[6:7]
	v_add_co_u32 v1, vcc_lo, 0x800, v4
	v_add_co_ci_u32_e64 v2, null, 0, v5, vcc_lo
	s_waitcnt vmcnt(1) lgkmcnt(1)
	ds_write2st64_b32 v20, v3, v11 offset1:4
	s_waitcnt vmcnt(0) lgkmcnt(1)
	ds_write_b32 v20, v6 offset:2048
	s_waitcnt lgkmcnt(0)
	s_barrier
	buffer_gl0_inv
	flat_load_dword v5, v[1:2] offset:1024
	v_add_nc_u32_e32 v1, v20, v21
	ds_read_b32 v6, v1
	ds_read2_b32 v[3:4], v1 offset0:1 offset1:2
	s_waitcnt lgkmcnt(1)
	ds_write_b32 v20, v6 offset:4096
	s_waitcnt vmcnt(0) lgkmcnt(0)
	s_barrier
	buffer_gl0_inv
	v_cmpx_ne_u32_e32 0xff, v0
; %bb.26:
	v_sub_nc_u32_e32 v2, 0, v21
	v_add_nc_u32_e32 v2, v1, v2
	ds_read_b32 v5, v2 offset:4100
; %bb.27:
	s_or_b32 exec_lo, exec_lo, s2
	v_add_co_u32 v7, vcc_lo, v8, v20
	v_add_co_ci_u32_e64 v8, null, 0, v15, vcc_lo
	s_waitcnt lgkmcnt(0)
	v_add_co_u32 v11, vcc_lo, 0x800, v7
	v_add_co_ci_u32_e64 v12, null, 0, v8, vcc_lo
	s_barrier
	buffer_gl0_inv
	s_clause 0x2
	flat_load_dword v2, v[7:8]
	flat_load_dword v7, v[7:8] offset:1024
	flat_load_dword v8, v[11:12]
	v_cmp_eq_u32_e32 vcc_lo, v6, v3
	v_cmp_ne_u32_e64 s2, v4, v5
	s_mov_b32 s8, -1
	s_waitcnt vmcnt(1) lgkmcnt(1)
	ds_write2st64_b32 v20, v2, v7 offset1:4
	s_waitcnt vmcnt(0) lgkmcnt(1)
	ds_write_b32 v20, v8 offset:2048
	s_waitcnt lgkmcnt(0)
	s_barrier
	buffer_gl0_inv
	ds_read2_b32 v[7:8], v1 offset1:1
	ds_read_b32 v13, v1 offset:8
	s_waitcnt lgkmcnt(1)
	v_cndmask_b32_e32 v11, s22, v7, vcc_lo
	v_cmp_eq_u32_e32 vcc_lo, v3, v4
	v_cndmask_b32_e32 v1, s22, v8, vcc_lo
	v_cmp_ne_u32_e32 vcc_lo, v3, v4
	v_cndmask_b32_e64 v2, 0, 1, vcc_lo
	v_cmp_ne_u32_e32 vcc_lo, v6, v3
	s_waitcnt lgkmcnt(0)
	v_cndmask_b32_e64 v3, v13, s22, s2
	v_mov_b32_e32 v14, v2
	v_cndmask_b32_e64 v12, 0, 1, vcc_lo
	v_mov_b32_e32 v13, v1
.LBB496_28:
	v_mov_b32_e32 v15, 0
	v_mov_b32_e32 v16, 0
	s_and_saveexec_b32 s3, s8
; %bb.29:
	v_cndmask_b32_e64 v4, 0, 1, s2
	v_mov_b32_e32 v14, v2
	v_mov_b32_e32 v13, v1
	;; [unrolled: 1-line block ×4, first 2 shown]
; %bb.30:
	s_or_b32 exec_lo, exec_lo, s3
	v_or_b32_e32 v25, v14, v16
	v_mbcnt_lo_u32_b32 v22, -1, 0
	v_lshrrev_b32_e32 v23, 5, v0
	v_or_b32_e32 v24, 31, v0
	s_cmp_lg_u32 s13, 0
	s_mov_b32 s4, 0
	s_barrier
	buffer_gl0_inv
	s_cbranch_scc0 .LBB496_56
; %bb.31:
	v_and_b32_e32 v2, 0xff, v25
	v_mov_b32_e32 v1, 0
	s_mov_b32 s5, 1
	v_cmp_gt_u64_e64 s2, s[4:5], v[13:14]
	v_cmp_eq_u64_e32 vcc_lo, 0, v[1:2]
	v_cndmask_b32_e64 v3, 0, v11, s2
	v_cndmask_b32_e32 v2, 1, v12, vcc_lo
	v_cmp_gt_u64_e32 vcc_lo, s[4:5], v[15:16]
	v_add_nc_u32_e32 v3, v3, v13
	v_and_b32_e32 v4, 0xff, v2
	v_and_b32_e32 v6, 1, v2
	v_cndmask_b32_e32 v3, 0, v3, vcc_lo
	v_mov_b32_dpp v5, v4 row_shr:1 row_mask:0xf bank_mask:0xf
	v_cmp_eq_u32_e32 vcc_lo, 1, v6
	v_and_b32_e32 v6, 15, v22
	v_add_nc_u32_e32 v3, v3, v15
	v_and_b32_e32 v5, 1, v5
	v_mov_b32_dpp v7, v3 row_shr:1 row_mask:0xf bank_mask:0xf
	v_cndmask_b32_e64 v5, v5, 1, vcc_lo
	v_cmp_eq_u16_e32 vcc_lo, 0, v4
	v_and_b32_e32 v8, 0xffff, v5
	v_cndmask_b32_e32 v7, 0, v7, vcc_lo
	v_cmp_eq_u32_e32 vcc_lo, 0, v6
	v_cndmask_b32_e32 v4, v8, v4, vcc_lo
	v_cndmask_b32_e32 v2, v5, v2, vcc_lo
	v_cndmask_b32_e64 v7, v7, 0, vcc_lo
	v_mov_b32_dpp v5, v4 row_shr:2 row_mask:0xf bank_mask:0xf
	v_and_b32_e32 v8, 1, v2
	v_add_nc_u32_e32 v3, v7, v3
	v_cmp_eq_u16_sdwa s4, v2, v1 src0_sel:BYTE_0 src1_sel:DWORD
	v_and_b32_e32 v5, 1, v5
	v_cmp_eq_u32_e32 vcc_lo, 1, v8
	v_cndmask_b32_e64 v5, v5, 1, vcc_lo
	v_cmp_lt_u32_e32 vcc_lo, 1, v6
	v_and_b32_e32 v8, 0xffff, v5
	v_cndmask_b32_e32 v5, v2, v5, vcc_lo
	v_mov_b32_dpp v2, v3 row_shr:2 row_mask:0xf bank_mask:0xf
	v_cndmask_b32_e32 v4, v4, v8, vcc_lo
	v_and_b32_e32 v7, 1, v5
	s_and_b32 vcc_lo, vcc_lo, s4
	v_cndmask_b32_e32 v2, 0, v2, vcc_lo
	v_mov_b32_dpp v8, v4 row_shr:4 row_mask:0xf bank_mask:0xf
	v_cmp_eq_u32_e64 s3, 1, v7
	v_cmp_lt_u32_e32 vcc_lo, 3, v6
	v_add_nc_u32_e32 v2, v2, v3
	v_and_b32_e32 v8, 1, v8
	v_cndmask_b32_e64 v7, v8, 1, s3
	v_cmp_eq_u16_sdwa s3, v5, v1 src0_sel:BYTE_0 src1_sel:DWORD
	v_and_b32_e32 v8, 0xffff, v7
	v_cndmask_b32_e32 v3, v5, v7, vcc_lo
	v_mov_b32_dpp v5, v2 row_shr:4 row_mask:0xf bank_mask:0xf
	v_cndmask_b32_e32 v4, v4, v8, vcc_lo
	s_and_b32 vcc_lo, vcc_lo, s3
	v_and_b32_e32 v8, 1, v3
	v_cndmask_b32_e32 v5, 0, v5, vcc_lo
	v_cmp_eq_u16_sdwa s3, v3, v1 src0_sel:BYTE_0 src1_sel:DWORD
	v_mov_b32_dpp v7, v4 row_shr:8 row_mask:0xf bank_mask:0xf
	v_cmp_eq_u32_e32 vcc_lo, 1, v8
	v_add_nc_u32_e32 v2, v5, v2
	v_and_b32_e32 v7, 1, v7
	v_cndmask_b32_e64 v5, v7, 1, vcc_lo
	v_cmp_lt_u32_e32 vcc_lo, 7, v6
	v_mov_b32_dpp v6, v2 row_shr:8 row_mask:0xf bank_mask:0xf
	s_and_b32 s3, vcc_lo, s3
	v_cndmask_b32_e32 v7, v3, v5, vcc_lo
	v_cndmask_b32_e64 v3, 0, v6, s3
	v_and_b32_e32 v5, 0xffff, v5
	v_and_b32_e32 v6, 16, v22
	v_add_nc_u32_e32 v2, v3, v2
	v_cndmask_b32_e32 v3, v4, v5, vcc_lo
	v_cmp_eq_u16_sdwa vcc_lo, v7, v1 src0_sel:BYTE_0 src1_sel:DWORD
	v_bfe_i32 v5, v22, 4, 1
	v_cmp_eq_u32_e64 s3, 0, v6
	ds_swizzle_b32 v4, v2 offset:swizzle(BROADCAST,32,15)
	ds_swizzle_b32 v3, v3 offset:swizzle(BROADCAST,32,15)
	s_waitcnt lgkmcnt(1)
	v_cndmask_b32_e32 v1, 0, v4, vcc_lo
	v_and_b32_e32 v4, 1, v7
	s_waitcnt lgkmcnt(0)
	v_and_b32_e32 v3, 1, v3
	v_and_b32_e32 v1, v5, v1
	v_cmp_eq_u32_e32 vcc_lo, 1, v4
	v_lshlrev_b32_e32 v5, 3, v23
	v_cndmask_b32_e64 v4, v3, 1, vcc_lo
	v_add_nc_u32_e32 v3, v1, v2
	v_cndmask_b32_e64 v4, v4, v7, s3
	s_mov_b32 s3, exec_lo
	v_cmpx_eq_u32_e64 v0, v24
	s_cbranch_execz .LBB496_33
; %bb.32:
	ds_write_b32 v5, v3
	ds_write_b8 v5, v4 offset:4
.LBB496_33:
	s_or_b32 exec_lo, exec_lo, s3
	s_mov_b32 s3, exec_lo
	s_waitcnt lgkmcnt(0)
	s_barrier
	buffer_gl0_inv
	v_cmpx_gt_u32_e32 8, v0
	s_cbranch_execz .LBB496_39
; %bb.34:
	ds_read_b64 v[1:2], v21
	v_and_b32_e32 v6, 7, v22
	s_mov_b32 s4, exec_lo
	s_waitcnt lgkmcnt(0)
	v_and_b32_e32 v7, 0xffffff00, v2
	v_mov_b32_dpp v17, v1 row_shr:1 row_mask:0xf bank_mask:0xf
	v_mov_b32_dpp v18, v2 row_shr:1 row_mask:0xf bank_mask:0xf
	v_mov_b32_e32 v8, v2
	v_cmpx_ne_u32_e32 0, v6
	s_cbranch_execz .LBB496_36
; %bb.35:
	v_mov_b32_e32 v8, 0
	v_and_b32_e32 v19, 1, v2
	v_and_b32_e32 v18, 1, v18
	v_cmp_eq_u16_sdwa vcc_lo, v2, v8 src0_sel:BYTE_0 src1_sel:DWORD
	v_cndmask_b32_e32 v2, 0, v17, vcc_lo
	v_cmp_eq_u32_e32 vcc_lo, 1, v19
	v_add_nc_u32_e32 v1, v2, v1
	v_cndmask_b32_e64 v17, v18, 1, vcc_lo
	v_or_b32_sdwa v8, v7, v17 dst_sel:DWORD dst_unused:UNUSED_PAD src0_sel:DWORD src1_sel:WORD_0
	v_mov_b32_e32 v2, v17
.LBB496_36:
	s_or_b32 exec_lo, exec_lo, s4
	v_mov_b32_dpp v17, v1 row_shr:2 row_mask:0xf bank_mask:0xf
	v_mov_b32_dpp v18, v8 row_shr:2 row_mask:0xf bank_mask:0xf
	s_mov_b32 s4, exec_lo
	v_cmpx_lt_u32_e32 1, v6
	s_cbranch_execz .LBB496_38
; %bb.37:
	v_mov_b32_e32 v8, 0
	v_and_b32_e32 v19, 1, v2
	v_and_b32_e32 v18, 1, v18
	v_cmp_eq_u16_sdwa vcc_lo, v2, v8 src0_sel:BYTE_0 src1_sel:DWORD
	v_cndmask_b32_e32 v2, 0, v17, vcc_lo
	v_cmp_eq_u32_e32 vcc_lo, 1, v19
	v_add_nc_u32_e32 v1, v2, v1
	v_cndmask_b32_e64 v17, v18, 1, vcc_lo
	v_or_b32_sdwa v8, v7, v17 dst_sel:DWORD dst_unused:UNUSED_PAD src0_sel:DWORD src1_sel:WORD_0
	v_mov_b32_e32 v2, v17
.LBB496_38:
	s_or_b32 exec_lo, exec_lo, s4
	v_mov_b32_dpp v7, v8 row_shr:4 row_mask:0xf bank_mask:0xf
	v_and_b32_e32 v17, 1, v2
	v_mov_b32_e32 v8, 0
	v_and_b32_e32 v7, 1, v7
	v_cmp_eq_u32_e32 vcc_lo, 1, v17
	v_cmp_eq_u16_sdwa s4, v2, v8 src0_sel:BYTE_0 src1_sel:DWORD
	v_cndmask_b32_e64 v7, v7, 1, vcc_lo
	v_cmp_lt_u32_e32 vcc_lo, 3, v6
	v_mov_b32_dpp v6, v1 row_shr:4 row_mask:0xf bank_mask:0xf
	v_cndmask_b32_e32 v2, v2, v7, vcc_lo
	s_and_b32 vcc_lo, vcc_lo, s4
	v_cndmask_b32_e32 v6, 0, v6, vcc_lo
	v_add_nc_u32_e32 v1, v6, v1
	ds_write_b32 v21, v1
	ds_write_b8 v21, v2 offset:4
.LBB496_39:
	s_or_b32 exec_lo, exec_lo, s3
	v_mov_b32_e32 v27, 0
	v_mov_b32_e32 v26, 0
	s_mov_b32 s4, exec_lo
	v_cmp_gt_u32_e32 vcc_lo, 32, v0
	s_waitcnt lgkmcnt(0)
	s_barrier
	buffer_gl0_inv
	v_cmpx_lt_u32_e32 31, v0
	s_cbranch_execz .LBB496_41
; %bb.40:
	v_add_nc_u32_e32 v1, -8, v5
	v_and_b32_e32 v2, 1, v4
	ds_read_b32 v26, v1
	v_add_nc_u32_e32 v1, -4, v5
	ds_read_u8 v27, v1
	v_mov_b32_e32 v1, 0
	v_cmp_eq_u16_sdwa s3, v4, v1 src0_sel:BYTE_0 src1_sel:DWORD
	s_waitcnt lgkmcnt(1)
	v_cndmask_b32_e64 v1, 0, v26, s3
	v_cmp_eq_u32_e64 s3, 1, v2
	v_add_nc_u32_e32 v3, v1, v3
	s_waitcnt lgkmcnt(0)
	v_cndmask_b32_e64 v4, v27, 1, s3
.LBB496_41:
	s_or_b32 exec_lo, exec_lo, s4
	v_sub_co_u32 v1, s3, v22, 1
	v_and_b32_e32 v2, 0xff, v4
	v_cmp_gt_i32_e64 s4, 0, v1
	v_cndmask_b32_e64 v1, v1, v22, s4
	v_lshlrev_b32_e32 v1, 2, v1
	ds_bpermute_b32 v28, v1, v3
	ds_bpermute_b32 v29, v1, v2
	s_and_saveexec_b32 s5, vcc_lo
	s_cbranch_execz .LBB496_61
; %bb.42:
	v_mov_b32_e32 v4, 0
	ds_read_b64 v[1:2], v4 offset:56
	s_and_saveexec_b32 s4, s3
	s_cbranch_execz .LBB496_44
; %bb.43:
	s_add_i32 s8, s13, 32
	s_mov_b32 s9, 0
	v_mov_b32_e32 v3, 1
	s_lshl_b64 s[8:9], s[8:9], 4
	s_add_u32 s8, s16, s8
	s_addc_u32 s9, s17, s9
	v_mov_b32_e32 v5, s8
	v_mov_b32_e32 v6, s9
	s_waitcnt lgkmcnt(0)
	;;#ASMSTART
	global_store_dwordx4 v[5:6], v[1:4] off	
s_waitcnt vmcnt(0)
	;;#ASMEND
.LBB496_44:
	s_or_b32 exec_lo, exec_lo, s4
	v_xad_u32 v17, v22, -1, s13
	s_mov_b32 s8, 0
	v_add_nc_u32_e32 v3, 32, v17
	v_lshlrev_b64 v[5:6], 4, v[3:4]
	v_add_co_u32 v18, vcc_lo, s16, v5
	v_add_co_ci_u32_e64 v19, null, s17, v6, vcc_lo
	;;#ASMSTART
	global_load_dwordx4 v[5:8], v[18:19] off glc dlc	
s_waitcnt vmcnt(0)
	;;#ASMEND
	v_and_b32_e32 v6, 0xff, v6
	v_cmp_eq_u16_sdwa s9, v7, v4 src0_sel:BYTE_0 src1_sel:DWORD
	s_and_saveexec_b32 s4, s9
	s_cbranch_execz .LBB496_48
; %bb.45:
	v_mov_b32_e32 v3, 0
.LBB496_46:                             ; =>This Inner Loop Header: Depth=1
	;;#ASMSTART
	global_load_dwordx4 v[5:8], v[18:19] off glc dlc	
s_waitcnt vmcnt(0)
	;;#ASMEND
	v_cmp_ne_u16_sdwa s9, v7, v3 src0_sel:BYTE_0 src1_sel:DWORD
	s_or_b32 s8, s9, s8
	s_andn2_b32 exec_lo, exec_lo, s8
	s_cbranch_execnz .LBB496_46
; %bb.47:
	s_or_b32 exec_lo, exec_lo, s8
	v_and_b32_e32 v6, 0xff, v6
.LBB496_48:
	s_or_b32 exec_lo, exec_lo, s4
	v_cmp_ne_u32_e32 vcc_lo, 31, v22
	v_mov_b32_e32 v30, 2
	v_lshlrev_b32_e64 v31, v22, -1
	v_and_b32_e32 v8, 1, v6
	s_mov_b32 s8, 0
	v_add_co_ci_u32_e64 v3, null, 0, v22, vcc_lo
	v_cmp_eq_u16_sdwa s4, v7, v30 src0_sel:BYTE_0 src1_sel:DWORD
	v_cmp_eq_u32_e32 vcc_lo, 1, v8
	s_mov_b32 s9, 1
	v_lshlrev_b32_e32 v19, 2, v3
	v_add_nc_u32_e32 v39, 8, v22
	v_and_or_b32 v4, s4, v31, 0x80000000
	v_cmp_gt_u64_e64 s4, s[8:9], v[5:6]
	v_lshl_or_b32 v40, v22, 2, 64
	ds_bpermute_b32 v3, v19, v6
	ds_bpermute_b32 v18, v19, v5
	v_ffbl_b32_e32 v4, v4
	v_add_nc_u32_e32 v41, 16, v22
	s_waitcnt lgkmcnt(1)
	v_and_b32_e32 v3, 1, v3
	v_cndmask_b32_e64 v3, v3, 1, vcc_lo
	v_cmp_gt_u32_e32 vcc_lo, 30, v22
	v_and_b32_e32 v33, 0xffff, v3
	v_cndmask_b32_e64 v8, 0, 2, vcc_lo
	v_cmp_lt_u32_e32 vcc_lo, v22, v4
	v_add_lshl_u32 v32, v8, v22, 2
	v_cndmask_b32_e32 v8, v6, v33, vcc_lo
	v_cndmask_b32_e32 v3, v6, v3, vcc_lo
	s_and_b32 vcc_lo, vcc_lo, s4
	s_waitcnt lgkmcnt(0)
	v_cndmask_b32_e32 v6, 0, v18, vcc_lo
	ds_bpermute_b32 v33, v32, v8
	v_and_b32_e32 v18, 1, v3
	v_add_nc_u32_e32 v5, v6, v5
	v_cmp_eq_u32_e32 vcc_lo, 1, v18
	v_mov_b32_e32 v18, 0
	ds_bpermute_b32 v6, v32, v5
	v_cmp_eq_u16_sdwa s4, v3, v18 src0_sel:BYTE_0 src1_sel:DWORD
	s_waitcnt lgkmcnt(1)
	v_and_b32_e32 v34, 1, v33
	v_add_nc_u32_e32 v33, 2, v22
	v_cndmask_b32_e64 v35, v34, 1, vcc_lo
	v_cmp_gt_u32_e32 vcc_lo, 28, v22
	v_and_b32_e32 v36, 0xffff, v35
	v_cndmask_b32_e64 v34, 0, 4, vcc_lo
	v_cmp_gt_u32_e32 vcc_lo, v33, v4
	v_add_lshl_u32 v34, v34, v22, 2
	v_cndmask_b32_e32 v8, v36, v8, vcc_lo
	v_cndmask_b32_e32 v37, v35, v3, vcc_lo
	s_waitcnt lgkmcnt(0)
	v_cndmask_b32_e64 v3, 0, v6, s4
	v_add_nc_u32_e32 v35, 4, v22
	ds_bpermute_b32 v6, v34, v8
	v_and_b32_e32 v36, 1, v37
	v_cndmask_b32_e64 v3, v3, 0, vcc_lo
	v_cmp_eq_u16_sdwa s4, v37, v18 src0_sel:BYTE_0 src1_sel:DWORD
	v_cmp_eq_u32_e32 vcc_lo, 1, v36
	v_add_nc_u32_e32 v3, v3, v5
	ds_bpermute_b32 v5, v34, v3
	s_waitcnt lgkmcnt(1)
	v_and_b32_e32 v6, 1, v6
	v_cndmask_b32_e64 v6, v6, 1, vcc_lo
	v_cmp_gt_u32_e32 vcc_lo, 24, v22
	v_and_b32_e32 v38, 0xffff, v6
	v_cndmask_b32_e64 v36, 0, 8, vcc_lo
	v_cmp_gt_u32_e32 vcc_lo, v35, v4
	s_waitcnt lgkmcnt(0)
	v_cndmask_b32_e64 v5, 0, v5, s4
	v_add_lshl_u32 v36, v36, v22, 2
	v_cndmask_b32_e32 v8, v38, v8, vcc_lo
	v_cndmask_b32_e32 v6, v6, v37, vcc_lo
	v_cndmask_b32_e64 v5, v5, 0, vcc_lo
	ds_bpermute_b32 v37, v36, v8
	v_and_b32_e32 v38, 1, v6
	v_add_nc_u32_e32 v3, v5, v3
	v_cmp_eq_u32_e32 vcc_lo, 1, v38
	ds_bpermute_b32 v5, v36, v3
	s_waitcnt lgkmcnt(1)
	v_and_b32_e32 v37, 1, v37
	v_cndmask_b32_e64 v37, v37, 1, vcc_lo
	v_cmp_eq_u16_sdwa vcc_lo, v6, v18 src0_sel:BYTE_0 src1_sel:DWORD
	v_and_b32_e32 v38, 0xffff, v37
	s_waitcnt lgkmcnt(0)
	v_cndmask_b32_e32 v5, 0, v5, vcc_lo
	v_cmp_gt_u32_e32 vcc_lo, v39, v4
	v_cndmask_b32_e64 v5, v5, 0, vcc_lo
	v_cndmask_b32_e32 v8, v38, v8, vcc_lo
	v_cndmask_b32_e32 v6, v37, v6, vcc_lo
	v_add_nc_u32_e32 v3, v5, v3
	ds_bpermute_b32 v5, v40, v8
	v_and_b32_e32 v37, 1, v6
	v_cmp_eq_u16_sdwa vcc_lo, v6, v18 src0_sel:BYTE_0 src1_sel:DWORD
	ds_bpermute_b32 v8, v40, v3
	s_waitcnt lgkmcnt(1)
	v_and_b32_e32 v5, 1, v5
	s_waitcnt lgkmcnt(0)
	v_cndmask_b32_e32 v8, 0, v8, vcc_lo
	v_cmp_eq_u32_e32 vcc_lo, 1, v37
	v_cndmask_b32_e64 v5, v5, 1, vcc_lo
	v_cmp_gt_u32_e32 vcc_lo, v41, v4
	v_cndmask_b32_e32 v4, v5, v6, vcc_lo
	v_cndmask_b32_e64 v5, v8, 0, vcc_lo
	v_add_nc_u32_e32 v3, v5, v3
	s_branch .LBB496_52
.LBB496_49:                             ;   in Loop: Header=BB496_52 Depth=1
	s_or_b32 exec_lo, exec_lo, s19
	v_and_b32_e32 v6, 0xff, v6
.LBB496_50:                             ;   in Loop: Header=BB496_52 Depth=1
	s_or_b32 exec_lo, exec_lo, s4
	ds_bpermute_b32 v3, v19, v6
	v_cmp_eq_u16_sdwa s4, v7, v30 src0_sel:BYTE_0 src1_sel:DWORD
	v_and_b32_e32 v4, 1, v6
	v_subrev_nc_u32_e32 v17, 32, v17
	v_and_or_b32 v8, s4, v31, 0x80000000
	v_cmp_eq_u32_e32 vcc_lo, 1, v4
	v_cmp_gt_u64_e64 s4, s[8:9], v[5:6]
	v_ffbl_b32_e32 v4, v8
	ds_bpermute_b32 v8, v19, v5
	s_waitcnt lgkmcnt(1)
	v_and_b32_e32 v3, 1, v3
	v_cndmask_b32_e64 v3, v3, 1, vcc_lo
	v_cmp_lt_u32_e32 vcc_lo, v22, v4
	v_and_b32_e32 v42, 0xffff, v3
	v_cndmask_b32_e32 v3, v6, v3, vcc_lo
	v_cndmask_b32_e32 v42, v6, v42, vcc_lo
	s_and_b32 vcc_lo, vcc_lo, s4
	v_cmp_eq_u16_sdwa s4, v3, v18 src0_sel:BYTE_0 src1_sel:DWORD
	s_waitcnt lgkmcnt(0)
	v_cndmask_b32_e32 v6, 0, v8, vcc_lo
	v_and_b32_e32 v8, 1, v3
	ds_bpermute_b32 v43, v32, v42
	v_add_nc_u32_e32 v5, v6, v5
	v_cmp_eq_u32_e32 vcc_lo, 1, v8
	ds_bpermute_b32 v6, v32, v5
	s_waitcnt lgkmcnt(1)
	v_and_b32_e32 v43, 1, v43
	v_cndmask_b32_e64 v8, v43, 1, vcc_lo
	v_cmp_gt_u32_e32 vcc_lo, v33, v4
	v_and_b32_e32 v43, 0xffff, v8
	v_cndmask_b32_e32 v8, v8, v3, vcc_lo
	s_waitcnt lgkmcnt(0)
	v_cndmask_b32_e64 v3, 0, v6, s4
	v_cndmask_b32_e32 v42, v43, v42, vcc_lo
	v_and_b32_e32 v43, 1, v8
	v_cndmask_b32_e64 v3, v3, 0, vcc_lo
	v_cmp_eq_u16_sdwa s4, v8, v18 src0_sel:BYTE_0 src1_sel:DWORD
	ds_bpermute_b32 v6, v34, v42
	v_cmp_eq_u32_e32 vcc_lo, 1, v43
	v_add_nc_u32_e32 v3, v3, v5
	ds_bpermute_b32 v5, v34, v3
	s_waitcnt lgkmcnt(1)
	v_and_b32_e32 v6, 1, v6
	v_cndmask_b32_e64 v6, v6, 1, vcc_lo
	v_cmp_gt_u32_e32 vcc_lo, v35, v4
	s_waitcnt lgkmcnt(0)
	v_cndmask_b32_e64 v5, 0, v5, s4
	s_mov_b32 s4, 0
	v_and_b32_e32 v43, 0xffff, v6
	v_cndmask_b32_e32 v6, v6, v8, vcc_lo
	v_cndmask_b32_e64 v5, v5, 0, vcc_lo
	v_cndmask_b32_e32 v8, v43, v42, vcc_lo
	v_and_b32_e32 v43, 1, v6
	v_add_nc_u32_e32 v3, v5, v3
	ds_bpermute_b32 v42, v36, v8
	v_cmp_eq_u32_e32 vcc_lo, 1, v43
	ds_bpermute_b32 v5, v36, v3
	s_waitcnt lgkmcnt(1)
	v_and_b32_e32 v42, 1, v42
	v_cndmask_b32_e64 v42, v42, 1, vcc_lo
	v_cmp_eq_u16_sdwa vcc_lo, v6, v18 src0_sel:BYTE_0 src1_sel:DWORD
	v_and_b32_e32 v43, 0xffff, v42
	s_waitcnt lgkmcnt(0)
	v_cndmask_b32_e32 v5, 0, v5, vcc_lo
	v_cmp_gt_u32_e32 vcc_lo, v39, v4
	v_cndmask_b32_e64 v5, v5, 0, vcc_lo
	v_cndmask_b32_e32 v8, v43, v8, vcc_lo
	v_cndmask_b32_e32 v6, v42, v6, vcc_lo
	v_add_nc_u32_e32 v3, v5, v3
	ds_bpermute_b32 v5, v40, v8
	v_and_b32_e32 v42, 1, v6
	ds_bpermute_b32 v8, v40, v3
	v_cmp_eq_u32_e32 vcc_lo, 1, v42
	s_waitcnt lgkmcnt(1)
	v_cndmask_b32_e64 v5, v5, 1, vcc_lo
	v_cmp_eq_u16_sdwa vcc_lo, v6, v18 src0_sel:BYTE_0 src1_sel:DWORD
	s_waitcnt lgkmcnt(0)
	v_cndmask_b32_e32 v8, 0, v8, vcc_lo
	v_cmp_gt_u32_e32 vcc_lo, v41, v4
	v_cndmask_b32_e32 v4, v5, v6, vcc_lo
	v_cndmask_b32_e64 v5, v8, 0, vcc_lo
	v_cmp_eq_u16_sdwa vcc_lo, v37, v18 src0_sel:BYTE_0 src1_sel:DWORD
	v_and_b32_e32 v4, 1, v4
	v_add_nc_u32_e32 v3, v5, v3
	v_and_b32_e32 v5, 1, v37
	v_cndmask_b32_e32 v3, 0, v3, vcc_lo
	v_cmp_eq_u32_e32 vcc_lo, 1, v5
	v_add_nc_u32_e32 v3, v3, v38
	v_cndmask_b32_e64 v4, v4, 1, vcc_lo
.LBB496_51:                             ;   in Loop: Header=BB496_52 Depth=1
	s_and_b32 vcc_lo, exec_lo, s4
	s_cbranch_vccnz .LBB496_57
.LBB496_52:                             ; =>This Loop Header: Depth=1
                                        ;     Child Loop BB496_55 Depth 2
	v_cmp_ne_u16_sdwa s4, v7, v30 src0_sel:BYTE_0 src1_sel:DWORD
	v_mov_b32_e32 v37, v4
	v_mov_b32_e32 v38, v3
                                        ; implicit-def: $vgpr4
                                        ; implicit-def: $vgpr3
                                        ; implicit-def: $vgpr7
	s_cmp_lg_u32 s4, exec_lo
	s_mov_b32 s4, -1
	s_cbranch_scc1 .LBB496_51
; %bb.53:                               ;   in Loop: Header=BB496_52 Depth=1
	v_lshlrev_b64 v[3:4], 4, v[17:18]
	v_add_co_u32 v3, vcc_lo, s16, v3
	v_add_co_ci_u32_e64 v4, null, s17, v4, vcc_lo
	;;#ASMSTART
	global_load_dwordx4 v[5:8], v[3:4] off glc dlc	
s_waitcnt vmcnt(0)
	;;#ASMEND
	v_and_b32_e32 v6, 0xff, v6
	v_cmp_eq_u16_sdwa s19, v7, v18 src0_sel:BYTE_0 src1_sel:DWORD
	s_and_saveexec_b32 s4, s19
	s_cbranch_execz .LBB496_50
; %bb.54:                               ;   in Loop: Header=BB496_52 Depth=1
	s_mov_b32 s19, 0
.LBB496_55:                             ;   Parent Loop BB496_52 Depth=1
                                        ; =>  This Inner Loop Header: Depth=2
	;;#ASMSTART
	global_load_dwordx4 v[5:8], v[3:4] off glc dlc	
s_waitcnt vmcnt(0)
	;;#ASMEND
	v_cmp_ne_u16_sdwa s23, v7, v18 src0_sel:BYTE_0 src1_sel:DWORD
	s_or_b32 s19, s23, s19
	s_andn2_b32 exec_lo, exec_lo, s19
	s_cbranch_execnz .LBB496_55
	s_branch .LBB496_49
.LBB496_56:
                                        ; implicit-def: $vgpr6
                                        ; implicit-def: $vgpr5
                                        ; implicit-def: $vgpr7
	s_cbranch_execnz .LBB496_62
	s_branch .LBB496_77
.LBB496_57:
	s_and_saveexec_b32 s4, s3
	s_cbranch_execz .LBB496_59
; %bb.58:
	v_mov_b32_e32 v4, 0
	v_and_b32_e32 v3, 1, v2
	s_mov_b32 s9, 0
	s_add_i32 s8, s13, 32
	v_and_b32_e32 v5, 1, v37
	v_cmp_eq_u32_sdwa vcc_lo, v2, v4 src0_sel:BYTE_0 src1_sel:DWORD
	s_lshl_b64 s[8:9], s[8:9], 4
	s_add_u32 s8, s16, s8
	s_addc_u32 s9, s17, s9
	v_cndmask_b32_e32 v2, 0, v38, vcc_lo
	v_cmp_eq_u32_e32 vcc_lo, 1, v3
	v_mov_b32_e32 v3, 2
	v_add_nc_u32_e32 v1, v2, v1
	v_cndmask_b32_e64 v2, v5, 1, vcc_lo
	v_mov_b32_e32 v5, s8
	v_mov_b32_e32 v6, s9
	;;#ASMSTART
	global_store_dwordx4 v[5:6], v[1:4] off	
s_waitcnt vmcnt(0)
	;;#ASMEND
.LBB496_59:
	s_or_b32 exec_lo, exec_lo, s4
	s_and_b32 exec_lo, exec_lo, s0
	s_cbranch_execz .LBB496_61
; %bb.60:
	v_mov_b32_e32 v1, 0
	ds_write_b32 v1, v38 offset:56
	ds_write_b8 v1, v37 offset:60
.LBB496_61:
	s_or_b32 exec_lo, exec_lo, s5
	v_mov_b32_e32 v1, 0
	s_waitcnt lgkmcnt(0)
	s_barrier
	buffer_gl0_inv
	v_cndmask_b32_e64 v2, v29, v27, s3
	ds_read_b32 v3, v1 offset:56
	v_cndmask_b32_e64 v4, v28, v26, s3
	v_cmp_eq_u16_sdwa vcc_lo, v2, v1 src0_sel:BYTE_0 src1_sel:DWORD
	s_waitcnt lgkmcnt(0)
	v_cndmask_b32_e32 v2, 0, v3, vcc_lo
	v_add_nc_u32_e32 v4, v2, v4
	v_and_b32_e32 v2, 0xff, v12
	v_cndmask_b32_e64 v6, v4, v3, s0
	v_cmp_eq_u64_e32 vcc_lo, 0, v[1:2]
	v_cndmask_b32_e32 v1, 0, v6, vcc_lo
	v_add_nc_u32_e32 v5, v1, v11
	v_cndmask_b32_e64 v1, 0, v5, s2
	v_add_nc_u32_e32 v7, v1, v13
	s_branch .LBB496_77
.LBB496_62:
	s_cmp_eq_u64 s[20:21], 0
	v_mov_b32_e32 v3, s22
	s_cselect_b32 s2, -1, 0
	s_cmp_eq_u64 s[6:7], 0
	s_cselect_b32 s3, -1, 0
	s_or_b32 s2, s2, s3
	s_and_b32 vcc_lo, exec_lo, s2
	s_cbranch_vccnz .LBB496_64
; %bb.63:
	v_mov_b32_e32 v1, 0
	global_load_dword v3, v1, s[6:7]
.LBB496_64:
	v_and_b32_e32 v2, 0xff, v25
	v_mov_b32_e32 v1, 0
	s_mov_b32 s4, 0
	s_mov_b32 s5, 1
	v_cmp_gt_u64_e32 vcc_lo, s[4:5], v[13:14]
	v_cmp_eq_u64_e64 s2, 0, v[1:2]
	v_cndmask_b32_e32 v4, 0, v11, vcc_lo
	v_cndmask_b32_e64 v2, 1, v12, s2
	v_cmp_gt_u64_e64 s2, s[4:5], v[15:16]
	v_add_nc_u32_e32 v4, v4, v13
	v_and_b32_e32 v5, 0xff, v2
	v_and_b32_e32 v7, 1, v2
	v_cndmask_b32_e64 v4, 0, v4, s2
	v_mov_b32_dpp v6, v5 row_shr:1 row_mask:0xf bank_mask:0xf
	v_cmp_eq_u32_e64 s2, 1, v7
	v_and_b32_e32 v7, 15, v22
	v_add_nc_u32_e32 v4, v4, v15
	v_and_b32_e32 v6, 1, v6
	v_mov_b32_dpp v8, v4 row_shr:1 row_mask:0xf bank_mask:0xf
	v_cndmask_b32_e64 v6, v6, 1, s2
	v_cmp_eq_u16_e64 s2, 0, v5
	v_and_b32_e32 v14, 0xffff, v6
	v_cndmask_b32_e64 v8, 0, v8, s2
	v_cmp_eq_u32_e64 s2, 0, v7
	v_cndmask_b32_e64 v5, v14, v5, s2
	v_cndmask_b32_e64 v2, v6, v2, s2
	;; [unrolled: 1-line block ×3, first 2 shown]
	v_mov_b32_dpp v6, v5 row_shr:2 row_mask:0xf bank_mask:0xf
	v_and_b32_e32 v14, 1, v2
	v_add_nc_u32_e32 v4, v8, v4
	v_cmp_eq_u16_sdwa s4, v2, v1 src0_sel:BYTE_0 src1_sel:DWORD
	v_and_b32_e32 v6, 1, v6
	v_cmp_eq_u32_e64 s2, 1, v14
	v_cndmask_b32_e64 v6, v6, 1, s2
	v_cmp_lt_u32_e64 s2, 1, v7
	v_and_b32_e32 v14, 0xffff, v6
	v_cndmask_b32_e64 v6, v2, v6, s2
	v_mov_b32_dpp v2, v4 row_shr:2 row_mask:0xf bank_mask:0xf
	v_cndmask_b32_e64 v5, v5, v14, s2
	v_and_b32_e32 v8, 1, v6
	s_and_b32 s2, s2, s4
	v_cndmask_b32_e64 v2, 0, v2, s2
	v_mov_b32_dpp v14, v5 row_shr:4 row_mask:0xf bank_mask:0xf
	v_cmp_eq_u32_e64 s3, 1, v8
	v_cmp_lt_u32_e64 s2, 3, v7
	v_add_nc_u32_e32 v2, v2, v4
	v_and_b32_e32 v14, 1, v14
	v_cndmask_b32_e64 v8, v14, 1, s3
	v_cmp_eq_u16_sdwa s3, v6, v1 src0_sel:BYTE_0 src1_sel:DWORD
	v_and_b32_e32 v14, 0xffff, v8
	v_cndmask_b32_e64 v4, v6, v8, s2
	v_mov_b32_dpp v6, v2 row_shr:4 row_mask:0xf bank_mask:0xf
	v_cndmask_b32_e64 v5, v5, v14, s2
	s_and_b32 s2, s2, s3
	v_and_b32_e32 v14, 1, v4
	v_cndmask_b32_e64 v6, 0, v6, s2
	v_cmp_eq_u16_sdwa s3, v4, v1 src0_sel:BYTE_0 src1_sel:DWORD
	v_mov_b32_dpp v8, v5 row_shr:8 row_mask:0xf bank_mask:0xf
	v_cmp_eq_u32_e64 s2, 1, v14
	v_add_nc_u32_e32 v2, v6, v2
	v_and_b32_e32 v8, 1, v8
	v_cndmask_b32_e64 v6, v8, 1, s2
	v_cmp_lt_u32_e64 s2, 7, v7
	v_mov_b32_dpp v7, v2 row_shr:8 row_mask:0xf bank_mask:0xf
	s_and_b32 s3, s2, s3
	v_cndmask_b32_e64 v8, v4, v6, s2
	v_cndmask_b32_e64 v4, 0, v7, s3
	v_and_b32_e32 v6, 0xffff, v6
	v_and_b32_e32 v7, 16, v22
	v_add_nc_u32_e32 v2, v4, v2
	v_cndmask_b32_e64 v4, v5, v6, s2
	v_cmp_eq_u16_sdwa s2, v8, v1 src0_sel:BYTE_0 src1_sel:DWORD
	v_bfe_i32 v6, v22, 4, 1
	v_cmp_eq_u32_e64 s3, 0, v7
	ds_swizzle_b32 v5, v2 offset:swizzle(BROADCAST,32,15)
	ds_swizzle_b32 v4, v4 offset:swizzle(BROADCAST,32,15)
	s_waitcnt lgkmcnt(1)
	v_cndmask_b32_e64 v1, 0, v5, s2
	v_and_b32_e32 v5, 1, v8
	s_waitcnt lgkmcnt(0)
	v_and_b32_e32 v4, 1, v4
	v_and_b32_e32 v1, v6, v1
	v_cmp_eq_u32_e64 s2, 1, v5
	v_lshlrev_b32_e32 v6, 3, v23
	v_cndmask_b32_e64 v5, v4, 1, s2
	v_add_nc_u32_e32 v4, v1, v2
	v_cndmask_b32_e64 v5, v5, v8, s3
	s_mov_b32 s3, exec_lo
	v_cmpx_eq_u32_e64 v0, v24
	s_cbranch_execz .LBB496_66
; %bb.65:
	ds_write_b32 v6, v4
	ds_write_b8 v6, v5 offset:4
.LBB496_66:
	s_or_b32 exec_lo, exec_lo, s3
	s_mov_b32 s3, exec_lo
	s_waitcnt vmcnt(0) lgkmcnt(0)
	s_barrier
	buffer_gl0_inv
	v_cmpx_gt_u32_e32 8, v0
	s_cbranch_execz .LBB496_72
; %bb.67:
	ds_read_b64 v[1:2], v21
	v_and_b32_e32 v7, 7, v22
	s_mov_b32 s4, exec_lo
	s_waitcnt lgkmcnt(0)
	v_and_b32_e32 v8, 0xffffff00, v2
	v_mov_b32_dpp v15, v1 row_shr:1 row_mask:0xf bank_mask:0xf
	v_mov_b32_dpp v16, v2 row_shr:1 row_mask:0xf bank_mask:0xf
	v_mov_b32_e32 v14, v2
	v_cmpx_ne_u32_e32 0, v7
	s_cbranch_execz .LBB496_69
; %bb.68:
	v_mov_b32_e32 v14, 0
	v_and_b32_e32 v17, 1, v2
	v_and_b32_e32 v16, 1, v16
	v_cmp_eq_u16_sdwa s2, v2, v14 src0_sel:BYTE_0 src1_sel:DWORD
	v_cndmask_b32_e64 v2, 0, v15, s2
	v_cmp_eq_u32_e64 s2, 1, v17
	v_add_nc_u32_e32 v1, v2, v1
	v_cndmask_b32_e64 v15, v16, 1, s2
	v_or_b32_sdwa v14, v8, v15 dst_sel:DWORD dst_unused:UNUSED_PAD src0_sel:DWORD src1_sel:WORD_0
	v_mov_b32_e32 v2, v15
.LBB496_69:
	s_or_b32 exec_lo, exec_lo, s4
	v_mov_b32_dpp v15, v1 row_shr:2 row_mask:0xf bank_mask:0xf
	v_mov_b32_dpp v16, v14 row_shr:2 row_mask:0xf bank_mask:0xf
	s_mov_b32 s4, exec_lo
	v_cmpx_lt_u32_e32 1, v7
	s_cbranch_execz .LBB496_71
; %bb.70:
	v_mov_b32_e32 v14, 0
	v_and_b32_e32 v17, 1, v2
	v_and_b32_e32 v16, 1, v16
	v_cmp_eq_u16_sdwa s2, v2, v14 src0_sel:BYTE_0 src1_sel:DWORD
	v_cndmask_b32_e64 v2, 0, v15, s2
	v_cmp_eq_u32_e64 s2, 1, v17
	v_add_nc_u32_e32 v1, v2, v1
	v_cndmask_b32_e64 v15, v16, 1, s2
	v_or_b32_sdwa v14, v8, v15 dst_sel:DWORD dst_unused:UNUSED_PAD src0_sel:DWORD src1_sel:WORD_0
	v_mov_b32_e32 v2, v15
.LBB496_71:
	s_or_b32 exec_lo, exec_lo, s4
	v_mov_b32_dpp v8, v14 row_shr:4 row_mask:0xf bank_mask:0xf
	v_and_b32_e32 v15, 1, v2
	v_mov_b32_e32 v14, 0
	v_and_b32_e32 v8, 1, v8
	v_cmp_eq_u32_e64 s2, 1, v15
	v_cmp_eq_u16_sdwa s4, v2, v14 src0_sel:BYTE_0 src1_sel:DWORD
	v_cndmask_b32_e64 v8, v8, 1, s2
	v_cmp_lt_u32_e64 s2, 3, v7
	v_mov_b32_dpp v7, v1 row_shr:4 row_mask:0xf bank_mask:0xf
	v_cndmask_b32_e64 v2, v2, v8, s2
	s_and_b32 s2, s2, s4
	v_cndmask_b32_e64 v7, 0, v7, s2
	v_add_nc_u32_e32 v1, v7, v1
	ds_write_b32 v21, v1
	ds_write_b8 v21, v2 offset:4
.LBB496_72:
	s_or_b32 exec_lo, exec_lo, s3
	v_mov_b32_e32 v2, v3
	s_mov_b32 s3, exec_lo
	s_waitcnt lgkmcnt(0)
	s_barrier
	buffer_gl0_inv
	v_cmpx_lt_u32_e32 31, v0
	s_cbranch_execz .LBB496_74
; %bb.73:
	v_add_nc_u32_e32 v1, -4, v6
	v_add_nc_u32_e32 v2, -8, v6
	ds_read_u8 v1, v1
	ds_read_b32 v2, v2
	s_waitcnt lgkmcnt(1)
	v_cmp_eq_u16_e64 s2, 0, v1
	v_cndmask_b32_e64 v1, 0, v3, s2
	s_waitcnt lgkmcnt(0)
	v_add_nc_u32_e32 v2, v1, v2
.LBB496_74:
	s_or_b32 exec_lo, exec_lo, s3
	v_mov_b32_e32 v1, 0
	v_sub_co_u32 v6, s2, v22, 1
	v_cmp_eq_u16_sdwa s3, v5, v1 src0_sel:BYTE_0 src1_sel:DWORD
	v_cndmask_b32_e64 v5, 0, v2, s3
	v_cmp_gt_i32_e64 s3, 0, v6
	v_add_nc_u32_e32 v4, v5, v4
	v_cndmask_b32_e64 v6, v6, v22, s3
	v_lshlrev_b32_e32 v5, 2, v6
	ds_bpermute_b32 v4, v5, v4
	s_waitcnt lgkmcnt(0)
	v_cndmask_b32_e64 v6, v4, v2, s2
	v_and_b32_e32 v2, 0xff, v12
	v_cndmask_b32_e64 v4, v6, v3, s0
	v_cmp_eq_u64_e64 s2, 0, v[1:2]
	v_cndmask_b32_e64 v2, 0, v4, s2
	v_add_nc_u32_e32 v5, v2, v11
	v_cndmask_b32_e32 v2, 0, v5, vcc_lo
	s_and_saveexec_b32 s2, s0
	s_cbranch_execz .LBB496_76
; %bb.75:
	ds_read_u8 v4, v1 offset:60
	ds_read_b32 v6, v1 offset:56
	v_mov_b32_e32 v16, v1
	s_add_u32 s4, s16, 0x200
	s_addc_u32 s5, s17, 0
	v_mov_b32_e32 v17, v1
	v_mov_b32_e32 v8, s5
	;; [unrolled: 1-line block ×3, first 2 shown]
	s_waitcnt lgkmcnt(1)
	v_and_b32_e32 v15, 0xffff, v4
	v_cmp_eq_u64_e32 vcc_lo, 0, v[15:16]
	v_mov_b32_e32 v16, 2
	v_cndmask_b32_e32 v4, 0, v3, vcc_lo
	s_waitcnt lgkmcnt(0)
	v_add_nc_u32_e32 v14, v4, v6
	v_mov_b32_e32 v6, v3
	;;#ASMSTART
	global_store_dwordx4 v[7:8], v[14:17] off	
s_waitcnt vmcnt(0)
	;;#ASMEND
.LBB496_76:
	s_or_b32 exec_lo, exec_lo, s2
	v_add_nc_u32_e32 v7, v2, v13
.LBB496_77:
	s_add_u32 s0, s14, s10
	s_addc_u32 s2, s15, s11
	v_add_co_u32 v8, vcc_lo, s0, v9
	v_add_co_ci_u32_e64 v9, null, s2, v10, vcc_lo
	v_mov_b32_e32 v3, 0
	s_and_b32 vcc_lo, exec_lo, s1
	s_cbranch_vccz .LBB496_89
; %bb.78:
	v_mul_u32_u24_e32 v1, 3, v0
	v_mov_b32_e32 v4, 0
	v_mov_b32_e32 v2, 0
	s_add_i32 s12, s12, s18
	s_mov_b32 s0, exec_lo
	v_cmpx_gt_u32_e64 s12, v1
	s_cbranch_execz .LBB496_84
; %bb.79:
	v_add_nc_u32_e32 v3, 1, v1
	v_mov_b32_e32 v2, 0
	v_mov_b32_e32 v4, 0
	s_mov_b32 s1, exec_lo
	v_cmpx_gt_u32_e64 s12, v3
	s_cbranch_execz .LBB496_83
; %bb.80:
	v_add_nc_u32_e32 v2, 2, v1
	v_cmp_gt_u32_e32 vcc_lo, s12, v2
	v_mov_b32_e32 v2, 0
	s_and_saveexec_b32 s2, vcc_lo
; %bb.81:
	v_mov_b32_e32 v2, v7
; %bb.82:
	s_or_b32 exec_lo, exec_lo, s2
	v_mov_b32_e32 v4, v5
.LBB496_83:
	s_or_b32 exec_lo, exec_lo, s1
	v_mov_b32_e32 v3, v6
.LBB496_84:
	s_or_b32 exec_lo, exec_lo, s0
	v_lshlrev_b32_e32 v10, 2, v1
	s_barrier
	buffer_gl0_inv
	s_mov_b32 s0, exec_lo
	v_sub_nc_u32_e32 v1, v10, v21
	ds_write2_b32 v10, v3, v4 offset1:1
	ds_write_b32 v10, v2 offset:8
	s_waitcnt lgkmcnt(0)
	s_barrier
	buffer_gl0_inv
	ds_read2st64_b32 v[1:2], v1 offset0:4 offset1:8
	v_add_co_u32 v3, vcc_lo, v8, v20
	v_add_co_ci_u32_e64 v4, null, 0, v9, vcc_lo
	v_cmpx_gt_u32_e64 s12, v0
	s_cbranch_execz .LBB496_86
; %bb.85:
	v_sub_nc_u32_e32 v11, 0, v21
	v_add_nc_u32_e32 v10, v10, v11
	ds_read_b32 v10, v10
	s_waitcnt lgkmcnt(0)
	flat_store_dword v[3:4], v10
.LBB496_86:
	s_or_b32 exec_lo, exec_lo, s0
	v_or_b32_e32 v10, 0x100, v0
	s_mov_b32 s0, exec_lo
	v_cmpx_gt_u32_e64 s12, v10
	s_cbranch_execz .LBB496_88
; %bb.87:
	s_waitcnt lgkmcnt(0)
	flat_store_dword v[3:4], v1 offset:1024
.LBB496_88:
	s_or_b32 exec_lo, exec_lo, s0
	s_waitcnt lgkmcnt(0)
	v_or_b32_e32 v1, 0x200, v0
	v_cmp_gt_u32_e64 s0, s12, v1
	s_branch .LBB496_91
.LBB496_89:
	s_mov_b32 s0, 0
                                        ; implicit-def: $vgpr2
	s_cbranch_execz .LBB496_91
; %bb.90:
	v_mul_u32_u24_e32 v1, 12, v0
	s_waitcnt_vscnt null, 0x0
	s_barrier
	buffer_gl0_inv
	s_or_b32 s0, s0, exec_lo
	v_sub_nc_u32_e32 v2, v1, v21
	ds_write2_b32 v1, v6, v5 offset1:1
	ds_write_b32 v1, v7 offset:8
	s_waitcnt lgkmcnt(0)
	s_barrier
	buffer_gl0_inv
	ds_read2st64_b32 v[3:4], v2 offset1:4
	ds_read_b32 v2, v2 offset:2048
	v_add_co_u32 v5, vcc_lo, v8, v20
	v_add_co_ci_u32_e64 v6, null, 0, v9, vcc_lo
	s_waitcnt lgkmcnt(1)
	flat_store_dword v[5:6], v3
	flat_store_dword v[5:6], v4 offset:1024
.LBB496_91:
	s_and_saveexec_b32 s1, s0
	s_cbranch_execnz .LBB496_93
; %bb.92:
	s_endpgm
.LBB496_93:
	v_lshlrev_b32_e32 v0, 2, v0
	v_add_co_u32 v0, vcc_lo, v8, v0
	v_add_co_ci_u32_e64 v1, null, 0, v9, vcc_lo
	v_add_co_u32 v0, vcc_lo, 0x800, v0
	v_add_co_ci_u32_e64 v1, null, 0, v1, vcc_lo
	s_waitcnt lgkmcnt(2)
	flat_store_dword v[0:1], v2
	s_endpgm
.LBB496_94:
	v_add_co_u32 v2, vcc_lo, v8, v12
	v_add_co_ci_u32_e64 v3, null, 0, v15, vcc_lo
	v_mov_b32_e32 v20, v1
	v_mov_b32_e32 v21, v1
	flat_load_dword v19, v[2:3]
	s_waitcnt vmcnt(0) lgkmcnt(0)
	v_mov_b32_e32 v1, v19
	v_mov_b32_e32 v2, v20
	;; [unrolled: 1-line block ×3, first 2 shown]
	s_or_b32 exec_lo, exec_lo, s4
	s_and_saveexec_b32 s4, s2
	s_cbranch_execz .LBB496_15
.LBB496_95:
	v_add_co_u32 v13, vcc_lo, v8, v12
	v_add_co_ci_u32_e64 v14, null, 0, v15, vcc_lo
	flat_load_dword v2, v[13:14] offset:1024
	s_or_b32 exec_lo, exec_lo, s4
	v_mul_u32_u24_e32 v19, 3, v0
	s_and_saveexec_b32 s2, s3
	s_cbranch_execnz .LBB496_16
	s_branch .LBB496_17
	.section	.rodata,"a",@progbits
	.p2align	6, 0x0
	.amdhsa_kernel _ZN7rocprim17ROCPRIM_400000_NS6detail17trampoline_kernelINS0_14default_configENS1_27scan_by_key_config_selectorIiiEEZZNS1_16scan_by_key_implILNS1_25lookback_scan_determinismE0ELb1ES3_N6thrust23THRUST_200600_302600_NS6detail15normal_iteratorINS9_10device_ptrIiEEEESE_SE_iNS9_4plusIvEENS9_8equal_toIvEEiEE10hipError_tPvRmT2_T3_T4_T5_mT6_T7_P12ihipStream_tbENKUlT_T0_E_clISt17integral_constantIbLb0EESY_IbLb1EEEEDaSU_SV_EUlSU_E_NS1_11comp_targetILNS1_3genE8ELNS1_11target_archE1030ELNS1_3gpuE2ELNS1_3repE0EEENS1_30default_config_static_selectorELNS0_4arch9wavefront6targetE0EEEvT1_
		.amdhsa_group_segment_fixed_size 5120
		.amdhsa_private_segment_fixed_size 0
		.amdhsa_kernarg_size 112
		.amdhsa_user_sgpr_count 6
		.amdhsa_user_sgpr_private_segment_buffer 1
		.amdhsa_user_sgpr_dispatch_ptr 0
		.amdhsa_user_sgpr_queue_ptr 0
		.amdhsa_user_sgpr_kernarg_segment_ptr 1
		.amdhsa_user_sgpr_dispatch_id 0
		.amdhsa_user_sgpr_flat_scratch_init 0
		.amdhsa_user_sgpr_private_segment_size 0
		.amdhsa_wavefront_size32 1
		.amdhsa_uses_dynamic_stack 0
		.amdhsa_system_sgpr_private_segment_wavefront_offset 0
		.amdhsa_system_sgpr_workgroup_id_x 1
		.amdhsa_system_sgpr_workgroup_id_y 0
		.amdhsa_system_sgpr_workgroup_id_z 0
		.amdhsa_system_sgpr_workgroup_info 0
		.amdhsa_system_vgpr_workitem_id 0
		.amdhsa_next_free_vgpr 44
		.amdhsa_next_free_sgpr 24
		.amdhsa_reserve_vcc 1
		.amdhsa_reserve_flat_scratch 1
		.amdhsa_float_round_mode_32 0
		.amdhsa_float_round_mode_16_64 0
		.amdhsa_float_denorm_mode_32 3
		.amdhsa_float_denorm_mode_16_64 3
		.amdhsa_dx10_clamp 1
		.amdhsa_ieee_mode 1
		.amdhsa_fp16_overflow 0
		.amdhsa_workgroup_processor_mode 1
		.amdhsa_memory_ordered 1
		.amdhsa_forward_progress 1
		.amdhsa_shared_vgpr_count 0
		.amdhsa_exception_fp_ieee_invalid_op 0
		.amdhsa_exception_fp_denorm_src 0
		.amdhsa_exception_fp_ieee_div_zero 0
		.amdhsa_exception_fp_ieee_overflow 0
		.amdhsa_exception_fp_ieee_underflow 0
		.amdhsa_exception_fp_ieee_inexact 0
		.amdhsa_exception_int_div_zero 0
	.end_amdhsa_kernel
	.section	.text._ZN7rocprim17ROCPRIM_400000_NS6detail17trampoline_kernelINS0_14default_configENS1_27scan_by_key_config_selectorIiiEEZZNS1_16scan_by_key_implILNS1_25lookback_scan_determinismE0ELb1ES3_N6thrust23THRUST_200600_302600_NS6detail15normal_iteratorINS9_10device_ptrIiEEEESE_SE_iNS9_4plusIvEENS9_8equal_toIvEEiEE10hipError_tPvRmT2_T3_T4_T5_mT6_T7_P12ihipStream_tbENKUlT_T0_E_clISt17integral_constantIbLb0EESY_IbLb1EEEEDaSU_SV_EUlSU_E_NS1_11comp_targetILNS1_3genE8ELNS1_11target_archE1030ELNS1_3gpuE2ELNS1_3repE0EEENS1_30default_config_static_selectorELNS0_4arch9wavefront6targetE0EEEvT1_,"axG",@progbits,_ZN7rocprim17ROCPRIM_400000_NS6detail17trampoline_kernelINS0_14default_configENS1_27scan_by_key_config_selectorIiiEEZZNS1_16scan_by_key_implILNS1_25lookback_scan_determinismE0ELb1ES3_N6thrust23THRUST_200600_302600_NS6detail15normal_iteratorINS9_10device_ptrIiEEEESE_SE_iNS9_4plusIvEENS9_8equal_toIvEEiEE10hipError_tPvRmT2_T3_T4_T5_mT6_T7_P12ihipStream_tbENKUlT_T0_E_clISt17integral_constantIbLb0EESY_IbLb1EEEEDaSU_SV_EUlSU_E_NS1_11comp_targetILNS1_3genE8ELNS1_11target_archE1030ELNS1_3gpuE2ELNS1_3repE0EEENS1_30default_config_static_selectorELNS0_4arch9wavefront6targetE0EEEvT1_,comdat
.Lfunc_end496:
	.size	_ZN7rocprim17ROCPRIM_400000_NS6detail17trampoline_kernelINS0_14default_configENS1_27scan_by_key_config_selectorIiiEEZZNS1_16scan_by_key_implILNS1_25lookback_scan_determinismE0ELb1ES3_N6thrust23THRUST_200600_302600_NS6detail15normal_iteratorINS9_10device_ptrIiEEEESE_SE_iNS9_4plusIvEENS9_8equal_toIvEEiEE10hipError_tPvRmT2_T3_T4_T5_mT6_T7_P12ihipStream_tbENKUlT_T0_E_clISt17integral_constantIbLb0EESY_IbLb1EEEEDaSU_SV_EUlSU_E_NS1_11comp_targetILNS1_3genE8ELNS1_11target_archE1030ELNS1_3gpuE2ELNS1_3repE0EEENS1_30default_config_static_selectorELNS0_4arch9wavefront6targetE0EEEvT1_, .Lfunc_end496-_ZN7rocprim17ROCPRIM_400000_NS6detail17trampoline_kernelINS0_14default_configENS1_27scan_by_key_config_selectorIiiEEZZNS1_16scan_by_key_implILNS1_25lookback_scan_determinismE0ELb1ES3_N6thrust23THRUST_200600_302600_NS6detail15normal_iteratorINS9_10device_ptrIiEEEESE_SE_iNS9_4plusIvEENS9_8equal_toIvEEiEE10hipError_tPvRmT2_T3_T4_T5_mT6_T7_P12ihipStream_tbENKUlT_T0_E_clISt17integral_constantIbLb0EESY_IbLb1EEEEDaSU_SV_EUlSU_E_NS1_11comp_targetILNS1_3genE8ELNS1_11target_archE1030ELNS1_3gpuE2ELNS1_3repE0EEENS1_30default_config_static_selectorELNS0_4arch9wavefront6targetE0EEEvT1_
                                        ; -- End function
	.set _ZN7rocprim17ROCPRIM_400000_NS6detail17trampoline_kernelINS0_14default_configENS1_27scan_by_key_config_selectorIiiEEZZNS1_16scan_by_key_implILNS1_25lookback_scan_determinismE0ELb1ES3_N6thrust23THRUST_200600_302600_NS6detail15normal_iteratorINS9_10device_ptrIiEEEESE_SE_iNS9_4plusIvEENS9_8equal_toIvEEiEE10hipError_tPvRmT2_T3_T4_T5_mT6_T7_P12ihipStream_tbENKUlT_T0_E_clISt17integral_constantIbLb0EESY_IbLb1EEEEDaSU_SV_EUlSU_E_NS1_11comp_targetILNS1_3genE8ELNS1_11target_archE1030ELNS1_3gpuE2ELNS1_3repE0EEENS1_30default_config_static_selectorELNS0_4arch9wavefront6targetE0EEEvT1_.num_vgpr, 44
	.set _ZN7rocprim17ROCPRIM_400000_NS6detail17trampoline_kernelINS0_14default_configENS1_27scan_by_key_config_selectorIiiEEZZNS1_16scan_by_key_implILNS1_25lookback_scan_determinismE0ELb1ES3_N6thrust23THRUST_200600_302600_NS6detail15normal_iteratorINS9_10device_ptrIiEEEESE_SE_iNS9_4plusIvEENS9_8equal_toIvEEiEE10hipError_tPvRmT2_T3_T4_T5_mT6_T7_P12ihipStream_tbENKUlT_T0_E_clISt17integral_constantIbLb0EESY_IbLb1EEEEDaSU_SV_EUlSU_E_NS1_11comp_targetILNS1_3genE8ELNS1_11target_archE1030ELNS1_3gpuE2ELNS1_3repE0EEENS1_30default_config_static_selectorELNS0_4arch9wavefront6targetE0EEEvT1_.num_agpr, 0
	.set _ZN7rocprim17ROCPRIM_400000_NS6detail17trampoline_kernelINS0_14default_configENS1_27scan_by_key_config_selectorIiiEEZZNS1_16scan_by_key_implILNS1_25lookback_scan_determinismE0ELb1ES3_N6thrust23THRUST_200600_302600_NS6detail15normal_iteratorINS9_10device_ptrIiEEEESE_SE_iNS9_4plusIvEENS9_8equal_toIvEEiEE10hipError_tPvRmT2_T3_T4_T5_mT6_T7_P12ihipStream_tbENKUlT_T0_E_clISt17integral_constantIbLb0EESY_IbLb1EEEEDaSU_SV_EUlSU_E_NS1_11comp_targetILNS1_3genE8ELNS1_11target_archE1030ELNS1_3gpuE2ELNS1_3repE0EEENS1_30default_config_static_selectorELNS0_4arch9wavefront6targetE0EEEvT1_.numbered_sgpr, 24
	.set _ZN7rocprim17ROCPRIM_400000_NS6detail17trampoline_kernelINS0_14default_configENS1_27scan_by_key_config_selectorIiiEEZZNS1_16scan_by_key_implILNS1_25lookback_scan_determinismE0ELb1ES3_N6thrust23THRUST_200600_302600_NS6detail15normal_iteratorINS9_10device_ptrIiEEEESE_SE_iNS9_4plusIvEENS9_8equal_toIvEEiEE10hipError_tPvRmT2_T3_T4_T5_mT6_T7_P12ihipStream_tbENKUlT_T0_E_clISt17integral_constantIbLb0EESY_IbLb1EEEEDaSU_SV_EUlSU_E_NS1_11comp_targetILNS1_3genE8ELNS1_11target_archE1030ELNS1_3gpuE2ELNS1_3repE0EEENS1_30default_config_static_selectorELNS0_4arch9wavefront6targetE0EEEvT1_.num_named_barrier, 0
	.set _ZN7rocprim17ROCPRIM_400000_NS6detail17trampoline_kernelINS0_14default_configENS1_27scan_by_key_config_selectorIiiEEZZNS1_16scan_by_key_implILNS1_25lookback_scan_determinismE0ELb1ES3_N6thrust23THRUST_200600_302600_NS6detail15normal_iteratorINS9_10device_ptrIiEEEESE_SE_iNS9_4plusIvEENS9_8equal_toIvEEiEE10hipError_tPvRmT2_T3_T4_T5_mT6_T7_P12ihipStream_tbENKUlT_T0_E_clISt17integral_constantIbLb0EESY_IbLb1EEEEDaSU_SV_EUlSU_E_NS1_11comp_targetILNS1_3genE8ELNS1_11target_archE1030ELNS1_3gpuE2ELNS1_3repE0EEENS1_30default_config_static_selectorELNS0_4arch9wavefront6targetE0EEEvT1_.private_seg_size, 0
	.set _ZN7rocprim17ROCPRIM_400000_NS6detail17trampoline_kernelINS0_14default_configENS1_27scan_by_key_config_selectorIiiEEZZNS1_16scan_by_key_implILNS1_25lookback_scan_determinismE0ELb1ES3_N6thrust23THRUST_200600_302600_NS6detail15normal_iteratorINS9_10device_ptrIiEEEESE_SE_iNS9_4plusIvEENS9_8equal_toIvEEiEE10hipError_tPvRmT2_T3_T4_T5_mT6_T7_P12ihipStream_tbENKUlT_T0_E_clISt17integral_constantIbLb0EESY_IbLb1EEEEDaSU_SV_EUlSU_E_NS1_11comp_targetILNS1_3genE8ELNS1_11target_archE1030ELNS1_3gpuE2ELNS1_3repE0EEENS1_30default_config_static_selectorELNS0_4arch9wavefront6targetE0EEEvT1_.uses_vcc, 1
	.set _ZN7rocprim17ROCPRIM_400000_NS6detail17trampoline_kernelINS0_14default_configENS1_27scan_by_key_config_selectorIiiEEZZNS1_16scan_by_key_implILNS1_25lookback_scan_determinismE0ELb1ES3_N6thrust23THRUST_200600_302600_NS6detail15normal_iteratorINS9_10device_ptrIiEEEESE_SE_iNS9_4plusIvEENS9_8equal_toIvEEiEE10hipError_tPvRmT2_T3_T4_T5_mT6_T7_P12ihipStream_tbENKUlT_T0_E_clISt17integral_constantIbLb0EESY_IbLb1EEEEDaSU_SV_EUlSU_E_NS1_11comp_targetILNS1_3genE8ELNS1_11target_archE1030ELNS1_3gpuE2ELNS1_3repE0EEENS1_30default_config_static_selectorELNS0_4arch9wavefront6targetE0EEEvT1_.uses_flat_scratch, 1
	.set _ZN7rocprim17ROCPRIM_400000_NS6detail17trampoline_kernelINS0_14default_configENS1_27scan_by_key_config_selectorIiiEEZZNS1_16scan_by_key_implILNS1_25lookback_scan_determinismE0ELb1ES3_N6thrust23THRUST_200600_302600_NS6detail15normal_iteratorINS9_10device_ptrIiEEEESE_SE_iNS9_4plusIvEENS9_8equal_toIvEEiEE10hipError_tPvRmT2_T3_T4_T5_mT6_T7_P12ihipStream_tbENKUlT_T0_E_clISt17integral_constantIbLb0EESY_IbLb1EEEEDaSU_SV_EUlSU_E_NS1_11comp_targetILNS1_3genE8ELNS1_11target_archE1030ELNS1_3gpuE2ELNS1_3repE0EEENS1_30default_config_static_selectorELNS0_4arch9wavefront6targetE0EEEvT1_.has_dyn_sized_stack, 0
	.set _ZN7rocprim17ROCPRIM_400000_NS6detail17trampoline_kernelINS0_14default_configENS1_27scan_by_key_config_selectorIiiEEZZNS1_16scan_by_key_implILNS1_25lookback_scan_determinismE0ELb1ES3_N6thrust23THRUST_200600_302600_NS6detail15normal_iteratorINS9_10device_ptrIiEEEESE_SE_iNS9_4plusIvEENS9_8equal_toIvEEiEE10hipError_tPvRmT2_T3_T4_T5_mT6_T7_P12ihipStream_tbENKUlT_T0_E_clISt17integral_constantIbLb0EESY_IbLb1EEEEDaSU_SV_EUlSU_E_NS1_11comp_targetILNS1_3genE8ELNS1_11target_archE1030ELNS1_3gpuE2ELNS1_3repE0EEENS1_30default_config_static_selectorELNS0_4arch9wavefront6targetE0EEEvT1_.has_recursion, 0
	.set _ZN7rocprim17ROCPRIM_400000_NS6detail17trampoline_kernelINS0_14default_configENS1_27scan_by_key_config_selectorIiiEEZZNS1_16scan_by_key_implILNS1_25lookback_scan_determinismE0ELb1ES3_N6thrust23THRUST_200600_302600_NS6detail15normal_iteratorINS9_10device_ptrIiEEEESE_SE_iNS9_4plusIvEENS9_8equal_toIvEEiEE10hipError_tPvRmT2_T3_T4_T5_mT6_T7_P12ihipStream_tbENKUlT_T0_E_clISt17integral_constantIbLb0EESY_IbLb1EEEEDaSU_SV_EUlSU_E_NS1_11comp_targetILNS1_3genE8ELNS1_11target_archE1030ELNS1_3gpuE2ELNS1_3repE0EEENS1_30default_config_static_selectorELNS0_4arch9wavefront6targetE0EEEvT1_.has_indirect_call, 0
	.section	.AMDGPU.csdata,"",@progbits
; Kernel info:
; codeLenInByte = 6348
; TotalNumSgprs: 26
; NumVgprs: 44
; ScratchSize: 0
; MemoryBound: 0
; FloatMode: 240
; IeeeMode: 1
; LDSByteSize: 5120 bytes/workgroup (compile time only)
; SGPRBlocks: 0
; VGPRBlocks: 5
; NumSGPRsForWavesPerEU: 26
; NumVGPRsForWavesPerEU: 44
; Occupancy: 16
; WaveLimiterHint : 1
; COMPUTE_PGM_RSRC2:SCRATCH_EN: 0
; COMPUTE_PGM_RSRC2:USER_SGPR: 6
; COMPUTE_PGM_RSRC2:TRAP_HANDLER: 0
; COMPUTE_PGM_RSRC2:TGID_X_EN: 1
; COMPUTE_PGM_RSRC2:TGID_Y_EN: 0
; COMPUTE_PGM_RSRC2:TGID_Z_EN: 0
; COMPUTE_PGM_RSRC2:TIDIG_COMP_CNT: 0
	.section	.text._ZN7rocprim17ROCPRIM_400000_NS6detail17trampoline_kernelINS0_14default_configENS1_27scan_by_key_config_selectorIiiEEZZNS1_16scan_by_key_implILNS1_25lookback_scan_determinismE0ELb1ES3_N6thrust23THRUST_200600_302600_NS6detail15normal_iteratorINS9_10device_ptrIiEEEESE_SE_iNS9_10multipliesIiEENS9_8equal_toIiEEiEE10hipError_tPvRmT2_T3_T4_T5_mT6_T7_P12ihipStream_tbENKUlT_T0_E_clISt17integral_constantIbLb0EESZ_EEDaSU_SV_EUlSU_E_NS1_11comp_targetILNS1_3genE0ELNS1_11target_archE4294967295ELNS1_3gpuE0ELNS1_3repE0EEENS1_30default_config_static_selectorELNS0_4arch9wavefront6targetE0EEEvT1_,"axG",@progbits,_ZN7rocprim17ROCPRIM_400000_NS6detail17trampoline_kernelINS0_14default_configENS1_27scan_by_key_config_selectorIiiEEZZNS1_16scan_by_key_implILNS1_25lookback_scan_determinismE0ELb1ES3_N6thrust23THRUST_200600_302600_NS6detail15normal_iteratorINS9_10device_ptrIiEEEESE_SE_iNS9_10multipliesIiEENS9_8equal_toIiEEiEE10hipError_tPvRmT2_T3_T4_T5_mT6_T7_P12ihipStream_tbENKUlT_T0_E_clISt17integral_constantIbLb0EESZ_EEDaSU_SV_EUlSU_E_NS1_11comp_targetILNS1_3genE0ELNS1_11target_archE4294967295ELNS1_3gpuE0ELNS1_3repE0EEENS1_30default_config_static_selectorELNS0_4arch9wavefront6targetE0EEEvT1_,comdat
	.protected	_ZN7rocprim17ROCPRIM_400000_NS6detail17trampoline_kernelINS0_14default_configENS1_27scan_by_key_config_selectorIiiEEZZNS1_16scan_by_key_implILNS1_25lookback_scan_determinismE0ELb1ES3_N6thrust23THRUST_200600_302600_NS6detail15normal_iteratorINS9_10device_ptrIiEEEESE_SE_iNS9_10multipliesIiEENS9_8equal_toIiEEiEE10hipError_tPvRmT2_T3_T4_T5_mT6_T7_P12ihipStream_tbENKUlT_T0_E_clISt17integral_constantIbLb0EESZ_EEDaSU_SV_EUlSU_E_NS1_11comp_targetILNS1_3genE0ELNS1_11target_archE4294967295ELNS1_3gpuE0ELNS1_3repE0EEENS1_30default_config_static_selectorELNS0_4arch9wavefront6targetE0EEEvT1_ ; -- Begin function _ZN7rocprim17ROCPRIM_400000_NS6detail17trampoline_kernelINS0_14default_configENS1_27scan_by_key_config_selectorIiiEEZZNS1_16scan_by_key_implILNS1_25lookback_scan_determinismE0ELb1ES3_N6thrust23THRUST_200600_302600_NS6detail15normal_iteratorINS9_10device_ptrIiEEEESE_SE_iNS9_10multipliesIiEENS9_8equal_toIiEEiEE10hipError_tPvRmT2_T3_T4_T5_mT6_T7_P12ihipStream_tbENKUlT_T0_E_clISt17integral_constantIbLb0EESZ_EEDaSU_SV_EUlSU_E_NS1_11comp_targetILNS1_3genE0ELNS1_11target_archE4294967295ELNS1_3gpuE0ELNS1_3repE0EEENS1_30default_config_static_selectorELNS0_4arch9wavefront6targetE0EEEvT1_
	.globl	_ZN7rocprim17ROCPRIM_400000_NS6detail17trampoline_kernelINS0_14default_configENS1_27scan_by_key_config_selectorIiiEEZZNS1_16scan_by_key_implILNS1_25lookback_scan_determinismE0ELb1ES3_N6thrust23THRUST_200600_302600_NS6detail15normal_iteratorINS9_10device_ptrIiEEEESE_SE_iNS9_10multipliesIiEENS9_8equal_toIiEEiEE10hipError_tPvRmT2_T3_T4_T5_mT6_T7_P12ihipStream_tbENKUlT_T0_E_clISt17integral_constantIbLb0EESZ_EEDaSU_SV_EUlSU_E_NS1_11comp_targetILNS1_3genE0ELNS1_11target_archE4294967295ELNS1_3gpuE0ELNS1_3repE0EEENS1_30default_config_static_selectorELNS0_4arch9wavefront6targetE0EEEvT1_
	.p2align	8
	.type	_ZN7rocprim17ROCPRIM_400000_NS6detail17trampoline_kernelINS0_14default_configENS1_27scan_by_key_config_selectorIiiEEZZNS1_16scan_by_key_implILNS1_25lookback_scan_determinismE0ELb1ES3_N6thrust23THRUST_200600_302600_NS6detail15normal_iteratorINS9_10device_ptrIiEEEESE_SE_iNS9_10multipliesIiEENS9_8equal_toIiEEiEE10hipError_tPvRmT2_T3_T4_T5_mT6_T7_P12ihipStream_tbENKUlT_T0_E_clISt17integral_constantIbLb0EESZ_EEDaSU_SV_EUlSU_E_NS1_11comp_targetILNS1_3genE0ELNS1_11target_archE4294967295ELNS1_3gpuE0ELNS1_3repE0EEENS1_30default_config_static_selectorELNS0_4arch9wavefront6targetE0EEEvT1_,@function
_ZN7rocprim17ROCPRIM_400000_NS6detail17trampoline_kernelINS0_14default_configENS1_27scan_by_key_config_selectorIiiEEZZNS1_16scan_by_key_implILNS1_25lookback_scan_determinismE0ELb1ES3_N6thrust23THRUST_200600_302600_NS6detail15normal_iteratorINS9_10device_ptrIiEEEESE_SE_iNS9_10multipliesIiEENS9_8equal_toIiEEiEE10hipError_tPvRmT2_T3_T4_T5_mT6_T7_P12ihipStream_tbENKUlT_T0_E_clISt17integral_constantIbLb0EESZ_EEDaSU_SV_EUlSU_E_NS1_11comp_targetILNS1_3genE0ELNS1_11target_archE4294967295ELNS1_3gpuE0ELNS1_3repE0EEENS1_30default_config_static_selectorELNS0_4arch9wavefront6targetE0EEEvT1_: ; @_ZN7rocprim17ROCPRIM_400000_NS6detail17trampoline_kernelINS0_14default_configENS1_27scan_by_key_config_selectorIiiEEZZNS1_16scan_by_key_implILNS1_25lookback_scan_determinismE0ELb1ES3_N6thrust23THRUST_200600_302600_NS6detail15normal_iteratorINS9_10device_ptrIiEEEESE_SE_iNS9_10multipliesIiEENS9_8equal_toIiEEiEE10hipError_tPvRmT2_T3_T4_T5_mT6_T7_P12ihipStream_tbENKUlT_T0_E_clISt17integral_constantIbLb0EESZ_EEDaSU_SV_EUlSU_E_NS1_11comp_targetILNS1_3genE0ELNS1_11target_archE4294967295ELNS1_3gpuE0ELNS1_3repE0EEENS1_30default_config_static_selectorELNS0_4arch9wavefront6targetE0EEEvT1_
; %bb.0:
	.section	.rodata,"a",@progbits
	.p2align	6, 0x0
	.amdhsa_kernel _ZN7rocprim17ROCPRIM_400000_NS6detail17trampoline_kernelINS0_14default_configENS1_27scan_by_key_config_selectorIiiEEZZNS1_16scan_by_key_implILNS1_25lookback_scan_determinismE0ELb1ES3_N6thrust23THRUST_200600_302600_NS6detail15normal_iteratorINS9_10device_ptrIiEEEESE_SE_iNS9_10multipliesIiEENS9_8equal_toIiEEiEE10hipError_tPvRmT2_T3_T4_T5_mT6_T7_P12ihipStream_tbENKUlT_T0_E_clISt17integral_constantIbLb0EESZ_EEDaSU_SV_EUlSU_E_NS1_11comp_targetILNS1_3genE0ELNS1_11target_archE4294967295ELNS1_3gpuE0ELNS1_3repE0EEENS1_30default_config_static_selectorELNS0_4arch9wavefront6targetE0EEEvT1_
		.amdhsa_group_segment_fixed_size 0
		.amdhsa_private_segment_fixed_size 0
		.amdhsa_kernarg_size 112
		.amdhsa_user_sgpr_count 6
		.amdhsa_user_sgpr_private_segment_buffer 1
		.amdhsa_user_sgpr_dispatch_ptr 0
		.amdhsa_user_sgpr_queue_ptr 0
		.amdhsa_user_sgpr_kernarg_segment_ptr 1
		.amdhsa_user_sgpr_dispatch_id 0
		.amdhsa_user_sgpr_flat_scratch_init 0
		.amdhsa_user_sgpr_private_segment_size 0
		.amdhsa_wavefront_size32 1
		.amdhsa_uses_dynamic_stack 0
		.amdhsa_system_sgpr_private_segment_wavefront_offset 0
		.amdhsa_system_sgpr_workgroup_id_x 1
		.amdhsa_system_sgpr_workgroup_id_y 0
		.amdhsa_system_sgpr_workgroup_id_z 0
		.amdhsa_system_sgpr_workgroup_info 0
		.amdhsa_system_vgpr_workitem_id 0
		.amdhsa_next_free_vgpr 1
		.amdhsa_next_free_sgpr 1
		.amdhsa_reserve_vcc 0
		.amdhsa_reserve_flat_scratch 0
		.amdhsa_float_round_mode_32 0
		.amdhsa_float_round_mode_16_64 0
		.amdhsa_float_denorm_mode_32 3
		.amdhsa_float_denorm_mode_16_64 3
		.amdhsa_dx10_clamp 1
		.amdhsa_ieee_mode 1
		.amdhsa_fp16_overflow 0
		.amdhsa_workgroup_processor_mode 1
		.amdhsa_memory_ordered 1
		.amdhsa_forward_progress 1
		.amdhsa_shared_vgpr_count 0
		.amdhsa_exception_fp_ieee_invalid_op 0
		.amdhsa_exception_fp_denorm_src 0
		.amdhsa_exception_fp_ieee_div_zero 0
		.amdhsa_exception_fp_ieee_overflow 0
		.amdhsa_exception_fp_ieee_underflow 0
		.amdhsa_exception_fp_ieee_inexact 0
		.amdhsa_exception_int_div_zero 0
	.end_amdhsa_kernel
	.section	.text._ZN7rocprim17ROCPRIM_400000_NS6detail17trampoline_kernelINS0_14default_configENS1_27scan_by_key_config_selectorIiiEEZZNS1_16scan_by_key_implILNS1_25lookback_scan_determinismE0ELb1ES3_N6thrust23THRUST_200600_302600_NS6detail15normal_iteratorINS9_10device_ptrIiEEEESE_SE_iNS9_10multipliesIiEENS9_8equal_toIiEEiEE10hipError_tPvRmT2_T3_T4_T5_mT6_T7_P12ihipStream_tbENKUlT_T0_E_clISt17integral_constantIbLb0EESZ_EEDaSU_SV_EUlSU_E_NS1_11comp_targetILNS1_3genE0ELNS1_11target_archE4294967295ELNS1_3gpuE0ELNS1_3repE0EEENS1_30default_config_static_selectorELNS0_4arch9wavefront6targetE0EEEvT1_,"axG",@progbits,_ZN7rocprim17ROCPRIM_400000_NS6detail17trampoline_kernelINS0_14default_configENS1_27scan_by_key_config_selectorIiiEEZZNS1_16scan_by_key_implILNS1_25lookback_scan_determinismE0ELb1ES3_N6thrust23THRUST_200600_302600_NS6detail15normal_iteratorINS9_10device_ptrIiEEEESE_SE_iNS9_10multipliesIiEENS9_8equal_toIiEEiEE10hipError_tPvRmT2_T3_T4_T5_mT6_T7_P12ihipStream_tbENKUlT_T0_E_clISt17integral_constantIbLb0EESZ_EEDaSU_SV_EUlSU_E_NS1_11comp_targetILNS1_3genE0ELNS1_11target_archE4294967295ELNS1_3gpuE0ELNS1_3repE0EEENS1_30default_config_static_selectorELNS0_4arch9wavefront6targetE0EEEvT1_,comdat
.Lfunc_end497:
	.size	_ZN7rocprim17ROCPRIM_400000_NS6detail17trampoline_kernelINS0_14default_configENS1_27scan_by_key_config_selectorIiiEEZZNS1_16scan_by_key_implILNS1_25lookback_scan_determinismE0ELb1ES3_N6thrust23THRUST_200600_302600_NS6detail15normal_iteratorINS9_10device_ptrIiEEEESE_SE_iNS9_10multipliesIiEENS9_8equal_toIiEEiEE10hipError_tPvRmT2_T3_T4_T5_mT6_T7_P12ihipStream_tbENKUlT_T0_E_clISt17integral_constantIbLb0EESZ_EEDaSU_SV_EUlSU_E_NS1_11comp_targetILNS1_3genE0ELNS1_11target_archE4294967295ELNS1_3gpuE0ELNS1_3repE0EEENS1_30default_config_static_selectorELNS0_4arch9wavefront6targetE0EEEvT1_, .Lfunc_end497-_ZN7rocprim17ROCPRIM_400000_NS6detail17trampoline_kernelINS0_14default_configENS1_27scan_by_key_config_selectorIiiEEZZNS1_16scan_by_key_implILNS1_25lookback_scan_determinismE0ELb1ES3_N6thrust23THRUST_200600_302600_NS6detail15normal_iteratorINS9_10device_ptrIiEEEESE_SE_iNS9_10multipliesIiEENS9_8equal_toIiEEiEE10hipError_tPvRmT2_T3_T4_T5_mT6_T7_P12ihipStream_tbENKUlT_T0_E_clISt17integral_constantIbLb0EESZ_EEDaSU_SV_EUlSU_E_NS1_11comp_targetILNS1_3genE0ELNS1_11target_archE4294967295ELNS1_3gpuE0ELNS1_3repE0EEENS1_30default_config_static_selectorELNS0_4arch9wavefront6targetE0EEEvT1_
                                        ; -- End function
	.set _ZN7rocprim17ROCPRIM_400000_NS6detail17trampoline_kernelINS0_14default_configENS1_27scan_by_key_config_selectorIiiEEZZNS1_16scan_by_key_implILNS1_25lookback_scan_determinismE0ELb1ES3_N6thrust23THRUST_200600_302600_NS6detail15normal_iteratorINS9_10device_ptrIiEEEESE_SE_iNS9_10multipliesIiEENS9_8equal_toIiEEiEE10hipError_tPvRmT2_T3_T4_T5_mT6_T7_P12ihipStream_tbENKUlT_T0_E_clISt17integral_constantIbLb0EESZ_EEDaSU_SV_EUlSU_E_NS1_11comp_targetILNS1_3genE0ELNS1_11target_archE4294967295ELNS1_3gpuE0ELNS1_3repE0EEENS1_30default_config_static_selectorELNS0_4arch9wavefront6targetE0EEEvT1_.num_vgpr, 0
	.set _ZN7rocprim17ROCPRIM_400000_NS6detail17trampoline_kernelINS0_14default_configENS1_27scan_by_key_config_selectorIiiEEZZNS1_16scan_by_key_implILNS1_25lookback_scan_determinismE0ELb1ES3_N6thrust23THRUST_200600_302600_NS6detail15normal_iteratorINS9_10device_ptrIiEEEESE_SE_iNS9_10multipliesIiEENS9_8equal_toIiEEiEE10hipError_tPvRmT2_T3_T4_T5_mT6_T7_P12ihipStream_tbENKUlT_T0_E_clISt17integral_constantIbLb0EESZ_EEDaSU_SV_EUlSU_E_NS1_11comp_targetILNS1_3genE0ELNS1_11target_archE4294967295ELNS1_3gpuE0ELNS1_3repE0EEENS1_30default_config_static_selectorELNS0_4arch9wavefront6targetE0EEEvT1_.num_agpr, 0
	.set _ZN7rocprim17ROCPRIM_400000_NS6detail17trampoline_kernelINS0_14default_configENS1_27scan_by_key_config_selectorIiiEEZZNS1_16scan_by_key_implILNS1_25lookback_scan_determinismE0ELb1ES3_N6thrust23THRUST_200600_302600_NS6detail15normal_iteratorINS9_10device_ptrIiEEEESE_SE_iNS9_10multipliesIiEENS9_8equal_toIiEEiEE10hipError_tPvRmT2_T3_T4_T5_mT6_T7_P12ihipStream_tbENKUlT_T0_E_clISt17integral_constantIbLb0EESZ_EEDaSU_SV_EUlSU_E_NS1_11comp_targetILNS1_3genE0ELNS1_11target_archE4294967295ELNS1_3gpuE0ELNS1_3repE0EEENS1_30default_config_static_selectorELNS0_4arch9wavefront6targetE0EEEvT1_.numbered_sgpr, 0
	.set _ZN7rocprim17ROCPRIM_400000_NS6detail17trampoline_kernelINS0_14default_configENS1_27scan_by_key_config_selectorIiiEEZZNS1_16scan_by_key_implILNS1_25lookback_scan_determinismE0ELb1ES3_N6thrust23THRUST_200600_302600_NS6detail15normal_iteratorINS9_10device_ptrIiEEEESE_SE_iNS9_10multipliesIiEENS9_8equal_toIiEEiEE10hipError_tPvRmT2_T3_T4_T5_mT6_T7_P12ihipStream_tbENKUlT_T0_E_clISt17integral_constantIbLb0EESZ_EEDaSU_SV_EUlSU_E_NS1_11comp_targetILNS1_3genE0ELNS1_11target_archE4294967295ELNS1_3gpuE0ELNS1_3repE0EEENS1_30default_config_static_selectorELNS0_4arch9wavefront6targetE0EEEvT1_.num_named_barrier, 0
	.set _ZN7rocprim17ROCPRIM_400000_NS6detail17trampoline_kernelINS0_14default_configENS1_27scan_by_key_config_selectorIiiEEZZNS1_16scan_by_key_implILNS1_25lookback_scan_determinismE0ELb1ES3_N6thrust23THRUST_200600_302600_NS6detail15normal_iteratorINS9_10device_ptrIiEEEESE_SE_iNS9_10multipliesIiEENS9_8equal_toIiEEiEE10hipError_tPvRmT2_T3_T4_T5_mT6_T7_P12ihipStream_tbENKUlT_T0_E_clISt17integral_constantIbLb0EESZ_EEDaSU_SV_EUlSU_E_NS1_11comp_targetILNS1_3genE0ELNS1_11target_archE4294967295ELNS1_3gpuE0ELNS1_3repE0EEENS1_30default_config_static_selectorELNS0_4arch9wavefront6targetE0EEEvT1_.private_seg_size, 0
	.set _ZN7rocprim17ROCPRIM_400000_NS6detail17trampoline_kernelINS0_14default_configENS1_27scan_by_key_config_selectorIiiEEZZNS1_16scan_by_key_implILNS1_25lookback_scan_determinismE0ELb1ES3_N6thrust23THRUST_200600_302600_NS6detail15normal_iteratorINS9_10device_ptrIiEEEESE_SE_iNS9_10multipliesIiEENS9_8equal_toIiEEiEE10hipError_tPvRmT2_T3_T4_T5_mT6_T7_P12ihipStream_tbENKUlT_T0_E_clISt17integral_constantIbLb0EESZ_EEDaSU_SV_EUlSU_E_NS1_11comp_targetILNS1_3genE0ELNS1_11target_archE4294967295ELNS1_3gpuE0ELNS1_3repE0EEENS1_30default_config_static_selectorELNS0_4arch9wavefront6targetE0EEEvT1_.uses_vcc, 0
	.set _ZN7rocprim17ROCPRIM_400000_NS6detail17trampoline_kernelINS0_14default_configENS1_27scan_by_key_config_selectorIiiEEZZNS1_16scan_by_key_implILNS1_25lookback_scan_determinismE0ELb1ES3_N6thrust23THRUST_200600_302600_NS6detail15normal_iteratorINS9_10device_ptrIiEEEESE_SE_iNS9_10multipliesIiEENS9_8equal_toIiEEiEE10hipError_tPvRmT2_T3_T4_T5_mT6_T7_P12ihipStream_tbENKUlT_T0_E_clISt17integral_constantIbLb0EESZ_EEDaSU_SV_EUlSU_E_NS1_11comp_targetILNS1_3genE0ELNS1_11target_archE4294967295ELNS1_3gpuE0ELNS1_3repE0EEENS1_30default_config_static_selectorELNS0_4arch9wavefront6targetE0EEEvT1_.uses_flat_scratch, 0
	.set _ZN7rocprim17ROCPRIM_400000_NS6detail17trampoline_kernelINS0_14default_configENS1_27scan_by_key_config_selectorIiiEEZZNS1_16scan_by_key_implILNS1_25lookback_scan_determinismE0ELb1ES3_N6thrust23THRUST_200600_302600_NS6detail15normal_iteratorINS9_10device_ptrIiEEEESE_SE_iNS9_10multipliesIiEENS9_8equal_toIiEEiEE10hipError_tPvRmT2_T3_T4_T5_mT6_T7_P12ihipStream_tbENKUlT_T0_E_clISt17integral_constantIbLb0EESZ_EEDaSU_SV_EUlSU_E_NS1_11comp_targetILNS1_3genE0ELNS1_11target_archE4294967295ELNS1_3gpuE0ELNS1_3repE0EEENS1_30default_config_static_selectorELNS0_4arch9wavefront6targetE0EEEvT1_.has_dyn_sized_stack, 0
	.set _ZN7rocprim17ROCPRIM_400000_NS6detail17trampoline_kernelINS0_14default_configENS1_27scan_by_key_config_selectorIiiEEZZNS1_16scan_by_key_implILNS1_25lookback_scan_determinismE0ELb1ES3_N6thrust23THRUST_200600_302600_NS6detail15normal_iteratorINS9_10device_ptrIiEEEESE_SE_iNS9_10multipliesIiEENS9_8equal_toIiEEiEE10hipError_tPvRmT2_T3_T4_T5_mT6_T7_P12ihipStream_tbENKUlT_T0_E_clISt17integral_constantIbLb0EESZ_EEDaSU_SV_EUlSU_E_NS1_11comp_targetILNS1_3genE0ELNS1_11target_archE4294967295ELNS1_3gpuE0ELNS1_3repE0EEENS1_30default_config_static_selectorELNS0_4arch9wavefront6targetE0EEEvT1_.has_recursion, 0
	.set _ZN7rocprim17ROCPRIM_400000_NS6detail17trampoline_kernelINS0_14default_configENS1_27scan_by_key_config_selectorIiiEEZZNS1_16scan_by_key_implILNS1_25lookback_scan_determinismE0ELb1ES3_N6thrust23THRUST_200600_302600_NS6detail15normal_iteratorINS9_10device_ptrIiEEEESE_SE_iNS9_10multipliesIiEENS9_8equal_toIiEEiEE10hipError_tPvRmT2_T3_T4_T5_mT6_T7_P12ihipStream_tbENKUlT_T0_E_clISt17integral_constantIbLb0EESZ_EEDaSU_SV_EUlSU_E_NS1_11comp_targetILNS1_3genE0ELNS1_11target_archE4294967295ELNS1_3gpuE0ELNS1_3repE0EEENS1_30default_config_static_selectorELNS0_4arch9wavefront6targetE0EEEvT1_.has_indirect_call, 0
	.section	.AMDGPU.csdata,"",@progbits
; Kernel info:
; codeLenInByte = 0
; TotalNumSgprs: 0
; NumVgprs: 0
; ScratchSize: 0
; MemoryBound: 0
; FloatMode: 240
; IeeeMode: 1
; LDSByteSize: 0 bytes/workgroup (compile time only)
; SGPRBlocks: 0
; VGPRBlocks: 0
; NumSGPRsForWavesPerEU: 1
; NumVGPRsForWavesPerEU: 1
; Occupancy: 16
; WaveLimiterHint : 0
; COMPUTE_PGM_RSRC2:SCRATCH_EN: 0
; COMPUTE_PGM_RSRC2:USER_SGPR: 6
; COMPUTE_PGM_RSRC2:TRAP_HANDLER: 0
; COMPUTE_PGM_RSRC2:TGID_X_EN: 1
; COMPUTE_PGM_RSRC2:TGID_Y_EN: 0
; COMPUTE_PGM_RSRC2:TGID_Z_EN: 0
; COMPUTE_PGM_RSRC2:TIDIG_COMP_CNT: 0
	.section	.text._ZN7rocprim17ROCPRIM_400000_NS6detail17trampoline_kernelINS0_14default_configENS1_27scan_by_key_config_selectorIiiEEZZNS1_16scan_by_key_implILNS1_25lookback_scan_determinismE0ELb1ES3_N6thrust23THRUST_200600_302600_NS6detail15normal_iteratorINS9_10device_ptrIiEEEESE_SE_iNS9_10multipliesIiEENS9_8equal_toIiEEiEE10hipError_tPvRmT2_T3_T4_T5_mT6_T7_P12ihipStream_tbENKUlT_T0_E_clISt17integral_constantIbLb0EESZ_EEDaSU_SV_EUlSU_E_NS1_11comp_targetILNS1_3genE10ELNS1_11target_archE1201ELNS1_3gpuE5ELNS1_3repE0EEENS1_30default_config_static_selectorELNS0_4arch9wavefront6targetE0EEEvT1_,"axG",@progbits,_ZN7rocprim17ROCPRIM_400000_NS6detail17trampoline_kernelINS0_14default_configENS1_27scan_by_key_config_selectorIiiEEZZNS1_16scan_by_key_implILNS1_25lookback_scan_determinismE0ELb1ES3_N6thrust23THRUST_200600_302600_NS6detail15normal_iteratorINS9_10device_ptrIiEEEESE_SE_iNS9_10multipliesIiEENS9_8equal_toIiEEiEE10hipError_tPvRmT2_T3_T4_T5_mT6_T7_P12ihipStream_tbENKUlT_T0_E_clISt17integral_constantIbLb0EESZ_EEDaSU_SV_EUlSU_E_NS1_11comp_targetILNS1_3genE10ELNS1_11target_archE1201ELNS1_3gpuE5ELNS1_3repE0EEENS1_30default_config_static_selectorELNS0_4arch9wavefront6targetE0EEEvT1_,comdat
	.protected	_ZN7rocprim17ROCPRIM_400000_NS6detail17trampoline_kernelINS0_14default_configENS1_27scan_by_key_config_selectorIiiEEZZNS1_16scan_by_key_implILNS1_25lookback_scan_determinismE0ELb1ES3_N6thrust23THRUST_200600_302600_NS6detail15normal_iteratorINS9_10device_ptrIiEEEESE_SE_iNS9_10multipliesIiEENS9_8equal_toIiEEiEE10hipError_tPvRmT2_T3_T4_T5_mT6_T7_P12ihipStream_tbENKUlT_T0_E_clISt17integral_constantIbLb0EESZ_EEDaSU_SV_EUlSU_E_NS1_11comp_targetILNS1_3genE10ELNS1_11target_archE1201ELNS1_3gpuE5ELNS1_3repE0EEENS1_30default_config_static_selectorELNS0_4arch9wavefront6targetE0EEEvT1_ ; -- Begin function _ZN7rocprim17ROCPRIM_400000_NS6detail17trampoline_kernelINS0_14default_configENS1_27scan_by_key_config_selectorIiiEEZZNS1_16scan_by_key_implILNS1_25lookback_scan_determinismE0ELb1ES3_N6thrust23THRUST_200600_302600_NS6detail15normal_iteratorINS9_10device_ptrIiEEEESE_SE_iNS9_10multipliesIiEENS9_8equal_toIiEEiEE10hipError_tPvRmT2_T3_T4_T5_mT6_T7_P12ihipStream_tbENKUlT_T0_E_clISt17integral_constantIbLb0EESZ_EEDaSU_SV_EUlSU_E_NS1_11comp_targetILNS1_3genE10ELNS1_11target_archE1201ELNS1_3gpuE5ELNS1_3repE0EEENS1_30default_config_static_selectorELNS0_4arch9wavefront6targetE0EEEvT1_
	.globl	_ZN7rocprim17ROCPRIM_400000_NS6detail17trampoline_kernelINS0_14default_configENS1_27scan_by_key_config_selectorIiiEEZZNS1_16scan_by_key_implILNS1_25lookback_scan_determinismE0ELb1ES3_N6thrust23THRUST_200600_302600_NS6detail15normal_iteratorINS9_10device_ptrIiEEEESE_SE_iNS9_10multipliesIiEENS9_8equal_toIiEEiEE10hipError_tPvRmT2_T3_T4_T5_mT6_T7_P12ihipStream_tbENKUlT_T0_E_clISt17integral_constantIbLb0EESZ_EEDaSU_SV_EUlSU_E_NS1_11comp_targetILNS1_3genE10ELNS1_11target_archE1201ELNS1_3gpuE5ELNS1_3repE0EEENS1_30default_config_static_selectorELNS0_4arch9wavefront6targetE0EEEvT1_
	.p2align	8
	.type	_ZN7rocprim17ROCPRIM_400000_NS6detail17trampoline_kernelINS0_14default_configENS1_27scan_by_key_config_selectorIiiEEZZNS1_16scan_by_key_implILNS1_25lookback_scan_determinismE0ELb1ES3_N6thrust23THRUST_200600_302600_NS6detail15normal_iteratorINS9_10device_ptrIiEEEESE_SE_iNS9_10multipliesIiEENS9_8equal_toIiEEiEE10hipError_tPvRmT2_T3_T4_T5_mT6_T7_P12ihipStream_tbENKUlT_T0_E_clISt17integral_constantIbLb0EESZ_EEDaSU_SV_EUlSU_E_NS1_11comp_targetILNS1_3genE10ELNS1_11target_archE1201ELNS1_3gpuE5ELNS1_3repE0EEENS1_30default_config_static_selectorELNS0_4arch9wavefront6targetE0EEEvT1_,@function
_ZN7rocprim17ROCPRIM_400000_NS6detail17trampoline_kernelINS0_14default_configENS1_27scan_by_key_config_selectorIiiEEZZNS1_16scan_by_key_implILNS1_25lookback_scan_determinismE0ELb1ES3_N6thrust23THRUST_200600_302600_NS6detail15normal_iteratorINS9_10device_ptrIiEEEESE_SE_iNS9_10multipliesIiEENS9_8equal_toIiEEiEE10hipError_tPvRmT2_T3_T4_T5_mT6_T7_P12ihipStream_tbENKUlT_T0_E_clISt17integral_constantIbLb0EESZ_EEDaSU_SV_EUlSU_E_NS1_11comp_targetILNS1_3genE10ELNS1_11target_archE1201ELNS1_3gpuE5ELNS1_3repE0EEENS1_30default_config_static_selectorELNS0_4arch9wavefront6targetE0EEEvT1_: ; @_ZN7rocprim17ROCPRIM_400000_NS6detail17trampoline_kernelINS0_14default_configENS1_27scan_by_key_config_selectorIiiEEZZNS1_16scan_by_key_implILNS1_25lookback_scan_determinismE0ELb1ES3_N6thrust23THRUST_200600_302600_NS6detail15normal_iteratorINS9_10device_ptrIiEEEESE_SE_iNS9_10multipliesIiEENS9_8equal_toIiEEiEE10hipError_tPvRmT2_T3_T4_T5_mT6_T7_P12ihipStream_tbENKUlT_T0_E_clISt17integral_constantIbLb0EESZ_EEDaSU_SV_EUlSU_E_NS1_11comp_targetILNS1_3genE10ELNS1_11target_archE1201ELNS1_3gpuE5ELNS1_3repE0EEENS1_30default_config_static_selectorELNS0_4arch9wavefront6targetE0EEEvT1_
; %bb.0:
	.section	.rodata,"a",@progbits
	.p2align	6, 0x0
	.amdhsa_kernel _ZN7rocprim17ROCPRIM_400000_NS6detail17trampoline_kernelINS0_14default_configENS1_27scan_by_key_config_selectorIiiEEZZNS1_16scan_by_key_implILNS1_25lookback_scan_determinismE0ELb1ES3_N6thrust23THRUST_200600_302600_NS6detail15normal_iteratorINS9_10device_ptrIiEEEESE_SE_iNS9_10multipliesIiEENS9_8equal_toIiEEiEE10hipError_tPvRmT2_T3_T4_T5_mT6_T7_P12ihipStream_tbENKUlT_T0_E_clISt17integral_constantIbLb0EESZ_EEDaSU_SV_EUlSU_E_NS1_11comp_targetILNS1_3genE10ELNS1_11target_archE1201ELNS1_3gpuE5ELNS1_3repE0EEENS1_30default_config_static_selectorELNS0_4arch9wavefront6targetE0EEEvT1_
		.amdhsa_group_segment_fixed_size 0
		.amdhsa_private_segment_fixed_size 0
		.amdhsa_kernarg_size 112
		.amdhsa_user_sgpr_count 6
		.amdhsa_user_sgpr_private_segment_buffer 1
		.amdhsa_user_sgpr_dispatch_ptr 0
		.amdhsa_user_sgpr_queue_ptr 0
		.amdhsa_user_sgpr_kernarg_segment_ptr 1
		.amdhsa_user_sgpr_dispatch_id 0
		.amdhsa_user_sgpr_flat_scratch_init 0
		.amdhsa_user_sgpr_private_segment_size 0
		.amdhsa_wavefront_size32 1
		.amdhsa_uses_dynamic_stack 0
		.amdhsa_system_sgpr_private_segment_wavefront_offset 0
		.amdhsa_system_sgpr_workgroup_id_x 1
		.amdhsa_system_sgpr_workgroup_id_y 0
		.amdhsa_system_sgpr_workgroup_id_z 0
		.amdhsa_system_sgpr_workgroup_info 0
		.amdhsa_system_vgpr_workitem_id 0
		.amdhsa_next_free_vgpr 1
		.amdhsa_next_free_sgpr 1
		.amdhsa_reserve_vcc 0
		.amdhsa_reserve_flat_scratch 0
		.amdhsa_float_round_mode_32 0
		.amdhsa_float_round_mode_16_64 0
		.amdhsa_float_denorm_mode_32 3
		.amdhsa_float_denorm_mode_16_64 3
		.amdhsa_dx10_clamp 1
		.amdhsa_ieee_mode 1
		.amdhsa_fp16_overflow 0
		.amdhsa_workgroup_processor_mode 1
		.amdhsa_memory_ordered 1
		.amdhsa_forward_progress 1
		.amdhsa_shared_vgpr_count 0
		.amdhsa_exception_fp_ieee_invalid_op 0
		.amdhsa_exception_fp_denorm_src 0
		.amdhsa_exception_fp_ieee_div_zero 0
		.amdhsa_exception_fp_ieee_overflow 0
		.amdhsa_exception_fp_ieee_underflow 0
		.amdhsa_exception_fp_ieee_inexact 0
		.amdhsa_exception_int_div_zero 0
	.end_amdhsa_kernel
	.section	.text._ZN7rocprim17ROCPRIM_400000_NS6detail17trampoline_kernelINS0_14default_configENS1_27scan_by_key_config_selectorIiiEEZZNS1_16scan_by_key_implILNS1_25lookback_scan_determinismE0ELb1ES3_N6thrust23THRUST_200600_302600_NS6detail15normal_iteratorINS9_10device_ptrIiEEEESE_SE_iNS9_10multipliesIiEENS9_8equal_toIiEEiEE10hipError_tPvRmT2_T3_T4_T5_mT6_T7_P12ihipStream_tbENKUlT_T0_E_clISt17integral_constantIbLb0EESZ_EEDaSU_SV_EUlSU_E_NS1_11comp_targetILNS1_3genE10ELNS1_11target_archE1201ELNS1_3gpuE5ELNS1_3repE0EEENS1_30default_config_static_selectorELNS0_4arch9wavefront6targetE0EEEvT1_,"axG",@progbits,_ZN7rocprim17ROCPRIM_400000_NS6detail17trampoline_kernelINS0_14default_configENS1_27scan_by_key_config_selectorIiiEEZZNS1_16scan_by_key_implILNS1_25lookback_scan_determinismE0ELb1ES3_N6thrust23THRUST_200600_302600_NS6detail15normal_iteratorINS9_10device_ptrIiEEEESE_SE_iNS9_10multipliesIiEENS9_8equal_toIiEEiEE10hipError_tPvRmT2_T3_T4_T5_mT6_T7_P12ihipStream_tbENKUlT_T0_E_clISt17integral_constantIbLb0EESZ_EEDaSU_SV_EUlSU_E_NS1_11comp_targetILNS1_3genE10ELNS1_11target_archE1201ELNS1_3gpuE5ELNS1_3repE0EEENS1_30default_config_static_selectorELNS0_4arch9wavefront6targetE0EEEvT1_,comdat
.Lfunc_end498:
	.size	_ZN7rocprim17ROCPRIM_400000_NS6detail17trampoline_kernelINS0_14default_configENS1_27scan_by_key_config_selectorIiiEEZZNS1_16scan_by_key_implILNS1_25lookback_scan_determinismE0ELb1ES3_N6thrust23THRUST_200600_302600_NS6detail15normal_iteratorINS9_10device_ptrIiEEEESE_SE_iNS9_10multipliesIiEENS9_8equal_toIiEEiEE10hipError_tPvRmT2_T3_T4_T5_mT6_T7_P12ihipStream_tbENKUlT_T0_E_clISt17integral_constantIbLb0EESZ_EEDaSU_SV_EUlSU_E_NS1_11comp_targetILNS1_3genE10ELNS1_11target_archE1201ELNS1_3gpuE5ELNS1_3repE0EEENS1_30default_config_static_selectorELNS0_4arch9wavefront6targetE0EEEvT1_, .Lfunc_end498-_ZN7rocprim17ROCPRIM_400000_NS6detail17trampoline_kernelINS0_14default_configENS1_27scan_by_key_config_selectorIiiEEZZNS1_16scan_by_key_implILNS1_25lookback_scan_determinismE0ELb1ES3_N6thrust23THRUST_200600_302600_NS6detail15normal_iteratorINS9_10device_ptrIiEEEESE_SE_iNS9_10multipliesIiEENS9_8equal_toIiEEiEE10hipError_tPvRmT2_T3_T4_T5_mT6_T7_P12ihipStream_tbENKUlT_T0_E_clISt17integral_constantIbLb0EESZ_EEDaSU_SV_EUlSU_E_NS1_11comp_targetILNS1_3genE10ELNS1_11target_archE1201ELNS1_3gpuE5ELNS1_3repE0EEENS1_30default_config_static_selectorELNS0_4arch9wavefront6targetE0EEEvT1_
                                        ; -- End function
	.set _ZN7rocprim17ROCPRIM_400000_NS6detail17trampoline_kernelINS0_14default_configENS1_27scan_by_key_config_selectorIiiEEZZNS1_16scan_by_key_implILNS1_25lookback_scan_determinismE0ELb1ES3_N6thrust23THRUST_200600_302600_NS6detail15normal_iteratorINS9_10device_ptrIiEEEESE_SE_iNS9_10multipliesIiEENS9_8equal_toIiEEiEE10hipError_tPvRmT2_T3_T4_T5_mT6_T7_P12ihipStream_tbENKUlT_T0_E_clISt17integral_constantIbLb0EESZ_EEDaSU_SV_EUlSU_E_NS1_11comp_targetILNS1_3genE10ELNS1_11target_archE1201ELNS1_3gpuE5ELNS1_3repE0EEENS1_30default_config_static_selectorELNS0_4arch9wavefront6targetE0EEEvT1_.num_vgpr, 0
	.set _ZN7rocprim17ROCPRIM_400000_NS6detail17trampoline_kernelINS0_14default_configENS1_27scan_by_key_config_selectorIiiEEZZNS1_16scan_by_key_implILNS1_25lookback_scan_determinismE0ELb1ES3_N6thrust23THRUST_200600_302600_NS6detail15normal_iteratorINS9_10device_ptrIiEEEESE_SE_iNS9_10multipliesIiEENS9_8equal_toIiEEiEE10hipError_tPvRmT2_T3_T4_T5_mT6_T7_P12ihipStream_tbENKUlT_T0_E_clISt17integral_constantIbLb0EESZ_EEDaSU_SV_EUlSU_E_NS1_11comp_targetILNS1_3genE10ELNS1_11target_archE1201ELNS1_3gpuE5ELNS1_3repE0EEENS1_30default_config_static_selectorELNS0_4arch9wavefront6targetE0EEEvT1_.num_agpr, 0
	.set _ZN7rocprim17ROCPRIM_400000_NS6detail17trampoline_kernelINS0_14default_configENS1_27scan_by_key_config_selectorIiiEEZZNS1_16scan_by_key_implILNS1_25lookback_scan_determinismE0ELb1ES3_N6thrust23THRUST_200600_302600_NS6detail15normal_iteratorINS9_10device_ptrIiEEEESE_SE_iNS9_10multipliesIiEENS9_8equal_toIiEEiEE10hipError_tPvRmT2_T3_T4_T5_mT6_T7_P12ihipStream_tbENKUlT_T0_E_clISt17integral_constantIbLb0EESZ_EEDaSU_SV_EUlSU_E_NS1_11comp_targetILNS1_3genE10ELNS1_11target_archE1201ELNS1_3gpuE5ELNS1_3repE0EEENS1_30default_config_static_selectorELNS0_4arch9wavefront6targetE0EEEvT1_.numbered_sgpr, 0
	.set _ZN7rocprim17ROCPRIM_400000_NS6detail17trampoline_kernelINS0_14default_configENS1_27scan_by_key_config_selectorIiiEEZZNS1_16scan_by_key_implILNS1_25lookback_scan_determinismE0ELb1ES3_N6thrust23THRUST_200600_302600_NS6detail15normal_iteratorINS9_10device_ptrIiEEEESE_SE_iNS9_10multipliesIiEENS9_8equal_toIiEEiEE10hipError_tPvRmT2_T3_T4_T5_mT6_T7_P12ihipStream_tbENKUlT_T0_E_clISt17integral_constantIbLb0EESZ_EEDaSU_SV_EUlSU_E_NS1_11comp_targetILNS1_3genE10ELNS1_11target_archE1201ELNS1_3gpuE5ELNS1_3repE0EEENS1_30default_config_static_selectorELNS0_4arch9wavefront6targetE0EEEvT1_.num_named_barrier, 0
	.set _ZN7rocprim17ROCPRIM_400000_NS6detail17trampoline_kernelINS0_14default_configENS1_27scan_by_key_config_selectorIiiEEZZNS1_16scan_by_key_implILNS1_25lookback_scan_determinismE0ELb1ES3_N6thrust23THRUST_200600_302600_NS6detail15normal_iteratorINS9_10device_ptrIiEEEESE_SE_iNS9_10multipliesIiEENS9_8equal_toIiEEiEE10hipError_tPvRmT2_T3_T4_T5_mT6_T7_P12ihipStream_tbENKUlT_T0_E_clISt17integral_constantIbLb0EESZ_EEDaSU_SV_EUlSU_E_NS1_11comp_targetILNS1_3genE10ELNS1_11target_archE1201ELNS1_3gpuE5ELNS1_3repE0EEENS1_30default_config_static_selectorELNS0_4arch9wavefront6targetE0EEEvT1_.private_seg_size, 0
	.set _ZN7rocprim17ROCPRIM_400000_NS6detail17trampoline_kernelINS0_14default_configENS1_27scan_by_key_config_selectorIiiEEZZNS1_16scan_by_key_implILNS1_25lookback_scan_determinismE0ELb1ES3_N6thrust23THRUST_200600_302600_NS6detail15normal_iteratorINS9_10device_ptrIiEEEESE_SE_iNS9_10multipliesIiEENS9_8equal_toIiEEiEE10hipError_tPvRmT2_T3_T4_T5_mT6_T7_P12ihipStream_tbENKUlT_T0_E_clISt17integral_constantIbLb0EESZ_EEDaSU_SV_EUlSU_E_NS1_11comp_targetILNS1_3genE10ELNS1_11target_archE1201ELNS1_3gpuE5ELNS1_3repE0EEENS1_30default_config_static_selectorELNS0_4arch9wavefront6targetE0EEEvT1_.uses_vcc, 0
	.set _ZN7rocprim17ROCPRIM_400000_NS6detail17trampoline_kernelINS0_14default_configENS1_27scan_by_key_config_selectorIiiEEZZNS1_16scan_by_key_implILNS1_25lookback_scan_determinismE0ELb1ES3_N6thrust23THRUST_200600_302600_NS6detail15normal_iteratorINS9_10device_ptrIiEEEESE_SE_iNS9_10multipliesIiEENS9_8equal_toIiEEiEE10hipError_tPvRmT2_T3_T4_T5_mT6_T7_P12ihipStream_tbENKUlT_T0_E_clISt17integral_constantIbLb0EESZ_EEDaSU_SV_EUlSU_E_NS1_11comp_targetILNS1_3genE10ELNS1_11target_archE1201ELNS1_3gpuE5ELNS1_3repE0EEENS1_30default_config_static_selectorELNS0_4arch9wavefront6targetE0EEEvT1_.uses_flat_scratch, 0
	.set _ZN7rocprim17ROCPRIM_400000_NS6detail17trampoline_kernelINS0_14default_configENS1_27scan_by_key_config_selectorIiiEEZZNS1_16scan_by_key_implILNS1_25lookback_scan_determinismE0ELb1ES3_N6thrust23THRUST_200600_302600_NS6detail15normal_iteratorINS9_10device_ptrIiEEEESE_SE_iNS9_10multipliesIiEENS9_8equal_toIiEEiEE10hipError_tPvRmT2_T3_T4_T5_mT6_T7_P12ihipStream_tbENKUlT_T0_E_clISt17integral_constantIbLb0EESZ_EEDaSU_SV_EUlSU_E_NS1_11comp_targetILNS1_3genE10ELNS1_11target_archE1201ELNS1_3gpuE5ELNS1_3repE0EEENS1_30default_config_static_selectorELNS0_4arch9wavefront6targetE0EEEvT1_.has_dyn_sized_stack, 0
	.set _ZN7rocprim17ROCPRIM_400000_NS6detail17trampoline_kernelINS0_14default_configENS1_27scan_by_key_config_selectorIiiEEZZNS1_16scan_by_key_implILNS1_25lookback_scan_determinismE0ELb1ES3_N6thrust23THRUST_200600_302600_NS6detail15normal_iteratorINS9_10device_ptrIiEEEESE_SE_iNS9_10multipliesIiEENS9_8equal_toIiEEiEE10hipError_tPvRmT2_T3_T4_T5_mT6_T7_P12ihipStream_tbENKUlT_T0_E_clISt17integral_constantIbLb0EESZ_EEDaSU_SV_EUlSU_E_NS1_11comp_targetILNS1_3genE10ELNS1_11target_archE1201ELNS1_3gpuE5ELNS1_3repE0EEENS1_30default_config_static_selectorELNS0_4arch9wavefront6targetE0EEEvT1_.has_recursion, 0
	.set _ZN7rocprim17ROCPRIM_400000_NS6detail17trampoline_kernelINS0_14default_configENS1_27scan_by_key_config_selectorIiiEEZZNS1_16scan_by_key_implILNS1_25lookback_scan_determinismE0ELb1ES3_N6thrust23THRUST_200600_302600_NS6detail15normal_iteratorINS9_10device_ptrIiEEEESE_SE_iNS9_10multipliesIiEENS9_8equal_toIiEEiEE10hipError_tPvRmT2_T3_T4_T5_mT6_T7_P12ihipStream_tbENKUlT_T0_E_clISt17integral_constantIbLb0EESZ_EEDaSU_SV_EUlSU_E_NS1_11comp_targetILNS1_3genE10ELNS1_11target_archE1201ELNS1_3gpuE5ELNS1_3repE0EEENS1_30default_config_static_selectorELNS0_4arch9wavefront6targetE0EEEvT1_.has_indirect_call, 0
	.section	.AMDGPU.csdata,"",@progbits
; Kernel info:
; codeLenInByte = 0
; TotalNumSgprs: 0
; NumVgprs: 0
; ScratchSize: 0
; MemoryBound: 0
; FloatMode: 240
; IeeeMode: 1
; LDSByteSize: 0 bytes/workgroup (compile time only)
; SGPRBlocks: 0
; VGPRBlocks: 0
; NumSGPRsForWavesPerEU: 1
; NumVGPRsForWavesPerEU: 1
; Occupancy: 16
; WaveLimiterHint : 0
; COMPUTE_PGM_RSRC2:SCRATCH_EN: 0
; COMPUTE_PGM_RSRC2:USER_SGPR: 6
; COMPUTE_PGM_RSRC2:TRAP_HANDLER: 0
; COMPUTE_PGM_RSRC2:TGID_X_EN: 1
; COMPUTE_PGM_RSRC2:TGID_Y_EN: 0
; COMPUTE_PGM_RSRC2:TGID_Z_EN: 0
; COMPUTE_PGM_RSRC2:TIDIG_COMP_CNT: 0
	.section	.text._ZN7rocprim17ROCPRIM_400000_NS6detail17trampoline_kernelINS0_14default_configENS1_27scan_by_key_config_selectorIiiEEZZNS1_16scan_by_key_implILNS1_25lookback_scan_determinismE0ELb1ES3_N6thrust23THRUST_200600_302600_NS6detail15normal_iteratorINS9_10device_ptrIiEEEESE_SE_iNS9_10multipliesIiEENS9_8equal_toIiEEiEE10hipError_tPvRmT2_T3_T4_T5_mT6_T7_P12ihipStream_tbENKUlT_T0_E_clISt17integral_constantIbLb0EESZ_EEDaSU_SV_EUlSU_E_NS1_11comp_targetILNS1_3genE5ELNS1_11target_archE942ELNS1_3gpuE9ELNS1_3repE0EEENS1_30default_config_static_selectorELNS0_4arch9wavefront6targetE0EEEvT1_,"axG",@progbits,_ZN7rocprim17ROCPRIM_400000_NS6detail17trampoline_kernelINS0_14default_configENS1_27scan_by_key_config_selectorIiiEEZZNS1_16scan_by_key_implILNS1_25lookback_scan_determinismE0ELb1ES3_N6thrust23THRUST_200600_302600_NS6detail15normal_iteratorINS9_10device_ptrIiEEEESE_SE_iNS9_10multipliesIiEENS9_8equal_toIiEEiEE10hipError_tPvRmT2_T3_T4_T5_mT6_T7_P12ihipStream_tbENKUlT_T0_E_clISt17integral_constantIbLb0EESZ_EEDaSU_SV_EUlSU_E_NS1_11comp_targetILNS1_3genE5ELNS1_11target_archE942ELNS1_3gpuE9ELNS1_3repE0EEENS1_30default_config_static_selectorELNS0_4arch9wavefront6targetE0EEEvT1_,comdat
	.protected	_ZN7rocprim17ROCPRIM_400000_NS6detail17trampoline_kernelINS0_14default_configENS1_27scan_by_key_config_selectorIiiEEZZNS1_16scan_by_key_implILNS1_25lookback_scan_determinismE0ELb1ES3_N6thrust23THRUST_200600_302600_NS6detail15normal_iteratorINS9_10device_ptrIiEEEESE_SE_iNS9_10multipliesIiEENS9_8equal_toIiEEiEE10hipError_tPvRmT2_T3_T4_T5_mT6_T7_P12ihipStream_tbENKUlT_T0_E_clISt17integral_constantIbLb0EESZ_EEDaSU_SV_EUlSU_E_NS1_11comp_targetILNS1_3genE5ELNS1_11target_archE942ELNS1_3gpuE9ELNS1_3repE0EEENS1_30default_config_static_selectorELNS0_4arch9wavefront6targetE0EEEvT1_ ; -- Begin function _ZN7rocprim17ROCPRIM_400000_NS6detail17trampoline_kernelINS0_14default_configENS1_27scan_by_key_config_selectorIiiEEZZNS1_16scan_by_key_implILNS1_25lookback_scan_determinismE0ELb1ES3_N6thrust23THRUST_200600_302600_NS6detail15normal_iteratorINS9_10device_ptrIiEEEESE_SE_iNS9_10multipliesIiEENS9_8equal_toIiEEiEE10hipError_tPvRmT2_T3_T4_T5_mT6_T7_P12ihipStream_tbENKUlT_T0_E_clISt17integral_constantIbLb0EESZ_EEDaSU_SV_EUlSU_E_NS1_11comp_targetILNS1_3genE5ELNS1_11target_archE942ELNS1_3gpuE9ELNS1_3repE0EEENS1_30default_config_static_selectorELNS0_4arch9wavefront6targetE0EEEvT1_
	.globl	_ZN7rocprim17ROCPRIM_400000_NS6detail17trampoline_kernelINS0_14default_configENS1_27scan_by_key_config_selectorIiiEEZZNS1_16scan_by_key_implILNS1_25lookback_scan_determinismE0ELb1ES3_N6thrust23THRUST_200600_302600_NS6detail15normal_iteratorINS9_10device_ptrIiEEEESE_SE_iNS9_10multipliesIiEENS9_8equal_toIiEEiEE10hipError_tPvRmT2_T3_T4_T5_mT6_T7_P12ihipStream_tbENKUlT_T0_E_clISt17integral_constantIbLb0EESZ_EEDaSU_SV_EUlSU_E_NS1_11comp_targetILNS1_3genE5ELNS1_11target_archE942ELNS1_3gpuE9ELNS1_3repE0EEENS1_30default_config_static_selectorELNS0_4arch9wavefront6targetE0EEEvT1_
	.p2align	8
	.type	_ZN7rocprim17ROCPRIM_400000_NS6detail17trampoline_kernelINS0_14default_configENS1_27scan_by_key_config_selectorIiiEEZZNS1_16scan_by_key_implILNS1_25lookback_scan_determinismE0ELb1ES3_N6thrust23THRUST_200600_302600_NS6detail15normal_iteratorINS9_10device_ptrIiEEEESE_SE_iNS9_10multipliesIiEENS9_8equal_toIiEEiEE10hipError_tPvRmT2_T3_T4_T5_mT6_T7_P12ihipStream_tbENKUlT_T0_E_clISt17integral_constantIbLb0EESZ_EEDaSU_SV_EUlSU_E_NS1_11comp_targetILNS1_3genE5ELNS1_11target_archE942ELNS1_3gpuE9ELNS1_3repE0EEENS1_30default_config_static_selectorELNS0_4arch9wavefront6targetE0EEEvT1_,@function
_ZN7rocprim17ROCPRIM_400000_NS6detail17trampoline_kernelINS0_14default_configENS1_27scan_by_key_config_selectorIiiEEZZNS1_16scan_by_key_implILNS1_25lookback_scan_determinismE0ELb1ES3_N6thrust23THRUST_200600_302600_NS6detail15normal_iteratorINS9_10device_ptrIiEEEESE_SE_iNS9_10multipliesIiEENS9_8equal_toIiEEiEE10hipError_tPvRmT2_T3_T4_T5_mT6_T7_P12ihipStream_tbENKUlT_T0_E_clISt17integral_constantIbLb0EESZ_EEDaSU_SV_EUlSU_E_NS1_11comp_targetILNS1_3genE5ELNS1_11target_archE942ELNS1_3gpuE9ELNS1_3repE0EEENS1_30default_config_static_selectorELNS0_4arch9wavefront6targetE0EEEvT1_: ; @_ZN7rocprim17ROCPRIM_400000_NS6detail17trampoline_kernelINS0_14default_configENS1_27scan_by_key_config_selectorIiiEEZZNS1_16scan_by_key_implILNS1_25lookback_scan_determinismE0ELb1ES3_N6thrust23THRUST_200600_302600_NS6detail15normal_iteratorINS9_10device_ptrIiEEEESE_SE_iNS9_10multipliesIiEENS9_8equal_toIiEEiEE10hipError_tPvRmT2_T3_T4_T5_mT6_T7_P12ihipStream_tbENKUlT_T0_E_clISt17integral_constantIbLb0EESZ_EEDaSU_SV_EUlSU_E_NS1_11comp_targetILNS1_3genE5ELNS1_11target_archE942ELNS1_3gpuE9ELNS1_3repE0EEENS1_30default_config_static_selectorELNS0_4arch9wavefront6targetE0EEEvT1_
; %bb.0:
	.section	.rodata,"a",@progbits
	.p2align	6, 0x0
	.amdhsa_kernel _ZN7rocprim17ROCPRIM_400000_NS6detail17trampoline_kernelINS0_14default_configENS1_27scan_by_key_config_selectorIiiEEZZNS1_16scan_by_key_implILNS1_25lookback_scan_determinismE0ELb1ES3_N6thrust23THRUST_200600_302600_NS6detail15normal_iteratorINS9_10device_ptrIiEEEESE_SE_iNS9_10multipliesIiEENS9_8equal_toIiEEiEE10hipError_tPvRmT2_T3_T4_T5_mT6_T7_P12ihipStream_tbENKUlT_T0_E_clISt17integral_constantIbLb0EESZ_EEDaSU_SV_EUlSU_E_NS1_11comp_targetILNS1_3genE5ELNS1_11target_archE942ELNS1_3gpuE9ELNS1_3repE0EEENS1_30default_config_static_selectorELNS0_4arch9wavefront6targetE0EEEvT1_
		.amdhsa_group_segment_fixed_size 0
		.amdhsa_private_segment_fixed_size 0
		.amdhsa_kernarg_size 112
		.amdhsa_user_sgpr_count 6
		.amdhsa_user_sgpr_private_segment_buffer 1
		.amdhsa_user_sgpr_dispatch_ptr 0
		.amdhsa_user_sgpr_queue_ptr 0
		.amdhsa_user_sgpr_kernarg_segment_ptr 1
		.amdhsa_user_sgpr_dispatch_id 0
		.amdhsa_user_sgpr_flat_scratch_init 0
		.amdhsa_user_sgpr_private_segment_size 0
		.amdhsa_wavefront_size32 1
		.amdhsa_uses_dynamic_stack 0
		.amdhsa_system_sgpr_private_segment_wavefront_offset 0
		.amdhsa_system_sgpr_workgroup_id_x 1
		.amdhsa_system_sgpr_workgroup_id_y 0
		.amdhsa_system_sgpr_workgroup_id_z 0
		.amdhsa_system_sgpr_workgroup_info 0
		.amdhsa_system_vgpr_workitem_id 0
		.amdhsa_next_free_vgpr 1
		.amdhsa_next_free_sgpr 1
		.amdhsa_reserve_vcc 0
		.amdhsa_reserve_flat_scratch 0
		.amdhsa_float_round_mode_32 0
		.amdhsa_float_round_mode_16_64 0
		.amdhsa_float_denorm_mode_32 3
		.amdhsa_float_denorm_mode_16_64 3
		.amdhsa_dx10_clamp 1
		.amdhsa_ieee_mode 1
		.amdhsa_fp16_overflow 0
		.amdhsa_workgroup_processor_mode 1
		.amdhsa_memory_ordered 1
		.amdhsa_forward_progress 1
		.amdhsa_shared_vgpr_count 0
		.amdhsa_exception_fp_ieee_invalid_op 0
		.amdhsa_exception_fp_denorm_src 0
		.amdhsa_exception_fp_ieee_div_zero 0
		.amdhsa_exception_fp_ieee_overflow 0
		.amdhsa_exception_fp_ieee_underflow 0
		.amdhsa_exception_fp_ieee_inexact 0
		.amdhsa_exception_int_div_zero 0
	.end_amdhsa_kernel
	.section	.text._ZN7rocprim17ROCPRIM_400000_NS6detail17trampoline_kernelINS0_14default_configENS1_27scan_by_key_config_selectorIiiEEZZNS1_16scan_by_key_implILNS1_25lookback_scan_determinismE0ELb1ES3_N6thrust23THRUST_200600_302600_NS6detail15normal_iteratorINS9_10device_ptrIiEEEESE_SE_iNS9_10multipliesIiEENS9_8equal_toIiEEiEE10hipError_tPvRmT2_T3_T4_T5_mT6_T7_P12ihipStream_tbENKUlT_T0_E_clISt17integral_constantIbLb0EESZ_EEDaSU_SV_EUlSU_E_NS1_11comp_targetILNS1_3genE5ELNS1_11target_archE942ELNS1_3gpuE9ELNS1_3repE0EEENS1_30default_config_static_selectorELNS0_4arch9wavefront6targetE0EEEvT1_,"axG",@progbits,_ZN7rocprim17ROCPRIM_400000_NS6detail17trampoline_kernelINS0_14default_configENS1_27scan_by_key_config_selectorIiiEEZZNS1_16scan_by_key_implILNS1_25lookback_scan_determinismE0ELb1ES3_N6thrust23THRUST_200600_302600_NS6detail15normal_iteratorINS9_10device_ptrIiEEEESE_SE_iNS9_10multipliesIiEENS9_8equal_toIiEEiEE10hipError_tPvRmT2_T3_T4_T5_mT6_T7_P12ihipStream_tbENKUlT_T0_E_clISt17integral_constantIbLb0EESZ_EEDaSU_SV_EUlSU_E_NS1_11comp_targetILNS1_3genE5ELNS1_11target_archE942ELNS1_3gpuE9ELNS1_3repE0EEENS1_30default_config_static_selectorELNS0_4arch9wavefront6targetE0EEEvT1_,comdat
.Lfunc_end499:
	.size	_ZN7rocprim17ROCPRIM_400000_NS6detail17trampoline_kernelINS0_14default_configENS1_27scan_by_key_config_selectorIiiEEZZNS1_16scan_by_key_implILNS1_25lookback_scan_determinismE0ELb1ES3_N6thrust23THRUST_200600_302600_NS6detail15normal_iteratorINS9_10device_ptrIiEEEESE_SE_iNS9_10multipliesIiEENS9_8equal_toIiEEiEE10hipError_tPvRmT2_T3_T4_T5_mT6_T7_P12ihipStream_tbENKUlT_T0_E_clISt17integral_constantIbLb0EESZ_EEDaSU_SV_EUlSU_E_NS1_11comp_targetILNS1_3genE5ELNS1_11target_archE942ELNS1_3gpuE9ELNS1_3repE0EEENS1_30default_config_static_selectorELNS0_4arch9wavefront6targetE0EEEvT1_, .Lfunc_end499-_ZN7rocprim17ROCPRIM_400000_NS6detail17trampoline_kernelINS0_14default_configENS1_27scan_by_key_config_selectorIiiEEZZNS1_16scan_by_key_implILNS1_25lookback_scan_determinismE0ELb1ES3_N6thrust23THRUST_200600_302600_NS6detail15normal_iteratorINS9_10device_ptrIiEEEESE_SE_iNS9_10multipliesIiEENS9_8equal_toIiEEiEE10hipError_tPvRmT2_T3_T4_T5_mT6_T7_P12ihipStream_tbENKUlT_T0_E_clISt17integral_constantIbLb0EESZ_EEDaSU_SV_EUlSU_E_NS1_11comp_targetILNS1_3genE5ELNS1_11target_archE942ELNS1_3gpuE9ELNS1_3repE0EEENS1_30default_config_static_selectorELNS0_4arch9wavefront6targetE0EEEvT1_
                                        ; -- End function
	.set _ZN7rocprim17ROCPRIM_400000_NS6detail17trampoline_kernelINS0_14default_configENS1_27scan_by_key_config_selectorIiiEEZZNS1_16scan_by_key_implILNS1_25lookback_scan_determinismE0ELb1ES3_N6thrust23THRUST_200600_302600_NS6detail15normal_iteratorINS9_10device_ptrIiEEEESE_SE_iNS9_10multipliesIiEENS9_8equal_toIiEEiEE10hipError_tPvRmT2_T3_T4_T5_mT6_T7_P12ihipStream_tbENKUlT_T0_E_clISt17integral_constantIbLb0EESZ_EEDaSU_SV_EUlSU_E_NS1_11comp_targetILNS1_3genE5ELNS1_11target_archE942ELNS1_3gpuE9ELNS1_3repE0EEENS1_30default_config_static_selectorELNS0_4arch9wavefront6targetE0EEEvT1_.num_vgpr, 0
	.set _ZN7rocprim17ROCPRIM_400000_NS6detail17trampoline_kernelINS0_14default_configENS1_27scan_by_key_config_selectorIiiEEZZNS1_16scan_by_key_implILNS1_25lookback_scan_determinismE0ELb1ES3_N6thrust23THRUST_200600_302600_NS6detail15normal_iteratorINS9_10device_ptrIiEEEESE_SE_iNS9_10multipliesIiEENS9_8equal_toIiEEiEE10hipError_tPvRmT2_T3_T4_T5_mT6_T7_P12ihipStream_tbENKUlT_T0_E_clISt17integral_constantIbLb0EESZ_EEDaSU_SV_EUlSU_E_NS1_11comp_targetILNS1_3genE5ELNS1_11target_archE942ELNS1_3gpuE9ELNS1_3repE0EEENS1_30default_config_static_selectorELNS0_4arch9wavefront6targetE0EEEvT1_.num_agpr, 0
	.set _ZN7rocprim17ROCPRIM_400000_NS6detail17trampoline_kernelINS0_14default_configENS1_27scan_by_key_config_selectorIiiEEZZNS1_16scan_by_key_implILNS1_25lookback_scan_determinismE0ELb1ES3_N6thrust23THRUST_200600_302600_NS6detail15normal_iteratorINS9_10device_ptrIiEEEESE_SE_iNS9_10multipliesIiEENS9_8equal_toIiEEiEE10hipError_tPvRmT2_T3_T4_T5_mT6_T7_P12ihipStream_tbENKUlT_T0_E_clISt17integral_constantIbLb0EESZ_EEDaSU_SV_EUlSU_E_NS1_11comp_targetILNS1_3genE5ELNS1_11target_archE942ELNS1_3gpuE9ELNS1_3repE0EEENS1_30default_config_static_selectorELNS0_4arch9wavefront6targetE0EEEvT1_.numbered_sgpr, 0
	.set _ZN7rocprim17ROCPRIM_400000_NS6detail17trampoline_kernelINS0_14default_configENS1_27scan_by_key_config_selectorIiiEEZZNS1_16scan_by_key_implILNS1_25lookback_scan_determinismE0ELb1ES3_N6thrust23THRUST_200600_302600_NS6detail15normal_iteratorINS9_10device_ptrIiEEEESE_SE_iNS9_10multipliesIiEENS9_8equal_toIiEEiEE10hipError_tPvRmT2_T3_T4_T5_mT6_T7_P12ihipStream_tbENKUlT_T0_E_clISt17integral_constantIbLb0EESZ_EEDaSU_SV_EUlSU_E_NS1_11comp_targetILNS1_3genE5ELNS1_11target_archE942ELNS1_3gpuE9ELNS1_3repE0EEENS1_30default_config_static_selectorELNS0_4arch9wavefront6targetE0EEEvT1_.num_named_barrier, 0
	.set _ZN7rocprim17ROCPRIM_400000_NS6detail17trampoline_kernelINS0_14default_configENS1_27scan_by_key_config_selectorIiiEEZZNS1_16scan_by_key_implILNS1_25lookback_scan_determinismE0ELb1ES3_N6thrust23THRUST_200600_302600_NS6detail15normal_iteratorINS9_10device_ptrIiEEEESE_SE_iNS9_10multipliesIiEENS9_8equal_toIiEEiEE10hipError_tPvRmT2_T3_T4_T5_mT6_T7_P12ihipStream_tbENKUlT_T0_E_clISt17integral_constantIbLb0EESZ_EEDaSU_SV_EUlSU_E_NS1_11comp_targetILNS1_3genE5ELNS1_11target_archE942ELNS1_3gpuE9ELNS1_3repE0EEENS1_30default_config_static_selectorELNS0_4arch9wavefront6targetE0EEEvT1_.private_seg_size, 0
	.set _ZN7rocprim17ROCPRIM_400000_NS6detail17trampoline_kernelINS0_14default_configENS1_27scan_by_key_config_selectorIiiEEZZNS1_16scan_by_key_implILNS1_25lookback_scan_determinismE0ELb1ES3_N6thrust23THRUST_200600_302600_NS6detail15normal_iteratorINS9_10device_ptrIiEEEESE_SE_iNS9_10multipliesIiEENS9_8equal_toIiEEiEE10hipError_tPvRmT2_T3_T4_T5_mT6_T7_P12ihipStream_tbENKUlT_T0_E_clISt17integral_constantIbLb0EESZ_EEDaSU_SV_EUlSU_E_NS1_11comp_targetILNS1_3genE5ELNS1_11target_archE942ELNS1_3gpuE9ELNS1_3repE0EEENS1_30default_config_static_selectorELNS0_4arch9wavefront6targetE0EEEvT1_.uses_vcc, 0
	.set _ZN7rocprim17ROCPRIM_400000_NS6detail17trampoline_kernelINS0_14default_configENS1_27scan_by_key_config_selectorIiiEEZZNS1_16scan_by_key_implILNS1_25lookback_scan_determinismE0ELb1ES3_N6thrust23THRUST_200600_302600_NS6detail15normal_iteratorINS9_10device_ptrIiEEEESE_SE_iNS9_10multipliesIiEENS9_8equal_toIiEEiEE10hipError_tPvRmT2_T3_T4_T5_mT6_T7_P12ihipStream_tbENKUlT_T0_E_clISt17integral_constantIbLb0EESZ_EEDaSU_SV_EUlSU_E_NS1_11comp_targetILNS1_3genE5ELNS1_11target_archE942ELNS1_3gpuE9ELNS1_3repE0EEENS1_30default_config_static_selectorELNS0_4arch9wavefront6targetE0EEEvT1_.uses_flat_scratch, 0
	.set _ZN7rocprim17ROCPRIM_400000_NS6detail17trampoline_kernelINS0_14default_configENS1_27scan_by_key_config_selectorIiiEEZZNS1_16scan_by_key_implILNS1_25lookback_scan_determinismE0ELb1ES3_N6thrust23THRUST_200600_302600_NS6detail15normal_iteratorINS9_10device_ptrIiEEEESE_SE_iNS9_10multipliesIiEENS9_8equal_toIiEEiEE10hipError_tPvRmT2_T3_T4_T5_mT6_T7_P12ihipStream_tbENKUlT_T0_E_clISt17integral_constantIbLb0EESZ_EEDaSU_SV_EUlSU_E_NS1_11comp_targetILNS1_3genE5ELNS1_11target_archE942ELNS1_3gpuE9ELNS1_3repE0EEENS1_30default_config_static_selectorELNS0_4arch9wavefront6targetE0EEEvT1_.has_dyn_sized_stack, 0
	.set _ZN7rocprim17ROCPRIM_400000_NS6detail17trampoline_kernelINS0_14default_configENS1_27scan_by_key_config_selectorIiiEEZZNS1_16scan_by_key_implILNS1_25lookback_scan_determinismE0ELb1ES3_N6thrust23THRUST_200600_302600_NS6detail15normal_iteratorINS9_10device_ptrIiEEEESE_SE_iNS9_10multipliesIiEENS9_8equal_toIiEEiEE10hipError_tPvRmT2_T3_T4_T5_mT6_T7_P12ihipStream_tbENKUlT_T0_E_clISt17integral_constantIbLb0EESZ_EEDaSU_SV_EUlSU_E_NS1_11comp_targetILNS1_3genE5ELNS1_11target_archE942ELNS1_3gpuE9ELNS1_3repE0EEENS1_30default_config_static_selectorELNS0_4arch9wavefront6targetE0EEEvT1_.has_recursion, 0
	.set _ZN7rocprim17ROCPRIM_400000_NS6detail17trampoline_kernelINS0_14default_configENS1_27scan_by_key_config_selectorIiiEEZZNS1_16scan_by_key_implILNS1_25lookback_scan_determinismE0ELb1ES3_N6thrust23THRUST_200600_302600_NS6detail15normal_iteratorINS9_10device_ptrIiEEEESE_SE_iNS9_10multipliesIiEENS9_8equal_toIiEEiEE10hipError_tPvRmT2_T3_T4_T5_mT6_T7_P12ihipStream_tbENKUlT_T0_E_clISt17integral_constantIbLb0EESZ_EEDaSU_SV_EUlSU_E_NS1_11comp_targetILNS1_3genE5ELNS1_11target_archE942ELNS1_3gpuE9ELNS1_3repE0EEENS1_30default_config_static_selectorELNS0_4arch9wavefront6targetE0EEEvT1_.has_indirect_call, 0
	.section	.AMDGPU.csdata,"",@progbits
; Kernel info:
; codeLenInByte = 0
; TotalNumSgprs: 0
; NumVgprs: 0
; ScratchSize: 0
; MemoryBound: 0
; FloatMode: 240
; IeeeMode: 1
; LDSByteSize: 0 bytes/workgroup (compile time only)
; SGPRBlocks: 0
; VGPRBlocks: 0
; NumSGPRsForWavesPerEU: 1
; NumVGPRsForWavesPerEU: 1
; Occupancy: 16
; WaveLimiterHint : 0
; COMPUTE_PGM_RSRC2:SCRATCH_EN: 0
; COMPUTE_PGM_RSRC2:USER_SGPR: 6
; COMPUTE_PGM_RSRC2:TRAP_HANDLER: 0
; COMPUTE_PGM_RSRC2:TGID_X_EN: 1
; COMPUTE_PGM_RSRC2:TGID_Y_EN: 0
; COMPUTE_PGM_RSRC2:TGID_Z_EN: 0
; COMPUTE_PGM_RSRC2:TIDIG_COMP_CNT: 0
	.section	.text._ZN7rocprim17ROCPRIM_400000_NS6detail17trampoline_kernelINS0_14default_configENS1_27scan_by_key_config_selectorIiiEEZZNS1_16scan_by_key_implILNS1_25lookback_scan_determinismE0ELb1ES3_N6thrust23THRUST_200600_302600_NS6detail15normal_iteratorINS9_10device_ptrIiEEEESE_SE_iNS9_10multipliesIiEENS9_8equal_toIiEEiEE10hipError_tPvRmT2_T3_T4_T5_mT6_T7_P12ihipStream_tbENKUlT_T0_E_clISt17integral_constantIbLb0EESZ_EEDaSU_SV_EUlSU_E_NS1_11comp_targetILNS1_3genE4ELNS1_11target_archE910ELNS1_3gpuE8ELNS1_3repE0EEENS1_30default_config_static_selectorELNS0_4arch9wavefront6targetE0EEEvT1_,"axG",@progbits,_ZN7rocprim17ROCPRIM_400000_NS6detail17trampoline_kernelINS0_14default_configENS1_27scan_by_key_config_selectorIiiEEZZNS1_16scan_by_key_implILNS1_25lookback_scan_determinismE0ELb1ES3_N6thrust23THRUST_200600_302600_NS6detail15normal_iteratorINS9_10device_ptrIiEEEESE_SE_iNS9_10multipliesIiEENS9_8equal_toIiEEiEE10hipError_tPvRmT2_T3_T4_T5_mT6_T7_P12ihipStream_tbENKUlT_T0_E_clISt17integral_constantIbLb0EESZ_EEDaSU_SV_EUlSU_E_NS1_11comp_targetILNS1_3genE4ELNS1_11target_archE910ELNS1_3gpuE8ELNS1_3repE0EEENS1_30default_config_static_selectorELNS0_4arch9wavefront6targetE0EEEvT1_,comdat
	.protected	_ZN7rocprim17ROCPRIM_400000_NS6detail17trampoline_kernelINS0_14default_configENS1_27scan_by_key_config_selectorIiiEEZZNS1_16scan_by_key_implILNS1_25lookback_scan_determinismE0ELb1ES3_N6thrust23THRUST_200600_302600_NS6detail15normal_iteratorINS9_10device_ptrIiEEEESE_SE_iNS9_10multipliesIiEENS9_8equal_toIiEEiEE10hipError_tPvRmT2_T3_T4_T5_mT6_T7_P12ihipStream_tbENKUlT_T0_E_clISt17integral_constantIbLb0EESZ_EEDaSU_SV_EUlSU_E_NS1_11comp_targetILNS1_3genE4ELNS1_11target_archE910ELNS1_3gpuE8ELNS1_3repE0EEENS1_30default_config_static_selectorELNS0_4arch9wavefront6targetE0EEEvT1_ ; -- Begin function _ZN7rocprim17ROCPRIM_400000_NS6detail17trampoline_kernelINS0_14default_configENS1_27scan_by_key_config_selectorIiiEEZZNS1_16scan_by_key_implILNS1_25lookback_scan_determinismE0ELb1ES3_N6thrust23THRUST_200600_302600_NS6detail15normal_iteratorINS9_10device_ptrIiEEEESE_SE_iNS9_10multipliesIiEENS9_8equal_toIiEEiEE10hipError_tPvRmT2_T3_T4_T5_mT6_T7_P12ihipStream_tbENKUlT_T0_E_clISt17integral_constantIbLb0EESZ_EEDaSU_SV_EUlSU_E_NS1_11comp_targetILNS1_3genE4ELNS1_11target_archE910ELNS1_3gpuE8ELNS1_3repE0EEENS1_30default_config_static_selectorELNS0_4arch9wavefront6targetE0EEEvT1_
	.globl	_ZN7rocprim17ROCPRIM_400000_NS6detail17trampoline_kernelINS0_14default_configENS1_27scan_by_key_config_selectorIiiEEZZNS1_16scan_by_key_implILNS1_25lookback_scan_determinismE0ELb1ES3_N6thrust23THRUST_200600_302600_NS6detail15normal_iteratorINS9_10device_ptrIiEEEESE_SE_iNS9_10multipliesIiEENS9_8equal_toIiEEiEE10hipError_tPvRmT2_T3_T4_T5_mT6_T7_P12ihipStream_tbENKUlT_T0_E_clISt17integral_constantIbLb0EESZ_EEDaSU_SV_EUlSU_E_NS1_11comp_targetILNS1_3genE4ELNS1_11target_archE910ELNS1_3gpuE8ELNS1_3repE0EEENS1_30default_config_static_selectorELNS0_4arch9wavefront6targetE0EEEvT1_
	.p2align	8
	.type	_ZN7rocprim17ROCPRIM_400000_NS6detail17trampoline_kernelINS0_14default_configENS1_27scan_by_key_config_selectorIiiEEZZNS1_16scan_by_key_implILNS1_25lookback_scan_determinismE0ELb1ES3_N6thrust23THRUST_200600_302600_NS6detail15normal_iteratorINS9_10device_ptrIiEEEESE_SE_iNS9_10multipliesIiEENS9_8equal_toIiEEiEE10hipError_tPvRmT2_T3_T4_T5_mT6_T7_P12ihipStream_tbENKUlT_T0_E_clISt17integral_constantIbLb0EESZ_EEDaSU_SV_EUlSU_E_NS1_11comp_targetILNS1_3genE4ELNS1_11target_archE910ELNS1_3gpuE8ELNS1_3repE0EEENS1_30default_config_static_selectorELNS0_4arch9wavefront6targetE0EEEvT1_,@function
_ZN7rocprim17ROCPRIM_400000_NS6detail17trampoline_kernelINS0_14default_configENS1_27scan_by_key_config_selectorIiiEEZZNS1_16scan_by_key_implILNS1_25lookback_scan_determinismE0ELb1ES3_N6thrust23THRUST_200600_302600_NS6detail15normal_iteratorINS9_10device_ptrIiEEEESE_SE_iNS9_10multipliesIiEENS9_8equal_toIiEEiEE10hipError_tPvRmT2_T3_T4_T5_mT6_T7_P12ihipStream_tbENKUlT_T0_E_clISt17integral_constantIbLb0EESZ_EEDaSU_SV_EUlSU_E_NS1_11comp_targetILNS1_3genE4ELNS1_11target_archE910ELNS1_3gpuE8ELNS1_3repE0EEENS1_30default_config_static_selectorELNS0_4arch9wavefront6targetE0EEEvT1_: ; @_ZN7rocprim17ROCPRIM_400000_NS6detail17trampoline_kernelINS0_14default_configENS1_27scan_by_key_config_selectorIiiEEZZNS1_16scan_by_key_implILNS1_25lookback_scan_determinismE0ELb1ES3_N6thrust23THRUST_200600_302600_NS6detail15normal_iteratorINS9_10device_ptrIiEEEESE_SE_iNS9_10multipliesIiEENS9_8equal_toIiEEiEE10hipError_tPvRmT2_T3_T4_T5_mT6_T7_P12ihipStream_tbENKUlT_T0_E_clISt17integral_constantIbLb0EESZ_EEDaSU_SV_EUlSU_E_NS1_11comp_targetILNS1_3genE4ELNS1_11target_archE910ELNS1_3gpuE8ELNS1_3repE0EEENS1_30default_config_static_selectorELNS0_4arch9wavefront6targetE0EEEvT1_
; %bb.0:
	.section	.rodata,"a",@progbits
	.p2align	6, 0x0
	.amdhsa_kernel _ZN7rocprim17ROCPRIM_400000_NS6detail17trampoline_kernelINS0_14default_configENS1_27scan_by_key_config_selectorIiiEEZZNS1_16scan_by_key_implILNS1_25lookback_scan_determinismE0ELb1ES3_N6thrust23THRUST_200600_302600_NS6detail15normal_iteratorINS9_10device_ptrIiEEEESE_SE_iNS9_10multipliesIiEENS9_8equal_toIiEEiEE10hipError_tPvRmT2_T3_T4_T5_mT6_T7_P12ihipStream_tbENKUlT_T0_E_clISt17integral_constantIbLb0EESZ_EEDaSU_SV_EUlSU_E_NS1_11comp_targetILNS1_3genE4ELNS1_11target_archE910ELNS1_3gpuE8ELNS1_3repE0EEENS1_30default_config_static_selectorELNS0_4arch9wavefront6targetE0EEEvT1_
		.amdhsa_group_segment_fixed_size 0
		.amdhsa_private_segment_fixed_size 0
		.amdhsa_kernarg_size 112
		.amdhsa_user_sgpr_count 6
		.amdhsa_user_sgpr_private_segment_buffer 1
		.amdhsa_user_sgpr_dispatch_ptr 0
		.amdhsa_user_sgpr_queue_ptr 0
		.amdhsa_user_sgpr_kernarg_segment_ptr 1
		.amdhsa_user_sgpr_dispatch_id 0
		.amdhsa_user_sgpr_flat_scratch_init 0
		.amdhsa_user_sgpr_private_segment_size 0
		.amdhsa_wavefront_size32 1
		.amdhsa_uses_dynamic_stack 0
		.amdhsa_system_sgpr_private_segment_wavefront_offset 0
		.amdhsa_system_sgpr_workgroup_id_x 1
		.amdhsa_system_sgpr_workgroup_id_y 0
		.amdhsa_system_sgpr_workgroup_id_z 0
		.amdhsa_system_sgpr_workgroup_info 0
		.amdhsa_system_vgpr_workitem_id 0
		.amdhsa_next_free_vgpr 1
		.amdhsa_next_free_sgpr 1
		.amdhsa_reserve_vcc 0
		.amdhsa_reserve_flat_scratch 0
		.amdhsa_float_round_mode_32 0
		.amdhsa_float_round_mode_16_64 0
		.amdhsa_float_denorm_mode_32 3
		.amdhsa_float_denorm_mode_16_64 3
		.amdhsa_dx10_clamp 1
		.amdhsa_ieee_mode 1
		.amdhsa_fp16_overflow 0
		.amdhsa_workgroup_processor_mode 1
		.amdhsa_memory_ordered 1
		.amdhsa_forward_progress 1
		.amdhsa_shared_vgpr_count 0
		.amdhsa_exception_fp_ieee_invalid_op 0
		.amdhsa_exception_fp_denorm_src 0
		.amdhsa_exception_fp_ieee_div_zero 0
		.amdhsa_exception_fp_ieee_overflow 0
		.amdhsa_exception_fp_ieee_underflow 0
		.amdhsa_exception_fp_ieee_inexact 0
		.amdhsa_exception_int_div_zero 0
	.end_amdhsa_kernel
	.section	.text._ZN7rocprim17ROCPRIM_400000_NS6detail17trampoline_kernelINS0_14default_configENS1_27scan_by_key_config_selectorIiiEEZZNS1_16scan_by_key_implILNS1_25lookback_scan_determinismE0ELb1ES3_N6thrust23THRUST_200600_302600_NS6detail15normal_iteratorINS9_10device_ptrIiEEEESE_SE_iNS9_10multipliesIiEENS9_8equal_toIiEEiEE10hipError_tPvRmT2_T3_T4_T5_mT6_T7_P12ihipStream_tbENKUlT_T0_E_clISt17integral_constantIbLb0EESZ_EEDaSU_SV_EUlSU_E_NS1_11comp_targetILNS1_3genE4ELNS1_11target_archE910ELNS1_3gpuE8ELNS1_3repE0EEENS1_30default_config_static_selectorELNS0_4arch9wavefront6targetE0EEEvT1_,"axG",@progbits,_ZN7rocprim17ROCPRIM_400000_NS6detail17trampoline_kernelINS0_14default_configENS1_27scan_by_key_config_selectorIiiEEZZNS1_16scan_by_key_implILNS1_25lookback_scan_determinismE0ELb1ES3_N6thrust23THRUST_200600_302600_NS6detail15normal_iteratorINS9_10device_ptrIiEEEESE_SE_iNS9_10multipliesIiEENS9_8equal_toIiEEiEE10hipError_tPvRmT2_T3_T4_T5_mT6_T7_P12ihipStream_tbENKUlT_T0_E_clISt17integral_constantIbLb0EESZ_EEDaSU_SV_EUlSU_E_NS1_11comp_targetILNS1_3genE4ELNS1_11target_archE910ELNS1_3gpuE8ELNS1_3repE0EEENS1_30default_config_static_selectorELNS0_4arch9wavefront6targetE0EEEvT1_,comdat
.Lfunc_end500:
	.size	_ZN7rocprim17ROCPRIM_400000_NS6detail17trampoline_kernelINS0_14default_configENS1_27scan_by_key_config_selectorIiiEEZZNS1_16scan_by_key_implILNS1_25lookback_scan_determinismE0ELb1ES3_N6thrust23THRUST_200600_302600_NS6detail15normal_iteratorINS9_10device_ptrIiEEEESE_SE_iNS9_10multipliesIiEENS9_8equal_toIiEEiEE10hipError_tPvRmT2_T3_T4_T5_mT6_T7_P12ihipStream_tbENKUlT_T0_E_clISt17integral_constantIbLb0EESZ_EEDaSU_SV_EUlSU_E_NS1_11comp_targetILNS1_3genE4ELNS1_11target_archE910ELNS1_3gpuE8ELNS1_3repE0EEENS1_30default_config_static_selectorELNS0_4arch9wavefront6targetE0EEEvT1_, .Lfunc_end500-_ZN7rocprim17ROCPRIM_400000_NS6detail17trampoline_kernelINS0_14default_configENS1_27scan_by_key_config_selectorIiiEEZZNS1_16scan_by_key_implILNS1_25lookback_scan_determinismE0ELb1ES3_N6thrust23THRUST_200600_302600_NS6detail15normal_iteratorINS9_10device_ptrIiEEEESE_SE_iNS9_10multipliesIiEENS9_8equal_toIiEEiEE10hipError_tPvRmT2_T3_T4_T5_mT6_T7_P12ihipStream_tbENKUlT_T0_E_clISt17integral_constantIbLb0EESZ_EEDaSU_SV_EUlSU_E_NS1_11comp_targetILNS1_3genE4ELNS1_11target_archE910ELNS1_3gpuE8ELNS1_3repE0EEENS1_30default_config_static_selectorELNS0_4arch9wavefront6targetE0EEEvT1_
                                        ; -- End function
	.set _ZN7rocprim17ROCPRIM_400000_NS6detail17trampoline_kernelINS0_14default_configENS1_27scan_by_key_config_selectorIiiEEZZNS1_16scan_by_key_implILNS1_25lookback_scan_determinismE0ELb1ES3_N6thrust23THRUST_200600_302600_NS6detail15normal_iteratorINS9_10device_ptrIiEEEESE_SE_iNS9_10multipliesIiEENS9_8equal_toIiEEiEE10hipError_tPvRmT2_T3_T4_T5_mT6_T7_P12ihipStream_tbENKUlT_T0_E_clISt17integral_constantIbLb0EESZ_EEDaSU_SV_EUlSU_E_NS1_11comp_targetILNS1_3genE4ELNS1_11target_archE910ELNS1_3gpuE8ELNS1_3repE0EEENS1_30default_config_static_selectorELNS0_4arch9wavefront6targetE0EEEvT1_.num_vgpr, 0
	.set _ZN7rocprim17ROCPRIM_400000_NS6detail17trampoline_kernelINS0_14default_configENS1_27scan_by_key_config_selectorIiiEEZZNS1_16scan_by_key_implILNS1_25lookback_scan_determinismE0ELb1ES3_N6thrust23THRUST_200600_302600_NS6detail15normal_iteratorINS9_10device_ptrIiEEEESE_SE_iNS9_10multipliesIiEENS9_8equal_toIiEEiEE10hipError_tPvRmT2_T3_T4_T5_mT6_T7_P12ihipStream_tbENKUlT_T0_E_clISt17integral_constantIbLb0EESZ_EEDaSU_SV_EUlSU_E_NS1_11comp_targetILNS1_3genE4ELNS1_11target_archE910ELNS1_3gpuE8ELNS1_3repE0EEENS1_30default_config_static_selectorELNS0_4arch9wavefront6targetE0EEEvT1_.num_agpr, 0
	.set _ZN7rocprim17ROCPRIM_400000_NS6detail17trampoline_kernelINS0_14default_configENS1_27scan_by_key_config_selectorIiiEEZZNS1_16scan_by_key_implILNS1_25lookback_scan_determinismE0ELb1ES3_N6thrust23THRUST_200600_302600_NS6detail15normal_iteratorINS9_10device_ptrIiEEEESE_SE_iNS9_10multipliesIiEENS9_8equal_toIiEEiEE10hipError_tPvRmT2_T3_T4_T5_mT6_T7_P12ihipStream_tbENKUlT_T0_E_clISt17integral_constantIbLb0EESZ_EEDaSU_SV_EUlSU_E_NS1_11comp_targetILNS1_3genE4ELNS1_11target_archE910ELNS1_3gpuE8ELNS1_3repE0EEENS1_30default_config_static_selectorELNS0_4arch9wavefront6targetE0EEEvT1_.numbered_sgpr, 0
	.set _ZN7rocprim17ROCPRIM_400000_NS6detail17trampoline_kernelINS0_14default_configENS1_27scan_by_key_config_selectorIiiEEZZNS1_16scan_by_key_implILNS1_25lookback_scan_determinismE0ELb1ES3_N6thrust23THRUST_200600_302600_NS6detail15normal_iteratorINS9_10device_ptrIiEEEESE_SE_iNS9_10multipliesIiEENS9_8equal_toIiEEiEE10hipError_tPvRmT2_T3_T4_T5_mT6_T7_P12ihipStream_tbENKUlT_T0_E_clISt17integral_constantIbLb0EESZ_EEDaSU_SV_EUlSU_E_NS1_11comp_targetILNS1_3genE4ELNS1_11target_archE910ELNS1_3gpuE8ELNS1_3repE0EEENS1_30default_config_static_selectorELNS0_4arch9wavefront6targetE0EEEvT1_.num_named_barrier, 0
	.set _ZN7rocprim17ROCPRIM_400000_NS6detail17trampoline_kernelINS0_14default_configENS1_27scan_by_key_config_selectorIiiEEZZNS1_16scan_by_key_implILNS1_25lookback_scan_determinismE0ELb1ES3_N6thrust23THRUST_200600_302600_NS6detail15normal_iteratorINS9_10device_ptrIiEEEESE_SE_iNS9_10multipliesIiEENS9_8equal_toIiEEiEE10hipError_tPvRmT2_T3_T4_T5_mT6_T7_P12ihipStream_tbENKUlT_T0_E_clISt17integral_constantIbLb0EESZ_EEDaSU_SV_EUlSU_E_NS1_11comp_targetILNS1_3genE4ELNS1_11target_archE910ELNS1_3gpuE8ELNS1_3repE0EEENS1_30default_config_static_selectorELNS0_4arch9wavefront6targetE0EEEvT1_.private_seg_size, 0
	.set _ZN7rocprim17ROCPRIM_400000_NS6detail17trampoline_kernelINS0_14default_configENS1_27scan_by_key_config_selectorIiiEEZZNS1_16scan_by_key_implILNS1_25lookback_scan_determinismE0ELb1ES3_N6thrust23THRUST_200600_302600_NS6detail15normal_iteratorINS9_10device_ptrIiEEEESE_SE_iNS9_10multipliesIiEENS9_8equal_toIiEEiEE10hipError_tPvRmT2_T3_T4_T5_mT6_T7_P12ihipStream_tbENKUlT_T0_E_clISt17integral_constantIbLb0EESZ_EEDaSU_SV_EUlSU_E_NS1_11comp_targetILNS1_3genE4ELNS1_11target_archE910ELNS1_3gpuE8ELNS1_3repE0EEENS1_30default_config_static_selectorELNS0_4arch9wavefront6targetE0EEEvT1_.uses_vcc, 0
	.set _ZN7rocprim17ROCPRIM_400000_NS6detail17trampoline_kernelINS0_14default_configENS1_27scan_by_key_config_selectorIiiEEZZNS1_16scan_by_key_implILNS1_25lookback_scan_determinismE0ELb1ES3_N6thrust23THRUST_200600_302600_NS6detail15normal_iteratorINS9_10device_ptrIiEEEESE_SE_iNS9_10multipliesIiEENS9_8equal_toIiEEiEE10hipError_tPvRmT2_T3_T4_T5_mT6_T7_P12ihipStream_tbENKUlT_T0_E_clISt17integral_constantIbLb0EESZ_EEDaSU_SV_EUlSU_E_NS1_11comp_targetILNS1_3genE4ELNS1_11target_archE910ELNS1_3gpuE8ELNS1_3repE0EEENS1_30default_config_static_selectorELNS0_4arch9wavefront6targetE0EEEvT1_.uses_flat_scratch, 0
	.set _ZN7rocprim17ROCPRIM_400000_NS6detail17trampoline_kernelINS0_14default_configENS1_27scan_by_key_config_selectorIiiEEZZNS1_16scan_by_key_implILNS1_25lookback_scan_determinismE0ELb1ES3_N6thrust23THRUST_200600_302600_NS6detail15normal_iteratorINS9_10device_ptrIiEEEESE_SE_iNS9_10multipliesIiEENS9_8equal_toIiEEiEE10hipError_tPvRmT2_T3_T4_T5_mT6_T7_P12ihipStream_tbENKUlT_T0_E_clISt17integral_constantIbLb0EESZ_EEDaSU_SV_EUlSU_E_NS1_11comp_targetILNS1_3genE4ELNS1_11target_archE910ELNS1_3gpuE8ELNS1_3repE0EEENS1_30default_config_static_selectorELNS0_4arch9wavefront6targetE0EEEvT1_.has_dyn_sized_stack, 0
	.set _ZN7rocprim17ROCPRIM_400000_NS6detail17trampoline_kernelINS0_14default_configENS1_27scan_by_key_config_selectorIiiEEZZNS1_16scan_by_key_implILNS1_25lookback_scan_determinismE0ELb1ES3_N6thrust23THRUST_200600_302600_NS6detail15normal_iteratorINS9_10device_ptrIiEEEESE_SE_iNS9_10multipliesIiEENS9_8equal_toIiEEiEE10hipError_tPvRmT2_T3_T4_T5_mT6_T7_P12ihipStream_tbENKUlT_T0_E_clISt17integral_constantIbLb0EESZ_EEDaSU_SV_EUlSU_E_NS1_11comp_targetILNS1_3genE4ELNS1_11target_archE910ELNS1_3gpuE8ELNS1_3repE0EEENS1_30default_config_static_selectorELNS0_4arch9wavefront6targetE0EEEvT1_.has_recursion, 0
	.set _ZN7rocprim17ROCPRIM_400000_NS6detail17trampoline_kernelINS0_14default_configENS1_27scan_by_key_config_selectorIiiEEZZNS1_16scan_by_key_implILNS1_25lookback_scan_determinismE0ELb1ES3_N6thrust23THRUST_200600_302600_NS6detail15normal_iteratorINS9_10device_ptrIiEEEESE_SE_iNS9_10multipliesIiEENS9_8equal_toIiEEiEE10hipError_tPvRmT2_T3_T4_T5_mT6_T7_P12ihipStream_tbENKUlT_T0_E_clISt17integral_constantIbLb0EESZ_EEDaSU_SV_EUlSU_E_NS1_11comp_targetILNS1_3genE4ELNS1_11target_archE910ELNS1_3gpuE8ELNS1_3repE0EEENS1_30default_config_static_selectorELNS0_4arch9wavefront6targetE0EEEvT1_.has_indirect_call, 0
	.section	.AMDGPU.csdata,"",@progbits
; Kernel info:
; codeLenInByte = 0
; TotalNumSgprs: 0
; NumVgprs: 0
; ScratchSize: 0
; MemoryBound: 0
; FloatMode: 240
; IeeeMode: 1
; LDSByteSize: 0 bytes/workgroup (compile time only)
; SGPRBlocks: 0
; VGPRBlocks: 0
; NumSGPRsForWavesPerEU: 1
; NumVGPRsForWavesPerEU: 1
; Occupancy: 16
; WaveLimiterHint : 0
; COMPUTE_PGM_RSRC2:SCRATCH_EN: 0
; COMPUTE_PGM_RSRC2:USER_SGPR: 6
; COMPUTE_PGM_RSRC2:TRAP_HANDLER: 0
; COMPUTE_PGM_RSRC2:TGID_X_EN: 1
; COMPUTE_PGM_RSRC2:TGID_Y_EN: 0
; COMPUTE_PGM_RSRC2:TGID_Z_EN: 0
; COMPUTE_PGM_RSRC2:TIDIG_COMP_CNT: 0
	.section	.text._ZN7rocprim17ROCPRIM_400000_NS6detail17trampoline_kernelINS0_14default_configENS1_27scan_by_key_config_selectorIiiEEZZNS1_16scan_by_key_implILNS1_25lookback_scan_determinismE0ELb1ES3_N6thrust23THRUST_200600_302600_NS6detail15normal_iteratorINS9_10device_ptrIiEEEESE_SE_iNS9_10multipliesIiEENS9_8equal_toIiEEiEE10hipError_tPvRmT2_T3_T4_T5_mT6_T7_P12ihipStream_tbENKUlT_T0_E_clISt17integral_constantIbLb0EESZ_EEDaSU_SV_EUlSU_E_NS1_11comp_targetILNS1_3genE3ELNS1_11target_archE908ELNS1_3gpuE7ELNS1_3repE0EEENS1_30default_config_static_selectorELNS0_4arch9wavefront6targetE0EEEvT1_,"axG",@progbits,_ZN7rocprim17ROCPRIM_400000_NS6detail17trampoline_kernelINS0_14default_configENS1_27scan_by_key_config_selectorIiiEEZZNS1_16scan_by_key_implILNS1_25lookback_scan_determinismE0ELb1ES3_N6thrust23THRUST_200600_302600_NS6detail15normal_iteratorINS9_10device_ptrIiEEEESE_SE_iNS9_10multipliesIiEENS9_8equal_toIiEEiEE10hipError_tPvRmT2_T3_T4_T5_mT6_T7_P12ihipStream_tbENKUlT_T0_E_clISt17integral_constantIbLb0EESZ_EEDaSU_SV_EUlSU_E_NS1_11comp_targetILNS1_3genE3ELNS1_11target_archE908ELNS1_3gpuE7ELNS1_3repE0EEENS1_30default_config_static_selectorELNS0_4arch9wavefront6targetE0EEEvT1_,comdat
	.protected	_ZN7rocprim17ROCPRIM_400000_NS6detail17trampoline_kernelINS0_14default_configENS1_27scan_by_key_config_selectorIiiEEZZNS1_16scan_by_key_implILNS1_25lookback_scan_determinismE0ELb1ES3_N6thrust23THRUST_200600_302600_NS6detail15normal_iteratorINS9_10device_ptrIiEEEESE_SE_iNS9_10multipliesIiEENS9_8equal_toIiEEiEE10hipError_tPvRmT2_T3_T4_T5_mT6_T7_P12ihipStream_tbENKUlT_T0_E_clISt17integral_constantIbLb0EESZ_EEDaSU_SV_EUlSU_E_NS1_11comp_targetILNS1_3genE3ELNS1_11target_archE908ELNS1_3gpuE7ELNS1_3repE0EEENS1_30default_config_static_selectorELNS0_4arch9wavefront6targetE0EEEvT1_ ; -- Begin function _ZN7rocprim17ROCPRIM_400000_NS6detail17trampoline_kernelINS0_14default_configENS1_27scan_by_key_config_selectorIiiEEZZNS1_16scan_by_key_implILNS1_25lookback_scan_determinismE0ELb1ES3_N6thrust23THRUST_200600_302600_NS6detail15normal_iteratorINS9_10device_ptrIiEEEESE_SE_iNS9_10multipliesIiEENS9_8equal_toIiEEiEE10hipError_tPvRmT2_T3_T4_T5_mT6_T7_P12ihipStream_tbENKUlT_T0_E_clISt17integral_constantIbLb0EESZ_EEDaSU_SV_EUlSU_E_NS1_11comp_targetILNS1_3genE3ELNS1_11target_archE908ELNS1_3gpuE7ELNS1_3repE0EEENS1_30default_config_static_selectorELNS0_4arch9wavefront6targetE0EEEvT1_
	.globl	_ZN7rocprim17ROCPRIM_400000_NS6detail17trampoline_kernelINS0_14default_configENS1_27scan_by_key_config_selectorIiiEEZZNS1_16scan_by_key_implILNS1_25lookback_scan_determinismE0ELb1ES3_N6thrust23THRUST_200600_302600_NS6detail15normal_iteratorINS9_10device_ptrIiEEEESE_SE_iNS9_10multipliesIiEENS9_8equal_toIiEEiEE10hipError_tPvRmT2_T3_T4_T5_mT6_T7_P12ihipStream_tbENKUlT_T0_E_clISt17integral_constantIbLb0EESZ_EEDaSU_SV_EUlSU_E_NS1_11comp_targetILNS1_3genE3ELNS1_11target_archE908ELNS1_3gpuE7ELNS1_3repE0EEENS1_30default_config_static_selectorELNS0_4arch9wavefront6targetE0EEEvT1_
	.p2align	8
	.type	_ZN7rocprim17ROCPRIM_400000_NS6detail17trampoline_kernelINS0_14default_configENS1_27scan_by_key_config_selectorIiiEEZZNS1_16scan_by_key_implILNS1_25lookback_scan_determinismE0ELb1ES3_N6thrust23THRUST_200600_302600_NS6detail15normal_iteratorINS9_10device_ptrIiEEEESE_SE_iNS9_10multipliesIiEENS9_8equal_toIiEEiEE10hipError_tPvRmT2_T3_T4_T5_mT6_T7_P12ihipStream_tbENKUlT_T0_E_clISt17integral_constantIbLb0EESZ_EEDaSU_SV_EUlSU_E_NS1_11comp_targetILNS1_3genE3ELNS1_11target_archE908ELNS1_3gpuE7ELNS1_3repE0EEENS1_30default_config_static_selectorELNS0_4arch9wavefront6targetE0EEEvT1_,@function
_ZN7rocprim17ROCPRIM_400000_NS6detail17trampoline_kernelINS0_14default_configENS1_27scan_by_key_config_selectorIiiEEZZNS1_16scan_by_key_implILNS1_25lookback_scan_determinismE0ELb1ES3_N6thrust23THRUST_200600_302600_NS6detail15normal_iteratorINS9_10device_ptrIiEEEESE_SE_iNS9_10multipliesIiEENS9_8equal_toIiEEiEE10hipError_tPvRmT2_T3_T4_T5_mT6_T7_P12ihipStream_tbENKUlT_T0_E_clISt17integral_constantIbLb0EESZ_EEDaSU_SV_EUlSU_E_NS1_11comp_targetILNS1_3genE3ELNS1_11target_archE908ELNS1_3gpuE7ELNS1_3repE0EEENS1_30default_config_static_selectorELNS0_4arch9wavefront6targetE0EEEvT1_: ; @_ZN7rocprim17ROCPRIM_400000_NS6detail17trampoline_kernelINS0_14default_configENS1_27scan_by_key_config_selectorIiiEEZZNS1_16scan_by_key_implILNS1_25lookback_scan_determinismE0ELb1ES3_N6thrust23THRUST_200600_302600_NS6detail15normal_iteratorINS9_10device_ptrIiEEEESE_SE_iNS9_10multipliesIiEENS9_8equal_toIiEEiEE10hipError_tPvRmT2_T3_T4_T5_mT6_T7_P12ihipStream_tbENKUlT_T0_E_clISt17integral_constantIbLb0EESZ_EEDaSU_SV_EUlSU_E_NS1_11comp_targetILNS1_3genE3ELNS1_11target_archE908ELNS1_3gpuE7ELNS1_3repE0EEENS1_30default_config_static_selectorELNS0_4arch9wavefront6targetE0EEEvT1_
; %bb.0:
	.section	.rodata,"a",@progbits
	.p2align	6, 0x0
	.amdhsa_kernel _ZN7rocprim17ROCPRIM_400000_NS6detail17trampoline_kernelINS0_14default_configENS1_27scan_by_key_config_selectorIiiEEZZNS1_16scan_by_key_implILNS1_25lookback_scan_determinismE0ELb1ES3_N6thrust23THRUST_200600_302600_NS6detail15normal_iteratorINS9_10device_ptrIiEEEESE_SE_iNS9_10multipliesIiEENS9_8equal_toIiEEiEE10hipError_tPvRmT2_T3_T4_T5_mT6_T7_P12ihipStream_tbENKUlT_T0_E_clISt17integral_constantIbLb0EESZ_EEDaSU_SV_EUlSU_E_NS1_11comp_targetILNS1_3genE3ELNS1_11target_archE908ELNS1_3gpuE7ELNS1_3repE0EEENS1_30default_config_static_selectorELNS0_4arch9wavefront6targetE0EEEvT1_
		.amdhsa_group_segment_fixed_size 0
		.amdhsa_private_segment_fixed_size 0
		.amdhsa_kernarg_size 112
		.amdhsa_user_sgpr_count 6
		.amdhsa_user_sgpr_private_segment_buffer 1
		.amdhsa_user_sgpr_dispatch_ptr 0
		.amdhsa_user_sgpr_queue_ptr 0
		.amdhsa_user_sgpr_kernarg_segment_ptr 1
		.amdhsa_user_sgpr_dispatch_id 0
		.amdhsa_user_sgpr_flat_scratch_init 0
		.amdhsa_user_sgpr_private_segment_size 0
		.amdhsa_wavefront_size32 1
		.amdhsa_uses_dynamic_stack 0
		.amdhsa_system_sgpr_private_segment_wavefront_offset 0
		.amdhsa_system_sgpr_workgroup_id_x 1
		.amdhsa_system_sgpr_workgroup_id_y 0
		.amdhsa_system_sgpr_workgroup_id_z 0
		.amdhsa_system_sgpr_workgroup_info 0
		.amdhsa_system_vgpr_workitem_id 0
		.amdhsa_next_free_vgpr 1
		.amdhsa_next_free_sgpr 1
		.amdhsa_reserve_vcc 0
		.amdhsa_reserve_flat_scratch 0
		.amdhsa_float_round_mode_32 0
		.amdhsa_float_round_mode_16_64 0
		.amdhsa_float_denorm_mode_32 3
		.amdhsa_float_denorm_mode_16_64 3
		.amdhsa_dx10_clamp 1
		.amdhsa_ieee_mode 1
		.amdhsa_fp16_overflow 0
		.amdhsa_workgroup_processor_mode 1
		.amdhsa_memory_ordered 1
		.amdhsa_forward_progress 1
		.amdhsa_shared_vgpr_count 0
		.amdhsa_exception_fp_ieee_invalid_op 0
		.amdhsa_exception_fp_denorm_src 0
		.amdhsa_exception_fp_ieee_div_zero 0
		.amdhsa_exception_fp_ieee_overflow 0
		.amdhsa_exception_fp_ieee_underflow 0
		.amdhsa_exception_fp_ieee_inexact 0
		.amdhsa_exception_int_div_zero 0
	.end_amdhsa_kernel
	.section	.text._ZN7rocprim17ROCPRIM_400000_NS6detail17trampoline_kernelINS0_14default_configENS1_27scan_by_key_config_selectorIiiEEZZNS1_16scan_by_key_implILNS1_25lookback_scan_determinismE0ELb1ES3_N6thrust23THRUST_200600_302600_NS6detail15normal_iteratorINS9_10device_ptrIiEEEESE_SE_iNS9_10multipliesIiEENS9_8equal_toIiEEiEE10hipError_tPvRmT2_T3_T4_T5_mT6_T7_P12ihipStream_tbENKUlT_T0_E_clISt17integral_constantIbLb0EESZ_EEDaSU_SV_EUlSU_E_NS1_11comp_targetILNS1_3genE3ELNS1_11target_archE908ELNS1_3gpuE7ELNS1_3repE0EEENS1_30default_config_static_selectorELNS0_4arch9wavefront6targetE0EEEvT1_,"axG",@progbits,_ZN7rocprim17ROCPRIM_400000_NS6detail17trampoline_kernelINS0_14default_configENS1_27scan_by_key_config_selectorIiiEEZZNS1_16scan_by_key_implILNS1_25lookback_scan_determinismE0ELb1ES3_N6thrust23THRUST_200600_302600_NS6detail15normal_iteratorINS9_10device_ptrIiEEEESE_SE_iNS9_10multipliesIiEENS9_8equal_toIiEEiEE10hipError_tPvRmT2_T3_T4_T5_mT6_T7_P12ihipStream_tbENKUlT_T0_E_clISt17integral_constantIbLb0EESZ_EEDaSU_SV_EUlSU_E_NS1_11comp_targetILNS1_3genE3ELNS1_11target_archE908ELNS1_3gpuE7ELNS1_3repE0EEENS1_30default_config_static_selectorELNS0_4arch9wavefront6targetE0EEEvT1_,comdat
.Lfunc_end501:
	.size	_ZN7rocprim17ROCPRIM_400000_NS6detail17trampoline_kernelINS0_14default_configENS1_27scan_by_key_config_selectorIiiEEZZNS1_16scan_by_key_implILNS1_25lookback_scan_determinismE0ELb1ES3_N6thrust23THRUST_200600_302600_NS6detail15normal_iteratorINS9_10device_ptrIiEEEESE_SE_iNS9_10multipliesIiEENS9_8equal_toIiEEiEE10hipError_tPvRmT2_T3_T4_T5_mT6_T7_P12ihipStream_tbENKUlT_T0_E_clISt17integral_constantIbLb0EESZ_EEDaSU_SV_EUlSU_E_NS1_11comp_targetILNS1_3genE3ELNS1_11target_archE908ELNS1_3gpuE7ELNS1_3repE0EEENS1_30default_config_static_selectorELNS0_4arch9wavefront6targetE0EEEvT1_, .Lfunc_end501-_ZN7rocprim17ROCPRIM_400000_NS6detail17trampoline_kernelINS0_14default_configENS1_27scan_by_key_config_selectorIiiEEZZNS1_16scan_by_key_implILNS1_25lookback_scan_determinismE0ELb1ES3_N6thrust23THRUST_200600_302600_NS6detail15normal_iteratorINS9_10device_ptrIiEEEESE_SE_iNS9_10multipliesIiEENS9_8equal_toIiEEiEE10hipError_tPvRmT2_T3_T4_T5_mT6_T7_P12ihipStream_tbENKUlT_T0_E_clISt17integral_constantIbLb0EESZ_EEDaSU_SV_EUlSU_E_NS1_11comp_targetILNS1_3genE3ELNS1_11target_archE908ELNS1_3gpuE7ELNS1_3repE0EEENS1_30default_config_static_selectorELNS0_4arch9wavefront6targetE0EEEvT1_
                                        ; -- End function
	.set _ZN7rocprim17ROCPRIM_400000_NS6detail17trampoline_kernelINS0_14default_configENS1_27scan_by_key_config_selectorIiiEEZZNS1_16scan_by_key_implILNS1_25lookback_scan_determinismE0ELb1ES3_N6thrust23THRUST_200600_302600_NS6detail15normal_iteratorINS9_10device_ptrIiEEEESE_SE_iNS9_10multipliesIiEENS9_8equal_toIiEEiEE10hipError_tPvRmT2_T3_T4_T5_mT6_T7_P12ihipStream_tbENKUlT_T0_E_clISt17integral_constantIbLb0EESZ_EEDaSU_SV_EUlSU_E_NS1_11comp_targetILNS1_3genE3ELNS1_11target_archE908ELNS1_3gpuE7ELNS1_3repE0EEENS1_30default_config_static_selectorELNS0_4arch9wavefront6targetE0EEEvT1_.num_vgpr, 0
	.set _ZN7rocprim17ROCPRIM_400000_NS6detail17trampoline_kernelINS0_14default_configENS1_27scan_by_key_config_selectorIiiEEZZNS1_16scan_by_key_implILNS1_25lookback_scan_determinismE0ELb1ES3_N6thrust23THRUST_200600_302600_NS6detail15normal_iteratorINS9_10device_ptrIiEEEESE_SE_iNS9_10multipliesIiEENS9_8equal_toIiEEiEE10hipError_tPvRmT2_T3_T4_T5_mT6_T7_P12ihipStream_tbENKUlT_T0_E_clISt17integral_constantIbLb0EESZ_EEDaSU_SV_EUlSU_E_NS1_11comp_targetILNS1_3genE3ELNS1_11target_archE908ELNS1_3gpuE7ELNS1_3repE0EEENS1_30default_config_static_selectorELNS0_4arch9wavefront6targetE0EEEvT1_.num_agpr, 0
	.set _ZN7rocprim17ROCPRIM_400000_NS6detail17trampoline_kernelINS0_14default_configENS1_27scan_by_key_config_selectorIiiEEZZNS1_16scan_by_key_implILNS1_25lookback_scan_determinismE0ELb1ES3_N6thrust23THRUST_200600_302600_NS6detail15normal_iteratorINS9_10device_ptrIiEEEESE_SE_iNS9_10multipliesIiEENS9_8equal_toIiEEiEE10hipError_tPvRmT2_T3_T4_T5_mT6_T7_P12ihipStream_tbENKUlT_T0_E_clISt17integral_constantIbLb0EESZ_EEDaSU_SV_EUlSU_E_NS1_11comp_targetILNS1_3genE3ELNS1_11target_archE908ELNS1_3gpuE7ELNS1_3repE0EEENS1_30default_config_static_selectorELNS0_4arch9wavefront6targetE0EEEvT1_.numbered_sgpr, 0
	.set _ZN7rocprim17ROCPRIM_400000_NS6detail17trampoline_kernelINS0_14default_configENS1_27scan_by_key_config_selectorIiiEEZZNS1_16scan_by_key_implILNS1_25lookback_scan_determinismE0ELb1ES3_N6thrust23THRUST_200600_302600_NS6detail15normal_iteratorINS9_10device_ptrIiEEEESE_SE_iNS9_10multipliesIiEENS9_8equal_toIiEEiEE10hipError_tPvRmT2_T3_T4_T5_mT6_T7_P12ihipStream_tbENKUlT_T0_E_clISt17integral_constantIbLb0EESZ_EEDaSU_SV_EUlSU_E_NS1_11comp_targetILNS1_3genE3ELNS1_11target_archE908ELNS1_3gpuE7ELNS1_3repE0EEENS1_30default_config_static_selectorELNS0_4arch9wavefront6targetE0EEEvT1_.num_named_barrier, 0
	.set _ZN7rocprim17ROCPRIM_400000_NS6detail17trampoline_kernelINS0_14default_configENS1_27scan_by_key_config_selectorIiiEEZZNS1_16scan_by_key_implILNS1_25lookback_scan_determinismE0ELb1ES3_N6thrust23THRUST_200600_302600_NS6detail15normal_iteratorINS9_10device_ptrIiEEEESE_SE_iNS9_10multipliesIiEENS9_8equal_toIiEEiEE10hipError_tPvRmT2_T3_T4_T5_mT6_T7_P12ihipStream_tbENKUlT_T0_E_clISt17integral_constantIbLb0EESZ_EEDaSU_SV_EUlSU_E_NS1_11comp_targetILNS1_3genE3ELNS1_11target_archE908ELNS1_3gpuE7ELNS1_3repE0EEENS1_30default_config_static_selectorELNS0_4arch9wavefront6targetE0EEEvT1_.private_seg_size, 0
	.set _ZN7rocprim17ROCPRIM_400000_NS6detail17trampoline_kernelINS0_14default_configENS1_27scan_by_key_config_selectorIiiEEZZNS1_16scan_by_key_implILNS1_25lookback_scan_determinismE0ELb1ES3_N6thrust23THRUST_200600_302600_NS6detail15normal_iteratorINS9_10device_ptrIiEEEESE_SE_iNS9_10multipliesIiEENS9_8equal_toIiEEiEE10hipError_tPvRmT2_T3_T4_T5_mT6_T7_P12ihipStream_tbENKUlT_T0_E_clISt17integral_constantIbLb0EESZ_EEDaSU_SV_EUlSU_E_NS1_11comp_targetILNS1_3genE3ELNS1_11target_archE908ELNS1_3gpuE7ELNS1_3repE0EEENS1_30default_config_static_selectorELNS0_4arch9wavefront6targetE0EEEvT1_.uses_vcc, 0
	.set _ZN7rocprim17ROCPRIM_400000_NS6detail17trampoline_kernelINS0_14default_configENS1_27scan_by_key_config_selectorIiiEEZZNS1_16scan_by_key_implILNS1_25lookback_scan_determinismE0ELb1ES3_N6thrust23THRUST_200600_302600_NS6detail15normal_iteratorINS9_10device_ptrIiEEEESE_SE_iNS9_10multipliesIiEENS9_8equal_toIiEEiEE10hipError_tPvRmT2_T3_T4_T5_mT6_T7_P12ihipStream_tbENKUlT_T0_E_clISt17integral_constantIbLb0EESZ_EEDaSU_SV_EUlSU_E_NS1_11comp_targetILNS1_3genE3ELNS1_11target_archE908ELNS1_3gpuE7ELNS1_3repE0EEENS1_30default_config_static_selectorELNS0_4arch9wavefront6targetE0EEEvT1_.uses_flat_scratch, 0
	.set _ZN7rocprim17ROCPRIM_400000_NS6detail17trampoline_kernelINS0_14default_configENS1_27scan_by_key_config_selectorIiiEEZZNS1_16scan_by_key_implILNS1_25lookback_scan_determinismE0ELb1ES3_N6thrust23THRUST_200600_302600_NS6detail15normal_iteratorINS9_10device_ptrIiEEEESE_SE_iNS9_10multipliesIiEENS9_8equal_toIiEEiEE10hipError_tPvRmT2_T3_T4_T5_mT6_T7_P12ihipStream_tbENKUlT_T0_E_clISt17integral_constantIbLb0EESZ_EEDaSU_SV_EUlSU_E_NS1_11comp_targetILNS1_3genE3ELNS1_11target_archE908ELNS1_3gpuE7ELNS1_3repE0EEENS1_30default_config_static_selectorELNS0_4arch9wavefront6targetE0EEEvT1_.has_dyn_sized_stack, 0
	.set _ZN7rocprim17ROCPRIM_400000_NS6detail17trampoline_kernelINS0_14default_configENS1_27scan_by_key_config_selectorIiiEEZZNS1_16scan_by_key_implILNS1_25lookback_scan_determinismE0ELb1ES3_N6thrust23THRUST_200600_302600_NS6detail15normal_iteratorINS9_10device_ptrIiEEEESE_SE_iNS9_10multipliesIiEENS9_8equal_toIiEEiEE10hipError_tPvRmT2_T3_T4_T5_mT6_T7_P12ihipStream_tbENKUlT_T0_E_clISt17integral_constantIbLb0EESZ_EEDaSU_SV_EUlSU_E_NS1_11comp_targetILNS1_3genE3ELNS1_11target_archE908ELNS1_3gpuE7ELNS1_3repE0EEENS1_30default_config_static_selectorELNS0_4arch9wavefront6targetE0EEEvT1_.has_recursion, 0
	.set _ZN7rocprim17ROCPRIM_400000_NS6detail17trampoline_kernelINS0_14default_configENS1_27scan_by_key_config_selectorIiiEEZZNS1_16scan_by_key_implILNS1_25lookback_scan_determinismE0ELb1ES3_N6thrust23THRUST_200600_302600_NS6detail15normal_iteratorINS9_10device_ptrIiEEEESE_SE_iNS9_10multipliesIiEENS9_8equal_toIiEEiEE10hipError_tPvRmT2_T3_T4_T5_mT6_T7_P12ihipStream_tbENKUlT_T0_E_clISt17integral_constantIbLb0EESZ_EEDaSU_SV_EUlSU_E_NS1_11comp_targetILNS1_3genE3ELNS1_11target_archE908ELNS1_3gpuE7ELNS1_3repE0EEENS1_30default_config_static_selectorELNS0_4arch9wavefront6targetE0EEEvT1_.has_indirect_call, 0
	.section	.AMDGPU.csdata,"",@progbits
; Kernel info:
; codeLenInByte = 0
; TotalNumSgprs: 0
; NumVgprs: 0
; ScratchSize: 0
; MemoryBound: 0
; FloatMode: 240
; IeeeMode: 1
; LDSByteSize: 0 bytes/workgroup (compile time only)
; SGPRBlocks: 0
; VGPRBlocks: 0
; NumSGPRsForWavesPerEU: 1
; NumVGPRsForWavesPerEU: 1
; Occupancy: 16
; WaveLimiterHint : 0
; COMPUTE_PGM_RSRC2:SCRATCH_EN: 0
; COMPUTE_PGM_RSRC2:USER_SGPR: 6
; COMPUTE_PGM_RSRC2:TRAP_HANDLER: 0
; COMPUTE_PGM_RSRC2:TGID_X_EN: 1
; COMPUTE_PGM_RSRC2:TGID_Y_EN: 0
; COMPUTE_PGM_RSRC2:TGID_Z_EN: 0
; COMPUTE_PGM_RSRC2:TIDIG_COMP_CNT: 0
	.section	.text._ZN7rocprim17ROCPRIM_400000_NS6detail17trampoline_kernelINS0_14default_configENS1_27scan_by_key_config_selectorIiiEEZZNS1_16scan_by_key_implILNS1_25lookback_scan_determinismE0ELb1ES3_N6thrust23THRUST_200600_302600_NS6detail15normal_iteratorINS9_10device_ptrIiEEEESE_SE_iNS9_10multipliesIiEENS9_8equal_toIiEEiEE10hipError_tPvRmT2_T3_T4_T5_mT6_T7_P12ihipStream_tbENKUlT_T0_E_clISt17integral_constantIbLb0EESZ_EEDaSU_SV_EUlSU_E_NS1_11comp_targetILNS1_3genE2ELNS1_11target_archE906ELNS1_3gpuE6ELNS1_3repE0EEENS1_30default_config_static_selectorELNS0_4arch9wavefront6targetE0EEEvT1_,"axG",@progbits,_ZN7rocprim17ROCPRIM_400000_NS6detail17trampoline_kernelINS0_14default_configENS1_27scan_by_key_config_selectorIiiEEZZNS1_16scan_by_key_implILNS1_25lookback_scan_determinismE0ELb1ES3_N6thrust23THRUST_200600_302600_NS6detail15normal_iteratorINS9_10device_ptrIiEEEESE_SE_iNS9_10multipliesIiEENS9_8equal_toIiEEiEE10hipError_tPvRmT2_T3_T4_T5_mT6_T7_P12ihipStream_tbENKUlT_T0_E_clISt17integral_constantIbLb0EESZ_EEDaSU_SV_EUlSU_E_NS1_11comp_targetILNS1_3genE2ELNS1_11target_archE906ELNS1_3gpuE6ELNS1_3repE0EEENS1_30default_config_static_selectorELNS0_4arch9wavefront6targetE0EEEvT1_,comdat
	.protected	_ZN7rocprim17ROCPRIM_400000_NS6detail17trampoline_kernelINS0_14default_configENS1_27scan_by_key_config_selectorIiiEEZZNS1_16scan_by_key_implILNS1_25lookback_scan_determinismE0ELb1ES3_N6thrust23THRUST_200600_302600_NS6detail15normal_iteratorINS9_10device_ptrIiEEEESE_SE_iNS9_10multipliesIiEENS9_8equal_toIiEEiEE10hipError_tPvRmT2_T3_T4_T5_mT6_T7_P12ihipStream_tbENKUlT_T0_E_clISt17integral_constantIbLb0EESZ_EEDaSU_SV_EUlSU_E_NS1_11comp_targetILNS1_3genE2ELNS1_11target_archE906ELNS1_3gpuE6ELNS1_3repE0EEENS1_30default_config_static_selectorELNS0_4arch9wavefront6targetE0EEEvT1_ ; -- Begin function _ZN7rocprim17ROCPRIM_400000_NS6detail17trampoline_kernelINS0_14default_configENS1_27scan_by_key_config_selectorIiiEEZZNS1_16scan_by_key_implILNS1_25lookback_scan_determinismE0ELb1ES3_N6thrust23THRUST_200600_302600_NS6detail15normal_iteratorINS9_10device_ptrIiEEEESE_SE_iNS9_10multipliesIiEENS9_8equal_toIiEEiEE10hipError_tPvRmT2_T3_T4_T5_mT6_T7_P12ihipStream_tbENKUlT_T0_E_clISt17integral_constantIbLb0EESZ_EEDaSU_SV_EUlSU_E_NS1_11comp_targetILNS1_3genE2ELNS1_11target_archE906ELNS1_3gpuE6ELNS1_3repE0EEENS1_30default_config_static_selectorELNS0_4arch9wavefront6targetE0EEEvT1_
	.globl	_ZN7rocprim17ROCPRIM_400000_NS6detail17trampoline_kernelINS0_14default_configENS1_27scan_by_key_config_selectorIiiEEZZNS1_16scan_by_key_implILNS1_25lookback_scan_determinismE0ELb1ES3_N6thrust23THRUST_200600_302600_NS6detail15normal_iteratorINS9_10device_ptrIiEEEESE_SE_iNS9_10multipliesIiEENS9_8equal_toIiEEiEE10hipError_tPvRmT2_T3_T4_T5_mT6_T7_P12ihipStream_tbENKUlT_T0_E_clISt17integral_constantIbLb0EESZ_EEDaSU_SV_EUlSU_E_NS1_11comp_targetILNS1_3genE2ELNS1_11target_archE906ELNS1_3gpuE6ELNS1_3repE0EEENS1_30default_config_static_selectorELNS0_4arch9wavefront6targetE0EEEvT1_
	.p2align	8
	.type	_ZN7rocprim17ROCPRIM_400000_NS6detail17trampoline_kernelINS0_14default_configENS1_27scan_by_key_config_selectorIiiEEZZNS1_16scan_by_key_implILNS1_25lookback_scan_determinismE0ELb1ES3_N6thrust23THRUST_200600_302600_NS6detail15normal_iteratorINS9_10device_ptrIiEEEESE_SE_iNS9_10multipliesIiEENS9_8equal_toIiEEiEE10hipError_tPvRmT2_T3_T4_T5_mT6_T7_P12ihipStream_tbENKUlT_T0_E_clISt17integral_constantIbLb0EESZ_EEDaSU_SV_EUlSU_E_NS1_11comp_targetILNS1_3genE2ELNS1_11target_archE906ELNS1_3gpuE6ELNS1_3repE0EEENS1_30default_config_static_selectorELNS0_4arch9wavefront6targetE0EEEvT1_,@function
_ZN7rocprim17ROCPRIM_400000_NS6detail17trampoline_kernelINS0_14default_configENS1_27scan_by_key_config_selectorIiiEEZZNS1_16scan_by_key_implILNS1_25lookback_scan_determinismE0ELb1ES3_N6thrust23THRUST_200600_302600_NS6detail15normal_iteratorINS9_10device_ptrIiEEEESE_SE_iNS9_10multipliesIiEENS9_8equal_toIiEEiEE10hipError_tPvRmT2_T3_T4_T5_mT6_T7_P12ihipStream_tbENKUlT_T0_E_clISt17integral_constantIbLb0EESZ_EEDaSU_SV_EUlSU_E_NS1_11comp_targetILNS1_3genE2ELNS1_11target_archE906ELNS1_3gpuE6ELNS1_3repE0EEENS1_30default_config_static_selectorELNS0_4arch9wavefront6targetE0EEEvT1_: ; @_ZN7rocprim17ROCPRIM_400000_NS6detail17trampoline_kernelINS0_14default_configENS1_27scan_by_key_config_selectorIiiEEZZNS1_16scan_by_key_implILNS1_25lookback_scan_determinismE0ELb1ES3_N6thrust23THRUST_200600_302600_NS6detail15normal_iteratorINS9_10device_ptrIiEEEESE_SE_iNS9_10multipliesIiEENS9_8equal_toIiEEiEE10hipError_tPvRmT2_T3_T4_T5_mT6_T7_P12ihipStream_tbENKUlT_T0_E_clISt17integral_constantIbLb0EESZ_EEDaSU_SV_EUlSU_E_NS1_11comp_targetILNS1_3genE2ELNS1_11target_archE906ELNS1_3gpuE6ELNS1_3repE0EEENS1_30default_config_static_selectorELNS0_4arch9wavefront6targetE0EEEvT1_
; %bb.0:
	.section	.rodata,"a",@progbits
	.p2align	6, 0x0
	.amdhsa_kernel _ZN7rocprim17ROCPRIM_400000_NS6detail17trampoline_kernelINS0_14default_configENS1_27scan_by_key_config_selectorIiiEEZZNS1_16scan_by_key_implILNS1_25lookback_scan_determinismE0ELb1ES3_N6thrust23THRUST_200600_302600_NS6detail15normal_iteratorINS9_10device_ptrIiEEEESE_SE_iNS9_10multipliesIiEENS9_8equal_toIiEEiEE10hipError_tPvRmT2_T3_T4_T5_mT6_T7_P12ihipStream_tbENKUlT_T0_E_clISt17integral_constantIbLb0EESZ_EEDaSU_SV_EUlSU_E_NS1_11comp_targetILNS1_3genE2ELNS1_11target_archE906ELNS1_3gpuE6ELNS1_3repE0EEENS1_30default_config_static_selectorELNS0_4arch9wavefront6targetE0EEEvT1_
		.amdhsa_group_segment_fixed_size 0
		.amdhsa_private_segment_fixed_size 0
		.amdhsa_kernarg_size 112
		.amdhsa_user_sgpr_count 6
		.amdhsa_user_sgpr_private_segment_buffer 1
		.amdhsa_user_sgpr_dispatch_ptr 0
		.amdhsa_user_sgpr_queue_ptr 0
		.amdhsa_user_sgpr_kernarg_segment_ptr 1
		.amdhsa_user_sgpr_dispatch_id 0
		.amdhsa_user_sgpr_flat_scratch_init 0
		.amdhsa_user_sgpr_private_segment_size 0
		.amdhsa_wavefront_size32 1
		.amdhsa_uses_dynamic_stack 0
		.amdhsa_system_sgpr_private_segment_wavefront_offset 0
		.amdhsa_system_sgpr_workgroup_id_x 1
		.amdhsa_system_sgpr_workgroup_id_y 0
		.amdhsa_system_sgpr_workgroup_id_z 0
		.amdhsa_system_sgpr_workgroup_info 0
		.amdhsa_system_vgpr_workitem_id 0
		.amdhsa_next_free_vgpr 1
		.amdhsa_next_free_sgpr 1
		.amdhsa_reserve_vcc 0
		.amdhsa_reserve_flat_scratch 0
		.amdhsa_float_round_mode_32 0
		.amdhsa_float_round_mode_16_64 0
		.amdhsa_float_denorm_mode_32 3
		.amdhsa_float_denorm_mode_16_64 3
		.amdhsa_dx10_clamp 1
		.amdhsa_ieee_mode 1
		.amdhsa_fp16_overflow 0
		.amdhsa_workgroup_processor_mode 1
		.amdhsa_memory_ordered 1
		.amdhsa_forward_progress 1
		.amdhsa_shared_vgpr_count 0
		.amdhsa_exception_fp_ieee_invalid_op 0
		.amdhsa_exception_fp_denorm_src 0
		.amdhsa_exception_fp_ieee_div_zero 0
		.amdhsa_exception_fp_ieee_overflow 0
		.amdhsa_exception_fp_ieee_underflow 0
		.amdhsa_exception_fp_ieee_inexact 0
		.amdhsa_exception_int_div_zero 0
	.end_amdhsa_kernel
	.section	.text._ZN7rocprim17ROCPRIM_400000_NS6detail17trampoline_kernelINS0_14default_configENS1_27scan_by_key_config_selectorIiiEEZZNS1_16scan_by_key_implILNS1_25lookback_scan_determinismE0ELb1ES3_N6thrust23THRUST_200600_302600_NS6detail15normal_iteratorINS9_10device_ptrIiEEEESE_SE_iNS9_10multipliesIiEENS9_8equal_toIiEEiEE10hipError_tPvRmT2_T3_T4_T5_mT6_T7_P12ihipStream_tbENKUlT_T0_E_clISt17integral_constantIbLb0EESZ_EEDaSU_SV_EUlSU_E_NS1_11comp_targetILNS1_3genE2ELNS1_11target_archE906ELNS1_3gpuE6ELNS1_3repE0EEENS1_30default_config_static_selectorELNS0_4arch9wavefront6targetE0EEEvT1_,"axG",@progbits,_ZN7rocprim17ROCPRIM_400000_NS6detail17trampoline_kernelINS0_14default_configENS1_27scan_by_key_config_selectorIiiEEZZNS1_16scan_by_key_implILNS1_25lookback_scan_determinismE0ELb1ES3_N6thrust23THRUST_200600_302600_NS6detail15normal_iteratorINS9_10device_ptrIiEEEESE_SE_iNS9_10multipliesIiEENS9_8equal_toIiEEiEE10hipError_tPvRmT2_T3_T4_T5_mT6_T7_P12ihipStream_tbENKUlT_T0_E_clISt17integral_constantIbLb0EESZ_EEDaSU_SV_EUlSU_E_NS1_11comp_targetILNS1_3genE2ELNS1_11target_archE906ELNS1_3gpuE6ELNS1_3repE0EEENS1_30default_config_static_selectorELNS0_4arch9wavefront6targetE0EEEvT1_,comdat
.Lfunc_end502:
	.size	_ZN7rocprim17ROCPRIM_400000_NS6detail17trampoline_kernelINS0_14default_configENS1_27scan_by_key_config_selectorIiiEEZZNS1_16scan_by_key_implILNS1_25lookback_scan_determinismE0ELb1ES3_N6thrust23THRUST_200600_302600_NS6detail15normal_iteratorINS9_10device_ptrIiEEEESE_SE_iNS9_10multipliesIiEENS9_8equal_toIiEEiEE10hipError_tPvRmT2_T3_T4_T5_mT6_T7_P12ihipStream_tbENKUlT_T0_E_clISt17integral_constantIbLb0EESZ_EEDaSU_SV_EUlSU_E_NS1_11comp_targetILNS1_3genE2ELNS1_11target_archE906ELNS1_3gpuE6ELNS1_3repE0EEENS1_30default_config_static_selectorELNS0_4arch9wavefront6targetE0EEEvT1_, .Lfunc_end502-_ZN7rocprim17ROCPRIM_400000_NS6detail17trampoline_kernelINS0_14default_configENS1_27scan_by_key_config_selectorIiiEEZZNS1_16scan_by_key_implILNS1_25lookback_scan_determinismE0ELb1ES3_N6thrust23THRUST_200600_302600_NS6detail15normal_iteratorINS9_10device_ptrIiEEEESE_SE_iNS9_10multipliesIiEENS9_8equal_toIiEEiEE10hipError_tPvRmT2_T3_T4_T5_mT6_T7_P12ihipStream_tbENKUlT_T0_E_clISt17integral_constantIbLb0EESZ_EEDaSU_SV_EUlSU_E_NS1_11comp_targetILNS1_3genE2ELNS1_11target_archE906ELNS1_3gpuE6ELNS1_3repE0EEENS1_30default_config_static_selectorELNS0_4arch9wavefront6targetE0EEEvT1_
                                        ; -- End function
	.set _ZN7rocprim17ROCPRIM_400000_NS6detail17trampoline_kernelINS0_14default_configENS1_27scan_by_key_config_selectorIiiEEZZNS1_16scan_by_key_implILNS1_25lookback_scan_determinismE0ELb1ES3_N6thrust23THRUST_200600_302600_NS6detail15normal_iteratorINS9_10device_ptrIiEEEESE_SE_iNS9_10multipliesIiEENS9_8equal_toIiEEiEE10hipError_tPvRmT2_T3_T4_T5_mT6_T7_P12ihipStream_tbENKUlT_T0_E_clISt17integral_constantIbLb0EESZ_EEDaSU_SV_EUlSU_E_NS1_11comp_targetILNS1_3genE2ELNS1_11target_archE906ELNS1_3gpuE6ELNS1_3repE0EEENS1_30default_config_static_selectorELNS0_4arch9wavefront6targetE0EEEvT1_.num_vgpr, 0
	.set _ZN7rocprim17ROCPRIM_400000_NS6detail17trampoline_kernelINS0_14default_configENS1_27scan_by_key_config_selectorIiiEEZZNS1_16scan_by_key_implILNS1_25lookback_scan_determinismE0ELb1ES3_N6thrust23THRUST_200600_302600_NS6detail15normal_iteratorINS9_10device_ptrIiEEEESE_SE_iNS9_10multipliesIiEENS9_8equal_toIiEEiEE10hipError_tPvRmT2_T3_T4_T5_mT6_T7_P12ihipStream_tbENKUlT_T0_E_clISt17integral_constantIbLb0EESZ_EEDaSU_SV_EUlSU_E_NS1_11comp_targetILNS1_3genE2ELNS1_11target_archE906ELNS1_3gpuE6ELNS1_3repE0EEENS1_30default_config_static_selectorELNS0_4arch9wavefront6targetE0EEEvT1_.num_agpr, 0
	.set _ZN7rocprim17ROCPRIM_400000_NS6detail17trampoline_kernelINS0_14default_configENS1_27scan_by_key_config_selectorIiiEEZZNS1_16scan_by_key_implILNS1_25lookback_scan_determinismE0ELb1ES3_N6thrust23THRUST_200600_302600_NS6detail15normal_iteratorINS9_10device_ptrIiEEEESE_SE_iNS9_10multipliesIiEENS9_8equal_toIiEEiEE10hipError_tPvRmT2_T3_T4_T5_mT6_T7_P12ihipStream_tbENKUlT_T0_E_clISt17integral_constantIbLb0EESZ_EEDaSU_SV_EUlSU_E_NS1_11comp_targetILNS1_3genE2ELNS1_11target_archE906ELNS1_3gpuE6ELNS1_3repE0EEENS1_30default_config_static_selectorELNS0_4arch9wavefront6targetE0EEEvT1_.numbered_sgpr, 0
	.set _ZN7rocprim17ROCPRIM_400000_NS6detail17trampoline_kernelINS0_14default_configENS1_27scan_by_key_config_selectorIiiEEZZNS1_16scan_by_key_implILNS1_25lookback_scan_determinismE0ELb1ES3_N6thrust23THRUST_200600_302600_NS6detail15normal_iteratorINS9_10device_ptrIiEEEESE_SE_iNS9_10multipliesIiEENS9_8equal_toIiEEiEE10hipError_tPvRmT2_T3_T4_T5_mT6_T7_P12ihipStream_tbENKUlT_T0_E_clISt17integral_constantIbLb0EESZ_EEDaSU_SV_EUlSU_E_NS1_11comp_targetILNS1_3genE2ELNS1_11target_archE906ELNS1_3gpuE6ELNS1_3repE0EEENS1_30default_config_static_selectorELNS0_4arch9wavefront6targetE0EEEvT1_.num_named_barrier, 0
	.set _ZN7rocprim17ROCPRIM_400000_NS6detail17trampoline_kernelINS0_14default_configENS1_27scan_by_key_config_selectorIiiEEZZNS1_16scan_by_key_implILNS1_25lookback_scan_determinismE0ELb1ES3_N6thrust23THRUST_200600_302600_NS6detail15normal_iteratorINS9_10device_ptrIiEEEESE_SE_iNS9_10multipliesIiEENS9_8equal_toIiEEiEE10hipError_tPvRmT2_T3_T4_T5_mT6_T7_P12ihipStream_tbENKUlT_T0_E_clISt17integral_constantIbLb0EESZ_EEDaSU_SV_EUlSU_E_NS1_11comp_targetILNS1_3genE2ELNS1_11target_archE906ELNS1_3gpuE6ELNS1_3repE0EEENS1_30default_config_static_selectorELNS0_4arch9wavefront6targetE0EEEvT1_.private_seg_size, 0
	.set _ZN7rocprim17ROCPRIM_400000_NS6detail17trampoline_kernelINS0_14default_configENS1_27scan_by_key_config_selectorIiiEEZZNS1_16scan_by_key_implILNS1_25lookback_scan_determinismE0ELb1ES3_N6thrust23THRUST_200600_302600_NS6detail15normal_iteratorINS9_10device_ptrIiEEEESE_SE_iNS9_10multipliesIiEENS9_8equal_toIiEEiEE10hipError_tPvRmT2_T3_T4_T5_mT6_T7_P12ihipStream_tbENKUlT_T0_E_clISt17integral_constantIbLb0EESZ_EEDaSU_SV_EUlSU_E_NS1_11comp_targetILNS1_3genE2ELNS1_11target_archE906ELNS1_3gpuE6ELNS1_3repE0EEENS1_30default_config_static_selectorELNS0_4arch9wavefront6targetE0EEEvT1_.uses_vcc, 0
	.set _ZN7rocprim17ROCPRIM_400000_NS6detail17trampoline_kernelINS0_14default_configENS1_27scan_by_key_config_selectorIiiEEZZNS1_16scan_by_key_implILNS1_25lookback_scan_determinismE0ELb1ES3_N6thrust23THRUST_200600_302600_NS6detail15normal_iteratorINS9_10device_ptrIiEEEESE_SE_iNS9_10multipliesIiEENS9_8equal_toIiEEiEE10hipError_tPvRmT2_T3_T4_T5_mT6_T7_P12ihipStream_tbENKUlT_T0_E_clISt17integral_constantIbLb0EESZ_EEDaSU_SV_EUlSU_E_NS1_11comp_targetILNS1_3genE2ELNS1_11target_archE906ELNS1_3gpuE6ELNS1_3repE0EEENS1_30default_config_static_selectorELNS0_4arch9wavefront6targetE0EEEvT1_.uses_flat_scratch, 0
	.set _ZN7rocprim17ROCPRIM_400000_NS6detail17trampoline_kernelINS0_14default_configENS1_27scan_by_key_config_selectorIiiEEZZNS1_16scan_by_key_implILNS1_25lookback_scan_determinismE0ELb1ES3_N6thrust23THRUST_200600_302600_NS6detail15normal_iteratorINS9_10device_ptrIiEEEESE_SE_iNS9_10multipliesIiEENS9_8equal_toIiEEiEE10hipError_tPvRmT2_T3_T4_T5_mT6_T7_P12ihipStream_tbENKUlT_T0_E_clISt17integral_constantIbLb0EESZ_EEDaSU_SV_EUlSU_E_NS1_11comp_targetILNS1_3genE2ELNS1_11target_archE906ELNS1_3gpuE6ELNS1_3repE0EEENS1_30default_config_static_selectorELNS0_4arch9wavefront6targetE0EEEvT1_.has_dyn_sized_stack, 0
	.set _ZN7rocprim17ROCPRIM_400000_NS6detail17trampoline_kernelINS0_14default_configENS1_27scan_by_key_config_selectorIiiEEZZNS1_16scan_by_key_implILNS1_25lookback_scan_determinismE0ELb1ES3_N6thrust23THRUST_200600_302600_NS6detail15normal_iteratorINS9_10device_ptrIiEEEESE_SE_iNS9_10multipliesIiEENS9_8equal_toIiEEiEE10hipError_tPvRmT2_T3_T4_T5_mT6_T7_P12ihipStream_tbENKUlT_T0_E_clISt17integral_constantIbLb0EESZ_EEDaSU_SV_EUlSU_E_NS1_11comp_targetILNS1_3genE2ELNS1_11target_archE906ELNS1_3gpuE6ELNS1_3repE0EEENS1_30default_config_static_selectorELNS0_4arch9wavefront6targetE0EEEvT1_.has_recursion, 0
	.set _ZN7rocprim17ROCPRIM_400000_NS6detail17trampoline_kernelINS0_14default_configENS1_27scan_by_key_config_selectorIiiEEZZNS1_16scan_by_key_implILNS1_25lookback_scan_determinismE0ELb1ES3_N6thrust23THRUST_200600_302600_NS6detail15normal_iteratorINS9_10device_ptrIiEEEESE_SE_iNS9_10multipliesIiEENS9_8equal_toIiEEiEE10hipError_tPvRmT2_T3_T4_T5_mT6_T7_P12ihipStream_tbENKUlT_T0_E_clISt17integral_constantIbLb0EESZ_EEDaSU_SV_EUlSU_E_NS1_11comp_targetILNS1_3genE2ELNS1_11target_archE906ELNS1_3gpuE6ELNS1_3repE0EEENS1_30default_config_static_selectorELNS0_4arch9wavefront6targetE0EEEvT1_.has_indirect_call, 0
	.section	.AMDGPU.csdata,"",@progbits
; Kernel info:
; codeLenInByte = 0
; TotalNumSgprs: 0
; NumVgprs: 0
; ScratchSize: 0
; MemoryBound: 0
; FloatMode: 240
; IeeeMode: 1
; LDSByteSize: 0 bytes/workgroup (compile time only)
; SGPRBlocks: 0
; VGPRBlocks: 0
; NumSGPRsForWavesPerEU: 1
; NumVGPRsForWavesPerEU: 1
; Occupancy: 16
; WaveLimiterHint : 0
; COMPUTE_PGM_RSRC2:SCRATCH_EN: 0
; COMPUTE_PGM_RSRC2:USER_SGPR: 6
; COMPUTE_PGM_RSRC2:TRAP_HANDLER: 0
; COMPUTE_PGM_RSRC2:TGID_X_EN: 1
; COMPUTE_PGM_RSRC2:TGID_Y_EN: 0
; COMPUTE_PGM_RSRC2:TGID_Z_EN: 0
; COMPUTE_PGM_RSRC2:TIDIG_COMP_CNT: 0
	.section	.text._ZN7rocprim17ROCPRIM_400000_NS6detail17trampoline_kernelINS0_14default_configENS1_27scan_by_key_config_selectorIiiEEZZNS1_16scan_by_key_implILNS1_25lookback_scan_determinismE0ELb1ES3_N6thrust23THRUST_200600_302600_NS6detail15normal_iteratorINS9_10device_ptrIiEEEESE_SE_iNS9_10multipliesIiEENS9_8equal_toIiEEiEE10hipError_tPvRmT2_T3_T4_T5_mT6_T7_P12ihipStream_tbENKUlT_T0_E_clISt17integral_constantIbLb0EESZ_EEDaSU_SV_EUlSU_E_NS1_11comp_targetILNS1_3genE10ELNS1_11target_archE1200ELNS1_3gpuE4ELNS1_3repE0EEENS1_30default_config_static_selectorELNS0_4arch9wavefront6targetE0EEEvT1_,"axG",@progbits,_ZN7rocprim17ROCPRIM_400000_NS6detail17trampoline_kernelINS0_14default_configENS1_27scan_by_key_config_selectorIiiEEZZNS1_16scan_by_key_implILNS1_25lookback_scan_determinismE0ELb1ES3_N6thrust23THRUST_200600_302600_NS6detail15normal_iteratorINS9_10device_ptrIiEEEESE_SE_iNS9_10multipliesIiEENS9_8equal_toIiEEiEE10hipError_tPvRmT2_T3_T4_T5_mT6_T7_P12ihipStream_tbENKUlT_T0_E_clISt17integral_constantIbLb0EESZ_EEDaSU_SV_EUlSU_E_NS1_11comp_targetILNS1_3genE10ELNS1_11target_archE1200ELNS1_3gpuE4ELNS1_3repE0EEENS1_30default_config_static_selectorELNS0_4arch9wavefront6targetE0EEEvT1_,comdat
	.protected	_ZN7rocprim17ROCPRIM_400000_NS6detail17trampoline_kernelINS0_14default_configENS1_27scan_by_key_config_selectorIiiEEZZNS1_16scan_by_key_implILNS1_25lookback_scan_determinismE0ELb1ES3_N6thrust23THRUST_200600_302600_NS6detail15normal_iteratorINS9_10device_ptrIiEEEESE_SE_iNS9_10multipliesIiEENS9_8equal_toIiEEiEE10hipError_tPvRmT2_T3_T4_T5_mT6_T7_P12ihipStream_tbENKUlT_T0_E_clISt17integral_constantIbLb0EESZ_EEDaSU_SV_EUlSU_E_NS1_11comp_targetILNS1_3genE10ELNS1_11target_archE1200ELNS1_3gpuE4ELNS1_3repE0EEENS1_30default_config_static_selectorELNS0_4arch9wavefront6targetE0EEEvT1_ ; -- Begin function _ZN7rocprim17ROCPRIM_400000_NS6detail17trampoline_kernelINS0_14default_configENS1_27scan_by_key_config_selectorIiiEEZZNS1_16scan_by_key_implILNS1_25lookback_scan_determinismE0ELb1ES3_N6thrust23THRUST_200600_302600_NS6detail15normal_iteratorINS9_10device_ptrIiEEEESE_SE_iNS9_10multipliesIiEENS9_8equal_toIiEEiEE10hipError_tPvRmT2_T3_T4_T5_mT6_T7_P12ihipStream_tbENKUlT_T0_E_clISt17integral_constantIbLb0EESZ_EEDaSU_SV_EUlSU_E_NS1_11comp_targetILNS1_3genE10ELNS1_11target_archE1200ELNS1_3gpuE4ELNS1_3repE0EEENS1_30default_config_static_selectorELNS0_4arch9wavefront6targetE0EEEvT1_
	.globl	_ZN7rocprim17ROCPRIM_400000_NS6detail17trampoline_kernelINS0_14default_configENS1_27scan_by_key_config_selectorIiiEEZZNS1_16scan_by_key_implILNS1_25lookback_scan_determinismE0ELb1ES3_N6thrust23THRUST_200600_302600_NS6detail15normal_iteratorINS9_10device_ptrIiEEEESE_SE_iNS9_10multipliesIiEENS9_8equal_toIiEEiEE10hipError_tPvRmT2_T3_T4_T5_mT6_T7_P12ihipStream_tbENKUlT_T0_E_clISt17integral_constantIbLb0EESZ_EEDaSU_SV_EUlSU_E_NS1_11comp_targetILNS1_3genE10ELNS1_11target_archE1200ELNS1_3gpuE4ELNS1_3repE0EEENS1_30default_config_static_selectorELNS0_4arch9wavefront6targetE0EEEvT1_
	.p2align	8
	.type	_ZN7rocprim17ROCPRIM_400000_NS6detail17trampoline_kernelINS0_14default_configENS1_27scan_by_key_config_selectorIiiEEZZNS1_16scan_by_key_implILNS1_25lookback_scan_determinismE0ELb1ES3_N6thrust23THRUST_200600_302600_NS6detail15normal_iteratorINS9_10device_ptrIiEEEESE_SE_iNS9_10multipliesIiEENS9_8equal_toIiEEiEE10hipError_tPvRmT2_T3_T4_T5_mT6_T7_P12ihipStream_tbENKUlT_T0_E_clISt17integral_constantIbLb0EESZ_EEDaSU_SV_EUlSU_E_NS1_11comp_targetILNS1_3genE10ELNS1_11target_archE1200ELNS1_3gpuE4ELNS1_3repE0EEENS1_30default_config_static_selectorELNS0_4arch9wavefront6targetE0EEEvT1_,@function
_ZN7rocprim17ROCPRIM_400000_NS6detail17trampoline_kernelINS0_14default_configENS1_27scan_by_key_config_selectorIiiEEZZNS1_16scan_by_key_implILNS1_25lookback_scan_determinismE0ELb1ES3_N6thrust23THRUST_200600_302600_NS6detail15normal_iteratorINS9_10device_ptrIiEEEESE_SE_iNS9_10multipliesIiEENS9_8equal_toIiEEiEE10hipError_tPvRmT2_T3_T4_T5_mT6_T7_P12ihipStream_tbENKUlT_T0_E_clISt17integral_constantIbLb0EESZ_EEDaSU_SV_EUlSU_E_NS1_11comp_targetILNS1_3genE10ELNS1_11target_archE1200ELNS1_3gpuE4ELNS1_3repE0EEENS1_30default_config_static_selectorELNS0_4arch9wavefront6targetE0EEEvT1_: ; @_ZN7rocprim17ROCPRIM_400000_NS6detail17trampoline_kernelINS0_14default_configENS1_27scan_by_key_config_selectorIiiEEZZNS1_16scan_by_key_implILNS1_25lookback_scan_determinismE0ELb1ES3_N6thrust23THRUST_200600_302600_NS6detail15normal_iteratorINS9_10device_ptrIiEEEESE_SE_iNS9_10multipliesIiEENS9_8equal_toIiEEiEE10hipError_tPvRmT2_T3_T4_T5_mT6_T7_P12ihipStream_tbENKUlT_T0_E_clISt17integral_constantIbLb0EESZ_EEDaSU_SV_EUlSU_E_NS1_11comp_targetILNS1_3genE10ELNS1_11target_archE1200ELNS1_3gpuE4ELNS1_3repE0EEENS1_30default_config_static_selectorELNS0_4arch9wavefront6targetE0EEEvT1_
; %bb.0:
	.section	.rodata,"a",@progbits
	.p2align	6, 0x0
	.amdhsa_kernel _ZN7rocprim17ROCPRIM_400000_NS6detail17trampoline_kernelINS0_14default_configENS1_27scan_by_key_config_selectorIiiEEZZNS1_16scan_by_key_implILNS1_25lookback_scan_determinismE0ELb1ES3_N6thrust23THRUST_200600_302600_NS6detail15normal_iteratorINS9_10device_ptrIiEEEESE_SE_iNS9_10multipliesIiEENS9_8equal_toIiEEiEE10hipError_tPvRmT2_T3_T4_T5_mT6_T7_P12ihipStream_tbENKUlT_T0_E_clISt17integral_constantIbLb0EESZ_EEDaSU_SV_EUlSU_E_NS1_11comp_targetILNS1_3genE10ELNS1_11target_archE1200ELNS1_3gpuE4ELNS1_3repE0EEENS1_30default_config_static_selectorELNS0_4arch9wavefront6targetE0EEEvT1_
		.amdhsa_group_segment_fixed_size 0
		.amdhsa_private_segment_fixed_size 0
		.amdhsa_kernarg_size 112
		.amdhsa_user_sgpr_count 6
		.amdhsa_user_sgpr_private_segment_buffer 1
		.amdhsa_user_sgpr_dispatch_ptr 0
		.amdhsa_user_sgpr_queue_ptr 0
		.amdhsa_user_sgpr_kernarg_segment_ptr 1
		.amdhsa_user_sgpr_dispatch_id 0
		.amdhsa_user_sgpr_flat_scratch_init 0
		.amdhsa_user_sgpr_private_segment_size 0
		.amdhsa_wavefront_size32 1
		.amdhsa_uses_dynamic_stack 0
		.amdhsa_system_sgpr_private_segment_wavefront_offset 0
		.amdhsa_system_sgpr_workgroup_id_x 1
		.amdhsa_system_sgpr_workgroup_id_y 0
		.amdhsa_system_sgpr_workgroup_id_z 0
		.amdhsa_system_sgpr_workgroup_info 0
		.amdhsa_system_vgpr_workitem_id 0
		.amdhsa_next_free_vgpr 1
		.amdhsa_next_free_sgpr 1
		.amdhsa_reserve_vcc 0
		.amdhsa_reserve_flat_scratch 0
		.amdhsa_float_round_mode_32 0
		.amdhsa_float_round_mode_16_64 0
		.amdhsa_float_denorm_mode_32 3
		.amdhsa_float_denorm_mode_16_64 3
		.amdhsa_dx10_clamp 1
		.amdhsa_ieee_mode 1
		.amdhsa_fp16_overflow 0
		.amdhsa_workgroup_processor_mode 1
		.amdhsa_memory_ordered 1
		.amdhsa_forward_progress 1
		.amdhsa_shared_vgpr_count 0
		.amdhsa_exception_fp_ieee_invalid_op 0
		.amdhsa_exception_fp_denorm_src 0
		.amdhsa_exception_fp_ieee_div_zero 0
		.amdhsa_exception_fp_ieee_overflow 0
		.amdhsa_exception_fp_ieee_underflow 0
		.amdhsa_exception_fp_ieee_inexact 0
		.amdhsa_exception_int_div_zero 0
	.end_amdhsa_kernel
	.section	.text._ZN7rocprim17ROCPRIM_400000_NS6detail17trampoline_kernelINS0_14default_configENS1_27scan_by_key_config_selectorIiiEEZZNS1_16scan_by_key_implILNS1_25lookback_scan_determinismE0ELb1ES3_N6thrust23THRUST_200600_302600_NS6detail15normal_iteratorINS9_10device_ptrIiEEEESE_SE_iNS9_10multipliesIiEENS9_8equal_toIiEEiEE10hipError_tPvRmT2_T3_T4_T5_mT6_T7_P12ihipStream_tbENKUlT_T0_E_clISt17integral_constantIbLb0EESZ_EEDaSU_SV_EUlSU_E_NS1_11comp_targetILNS1_3genE10ELNS1_11target_archE1200ELNS1_3gpuE4ELNS1_3repE0EEENS1_30default_config_static_selectorELNS0_4arch9wavefront6targetE0EEEvT1_,"axG",@progbits,_ZN7rocprim17ROCPRIM_400000_NS6detail17trampoline_kernelINS0_14default_configENS1_27scan_by_key_config_selectorIiiEEZZNS1_16scan_by_key_implILNS1_25lookback_scan_determinismE0ELb1ES3_N6thrust23THRUST_200600_302600_NS6detail15normal_iteratorINS9_10device_ptrIiEEEESE_SE_iNS9_10multipliesIiEENS9_8equal_toIiEEiEE10hipError_tPvRmT2_T3_T4_T5_mT6_T7_P12ihipStream_tbENKUlT_T0_E_clISt17integral_constantIbLb0EESZ_EEDaSU_SV_EUlSU_E_NS1_11comp_targetILNS1_3genE10ELNS1_11target_archE1200ELNS1_3gpuE4ELNS1_3repE0EEENS1_30default_config_static_selectorELNS0_4arch9wavefront6targetE0EEEvT1_,comdat
.Lfunc_end503:
	.size	_ZN7rocprim17ROCPRIM_400000_NS6detail17trampoline_kernelINS0_14default_configENS1_27scan_by_key_config_selectorIiiEEZZNS1_16scan_by_key_implILNS1_25lookback_scan_determinismE0ELb1ES3_N6thrust23THRUST_200600_302600_NS6detail15normal_iteratorINS9_10device_ptrIiEEEESE_SE_iNS9_10multipliesIiEENS9_8equal_toIiEEiEE10hipError_tPvRmT2_T3_T4_T5_mT6_T7_P12ihipStream_tbENKUlT_T0_E_clISt17integral_constantIbLb0EESZ_EEDaSU_SV_EUlSU_E_NS1_11comp_targetILNS1_3genE10ELNS1_11target_archE1200ELNS1_3gpuE4ELNS1_3repE0EEENS1_30default_config_static_selectorELNS0_4arch9wavefront6targetE0EEEvT1_, .Lfunc_end503-_ZN7rocprim17ROCPRIM_400000_NS6detail17trampoline_kernelINS0_14default_configENS1_27scan_by_key_config_selectorIiiEEZZNS1_16scan_by_key_implILNS1_25lookback_scan_determinismE0ELb1ES3_N6thrust23THRUST_200600_302600_NS6detail15normal_iteratorINS9_10device_ptrIiEEEESE_SE_iNS9_10multipliesIiEENS9_8equal_toIiEEiEE10hipError_tPvRmT2_T3_T4_T5_mT6_T7_P12ihipStream_tbENKUlT_T0_E_clISt17integral_constantIbLb0EESZ_EEDaSU_SV_EUlSU_E_NS1_11comp_targetILNS1_3genE10ELNS1_11target_archE1200ELNS1_3gpuE4ELNS1_3repE0EEENS1_30default_config_static_selectorELNS0_4arch9wavefront6targetE0EEEvT1_
                                        ; -- End function
	.set _ZN7rocprim17ROCPRIM_400000_NS6detail17trampoline_kernelINS0_14default_configENS1_27scan_by_key_config_selectorIiiEEZZNS1_16scan_by_key_implILNS1_25lookback_scan_determinismE0ELb1ES3_N6thrust23THRUST_200600_302600_NS6detail15normal_iteratorINS9_10device_ptrIiEEEESE_SE_iNS9_10multipliesIiEENS9_8equal_toIiEEiEE10hipError_tPvRmT2_T3_T4_T5_mT6_T7_P12ihipStream_tbENKUlT_T0_E_clISt17integral_constantIbLb0EESZ_EEDaSU_SV_EUlSU_E_NS1_11comp_targetILNS1_3genE10ELNS1_11target_archE1200ELNS1_3gpuE4ELNS1_3repE0EEENS1_30default_config_static_selectorELNS0_4arch9wavefront6targetE0EEEvT1_.num_vgpr, 0
	.set _ZN7rocprim17ROCPRIM_400000_NS6detail17trampoline_kernelINS0_14default_configENS1_27scan_by_key_config_selectorIiiEEZZNS1_16scan_by_key_implILNS1_25lookback_scan_determinismE0ELb1ES3_N6thrust23THRUST_200600_302600_NS6detail15normal_iteratorINS9_10device_ptrIiEEEESE_SE_iNS9_10multipliesIiEENS9_8equal_toIiEEiEE10hipError_tPvRmT2_T3_T4_T5_mT6_T7_P12ihipStream_tbENKUlT_T0_E_clISt17integral_constantIbLb0EESZ_EEDaSU_SV_EUlSU_E_NS1_11comp_targetILNS1_3genE10ELNS1_11target_archE1200ELNS1_3gpuE4ELNS1_3repE0EEENS1_30default_config_static_selectorELNS0_4arch9wavefront6targetE0EEEvT1_.num_agpr, 0
	.set _ZN7rocprim17ROCPRIM_400000_NS6detail17trampoline_kernelINS0_14default_configENS1_27scan_by_key_config_selectorIiiEEZZNS1_16scan_by_key_implILNS1_25lookback_scan_determinismE0ELb1ES3_N6thrust23THRUST_200600_302600_NS6detail15normal_iteratorINS9_10device_ptrIiEEEESE_SE_iNS9_10multipliesIiEENS9_8equal_toIiEEiEE10hipError_tPvRmT2_T3_T4_T5_mT6_T7_P12ihipStream_tbENKUlT_T0_E_clISt17integral_constantIbLb0EESZ_EEDaSU_SV_EUlSU_E_NS1_11comp_targetILNS1_3genE10ELNS1_11target_archE1200ELNS1_3gpuE4ELNS1_3repE0EEENS1_30default_config_static_selectorELNS0_4arch9wavefront6targetE0EEEvT1_.numbered_sgpr, 0
	.set _ZN7rocprim17ROCPRIM_400000_NS6detail17trampoline_kernelINS0_14default_configENS1_27scan_by_key_config_selectorIiiEEZZNS1_16scan_by_key_implILNS1_25lookback_scan_determinismE0ELb1ES3_N6thrust23THRUST_200600_302600_NS6detail15normal_iteratorINS9_10device_ptrIiEEEESE_SE_iNS9_10multipliesIiEENS9_8equal_toIiEEiEE10hipError_tPvRmT2_T3_T4_T5_mT6_T7_P12ihipStream_tbENKUlT_T0_E_clISt17integral_constantIbLb0EESZ_EEDaSU_SV_EUlSU_E_NS1_11comp_targetILNS1_3genE10ELNS1_11target_archE1200ELNS1_3gpuE4ELNS1_3repE0EEENS1_30default_config_static_selectorELNS0_4arch9wavefront6targetE0EEEvT1_.num_named_barrier, 0
	.set _ZN7rocprim17ROCPRIM_400000_NS6detail17trampoline_kernelINS0_14default_configENS1_27scan_by_key_config_selectorIiiEEZZNS1_16scan_by_key_implILNS1_25lookback_scan_determinismE0ELb1ES3_N6thrust23THRUST_200600_302600_NS6detail15normal_iteratorINS9_10device_ptrIiEEEESE_SE_iNS9_10multipliesIiEENS9_8equal_toIiEEiEE10hipError_tPvRmT2_T3_T4_T5_mT6_T7_P12ihipStream_tbENKUlT_T0_E_clISt17integral_constantIbLb0EESZ_EEDaSU_SV_EUlSU_E_NS1_11comp_targetILNS1_3genE10ELNS1_11target_archE1200ELNS1_3gpuE4ELNS1_3repE0EEENS1_30default_config_static_selectorELNS0_4arch9wavefront6targetE0EEEvT1_.private_seg_size, 0
	.set _ZN7rocprim17ROCPRIM_400000_NS6detail17trampoline_kernelINS0_14default_configENS1_27scan_by_key_config_selectorIiiEEZZNS1_16scan_by_key_implILNS1_25lookback_scan_determinismE0ELb1ES3_N6thrust23THRUST_200600_302600_NS6detail15normal_iteratorINS9_10device_ptrIiEEEESE_SE_iNS9_10multipliesIiEENS9_8equal_toIiEEiEE10hipError_tPvRmT2_T3_T4_T5_mT6_T7_P12ihipStream_tbENKUlT_T0_E_clISt17integral_constantIbLb0EESZ_EEDaSU_SV_EUlSU_E_NS1_11comp_targetILNS1_3genE10ELNS1_11target_archE1200ELNS1_3gpuE4ELNS1_3repE0EEENS1_30default_config_static_selectorELNS0_4arch9wavefront6targetE0EEEvT1_.uses_vcc, 0
	.set _ZN7rocprim17ROCPRIM_400000_NS6detail17trampoline_kernelINS0_14default_configENS1_27scan_by_key_config_selectorIiiEEZZNS1_16scan_by_key_implILNS1_25lookback_scan_determinismE0ELb1ES3_N6thrust23THRUST_200600_302600_NS6detail15normal_iteratorINS9_10device_ptrIiEEEESE_SE_iNS9_10multipliesIiEENS9_8equal_toIiEEiEE10hipError_tPvRmT2_T3_T4_T5_mT6_T7_P12ihipStream_tbENKUlT_T0_E_clISt17integral_constantIbLb0EESZ_EEDaSU_SV_EUlSU_E_NS1_11comp_targetILNS1_3genE10ELNS1_11target_archE1200ELNS1_3gpuE4ELNS1_3repE0EEENS1_30default_config_static_selectorELNS0_4arch9wavefront6targetE0EEEvT1_.uses_flat_scratch, 0
	.set _ZN7rocprim17ROCPRIM_400000_NS6detail17trampoline_kernelINS0_14default_configENS1_27scan_by_key_config_selectorIiiEEZZNS1_16scan_by_key_implILNS1_25lookback_scan_determinismE0ELb1ES3_N6thrust23THRUST_200600_302600_NS6detail15normal_iteratorINS9_10device_ptrIiEEEESE_SE_iNS9_10multipliesIiEENS9_8equal_toIiEEiEE10hipError_tPvRmT2_T3_T4_T5_mT6_T7_P12ihipStream_tbENKUlT_T0_E_clISt17integral_constantIbLb0EESZ_EEDaSU_SV_EUlSU_E_NS1_11comp_targetILNS1_3genE10ELNS1_11target_archE1200ELNS1_3gpuE4ELNS1_3repE0EEENS1_30default_config_static_selectorELNS0_4arch9wavefront6targetE0EEEvT1_.has_dyn_sized_stack, 0
	.set _ZN7rocprim17ROCPRIM_400000_NS6detail17trampoline_kernelINS0_14default_configENS1_27scan_by_key_config_selectorIiiEEZZNS1_16scan_by_key_implILNS1_25lookback_scan_determinismE0ELb1ES3_N6thrust23THRUST_200600_302600_NS6detail15normal_iteratorINS9_10device_ptrIiEEEESE_SE_iNS9_10multipliesIiEENS9_8equal_toIiEEiEE10hipError_tPvRmT2_T3_T4_T5_mT6_T7_P12ihipStream_tbENKUlT_T0_E_clISt17integral_constantIbLb0EESZ_EEDaSU_SV_EUlSU_E_NS1_11comp_targetILNS1_3genE10ELNS1_11target_archE1200ELNS1_3gpuE4ELNS1_3repE0EEENS1_30default_config_static_selectorELNS0_4arch9wavefront6targetE0EEEvT1_.has_recursion, 0
	.set _ZN7rocprim17ROCPRIM_400000_NS6detail17trampoline_kernelINS0_14default_configENS1_27scan_by_key_config_selectorIiiEEZZNS1_16scan_by_key_implILNS1_25lookback_scan_determinismE0ELb1ES3_N6thrust23THRUST_200600_302600_NS6detail15normal_iteratorINS9_10device_ptrIiEEEESE_SE_iNS9_10multipliesIiEENS9_8equal_toIiEEiEE10hipError_tPvRmT2_T3_T4_T5_mT6_T7_P12ihipStream_tbENKUlT_T0_E_clISt17integral_constantIbLb0EESZ_EEDaSU_SV_EUlSU_E_NS1_11comp_targetILNS1_3genE10ELNS1_11target_archE1200ELNS1_3gpuE4ELNS1_3repE0EEENS1_30default_config_static_selectorELNS0_4arch9wavefront6targetE0EEEvT1_.has_indirect_call, 0
	.section	.AMDGPU.csdata,"",@progbits
; Kernel info:
; codeLenInByte = 0
; TotalNumSgprs: 0
; NumVgprs: 0
; ScratchSize: 0
; MemoryBound: 0
; FloatMode: 240
; IeeeMode: 1
; LDSByteSize: 0 bytes/workgroup (compile time only)
; SGPRBlocks: 0
; VGPRBlocks: 0
; NumSGPRsForWavesPerEU: 1
; NumVGPRsForWavesPerEU: 1
; Occupancy: 16
; WaveLimiterHint : 0
; COMPUTE_PGM_RSRC2:SCRATCH_EN: 0
; COMPUTE_PGM_RSRC2:USER_SGPR: 6
; COMPUTE_PGM_RSRC2:TRAP_HANDLER: 0
; COMPUTE_PGM_RSRC2:TGID_X_EN: 1
; COMPUTE_PGM_RSRC2:TGID_Y_EN: 0
; COMPUTE_PGM_RSRC2:TGID_Z_EN: 0
; COMPUTE_PGM_RSRC2:TIDIG_COMP_CNT: 0
	.section	.text._ZN7rocprim17ROCPRIM_400000_NS6detail17trampoline_kernelINS0_14default_configENS1_27scan_by_key_config_selectorIiiEEZZNS1_16scan_by_key_implILNS1_25lookback_scan_determinismE0ELb1ES3_N6thrust23THRUST_200600_302600_NS6detail15normal_iteratorINS9_10device_ptrIiEEEESE_SE_iNS9_10multipliesIiEENS9_8equal_toIiEEiEE10hipError_tPvRmT2_T3_T4_T5_mT6_T7_P12ihipStream_tbENKUlT_T0_E_clISt17integral_constantIbLb0EESZ_EEDaSU_SV_EUlSU_E_NS1_11comp_targetILNS1_3genE9ELNS1_11target_archE1100ELNS1_3gpuE3ELNS1_3repE0EEENS1_30default_config_static_selectorELNS0_4arch9wavefront6targetE0EEEvT1_,"axG",@progbits,_ZN7rocprim17ROCPRIM_400000_NS6detail17trampoline_kernelINS0_14default_configENS1_27scan_by_key_config_selectorIiiEEZZNS1_16scan_by_key_implILNS1_25lookback_scan_determinismE0ELb1ES3_N6thrust23THRUST_200600_302600_NS6detail15normal_iteratorINS9_10device_ptrIiEEEESE_SE_iNS9_10multipliesIiEENS9_8equal_toIiEEiEE10hipError_tPvRmT2_T3_T4_T5_mT6_T7_P12ihipStream_tbENKUlT_T0_E_clISt17integral_constantIbLb0EESZ_EEDaSU_SV_EUlSU_E_NS1_11comp_targetILNS1_3genE9ELNS1_11target_archE1100ELNS1_3gpuE3ELNS1_3repE0EEENS1_30default_config_static_selectorELNS0_4arch9wavefront6targetE0EEEvT1_,comdat
	.protected	_ZN7rocprim17ROCPRIM_400000_NS6detail17trampoline_kernelINS0_14default_configENS1_27scan_by_key_config_selectorIiiEEZZNS1_16scan_by_key_implILNS1_25lookback_scan_determinismE0ELb1ES3_N6thrust23THRUST_200600_302600_NS6detail15normal_iteratorINS9_10device_ptrIiEEEESE_SE_iNS9_10multipliesIiEENS9_8equal_toIiEEiEE10hipError_tPvRmT2_T3_T4_T5_mT6_T7_P12ihipStream_tbENKUlT_T0_E_clISt17integral_constantIbLb0EESZ_EEDaSU_SV_EUlSU_E_NS1_11comp_targetILNS1_3genE9ELNS1_11target_archE1100ELNS1_3gpuE3ELNS1_3repE0EEENS1_30default_config_static_selectorELNS0_4arch9wavefront6targetE0EEEvT1_ ; -- Begin function _ZN7rocprim17ROCPRIM_400000_NS6detail17trampoline_kernelINS0_14default_configENS1_27scan_by_key_config_selectorIiiEEZZNS1_16scan_by_key_implILNS1_25lookback_scan_determinismE0ELb1ES3_N6thrust23THRUST_200600_302600_NS6detail15normal_iteratorINS9_10device_ptrIiEEEESE_SE_iNS9_10multipliesIiEENS9_8equal_toIiEEiEE10hipError_tPvRmT2_T3_T4_T5_mT6_T7_P12ihipStream_tbENKUlT_T0_E_clISt17integral_constantIbLb0EESZ_EEDaSU_SV_EUlSU_E_NS1_11comp_targetILNS1_3genE9ELNS1_11target_archE1100ELNS1_3gpuE3ELNS1_3repE0EEENS1_30default_config_static_selectorELNS0_4arch9wavefront6targetE0EEEvT1_
	.globl	_ZN7rocprim17ROCPRIM_400000_NS6detail17trampoline_kernelINS0_14default_configENS1_27scan_by_key_config_selectorIiiEEZZNS1_16scan_by_key_implILNS1_25lookback_scan_determinismE0ELb1ES3_N6thrust23THRUST_200600_302600_NS6detail15normal_iteratorINS9_10device_ptrIiEEEESE_SE_iNS9_10multipliesIiEENS9_8equal_toIiEEiEE10hipError_tPvRmT2_T3_T4_T5_mT6_T7_P12ihipStream_tbENKUlT_T0_E_clISt17integral_constantIbLb0EESZ_EEDaSU_SV_EUlSU_E_NS1_11comp_targetILNS1_3genE9ELNS1_11target_archE1100ELNS1_3gpuE3ELNS1_3repE0EEENS1_30default_config_static_selectorELNS0_4arch9wavefront6targetE0EEEvT1_
	.p2align	8
	.type	_ZN7rocprim17ROCPRIM_400000_NS6detail17trampoline_kernelINS0_14default_configENS1_27scan_by_key_config_selectorIiiEEZZNS1_16scan_by_key_implILNS1_25lookback_scan_determinismE0ELb1ES3_N6thrust23THRUST_200600_302600_NS6detail15normal_iteratorINS9_10device_ptrIiEEEESE_SE_iNS9_10multipliesIiEENS9_8equal_toIiEEiEE10hipError_tPvRmT2_T3_T4_T5_mT6_T7_P12ihipStream_tbENKUlT_T0_E_clISt17integral_constantIbLb0EESZ_EEDaSU_SV_EUlSU_E_NS1_11comp_targetILNS1_3genE9ELNS1_11target_archE1100ELNS1_3gpuE3ELNS1_3repE0EEENS1_30default_config_static_selectorELNS0_4arch9wavefront6targetE0EEEvT1_,@function
_ZN7rocprim17ROCPRIM_400000_NS6detail17trampoline_kernelINS0_14default_configENS1_27scan_by_key_config_selectorIiiEEZZNS1_16scan_by_key_implILNS1_25lookback_scan_determinismE0ELb1ES3_N6thrust23THRUST_200600_302600_NS6detail15normal_iteratorINS9_10device_ptrIiEEEESE_SE_iNS9_10multipliesIiEENS9_8equal_toIiEEiEE10hipError_tPvRmT2_T3_T4_T5_mT6_T7_P12ihipStream_tbENKUlT_T0_E_clISt17integral_constantIbLb0EESZ_EEDaSU_SV_EUlSU_E_NS1_11comp_targetILNS1_3genE9ELNS1_11target_archE1100ELNS1_3gpuE3ELNS1_3repE0EEENS1_30default_config_static_selectorELNS0_4arch9wavefront6targetE0EEEvT1_: ; @_ZN7rocprim17ROCPRIM_400000_NS6detail17trampoline_kernelINS0_14default_configENS1_27scan_by_key_config_selectorIiiEEZZNS1_16scan_by_key_implILNS1_25lookback_scan_determinismE0ELb1ES3_N6thrust23THRUST_200600_302600_NS6detail15normal_iteratorINS9_10device_ptrIiEEEESE_SE_iNS9_10multipliesIiEENS9_8equal_toIiEEiEE10hipError_tPvRmT2_T3_T4_T5_mT6_T7_P12ihipStream_tbENKUlT_T0_E_clISt17integral_constantIbLb0EESZ_EEDaSU_SV_EUlSU_E_NS1_11comp_targetILNS1_3genE9ELNS1_11target_archE1100ELNS1_3gpuE3ELNS1_3repE0EEENS1_30default_config_static_selectorELNS0_4arch9wavefront6targetE0EEEvT1_
; %bb.0:
	.section	.rodata,"a",@progbits
	.p2align	6, 0x0
	.amdhsa_kernel _ZN7rocprim17ROCPRIM_400000_NS6detail17trampoline_kernelINS0_14default_configENS1_27scan_by_key_config_selectorIiiEEZZNS1_16scan_by_key_implILNS1_25lookback_scan_determinismE0ELb1ES3_N6thrust23THRUST_200600_302600_NS6detail15normal_iteratorINS9_10device_ptrIiEEEESE_SE_iNS9_10multipliesIiEENS9_8equal_toIiEEiEE10hipError_tPvRmT2_T3_T4_T5_mT6_T7_P12ihipStream_tbENKUlT_T0_E_clISt17integral_constantIbLb0EESZ_EEDaSU_SV_EUlSU_E_NS1_11comp_targetILNS1_3genE9ELNS1_11target_archE1100ELNS1_3gpuE3ELNS1_3repE0EEENS1_30default_config_static_selectorELNS0_4arch9wavefront6targetE0EEEvT1_
		.amdhsa_group_segment_fixed_size 0
		.amdhsa_private_segment_fixed_size 0
		.amdhsa_kernarg_size 112
		.amdhsa_user_sgpr_count 6
		.amdhsa_user_sgpr_private_segment_buffer 1
		.amdhsa_user_sgpr_dispatch_ptr 0
		.amdhsa_user_sgpr_queue_ptr 0
		.amdhsa_user_sgpr_kernarg_segment_ptr 1
		.amdhsa_user_sgpr_dispatch_id 0
		.amdhsa_user_sgpr_flat_scratch_init 0
		.amdhsa_user_sgpr_private_segment_size 0
		.amdhsa_wavefront_size32 1
		.amdhsa_uses_dynamic_stack 0
		.amdhsa_system_sgpr_private_segment_wavefront_offset 0
		.amdhsa_system_sgpr_workgroup_id_x 1
		.amdhsa_system_sgpr_workgroup_id_y 0
		.amdhsa_system_sgpr_workgroup_id_z 0
		.amdhsa_system_sgpr_workgroup_info 0
		.amdhsa_system_vgpr_workitem_id 0
		.amdhsa_next_free_vgpr 1
		.amdhsa_next_free_sgpr 1
		.amdhsa_reserve_vcc 0
		.amdhsa_reserve_flat_scratch 0
		.amdhsa_float_round_mode_32 0
		.amdhsa_float_round_mode_16_64 0
		.amdhsa_float_denorm_mode_32 3
		.amdhsa_float_denorm_mode_16_64 3
		.amdhsa_dx10_clamp 1
		.amdhsa_ieee_mode 1
		.amdhsa_fp16_overflow 0
		.amdhsa_workgroup_processor_mode 1
		.amdhsa_memory_ordered 1
		.amdhsa_forward_progress 1
		.amdhsa_shared_vgpr_count 0
		.amdhsa_exception_fp_ieee_invalid_op 0
		.amdhsa_exception_fp_denorm_src 0
		.amdhsa_exception_fp_ieee_div_zero 0
		.amdhsa_exception_fp_ieee_overflow 0
		.amdhsa_exception_fp_ieee_underflow 0
		.amdhsa_exception_fp_ieee_inexact 0
		.amdhsa_exception_int_div_zero 0
	.end_amdhsa_kernel
	.section	.text._ZN7rocprim17ROCPRIM_400000_NS6detail17trampoline_kernelINS0_14default_configENS1_27scan_by_key_config_selectorIiiEEZZNS1_16scan_by_key_implILNS1_25lookback_scan_determinismE0ELb1ES3_N6thrust23THRUST_200600_302600_NS6detail15normal_iteratorINS9_10device_ptrIiEEEESE_SE_iNS9_10multipliesIiEENS9_8equal_toIiEEiEE10hipError_tPvRmT2_T3_T4_T5_mT6_T7_P12ihipStream_tbENKUlT_T0_E_clISt17integral_constantIbLb0EESZ_EEDaSU_SV_EUlSU_E_NS1_11comp_targetILNS1_3genE9ELNS1_11target_archE1100ELNS1_3gpuE3ELNS1_3repE0EEENS1_30default_config_static_selectorELNS0_4arch9wavefront6targetE0EEEvT1_,"axG",@progbits,_ZN7rocprim17ROCPRIM_400000_NS6detail17trampoline_kernelINS0_14default_configENS1_27scan_by_key_config_selectorIiiEEZZNS1_16scan_by_key_implILNS1_25lookback_scan_determinismE0ELb1ES3_N6thrust23THRUST_200600_302600_NS6detail15normal_iteratorINS9_10device_ptrIiEEEESE_SE_iNS9_10multipliesIiEENS9_8equal_toIiEEiEE10hipError_tPvRmT2_T3_T4_T5_mT6_T7_P12ihipStream_tbENKUlT_T0_E_clISt17integral_constantIbLb0EESZ_EEDaSU_SV_EUlSU_E_NS1_11comp_targetILNS1_3genE9ELNS1_11target_archE1100ELNS1_3gpuE3ELNS1_3repE0EEENS1_30default_config_static_selectorELNS0_4arch9wavefront6targetE0EEEvT1_,comdat
.Lfunc_end504:
	.size	_ZN7rocprim17ROCPRIM_400000_NS6detail17trampoline_kernelINS0_14default_configENS1_27scan_by_key_config_selectorIiiEEZZNS1_16scan_by_key_implILNS1_25lookback_scan_determinismE0ELb1ES3_N6thrust23THRUST_200600_302600_NS6detail15normal_iteratorINS9_10device_ptrIiEEEESE_SE_iNS9_10multipliesIiEENS9_8equal_toIiEEiEE10hipError_tPvRmT2_T3_T4_T5_mT6_T7_P12ihipStream_tbENKUlT_T0_E_clISt17integral_constantIbLb0EESZ_EEDaSU_SV_EUlSU_E_NS1_11comp_targetILNS1_3genE9ELNS1_11target_archE1100ELNS1_3gpuE3ELNS1_3repE0EEENS1_30default_config_static_selectorELNS0_4arch9wavefront6targetE0EEEvT1_, .Lfunc_end504-_ZN7rocprim17ROCPRIM_400000_NS6detail17trampoline_kernelINS0_14default_configENS1_27scan_by_key_config_selectorIiiEEZZNS1_16scan_by_key_implILNS1_25lookback_scan_determinismE0ELb1ES3_N6thrust23THRUST_200600_302600_NS6detail15normal_iteratorINS9_10device_ptrIiEEEESE_SE_iNS9_10multipliesIiEENS9_8equal_toIiEEiEE10hipError_tPvRmT2_T3_T4_T5_mT6_T7_P12ihipStream_tbENKUlT_T0_E_clISt17integral_constantIbLb0EESZ_EEDaSU_SV_EUlSU_E_NS1_11comp_targetILNS1_3genE9ELNS1_11target_archE1100ELNS1_3gpuE3ELNS1_3repE0EEENS1_30default_config_static_selectorELNS0_4arch9wavefront6targetE0EEEvT1_
                                        ; -- End function
	.set _ZN7rocprim17ROCPRIM_400000_NS6detail17trampoline_kernelINS0_14default_configENS1_27scan_by_key_config_selectorIiiEEZZNS1_16scan_by_key_implILNS1_25lookback_scan_determinismE0ELb1ES3_N6thrust23THRUST_200600_302600_NS6detail15normal_iteratorINS9_10device_ptrIiEEEESE_SE_iNS9_10multipliesIiEENS9_8equal_toIiEEiEE10hipError_tPvRmT2_T3_T4_T5_mT6_T7_P12ihipStream_tbENKUlT_T0_E_clISt17integral_constantIbLb0EESZ_EEDaSU_SV_EUlSU_E_NS1_11comp_targetILNS1_3genE9ELNS1_11target_archE1100ELNS1_3gpuE3ELNS1_3repE0EEENS1_30default_config_static_selectorELNS0_4arch9wavefront6targetE0EEEvT1_.num_vgpr, 0
	.set _ZN7rocprim17ROCPRIM_400000_NS6detail17trampoline_kernelINS0_14default_configENS1_27scan_by_key_config_selectorIiiEEZZNS1_16scan_by_key_implILNS1_25lookback_scan_determinismE0ELb1ES3_N6thrust23THRUST_200600_302600_NS6detail15normal_iteratorINS9_10device_ptrIiEEEESE_SE_iNS9_10multipliesIiEENS9_8equal_toIiEEiEE10hipError_tPvRmT2_T3_T4_T5_mT6_T7_P12ihipStream_tbENKUlT_T0_E_clISt17integral_constantIbLb0EESZ_EEDaSU_SV_EUlSU_E_NS1_11comp_targetILNS1_3genE9ELNS1_11target_archE1100ELNS1_3gpuE3ELNS1_3repE0EEENS1_30default_config_static_selectorELNS0_4arch9wavefront6targetE0EEEvT1_.num_agpr, 0
	.set _ZN7rocprim17ROCPRIM_400000_NS6detail17trampoline_kernelINS0_14default_configENS1_27scan_by_key_config_selectorIiiEEZZNS1_16scan_by_key_implILNS1_25lookback_scan_determinismE0ELb1ES3_N6thrust23THRUST_200600_302600_NS6detail15normal_iteratorINS9_10device_ptrIiEEEESE_SE_iNS9_10multipliesIiEENS9_8equal_toIiEEiEE10hipError_tPvRmT2_T3_T4_T5_mT6_T7_P12ihipStream_tbENKUlT_T0_E_clISt17integral_constantIbLb0EESZ_EEDaSU_SV_EUlSU_E_NS1_11comp_targetILNS1_3genE9ELNS1_11target_archE1100ELNS1_3gpuE3ELNS1_3repE0EEENS1_30default_config_static_selectorELNS0_4arch9wavefront6targetE0EEEvT1_.numbered_sgpr, 0
	.set _ZN7rocprim17ROCPRIM_400000_NS6detail17trampoline_kernelINS0_14default_configENS1_27scan_by_key_config_selectorIiiEEZZNS1_16scan_by_key_implILNS1_25lookback_scan_determinismE0ELb1ES3_N6thrust23THRUST_200600_302600_NS6detail15normal_iteratorINS9_10device_ptrIiEEEESE_SE_iNS9_10multipliesIiEENS9_8equal_toIiEEiEE10hipError_tPvRmT2_T3_T4_T5_mT6_T7_P12ihipStream_tbENKUlT_T0_E_clISt17integral_constantIbLb0EESZ_EEDaSU_SV_EUlSU_E_NS1_11comp_targetILNS1_3genE9ELNS1_11target_archE1100ELNS1_3gpuE3ELNS1_3repE0EEENS1_30default_config_static_selectorELNS0_4arch9wavefront6targetE0EEEvT1_.num_named_barrier, 0
	.set _ZN7rocprim17ROCPRIM_400000_NS6detail17trampoline_kernelINS0_14default_configENS1_27scan_by_key_config_selectorIiiEEZZNS1_16scan_by_key_implILNS1_25lookback_scan_determinismE0ELb1ES3_N6thrust23THRUST_200600_302600_NS6detail15normal_iteratorINS9_10device_ptrIiEEEESE_SE_iNS9_10multipliesIiEENS9_8equal_toIiEEiEE10hipError_tPvRmT2_T3_T4_T5_mT6_T7_P12ihipStream_tbENKUlT_T0_E_clISt17integral_constantIbLb0EESZ_EEDaSU_SV_EUlSU_E_NS1_11comp_targetILNS1_3genE9ELNS1_11target_archE1100ELNS1_3gpuE3ELNS1_3repE0EEENS1_30default_config_static_selectorELNS0_4arch9wavefront6targetE0EEEvT1_.private_seg_size, 0
	.set _ZN7rocprim17ROCPRIM_400000_NS6detail17trampoline_kernelINS0_14default_configENS1_27scan_by_key_config_selectorIiiEEZZNS1_16scan_by_key_implILNS1_25lookback_scan_determinismE0ELb1ES3_N6thrust23THRUST_200600_302600_NS6detail15normal_iteratorINS9_10device_ptrIiEEEESE_SE_iNS9_10multipliesIiEENS9_8equal_toIiEEiEE10hipError_tPvRmT2_T3_T4_T5_mT6_T7_P12ihipStream_tbENKUlT_T0_E_clISt17integral_constantIbLb0EESZ_EEDaSU_SV_EUlSU_E_NS1_11comp_targetILNS1_3genE9ELNS1_11target_archE1100ELNS1_3gpuE3ELNS1_3repE0EEENS1_30default_config_static_selectorELNS0_4arch9wavefront6targetE0EEEvT1_.uses_vcc, 0
	.set _ZN7rocprim17ROCPRIM_400000_NS6detail17trampoline_kernelINS0_14default_configENS1_27scan_by_key_config_selectorIiiEEZZNS1_16scan_by_key_implILNS1_25lookback_scan_determinismE0ELb1ES3_N6thrust23THRUST_200600_302600_NS6detail15normal_iteratorINS9_10device_ptrIiEEEESE_SE_iNS9_10multipliesIiEENS9_8equal_toIiEEiEE10hipError_tPvRmT2_T3_T4_T5_mT6_T7_P12ihipStream_tbENKUlT_T0_E_clISt17integral_constantIbLb0EESZ_EEDaSU_SV_EUlSU_E_NS1_11comp_targetILNS1_3genE9ELNS1_11target_archE1100ELNS1_3gpuE3ELNS1_3repE0EEENS1_30default_config_static_selectorELNS0_4arch9wavefront6targetE0EEEvT1_.uses_flat_scratch, 0
	.set _ZN7rocprim17ROCPRIM_400000_NS6detail17trampoline_kernelINS0_14default_configENS1_27scan_by_key_config_selectorIiiEEZZNS1_16scan_by_key_implILNS1_25lookback_scan_determinismE0ELb1ES3_N6thrust23THRUST_200600_302600_NS6detail15normal_iteratorINS9_10device_ptrIiEEEESE_SE_iNS9_10multipliesIiEENS9_8equal_toIiEEiEE10hipError_tPvRmT2_T3_T4_T5_mT6_T7_P12ihipStream_tbENKUlT_T0_E_clISt17integral_constantIbLb0EESZ_EEDaSU_SV_EUlSU_E_NS1_11comp_targetILNS1_3genE9ELNS1_11target_archE1100ELNS1_3gpuE3ELNS1_3repE0EEENS1_30default_config_static_selectorELNS0_4arch9wavefront6targetE0EEEvT1_.has_dyn_sized_stack, 0
	.set _ZN7rocprim17ROCPRIM_400000_NS6detail17trampoline_kernelINS0_14default_configENS1_27scan_by_key_config_selectorIiiEEZZNS1_16scan_by_key_implILNS1_25lookback_scan_determinismE0ELb1ES3_N6thrust23THRUST_200600_302600_NS6detail15normal_iteratorINS9_10device_ptrIiEEEESE_SE_iNS9_10multipliesIiEENS9_8equal_toIiEEiEE10hipError_tPvRmT2_T3_T4_T5_mT6_T7_P12ihipStream_tbENKUlT_T0_E_clISt17integral_constantIbLb0EESZ_EEDaSU_SV_EUlSU_E_NS1_11comp_targetILNS1_3genE9ELNS1_11target_archE1100ELNS1_3gpuE3ELNS1_3repE0EEENS1_30default_config_static_selectorELNS0_4arch9wavefront6targetE0EEEvT1_.has_recursion, 0
	.set _ZN7rocprim17ROCPRIM_400000_NS6detail17trampoline_kernelINS0_14default_configENS1_27scan_by_key_config_selectorIiiEEZZNS1_16scan_by_key_implILNS1_25lookback_scan_determinismE0ELb1ES3_N6thrust23THRUST_200600_302600_NS6detail15normal_iteratorINS9_10device_ptrIiEEEESE_SE_iNS9_10multipliesIiEENS9_8equal_toIiEEiEE10hipError_tPvRmT2_T3_T4_T5_mT6_T7_P12ihipStream_tbENKUlT_T0_E_clISt17integral_constantIbLb0EESZ_EEDaSU_SV_EUlSU_E_NS1_11comp_targetILNS1_3genE9ELNS1_11target_archE1100ELNS1_3gpuE3ELNS1_3repE0EEENS1_30default_config_static_selectorELNS0_4arch9wavefront6targetE0EEEvT1_.has_indirect_call, 0
	.section	.AMDGPU.csdata,"",@progbits
; Kernel info:
; codeLenInByte = 0
; TotalNumSgprs: 0
; NumVgprs: 0
; ScratchSize: 0
; MemoryBound: 0
; FloatMode: 240
; IeeeMode: 1
; LDSByteSize: 0 bytes/workgroup (compile time only)
; SGPRBlocks: 0
; VGPRBlocks: 0
; NumSGPRsForWavesPerEU: 1
; NumVGPRsForWavesPerEU: 1
; Occupancy: 16
; WaveLimiterHint : 0
; COMPUTE_PGM_RSRC2:SCRATCH_EN: 0
; COMPUTE_PGM_RSRC2:USER_SGPR: 6
; COMPUTE_PGM_RSRC2:TRAP_HANDLER: 0
; COMPUTE_PGM_RSRC2:TGID_X_EN: 1
; COMPUTE_PGM_RSRC2:TGID_Y_EN: 0
; COMPUTE_PGM_RSRC2:TGID_Z_EN: 0
; COMPUTE_PGM_RSRC2:TIDIG_COMP_CNT: 0
	.section	.text._ZN7rocprim17ROCPRIM_400000_NS6detail17trampoline_kernelINS0_14default_configENS1_27scan_by_key_config_selectorIiiEEZZNS1_16scan_by_key_implILNS1_25lookback_scan_determinismE0ELb1ES3_N6thrust23THRUST_200600_302600_NS6detail15normal_iteratorINS9_10device_ptrIiEEEESE_SE_iNS9_10multipliesIiEENS9_8equal_toIiEEiEE10hipError_tPvRmT2_T3_T4_T5_mT6_T7_P12ihipStream_tbENKUlT_T0_E_clISt17integral_constantIbLb0EESZ_EEDaSU_SV_EUlSU_E_NS1_11comp_targetILNS1_3genE8ELNS1_11target_archE1030ELNS1_3gpuE2ELNS1_3repE0EEENS1_30default_config_static_selectorELNS0_4arch9wavefront6targetE0EEEvT1_,"axG",@progbits,_ZN7rocprim17ROCPRIM_400000_NS6detail17trampoline_kernelINS0_14default_configENS1_27scan_by_key_config_selectorIiiEEZZNS1_16scan_by_key_implILNS1_25lookback_scan_determinismE0ELb1ES3_N6thrust23THRUST_200600_302600_NS6detail15normal_iteratorINS9_10device_ptrIiEEEESE_SE_iNS9_10multipliesIiEENS9_8equal_toIiEEiEE10hipError_tPvRmT2_T3_T4_T5_mT6_T7_P12ihipStream_tbENKUlT_T0_E_clISt17integral_constantIbLb0EESZ_EEDaSU_SV_EUlSU_E_NS1_11comp_targetILNS1_3genE8ELNS1_11target_archE1030ELNS1_3gpuE2ELNS1_3repE0EEENS1_30default_config_static_selectorELNS0_4arch9wavefront6targetE0EEEvT1_,comdat
	.protected	_ZN7rocprim17ROCPRIM_400000_NS6detail17trampoline_kernelINS0_14default_configENS1_27scan_by_key_config_selectorIiiEEZZNS1_16scan_by_key_implILNS1_25lookback_scan_determinismE0ELb1ES3_N6thrust23THRUST_200600_302600_NS6detail15normal_iteratorINS9_10device_ptrIiEEEESE_SE_iNS9_10multipliesIiEENS9_8equal_toIiEEiEE10hipError_tPvRmT2_T3_T4_T5_mT6_T7_P12ihipStream_tbENKUlT_T0_E_clISt17integral_constantIbLb0EESZ_EEDaSU_SV_EUlSU_E_NS1_11comp_targetILNS1_3genE8ELNS1_11target_archE1030ELNS1_3gpuE2ELNS1_3repE0EEENS1_30default_config_static_selectorELNS0_4arch9wavefront6targetE0EEEvT1_ ; -- Begin function _ZN7rocprim17ROCPRIM_400000_NS6detail17trampoline_kernelINS0_14default_configENS1_27scan_by_key_config_selectorIiiEEZZNS1_16scan_by_key_implILNS1_25lookback_scan_determinismE0ELb1ES3_N6thrust23THRUST_200600_302600_NS6detail15normal_iteratorINS9_10device_ptrIiEEEESE_SE_iNS9_10multipliesIiEENS9_8equal_toIiEEiEE10hipError_tPvRmT2_T3_T4_T5_mT6_T7_P12ihipStream_tbENKUlT_T0_E_clISt17integral_constantIbLb0EESZ_EEDaSU_SV_EUlSU_E_NS1_11comp_targetILNS1_3genE8ELNS1_11target_archE1030ELNS1_3gpuE2ELNS1_3repE0EEENS1_30default_config_static_selectorELNS0_4arch9wavefront6targetE0EEEvT1_
	.globl	_ZN7rocprim17ROCPRIM_400000_NS6detail17trampoline_kernelINS0_14default_configENS1_27scan_by_key_config_selectorIiiEEZZNS1_16scan_by_key_implILNS1_25lookback_scan_determinismE0ELb1ES3_N6thrust23THRUST_200600_302600_NS6detail15normal_iteratorINS9_10device_ptrIiEEEESE_SE_iNS9_10multipliesIiEENS9_8equal_toIiEEiEE10hipError_tPvRmT2_T3_T4_T5_mT6_T7_P12ihipStream_tbENKUlT_T0_E_clISt17integral_constantIbLb0EESZ_EEDaSU_SV_EUlSU_E_NS1_11comp_targetILNS1_3genE8ELNS1_11target_archE1030ELNS1_3gpuE2ELNS1_3repE0EEENS1_30default_config_static_selectorELNS0_4arch9wavefront6targetE0EEEvT1_
	.p2align	8
	.type	_ZN7rocprim17ROCPRIM_400000_NS6detail17trampoline_kernelINS0_14default_configENS1_27scan_by_key_config_selectorIiiEEZZNS1_16scan_by_key_implILNS1_25lookback_scan_determinismE0ELb1ES3_N6thrust23THRUST_200600_302600_NS6detail15normal_iteratorINS9_10device_ptrIiEEEESE_SE_iNS9_10multipliesIiEENS9_8equal_toIiEEiEE10hipError_tPvRmT2_T3_T4_T5_mT6_T7_P12ihipStream_tbENKUlT_T0_E_clISt17integral_constantIbLb0EESZ_EEDaSU_SV_EUlSU_E_NS1_11comp_targetILNS1_3genE8ELNS1_11target_archE1030ELNS1_3gpuE2ELNS1_3repE0EEENS1_30default_config_static_selectorELNS0_4arch9wavefront6targetE0EEEvT1_,@function
_ZN7rocprim17ROCPRIM_400000_NS6detail17trampoline_kernelINS0_14default_configENS1_27scan_by_key_config_selectorIiiEEZZNS1_16scan_by_key_implILNS1_25lookback_scan_determinismE0ELb1ES3_N6thrust23THRUST_200600_302600_NS6detail15normal_iteratorINS9_10device_ptrIiEEEESE_SE_iNS9_10multipliesIiEENS9_8equal_toIiEEiEE10hipError_tPvRmT2_T3_T4_T5_mT6_T7_P12ihipStream_tbENKUlT_T0_E_clISt17integral_constantIbLb0EESZ_EEDaSU_SV_EUlSU_E_NS1_11comp_targetILNS1_3genE8ELNS1_11target_archE1030ELNS1_3gpuE2ELNS1_3repE0EEENS1_30default_config_static_selectorELNS0_4arch9wavefront6targetE0EEEvT1_: ; @_ZN7rocprim17ROCPRIM_400000_NS6detail17trampoline_kernelINS0_14default_configENS1_27scan_by_key_config_selectorIiiEEZZNS1_16scan_by_key_implILNS1_25lookback_scan_determinismE0ELb1ES3_N6thrust23THRUST_200600_302600_NS6detail15normal_iteratorINS9_10device_ptrIiEEEESE_SE_iNS9_10multipliesIiEENS9_8equal_toIiEEiEE10hipError_tPvRmT2_T3_T4_T5_mT6_T7_P12ihipStream_tbENKUlT_T0_E_clISt17integral_constantIbLb0EESZ_EEDaSU_SV_EUlSU_E_NS1_11comp_targetILNS1_3genE8ELNS1_11target_archE1030ELNS1_3gpuE2ELNS1_3repE0EEENS1_30default_config_static_selectorELNS0_4arch9wavefront6targetE0EEEvT1_
; %bb.0:
	s_clause 0x5
	s_load_dwordx8 s[8:15], s[4:5], 0x0
	s_load_dwordx2 s[24:25], s[4:5], 0x38
	s_load_dword s2, s[4:5], 0x40
	s_load_dwordx4 s[20:23], s[4:5], 0x48
	s_load_dword s26, s[4:5], 0x20
	s_load_dwordx4 s[16:19], s[4:5], 0x28
	s_mov_b32 s1, 0
	s_mul_i32 s0, s6, 0x300
	s_waitcnt lgkmcnt(0)
	s_barrier
	buffer_gl0_inv
	s_lshl_b64 s[4:5], s[10:11], 2
	s_add_u32 s10, s8, s4
	s_addc_u32 s11, s9, s5
	s_mul_i32 s3, s25, s2
	s_mul_hi_u32 s7, s24, s2
	s_add_u32 s12, s12, s4
	s_addc_u32 s13, s13, s5
	s_lshl_b64 s[8:9], s[0:1], 2
	s_add_i32 s7, s7, s3
	s_add_u32 s10, s10, s8
	s_addc_u32 s11, s11, s9
	s_mul_i32 s0, s24, s2
	s_add_u32 s3, s12, s8
	s_addc_u32 s13, s13, s9
	s_add_u32 s28, s0, s6
	s_addc_u32 s29, s7, 0
	s_add_u32 s20, s20, -1
	s_addc_u32 s21, s21, -1
	s_mul_i32 s12, s20, 0xfffffd00
	v_cmp_ge_u64_e64 s7, s[28:29], s[20:21]
	s_and_b32 vcc_lo, exec_lo, s7
	s_cbranch_vccz .LBB505_20
; %bb.1:
	v_mov_b32_e32 v1, s10
	v_mov_b32_e32 v2, s11
	s_add_i32 s19, s12, s18
	v_cmp_gt_u32_e32 vcc_lo, s19, v0
	flat_load_dword v1, v[1:2]
	s_waitcnt vmcnt(0) lgkmcnt(0)
	v_mov_b32_e32 v2, v1
	s_and_saveexec_b32 s0, vcc_lo
	s_cbranch_execz .LBB505_3
; %bb.2:
	v_lshlrev_b32_e32 v2, 2, v0
	v_add_co_u32 v2, s1, s10, v2
	v_add_co_ci_u32_e64 v3, null, s11, 0, s1
	flat_load_dword v2, v[2:3]
.LBB505_3:
	s_or_b32 exec_lo, exec_lo, s0
	v_or_b32_e32 v3, 0x100, v0
	v_cmp_gt_u32_e64 s0, s19, v3
	v_mov_b32_e32 v3, v1
	s_and_saveexec_b32 s1, s0
	s_cbranch_execz .LBB505_5
; %bb.4:
	v_lshlrev_b32_e32 v3, 2, v0
	v_add_co_u32 v3, s2, s10, v3
	v_add_co_ci_u32_e64 v4, null, s11, 0, s2
	flat_load_dword v3, v[3:4] offset:1024
.LBB505_5:
	s_or_b32 exec_lo, exec_lo, s1
	v_or_b32_e32 v4, 0x200, v0
	v_cmp_gt_u32_e64 s1, s19, v4
	v_lshlrev_b32_e32 v9, 2, v4
	s_and_saveexec_b32 s2, s1
	s_cbranch_execz .LBB505_7
; %bb.6:
	v_add_co_u32 v4, s20, s10, v9
	v_add_co_ci_u32_e64 v5, null, s11, 0, s20
	flat_load_dword v1, v[4:5]
.LBB505_7:
	s_or_b32 exec_lo, exec_lo, s2
	v_mov_b32_e32 v4, s10
	v_lshlrev_b32_e32 v10, 2, v0
	v_mov_b32_e32 v5, s11
	s_mov_b32 s20, exec_lo
	s_waitcnt vmcnt(0) lgkmcnt(0)
	ds_write2st64_b32 v10, v2, v3 offset1:4
	ds_write_b32 v10, v1 offset:2048
	s_waitcnt lgkmcnt(0)
	s_barrier
	buffer_gl0_inv
	flat_load_dword v8, v[4:5]
	v_lshlrev_b32_e32 v1, 3, v0
	v_add_nc_u32_e32 v6, v10, v1
	ds_read_b32 v7, v6
	ds_read2_b32 v[4:5], v6 offset0:1 offset1:2
	s_waitcnt lgkmcnt(1)
	ds_write_b32 v10, v7 offset:4096
	s_waitcnt vmcnt(0) lgkmcnt(0)
	s_barrier
	buffer_gl0_inv
	v_cmpx_ne_u32_e32 0xff, v0
; %bb.8:
	v_sub_nc_u32_e32 v1, 0, v1
	v_add_nc_u32_e32 v1, v6, v1
	ds_read_b32 v8, v1 offset:4100
; %bb.9:
	s_or_b32 exec_lo, exec_lo, s20
	v_mov_b32_e32 v1, 0
	s_waitcnt lgkmcnt(0)
	s_barrier
	buffer_gl0_inv
	v_mov_b32_e32 v2, v1
	v_mov_b32_e32 v3, v1
	s_and_saveexec_b32 s2, vcc_lo
	s_cbranch_execnz .LBB505_134
; %bb.10:
	s_or_b32 exec_lo, exec_lo, s2
	s_and_saveexec_b32 s2, s0
	s_cbranch_execnz .LBB505_135
.LBB505_11:
	s_or_b32 exec_lo, exec_lo, s2
	v_mul_u32_u24_e32 v13, 3, v0
	s_and_saveexec_b32 s0, s1
	s_cbranch_execz .LBB505_13
.LBB505_12:
	v_add_co_u32 v11, s1, s3, v9
	v_add_co_ci_u32_e64 v12, null, s13, 0, s1
	flat_load_dword v3, v[11:12]
.LBB505_13:
	s_or_b32 exec_lo, exec_lo, s0
	s_waitcnt vmcnt(0) lgkmcnt(0)
	ds_write2st64_b32 v10, v1, v2 offset1:4
	ds_write_b32 v10, v3 offset:2048
	v_mov_b32_e32 v9, 0
	v_mov_b32_e32 v1, 0
	;; [unrolled: 1-line block ×6, first 2 shown]
	s_mov_b32 s2, 0
	s_mov_b32 s1, 0
	s_mov_b32 s20, exec_lo
	s_waitcnt lgkmcnt(0)
	s_barrier
	buffer_gl0_inv
                                        ; implicit-def: $sgpr0
                                        ; implicit-def: $vgpr3
	v_cmpx_gt_u32_e64 s19, v13
	s_cbranch_execz .LBB505_19
; %bb.14:
	ds_read_b32 v3, v6
	v_cmp_ne_u32_e32 vcc_lo, v7, v4
	v_mov_b32_e32 v1, 0
	v_add_nc_u32_e32 v11, 1, v13
	v_mov_b32_e32 v2, 0
	s_mov_b32 s21, 0
	v_cndmask_b32_e64 v10, 0, 1, vcc_lo
	v_cmp_eq_u32_e32 vcc_lo, v7, v4
	s_mov_b32 s1, exec_lo
                                        ; implicit-def: $sgpr0
	s_waitcnt lgkmcnt(0)
	v_cndmask_b32_e32 v9, s26, v3, vcc_lo
                                        ; implicit-def: $vgpr3
	v_cmpx_gt_u32_e64 s19, v11
	s_cbranch_execz .LBB505_18
; %bb.15:
	ds_read2_b32 v[6:7], v6 offset0:1 offset1:2
	v_cmp_ne_u32_e32 vcc_lo, v4, v5
	v_add_nc_u32_e32 v3, 2, v13
                                        ; implicit-def: $sgpr0
	v_cndmask_b32_e64 v2, 0, 1, vcc_lo
	v_cmp_eq_u32_e32 vcc_lo, v4, v5
	s_waitcnt lgkmcnt(0)
	v_cndmask_b32_e32 v1, s26, v6, vcc_lo
	v_cmp_gt_u32_e32 vcc_lo, s19, v3
	s_mov_b32 s19, 0
                                        ; implicit-def: $vgpr3
	s_and_saveexec_b32 s21, vcc_lo
	s_xor_b32 s21, exec_lo, s21
; %bb.16:
	v_cmp_ne_u32_e64 s0, v5, v8
	s_mov_b32 s19, exec_lo
	v_cndmask_b32_e64 v3, v7, s26, s0
; %bb.17:
	s_or_b32 exec_lo, exec_lo, s21
	s_and_b32 s21, s19, exec_lo
.LBB505_18:
	s_or_b32 exec_lo, exec_lo, s1
	v_mov_b32_e32 v12, v2
	v_mov_b32_e32 v11, v1
	s_and_b32 s1, s21, exec_lo
.LBB505_19:
	s_or_b32 exec_lo, exec_lo, s20
	v_lshlrev_b32_e32 v18, 2, v0
	v_lshlrev_b32_e32 v19, 3, v0
	s_and_b32 vcc_lo, exec_lo, s2
	s_cbranch_vccnz .LBB505_21
	s_branch .LBB505_24
.LBB505_20:
                                        ; implicit-def: $sgpr0
                                        ; implicit-def: $vgpr3
                                        ; implicit-def: $vgpr9_vgpr10
                                        ; implicit-def: $vgpr1_vgpr2
                                        ; implicit-def: $vgpr11_vgpr12
	v_lshlrev_b32_e32 v18, 2, v0
	v_lshlrev_b32_e32 v19, 3, v0
	s_cbranch_execz .LBB505_24
.LBB505_21:
	v_add_co_u32 v1, s0, s10, v18
	v_add_co_ci_u32_e64 v2, null, s11, 0, s0
	v_add_co_u32 v3, vcc_lo, 0x800, v1
	v_add_co_ci_u32_e64 v4, null, 0, v2, vcc_lo
	s_clause 0x2
	flat_load_dword v5, v[1:2]
	flat_load_dword v6, v[1:2] offset:1024
	flat_load_dword v3, v[3:4]
	v_add_co_u32 v1, s0, 0x800, s10
	v_add_co_ci_u32_e64 v2, null, 0, s11, s0
	s_mov_b32 s0, exec_lo
	s_waitcnt vmcnt(1) lgkmcnt(1)
	ds_write2st64_b32 v18, v5, v6 offset1:4
	s_waitcnt vmcnt(0) lgkmcnt(1)
	ds_write_b32 v18, v3 offset:2048
	s_waitcnt lgkmcnt(0)
	s_barrier
	buffer_gl0_inv
	flat_load_dword v5, v[1:2] offset:1024
	v_add_nc_u32_e32 v1, v18, v19
	ds_read_b32 v6, v1
	ds_read2_b32 v[3:4], v1 offset0:1 offset1:2
	s_waitcnt lgkmcnt(1)
	ds_write_b32 v18, v6 offset:4096
	s_waitcnt vmcnt(0) lgkmcnt(0)
	s_barrier
	buffer_gl0_inv
	v_cmpx_ne_u32_e32 0xff, v0
; %bb.22:
	v_sub_nc_u32_e32 v2, 0, v19
	v_add_nc_u32_e32 v2, v1, v2
	ds_read_b32 v5, v2 offset:4100
; %bb.23:
	s_or_b32 exec_lo, exec_lo, s0
	v_add_co_u32 v7, s0, s3, v18
	v_add_co_ci_u32_e64 v8, null, s13, 0, s0
	s_waitcnt lgkmcnt(0)
	v_add_co_u32 v9, vcc_lo, 0x800, v7
	v_add_co_ci_u32_e64 v10, null, 0, v8, vcc_lo
	s_barrier
	buffer_gl0_inv
	s_clause 0x2
	flat_load_dword v2, v[7:8]
	flat_load_dword v7, v[7:8] offset:1024
	flat_load_dword v8, v[9:10]
	v_cmp_eq_u32_e32 vcc_lo, v6, v3
	v_cmp_ne_u32_e64 s0, v4, v5
	s_mov_b32 s1, -1
	s_waitcnt vmcnt(1) lgkmcnt(1)
	ds_write2st64_b32 v18, v2, v7 offset1:4
	s_waitcnt vmcnt(0) lgkmcnt(1)
	ds_write_b32 v18, v8 offset:2048
	s_waitcnt lgkmcnt(0)
	s_barrier
	buffer_gl0_inv
	ds_read2_b32 v[7:8], v1 offset1:1
	ds_read_b32 v11, v1 offset:8
	s_waitcnt lgkmcnt(1)
	v_cndmask_b32_e32 v9, s26, v7, vcc_lo
	v_cmp_eq_u32_e32 vcc_lo, v3, v4
	v_cndmask_b32_e32 v1, s26, v8, vcc_lo
	v_cmp_ne_u32_e32 vcc_lo, v3, v4
	v_cndmask_b32_e64 v2, 0, 1, vcc_lo
	v_cmp_ne_u32_e32 vcc_lo, v6, v3
	s_waitcnt lgkmcnt(0)
	v_cndmask_b32_e64 v3, v11, s26, s0
	v_mov_b32_e32 v12, v2
	v_cndmask_b32_e64 v10, 0, 1, vcc_lo
	v_mov_b32_e32 v11, v1
.LBB505_24:
	v_mov_b32_e32 v13, 0
	v_mov_b32_e32 v14, 0
	s_and_saveexec_b32 s2, s1
; %bb.25:
	v_cndmask_b32_e64 v4, 0, 1, s0
	v_mov_b32_e32 v12, v2
	v_mov_b32_e32 v11, v1
	;; [unrolled: 1-line block ×4, first 2 shown]
; %bb.26:
	s_or_b32 exec_lo, exec_lo, s2
	v_or_b32_e32 v21, v12, v14
	v_mbcnt_lo_u32_b32 v20, -1, 0
	s_cmp_lg_u32 s6, 0
	s_mov_b32 s2, 0
	s_barrier
	buffer_gl0_inv
	s_cbranch_scc0 .LBB505_84
; %bb.27:
	s_mov_b32 s3, 1
	v_and_b32_e32 v2, 0xff, v21
	v_cmp_gt_u64_e64 s0, s[2:3], v[11:12]
	v_cmp_gt_u64_e32 vcc_lo, s[2:3], v[13:14]
	s_mov_b32 s1, exec_lo
	v_cndmask_b32_e64 v1, 1, v9, s0
	v_mul_lo_u32 v3, v1, v11
	v_mov_b32_e32 v1, 0
	v_cndmask_b32_e32 v3, 1, v3, vcc_lo
	v_cmp_eq_u64_e32 vcc_lo, 0, v[1:2]
	v_and_b32_e32 v2, 15, v20
	v_mul_lo_u32 v3, v3, v13
	v_cndmask_b32_e32 v4, 1, v10, vcc_lo
	v_and_b32_e32 v5, 0xff, v4
	v_mov_b32_dpp v6, v3 row_shr:1 row_mask:0xf bank_mask:0xf
	v_mov_b32_dpp v7, v5 row_shr:1 row_mask:0xf bank_mask:0xf
	v_cmpx_ne_u32_e32 0, v2
	s_cbranch_execz .LBB505_29
; %bb.28:
	v_and_b32_e32 v5, 1, v4
	v_cmp_eq_u16_sdwa vcc_lo, v4, v1 src0_sel:BYTE_0 src1_sel:DWORD
	v_and_b32_e32 v7, 1, v7
	v_cndmask_b32_e32 v1, 1, v6, vcc_lo
	v_cmp_eq_u32_e32 vcc_lo, 1, v5
	v_mul_lo_u32 v3, v1, v3
	v_cndmask_b32_e64 v4, v7, 1, vcc_lo
	v_and_b32_e32 v5, 0xffff, v4
.LBB505_29:
	s_or_b32 exec_lo, exec_lo, s1
	v_mov_b32_dpp v1, v3 row_shr:2 row_mask:0xf bank_mask:0xf
	v_mov_b32_dpp v6, v5 row_shr:2 row_mask:0xf bank_mask:0xf
	s_mov_b32 s1, exec_lo
	v_cmpx_lt_u32_e32 1, v2
	s_cbranch_execz .LBB505_31
; %bb.30:
	v_mov_b32_e32 v5, 0
	v_and_b32_e32 v7, 1, v4
	v_and_b32_e32 v6, 1, v6
	v_cmp_eq_u16_sdwa vcc_lo, v4, v5 src0_sel:BYTE_0 src1_sel:DWORD
	v_cndmask_b32_e32 v1, 1, v1, vcc_lo
	v_cmp_eq_u32_e32 vcc_lo, 1, v7
	v_mul_lo_u32 v3, v1, v3
	v_cndmask_b32_e64 v4, v6, 1, vcc_lo
	v_and_b32_e32 v5, 0xffff, v4
.LBB505_31:
	s_or_b32 exec_lo, exec_lo, s1
	v_mov_b32_dpp v1, v3 row_shr:4 row_mask:0xf bank_mask:0xf
	v_mov_b32_dpp v6, v5 row_shr:4 row_mask:0xf bank_mask:0xf
	s_mov_b32 s1, exec_lo
	v_cmpx_lt_u32_e32 3, v2
	s_cbranch_execz .LBB505_33
; %bb.32:
	v_mov_b32_e32 v5, 0
	v_and_b32_e32 v7, 1, v4
	v_and_b32_e32 v6, 1, v6
	v_cmp_eq_u16_sdwa vcc_lo, v4, v5 src0_sel:BYTE_0 src1_sel:DWORD
	v_cndmask_b32_e32 v1, 1, v1, vcc_lo
	v_cmp_eq_u32_e32 vcc_lo, 1, v7
	v_mul_lo_u32 v3, v1, v3
	v_cndmask_b32_e64 v4, v6, 1, vcc_lo
	v_and_b32_e32 v5, 0xffff, v4
.LBB505_33:
	;; [unrolled: 17-line block ×3, first 2 shown]
	s_or_b32 exec_lo, exec_lo, s1
	ds_swizzle_b32 v2, v3 offset:swizzle(BROADCAST,32,15)
	ds_swizzle_b32 v1, v5 offset:swizzle(BROADCAST,32,15)
	v_and_b32_e32 v5, 16, v20
	s_mov_b32 s1, exec_lo
	v_cmpx_ne_u32_e32 0, v5
	s_cbranch_execz .LBB505_37
; %bb.36:
	v_mov_b32_e32 v5, 0
	s_waitcnt lgkmcnt(0)
	v_and_b32_e32 v1, 1, v1
	v_cmp_eq_u16_sdwa vcc_lo, v4, v5 src0_sel:BYTE_0 src1_sel:DWORD
	v_and_b32_e32 v4, 1, v4
	v_cndmask_b32_e32 v2, 1, v2, vcc_lo
	v_cmp_eq_u32_e32 vcc_lo, 1, v4
	v_mul_lo_u32 v3, v2, v3
	v_cndmask_b32_e64 v4, v1, 1, vcc_lo
.LBB505_37:
	s_or_b32 exec_lo, exec_lo, s1
	s_waitcnt lgkmcnt(1)
	v_lshrrev_b32_e32 v2, 5, v0
	s_waitcnt lgkmcnt(0)
	v_or_b32_e32 v1, 31, v0
	s_mov_b32 s1, exec_lo
	v_lshlrev_b32_e32 v5, 3, v2
	v_cmpx_eq_u32_e64 v0, v1
	s_cbranch_execz .LBB505_39
; %bb.38:
	ds_write_b32 v5, v3
	ds_write_b8 v5, v4 offset:4
.LBB505_39:
	s_or_b32 exec_lo, exec_lo, s1
	s_mov_b32 s1, exec_lo
	s_waitcnt lgkmcnt(0)
	s_barrier
	buffer_gl0_inv
	v_cmpx_gt_u32_e32 8, v0
	s_cbranch_execz .LBB505_47
; %bb.40:
	ds_read_b64 v[1:2], v19
	v_and_b32_e32 v6, 7, v20
	s_mov_b32 s2, exec_lo
	s_waitcnt lgkmcnt(0)
	v_and_b32_e32 v7, 0xffffff00, v2
	v_mov_b32_dpp v15, v1 row_shr:1 row_mask:0xf bank_mask:0xf
	v_mov_b32_dpp v16, v2 row_shr:1 row_mask:0xf bank_mask:0xf
	v_mov_b32_e32 v8, v2
	v_cmpx_ne_u32_e32 0, v6
	s_cbranch_execz .LBB505_42
; %bb.41:
	v_mov_b32_e32 v8, 0
	v_and_b32_e32 v17, 1, v2
	v_and_b32_e32 v16, 1, v16
	v_cmp_eq_u16_sdwa vcc_lo, v2, v8 src0_sel:BYTE_0 src1_sel:DWORD
	v_cndmask_b32_e32 v8, 1, v15, vcc_lo
	v_cmp_eq_u32_e32 vcc_lo, 1, v17
	v_mul_lo_u32 v1, v8, v1
	v_cndmask_b32_e64 v2, v16, 1, vcc_lo
	v_or_b32_sdwa v8, v7, v2 dst_sel:DWORD dst_unused:UNUSED_PAD src0_sel:DWORD src1_sel:WORD_0
.LBB505_42:
	s_or_b32 exec_lo, exec_lo, s2
	v_mov_b32_dpp v15, v1 row_shr:2 row_mask:0xf bank_mask:0xf
	v_mov_b32_dpp v16, v8 row_shr:2 row_mask:0xf bank_mask:0xf
	s_mov_b32 s2, exec_lo
	v_cmpx_lt_u32_e32 1, v6
	s_cbranch_execz .LBB505_44
; %bb.43:
	v_mov_b32_e32 v8, 0
	v_and_b32_e32 v17, 1, v2
	v_and_b32_e32 v16, 1, v16
	v_cmp_eq_u16_sdwa vcc_lo, v2, v8 src0_sel:BYTE_0 src1_sel:DWORD
	v_cndmask_b32_e32 v8, 1, v15, vcc_lo
	v_cmp_eq_u32_e32 vcc_lo, 1, v17
	v_mul_lo_u32 v1, v8, v1
	v_cndmask_b32_e64 v2, v16, 1, vcc_lo
	v_or_b32_sdwa v8, v7, v2 dst_sel:DWORD dst_unused:UNUSED_PAD src0_sel:DWORD src1_sel:WORD_0
.LBB505_44:
	s_or_b32 exec_lo, exec_lo, s2
	v_mov_b32_dpp v15, v1 row_shr:4 row_mask:0xf bank_mask:0xf
	v_mov_b32_dpp v7, v8 row_shr:4 row_mask:0xf bank_mask:0xf
	s_mov_b32 s2, exec_lo
	v_cmpx_lt_u32_e32 3, v6
	s_cbranch_execz .LBB505_46
; %bb.45:
	v_mov_b32_e32 v6, 0
	v_and_b32_e32 v7, 1, v7
	v_cmp_eq_u16_sdwa vcc_lo, v2, v6 src0_sel:BYTE_0 src1_sel:DWORD
	v_and_b32_e32 v2, 1, v2
	v_cndmask_b32_e32 v6, 1, v15, vcc_lo
	v_cmp_eq_u32_e32 vcc_lo, 1, v2
	v_mul_lo_u32 v1, v6, v1
	v_cndmask_b32_e64 v2, v7, 1, vcc_lo
.LBB505_46:
	s_or_b32 exec_lo, exec_lo, s2
	ds_write_b32 v19, v1
	ds_write_b8 v19, v2 offset:4
.LBB505_47:
	s_or_b32 exec_lo, exec_lo, s1
	v_mov_b32_e32 v23, 0
	v_mov_b32_e32 v22, 0
	s_mov_b32 s2, exec_lo
	v_cmp_gt_u32_e32 vcc_lo, 32, v0
	s_waitcnt lgkmcnt(0)
	s_barrier
	buffer_gl0_inv
	v_cmpx_lt_u32_e32 31, v0
	s_cbranch_execz .LBB505_49
; %bb.48:
	v_add_nc_u32_e32 v1, -8, v5
	v_and_b32_e32 v2, 1, v4
	ds_read_b32 v22, v1
	v_add_nc_u32_e32 v1, -4, v5
	ds_read_u8 v23, v1
	v_mov_b32_e32 v1, 0
	v_cmp_eq_u16_sdwa s1, v4, v1 src0_sel:BYTE_0 src1_sel:DWORD
	s_waitcnt lgkmcnt(1)
	v_cndmask_b32_e64 v1, 1, v22, s1
	v_cmp_eq_u32_e64 s1, 1, v2
	v_mul_lo_u32 v3, v1, v3
	s_waitcnt lgkmcnt(0)
	v_cndmask_b32_e64 v4, v23, 1, s1
.LBB505_49:
	s_or_b32 exec_lo, exec_lo, s2
	v_sub_co_u32 v1, s1, v20, 1
	v_and_b32_e32 v2, 0xff, v4
	v_cmp_gt_i32_e64 s2, 0, v1
	v_cndmask_b32_e64 v1, v1, v20, s2
	v_lshlrev_b32_e32 v1, 2, v1
	ds_bpermute_b32 v24, v1, v3
	ds_bpermute_b32 v25, v1, v2
	s_and_saveexec_b32 s10, vcc_lo
	s_cbranch_execz .LBB505_89
; %bb.50:
	v_mov_b32_e32 v4, 0
	ds_read_b64 v[1:2], v4 offset:56
	s_and_saveexec_b32 s2, s1
	s_cbranch_execz .LBB505_52
; %bb.51:
	s_add_i32 s20, s6, 32
	s_mov_b32 s21, 0
	v_mov_b32_e32 v3, 1
	s_lshl_b64 s[20:21], s[20:21], 4
	s_add_u32 s20, s16, s20
	s_addc_u32 s21, s17, s21
	v_mov_b32_e32 v5, s20
	v_mov_b32_e32 v6, s21
	s_waitcnt lgkmcnt(0)
	;;#ASMSTART
	global_store_dwordx4 v[5:6], v[1:4] off	
s_waitcnt vmcnt(0)
	;;#ASMEND
.LBB505_52:
	s_or_b32 exec_lo, exec_lo, s2
	v_xad_u32 v15, v20, -1, s6
	s_mov_b32 s3, 0
	v_add_nc_u32_e32 v3, 32, v15
	v_lshlrev_b64 v[5:6], 4, v[3:4]
	v_add_co_u32 v16, vcc_lo, s16, v5
	v_add_co_ci_u32_e64 v17, null, s17, v6, vcc_lo
	;;#ASMSTART
	global_load_dwordx4 v[5:8], v[16:17] off glc dlc	
s_waitcnt vmcnt(0)
	;;#ASMEND
	v_and_b32_e32 v6, 0xff, v6
	v_cmp_eq_u16_sdwa s11, v7, v4 src0_sel:BYTE_0 src1_sel:DWORD
	s_and_saveexec_b32 s2, s11
	s_cbranch_execz .LBB505_56
; %bb.53:
	v_mov_b32_e32 v3, 0
.LBB505_54:                             ; =>This Inner Loop Header: Depth=1
	;;#ASMSTART
	global_load_dwordx4 v[5:8], v[16:17] off glc dlc	
s_waitcnt vmcnt(0)
	;;#ASMEND
	v_cmp_ne_u16_sdwa s11, v7, v3 src0_sel:BYTE_0 src1_sel:DWORD
	s_or_b32 s3, s11, s3
	s_andn2_b32 exec_lo, exec_lo, s3
	s_cbranch_execnz .LBB505_54
; %bb.55:
	s_or_b32 exec_lo, exec_lo, s3
	v_and_b32_e32 v6, 0xff, v6
.LBB505_56:
	s_or_b32 exec_lo, exec_lo, s2
	v_cmp_ne_u32_e32 vcc_lo, 31, v20
	v_mov_b32_e32 v4, 2
	v_lshlrev_b32_e64 v26, v20, -1
	s_mov_b32 s11, exec_lo
	v_add_co_ci_u32_e64 v3, null, 0, v20, vcc_lo
	v_cmp_eq_u16_sdwa s2, v7, v4 src0_sel:BYTE_0 src1_sel:DWORD
	v_mov_b32_e32 v4, v6
	v_lshlrev_b32_e32 v17, 2, v3
	v_and_or_b32 v3, s2, v26, 0x80000000
	s_mov_b32 s2, 0
	ds_bpermute_b32 v8, v17, v5
	ds_bpermute_b32 v16, v17, v6
	v_ffbl_b32_e32 v3, v3
	v_cmpx_lt_u32_e64 v20, v3
	s_cbranch_execz .LBB505_58
; %bb.57:
	s_mov_b32 s3, 1
	v_and_b32_e32 v4, 1, v6
	v_cmp_gt_u64_e32 vcc_lo, s[2:3], v[5:6]
	s_waitcnt lgkmcnt(0)
	v_and_b32_e32 v16, 1, v16
	v_cndmask_b32_e32 v8, 1, v8, vcc_lo
	v_cmp_eq_u32_e32 vcc_lo, 1, v4
	v_mul_lo_u32 v5, v8, v5
	v_cndmask_b32_e64 v6, v16, 1, vcc_lo
	v_and_b32_e32 v4, 0xffff, v6
.LBB505_58:
	s_or_b32 exec_lo, exec_lo, s11
	v_cmp_gt_u32_e32 vcc_lo, 30, v20
	v_add_nc_u32_e32 v28, 2, v20
	s_mov_b32 s2, exec_lo
	s_waitcnt lgkmcnt(1)
	v_cndmask_b32_e64 v8, 0, 2, vcc_lo
	v_add_lshl_u32 v27, v8, v20, 2
	ds_bpermute_b32 v8, v27, v5
	s_waitcnt lgkmcnt(1)
	ds_bpermute_b32 v16, v27, v4
	v_cmpx_le_u32_e64 v28, v3
	s_cbranch_execz .LBB505_60
; %bb.59:
	v_and_b32_e32 v4, 1, v6
	v_cmp_eq_u16_e32 vcc_lo, 0, v6
	s_waitcnt lgkmcnt(0)
	v_and_b32_e32 v16, 1, v16
	v_cndmask_b32_e32 v8, 1, v8, vcc_lo
	v_cmp_eq_u32_e32 vcc_lo, 1, v4
	v_mul_lo_u32 v5, v8, v5
	v_cndmask_b32_e64 v6, v16, 1, vcc_lo
	v_and_b32_e32 v4, 0xffff, v6
.LBB505_60:
	s_or_b32 exec_lo, exec_lo, s2
	v_cmp_gt_u32_e32 vcc_lo, 28, v20
	v_add_nc_u32_e32 v30, 4, v20
	s_mov_b32 s2, exec_lo
	s_waitcnt lgkmcnt(1)
	v_cndmask_b32_e64 v8, 0, 4, vcc_lo
	v_add_lshl_u32 v29, v8, v20, 2
	ds_bpermute_b32 v8, v29, v5
	s_waitcnt lgkmcnt(1)
	ds_bpermute_b32 v16, v29, v4
	v_cmpx_le_u32_e64 v30, v3
	s_cbranch_execz .LBB505_62
; %bb.61:
	v_and_b32_e32 v4, 1, v6
	v_cmp_eq_u16_e32 vcc_lo, 0, v6
	s_waitcnt lgkmcnt(0)
	v_and_b32_e32 v16, 1, v16
	v_cndmask_b32_e32 v8, 1, v8, vcc_lo
	v_cmp_eq_u32_e32 vcc_lo, 1, v4
	v_mul_lo_u32 v5, v8, v5
	v_cndmask_b32_e64 v6, v16, 1, vcc_lo
	v_and_b32_e32 v4, 0xffff, v6
.LBB505_62:
	;; [unrolled: 23-line block ×3, first 2 shown]
	s_or_b32 exec_lo, exec_lo, s2
	v_lshl_or_b32 v35, v20, 2, 64
	v_add_nc_u32_e32 v36, 16, v20
	s_mov_b32 s2, exec_lo
	s_waitcnt lgkmcnt(1)
	ds_bpermute_b32 v8, v35, v5
	ds_bpermute_b32 v4, v35, v4
	v_cmpx_le_u32_e64 v36, v3
	s_cbranch_execz .LBB505_66
; %bb.65:
	v_cmp_eq_u16_e32 vcc_lo, 0, v6
	v_and_b32_e32 v6, 1, v6
	s_waitcnt lgkmcnt(0)
	v_and_b32_e32 v4, 1, v4
	v_cndmask_b32_e32 v3, 1, v8, vcc_lo
	v_cmp_eq_u32_e32 vcc_lo, 1, v6
	v_mul_lo_u32 v5, v3, v5
	v_cndmask_b32_e64 v6, v4, 1, vcc_lo
.LBB505_66:
	s_or_b32 exec_lo, exec_lo, s2
	s_waitcnt lgkmcnt(2)
	v_mov_b32_e32 v16, 0
	v_mov_b32_e32 v37, 2
	s_mov_b32 s2, 0
	s_mov_b32 s3, 1
	s_branch .LBB505_69
.LBB505_67:                             ;   in Loop: Header=BB505_69 Depth=1
	s_or_b32 exec_lo, exec_lo, s11
	v_cmp_eq_u16_sdwa vcc_lo, v33, v16 src0_sel:BYTE_0 src1_sel:DWORD
	s_waitcnt lgkmcnt(0)
	v_and_b32_e32 v4, 1, v33
	v_and_b32_e32 v6, 1, v6
	v_subrev_nc_u32_e32 v15, 32, v15
	s_mov_b32 s11, 0
	v_cndmask_b32_e32 v3, 1, v5, vcc_lo
	v_cmp_eq_u32_e32 vcc_lo, 1, v4
	v_mul_lo_u32 v5, v3, v34
	v_cndmask_b32_e64 v6, v6, 1, vcc_lo
.LBB505_68:                             ;   in Loop: Header=BB505_69 Depth=1
	s_and_b32 vcc_lo, exec_lo, s11
	s_cbranch_vccnz .LBB505_85
.LBB505_69:                             ; =>This Loop Header: Depth=1
                                        ;     Child Loop BB505_72 Depth 2
	v_cmp_ne_u16_sdwa s11, v7, v37 src0_sel:BYTE_0 src1_sel:DWORD
	v_mov_b32_e32 v33, v6
	v_mov_b32_e32 v34, v5
                                        ; implicit-def: $vgpr6
	s_cmp_lg_u32 s11, exec_lo
	s_mov_b32 s11, -1
	s_cbranch_scc1 .LBB505_68
; %bb.70:                               ;   in Loop: Header=BB505_69 Depth=1
	s_waitcnt lgkmcnt(0)
	v_lshlrev_b64 v[3:4], 4, v[15:16]
	v_add_co_u32 v3, vcc_lo, s16, v3
	v_add_co_ci_u32_e64 v4, null, s17, v4, vcc_lo
	;;#ASMSTART
	global_load_dwordx4 v[5:8], v[3:4] off glc dlc	
s_waitcnt vmcnt(0)
	;;#ASMEND
	v_and_b32_e32 v6, 0xff, v6
	v_cmp_eq_u16_sdwa s13, v7, v16 src0_sel:BYTE_0 src1_sel:DWORD
	s_and_saveexec_b32 s11, s13
	s_cbranch_execz .LBB505_74
; %bb.71:                               ;   in Loop: Header=BB505_69 Depth=1
	s_mov_b32 s13, 0
.LBB505_72:                             ;   Parent Loop BB505_69 Depth=1
                                        ; =>  This Inner Loop Header: Depth=2
	;;#ASMSTART
	global_load_dwordx4 v[5:8], v[3:4] off glc dlc	
s_waitcnt vmcnt(0)
	;;#ASMEND
	v_cmp_ne_u16_sdwa s19, v7, v16 src0_sel:BYTE_0 src1_sel:DWORD
	s_or_b32 s13, s19, s13
	s_andn2_b32 exec_lo, exec_lo, s13
	s_cbranch_execnz .LBB505_72
; %bb.73:                               ;   in Loop: Header=BB505_69 Depth=1
	s_or_b32 exec_lo, exec_lo, s13
	v_and_b32_e32 v6, 0xff, v6
.LBB505_74:                             ;   in Loop: Header=BB505_69 Depth=1
	s_or_b32 exec_lo, exec_lo, s11
	ds_bpermute_b32 v8, v17, v5
	ds_bpermute_b32 v38, v17, v6
	v_cmp_eq_u16_sdwa s11, v7, v37 src0_sel:BYTE_0 src1_sel:DWORD
	v_mov_b32_e32 v4, v6
	v_and_or_b32 v3, s11, v26, 0x80000000
	s_mov_b32 s11, exec_lo
	v_ffbl_b32_e32 v3, v3
	v_cmpx_lt_u32_e64 v20, v3
	s_cbranch_execz .LBB505_76
; %bb.75:                               ;   in Loop: Header=BB505_69 Depth=1
	v_cmp_gt_u64_e32 vcc_lo, s[2:3], v[5:6]
	v_and_b32_e32 v4, 1, v6
	s_waitcnt lgkmcnt(0)
	v_and_b32_e32 v38, 1, v38
	v_cndmask_b32_e32 v8, 1, v8, vcc_lo
	v_cmp_eq_u32_e32 vcc_lo, 1, v4
	v_mul_lo_u32 v5, v8, v5
	v_cndmask_b32_e64 v6, v38, 1, vcc_lo
	v_and_b32_e32 v4, 0xffff, v6
.LBB505_76:                             ;   in Loop: Header=BB505_69 Depth=1
	s_or_b32 exec_lo, exec_lo, s11
	s_waitcnt lgkmcnt(1)
	ds_bpermute_b32 v8, v27, v5
	s_waitcnt lgkmcnt(1)
	ds_bpermute_b32 v38, v27, v4
	s_mov_b32 s11, exec_lo
	v_cmpx_le_u32_e64 v28, v3
	s_cbranch_execz .LBB505_78
; %bb.77:                               ;   in Loop: Header=BB505_69 Depth=1
	v_and_b32_e32 v4, 1, v6
	v_cmp_eq_u16_e32 vcc_lo, 0, v6
	s_waitcnt lgkmcnt(0)
	v_and_b32_e32 v38, 1, v38
	v_cndmask_b32_e32 v8, 1, v8, vcc_lo
	v_cmp_eq_u32_e32 vcc_lo, 1, v4
	v_mul_lo_u32 v5, v8, v5
	v_cndmask_b32_e64 v6, v38, 1, vcc_lo
	v_and_b32_e32 v4, 0xffff, v6
.LBB505_78:                             ;   in Loop: Header=BB505_69 Depth=1
	s_or_b32 exec_lo, exec_lo, s11
	s_waitcnt lgkmcnt(1)
	ds_bpermute_b32 v8, v29, v5
	s_waitcnt lgkmcnt(1)
	ds_bpermute_b32 v38, v29, v4
	s_mov_b32 s11, exec_lo
	v_cmpx_le_u32_e64 v30, v3
	s_cbranch_execz .LBB505_80
; %bb.79:                               ;   in Loop: Header=BB505_69 Depth=1
	v_and_b32_e32 v4, 1, v6
	v_cmp_eq_u16_e32 vcc_lo, 0, v6
	s_waitcnt lgkmcnt(0)
	v_and_b32_e32 v38, 1, v38
	v_cndmask_b32_e32 v8, 1, v8, vcc_lo
	v_cmp_eq_u32_e32 vcc_lo, 1, v4
	v_mul_lo_u32 v5, v8, v5
	v_cndmask_b32_e64 v6, v38, 1, vcc_lo
	v_and_b32_e32 v4, 0xffff, v6
.LBB505_80:                             ;   in Loop: Header=BB505_69 Depth=1
	;; [unrolled: 19-line block ×3, first 2 shown]
	s_or_b32 exec_lo, exec_lo, s11
	s_waitcnt lgkmcnt(1)
	ds_bpermute_b32 v8, v35, v5
	ds_bpermute_b32 v4, v35, v4
	s_mov_b32 s11, exec_lo
	v_cmpx_le_u32_e64 v36, v3
	s_cbranch_execz .LBB505_67
; %bb.83:                               ;   in Loop: Header=BB505_69 Depth=1
	v_cmp_eq_u16_e32 vcc_lo, 0, v6
	v_and_b32_e32 v6, 1, v6
	s_waitcnt lgkmcnt(1)
	v_cndmask_b32_e32 v3, 1, v8, vcc_lo
	v_cmp_eq_u32_e32 vcc_lo, 1, v6
	v_mul_lo_u32 v5, v3, v5
	s_waitcnt lgkmcnt(0)
	v_cndmask_b32_e64 v6, v4, 1, vcc_lo
	s_branch .LBB505_67
.LBB505_84:
                                        ; implicit-def: $vgpr6
                                        ; implicit-def: $vgpr5
                                        ; implicit-def: $vgpr7
	s_cbranch_execnz .LBB505_90
	s_branch .LBB505_117
.LBB505_85:
	s_and_saveexec_b32 s2, s1
	s_cbranch_execz .LBB505_87
; %bb.86:
	s_waitcnt lgkmcnt(0)
	v_mov_b32_e32 v4, 0
	v_and_b32_e32 v3, 1, v2
	s_mov_b32 s21, 0
	s_add_i32 s20, s6, 32
	v_and_b32_e32 v5, 1, v33
	v_cmp_eq_u32_sdwa vcc_lo, v2, v4 src0_sel:BYTE_0 src1_sel:DWORD
	s_lshl_b64 s[20:21], s[20:21], 4
	s_add_u32 s20, s16, s20
	s_addc_u32 s21, s17, s21
	v_cndmask_b32_e32 v2, 1, v34, vcc_lo
	v_cmp_eq_u32_e32 vcc_lo, 1, v3
	v_mov_b32_e32 v3, 2
	v_mul_lo_u32 v1, v2, v1
	v_cndmask_b32_e64 v2, v5, 1, vcc_lo
	v_mov_b32_e32 v5, s20
	v_mov_b32_e32 v6, s21
	;;#ASMSTART
	global_store_dwordx4 v[5:6], v[1:4] off	
s_waitcnt vmcnt(0)
	;;#ASMEND
.LBB505_87:
	s_or_b32 exec_lo, exec_lo, s2
	v_cmp_eq_u32_e32 vcc_lo, 0, v0
	s_and_b32 exec_lo, exec_lo, vcc_lo
	s_cbranch_execz .LBB505_89
; %bb.88:
	v_mov_b32_e32 v1, 0
	ds_write_b32 v1, v34 offset:56
	ds_write_b8 v1, v33 offset:60
.LBB505_89:
	s_or_b32 exec_lo, exec_lo, s10
	v_mov_b32_e32 v1, 0
	s_waitcnt lgkmcnt(0)
	s_barrier
	buffer_gl0_inv
	v_cndmask_b32_e64 v2, v25, v23, s1
	ds_read_b32 v3, v1 offset:56
	v_cndmask_b32_e64 v4, v24, v22, s1
	v_cmp_eq_u16_sdwa vcc_lo, v2, v1 src0_sel:BYTE_0 src1_sel:DWORD
	s_waitcnt lgkmcnt(0)
	v_cndmask_b32_e32 v2, 1, v3, vcc_lo
	v_cmp_eq_u32_e32 vcc_lo, 0, v0
	v_mul_lo_u32 v4, v2, v4
	v_and_b32_e32 v2, 0xff, v10
	v_cndmask_b32_e32 v6, v4, v3, vcc_lo
	v_cmp_eq_u64_e32 vcc_lo, 0, v[1:2]
	v_cndmask_b32_e32 v1, 1, v6, vcc_lo
	v_mul_lo_u32 v5, v1, v9
	v_cndmask_b32_e64 v1, 1, v5, s0
	v_mul_lo_u32 v7, v1, v11
	s_branch .LBB505_117
.LBB505_90:
	s_cmp_eq_u64 s[24:25], 0
	v_mov_b32_e32 v3, s26
	s_cselect_b32 s0, -1, 0
	s_cmp_eq_u64 s[22:23], 0
	s_cselect_b32 s1, -1, 0
	s_or_b32 s0, s0, s1
	s_and_b32 vcc_lo, exec_lo, s0
	s_cbranch_vccnz .LBB505_92
; %bb.91:
	v_mov_b32_e32 v1, 0
	global_load_dword v3, v1, s[22:23]
.LBB505_92:
	s_mov_b32 s0, 0
	s_mov_b32 s1, 1
	v_and_b32_e32 v2, 0xff, v21
	v_cmp_gt_u64_e32 vcc_lo, s[0:1], v[11:12]
	v_cmp_gt_u64_e64 s0, s[0:1], v[13:14]
	s_mov_b32 s1, exec_lo
	v_cndmask_b32_e32 v1, 1, v9, vcc_lo
	v_mul_lo_u32 v4, v1, v11
	v_mov_b32_e32 v1, 0
	v_cndmask_b32_e64 v4, 1, v4, s0
	v_cmp_eq_u64_e64 s0, 0, v[1:2]
	v_and_b32_e32 v2, 15, v20
	v_mul_lo_u32 v4, v4, v13
	v_cndmask_b32_e64 v5, 1, v10, s0
	v_and_b32_e32 v6, 0xff, v5
	v_mov_b32_dpp v7, v4 row_shr:1 row_mask:0xf bank_mask:0xf
	v_mov_b32_dpp v8, v6 row_shr:1 row_mask:0xf bank_mask:0xf
	v_cmpx_ne_u32_e32 0, v2
	s_cbranch_execz .LBB505_94
; %bb.93:
	v_and_b32_e32 v6, 1, v5
	v_cmp_eq_u16_sdwa s0, v5, v1 src0_sel:BYTE_0 src1_sel:DWORD
	v_and_b32_e32 v8, 1, v8
	v_cndmask_b32_e64 v1, 1, v7, s0
	v_cmp_eq_u32_e64 s0, 1, v6
	v_mul_lo_u32 v4, v1, v4
	v_cndmask_b32_e64 v5, v8, 1, s0
	v_and_b32_e32 v6, 0xffff, v5
.LBB505_94:
	s_or_b32 exec_lo, exec_lo, s1
	v_mov_b32_dpp v1, v4 row_shr:2 row_mask:0xf bank_mask:0xf
	v_mov_b32_dpp v7, v6 row_shr:2 row_mask:0xf bank_mask:0xf
	s_mov_b32 s1, exec_lo
	v_cmpx_lt_u32_e32 1, v2
	s_cbranch_execz .LBB505_96
; %bb.95:
	v_mov_b32_e32 v6, 0
	v_and_b32_e32 v8, 1, v5
	v_and_b32_e32 v7, 1, v7
	v_cmp_eq_u16_sdwa s0, v5, v6 src0_sel:BYTE_0 src1_sel:DWORD
	v_cndmask_b32_e64 v1, 1, v1, s0
	v_cmp_eq_u32_e64 s0, 1, v8
	v_mul_lo_u32 v4, v1, v4
	v_cndmask_b32_e64 v5, v7, 1, s0
	v_and_b32_e32 v6, 0xffff, v5
.LBB505_96:
	s_or_b32 exec_lo, exec_lo, s1
	v_mov_b32_dpp v1, v4 row_shr:4 row_mask:0xf bank_mask:0xf
	v_mov_b32_dpp v7, v6 row_shr:4 row_mask:0xf bank_mask:0xf
	s_mov_b32 s1, exec_lo
	v_cmpx_lt_u32_e32 3, v2
	s_cbranch_execz .LBB505_98
; %bb.97:
	v_mov_b32_e32 v6, 0
	v_and_b32_e32 v8, 1, v5
	v_and_b32_e32 v7, 1, v7
	v_cmp_eq_u16_sdwa s0, v5, v6 src0_sel:BYTE_0 src1_sel:DWORD
	v_cndmask_b32_e64 v1, 1, v1, s0
	v_cmp_eq_u32_e64 s0, 1, v8
	v_mul_lo_u32 v4, v1, v4
	v_cndmask_b32_e64 v5, v7, 1, s0
	v_and_b32_e32 v6, 0xffff, v5
.LBB505_98:
	;; [unrolled: 17-line block ×3, first 2 shown]
	s_or_b32 exec_lo, exec_lo, s1
	ds_swizzle_b32 v2, v4 offset:swizzle(BROADCAST,32,15)
	ds_swizzle_b32 v1, v6 offset:swizzle(BROADCAST,32,15)
	v_and_b32_e32 v6, 16, v20
	s_mov_b32 s1, exec_lo
	v_cmpx_ne_u32_e32 0, v6
	s_cbranch_execz .LBB505_102
; %bb.101:
	v_mov_b32_e32 v6, 0
	s_waitcnt lgkmcnt(0)
	v_and_b32_e32 v1, 1, v1
	v_cmp_eq_u16_sdwa s0, v5, v6 src0_sel:BYTE_0 src1_sel:DWORD
	v_and_b32_e32 v5, 1, v5
	v_cndmask_b32_e64 v2, 1, v2, s0
	v_cmp_eq_u32_e64 s0, 1, v5
	v_mul_lo_u32 v4, v2, v4
	v_cndmask_b32_e64 v5, v1, 1, s0
.LBB505_102:
	s_or_b32 exec_lo, exec_lo, s1
	s_waitcnt lgkmcnt(1)
	v_lshrrev_b32_e32 v2, 5, v0
	s_waitcnt lgkmcnt(0)
	v_or_b32_e32 v1, 31, v0
	s_mov_b32 s1, exec_lo
	v_lshlrev_b32_e32 v6, 3, v2
	v_cmpx_eq_u32_e64 v0, v1
	s_cbranch_execz .LBB505_104
; %bb.103:
	ds_write_b32 v6, v4
	ds_write_b8 v6, v5 offset:4
.LBB505_104:
	s_or_b32 exec_lo, exec_lo, s1
	s_mov_b32 s1, exec_lo
	s_waitcnt vmcnt(0) lgkmcnt(0)
	s_barrier
	buffer_gl0_inv
	v_cmpx_gt_u32_e32 8, v0
	s_cbranch_execz .LBB505_112
; %bb.105:
	ds_read_b64 v[1:2], v19
	v_and_b32_e32 v7, 7, v20
	s_mov_b32 s2, exec_lo
	s_waitcnt lgkmcnt(0)
	v_and_b32_e32 v8, 0xffffff00, v2
	v_mov_b32_dpp v13, v1 row_shr:1 row_mask:0xf bank_mask:0xf
	v_mov_b32_dpp v14, v2 row_shr:1 row_mask:0xf bank_mask:0xf
	v_mov_b32_e32 v12, v2
	v_cmpx_ne_u32_e32 0, v7
	s_cbranch_execz .LBB505_107
; %bb.106:
	v_mov_b32_e32 v12, 0
	v_and_b32_e32 v15, 1, v2
	v_and_b32_e32 v14, 1, v14
	v_cmp_eq_u16_sdwa s0, v2, v12 src0_sel:BYTE_0 src1_sel:DWORD
	v_cndmask_b32_e64 v12, 1, v13, s0
	v_cmp_eq_u32_e64 s0, 1, v15
	v_mul_lo_u32 v1, v12, v1
	v_cndmask_b32_e64 v2, v14, 1, s0
	v_or_b32_sdwa v12, v8, v2 dst_sel:DWORD dst_unused:UNUSED_PAD src0_sel:DWORD src1_sel:WORD_0
.LBB505_107:
	s_or_b32 exec_lo, exec_lo, s2
	v_mov_b32_dpp v13, v1 row_shr:2 row_mask:0xf bank_mask:0xf
	v_mov_b32_dpp v14, v12 row_shr:2 row_mask:0xf bank_mask:0xf
	s_mov_b32 s2, exec_lo
	v_cmpx_lt_u32_e32 1, v7
	s_cbranch_execz .LBB505_109
; %bb.108:
	v_mov_b32_e32 v12, 0
	v_and_b32_e32 v15, 1, v2
	v_and_b32_e32 v14, 1, v14
	v_cmp_eq_u16_sdwa s0, v2, v12 src0_sel:BYTE_0 src1_sel:DWORD
	v_cndmask_b32_e64 v12, 1, v13, s0
	v_cmp_eq_u32_e64 s0, 1, v15
	v_mul_lo_u32 v1, v12, v1
	v_cndmask_b32_e64 v2, v14, 1, s0
	v_or_b32_sdwa v12, v8, v2 dst_sel:DWORD dst_unused:UNUSED_PAD src0_sel:DWORD src1_sel:WORD_0
.LBB505_109:
	s_or_b32 exec_lo, exec_lo, s2
	v_mov_b32_dpp v13, v1 row_shr:4 row_mask:0xf bank_mask:0xf
	v_mov_b32_dpp v8, v12 row_shr:4 row_mask:0xf bank_mask:0xf
	s_mov_b32 s2, exec_lo
	v_cmpx_lt_u32_e32 3, v7
	s_cbranch_execz .LBB505_111
; %bb.110:
	v_mov_b32_e32 v7, 0
	v_and_b32_e32 v8, 1, v8
	v_cmp_eq_u16_sdwa s0, v2, v7 src0_sel:BYTE_0 src1_sel:DWORD
	v_and_b32_e32 v2, 1, v2
	v_cndmask_b32_e64 v7, 1, v13, s0
	v_cmp_eq_u32_e64 s0, 1, v2
	v_mul_lo_u32 v1, v7, v1
	v_cndmask_b32_e64 v2, v8, 1, s0
.LBB505_111:
	s_or_b32 exec_lo, exec_lo, s2
	ds_write_b32 v19, v1
	ds_write_b8 v19, v2 offset:4
.LBB505_112:
	s_or_b32 exec_lo, exec_lo, s1
	v_mov_b32_e32 v2, v3
	s_mov_b32 s1, exec_lo
	s_waitcnt lgkmcnt(0)
	s_barrier
	buffer_gl0_inv
	v_cmpx_lt_u32_e32 31, v0
	s_cbranch_execz .LBB505_114
; %bb.113:
	v_add_nc_u32_e32 v1, -4, v6
	v_add_nc_u32_e32 v2, -8, v6
	ds_read_u8 v1, v1
	ds_read_b32 v2, v2
	s_waitcnt lgkmcnt(1)
	v_cmp_eq_u16_e64 s0, 0, v1
	v_cndmask_b32_e64 v1, 1, v3, s0
	s_waitcnt lgkmcnt(0)
	v_mul_lo_u32 v2, v1, v2
.LBB505_114:
	s_or_b32 exec_lo, exec_lo, s1
	v_mov_b32_e32 v1, 0
	v_sub_co_u32 v6, s0, v20, 1
	v_cmp_eq_u16_sdwa s1, v5, v1 src0_sel:BYTE_0 src1_sel:DWORD
	v_cndmask_b32_e64 v5, 1, v2, s1
	v_cmp_gt_i32_e64 s1, 0, v6
	v_mul_lo_u32 v4, v5, v4
	v_cndmask_b32_e64 v6, v6, v20, s1
	v_lshlrev_b32_e32 v5, 2, v6
	ds_bpermute_b32 v4, v5, v4
	s_waitcnt lgkmcnt(0)
	v_cndmask_b32_e64 v6, v4, v2, s0
	v_and_b32_e32 v2, 0xff, v10
	v_cmp_eq_u32_e64 s0, 0, v0
	v_cmp_eq_u64_e64 s1, 0, v[1:2]
	v_cndmask_b32_e64 v4, v6, v3, s0
	v_cndmask_b32_e64 v2, 1, v4, s1
	v_mul_lo_u32 v5, v2, v9
	v_cndmask_b32_e32 v2, 1, v5, vcc_lo
	s_and_saveexec_b32 s1, s0
	s_cbranch_execz .LBB505_116
; %bb.115:
	ds_read_u8 v4, v1 offset:60
	ds_read_b32 v6, v1 offset:56
	v_mov_b32_e32 v9, v1
	s_add_u32 s2, s16, 0x200
	s_addc_u32 s3, s17, 0
	v_mov_b32_e32 v10, v1
	v_mov_b32_e32 v13, s3
	;; [unrolled: 1-line block ×3, first 2 shown]
	s_waitcnt lgkmcnt(1)
	v_and_b32_e32 v8, 0xffff, v4
	v_cmp_eq_u64_e32 vcc_lo, 0, v[8:9]
	v_mov_b32_e32 v9, 2
	v_cndmask_b32_e32 v4, 1, v3, vcc_lo
	s_waitcnt lgkmcnt(0)
	v_mul_lo_u32 v7, v4, v6
	v_mov_b32_e32 v6, v3
	;;#ASMSTART
	global_store_dwordx4 v[12:13], v[7:10] off	
s_waitcnt vmcnt(0)
	;;#ASMEND
.LBB505_116:
	s_or_b32 exec_lo, exec_lo, s1
	v_mul_lo_u32 v7, v2, v11
.LBB505_117:
	s_add_u32 s0, s14, s4
	v_mov_b32_e32 v3, 0
	s_addc_u32 s1, s15, s5
	s_add_u32 s0, s0, s8
	s_addc_u32 s1, s1, s9
	s_and_b32 vcc_lo, exec_lo, s7
	s_cbranch_vccz .LBB505_129
; %bb.118:
	v_mul_u32_u24_e32 v1, 3, v0
	v_mov_b32_e32 v4, 0
	v_mov_b32_e32 v2, 0
	s_add_i32 s12, s12, s18
	s_mov_b32 s2, exec_lo
	v_cmpx_gt_u32_e64 s12, v1
	s_cbranch_execz .LBB505_124
; %bb.119:
	v_add_nc_u32_e32 v3, 1, v1
	v_mov_b32_e32 v2, 0
	v_mov_b32_e32 v4, 0
	s_mov_b32 s3, exec_lo
	v_cmpx_gt_u32_e64 s12, v3
	s_cbranch_execz .LBB505_123
; %bb.120:
	v_add_nc_u32_e32 v2, 2, v1
	v_cmp_gt_u32_e32 vcc_lo, s12, v2
	v_mov_b32_e32 v2, 0
	s_and_saveexec_b32 s4, vcc_lo
; %bb.121:
	v_mov_b32_e32 v2, v7
; %bb.122:
	s_or_b32 exec_lo, exec_lo, s4
	v_mov_b32_e32 v4, v5
.LBB505_123:
	s_or_b32 exec_lo, exec_lo, s3
	v_mov_b32_e32 v3, v6
.LBB505_124:
	s_or_b32 exec_lo, exec_lo, s2
	v_lshlrev_b32_e32 v8, 2, v1
	s_barrier
	buffer_gl0_inv
	v_sub_nc_u32_e32 v1, v8, v19
	ds_write2_b32 v8, v3, v4 offset1:1
	ds_write_b32 v8, v2 offset:8
	s_waitcnt lgkmcnt(0)
	s_barrier
	buffer_gl0_inv
	ds_read2st64_b32 v[1:2], v1 offset0:4 offset1:8
	v_add_co_u32 v3, s2, s0, v18
	v_add_co_ci_u32_e64 v4, null, s1, 0, s2
	s_mov_b32 s2, exec_lo
	v_cmpx_gt_u32_e64 s12, v0
	s_cbranch_execz .LBB505_126
; %bb.125:
	v_sub_nc_u32_e32 v9, 0, v19
	v_add_nc_u32_e32 v8, v8, v9
	ds_read_b32 v8, v8
	s_waitcnt lgkmcnt(0)
	flat_store_dword v[3:4], v8
.LBB505_126:
	s_or_b32 exec_lo, exec_lo, s2
	v_or_b32_e32 v8, 0x100, v0
	s_mov_b32 s2, exec_lo
	v_cmpx_gt_u32_e64 s12, v8
	s_cbranch_execz .LBB505_128
; %bb.127:
	s_waitcnt lgkmcnt(0)
	flat_store_dword v[3:4], v1 offset:1024
.LBB505_128:
	s_or_b32 exec_lo, exec_lo, s2
	s_waitcnt lgkmcnt(0)
	v_or_b32_e32 v1, 0x200, v0
	v_cmp_gt_u32_e64 s2, s12, v1
	s_branch .LBB505_131
.LBB505_129:
	s_mov_b32 s2, 0
                                        ; implicit-def: $vgpr2
	s_cbranch_execz .LBB505_131
; %bb.130:
	v_mul_u32_u24_e32 v1, 12, v0
	s_waitcnt_vscnt null, 0x0
	s_barrier
	buffer_gl0_inv
	s_or_b32 s2, s2, exec_lo
	v_sub_nc_u32_e32 v2, v1, v19
	ds_write2_b32 v1, v6, v5 offset1:1
	ds_write_b32 v1, v7 offset:8
	s_waitcnt lgkmcnt(0)
	s_barrier
	buffer_gl0_inv
	ds_read2st64_b32 v[3:4], v2 offset1:4
	ds_read_b32 v2, v2 offset:2048
	v_add_co_u32 v5, s3, s0, v18
	v_add_co_ci_u32_e64 v6, null, s1, 0, s3
	s_waitcnt lgkmcnt(1)
	flat_store_dword v[5:6], v3
	flat_store_dword v[5:6], v4 offset:1024
.LBB505_131:
	s_and_saveexec_b32 s3, s2
	s_cbranch_execnz .LBB505_133
; %bb.132:
	s_endpgm
.LBB505_133:
	v_lshlrev_b32_e32 v0, 2, v0
	v_add_co_u32 v0, s0, s0, v0
	v_add_co_ci_u32_e64 v1, null, s1, 0, s0
	v_add_co_u32 v0, vcc_lo, 0x800, v0
	v_add_co_ci_u32_e64 v1, null, 0, v1, vcc_lo
	s_waitcnt lgkmcnt(2)
	flat_store_dword v[0:1], v2
	s_endpgm
.LBB505_134:
	v_add_co_u32 v2, s20, s3, v10
	v_add_co_ci_u32_e64 v3, null, s13, 0, s20
	v_mov_b32_e32 v12, v1
	v_mov_b32_e32 v13, v1
	flat_load_dword v11, v[2:3]
	s_waitcnt vmcnt(0) lgkmcnt(0)
	v_mov_b32_e32 v1, v11
	v_mov_b32_e32 v2, v12
	;; [unrolled: 1-line block ×3, first 2 shown]
	s_or_b32 exec_lo, exec_lo, s2
	s_and_saveexec_b32 s2, s0
	s_cbranch_execz .LBB505_11
.LBB505_135:
	v_add_co_u32 v11, s0, s3, v10
	v_add_co_ci_u32_e64 v12, null, s13, 0, s0
	flat_load_dword v2, v[11:12] offset:1024
	s_or_b32 exec_lo, exec_lo, s2
	v_mul_u32_u24_e32 v13, 3, v0
	s_and_saveexec_b32 s0, s1
	s_cbranch_execnz .LBB505_12
	s_branch .LBB505_13
	.section	.rodata,"a",@progbits
	.p2align	6, 0x0
	.amdhsa_kernel _ZN7rocprim17ROCPRIM_400000_NS6detail17trampoline_kernelINS0_14default_configENS1_27scan_by_key_config_selectorIiiEEZZNS1_16scan_by_key_implILNS1_25lookback_scan_determinismE0ELb1ES3_N6thrust23THRUST_200600_302600_NS6detail15normal_iteratorINS9_10device_ptrIiEEEESE_SE_iNS9_10multipliesIiEENS9_8equal_toIiEEiEE10hipError_tPvRmT2_T3_T4_T5_mT6_T7_P12ihipStream_tbENKUlT_T0_E_clISt17integral_constantIbLb0EESZ_EEDaSU_SV_EUlSU_E_NS1_11comp_targetILNS1_3genE8ELNS1_11target_archE1030ELNS1_3gpuE2ELNS1_3repE0EEENS1_30default_config_static_selectorELNS0_4arch9wavefront6targetE0EEEvT1_
		.amdhsa_group_segment_fixed_size 5120
		.amdhsa_private_segment_fixed_size 0
		.amdhsa_kernarg_size 112
		.amdhsa_user_sgpr_count 6
		.amdhsa_user_sgpr_private_segment_buffer 1
		.amdhsa_user_sgpr_dispatch_ptr 0
		.amdhsa_user_sgpr_queue_ptr 0
		.amdhsa_user_sgpr_kernarg_segment_ptr 1
		.amdhsa_user_sgpr_dispatch_id 0
		.amdhsa_user_sgpr_flat_scratch_init 0
		.amdhsa_user_sgpr_private_segment_size 0
		.amdhsa_wavefront_size32 1
		.amdhsa_uses_dynamic_stack 0
		.amdhsa_system_sgpr_private_segment_wavefront_offset 0
		.amdhsa_system_sgpr_workgroup_id_x 1
		.amdhsa_system_sgpr_workgroup_id_y 0
		.amdhsa_system_sgpr_workgroup_id_z 0
		.amdhsa_system_sgpr_workgroup_info 0
		.amdhsa_system_vgpr_workitem_id 0
		.amdhsa_next_free_vgpr 39
		.amdhsa_next_free_sgpr 30
		.amdhsa_reserve_vcc 1
		.amdhsa_reserve_flat_scratch 1
		.amdhsa_float_round_mode_32 0
		.amdhsa_float_round_mode_16_64 0
		.amdhsa_float_denorm_mode_32 3
		.amdhsa_float_denorm_mode_16_64 3
		.amdhsa_dx10_clamp 1
		.amdhsa_ieee_mode 1
		.amdhsa_fp16_overflow 0
		.amdhsa_workgroup_processor_mode 1
		.amdhsa_memory_ordered 1
		.amdhsa_forward_progress 1
		.amdhsa_shared_vgpr_count 0
		.amdhsa_exception_fp_ieee_invalid_op 0
		.amdhsa_exception_fp_denorm_src 0
		.amdhsa_exception_fp_ieee_div_zero 0
		.amdhsa_exception_fp_ieee_overflow 0
		.amdhsa_exception_fp_ieee_underflow 0
		.amdhsa_exception_fp_ieee_inexact 0
		.amdhsa_exception_int_div_zero 0
	.end_amdhsa_kernel
	.section	.text._ZN7rocprim17ROCPRIM_400000_NS6detail17trampoline_kernelINS0_14default_configENS1_27scan_by_key_config_selectorIiiEEZZNS1_16scan_by_key_implILNS1_25lookback_scan_determinismE0ELb1ES3_N6thrust23THRUST_200600_302600_NS6detail15normal_iteratorINS9_10device_ptrIiEEEESE_SE_iNS9_10multipliesIiEENS9_8equal_toIiEEiEE10hipError_tPvRmT2_T3_T4_T5_mT6_T7_P12ihipStream_tbENKUlT_T0_E_clISt17integral_constantIbLb0EESZ_EEDaSU_SV_EUlSU_E_NS1_11comp_targetILNS1_3genE8ELNS1_11target_archE1030ELNS1_3gpuE2ELNS1_3repE0EEENS1_30default_config_static_selectorELNS0_4arch9wavefront6targetE0EEEvT1_,"axG",@progbits,_ZN7rocprim17ROCPRIM_400000_NS6detail17trampoline_kernelINS0_14default_configENS1_27scan_by_key_config_selectorIiiEEZZNS1_16scan_by_key_implILNS1_25lookback_scan_determinismE0ELb1ES3_N6thrust23THRUST_200600_302600_NS6detail15normal_iteratorINS9_10device_ptrIiEEEESE_SE_iNS9_10multipliesIiEENS9_8equal_toIiEEiEE10hipError_tPvRmT2_T3_T4_T5_mT6_T7_P12ihipStream_tbENKUlT_T0_E_clISt17integral_constantIbLb0EESZ_EEDaSU_SV_EUlSU_E_NS1_11comp_targetILNS1_3genE8ELNS1_11target_archE1030ELNS1_3gpuE2ELNS1_3repE0EEENS1_30default_config_static_selectorELNS0_4arch9wavefront6targetE0EEEvT1_,comdat
.Lfunc_end505:
	.size	_ZN7rocprim17ROCPRIM_400000_NS6detail17trampoline_kernelINS0_14default_configENS1_27scan_by_key_config_selectorIiiEEZZNS1_16scan_by_key_implILNS1_25lookback_scan_determinismE0ELb1ES3_N6thrust23THRUST_200600_302600_NS6detail15normal_iteratorINS9_10device_ptrIiEEEESE_SE_iNS9_10multipliesIiEENS9_8equal_toIiEEiEE10hipError_tPvRmT2_T3_T4_T5_mT6_T7_P12ihipStream_tbENKUlT_T0_E_clISt17integral_constantIbLb0EESZ_EEDaSU_SV_EUlSU_E_NS1_11comp_targetILNS1_3genE8ELNS1_11target_archE1030ELNS1_3gpuE2ELNS1_3repE0EEENS1_30default_config_static_selectorELNS0_4arch9wavefront6targetE0EEEvT1_, .Lfunc_end505-_ZN7rocprim17ROCPRIM_400000_NS6detail17trampoline_kernelINS0_14default_configENS1_27scan_by_key_config_selectorIiiEEZZNS1_16scan_by_key_implILNS1_25lookback_scan_determinismE0ELb1ES3_N6thrust23THRUST_200600_302600_NS6detail15normal_iteratorINS9_10device_ptrIiEEEESE_SE_iNS9_10multipliesIiEENS9_8equal_toIiEEiEE10hipError_tPvRmT2_T3_T4_T5_mT6_T7_P12ihipStream_tbENKUlT_T0_E_clISt17integral_constantIbLb0EESZ_EEDaSU_SV_EUlSU_E_NS1_11comp_targetILNS1_3genE8ELNS1_11target_archE1030ELNS1_3gpuE2ELNS1_3repE0EEENS1_30default_config_static_selectorELNS0_4arch9wavefront6targetE0EEEvT1_
                                        ; -- End function
	.set _ZN7rocprim17ROCPRIM_400000_NS6detail17trampoline_kernelINS0_14default_configENS1_27scan_by_key_config_selectorIiiEEZZNS1_16scan_by_key_implILNS1_25lookback_scan_determinismE0ELb1ES3_N6thrust23THRUST_200600_302600_NS6detail15normal_iteratorINS9_10device_ptrIiEEEESE_SE_iNS9_10multipliesIiEENS9_8equal_toIiEEiEE10hipError_tPvRmT2_T3_T4_T5_mT6_T7_P12ihipStream_tbENKUlT_T0_E_clISt17integral_constantIbLb0EESZ_EEDaSU_SV_EUlSU_E_NS1_11comp_targetILNS1_3genE8ELNS1_11target_archE1030ELNS1_3gpuE2ELNS1_3repE0EEENS1_30default_config_static_selectorELNS0_4arch9wavefront6targetE0EEEvT1_.num_vgpr, 39
	.set _ZN7rocprim17ROCPRIM_400000_NS6detail17trampoline_kernelINS0_14default_configENS1_27scan_by_key_config_selectorIiiEEZZNS1_16scan_by_key_implILNS1_25lookback_scan_determinismE0ELb1ES3_N6thrust23THRUST_200600_302600_NS6detail15normal_iteratorINS9_10device_ptrIiEEEESE_SE_iNS9_10multipliesIiEENS9_8equal_toIiEEiEE10hipError_tPvRmT2_T3_T4_T5_mT6_T7_P12ihipStream_tbENKUlT_T0_E_clISt17integral_constantIbLb0EESZ_EEDaSU_SV_EUlSU_E_NS1_11comp_targetILNS1_3genE8ELNS1_11target_archE1030ELNS1_3gpuE2ELNS1_3repE0EEENS1_30default_config_static_selectorELNS0_4arch9wavefront6targetE0EEEvT1_.num_agpr, 0
	.set _ZN7rocprim17ROCPRIM_400000_NS6detail17trampoline_kernelINS0_14default_configENS1_27scan_by_key_config_selectorIiiEEZZNS1_16scan_by_key_implILNS1_25lookback_scan_determinismE0ELb1ES3_N6thrust23THRUST_200600_302600_NS6detail15normal_iteratorINS9_10device_ptrIiEEEESE_SE_iNS9_10multipliesIiEENS9_8equal_toIiEEiEE10hipError_tPvRmT2_T3_T4_T5_mT6_T7_P12ihipStream_tbENKUlT_T0_E_clISt17integral_constantIbLb0EESZ_EEDaSU_SV_EUlSU_E_NS1_11comp_targetILNS1_3genE8ELNS1_11target_archE1030ELNS1_3gpuE2ELNS1_3repE0EEENS1_30default_config_static_selectorELNS0_4arch9wavefront6targetE0EEEvT1_.numbered_sgpr, 30
	.set _ZN7rocprim17ROCPRIM_400000_NS6detail17trampoline_kernelINS0_14default_configENS1_27scan_by_key_config_selectorIiiEEZZNS1_16scan_by_key_implILNS1_25lookback_scan_determinismE0ELb1ES3_N6thrust23THRUST_200600_302600_NS6detail15normal_iteratorINS9_10device_ptrIiEEEESE_SE_iNS9_10multipliesIiEENS9_8equal_toIiEEiEE10hipError_tPvRmT2_T3_T4_T5_mT6_T7_P12ihipStream_tbENKUlT_T0_E_clISt17integral_constantIbLb0EESZ_EEDaSU_SV_EUlSU_E_NS1_11comp_targetILNS1_3genE8ELNS1_11target_archE1030ELNS1_3gpuE2ELNS1_3repE0EEENS1_30default_config_static_selectorELNS0_4arch9wavefront6targetE0EEEvT1_.num_named_barrier, 0
	.set _ZN7rocprim17ROCPRIM_400000_NS6detail17trampoline_kernelINS0_14default_configENS1_27scan_by_key_config_selectorIiiEEZZNS1_16scan_by_key_implILNS1_25lookback_scan_determinismE0ELb1ES3_N6thrust23THRUST_200600_302600_NS6detail15normal_iteratorINS9_10device_ptrIiEEEESE_SE_iNS9_10multipliesIiEENS9_8equal_toIiEEiEE10hipError_tPvRmT2_T3_T4_T5_mT6_T7_P12ihipStream_tbENKUlT_T0_E_clISt17integral_constantIbLb0EESZ_EEDaSU_SV_EUlSU_E_NS1_11comp_targetILNS1_3genE8ELNS1_11target_archE1030ELNS1_3gpuE2ELNS1_3repE0EEENS1_30default_config_static_selectorELNS0_4arch9wavefront6targetE0EEEvT1_.private_seg_size, 0
	.set _ZN7rocprim17ROCPRIM_400000_NS6detail17trampoline_kernelINS0_14default_configENS1_27scan_by_key_config_selectorIiiEEZZNS1_16scan_by_key_implILNS1_25lookback_scan_determinismE0ELb1ES3_N6thrust23THRUST_200600_302600_NS6detail15normal_iteratorINS9_10device_ptrIiEEEESE_SE_iNS9_10multipliesIiEENS9_8equal_toIiEEiEE10hipError_tPvRmT2_T3_T4_T5_mT6_T7_P12ihipStream_tbENKUlT_T0_E_clISt17integral_constantIbLb0EESZ_EEDaSU_SV_EUlSU_E_NS1_11comp_targetILNS1_3genE8ELNS1_11target_archE1030ELNS1_3gpuE2ELNS1_3repE0EEENS1_30default_config_static_selectorELNS0_4arch9wavefront6targetE0EEEvT1_.uses_vcc, 1
	.set _ZN7rocprim17ROCPRIM_400000_NS6detail17trampoline_kernelINS0_14default_configENS1_27scan_by_key_config_selectorIiiEEZZNS1_16scan_by_key_implILNS1_25lookback_scan_determinismE0ELb1ES3_N6thrust23THRUST_200600_302600_NS6detail15normal_iteratorINS9_10device_ptrIiEEEESE_SE_iNS9_10multipliesIiEENS9_8equal_toIiEEiEE10hipError_tPvRmT2_T3_T4_T5_mT6_T7_P12ihipStream_tbENKUlT_T0_E_clISt17integral_constantIbLb0EESZ_EEDaSU_SV_EUlSU_E_NS1_11comp_targetILNS1_3genE8ELNS1_11target_archE1030ELNS1_3gpuE2ELNS1_3repE0EEENS1_30default_config_static_selectorELNS0_4arch9wavefront6targetE0EEEvT1_.uses_flat_scratch, 1
	.set _ZN7rocprim17ROCPRIM_400000_NS6detail17trampoline_kernelINS0_14default_configENS1_27scan_by_key_config_selectorIiiEEZZNS1_16scan_by_key_implILNS1_25lookback_scan_determinismE0ELb1ES3_N6thrust23THRUST_200600_302600_NS6detail15normal_iteratorINS9_10device_ptrIiEEEESE_SE_iNS9_10multipliesIiEENS9_8equal_toIiEEiEE10hipError_tPvRmT2_T3_T4_T5_mT6_T7_P12ihipStream_tbENKUlT_T0_E_clISt17integral_constantIbLb0EESZ_EEDaSU_SV_EUlSU_E_NS1_11comp_targetILNS1_3genE8ELNS1_11target_archE1030ELNS1_3gpuE2ELNS1_3repE0EEENS1_30default_config_static_selectorELNS0_4arch9wavefront6targetE0EEEvT1_.has_dyn_sized_stack, 0
	.set _ZN7rocprim17ROCPRIM_400000_NS6detail17trampoline_kernelINS0_14default_configENS1_27scan_by_key_config_selectorIiiEEZZNS1_16scan_by_key_implILNS1_25lookback_scan_determinismE0ELb1ES3_N6thrust23THRUST_200600_302600_NS6detail15normal_iteratorINS9_10device_ptrIiEEEESE_SE_iNS9_10multipliesIiEENS9_8equal_toIiEEiEE10hipError_tPvRmT2_T3_T4_T5_mT6_T7_P12ihipStream_tbENKUlT_T0_E_clISt17integral_constantIbLb0EESZ_EEDaSU_SV_EUlSU_E_NS1_11comp_targetILNS1_3genE8ELNS1_11target_archE1030ELNS1_3gpuE2ELNS1_3repE0EEENS1_30default_config_static_selectorELNS0_4arch9wavefront6targetE0EEEvT1_.has_recursion, 0
	.set _ZN7rocprim17ROCPRIM_400000_NS6detail17trampoline_kernelINS0_14default_configENS1_27scan_by_key_config_selectorIiiEEZZNS1_16scan_by_key_implILNS1_25lookback_scan_determinismE0ELb1ES3_N6thrust23THRUST_200600_302600_NS6detail15normal_iteratorINS9_10device_ptrIiEEEESE_SE_iNS9_10multipliesIiEENS9_8equal_toIiEEiEE10hipError_tPvRmT2_T3_T4_T5_mT6_T7_P12ihipStream_tbENKUlT_T0_E_clISt17integral_constantIbLb0EESZ_EEDaSU_SV_EUlSU_E_NS1_11comp_targetILNS1_3genE8ELNS1_11target_archE1030ELNS1_3gpuE2ELNS1_3repE0EEENS1_30default_config_static_selectorELNS0_4arch9wavefront6targetE0EEEvT1_.has_indirect_call, 0
	.section	.AMDGPU.csdata,"",@progbits
; Kernel info:
; codeLenInByte = 6312
; TotalNumSgprs: 32
; NumVgprs: 39
; ScratchSize: 0
; MemoryBound: 0
; FloatMode: 240
; IeeeMode: 1
; LDSByteSize: 5120 bytes/workgroup (compile time only)
; SGPRBlocks: 0
; VGPRBlocks: 4
; NumSGPRsForWavesPerEU: 32
; NumVGPRsForWavesPerEU: 39
; Occupancy: 16
; WaveLimiterHint : 1
; COMPUTE_PGM_RSRC2:SCRATCH_EN: 0
; COMPUTE_PGM_RSRC2:USER_SGPR: 6
; COMPUTE_PGM_RSRC2:TRAP_HANDLER: 0
; COMPUTE_PGM_RSRC2:TGID_X_EN: 1
; COMPUTE_PGM_RSRC2:TGID_Y_EN: 0
; COMPUTE_PGM_RSRC2:TGID_Z_EN: 0
; COMPUTE_PGM_RSRC2:TIDIG_COMP_CNT: 0
	.section	.text._ZN7rocprim17ROCPRIM_400000_NS6detail17trampoline_kernelINS0_14default_configENS1_27scan_by_key_config_selectorIiiEEZZNS1_16scan_by_key_implILNS1_25lookback_scan_determinismE0ELb1ES3_N6thrust23THRUST_200600_302600_NS6detail15normal_iteratorINS9_10device_ptrIiEEEESE_SE_iNS9_10multipliesIiEENS9_8equal_toIiEEiEE10hipError_tPvRmT2_T3_T4_T5_mT6_T7_P12ihipStream_tbENKUlT_T0_E_clISt17integral_constantIbLb1EESZ_EEDaSU_SV_EUlSU_E_NS1_11comp_targetILNS1_3genE0ELNS1_11target_archE4294967295ELNS1_3gpuE0ELNS1_3repE0EEENS1_30default_config_static_selectorELNS0_4arch9wavefront6targetE0EEEvT1_,"axG",@progbits,_ZN7rocprim17ROCPRIM_400000_NS6detail17trampoline_kernelINS0_14default_configENS1_27scan_by_key_config_selectorIiiEEZZNS1_16scan_by_key_implILNS1_25lookback_scan_determinismE0ELb1ES3_N6thrust23THRUST_200600_302600_NS6detail15normal_iteratorINS9_10device_ptrIiEEEESE_SE_iNS9_10multipliesIiEENS9_8equal_toIiEEiEE10hipError_tPvRmT2_T3_T4_T5_mT6_T7_P12ihipStream_tbENKUlT_T0_E_clISt17integral_constantIbLb1EESZ_EEDaSU_SV_EUlSU_E_NS1_11comp_targetILNS1_3genE0ELNS1_11target_archE4294967295ELNS1_3gpuE0ELNS1_3repE0EEENS1_30default_config_static_selectorELNS0_4arch9wavefront6targetE0EEEvT1_,comdat
	.protected	_ZN7rocprim17ROCPRIM_400000_NS6detail17trampoline_kernelINS0_14default_configENS1_27scan_by_key_config_selectorIiiEEZZNS1_16scan_by_key_implILNS1_25lookback_scan_determinismE0ELb1ES3_N6thrust23THRUST_200600_302600_NS6detail15normal_iteratorINS9_10device_ptrIiEEEESE_SE_iNS9_10multipliesIiEENS9_8equal_toIiEEiEE10hipError_tPvRmT2_T3_T4_T5_mT6_T7_P12ihipStream_tbENKUlT_T0_E_clISt17integral_constantIbLb1EESZ_EEDaSU_SV_EUlSU_E_NS1_11comp_targetILNS1_3genE0ELNS1_11target_archE4294967295ELNS1_3gpuE0ELNS1_3repE0EEENS1_30default_config_static_selectorELNS0_4arch9wavefront6targetE0EEEvT1_ ; -- Begin function _ZN7rocprim17ROCPRIM_400000_NS6detail17trampoline_kernelINS0_14default_configENS1_27scan_by_key_config_selectorIiiEEZZNS1_16scan_by_key_implILNS1_25lookback_scan_determinismE0ELb1ES3_N6thrust23THRUST_200600_302600_NS6detail15normal_iteratorINS9_10device_ptrIiEEEESE_SE_iNS9_10multipliesIiEENS9_8equal_toIiEEiEE10hipError_tPvRmT2_T3_T4_T5_mT6_T7_P12ihipStream_tbENKUlT_T0_E_clISt17integral_constantIbLb1EESZ_EEDaSU_SV_EUlSU_E_NS1_11comp_targetILNS1_3genE0ELNS1_11target_archE4294967295ELNS1_3gpuE0ELNS1_3repE0EEENS1_30default_config_static_selectorELNS0_4arch9wavefront6targetE0EEEvT1_
	.globl	_ZN7rocprim17ROCPRIM_400000_NS6detail17trampoline_kernelINS0_14default_configENS1_27scan_by_key_config_selectorIiiEEZZNS1_16scan_by_key_implILNS1_25lookback_scan_determinismE0ELb1ES3_N6thrust23THRUST_200600_302600_NS6detail15normal_iteratorINS9_10device_ptrIiEEEESE_SE_iNS9_10multipliesIiEENS9_8equal_toIiEEiEE10hipError_tPvRmT2_T3_T4_T5_mT6_T7_P12ihipStream_tbENKUlT_T0_E_clISt17integral_constantIbLb1EESZ_EEDaSU_SV_EUlSU_E_NS1_11comp_targetILNS1_3genE0ELNS1_11target_archE4294967295ELNS1_3gpuE0ELNS1_3repE0EEENS1_30default_config_static_selectorELNS0_4arch9wavefront6targetE0EEEvT1_
	.p2align	8
	.type	_ZN7rocprim17ROCPRIM_400000_NS6detail17trampoline_kernelINS0_14default_configENS1_27scan_by_key_config_selectorIiiEEZZNS1_16scan_by_key_implILNS1_25lookback_scan_determinismE0ELb1ES3_N6thrust23THRUST_200600_302600_NS6detail15normal_iteratorINS9_10device_ptrIiEEEESE_SE_iNS9_10multipliesIiEENS9_8equal_toIiEEiEE10hipError_tPvRmT2_T3_T4_T5_mT6_T7_P12ihipStream_tbENKUlT_T0_E_clISt17integral_constantIbLb1EESZ_EEDaSU_SV_EUlSU_E_NS1_11comp_targetILNS1_3genE0ELNS1_11target_archE4294967295ELNS1_3gpuE0ELNS1_3repE0EEENS1_30default_config_static_selectorELNS0_4arch9wavefront6targetE0EEEvT1_,@function
_ZN7rocprim17ROCPRIM_400000_NS6detail17trampoline_kernelINS0_14default_configENS1_27scan_by_key_config_selectorIiiEEZZNS1_16scan_by_key_implILNS1_25lookback_scan_determinismE0ELb1ES3_N6thrust23THRUST_200600_302600_NS6detail15normal_iteratorINS9_10device_ptrIiEEEESE_SE_iNS9_10multipliesIiEENS9_8equal_toIiEEiEE10hipError_tPvRmT2_T3_T4_T5_mT6_T7_P12ihipStream_tbENKUlT_T0_E_clISt17integral_constantIbLb1EESZ_EEDaSU_SV_EUlSU_E_NS1_11comp_targetILNS1_3genE0ELNS1_11target_archE4294967295ELNS1_3gpuE0ELNS1_3repE0EEENS1_30default_config_static_selectorELNS0_4arch9wavefront6targetE0EEEvT1_: ; @_ZN7rocprim17ROCPRIM_400000_NS6detail17trampoline_kernelINS0_14default_configENS1_27scan_by_key_config_selectorIiiEEZZNS1_16scan_by_key_implILNS1_25lookback_scan_determinismE0ELb1ES3_N6thrust23THRUST_200600_302600_NS6detail15normal_iteratorINS9_10device_ptrIiEEEESE_SE_iNS9_10multipliesIiEENS9_8equal_toIiEEiEE10hipError_tPvRmT2_T3_T4_T5_mT6_T7_P12ihipStream_tbENKUlT_T0_E_clISt17integral_constantIbLb1EESZ_EEDaSU_SV_EUlSU_E_NS1_11comp_targetILNS1_3genE0ELNS1_11target_archE4294967295ELNS1_3gpuE0ELNS1_3repE0EEENS1_30default_config_static_selectorELNS0_4arch9wavefront6targetE0EEEvT1_
; %bb.0:
	.section	.rodata,"a",@progbits
	.p2align	6, 0x0
	.amdhsa_kernel _ZN7rocprim17ROCPRIM_400000_NS6detail17trampoline_kernelINS0_14default_configENS1_27scan_by_key_config_selectorIiiEEZZNS1_16scan_by_key_implILNS1_25lookback_scan_determinismE0ELb1ES3_N6thrust23THRUST_200600_302600_NS6detail15normal_iteratorINS9_10device_ptrIiEEEESE_SE_iNS9_10multipliesIiEENS9_8equal_toIiEEiEE10hipError_tPvRmT2_T3_T4_T5_mT6_T7_P12ihipStream_tbENKUlT_T0_E_clISt17integral_constantIbLb1EESZ_EEDaSU_SV_EUlSU_E_NS1_11comp_targetILNS1_3genE0ELNS1_11target_archE4294967295ELNS1_3gpuE0ELNS1_3repE0EEENS1_30default_config_static_selectorELNS0_4arch9wavefront6targetE0EEEvT1_
		.amdhsa_group_segment_fixed_size 0
		.amdhsa_private_segment_fixed_size 0
		.amdhsa_kernarg_size 112
		.amdhsa_user_sgpr_count 6
		.amdhsa_user_sgpr_private_segment_buffer 1
		.amdhsa_user_sgpr_dispatch_ptr 0
		.amdhsa_user_sgpr_queue_ptr 0
		.amdhsa_user_sgpr_kernarg_segment_ptr 1
		.amdhsa_user_sgpr_dispatch_id 0
		.amdhsa_user_sgpr_flat_scratch_init 0
		.amdhsa_user_sgpr_private_segment_size 0
		.amdhsa_wavefront_size32 1
		.amdhsa_uses_dynamic_stack 0
		.amdhsa_system_sgpr_private_segment_wavefront_offset 0
		.amdhsa_system_sgpr_workgroup_id_x 1
		.amdhsa_system_sgpr_workgroup_id_y 0
		.amdhsa_system_sgpr_workgroup_id_z 0
		.amdhsa_system_sgpr_workgroup_info 0
		.amdhsa_system_vgpr_workitem_id 0
		.amdhsa_next_free_vgpr 1
		.amdhsa_next_free_sgpr 1
		.amdhsa_reserve_vcc 0
		.amdhsa_reserve_flat_scratch 0
		.amdhsa_float_round_mode_32 0
		.amdhsa_float_round_mode_16_64 0
		.amdhsa_float_denorm_mode_32 3
		.amdhsa_float_denorm_mode_16_64 3
		.amdhsa_dx10_clamp 1
		.amdhsa_ieee_mode 1
		.amdhsa_fp16_overflow 0
		.amdhsa_workgroup_processor_mode 1
		.amdhsa_memory_ordered 1
		.amdhsa_forward_progress 1
		.amdhsa_shared_vgpr_count 0
		.amdhsa_exception_fp_ieee_invalid_op 0
		.amdhsa_exception_fp_denorm_src 0
		.amdhsa_exception_fp_ieee_div_zero 0
		.amdhsa_exception_fp_ieee_overflow 0
		.amdhsa_exception_fp_ieee_underflow 0
		.amdhsa_exception_fp_ieee_inexact 0
		.amdhsa_exception_int_div_zero 0
	.end_amdhsa_kernel
	.section	.text._ZN7rocprim17ROCPRIM_400000_NS6detail17trampoline_kernelINS0_14default_configENS1_27scan_by_key_config_selectorIiiEEZZNS1_16scan_by_key_implILNS1_25lookback_scan_determinismE0ELb1ES3_N6thrust23THRUST_200600_302600_NS6detail15normal_iteratorINS9_10device_ptrIiEEEESE_SE_iNS9_10multipliesIiEENS9_8equal_toIiEEiEE10hipError_tPvRmT2_T3_T4_T5_mT6_T7_P12ihipStream_tbENKUlT_T0_E_clISt17integral_constantIbLb1EESZ_EEDaSU_SV_EUlSU_E_NS1_11comp_targetILNS1_3genE0ELNS1_11target_archE4294967295ELNS1_3gpuE0ELNS1_3repE0EEENS1_30default_config_static_selectorELNS0_4arch9wavefront6targetE0EEEvT1_,"axG",@progbits,_ZN7rocprim17ROCPRIM_400000_NS6detail17trampoline_kernelINS0_14default_configENS1_27scan_by_key_config_selectorIiiEEZZNS1_16scan_by_key_implILNS1_25lookback_scan_determinismE0ELb1ES3_N6thrust23THRUST_200600_302600_NS6detail15normal_iteratorINS9_10device_ptrIiEEEESE_SE_iNS9_10multipliesIiEENS9_8equal_toIiEEiEE10hipError_tPvRmT2_T3_T4_T5_mT6_T7_P12ihipStream_tbENKUlT_T0_E_clISt17integral_constantIbLb1EESZ_EEDaSU_SV_EUlSU_E_NS1_11comp_targetILNS1_3genE0ELNS1_11target_archE4294967295ELNS1_3gpuE0ELNS1_3repE0EEENS1_30default_config_static_selectorELNS0_4arch9wavefront6targetE0EEEvT1_,comdat
.Lfunc_end506:
	.size	_ZN7rocprim17ROCPRIM_400000_NS6detail17trampoline_kernelINS0_14default_configENS1_27scan_by_key_config_selectorIiiEEZZNS1_16scan_by_key_implILNS1_25lookback_scan_determinismE0ELb1ES3_N6thrust23THRUST_200600_302600_NS6detail15normal_iteratorINS9_10device_ptrIiEEEESE_SE_iNS9_10multipliesIiEENS9_8equal_toIiEEiEE10hipError_tPvRmT2_T3_T4_T5_mT6_T7_P12ihipStream_tbENKUlT_T0_E_clISt17integral_constantIbLb1EESZ_EEDaSU_SV_EUlSU_E_NS1_11comp_targetILNS1_3genE0ELNS1_11target_archE4294967295ELNS1_3gpuE0ELNS1_3repE0EEENS1_30default_config_static_selectorELNS0_4arch9wavefront6targetE0EEEvT1_, .Lfunc_end506-_ZN7rocprim17ROCPRIM_400000_NS6detail17trampoline_kernelINS0_14default_configENS1_27scan_by_key_config_selectorIiiEEZZNS1_16scan_by_key_implILNS1_25lookback_scan_determinismE0ELb1ES3_N6thrust23THRUST_200600_302600_NS6detail15normal_iteratorINS9_10device_ptrIiEEEESE_SE_iNS9_10multipliesIiEENS9_8equal_toIiEEiEE10hipError_tPvRmT2_T3_T4_T5_mT6_T7_P12ihipStream_tbENKUlT_T0_E_clISt17integral_constantIbLb1EESZ_EEDaSU_SV_EUlSU_E_NS1_11comp_targetILNS1_3genE0ELNS1_11target_archE4294967295ELNS1_3gpuE0ELNS1_3repE0EEENS1_30default_config_static_selectorELNS0_4arch9wavefront6targetE0EEEvT1_
                                        ; -- End function
	.set _ZN7rocprim17ROCPRIM_400000_NS6detail17trampoline_kernelINS0_14default_configENS1_27scan_by_key_config_selectorIiiEEZZNS1_16scan_by_key_implILNS1_25lookback_scan_determinismE0ELb1ES3_N6thrust23THRUST_200600_302600_NS6detail15normal_iteratorINS9_10device_ptrIiEEEESE_SE_iNS9_10multipliesIiEENS9_8equal_toIiEEiEE10hipError_tPvRmT2_T3_T4_T5_mT6_T7_P12ihipStream_tbENKUlT_T0_E_clISt17integral_constantIbLb1EESZ_EEDaSU_SV_EUlSU_E_NS1_11comp_targetILNS1_3genE0ELNS1_11target_archE4294967295ELNS1_3gpuE0ELNS1_3repE0EEENS1_30default_config_static_selectorELNS0_4arch9wavefront6targetE0EEEvT1_.num_vgpr, 0
	.set _ZN7rocprim17ROCPRIM_400000_NS6detail17trampoline_kernelINS0_14default_configENS1_27scan_by_key_config_selectorIiiEEZZNS1_16scan_by_key_implILNS1_25lookback_scan_determinismE0ELb1ES3_N6thrust23THRUST_200600_302600_NS6detail15normal_iteratorINS9_10device_ptrIiEEEESE_SE_iNS9_10multipliesIiEENS9_8equal_toIiEEiEE10hipError_tPvRmT2_T3_T4_T5_mT6_T7_P12ihipStream_tbENKUlT_T0_E_clISt17integral_constantIbLb1EESZ_EEDaSU_SV_EUlSU_E_NS1_11comp_targetILNS1_3genE0ELNS1_11target_archE4294967295ELNS1_3gpuE0ELNS1_3repE0EEENS1_30default_config_static_selectorELNS0_4arch9wavefront6targetE0EEEvT1_.num_agpr, 0
	.set _ZN7rocprim17ROCPRIM_400000_NS6detail17trampoline_kernelINS0_14default_configENS1_27scan_by_key_config_selectorIiiEEZZNS1_16scan_by_key_implILNS1_25lookback_scan_determinismE0ELb1ES3_N6thrust23THRUST_200600_302600_NS6detail15normal_iteratorINS9_10device_ptrIiEEEESE_SE_iNS9_10multipliesIiEENS9_8equal_toIiEEiEE10hipError_tPvRmT2_T3_T4_T5_mT6_T7_P12ihipStream_tbENKUlT_T0_E_clISt17integral_constantIbLb1EESZ_EEDaSU_SV_EUlSU_E_NS1_11comp_targetILNS1_3genE0ELNS1_11target_archE4294967295ELNS1_3gpuE0ELNS1_3repE0EEENS1_30default_config_static_selectorELNS0_4arch9wavefront6targetE0EEEvT1_.numbered_sgpr, 0
	.set _ZN7rocprim17ROCPRIM_400000_NS6detail17trampoline_kernelINS0_14default_configENS1_27scan_by_key_config_selectorIiiEEZZNS1_16scan_by_key_implILNS1_25lookback_scan_determinismE0ELb1ES3_N6thrust23THRUST_200600_302600_NS6detail15normal_iteratorINS9_10device_ptrIiEEEESE_SE_iNS9_10multipliesIiEENS9_8equal_toIiEEiEE10hipError_tPvRmT2_T3_T4_T5_mT6_T7_P12ihipStream_tbENKUlT_T0_E_clISt17integral_constantIbLb1EESZ_EEDaSU_SV_EUlSU_E_NS1_11comp_targetILNS1_3genE0ELNS1_11target_archE4294967295ELNS1_3gpuE0ELNS1_3repE0EEENS1_30default_config_static_selectorELNS0_4arch9wavefront6targetE0EEEvT1_.num_named_barrier, 0
	.set _ZN7rocprim17ROCPRIM_400000_NS6detail17trampoline_kernelINS0_14default_configENS1_27scan_by_key_config_selectorIiiEEZZNS1_16scan_by_key_implILNS1_25lookback_scan_determinismE0ELb1ES3_N6thrust23THRUST_200600_302600_NS6detail15normal_iteratorINS9_10device_ptrIiEEEESE_SE_iNS9_10multipliesIiEENS9_8equal_toIiEEiEE10hipError_tPvRmT2_T3_T4_T5_mT6_T7_P12ihipStream_tbENKUlT_T0_E_clISt17integral_constantIbLb1EESZ_EEDaSU_SV_EUlSU_E_NS1_11comp_targetILNS1_3genE0ELNS1_11target_archE4294967295ELNS1_3gpuE0ELNS1_3repE0EEENS1_30default_config_static_selectorELNS0_4arch9wavefront6targetE0EEEvT1_.private_seg_size, 0
	.set _ZN7rocprim17ROCPRIM_400000_NS6detail17trampoline_kernelINS0_14default_configENS1_27scan_by_key_config_selectorIiiEEZZNS1_16scan_by_key_implILNS1_25lookback_scan_determinismE0ELb1ES3_N6thrust23THRUST_200600_302600_NS6detail15normal_iteratorINS9_10device_ptrIiEEEESE_SE_iNS9_10multipliesIiEENS9_8equal_toIiEEiEE10hipError_tPvRmT2_T3_T4_T5_mT6_T7_P12ihipStream_tbENKUlT_T0_E_clISt17integral_constantIbLb1EESZ_EEDaSU_SV_EUlSU_E_NS1_11comp_targetILNS1_3genE0ELNS1_11target_archE4294967295ELNS1_3gpuE0ELNS1_3repE0EEENS1_30default_config_static_selectorELNS0_4arch9wavefront6targetE0EEEvT1_.uses_vcc, 0
	.set _ZN7rocprim17ROCPRIM_400000_NS6detail17trampoline_kernelINS0_14default_configENS1_27scan_by_key_config_selectorIiiEEZZNS1_16scan_by_key_implILNS1_25lookback_scan_determinismE0ELb1ES3_N6thrust23THRUST_200600_302600_NS6detail15normal_iteratorINS9_10device_ptrIiEEEESE_SE_iNS9_10multipliesIiEENS9_8equal_toIiEEiEE10hipError_tPvRmT2_T3_T4_T5_mT6_T7_P12ihipStream_tbENKUlT_T0_E_clISt17integral_constantIbLb1EESZ_EEDaSU_SV_EUlSU_E_NS1_11comp_targetILNS1_3genE0ELNS1_11target_archE4294967295ELNS1_3gpuE0ELNS1_3repE0EEENS1_30default_config_static_selectorELNS0_4arch9wavefront6targetE0EEEvT1_.uses_flat_scratch, 0
	.set _ZN7rocprim17ROCPRIM_400000_NS6detail17trampoline_kernelINS0_14default_configENS1_27scan_by_key_config_selectorIiiEEZZNS1_16scan_by_key_implILNS1_25lookback_scan_determinismE0ELb1ES3_N6thrust23THRUST_200600_302600_NS6detail15normal_iteratorINS9_10device_ptrIiEEEESE_SE_iNS9_10multipliesIiEENS9_8equal_toIiEEiEE10hipError_tPvRmT2_T3_T4_T5_mT6_T7_P12ihipStream_tbENKUlT_T0_E_clISt17integral_constantIbLb1EESZ_EEDaSU_SV_EUlSU_E_NS1_11comp_targetILNS1_3genE0ELNS1_11target_archE4294967295ELNS1_3gpuE0ELNS1_3repE0EEENS1_30default_config_static_selectorELNS0_4arch9wavefront6targetE0EEEvT1_.has_dyn_sized_stack, 0
	.set _ZN7rocprim17ROCPRIM_400000_NS6detail17trampoline_kernelINS0_14default_configENS1_27scan_by_key_config_selectorIiiEEZZNS1_16scan_by_key_implILNS1_25lookback_scan_determinismE0ELb1ES3_N6thrust23THRUST_200600_302600_NS6detail15normal_iteratorINS9_10device_ptrIiEEEESE_SE_iNS9_10multipliesIiEENS9_8equal_toIiEEiEE10hipError_tPvRmT2_T3_T4_T5_mT6_T7_P12ihipStream_tbENKUlT_T0_E_clISt17integral_constantIbLb1EESZ_EEDaSU_SV_EUlSU_E_NS1_11comp_targetILNS1_3genE0ELNS1_11target_archE4294967295ELNS1_3gpuE0ELNS1_3repE0EEENS1_30default_config_static_selectorELNS0_4arch9wavefront6targetE0EEEvT1_.has_recursion, 0
	.set _ZN7rocprim17ROCPRIM_400000_NS6detail17trampoline_kernelINS0_14default_configENS1_27scan_by_key_config_selectorIiiEEZZNS1_16scan_by_key_implILNS1_25lookback_scan_determinismE0ELb1ES3_N6thrust23THRUST_200600_302600_NS6detail15normal_iteratorINS9_10device_ptrIiEEEESE_SE_iNS9_10multipliesIiEENS9_8equal_toIiEEiEE10hipError_tPvRmT2_T3_T4_T5_mT6_T7_P12ihipStream_tbENKUlT_T0_E_clISt17integral_constantIbLb1EESZ_EEDaSU_SV_EUlSU_E_NS1_11comp_targetILNS1_3genE0ELNS1_11target_archE4294967295ELNS1_3gpuE0ELNS1_3repE0EEENS1_30default_config_static_selectorELNS0_4arch9wavefront6targetE0EEEvT1_.has_indirect_call, 0
	.section	.AMDGPU.csdata,"",@progbits
; Kernel info:
; codeLenInByte = 0
; TotalNumSgprs: 0
; NumVgprs: 0
; ScratchSize: 0
; MemoryBound: 0
; FloatMode: 240
; IeeeMode: 1
; LDSByteSize: 0 bytes/workgroup (compile time only)
; SGPRBlocks: 0
; VGPRBlocks: 0
; NumSGPRsForWavesPerEU: 1
; NumVGPRsForWavesPerEU: 1
; Occupancy: 16
; WaveLimiterHint : 0
; COMPUTE_PGM_RSRC2:SCRATCH_EN: 0
; COMPUTE_PGM_RSRC2:USER_SGPR: 6
; COMPUTE_PGM_RSRC2:TRAP_HANDLER: 0
; COMPUTE_PGM_RSRC2:TGID_X_EN: 1
; COMPUTE_PGM_RSRC2:TGID_Y_EN: 0
; COMPUTE_PGM_RSRC2:TGID_Z_EN: 0
; COMPUTE_PGM_RSRC2:TIDIG_COMP_CNT: 0
	.section	.text._ZN7rocprim17ROCPRIM_400000_NS6detail17trampoline_kernelINS0_14default_configENS1_27scan_by_key_config_selectorIiiEEZZNS1_16scan_by_key_implILNS1_25lookback_scan_determinismE0ELb1ES3_N6thrust23THRUST_200600_302600_NS6detail15normal_iteratorINS9_10device_ptrIiEEEESE_SE_iNS9_10multipliesIiEENS9_8equal_toIiEEiEE10hipError_tPvRmT2_T3_T4_T5_mT6_T7_P12ihipStream_tbENKUlT_T0_E_clISt17integral_constantIbLb1EESZ_EEDaSU_SV_EUlSU_E_NS1_11comp_targetILNS1_3genE10ELNS1_11target_archE1201ELNS1_3gpuE5ELNS1_3repE0EEENS1_30default_config_static_selectorELNS0_4arch9wavefront6targetE0EEEvT1_,"axG",@progbits,_ZN7rocprim17ROCPRIM_400000_NS6detail17trampoline_kernelINS0_14default_configENS1_27scan_by_key_config_selectorIiiEEZZNS1_16scan_by_key_implILNS1_25lookback_scan_determinismE0ELb1ES3_N6thrust23THRUST_200600_302600_NS6detail15normal_iteratorINS9_10device_ptrIiEEEESE_SE_iNS9_10multipliesIiEENS9_8equal_toIiEEiEE10hipError_tPvRmT2_T3_T4_T5_mT6_T7_P12ihipStream_tbENKUlT_T0_E_clISt17integral_constantIbLb1EESZ_EEDaSU_SV_EUlSU_E_NS1_11comp_targetILNS1_3genE10ELNS1_11target_archE1201ELNS1_3gpuE5ELNS1_3repE0EEENS1_30default_config_static_selectorELNS0_4arch9wavefront6targetE0EEEvT1_,comdat
	.protected	_ZN7rocprim17ROCPRIM_400000_NS6detail17trampoline_kernelINS0_14default_configENS1_27scan_by_key_config_selectorIiiEEZZNS1_16scan_by_key_implILNS1_25lookback_scan_determinismE0ELb1ES3_N6thrust23THRUST_200600_302600_NS6detail15normal_iteratorINS9_10device_ptrIiEEEESE_SE_iNS9_10multipliesIiEENS9_8equal_toIiEEiEE10hipError_tPvRmT2_T3_T4_T5_mT6_T7_P12ihipStream_tbENKUlT_T0_E_clISt17integral_constantIbLb1EESZ_EEDaSU_SV_EUlSU_E_NS1_11comp_targetILNS1_3genE10ELNS1_11target_archE1201ELNS1_3gpuE5ELNS1_3repE0EEENS1_30default_config_static_selectorELNS0_4arch9wavefront6targetE0EEEvT1_ ; -- Begin function _ZN7rocprim17ROCPRIM_400000_NS6detail17trampoline_kernelINS0_14default_configENS1_27scan_by_key_config_selectorIiiEEZZNS1_16scan_by_key_implILNS1_25lookback_scan_determinismE0ELb1ES3_N6thrust23THRUST_200600_302600_NS6detail15normal_iteratorINS9_10device_ptrIiEEEESE_SE_iNS9_10multipliesIiEENS9_8equal_toIiEEiEE10hipError_tPvRmT2_T3_T4_T5_mT6_T7_P12ihipStream_tbENKUlT_T0_E_clISt17integral_constantIbLb1EESZ_EEDaSU_SV_EUlSU_E_NS1_11comp_targetILNS1_3genE10ELNS1_11target_archE1201ELNS1_3gpuE5ELNS1_3repE0EEENS1_30default_config_static_selectorELNS0_4arch9wavefront6targetE0EEEvT1_
	.globl	_ZN7rocprim17ROCPRIM_400000_NS6detail17trampoline_kernelINS0_14default_configENS1_27scan_by_key_config_selectorIiiEEZZNS1_16scan_by_key_implILNS1_25lookback_scan_determinismE0ELb1ES3_N6thrust23THRUST_200600_302600_NS6detail15normal_iteratorINS9_10device_ptrIiEEEESE_SE_iNS9_10multipliesIiEENS9_8equal_toIiEEiEE10hipError_tPvRmT2_T3_T4_T5_mT6_T7_P12ihipStream_tbENKUlT_T0_E_clISt17integral_constantIbLb1EESZ_EEDaSU_SV_EUlSU_E_NS1_11comp_targetILNS1_3genE10ELNS1_11target_archE1201ELNS1_3gpuE5ELNS1_3repE0EEENS1_30default_config_static_selectorELNS0_4arch9wavefront6targetE0EEEvT1_
	.p2align	8
	.type	_ZN7rocprim17ROCPRIM_400000_NS6detail17trampoline_kernelINS0_14default_configENS1_27scan_by_key_config_selectorIiiEEZZNS1_16scan_by_key_implILNS1_25lookback_scan_determinismE0ELb1ES3_N6thrust23THRUST_200600_302600_NS6detail15normal_iteratorINS9_10device_ptrIiEEEESE_SE_iNS9_10multipliesIiEENS9_8equal_toIiEEiEE10hipError_tPvRmT2_T3_T4_T5_mT6_T7_P12ihipStream_tbENKUlT_T0_E_clISt17integral_constantIbLb1EESZ_EEDaSU_SV_EUlSU_E_NS1_11comp_targetILNS1_3genE10ELNS1_11target_archE1201ELNS1_3gpuE5ELNS1_3repE0EEENS1_30default_config_static_selectorELNS0_4arch9wavefront6targetE0EEEvT1_,@function
_ZN7rocprim17ROCPRIM_400000_NS6detail17trampoline_kernelINS0_14default_configENS1_27scan_by_key_config_selectorIiiEEZZNS1_16scan_by_key_implILNS1_25lookback_scan_determinismE0ELb1ES3_N6thrust23THRUST_200600_302600_NS6detail15normal_iteratorINS9_10device_ptrIiEEEESE_SE_iNS9_10multipliesIiEENS9_8equal_toIiEEiEE10hipError_tPvRmT2_T3_T4_T5_mT6_T7_P12ihipStream_tbENKUlT_T0_E_clISt17integral_constantIbLb1EESZ_EEDaSU_SV_EUlSU_E_NS1_11comp_targetILNS1_3genE10ELNS1_11target_archE1201ELNS1_3gpuE5ELNS1_3repE0EEENS1_30default_config_static_selectorELNS0_4arch9wavefront6targetE0EEEvT1_: ; @_ZN7rocprim17ROCPRIM_400000_NS6detail17trampoline_kernelINS0_14default_configENS1_27scan_by_key_config_selectorIiiEEZZNS1_16scan_by_key_implILNS1_25lookback_scan_determinismE0ELb1ES3_N6thrust23THRUST_200600_302600_NS6detail15normal_iteratorINS9_10device_ptrIiEEEESE_SE_iNS9_10multipliesIiEENS9_8equal_toIiEEiEE10hipError_tPvRmT2_T3_T4_T5_mT6_T7_P12ihipStream_tbENKUlT_T0_E_clISt17integral_constantIbLb1EESZ_EEDaSU_SV_EUlSU_E_NS1_11comp_targetILNS1_3genE10ELNS1_11target_archE1201ELNS1_3gpuE5ELNS1_3repE0EEENS1_30default_config_static_selectorELNS0_4arch9wavefront6targetE0EEEvT1_
; %bb.0:
	.section	.rodata,"a",@progbits
	.p2align	6, 0x0
	.amdhsa_kernel _ZN7rocprim17ROCPRIM_400000_NS6detail17trampoline_kernelINS0_14default_configENS1_27scan_by_key_config_selectorIiiEEZZNS1_16scan_by_key_implILNS1_25lookback_scan_determinismE0ELb1ES3_N6thrust23THRUST_200600_302600_NS6detail15normal_iteratorINS9_10device_ptrIiEEEESE_SE_iNS9_10multipliesIiEENS9_8equal_toIiEEiEE10hipError_tPvRmT2_T3_T4_T5_mT6_T7_P12ihipStream_tbENKUlT_T0_E_clISt17integral_constantIbLb1EESZ_EEDaSU_SV_EUlSU_E_NS1_11comp_targetILNS1_3genE10ELNS1_11target_archE1201ELNS1_3gpuE5ELNS1_3repE0EEENS1_30default_config_static_selectorELNS0_4arch9wavefront6targetE0EEEvT1_
		.amdhsa_group_segment_fixed_size 0
		.amdhsa_private_segment_fixed_size 0
		.amdhsa_kernarg_size 112
		.amdhsa_user_sgpr_count 6
		.amdhsa_user_sgpr_private_segment_buffer 1
		.amdhsa_user_sgpr_dispatch_ptr 0
		.amdhsa_user_sgpr_queue_ptr 0
		.amdhsa_user_sgpr_kernarg_segment_ptr 1
		.amdhsa_user_sgpr_dispatch_id 0
		.amdhsa_user_sgpr_flat_scratch_init 0
		.amdhsa_user_sgpr_private_segment_size 0
		.amdhsa_wavefront_size32 1
		.amdhsa_uses_dynamic_stack 0
		.amdhsa_system_sgpr_private_segment_wavefront_offset 0
		.amdhsa_system_sgpr_workgroup_id_x 1
		.amdhsa_system_sgpr_workgroup_id_y 0
		.amdhsa_system_sgpr_workgroup_id_z 0
		.amdhsa_system_sgpr_workgroup_info 0
		.amdhsa_system_vgpr_workitem_id 0
		.amdhsa_next_free_vgpr 1
		.amdhsa_next_free_sgpr 1
		.amdhsa_reserve_vcc 0
		.amdhsa_reserve_flat_scratch 0
		.amdhsa_float_round_mode_32 0
		.amdhsa_float_round_mode_16_64 0
		.amdhsa_float_denorm_mode_32 3
		.amdhsa_float_denorm_mode_16_64 3
		.amdhsa_dx10_clamp 1
		.amdhsa_ieee_mode 1
		.amdhsa_fp16_overflow 0
		.amdhsa_workgroup_processor_mode 1
		.amdhsa_memory_ordered 1
		.amdhsa_forward_progress 1
		.amdhsa_shared_vgpr_count 0
		.amdhsa_exception_fp_ieee_invalid_op 0
		.amdhsa_exception_fp_denorm_src 0
		.amdhsa_exception_fp_ieee_div_zero 0
		.amdhsa_exception_fp_ieee_overflow 0
		.amdhsa_exception_fp_ieee_underflow 0
		.amdhsa_exception_fp_ieee_inexact 0
		.amdhsa_exception_int_div_zero 0
	.end_amdhsa_kernel
	.section	.text._ZN7rocprim17ROCPRIM_400000_NS6detail17trampoline_kernelINS0_14default_configENS1_27scan_by_key_config_selectorIiiEEZZNS1_16scan_by_key_implILNS1_25lookback_scan_determinismE0ELb1ES3_N6thrust23THRUST_200600_302600_NS6detail15normal_iteratorINS9_10device_ptrIiEEEESE_SE_iNS9_10multipliesIiEENS9_8equal_toIiEEiEE10hipError_tPvRmT2_T3_T4_T5_mT6_T7_P12ihipStream_tbENKUlT_T0_E_clISt17integral_constantIbLb1EESZ_EEDaSU_SV_EUlSU_E_NS1_11comp_targetILNS1_3genE10ELNS1_11target_archE1201ELNS1_3gpuE5ELNS1_3repE0EEENS1_30default_config_static_selectorELNS0_4arch9wavefront6targetE0EEEvT1_,"axG",@progbits,_ZN7rocprim17ROCPRIM_400000_NS6detail17trampoline_kernelINS0_14default_configENS1_27scan_by_key_config_selectorIiiEEZZNS1_16scan_by_key_implILNS1_25lookback_scan_determinismE0ELb1ES3_N6thrust23THRUST_200600_302600_NS6detail15normal_iteratorINS9_10device_ptrIiEEEESE_SE_iNS9_10multipliesIiEENS9_8equal_toIiEEiEE10hipError_tPvRmT2_T3_T4_T5_mT6_T7_P12ihipStream_tbENKUlT_T0_E_clISt17integral_constantIbLb1EESZ_EEDaSU_SV_EUlSU_E_NS1_11comp_targetILNS1_3genE10ELNS1_11target_archE1201ELNS1_3gpuE5ELNS1_3repE0EEENS1_30default_config_static_selectorELNS0_4arch9wavefront6targetE0EEEvT1_,comdat
.Lfunc_end507:
	.size	_ZN7rocprim17ROCPRIM_400000_NS6detail17trampoline_kernelINS0_14default_configENS1_27scan_by_key_config_selectorIiiEEZZNS1_16scan_by_key_implILNS1_25lookback_scan_determinismE0ELb1ES3_N6thrust23THRUST_200600_302600_NS6detail15normal_iteratorINS9_10device_ptrIiEEEESE_SE_iNS9_10multipliesIiEENS9_8equal_toIiEEiEE10hipError_tPvRmT2_T3_T4_T5_mT6_T7_P12ihipStream_tbENKUlT_T0_E_clISt17integral_constantIbLb1EESZ_EEDaSU_SV_EUlSU_E_NS1_11comp_targetILNS1_3genE10ELNS1_11target_archE1201ELNS1_3gpuE5ELNS1_3repE0EEENS1_30default_config_static_selectorELNS0_4arch9wavefront6targetE0EEEvT1_, .Lfunc_end507-_ZN7rocprim17ROCPRIM_400000_NS6detail17trampoline_kernelINS0_14default_configENS1_27scan_by_key_config_selectorIiiEEZZNS1_16scan_by_key_implILNS1_25lookback_scan_determinismE0ELb1ES3_N6thrust23THRUST_200600_302600_NS6detail15normal_iteratorINS9_10device_ptrIiEEEESE_SE_iNS9_10multipliesIiEENS9_8equal_toIiEEiEE10hipError_tPvRmT2_T3_T4_T5_mT6_T7_P12ihipStream_tbENKUlT_T0_E_clISt17integral_constantIbLb1EESZ_EEDaSU_SV_EUlSU_E_NS1_11comp_targetILNS1_3genE10ELNS1_11target_archE1201ELNS1_3gpuE5ELNS1_3repE0EEENS1_30default_config_static_selectorELNS0_4arch9wavefront6targetE0EEEvT1_
                                        ; -- End function
	.set _ZN7rocprim17ROCPRIM_400000_NS6detail17trampoline_kernelINS0_14default_configENS1_27scan_by_key_config_selectorIiiEEZZNS1_16scan_by_key_implILNS1_25lookback_scan_determinismE0ELb1ES3_N6thrust23THRUST_200600_302600_NS6detail15normal_iteratorINS9_10device_ptrIiEEEESE_SE_iNS9_10multipliesIiEENS9_8equal_toIiEEiEE10hipError_tPvRmT2_T3_T4_T5_mT6_T7_P12ihipStream_tbENKUlT_T0_E_clISt17integral_constantIbLb1EESZ_EEDaSU_SV_EUlSU_E_NS1_11comp_targetILNS1_3genE10ELNS1_11target_archE1201ELNS1_3gpuE5ELNS1_3repE0EEENS1_30default_config_static_selectorELNS0_4arch9wavefront6targetE0EEEvT1_.num_vgpr, 0
	.set _ZN7rocprim17ROCPRIM_400000_NS6detail17trampoline_kernelINS0_14default_configENS1_27scan_by_key_config_selectorIiiEEZZNS1_16scan_by_key_implILNS1_25lookback_scan_determinismE0ELb1ES3_N6thrust23THRUST_200600_302600_NS6detail15normal_iteratorINS9_10device_ptrIiEEEESE_SE_iNS9_10multipliesIiEENS9_8equal_toIiEEiEE10hipError_tPvRmT2_T3_T4_T5_mT6_T7_P12ihipStream_tbENKUlT_T0_E_clISt17integral_constantIbLb1EESZ_EEDaSU_SV_EUlSU_E_NS1_11comp_targetILNS1_3genE10ELNS1_11target_archE1201ELNS1_3gpuE5ELNS1_3repE0EEENS1_30default_config_static_selectorELNS0_4arch9wavefront6targetE0EEEvT1_.num_agpr, 0
	.set _ZN7rocprim17ROCPRIM_400000_NS6detail17trampoline_kernelINS0_14default_configENS1_27scan_by_key_config_selectorIiiEEZZNS1_16scan_by_key_implILNS1_25lookback_scan_determinismE0ELb1ES3_N6thrust23THRUST_200600_302600_NS6detail15normal_iteratorINS9_10device_ptrIiEEEESE_SE_iNS9_10multipliesIiEENS9_8equal_toIiEEiEE10hipError_tPvRmT2_T3_T4_T5_mT6_T7_P12ihipStream_tbENKUlT_T0_E_clISt17integral_constantIbLb1EESZ_EEDaSU_SV_EUlSU_E_NS1_11comp_targetILNS1_3genE10ELNS1_11target_archE1201ELNS1_3gpuE5ELNS1_3repE0EEENS1_30default_config_static_selectorELNS0_4arch9wavefront6targetE0EEEvT1_.numbered_sgpr, 0
	.set _ZN7rocprim17ROCPRIM_400000_NS6detail17trampoline_kernelINS0_14default_configENS1_27scan_by_key_config_selectorIiiEEZZNS1_16scan_by_key_implILNS1_25lookback_scan_determinismE0ELb1ES3_N6thrust23THRUST_200600_302600_NS6detail15normal_iteratorINS9_10device_ptrIiEEEESE_SE_iNS9_10multipliesIiEENS9_8equal_toIiEEiEE10hipError_tPvRmT2_T3_T4_T5_mT6_T7_P12ihipStream_tbENKUlT_T0_E_clISt17integral_constantIbLb1EESZ_EEDaSU_SV_EUlSU_E_NS1_11comp_targetILNS1_3genE10ELNS1_11target_archE1201ELNS1_3gpuE5ELNS1_3repE0EEENS1_30default_config_static_selectorELNS0_4arch9wavefront6targetE0EEEvT1_.num_named_barrier, 0
	.set _ZN7rocprim17ROCPRIM_400000_NS6detail17trampoline_kernelINS0_14default_configENS1_27scan_by_key_config_selectorIiiEEZZNS1_16scan_by_key_implILNS1_25lookback_scan_determinismE0ELb1ES3_N6thrust23THRUST_200600_302600_NS6detail15normal_iteratorINS9_10device_ptrIiEEEESE_SE_iNS9_10multipliesIiEENS9_8equal_toIiEEiEE10hipError_tPvRmT2_T3_T4_T5_mT6_T7_P12ihipStream_tbENKUlT_T0_E_clISt17integral_constantIbLb1EESZ_EEDaSU_SV_EUlSU_E_NS1_11comp_targetILNS1_3genE10ELNS1_11target_archE1201ELNS1_3gpuE5ELNS1_3repE0EEENS1_30default_config_static_selectorELNS0_4arch9wavefront6targetE0EEEvT1_.private_seg_size, 0
	.set _ZN7rocprim17ROCPRIM_400000_NS6detail17trampoline_kernelINS0_14default_configENS1_27scan_by_key_config_selectorIiiEEZZNS1_16scan_by_key_implILNS1_25lookback_scan_determinismE0ELb1ES3_N6thrust23THRUST_200600_302600_NS6detail15normal_iteratorINS9_10device_ptrIiEEEESE_SE_iNS9_10multipliesIiEENS9_8equal_toIiEEiEE10hipError_tPvRmT2_T3_T4_T5_mT6_T7_P12ihipStream_tbENKUlT_T0_E_clISt17integral_constantIbLb1EESZ_EEDaSU_SV_EUlSU_E_NS1_11comp_targetILNS1_3genE10ELNS1_11target_archE1201ELNS1_3gpuE5ELNS1_3repE0EEENS1_30default_config_static_selectorELNS0_4arch9wavefront6targetE0EEEvT1_.uses_vcc, 0
	.set _ZN7rocprim17ROCPRIM_400000_NS6detail17trampoline_kernelINS0_14default_configENS1_27scan_by_key_config_selectorIiiEEZZNS1_16scan_by_key_implILNS1_25lookback_scan_determinismE0ELb1ES3_N6thrust23THRUST_200600_302600_NS6detail15normal_iteratorINS9_10device_ptrIiEEEESE_SE_iNS9_10multipliesIiEENS9_8equal_toIiEEiEE10hipError_tPvRmT2_T3_T4_T5_mT6_T7_P12ihipStream_tbENKUlT_T0_E_clISt17integral_constantIbLb1EESZ_EEDaSU_SV_EUlSU_E_NS1_11comp_targetILNS1_3genE10ELNS1_11target_archE1201ELNS1_3gpuE5ELNS1_3repE0EEENS1_30default_config_static_selectorELNS0_4arch9wavefront6targetE0EEEvT1_.uses_flat_scratch, 0
	.set _ZN7rocprim17ROCPRIM_400000_NS6detail17trampoline_kernelINS0_14default_configENS1_27scan_by_key_config_selectorIiiEEZZNS1_16scan_by_key_implILNS1_25lookback_scan_determinismE0ELb1ES3_N6thrust23THRUST_200600_302600_NS6detail15normal_iteratorINS9_10device_ptrIiEEEESE_SE_iNS9_10multipliesIiEENS9_8equal_toIiEEiEE10hipError_tPvRmT2_T3_T4_T5_mT6_T7_P12ihipStream_tbENKUlT_T0_E_clISt17integral_constantIbLb1EESZ_EEDaSU_SV_EUlSU_E_NS1_11comp_targetILNS1_3genE10ELNS1_11target_archE1201ELNS1_3gpuE5ELNS1_3repE0EEENS1_30default_config_static_selectorELNS0_4arch9wavefront6targetE0EEEvT1_.has_dyn_sized_stack, 0
	.set _ZN7rocprim17ROCPRIM_400000_NS6detail17trampoline_kernelINS0_14default_configENS1_27scan_by_key_config_selectorIiiEEZZNS1_16scan_by_key_implILNS1_25lookback_scan_determinismE0ELb1ES3_N6thrust23THRUST_200600_302600_NS6detail15normal_iteratorINS9_10device_ptrIiEEEESE_SE_iNS9_10multipliesIiEENS9_8equal_toIiEEiEE10hipError_tPvRmT2_T3_T4_T5_mT6_T7_P12ihipStream_tbENKUlT_T0_E_clISt17integral_constantIbLb1EESZ_EEDaSU_SV_EUlSU_E_NS1_11comp_targetILNS1_3genE10ELNS1_11target_archE1201ELNS1_3gpuE5ELNS1_3repE0EEENS1_30default_config_static_selectorELNS0_4arch9wavefront6targetE0EEEvT1_.has_recursion, 0
	.set _ZN7rocprim17ROCPRIM_400000_NS6detail17trampoline_kernelINS0_14default_configENS1_27scan_by_key_config_selectorIiiEEZZNS1_16scan_by_key_implILNS1_25lookback_scan_determinismE0ELb1ES3_N6thrust23THRUST_200600_302600_NS6detail15normal_iteratorINS9_10device_ptrIiEEEESE_SE_iNS9_10multipliesIiEENS9_8equal_toIiEEiEE10hipError_tPvRmT2_T3_T4_T5_mT6_T7_P12ihipStream_tbENKUlT_T0_E_clISt17integral_constantIbLb1EESZ_EEDaSU_SV_EUlSU_E_NS1_11comp_targetILNS1_3genE10ELNS1_11target_archE1201ELNS1_3gpuE5ELNS1_3repE0EEENS1_30default_config_static_selectorELNS0_4arch9wavefront6targetE0EEEvT1_.has_indirect_call, 0
	.section	.AMDGPU.csdata,"",@progbits
; Kernel info:
; codeLenInByte = 0
; TotalNumSgprs: 0
; NumVgprs: 0
; ScratchSize: 0
; MemoryBound: 0
; FloatMode: 240
; IeeeMode: 1
; LDSByteSize: 0 bytes/workgroup (compile time only)
; SGPRBlocks: 0
; VGPRBlocks: 0
; NumSGPRsForWavesPerEU: 1
; NumVGPRsForWavesPerEU: 1
; Occupancy: 16
; WaveLimiterHint : 0
; COMPUTE_PGM_RSRC2:SCRATCH_EN: 0
; COMPUTE_PGM_RSRC2:USER_SGPR: 6
; COMPUTE_PGM_RSRC2:TRAP_HANDLER: 0
; COMPUTE_PGM_RSRC2:TGID_X_EN: 1
; COMPUTE_PGM_RSRC2:TGID_Y_EN: 0
; COMPUTE_PGM_RSRC2:TGID_Z_EN: 0
; COMPUTE_PGM_RSRC2:TIDIG_COMP_CNT: 0
	.section	.text._ZN7rocprim17ROCPRIM_400000_NS6detail17trampoline_kernelINS0_14default_configENS1_27scan_by_key_config_selectorIiiEEZZNS1_16scan_by_key_implILNS1_25lookback_scan_determinismE0ELb1ES3_N6thrust23THRUST_200600_302600_NS6detail15normal_iteratorINS9_10device_ptrIiEEEESE_SE_iNS9_10multipliesIiEENS9_8equal_toIiEEiEE10hipError_tPvRmT2_T3_T4_T5_mT6_T7_P12ihipStream_tbENKUlT_T0_E_clISt17integral_constantIbLb1EESZ_EEDaSU_SV_EUlSU_E_NS1_11comp_targetILNS1_3genE5ELNS1_11target_archE942ELNS1_3gpuE9ELNS1_3repE0EEENS1_30default_config_static_selectorELNS0_4arch9wavefront6targetE0EEEvT1_,"axG",@progbits,_ZN7rocprim17ROCPRIM_400000_NS6detail17trampoline_kernelINS0_14default_configENS1_27scan_by_key_config_selectorIiiEEZZNS1_16scan_by_key_implILNS1_25lookback_scan_determinismE0ELb1ES3_N6thrust23THRUST_200600_302600_NS6detail15normal_iteratorINS9_10device_ptrIiEEEESE_SE_iNS9_10multipliesIiEENS9_8equal_toIiEEiEE10hipError_tPvRmT2_T3_T4_T5_mT6_T7_P12ihipStream_tbENKUlT_T0_E_clISt17integral_constantIbLb1EESZ_EEDaSU_SV_EUlSU_E_NS1_11comp_targetILNS1_3genE5ELNS1_11target_archE942ELNS1_3gpuE9ELNS1_3repE0EEENS1_30default_config_static_selectorELNS0_4arch9wavefront6targetE0EEEvT1_,comdat
	.protected	_ZN7rocprim17ROCPRIM_400000_NS6detail17trampoline_kernelINS0_14default_configENS1_27scan_by_key_config_selectorIiiEEZZNS1_16scan_by_key_implILNS1_25lookback_scan_determinismE0ELb1ES3_N6thrust23THRUST_200600_302600_NS6detail15normal_iteratorINS9_10device_ptrIiEEEESE_SE_iNS9_10multipliesIiEENS9_8equal_toIiEEiEE10hipError_tPvRmT2_T3_T4_T5_mT6_T7_P12ihipStream_tbENKUlT_T0_E_clISt17integral_constantIbLb1EESZ_EEDaSU_SV_EUlSU_E_NS1_11comp_targetILNS1_3genE5ELNS1_11target_archE942ELNS1_3gpuE9ELNS1_3repE0EEENS1_30default_config_static_selectorELNS0_4arch9wavefront6targetE0EEEvT1_ ; -- Begin function _ZN7rocprim17ROCPRIM_400000_NS6detail17trampoline_kernelINS0_14default_configENS1_27scan_by_key_config_selectorIiiEEZZNS1_16scan_by_key_implILNS1_25lookback_scan_determinismE0ELb1ES3_N6thrust23THRUST_200600_302600_NS6detail15normal_iteratorINS9_10device_ptrIiEEEESE_SE_iNS9_10multipliesIiEENS9_8equal_toIiEEiEE10hipError_tPvRmT2_T3_T4_T5_mT6_T7_P12ihipStream_tbENKUlT_T0_E_clISt17integral_constantIbLb1EESZ_EEDaSU_SV_EUlSU_E_NS1_11comp_targetILNS1_3genE5ELNS1_11target_archE942ELNS1_3gpuE9ELNS1_3repE0EEENS1_30default_config_static_selectorELNS0_4arch9wavefront6targetE0EEEvT1_
	.globl	_ZN7rocprim17ROCPRIM_400000_NS6detail17trampoline_kernelINS0_14default_configENS1_27scan_by_key_config_selectorIiiEEZZNS1_16scan_by_key_implILNS1_25lookback_scan_determinismE0ELb1ES3_N6thrust23THRUST_200600_302600_NS6detail15normal_iteratorINS9_10device_ptrIiEEEESE_SE_iNS9_10multipliesIiEENS9_8equal_toIiEEiEE10hipError_tPvRmT2_T3_T4_T5_mT6_T7_P12ihipStream_tbENKUlT_T0_E_clISt17integral_constantIbLb1EESZ_EEDaSU_SV_EUlSU_E_NS1_11comp_targetILNS1_3genE5ELNS1_11target_archE942ELNS1_3gpuE9ELNS1_3repE0EEENS1_30default_config_static_selectorELNS0_4arch9wavefront6targetE0EEEvT1_
	.p2align	8
	.type	_ZN7rocprim17ROCPRIM_400000_NS6detail17trampoline_kernelINS0_14default_configENS1_27scan_by_key_config_selectorIiiEEZZNS1_16scan_by_key_implILNS1_25lookback_scan_determinismE0ELb1ES3_N6thrust23THRUST_200600_302600_NS6detail15normal_iteratorINS9_10device_ptrIiEEEESE_SE_iNS9_10multipliesIiEENS9_8equal_toIiEEiEE10hipError_tPvRmT2_T3_T4_T5_mT6_T7_P12ihipStream_tbENKUlT_T0_E_clISt17integral_constantIbLb1EESZ_EEDaSU_SV_EUlSU_E_NS1_11comp_targetILNS1_3genE5ELNS1_11target_archE942ELNS1_3gpuE9ELNS1_3repE0EEENS1_30default_config_static_selectorELNS0_4arch9wavefront6targetE0EEEvT1_,@function
_ZN7rocprim17ROCPRIM_400000_NS6detail17trampoline_kernelINS0_14default_configENS1_27scan_by_key_config_selectorIiiEEZZNS1_16scan_by_key_implILNS1_25lookback_scan_determinismE0ELb1ES3_N6thrust23THRUST_200600_302600_NS6detail15normal_iteratorINS9_10device_ptrIiEEEESE_SE_iNS9_10multipliesIiEENS9_8equal_toIiEEiEE10hipError_tPvRmT2_T3_T4_T5_mT6_T7_P12ihipStream_tbENKUlT_T0_E_clISt17integral_constantIbLb1EESZ_EEDaSU_SV_EUlSU_E_NS1_11comp_targetILNS1_3genE5ELNS1_11target_archE942ELNS1_3gpuE9ELNS1_3repE0EEENS1_30default_config_static_selectorELNS0_4arch9wavefront6targetE0EEEvT1_: ; @_ZN7rocprim17ROCPRIM_400000_NS6detail17trampoline_kernelINS0_14default_configENS1_27scan_by_key_config_selectorIiiEEZZNS1_16scan_by_key_implILNS1_25lookback_scan_determinismE0ELb1ES3_N6thrust23THRUST_200600_302600_NS6detail15normal_iteratorINS9_10device_ptrIiEEEESE_SE_iNS9_10multipliesIiEENS9_8equal_toIiEEiEE10hipError_tPvRmT2_T3_T4_T5_mT6_T7_P12ihipStream_tbENKUlT_T0_E_clISt17integral_constantIbLb1EESZ_EEDaSU_SV_EUlSU_E_NS1_11comp_targetILNS1_3genE5ELNS1_11target_archE942ELNS1_3gpuE9ELNS1_3repE0EEENS1_30default_config_static_selectorELNS0_4arch9wavefront6targetE0EEEvT1_
; %bb.0:
	.section	.rodata,"a",@progbits
	.p2align	6, 0x0
	.amdhsa_kernel _ZN7rocprim17ROCPRIM_400000_NS6detail17trampoline_kernelINS0_14default_configENS1_27scan_by_key_config_selectorIiiEEZZNS1_16scan_by_key_implILNS1_25lookback_scan_determinismE0ELb1ES3_N6thrust23THRUST_200600_302600_NS6detail15normal_iteratorINS9_10device_ptrIiEEEESE_SE_iNS9_10multipliesIiEENS9_8equal_toIiEEiEE10hipError_tPvRmT2_T3_T4_T5_mT6_T7_P12ihipStream_tbENKUlT_T0_E_clISt17integral_constantIbLb1EESZ_EEDaSU_SV_EUlSU_E_NS1_11comp_targetILNS1_3genE5ELNS1_11target_archE942ELNS1_3gpuE9ELNS1_3repE0EEENS1_30default_config_static_selectorELNS0_4arch9wavefront6targetE0EEEvT1_
		.amdhsa_group_segment_fixed_size 0
		.amdhsa_private_segment_fixed_size 0
		.amdhsa_kernarg_size 112
		.amdhsa_user_sgpr_count 6
		.amdhsa_user_sgpr_private_segment_buffer 1
		.amdhsa_user_sgpr_dispatch_ptr 0
		.amdhsa_user_sgpr_queue_ptr 0
		.amdhsa_user_sgpr_kernarg_segment_ptr 1
		.amdhsa_user_sgpr_dispatch_id 0
		.amdhsa_user_sgpr_flat_scratch_init 0
		.amdhsa_user_sgpr_private_segment_size 0
		.amdhsa_wavefront_size32 1
		.amdhsa_uses_dynamic_stack 0
		.amdhsa_system_sgpr_private_segment_wavefront_offset 0
		.amdhsa_system_sgpr_workgroup_id_x 1
		.amdhsa_system_sgpr_workgroup_id_y 0
		.amdhsa_system_sgpr_workgroup_id_z 0
		.amdhsa_system_sgpr_workgroup_info 0
		.amdhsa_system_vgpr_workitem_id 0
		.amdhsa_next_free_vgpr 1
		.amdhsa_next_free_sgpr 1
		.amdhsa_reserve_vcc 0
		.amdhsa_reserve_flat_scratch 0
		.amdhsa_float_round_mode_32 0
		.amdhsa_float_round_mode_16_64 0
		.amdhsa_float_denorm_mode_32 3
		.amdhsa_float_denorm_mode_16_64 3
		.amdhsa_dx10_clamp 1
		.amdhsa_ieee_mode 1
		.amdhsa_fp16_overflow 0
		.amdhsa_workgroup_processor_mode 1
		.amdhsa_memory_ordered 1
		.amdhsa_forward_progress 1
		.amdhsa_shared_vgpr_count 0
		.amdhsa_exception_fp_ieee_invalid_op 0
		.amdhsa_exception_fp_denorm_src 0
		.amdhsa_exception_fp_ieee_div_zero 0
		.amdhsa_exception_fp_ieee_overflow 0
		.amdhsa_exception_fp_ieee_underflow 0
		.amdhsa_exception_fp_ieee_inexact 0
		.amdhsa_exception_int_div_zero 0
	.end_amdhsa_kernel
	.section	.text._ZN7rocprim17ROCPRIM_400000_NS6detail17trampoline_kernelINS0_14default_configENS1_27scan_by_key_config_selectorIiiEEZZNS1_16scan_by_key_implILNS1_25lookback_scan_determinismE0ELb1ES3_N6thrust23THRUST_200600_302600_NS6detail15normal_iteratorINS9_10device_ptrIiEEEESE_SE_iNS9_10multipliesIiEENS9_8equal_toIiEEiEE10hipError_tPvRmT2_T3_T4_T5_mT6_T7_P12ihipStream_tbENKUlT_T0_E_clISt17integral_constantIbLb1EESZ_EEDaSU_SV_EUlSU_E_NS1_11comp_targetILNS1_3genE5ELNS1_11target_archE942ELNS1_3gpuE9ELNS1_3repE0EEENS1_30default_config_static_selectorELNS0_4arch9wavefront6targetE0EEEvT1_,"axG",@progbits,_ZN7rocprim17ROCPRIM_400000_NS6detail17trampoline_kernelINS0_14default_configENS1_27scan_by_key_config_selectorIiiEEZZNS1_16scan_by_key_implILNS1_25lookback_scan_determinismE0ELb1ES3_N6thrust23THRUST_200600_302600_NS6detail15normal_iteratorINS9_10device_ptrIiEEEESE_SE_iNS9_10multipliesIiEENS9_8equal_toIiEEiEE10hipError_tPvRmT2_T3_T4_T5_mT6_T7_P12ihipStream_tbENKUlT_T0_E_clISt17integral_constantIbLb1EESZ_EEDaSU_SV_EUlSU_E_NS1_11comp_targetILNS1_3genE5ELNS1_11target_archE942ELNS1_3gpuE9ELNS1_3repE0EEENS1_30default_config_static_selectorELNS0_4arch9wavefront6targetE0EEEvT1_,comdat
.Lfunc_end508:
	.size	_ZN7rocprim17ROCPRIM_400000_NS6detail17trampoline_kernelINS0_14default_configENS1_27scan_by_key_config_selectorIiiEEZZNS1_16scan_by_key_implILNS1_25lookback_scan_determinismE0ELb1ES3_N6thrust23THRUST_200600_302600_NS6detail15normal_iteratorINS9_10device_ptrIiEEEESE_SE_iNS9_10multipliesIiEENS9_8equal_toIiEEiEE10hipError_tPvRmT2_T3_T4_T5_mT6_T7_P12ihipStream_tbENKUlT_T0_E_clISt17integral_constantIbLb1EESZ_EEDaSU_SV_EUlSU_E_NS1_11comp_targetILNS1_3genE5ELNS1_11target_archE942ELNS1_3gpuE9ELNS1_3repE0EEENS1_30default_config_static_selectorELNS0_4arch9wavefront6targetE0EEEvT1_, .Lfunc_end508-_ZN7rocprim17ROCPRIM_400000_NS6detail17trampoline_kernelINS0_14default_configENS1_27scan_by_key_config_selectorIiiEEZZNS1_16scan_by_key_implILNS1_25lookback_scan_determinismE0ELb1ES3_N6thrust23THRUST_200600_302600_NS6detail15normal_iteratorINS9_10device_ptrIiEEEESE_SE_iNS9_10multipliesIiEENS9_8equal_toIiEEiEE10hipError_tPvRmT2_T3_T4_T5_mT6_T7_P12ihipStream_tbENKUlT_T0_E_clISt17integral_constantIbLb1EESZ_EEDaSU_SV_EUlSU_E_NS1_11comp_targetILNS1_3genE5ELNS1_11target_archE942ELNS1_3gpuE9ELNS1_3repE0EEENS1_30default_config_static_selectorELNS0_4arch9wavefront6targetE0EEEvT1_
                                        ; -- End function
	.set _ZN7rocprim17ROCPRIM_400000_NS6detail17trampoline_kernelINS0_14default_configENS1_27scan_by_key_config_selectorIiiEEZZNS1_16scan_by_key_implILNS1_25lookback_scan_determinismE0ELb1ES3_N6thrust23THRUST_200600_302600_NS6detail15normal_iteratorINS9_10device_ptrIiEEEESE_SE_iNS9_10multipliesIiEENS9_8equal_toIiEEiEE10hipError_tPvRmT2_T3_T4_T5_mT6_T7_P12ihipStream_tbENKUlT_T0_E_clISt17integral_constantIbLb1EESZ_EEDaSU_SV_EUlSU_E_NS1_11comp_targetILNS1_3genE5ELNS1_11target_archE942ELNS1_3gpuE9ELNS1_3repE0EEENS1_30default_config_static_selectorELNS0_4arch9wavefront6targetE0EEEvT1_.num_vgpr, 0
	.set _ZN7rocprim17ROCPRIM_400000_NS6detail17trampoline_kernelINS0_14default_configENS1_27scan_by_key_config_selectorIiiEEZZNS1_16scan_by_key_implILNS1_25lookback_scan_determinismE0ELb1ES3_N6thrust23THRUST_200600_302600_NS6detail15normal_iteratorINS9_10device_ptrIiEEEESE_SE_iNS9_10multipliesIiEENS9_8equal_toIiEEiEE10hipError_tPvRmT2_T3_T4_T5_mT6_T7_P12ihipStream_tbENKUlT_T0_E_clISt17integral_constantIbLb1EESZ_EEDaSU_SV_EUlSU_E_NS1_11comp_targetILNS1_3genE5ELNS1_11target_archE942ELNS1_3gpuE9ELNS1_3repE0EEENS1_30default_config_static_selectorELNS0_4arch9wavefront6targetE0EEEvT1_.num_agpr, 0
	.set _ZN7rocprim17ROCPRIM_400000_NS6detail17trampoline_kernelINS0_14default_configENS1_27scan_by_key_config_selectorIiiEEZZNS1_16scan_by_key_implILNS1_25lookback_scan_determinismE0ELb1ES3_N6thrust23THRUST_200600_302600_NS6detail15normal_iteratorINS9_10device_ptrIiEEEESE_SE_iNS9_10multipliesIiEENS9_8equal_toIiEEiEE10hipError_tPvRmT2_T3_T4_T5_mT6_T7_P12ihipStream_tbENKUlT_T0_E_clISt17integral_constantIbLb1EESZ_EEDaSU_SV_EUlSU_E_NS1_11comp_targetILNS1_3genE5ELNS1_11target_archE942ELNS1_3gpuE9ELNS1_3repE0EEENS1_30default_config_static_selectorELNS0_4arch9wavefront6targetE0EEEvT1_.numbered_sgpr, 0
	.set _ZN7rocprim17ROCPRIM_400000_NS6detail17trampoline_kernelINS0_14default_configENS1_27scan_by_key_config_selectorIiiEEZZNS1_16scan_by_key_implILNS1_25lookback_scan_determinismE0ELb1ES3_N6thrust23THRUST_200600_302600_NS6detail15normal_iteratorINS9_10device_ptrIiEEEESE_SE_iNS9_10multipliesIiEENS9_8equal_toIiEEiEE10hipError_tPvRmT2_T3_T4_T5_mT6_T7_P12ihipStream_tbENKUlT_T0_E_clISt17integral_constantIbLb1EESZ_EEDaSU_SV_EUlSU_E_NS1_11comp_targetILNS1_3genE5ELNS1_11target_archE942ELNS1_3gpuE9ELNS1_3repE0EEENS1_30default_config_static_selectorELNS0_4arch9wavefront6targetE0EEEvT1_.num_named_barrier, 0
	.set _ZN7rocprim17ROCPRIM_400000_NS6detail17trampoline_kernelINS0_14default_configENS1_27scan_by_key_config_selectorIiiEEZZNS1_16scan_by_key_implILNS1_25lookback_scan_determinismE0ELb1ES3_N6thrust23THRUST_200600_302600_NS6detail15normal_iteratorINS9_10device_ptrIiEEEESE_SE_iNS9_10multipliesIiEENS9_8equal_toIiEEiEE10hipError_tPvRmT2_T3_T4_T5_mT6_T7_P12ihipStream_tbENKUlT_T0_E_clISt17integral_constantIbLb1EESZ_EEDaSU_SV_EUlSU_E_NS1_11comp_targetILNS1_3genE5ELNS1_11target_archE942ELNS1_3gpuE9ELNS1_3repE0EEENS1_30default_config_static_selectorELNS0_4arch9wavefront6targetE0EEEvT1_.private_seg_size, 0
	.set _ZN7rocprim17ROCPRIM_400000_NS6detail17trampoline_kernelINS0_14default_configENS1_27scan_by_key_config_selectorIiiEEZZNS1_16scan_by_key_implILNS1_25lookback_scan_determinismE0ELb1ES3_N6thrust23THRUST_200600_302600_NS6detail15normal_iteratorINS9_10device_ptrIiEEEESE_SE_iNS9_10multipliesIiEENS9_8equal_toIiEEiEE10hipError_tPvRmT2_T3_T4_T5_mT6_T7_P12ihipStream_tbENKUlT_T0_E_clISt17integral_constantIbLb1EESZ_EEDaSU_SV_EUlSU_E_NS1_11comp_targetILNS1_3genE5ELNS1_11target_archE942ELNS1_3gpuE9ELNS1_3repE0EEENS1_30default_config_static_selectorELNS0_4arch9wavefront6targetE0EEEvT1_.uses_vcc, 0
	.set _ZN7rocprim17ROCPRIM_400000_NS6detail17trampoline_kernelINS0_14default_configENS1_27scan_by_key_config_selectorIiiEEZZNS1_16scan_by_key_implILNS1_25lookback_scan_determinismE0ELb1ES3_N6thrust23THRUST_200600_302600_NS6detail15normal_iteratorINS9_10device_ptrIiEEEESE_SE_iNS9_10multipliesIiEENS9_8equal_toIiEEiEE10hipError_tPvRmT2_T3_T4_T5_mT6_T7_P12ihipStream_tbENKUlT_T0_E_clISt17integral_constantIbLb1EESZ_EEDaSU_SV_EUlSU_E_NS1_11comp_targetILNS1_3genE5ELNS1_11target_archE942ELNS1_3gpuE9ELNS1_3repE0EEENS1_30default_config_static_selectorELNS0_4arch9wavefront6targetE0EEEvT1_.uses_flat_scratch, 0
	.set _ZN7rocprim17ROCPRIM_400000_NS6detail17trampoline_kernelINS0_14default_configENS1_27scan_by_key_config_selectorIiiEEZZNS1_16scan_by_key_implILNS1_25lookback_scan_determinismE0ELb1ES3_N6thrust23THRUST_200600_302600_NS6detail15normal_iteratorINS9_10device_ptrIiEEEESE_SE_iNS9_10multipliesIiEENS9_8equal_toIiEEiEE10hipError_tPvRmT2_T3_T4_T5_mT6_T7_P12ihipStream_tbENKUlT_T0_E_clISt17integral_constantIbLb1EESZ_EEDaSU_SV_EUlSU_E_NS1_11comp_targetILNS1_3genE5ELNS1_11target_archE942ELNS1_3gpuE9ELNS1_3repE0EEENS1_30default_config_static_selectorELNS0_4arch9wavefront6targetE0EEEvT1_.has_dyn_sized_stack, 0
	.set _ZN7rocprim17ROCPRIM_400000_NS6detail17trampoline_kernelINS0_14default_configENS1_27scan_by_key_config_selectorIiiEEZZNS1_16scan_by_key_implILNS1_25lookback_scan_determinismE0ELb1ES3_N6thrust23THRUST_200600_302600_NS6detail15normal_iteratorINS9_10device_ptrIiEEEESE_SE_iNS9_10multipliesIiEENS9_8equal_toIiEEiEE10hipError_tPvRmT2_T3_T4_T5_mT6_T7_P12ihipStream_tbENKUlT_T0_E_clISt17integral_constantIbLb1EESZ_EEDaSU_SV_EUlSU_E_NS1_11comp_targetILNS1_3genE5ELNS1_11target_archE942ELNS1_3gpuE9ELNS1_3repE0EEENS1_30default_config_static_selectorELNS0_4arch9wavefront6targetE0EEEvT1_.has_recursion, 0
	.set _ZN7rocprim17ROCPRIM_400000_NS6detail17trampoline_kernelINS0_14default_configENS1_27scan_by_key_config_selectorIiiEEZZNS1_16scan_by_key_implILNS1_25lookback_scan_determinismE0ELb1ES3_N6thrust23THRUST_200600_302600_NS6detail15normal_iteratorINS9_10device_ptrIiEEEESE_SE_iNS9_10multipliesIiEENS9_8equal_toIiEEiEE10hipError_tPvRmT2_T3_T4_T5_mT6_T7_P12ihipStream_tbENKUlT_T0_E_clISt17integral_constantIbLb1EESZ_EEDaSU_SV_EUlSU_E_NS1_11comp_targetILNS1_3genE5ELNS1_11target_archE942ELNS1_3gpuE9ELNS1_3repE0EEENS1_30default_config_static_selectorELNS0_4arch9wavefront6targetE0EEEvT1_.has_indirect_call, 0
	.section	.AMDGPU.csdata,"",@progbits
; Kernel info:
; codeLenInByte = 0
; TotalNumSgprs: 0
; NumVgprs: 0
; ScratchSize: 0
; MemoryBound: 0
; FloatMode: 240
; IeeeMode: 1
; LDSByteSize: 0 bytes/workgroup (compile time only)
; SGPRBlocks: 0
; VGPRBlocks: 0
; NumSGPRsForWavesPerEU: 1
; NumVGPRsForWavesPerEU: 1
; Occupancy: 16
; WaveLimiterHint : 0
; COMPUTE_PGM_RSRC2:SCRATCH_EN: 0
; COMPUTE_PGM_RSRC2:USER_SGPR: 6
; COMPUTE_PGM_RSRC2:TRAP_HANDLER: 0
; COMPUTE_PGM_RSRC2:TGID_X_EN: 1
; COMPUTE_PGM_RSRC2:TGID_Y_EN: 0
; COMPUTE_PGM_RSRC2:TGID_Z_EN: 0
; COMPUTE_PGM_RSRC2:TIDIG_COMP_CNT: 0
	.section	.text._ZN7rocprim17ROCPRIM_400000_NS6detail17trampoline_kernelINS0_14default_configENS1_27scan_by_key_config_selectorIiiEEZZNS1_16scan_by_key_implILNS1_25lookback_scan_determinismE0ELb1ES3_N6thrust23THRUST_200600_302600_NS6detail15normal_iteratorINS9_10device_ptrIiEEEESE_SE_iNS9_10multipliesIiEENS9_8equal_toIiEEiEE10hipError_tPvRmT2_T3_T4_T5_mT6_T7_P12ihipStream_tbENKUlT_T0_E_clISt17integral_constantIbLb1EESZ_EEDaSU_SV_EUlSU_E_NS1_11comp_targetILNS1_3genE4ELNS1_11target_archE910ELNS1_3gpuE8ELNS1_3repE0EEENS1_30default_config_static_selectorELNS0_4arch9wavefront6targetE0EEEvT1_,"axG",@progbits,_ZN7rocprim17ROCPRIM_400000_NS6detail17trampoline_kernelINS0_14default_configENS1_27scan_by_key_config_selectorIiiEEZZNS1_16scan_by_key_implILNS1_25lookback_scan_determinismE0ELb1ES3_N6thrust23THRUST_200600_302600_NS6detail15normal_iteratorINS9_10device_ptrIiEEEESE_SE_iNS9_10multipliesIiEENS9_8equal_toIiEEiEE10hipError_tPvRmT2_T3_T4_T5_mT6_T7_P12ihipStream_tbENKUlT_T0_E_clISt17integral_constantIbLb1EESZ_EEDaSU_SV_EUlSU_E_NS1_11comp_targetILNS1_3genE4ELNS1_11target_archE910ELNS1_3gpuE8ELNS1_3repE0EEENS1_30default_config_static_selectorELNS0_4arch9wavefront6targetE0EEEvT1_,comdat
	.protected	_ZN7rocprim17ROCPRIM_400000_NS6detail17trampoline_kernelINS0_14default_configENS1_27scan_by_key_config_selectorIiiEEZZNS1_16scan_by_key_implILNS1_25lookback_scan_determinismE0ELb1ES3_N6thrust23THRUST_200600_302600_NS6detail15normal_iteratorINS9_10device_ptrIiEEEESE_SE_iNS9_10multipliesIiEENS9_8equal_toIiEEiEE10hipError_tPvRmT2_T3_T4_T5_mT6_T7_P12ihipStream_tbENKUlT_T0_E_clISt17integral_constantIbLb1EESZ_EEDaSU_SV_EUlSU_E_NS1_11comp_targetILNS1_3genE4ELNS1_11target_archE910ELNS1_3gpuE8ELNS1_3repE0EEENS1_30default_config_static_selectorELNS0_4arch9wavefront6targetE0EEEvT1_ ; -- Begin function _ZN7rocprim17ROCPRIM_400000_NS6detail17trampoline_kernelINS0_14default_configENS1_27scan_by_key_config_selectorIiiEEZZNS1_16scan_by_key_implILNS1_25lookback_scan_determinismE0ELb1ES3_N6thrust23THRUST_200600_302600_NS6detail15normal_iteratorINS9_10device_ptrIiEEEESE_SE_iNS9_10multipliesIiEENS9_8equal_toIiEEiEE10hipError_tPvRmT2_T3_T4_T5_mT6_T7_P12ihipStream_tbENKUlT_T0_E_clISt17integral_constantIbLb1EESZ_EEDaSU_SV_EUlSU_E_NS1_11comp_targetILNS1_3genE4ELNS1_11target_archE910ELNS1_3gpuE8ELNS1_3repE0EEENS1_30default_config_static_selectorELNS0_4arch9wavefront6targetE0EEEvT1_
	.globl	_ZN7rocprim17ROCPRIM_400000_NS6detail17trampoline_kernelINS0_14default_configENS1_27scan_by_key_config_selectorIiiEEZZNS1_16scan_by_key_implILNS1_25lookback_scan_determinismE0ELb1ES3_N6thrust23THRUST_200600_302600_NS6detail15normal_iteratorINS9_10device_ptrIiEEEESE_SE_iNS9_10multipliesIiEENS9_8equal_toIiEEiEE10hipError_tPvRmT2_T3_T4_T5_mT6_T7_P12ihipStream_tbENKUlT_T0_E_clISt17integral_constantIbLb1EESZ_EEDaSU_SV_EUlSU_E_NS1_11comp_targetILNS1_3genE4ELNS1_11target_archE910ELNS1_3gpuE8ELNS1_3repE0EEENS1_30default_config_static_selectorELNS0_4arch9wavefront6targetE0EEEvT1_
	.p2align	8
	.type	_ZN7rocprim17ROCPRIM_400000_NS6detail17trampoline_kernelINS0_14default_configENS1_27scan_by_key_config_selectorIiiEEZZNS1_16scan_by_key_implILNS1_25lookback_scan_determinismE0ELb1ES3_N6thrust23THRUST_200600_302600_NS6detail15normal_iteratorINS9_10device_ptrIiEEEESE_SE_iNS9_10multipliesIiEENS9_8equal_toIiEEiEE10hipError_tPvRmT2_T3_T4_T5_mT6_T7_P12ihipStream_tbENKUlT_T0_E_clISt17integral_constantIbLb1EESZ_EEDaSU_SV_EUlSU_E_NS1_11comp_targetILNS1_3genE4ELNS1_11target_archE910ELNS1_3gpuE8ELNS1_3repE0EEENS1_30default_config_static_selectorELNS0_4arch9wavefront6targetE0EEEvT1_,@function
_ZN7rocprim17ROCPRIM_400000_NS6detail17trampoline_kernelINS0_14default_configENS1_27scan_by_key_config_selectorIiiEEZZNS1_16scan_by_key_implILNS1_25lookback_scan_determinismE0ELb1ES3_N6thrust23THRUST_200600_302600_NS6detail15normal_iteratorINS9_10device_ptrIiEEEESE_SE_iNS9_10multipliesIiEENS9_8equal_toIiEEiEE10hipError_tPvRmT2_T3_T4_T5_mT6_T7_P12ihipStream_tbENKUlT_T0_E_clISt17integral_constantIbLb1EESZ_EEDaSU_SV_EUlSU_E_NS1_11comp_targetILNS1_3genE4ELNS1_11target_archE910ELNS1_3gpuE8ELNS1_3repE0EEENS1_30default_config_static_selectorELNS0_4arch9wavefront6targetE0EEEvT1_: ; @_ZN7rocprim17ROCPRIM_400000_NS6detail17trampoline_kernelINS0_14default_configENS1_27scan_by_key_config_selectorIiiEEZZNS1_16scan_by_key_implILNS1_25lookback_scan_determinismE0ELb1ES3_N6thrust23THRUST_200600_302600_NS6detail15normal_iteratorINS9_10device_ptrIiEEEESE_SE_iNS9_10multipliesIiEENS9_8equal_toIiEEiEE10hipError_tPvRmT2_T3_T4_T5_mT6_T7_P12ihipStream_tbENKUlT_T0_E_clISt17integral_constantIbLb1EESZ_EEDaSU_SV_EUlSU_E_NS1_11comp_targetILNS1_3genE4ELNS1_11target_archE910ELNS1_3gpuE8ELNS1_3repE0EEENS1_30default_config_static_selectorELNS0_4arch9wavefront6targetE0EEEvT1_
; %bb.0:
	.section	.rodata,"a",@progbits
	.p2align	6, 0x0
	.amdhsa_kernel _ZN7rocprim17ROCPRIM_400000_NS6detail17trampoline_kernelINS0_14default_configENS1_27scan_by_key_config_selectorIiiEEZZNS1_16scan_by_key_implILNS1_25lookback_scan_determinismE0ELb1ES3_N6thrust23THRUST_200600_302600_NS6detail15normal_iteratorINS9_10device_ptrIiEEEESE_SE_iNS9_10multipliesIiEENS9_8equal_toIiEEiEE10hipError_tPvRmT2_T3_T4_T5_mT6_T7_P12ihipStream_tbENKUlT_T0_E_clISt17integral_constantIbLb1EESZ_EEDaSU_SV_EUlSU_E_NS1_11comp_targetILNS1_3genE4ELNS1_11target_archE910ELNS1_3gpuE8ELNS1_3repE0EEENS1_30default_config_static_selectorELNS0_4arch9wavefront6targetE0EEEvT1_
		.amdhsa_group_segment_fixed_size 0
		.amdhsa_private_segment_fixed_size 0
		.amdhsa_kernarg_size 112
		.amdhsa_user_sgpr_count 6
		.amdhsa_user_sgpr_private_segment_buffer 1
		.amdhsa_user_sgpr_dispatch_ptr 0
		.amdhsa_user_sgpr_queue_ptr 0
		.amdhsa_user_sgpr_kernarg_segment_ptr 1
		.amdhsa_user_sgpr_dispatch_id 0
		.amdhsa_user_sgpr_flat_scratch_init 0
		.amdhsa_user_sgpr_private_segment_size 0
		.amdhsa_wavefront_size32 1
		.amdhsa_uses_dynamic_stack 0
		.amdhsa_system_sgpr_private_segment_wavefront_offset 0
		.amdhsa_system_sgpr_workgroup_id_x 1
		.amdhsa_system_sgpr_workgroup_id_y 0
		.amdhsa_system_sgpr_workgroup_id_z 0
		.amdhsa_system_sgpr_workgroup_info 0
		.amdhsa_system_vgpr_workitem_id 0
		.amdhsa_next_free_vgpr 1
		.amdhsa_next_free_sgpr 1
		.amdhsa_reserve_vcc 0
		.amdhsa_reserve_flat_scratch 0
		.amdhsa_float_round_mode_32 0
		.amdhsa_float_round_mode_16_64 0
		.amdhsa_float_denorm_mode_32 3
		.amdhsa_float_denorm_mode_16_64 3
		.amdhsa_dx10_clamp 1
		.amdhsa_ieee_mode 1
		.amdhsa_fp16_overflow 0
		.amdhsa_workgroup_processor_mode 1
		.amdhsa_memory_ordered 1
		.amdhsa_forward_progress 1
		.amdhsa_shared_vgpr_count 0
		.amdhsa_exception_fp_ieee_invalid_op 0
		.amdhsa_exception_fp_denorm_src 0
		.amdhsa_exception_fp_ieee_div_zero 0
		.amdhsa_exception_fp_ieee_overflow 0
		.amdhsa_exception_fp_ieee_underflow 0
		.amdhsa_exception_fp_ieee_inexact 0
		.amdhsa_exception_int_div_zero 0
	.end_amdhsa_kernel
	.section	.text._ZN7rocprim17ROCPRIM_400000_NS6detail17trampoline_kernelINS0_14default_configENS1_27scan_by_key_config_selectorIiiEEZZNS1_16scan_by_key_implILNS1_25lookback_scan_determinismE0ELb1ES3_N6thrust23THRUST_200600_302600_NS6detail15normal_iteratorINS9_10device_ptrIiEEEESE_SE_iNS9_10multipliesIiEENS9_8equal_toIiEEiEE10hipError_tPvRmT2_T3_T4_T5_mT6_T7_P12ihipStream_tbENKUlT_T0_E_clISt17integral_constantIbLb1EESZ_EEDaSU_SV_EUlSU_E_NS1_11comp_targetILNS1_3genE4ELNS1_11target_archE910ELNS1_3gpuE8ELNS1_3repE0EEENS1_30default_config_static_selectorELNS0_4arch9wavefront6targetE0EEEvT1_,"axG",@progbits,_ZN7rocprim17ROCPRIM_400000_NS6detail17trampoline_kernelINS0_14default_configENS1_27scan_by_key_config_selectorIiiEEZZNS1_16scan_by_key_implILNS1_25lookback_scan_determinismE0ELb1ES3_N6thrust23THRUST_200600_302600_NS6detail15normal_iteratorINS9_10device_ptrIiEEEESE_SE_iNS9_10multipliesIiEENS9_8equal_toIiEEiEE10hipError_tPvRmT2_T3_T4_T5_mT6_T7_P12ihipStream_tbENKUlT_T0_E_clISt17integral_constantIbLb1EESZ_EEDaSU_SV_EUlSU_E_NS1_11comp_targetILNS1_3genE4ELNS1_11target_archE910ELNS1_3gpuE8ELNS1_3repE0EEENS1_30default_config_static_selectorELNS0_4arch9wavefront6targetE0EEEvT1_,comdat
.Lfunc_end509:
	.size	_ZN7rocprim17ROCPRIM_400000_NS6detail17trampoline_kernelINS0_14default_configENS1_27scan_by_key_config_selectorIiiEEZZNS1_16scan_by_key_implILNS1_25lookback_scan_determinismE0ELb1ES3_N6thrust23THRUST_200600_302600_NS6detail15normal_iteratorINS9_10device_ptrIiEEEESE_SE_iNS9_10multipliesIiEENS9_8equal_toIiEEiEE10hipError_tPvRmT2_T3_T4_T5_mT6_T7_P12ihipStream_tbENKUlT_T0_E_clISt17integral_constantIbLb1EESZ_EEDaSU_SV_EUlSU_E_NS1_11comp_targetILNS1_3genE4ELNS1_11target_archE910ELNS1_3gpuE8ELNS1_3repE0EEENS1_30default_config_static_selectorELNS0_4arch9wavefront6targetE0EEEvT1_, .Lfunc_end509-_ZN7rocprim17ROCPRIM_400000_NS6detail17trampoline_kernelINS0_14default_configENS1_27scan_by_key_config_selectorIiiEEZZNS1_16scan_by_key_implILNS1_25lookback_scan_determinismE0ELb1ES3_N6thrust23THRUST_200600_302600_NS6detail15normal_iteratorINS9_10device_ptrIiEEEESE_SE_iNS9_10multipliesIiEENS9_8equal_toIiEEiEE10hipError_tPvRmT2_T3_T4_T5_mT6_T7_P12ihipStream_tbENKUlT_T0_E_clISt17integral_constantIbLb1EESZ_EEDaSU_SV_EUlSU_E_NS1_11comp_targetILNS1_3genE4ELNS1_11target_archE910ELNS1_3gpuE8ELNS1_3repE0EEENS1_30default_config_static_selectorELNS0_4arch9wavefront6targetE0EEEvT1_
                                        ; -- End function
	.set _ZN7rocprim17ROCPRIM_400000_NS6detail17trampoline_kernelINS0_14default_configENS1_27scan_by_key_config_selectorIiiEEZZNS1_16scan_by_key_implILNS1_25lookback_scan_determinismE0ELb1ES3_N6thrust23THRUST_200600_302600_NS6detail15normal_iteratorINS9_10device_ptrIiEEEESE_SE_iNS9_10multipliesIiEENS9_8equal_toIiEEiEE10hipError_tPvRmT2_T3_T4_T5_mT6_T7_P12ihipStream_tbENKUlT_T0_E_clISt17integral_constantIbLb1EESZ_EEDaSU_SV_EUlSU_E_NS1_11comp_targetILNS1_3genE4ELNS1_11target_archE910ELNS1_3gpuE8ELNS1_3repE0EEENS1_30default_config_static_selectorELNS0_4arch9wavefront6targetE0EEEvT1_.num_vgpr, 0
	.set _ZN7rocprim17ROCPRIM_400000_NS6detail17trampoline_kernelINS0_14default_configENS1_27scan_by_key_config_selectorIiiEEZZNS1_16scan_by_key_implILNS1_25lookback_scan_determinismE0ELb1ES3_N6thrust23THRUST_200600_302600_NS6detail15normal_iteratorINS9_10device_ptrIiEEEESE_SE_iNS9_10multipliesIiEENS9_8equal_toIiEEiEE10hipError_tPvRmT2_T3_T4_T5_mT6_T7_P12ihipStream_tbENKUlT_T0_E_clISt17integral_constantIbLb1EESZ_EEDaSU_SV_EUlSU_E_NS1_11comp_targetILNS1_3genE4ELNS1_11target_archE910ELNS1_3gpuE8ELNS1_3repE0EEENS1_30default_config_static_selectorELNS0_4arch9wavefront6targetE0EEEvT1_.num_agpr, 0
	.set _ZN7rocprim17ROCPRIM_400000_NS6detail17trampoline_kernelINS0_14default_configENS1_27scan_by_key_config_selectorIiiEEZZNS1_16scan_by_key_implILNS1_25lookback_scan_determinismE0ELb1ES3_N6thrust23THRUST_200600_302600_NS6detail15normal_iteratorINS9_10device_ptrIiEEEESE_SE_iNS9_10multipliesIiEENS9_8equal_toIiEEiEE10hipError_tPvRmT2_T3_T4_T5_mT6_T7_P12ihipStream_tbENKUlT_T0_E_clISt17integral_constantIbLb1EESZ_EEDaSU_SV_EUlSU_E_NS1_11comp_targetILNS1_3genE4ELNS1_11target_archE910ELNS1_3gpuE8ELNS1_3repE0EEENS1_30default_config_static_selectorELNS0_4arch9wavefront6targetE0EEEvT1_.numbered_sgpr, 0
	.set _ZN7rocprim17ROCPRIM_400000_NS6detail17trampoline_kernelINS0_14default_configENS1_27scan_by_key_config_selectorIiiEEZZNS1_16scan_by_key_implILNS1_25lookback_scan_determinismE0ELb1ES3_N6thrust23THRUST_200600_302600_NS6detail15normal_iteratorINS9_10device_ptrIiEEEESE_SE_iNS9_10multipliesIiEENS9_8equal_toIiEEiEE10hipError_tPvRmT2_T3_T4_T5_mT6_T7_P12ihipStream_tbENKUlT_T0_E_clISt17integral_constantIbLb1EESZ_EEDaSU_SV_EUlSU_E_NS1_11comp_targetILNS1_3genE4ELNS1_11target_archE910ELNS1_3gpuE8ELNS1_3repE0EEENS1_30default_config_static_selectorELNS0_4arch9wavefront6targetE0EEEvT1_.num_named_barrier, 0
	.set _ZN7rocprim17ROCPRIM_400000_NS6detail17trampoline_kernelINS0_14default_configENS1_27scan_by_key_config_selectorIiiEEZZNS1_16scan_by_key_implILNS1_25lookback_scan_determinismE0ELb1ES3_N6thrust23THRUST_200600_302600_NS6detail15normal_iteratorINS9_10device_ptrIiEEEESE_SE_iNS9_10multipliesIiEENS9_8equal_toIiEEiEE10hipError_tPvRmT2_T3_T4_T5_mT6_T7_P12ihipStream_tbENKUlT_T0_E_clISt17integral_constantIbLb1EESZ_EEDaSU_SV_EUlSU_E_NS1_11comp_targetILNS1_3genE4ELNS1_11target_archE910ELNS1_3gpuE8ELNS1_3repE0EEENS1_30default_config_static_selectorELNS0_4arch9wavefront6targetE0EEEvT1_.private_seg_size, 0
	.set _ZN7rocprim17ROCPRIM_400000_NS6detail17trampoline_kernelINS0_14default_configENS1_27scan_by_key_config_selectorIiiEEZZNS1_16scan_by_key_implILNS1_25lookback_scan_determinismE0ELb1ES3_N6thrust23THRUST_200600_302600_NS6detail15normal_iteratorINS9_10device_ptrIiEEEESE_SE_iNS9_10multipliesIiEENS9_8equal_toIiEEiEE10hipError_tPvRmT2_T3_T4_T5_mT6_T7_P12ihipStream_tbENKUlT_T0_E_clISt17integral_constantIbLb1EESZ_EEDaSU_SV_EUlSU_E_NS1_11comp_targetILNS1_3genE4ELNS1_11target_archE910ELNS1_3gpuE8ELNS1_3repE0EEENS1_30default_config_static_selectorELNS0_4arch9wavefront6targetE0EEEvT1_.uses_vcc, 0
	.set _ZN7rocprim17ROCPRIM_400000_NS6detail17trampoline_kernelINS0_14default_configENS1_27scan_by_key_config_selectorIiiEEZZNS1_16scan_by_key_implILNS1_25lookback_scan_determinismE0ELb1ES3_N6thrust23THRUST_200600_302600_NS6detail15normal_iteratorINS9_10device_ptrIiEEEESE_SE_iNS9_10multipliesIiEENS9_8equal_toIiEEiEE10hipError_tPvRmT2_T3_T4_T5_mT6_T7_P12ihipStream_tbENKUlT_T0_E_clISt17integral_constantIbLb1EESZ_EEDaSU_SV_EUlSU_E_NS1_11comp_targetILNS1_3genE4ELNS1_11target_archE910ELNS1_3gpuE8ELNS1_3repE0EEENS1_30default_config_static_selectorELNS0_4arch9wavefront6targetE0EEEvT1_.uses_flat_scratch, 0
	.set _ZN7rocprim17ROCPRIM_400000_NS6detail17trampoline_kernelINS0_14default_configENS1_27scan_by_key_config_selectorIiiEEZZNS1_16scan_by_key_implILNS1_25lookback_scan_determinismE0ELb1ES3_N6thrust23THRUST_200600_302600_NS6detail15normal_iteratorINS9_10device_ptrIiEEEESE_SE_iNS9_10multipliesIiEENS9_8equal_toIiEEiEE10hipError_tPvRmT2_T3_T4_T5_mT6_T7_P12ihipStream_tbENKUlT_T0_E_clISt17integral_constantIbLb1EESZ_EEDaSU_SV_EUlSU_E_NS1_11comp_targetILNS1_3genE4ELNS1_11target_archE910ELNS1_3gpuE8ELNS1_3repE0EEENS1_30default_config_static_selectorELNS0_4arch9wavefront6targetE0EEEvT1_.has_dyn_sized_stack, 0
	.set _ZN7rocprim17ROCPRIM_400000_NS6detail17trampoline_kernelINS0_14default_configENS1_27scan_by_key_config_selectorIiiEEZZNS1_16scan_by_key_implILNS1_25lookback_scan_determinismE0ELb1ES3_N6thrust23THRUST_200600_302600_NS6detail15normal_iteratorINS9_10device_ptrIiEEEESE_SE_iNS9_10multipliesIiEENS9_8equal_toIiEEiEE10hipError_tPvRmT2_T3_T4_T5_mT6_T7_P12ihipStream_tbENKUlT_T0_E_clISt17integral_constantIbLb1EESZ_EEDaSU_SV_EUlSU_E_NS1_11comp_targetILNS1_3genE4ELNS1_11target_archE910ELNS1_3gpuE8ELNS1_3repE0EEENS1_30default_config_static_selectorELNS0_4arch9wavefront6targetE0EEEvT1_.has_recursion, 0
	.set _ZN7rocprim17ROCPRIM_400000_NS6detail17trampoline_kernelINS0_14default_configENS1_27scan_by_key_config_selectorIiiEEZZNS1_16scan_by_key_implILNS1_25lookback_scan_determinismE0ELb1ES3_N6thrust23THRUST_200600_302600_NS6detail15normal_iteratorINS9_10device_ptrIiEEEESE_SE_iNS9_10multipliesIiEENS9_8equal_toIiEEiEE10hipError_tPvRmT2_T3_T4_T5_mT6_T7_P12ihipStream_tbENKUlT_T0_E_clISt17integral_constantIbLb1EESZ_EEDaSU_SV_EUlSU_E_NS1_11comp_targetILNS1_3genE4ELNS1_11target_archE910ELNS1_3gpuE8ELNS1_3repE0EEENS1_30default_config_static_selectorELNS0_4arch9wavefront6targetE0EEEvT1_.has_indirect_call, 0
	.section	.AMDGPU.csdata,"",@progbits
; Kernel info:
; codeLenInByte = 0
; TotalNumSgprs: 0
; NumVgprs: 0
; ScratchSize: 0
; MemoryBound: 0
; FloatMode: 240
; IeeeMode: 1
; LDSByteSize: 0 bytes/workgroup (compile time only)
; SGPRBlocks: 0
; VGPRBlocks: 0
; NumSGPRsForWavesPerEU: 1
; NumVGPRsForWavesPerEU: 1
; Occupancy: 16
; WaveLimiterHint : 0
; COMPUTE_PGM_RSRC2:SCRATCH_EN: 0
; COMPUTE_PGM_RSRC2:USER_SGPR: 6
; COMPUTE_PGM_RSRC2:TRAP_HANDLER: 0
; COMPUTE_PGM_RSRC2:TGID_X_EN: 1
; COMPUTE_PGM_RSRC2:TGID_Y_EN: 0
; COMPUTE_PGM_RSRC2:TGID_Z_EN: 0
; COMPUTE_PGM_RSRC2:TIDIG_COMP_CNT: 0
	.section	.text._ZN7rocprim17ROCPRIM_400000_NS6detail17trampoline_kernelINS0_14default_configENS1_27scan_by_key_config_selectorIiiEEZZNS1_16scan_by_key_implILNS1_25lookback_scan_determinismE0ELb1ES3_N6thrust23THRUST_200600_302600_NS6detail15normal_iteratorINS9_10device_ptrIiEEEESE_SE_iNS9_10multipliesIiEENS9_8equal_toIiEEiEE10hipError_tPvRmT2_T3_T4_T5_mT6_T7_P12ihipStream_tbENKUlT_T0_E_clISt17integral_constantIbLb1EESZ_EEDaSU_SV_EUlSU_E_NS1_11comp_targetILNS1_3genE3ELNS1_11target_archE908ELNS1_3gpuE7ELNS1_3repE0EEENS1_30default_config_static_selectorELNS0_4arch9wavefront6targetE0EEEvT1_,"axG",@progbits,_ZN7rocprim17ROCPRIM_400000_NS6detail17trampoline_kernelINS0_14default_configENS1_27scan_by_key_config_selectorIiiEEZZNS1_16scan_by_key_implILNS1_25lookback_scan_determinismE0ELb1ES3_N6thrust23THRUST_200600_302600_NS6detail15normal_iteratorINS9_10device_ptrIiEEEESE_SE_iNS9_10multipliesIiEENS9_8equal_toIiEEiEE10hipError_tPvRmT2_T3_T4_T5_mT6_T7_P12ihipStream_tbENKUlT_T0_E_clISt17integral_constantIbLb1EESZ_EEDaSU_SV_EUlSU_E_NS1_11comp_targetILNS1_3genE3ELNS1_11target_archE908ELNS1_3gpuE7ELNS1_3repE0EEENS1_30default_config_static_selectorELNS0_4arch9wavefront6targetE0EEEvT1_,comdat
	.protected	_ZN7rocprim17ROCPRIM_400000_NS6detail17trampoline_kernelINS0_14default_configENS1_27scan_by_key_config_selectorIiiEEZZNS1_16scan_by_key_implILNS1_25lookback_scan_determinismE0ELb1ES3_N6thrust23THRUST_200600_302600_NS6detail15normal_iteratorINS9_10device_ptrIiEEEESE_SE_iNS9_10multipliesIiEENS9_8equal_toIiEEiEE10hipError_tPvRmT2_T3_T4_T5_mT6_T7_P12ihipStream_tbENKUlT_T0_E_clISt17integral_constantIbLb1EESZ_EEDaSU_SV_EUlSU_E_NS1_11comp_targetILNS1_3genE3ELNS1_11target_archE908ELNS1_3gpuE7ELNS1_3repE0EEENS1_30default_config_static_selectorELNS0_4arch9wavefront6targetE0EEEvT1_ ; -- Begin function _ZN7rocprim17ROCPRIM_400000_NS6detail17trampoline_kernelINS0_14default_configENS1_27scan_by_key_config_selectorIiiEEZZNS1_16scan_by_key_implILNS1_25lookback_scan_determinismE0ELb1ES3_N6thrust23THRUST_200600_302600_NS6detail15normal_iteratorINS9_10device_ptrIiEEEESE_SE_iNS9_10multipliesIiEENS9_8equal_toIiEEiEE10hipError_tPvRmT2_T3_T4_T5_mT6_T7_P12ihipStream_tbENKUlT_T0_E_clISt17integral_constantIbLb1EESZ_EEDaSU_SV_EUlSU_E_NS1_11comp_targetILNS1_3genE3ELNS1_11target_archE908ELNS1_3gpuE7ELNS1_3repE0EEENS1_30default_config_static_selectorELNS0_4arch9wavefront6targetE0EEEvT1_
	.globl	_ZN7rocprim17ROCPRIM_400000_NS6detail17trampoline_kernelINS0_14default_configENS1_27scan_by_key_config_selectorIiiEEZZNS1_16scan_by_key_implILNS1_25lookback_scan_determinismE0ELb1ES3_N6thrust23THRUST_200600_302600_NS6detail15normal_iteratorINS9_10device_ptrIiEEEESE_SE_iNS9_10multipliesIiEENS9_8equal_toIiEEiEE10hipError_tPvRmT2_T3_T4_T5_mT6_T7_P12ihipStream_tbENKUlT_T0_E_clISt17integral_constantIbLb1EESZ_EEDaSU_SV_EUlSU_E_NS1_11comp_targetILNS1_3genE3ELNS1_11target_archE908ELNS1_3gpuE7ELNS1_3repE0EEENS1_30default_config_static_selectorELNS0_4arch9wavefront6targetE0EEEvT1_
	.p2align	8
	.type	_ZN7rocprim17ROCPRIM_400000_NS6detail17trampoline_kernelINS0_14default_configENS1_27scan_by_key_config_selectorIiiEEZZNS1_16scan_by_key_implILNS1_25lookback_scan_determinismE0ELb1ES3_N6thrust23THRUST_200600_302600_NS6detail15normal_iteratorINS9_10device_ptrIiEEEESE_SE_iNS9_10multipliesIiEENS9_8equal_toIiEEiEE10hipError_tPvRmT2_T3_T4_T5_mT6_T7_P12ihipStream_tbENKUlT_T0_E_clISt17integral_constantIbLb1EESZ_EEDaSU_SV_EUlSU_E_NS1_11comp_targetILNS1_3genE3ELNS1_11target_archE908ELNS1_3gpuE7ELNS1_3repE0EEENS1_30default_config_static_selectorELNS0_4arch9wavefront6targetE0EEEvT1_,@function
_ZN7rocprim17ROCPRIM_400000_NS6detail17trampoline_kernelINS0_14default_configENS1_27scan_by_key_config_selectorIiiEEZZNS1_16scan_by_key_implILNS1_25lookback_scan_determinismE0ELb1ES3_N6thrust23THRUST_200600_302600_NS6detail15normal_iteratorINS9_10device_ptrIiEEEESE_SE_iNS9_10multipliesIiEENS9_8equal_toIiEEiEE10hipError_tPvRmT2_T3_T4_T5_mT6_T7_P12ihipStream_tbENKUlT_T0_E_clISt17integral_constantIbLb1EESZ_EEDaSU_SV_EUlSU_E_NS1_11comp_targetILNS1_3genE3ELNS1_11target_archE908ELNS1_3gpuE7ELNS1_3repE0EEENS1_30default_config_static_selectorELNS0_4arch9wavefront6targetE0EEEvT1_: ; @_ZN7rocprim17ROCPRIM_400000_NS6detail17trampoline_kernelINS0_14default_configENS1_27scan_by_key_config_selectorIiiEEZZNS1_16scan_by_key_implILNS1_25lookback_scan_determinismE0ELb1ES3_N6thrust23THRUST_200600_302600_NS6detail15normal_iteratorINS9_10device_ptrIiEEEESE_SE_iNS9_10multipliesIiEENS9_8equal_toIiEEiEE10hipError_tPvRmT2_T3_T4_T5_mT6_T7_P12ihipStream_tbENKUlT_T0_E_clISt17integral_constantIbLb1EESZ_EEDaSU_SV_EUlSU_E_NS1_11comp_targetILNS1_3genE3ELNS1_11target_archE908ELNS1_3gpuE7ELNS1_3repE0EEENS1_30default_config_static_selectorELNS0_4arch9wavefront6targetE0EEEvT1_
; %bb.0:
	.section	.rodata,"a",@progbits
	.p2align	6, 0x0
	.amdhsa_kernel _ZN7rocprim17ROCPRIM_400000_NS6detail17trampoline_kernelINS0_14default_configENS1_27scan_by_key_config_selectorIiiEEZZNS1_16scan_by_key_implILNS1_25lookback_scan_determinismE0ELb1ES3_N6thrust23THRUST_200600_302600_NS6detail15normal_iteratorINS9_10device_ptrIiEEEESE_SE_iNS9_10multipliesIiEENS9_8equal_toIiEEiEE10hipError_tPvRmT2_T3_T4_T5_mT6_T7_P12ihipStream_tbENKUlT_T0_E_clISt17integral_constantIbLb1EESZ_EEDaSU_SV_EUlSU_E_NS1_11comp_targetILNS1_3genE3ELNS1_11target_archE908ELNS1_3gpuE7ELNS1_3repE0EEENS1_30default_config_static_selectorELNS0_4arch9wavefront6targetE0EEEvT1_
		.amdhsa_group_segment_fixed_size 0
		.amdhsa_private_segment_fixed_size 0
		.amdhsa_kernarg_size 112
		.amdhsa_user_sgpr_count 6
		.amdhsa_user_sgpr_private_segment_buffer 1
		.amdhsa_user_sgpr_dispatch_ptr 0
		.amdhsa_user_sgpr_queue_ptr 0
		.amdhsa_user_sgpr_kernarg_segment_ptr 1
		.amdhsa_user_sgpr_dispatch_id 0
		.amdhsa_user_sgpr_flat_scratch_init 0
		.amdhsa_user_sgpr_private_segment_size 0
		.amdhsa_wavefront_size32 1
		.amdhsa_uses_dynamic_stack 0
		.amdhsa_system_sgpr_private_segment_wavefront_offset 0
		.amdhsa_system_sgpr_workgroup_id_x 1
		.amdhsa_system_sgpr_workgroup_id_y 0
		.amdhsa_system_sgpr_workgroup_id_z 0
		.amdhsa_system_sgpr_workgroup_info 0
		.amdhsa_system_vgpr_workitem_id 0
		.amdhsa_next_free_vgpr 1
		.amdhsa_next_free_sgpr 1
		.amdhsa_reserve_vcc 0
		.amdhsa_reserve_flat_scratch 0
		.amdhsa_float_round_mode_32 0
		.amdhsa_float_round_mode_16_64 0
		.amdhsa_float_denorm_mode_32 3
		.amdhsa_float_denorm_mode_16_64 3
		.amdhsa_dx10_clamp 1
		.amdhsa_ieee_mode 1
		.amdhsa_fp16_overflow 0
		.amdhsa_workgroup_processor_mode 1
		.amdhsa_memory_ordered 1
		.amdhsa_forward_progress 1
		.amdhsa_shared_vgpr_count 0
		.amdhsa_exception_fp_ieee_invalid_op 0
		.amdhsa_exception_fp_denorm_src 0
		.amdhsa_exception_fp_ieee_div_zero 0
		.amdhsa_exception_fp_ieee_overflow 0
		.amdhsa_exception_fp_ieee_underflow 0
		.amdhsa_exception_fp_ieee_inexact 0
		.amdhsa_exception_int_div_zero 0
	.end_amdhsa_kernel
	.section	.text._ZN7rocprim17ROCPRIM_400000_NS6detail17trampoline_kernelINS0_14default_configENS1_27scan_by_key_config_selectorIiiEEZZNS1_16scan_by_key_implILNS1_25lookback_scan_determinismE0ELb1ES3_N6thrust23THRUST_200600_302600_NS6detail15normal_iteratorINS9_10device_ptrIiEEEESE_SE_iNS9_10multipliesIiEENS9_8equal_toIiEEiEE10hipError_tPvRmT2_T3_T4_T5_mT6_T7_P12ihipStream_tbENKUlT_T0_E_clISt17integral_constantIbLb1EESZ_EEDaSU_SV_EUlSU_E_NS1_11comp_targetILNS1_3genE3ELNS1_11target_archE908ELNS1_3gpuE7ELNS1_3repE0EEENS1_30default_config_static_selectorELNS0_4arch9wavefront6targetE0EEEvT1_,"axG",@progbits,_ZN7rocprim17ROCPRIM_400000_NS6detail17trampoline_kernelINS0_14default_configENS1_27scan_by_key_config_selectorIiiEEZZNS1_16scan_by_key_implILNS1_25lookback_scan_determinismE0ELb1ES3_N6thrust23THRUST_200600_302600_NS6detail15normal_iteratorINS9_10device_ptrIiEEEESE_SE_iNS9_10multipliesIiEENS9_8equal_toIiEEiEE10hipError_tPvRmT2_T3_T4_T5_mT6_T7_P12ihipStream_tbENKUlT_T0_E_clISt17integral_constantIbLb1EESZ_EEDaSU_SV_EUlSU_E_NS1_11comp_targetILNS1_3genE3ELNS1_11target_archE908ELNS1_3gpuE7ELNS1_3repE0EEENS1_30default_config_static_selectorELNS0_4arch9wavefront6targetE0EEEvT1_,comdat
.Lfunc_end510:
	.size	_ZN7rocprim17ROCPRIM_400000_NS6detail17trampoline_kernelINS0_14default_configENS1_27scan_by_key_config_selectorIiiEEZZNS1_16scan_by_key_implILNS1_25lookback_scan_determinismE0ELb1ES3_N6thrust23THRUST_200600_302600_NS6detail15normal_iteratorINS9_10device_ptrIiEEEESE_SE_iNS9_10multipliesIiEENS9_8equal_toIiEEiEE10hipError_tPvRmT2_T3_T4_T5_mT6_T7_P12ihipStream_tbENKUlT_T0_E_clISt17integral_constantIbLb1EESZ_EEDaSU_SV_EUlSU_E_NS1_11comp_targetILNS1_3genE3ELNS1_11target_archE908ELNS1_3gpuE7ELNS1_3repE0EEENS1_30default_config_static_selectorELNS0_4arch9wavefront6targetE0EEEvT1_, .Lfunc_end510-_ZN7rocprim17ROCPRIM_400000_NS6detail17trampoline_kernelINS0_14default_configENS1_27scan_by_key_config_selectorIiiEEZZNS1_16scan_by_key_implILNS1_25lookback_scan_determinismE0ELb1ES3_N6thrust23THRUST_200600_302600_NS6detail15normal_iteratorINS9_10device_ptrIiEEEESE_SE_iNS9_10multipliesIiEENS9_8equal_toIiEEiEE10hipError_tPvRmT2_T3_T4_T5_mT6_T7_P12ihipStream_tbENKUlT_T0_E_clISt17integral_constantIbLb1EESZ_EEDaSU_SV_EUlSU_E_NS1_11comp_targetILNS1_3genE3ELNS1_11target_archE908ELNS1_3gpuE7ELNS1_3repE0EEENS1_30default_config_static_selectorELNS0_4arch9wavefront6targetE0EEEvT1_
                                        ; -- End function
	.set _ZN7rocprim17ROCPRIM_400000_NS6detail17trampoline_kernelINS0_14default_configENS1_27scan_by_key_config_selectorIiiEEZZNS1_16scan_by_key_implILNS1_25lookback_scan_determinismE0ELb1ES3_N6thrust23THRUST_200600_302600_NS6detail15normal_iteratorINS9_10device_ptrIiEEEESE_SE_iNS9_10multipliesIiEENS9_8equal_toIiEEiEE10hipError_tPvRmT2_T3_T4_T5_mT6_T7_P12ihipStream_tbENKUlT_T0_E_clISt17integral_constantIbLb1EESZ_EEDaSU_SV_EUlSU_E_NS1_11comp_targetILNS1_3genE3ELNS1_11target_archE908ELNS1_3gpuE7ELNS1_3repE0EEENS1_30default_config_static_selectorELNS0_4arch9wavefront6targetE0EEEvT1_.num_vgpr, 0
	.set _ZN7rocprim17ROCPRIM_400000_NS6detail17trampoline_kernelINS0_14default_configENS1_27scan_by_key_config_selectorIiiEEZZNS1_16scan_by_key_implILNS1_25lookback_scan_determinismE0ELb1ES3_N6thrust23THRUST_200600_302600_NS6detail15normal_iteratorINS9_10device_ptrIiEEEESE_SE_iNS9_10multipliesIiEENS9_8equal_toIiEEiEE10hipError_tPvRmT2_T3_T4_T5_mT6_T7_P12ihipStream_tbENKUlT_T0_E_clISt17integral_constantIbLb1EESZ_EEDaSU_SV_EUlSU_E_NS1_11comp_targetILNS1_3genE3ELNS1_11target_archE908ELNS1_3gpuE7ELNS1_3repE0EEENS1_30default_config_static_selectorELNS0_4arch9wavefront6targetE0EEEvT1_.num_agpr, 0
	.set _ZN7rocprim17ROCPRIM_400000_NS6detail17trampoline_kernelINS0_14default_configENS1_27scan_by_key_config_selectorIiiEEZZNS1_16scan_by_key_implILNS1_25lookback_scan_determinismE0ELb1ES3_N6thrust23THRUST_200600_302600_NS6detail15normal_iteratorINS9_10device_ptrIiEEEESE_SE_iNS9_10multipliesIiEENS9_8equal_toIiEEiEE10hipError_tPvRmT2_T3_T4_T5_mT6_T7_P12ihipStream_tbENKUlT_T0_E_clISt17integral_constantIbLb1EESZ_EEDaSU_SV_EUlSU_E_NS1_11comp_targetILNS1_3genE3ELNS1_11target_archE908ELNS1_3gpuE7ELNS1_3repE0EEENS1_30default_config_static_selectorELNS0_4arch9wavefront6targetE0EEEvT1_.numbered_sgpr, 0
	.set _ZN7rocprim17ROCPRIM_400000_NS6detail17trampoline_kernelINS0_14default_configENS1_27scan_by_key_config_selectorIiiEEZZNS1_16scan_by_key_implILNS1_25lookback_scan_determinismE0ELb1ES3_N6thrust23THRUST_200600_302600_NS6detail15normal_iteratorINS9_10device_ptrIiEEEESE_SE_iNS9_10multipliesIiEENS9_8equal_toIiEEiEE10hipError_tPvRmT2_T3_T4_T5_mT6_T7_P12ihipStream_tbENKUlT_T0_E_clISt17integral_constantIbLb1EESZ_EEDaSU_SV_EUlSU_E_NS1_11comp_targetILNS1_3genE3ELNS1_11target_archE908ELNS1_3gpuE7ELNS1_3repE0EEENS1_30default_config_static_selectorELNS0_4arch9wavefront6targetE0EEEvT1_.num_named_barrier, 0
	.set _ZN7rocprim17ROCPRIM_400000_NS6detail17trampoline_kernelINS0_14default_configENS1_27scan_by_key_config_selectorIiiEEZZNS1_16scan_by_key_implILNS1_25lookback_scan_determinismE0ELb1ES3_N6thrust23THRUST_200600_302600_NS6detail15normal_iteratorINS9_10device_ptrIiEEEESE_SE_iNS9_10multipliesIiEENS9_8equal_toIiEEiEE10hipError_tPvRmT2_T3_T4_T5_mT6_T7_P12ihipStream_tbENKUlT_T0_E_clISt17integral_constantIbLb1EESZ_EEDaSU_SV_EUlSU_E_NS1_11comp_targetILNS1_3genE3ELNS1_11target_archE908ELNS1_3gpuE7ELNS1_3repE0EEENS1_30default_config_static_selectorELNS0_4arch9wavefront6targetE0EEEvT1_.private_seg_size, 0
	.set _ZN7rocprim17ROCPRIM_400000_NS6detail17trampoline_kernelINS0_14default_configENS1_27scan_by_key_config_selectorIiiEEZZNS1_16scan_by_key_implILNS1_25lookback_scan_determinismE0ELb1ES3_N6thrust23THRUST_200600_302600_NS6detail15normal_iteratorINS9_10device_ptrIiEEEESE_SE_iNS9_10multipliesIiEENS9_8equal_toIiEEiEE10hipError_tPvRmT2_T3_T4_T5_mT6_T7_P12ihipStream_tbENKUlT_T0_E_clISt17integral_constantIbLb1EESZ_EEDaSU_SV_EUlSU_E_NS1_11comp_targetILNS1_3genE3ELNS1_11target_archE908ELNS1_3gpuE7ELNS1_3repE0EEENS1_30default_config_static_selectorELNS0_4arch9wavefront6targetE0EEEvT1_.uses_vcc, 0
	.set _ZN7rocprim17ROCPRIM_400000_NS6detail17trampoline_kernelINS0_14default_configENS1_27scan_by_key_config_selectorIiiEEZZNS1_16scan_by_key_implILNS1_25lookback_scan_determinismE0ELb1ES3_N6thrust23THRUST_200600_302600_NS6detail15normal_iteratorINS9_10device_ptrIiEEEESE_SE_iNS9_10multipliesIiEENS9_8equal_toIiEEiEE10hipError_tPvRmT2_T3_T4_T5_mT6_T7_P12ihipStream_tbENKUlT_T0_E_clISt17integral_constantIbLb1EESZ_EEDaSU_SV_EUlSU_E_NS1_11comp_targetILNS1_3genE3ELNS1_11target_archE908ELNS1_3gpuE7ELNS1_3repE0EEENS1_30default_config_static_selectorELNS0_4arch9wavefront6targetE0EEEvT1_.uses_flat_scratch, 0
	.set _ZN7rocprim17ROCPRIM_400000_NS6detail17trampoline_kernelINS0_14default_configENS1_27scan_by_key_config_selectorIiiEEZZNS1_16scan_by_key_implILNS1_25lookback_scan_determinismE0ELb1ES3_N6thrust23THRUST_200600_302600_NS6detail15normal_iteratorINS9_10device_ptrIiEEEESE_SE_iNS9_10multipliesIiEENS9_8equal_toIiEEiEE10hipError_tPvRmT2_T3_T4_T5_mT6_T7_P12ihipStream_tbENKUlT_T0_E_clISt17integral_constantIbLb1EESZ_EEDaSU_SV_EUlSU_E_NS1_11comp_targetILNS1_3genE3ELNS1_11target_archE908ELNS1_3gpuE7ELNS1_3repE0EEENS1_30default_config_static_selectorELNS0_4arch9wavefront6targetE0EEEvT1_.has_dyn_sized_stack, 0
	.set _ZN7rocprim17ROCPRIM_400000_NS6detail17trampoline_kernelINS0_14default_configENS1_27scan_by_key_config_selectorIiiEEZZNS1_16scan_by_key_implILNS1_25lookback_scan_determinismE0ELb1ES3_N6thrust23THRUST_200600_302600_NS6detail15normal_iteratorINS9_10device_ptrIiEEEESE_SE_iNS9_10multipliesIiEENS9_8equal_toIiEEiEE10hipError_tPvRmT2_T3_T4_T5_mT6_T7_P12ihipStream_tbENKUlT_T0_E_clISt17integral_constantIbLb1EESZ_EEDaSU_SV_EUlSU_E_NS1_11comp_targetILNS1_3genE3ELNS1_11target_archE908ELNS1_3gpuE7ELNS1_3repE0EEENS1_30default_config_static_selectorELNS0_4arch9wavefront6targetE0EEEvT1_.has_recursion, 0
	.set _ZN7rocprim17ROCPRIM_400000_NS6detail17trampoline_kernelINS0_14default_configENS1_27scan_by_key_config_selectorIiiEEZZNS1_16scan_by_key_implILNS1_25lookback_scan_determinismE0ELb1ES3_N6thrust23THRUST_200600_302600_NS6detail15normal_iteratorINS9_10device_ptrIiEEEESE_SE_iNS9_10multipliesIiEENS9_8equal_toIiEEiEE10hipError_tPvRmT2_T3_T4_T5_mT6_T7_P12ihipStream_tbENKUlT_T0_E_clISt17integral_constantIbLb1EESZ_EEDaSU_SV_EUlSU_E_NS1_11comp_targetILNS1_3genE3ELNS1_11target_archE908ELNS1_3gpuE7ELNS1_3repE0EEENS1_30default_config_static_selectorELNS0_4arch9wavefront6targetE0EEEvT1_.has_indirect_call, 0
	.section	.AMDGPU.csdata,"",@progbits
; Kernel info:
; codeLenInByte = 0
; TotalNumSgprs: 0
; NumVgprs: 0
; ScratchSize: 0
; MemoryBound: 0
; FloatMode: 240
; IeeeMode: 1
; LDSByteSize: 0 bytes/workgroup (compile time only)
; SGPRBlocks: 0
; VGPRBlocks: 0
; NumSGPRsForWavesPerEU: 1
; NumVGPRsForWavesPerEU: 1
; Occupancy: 16
; WaveLimiterHint : 0
; COMPUTE_PGM_RSRC2:SCRATCH_EN: 0
; COMPUTE_PGM_RSRC2:USER_SGPR: 6
; COMPUTE_PGM_RSRC2:TRAP_HANDLER: 0
; COMPUTE_PGM_RSRC2:TGID_X_EN: 1
; COMPUTE_PGM_RSRC2:TGID_Y_EN: 0
; COMPUTE_PGM_RSRC2:TGID_Z_EN: 0
; COMPUTE_PGM_RSRC2:TIDIG_COMP_CNT: 0
	.section	.text._ZN7rocprim17ROCPRIM_400000_NS6detail17trampoline_kernelINS0_14default_configENS1_27scan_by_key_config_selectorIiiEEZZNS1_16scan_by_key_implILNS1_25lookback_scan_determinismE0ELb1ES3_N6thrust23THRUST_200600_302600_NS6detail15normal_iteratorINS9_10device_ptrIiEEEESE_SE_iNS9_10multipliesIiEENS9_8equal_toIiEEiEE10hipError_tPvRmT2_T3_T4_T5_mT6_T7_P12ihipStream_tbENKUlT_T0_E_clISt17integral_constantIbLb1EESZ_EEDaSU_SV_EUlSU_E_NS1_11comp_targetILNS1_3genE2ELNS1_11target_archE906ELNS1_3gpuE6ELNS1_3repE0EEENS1_30default_config_static_selectorELNS0_4arch9wavefront6targetE0EEEvT1_,"axG",@progbits,_ZN7rocprim17ROCPRIM_400000_NS6detail17trampoline_kernelINS0_14default_configENS1_27scan_by_key_config_selectorIiiEEZZNS1_16scan_by_key_implILNS1_25lookback_scan_determinismE0ELb1ES3_N6thrust23THRUST_200600_302600_NS6detail15normal_iteratorINS9_10device_ptrIiEEEESE_SE_iNS9_10multipliesIiEENS9_8equal_toIiEEiEE10hipError_tPvRmT2_T3_T4_T5_mT6_T7_P12ihipStream_tbENKUlT_T0_E_clISt17integral_constantIbLb1EESZ_EEDaSU_SV_EUlSU_E_NS1_11comp_targetILNS1_3genE2ELNS1_11target_archE906ELNS1_3gpuE6ELNS1_3repE0EEENS1_30default_config_static_selectorELNS0_4arch9wavefront6targetE0EEEvT1_,comdat
	.protected	_ZN7rocprim17ROCPRIM_400000_NS6detail17trampoline_kernelINS0_14default_configENS1_27scan_by_key_config_selectorIiiEEZZNS1_16scan_by_key_implILNS1_25lookback_scan_determinismE0ELb1ES3_N6thrust23THRUST_200600_302600_NS6detail15normal_iteratorINS9_10device_ptrIiEEEESE_SE_iNS9_10multipliesIiEENS9_8equal_toIiEEiEE10hipError_tPvRmT2_T3_T4_T5_mT6_T7_P12ihipStream_tbENKUlT_T0_E_clISt17integral_constantIbLb1EESZ_EEDaSU_SV_EUlSU_E_NS1_11comp_targetILNS1_3genE2ELNS1_11target_archE906ELNS1_3gpuE6ELNS1_3repE0EEENS1_30default_config_static_selectorELNS0_4arch9wavefront6targetE0EEEvT1_ ; -- Begin function _ZN7rocprim17ROCPRIM_400000_NS6detail17trampoline_kernelINS0_14default_configENS1_27scan_by_key_config_selectorIiiEEZZNS1_16scan_by_key_implILNS1_25lookback_scan_determinismE0ELb1ES3_N6thrust23THRUST_200600_302600_NS6detail15normal_iteratorINS9_10device_ptrIiEEEESE_SE_iNS9_10multipliesIiEENS9_8equal_toIiEEiEE10hipError_tPvRmT2_T3_T4_T5_mT6_T7_P12ihipStream_tbENKUlT_T0_E_clISt17integral_constantIbLb1EESZ_EEDaSU_SV_EUlSU_E_NS1_11comp_targetILNS1_3genE2ELNS1_11target_archE906ELNS1_3gpuE6ELNS1_3repE0EEENS1_30default_config_static_selectorELNS0_4arch9wavefront6targetE0EEEvT1_
	.globl	_ZN7rocprim17ROCPRIM_400000_NS6detail17trampoline_kernelINS0_14default_configENS1_27scan_by_key_config_selectorIiiEEZZNS1_16scan_by_key_implILNS1_25lookback_scan_determinismE0ELb1ES3_N6thrust23THRUST_200600_302600_NS6detail15normal_iteratorINS9_10device_ptrIiEEEESE_SE_iNS9_10multipliesIiEENS9_8equal_toIiEEiEE10hipError_tPvRmT2_T3_T4_T5_mT6_T7_P12ihipStream_tbENKUlT_T0_E_clISt17integral_constantIbLb1EESZ_EEDaSU_SV_EUlSU_E_NS1_11comp_targetILNS1_3genE2ELNS1_11target_archE906ELNS1_3gpuE6ELNS1_3repE0EEENS1_30default_config_static_selectorELNS0_4arch9wavefront6targetE0EEEvT1_
	.p2align	8
	.type	_ZN7rocprim17ROCPRIM_400000_NS6detail17trampoline_kernelINS0_14default_configENS1_27scan_by_key_config_selectorIiiEEZZNS1_16scan_by_key_implILNS1_25lookback_scan_determinismE0ELb1ES3_N6thrust23THRUST_200600_302600_NS6detail15normal_iteratorINS9_10device_ptrIiEEEESE_SE_iNS9_10multipliesIiEENS9_8equal_toIiEEiEE10hipError_tPvRmT2_T3_T4_T5_mT6_T7_P12ihipStream_tbENKUlT_T0_E_clISt17integral_constantIbLb1EESZ_EEDaSU_SV_EUlSU_E_NS1_11comp_targetILNS1_3genE2ELNS1_11target_archE906ELNS1_3gpuE6ELNS1_3repE0EEENS1_30default_config_static_selectorELNS0_4arch9wavefront6targetE0EEEvT1_,@function
_ZN7rocprim17ROCPRIM_400000_NS6detail17trampoline_kernelINS0_14default_configENS1_27scan_by_key_config_selectorIiiEEZZNS1_16scan_by_key_implILNS1_25lookback_scan_determinismE0ELb1ES3_N6thrust23THRUST_200600_302600_NS6detail15normal_iteratorINS9_10device_ptrIiEEEESE_SE_iNS9_10multipliesIiEENS9_8equal_toIiEEiEE10hipError_tPvRmT2_T3_T4_T5_mT6_T7_P12ihipStream_tbENKUlT_T0_E_clISt17integral_constantIbLb1EESZ_EEDaSU_SV_EUlSU_E_NS1_11comp_targetILNS1_3genE2ELNS1_11target_archE906ELNS1_3gpuE6ELNS1_3repE0EEENS1_30default_config_static_selectorELNS0_4arch9wavefront6targetE0EEEvT1_: ; @_ZN7rocprim17ROCPRIM_400000_NS6detail17trampoline_kernelINS0_14default_configENS1_27scan_by_key_config_selectorIiiEEZZNS1_16scan_by_key_implILNS1_25lookback_scan_determinismE0ELb1ES3_N6thrust23THRUST_200600_302600_NS6detail15normal_iteratorINS9_10device_ptrIiEEEESE_SE_iNS9_10multipliesIiEENS9_8equal_toIiEEiEE10hipError_tPvRmT2_T3_T4_T5_mT6_T7_P12ihipStream_tbENKUlT_T0_E_clISt17integral_constantIbLb1EESZ_EEDaSU_SV_EUlSU_E_NS1_11comp_targetILNS1_3genE2ELNS1_11target_archE906ELNS1_3gpuE6ELNS1_3repE0EEENS1_30default_config_static_selectorELNS0_4arch9wavefront6targetE0EEEvT1_
; %bb.0:
	.section	.rodata,"a",@progbits
	.p2align	6, 0x0
	.amdhsa_kernel _ZN7rocprim17ROCPRIM_400000_NS6detail17trampoline_kernelINS0_14default_configENS1_27scan_by_key_config_selectorIiiEEZZNS1_16scan_by_key_implILNS1_25lookback_scan_determinismE0ELb1ES3_N6thrust23THRUST_200600_302600_NS6detail15normal_iteratorINS9_10device_ptrIiEEEESE_SE_iNS9_10multipliesIiEENS9_8equal_toIiEEiEE10hipError_tPvRmT2_T3_T4_T5_mT6_T7_P12ihipStream_tbENKUlT_T0_E_clISt17integral_constantIbLb1EESZ_EEDaSU_SV_EUlSU_E_NS1_11comp_targetILNS1_3genE2ELNS1_11target_archE906ELNS1_3gpuE6ELNS1_3repE0EEENS1_30default_config_static_selectorELNS0_4arch9wavefront6targetE0EEEvT1_
		.amdhsa_group_segment_fixed_size 0
		.amdhsa_private_segment_fixed_size 0
		.amdhsa_kernarg_size 112
		.amdhsa_user_sgpr_count 6
		.amdhsa_user_sgpr_private_segment_buffer 1
		.amdhsa_user_sgpr_dispatch_ptr 0
		.amdhsa_user_sgpr_queue_ptr 0
		.amdhsa_user_sgpr_kernarg_segment_ptr 1
		.amdhsa_user_sgpr_dispatch_id 0
		.amdhsa_user_sgpr_flat_scratch_init 0
		.amdhsa_user_sgpr_private_segment_size 0
		.amdhsa_wavefront_size32 1
		.amdhsa_uses_dynamic_stack 0
		.amdhsa_system_sgpr_private_segment_wavefront_offset 0
		.amdhsa_system_sgpr_workgroup_id_x 1
		.amdhsa_system_sgpr_workgroup_id_y 0
		.amdhsa_system_sgpr_workgroup_id_z 0
		.amdhsa_system_sgpr_workgroup_info 0
		.amdhsa_system_vgpr_workitem_id 0
		.amdhsa_next_free_vgpr 1
		.amdhsa_next_free_sgpr 1
		.amdhsa_reserve_vcc 0
		.amdhsa_reserve_flat_scratch 0
		.amdhsa_float_round_mode_32 0
		.amdhsa_float_round_mode_16_64 0
		.amdhsa_float_denorm_mode_32 3
		.amdhsa_float_denorm_mode_16_64 3
		.amdhsa_dx10_clamp 1
		.amdhsa_ieee_mode 1
		.amdhsa_fp16_overflow 0
		.amdhsa_workgroup_processor_mode 1
		.amdhsa_memory_ordered 1
		.amdhsa_forward_progress 1
		.amdhsa_shared_vgpr_count 0
		.amdhsa_exception_fp_ieee_invalid_op 0
		.amdhsa_exception_fp_denorm_src 0
		.amdhsa_exception_fp_ieee_div_zero 0
		.amdhsa_exception_fp_ieee_overflow 0
		.amdhsa_exception_fp_ieee_underflow 0
		.amdhsa_exception_fp_ieee_inexact 0
		.amdhsa_exception_int_div_zero 0
	.end_amdhsa_kernel
	.section	.text._ZN7rocprim17ROCPRIM_400000_NS6detail17trampoline_kernelINS0_14default_configENS1_27scan_by_key_config_selectorIiiEEZZNS1_16scan_by_key_implILNS1_25lookback_scan_determinismE0ELb1ES3_N6thrust23THRUST_200600_302600_NS6detail15normal_iteratorINS9_10device_ptrIiEEEESE_SE_iNS9_10multipliesIiEENS9_8equal_toIiEEiEE10hipError_tPvRmT2_T3_T4_T5_mT6_T7_P12ihipStream_tbENKUlT_T0_E_clISt17integral_constantIbLb1EESZ_EEDaSU_SV_EUlSU_E_NS1_11comp_targetILNS1_3genE2ELNS1_11target_archE906ELNS1_3gpuE6ELNS1_3repE0EEENS1_30default_config_static_selectorELNS0_4arch9wavefront6targetE0EEEvT1_,"axG",@progbits,_ZN7rocprim17ROCPRIM_400000_NS6detail17trampoline_kernelINS0_14default_configENS1_27scan_by_key_config_selectorIiiEEZZNS1_16scan_by_key_implILNS1_25lookback_scan_determinismE0ELb1ES3_N6thrust23THRUST_200600_302600_NS6detail15normal_iteratorINS9_10device_ptrIiEEEESE_SE_iNS9_10multipliesIiEENS9_8equal_toIiEEiEE10hipError_tPvRmT2_T3_T4_T5_mT6_T7_P12ihipStream_tbENKUlT_T0_E_clISt17integral_constantIbLb1EESZ_EEDaSU_SV_EUlSU_E_NS1_11comp_targetILNS1_3genE2ELNS1_11target_archE906ELNS1_3gpuE6ELNS1_3repE0EEENS1_30default_config_static_selectorELNS0_4arch9wavefront6targetE0EEEvT1_,comdat
.Lfunc_end511:
	.size	_ZN7rocprim17ROCPRIM_400000_NS6detail17trampoline_kernelINS0_14default_configENS1_27scan_by_key_config_selectorIiiEEZZNS1_16scan_by_key_implILNS1_25lookback_scan_determinismE0ELb1ES3_N6thrust23THRUST_200600_302600_NS6detail15normal_iteratorINS9_10device_ptrIiEEEESE_SE_iNS9_10multipliesIiEENS9_8equal_toIiEEiEE10hipError_tPvRmT2_T3_T4_T5_mT6_T7_P12ihipStream_tbENKUlT_T0_E_clISt17integral_constantIbLb1EESZ_EEDaSU_SV_EUlSU_E_NS1_11comp_targetILNS1_3genE2ELNS1_11target_archE906ELNS1_3gpuE6ELNS1_3repE0EEENS1_30default_config_static_selectorELNS0_4arch9wavefront6targetE0EEEvT1_, .Lfunc_end511-_ZN7rocprim17ROCPRIM_400000_NS6detail17trampoline_kernelINS0_14default_configENS1_27scan_by_key_config_selectorIiiEEZZNS1_16scan_by_key_implILNS1_25lookback_scan_determinismE0ELb1ES3_N6thrust23THRUST_200600_302600_NS6detail15normal_iteratorINS9_10device_ptrIiEEEESE_SE_iNS9_10multipliesIiEENS9_8equal_toIiEEiEE10hipError_tPvRmT2_T3_T4_T5_mT6_T7_P12ihipStream_tbENKUlT_T0_E_clISt17integral_constantIbLb1EESZ_EEDaSU_SV_EUlSU_E_NS1_11comp_targetILNS1_3genE2ELNS1_11target_archE906ELNS1_3gpuE6ELNS1_3repE0EEENS1_30default_config_static_selectorELNS0_4arch9wavefront6targetE0EEEvT1_
                                        ; -- End function
	.set _ZN7rocprim17ROCPRIM_400000_NS6detail17trampoline_kernelINS0_14default_configENS1_27scan_by_key_config_selectorIiiEEZZNS1_16scan_by_key_implILNS1_25lookback_scan_determinismE0ELb1ES3_N6thrust23THRUST_200600_302600_NS6detail15normal_iteratorINS9_10device_ptrIiEEEESE_SE_iNS9_10multipliesIiEENS9_8equal_toIiEEiEE10hipError_tPvRmT2_T3_T4_T5_mT6_T7_P12ihipStream_tbENKUlT_T0_E_clISt17integral_constantIbLb1EESZ_EEDaSU_SV_EUlSU_E_NS1_11comp_targetILNS1_3genE2ELNS1_11target_archE906ELNS1_3gpuE6ELNS1_3repE0EEENS1_30default_config_static_selectorELNS0_4arch9wavefront6targetE0EEEvT1_.num_vgpr, 0
	.set _ZN7rocprim17ROCPRIM_400000_NS6detail17trampoline_kernelINS0_14default_configENS1_27scan_by_key_config_selectorIiiEEZZNS1_16scan_by_key_implILNS1_25lookback_scan_determinismE0ELb1ES3_N6thrust23THRUST_200600_302600_NS6detail15normal_iteratorINS9_10device_ptrIiEEEESE_SE_iNS9_10multipliesIiEENS9_8equal_toIiEEiEE10hipError_tPvRmT2_T3_T4_T5_mT6_T7_P12ihipStream_tbENKUlT_T0_E_clISt17integral_constantIbLb1EESZ_EEDaSU_SV_EUlSU_E_NS1_11comp_targetILNS1_3genE2ELNS1_11target_archE906ELNS1_3gpuE6ELNS1_3repE0EEENS1_30default_config_static_selectorELNS0_4arch9wavefront6targetE0EEEvT1_.num_agpr, 0
	.set _ZN7rocprim17ROCPRIM_400000_NS6detail17trampoline_kernelINS0_14default_configENS1_27scan_by_key_config_selectorIiiEEZZNS1_16scan_by_key_implILNS1_25lookback_scan_determinismE0ELb1ES3_N6thrust23THRUST_200600_302600_NS6detail15normal_iteratorINS9_10device_ptrIiEEEESE_SE_iNS9_10multipliesIiEENS9_8equal_toIiEEiEE10hipError_tPvRmT2_T3_T4_T5_mT6_T7_P12ihipStream_tbENKUlT_T0_E_clISt17integral_constantIbLb1EESZ_EEDaSU_SV_EUlSU_E_NS1_11comp_targetILNS1_3genE2ELNS1_11target_archE906ELNS1_3gpuE6ELNS1_3repE0EEENS1_30default_config_static_selectorELNS0_4arch9wavefront6targetE0EEEvT1_.numbered_sgpr, 0
	.set _ZN7rocprim17ROCPRIM_400000_NS6detail17trampoline_kernelINS0_14default_configENS1_27scan_by_key_config_selectorIiiEEZZNS1_16scan_by_key_implILNS1_25lookback_scan_determinismE0ELb1ES3_N6thrust23THRUST_200600_302600_NS6detail15normal_iteratorINS9_10device_ptrIiEEEESE_SE_iNS9_10multipliesIiEENS9_8equal_toIiEEiEE10hipError_tPvRmT2_T3_T4_T5_mT6_T7_P12ihipStream_tbENKUlT_T0_E_clISt17integral_constantIbLb1EESZ_EEDaSU_SV_EUlSU_E_NS1_11comp_targetILNS1_3genE2ELNS1_11target_archE906ELNS1_3gpuE6ELNS1_3repE0EEENS1_30default_config_static_selectorELNS0_4arch9wavefront6targetE0EEEvT1_.num_named_barrier, 0
	.set _ZN7rocprim17ROCPRIM_400000_NS6detail17trampoline_kernelINS0_14default_configENS1_27scan_by_key_config_selectorIiiEEZZNS1_16scan_by_key_implILNS1_25lookback_scan_determinismE0ELb1ES3_N6thrust23THRUST_200600_302600_NS6detail15normal_iteratorINS9_10device_ptrIiEEEESE_SE_iNS9_10multipliesIiEENS9_8equal_toIiEEiEE10hipError_tPvRmT2_T3_T4_T5_mT6_T7_P12ihipStream_tbENKUlT_T0_E_clISt17integral_constantIbLb1EESZ_EEDaSU_SV_EUlSU_E_NS1_11comp_targetILNS1_3genE2ELNS1_11target_archE906ELNS1_3gpuE6ELNS1_3repE0EEENS1_30default_config_static_selectorELNS0_4arch9wavefront6targetE0EEEvT1_.private_seg_size, 0
	.set _ZN7rocprim17ROCPRIM_400000_NS6detail17trampoline_kernelINS0_14default_configENS1_27scan_by_key_config_selectorIiiEEZZNS1_16scan_by_key_implILNS1_25lookback_scan_determinismE0ELb1ES3_N6thrust23THRUST_200600_302600_NS6detail15normal_iteratorINS9_10device_ptrIiEEEESE_SE_iNS9_10multipliesIiEENS9_8equal_toIiEEiEE10hipError_tPvRmT2_T3_T4_T5_mT6_T7_P12ihipStream_tbENKUlT_T0_E_clISt17integral_constantIbLb1EESZ_EEDaSU_SV_EUlSU_E_NS1_11comp_targetILNS1_3genE2ELNS1_11target_archE906ELNS1_3gpuE6ELNS1_3repE0EEENS1_30default_config_static_selectorELNS0_4arch9wavefront6targetE0EEEvT1_.uses_vcc, 0
	.set _ZN7rocprim17ROCPRIM_400000_NS6detail17trampoline_kernelINS0_14default_configENS1_27scan_by_key_config_selectorIiiEEZZNS1_16scan_by_key_implILNS1_25lookback_scan_determinismE0ELb1ES3_N6thrust23THRUST_200600_302600_NS6detail15normal_iteratorINS9_10device_ptrIiEEEESE_SE_iNS9_10multipliesIiEENS9_8equal_toIiEEiEE10hipError_tPvRmT2_T3_T4_T5_mT6_T7_P12ihipStream_tbENKUlT_T0_E_clISt17integral_constantIbLb1EESZ_EEDaSU_SV_EUlSU_E_NS1_11comp_targetILNS1_3genE2ELNS1_11target_archE906ELNS1_3gpuE6ELNS1_3repE0EEENS1_30default_config_static_selectorELNS0_4arch9wavefront6targetE0EEEvT1_.uses_flat_scratch, 0
	.set _ZN7rocprim17ROCPRIM_400000_NS6detail17trampoline_kernelINS0_14default_configENS1_27scan_by_key_config_selectorIiiEEZZNS1_16scan_by_key_implILNS1_25lookback_scan_determinismE0ELb1ES3_N6thrust23THRUST_200600_302600_NS6detail15normal_iteratorINS9_10device_ptrIiEEEESE_SE_iNS9_10multipliesIiEENS9_8equal_toIiEEiEE10hipError_tPvRmT2_T3_T4_T5_mT6_T7_P12ihipStream_tbENKUlT_T0_E_clISt17integral_constantIbLb1EESZ_EEDaSU_SV_EUlSU_E_NS1_11comp_targetILNS1_3genE2ELNS1_11target_archE906ELNS1_3gpuE6ELNS1_3repE0EEENS1_30default_config_static_selectorELNS0_4arch9wavefront6targetE0EEEvT1_.has_dyn_sized_stack, 0
	.set _ZN7rocprim17ROCPRIM_400000_NS6detail17trampoline_kernelINS0_14default_configENS1_27scan_by_key_config_selectorIiiEEZZNS1_16scan_by_key_implILNS1_25lookback_scan_determinismE0ELb1ES3_N6thrust23THRUST_200600_302600_NS6detail15normal_iteratorINS9_10device_ptrIiEEEESE_SE_iNS9_10multipliesIiEENS9_8equal_toIiEEiEE10hipError_tPvRmT2_T3_T4_T5_mT6_T7_P12ihipStream_tbENKUlT_T0_E_clISt17integral_constantIbLb1EESZ_EEDaSU_SV_EUlSU_E_NS1_11comp_targetILNS1_3genE2ELNS1_11target_archE906ELNS1_3gpuE6ELNS1_3repE0EEENS1_30default_config_static_selectorELNS0_4arch9wavefront6targetE0EEEvT1_.has_recursion, 0
	.set _ZN7rocprim17ROCPRIM_400000_NS6detail17trampoline_kernelINS0_14default_configENS1_27scan_by_key_config_selectorIiiEEZZNS1_16scan_by_key_implILNS1_25lookback_scan_determinismE0ELb1ES3_N6thrust23THRUST_200600_302600_NS6detail15normal_iteratorINS9_10device_ptrIiEEEESE_SE_iNS9_10multipliesIiEENS9_8equal_toIiEEiEE10hipError_tPvRmT2_T3_T4_T5_mT6_T7_P12ihipStream_tbENKUlT_T0_E_clISt17integral_constantIbLb1EESZ_EEDaSU_SV_EUlSU_E_NS1_11comp_targetILNS1_3genE2ELNS1_11target_archE906ELNS1_3gpuE6ELNS1_3repE0EEENS1_30default_config_static_selectorELNS0_4arch9wavefront6targetE0EEEvT1_.has_indirect_call, 0
	.section	.AMDGPU.csdata,"",@progbits
; Kernel info:
; codeLenInByte = 0
; TotalNumSgprs: 0
; NumVgprs: 0
; ScratchSize: 0
; MemoryBound: 0
; FloatMode: 240
; IeeeMode: 1
; LDSByteSize: 0 bytes/workgroup (compile time only)
; SGPRBlocks: 0
; VGPRBlocks: 0
; NumSGPRsForWavesPerEU: 1
; NumVGPRsForWavesPerEU: 1
; Occupancy: 16
; WaveLimiterHint : 0
; COMPUTE_PGM_RSRC2:SCRATCH_EN: 0
; COMPUTE_PGM_RSRC2:USER_SGPR: 6
; COMPUTE_PGM_RSRC2:TRAP_HANDLER: 0
; COMPUTE_PGM_RSRC2:TGID_X_EN: 1
; COMPUTE_PGM_RSRC2:TGID_Y_EN: 0
; COMPUTE_PGM_RSRC2:TGID_Z_EN: 0
; COMPUTE_PGM_RSRC2:TIDIG_COMP_CNT: 0
	.section	.text._ZN7rocprim17ROCPRIM_400000_NS6detail17trampoline_kernelINS0_14default_configENS1_27scan_by_key_config_selectorIiiEEZZNS1_16scan_by_key_implILNS1_25lookback_scan_determinismE0ELb1ES3_N6thrust23THRUST_200600_302600_NS6detail15normal_iteratorINS9_10device_ptrIiEEEESE_SE_iNS9_10multipliesIiEENS9_8equal_toIiEEiEE10hipError_tPvRmT2_T3_T4_T5_mT6_T7_P12ihipStream_tbENKUlT_T0_E_clISt17integral_constantIbLb1EESZ_EEDaSU_SV_EUlSU_E_NS1_11comp_targetILNS1_3genE10ELNS1_11target_archE1200ELNS1_3gpuE4ELNS1_3repE0EEENS1_30default_config_static_selectorELNS0_4arch9wavefront6targetE0EEEvT1_,"axG",@progbits,_ZN7rocprim17ROCPRIM_400000_NS6detail17trampoline_kernelINS0_14default_configENS1_27scan_by_key_config_selectorIiiEEZZNS1_16scan_by_key_implILNS1_25lookback_scan_determinismE0ELb1ES3_N6thrust23THRUST_200600_302600_NS6detail15normal_iteratorINS9_10device_ptrIiEEEESE_SE_iNS9_10multipliesIiEENS9_8equal_toIiEEiEE10hipError_tPvRmT2_T3_T4_T5_mT6_T7_P12ihipStream_tbENKUlT_T0_E_clISt17integral_constantIbLb1EESZ_EEDaSU_SV_EUlSU_E_NS1_11comp_targetILNS1_3genE10ELNS1_11target_archE1200ELNS1_3gpuE4ELNS1_3repE0EEENS1_30default_config_static_selectorELNS0_4arch9wavefront6targetE0EEEvT1_,comdat
	.protected	_ZN7rocprim17ROCPRIM_400000_NS6detail17trampoline_kernelINS0_14default_configENS1_27scan_by_key_config_selectorIiiEEZZNS1_16scan_by_key_implILNS1_25lookback_scan_determinismE0ELb1ES3_N6thrust23THRUST_200600_302600_NS6detail15normal_iteratorINS9_10device_ptrIiEEEESE_SE_iNS9_10multipliesIiEENS9_8equal_toIiEEiEE10hipError_tPvRmT2_T3_T4_T5_mT6_T7_P12ihipStream_tbENKUlT_T0_E_clISt17integral_constantIbLb1EESZ_EEDaSU_SV_EUlSU_E_NS1_11comp_targetILNS1_3genE10ELNS1_11target_archE1200ELNS1_3gpuE4ELNS1_3repE0EEENS1_30default_config_static_selectorELNS0_4arch9wavefront6targetE0EEEvT1_ ; -- Begin function _ZN7rocprim17ROCPRIM_400000_NS6detail17trampoline_kernelINS0_14default_configENS1_27scan_by_key_config_selectorIiiEEZZNS1_16scan_by_key_implILNS1_25lookback_scan_determinismE0ELb1ES3_N6thrust23THRUST_200600_302600_NS6detail15normal_iteratorINS9_10device_ptrIiEEEESE_SE_iNS9_10multipliesIiEENS9_8equal_toIiEEiEE10hipError_tPvRmT2_T3_T4_T5_mT6_T7_P12ihipStream_tbENKUlT_T0_E_clISt17integral_constantIbLb1EESZ_EEDaSU_SV_EUlSU_E_NS1_11comp_targetILNS1_3genE10ELNS1_11target_archE1200ELNS1_3gpuE4ELNS1_3repE0EEENS1_30default_config_static_selectorELNS0_4arch9wavefront6targetE0EEEvT1_
	.globl	_ZN7rocprim17ROCPRIM_400000_NS6detail17trampoline_kernelINS0_14default_configENS1_27scan_by_key_config_selectorIiiEEZZNS1_16scan_by_key_implILNS1_25lookback_scan_determinismE0ELb1ES3_N6thrust23THRUST_200600_302600_NS6detail15normal_iteratorINS9_10device_ptrIiEEEESE_SE_iNS9_10multipliesIiEENS9_8equal_toIiEEiEE10hipError_tPvRmT2_T3_T4_T5_mT6_T7_P12ihipStream_tbENKUlT_T0_E_clISt17integral_constantIbLb1EESZ_EEDaSU_SV_EUlSU_E_NS1_11comp_targetILNS1_3genE10ELNS1_11target_archE1200ELNS1_3gpuE4ELNS1_3repE0EEENS1_30default_config_static_selectorELNS0_4arch9wavefront6targetE0EEEvT1_
	.p2align	8
	.type	_ZN7rocprim17ROCPRIM_400000_NS6detail17trampoline_kernelINS0_14default_configENS1_27scan_by_key_config_selectorIiiEEZZNS1_16scan_by_key_implILNS1_25lookback_scan_determinismE0ELb1ES3_N6thrust23THRUST_200600_302600_NS6detail15normal_iteratorINS9_10device_ptrIiEEEESE_SE_iNS9_10multipliesIiEENS9_8equal_toIiEEiEE10hipError_tPvRmT2_T3_T4_T5_mT6_T7_P12ihipStream_tbENKUlT_T0_E_clISt17integral_constantIbLb1EESZ_EEDaSU_SV_EUlSU_E_NS1_11comp_targetILNS1_3genE10ELNS1_11target_archE1200ELNS1_3gpuE4ELNS1_3repE0EEENS1_30default_config_static_selectorELNS0_4arch9wavefront6targetE0EEEvT1_,@function
_ZN7rocprim17ROCPRIM_400000_NS6detail17trampoline_kernelINS0_14default_configENS1_27scan_by_key_config_selectorIiiEEZZNS1_16scan_by_key_implILNS1_25lookback_scan_determinismE0ELb1ES3_N6thrust23THRUST_200600_302600_NS6detail15normal_iteratorINS9_10device_ptrIiEEEESE_SE_iNS9_10multipliesIiEENS9_8equal_toIiEEiEE10hipError_tPvRmT2_T3_T4_T5_mT6_T7_P12ihipStream_tbENKUlT_T0_E_clISt17integral_constantIbLb1EESZ_EEDaSU_SV_EUlSU_E_NS1_11comp_targetILNS1_3genE10ELNS1_11target_archE1200ELNS1_3gpuE4ELNS1_3repE0EEENS1_30default_config_static_selectorELNS0_4arch9wavefront6targetE0EEEvT1_: ; @_ZN7rocprim17ROCPRIM_400000_NS6detail17trampoline_kernelINS0_14default_configENS1_27scan_by_key_config_selectorIiiEEZZNS1_16scan_by_key_implILNS1_25lookback_scan_determinismE0ELb1ES3_N6thrust23THRUST_200600_302600_NS6detail15normal_iteratorINS9_10device_ptrIiEEEESE_SE_iNS9_10multipliesIiEENS9_8equal_toIiEEiEE10hipError_tPvRmT2_T3_T4_T5_mT6_T7_P12ihipStream_tbENKUlT_T0_E_clISt17integral_constantIbLb1EESZ_EEDaSU_SV_EUlSU_E_NS1_11comp_targetILNS1_3genE10ELNS1_11target_archE1200ELNS1_3gpuE4ELNS1_3repE0EEENS1_30default_config_static_selectorELNS0_4arch9wavefront6targetE0EEEvT1_
; %bb.0:
	.section	.rodata,"a",@progbits
	.p2align	6, 0x0
	.amdhsa_kernel _ZN7rocprim17ROCPRIM_400000_NS6detail17trampoline_kernelINS0_14default_configENS1_27scan_by_key_config_selectorIiiEEZZNS1_16scan_by_key_implILNS1_25lookback_scan_determinismE0ELb1ES3_N6thrust23THRUST_200600_302600_NS6detail15normal_iteratorINS9_10device_ptrIiEEEESE_SE_iNS9_10multipliesIiEENS9_8equal_toIiEEiEE10hipError_tPvRmT2_T3_T4_T5_mT6_T7_P12ihipStream_tbENKUlT_T0_E_clISt17integral_constantIbLb1EESZ_EEDaSU_SV_EUlSU_E_NS1_11comp_targetILNS1_3genE10ELNS1_11target_archE1200ELNS1_3gpuE4ELNS1_3repE0EEENS1_30default_config_static_selectorELNS0_4arch9wavefront6targetE0EEEvT1_
		.amdhsa_group_segment_fixed_size 0
		.amdhsa_private_segment_fixed_size 0
		.amdhsa_kernarg_size 112
		.amdhsa_user_sgpr_count 6
		.amdhsa_user_sgpr_private_segment_buffer 1
		.amdhsa_user_sgpr_dispatch_ptr 0
		.amdhsa_user_sgpr_queue_ptr 0
		.amdhsa_user_sgpr_kernarg_segment_ptr 1
		.amdhsa_user_sgpr_dispatch_id 0
		.amdhsa_user_sgpr_flat_scratch_init 0
		.amdhsa_user_sgpr_private_segment_size 0
		.amdhsa_wavefront_size32 1
		.amdhsa_uses_dynamic_stack 0
		.amdhsa_system_sgpr_private_segment_wavefront_offset 0
		.amdhsa_system_sgpr_workgroup_id_x 1
		.amdhsa_system_sgpr_workgroup_id_y 0
		.amdhsa_system_sgpr_workgroup_id_z 0
		.amdhsa_system_sgpr_workgroup_info 0
		.amdhsa_system_vgpr_workitem_id 0
		.amdhsa_next_free_vgpr 1
		.amdhsa_next_free_sgpr 1
		.amdhsa_reserve_vcc 0
		.amdhsa_reserve_flat_scratch 0
		.amdhsa_float_round_mode_32 0
		.amdhsa_float_round_mode_16_64 0
		.amdhsa_float_denorm_mode_32 3
		.amdhsa_float_denorm_mode_16_64 3
		.amdhsa_dx10_clamp 1
		.amdhsa_ieee_mode 1
		.amdhsa_fp16_overflow 0
		.amdhsa_workgroup_processor_mode 1
		.amdhsa_memory_ordered 1
		.amdhsa_forward_progress 1
		.amdhsa_shared_vgpr_count 0
		.amdhsa_exception_fp_ieee_invalid_op 0
		.amdhsa_exception_fp_denorm_src 0
		.amdhsa_exception_fp_ieee_div_zero 0
		.amdhsa_exception_fp_ieee_overflow 0
		.amdhsa_exception_fp_ieee_underflow 0
		.amdhsa_exception_fp_ieee_inexact 0
		.amdhsa_exception_int_div_zero 0
	.end_amdhsa_kernel
	.section	.text._ZN7rocprim17ROCPRIM_400000_NS6detail17trampoline_kernelINS0_14default_configENS1_27scan_by_key_config_selectorIiiEEZZNS1_16scan_by_key_implILNS1_25lookback_scan_determinismE0ELb1ES3_N6thrust23THRUST_200600_302600_NS6detail15normal_iteratorINS9_10device_ptrIiEEEESE_SE_iNS9_10multipliesIiEENS9_8equal_toIiEEiEE10hipError_tPvRmT2_T3_T4_T5_mT6_T7_P12ihipStream_tbENKUlT_T0_E_clISt17integral_constantIbLb1EESZ_EEDaSU_SV_EUlSU_E_NS1_11comp_targetILNS1_3genE10ELNS1_11target_archE1200ELNS1_3gpuE4ELNS1_3repE0EEENS1_30default_config_static_selectorELNS0_4arch9wavefront6targetE0EEEvT1_,"axG",@progbits,_ZN7rocprim17ROCPRIM_400000_NS6detail17trampoline_kernelINS0_14default_configENS1_27scan_by_key_config_selectorIiiEEZZNS1_16scan_by_key_implILNS1_25lookback_scan_determinismE0ELb1ES3_N6thrust23THRUST_200600_302600_NS6detail15normal_iteratorINS9_10device_ptrIiEEEESE_SE_iNS9_10multipliesIiEENS9_8equal_toIiEEiEE10hipError_tPvRmT2_T3_T4_T5_mT6_T7_P12ihipStream_tbENKUlT_T0_E_clISt17integral_constantIbLb1EESZ_EEDaSU_SV_EUlSU_E_NS1_11comp_targetILNS1_3genE10ELNS1_11target_archE1200ELNS1_3gpuE4ELNS1_3repE0EEENS1_30default_config_static_selectorELNS0_4arch9wavefront6targetE0EEEvT1_,comdat
.Lfunc_end512:
	.size	_ZN7rocprim17ROCPRIM_400000_NS6detail17trampoline_kernelINS0_14default_configENS1_27scan_by_key_config_selectorIiiEEZZNS1_16scan_by_key_implILNS1_25lookback_scan_determinismE0ELb1ES3_N6thrust23THRUST_200600_302600_NS6detail15normal_iteratorINS9_10device_ptrIiEEEESE_SE_iNS9_10multipliesIiEENS9_8equal_toIiEEiEE10hipError_tPvRmT2_T3_T4_T5_mT6_T7_P12ihipStream_tbENKUlT_T0_E_clISt17integral_constantIbLb1EESZ_EEDaSU_SV_EUlSU_E_NS1_11comp_targetILNS1_3genE10ELNS1_11target_archE1200ELNS1_3gpuE4ELNS1_3repE0EEENS1_30default_config_static_selectorELNS0_4arch9wavefront6targetE0EEEvT1_, .Lfunc_end512-_ZN7rocprim17ROCPRIM_400000_NS6detail17trampoline_kernelINS0_14default_configENS1_27scan_by_key_config_selectorIiiEEZZNS1_16scan_by_key_implILNS1_25lookback_scan_determinismE0ELb1ES3_N6thrust23THRUST_200600_302600_NS6detail15normal_iteratorINS9_10device_ptrIiEEEESE_SE_iNS9_10multipliesIiEENS9_8equal_toIiEEiEE10hipError_tPvRmT2_T3_T4_T5_mT6_T7_P12ihipStream_tbENKUlT_T0_E_clISt17integral_constantIbLb1EESZ_EEDaSU_SV_EUlSU_E_NS1_11comp_targetILNS1_3genE10ELNS1_11target_archE1200ELNS1_3gpuE4ELNS1_3repE0EEENS1_30default_config_static_selectorELNS0_4arch9wavefront6targetE0EEEvT1_
                                        ; -- End function
	.set _ZN7rocprim17ROCPRIM_400000_NS6detail17trampoline_kernelINS0_14default_configENS1_27scan_by_key_config_selectorIiiEEZZNS1_16scan_by_key_implILNS1_25lookback_scan_determinismE0ELb1ES3_N6thrust23THRUST_200600_302600_NS6detail15normal_iteratorINS9_10device_ptrIiEEEESE_SE_iNS9_10multipliesIiEENS9_8equal_toIiEEiEE10hipError_tPvRmT2_T3_T4_T5_mT6_T7_P12ihipStream_tbENKUlT_T0_E_clISt17integral_constantIbLb1EESZ_EEDaSU_SV_EUlSU_E_NS1_11comp_targetILNS1_3genE10ELNS1_11target_archE1200ELNS1_3gpuE4ELNS1_3repE0EEENS1_30default_config_static_selectorELNS0_4arch9wavefront6targetE0EEEvT1_.num_vgpr, 0
	.set _ZN7rocprim17ROCPRIM_400000_NS6detail17trampoline_kernelINS0_14default_configENS1_27scan_by_key_config_selectorIiiEEZZNS1_16scan_by_key_implILNS1_25lookback_scan_determinismE0ELb1ES3_N6thrust23THRUST_200600_302600_NS6detail15normal_iteratorINS9_10device_ptrIiEEEESE_SE_iNS9_10multipliesIiEENS9_8equal_toIiEEiEE10hipError_tPvRmT2_T3_T4_T5_mT6_T7_P12ihipStream_tbENKUlT_T0_E_clISt17integral_constantIbLb1EESZ_EEDaSU_SV_EUlSU_E_NS1_11comp_targetILNS1_3genE10ELNS1_11target_archE1200ELNS1_3gpuE4ELNS1_3repE0EEENS1_30default_config_static_selectorELNS0_4arch9wavefront6targetE0EEEvT1_.num_agpr, 0
	.set _ZN7rocprim17ROCPRIM_400000_NS6detail17trampoline_kernelINS0_14default_configENS1_27scan_by_key_config_selectorIiiEEZZNS1_16scan_by_key_implILNS1_25lookback_scan_determinismE0ELb1ES3_N6thrust23THRUST_200600_302600_NS6detail15normal_iteratorINS9_10device_ptrIiEEEESE_SE_iNS9_10multipliesIiEENS9_8equal_toIiEEiEE10hipError_tPvRmT2_T3_T4_T5_mT6_T7_P12ihipStream_tbENKUlT_T0_E_clISt17integral_constantIbLb1EESZ_EEDaSU_SV_EUlSU_E_NS1_11comp_targetILNS1_3genE10ELNS1_11target_archE1200ELNS1_3gpuE4ELNS1_3repE0EEENS1_30default_config_static_selectorELNS0_4arch9wavefront6targetE0EEEvT1_.numbered_sgpr, 0
	.set _ZN7rocprim17ROCPRIM_400000_NS6detail17trampoline_kernelINS0_14default_configENS1_27scan_by_key_config_selectorIiiEEZZNS1_16scan_by_key_implILNS1_25lookback_scan_determinismE0ELb1ES3_N6thrust23THRUST_200600_302600_NS6detail15normal_iteratorINS9_10device_ptrIiEEEESE_SE_iNS9_10multipliesIiEENS9_8equal_toIiEEiEE10hipError_tPvRmT2_T3_T4_T5_mT6_T7_P12ihipStream_tbENKUlT_T0_E_clISt17integral_constantIbLb1EESZ_EEDaSU_SV_EUlSU_E_NS1_11comp_targetILNS1_3genE10ELNS1_11target_archE1200ELNS1_3gpuE4ELNS1_3repE0EEENS1_30default_config_static_selectorELNS0_4arch9wavefront6targetE0EEEvT1_.num_named_barrier, 0
	.set _ZN7rocprim17ROCPRIM_400000_NS6detail17trampoline_kernelINS0_14default_configENS1_27scan_by_key_config_selectorIiiEEZZNS1_16scan_by_key_implILNS1_25lookback_scan_determinismE0ELb1ES3_N6thrust23THRUST_200600_302600_NS6detail15normal_iteratorINS9_10device_ptrIiEEEESE_SE_iNS9_10multipliesIiEENS9_8equal_toIiEEiEE10hipError_tPvRmT2_T3_T4_T5_mT6_T7_P12ihipStream_tbENKUlT_T0_E_clISt17integral_constantIbLb1EESZ_EEDaSU_SV_EUlSU_E_NS1_11comp_targetILNS1_3genE10ELNS1_11target_archE1200ELNS1_3gpuE4ELNS1_3repE0EEENS1_30default_config_static_selectorELNS0_4arch9wavefront6targetE0EEEvT1_.private_seg_size, 0
	.set _ZN7rocprim17ROCPRIM_400000_NS6detail17trampoline_kernelINS0_14default_configENS1_27scan_by_key_config_selectorIiiEEZZNS1_16scan_by_key_implILNS1_25lookback_scan_determinismE0ELb1ES3_N6thrust23THRUST_200600_302600_NS6detail15normal_iteratorINS9_10device_ptrIiEEEESE_SE_iNS9_10multipliesIiEENS9_8equal_toIiEEiEE10hipError_tPvRmT2_T3_T4_T5_mT6_T7_P12ihipStream_tbENKUlT_T0_E_clISt17integral_constantIbLb1EESZ_EEDaSU_SV_EUlSU_E_NS1_11comp_targetILNS1_3genE10ELNS1_11target_archE1200ELNS1_3gpuE4ELNS1_3repE0EEENS1_30default_config_static_selectorELNS0_4arch9wavefront6targetE0EEEvT1_.uses_vcc, 0
	.set _ZN7rocprim17ROCPRIM_400000_NS6detail17trampoline_kernelINS0_14default_configENS1_27scan_by_key_config_selectorIiiEEZZNS1_16scan_by_key_implILNS1_25lookback_scan_determinismE0ELb1ES3_N6thrust23THRUST_200600_302600_NS6detail15normal_iteratorINS9_10device_ptrIiEEEESE_SE_iNS9_10multipliesIiEENS9_8equal_toIiEEiEE10hipError_tPvRmT2_T3_T4_T5_mT6_T7_P12ihipStream_tbENKUlT_T0_E_clISt17integral_constantIbLb1EESZ_EEDaSU_SV_EUlSU_E_NS1_11comp_targetILNS1_3genE10ELNS1_11target_archE1200ELNS1_3gpuE4ELNS1_3repE0EEENS1_30default_config_static_selectorELNS0_4arch9wavefront6targetE0EEEvT1_.uses_flat_scratch, 0
	.set _ZN7rocprim17ROCPRIM_400000_NS6detail17trampoline_kernelINS0_14default_configENS1_27scan_by_key_config_selectorIiiEEZZNS1_16scan_by_key_implILNS1_25lookback_scan_determinismE0ELb1ES3_N6thrust23THRUST_200600_302600_NS6detail15normal_iteratorINS9_10device_ptrIiEEEESE_SE_iNS9_10multipliesIiEENS9_8equal_toIiEEiEE10hipError_tPvRmT2_T3_T4_T5_mT6_T7_P12ihipStream_tbENKUlT_T0_E_clISt17integral_constantIbLb1EESZ_EEDaSU_SV_EUlSU_E_NS1_11comp_targetILNS1_3genE10ELNS1_11target_archE1200ELNS1_3gpuE4ELNS1_3repE0EEENS1_30default_config_static_selectorELNS0_4arch9wavefront6targetE0EEEvT1_.has_dyn_sized_stack, 0
	.set _ZN7rocprim17ROCPRIM_400000_NS6detail17trampoline_kernelINS0_14default_configENS1_27scan_by_key_config_selectorIiiEEZZNS1_16scan_by_key_implILNS1_25lookback_scan_determinismE0ELb1ES3_N6thrust23THRUST_200600_302600_NS6detail15normal_iteratorINS9_10device_ptrIiEEEESE_SE_iNS9_10multipliesIiEENS9_8equal_toIiEEiEE10hipError_tPvRmT2_T3_T4_T5_mT6_T7_P12ihipStream_tbENKUlT_T0_E_clISt17integral_constantIbLb1EESZ_EEDaSU_SV_EUlSU_E_NS1_11comp_targetILNS1_3genE10ELNS1_11target_archE1200ELNS1_3gpuE4ELNS1_3repE0EEENS1_30default_config_static_selectorELNS0_4arch9wavefront6targetE0EEEvT1_.has_recursion, 0
	.set _ZN7rocprim17ROCPRIM_400000_NS6detail17trampoline_kernelINS0_14default_configENS1_27scan_by_key_config_selectorIiiEEZZNS1_16scan_by_key_implILNS1_25lookback_scan_determinismE0ELb1ES3_N6thrust23THRUST_200600_302600_NS6detail15normal_iteratorINS9_10device_ptrIiEEEESE_SE_iNS9_10multipliesIiEENS9_8equal_toIiEEiEE10hipError_tPvRmT2_T3_T4_T5_mT6_T7_P12ihipStream_tbENKUlT_T0_E_clISt17integral_constantIbLb1EESZ_EEDaSU_SV_EUlSU_E_NS1_11comp_targetILNS1_3genE10ELNS1_11target_archE1200ELNS1_3gpuE4ELNS1_3repE0EEENS1_30default_config_static_selectorELNS0_4arch9wavefront6targetE0EEEvT1_.has_indirect_call, 0
	.section	.AMDGPU.csdata,"",@progbits
; Kernel info:
; codeLenInByte = 0
; TotalNumSgprs: 0
; NumVgprs: 0
; ScratchSize: 0
; MemoryBound: 0
; FloatMode: 240
; IeeeMode: 1
; LDSByteSize: 0 bytes/workgroup (compile time only)
; SGPRBlocks: 0
; VGPRBlocks: 0
; NumSGPRsForWavesPerEU: 1
; NumVGPRsForWavesPerEU: 1
; Occupancy: 16
; WaveLimiterHint : 0
; COMPUTE_PGM_RSRC2:SCRATCH_EN: 0
; COMPUTE_PGM_RSRC2:USER_SGPR: 6
; COMPUTE_PGM_RSRC2:TRAP_HANDLER: 0
; COMPUTE_PGM_RSRC2:TGID_X_EN: 1
; COMPUTE_PGM_RSRC2:TGID_Y_EN: 0
; COMPUTE_PGM_RSRC2:TGID_Z_EN: 0
; COMPUTE_PGM_RSRC2:TIDIG_COMP_CNT: 0
	.section	.text._ZN7rocprim17ROCPRIM_400000_NS6detail17trampoline_kernelINS0_14default_configENS1_27scan_by_key_config_selectorIiiEEZZNS1_16scan_by_key_implILNS1_25lookback_scan_determinismE0ELb1ES3_N6thrust23THRUST_200600_302600_NS6detail15normal_iteratorINS9_10device_ptrIiEEEESE_SE_iNS9_10multipliesIiEENS9_8equal_toIiEEiEE10hipError_tPvRmT2_T3_T4_T5_mT6_T7_P12ihipStream_tbENKUlT_T0_E_clISt17integral_constantIbLb1EESZ_EEDaSU_SV_EUlSU_E_NS1_11comp_targetILNS1_3genE9ELNS1_11target_archE1100ELNS1_3gpuE3ELNS1_3repE0EEENS1_30default_config_static_selectorELNS0_4arch9wavefront6targetE0EEEvT1_,"axG",@progbits,_ZN7rocprim17ROCPRIM_400000_NS6detail17trampoline_kernelINS0_14default_configENS1_27scan_by_key_config_selectorIiiEEZZNS1_16scan_by_key_implILNS1_25lookback_scan_determinismE0ELb1ES3_N6thrust23THRUST_200600_302600_NS6detail15normal_iteratorINS9_10device_ptrIiEEEESE_SE_iNS9_10multipliesIiEENS9_8equal_toIiEEiEE10hipError_tPvRmT2_T3_T4_T5_mT6_T7_P12ihipStream_tbENKUlT_T0_E_clISt17integral_constantIbLb1EESZ_EEDaSU_SV_EUlSU_E_NS1_11comp_targetILNS1_3genE9ELNS1_11target_archE1100ELNS1_3gpuE3ELNS1_3repE0EEENS1_30default_config_static_selectorELNS0_4arch9wavefront6targetE0EEEvT1_,comdat
	.protected	_ZN7rocprim17ROCPRIM_400000_NS6detail17trampoline_kernelINS0_14default_configENS1_27scan_by_key_config_selectorIiiEEZZNS1_16scan_by_key_implILNS1_25lookback_scan_determinismE0ELb1ES3_N6thrust23THRUST_200600_302600_NS6detail15normal_iteratorINS9_10device_ptrIiEEEESE_SE_iNS9_10multipliesIiEENS9_8equal_toIiEEiEE10hipError_tPvRmT2_T3_T4_T5_mT6_T7_P12ihipStream_tbENKUlT_T0_E_clISt17integral_constantIbLb1EESZ_EEDaSU_SV_EUlSU_E_NS1_11comp_targetILNS1_3genE9ELNS1_11target_archE1100ELNS1_3gpuE3ELNS1_3repE0EEENS1_30default_config_static_selectorELNS0_4arch9wavefront6targetE0EEEvT1_ ; -- Begin function _ZN7rocprim17ROCPRIM_400000_NS6detail17trampoline_kernelINS0_14default_configENS1_27scan_by_key_config_selectorIiiEEZZNS1_16scan_by_key_implILNS1_25lookback_scan_determinismE0ELb1ES3_N6thrust23THRUST_200600_302600_NS6detail15normal_iteratorINS9_10device_ptrIiEEEESE_SE_iNS9_10multipliesIiEENS9_8equal_toIiEEiEE10hipError_tPvRmT2_T3_T4_T5_mT6_T7_P12ihipStream_tbENKUlT_T0_E_clISt17integral_constantIbLb1EESZ_EEDaSU_SV_EUlSU_E_NS1_11comp_targetILNS1_3genE9ELNS1_11target_archE1100ELNS1_3gpuE3ELNS1_3repE0EEENS1_30default_config_static_selectorELNS0_4arch9wavefront6targetE0EEEvT1_
	.globl	_ZN7rocprim17ROCPRIM_400000_NS6detail17trampoline_kernelINS0_14default_configENS1_27scan_by_key_config_selectorIiiEEZZNS1_16scan_by_key_implILNS1_25lookback_scan_determinismE0ELb1ES3_N6thrust23THRUST_200600_302600_NS6detail15normal_iteratorINS9_10device_ptrIiEEEESE_SE_iNS9_10multipliesIiEENS9_8equal_toIiEEiEE10hipError_tPvRmT2_T3_T4_T5_mT6_T7_P12ihipStream_tbENKUlT_T0_E_clISt17integral_constantIbLb1EESZ_EEDaSU_SV_EUlSU_E_NS1_11comp_targetILNS1_3genE9ELNS1_11target_archE1100ELNS1_3gpuE3ELNS1_3repE0EEENS1_30default_config_static_selectorELNS0_4arch9wavefront6targetE0EEEvT1_
	.p2align	8
	.type	_ZN7rocprim17ROCPRIM_400000_NS6detail17trampoline_kernelINS0_14default_configENS1_27scan_by_key_config_selectorIiiEEZZNS1_16scan_by_key_implILNS1_25lookback_scan_determinismE0ELb1ES3_N6thrust23THRUST_200600_302600_NS6detail15normal_iteratorINS9_10device_ptrIiEEEESE_SE_iNS9_10multipliesIiEENS9_8equal_toIiEEiEE10hipError_tPvRmT2_T3_T4_T5_mT6_T7_P12ihipStream_tbENKUlT_T0_E_clISt17integral_constantIbLb1EESZ_EEDaSU_SV_EUlSU_E_NS1_11comp_targetILNS1_3genE9ELNS1_11target_archE1100ELNS1_3gpuE3ELNS1_3repE0EEENS1_30default_config_static_selectorELNS0_4arch9wavefront6targetE0EEEvT1_,@function
_ZN7rocprim17ROCPRIM_400000_NS6detail17trampoline_kernelINS0_14default_configENS1_27scan_by_key_config_selectorIiiEEZZNS1_16scan_by_key_implILNS1_25lookback_scan_determinismE0ELb1ES3_N6thrust23THRUST_200600_302600_NS6detail15normal_iteratorINS9_10device_ptrIiEEEESE_SE_iNS9_10multipliesIiEENS9_8equal_toIiEEiEE10hipError_tPvRmT2_T3_T4_T5_mT6_T7_P12ihipStream_tbENKUlT_T0_E_clISt17integral_constantIbLb1EESZ_EEDaSU_SV_EUlSU_E_NS1_11comp_targetILNS1_3genE9ELNS1_11target_archE1100ELNS1_3gpuE3ELNS1_3repE0EEENS1_30default_config_static_selectorELNS0_4arch9wavefront6targetE0EEEvT1_: ; @_ZN7rocprim17ROCPRIM_400000_NS6detail17trampoline_kernelINS0_14default_configENS1_27scan_by_key_config_selectorIiiEEZZNS1_16scan_by_key_implILNS1_25lookback_scan_determinismE0ELb1ES3_N6thrust23THRUST_200600_302600_NS6detail15normal_iteratorINS9_10device_ptrIiEEEESE_SE_iNS9_10multipliesIiEENS9_8equal_toIiEEiEE10hipError_tPvRmT2_T3_T4_T5_mT6_T7_P12ihipStream_tbENKUlT_T0_E_clISt17integral_constantIbLb1EESZ_EEDaSU_SV_EUlSU_E_NS1_11comp_targetILNS1_3genE9ELNS1_11target_archE1100ELNS1_3gpuE3ELNS1_3repE0EEENS1_30default_config_static_selectorELNS0_4arch9wavefront6targetE0EEEvT1_
; %bb.0:
	.section	.rodata,"a",@progbits
	.p2align	6, 0x0
	.amdhsa_kernel _ZN7rocprim17ROCPRIM_400000_NS6detail17trampoline_kernelINS0_14default_configENS1_27scan_by_key_config_selectorIiiEEZZNS1_16scan_by_key_implILNS1_25lookback_scan_determinismE0ELb1ES3_N6thrust23THRUST_200600_302600_NS6detail15normal_iteratorINS9_10device_ptrIiEEEESE_SE_iNS9_10multipliesIiEENS9_8equal_toIiEEiEE10hipError_tPvRmT2_T3_T4_T5_mT6_T7_P12ihipStream_tbENKUlT_T0_E_clISt17integral_constantIbLb1EESZ_EEDaSU_SV_EUlSU_E_NS1_11comp_targetILNS1_3genE9ELNS1_11target_archE1100ELNS1_3gpuE3ELNS1_3repE0EEENS1_30default_config_static_selectorELNS0_4arch9wavefront6targetE0EEEvT1_
		.amdhsa_group_segment_fixed_size 0
		.amdhsa_private_segment_fixed_size 0
		.amdhsa_kernarg_size 112
		.amdhsa_user_sgpr_count 6
		.amdhsa_user_sgpr_private_segment_buffer 1
		.amdhsa_user_sgpr_dispatch_ptr 0
		.amdhsa_user_sgpr_queue_ptr 0
		.amdhsa_user_sgpr_kernarg_segment_ptr 1
		.amdhsa_user_sgpr_dispatch_id 0
		.amdhsa_user_sgpr_flat_scratch_init 0
		.amdhsa_user_sgpr_private_segment_size 0
		.amdhsa_wavefront_size32 1
		.amdhsa_uses_dynamic_stack 0
		.amdhsa_system_sgpr_private_segment_wavefront_offset 0
		.amdhsa_system_sgpr_workgroup_id_x 1
		.amdhsa_system_sgpr_workgroup_id_y 0
		.amdhsa_system_sgpr_workgroup_id_z 0
		.amdhsa_system_sgpr_workgroup_info 0
		.amdhsa_system_vgpr_workitem_id 0
		.amdhsa_next_free_vgpr 1
		.amdhsa_next_free_sgpr 1
		.amdhsa_reserve_vcc 0
		.amdhsa_reserve_flat_scratch 0
		.amdhsa_float_round_mode_32 0
		.amdhsa_float_round_mode_16_64 0
		.amdhsa_float_denorm_mode_32 3
		.amdhsa_float_denorm_mode_16_64 3
		.amdhsa_dx10_clamp 1
		.amdhsa_ieee_mode 1
		.amdhsa_fp16_overflow 0
		.amdhsa_workgroup_processor_mode 1
		.amdhsa_memory_ordered 1
		.amdhsa_forward_progress 1
		.amdhsa_shared_vgpr_count 0
		.amdhsa_exception_fp_ieee_invalid_op 0
		.amdhsa_exception_fp_denorm_src 0
		.amdhsa_exception_fp_ieee_div_zero 0
		.amdhsa_exception_fp_ieee_overflow 0
		.amdhsa_exception_fp_ieee_underflow 0
		.amdhsa_exception_fp_ieee_inexact 0
		.amdhsa_exception_int_div_zero 0
	.end_amdhsa_kernel
	.section	.text._ZN7rocprim17ROCPRIM_400000_NS6detail17trampoline_kernelINS0_14default_configENS1_27scan_by_key_config_selectorIiiEEZZNS1_16scan_by_key_implILNS1_25lookback_scan_determinismE0ELb1ES3_N6thrust23THRUST_200600_302600_NS6detail15normal_iteratorINS9_10device_ptrIiEEEESE_SE_iNS9_10multipliesIiEENS9_8equal_toIiEEiEE10hipError_tPvRmT2_T3_T4_T5_mT6_T7_P12ihipStream_tbENKUlT_T0_E_clISt17integral_constantIbLb1EESZ_EEDaSU_SV_EUlSU_E_NS1_11comp_targetILNS1_3genE9ELNS1_11target_archE1100ELNS1_3gpuE3ELNS1_3repE0EEENS1_30default_config_static_selectorELNS0_4arch9wavefront6targetE0EEEvT1_,"axG",@progbits,_ZN7rocprim17ROCPRIM_400000_NS6detail17trampoline_kernelINS0_14default_configENS1_27scan_by_key_config_selectorIiiEEZZNS1_16scan_by_key_implILNS1_25lookback_scan_determinismE0ELb1ES3_N6thrust23THRUST_200600_302600_NS6detail15normal_iteratorINS9_10device_ptrIiEEEESE_SE_iNS9_10multipliesIiEENS9_8equal_toIiEEiEE10hipError_tPvRmT2_T3_T4_T5_mT6_T7_P12ihipStream_tbENKUlT_T0_E_clISt17integral_constantIbLb1EESZ_EEDaSU_SV_EUlSU_E_NS1_11comp_targetILNS1_3genE9ELNS1_11target_archE1100ELNS1_3gpuE3ELNS1_3repE0EEENS1_30default_config_static_selectorELNS0_4arch9wavefront6targetE0EEEvT1_,comdat
.Lfunc_end513:
	.size	_ZN7rocprim17ROCPRIM_400000_NS6detail17trampoline_kernelINS0_14default_configENS1_27scan_by_key_config_selectorIiiEEZZNS1_16scan_by_key_implILNS1_25lookback_scan_determinismE0ELb1ES3_N6thrust23THRUST_200600_302600_NS6detail15normal_iteratorINS9_10device_ptrIiEEEESE_SE_iNS9_10multipliesIiEENS9_8equal_toIiEEiEE10hipError_tPvRmT2_T3_T4_T5_mT6_T7_P12ihipStream_tbENKUlT_T0_E_clISt17integral_constantIbLb1EESZ_EEDaSU_SV_EUlSU_E_NS1_11comp_targetILNS1_3genE9ELNS1_11target_archE1100ELNS1_3gpuE3ELNS1_3repE0EEENS1_30default_config_static_selectorELNS0_4arch9wavefront6targetE0EEEvT1_, .Lfunc_end513-_ZN7rocprim17ROCPRIM_400000_NS6detail17trampoline_kernelINS0_14default_configENS1_27scan_by_key_config_selectorIiiEEZZNS1_16scan_by_key_implILNS1_25lookback_scan_determinismE0ELb1ES3_N6thrust23THRUST_200600_302600_NS6detail15normal_iteratorINS9_10device_ptrIiEEEESE_SE_iNS9_10multipliesIiEENS9_8equal_toIiEEiEE10hipError_tPvRmT2_T3_T4_T5_mT6_T7_P12ihipStream_tbENKUlT_T0_E_clISt17integral_constantIbLb1EESZ_EEDaSU_SV_EUlSU_E_NS1_11comp_targetILNS1_3genE9ELNS1_11target_archE1100ELNS1_3gpuE3ELNS1_3repE0EEENS1_30default_config_static_selectorELNS0_4arch9wavefront6targetE0EEEvT1_
                                        ; -- End function
	.set _ZN7rocprim17ROCPRIM_400000_NS6detail17trampoline_kernelINS0_14default_configENS1_27scan_by_key_config_selectorIiiEEZZNS1_16scan_by_key_implILNS1_25lookback_scan_determinismE0ELb1ES3_N6thrust23THRUST_200600_302600_NS6detail15normal_iteratorINS9_10device_ptrIiEEEESE_SE_iNS9_10multipliesIiEENS9_8equal_toIiEEiEE10hipError_tPvRmT2_T3_T4_T5_mT6_T7_P12ihipStream_tbENKUlT_T0_E_clISt17integral_constantIbLb1EESZ_EEDaSU_SV_EUlSU_E_NS1_11comp_targetILNS1_3genE9ELNS1_11target_archE1100ELNS1_3gpuE3ELNS1_3repE0EEENS1_30default_config_static_selectorELNS0_4arch9wavefront6targetE0EEEvT1_.num_vgpr, 0
	.set _ZN7rocprim17ROCPRIM_400000_NS6detail17trampoline_kernelINS0_14default_configENS1_27scan_by_key_config_selectorIiiEEZZNS1_16scan_by_key_implILNS1_25lookback_scan_determinismE0ELb1ES3_N6thrust23THRUST_200600_302600_NS6detail15normal_iteratorINS9_10device_ptrIiEEEESE_SE_iNS9_10multipliesIiEENS9_8equal_toIiEEiEE10hipError_tPvRmT2_T3_T4_T5_mT6_T7_P12ihipStream_tbENKUlT_T0_E_clISt17integral_constantIbLb1EESZ_EEDaSU_SV_EUlSU_E_NS1_11comp_targetILNS1_3genE9ELNS1_11target_archE1100ELNS1_3gpuE3ELNS1_3repE0EEENS1_30default_config_static_selectorELNS0_4arch9wavefront6targetE0EEEvT1_.num_agpr, 0
	.set _ZN7rocprim17ROCPRIM_400000_NS6detail17trampoline_kernelINS0_14default_configENS1_27scan_by_key_config_selectorIiiEEZZNS1_16scan_by_key_implILNS1_25lookback_scan_determinismE0ELb1ES3_N6thrust23THRUST_200600_302600_NS6detail15normal_iteratorINS9_10device_ptrIiEEEESE_SE_iNS9_10multipliesIiEENS9_8equal_toIiEEiEE10hipError_tPvRmT2_T3_T4_T5_mT6_T7_P12ihipStream_tbENKUlT_T0_E_clISt17integral_constantIbLb1EESZ_EEDaSU_SV_EUlSU_E_NS1_11comp_targetILNS1_3genE9ELNS1_11target_archE1100ELNS1_3gpuE3ELNS1_3repE0EEENS1_30default_config_static_selectorELNS0_4arch9wavefront6targetE0EEEvT1_.numbered_sgpr, 0
	.set _ZN7rocprim17ROCPRIM_400000_NS6detail17trampoline_kernelINS0_14default_configENS1_27scan_by_key_config_selectorIiiEEZZNS1_16scan_by_key_implILNS1_25lookback_scan_determinismE0ELb1ES3_N6thrust23THRUST_200600_302600_NS6detail15normal_iteratorINS9_10device_ptrIiEEEESE_SE_iNS9_10multipliesIiEENS9_8equal_toIiEEiEE10hipError_tPvRmT2_T3_T4_T5_mT6_T7_P12ihipStream_tbENKUlT_T0_E_clISt17integral_constantIbLb1EESZ_EEDaSU_SV_EUlSU_E_NS1_11comp_targetILNS1_3genE9ELNS1_11target_archE1100ELNS1_3gpuE3ELNS1_3repE0EEENS1_30default_config_static_selectorELNS0_4arch9wavefront6targetE0EEEvT1_.num_named_barrier, 0
	.set _ZN7rocprim17ROCPRIM_400000_NS6detail17trampoline_kernelINS0_14default_configENS1_27scan_by_key_config_selectorIiiEEZZNS1_16scan_by_key_implILNS1_25lookback_scan_determinismE0ELb1ES3_N6thrust23THRUST_200600_302600_NS6detail15normal_iteratorINS9_10device_ptrIiEEEESE_SE_iNS9_10multipliesIiEENS9_8equal_toIiEEiEE10hipError_tPvRmT2_T3_T4_T5_mT6_T7_P12ihipStream_tbENKUlT_T0_E_clISt17integral_constantIbLb1EESZ_EEDaSU_SV_EUlSU_E_NS1_11comp_targetILNS1_3genE9ELNS1_11target_archE1100ELNS1_3gpuE3ELNS1_3repE0EEENS1_30default_config_static_selectorELNS0_4arch9wavefront6targetE0EEEvT1_.private_seg_size, 0
	.set _ZN7rocprim17ROCPRIM_400000_NS6detail17trampoline_kernelINS0_14default_configENS1_27scan_by_key_config_selectorIiiEEZZNS1_16scan_by_key_implILNS1_25lookback_scan_determinismE0ELb1ES3_N6thrust23THRUST_200600_302600_NS6detail15normal_iteratorINS9_10device_ptrIiEEEESE_SE_iNS9_10multipliesIiEENS9_8equal_toIiEEiEE10hipError_tPvRmT2_T3_T4_T5_mT6_T7_P12ihipStream_tbENKUlT_T0_E_clISt17integral_constantIbLb1EESZ_EEDaSU_SV_EUlSU_E_NS1_11comp_targetILNS1_3genE9ELNS1_11target_archE1100ELNS1_3gpuE3ELNS1_3repE0EEENS1_30default_config_static_selectorELNS0_4arch9wavefront6targetE0EEEvT1_.uses_vcc, 0
	.set _ZN7rocprim17ROCPRIM_400000_NS6detail17trampoline_kernelINS0_14default_configENS1_27scan_by_key_config_selectorIiiEEZZNS1_16scan_by_key_implILNS1_25lookback_scan_determinismE0ELb1ES3_N6thrust23THRUST_200600_302600_NS6detail15normal_iteratorINS9_10device_ptrIiEEEESE_SE_iNS9_10multipliesIiEENS9_8equal_toIiEEiEE10hipError_tPvRmT2_T3_T4_T5_mT6_T7_P12ihipStream_tbENKUlT_T0_E_clISt17integral_constantIbLb1EESZ_EEDaSU_SV_EUlSU_E_NS1_11comp_targetILNS1_3genE9ELNS1_11target_archE1100ELNS1_3gpuE3ELNS1_3repE0EEENS1_30default_config_static_selectorELNS0_4arch9wavefront6targetE0EEEvT1_.uses_flat_scratch, 0
	.set _ZN7rocprim17ROCPRIM_400000_NS6detail17trampoline_kernelINS0_14default_configENS1_27scan_by_key_config_selectorIiiEEZZNS1_16scan_by_key_implILNS1_25lookback_scan_determinismE0ELb1ES3_N6thrust23THRUST_200600_302600_NS6detail15normal_iteratorINS9_10device_ptrIiEEEESE_SE_iNS9_10multipliesIiEENS9_8equal_toIiEEiEE10hipError_tPvRmT2_T3_T4_T5_mT6_T7_P12ihipStream_tbENKUlT_T0_E_clISt17integral_constantIbLb1EESZ_EEDaSU_SV_EUlSU_E_NS1_11comp_targetILNS1_3genE9ELNS1_11target_archE1100ELNS1_3gpuE3ELNS1_3repE0EEENS1_30default_config_static_selectorELNS0_4arch9wavefront6targetE0EEEvT1_.has_dyn_sized_stack, 0
	.set _ZN7rocprim17ROCPRIM_400000_NS6detail17trampoline_kernelINS0_14default_configENS1_27scan_by_key_config_selectorIiiEEZZNS1_16scan_by_key_implILNS1_25lookback_scan_determinismE0ELb1ES3_N6thrust23THRUST_200600_302600_NS6detail15normal_iteratorINS9_10device_ptrIiEEEESE_SE_iNS9_10multipliesIiEENS9_8equal_toIiEEiEE10hipError_tPvRmT2_T3_T4_T5_mT6_T7_P12ihipStream_tbENKUlT_T0_E_clISt17integral_constantIbLb1EESZ_EEDaSU_SV_EUlSU_E_NS1_11comp_targetILNS1_3genE9ELNS1_11target_archE1100ELNS1_3gpuE3ELNS1_3repE0EEENS1_30default_config_static_selectorELNS0_4arch9wavefront6targetE0EEEvT1_.has_recursion, 0
	.set _ZN7rocprim17ROCPRIM_400000_NS6detail17trampoline_kernelINS0_14default_configENS1_27scan_by_key_config_selectorIiiEEZZNS1_16scan_by_key_implILNS1_25lookback_scan_determinismE0ELb1ES3_N6thrust23THRUST_200600_302600_NS6detail15normal_iteratorINS9_10device_ptrIiEEEESE_SE_iNS9_10multipliesIiEENS9_8equal_toIiEEiEE10hipError_tPvRmT2_T3_T4_T5_mT6_T7_P12ihipStream_tbENKUlT_T0_E_clISt17integral_constantIbLb1EESZ_EEDaSU_SV_EUlSU_E_NS1_11comp_targetILNS1_3genE9ELNS1_11target_archE1100ELNS1_3gpuE3ELNS1_3repE0EEENS1_30default_config_static_selectorELNS0_4arch9wavefront6targetE0EEEvT1_.has_indirect_call, 0
	.section	.AMDGPU.csdata,"",@progbits
; Kernel info:
; codeLenInByte = 0
; TotalNumSgprs: 0
; NumVgprs: 0
; ScratchSize: 0
; MemoryBound: 0
; FloatMode: 240
; IeeeMode: 1
; LDSByteSize: 0 bytes/workgroup (compile time only)
; SGPRBlocks: 0
; VGPRBlocks: 0
; NumSGPRsForWavesPerEU: 1
; NumVGPRsForWavesPerEU: 1
; Occupancy: 16
; WaveLimiterHint : 0
; COMPUTE_PGM_RSRC2:SCRATCH_EN: 0
; COMPUTE_PGM_RSRC2:USER_SGPR: 6
; COMPUTE_PGM_RSRC2:TRAP_HANDLER: 0
; COMPUTE_PGM_RSRC2:TGID_X_EN: 1
; COMPUTE_PGM_RSRC2:TGID_Y_EN: 0
; COMPUTE_PGM_RSRC2:TGID_Z_EN: 0
; COMPUTE_PGM_RSRC2:TIDIG_COMP_CNT: 0
	.section	.text._ZN7rocprim17ROCPRIM_400000_NS6detail17trampoline_kernelINS0_14default_configENS1_27scan_by_key_config_selectorIiiEEZZNS1_16scan_by_key_implILNS1_25lookback_scan_determinismE0ELb1ES3_N6thrust23THRUST_200600_302600_NS6detail15normal_iteratorINS9_10device_ptrIiEEEESE_SE_iNS9_10multipliesIiEENS9_8equal_toIiEEiEE10hipError_tPvRmT2_T3_T4_T5_mT6_T7_P12ihipStream_tbENKUlT_T0_E_clISt17integral_constantIbLb1EESZ_EEDaSU_SV_EUlSU_E_NS1_11comp_targetILNS1_3genE8ELNS1_11target_archE1030ELNS1_3gpuE2ELNS1_3repE0EEENS1_30default_config_static_selectorELNS0_4arch9wavefront6targetE0EEEvT1_,"axG",@progbits,_ZN7rocprim17ROCPRIM_400000_NS6detail17trampoline_kernelINS0_14default_configENS1_27scan_by_key_config_selectorIiiEEZZNS1_16scan_by_key_implILNS1_25lookback_scan_determinismE0ELb1ES3_N6thrust23THRUST_200600_302600_NS6detail15normal_iteratorINS9_10device_ptrIiEEEESE_SE_iNS9_10multipliesIiEENS9_8equal_toIiEEiEE10hipError_tPvRmT2_T3_T4_T5_mT6_T7_P12ihipStream_tbENKUlT_T0_E_clISt17integral_constantIbLb1EESZ_EEDaSU_SV_EUlSU_E_NS1_11comp_targetILNS1_3genE8ELNS1_11target_archE1030ELNS1_3gpuE2ELNS1_3repE0EEENS1_30default_config_static_selectorELNS0_4arch9wavefront6targetE0EEEvT1_,comdat
	.protected	_ZN7rocprim17ROCPRIM_400000_NS6detail17trampoline_kernelINS0_14default_configENS1_27scan_by_key_config_selectorIiiEEZZNS1_16scan_by_key_implILNS1_25lookback_scan_determinismE0ELb1ES3_N6thrust23THRUST_200600_302600_NS6detail15normal_iteratorINS9_10device_ptrIiEEEESE_SE_iNS9_10multipliesIiEENS9_8equal_toIiEEiEE10hipError_tPvRmT2_T3_T4_T5_mT6_T7_P12ihipStream_tbENKUlT_T0_E_clISt17integral_constantIbLb1EESZ_EEDaSU_SV_EUlSU_E_NS1_11comp_targetILNS1_3genE8ELNS1_11target_archE1030ELNS1_3gpuE2ELNS1_3repE0EEENS1_30default_config_static_selectorELNS0_4arch9wavefront6targetE0EEEvT1_ ; -- Begin function _ZN7rocprim17ROCPRIM_400000_NS6detail17trampoline_kernelINS0_14default_configENS1_27scan_by_key_config_selectorIiiEEZZNS1_16scan_by_key_implILNS1_25lookback_scan_determinismE0ELb1ES3_N6thrust23THRUST_200600_302600_NS6detail15normal_iteratorINS9_10device_ptrIiEEEESE_SE_iNS9_10multipliesIiEENS9_8equal_toIiEEiEE10hipError_tPvRmT2_T3_T4_T5_mT6_T7_P12ihipStream_tbENKUlT_T0_E_clISt17integral_constantIbLb1EESZ_EEDaSU_SV_EUlSU_E_NS1_11comp_targetILNS1_3genE8ELNS1_11target_archE1030ELNS1_3gpuE2ELNS1_3repE0EEENS1_30default_config_static_selectorELNS0_4arch9wavefront6targetE0EEEvT1_
	.globl	_ZN7rocprim17ROCPRIM_400000_NS6detail17trampoline_kernelINS0_14default_configENS1_27scan_by_key_config_selectorIiiEEZZNS1_16scan_by_key_implILNS1_25lookback_scan_determinismE0ELb1ES3_N6thrust23THRUST_200600_302600_NS6detail15normal_iteratorINS9_10device_ptrIiEEEESE_SE_iNS9_10multipliesIiEENS9_8equal_toIiEEiEE10hipError_tPvRmT2_T3_T4_T5_mT6_T7_P12ihipStream_tbENKUlT_T0_E_clISt17integral_constantIbLb1EESZ_EEDaSU_SV_EUlSU_E_NS1_11comp_targetILNS1_3genE8ELNS1_11target_archE1030ELNS1_3gpuE2ELNS1_3repE0EEENS1_30default_config_static_selectorELNS0_4arch9wavefront6targetE0EEEvT1_
	.p2align	8
	.type	_ZN7rocprim17ROCPRIM_400000_NS6detail17trampoline_kernelINS0_14default_configENS1_27scan_by_key_config_selectorIiiEEZZNS1_16scan_by_key_implILNS1_25lookback_scan_determinismE0ELb1ES3_N6thrust23THRUST_200600_302600_NS6detail15normal_iteratorINS9_10device_ptrIiEEEESE_SE_iNS9_10multipliesIiEENS9_8equal_toIiEEiEE10hipError_tPvRmT2_T3_T4_T5_mT6_T7_P12ihipStream_tbENKUlT_T0_E_clISt17integral_constantIbLb1EESZ_EEDaSU_SV_EUlSU_E_NS1_11comp_targetILNS1_3genE8ELNS1_11target_archE1030ELNS1_3gpuE2ELNS1_3repE0EEENS1_30default_config_static_selectorELNS0_4arch9wavefront6targetE0EEEvT1_,@function
_ZN7rocprim17ROCPRIM_400000_NS6detail17trampoline_kernelINS0_14default_configENS1_27scan_by_key_config_selectorIiiEEZZNS1_16scan_by_key_implILNS1_25lookback_scan_determinismE0ELb1ES3_N6thrust23THRUST_200600_302600_NS6detail15normal_iteratorINS9_10device_ptrIiEEEESE_SE_iNS9_10multipliesIiEENS9_8equal_toIiEEiEE10hipError_tPvRmT2_T3_T4_T5_mT6_T7_P12ihipStream_tbENKUlT_T0_E_clISt17integral_constantIbLb1EESZ_EEDaSU_SV_EUlSU_E_NS1_11comp_targetILNS1_3genE8ELNS1_11target_archE1030ELNS1_3gpuE2ELNS1_3repE0EEENS1_30default_config_static_selectorELNS0_4arch9wavefront6targetE0EEEvT1_: ; @_ZN7rocprim17ROCPRIM_400000_NS6detail17trampoline_kernelINS0_14default_configENS1_27scan_by_key_config_selectorIiiEEZZNS1_16scan_by_key_implILNS1_25lookback_scan_determinismE0ELb1ES3_N6thrust23THRUST_200600_302600_NS6detail15normal_iteratorINS9_10device_ptrIiEEEESE_SE_iNS9_10multipliesIiEENS9_8equal_toIiEEiEE10hipError_tPvRmT2_T3_T4_T5_mT6_T7_P12ihipStream_tbENKUlT_T0_E_clISt17integral_constantIbLb1EESZ_EEDaSU_SV_EUlSU_E_NS1_11comp_targetILNS1_3genE8ELNS1_11target_archE1030ELNS1_3gpuE2ELNS1_3repE0EEENS1_30default_config_static_selectorELNS0_4arch9wavefront6targetE0EEEvT1_
; %bb.0:
	s_endpgm
	.section	.rodata,"a",@progbits
	.p2align	6, 0x0
	.amdhsa_kernel _ZN7rocprim17ROCPRIM_400000_NS6detail17trampoline_kernelINS0_14default_configENS1_27scan_by_key_config_selectorIiiEEZZNS1_16scan_by_key_implILNS1_25lookback_scan_determinismE0ELb1ES3_N6thrust23THRUST_200600_302600_NS6detail15normal_iteratorINS9_10device_ptrIiEEEESE_SE_iNS9_10multipliesIiEENS9_8equal_toIiEEiEE10hipError_tPvRmT2_T3_T4_T5_mT6_T7_P12ihipStream_tbENKUlT_T0_E_clISt17integral_constantIbLb1EESZ_EEDaSU_SV_EUlSU_E_NS1_11comp_targetILNS1_3genE8ELNS1_11target_archE1030ELNS1_3gpuE2ELNS1_3repE0EEENS1_30default_config_static_selectorELNS0_4arch9wavefront6targetE0EEEvT1_
		.amdhsa_group_segment_fixed_size 0
		.amdhsa_private_segment_fixed_size 0
		.amdhsa_kernarg_size 112
		.amdhsa_user_sgpr_count 6
		.amdhsa_user_sgpr_private_segment_buffer 1
		.amdhsa_user_sgpr_dispatch_ptr 0
		.amdhsa_user_sgpr_queue_ptr 0
		.amdhsa_user_sgpr_kernarg_segment_ptr 1
		.amdhsa_user_sgpr_dispatch_id 0
		.amdhsa_user_sgpr_flat_scratch_init 0
		.amdhsa_user_sgpr_private_segment_size 0
		.amdhsa_wavefront_size32 1
		.amdhsa_uses_dynamic_stack 0
		.amdhsa_system_sgpr_private_segment_wavefront_offset 0
		.amdhsa_system_sgpr_workgroup_id_x 1
		.amdhsa_system_sgpr_workgroup_id_y 0
		.amdhsa_system_sgpr_workgroup_id_z 0
		.amdhsa_system_sgpr_workgroup_info 0
		.amdhsa_system_vgpr_workitem_id 0
		.amdhsa_next_free_vgpr 1
		.amdhsa_next_free_sgpr 1
		.amdhsa_reserve_vcc 0
		.amdhsa_reserve_flat_scratch 0
		.amdhsa_float_round_mode_32 0
		.amdhsa_float_round_mode_16_64 0
		.amdhsa_float_denorm_mode_32 3
		.amdhsa_float_denorm_mode_16_64 3
		.amdhsa_dx10_clamp 1
		.amdhsa_ieee_mode 1
		.amdhsa_fp16_overflow 0
		.amdhsa_workgroup_processor_mode 1
		.amdhsa_memory_ordered 1
		.amdhsa_forward_progress 1
		.amdhsa_shared_vgpr_count 0
		.amdhsa_exception_fp_ieee_invalid_op 0
		.amdhsa_exception_fp_denorm_src 0
		.amdhsa_exception_fp_ieee_div_zero 0
		.amdhsa_exception_fp_ieee_overflow 0
		.amdhsa_exception_fp_ieee_underflow 0
		.amdhsa_exception_fp_ieee_inexact 0
		.amdhsa_exception_int_div_zero 0
	.end_amdhsa_kernel
	.section	.text._ZN7rocprim17ROCPRIM_400000_NS6detail17trampoline_kernelINS0_14default_configENS1_27scan_by_key_config_selectorIiiEEZZNS1_16scan_by_key_implILNS1_25lookback_scan_determinismE0ELb1ES3_N6thrust23THRUST_200600_302600_NS6detail15normal_iteratorINS9_10device_ptrIiEEEESE_SE_iNS9_10multipliesIiEENS9_8equal_toIiEEiEE10hipError_tPvRmT2_T3_T4_T5_mT6_T7_P12ihipStream_tbENKUlT_T0_E_clISt17integral_constantIbLb1EESZ_EEDaSU_SV_EUlSU_E_NS1_11comp_targetILNS1_3genE8ELNS1_11target_archE1030ELNS1_3gpuE2ELNS1_3repE0EEENS1_30default_config_static_selectorELNS0_4arch9wavefront6targetE0EEEvT1_,"axG",@progbits,_ZN7rocprim17ROCPRIM_400000_NS6detail17trampoline_kernelINS0_14default_configENS1_27scan_by_key_config_selectorIiiEEZZNS1_16scan_by_key_implILNS1_25lookback_scan_determinismE0ELb1ES3_N6thrust23THRUST_200600_302600_NS6detail15normal_iteratorINS9_10device_ptrIiEEEESE_SE_iNS9_10multipliesIiEENS9_8equal_toIiEEiEE10hipError_tPvRmT2_T3_T4_T5_mT6_T7_P12ihipStream_tbENKUlT_T0_E_clISt17integral_constantIbLb1EESZ_EEDaSU_SV_EUlSU_E_NS1_11comp_targetILNS1_3genE8ELNS1_11target_archE1030ELNS1_3gpuE2ELNS1_3repE0EEENS1_30default_config_static_selectorELNS0_4arch9wavefront6targetE0EEEvT1_,comdat
.Lfunc_end514:
	.size	_ZN7rocprim17ROCPRIM_400000_NS6detail17trampoline_kernelINS0_14default_configENS1_27scan_by_key_config_selectorIiiEEZZNS1_16scan_by_key_implILNS1_25lookback_scan_determinismE0ELb1ES3_N6thrust23THRUST_200600_302600_NS6detail15normal_iteratorINS9_10device_ptrIiEEEESE_SE_iNS9_10multipliesIiEENS9_8equal_toIiEEiEE10hipError_tPvRmT2_T3_T4_T5_mT6_T7_P12ihipStream_tbENKUlT_T0_E_clISt17integral_constantIbLb1EESZ_EEDaSU_SV_EUlSU_E_NS1_11comp_targetILNS1_3genE8ELNS1_11target_archE1030ELNS1_3gpuE2ELNS1_3repE0EEENS1_30default_config_static_selectorELNS0_4arch9wavefront6targetE0EEEvT1_, .Lfunc_end514-_ZN7rocprim17ROCPRIM_400000_NS6detail17trampoline_kernelINS0_14default_configENS1_27scan_by_key_config_selectorIiiEEZZNS1_16scan_by_key_implILNS1_25lookback_scan_determinismE0ELb1ES3_N6thrust23THRUST_200600_302600_NS6detail15normal_iteratorINS9_10device_ptrIiEEEESE_SE_iNS9_10multipliesIiEENS9_8equal_toIiEEiEE10hipError_tPvRmT2_T3_T4_T5_mT6_T7_P12ihipStream_tbENKUlT_T0_E_clISt17integral_constantIbLb1EESZ_EEDaSU_SV_EUlSU_E_NS1_11comp_targetILNS1_3genE8ELNS1_11target_archE1030ELNS1_3gpuE2ELNS1_3repE0EEENS1_30default_config_static_selectorELNS0_4arch9wavefront6targetE0EEEvT1_
                                        ; -- End function
	.set _ZN7rocprim17ROCPRIM_400000_NS6detail17trampoline_kernelINS0_14default_configENS1_27scan_by_key_config_selectorIiiEEZZNS1_16scan_by_key_implILNS1_25lookback_scan_determinismE0ELb1ES3_N6thrust23THRUST_200600_302600_NS6detail15normal_iteratorINS9_10device_ptrIiEEEESE_SE_iNS9_10multipliesIiEENS9_8equal_toIiEEiEE10hipError_tPvRmT2_T3_T4_T5_mT6_T7_P12ihipStream_tbENKUlT_T0_E_clISt17integral_constantIbLb1EESZ_EEDaSU_SV_EUlSU_E_NS1_11comp_targetILNS1_3genE8ELNS1_11target_archE1030ELNS1_3gpuE2ELNS1_3repE0EEENS1_30default_config_static_selectorELNS0_4arch9wavefront6targetE0EEEvT1_.num_vgpr, 0
	.set _ZN7rocprim17ROCPRIM_400000_NS6detail17trampoline_kernelINS0_14default_configENS1_27scan_by_key_config_selectorIiiEEZZNS1_16scan_by_key_implILNS1_25lookback_scan_determinismE0ELb1ES3_N6thrust23THRUST_200600_302600_NS6detail15normal_iteratorINS9_10device_ptrIiEEEESE_SE_iNS9_10multipliesIiEENS9_8equal_toIiEEiEE10hipError_tPvRmT2_T3_T4_T5_mT6_T7_P12ihipStream_tbENKUlT_T0_E_clISt17integral_constantIbLb1EESZ_EEDaSU_SV_EUlSU_E_NS1_11comp_targetILNS1_3genE8ELNS1_11target_archE1030ELNS1_3gpuE2ELNS1_3repE0EEENS1_30default_config_static_selectorELNS0_4arch9wavefront6targetE0EEEvT1_.num_agpr, 0
	.set _ZN7rocprim17ROCPRIM_400000_NS6detail17trampoline_kernelINS0_14default_configENS1_27scan_by_key_config_selectorIiiEEZZNS1_16scan_by_key_implILNS1_25lookback_scan_determinismE0ELb1ES3_N6thrust23THRUST_200600_302600_NS6detail15normal_iteratorINS9_10device_ptrIiEEEESE_SE_iNS9_10multipliesIiEENS9_8equal_toIiEEiEE10hipError_tPvRmT2_T3_T4_T5_mT6_T7_P12ihipStream_tbENKUlT_T0_E_clISt17integral_constantIbLb1EESZ_EEDaSU_SV_EUlSU_E_NS1_11comp_targetILNS1_3genE8ELNS1_11target_archE1030ELNS1_3gpuE2ELNS1_3repE0EEENS1_30default_config_static_selectorELNS0_4arch9wavefront6targetE0EEEvT1_.numbered_sgpr, 0
	.set _ZN7rocprim17ROCPRIM_400000_NS6detail17trampoline_kernelINS0_14default_configENS1_27scan_by_key_config_selectorIiiEEZZNS1_16scan_by_key_implILNS1_25lookback_scan_determinismE0ELb1ES3_N6thrust23THRUST_200600_302600_NS6detail15normal_iteratorINS9_10device_ptrIiEEEESE_SE_iNS9_10multipliesIiEENS9_8equal_toIiEEiEE10hipError_tPvRmT2_T3_T4_T5_mT6_T7_P12ihipStream_tbENKUlT_T0_E_clISt17integral_constantIbLb1EESZ_EEDaSU_SV_EUlSU_E_NS1_11comp_targetILNS1_3genE8ELNS1_11target_archE1030ELNS1_3gpuE2ELNS1_3repE0EEENS1_30default_config_static_selectorELNS0_4arch9wavefront6targetE0EEEvT1_.num_named_barrier, 0
	.set _ZN7rocprim17ROCPRIM_400000_NS6detail17trampoline_kernelINS0_14default_configENS1_27scan_by_key_config_selectorIiiEEZZNS1_16scan_by_key_implILNS1_25lookback_scan_determinismE0ELb1ES3_N6thrust23THRUST_200600_302600_NS6detail15normal_iteratorINS9_10device_ptrIiEEEESE_SE_iNS9_10multipliesIiEENS9_8equal_toIiEEiEE10hipError_tPvRmT2_T3_T4_T5_mT6_T7_P12ihipStream_tbENKUlT_T0_E_clISt17integral_constantIbLb1EESZ_EEDaSU_SV_EUlSU_E_NS1_11comp_targetILNS1_3genE8ELNS1_11target_archE1030ELNS1_3gpuE2ELNS1_3repE0EEENS1_30default_config_static_selectorELNS0_4arch9wavefront6targetE0EEEvT1_.private_seg_size, 0
	.set _ZN7rocprim17ROCPRIM_400000_NS6detail17trampoline_kernelINS0_14default_configENS1_27scan_by_key_config_selectorIiiEEZZNS1_16scan_by_key_implILNS1_25lookback_scan_determinismE0ELb1ES3_N6thrust23THRUST_200600_302600_NS6detail15normal_iteratorINS9_10device_ptrIiEEEESE_SE_iNS9_10multipliesIiEENS9_8equal_toIiEEiEE10hipError_tPvRmT2_T3_T4_T5_mT6_T7_P12ihipStream_tbENKUlT_T0_E_clISt17integral_constantIbLb1EESZ_EEDaSU_SV_EUlSU_E_NS1_11comp_targetILNS1_3genE8ELNS1_11target_archE1030ELNS1_3gpuE2ELNS1_3repE0EEENS1_30default_config_static_selectorELNS0_4arch9wavefront6targetE0EEEvT1_.uses_vcc, 0
	.set _ZN7rocprim17ROCPRIM_400000_NS6detail17trampoline_kernelINS0_14default_configENS1_27scan_by_key_config_selectorIiiEEZZNS1_16scan_by_key_implILNS1_25lookback_scan_determinismE0ELb1ES3_N6thrust23THRUST_200600_302600_NS6detail15normal_iteratorINS9_10device_ptrIiEEEESE_SE_iNS9_10multipliesIiEENS9_8equal_toIiEEiEE10hipError_tPvRmT2_T3_T4_T5_mT6_T7_P12ihipStream_tbENKUlT_T0_E_clISt17integral_constantIbLb1EESZ_EEDaSU_SV_EUlSU_E_NS1_11comp_targetILNS1_3genE8ELNS1_11target_archE1030ELNS1_3gpuE2ELNS1_3repE0EEENS1_30default_config_static_selectorELNS0_4arch9wavefront6targetE0EEEvT1_.uses_flat_scratch, 0
	.set _ZN7rocprim17ROCPRIM_400000_NS6detail17trampoline_kernelINS0_14default_configENS1_27scan_by_key_config_selectorIiiEEZZNS1_16scan_by_key_implILNS1_25lookback_scan_determinismE0ELb1ES3_N6thrust23THRUST_200600_302600_NS6detail15normal_iteratorINS9_10device_ptrIiEEEESE_SE_iNS9_10multipliesIiEENS9_8equal_toIiEEiEE10hipError_tPvRmT2_T3_T4_T5_mT6_T7_P12ihipStream_tbENKUlT_T0_E_clISt17integral_constantIbLb1EESZ_EEDaSU_SV_EUlSU_E_NS1_11comp_targetILNS1_3genE8ELNS1_11target_archE1030ELNS1_3gpuE2ELNS1_3repE0EEENS1_30default_config_static_selectorELNS0_4arch9wavefront6targetE0EEEvT1_.has_dyn_sized_stack, 0
	.set _ZN7rocprim17ROCPRIM_400000_NS6detail17trampoline_kernelINS0_14default_configENS1_27scan_by_key_config_selectorIiiEEZZNS1_16scan_by_key_implILNS1_25lookback_scan_determinismE0ELb1ES3_N6thrust23THRUST_200600_302600_NS6detail15normal_iteratorINS9_10device_ptrIiEEEESE_SE_iNS9_10multipliesIiEENS9_8equal_toIiEEiEE10hipError_tPvRmT2_T3_T4_T5_mT6_T7_P12ihipStream_tbENKUlT_T0_E_clISt17integral_constantIbLb1EESZ_EEDaSU_SV_EUlSU_E_NS1_11comp_targetILNS1_3genE8ELNS1_11target_archE1030ELNS1_3gpuE2ELNS1_3repE0EEENS1_30default_config_static_selectorELNS0_4arch9wavefront6targetE0EEEvT1_.has_recursion, 0
	.set _ZN7rocprim17ROCPRIM_400000_NS6detail17trampoline_kernelINS0_14default_configENS1_27scan_by_key_config_selectorIiiEEZZNS1_16scan_by_key_implILNS1_25lookback_scan_determinismE0ELb1ES3_N6thrust23THRUST_200600_302600_NS6detail15normal_iteratorINS9_10device_ptrIiEEEESE_SE_iNS9_10multipliesIiEENS9_8equal_toIiEEiEE10hipError_tPvRmT2_T3_T4_T5_mT6_T7_P12ihipStream_tbENKUlT_T0_E_clISt17integral_constantIbLb1EESZ_EEDaSU_SV_EUlSU_E_NS1_11comp_targetILNS1_3genE8ELNS1_11target_archE1030ELNS1_3gpuE2ELNS1_3repE0EEENS1_30default_config_static_selectorELNS0_4arch9wavefront6targetE0EEEvT1_.has_indirect_call, 0
	.section	.AMDGPU.csdata,"",@progbits
; Kernel info:
; codeLenInByte = 4
; TotalNumSgprs: 0
; NumVgprs: 0
; ScratchSize: 0
; MemoryBound: 0
; FloatMode: 240
; IeeeMode: 1
; LDSByteSize: 0 bytes/workgroup (compile time only)
; SGPRBlocks: 0
; VGPRBlocks: 0
; NumSGPRsForWavesPerEU: 1
; NumVGPRsForWavesPerEU: 1
; Occupancy: 16
; WaveLimiterHint : 0
; COMPUTE_PGM_RSRC2:SCRATCH_EN: 0
; COMPUTE_PGM_RSRC2:USER_SGPR: 6
; COMPUTE_PGM_RSRC2:TRAP_HANDLER: 0
; COMPUTE_PGM_RSRC2:TGID_X_EN: 1
; COMPUTE_PGM_RSRC2:TGID_Y_EN: 0
; COMPUTE_PGM_RSRC2:TGID_Z_EN: 0
; COMPUTE_PGM_RSRC2:TIDIG_COMP_CNT: 0
	.section	.text._ZN7rocprim17ROCPRIM_400000_NS6detail17trampoline_kernelINS0_14default_configENS1_27scan_by_key_config_selectorIiiEEZZNS1_16scan_by_key_implILNS1_25lookback_scan_determinismE0ELb1ES3_N6thrust23THRUST_200600_302600_NS6detail15normal_iteratorINS9_10device_ptrIiEEEESE_SE_iNS9_10multipliesIiEENS9_8equal_toIiEEiEE10hipError_tPvRmT2_T3_T4_T5_mT6_T7_P12ihipStream_tbENKUlT_T0_E_clISt17integral_constantIbLb1EESY_IbLb0EEEEDaSU_SV_EUlSU_E_NS1_11comp_targetILNS1_3genE0ELNS1_11target_archE4294967295ELNS1_3gpuE0ELNS1_3repE0EEENS1_30default_config_static_selectorELNS0_4arch9wavefront6targetE0EEEvT1_,"axG",@progbits,_ZN7rocprim17ROCPRIM_400000_NS6detail17trampoline_kernelINS0_14default_configENS1_27scan_by_key_config_selectorIiiEEZZNS1_16scan_by_key_implILNS1_25lookback_scan_determinismE0ELb1ES3_N6thrust23THRUST_200600_302600_NS6detail15normal_iteratorINS9_10device_ptrIiEEEESE_SE_iNS9_10multipliesIiEENS9_8equal_toIiEEiEE10hipError_tPvRmT2_T3_T4_T5_mT6_T7_P12ihipStream_tbENKUlT_T0_E_clISt17integral_constantIbLb1EESY_IbLb0EEEEDaSU_SV_EUlSU_E_NS1_11comp_targetILNS1_3genE0ELNS1_11target_archE4294967295ELNS1_3gpuE0ELNS1_3repE0EEENS1_30default_config_static_selectorELNS0_4arch9wavefront6targetE0EEEvT1_,comdat
	.protected	_ZN7rocprim17ROCPRIM_400000_NS6detail17trampoline_kernelINS0_14default_configENS1_27scan_by_key_config_selectorIiiEEZZNS1_16scan_by_key_implILNS1_25lookback_scan_determinismE0ELb1ES3_N6thrust23THRUST_200600_302600_NS6detail15normal_iteratorINS9_10device_ptrIiEEEESE_SE_iNS9_10multipliesIiEENS9_8equal_toIiEEiEE10hipError_tPvRmT2_T3_T4_T5_mT6_T7_P12ihipStream_tbENKUlT_T0_E_clISt17integral_constantIbLb1EESY_IbLb0EEEEDaSU_SV_EUlSU_E_NS1_11comp_targetILNS1_3genE0ELNS1_11target_archE4294967295ELNS1_3gpuE0ELNS1_3repE0EEENS1_30default_config_static_selectorELNS0_4arch9wavefront6targetE0EEEvT1_ ; -- Begin function _ZN7rocprim17ROCPRIM_400000_NS6detail17trampoline_kernelINS0_14default_configENS1_27scan_by_key_config_selectorIiiEEZZNS1_16scan_by_key_implILNS1_25lookback_scan_determinismE0ELb1ES3_N6thrust23THRUST_200600_302600_NS6detail15normal_iteratorINS9_10device_ptrIiEEEESE_SE_iNS9_10multipliesIiEENS9_8equal_toIiEEiEE10hipError_tPvRmT2_T3_T4_T5_mT6_T7_P12ihipStream_tbENKUlT_T0_E_clISt17integral_constantIbLb1EESY_IbLb0EEEEDaSU_SV_EUlSU_E_NS1_11comp_targetILNS1_3genE0ELNS1_11target_archE4294967295ELNS1_3gpuE0ELNS1_3repE0EEENS1_30default_config_static_selectorELNS0_4arch9wavefront6targetE0EEEvT1_
	.globl	_ZN7rocprim17ROCPRIM_400000_NS6detail17trampoline_kernelINS0_14default_configENS1_27scan_by_key_config_selectorIiiEEZZNS1_16scan_by_key_implILNS1_25lookback_scan_determinismE0ELb1ES3_N6thrust23THRUST_200600_302600_NS6detail15normal_iteratorINS9_10device_ptrIiEEEESE_SE_iNS9_10multipliesIiEENS9_8equal_toIiEEiEE10hipError_tPvRmT2_T3_T4_T5_mT6_T7_P12ihipStream_tbENKUlT_T0_E_clISt17integral_constantIbLb1EESY_IbLb0EEEEDaSU_SV_EUlSU_E_NS1_11comp_targetILNS1_3genE0ELNS1_11target_archE4294967295ELNS1_3gpuE0ELNS1_3repE0EEENS1_30default_config_static_selectorELNS0_4arch9wavefront6targetE0EEEvT1_
	.p2align	8
	.type	_ZN7rocprim17ROCPRIM_400000_NS6detail17trampoline_kernelINS0_14default_configENS1_27scan_by_key_config_selectorIiiEEZZNS1_16scan_by_key_implILNS1_25lookback_scan_determinismE0ELb1ES3_N6thrust23THRUST_200600_302600_NS6detail15normal_iteratorINS9_10device_ptrIiEEEESE_SE_iNS9_10multipliesIiEENS9_8equal_toIiEEiEE10hipError_tPvRmT2_T3_T4_T5_mT6_T7_P12ihipStream_tbENKUlT_T0_E_clISt17integral_constantIbLb1EESY_IbLb0EEEEDaSU_SV_EUlSU_E_NS1_11comp_targetILNS1_3genE0ELNS1_11target_archE4294967295ELNS1_3gpuE0ELNS1_3repE0EEENS1_30default_config_static_selectorELNS0_4arch9wavefront6targetE0EEEvT1_,@function
_ZN7rocprim17ROCPRIM_400000_NS6detail17trampoline_kernelINS0_14default_configENS1_27scan_by_key_config_selectorIiiEEZZNS1_16scan_by_key_implILNS1_25lookback_scan_determinismE0ELb1ES3_N6thrust23THRUST_200600_302600_NS6detail15normal_iteratorINS9_10device_ptrIiEEEESE_SE_iNS9_10multipliesIiEENS9_8equal_toIiEEiEE10hipError_tPvRmT2_T3_T4_T5_mT6_T7_P12ihipStream_tbENKUlT_T0_E_clISt17integral_constantIbLb1EESY_IbLb0EEEEDaSU_SV_EUlSU_E_NS1_11comp_targetILNS1_3genE0ELNS1_11target_archE4294967295ELNS1_3gpuE0ELNS1_3repE0EEENS1_30default_config_static_selectorELNS0_4arch9wavefront6targetE0EEEvT1_: ; @_ZN7rocprim17ROCPRIM_400000_NS6detail17trampoline_kernelINS0_14default_configENS1_27scan_by_key_config_selectorIiiEEZZNS1_16scan_by_key_implILNS1_25lookback_scan_determinismE0ELb1ES3_N6thrust23THRUST_200600_302600_NS6detail15normal_iteratorINS9_10device_ptrIiEEEESE_SE_iNS9_10multipliesIiEENS9_8equal_toIiEEiEE10hipError_tPvRmT2_T3_T4_T5_mT6_T7_P12ihipStream_tbENKUlT_T0_E_clISt17integral_constantIbLb1EESY_IbLb0EEEEDaSU_SV_EUlSU_E_NS1_11comp_targetILNS1_3genE0ELNS1_11target_archE4294967295ELNS1_3gpuE0ELNS1_3repE0EEENS1_30default_config_static_selectorELNS0_4arch9wavefront6targetE0EEEvT1_
; %bb.0:
	.section	.rodata,"a",@progbits
	.p2align	6, 0x0
	.amdhsa_kernel _ZN7rocprim17ROCPRIM_400000_NS6detail17trampoline_kernelINS0_14default_configENS1_27scan_by_key_config_selectorIiiEEZZNS1_16scan_by_key_implILNS1_25lookback_scan_determinismE0ELb1ES3_N6thrust23THRUST_200600_302600_NS6detail15normal_iteratorINS9_10device_ptrIiEEEESE_SE_iNS9_10multipliesIiEENS9_8equal_toIiEEiEE10hipError_tPvRmT2_T3_T4_T5_mT6_T7_P12ihipStream_tbENKUlT_T0_E_clISt17integral_constantIbLb1EESY_IbLb0EEEEDaSU_SV_EUlSU_E_NS1_11comp_targetILNS1_3genE0ELNS1_11target_archE4294967295ELNS1_3gpuE0ELNS1_3repE0EEENS1_30default_config_static_selectorELNS0_4arch9wavefront6targetE0EEEvT1_
		.amdhsa_group_segment_fixed_size 0
		.amdhsa_private_segment_fixed_size 0
		.amdhsa_kernarg_size 112
		.amdhsa_user_sgpr_count 6
		.amdhsa_user_sgpr_private_segment_buffer 1
		.amdhsa_user_sgpr_dispatch_ptr 0
		.amdhsa_user_sgpr_queue_ptr 0
		.amdhsa_user_sgpr_kernarg_segment_ptr 1
		.amdhsa_user_sgpr_dispatch_id 0
		.amdhsa_user_sgpr_flat_scratch_init 0
		.amdhsa_user_sgpr_private_segment_size 0
		.amdhsa_wavefront_size32 1
		.amdhsa_uses_dynamic_stack 0
		.amdhsa_system_sgpr_private_segment_wavefront_offset 0
		.amdhsa_system_sgpr_workgroup_id_x 1
		.amdhsa_system_sgpr_workgroup_id_y 0
		.amdhsa_system_sgpr_workgroup_id_z 0
		.amdhsa_system_sgpr_workgroup_info 0
		.amdhsa_system_vgpr_workitem_id 0
		.amdhsa_next_free_vgpr 1
		.amdhsa_next_free_sgpr 1
		.amdhsa_reserve_vcc 0
		.amdhsa_reserve_flat_scratch 0
		.amdhsa_float_round_mode_32 0
		.amdhsa_float_round_mode_16_64 0
		.amdhsa_float_denorm_mode_32 3
		.amdhsa_float_denorm_mode_16_64 3
		.amdhsa_dx10_clamp 1
		.amdhsa_ieee_mode 1
		.amdhsa_fp16_overflow 0
		.amdhsa_workgroup_processor_mode 1
		.amdhsa_memory_ordered 1
		.amdhsa_forward_progress 1
		.amdhsa_shared_vgpr_count 0
		.amdhsa_exception_fp_ieee_invalid_op 0
		.amdhsa_exception_fp_denorm_src 0
		.amdhsa_exception_fp_ieee_div_zero 0
		.amdhsa_exception_fp_ieee_overflow 0
		.amdhsa_exception_fp_ieee_underflow 0
		.amdhsa_exception_fp_ieee_inexact 0
		.amdhsa_exception_int_div_zero 0
	.end_amdhsa_kernel
	.section	.text._ZN7rocprim17ROCPRIM_400000_NS6detail17trampoline_kernelINS0_14default_configENS1_27scan_by_key_config_selectorIiiEEZZNS1_16scan_by_key_implILNS1_25lookback_scan_determinismE0ELb1ES3_N6thrust23THRUST_200600_302600_NS6detail15normal_iteratorINS9_10device_ptrIiEEEESE_SE_iNS9_10multipliesIiEENS9_8equal_toIiEEiEE10hipError_tPvRmT2_T3_T4_T5_mT6_T7_P12ihipStream_tbENKUlT_T0_E_clISt17integral_constantIbLb1EESY_IbLb0EEEEDaSU_SV_EUlSU_E_NS1_11comp_targetILNS1_3genE0ELNS1_11target_archE4294967295ELNS1_3gpuE0ELNS1_3repE0EEENS1_30default_config_static_selectorELNS0_4arch9wavefront6targetE0EEEvT1_,"axG",@progbits,_ZN7rocprim17ROCPRIM_400000_NS6detail17trampoline_kernelINS0_14default_configENS1_27scan_by_key_config_selectorIiiEEZZNS1_16scan_by_key_implILNS1_25lookback_scan_determinismE0ELb1ES3_N6thrust23THRUST_200600_302600_NS6detail15normal_iteratorINS9_10device_ptrIiEEEESE_SE_iNS9_10multipliesIiEENS9_8equal_toIiEEiEE10hipError_tPvRmT2_T3_T4_T5_mT6_T7_P12ihipStream_tbENKUlT_T0_E_clISt17integral_constantIbLb1EESY_IbLb0EEEEDaSU_SV_EUlSU_E_NS1_11comp_targetILNS1_3genE0ELNS1_11target_archE4294967295ELNS1_3gpuE0ELNS1_3repE0EEENS1_30default_config_static_selectorELNS0_4arch9wavefront6targetE0EEEvT1_,comdat
.Lfunc_end515:
	.size	_ZN7rocprim17ROCPRIM_400000_NS6detail17trampoline_kernelINS0_14default_configENS1_27scan_by_key_config_selectorIiiEEZZNS1_16scan_by_key_implILNS1_25lookback_scan_determinismE0ELb1ES3_N6thrust23THRUST_200600_302600_NS6detail15normal_iteratorINS9_10device_ptrIiEEEESE_SE_iNS9_10multipliesIiEENS9_8equal_toIiEEiEE10hipError_tPvRmT2_T3_T4_T5_mT6_T7_P12ihipStream_tbENKUlT_T0_E_clISt17integral_constantIbLb1EESY_IbLb0EEEEDaSU_SV_EUlSU_E_NS1_11comp_targetILNS1_3genE0ELNS1_11target_archE4294967295ELNS1_3gpuE0ELNS1_3repE0EEENS1_30default_config_static_selectorELNS0_4arch9wavefront6targetE0EEEvT1_, .Lfunc_end515-_ZN7rocprim17ROCPRIM_400000_NS6detail17trampoline_kernelINS0_14default_configENS1_27scan_by_key_config_selectorIiiEEZZNS1_16scan_by_key_implILNS1_25lookback_scan_determinismE0ELb1ES3_N6thrust23THRUST_200600_302600_NS6detail15normal_iteratorINS9_10device_ptrIiEEEESE_SE_iNS9_10multipliesIiEENS9_8equal_toIiEEiEE10hipError_tPvRmT2_T3_T4_T5_mT6_T7_P12ihipStream_tbENKUlT_T0_E_clISt17integral_constantIbLb1EESY_IbLb0EEEEDaSU_SV_EUlSU_E_NS1_11comp_targetILNS1_3genE0ELNS1_11target_archE4294967295ELNS1_3gpuE0ELNS1_3repE0EEENS1_30default_config_static_selectorELNS0_4arch9wavefront6targetE0EEEvT1_
                                        ; -- End function
	.set _ZN7rocprim17ROCPRIM_400000_NS6detail17trampoline_kernelINS0_14default_configENS1_27scan_by_key_config_selectorIiiEEZZNS1_16scan_by_key_implILNS1_25lookback_scan_determinismE0ELb1ES3_N6thrust23THRUST_200600_302600_NS6detail15normal_iteratorINS9_10device_ptrIiEEEESE_SE_iNS9_10multipliesIiEENS9_8equal_toIiEEiEE10hipError_tPvRmT2_T3_T4_T5_mT6_T7_P12ihipStream_tbENKUlT_T0_E_clISt17integral_constantIbLb1EESY_IbLb0EEEEDaSU_SV_EUlSU_E_NS1_11comp_targetILNS1_3genE0ELNS1_11target_archE4294967295ELNS1_3gpuE0ELNS1_3repE0EEENS1_30default_config_static_selectorELNS0_4arch9wavefront6targetE0EEEvT1_.num_vgpr, 0
	.set _ZN7rocprim17ROCPRIM_400000_NS6detail17trampoline_kernelINS0_14default_configENS1_27scan_by_key_config_selectorIiiEEZZNS1_16scan_by_key_implILNS1_25lookback_scan_determinismE0ELb1ES3_N6thrust23THRUST_200600_302600_NS6detail15normal_iteratorINS9_10device_ptrIiEEEESE_SE_iNS9_10multipliesIiEENS9_8equal_toIiEEiEE10hipError_tPvRmT2_T3_T4_T5_mT6_T7_P12ihipStream_tbENKUlT_T0_E_clISt17integral_constantIbLb1EESY_IbLb0EEEEDaSU_SV_EUlSU_E_NS1_11comp_targetILNS1_3genE0ELNS1_11target_archE4294967295ELNS1_3gpuE0ELNS1_3repE0EEENS1_30default_config_static_selectorELNS0_4arch9wavefront6targetE0EEEvT1_.num_agpr, 0
	.set _ZN7rocprim17ROCPRIM_400000_NS6detail17trampoline_kernelINS0_14default_configENS1_27scan_by_key_config_selectorIiiEEZZNS1_16scan_by_key_implILNS1_25lookback_scan_determinismE0ELb1ES3_N6thrust23THRUST_200600_302600_NS6detail15normal_iteratorINS9_10device_ptrIiEEEESE_SE_iNS9_10multipliesIiEENS9_8equal_toIiEEiEE10hipError_tPvRmT2_T3_T4_T5_mT6_T7_P12ihipStream_tbENKUlT_T0_E_clISt17integral_constantIbLb1EESY_IbLb0EEEEDaSU_SV_EUlSU_E_NS1_11comp_targetILNS1_3genE0ELNS1_11target_archE4294967295ELNS1_3gpuE0ELNS1_3repE0EEENS1_30default_config_static_selectorELNS0_4arch9wavefront6targetE0EEEvT1_.numbered_sgpr, 0
	.set _ZN7rocprim17ROCPRIM_400000_NS6detail17trampoline_kernelINS0_14default_configENS1_27scan_by_key_config_selectorIiiEEZZNS1_16scan_by_key_implILNS1_25lookback_scan_determinismE0ELb1ES3_N6thrust23THRUST_200600_302600_NS6detail15normal_iteratorINS9_10device_ptrIiEEEESE_SE_iNS9_10multipliesIiEENS9_8equal_toIiEEiEE10hipError_tPvRmT2_T3_T4_T5_mT6_T7_P12ihipStream_tbENKUlT_T0_E_clISt17integral_constantIbLb1EESY_IbLb0EEEEDaSU_SV_EUlSU_E_NS1_11comp_targetILNS1_3genE0ELNS1_11target_archE4294967295ELNS1_3gpuE0ELNS1_3repE0EEENS1_30default_config_static_selectorELNS0_4arch9wavefront6targetE0EEEvT1_.num_named_barrier, 0
	.set _ZN7rocprim17ROCPRIM_400000_NS6detail17trampoline_kernelINS0_14default_configENS1_27scan_by_key_config_selectorIiiEEZZNS1_16scan_by_key_implILNS1_25lookback_scan_determinismE0ELb1ES3_N6thrust23THRUST_200600_302600_NS6detail15normal_iteratorINS9_10device_ptrIiEEEESE_SE_iNS9_10multipliesIiEENS9_8equal_toIiEEiEE10hipError_tPvRmT2_T3_T4_T5_mT6_T7_P12ihipStream_tbENKUlT_T0_E_clISt17integral_constantIbLb1EESY_IbLb0EEEEDaSU_SV_EUlSU_E_NS1_11comp_targetILNS1_3genE0ELNS1_11target_archE4294967295ELNS1_3gpuE0ELNS1_3repE0EEENS1_30default_config_static_selectorELNS0_4arch9wavefront6targetE0EEEvT1_.private_seg_size, 0
	.set _ZN7rocprim17ROCPRIM_400000_NS6detail17trampoline_kernelINS0_14default_configENS1_27scan_by_key_config_selectorIiiEEZZNS1_16scan_by_key_implILNS1_25lookback_scan_determinismE0ELb1ES3_N6thrust23THRUST_200600_302600_NS6detail15normal_iteratorINS9_10device_ptrIiEEEESE_SE_iNS9_10multipliesIiEENS9_8equal_toIiEEiEE10hipError_tPvRmT2_T3_T4_T5_mT6_T7_P12ihipStream_tbENKUlT_T0_E_clISt17integral_constantIbLb1EESY_IbLb0EEEEDaSU_SV_EUlSU_E_NS1_11comp_targetILNS1_3genE0ELNS1_11target_archE4294967295ELNS1_3gpuE0ELNS1_3repE0EEENS1_30default_config_static_selectorELNS0_4arch9wavefront6targetE0EEEvT1_.uses_vcc, 0
	.set _ZN7rocprim17ROCPRIM_400000_NS6detail17trampoline_kernelINS0_14default_configENS1_27scan_by_key_config_selectorIiiEEZZNS1_16scan_by_key_implILNS1_25lookback_scan_determinismE0ELb1ES3_N6thrust23THRUST_200600_302600_NS6detail15normal_iteratorINS9_10device_ptrIiEEEESE_SE_iNS9_10multipliesIiEENS9_8equal_toIiEEiEE10hipError_tPvRmT2_T3_T4_T5_mT6_T7_P12ihipStream_tbENKUlT_T0_E_clISt17integral_constantIbLb1EESY_IbLb0EEEEDaSU_SV_EUlSU_E_NS1_11comp_targetILNS1_3genE0ELNS1_11target_archE4294967295ELNS1_3gpuE0ELNS1_3repE0EEENS1_30default_config_static_selectorELNS0_4arch9wavefront6targetE0EEEvT1_.uses_flat_scratch, 0
	.set _ZN7rocprim17ROCPRIM_400000_NS6detail17trampoline_kernelINS0_14default_configENS1_27scan_by_key_config_selectorIiiEEZZNS1_16scan_by_key_implILNS1_25lookback_scan_determinismE0ELb1ES3_N6thrust23THRUST_200600_302600_NS6detail15normal_iteratorINS9_10device_ptrIiEEEESE_SE_iNS9_10multipliesIiEENS9_8equal_toIiEEiEE10hipError_tPvRmT2_T3_T4_T5_mT6_T7_P12ihipStream_tbENKUlT_T0_E_clISt17integral_constantIbLb1EESY_IbLb0EEEEDaSU_SV_EUlSU_E_NS1_11comp_targetILNS1_3genE0ELNS1_11target_archE4294967295ELNS1_3gpuE0ELNS1_3repE0EEENS1_30default_config_static_selectorELNS0_4arch9wavefront6targetE0EEEvT1_.has_dyn_sized_stack, 0
	.set _ZN7rocprim17ROCPRIM_400000_NS6detail17trampoline_kernelINS0_14default_configENS1_27scan_by_key_config_selectorIiiEEZZNS1_16scan_by_key_implILNS1_25lookback_scan_determinismE0ELb1ES3_N6thrust23THRUST_200600_302600_NS6detail15normal_iteratorINS9_10device_ptrIiEEEESE_SE_iNS9_10multipliesIiEENS9_8equal_toIiEEiEE10hipError_tPvRmT2_T3_T4_T5_mT6_T7_P12ihipStream_tbENKUlT_T0_E_clISt17integral_constantIbLb1EESY_IbLb0EEEEDaSU_SV_EUlSU_E_NS1_11comp_targetILNS1_3genE0ELNS1_11target_archE4294967295ELNS1_3gpuE0ELNS1_3repE0EEENS1_30default_config_static_selectorELNS0_4arch9wavefront6targetE0EEEvT1_.has_recursion, 0
	.set _ZN7rocprim17ROCPRIM_400000_NS6detail17trampoline_kernelINS0_14default_configENS1_27scan_by_key_config_selectorIiiEEZZNS1_16scan_by_key_implILNS1_25lookback_scan_determinismE0ELb1ES3_N6thrust23THRUST_200600_302600_NS6detail15normal_iteratorINS9_10device_ptrIiEEEESE_SE_iNS9_10multipliesIiEENS9_8equal_toIiEEiEE10hipError_tPvRmT2_T3_T4_T5_mT6_T7_P12ihipStream_tbENKUlT_T0_E_clISt17integral_constantIbLb1EESY_IbLb0EEEEDaSU_SV_EUlSU_E_NS1_11comp_targetILNS1_3genE0ELNS1_11target_archE4294967295ELNS1_3gpuE0ELNS1_3repE0EEENS1_30default_config_static_selectorELNS0_4arch9wavefront6targetE0EEEvT1_.has_indirect_call, 0
	.section	.AMDGPU.csdata,"",@progbits
; Kernel info:
; codeLenInByte = 0
; TotalNumSgprs: 0
; NumVgprs: 0
; ScratchSize: 0
; MemoryBound: 0
; FloatMode: 240
; IeeeMode: 1
; LDSByteSize: 0 bytes/workgroup (compile time only)
; SGPRBlocks: 0
; VGPRBlocks: 0
; NumSGPRsForWavesPerEU: 1
; NumVGPRsForWavesPerEU: 1
; Occupancy: 16
; WaveLimiterHint : 0
; COMPUTE_PGM_RSRC2:SCRATCH_EN: 0
; COMPUTE_PGM_RSRC2:USER_SGPR: 6
; COMPUTE_PGM_RSRC2:TRAP_HANDLER: 0
; COMPUTE_PGM_RSRC2:TGID_X_EN: 1
; COMPUTE_PGM_RSRC2:TGID_Y_EN: 0
; COMPUTE_PGM_RSRC2:TGID_Z_EN: 0
; COMPUTE_PGM_RSRC2:TIDIG_COMP_CNT: 0
	.section	.text._ZN7rocprim17ROCPRIM_400000_NS6detail17trampoline_kernelINS0_14default_configENS1_27scan_by_key_config_selectorIiiEEZZNS1_16scan_by_key_implILNS1_25lookback_scan_determinismE0ELb1ES3_N6thrust23THRUST_200600_302600_NS6detail15normal_iteratorINS9_10device_ptrIiEEEESE_SE_iNS9_10multipliesIiEENS9_8equal_toIiEEiEE10hipError_tPvRmT2_T3_T4_T5_mT6_T7_P12ihipStream_tbENKUlT_T0_E_clISt17integral_constantIbLb1EESY_IbLb0EEEEDaSU_SV_EUlSU_E_NS1_11comp_targetILNS1_3genE10ELNS1_11target_archE1201ELNS1_3gpuE5ELNS1_3repE0EEENS1_30default_config_static_selectorELNS0_4arch9wavefront6targetE0EEEvT1_,"axG",@progbits,_ZN7rocprim17ROCPRIM_400000_NS6detail17trampoline_kernelINS0_14default_configENS1_27scan_by_key_config_selectorIiiEEZZNS1_16scan_by_key_implILNS1_25lookback_scan_determinismE0ELb1ES3_N6thrust23THRUST_200600_302600_NS6detail15normal_iteratorINS9_10device_ptrIiEEEESE_SE_iNS9_10multipliesIiEENS9_8equal_toIiEEiEE10hipError_tPvRmT2_T3_T4_T5_mT6_T7_P12ihipStream_tbENKUlT_T0_E_clISt17integral_constantIbLb1EESY_IbLb0EEEEDaSU_SV_EUlSU_E_NS1_11comp_targetILNS1_3genE10ELNS1_11target_archE1201ELNS1_3gpuE5ELNS1_3repE0EEENS1_30default_config_static_selectorELNS0_4arch9wavefront6targetE0EEEvT1_,comdat
	.protected	_ZN7rocprim17ROCPRIM_400000_NS6detail17trampoline_kernelINS0_14default_configENS1_27scan_by_key_config_selectorIiiEEZZNS1_16scan_by_key_implILNS1_25lookback_scan_determinismE0ELb1ES3_N6thrust23THRUST_200600_302600_NS6detail15normal_iteratorINS9_10device_ptrIiEEEESE_SE_iNS9_10multipliesIiEENS9_8equal_toIiEEiEE10hipError_tPvRmT2_T3_T4_T5_mT6_T7_P12ihipStream_tbENKUlT_T0_E_clISt17integral_constantIbLb1EESY_IbLb0EEEEDaSU_SV_EUlSU_E_NS1_11comp_targetILNS1_3genE10ELNS1_11target_archE1201ELNS1_3gpuE5ELNS1_3repE0EEENS1_30default_config_static_selectorELNS0_4arch9wavefront6targetE0EEEvT1_ ; -- Begin function _ZN7rocprim17ROCPRIM_400000_NS6detail17trampoline_kernelINS0_14default_configENS1_27scan_by_key_config_selectorIiiEEZZNS1_16scan_by_key_implILNS1_25lookback_scan_determinismE0ELb1ES3_N6thrust23THRUST_200600_302600_NS6detail15normal_iteratorINS9_10device_ptrIiEEEESE_SE_iNS9_10multipliesIiEENS9_8equal_toIiEEiEE10hipError_tPvRmT2_T3_T4_T5_mT6_T7_P12ihipStream_tbENKUlT_T0_E_clISt17integral_constantIbLb1EESY_IbLb0EEEEDaSU_SV_EUlSU_E_NS1_11comp_targetILNS1_3genE10ELNS1_11target_archE1201ELNS1_3gpuE5ELNS1_3repE0EEENS1_30default_config_static_selectorELNS0_4arch9wavefront6targetE0EEEvT1_
	.globl	_ZN7rocprim17ROCPRIM_400000_NS6detail17trampoline_kernelINS0_14default_configENS1_27scan_by_key_config_selectorIiiEEZZNS1_16scan_by_key_implILNS1_25lookback_scan_determinismE0ELb1ES3_N6thrust23THRUST_200600_302600_NS6detail15normal_iteratorINS9_10device_ptrIiEEEESE_SE_iNS9_10multipliesIiEENS9_8equal_toIiEEiEE10hipError_tPvRmT2_T3_T4_T5_mT6_T7_P12ihipStream_tbENKUlT_T0_E_clISt17integral_constantIbLb1EESY_IbLb0EEEEDaSU_SV_EUlSU_E_NS1_11comp_targetILNS1_3genE10ELNS1_11target_archE1201ELNS1_3gpuE5ELNS1_3repE0EEENS1_30default_config_static_selectorELNS0_4arch9wavefront6targetE0EEEvT1_
	.p2align	8
	.type	_ZN7rocprim17ROCPRIM_400000_NS6detail17trampoline_kernelINS0_14default_configENS1_27scan_by_key_config_selectorIiiEEZZNS1_16scan_by_key_implILNS1_25lookback_scan_determinismE0ELb1ES3_N6thrust23THRUST_200600_302600_NS6detail15normal_iteratorINS9_10device_ptrIiEEEESE_SE_iNS9_10multipliesIiEENS9_8equal_toIiEEiEE10hipError_tPvRmT2_T3_T4_T5_mT6_T7_P12ihipStream_tbENKUlT_T0_E_clISt17integral_constantIbLb1EESY_IbLb0EEEEDaSU_SV_EUlSU_E_NS1_11comp_targetILNS1_3genE10ELNS1_11target_archE1201ELNS1_3gpuE5ELNS1_3repE0EEENS1_30default_config_static_selectorELNS0_4arch9wavefront6targetE0EEEvT1_,@function
_ZN7rocprim17ROCPRIM_400000_NS6detail17trampoline_kernelINS0_14default_configENS1_27scan_by_key_config_selectorIiiEEZZNS1_16scan_by_key_implILNS1_25lookback_scan_determinismE0ELb1ES3_N6thrust23THRUST_200600_302600_NS6detail15normal_iteratorINS9_10device_ptrIiEEEESE_SE_iNS9_10multipliesIiEENS9_8equal_toIiEEiEE10hipError_tPvRmT2_T3_T4_T5_mT6_T7_P12ihipStream_tbENKUlT_T0_E_clISt17integral_constantIbLb1EESY_IbLb0EEEEDaSU_SV_EUlSU_E_NS1_11comp_targetILNS1_3genE10ELNS1_11target_archE1201ELNS1_3gpuE5ELNS1_3repE0EEENS1_30default_config_static_selectorELNS0_4arch9wavefront6targetE0EEEvT1_: ; @_ZN7rocprim17ROCPRIM_400000_NS6detail17trampoline_kernelINS0_14default_configENS1_27scan_by_key_config_selectorIiiEEZZNS1_16scan_by_key_implILNS1_25lookback_scan_determinismE0ELb1ES3_N6thrust23THRUST_200600_302600_NS6detail15normal_iteratorINS9_10device_ptrIiEEEESE_SE_iNS9_10multipliesIiEENS9_8equal_toIiEEiEE10hipError_tPvRmT2_T3_T4_T5_mT6_T7_P12ihipStream_tbENKUlT_T0_E_clISt17integral_constantIbLb1EESY_IbLb0EEEEDaSU_SV_EUlSU_E_NS1_11comp_targetILNS1_3genE10ELNS1_11target_archE1201ELNS1_3gpuE5ELNS1_3repE0EEENS1_30default_config_static_selectorELNS0_4arch9wavefront6targetE0EEEvT1_
; %bb.0:
	.section	.rodata,"a",@progbits
	.p2align	6, 0x0
	.amdhsa_kernel _ZN7rocprim17ROCPRIM_400000_NS6detail17trampoline_kernelINS0_14default_configENS1_27scan_by_key_config_selectorIiiEEZZNS1_16scan_by_key_implILNS1_25lookback_scan_determinismE0ELb1ES3_N6thrust23THRUST_200600_302600_NS6detail15normal_iteratorINS9_10device_ptrIiEEEESE_SE_iNS9_10multipliesIiEENS9_8equal_toIiEEiEE10hipError_tPvRmT2_T3_T4_T5_mT6_T7_P12ihipStream_tbENKUlT_T0_E_clISt17integral_constantIbLb1EESY_IbLb0EEEEDaSU_SV_EUlSU_E_NS1_11comp_targetILNS1_3genE10ELNS1_11target_archE1201ELNS1_3gpuE5ELNS1_3repE0EEENS1_30default_config_static_selectorELNS0_4arch9wavefront6targetE0EEEvT1_
		.amdhsa_group_segment_fixed_size 0
		.amdhsa_private_segment_fixed_size 0
		.amdhsa_kernarg_size 112
		.amdhsa_user_sgpr_count 6
		.amdhsa_user_sgpr_private_segment_buffer 1
		.amdhsa_user_sgpr_dispatch_ptr 0
		.amdhsa_user_sgpr_queue_ptr 0
		.amdhsa_user_sgpr_kernarg_segment_ptr 1
		.amdhsa_user_sgpr_dispatch_id 0
		.amdhsa_user_sgpr_flat_scratch_init 0
		.amdhsa_user_sgpr_private_segment_size 0
		.amdhsa_wavefront_size32 1
		.amdhsa_uses_dynamic_stack 0
		.amdhsa_system_sgpr_private_segment_wavefront_offset 0
		.amdhsa_system_sgpr_workgroup_id_x 1
		.amdhsa_system_sgpr_workgroup_id_y 0
		.amdhsa_system_sgpr_workgroup_id_z 0
		.amdhsa_system_sgpr_workgroup_info 0
		.amdhsa_system_vgpr_workitem_id 0
		.amdhsa_next_free_vgpr 1
		.amdhsa_next_free_sgpr 1
		.amdhsa_reserve_vcc 0
		.amdhsa_reserve_flat_scratch 0
		.amdhsa_float_round_mode_32 0
		.amdhsa_float_round_mode_16_64 0
		.amdhsa_float_denorm_mode_32 3
		.amdhsa_float_denorm_mode_16_64 3
		.amdhsa_dx10_clamp 1
		.amdhsa_ieee_mode 1
		.amdhsa_fp16_overflow 0
		.amdhsa_workgroup_processor_mode 1
		.amdhsa_memory_ordered 1
		.amdhsa_forward_progress 1
		.amdhsa_shared_vgpr_count 0
		.amdhsa_exception_fp_ieee_invalid_op 0
		.amdhsa_exception_fp_denorm_src 0
		.amdhsa_exception_fp_ieee_div_zero 0
		.amdhsa_exception_fp_ieee_overflow 0
		.amdhsa_exception_fp_ieee_underflow 0
		.amdhsa_exception_fp_ieee_inexact 0
		.amdhsa_exception_int_div_zero 0
	.end_amdhsa_kernel
	.section	.text._ZN7rocprim17ROCPRIM_400000_NS6detail17trampoline_kernelINS0_14default_configENS1_27scan_by_key_config_selectorIiiEEZZNS1_16scan_by_key_implILNS1_25lookback_scan_determinismE0ELb1ES3_N6thrust23THRUST_200600_302600_NS6detail15normal_iteratorINS9_10device_ptrIiEEEESE_SE_iNS9_10multipliesIiEENS9_8equal_toIiEEiEE10hipError_tPvRmT2_T3_T4_T5_mT6_T7_P12ihipStream_tbENKUlT_T0_E_clISt17integral_constantIbLb1EESY_IbLb0EEEEDaSU_SV_EUlSU_E_NS1_11comp_targetILNS1_3genE10ELNS1_11target_archE1201ELNS1_3gpuE5ELNS1_3repE0EEENS1_30default_config_static_selectorELNS0_4arch9wavefront6targetE0EEEvT1_,"axG",@progbits,_ZN7rocprim17ROCPRIM_400000_NS6detail17trampoline_kernelINS0_14default_configENS1_27scan_by_key_config_selectorIiiEEZZNS1_16scan_by_key_implILNS1_25lookback_scan_determinismE0ELb1ES3_N6thrust23THRUST_200600_302600_NS6detail15normal_iteratorINS9_10device_ptrIiEEEESE_SE_iNS9_10multipliesIiEENS9_8equal_toIiEEiEE10hipError_tPvRmT2_T3_T4_T5_mT6_T7_P12ihipStream_tbENKUlT_T0_E_clISt17integral_constantIbLb1EESY_IbLb0EEEEDaSU_SV_EUlSU_E_NS1_11comp_targetILNS1_3genE10ELNS1_11target_archE1201ELNS1_3gpuE5ELNS1_3repE0EEENS1_30default_config_static_selectorELNS0_4arch9wavefront6targetE0EEEvT1_,comdat
.Lfunc_end516:
	.size	_ZN7rocprim17ROCPRIM_400000_NS6detail17trampoline_kernelINS0_14default_configENS1_27scan_by_key_config_selectorIiiEEZZNS1_16scan_by_key_implILNS1_25lookback_scan_determinismE0ELb1ES3_N6thrust23THRUST_200600_302600_NS6detail15normal_iteratorINS9_10device_ptrIiEEEESE_SE_iNS9_10multipliesIiEENS9_8equal_toIiEEiEE10hipError_tPvRmT2_T3_T4_T5_mT6_T7_P12ihipStream_tbENKUlT_T0_E_clISt17integral_constantIbLb1EESY_IbLb0EEEEDaSU_SV_EUlSU_E_NS1_11comp_targetILNS1_3genE10ELNS1_11target_archE1201ELNS1_3gpuE5ELNS1_3repE0EEENS1_30default_config_static_selectorELNS0_4arch9wavefront6targetE0EEEvT1_, .Lfunc_end516-_ZN7rocprim17ROCPRIM_400000_NS6detail17trampoline_kernelINS0_14default_configENS1_27scan_by_key_config_selectorIiiEEZZNS1_16scan_by_key_implILNS1_25lookback_scan_determinismE0ELb1ES3_N6thrust23THRUST_200600_302600_NS6detail15normal_iteratorINS9_10device_ptrIiEEEESE_SE_iNS9_10multipliesIiEENS9_8equal_toIiEEiEE10hipError_tPvRmT2_T3_T4_T5_mT6_T7_P12ihipStream_tbENKUlT_T0_E_clISt17integral_constantIbLb1EESY_IbLb0EEEEDaSU_SV_EUlSU_E_NS1_11comp_targetILNS1_3genE10ELNS1_11target_archE1201ELNS1_3gpuE5ELNS1_3repE0EEENS1_30default_config_static_selectorELNS0_4arch9wavefront6targetE0EEEvT1_
                                        ; -- End function
	.set _ZN7rocprim17ROCPRIM_400000_NS6detail17trampoline_kernelINS0_14default_configENS1_27scan_by_key_config_selectorIiiEEZZNS1_16scan_by_key_implILNS1_25lookback_scan_determinismE0ELb1ES3_N6thrust23THRUST_200600_302600_NS6detail15normal_iteratorINS9_10device_ptrIiEEEESE_SE_iNS9_10multipliesIiEENS9_8equal_toIiEEiEE10hipError_tPvRmT2_T3_T4_T5_mT6_T7_P12ihipStream_tbENKUlT_T0_E_clISt17integral_constantIbLb1EESY_IbLb0EEEEDaSU_SV_EUlSU_E_NS1_11comp_targetILNS1_3genE10ELNS1_11target_archE1201ELNS1_3gpuE5ELNS1_3repE0EEENS1_30default_config_static_selectorELNS0_4arch9wavefront6targetE0EEEvT1_.num_vgpr, 0
	.set _ZN7rocprim17ROCPRIM_400000_NS6detail17trampoline_kernelINS0_14default_configENS1_27scan_by_key_config_selectorIiiEEZZNS1_16scan_by_key_implILNS1_25lookback_scan_determinismE0ELb1ES3_N6thrust23THRUST_200600_302600_NS6detail15normal_iteratorINS9_10device_ptrIiEEEESE_SE_iNS9_10multipliesIiEENS9_8equal_toIiEEiEE10hipError_tPvRmT2_T3_T4_T5_mT6_T7_P12ihipStream_tbENKUlT_T0_E_clISt17integral_constantIbLb1EESY_IbLb0EEEEDaSU_SV_EUlSU_E_NS1_11comp_targetILNS1_3genE10ELNS1_11target_archE1201ELNS1_3gpuE5ELNS1_3repE0EEENS1_30default_config_static_selectorELNS0_4arch9wavefront6targetE0EEEvT1_.num_agpr, 0
	.set _ZN7rocprim17ROCPRIM_400000_NS6detail17trampoline_kernelINS0_14default_configENS1_27scan_by_key_config_selectorIiiEEZZNS1_16scan_by_key_implILNS1_25lookback_scan_determinismE0ELb1ES3_N6thrust23THRUST_200600_302600_NS6detail15normal_iteratorINS9_10device_ptrIiEEEESE_SE_iNS9_10multipliesIiEENS9_8equal_toIiEEiEE10hipError_tPvRmT2_T3_T4_T5_mT6_T7_P12ihipStream_tbENKUlT_T0_E_clISt17integral_constantIbLb1EESY_IbLb0EEEEDaSU_SV_EUlSU_E_NS1_11comp_targetILNS1_3genE10ELNS1_11target_archE1201ELNS1_3gpuE5ELNS1_3repE0EEENS1_30default_config_static_selectorELNS0_4arch9wavefront6targetE0EEEvT1_.numbered_sgpr, 0
	.set _ZN7rocprim17ROCPRIM_400000_NS6detail17trampoline_kernelINS0_14default_configENS1_27scan_by_key_config_selectorIiiEEZZNS1_16scan_by_key_implILNS1_25lookback_scan_determinismE0ELb1ES3_N6thrust23THRUST_200600_302600_NS6detail15normal_iteratorINS9_10device_ptrIiEEEESE_SE_iNS9_10multipliesIiEENS9_8equal_toIiEEiEE10hipError_tPvRmT2_T3_T4_T5_mT6_T7_P12ihipStream_tbENKUlT_T0_E_clISt17integral_constantIbLb1EESY_IbLb0EEEEDaSU_SV_EUlSU_E_NS1_11comp_targetILNS1_3genE10ELNS1_11target_archE1201ELNS1_3gpuE5ELNS1_3repE0EEENS1_30default_config_static_selectorELNS0_4arch9wavefront6targetE0EEEvT1_.num_named_barrier, 0
	.set _ZN7rocprim17ROCPRIM_400000_NS6detail17trampoline_kernelINS0_14default_configENS1_27scan_by_key_config_selectorIiiEEZZNS1_16scan_by_key_implILNS1_25lookback_scan_determinismE0ELb1ES3_N6thrust23THRUST_200600_302600_NS6detail15normal_iteratorINS9_10device_ptrIiEEEESE_SE_iNS9_10multipliesIiEENS9_8equal_toIiEEiEE10hipError_tPvRmT2_T3_T4_T5_mT6_T7_P12ihipStream_tbENKUlT_T0_E_clISt17integral_constantIbLb1EESY_IbLb0EEEEDaSU_SV_EUlSU_E_NS1_11comp_targetILNS1_3genE10ELNS1_11target_archE1201ELNS1_3gpuE5ELNS1_3repE0EEENS1_30default_config_static_selectorELNS0_4arch9wavefront6targetE0EEEvT1_.private_seg_size, 0
	.set _ZN7rocprim17ROCPRIM_400000_NS6detail17trampoline_kernelINS0_14default_configENS1_27scan_by_key_config_selectorIiiEEZZNS1_16scan_by_key_implILNS1_25lookback_scan_determinismE0ELb1ES3_N6thrust23THRUST_200600_302600_NS6detail15normal_iteratorINS9_10device_ptrIiEEEESE_SE_iNS9_10multipliesIiEENS9_8equal_toIiEEiEE10hipError_tPvRmT2_T3_T4_T5_mT6_T7_P12ihipStream_tbENKUlT_T0_E_clISt17integral_constantIbLb1EESY_IbLb0EEEEDaSU_SV_EUlSU_E_NS1_11comp_targetILNS1_3genE10ELNS1_11target_archE1201ELNS1_3gpuE5ELNS1_3repE0EEENS1_30default_config_static_selectorELNS0_4arch9wavefront6targetE0EEEvT1_.uses_vcc, 0
	.set _ZN7rocprim17ROCPRIM_400000_NS6detail17trampoline_kernelINS0_14default_configENS1_27scan_by_key_config_selectorIiiEEZZNS1_16scan_by_key_implILNS1_25lookback_scan_determinismE0ELb1ES3_N6thrust23THRUST_200600_302600_NS6detail15normal_iteratorINS9_10device_ptrIiEEEESE_SE_iNS9_10multipliesIiEENS9_8equal_toIiEEiEE10hipError_tPvRmT2_T3_T4_T5_mT6_T7_P12ihipStream_tbENKUlT_T0_E_clISt17integral_constantIbLb1EESY_IbLb0EEEEDaSU_SV_EUlSU_E_NS1_11comp_targetILNS1_3genE10ELNS1_11target_archE1201ELNS1_3gpuE5ELNS1_3repE0EEENS1_30default_config_static_selectorELNS0_4arch9wavefront6targetE0EEEvT1_.uses_flat_scratch, 0
	.set _ZN7rocprim17ROCPRIM_400000_NS6detail17trampoline_kernelINS0_14default_configENS1_27scan_by_key_config_selectorIiiEEZZNS1_16scan_by_key_implILNS1_25lookback_scan_determinismE0ELb1ES3_N6thrust23THRUST_200600_302600_NS6detail15normal_iteratorINS9_10device_ptrIiEEEESE_SE_iNS9_10multipliesIiEENS9_8equal_toIiEEiEE10hipError_tPvRmT2_T3_T4_T5_mT6_T7_P12ihipStream_tbENKUlT_T0_E_clISt17integral_constantIbLb1EESY_IbLb0EEEEDaSU_SV_EUlSU_E_NS1_11comp_targetILNS1_3genE10ELNS1_11target_archE1201ELNS1_3gpuE5ELNS1_3repE0EEENS1_30default_config_static_selectorELNS0_4arch9wavefront6targetE0EEEvT1_.has_dyn_sized_stack, 0
	.set _ZN7rocprim17ROCPRIM_400000_NS6detail17trampoline_kernelINS0_14default_configENS1_27scan_by_key_config_selectorIiiEEZZNS1_16scan_by_key_implILNS1_25lookback_scan_determinismE0ELb1ES3_N6thrust23THRUST_200600_302600_NS6detail15normal_iteratorINS9_10device_ptrIiEEEESE_SE_iNS9_10multipliesIiEENS9_8equal_toIiEEiEE10hipError_tPvRmT2_T3_T4_T5_mT6_T7_P12ihipStream_tbENKUlT_T0_E_clISt17integral_constantIbLb1EESY_IbLb0EEEEDaSU_SV_EUlSU_E_NS1_11comp_targetILNS1_3genE10ELNS1_11target_archE1201ELNS1_3gpuE5ELNS1_3repE0EEENS1_30default_config_static_selectorELNS0_4arch9wavefront6targetE0EEEvT1_.has_recursion, 0
	.set _ZN7rocprim17ROCPRIM_400000_NS6detail17trampoline_kernelINS0_14default_configENS1_27scan_by_key_config_selectorIiiEEZZNS1_16scan_by_key_implILNS1_25lookback_scan_determinismE0ELb1ES3_N6thrust23THRUST_200600_302600_NS6detail15normal_iteratorINS9_10device_ptrIiEEEESE_SE_iNS9_10multipliesIiEENS9_8equal_toIiEEiEE10hipError_tPvRmT2_T3_T4_T5_mT6_T7_P12ihipStream_tbENKUlT_T0_E_clISt17integral_constantIbLb1EESY_IbLb0EEEEDaSU_SV_EUlSU_E_NS1_11comp_targetILNS1_3genE10ELNS1_11target_archE1201ELNS1_3gpuE5ELNS1_3repE0EEENS1_30default_config_static_selectorELNS0_4arch9wavefront6targetE0EEEvT1_.has_indirect_call, 0
	.section	.AMDGPU.csdata,"",@progbits
; Kernel info:
; codeLenInByte = 0
; TotalNumSgprs: 0
; NumVgprs: 0
; ScratchSize: 0
; MemoryBound: 0
; FloatMode: 240
; IeeeMode: 1
; LDSByteSize: 0 bytes/workgroup (compile time only)
; SGPRBlocks: 0
; VGPRBlocks: 0
; NumSGPRsForWavesPerEU: 1
; NumVGPRsForWavesPerEU: 1
; Occupancy: 16
; WaveLimiterHint : 0
; COMPUTE_PGM_RSRC2:SCRATCH_EN: 0
; COMPUTE_PGM_RSRC2:USER_SGPR: 6
; COMPUTE_PGM_RSRC2:TRAP_HANDLER: 0
; COMPUTE_PGM_RSRC2:TGID_X_EN: 1
; COMPUTE_PGM_RSRC2:TGID_Y_EN: 0
; COMPUTE_PGM_RSRC2:TGID_Z_EN: 0
; COMPUTE_PGM_RSRC2:TIDIG_COMP_CNT: 0
	.section	.text._ZN7rocprim17ROCPRIM_400000_NS6detail17trampoline_kernelINS0_14default_configENS1_27scan_by_key_config_selectorIiiEEZZNS1_16scan_by_key_implILNS1_25lookback_scan_determinismE0ELb1ES3_N6thrust23THRUST_200600_302600_NS6detail15normal_iteratorINS9_10device_ptrIiEEEESE_SE_iNS9_10multipliesIiEENS9_8equal_toIiEEiEE10hipError_tPvRmT2_T3_T4_T5_mT6_T7_P12ihipStream_tbENKUlT_T0_E_clISt17integral_constantIbLb1EESY_IbLb0EEEEDaSU_SV_EUlSU_E_NS1_11comp_targetILNS1_3genE5ELNS1_11target_archE942ELNS1_3gpuE9ELNS1_3repE0EEENS1_30default_config_static_selectorELNS0_4arch9wavefront6targetE0EEEvT1_,"axG",@progbits,_ZN7rocprim17ROCPRIM_400000_NS6detail17trampoline_kernelINS0_14default_configENS1_27scan_by_key_config_selectorIiiEEZZNS1_16scan_by_key_implILNS1_25lookback_scan_determinismE0ELb1ES3_N6thrust23THRUST_200600_302600_NS6detail15normal_iteratorINS9_10device_ptrIiEEEESE_SE_iNS9_10multipliesIiEENS9_8equal_toIiEEiEE10hipError_tPvRmT2_T3_T4_T5_mT6_T7_P12ihipStream_tbENKUlT_T0_E_clISt17integral_constantIbLb1EESY_IbLb0EEEEDaSU_SV_EUlSU_E_NS1_11comp_targetILNS1_3genE5ELNS1_11target_archE942ELNS1_3gpuE9ELNS1_3repE0EEENS1_30default_config_static_selectorELNS0_4arch9wavefront6targetE0EEEvT1_,comdat
	.protected	_ZN7rocprim17ROCPRIM_400000_NS6detail17trampoline_kernelINS0_14default_configENS1_27scan_by_key_config_selectorIiiEEZZNS1_16scan_by_key_implILNS1_25lookback_scan_determinismE0ELb1ES3_N6thrust23THRUST_200600_302600_NS6detail15normal_iteratorINS9_10device_ptrIiEEEESE_SE_iNS9_10multipliesIiEENS9_8equal_toIiEEiEE10hipError_tPvRmT2_T3_T4_T5_mT6_T7_P12ihipStream_tbENKUlT_T0_E_clISt17integral_constantIbLb1EESY_IbLb0EEEEDaSU_SV_EUlSU_E_NS1_11comp_targetILNS1_3genE5ELNS1_11target_archE942ELNS1_3gpuE9ELNS1_3repE0EEENS1_30default_config_static_selectorELNS0_4arch9wavefront6targetE0EEEvT1_ ; -- Begin function _ZN7rocprim17ROCPRIM_400000_NS6detail17trampoline_kernelINS0_14default_configENS1_27scan_by_key_config_selectorIiiEEZZNS1_16scan_by_key_implILNS1_25lookback_scan_determinismE0ELb1ES3_N6thrust23THRUST_200600_302600_NS6detail15normal_iteratorINS9_10device_ptrIiEEEESE_SE_iNS9_10multipliesIiEENS9_8equal_toIiEEiEE10hipError_tPvRmT2_T3_T4_T5_mT6_T7_P12ihipStream_tbENKUlT_T0_E_clISt17integral_constantIbLb1EESY_IbLb0EEEEDaSU_SV_EUlSU_E_NS1_11comp_targetILNS1_3genE5ELNS1_11target_archE942ELNS1_3gpuE9ELNS1_3repE0EEENS1_30default_config_static_selectorELNS0_4arch9wavefront6targetE0EEEvT1_
	.globl	_ZN7rocprim17ROCPRIM_400000_NS6detail17trampoline_kernelINS0_14default_configENS1_27scan_by_key_config_selectorIiiEEZZNS1_16scan_by_key_implILNS1_25lookback_scan_determinismE0ELb1ES3_N6thrust23THRUST_200600_302600_NS6detail15normal_iteratorINS9_10device_ptrIiEEEESE_SE_iNS9_10multipliesIiEENS9_8equal_toIiEEiEE10hipError_tPvRmT2_T3_T4_T5_mT6_T7_P12ihipStream_tbENKUlT_T0_E_clISt17integral_constantIbLb1EESY_IbLb0EEEEDaSU_SV_EUlSU_E_NS1_11comp_targetILNS1_3genE5ELNS1_11target_archE942ELNS1_3gpuE9ELNS1_3repE0EEENS1_30default_config_static_selectorELNS0_4arch9wavefront6targetE0EEEvT1_
	.p2align	8
	.type	_ZN7rocprim17ROCPRIM_400000_NS6detail17trampoline_kernelINS0_14default_configENS1_27scan_by_key_config_selectorIiiEEZZNS1_16scan_by_key_implILNS1_25lookback_scan_determinismE0ELb1ES3_N6thrust23THRUST_200600_302600_NS6detail15normal_iteratorINS9_10device_ptrIiEEEESE_SE_iNS9_10multipliesIiEENS9_8equal_toIiEEiEE10hipError_tPvRmT2_T3_T4_T5_mT6_T7_P12ihipStream_tbENKUlT_T0_E_clISt17integral_constantIbLb1EESY_IbLb0EEEEDaSU_SV_EUlSU_E_NS1_11comp_targetILNS1_3genE5ELNS1_11target_archE942ELNS1_3gpuE9ELNS1_3repE0EEENS1_30default_config_static_selectorELNS0_4arch9wavefront6targetE0EEEvT1_,@function
_ZN7rocprim17ROCPRIM_400000_NS6detail17trampoline_kernelINS0_14default_configENS1_27scan_by_key_config_selectorIiiEEZZNS1_16scan_by_key_implILNS1_25lookback_scan_determinismE0ELb1ES3_N6thrust23THRUST_200600_302600_NS6detail15normal_iteratorINS9_10device_ptrIiEEEESE_SE_iNS9_10multipliesIiEENS9_8equal_toIiEEiEE10hipError_tPvRmT2_T3_T4_T5_mT6_T7_P12ihipStream_tbENKUlT_T0_E_clISt17integral_constantIbLb1EESY_IbLb0EEEEDaSU_SV_EUlSU_E_NS1_11comp_targetILNS1_3genE5ELNS1_11target_archE942ELNS1_3gpuE9ELNS1_3repE0EEENS1_30default_config_static_selectorELNS0_4arch9wavefront6targetE0EEEvT1_: ; @_ZN7rocprim17ROCPRIM_400000_NS6detail17trampoline_kernelINS0_14default_configENS1_27scan_by_key_config_selectorIiiEEZZNS1_16scan_by_key_implILNS1_25lookback_scan_determinismE0ELb1ES3_N6thrust23THRUST_200600_302600_NS6detail15normal_iteratorINS9_10device_ptrIiEEEESE_SE_iNS9_10multipliesIiEENS9_8equal_toIiEEiEE10hipError_tPvRmT2_T3_T4_T5_mT6_T7_P12ihipStream_tbENKUlT_T0_E_clISt17integral_constantIbLb1EESY_IbLb0EEEEDaSU_SV_EUlSU_E_NS1_11comp_targetILNS1_3genE5ELNS1_11target_archE942ELNS1_3gpuE9ELNS1_3repE0EEENS1_30default_config_static_selectorELNS0_4arch9wavefront6targetE0EEEvT1_
; %bb.0:
	.section	.rodata,"a",@progbits
	.p2align	6, 0x0
	.amdhsa_kernel _ZN7rocprim17ROCPRIM_400000_NS6detail17trampoline_kernelINS0_14default_configENS1_27scan_by_key_config_selectorIiiEEZZNS1_16scan_by_key_implILNS1_25lookback_scan_determinismE0ELb1ES3_N6thrust23THRUST_200600_302600_NS6detail15normal_iteratorINS9_10device_ptrIiEEEESE_SE_iNS9_10multipliesIiEENS9_8equal_toIiEEiEE10hipError_tPvRmT2_T3_T4_T5_mT6_T7_P12ihipStream_tbENKUlT_T0_E_clISt17integral_constantIbLb1EESY_IbLb0EEEEDaSU_SV_EUlSU_E_NS1_11comp_targetILNS1_3genE5ELNS1_11target_archE942ELNS1_3gpuE9ELNS1_3repE0EEENS1_30default_config_static_selectorELNS0_4arch9wavefront6targetE0EEEvT1_
		.amdhsa_group_segment_fixed_size 0
		.amdhsa_private_segment_fixed_size 0
		.amdhsa_kernarg_size 112
		.amdhsa_user_sgpr_count 6
		.amdhsa_user_sgpr_private_segment_buffer 1
		.amdhsa_user_sgpr_dispatch_ptr 0
		.amdhsa_user_sgpr_queue_ptr 0
		.amdhsa_user_sgpr_kernarg_segment_ptr 1
		.amdhsa_user_sgpr_dispatch_id 0
		.amdhsa_user_sgpr_flat_scratch_init 0
		.amdhsa_user_sgpr_private_segment_size 0
		.amdhsa_wavefront_size32 1
		.amdhsa_uses_dynamic_stack 0
		.amdhsa_system_sgpr_private_segment_wavefront_offset 0
		.amdhsa_system_sgpr_workgroup_id_x 1
		.amdhsa_system_sgpr_workgroup_id_y 0
		.amdhsa_system_sgpr_workgroup_id_z 0
		.amdhsa_system_sgpr_workgroup_info 0
		.amdhsa_system_vgpr_workitem_id 0
		.amdhsa_next_free_vgpr 1
		.amdhsa_next_free_sgpr 1
		.amdhsa_reserve_vcc 0
		.amdhsa_reserve_flat_scratch 0
		.amdhsa_float_round_mode_32 0
		.amdhsa_float_round_mode_16_64 0
		.amdhsa_float_denorm_mode_32 3
		.amdhsa_float_denorm_mode_16_64 3
		.amdhsa_dx10_clamp 1
		.amdhsa_ieee_mode 1
		.amdhsa_fp16_overflow 0
		.amdhsa_workgroup_processor_mode 1
		.amdhsa_memory_ordered 1
		.amdhsa_forward_progress 1
		.amdhsa_shared_vgpr_count 0
		.amdhsa_exception_fp_ieee_invalid_op 0
		.amdhsa_exception_fp_denorm_src 0
		.amdhsa_exception_fp_ieee_div_zero 0
		.amdhsa_exception_fp_ieee_overflow 0
		.amdhsa_exception_fp_ieee_underflow 0
		.amdhsa_exception_fp_ieee_inexact 0
		.amdhsa_exception_int_div_zero 0
	.end_amdhsa_kernel
	.section	.text._ZN7rocprim17ROCPRIM_400000_NS6detail17trampoline_kernelINS0_14default_configENS1_27scan_by_key_config_selectorIiiEEZZNS1_16scan_by_key_implILNS1_25lookback_scan_determinismE0ELb1ES3_N6thrust23THRUST_200600_302600_NS6detail15normal_iteratorINS9_10device_ptrIiEEEESE_SE_iNS9_10multipliesIiEENS9_8equal_toIiEEiEE10hipError_tPvRmT2_T3_T4_T5_mT6_T7_P12ihipStream_tbENKUlT_T0_E_clISt17integral_constantIbLb1EESY_IbLb0EEEEDaSU_SV_EUlSU_E_NS1_11comp_targetILNS1_3genE5ELNS1_11target_archE942ELNS1_3gpuE9ELNS1_3repE0EEENS1_30default_config_static_selectorELNS0_4arch9wavefront6targetE0EEEvT1_,"axG",@progbits,_ZN7rocprim17ROCPRIM_400000_NS6detail17trampoline_kernelINS0_14default_configENS1_27scan_by_key_config_selectorIiiEEZZNS1_16scan_by_key_implILNS1_25lookback_scan_determinismE0ELb1ES3_N6thrust23THRUST_200600_302600_NS6detail15normal_iteratorINS9_10device_ptrIiEEEESE_SE_iNS9_10multipliesIiEENS9_8equal_toIiEEiEE10hipError_tPvRmT2_T3_T4_T5_mT6_T7_P12ihipStream_tbENKUlT_T0_E_clISt17integral_constantIbLb1EESY_IbLb0EEEEDaSU_SV_EUlSU_E_NS1_11comp_targetILNS1_3genE5ELNS1_11target_archE942ELNS1_3gpuE9ELNS1_3repE0EEENS1_30default_config_static_selectorELNS0_4arch9wavefront6targetE0EEEvT1_,comdat
.Lfunc_end517:
	.size	_ZN7rocprim17ROCPRIM_400000_NS6detail17trampoline_kernelINS0_14default_configENS1_27scan_by_key_config_selectorIiiEEZZNS1_16scan_by_key_implILNS1_25lookback_scan_determinismE0ELb1ES3_N6thrust23THRUST_200600_302600_NS6detail15normal_iteratorINS9_10device_ptrIiEEEESE_SE_iNS9_10multipliesIiEENS9_8equal_toIiEEiEE10hipError_tPvRmT2_T3_T4_T5_mT6_T7_P12ihipStream_tbENKUlT_T0_E_clISt17integral_constantIbLb1EESY_IbLb0EEEEDaSU_SV_EUlSU_E_NS1_11comp_targetILNS1_3genE5ELNS1_11target_archE942ELNS1_3gpuE9ELNS1_3repE0EEENS1_30default_config_static_selectorELNS0_4arch9wavefront6targetE0EEEvT1_, .Lfunc_end517-_ZN7rocprim17ROCPRIM_400000_NS6detail17trampoline_kernelINS0_14default_configENS1_27scan_by_key_config_selectorIiiEEZZNS1_16scan_by_key_implILNS1_25lookback_scan_determinismE0ELb1ES3_N6thrust23THRUST_200600_302600_NS6detail15normal_iteratorINS9_10device_ptrIiEEEESE_SE_iNS9_10multipliesIiEENS9_8equal_toIiEEiEE10hipError_tPvRmT2_T3_T4_T5_mT6_T7_P12ihipStream_tbENKUlT_T0_E_clISt17integral_constantIbLb1EESY_IbLb0EEEEDaSU_SV_EUlSU_E_NS1_11comp_targetILNS1_3genE5ELNS1_11target_archE942ELNS1_3gpuE9ELNS1_3repE0EEENS1_30default_config_static_selectorELNS0_4arch9wavefront6targetE0EEEvT1_
                                        ; -- End function
	.set _ZN7rocprim17ROCPRIM_400000_NS6detail17trampoline_kernelINS0_14default_configENS1_27scan_by_key_config_selectorIiiEEZZNS1_16scan_by_key_implILNS1_25lookback_scan_determinismE0ELb1ES3_N6thrust23THRUST_200600_302600_NS6detail15normal_iteratorINS9_10device_ptrIiEEEESE_SE_iNS9_10multipliesIiEENS9_8equal_toIiEEiEE10hipError_tPvRmT2_T3_T4_T5_mT6_T7_P12ihipStream_tbENKUlT_T0_E_clISt17integral_constantIbLb1EESY_IbLb0EEEEDaSU_SV_EUlSU_E_NS1_11comp_targetILNS1_3genE5ELNS1_11target_archE942ELNS1_3gpuE9ELNS1_3repE0EEENS1_30default_config_static_selectorELNS0_4arch9wavefront6targetE0EEEvT1_.num_vgpr, 0
	.set _ZN7rocprim17ROCPRIM_400000_NS6detail17trampoline_kernelINS0_14default_configENS1_27scan_by_key_config_selectorIiiEEZZNS1_16scan_by_key_implILNS1_25lookback_scan_determinismE0ELb1ES3_N6thrust23THRUST_200600_302600_NS6detail15normal_iteratorINS9_10device_ptrIiEEEESE_SE_iNS9_10multipliesIiEENS9_8equal_toIiEEiEE10hipError_tPvRmT2_T3_T4_T5_mT6_T7_P12ihipStream_tbENKUlT_T0_E_clISt17integral_constantIbLb1EESY_IbLb0EEEEDaSU_SV_EUlSU_E_NS1_11comp_targetILNS1_3genE5ELNS1_11target_archE942ELNS1_3gpuE9ELNS1_3repE0EEENS1_30default_config_static_selectorELNS0_4arch9wavefront6targetE0EEEvT1_.num_agpr, 0
	.set _ZN7rocprim17ROCPRIM_400000_NS6detail17trampoline_kernelINS0_14default_configENS1_27scan_by_key_config_selectorIiiEEZZNS1_16scan_by_key_implILNS1_25lookback_scan_determinismE0ELb1ES3_N6thrust23THRUST_200600_302600_NS6detail15normal_iteratorINS9_10device_ptrIiEEEESE_SE_iNS9_10multipliesIiEENS9_8equal_toIiEEiEE10hipError_tPvRmT2_T3_T4_T5_mT6_T7_P12ihipStream_tbENKUlT_T0_E_clISt17integral_constantIbLb1EESY_IbLb0EEEEDaSU_SV_EUlSU_E_NS1_11comp_targetILNS1_3genE5ELNS1_11target_archE942ELNS1_3gpuE9ELNS1_3repE0EEENS1_30default_config_static_selectorELNS0_4arch9wavefront6targetE0EEEvT1_.numbered_sgpr, 0
	.set _ZN7rocprim17ROCPRIM_400000_NS6detail17trampoline_kernelINS0_14default_configENS1_27scan_by_key_config_selectorIiiEEZZNS1_16scan_by_key_implILNS1_25lookback_scan_determinismE0ELb1ES3_N6thrust23THRUST_200600_302600_NS6detail15normal_iteratorINS9_10device_ptrIiEEEESE_SE_iNS9_10multipliesIiEENS9_8equal_toIiEEiEE10hipError_tPvRmT2_T3_T4_T5_mT6_T7_P12ihipStream_tbENKUlT_T0_E_clISt17integral_constantIbLb1EESY_IbLb0EEEEDaSU_SV_EUlSU_E_NS1_11comp_targetILNS1_3genE5ELNS1_11target_archE942ELNS1_3gpuE9ELNS1_3repE0EEENS1_30default_config_static_selectorELNS0_4arch9wavefront6targetE0EEEvT1_.num_named_barrier, 0
	.set _ZN7rocprim17ROCPRIM_400000_NS6detail17trampoline_kernelINS0_14default_configENS1_27scan_by_key_config_selectorIiiEEZZNS1_16scan_by_key_implILNS1_25lookback_scan_determinismE0ELb1ES3_N6thrust23THRUST_200600_302600_NS6detail15normal_iteratorINS9_10device_ptrIiEEEESE_SE_iNS9_10multipliesIiEENS9_8equal_toIiEEiEE10hipError_tPvRmT2_T3_T4_T5_mT6_T7_P12ihipStream_tbENKUlT_T0_E_clISt17integral_constantIbLb1EESY_IbLb0EEEEDaSU_SV_EUlSU_E_NS1_11comp_targetILNS1_3genE5ELNS1_11target_archE942ELNS1_3gpuE9ELNS1_3repE0EEENS1_30default_config_static_selectorELNS0_4arch9wavefront6targetE0EEEvT1_.private_seg_size, 0
	.set _ZN7rocprim17ROCPRIM_400000_NS6detail17trampoline_kernelINS0_14default_configENS1_27scan_by_key_config_selectorIiiEEZZNS1_16scan_by_key_implILNS1_25lookback_scan_determinismE0ELb1ES3_N6thrust23THRUST_200600_302600_NS6detail15normal_iteratorINS9_10device_ptrIiEEEESE_SE_iNS9_10multipliesIiEENS9_8equal_toIiEEiEE10hipError_tPvRmT2_T3_T4_T5_mT6_T7_P12ihipStream_tbENKUlT_T0_E_clISt17integral_constantIbLb1EESY_IbLb0EEEEDaSU_SV_EUlSU_E_NS1_11comp_targetILNS1_3genE5ELNS1_11target_archE942ELNS1_3gpuE9ELNS1_3repE0EEENS1_30default_config_static_selectorELNS0_4arch9wavefront6targetE0EEEvT1_.uses_vcc, 0
	.set _ZN7rocprim17ROCPRIM_400000_NS6detail17trampoline_kernelINS0_14default_configENS1_27scan_by_key_config_selectorIiiEEZZNS1_16scan_by_key_implILNS1_25lookback_scan_determinismE0ELb1ES3_N6thrust23THRUST_200600_302600_NS6detail15normal_iteratorINS9_10device_ptrIiEEEESE_SE_iNS9_10multipliesIiEENS9_8equal_toIiEEiEE10hipError_tPvRmT2_T3_T4_T5_mT6_T7_P12ihipStream_tbENKUlT_T0_E_clISt17integral_constantIbLb1EESY_IbLb0EEEEDaSU_SV_EUlSU_E_NS1_11comp_targetILNS1_3genE5ELNS1_11target_archE942ELNS1_3gpuE9ELNS1_3repE0EEENS1_30default_config_static_selectorELNS0_4arch9wavefront6targetE0EEEvT1_.uses_flat_scratch, 0
	.set _ZN7rocprim17ROCPRIM_400000_NS6detail17trampoline_kernelINS0_14default_configENS1_27scan_by_key_config_selectorIiiEEZZNS1_16scan_by_key_implILNS1_25lookback_scan_determinismE0ELb1ES3_N6thrust23THRUST_200600_302600_NS6detail15normal_iteratorINS9_10device_ptrIiEEEESE_SE_iNS9_10multipliesIiEENS9_8equal_toIiEEiEE10hipError_tPvRmT2_T3_T4_T5_mT6_T7_P12ihipStream_tbENKUlT_T0_E_clISt17integral_constantIbLb1EESY_IbLb0EEEEDaSU_SV_EUlSU_E_NS1_11comp_targetILNS1_3genE5ELNS1_11target_archE942ELNS1_3gpuE9ELNS1_3repE0EEENS1_30default_config_static_selectorELNS0_4arch9wavefront6targetE0EEEvT1_.has_dyn_sized_stack, 0
	.set _ZN7rocprim17ROCPRIM_400000_NS6detail17trampoline_kernelINS0_14default_configENS1_27scan_by_key_config_selectorIiiEEZZNS1_16scan_by_key_implILNS1_25lookback_scan_determinismE0ELb1ES3_N6thrust23THRUST_200600_302600_NS6detail15normal_iteratorINS9_10device_ptrIiEEEESE_SE_iNS9_10multipliesIiEENS9_8equal_toIiEEiEE10hipError_tPvRmT2_T3_T4_T5_mT6_T7_P12ihipStream_tbENKUlT_T0_E_clISt17integral_constantIbLb1EESY_IbLb0EEEEDaSU_SV_EUlSU_E_NS1_11comp_targetILNS1_3genE5ELNS1_11target_archE942ELNS1_3gpuE9ELNS1_3repE0EEENS1_30default_config_static_selectorELNS0_4arch9wavefront6targetE0EEEvT1_.has_recursion, 0
	.set _ZN7rocprim17ROCPRIM_400000_NS6detail17trampoline_kernelINS0_14default_configENS1_27scan_by_key_config_selectorIiiEEZZNS1_16scan_by_key_implILNS1_25lookback_scan_determinismE0ELb1ES3_N6thrust23THRUST_200600_302600_NS6detail15normal_iteratorINS9_10device_ptrIiEEEESE_SE_iNS9_10multipliesIiEENS9_8equal_toIiEEiEE10hipError_tPvRmT2_T3_T4_T5_mT6_T7_P12ihipStream_tbENKUlT_T0_E_clISt17integral_constantIbLb1EESY_IbLb0EEEEDaSU_SV_EUlSU_E_NS1_11comp_targetILNS1_3genE5ELNS1_11target_archE942ELNS1_3gpuE9ELNS1_3repE0EEENS1_30default_config_static_selectorELNS0_4arch9wavefront6targetE0EEEvT1_.has_indirect_call, 0
	.section	.AMDGPU.csdata,"",@progbits
; Kernel info:
; codeLenInByte = 0
; TotalNumSgprs: 0
; NumVgprs: 0
; ScratchSize: 0
; MemoryBound: 0
; FloatMode: 240
; IeeeMode: 1
; LDSByteSize: 0 bytes/workgroup (compile time only)
; SGPRBlocks: 0
; VGPRBlocks: 0
; NumSGPRsForWavesPerEU: 1
; NumVGPRsForWavesPerEU: 1
; Occupancy: 16
; WaveLimiterHint : 0
; COMPUTE_PGM_RSRC2:SCRATCH_EN: 0
; COMPUTE_PGM_RSRC2:USER_SGPR: 6
; COMPUTE_PGM_RSRC2:TRAP_HANDLER: 0
; COMPUTE_PGM_RSRC2:TGID_X_EN: 1
; COMPUTE_PGM_RSRC2:TGID_Y_EN: 0
; COMPUTE_PGM_RSRC2:TGID_Z_EN: 0
; COMPUTE_PGM_RSRC2:TIDIG_COMP_CNT: 0
	.section	.text._ZN7rocprim17ROCPRIM_400000_NS6detail17trampoline_kernelINS0_14default_configENS1_27scan_by_key_config_selectorIiiEEZZNS1_16scan_by_key_implILNS1_25lookback_scan_determinismE0ELb1ES3_N6thrust23THRUST_200600_302600_NS6detail15normal_iteratorINS9_10device_ptrIiEEEESE_SE_iNS9_10multipliesIiEENS9_8equal_toIiEEiEE10hipError_tPvRmT2_T3_T4_T5_mT6_T7_P12ihipStream_tbENKUlT_T0_E_clISt17integral_constantIbLb1EESY_IbLb0EEEEDaSU_SV_EUlSU_E_NS1_11comp_targetILNS1_3genE4ELNS1_11target_archE910ELNS1_3gpuE8ELNS1_3repE0EEENS1_30default_config_static_selectorELNS0_4arch9wavefront6targetE0EEEvT1_,"axG",@progbits,_ZN7rocprim17ROCPRIM_400000_NS6detail17trampoline_kernelINS0_14default_configENS1_27scan_by_key_config_selectorIiiEEZZNS1_16scan_by_key_implILNS1_25lookback_scan_determinismE0ELb1ES3_N6thrust23THRUST_200600_302600_NS6detail15normal_iteratorINS9_10device_ptrIiEEEESE_SE_iNS9_10multipliesIiEENS9_8equal_toIiEEiEE10hipError_tPvRmT2_T3_T4_T5_mT6_T7_P12ihipStream_tbENKUlT_T0_E_clISt17integral_constantIbLb1EESY_IbLb0EEEEDaSU_SV_EUlSU_E_NS1_11comp_targetILNS1_3genE4ELNS1_11target_archE910ELNS1_3gpuE8ELNS1_3repE0EEENS1_30default_config_static_selectorELNS0_4arch9wavefront6targetE0EEEvT1_,comdat
	.protected	_ZN7rocprim17ROCPRIM_400000_NS6detail17trampoline_kernelINS0_14default_configENS1_27scan_by_key_config_selectorIiiEEZZNS1_16scan_by_key_implILNS1_25lookback_scan_determinismE0ELb1ES3_N6thrust23THRUST_200600_302600_NS6detail15normal_iteratorINS9_10device_ptrIiEEEESE_SE_iNS9_10multipliesIiEENS9_8equal_toIiEEiEE10hipError_tPvRmT2_T3_T4_T5_mT6_T7_P12ihipStream_tbENKUlT_T0_E_clISt17integral_constantIbLb1EESY_IbLb0EEEEDaSU_SV_EUlSU_E_NS1_11comp_targetILNS1_3genE4ELNS1_11target_archE910ELNS1_3gpuE8ELNS1_3repE0EEENS1_30default_config_static_selectorELNS0_4arch9wavefront6targetE0EEEvT1_ ; -- Begin function _ZN7rocprim17ROCPRIM_400000_NS6detail17trampoline_kernelINS0_14default_configENS1_27scan_by_key_config_selectorIiiEEZZNS1_16scan_by_key_implILNS1_25lookback_scan_determinismE0ELb1ES3_N6thrust23THRUST_200600_302600_NS6detail15normal_iteratorINS9_10device_ptrIiEEEESE_SE_iNS9_10multipliesIiEENS9_8equal_toIiEEiEE10hipError_tPvRmT2_T3_T4_T5_mT6_T7_P12ihipStream_tbENKUlT_T0_E_clISt17integral_constantIbLb1EESY_IbLb0EEEEDaSU_SV_EUlSU_E_NS1_11comp_targetILNS1_3genE4ELNS1_11target_archE910ELNS1_3gpuE8ELNS1_3repE0EEENS1_30default_config_static_selectorELNS0_4arch9wavefront6targetE0EEEvT1_
	.globl	_ZN7rocprim17ROCPRIM_400000_NS6detail17trampoline_kernelINS0_14default_configENS1_27scan_by_key_config_selectorIiiEEZZNS1_16scan_by_key_implILNS1_25lookback_scan_determinismE0ELb1ES3_N6thrust23THRUST_200600_302600_NS6detail15normal_iteratorINS9_10device_ptrIiEEEESE_SE_iNS9_10multipliesIiEENS9_8equal_toIiEEiEE10hipError_tPvRmT2_T3_T4_T5_mT6_T7_P12ihipStream_tbENKUlT_T0_E_clISt17integral_constantIbLb1EESY_IbLb0EEEEDaSU_SV_EUlSU_E_NS1_11comp_targetILNS1_3genE4ELNS1_11target_archE910ELNS1_3gpuE8ELNS1_3repE0EEENS1_30default_config_static_selectorELNS0_4arch9wavefront6targetE0EEEvT1_
	.p2align	8
	.type	_ZN7rocprim17ROCPRIM_400000_NS6detail17trampoline_kernelINS0_14default_configENS1_27scan_by_key_config_selectorIiiEEZZNS1_16scan_by_key_implILNS1_25lookback_scan_determinismE0ELb1ES3_N6thrust23THRUST_200600_302600_NS6detail15normal_iteratorINS9_10device_ptrIiEEEESE_SE_iNS9_10multipliesIiEENS9_8equal_toIiEEiEE10hipError_tPvRmT2_T3_T4_T5_mT6_T7_P12ihipStream_tbENKUlT_T0_E_clISt17integral_constantIbLb1EESY_IbLb0EEEEDaSU_SV_EUlSU_E_NS1_11comp_targetILNS1_3genE4ELNS1_11target_archE910ELNS1_3gpuE8ELNS1_3repE0EEENS1_30default_config_static_selectorELNS0_4arch9wavefront6targetE0EEEvT1_,@function
_ZN7rocprim17ROCPRIM_400000_NS6detail17trampoline_kernelINS0_14default_configENS1_27scan_by_key_config_selectorIiiEEZZNS1_16scan_by_key_implILNS1_25lookback_scan_determinismE0ELb1ES3_N6thrust23THRUST_200600_302600_NS6detail15normal_iteratorINS9_10device_ptrIiEEEESE_SE_iNS9_10multipliesIiEENS9_8equal_toIiEEiEE10hipError_tPvRmT2_T3_T4_T5_mT6_T7_P12ihipStream_tbENKUlT_T0_E_clISt17integral_constantIbLb1EESY_IbLb0EEEEDaSU_SV_EUlSU_E_NS1_11comp_targetILNS1_3genE4ELNS1_11target_archE910ELNS1_3gpuE8ELNS1_3repE0EEENS1_30default_config_static_selectorELNS0_4arch9wavefront6targetE0EEEvT1_: ; @_ZN7rocprim17ROCPRIM_400000_NS6detail17trampoline_kernelINS0_14default_configENS1_27scan_by_key_config_selectorIiiEEZZNS1_16scan_by_key_implILNS1_25lookback_scan_determinismE0ELb1ES3_N6thrust23THRUST_200600_302600_NS6detail15normal_iteratorINS9_10device_ptrIiEEEESE_SE_iNS9_10multipliesIiEENS9_8equal_toIiEEiEE10hipError_tPvRmT2_T3_T4_T5_mT6_T7_P12ihipStream_tbENKUlT_T0_E_clISt17integral_constantIbLb1EESY_IbLb0EEEEDaSU_SV_EUlSU_E_NS1_11comp_targetILNS1_3genE4ELNS1_11target_archE910ELNS1_3gpuE8ELNS1_3repE0EEENS1_30default_config_static_selectorELNS0_4arch9wavefront6targetE0EEEvT1_
; %bb.0:
	.section	.rodata,"a",@progbits
	.p2align	6, 0x0
	.amdhsa_kernel _ZN7rocprim17ROCPRIM_400000_NS6detail17trampoline_kernelINS0_14default_configENS1_27scan_by_key_config_selectorIiiEEZZNS1_16scan_by_key_implILNS1_25lookback_scan_determinismE0ELb1ES3_N6thrust23THRUST_200600_302600_NS6detail15normal_iteratorINS9_10device_ptrIiEEEESE_SE_iNS9_10multipliesIiEENS9_8equal_toIiEEiEE10hipError_tPvRmT2_T3_T4_T5_mT6_T7_P12ihipStream_tbENKUlT_T0_E_clISt17integral_constantIbLb1EESY_IbLb0EEEEDaSU_SV_EUlSU_E_NS1_11comp_targetILNS1_3genE4ELNS1_11target_archE910ELNS1_3gpuE8ELNS1_3repE0EEENS1_30default_config_static_selectorELNS0_4arch9wavefront6targetE0EEEvT1_
		.amdhsa_group_segment_fixed_size 0
		.amdhsa_private_segment_fixed_size 0
		.amdhsa_kernarg_size 112
		.amdhsa_user_sgpr_count 6
		.amdhsa_user_sgpr_private_segment_buffer 1
		.amdhsa_user_sgpr_dispatch_ptr 0
		.amdhsa_user_sgpr_queue_ptr 0
		.amdhsa_user_sgpr_kernarg_segment_ptr 1
		.amdhsa_user_sgpr_dispatch_id 0
		.amdhsa_user_sgpr_flat_scratch_init 0
		.amdhsa_user_sgpr_private_segment_size 0
		.amdhsa_wavefront_size32 1
		.amdhsa_uses_dynamic_stack 0
		.amdhsa_system_sgpr_private_segment_wavefront_offset 0
		.amdhsa_system_sgpr_workgroup_id_x 1
		.amdhsa_system_sgpr_workgroup_id_y 0
		.amdhsa_system_sgpr_workgroup_id_z 0
		.amdhsa_system_sgpr_workgroup_info 0
		.amdhsa_system_vgpr_workitem_id 0
		.amdhsa_next_free_vgpr 1
		.amdhsa_next_free_sgpr 1
		.amdhsa_reserve_vcc 0
		.amdhsa_reserve_flat_scratch 0
		.amdhsa_float_round_mode_32 0
		.amdhsa_float_round_mode_16_64 0
		.amdhsa_float_denorm_mode_32 3
		.amdhsa_float_denorm_mode_16_64 3
		.amdhsa_dx10_clamp 1
		.amdhsa_ieee_mode 1
		.amdhsa_fp16_overflow 0
		.amdhsa_workgroup_processor_mode 1
		.amdhsa_memory_ordered 1
		.amdhsa_forward_progress 1
		.amdhsa_shared_vgpr_count 0
		.amdhsa_exception_fp_ieee_invalid_op 0
		.amdhsa_exception_fp_denorm_src 0
		.amdhsa_exception_fp_ieee_div_zero 0
		.amdhsa_exception_fp_ieee_overflow 0
		.amdhsa_exception_fp_ieee_underflow 0
		.amdhsa_exception_fp_ieee_inexact 0
		.amdhsa_exception_int_div_zero 0
	.end_amdhsa_kernel
	.section	.text._ZN7rocprim17ROCPRIM_400000_NS6detail17trampoline_kernelINS0_14default_configENS1_27scan_by_key_config_selectorIiiEEZZNS1_16scan_by_key_implILNS1_25lookback_scan_determinismE0ELb1ES3_N6thrust23THRUST_200600_302600_NS6detail15normal_iteratorINS9_10device_ptrIiEEEESE_SE_iNS9_10multipliesIiEENS9_8equal_toIiEEiEE10hipError_tPvRmT2_T3_T4_T5_mT6_T7_P12ihipStream_tbENKUlT_T0_E_clISt17integral_constantIbLb1EESY_IbLb0EEEEDaSU_SV_EUlSU_E_NS1_11comp_targetILNS1_3genE4ELNS1_11target_archE910ELNS1_3gpuE8ELNS1_3repE0EEENS1_30default_config_static_selectorELNS0_4arch9wavefront6targetE0EEEvT1_,"axG",@progbits,_ZN7rocprim17ROCPRIM_400000_NS6detail17trampoline_kernelINS0_14default_configENS1_27scan_by_key_config_selectorIiiEEZZNS1_16scan_by_key_implILNS1_25lookback_scan_determinismE0ELb1ES3_N6thrust23THRUST_200600_302600_NS6detail15normal_iteratorINS9_10device_ptrIiEEEESE_SE_iNS9_10multipliesIiEENS9_8equal_toIiEEiEE10hipError_tPvRmT2_T3_T4_T5_mT6_T7_P12ihipStream_tbENKUlT_T0_E_clISt17integral_constantIbLb1EESY_IbLb0EEEEDaSU_SV_EUlSU_E_NS1_11comp_targetILNS1_3genE4ELNS1_11target_archE910ELNS1_3gpuE8ELNS1_3repE0EEENS1_30default_config_static_selectorELNS0_4arch9wavefront6targetE0EEEvT1_,comdat
.Lfunc_end518:
	.size	_ZN7rocprim17ROCPRIM_400000_NS6detail17trampoline_kernelINS0_14default_configENS1_27scan_by_key_config_selectorIiiEEZZNS1_16scan_by_key_implILNS1_25lookback_scan_determinismE0ELb1ES3_N6thrust23THRUST_200600_302600_NS6detail15normal_iteratorINS9_10device_ptrIiEEEESE_SE_iNS9_10multipliesIiEENS9_8equal_toIiEEiEE10hipError_tPvRmT2_T3_T4_T5_mT6_T7_P12ihipStream_tbENKUlT_T0_E_clISt17integral_constantIbLb1EESY_IbLb0EEEEDaSU_SV_EUlSU_E_NS1_11comp_targetILNS1_3genE4ELNS1_11target_archE910ELNS1_3gpuE8ELNS1_3repE0EEENS1_30default_config_static_selectorELNS0_4arch9wavefront6targetE0EEEvT1_, .Lfunc_end518-_ZN7rocprim17ROCPRIM_400000_NS6detail17trampoline_kernelINS0_14default_configENS1_27scan_by_key_config_selectorIiiEEZZNS1_16scan_by_key_implILNS1_25lookback_scan_determinismE0ELb1ES3_N6thrust23THRUST_200600_302600_NS6detail15normal_iteratorINS9_10device_ptrIiEEEESE_SE_iNS9_10multipliesIiEENS9_8equal_toIiEEiEE10hipError_tPvRmT2_T3_T4_T5_mT6_T7_P12ihipStream_tbENKUlT_T0_E_clISt17integral_constantIbLb1EESY_IbLb0EEEEDaSU_SV_EUlSU_E_NS1_11comp_targetILNS1_3genE4ELNS1_11target_archE910ELNS1_3gpuE8ELNS1_3repE0EEENS1_30default_config_static_selectorELNS0_4arch9wavefront6targetE0EEEvT1_
                                        ; -- End function
	.set _ZN7rocprim17ROCPRIM_400000_NS6detail17trampoline_kernelINS0_14default_configENS1_27scan_by_key_config_selectorIiiEEZZNS1_16scan_by_key_implILNS1_25lookback_scan_determinismE0ELb1ES3_N6thrust23THRUST_200600_302600_NS6detail15normal_iteratorINS9_10device_ptrIiEEEESE_SE_iNS9_10multipliesIiEENS9_8equal_toIiEEiEE10hipError_tPvRmT2_T3_T4_T5_mT6_T7_P12ihipStream_tbENKUlT_T0_E_clISt17integral_constantIbLb1EESY_IbLb0EEEEDaSU_SV_EUlSU_E_NS1_11comp_targetILNS1_3genE4ELNS1_11target_archE910ELNS1_3gpuE8ELNS1_3repE0EEENS1_30default_config_static_selectorELNS0_4arch9wavefront6targetE0EEEvT1_.num_vgpr, 0
	.set _ZN7rocprim17ROCPRIM_400000_NS6detail17trampoline_kernelINS0_14default_configENS1_27scan_by_key_config_selectorIiiEEZZNS1_16scan_by_key_implILNS1_25lookback_scan_determinismE0ELb1ES3_N6thrust23THRUST_200600_302600_NS6detail15normal_iteratorINS9_10device_ptrIiEEEESE_SE_iNS9_10multipliesIiEENS9_8equal_toIiEEiEE10hipError_tPvRmT2_T3_T4_T5_mT6_T7_P12ihipStream_tbENKUlT_T0_E_clISt17integral_constantIbLb1EESY_IbLb0EEEEDaSU_SV_EUlSU_E_NS1_11comp_targetILNS1_3genE4ELNS1_11target_archE910ELNS1_3gpuE8ELNS1_3repE0EEENS1_30default_config_static_selectorELNS0_4arch9wavefront6targetE0EEEvT1_.num_agpr, 0
	.set _ZN7rocprim17ROCPRIM_400000_NS6detail17trampoline_kernelINS0_14default_configENS1_27scan_by_key_config_selectorIiiEEZZNS1_16scan_by_key_implILNS1_25lookback_scan_determinismE0ELb1ES3_N6thrust23THRUST_200600_302600_NS6detail15normal_iteratorINS9_10device_ptrIiEEEESE_SE_iNS9_10multipliesIiEENS9_8equal_toIiEEiEE10hipError_tPvRmT2_T3_T4_T5_mT6_T7_P12ihipStream_tbENKUlT_T0_E_clISt17integral_constantIbLb1EESY_IbLb0EEEEDaSU_SV_EUlSU_E_NS1_11comp_targetILNS1_3genE4ELNS1_11target_archE910ELNS1_3gpuE8ELNS1_3repE0EEENS1_30default_config_static_selectorELNS0_4arch9wavefront6targetE0EEEvT1_.numbered_sgpr, 0
	.set _ZN7rocprim17ROCPRIM_400000_NS6detail17trampoline_kernelINS0_14default_configENS1_27scan_by_key_config_selectorIiiEEZZNS1_16scan_by_key_implILNS1_25lookback_scan_determinismE0ELb1ES3_N6thrust23THRUST_200600_302600_NS6detail15normal_iteratorINS9_10device_ptrIiEEEESE_SE_iNS9_10multipliesIiEENS9_8equal_toIiEEiEE10hipError_tPvRmT2_T3_T4_T5_mT6_T7_P12ihipStream_tbENKUlT_T0_E_clISt17integral_constantIbLb1EESY_IbLb0EEEEDaSU_SV_EUlSU_E_NS1_11comp_targetILNS1_3genE4ELNS1_11target_archE910ELNS1_3gpuE8ELNS1_3repE0EEENS1_30default_config_static_selectorELNS0_4arch9wavefront6targetE0EEEvT1_.num_named_barrier, 0
	.set _ZN7rocprim17ROCPRIM_400000_NS6detail17trampoline_kernelINS0_14default_configENS1_27scan_by_key_config_selectorIiiEEZZNS1_16scan_by_key_implILNS1_25lookback_scan_determinismE0ELb1ES3_N6thrust23THRUST_200600_302600_NS6detail15normal_iteratorINS9_10device_ptrIiEEEESE_SE_iNS9_10multipliesIiEENS9_8equal_toIiEEiEE10hipError_tPvRmT2_T3_T4_T5_mT6_T7_P12ihipStream_tbENKUlT_T0_E_clISt17integral_constantIbLb1EESY_IbLb0EEEEDaSU_SV_EUlSU_E_NS1_11comp_targetILNS1_3genE4ELNS1_11target_archE910ELNS1_3gpuE8ELNS1_3repE0EEENS1_30default_config_static_selectorELNS0_4arch9wavefront6targetE0EEEvT1_.private_seg_size, 0
	.set _ZN7rocprim17ROCPRIM_400000_NS6detail17trampoline_kernelINS0_14default_configENS1_27scan_by_key_config_selectorIiiEEZZNS1_16scan_by_key_implILNS1_25lookback_scan_determinismE0ELb1ES3_N6thrust23THRUST_200600_302600_NS6detail15normal_iteratorINS9_10device_ptrIiEEEESE_SE_iNS9_10multipliesIiEENS9_8equal_toIiEEiEE10hipError_tPvRmT2_T3_T4_T5_mT6_T7_P12ihipStream_tbENKUlT_T0_E_clISt17integral_constantIbLb1EESY_IbLb0EEEEDaSU_SV_EUlSU_E_NS1_11comp_targetILNS1_3genE4ELNS1_11target_archE910ELNS1_3gpuE8ELNS1_3repE0EEENS1_30default_config_static_selectorELNS0_4arch9wavefront6targetE0EEEvT1_.uses_vcc, 0
	.set _ZN7rocprim17ROCPRIM_400000_NS6detail17trampoline_kernelINS0_14default_configENS1_27scan_by_key_config_selectorIiiEEZZNS1_16scan_by_key_implILNS1_25lookback_scan_determinismE0ELb1ES3_N6thrust23THRUST_200600_302600_NS6detail15normal_iteratorINS9_10device_ptrIiEEEESE_SE_iNS9_10multipliesIiEENS9_8equal_toIiEEiEE10hipError_tPvRmT2_T3_T4_T5_mT6_T7_P12ihipStream_tbENKUlT_T0_E_clISt17integral_constantIbLb1EESY_IbLb0EEEEDaSU_SV_EUlSU_E_NS1_11comp_targetILNS1_3genE4ELNS1_11target_archE910ELNS1_3gpuE8ELNS1_3repE0EEENS1_30default_config_static_selectorELNS0_4arch9wavefront6targetE0EEEvT1_.uses_flat_scratch, 0
	.set _ZN7rocprim17ROCPRIM_400000_NS6detail17trampoline_kernelINS0_14default_configENS1_27scan_by_key_config_selectorIiiEEZZNS1_16scan_by_key_implILNS1_25lookback_scan_determinismE0ELb1ES3_N6thrust23THRUST_200600_302600_NS6detail15normal_iteratorINS9_10device_ptrIiEEEESE_SE_iNS9_10multipliesIiEENS9_8equal_toIiEEiEE10hipError_tPvRmT2_T3_T4_T5_mT6_T7_P12ihipStream_tbENKUlT_T0_E_clISt17integral_constantIbLb1EESY_IbLb0EEEEDaSU_SV_EUlSU_E_NS1_11comp_targetILNS1_3genE4ELNS1_11target_archE910ELNS1_3gpuE8ELNS1_3repE0EEENS1_30default_config_static_selectorELNS0_4arch9wavefront6targetE0EEEvT1_.has_dyn_sized_stack, 0
	.set _ZN7rocprim17ROCPRIM_400000_NS6detail17trampoline_kernelINS0_14default_configENS1_27scan_by_key_config_selectorIiiEEZZNS1_16scan_by_key_implILNS1_25lookback_scan_determinismE0ELb1ES3_N6thrust23THRUST_200600_302600_NS6detail15normal_iteratorINS9_10device_ptrIiEEEESE_SE_iNS9_10multipliesIiEENS9_8equal_toIiEEiEE10hipError_tPvRmT2_T3_T4_T5_mT6_T7_P12ihipStream_tbENKUlT_T0_E_clISt17integral_constantIbLb1EESY_IbLb0EEEEDaSU_SV_EUlSU_E_NS1_11comp_targetILNS1_3genE4ELNS1_11target_archE910ELNS1_3gpuE8ELNS1_3repE0EEENS1_30default_config_static_selectorELNS0_4arch9wavefront6targetE0EEEvT1_.has_recursion, 0
	.set _ZN7rocprim17ROCPRIM_400000_NS6detail17trampoline_kernelINS0_14default_configENS1_27scan_by_key_config_selectorIiiEEZZNS1_16scan_by_key_implILNS1_25lookback_scan_determinismE0ELb1ES3_N6thrust23THRUST_200600_302600_NS6detail15normal_iteratorINS9_10device_ptrIiEEEESE_SE_iNS9_10multipliesIiEENS9_8equal_toIiEEiEE10hipError_tPvRmT2_T3_T4_T5_mT6_T7_P12ihipStream_tbENKUlT_T0_E_clISt17integral_constantIbLb1EESY_IbLb0EEEEDaSU_SV_EUlSU_E_NS1_11comp_targetILNS1_3genE4ELNS1_11target_archE910ELNS1_3gpuE8ELNS1_3repE0EEENS1_30default_config_static_selectorELNS0_4arch9wavefront6targetE0EEEvT1_.has_indirect_call, 0
	.section	.AMDGPU.csdata,"",@progbits
; Kernel info:
; codeLenInByte = 0
; TotalNumSgprs: 0
; NumVgprs: 0
; ScratchSize: 0
; MemoryBound: 0
; FloatMode: 240
; IeeeMode: 1
; LDSByteSize: 0 bytes/workgroup (compile time only)
; SGPRBlocks: 0
; VGPRBlocks: 0
; NumSGPRsForWavesPerEU: 1
; NumVGPRsForWavesPerEU: 1
; Occupancy: 16
; WaveLimiterHint : 0
; COMPUTE_PGM_RSRC2:SCRATCH_EN: 0
; COMPUTE_PGM_RSRC2:USER_SGPR: 6
; COMPUTE_PGM_RSRC2:TRAP_HANDLER: 0
; COMPUTE_PGM_RSRC2:TGID_X_EN: 1
; COMPUTE_PGM_RSRC2:TGID_Y_EN: 0
; COMPUTE_PGM_RSRC2:TGID_Z_EN: 0
; COMPUTE_PGM_RSRC2:TIDIG_COMP_CNT: 0
	.section	.text._ZN7rocprim17ROCPRIM_400000_NS6detail17trampoline_kernelINS0_14default_configENS1_27scan_by_key_config_selectorIiiEEZZNS1_16scan_by_key_implILNS1_25lookback_scan_determinismE0ELb1ES3_N6thrust23THRUST_200600_302600_NS6detail15normal_iteratorINS9_10device_ptrIiEEEESE_SE_iNS9_10multipliesIiEENS9_8equal_toIiEEiEE10hipError_tPvRmT2_T3_T4_T5_mT6_T7_P12ihipStream_tbENKUlT_T0_E_clISt17integral_constantIbLb1EESY_IbLb0EEEEDaSU_SV_EUlSU_E_NS1_11comp_targetILNS1_3genE3ELNS1_11target_archE908ELNS1_3gpuE7ELNS1_3repE0EEENS1_30default_config_static_selectorELNS0_4arch9wavefront6targetE0EEEvT1_,"axG",@progbits,_ZN7rocprim17ROCPRIM_400000_NS6detail17trampoline_kernelINS0_14default_configENS1_27scan_by_key_config_selectorIiiEEZZNS1_16scan_by_key_implILNS1_25lookback_scan_determinismE0ELb1ES3_N6thrust23THRUST_200600_302600_NS6detail15normal_iteratorINS9_10device_ptrIiEEEESE_SE_iNS9_10multipliesIiEENS9_8equal_toIiEEiEE10hipError_tPvRmT2_T3_T4_T5_mT6_T7_P12ihipStream_tbENKUlT_T0_E_clISt17integral_constantIbLb1EESY_IbLb0EEEEDaSU_SV_EUlSU_E_NS1_11comp_targetILNS1_3genE3ELNS1_11target_archE908ELNS1_3gpuE7ELNS1_3repE0EEENS1_30default_config_static_selectorELNS0_4arch9wavefront6targetE0EEEvT1_,comdat
	.protected	_ZN7rocprim17ROCPRIM_400000_NS6detail17trampoline_kernelINS0_14default_configENS1_27scan_by_key_config_selectorIiiEEZZNS1_16scan_by_key_implILNS1_25lookback_scan_determinismE0ELb1ES3_N6thrust23THRUST_200600_302600_NS6detail15normal_iteratorINS9_10device_ptrIiEEEESE_SE_iNS9_10multipliesIiEENS9_8equal_toIiEEiEE10hipError_tPvRmT2_T3_T4_T5_mT6_T7_P12ihipStream_tbENKUlT_T0_E_clISt17integral_constantIbLb1EESY_IbLb0EEEEDaSU_SV_EUlSU_E_NS1_11comp_targetILNS1_3genE3ELNS1_11target_archE908ELNS1_3gpuE7ELNS1_3repE0EEENS1_30default_config_static_selectorELNS0_4arch9wavefront6targetE0EEEvT1_ ; -- Begin function _ZN7rocprim17ROCPRIM_400000_NS6detail17trampoline_kernelINS0_14default_configENS1_27scan_by_key_config_selectorIiiEEZZNS1_16scan_by_key_implILNS1_25lookback_scan_determinismE0ELb1ES3_N6thrust23THRUST_200600_302600_NS6detail15normal_iteratorINS9_10device_ptrIiEEEESE_SE_iNS9_10multipliesIiEENS9_8equal_toIiEEiEE10hipError_tPvRmT2_T3_T4_T5_mT6_T7_P12ihipStream_tbENKUlT_T0_E_clISt17integral_constantIbLb1EESY_IbLb0EEEEDaSU_SV_EUlSU_E_NS1_11comp_targetILNS1_3genE3ELNS1_11target_archE908ELNS1_3gpuE7ELNS1_3repE0EEENS1_30default_config_static_selectorELNS0_4arch9wavefront6targetE0EEEvT1_
	.globl	_ZN7rocprim17ROCPRIM_400000_NS6detail17trampoline_kernelINS0_14default_configENS1_27scan_by_key_config_selectorIiiEEZZNS1_16scan_by_key_implILNS1_25lookback_scan_determinismE0ELb1ES3_N6thrust23THRUST_200600_302600_NS6detail15normal_iteratorINS9_10device_ptrIiEEEESE_SE_iNS9_10multipliesIiEENS9_8equal_toIiEEiEE10hipError_tPvRmT2_T3_T4_T5_mT6_T7_P12ihipStream_tbENKUlT_T0_E_clISt17integral_constantIbLb1EESY_IbLb0EEEEDaSU_SV_EUlSU_E_NS1_11comp_targetILNS1_3genE3ELNS1_11target_archE908ELNS1_3gpuE7ELNS1_3repE0EEENS1_30default_config_static_selectorELNS0_4arch9wavefront6targetE0EEEvT1_
	.p2align	8
	.type	_ZN7rocprim17ROCPRIM_400000_NS6detail17trampoline_kernelINS0_14default_configENS1_27scan_by_key_config_selectorIiiEEZZNS1_16scan_by_key_implILNS1_25lookback_scan_determinismE0ELb1ES3_N6thrust23THRUST_200600_302600_NS6detail15normal_iteratorINS9_10device_ptrIiEEEESE_SE_iNS9_10multipliesIiEENS9_8equal_toIiEEiEE10hipError_tPvRmT2_T3_T4_T5_mT6_T7_P12ihipStream_tbENKUlT_T0_E_clISt17integral_constantIbLb1EESY_IbLb0EEEEDaSU_SV_EUlSU_E_NS1_11comp_targetILNS1_3genE3ELNS1_11target_archE908ELNS1_3gpuE7ELNS1_3repE0EEENS1_30default_config_static_selectorELNS0_4arch9wavefront6targetE0EEEvT1_,@function
_ZN7rocprim17ROCPRIM_400000_NS6detail17trampoline_kernelINS0_14default_configENS1_27scan_by_key_config_selectorIiiEEZZNS1_16scan_by_key_implILNS1_25lookback_scan_determinismE0ELb1ES3_N6thrust23THRUST_200600_302600_NS6detail15normal_iteratorINS9_10device_ptrIiEEEESE_SE_iNS9_10multipliesIiEENS9_8equal_toIiEEiEE10hipError_tPvRmT2_T3_T4_T5_mT6_T7_P12ihipStream_tbENKUlT_T0_E_clISt17integral_constantIbLb1EESY_IbLb0EEEEDaSU_SV_EUlSU_E_NS1_11comp_targetILNS1_3genE3ELNS1_11target_archE908ELNS1_3gpuE7ELNS1_3repE0EEENS1_30default_config_static_selectorELNS0_4arch9wavefront6targetE0EEEvT1_: ; @_ZN7rocprim17ROCPRIM_400000_NS6detail17trampoline_kernelINS0_14default_configENS1_27scan_by_key_config_selectorIiiEEZZNS1_16scan_by_key_implILNS1_25lookback_scan_determinismE0ELb1ES3_N6thrust23THRUST_200600_302600_NS6detail15normal_iteratorINS9_10device_ptrIiEEEESE_SE_iNS9_10multipliesIiEENS9_8equal_toIiEEiEE10hipError_tPvRmT2_T3_T4_T5_mT6_T7_P12ihipStream_tbENKUlT_T0_E_clISt17integral_constantIbLb1EESY_IbLb0EEEEDaSU_SV_EUlSU_E_NS1_11comp_targetILNS1_3genE3ELNS1_11target_archE908ELNS1_3gpuE7ELNS1_3repE0EEENS1_30default_config_static_selectorELNS0_4arch9wavefront6targetE0EEEvT1_
; %bb.0:
	.section	.rodata,"a",@progbits
	.p2align	6, 0x0
	.amdhsa_kernel _ZN7rocprim17ROCPRIM_400000_NS6detail17trampoline_kernelINS0_14default_configENS1_27scan_by_key_config_selectorIiiEEZZNS1_16scan_by_key_implILNS1_25lookback_scan_determinismE0ELb1ES3_N6thrust23THRUST_200600_302600_NS6detail15normal_iteratorINS9_10device_ptrIiEEEESE_SE_iNS9_10multipliesIiEENS9_8equal_toIiEEiEE10hipError_tPvRmT2_T3_T4_T5_mT6_T7_P12ihipStream_tbENKUlT_T0_E_clISt17integral_constantIbLb1EESY_IbLb0EEEEDaSU_SV_EUlSU_E_NS1_11comp_targetILNS1_3genE3ELNS1_11target_archE908ELNS1_3gpuE7ELNS1_3repE0EEENS1_30default_config_static_selectorELNS0_4arch9wavefront6targetE0EEEvT1_
		.amdhsa_group_segment_fixed_size 0
		.amdhsa_private_segment_fixed_size 0
		.amdhsa_kernarg_size 112
		.amdhsa_user_sgpr_count 6
		.amdhsa_user_sgpr_private_segment_buffer 1
		.amdhsa_user_sgpr_dispatch_ptr 0
		.amdhsa_user_sgpr_queue_ptr 0
		.amdhsa_user_sgpr_kernarg_segment_ptr 1
		.amdhsa_user_sgpr_dispatch_id 0
		.amdhsa_user_sgpr_flat_scratch_init 0
		.amdhsa_user_sgpr_private_segment_size 0
		.amdhsa_wavefront_size32 1
		.amdhsa_uses_dynamic_stack 0
		.amdhsa_system_sgpr_private_segment_wavefront_offset 0
		.amdhsa_system_sgpr_workgroup_id_x 1
		.amdhsa_system_sgpr_workgroup_id_y 0
		.amdhsa_system_sgpr_workgroup_id_z 0
		.amdhsa_system_sgpr_workgroup_info 0
		.amdhsa_system_vgpr_workitem_id 0
		.amdhsa_next_free_vgpr 1
		.amdhsa_next_free_sgpr 1
		.amdhsa_reserve_vcc 0
		.amdhsa_reserve_flat_scratch 0
		.amdhsa_float_round_mode_32 0
		.amdhsa_float_round_mode_16_64 0
		.amdhsa_float_denorm_mode_32 3
		.amdhsa_float_denorm_mode_16_64 3
		.amdhsa_dx10_clamp 1
		.amdhsa_ieee_mode 1
		.amdhsa_fp16_overflow 0
		.amdhsa_workgroup_processor_mode 1
		.amdhsa_memory_ordered 1
		.amdhsa_forward_progress 1
		.amdhsa_shared_vgpr_count 0
		.amdhsa_exception_fp_ieee_invalid_op 0
		.amdhsa_exception_fp_denorm_src 0
		.amdhsa_exception_fp_ieee_div_zero 0
		.amdhsa_exception_fp_ieee_overflow 0
		.amdhsa_exception_fp_ieee_underflow 0
		.amdhsa_exception_fp_ieee_inexact 0
		.amdhsa_exception_int_div_zero 0
	.end_amdhsa_kernel
	.section	.text._ZN7rocprim17ROCPRIM_400000_NS6detail17trampoline_kernelINS0_14default_configENS1_27scan_by_key_config_selectorIiiEEZZNS1_16scan_by_key_implILNS1_25lookback_scan_determinismE0ELb1ES3_N6thrust23THRUST_200600_302600_NS6detail15normal_iteratorINS9_10device_ptrIiEEEESE_SE_iNS9_10multipliesIiEENS9_8equal_toIiEEiEE10hipError_tPvRmT2_T3_T4_T5_mT6_T7_P12ihipStream_tbENKUlT_T0_E_clISt17integral_constantIbLb1EESY_IbLb0EEEEDaSU_SV_EUlSU_E_NS1_11comp_targetILNS1_3genE3ELNS1_11target_archE908ELNS1_3gpuE7ELNS1_3repE0EEENS1_30default_config_static_selectorELNS0_4arch9wavefront6targetE0EEEvT1_,"axG",@progbits,_ZN7rocprim17ROCPRIM_400000_NS6detail17trampoline_kernelINS0_14default_configENS1_27scan_by_key_config_selectorIiiEEZZNS1_16scan_by_key_implILNS1_25lookback_scan_determinismE0ELb1ES3_N6thrust23THRUST_200600_302600_NS6detail15normal_iteratorINS9_10device_ptrIiEEEESE_SE_iNS9_10multipliesIiEENS9_8equal_toIiEEiEE10hipError_tPvRmT2_T3_T4_T5_mT6_T7_P12ihipStream_tbENKUlT_T0_E_clISt17integral_constantIbLb1EESY_IbLb0EEEEDaSU_SV_EUlSU_E_NS1_11comp_targetILNS1_3genE3ELNS1_11target_archE908ELNS1_3gpuE7ELNS1_3repE0EEENS1_30default_config_static_selectorELNS0_4arch9wavefront6targetE0EEEvT1_,comdat
.Lfunc_end519:
	.size	_ZN7rocprim17ROCPRIM_400000_NS6detail17trampoline_kernelINS0_14default_configENS1_27scan_by_key_config_selectorIiiEEZZNS1_16scan_by_key_implILNS1_25lookback_scan_determinismE0ELb1ES3_N6thrust23THRUST_200600_302600_NS6detail15normal_iteratorINS9_10device_ptrIiEEEESE_SE_iNS9_10multipliesIiEENS9_8equal_toIiEEiEE10hipError_tPvRmT2_T3_T4_T5_mT6_T7_P12ihipStream_tbENKUlT_T0_E_clISt17integral_constantIbLb1EESY_IbLb0EEEEDaSU_SV_EUlSU_E_NS1_11comp_targetILNS1_3genE3ELNS1_11target_archE908ELNS1_3gpuE7ELNS1_3repE0EEENS1_30default_config_static_selectorELNS0_4arch9wavefront6targetE0EEEvT1_, .Lfunc_end519-_ZN7rocprim17ROCPRIM_400000_NS6detail17trampoline_kernelINS0_14default_configENS1_27scan_by_key_config_selectorIiiEEZZNS1_16scan_by_key_implILNS1_25lookback_scan_determinismE0ELb1ES3_N6thrust23THRUST_200600_302600_NS6detail15normal_iteratorINS9_10device_ptrIiEEEESE_SE_iNS9_10multipliesIiEENS9_8equal_toIiEEiEE10hipError_tPvRmT2_T3_T4_T5_mT6_T7_P12ihipStream_tbENKUlT_T0_E_clISt17integral_constantIbLb1EESY_IbLb0EEEEDaSU_SV_EUlSU_E_NS1_11comp_targetILNS1_3genE3ELNS1_11target_archE908ELNS1_3gpuE7ELNS1_3repE0EEENS1_30default_config_static_selectorELNS0_4arch9wavefront6targetE0EEEvT1_
                                        ; -- End function
	.set _ZN7rocprim17ROCPRIM_400000_NS6detail17trampoline_kernelINS0_14default_configENS1_27scan_by_key_config_selectorIiiEEZZNS1_16scan_by_key_implILNS1_25lookback_scan_determinismE0ELb1ES3_N6thrust23THRUST_200600_302600_NS6detail15normal_iteratorINS9_10device_ptrIiEEEESE_SE_iNS9_10multipliesIiEENS9_8equal_toIiEEiEE10hipError_tPvRmT2_T3_T4_T5_mT6_T7_P12ihipStream_tbENKUlT_T0_E_clISt17integral_constantIbLb1EESY_IbLb0EEEEDaSU_SV_EUlSU_E_NS1_11comp_targetILNS1_3genE3ELNS1_11target_archE908ELNS1_3gpuE7ELNS1_3repE0EEENS1_30default_config_static_selectorELNS0_4arch9wavefront6targetE0EEEvT1_.num_vgpr, 0
	.set _ZN7rocprim17ROCPRIM_400000_NS6detail17trampoline_kernelINS0_14default_configENS1_27scan_by_key_config_selectorIiiEEZZNS1_16scan_by_key_implILNS1_25lookback_scan_determinismE0ELb1ES3_N6thrust23THRUST_200600_302600_NS6detail15normal_iteratorINS9_10device_ptrIiEEEESE_SE_iNS9_10multipliesIiEENS9_8equal_toIiEEiEE10hipError_tPvRmT2_T3_T4_T5_mT6_T7_P12ihipStream_tbENKUlT_T0_E_clISt17integral_constantIbLb1EESY_IbLb0EEEEDaSU_SV_EUlSU_E_NS1_11comp_targetILNS1_3genE3ELNS1_11target_archE908ELNS1_3gpuE7ELNS1_3repE0EEENS1_30default_config_static_selectorELNS0_4arch9wavefront6targetE0EEEvT1_.num_agpr, 0
	.set _ZN7rocprim17ROCPRIM_400000_NS6detail17trampoline_kernelINS0_14default_configENS1_27scan_by_key_config_selectorIiiEEZZNS1_16scan_by_key_implILNS1_25lookback_scan_determinismE0ELb1ES3_N6thrust23THRUST_200600_302600_NS6detail15normal_iteratorINS9_10device_ptrIiEEEESE_SE_iNS9_10multipliesIiEENS9_8equal_toIiEEiEE10hipError_tPvRmT2_T3_T4_T5_mT6_T7_P12ihipStream_tbENKUlT_T0_E_clISt17integral_constantIbLb1EESY_IbLb0EEEEDaSU_SV_EUlSU_E_NS1_11comp_targetILNS1_3genE3ELNS1_11target_archE908ELNS1_3gpuE7ELNS1_3repE0EEENS1_30default_config_static_selectorELNS0_4arch9wavefront6targetE0EEEvT1_.numbered_sgpr, 0
	.set _ZN7rocprim17ROCPRIM_400000_NS6detail17trampoline_kernelINS0_14default_configENS1_27scan_by_key_config_selectorIiiEEZZNS1_16scan_by_key_implILNS1_25lookback_scan_determinismE0ELb1ES3_N6thrust23THRUST_200600_302600_NS6detail15normal_iteratorINS9_10device_ptrIiEEEESE_SE_iNS9_10multipliesIiEENS9_8equal_toIiEEiEE10hipError_tPvRmT2_T3_T4_T5_mT6_T7_P12ihipStream_tbENKUlT_T0_E_clISt17integral_constantIbLb1EESY_IbLb0EEEEDaSU_SV_EUlSU_E_NS1_11comp_targetILNS1_3genE3ELNS1_11target_archE908ELNS1_3gpuE7ELNS1_3repE0EEENS1_30default_config_static_selectorELNS0_4arch9wavefront6targetE0EEEvT1_.num_named_barrier, 0
	.set _ZN7rocprim17ROCPRIM_400000_NS6detail17trampoline_kernelINS0_14default_configENS1_27scan_by_key_config_selectorIiiEEZZNS1_16scan_by_key_implILNS1_25lookback_scan_determinismE0ELb1ES3_N6thrust23THRUST_200600_302600_NS6detail15normal_iteratorINS9_10device_ptrIiEEEESE_SE_iNS9_10multipliesIiEENS9_8equal_toIiEEiEE10hipError_tPvRmT2_T3_T4_T5_mT6_T7_P12ihipStream_tbENKUlT_T0_E_clISt17integral_constantIbLb1EESY_IbLb0EEEEDaSU_SV_EUlSU_E_NS1_11comp_targetILNS1_3genE3ELNS1_11target_archE908ELNS1_3gpuE7ELNS1_3repE0EEENS1_30default_config_static_selectorELNS0_4arch9wavefront6targetE0EEEvT1_.private_seg_size, 0
	.set _ZN7rocprim17ROCPRIM_400000_NS6detail17trampoline_kernelINS0_14default_configENS1_27scan_by_key_config_selectorIiiEEZZNS1_16scan_by_key_implILNS1_25lookback_scan_determinismE0ELb1ES3_N6thrust23THRUST_200600_302600_NS6detail15normal_iteratorINS9_10device_ptrIiEEEESE_SE_iNS9_10multipliesIiEENS9_8equal_toIiEEiEE10hipError_tPvRmT2_T3_T4_T5_mT6_T7_P12ihipStream_tbENKUlT_T0_E_clISt17integral_constantIbLb1EESY_IbLb0EEEEDaSU_SV_EUlSU_E_NS1_11comp_targetILNS1_3genE3ELNS1_11target_archE908ELNS1_3gpuE7ELNS1_3repE0EEENS1_30default_config_static_selectorELNS0_4arch9wavefront6targetE0EEEvT1_.uses_vcc, 0
	.set _ZN7rocprim17ROCPRIM_400000_NS6detail17trampoline_kernelINS0_14default_configENS1_27scan_by_key_config_selectorIiiEEZZNS1_16scan_by_key_implILNS1_25lookback_scan_determinismE0ELb1ES3_N6thrust23THRUST_200600_302600_NS6detail15normal_iteratorINS9_10device_ptrIiEEEESE_SE_iNS9_10multipliesIiEENS9_8equal_toIiEEiEE10hipError_tPvRmT2_T3_T4_T5_mT6_T7_P12ihipStream_tbENKUlT_T0_E_clISt17integral_constantIbLb1EESY_IbLb0EEEEDaSU_SV_EUlSU_E_NS1_11comp_targetILNS1_3genE3ELNS1_11target_archE908ELNS1_3gpuE7ELNS1_3repE0EEENS1_30default_config_static_selectorELNS0_4arch9wavefront6targetE0EEEvT1_.uses_flat_scratch, 0
	.set _ZN7rocprim17ROCPRIM_400000_NS6detail17trampoline_kernelINS0_14default_configENS1_27scan_by_key_config_selectorIiiEEZZNS1_16scan_by_key_implILNS1_25lookback_scan_determinismE0ELb1ES3_N6thrust23THRUST_200600_302600_NS6detail15normal_iteratorINS9_10device_ptrIiEEEESE_SE_iNS9_10multipliesIiEENS9_8equal_toIiEEiEE10hipError_tPvRmT2_T3_T4_T5_mT6_T7_P12ihipStream_tbENKUlT_T0_E_clISt17integral_constantIbLb1EESY_IbLb0EEEEDaSU_SV_EUlSU_E_NS1_11comp_targetILNS1_3genE3ELNS1_11target_archE908ELNS1_3gpuE7ELNS1_3repE0EEENS1_30default_config_static_selectorELNS0_4arch9wavefront6targetE0EEEvT1_.has_dyn_sized_stack, 0
	.set _ZN7rocprim17ROCPRIM_400000_NS6detail17trampoline_kernelINS0_14default_configENS1_27scan_by_key_config_selectorIiiEEZZNS1_16scan_by_key_implILNS1_25lookback_scan_determinismE0ELb1ES3_N6thrust23THRUST_200600_302600_NS6detail15normal_iteratorINS9_10device_ptrIiEEEESE_SE_iNS9_10multipliesIiEENS9_8equal_toIiEEiEE10hipError_tPvRmT2_T3_T4_T5_mT6_T7_P12ihipStream_tbENKUlT_T0_E_clISt17integral_constantIbLb1EESY_IbLb0EEEEDaSU_SV_EUlSU_E_NS1_11comp_targetILNS1_3genE3ELNS1_11target_archE908ELNS1_3gpuE7ELNS1_3repE0EEENS1_30default_config_static_selectorELNS0_4arch9wavefront6targetE0EEEvT1_.has_recursion, 0
	.set _ZN7rocprim17ROCPRIM_400000_NS6detail17trampoline_kernelINS0_14default_configENS1_27scan_by_key_config_selectorIiiEEZZNS1_16scan_by_key_implILNS1_25lookback_scan_determinismE0ELb1ES3_N6thrust23THRUST_200600_302600_NS6detail15normal_iteratorINS9_10device_ptrIiEEEESE_SE_iNS9_10multipliesIiEENS9_8equal_toIiEEiEE10hipError_tPvRmT2_T3_T4_T5_mT6_T7_P12ihipStream_tbENKUlT_T0_E_clISt17integral_constantIbLb1EESY_IbLb0EEEEDaSU_SV_EUlSU_E_NS1_11comp_targetILNS1_3genE3ELNS1_11target_archE908ELNS1_3gpuE7ELNS1_3repE0EEENS1_30default_config_static_selectorELNS0_4arch9wavefront6targetE0EEEvT1_.has_indirect_call, 0
	.section	.AMDGPU.csdata,"",@progbits
; Kernel info:
; codeLenInByte = 0
; TotalNumSgprs: 0
; NumVgprs: 0
; ScratchSize: 0
; MemoryBound: 0
; FloatMode: 240
; IeeeMode: 1
; LDSByteSize: 0 bytes/workgroup (compile time only)
; SGPRBlocks: 0
; VGPRBlocks: 0
; NumSGPRsForWavesPerEU: 1
; NumVGPRsForWavesPerEU: 1
; Occupancy: 16
; WaveLimiterHint : 0
; COMPUTE_PGM_RSRC2:SCRATCH_EN: 0
; COMPUTE_PGM_RSRC2:USER_SGPR: 6
; COMPUTE_PGM_RSRC2:TRAP_HANDLER: 0
; COMPUTE_PGM_RSRC2:TGID_X_EN: 1
; COMPUTE_PGM_RSRC2:TGID_Y_EN: 0
; COMPUTE_PGM_RSRC2:TGID_Z_EN: 0
; COMPUTE_PGM_RSRC2:TIDIG_COMP_CNT: 0
	.section	.text._ZN7rocprim17ROCPRIM_400000_NS6detail17trampoline_kernelINS0_14default_configENS1_27scan_by_key_config_selectorIiiEEZZNS1_16scan_by_key_implILNS1_25lookback_scan_determinismE0ELb1ES3_N6thrust23THRUST_200600_302600_NS6detail15normal_iteratorINS9_10device_ptrIiEEEESE_SE_iNS9_10multipliesIiEENS9_8equal_toIiEEiEE10hipError_tPvRmT2_T3_T4_T5_mT6_T7_P12ihipStream_tbENKUlT_T0_E_clISt17integral_constantIbLb1EESY_IbLb0EEEEDaSU_SV_EUlSU_E_NS1_11comp_targetILNS1_3genE2ELNS1_11target_archE906ELNS1_3gpuE6ELNS1_3repE0EEENS1_30default_config_static_selectorELNS0_4arch9wavefront6targetE0EEEvT1_,"axG",@progbits,_ZN7rocprim17ROCPRIM_400000_NS6detail17trampoline_kernelINS0_14default_configENS1_27scan_by_key_config_selectorIiiEEZZNS1_16scan_by_key_implILNS1_25lookback_scan_determinismE0ELb1ES3_N6thrust23THRUST_200600_302600_NS6detail15normal_iteratorINS9_10device_ptrIiEEEESE_SE_iNS9_10multipliesIiEENS9_8equal_toIiEEiEE10hipError_tPvRmT2_T3_T4_T5_mT6_T7_P12ihipStream_tbENKUlT_T0_E_clISt17integral_constantIbLb1EESY_IbLb0EEEEDaSU_SV_EUlSU_E_NS1_11comp_targetILNS1_3genE2ELNS1_11target_archE906ELNS1_3gpuE6ELNS1_3repE0EEENS1_30default_config_static_selectorELNS0_4arch9wavefront6targetE0EEEvT1_,comdat
	.protected	_ZN7rocprim17ROCPRIM_400000_NS6detail17trampoline_kernelINS0_14default_configENS1_27scan_by_key_config_selectorIiiEEZZNS1_16scan_by_key_implILNS1_25lookback_scan_determinismE0ELb1ES3_N6thrust23THRUST_200600_302600_NS6detail15normal_iteratorINS9_10device_ptrIiEEEESE_SE_iNS9_10multipliesIiEENS9_8equal_toIiEEiEE10hipError_tPvRmT2_T3_T4_T5_mT6_T7_P12ihipStream_tbENKUlT_T0_E_clISt17integral_constantIbLb1EESY_IbLb0EEEEDaSU_SV_EUlSU_E_NS1_11comp_targetILNS1_3genE2ELNS1_11target_archE906ELNS1_3gpuE6ELNS1_3repE0EEENS1_30default_config_static_selectorELNS0_4arch9wavefront6targetE0EEEvT1_ ; -- Begin function _ZN7rocprim17ROCPRIM_400000_NS6detail17trampoline_kernelINS0_14default_configENS1_27scan_by_key_config_selectorIiiEEZZNS1_16scan_by_key_implILNS1_25lookback_scan_determinismE0ELb1ES3_N6thrust23THRUST_200600_302600_NS6detail15normal_iteratorINS9_10device_ptrIiEEEESE_SE_iNS9_10multipliesIiEENS9_8equal_toIiEEiEE10hipError_tPvRmT2_T3_T4_T5_mT6_T7_P12ihipStream_tbENKUlT_T0_E_clISt17integral_constantIbLb1EESY_IbLb0EEEEDaSU_SV_EUlSU_E_NS1_11comp_targetILNS1_3genE2ELNS1_11target_archE906ELNS1_3gpuE6ELNS1_3repE0EEENS1_30default_config_static_selectorELNS0_4arch9wavefront6targetE0EEEvT1_
	.globl	_ZN7rocprim17ROCPRIM_400000_NS6detail17trampoline_kernelINS0_14default_configENS1_27scan_by_key_config_selectorIiiEEZZNS1_16scan_by_key_implILNS1_25lookback_scan_determinismE0ELb1ES3_N6thrust23THRUST_200600_302600_NS6detail15normal_iteratorINS9_10device_ptrIiEEEESE_SE_iNS9_10multipliesIiEENS9_8equal_toIiEEiEE10hipError_tPvRmT2_T3_T4_T5_mT6_T7_P12ihipStream_tbENKUlT_T0_E_clISt17integral_constantIbLb1EESY_IbLb0EEEEDaSU_SV_EUlSU_E_NS1_11comp_targetILNS1_3genE2ELNS1_11target_archE906ELNS1_3gpuE6ELNS1_3repE0EEENS1_30default_config_static_selectorELNS0_4arch9wavefront6targetE0EEEvT1_
	.p2align	8
	.type	_ZN7rocprim17ROCPRIM_400000_NS6detail17trampoline_kernelINS0_14default_configENS1_27scan_by_key_config_selectorIiiEEZZNS1_16scan_by_key_implILNS1_25lookback_scan_determinismE0ELb1ES3_N6thrust23THRUST_200600_302600_NS6detail15normal_iteratorINS9_10device_ptrIiEEEESE_SE_iNS9_10multipliesIiEENS9_8equal_toIiEEiEE10hipError_tPvRmT2_T3_T4_T5_mT6_T7_P12ihipStream_tbENKUlT_T0_E_clISt17integral_constantIbLb1EESY_IbLb0EEEEDaSU_SV_EUlSU_E_NS1_11comp_targetILNS1_3genE2ELNS1_11target_archE906ELNS1_3gpuE6ELNS1_3repE0EEENS1_30default_config_static_selectorELNS0_4arch9wavefront6targetE0EEEvT1_,@function
_ZN7rocprim17ROCPRIM_400000_NS6detail17trampoline_kernelINS0_14default_configENS1_27scan_by_key_config_selectorIiiEEZZNS1_16scan_by_key_implILNS1_25lookback_scan_determinismE0ELb1ES3_N6thrust23THRUST_200600_302600_NS6detail15normal_iteratorINS9_10device_ptrIiEEEESE_SE_iNS9_10multipliesIiEENS9_8equal_toIiEEiEE10hipError_tPvRmT2_T3_T4_T5_mT6_T7_P12ihipStream_tbENKUlT_T0_E_clISt17integral_constantIbLb1EESY_IbLb0EEEEDaSU_SV_EUlSU_E_NS1_11comp_targetILNS1_3genE2ELNS1_11target_archE906ELNS1_3gpuE6ELNS1_3repE0EEENS1_30default_config_static_selectorELNS0_4arch9wavefront6targetE0EEEvT1_: ; @_ZN7rocprim17ROCPRIM_400000_NS6detail17trampoline_kernelINS0_14default_configENS1_27scan_by_key_config_selectorIiiEEZZNS1_16scan_by_key_implILNS1_25lookback_scan_determinismE0ELb1ES3_N6thrust23THRUST_200600_302600_NS6detail15normal_iteratorINS9_10device_ptrIiEEEESE_SE_iNS9_10multipliesIiEENS9_8equal_toIiEEiEE10hipError_tPvRmT2_T3_T4_T5_mT6_T7_P12ihipStream_tbENKUlT_T0_E_clISt17integral_constantIbLb1EESY_IbLb0EEEEDaSU_SV_EUlSU_E_NS1_11comp_targetILNS1_3genE2ELNS1_11target_archE906ELNS1_3gpuE6ELNS1_3repE0EEENS1_30default_config_static_selectorELNS0_4arch9wavefront6targetE0EEEvT1_
; %bb.0:
	.section	.rodata,"a",@progbits
	.p2align	6, 0x0
	.amdhsa_kernel _ZN7rocprim17ROCPRIM_400000_NS6detail17trampoline_kernelINS0_14default_configENS1_27scan_by_key_config_selectorIiiEEZZNS1_16scan_by_key_implILNS1_25lookback_scan_determinismE0ELb1ES3_N6thrust23THRUST_200600_302600_NS6detail15normal_iteratorINS9_10device_ptrIiEEEESE_SE_iNS9_10multipliesIiEENS9_8equal_toIiEEiEE10hipError_tPvRmT2_T3_T4_T5_mT6_T7_P12ihipStream_tbENKUlT_T0_E_clISt17integral_constantIbLb1EESY_IbLb0EEEEDaSU_SV_EUlSU_E_NS1_11comp_targetILNS1_3genE2ELNS1_11target_archE906ELNS1_3gpuE6ELNS1_3repE0EEENS1_30default_config_static_selectorELNS0_4arch9wavefront6targetE0EEEvT1_
		.amdhsa_group_segment_fixed_size 0
		.amdhsa_private_segment_fixed_size 0
		.amdhsa_kernarg_size 112
		.amdhsa_user_sgpr_count 6
		.amdhsa_user_sgpr_private_segment_buffer 1
		.amdhsa_user_sgpr_dispatch_ptr 0
		.amdhsa_user_sgpr_queue_ptr 0
		.amdhsa_user_sgpr_kernarg_segment_ptr 1
		.amdhsa_user_sgpr_dispatch_id 0
		.amdhsa_user_sgpr_flat_scratch_init 0
		.amdhsa_user_sgpr_private_segment_size 0
		.amdhsa_wavefront_size32 1
		.amdhsa_uses_dynamic_stack 0
		.amdhsa_system_sgpr_private_segment_wavefront_offset 0
		.amdhsa_system_sgpr_workgroup_id_x 1
		.amdhsa_system_sgpr_workgroup_id_y 0
		.amdhsa_system_sgpr_workgroup_id_z 0
		.amdhsa_system_sgpr_workgroup_info 0
		.amdhsa_system_vgpr_workitem_id 0
		.amdhsa_next_free_vgpr 1
		.amdhsa_next_free_sgpr 1
		.amdhsa_reserve_vcc 0
		.amdhsa_reserve_flat_scratch 0
		.amdhsa_float_round_mode_32 0
		.amdhsa_float_round_mode_16_64 0
		.amdhsa_float_denorm_mode_32 3
		.amdhsa_float_denorm_mode_16_64 3
		.amdhsa_dx10_clamp 1
		.amdhsa_ieee_mode 1
		.amdhsa_fp16_overflow 0
		.amdhsa_workgroup_processor_mode 1
		.amdhsa_memory_ordered 1
		.amdhsa_forward_progress 1
		.amdhsa_shared_vgpr_count 0
		.amdhsa_exception_fp_ieee_invalid_op 0
		.amdhsa_exception_fp_denorm_src 0
		.amdhsa_exception_fp_ieee_div_zero 0
		.amdhsa_exception_fp_ieee_overflow 0
		.amdhsa_exception_fp_ieee_underflow 0
		.amdhsa_exception_fp_ieee_inexact 0
		.amdhsa_exception_int_div_zero 0
	.end_amdhsa_kernel
	.section	.text._ZN7rocprim17ROCPRIM_400000_NS6detail17trampoline_kernelINS0_14default_configENS1_27scan_by_key_config_selectorIiiEEZZNS1_16scan_by_key_implILNS1_25lookback_scan_determinismE0ELb1ES3_N6thrust23THRUST_200600_302600_NS6detail15normal_iteratorINS9_10device_ptrIiEEEESE_SE_iNS9_10multipliesIiEENS9_8equal_toIiEEiEE10hipError_tPvRmT2_T3_T4_T5_mT6_T7_P12ihipStream_tbENKUlT_T0_E_clISt17integral_constantIbLb1EESY_IbLb0EEEEDaSU_SV_EUlSU_E_NS1_11comp_targetILNS1_3genE2ELNS1_11target_archE906ELNS1_3gpuE6ELNS1_3repE0EEENS1_30default_config_static_selectorELNS0_4arch9wavefront6targetE0EEEvT1_,"axG",@progbits,_ZN7rocprim17ROCPRIM_400000_NS6detail17trampoline_kernelINS0_14default_configENS1_27scan_by_key_config_selectorIiiEEZZNS1_16scan_by_key_implILNS1_25lookback_scan_determinismE0ELb1ES3_N6thrust23THRUST_200600_302600_NS6detail15normal_iteratorINS9_10device_ptrIiEEEESE_SE_iNS9_10multipliesIiEENS9_8equal_toIiEEiEE10hipError_tPvRmT2_T3_T4_T5_mT6_T7_P12ihipStream_tbENKUlT_T0_E_clISt17integral_constantIbLb1EESY_IbLb0EEEEDaSU_SV_EUlSU_E_NS1_11comp_targetILNS1_3genE2ELNS1_11target_archE906ELNS1_3gpuE6ELNS1_3repE0EEENS1_30default_config_static_selectorELNS0_4arch9wavefront6targetE0EEEvT1_,comdat
.Lfunc_end520:
	.size	_ZN7rocprim17ROCPRIM_400000_NS6detail17trampoline_kernelINS0_14default_configENS1_27scan_by_key_config_selectorIiiEEZZNS1_16scan_by_key_implILNS1_25lookback_scan_determinismE0ELb1ES3_N6thrust23THRUST_200600_302600_NS6detail15normal_iteratorINS9_10device_ptrIiEEEESE_SE_iNS9_10multipliesIiEENS9_8equal_toIiEEiEE10hipError_tPvRmT2_T3_T4_T5_mT6_T7_P12ihipStream_tbENKUlT_T0_E_clISt17integral_constantIbLb1EESY_IbLb0EEEEDaSU_SV_EUlSU_E_NS1_11comp_targetILNS1_3genE2ELNS1_11target_archE906ELNS1_3gpuE6ELNS1_3repE0EEENS1_30default_config_static_selectorELNS0_4arch9wavefront6targetE0EEEvT1_, .Lfunc_end520-_ZN7rocprim17ROCPRIM_400000_NS6detail17trampoline_kernelINS0_14default_configENS1_27scan_by_key_config_selectorIiiEEZZNS1_16scan_by_key_implILNS1_25lookback_scan_determinismE0ELb1ES3_N6thrust23THRUST_200600_302600_NS6detail15normal_iteratorINS9_10device_ptrIiEEEESE_SE_iNS9_10multipliesIiEENS9_8equal_toIiEEiEE10hipError_tPvRmT2_T3_T4_T5_mT6_T7_P12ihipStream_tbENKUlT_T0_E_clISt17integral_constantIbLb1EESY_IbLb0EEEEDaSU_SV_EUlSU_E_NS1_11comp_targetILNS1_3genE2ELNS1_11target_archE906ELNS1_3gpuE6ELNS1_3repE0EEENS1_30default_config_static_selectorELNS0_4arch9wavefront6targetE0EEEvT1_
                                        ; -- End function
	.set _ZN7rocprim17ROCPRIM_400000_NS6detail17trampoline_kernelINS0_14default_configENS1_27scan_by_key_config_selectorIiiEEZZNS1_16scan_by_key_implILNS1_25lookback_scan_determinismE0ELb1ES3_N6thrust23THRUST_200600_302600_NS6detail15normal_iteratorINS9_10device_ptrIiEEEESE_SE_iNS9_10multipliesIiEENS9_8equal_toIiEEiEE10hipError_tPvRmT2_T3_T4_T5_mT6_T7_P12ihipStream_tbENKUlT_T0_E_clISt17integral_constantIbLb1EESY_IbLb0EEEEDaSU_SV_EUlSU_E_NS1_11comp_targetILNS1_3genE2ELNS1_11target_archE906ELNS1_3gpuE6ELNS1_3repE0EEENS1_30default_config_static_selectorELNS0_4arch9wavefront6targetE0EEEvT1_.num_vgpr, 0
	.set _ZN7rocprim17ROCPRIM_400000_NS6detail17trampoline_kernelINS0_14default_configENS1_27scan_by_key_config_selectorIiiEEZZNS1_16scan_by_key_implILNS1_25lookback_scan_determinismE0ELb1ES3_N6thrust23THRUST_200600_302600_NS6detail15normal_iteratorINS9_10device_ptrIiEEEESE_SE_iNS9_10multipliesIiEENS9_8equal_toIiEEiEE10hipError_tPvRmT2_T3_T4_T5_mT6_T7_P12ihipStream_tbENKUlT_T0_E_clISt17integral_constantIbLb1EESY_IbLb0EEEEDaSU_SV_EUlSU_E_NS1_11comp_targetILNS1_3genE2ELNS1_11target_archE906ELNS1_3gpuE6ELNS1_3repE0EEENS1_30default_config_static_selectorELNS0_4arch9wavefront6targetE0EEEvT1_.num_agpr, 0
	.set _ZN7rocprim17ROCPRIM_400000_NS6detail17trampoline_kernelINS0_14default_configENS1_27scan_by_key_config_selectorIiiEEZZNS1_16scan_by_key_implILNS1_25lookback_scan_determinismE0ELb1ES3_N6thrust23THRUST_200600_302600_NS6detail15normal_iteratorINS9_10device_ptrIiEEEESE_SE_iNS9_10multipliesIiEENS9_8equal_toIiEEiEE10hipError_tPvRmT2_T3_T4_T5_mT6_T7_P12ihipStream_tbENKUlT_T0_E_clISt17integral_constantIbLb1EESY_IbLb0EEEEDaSU_SV_EUlSU_E_NS1_11comp_targetILNS1_3genE2ELNS1_11target_archE906ELNS1_3gpuE6ELNS1_3repE0EEENS1_30default_config_static_selectorELNS0_4arch9wavefront6targetE0EEEvT1_.numbered_sgpr, 0
	.set _ZN7rocprim17ROCPRIM_400000_NS6detail17trampoline_kernelINS0_14default_configENS1_27scan_by_key_config_selectorIiiEEZZNS1_16scan_by_key_implILNS1_25lookback_scan_determinismE0ELb1ES3_N6thrust23THRUST_200600_302600_NS6detail15normal_iteratorINS9_10device_ptrIiEEEESE_SE_iNS9_10multipliesIiEENS9_8equal_toIiEEiEE10hipError_tPvRmT2_T3_T4_T5_mT6_T7_P12ihipStream_tbENKUlT_T0_E_clISt17integral_constantIbLb1EESY_IbLb0EEEEDaSU_SV_EUlSU_E_NS1_11comp_targetILNS1_3genE2ELNS1_11target_archE906ELNS1_3gpuE6ELNS1_3repE0EEENS1_30default_config_static_selectorELNS0_4arch9wavefront6targetE0EEEvT1_.num_named_barrier, 0
	.set _ZN7rocprim17ROCPRIM_400000_NS6detail17trampoline_kernelINS0_14default_configENS1_27scan_by_key_config_selectorIiiEEZZNS1_16scan_by_key_implILNS1_25lookback_scan_determinismE0ELb1ES3_N6thrust23THRUST_200600_302600_NS6detail15normal_iteratorINS9_10device_ptrIiEEEESE_SE_iNS9_10multipliesIiEENS9_8equal_toIiEEiEE10hipError_tPvRmT2_T3_T4_T5_mT6_T7_P12ihipStream_tbENKUlT_T0_E_clISt17integral_constantIbLb1EESY_IbLb0EEEEDaSU_SV_EUlSU_E_NS1_11comp_targetILNS1_3genE2ELNS1_11target_archE906ELNS1_3gpuE6ELNS1_3repE0EEENS1_30default_config_static_selectorELNS0_4arch9wavefront6targetE0EEEvT1_.private_seg_size, 0
	.set _ZN7rocprim17ROCPRIM_400000_NS6detail17trampoline_kernelINS0_14default_configENS1_27scan_by_key_config_selectorIiiEEZZNS1_16scan_by_key_implILNS1_25lookback_scan_determinismE0ELb1ES3_N6thrust23THRUST_200600_302600_NS6detail15normal_iteratorINS9_10device_ptrIiEEEESE_SE_iNS9_10multipliesIiEENS9_8equal_toIiEEiEE10hipError_tPvRmT2_T3_T4_T5_mT6_T7_P12ihipStream_tbENKUlT_T0_E_clISt17integral_constantIbLb1EESY_IbLb0EEEEDaSU_SV_EUlSU_E_NS1_11comp_targetILNS1_3genE2ELNS1_11target_archE906ELNS1_3gpuE6ELNS1_3repE0EEENS1_30default_config_static_selectorELNS0_4arch9wavefront6targetE0EEEvT1_.uses_vcc, 0
	.set _ZN7rocprim17ROCPRIM_400000_NS6detail17trampoline_kernelINS0_14default_configENS1_27scan_by_key_config_selectorIiiEEZZNS1_16scan_by_key_implILNS1_25lookback_scan_determinismE0ELb1ES3_N6thrust23THRUST_200600_302600_NS6detail15normal_iteratorINS9_10device_ptrIiEEEESE_SE_iNS9_10multipliesIiEENS9_8equal_toIiEEiEE10hipError_tPvRmT2_T3_T4_T5_mT6_T7_P12ihipStream_tbENKUlT_T0_E_clISt17integral_constantIbLb1EESY_IbLb0EEEEDaSU_SV_EUlSU_E_NS1_11comp_targetILNS1_3genE2ELNS1_11target_archE906ELNS1_3gpuE6ELNS1_3repE0EEENS1_30default_config_static_selectorELNS0_4arch9wavefront6targetE0EEEvT1_.uses_flat_scratch, 0
	.set _ZN7rocprim17ROCPRIM_400000_NS6detail17trampoline_kernelINS0_14default_configENS1_27scan_by_key_config_selectorIiiEEZZNS1_16scan_by_key_implILNS1_25lookback_scan_determinismE0ELb1ES3_N6thrust23THRUST_200600_302600_NS6detail15normal_iteratorINS9_10device_ptrIiEEEESE_SE_iNS9_10multipliesIiEENS9_8equal_toIiEEiEE10hipError_tPvRmT2_T3_T4_T5_mT6_T7_P12ihipStream_tbENKUlT_T0_E_clISt17integral_constantIbLb1EESY_IbLb0EEEEDaSU_SV_EUlSU_E_NS1_11comp_targetILNS1_3genE2ELNS1_11target_archE906ELNS1_3gpuE6ELNS1_3repE0EEENS1_30default_config_static_selectorELNS0_4arch9wavefront6targetE0EEEvT1_.has_dyn_sized_stack, 0
	.set _ZN7rocprim17ROCPRIM_400000_NS6detail17trampoline_kernelINS0_14default_configENS1_27scan_by_key_config_selectorIiiEEZZNS1_16scan_by_key_implILNS1_25lookback_scan_determinismE0ELb1ES3_N6thrust23THRUST_200600_302600_NS6detail15normal_iteratorINS9_10device_ptrIiEEEESE_SE_iNS9_10multipliesIiEENS9_8equal_toIiEEiEE10hipError_tPvRmT2_T3_T4_T5_mT6_T7_P12ihipStream_tbENKUlT_T0_E_clISt17integral_constantIbLb1EESY_IbLb0EEEEDaSU_SV_EUlSU_E_NS1_11comp_targetILNS1_3genE2ELNS1_11target_archE906ELNS1_3gpuE6ELNS1_3repE0EEENS1_30default_config_static_selectorELNS0_4arch9wavefront6targetE0EEEvT1_.has_recursion, 0
	.set _ZN7rocprim17ROCPRIM_400000_NS6detail17trampoline_kernelINS0_14default_configENS1_27scan_by_key_config_selectorIiiEEZZNS1_16scan_by_key_implILNS1_25lookback_scan_determinismE0ELb1ES3_N6thrust23THRUST_200600_302600_NS6detail15normal_iteratorINS9_10device_ptrIiEEEESE_SE_iNS9_10multipliesIiEENS9_8equal_toIiEEiEE10hipError_tPvRmT2_T3_T4_T5_mT6_T7_P12ihipStream_tbENKUlT_T0_E_clISt17integral_constantIbLb1EESY_IbLb0EEEEDaSU_SV_EUlSU_E_NS1_11comp_targetILNS1_3genE2ELNS1_11target_archE906ELNS1_3gpuE6ELNS1_3repE0EEENS1_30default_config_static_selectorELNS0_4arch9wavefront6targetE0EEEvT1_.has_indirect_call, 0
	.section	.AMDGPU.csdata,"",@progbits
; Kernel info:
; codeLenInByte = 0
; TotalNumSgprs: 0
; NumVgprs: 0
; ScratchSize: 0
; MemoryBound: 0
; FloatMode: 240
; IeeeMode: 1
; LDSByteSize: 0 bytes/workgroup (compile time only)
; SGPRBlocks: 0
; VGPRBlocks: 0
; NumSGPRsForWavesPerEU: 1
; NumVGPRsForWavesPerEU: 1
; Occupancy: 16
; WaveLimiterHint : 0
; COMPUTE_PGM_RSRC2:SCRATCH_EN: 0
; COMPUTE_PGM_RSRC2:USER_SGPR: 6
; COMPUTE_PGM_RSRC2:TRAP_HANDLER: 0
; COMPUTE_PGM_RSRC2:TGID_X_EN: 1
; COMPUTE_PGM_RSRC2:TGID_Y_EN: 0
; COMPUTE_PGM_RSRC2:TGID_Z_EN: 0
; COMPUTE_PGM_RSRC2:TIDIG_COMP_CNT: 0
	.section	.text._ZN7rocprim17ROCPRIM_400000_NS6detail17trampoline_kernelINS0_14default_configENS1_27scan_by_key_config_selectorIiiEEZZNS1_16scan_by_key_implILNS1_25lookback_scan_determinismE0ELb1ES3_N6thrust23THRUST_200600_302600_NS6detail15normal_iteratorINS9_10device_ptrIiEEEESE_SE_iNS9_10multipliesIiEENS9_8equal_toIiEEiEE10hipError_tPvRmT2_T3_T4_T5_mT6_T7_P12ihipStream_tbENKUlT_T0_E_clISt17integral_constantIbLb1EESY_IbLb0EEEEDaSU_SV_EUlSU_E_NS1_11comp_targetILNS1_3genE10ELNS1_11target_archE1200ELNS1_3gpuE4ELNS1_3repE0EEENS1_30default_config_static_selectorELNS0_4arch9wavefront6targetE0EEEvT1_,"axG",@progbits,_ZN7rocprim17ROCPRIM_400000_NS6detail17trampoline_kernelINS0_14default_configENS1_27scan_by_key_config_selectorIiiEEZZNS1_16scan_by_key_implILNS1_25lookback_scan_determinismE0ELb1ES3_N6thrust23THRUST_200600_302600_NS6detail15normal_iteratorINS9_10device_ptrIiEEEESE_SE_iNS9_10multipliesIiEENS9_8equal_toIiEEiEE10hipError_tPvRmT2_T3_T4_T5_mT6_T7_P12ihipStream_tbENKUlT_T0_E_clISt17integral_constantIbLb1EESY_IbLb0EEEEDaSU_SV_EUlSU_E_NS1_11comp_targetILNS1_3genE10ELNS1_11target_archE1200ELNS1_3gpuE4ELNS1_3repE0EEENS1_30default_config_static_selectorELNS0_4arch9wavefront6targetE0EEEvT1_,comdat
	.protected	_ZN7rocprim17ROCPRIM_400000_NS6detail17trampoline_kernelINS0_14default_configENS1_27scan_by_key_config_selectorIiiEEZZNS1_16scan_by_key_implILNS1_25lookback_scan_determinismE0ELb1ES3_N6thrust23THRUST_200600_302600_NS6detail15normal_iteratorINS9_10device_ptrIiEEEESE_SE_iNS9_10multipliesIiEENS9_8equal_toIiEEiEE10hipError_tPvRmT2_T3_T4_T5_mT6_T7_P12ihipStream_tbENKUlT_T0_E_clISt17integral_constantIbLb1EESY_IbLb0EEEEDaSU_SV_EUlSU_E_NS1_11comp_targetILNS1_3genE10ELNS1_11target_archE1200ELNS1_3gpuE4ELNS1_3repE0EEENS1_30default_config_static_selectorELNS0_4arch9wavefront6targetE0EEEvT1_ ; -- Begin function _ZN7rocprim17ROCPRIM_400000_NS6detail17trampoline_kernelINS0_14default_configENS1_27scan_by_key_config_selectorIiiEEZZNS1_16scan_by_key_implILNS1_25lookback_scan_determinismE0ELb1ES3_N6thrust23THRUST_200600_302600_NS6detail15normal_iteratorINS9_10device_ptrIiEEEESE_SE_iNS9_10multipliesIiEENS9_8equal_toIiEEiEE10hipError_tPvRmT2_T3_T4_T5_mT6_T7_P12ihipStream_tbENKUlT_T0_E_clISt17integral_constantIbLb1EESY_IbLb0EEEEDaSU_SV_EUlSU_E_NS1_11comp_targetILNS1_3genE10ELNS1_11target_archE1200ELNS1_3gpuE4ELNS1_3repE0EEENS1_30default_config_static_selectorELNS0_4arch9wavefront6targetE0EEEvT1_
	.globl	_ZN7rocprim17ROCPRIM_400000_NS6detail17trampoline_kernelINS0_14default_configENS1_27scan_by_key_config_selectorIiiEEZZNS1_16scan_by_key_implILNS1_25lookback_scan_determinismE0ELb1ES3_N6thrust23THRUST_200600_302600_NS6detail15normal_iteratorINS9_10device_ptrIiEEEESE_SE_iNS9_10multipliesIiEENS9_8equal_toIiEEiEE10hipError_tPvRmT2_T3_T4_T5_mT6_T7_P12ihipStream_tbENKUlT_T0_E_clISt17integral_constantIbLb1EESY_IbLb0EEEEDaSU_SV_EUlSU_E_NS1_11comp_targetILNS1_3genE10ELNS1_11target_archE1200ELNS1_3gpuE4ELNS1_3repE0EEENS1_30default_config_static_selectorELNS0_4arch9wavefront6targetE0EEEvT1_
	.p2align	8
	.type	_ZN7rocprim17ROCPRIM_400000_NS6detail17trampoline_kernelINS0_14default_configENS1_27scan_by_key_config_selectorIiiEEZZNS1_16scan_by_key_implILNS1_25lookback_scan_determinismE0ELb1ES3_N6thrust23THRUST_200600_302600_NS6detail15normal_iteratorINS9_10device_ptrIiEEEESE_SE_iNS9_10multipliesIiEENS9_8equal_toIiEEiEE10hipError_tPvRmT2_T3_T4_T5_mT6_T7_P12ihipStream_tbENKUlT_T0_E_clISt17integral_constantIbLb1EESY_IbLb0EEEEDaSU_SV_EUlSU_E_NS1_11comp_targetILNS1_3genE10ELNS1_11target_archE1200ELNS1_3gpuE4ELNS1_3repE0EEENS1_30default_config_static_selectorELNS0_4arch9wavefront6targetE0EEEvT1_,@function
_ZN7rocprim17ROCPRIM_400000_NS6detail17trampoline_kernelINS0_14default_configENS1_27scan_by_key_config_selectorIiiEEZZNS1_16scan_by_key_implILNS1_25lookback_scan_determinismE0ELb1ES3_N6thrust23THRUST_200600_302600_NS6detail15normal_iteratorINS9_10device_ptrIiEEEESE_SE_iNS9_10multipliesIiEENS9_8equal_toIiEEiEE10hipError_tPvRmT2_T3_T4_T5_mT6_T7_P12ihipStream_tbENKUlT_T0_E_clISt17integral_constantIbLb1EESY_IbLb0EEEEDaSU_SV_EUlSU_E_NS1_11comp_targetILNS1_3genE10ELNS1_11target_archE1200ELNS1_3gpuE4ELNS1_3repE0EEENS1_30default_config_static_selectorELNS0_4arch9wavefront6targetE0EEEvT1_: ; @_ZN7rocprim17ROCPRIM_400000_NS6detail17trampoline_kernelINS0_14default_configENS1_27scan_by_key_config_selectorIiiEEZZNS1_16scan_by_key_implILNS1_25lookback_scan_determinismE0ELb1ES3_N6thrust23THRUST_200600_302600_NS6detail15normal_iteratorINS9_10device_ptrIiEEEESE_SE_iNS9_10multipliesIiEENS9_8equal_toIiEEiEE10hipError_tPvRmT2_T3_T4_T5_mT6_T7_P12ihipStream_tbENKUlT_T0_E_clISt17integral_constantIbLb1EESY_IbLb0EEEEDaSU_SV_EUlSU_E_NS1_11comp_targetILNS1_3genE10ELNS1_11target_archE1200ELNS1_3gpuE4ELNS1_3repE0EEENS1_30default_config_static_selectorELNS0_4arch9wavefront6targetE0EEEvT1_
; %bb.0:
	.section	.rodata,"a",@progbits
	.p2align	6, 0x0
	.amdhsa_kernel _ZN7rocprim17ROCPRIM_400000_NS6detail17trampoline_kernelINS0_14default_configENS1_27scan_by_key_config_selectorIiiEEZZNS1_16scan_by_key_implILNS1_25lookback_scan_determinismE0ELb1ES3_N6thrust23THRUST_200600_302600_NS6detail15normal_iteratorINS9_10device_ptrIiEEEESE_SE_iNS9_10multipliesIiEENS9_8equal_toIiEEiEE10hipError_tPvRmT2_T3_T4_T5_mT6_T7_P12ihipStream_tbENKUlT_T0_E_clISt17integral_constantIbLb1EESY_IbLb0EEEEDaSU_SV_EUlSU_E_NS1_11comp_targetILNS1_3genE10ELNS1_11target_archE1200ELNS1_3gpuE4ELNS1_3repE0EEENS1_30default_config_static_selectorELNS0_4arch9wavefront6targetE0EEEvT1_
		.amdhsa_group_segment_fixed_size 0
		.amdhsa_private_segment_fixed_size 0
		.amdhsa_kernarg_size 112
		.amdhsa_user_sgpr_count 6
		.amdhsa_user_sgpr_private_segment_buffer 1
		.amdhsa_user_sgpr_dispatch_ptr 0
		.amdhsa_user_sgpr_queue_ptr 0
		.amdhsa_user_sgpr_kernarg_segment_ptr 1
		.amdhsa_user_sgpr_dispatch_id 0
		.amdhsa_user_sgpr_flat_scratch_init 0
		.amdhsa_user_sgpr_private_segment_size 0
		.amdhsa_wavefront_size32 1
		.amdhsa_uses_dynamic_stack 0
		.amdhsa_system_sgpr_private_segment_wavefront_offset 0
		.amdhsa_system_sgpr_workgroup_id_x 1
		.amdhsa_system_sgpr_workgroup_id_y 0
		.amdhsa_system_sgpr_workgroup_id_z 0
		.amdhsa_system_sgpr_workgroup_info 0
		.amdhsa_system_vgpr_workitem_id 0
		.amdhsa_next_free_vgpr 1
		.amdhsa_next_free_sgpr 1
		.amdhsa_reserve_vcc 0
		.amdhsa_reserve_flat_scratch 0
		.amdhsa_float_round_mode_32 0
		.amdhsa_float_round_mode_16_64 0
		.amdhsa_float_denorm_mode_32 3
		.amdhsa_float_denorm_mode_16_64 3
		.amdhsa_dx10_clamp 1
		.amdhsa_ieee_mode 1
		.amdhsa_fp16_overflow 0
		.amdhsa_workgroup_processor_mode 1
		.amdhsa_memory_ordered 1
		.amdhsa_forward_progress 1
		.amdhsa_shared_vgpr_count 0
		.amdhsa_exception_fp_ieee_invalid_op 0
		.amdhsa_exception_fp_denorm_src 0
		.amdhsa_exception_fp_ieee_div_zero 0
		.amdhsa_exception_fp_ieee_overflow 0
		.amdhsa_exception_fp_ieee_underflow 0
		.amdhsa_exception_fp_ieee_inexact 0
		.amdhsa_exception_int_div_zero 0
	.end_amdhsa_kernel
	.section	.text._ZN7rocprim17ROCPRIM_400000_NS6detail17trampoline_kernelINS0_14default_configENS1_27scan_by_key_config_selectorIiiEEZZNS1_16scan_by_key_implILNS1_25lookback_scan_determinismE0ELb1ES3_N6thrust23THRUST_200600_302600_NS6detail15normal_iteratorINS9_10device_ptrIiEEEESE_SE_iNS9_10multipliesIiEENS9_8equal_toIiEEiEE10hipError_tPvRmT2_T3_T4_T5_mT6_T7_P12ihipStream_tbENKUlT_T0_E_clISt17integral_constantIbLb1EESY_IbLb0EEEEDaSU_SV_EUlSU_E_NS1_11comp_targetILNS1_3genE10ELNS1_11target_archE1200ELNS1_3gpuE4ELNS1_3repE0EEENS1_30default_config_static_selectorELNS0_4arch9wavefront6targetE0EEEvT1_,"axG",@progbits,_ZN7rocprim17ROCPRIM_400000_NS6detail17trampoline_kernelINS0_14default_configENS1_27scan_by_key_config_selectorIiiEEZZNS1_16scan_by_key_implILNS1_25lookback_scan_determinismE0ELb1ES3_N6thrust23THRUST_200600_302600_NS6detail15normal_iteratorINS9_10device_ptrIiEEEESE_SE_iNS9_10multipliesIiEENS9_8equal_toIiEEiEE10hipError_tPvRmT2_T3_T4_T5_mT6_T7_P12ihipStream_tbENKUlT_T0_E_clISt17integral_constantIbLb1EESY_IbLb0EEEEDaSU_SV_EUlSU_E_NS1_11comp_targetILNS1_3genE10ELNS1_11target_archE1200ELNS1_3gpuE4ELNS1_3repE0EEENS1_30default_config_static_selectorELNS0_4arch9wavefront6targetE0EEEvT1_,comdat
.Lfunc_end521:
	.size	_ZN7rocprim17ROCPRIM_400000_NS6detail17trampoline_kernelINS0_14default_configENS1_27scan_by_key_config_selectorIiiEEZZNS1_16scan_by_key_implILNS1_25lookback_scan_determinismE0ELb1ES3_N6thrust23THRUST_200600_302600_NS6detail15normal_iteratorINS9_10device_ptrIiEEEESE_SE_iNS9_10multipliesIiEENS9_8equal_toIiEEiEE10hipError_tPvRmT2_T3_T4_T5_mT6_T7_P12ihipStream_tbENKUlT_T0_E_clISt17integral_constantIbLb1EESY_IbLb0EEEEDaSU_SV_EUlSU_E_NS1_11comp_targetILNS1_3genE10ELNS1_11target_archE1200ELNS1_3gpuE4ELNS1_3repE0EEENS1_30default_config_static_selectorELNS0_4arch9wavefront6targetE0EEEvT1_, .Lfunc_end521-_ZN7rocprim17ROCPRIM_400000_NS6detail17trampoline_kernelINS0_14default_configENS1_27scan_by_key_config_selectorIiiEEZZNS1_16scan_by_key_implILNS1_25lookback_scan_determinismE0ELb1ES3_N6thrust23THRUST_200600_302600_NS6detail15normal_iteratorINS9_10device_ptrIiEEEESE_SE_iNS9_10multipliesIiEENS9_8equal_toIiEEiEE10hipError_tPvRmT2_T3_T4_T5_mT6_T7_P12ihipStream_tbENKUlT_T0_E_clISt17integral_constantIbLb1EESY_IbLb0EEEEDaSU_SV_EUlSU_E_NS1_11comp_targetILNS1_3genE10ELNS1_11target_archE1200ELNS1_3gpuE4ELNS1_3repE0EEENS1_30default_config_static_selectorELNS0_4arch9wavefront6targetE0EEEvT1_
                                        ; -- End function
	.set _ZN7rocprim17ROCPRIM_400000_NS6detail17trampoline_kernelINS0_14default_configENS1_27scan_by_key_config_selectorIiiEEZZNS1_16scan_by_key_implILNS1_25lookback_scan_determinismE0ELb1ES3_N6thrust23THRUST_200600_302600_NS6detail15normal_iteratorINS9_10device_ptrIiEEEESE_SE_iNS9_10multipliesIiEENS9_8equal_toIiEEiEE10hipError_tPvRmT2_T3_T4_T5_mT6_T7_P12ihipStream_tbENKUlT_T0_E_clISt17integral_constantIbLb1EESY_IbLb0EEEEDaSU_SV_EUlSU_E_NS1_11comp_targetILNS1_3genE10ELNS1_11target_archE1200ELNS1_3gpuE4ELNS1_3repE0EEENS1_30default_config_static_selectorELNS0_4arch9wavefront6targetE0EEEvT1_.num_vgpr, 0
	.set _ZN7rocprim17ROCPRIM_400000_NS6detail17trampoline_kernelINS0_14default_configENS1_27scan_by_key_config_selectorIiiEEZZNS1_16scan_by_key_implILNS1_25lookback_scan_determinismE0ELb1ES3_N6thrust23THRUST_200600_302600_NS6detail15normal_iteratorINS9_10device_ptrIiEEEESE_SE_iNS9_10multipliesIiEENS9_8equal_toIiEEiEE10hipError_tPvRmT2_T3_T4_T5_mT6_T7_P12ihipStream_tbENKUlT_T0_E_clISt17integral_constantIbLb1EESY_IbLb0EEEEDaSU_SV_EUlSU_E_NS1_11comp_targetILNS1_3genE10ELNS1_11target_archE1200ELNS1_3gpuE4ELNS1_3repE0EEENS1_30default_config_static_selectorELNS0_4arch9wavefront6targetE0EEEvT1_.num_agpr, 0
	.set _ZN7rocprim17ROCPRIM_400000_NS6detail17trampoline_kernelINS0_14default_configENS1_27scan_by_key_config_selectorIiiEEZZNS1_16scan_by_key_implILNS1_25lookback_scan_determinismE0ELb1ES3_N6thrust23THRUST_200600_302600_NS6detail15normal_iteratorINS9_10device_ptrIiEEEESE_SE_iNS9_10multipliesIiEENS9_8equal_toIiEEiEE10hipError_tPvRmT2_T3_T4_T5_mT6_T7_P12ihipStream_tbENKUlT_T0_E_clISt17integral_constantIbLb1EESY_IbLb0EEEEDaSU_SV_EUlSU_E_NS1_11comp_targetILNS1_3genE10ELNS1_11target_archE1200ELNS1_3gpuE4ELNS1_3repE0EEENS1_30default_config_static_selectorELNS0_4arch9wavefront6targetE0EEEvT1_.numbered_sgpr, 0
	.set _ZN7rocprim17ROCPRIM_400000_NS6detail17trampoline_kernelINS0_14default_configENS1_27scan_by_key_config_selectorIiiEEZZNS1_16scan_by_key_implILNS1_25lookback_scan_determinismE0ELb1ES3_N6thrust23THRUST_200600_302600_NS6detail15normal_iteratorINS9_10device_ptrIiEEEESE_SE_iNS9_10multipliesIiEENS9_8equal_toIiEEiEE10hipError_tPvRmT2_T3_T4_T5_mT6_T7_P12ihipStream_tbENKUlT_T0_E_clISt17integral_constantIbLb1EESY_IbLb0EEEEDaSU_SV_EUlSU_E_NS1_11comp_targetILNS1_3genE10ELNS1_11target_archE1200ELNS1_3gpuE4ELNS1_3repE0EEENS1_30default_config_static_selectorELNS0_4arch9wavefront6targetE0EEEvT1_.num_named_barrier, 0
	.set _ZN7rocprim17ROCPRIM_400000_NS6detail17trampoline_kernelINS0_14default_configENS1_27scan_by_key_config_selectorIiiEEZZNS1_16scan_by_key_implILNS1_25lookback_scan_determinismE0ELb1ES3_N6thrust23THRUST_200600_302600_NS6detail15normal_iteratorINS9_10device_ptrIiEEEESE_SE_iNS9_10multipliesIiEENS9_8equal_toIiEEiEE10hipError_tPvRmT2_T3_T4_T5_mT6_T7_P12ihipStream_tbENKUlT_T0_E_clISt17integral_constantIbLb1EESY_IbLb0EEEEDaSU_SV_EUlSU_E_NS1_11comp_targetILNS1_3genE10ELNS1_11target_archE1200ELNS1_3gpuE4ELNS1_3repE0EEENS1_30default_config_static_selectorELNS0_4arch9wavefront6targetE0EEEvT1_.private_seg_size, 0
	.set _ZN7rocprim17ROCPRIM_400000_NS6detail17trampoline_kernelINS0_14default_configENS1_27scan_by_key_config_selectorIiiEEZZNS1_16scan_by_key_implILNS1_25lookback_scan_determinismE0ELb1ES3_N6thrust23THRUST_200600_302600_NS6detail15normal_iteratorINS9_10device_ptrIiEEEESE_SE_iNS9_10multipliesIiEENS9_8equal_toIiEEiEE10hipError_tPvRmT2_T3_T4_T5_mT6_T7_P12ihipStream_tbENKUlT_T0_E_clISt17integral_constantIbLb1EESY_IbLb0EEEEDaSU_SV_EUlSU_E_NS1_11comp_targetILNS1_3genE10ELNS1_11target_archE1200ELNS1_3gpuE4ELNS1_3repE0EEENS1_30default_config_static_selectorELNS0_4arch9wavefront6targetE0EEEvT1_.uses_vcc, 0
	.set _ZN7rocprim17ROCPRIM_400000_NS6detail17trampoline_kernelINS0_14default_configENS1_27scan_by_key_config_selectorIiiEEZZNS1_16scan_by_key_implILNS1_25lookback_scan_determinismE0ELb1ES3_N6thrust23THRUST_200600_302600_NS6detail15normal_iteratorINS9_10device_ptrIiEEEESE_SE_iNS9_10multipliesIiEENS9_8equal_toIiEEiEE10hipError_tPvRmT2_T3_T4_T5_mT6_T7_P12ihipStream_tbENKUlT_T0_E_clISt17integral_constantIbLb1EESY_IbLb0EEEEDaSU_SV_EUlSU_E_NS1_11comp_targetILNS1_3genE10ELNS1_11target_archE1200ELNS1_3gpuE4ELNS1_3repE0EEENS1_30default_config_static_selectorELNS0_4arch9wavefront6targetE0EEEvT1_.uses_flat_scratch, 0
	.set _ZN7rocprim17ROCPRIM_400000_NS6detail17trampoline_kernelINS0_14default_configENS1_27scan_by_key_config_selectorIiiEEZZNS1_16scan_by_key_implILNS1_25lookback_scan_determinismE0ELb1ES3_N6thrust23THRUST_200600_302600_NS6detail15normal_iteratorINS9_10device_ptrIiEEEESE_SE_iNS9_10multipliesIiEENS9_8equal_toIiEEiEE10hipError_tPvRmT2_T3_T4_T5_mT6_T7_P12ihipStream_tbENKUlT_T0_E_clISt17integral_constantIbLb1EESY_IbLb0EEEEDaSU_SV_EUlSU_E_NS1_11comp_targetILNS1_3genE10ELNS1_11target_archE1200ELNS1_3gpuE4ELNS1_3repE0EEENS1_30default_config_static_selectorELNS0_4arch9wavefront6targetE0EEEvT1_.has_dyn_sized_stack, 0
	.set _ZN7rocprim17ROCPRIM_400000_NS6detail17trampoline_kernelINS0_14default_configENS1_27scan_by_key_config_selectorIiiEEZZNS1_16scan_by_key_implILNS1_25lookback_scan_determinismE0ELb1ES3_N6thrust23THRUST_200600_302600_NS6detail15normal_iteratorINS9_10device_ptrIiEEEESE_SE_iNS9_10multipliesIiEENS9_8equal_toIiEEiEE10hipError_tPvRmT2_T3_T4_T5_mT6_T7_P12ihipStream_tbENKUlT_T0_E_clISt17integral_constantIbLb1EESY_IbLb0EEEEDaSU_SV_EUlSU_E_NS1_11comp_targetILNS1_3genE10ELNS1_11target_archE1200ELNS1_3gpuE4ELNS1_3repE0EEENS1_30default_config_static_selectorELNS0_4arch9wavefront6targetE0EEEvT1_.has_recursion, 0
	.set _ZN7rocprim17ROCPRIM_400000_NS6detail17trampoline_kernelINS0_14default_configENS1_27scan_by_key_config_selectorIiiEEZZNS1_16scan_by_key_implILNS1_25lookback_scan_determinismE0ELb1ES3_N6thrust23THRUST_200600_302600_NS6detail15normal_iteratorINS9_10device_ptrIiEEEESE_SE_iNS9_10multipliesIiEENS9_8equal_toIiEEiEE10hipError_tPvRmT2_T3_T4_T5_mT6_T7_P12ihipStream_tbENKUlT_T0_E_clISt17integral_constantIbLb1EESY_IbLb0EEEEDaSU_SV_EUlSU_E_NS1_11comp_targetILNS1_3genE10ELNS1_11target_archE1200ELNS1_3gpuE4ELNS1_3repE0EEENS1_30default_config_static_selectorELNS0_4arch9wavefront6targetE0EEEvT1_.has_indirect_call, 0
	.section	.AMDGPU.csdata,"",@progbits
; Kernel info:
; codeLenInByte = 0
; TotalNumSgprs: 0
; NumVgprs: 0
; ScratchSize: 0
; MemoryBound: 0
; FloatMode: 240
; IeeeMode: 1
; LDSByteSize: 0 bytes/workgroup (compile time only)
; SGPRBlocks: 0
; VGPRBlocks: 0
; NumSGPRsForWavesPerEU: 1
; NumVGPRsForWavesPerEU: 1
; Occupancy: 16
; WaveLimiterHint : 0
; COMPUTE_PGM_RSRC2:SCRATCH_EN: 0
; COMPUTE_PGM_RSRC2:USER_SGPR: 6
; COMPUTE_PGM_RSRC2:TRAP_HANDLER: 0
; COMPUTE_PGM_RSRC2:TGID_X_EN: 1
; COMPUTE_PGM_RSRC2:TGID_Y_EN: 0
; COMPUTE_PGM_RSRC2:TGID_Z_EN: 0
; COMPUTE_PGM_RSRC2:TIDIG_COMP_CNT: 0
	.section	.text._ZN7rocprim17ROCPRIM_400000_NS6detail17trampoline_kernelINS0_14default_configENS1_27scan_by_key_config_selectorIiiEEZZNS1_16scan_by_key_implILNS1_25lookback_scan_determinismE0ELb1ES3_N6thrust23THRUST_200600_302600_NS6detail15normal_iteratorINS9_10device_ptrIiEEEESE_SE_iNS9_10multipliesIiEENS9_8equal_toIiEEiEE10hipError_tPvRmT2_T3_T4_T5_mT6_T7_P12ihipStream_tbENKUlT_T0_E_clISt17integral_constantIbLb1EESY_IbLb0EEEEDaSU_SV_EUlSU_E_NS1_11comp_targetILNS1_3genE9ELNS1_11target_archE1100ELNS1_3gpuE3ELNS1_3repE0EEENS1_30default_config_static_selectorELNS0_4arch9wavefront6targetE0EEEvT1_,"axG",@progbits,_ZN7rocprim17ROCPRIM_400000_NS6detail17trampoline_kernelINS0_14default_configENS1_27scan_by_key_config_selectorIiiEEZZNS1_16scan_by_key_implILNS1_25lookback_scan_determinismE0ELb1ES3_N6thrust23THRUST_200600_302600_NS6detail15normal_iteratorINS9_10device_ptrIiEEEESE_SE_iNS9_10multipliesIiEENS9_8equal_toIiEEiEE10hipError_tPvRmT2_T3_T4_T5_mT6_T7_P12ihipStream_tbENKUlT_T0_E_clISt17integral_constantIbLb1EESY_IbLb0EEEEDaSU_SV_EUlSU_E_NS1_11comp_targetILNS1_3genE9ELNS1_11target_archE1100ELNS1_3gpuE3ELNS1_3repE0EEENS1_30default_config_static_selectorELNS0_4arch9wavefront6targetE0EEEvT1_,comdat
	.protected	_ZN7rocprim17ROCPRIM_400000_NS6detail17trampoline_kernelINS0_14default_configENS1_27scan_by_key_config_selectorIiiEEZZNS1_16scan_by_key_implILNS1_25lookback_scan_determinismE0ELb1ES3_N6thrust23THRUST_200600_302600_NS6detail15normal_iteratorINS9_10device_ptrIiEEEESE_SE_iNS9_10multipliesIiEENS9_8equal_toIiEEiEE10hipError_tPvRmT2_T3_T4_T5_mT6_T7_P12ihipStream_tbENKUlT_T0_E_clISt17integral_constantIbLb1EESY_IbLb0EEEEDaSU_SV_EUlSU_E_NS1_11comp_targetILNS1_3genE9ELNS1_11target_archE1100ELNS1_3gpuE3ELNS1_3repE0EEENS1_30default_config_static_selectorELNS0_4arch9wavefront6targetE0EEEvT1_ ; -- Begin function _ZN7rocprim17ROCPRIM_400000_NS6detail17trampoline_kernelINS0_14default_configENS1_27scan_by_key_config_selectorIiiEEZZNS1_16scan_by_key_implILNS1_25lookback_scan_determinismE0ELb1ES3_N6thrust23THRUST_200600_302600_NS6detail15normal_iteratorINS9_10device_ptrIiEEEESE_SE_iNS9_10multipliesIiEENS9_8equal_toIiEEiEE10hipError_tPvRmT2_T3_T4_T5_mT6_T7_P12ihipStream_tbENKUlT_T0_E_clISt17integral_constantIbLb1EESY_IbLb0EEEEDaSU_SV_EUlSU_E_NS1_11comp_targetILNS1_3genE9ELNS1_11target_archE1100ELNS1_3gpuE3ELNS1_3repE0EEENS1_30default_config_static_selectorELNS0_4arch9wavefront6targetE0EEEvT1_
	.globl	_ZN7rocprim17ROCPRIM_400000_NS6detail17trampoline_kernelINS0_14default_configENS1_27scan_by_key_config_selectorIiiEEZZNS1_16scan_by_key_implILNS1_25lookback_scan_determinismE0ELb1ES3_N6thrust23THRUST_200600_302600_NS6detail15normal_iteratorINS9_10device_ptrIiEEEESE_SE_iNS9_10multipliesIiEENS9_8equal_toIiEEiEE10hipError_tPvRmT2_T3_T4_T5_mT6_T7_P12ihipStream_tbENKUlT_T0_E_clISt17integral_constantIbLb1EESY_IbLb0EEEEDaSU_SV_EUlSU_E_NS1_11comp_targetILNS1_3genE9ELNS1_11target_archE1100ELNS1_3gpuE3ELNS1_3repE0EEENS1_30default_config_static_selectorELNS0_4arch9wavefront6targetE0EEEvT1_
	.p2align	8
	.type	_ZN7rocprim17ROCPRIM_400000_NS6detail17trampoline_kernelINS0_14default_configENS1_27scan_by_key_config_selectorIiiEEZZNS1_16scan_by_key_implILNS1_25lookback_scan_determinismE0ELb1ES3_N6thrust23THRUST_200600_302600_NS6detail15normal_iteratorINS9_10device_ptrIiEEEESE_SE_iNS9_10multipliesIiEENS9_8equal_toIiEEiEE10hipError_tPvRmT2_T3_T4_T5_mT6_T7_P12ihipStream_tbENKUlT_T0_E_clISt17integral_constantIbLb1EESY_IbLb0EEEEDaSU_SV_EUlSU_E_NS1_11comp_targetILNS1_3genE9ELNS1_11target_archE1100ELNS1_3gpuE3ELNS1_3repE0EEENS1_30default_config_static_selectorELNS0_4arch9wavefront6targetE0EEEvT1_,@function
_ZN7rocprim17ROCPRIM_400000_NS6detail17trampoline_kernelINS0_14default_configENS1_27scan_by_key_config_selectorIiiEEZZNS1_16scan_by_key_implILNS1_25lookback_scan_determinismE0ELb1ES3_N6thrust23THRUST_200600_302600_NS6detail15normal_iteratorINS9_10device_ptrIiEEEESE_SE_iNS9_10multipliesIiEENS9_8equal_toIiEEiEE10hipError_tPvRmT2_T3_T4_T5_mT6_T7_P12ihipStream_tbENKUlT_T0_E_clISt17integral_constantIbLb1EESY_IbLb0EEEEDaSU_SV_EUlSU_E_NS1_11comp_targetILNS1_3genE9ELNS1_11target_archE1100ELNS1_3gpuE3ELNS1_3repE0EEENS1_30default_config_static_selectorELNS0_4arch9wavefront6targetE0EEEvT1_: ; @_ZN7rocprim17ROCPRIM_400000_NS6detail17trampoline_kernelINS0_14default_configENS1_27scan_by_key_config_selectorIiiEEZZNS1_16scan_by_key_implILNS1_25lookback_scan_determinismE0ELb1ES3_N6thrust23THRUST_200600_302600_NS6detail15normal_iteratorINS9_10device_ptrIiEEEESE_SE_iNS9_10multipliesIiEENS9_8equal_toIiEEiEE10hipError_tPvRmT2_T3_T4_T5_mT6_T7_P12ihipStream_tbENKUlT_T0_E_clISt17integral_constantIbLb1EESY_IbLb0EEEEDaSU_SV_EUlSU_E_NS1_11comp_targetILNS1_3genE9ELNS1_11target_archE1100ELNS1_3gpuE3ELNS1_3repE0EEENS1_30default_config_static_selectorELNS0_4arch9wavefront6targetE0EEEvT1_
; %bb.0:
	.section	.rodata,"a",@progbits
	.p2align	6, 0x0
	.amdhsa_kernel _ZN7rocprim17ROCPRIM_400000_NS6detail17trampoline_kernelINS0_14default_configENS1_27scan_by_key_config_selectorIiiEEZZNS1_16scan_by_key_implILNS1_25lookback_scan_determinismE0ELb1ES3_N6thrust23THRUST_200600_302600_NS6detail15normal_iteratorINS9_10device_ptrIiEEEESE_SE_iNS9_10multipliesIiEENS9_8equal_toIiEEiEE10hipError_tPvRmT2_T3_T4_T5_mT6_T7_P12ihipStream_tbENKUlT_T0_E_clISt17integral_constantIbLb1EESY_IbLb0EEEEDaSU_SV_EUlSU_E_NS1_11comp_targetILNS1_3genE9ELNS1_11target_archE1100ELNS1_3gpuE3ELNS1_3repE0EEENS1_30default_config_static_selectorELNS0_4arch9wavefront6targetE0EEEvT1_
		.amdhsa_group_segment_fixed_size 0
		.amdhsa_private_segment_fixed_size 0
		.amdhsa_kernarg_size 112
		.amdhsa_user_sgpr_count 6
		.amdhsa_user_sgpr_private_segment_buffer 1
		.amdhsa_user_sgpr_dispatch_ptr 0
		.amdhsa_user_sgpr_queue_ptr 0
		.amdhsa_user_sgpr_kernarg_segment_ptr 1
		.amdhsa_user_sgpr_dispatch_id 0
		.amdhsa_user_sgpr_flat_scratch_init 0
		.amdhsa_user_sgpr_private_segment_size 0
		.amdhsa_wavefront_size32 1
		.amdhsa_uses_dynamic_stack 0
		.amdhsa_system_sgpr_private_segment_wavefront_offset 0
		.amdhsa_system_sgpr_workgroup_id_x 1
		.amdhsa_system_sgpr_workgroup_id_y 0
		.amdhsa_system_sgpr_workgroup_id_z 0
		.amdhsa_system_sgpr_workgroup_info 0
		.amdhsa_system_vgpr_workitem_id 0
		.amdhsa_next_free_vgpr 1
		.amdhsa_next_free_sgpr 1
		.amdhsa_reserve_vcc 0
		.amdhsa_reserve_flat_scratch 0
		.amdhsa_float_round_mode_32 0
		.amdhsa_float_round_mode_16_64 0
		.amdhsa_float_denorm_mode_32 3
		.amdhsa_float_denorm_mode_16_64 3
		.amdhsa_dx10_clamp 1
		.amdhsa_ieee_mode 1
		.amdhsa_fp16_overflow 0
		.amdhsa_workgroup_processor_mode 1
		.amdhsa_memory_ordered 1
		.amdhsa_forward_progress 1
		.amdhsa_shared_vgpr_count 0
		.amdhsa_exception_fp_ieee_invalid_op 0
		.amdhsa_exception_fp_denorm_src 0
		.amdhsa_exception_fp_ieee_div_zero 0
		.amdhsa_exception_fp_ieee_overflow 0
		.amdhsa_exception_fp_ieee_underflow 0
		.amdhsa_exception_fp_ieee_inexact 0
		.amdhsa_exception_int_div_zero 0
	.end_amdhsa_kernel
	.section	.text._ZN7rocprim17ROCPRIM_400000_NS6detail17trampoline_kernelINS0_14default_configENS1_27scan_by_key_config_selectorIiiEEZZNS1_16scan_by_key_implILNS1_25lookback_scan_determinismE0ELb1ES3_N6thrust23THRUST_200600_302600_NS6detail15normal_iteratorINS9_10device_ptrIiEEEESE_SE_iNS9_10multipliesIiEENS9_8equal_toIiEEiEE10hipError_tPvRmT2_T3_T4_T5_mT6_T7_P12ihipStream_tbENKUlT_T0_E_clISt17integral_constantIbLb1EESY_IbLb0EEEEDaSU_SV_EUlSU_E_NS1_11comp_targetILNS1_3genE9ELNS1_11target_archE1100ELNS1_3gpuE3ELNS1_3repE0EEENS1_30default_config_static_selectorELNS0_4arch9wavefront6targetE0EEEvT1_,"axG",@progbits,_ZN7rocprim17ROCPRIM_400000_NS6detail17trampoline_kernelINS0_14default_configENS1_27scan_by_key_config_selectorIiiEEZZNS1_16scan_by_key_implILNS1_25lookback_scan_determinismE0ELb1ES3_N6thrust23THRUST_200600_302600_NS6detail15normal_iteratorINS9_10device_ptrIiEEEESE_SE_iNS9_10multipliesIiEENS9_8equal_toIiEEiEE10hipError_tPvRmT2_T3_T4_T5_mT6_T7_P12ihipStream_tbENKUlT_T0_E_clISt17integral_constantIbLb1EESY_IbLb0EEEEDaSU_SV_EUlSU_E_NS1_11comp_targetILNS1_3genE9ELNS1_11target_archE1100ELNS1_3gpuE3ELNS1_3repE0EEENS1_30default_config_static_selectorELNS0_4arch9wavefront6targetE0EEEvT1_,comdat
.Lfunc_end522:
	.size	_ZN7rocprim17ROCPRIM_400000_NS6detail17trampoline_kernelINS0_14default_configENS1_27scan_by_key_config_selectorIiiEEZZNS1_16scan_by_key_implILNS1_25lookback_scan_determinismE0ELb1ES3_N6thrust23THRUST_200600_302600_NS6detail15normal_iteratorINS9_10device_ptrIiEEEESE_SE_iNS9_10multipliesIiEENS9_8equal_toIiEEiEE10hipError_tPvRmT2_T3_T4_T5_mT6_T7_P12ihipStream_tbENKUlT_T0_E_clISt17integral_constantIbLb1EESY_IbLb0EEEEDaSU_SV_EUlSU_E_NS1_11comp_targetILNS1_3genE9ELNS1_11target_archE1100ELNS1_3gpuE3ELNS1_3repE0EEENS1_30default_config_static_selectorELNS0_4arch9wavefront6targetE0EEEvT1_, .Lfunc_end522-_ZN7rocprim17ROCPRIM_400000_NS6detail17trampoline_kernelINS0_14default_configENS1_27scan_by_key_config_selectorIiiEEZZNS1_16scan_by_key_implILNS1_25lookback_scan_determinismE0ELb1ES3_N6thrust23THRUST_200600_302600_NS6detail15normal_iteratorINS9_10device_ptrIiEEEESE_SE_iNS9_10multipliesIiEENS9_8equal_toIiEEiEE10hipError_tPvRmT2_T3_T4_T5_mT6_T7_P12ihipStream_tbENKUlT_T0_E_clISt17integral_constantIbLb1EESY_IbLb0EEEEDaSU_SV_EUlSU_E_NS1_11comp_targetILNS1_3genE9ELNS1_11target_archE1100ELNS1_3gpuE3ELNS1_3repE0EEENS1_30default_config_static_selectorELNS0_4arch9wavefront6targetE0EEEvT1_
                                        ; -- End function
	.set _ZN7rocprim17ROCPRIM_400000_NS6detail17trampoline_kernelINS0_14default_configENS1_27scan_by_key_config_selectorIiiEEZZNS1_16scan_by_key_implILNS1_25lookback_scan_determinismE0ELb1ES3_N6thrust23THRUST_200600_302600_NS6detail15normal_iteratorINS9_10device_ptrIiEEEESE_SE_iNS9_10multipliesIiEENS9_8equal_toIiEEiEE10hipError_tPvRmT2_T3_T4_T5_mT6_T7_P12ihipStream_tbENKUlT_T0_E_clISt17integral_constantIbLb1EESY_IbLb0EEEEDaSU_SV_EUlSU_E_NS1_11comp_targetILNS1_3genE9ELNS1_11target_archE1100ELNS1_3gpuE3ELNS1_3repE0EEENS1_30default_config_static_selectorELNS0_4arch9wavefront6targetE0EEEvT1_.num_vgpr, 0
	.set _ZN7rocprim17ROCPRIM_400000_NS6detail17trampoline_kernelINS0_14default_configENS1_27scan_by_key_config_selectorIiiEEZZNS1_16scan_by_key_implILNS1_25lookback_scan_determinismE0ELb1ES3_N6thrust23THRUST_200600_302600_NS6detail15normal_iteratorINS9_10device_ptrIiEEEESE_SE_iNS9_10multipliesIiEENS9_8equal_toIiEEiEE10hipError_tPvRmT2_T3_T4_T5_mT6_T7_P12ihipStream_tbENKUlT_T0_E_clISt17integral_constantIbLb1EESY_IbLb0EEEEDaSU_SV_EUlSU_E_NS1_11comp_targetILNS1_3genE9ELNS1_11target_archE1100ELNS1_3gpuE3ELNS1_3repE0EEENS1_30default_config_static_selectorELNS0_4arch9wavefront6targetE0EEEvT1_.num_agpr, 0
	.set _ZN7rocprim17ROCPRIM_400000_NS6detail17trampoline_kernelINS0_14default_configENS1_27scan_by_key_config_selectorIiiEEZZNS1_16scan_by_key_implILNS1_25lookback_scan_determinismE0ELb1ES3_N6thrust23THRUST_200600_302600_NS6detail15normal_iteratorINS9_10device_ptrIiEEEESE_SE_iNS9_10multipliesIiEENS9_8equal_toIiEEiEE10hipError_tPvRmT2_T3_T4_T5_mT6_T7_P12ihipStream_tbENKUlT_T0_E_clISt17integral_constantIbLb1EESY_IbLb0EEEEDaSU_SV_EUlSU_E_NS1_11comp_targetILNS1_3genE9ELNS1_11target_archE1100ELNS1_3gpuE3ELNS1_3repE0EEENS1_30default_config_static_selectorELNS0_4arch9wavefront6targetE0EEEvT1_.numbered_sgpr, 0
	.set _ZN7rocprim17ROCPRIM_400000_NS6detail17trampoline_kernelINS0_14default_configENS1_27scan_by_key_config_selectorIiiEEZZNS1_16scan_by_key_implILNS1_25lookback_scan_determinismE0ELb1ES3_N6thrust23THRUST_200600_302600_NS6detail15normal_iteratorINS9_10device_ptrIiEEEESE_SE_iNS9_10multipliesIiEENS9_8equal_toIiEEiEE10hipError_tPvRmT2_T3_T4_T5_mT6_T7_P12ihipStream_tbENKUlT_T0_E_clISt17integral_constantIbLb1EESY_IbLb0EEEEDaSU_SV_EUlSU_E_NS1_11comp_targetILNS1_3genE9ELNS1_11target_archE1100ELNS1_3gpuE3ELNS1_3repE0EEENS1_30default_config_static_selectorELNS0_4arch9wavefront6targetE0EEEvT1_.num_named_barrier, 0
	.set _ZN7rocprim17ROCPRIM_400000_NS6detail17trampoline_kernelINS0_14default_configENS1_27scan_by_key_config_selectorIiiEEZZNS1_16scan_by_key_implILNS1_25lookback_scan_determinismE0ELb1ES3_N6thrust23THRUST_200600_302600_NS6detail15normal_iteratorINS9_10device_ptrIiEEEESE_SE_iNS9_10multipliesIiEENS9_8equal_toIiEEiEE10hipError_tPvRmT2_T3_T4_T5_mT6_T7_P12ihipStream_tbENKUlT_T0_E_clISt17integral_constantIbLb1EESY_IbLb0EEEEDaSU_SV_EUlSU_E_NS1_11comp_targetILNS1_3genE9ELNS1_11target_archE1100ELNS1_3gpuE3ELNS1_3repE0EEENS1_30default_config_static_selectorELNS0_4arch9wavefront6targetE0EEEvT1_.private_seg_size, 0
	.set _ZN7rocprim17ROCPRIM_400000_NS6detail17trampoline_kernelINS0_14default_configENS1_27scan_by_key_config_selectorIiiEEZZNS1_16scan_by_key_implILNS1_25lookback_scan_determinismE0ELb1ES3_N6thrust23THRUST_200600_302600_NS6detail15normal_iteratorINS9_10device_ptrIiEEEESE_SE_iNS9_10multipliesIiEENS9_8equal_toIiEEiEE10hipError_tPvRmT2_T3_T4_T5_mT6_T7_P12ihipStream_tbENKUlT_T0_E_clISt17integral_constantIbLb1EESY_IbLb0EEEEDaSU_SV_EUlSU_E_NS1_11comp_targetILNS1_3genE9ELNS1_11target_archE1100ELNS1_3gpuE3ELNS1_3repE0EEENS1_30default_config_static_selectorELNS0_4arch9wavefront6targetE0EEEvT1_.uses_vcc, 0
	.set _ZN7rocprim17ROCPRIM_400000_NS6detail17trampoline_kernelINS0_14default_configENS1_27scan_by_key_config_selectorIiiEEZZNS1_16scan_by_key_implILNS1_25lookback_scan_determinismE0ELb1ES3_N6thrust23THRUST_200600_302600_NS6detail15normal_iteratorINS9_10device_ptrIiEEEESE_SE_iNS9_10multipliesIiEENS9_8equal_toIiEEiEE10hipError_tPvRmT2_T3_T4_T5_mT6_T7_P12ihipStream_tbENKUlT_T0_E_clISt17integral_constantIbLb1EESY_IbLb0EEEEDaSU_SV_EUlSU_E_NS1_11comp_targetILNS1_3genE9ELNS1_11target_archE1100ELNS1_3gpuE3ELNS1_3repE0EEENS1_30default_config_static_selectorELNS0_4arch9wavefront6targetE0EEEvT1_.uses_flat_scratch, 0
	.set _ZN7rocprim17ROCPRIM_400000_NS6detail17trampoline_kernelINS0_14default_configENS1_27scan_by_key_config_selectorIiiEEZZNS1_16scan_by_key_implILNS1_25lookback_scan_determinismE0ELb1ES3_N6thrust23THRUST_200600_302600_NS6detail15normal_iteratorINS9_10device_ptrIiEEEESE_SE_iNS9_10multipliesIiEENS9_8equal_toIiEEiEE10hipError_tPvRmT2_T3_T4_T5_mT6_T7_P12ihipStream_tbENKUlT_T0_E_clISt17integral_constantIbLb1EESY_IbLb0EEEEDaSU_SV_EUlSU_E_NS1_11comp_targetILNS1_3genE9ELNS1_11target_archE1100ELNS1_3gpuE3ELNS1_3repE0EEENS1_30default_config_static_selectorELNS0_4arch9wavefront6targetE0EEEvT1_.has_dyn_sized_stack, 0
	.set _ZN7rocprim17ROCPRIM_400000_NS6detail17trampoline_kernelINS0_14default_configENS1_27scan_by_key_config_selectorIiiEEZZNS1_16scan_by_key_implILNS1_25lookback_scan_determinismE0ELb1ES3_N6thrust23THRUST_200600_302600_NS6detail15normal_iteratorINS9_10device_ptrIiEEEESE_SE_iNS9_10multipliesIiEENS9_8equal_toIiEEiEE10hipError_tPvRmT2_T3_T4_T5_mT6_T7_P12ihipStream_tbENKUlT_T0_E_clISt17integral_constantIbLb1EESY_IbLb0EEEEDaSU_SV_EUlSU_E_NS1_11comp_targetILNS1_3genE9ELNS1_11target_archE1100ELNS1_3gpuE3ELNS1_3repE0EEENS1_30default_config_static_selectorELNS0_4arch9wavefront6targetE0EEEvT1_.has_recursion, 0
	.set _ZN7rocprim17ROCPRIM_400000_NS6detail17trampoline_kernelINS0_14default_configENS1_27scan_by_key_config_selectorIiiEEZZNS1_16scan_by_key_implILNS1_25lookback_scan_determinismE0ELb1ES3_N6thrust23THRUST_200600_302600_NS6detail15normal_iteratorINS9_10device_ptrIiEEEESE_SE_iNS9_10multipliesIiEENS9_8equal_toIiEEiEE10hipError_tPvRmT2_T3_T4_T5_mT6_T7_P12ihipStream_tbENKUlT_T0_E_clISt17integral_constantIbLb1EESY_IbLb0EEEEDaSU_SV_EUlSU_E_NS1_11comp_targetILNS1_3genE9ELNS1_11target_archE1100ELNS1_3gpuE3ELNS1_3repE0EEENS1_30default_config_static_selectorELNS0_4arch9wavefront6targetE0EEEvT1_.has_indirect_call, 0
	.section	.AMDGPU.csdata,"",@progbits
; Kernel info:
; codeLenInByte = 0
; TotalNumSgprs: 0
; NumVgprs: 0
; ScratchSize: 0
; MemoryBound: 0
; FloatMode: 240
; IeeeMode: 1
; LDSByteSize: 0 bytes/workgroup (compile time only)
; SGPRBlocks: 0
; VGPRBlocks: 0
; NumSGPRsForWavesPerEU: 1
; NumVGPRsForWavesPerEU: 1
; Occupancy: 16
; WaveLimiterHint : 0
; COMPUTE_PGM_RSRC2:SCRATCH_EN: 0
; COMPUTE_PGM_RSRC2:USER_SGPR: 6
; COMPUTE_PGM_RSRC2:TRAP_HANDLER: 0
; COMPUTE_PGM_RSRC2:TGID_X_EN: 1
; COMPUTE_PGM_RSRC2:TGID_Y_EN: 0
; COMPUTE_PGM_RSRC2:TGID_Z_EN: 0
; COMPUTE_PGM_RSRC2:TIDIG_COMP_CNT: 0
	.section	.text._ZN7rocprim17ROCPRIM_400000_NS6detail17trampoline_kernelINS0_14default_configENS1_27scan_by_key_config_selectorIiiEEZZNS1_16scan_by_key_implILNS1_25lookback_scan_determinismE0ELb1ES3_N6thrust23THRUST_200600_302600_NS6detail15normal_iteratorINS9_10device_ptrIiEEEESE_SE_iNS9_10multipliesIiEENS9_8equal_toIiEEiEE10hipError_tPvRmT2_T3_T4_T5_mT6_T7_P12ihipStream_tbENKUlT_T0_E_clISt17integral_constantIbLb1EESY_IbLb0EEEEDaSU_SV_EUlSU_E_NS1_11comp_targetILNS1_3genE8ELNS1_11target_archE1030ELNS1_3gpuE2ELNS1_3repE0EEENS1_30default_config_static_selectorELNS0_4arch9wavefront6targetE0EEEvT1_,"axG",@progbits,_ZN7rocprim17ROCPRIM_400000_NS6detail17trampoline_kernelINS0_14default_configENS1_27scan_by_key_config_selectorIiiEEZZNS1_16scan_by_key_implILNS1_25lookback_scan_determinismE0ELb1ES3_N6thrust23THRUST_200600_302600_NS6detail15normal_iteratorINS9_10device_ptrIiEEEESE_SE_iNS9_10multipliesIiEENS9_8equal_toIiEEiEE10hipError_tPvRmT2_T3_T4_T5_mT6_T7_P12ihipStream_tbENKUlT_T0_E_clISt17integral_constantIbLb1EESY_IbLb0EEEEDaSU_SV_EUlSU_E_NS1_11comp_targetILNS1_3genE8ELNS1_11target_archE1030ELNS1_3gpuE2ELNS1_3repE0EEENS1_30default_config_static_selectorELNS0_4arch9wavefront6targetE0EEEvT1_,comdat
	.protected	_ZN7rocprim17ROCPRIM_400000_NS6detail17trampoline_kernelINS0_14default_configENS1_27scan_by_key_config_selectorIiiEEZZNS1_16scan_by_key_implILNS1_25lookback_scan_determinismE0ELb1ES3_N6thrust23THRUST_200600_302600_NS6detail15normal_iteratorINS9_10device_ptrIiEEEESE_SE_iNS9_10multipliesIiEENS9_8equal_toIiEEiEE10hipError_tPvRmT2_T3_T4_T5_mT6_T7_P12ihipStream_tbENKUlT_T0_E_clISt17integral_constantIbLb1EESY_IbLb0EEEEDaSU_SV_EUlSU_E_NS1_11comp_targetILNS1_3genE8ELNS1_11target_archE1030ELNS1_3gpuE2ELNS1_3repE0EEENS1_30default_config_static_selectorELNS0_4arch9wavefront6targetE0EEEvT1_ ; -- Begin function _ZN7rocprim17ROCPRIM_400000_NS6detail17trampoline_kernelINS0_14default_configENS1_27scan_by_key_config_selectorIiiEEZZNS1_16scan_by_key_implILNS1_25lookback_scan_determinismE0ELb1ES3_N6thrust23THRUST_200600_302600_NS6detail15normal_iteratorINS9_10device_ptrIiEEEESE_SE_iNS9_10multipliesIiEENS9_8equal_toIiEEiEE10hipError_tPvRmT2_T3_T4_T5_mT6_T7_P12ihipStream_tbENKUlT_T0_E_clISt17integral_constantIbLb1EESY_IbLb0EEEEDaSU_SV_EUlSU_E_NS1_11comp_targetILNS1_3genE8ELNS1_11target_archE1030ELNS1_3gpuE2ELNS1_3repE0EEENS1_30default_config_static_selectorELNS0_4arch9wavefront6targetE0EEEvT1_
	.globl	_ZN7rocprim17ROCPRIM_400000_NS6detail17trampoline_kernelINS0_14default_configENS1_27scan_by_key_config_selectorIiiEEZZNS1_16scan_by_key_implILNS1_25lookback_scan_determinismE0ELb1ES3_N6thrust23THRUST_200600_302600_NS6detail15normal_iteratorINS9_10device_ptrIiEEEESE_SE_iNS9_10multipliesIiEENS9_8equal_toIiEEiEE10hipError_tPvRmT2_T3_T4_T5_mT6_T7_P12ihipStream_tbENKUlT_T0_E_clISt17integral_constantIbLb1EESY_IbLb0EEEEDaSU_SV_EUlSU_E_NS1_11comp_targetILNS1_3genE8ELNS1_11target_archE1030ELNS1_3gpuE2ELNS1_3repE0EEENS1_30default_config_static_selectorELNS0_4arch9wavefront6targetE0EEEvT1_
	.p2align	8
	.type	_ZN7rocprim17ROCPRIM_400000_NS6detail17trampoline_kernelINS0_14default_configENS1_27scan_by_key_config_selectorIiiEEZZNS1_16scan_by_key_implILNS1_25lookback_scan_determinismE0ELb1ES3_N6thrust23THRUST_200600_302600_NS6detail15normal_iteratorINS9_10device_ptrIiEEEESE_SE_iNS9_10multipliesIiEENS9_8equal_toIiEEiEE10hipError_tPvRmT2_T3_T4_T5_mT6_T7_P12ihipStream_tbENKUlT_T0_E_clISt17integral_constantIbLb1EESY_IbLb0EEEEDaSU_SV_EUlSU_E_NS1_11comp_targetILNS1_3genE8ELNS1_11target_archE1030ELNS1_3gpuE2ELNS1_3repE0EEENS1_30default_config_static_selectorELNS0_4arch9wavefront6targetE0EEEvT1_,@function
_ZN7rocprim17ROCPRIM_400000_NS6detail17trampoline_kernelINS0_14default_configENS1_27scan_by_key_config_selectorIiiEEZZNS1_16scan_by_key_implILNS1_25lookback_scan_determinismE0ELb1ES3_N6thrust23THRUST_200600_302600_NS6detail15normal_iteratorINS9_10device_ptrIiEEEESE_SE_iNS9_10multipliesIiEENS9_8equal_toIiEEiEE10hipError_tPvRmT2_T3_T4_T5_mT6_T7_P12ihipStream_tbENKUlT_T0_E_clISt17integral_constantIbLb1EESY_IbLb0EEEEDaSU_SV_EUlSU_E_NS1_11comp_targetILNS1_3genE8ELNS1_11target_archE1030ELNS1_3gpuE2ELNS1_3repE0EEENS1_30default_config_static_selectorELNS0_4arch9wavefront6targetE0EEEvT1_: ; @_ZN7rocprim17ROCPRIM_400000_NS6detail17trampoline_kernelINS0_14default_configENS1_27scan_by_key_config_selectorIiiEEZZNS1_16scan_by_key_implILNS1_25lookback_scan_determinismE0ELb1ES3_N6thrust23THRUST_200600_302600_NS6detail15normal_iteratorINS9_10device_ptrIiEEEESE_SE_iNS9_10multipliesIiEENS9_8equal_toIiEEiEE10hipError_tPvRmT2_T3_T4_T5_mT6_T7_P12ihipStream_tbENKUlT_T0_E_clISt17integral_constantIbLb1EESY_IbLb0EEEEDaSU_SV_EUlSU_E_NS1_11comp_targetILNS1_3genE8ELNS1_11target_archE1030ELNS1_3gpuE2ELNS1_3repE0EEENS1_30default_config_static_selectorELNS0_4arch9wavefront6targetE0EEEvT1_
; %bb.0:
	s_endpgm
	.section	.rodata,"a",@progbits
	.p2align	6, 0x0
	.amdhsa_kernel _ZN7rocprim17ROCPRIM_400000_NS6detail17trampoline_kernelINS0_14default_configENS1_27scan_by_key_config_selectorIiiEEZZNS1_16scan_by_key_implILNS1_25lookback_scan_determinismE0ELb1ES3_N6thrust23THRUST_200600_302600_NS6detail15normal_iteratorINS9_10device_ptrIiEEEESE_SE_iNS9_10multipliesIiEENS9_8equal_toIiEEiEE10hipError_tPvRmT2_T3_T4_T5_mT6_T7_P12ihipStream_tbENKUlT_T0_E_clISt17integral_constantIbLb1EESY_IbLb0EEEEDaSU_SV_EUlSU_E_NS1_11comp_targetILNS1_3genE8ELNS1_11target_archE1030ELNS1_3gpuE2ELNS1_3repE0EEENS1_30default_config_static_selectorELNS0_4arch9wavefront6targetE0EEEvT1_
		.amdhsa_group_segment_fixed_size 0
		.amdhsa_private_segment_fixed_size 0
		.amdhsa_kernarg_size 112
		.amdhsa_user_sgpr_count 6
		.amdhsa_user_sgpr_private_segment_buffer 1
		.amdhsa_user_sgpr_dispatch_ptr 0
		.amdhsa_user_sgpr_queue_ptr 0
		.amdhsa_user_sgpr_kernarg_segment_ptr 1
		.amdhsa_user_sgpr_dispatch_id 0
		.amdhsa_user_sgpr_flat_scratch_init 0
		.amdhsa_user_sgpr_private_segment_size 0
		.amdhsa_wavefront_size32 1
		.amdhsa_uses_dynamic_stack 0
		.amdhsa_system_sgpr_private_segment_wavefront_offset 0
		.amdhsa_system_sgpr_workgroup_id_x 1
		.amdhsa_system_sgpr_workgroup_id_y 0
		.amdhsa_system_sgpr_workgroup_id_z 0
		.amdhsa_system_sgpr_workgroup_info 0
		.amdhsa_system_vgpr_workitem_id 0
		.amdhsa_next_free_vgpr 1
		.amdhsa_next_free_sgpr 1
		.amdhsa_reserve_vcc 0
		.amdhsa_reserve_flat_scratch 0
		.amdhsa_float_round_mode_32 0
		.amdhsa_float_round_mode_16_64 0
		.amdhsa_float_denorm_mode_32 3
		.amdhsa_float_denorm_mode_16_64 3
		.amdhsa_dx10_clamp 1
		.amdhsa_ieee_mode 1
		.amdhsa_fp16_overflow 0
		.amdhsa_workgroup_processor_mode 1
		.amdhsa_memory_ordered 1
		.amdhsa_forward_progress 1
		.amdhsa_shared_vgpr_count 0
		.amdhsa_exception_fp_ieee_invalid_op 0
		.amdhsa_exception_fp_denorm_src 0
		.amdhsa_exception_fp_ieee_div_zero 0
		.amdhsa_exception_fp_ieee_overflow 0
		.amdhsa_exception_fp_ieee_underflow 0
		.amdhsa_exception_fp_ieee_inexact 0
		.amdhsa_exception_int_div_zero 0
	.end_amdhsa_kernel
	.section	.text._ZN7rocprim17ROCPRIM_400000_NS6detail17trampoline_kernelINS0_14default_configENS1_27scan_by_key_config_selectorIiiEEZZNS1_16scan_by_key_implILNS1_25lookback_scan_determinismE0ELb1ES3_N6thrust23THRUST_200600_302600_NS6detail15normal_iteratorINS9_10device_ptrIiEEEESE_SE_iNS9_10multipliesIiEENS9_8equal_toIiEEiEE10hipError_tPvRmT2_T3_T4_T5_mT6_T7_P12ihipStream_tbENKUlT_T0_E_clISt17integral_constantIbLb1EESY_IbLb0EEEEDaSU_SV_EUlSU_E_NS1_11comp_targetILNS1_3genE8ELNS1_11target_archE1030ELNS1_3gpuE2ELNS1_3repE0EEENS1_30default_config_static_selectorELNS0_4arch9wavefront6targetE0EEEvT1_,"axG",@progbits,_ZN7rocprim17ROCPRIM_400000_NS6detail17trampoline_kernelINS0_14default_configENS1_27scan_by_key_config_selectorIiiEEZZNS1_16scan_by_key_implILNS1_25lookback_scan_determinismE0ELb1ES3_N6thrust23THRUST_200600_302600_NS6detail15normal_iteratorINS9_10device_ptrIiEEEESE_SE_iNS9_10multipliesIiEENS9_8equal_toIiEEiEE10hipError_tPvRmT2_T3_T4_T5_mT6_T7_P12ihipStream_tbENKUlT_T0_E_clISt17integral_constantIbLb1EESY_IbLb0EEEEDaSU_SV_EUlSU_E_NS1_11comp_targetILNS1_3genE8ELNS1_11target_archE1030ELNS1_3gpuE2ELNS1_3repE0EEENS1_30default_config_static_selectorELNS0_4arch9wavefront6targetE0EEEvT1_,comdat
.Lfunc_end523:
	.size	_ZN7rocprim17ROCPRIM_400000_NS6detail17trampoline_kernelINS0_14default_configENS1_27scan_by_key_config_selectorIiiEEZZNS1_16scan_by_key_implILNS1_25lookback_scan_determinismE0ELb1ES3_N6thrust23THRUST_200600_302600_NS6detail15normal_iteratorINS9_10device_ptrIiEEEESE_SE_iNS9_10multipliesIiEENS9_8equal_toIiEEiEE10hipError_tPvRmT2_T3_T4_T5_mT6_T7_P12ihipStream_tbENKUlT_T0_E_clISt17integral_constantIbLb1EESY_IbLb0EEEEDaSU_SV_EUlSU_E_NS1_11comp_targetILNS1_3genE8ELNS1_11target_archE1030ELNS1_3gpuE2ELNS1_3repE0EEENS1_30default_config_static_selectorELNS0_4arch9wavefront6targetE0EEEvT1_, .Lfunc_end523-_ZN7rocprim17ROCPRIM_400000_NS6detail17trampoline_kernelINS0_14default_configENS1_27scan_by_key_config_selectorIiiEEZZNS1_16scan_by_key_implILNS1_25lookback_scan_determinismE0ELb1ES3_N6thrust23THRUST_200600_302600_NS6detail15normal_iteratorINS9_10device_ptrIiEEEESE_SE_iNS9_10multipliesIiEENS9_8equal_toIiEEiEE10hipError_tPvRmT2_T3_T4_T5_mT6_T7_P12ihipStream_tbENKUlT_T0_E_clISt17integral_constantIbLb1EESY_IbLb0EEEEDaSU_SV_EUlSU_E_NS1_11comp_targetILNS1_3genE8ELNS1_11target_archE1030ELNS1_3gpuE2ELNS1_3repE0EEENS1_30default_config_static_selectorELNS0_4arch9wavefront6targetE0EEEvT1_
                                        ; -- End function
	.set _ZN7rocprim17ROCPRIM_400000_NS6detail17trampoline_kernelINS0_14default_configENS1_27scan_by_key_config_selectorIiiEEZZNS1_16scan_by_key_implILNS1_25lookback_scan_determinismE0ELb1ES3_N6thrust23THRUST_200600_302600_NS6detail15normal_iteratorINS9_10device_ptrIiEEEESE_SE_iNS9_10multipliesIiEENS9_8equal_toIiEEiEE10hipError_tPvRmT2_T3_T4_T5_mT6_T7_P12ihipStream_tbENKUlT_T0_E_clISt17integral_constantIbLb1EESY_IbLb0EEEEDaSU_SV_EUlSU_E_NS1_11comp_targetILNS1_3genE8ELNS1_11target_archE1030ELNS1_3gpuE2ELNS1_3repE0EEENS1_30default_config_static_selectorELNS0_4arch9wavefront6targetE0EEEvT1_.num_vgpr, 0
	.set _ZN7rocprim17ROCPRIM_400000_NS6detail17trampoline_kernelINS0_14default_configENS1_27scan_by_key_config_selectorIiiEEZZNS1_16scan_by_key_implILNS1_25lookback_scan_determinismE0ELb1ES3_N6thrust23THRUST_200600_302600_NS6detail15normal_iteratorINS9_10device_ptrIiEEEESE_SE_iNS9_10multipliesIiEENS9_8equal_toIiEEiEE10hipError_tPvRmT2_T3_T4_T5_mT6_T7_P12ihipStream_tbENKUlT_T0_E_clISt17integral_constantIbLb1EESY_IbLb0EEEEDaSU_SV_EUlSU_E_NS1_11comp_targetILNS1_3genE8ELNS1_11target_archE1030ELNS1_3gpuE2ELNS1_3repE0EEENS1_30default_config_static_selectorELNS0_4arch9wavefront6targetE0EEEvT1_.num_agpr, 0
	.set _ZN7rocprim17ROCPRIM_400000_NS6detail17trampoline_kernelINS0_14default_configENS1_27scan_by_key_config_selectorIiiEEZZNS1_16scan_by_key_implILNS1_25lookback_scan_determinismE0ELb1ES3_N6thrust23THRUST_200600_302600_NS6detail15normal_iteratorINS9_10device_ptrIiEEEESE_SE_iNS9_10multipliesIiEENS9_8equal_toIiEEiEE10hipError_tPvRmT2_T3_T4_T5_mT6_T7_P12ihipStream_tbENKUlT_T0_E_clISt17integral_constantIbLb1EESY_IbLb0EEEEDaSU_SV_EUlSU_E_NS1_11comp_targetILNS1_3genE8ELNS1_11target_archE1030ELNS1_3gpuE2ELNS1_3repE0EEENS1_30default_config_static_selectorELNS0_4arch9wavefront6targetE0EEEvT1_.numbered_sgpr, 0
	.set _ZN7rocprim17ROCPRIM_400000_NS6detail17trampoline_kernelINS0_14default_configENS1_27scan_by_key_config_selectorIiiEEZZNS1_16scan_by_key_implILNS1_25lookback_scan_determinismE0ELb1ES3_N6thrust23THRUST_200600_302600_NS6detail15normal_iteratorINS9_10device_ptrIiEEEESE_SE_iNS9_10multipliesIiEENS9_8equal_toIiEEiEE10hipError_tPvRmT2_T3_T4_T5_mT6_T7_P12ihipStream_tbENKUlT_T0_E_clISt17integral_constantIbLb1EESY_IbLb0EEEEDaSU_SV_EUlSU_E_NS1_11comp_targetILNS1_3genE8ELNS1_11target_archE1030ELNS1_3gpuE2ELNS1_3repE0EEENS1_30default_config_static_selectorELNS0_4arch9wavefront6targetE0EEEvT1_.num_named_barrier, 0
	.set _ZN7rocprim17ROCPRIM_400000_NS6detail17trampoline_kernelINS0_14default_configENS1_27scan_by_key_config_selectorIiiEEZZNS1_16scan_by_key_implILNS1_25lookback_scan_determinismE0ELb1ES3_N6thrust23THRUST_200600_302600_NS6detail15normal_iteratorINS9_10device_ptrIiEEEESE_SE_iNS9_10multipliesIiEENS9_8equal_toIiEEiEE10hipError_tPvRmT2_T3_T4_T5_mT6_T7_P12ihipStream_tbENKUlT_T0_E_clISt17integral_constantIbLb1EESY_IbLb0EEEEDaSU_SV_EUlSU_E_NS1_11comp_targetILNS1_3genE8ELNS1_11target_archE1030ELNS1_3gpuE2ELNS1_3repE0EEENS1_30default_config_static_selectorELNS0_4arch9wavefront6targetE0EEEvT1_.private_seg_size, 0
	.set _ZN7rocprim17ROCPRIM_400000_NS6detail17trampoline_kernelINS0_14default_configENS1_27scan_by_key_config_selectorIiiEEZZNS1_16scan_by_key_implILNS1_25lookback_scan_determinismE0ELb1ES3_N6thrust23THRUST_200600_302600_NS6detail15normal_iteratorINS9_10device_ptrIiEEEESE_SE_iNS9_10multipliesIiEENS9_8equal_toIiEEiEE10hipError_tPvRmT2_T3_T4_T5_mT6_T7_P12ihipStream_tbENKUlT_T0_E_clISt17integral_constantIbLb1EESY_IbLb0EEEEDaSU_SV_EUlSU_E_NS1_11comp_targetILNS1_3genE8ELNS1_11target_archE1030ELNS1_3gpuE2ELNS1_3repE0EEENS1_30default_config_static_selectorELNS0_4arch9wavefront6targetE0EEEvT1_.uses_vcc, 0
	.set _ZN7rocprim17ROCPRIM_400000_NS6detail17trampoline_kernelINS0_14default_configENS1_27scan_by_key_config_selectorIiiEEZZNS1_16scan_by_key_implILNS1_25lookback_scan_determinismE0ELb1ES3_N6thrust23THRUST_200600_302600_NS6detail15normal_iteratorINS9_10device_ptrIiEEEESE_SE_iNS9_10multipliesIiEENS9_8equal_toIiEEiEE10hipError_tPvRmT2_T3_T4_T5_mT6_T7_P12ihipStream_tbENKUlT_T0_E_clISt17integral_constantIbLb1EESY_IbLb0EEEEDaSU_SV_EUlSU_E_NS1_11comp_targetILNS1_3genE8ELNS1_11target_archE1030ELNS1_3gpuE2ELNS1_3repE0EEENS1_30default_config_static_selectorELNS0_4arch9wavefront6targetE0EEEvT1_.uses_flat_scratch, 0
	.set _ZN7rocprim17ROCPRIM_400000_NS6detail17trampoline_kernelINS0_14default_configENS1_27scan_by_key_config_selectorIiiEEZZNS1_16scan_by_key_implILNS1_25lookback_scan_determinismE0ELb1ES3_N6thrust23THRUST_200600_302600_NS6detail15normal_iteratorINS9_10device_ptrIiEEEESE_SE_iNS9_10multipliesIiEENS9_8equal_toIiEEiEE10hipError_tPvRmT2_T3_T4_T5_mT6_T7_P12ihipStream_tbENKUlT_T0_E_clISt17integral_constantIbLb1EESY_IbLb0EEEEDaSU_SV_EUlSU_E_NS1_11comp_targetILNS1_3genE8ELNS1_11target_archE1030ELNS1_3gpuE2ELNS1_3repE0EEENS1_30default_config_static_selectorELNS0_4arch9wavefront6targetE0EEEvT1_.has_dyn_sized_stack, 0
	.set _ZN7rocprim17ROCPRIM_400000_NS6detail17trampoline_kernelINS0_14default_configENS1_27scan_by_key_config_selectorIiiEEZZNS1_16scan_by_key_implILNS1_25lookback_scan_determinismE0ELb1ES3_N6thrust23THRUST_200600_302600_NS6detail15normal_iteratorINS9_10device_ptrIiEEEESE_SE_iNS9_10multipliesIiEENS9_8equal_toIiEEiEE10hipError_tPvRmT2_T3_T4_T5_mT6_T7_P12ihipStream_tbENKUlT_T0_E_clISt17integral_constantIbLb1EESY_IbLb0EEEEDaSU_SV_EUlSU_E_NS1_11comp_targetILNS1_3genE8ELNS1_11target_archE1030ELNS1_3gpuE2ELNS1_3repE0EEENS1_30default_config_static_selectorELNS0_4arch9wavefront6targetE0EEEvT1_.has_recursion, 0
	.set _ZN7rocprim17ROCPRIM_400000_NS6detail17trampoline_kernelINS0_14default_configENS1_27scan_by_key_config_selectorIiiEEZZNS1_16scan_by_key_implILNS1_25lookback_scan_determinismE0ELb1ES3_N6thrust23THRUST_200600_302600_NS6detail15normal_iteratorINS9_10device_ptrIiEEEESE_SE_iNS9_10multipliesIiEENS9_8equal_toIiEEiEE10hipError_tPvRmT2_T3_T4_T5_mT6_T7_P12ihipStream_tbENKUlT_T0_E_clISt17integral_constantIbLb1EESY_IbLb0EEEEDaSU_SV_EUlSU_E_NS1_11comp_targetILNS1_3genE8ELNS1_11target_archE1030ELNS1_3gpuE2ELNS1_3repE0EEENS1_30default_config_static_selectorELNS0_4arch9wavefront6targetE0EEEvT1_.has_indirect_call, 0
	.section	.AMDGPU.csdata,"",@progbits
; Kernel info:
; codeLenInByte = 4
; TotalNumSgprs: 0
; NumVgprs: 0
; ScratchSize: 0
; MemoryBound: 0
; FloatMode: 240
; IeeeMode: 1
; LDSByteSize: 0 bytes/workgroup (compile time only)
; SGPRBlocks: 0
; VGPRBlocks: 0
; NumSGPRsForWavesPerEU: 1
; NumVGPRsForWavesPerEU: 1
; Occupancy: 16
; WaveLimiterHint : 0
; COMPUTE_PGM_RSRC2:SCRATCH_EN: 0
; COMPUTE_PGM_RSRC2:USER_SGPR: 6
; COMPUTE_PGM_RSRC2:TRAP_HANDLER: 0
; COMPUTE_PGM_RSRC2:TGID_X_EN: 1
; COMPUTE_PGM_RSRC2:TGID_Y_EN: 0
; COMPUTE_PGM_RSRC2:TGID_Z_EN: 0
; COMPUTE_PGM_RSRC2:TIDIG_COMP_CNT: 0
	.section	.text._ZN7rocprim17ROCPRIM_400000_NS6detail17trampoline_kernelINS0_14default_configENS1_27scan_by_key_config_selectorIiiEEZZNS1_16scan_by_key_implILNS1_25lookback_scan_determinismE0ELb1ES3_N6thrust23THRUST_200600_302600_NS6detail15normal_iteratorINS9_10device_ptrIiEEEESE_SE_iNS9_10multipliesIiEENS9_8equal_toIiEEiEE10hipError_tPvRmT2_T3_T4_T5_mT6_T7_P12ihipStream_tbENKUlT_T0_E_clISt17integral_constantIbLb0EESY_IbLb1EEEEDaSU_SV_EUlSU_E_NS1_11comp_targetILNS1_3genE0ELNS1_11target_archE4294967295ELNS1_3gpuE0ELNS1_3repE0EEENS1_30default_config_static_selectorELNS0_4arch9wavefront6targetE0EEEvT1_,"axG",@progbits,_ZN7rocprim17ROCPRIM_400000_NS6detail17trampoline_kernelINS0_14default_configENS1_27scan_by_key_config_selectorIiiEEZZNS1_16scan_by_key_implILNS1_25lookback_scan_determinismE0ELb1ES3_N6thrust23THRUST_200600_302600_NS6detail15normal_iteratorINS9_10device_ptrIiEEEESE_SE_iNS9_10multipliesIiEENS9_8equal_toIiEEiEE10hipError_tPvRmT2_T3_T4_T5_mT6_T7_P12ihipStream_tbENKUlT_T0_E_clISt17integral_constantIbLb0EESY_IbLb1EEEEDaSU_SV_EUlSU_E_NS1_11comp_targetILNS1_3genE0ELNS1_11target_archE4294967295ELNS1_3gpuE0ELNS1_3repE0EEENS1_30default_config_static_selectorELNS0_4arch9wavefront6targetE0EEEvT1_,comdat
	.protected	_ZN7rocprim17ROCPRIM_400000_NS6detail17trampoline_kernelINS0_14default_configENS1_27scan_by_key_config_selectorIiiEEZZNS1_16scan_by_key_implILNS1_25lookback_scan_determinismE0ELb1ES3_N6thrust23THRUST_200600_302600_NS6detail15normal_iteratorINS9_10device_ptrIiEEEESE_SE_iNS9_10multipliesIiEENS9_8equal_toIiEEiEE10hipError_tPvRmT2_T3_T4_T5_mT6_T7_P12ihipStream_tbENKUlT_T0_E_clISt17integral_constantIbLb0EESY_IbLb1EEEEDaSU_SV_EUlSU_E_NS1_11comp_targetILNS1_3genE0ELNS1_11target_archE4294967295ELNS1_3gpuE0ELNS1_3repE0EEENS1_30default_config_static_selectorELNS0_4arch9wavefront6targetE0EEEvT1_ ; -- Begin function _ZN7rocprim17ROCPRIM_400000_NS6detail17trampoline_kernelINS0_14default_configENS1_27scan_by_key_config_selectorIiiEEZZNS1_16scan_by_key_implILNS1_25lookback_scan_determinismE0ELb1ES3_N6thrust23THRUST_200600_302600_NS6detail15normal_iteratorINS9_10device_ptrIiEEEESE_SE_iNS9_10multipliesIiEENS9_8equal_toIiEEiEE10hipError_tPvRmT2_T3_T4_T5_mT6_T7_P12ihipStream_tbENKUlT_T0_E_clISt17integral_constantIbLb0EESY_IbLb1EEEEDaSU_SV_EUlSU_E_NS1_11comp_targetILNS1_3genE0ELNS1_11target_archE4294967295ELNS1_3gpuE0ELNS1_3repE0EEENS1_30default_config_static_selectorELNS0_4arch9wavefront6targetE0EEEvT1_
	.globl	_ZN7rocprim17ROCPRIM_400000_NS6detail17trampoline_kernelINS0_14default_configENS1_27scan_by_key_config_selectorIiiEEZZNS1_16scan_by_key_implILNS1_25lookback_scan_determinismE0ELb1ES3_N6thrust23THRUST_200600_302600_NS6detail15normal_iteratorINS9_10device_ptrIiEEEESE_SE_iNS9_10multipliesIiEENS9_8equal_toIiEEiEE10hipError_tPvRmT2_T3_T4_T5_mT6_T7_P12ihipStream_tbENKUlT_T0_E_clISt17integral_constantIbLb0EESY_IbLb1EEEEDaSU_SV_EUlSU_E_NS1_11comp_targetILNS1_3genE0ELNS1_11target_archE4294967295ELNS1_3gpuE0ELNS1_3repE0EEENS1_30default_config_static_selectorELNS0_4arch9wavefront6targetE0EEEvT1_
	.p2align	8
	.type	_ZN7rocprim17ROCPRIM_400000_NS6detail17trampoline_kernelINS0_14default_configENS1_27scan_by_key_config_selectorIiiEEZZNS1_16scan_by_key_implILNS1_25lookback_scan_determinismE0ELb1ES3_N6thrust23THRUST_200600_302600_NS6detail15normal_iteratorINS9_10device_ptrIiEEEESE_SE_iNS9_10multipliesIiEENS9_8equal_toIiEEiEE10hipError_tPvRmT2_T3_T4_T5_mT6_T7_P12ihipStream_tbENKUlT_T0_E_clISt17integral_constantIbLb0EESY_IbLb1EEEEDaSU_SV_EUlSU_E_NS1_11comp_targetILNS1_3genE0ELNS1_11target_archE4294967295ELNS1_3gpuE0ELNS1_3repE0EEENS1_30default_config_static_selectorELNS0_4arch9wavefront6targetE0EEEvT1_,@function
_ZN7rocprim17ROCPRIM_400000_NS6detail17trampoline_kernelINS0_14default_configENS1_27scan_by_key_config_selectorIiiEEZZNS1_16scan_by_key_implILNS1_25lookback_scan_determinismE0ELb1ES3_N6thrust23THRUST_200600_302600_NS6detail15normal_iteratorINS9_10device_ptrIiEEEESE_SE_iNS9_10multipliesIiEENS9_8equal_toIiEEiEE10hipError_tPvRmT2_T3_T4_T5_mT6_T7_P12ihipStream_tbENKUlT_T0_E_clISt17integral_constantIbLb0EESY_IbLb1EEEEDaSU_SV_EUlSU_E_NS1_11comp_targetILNS1_3genE0ELNS1_11target_archE4294967295ELNS1_3gpuE0ELNS1_3repE0EEENS1_30default_config_static_selectorELNS0_4arch9wavefront6targetE0EEEvT1_: ; @_ZN7rocprim17ROCPRIM_400000_NS6detail17trampoline_kernelINS0_14default_configENS1_27scan_by_key_config_selectorIiiEEZZNS1_16scan_by_key_implILNS1_25lookback_scan_determinismE0ELb1ES3_N6thrust23THRUST_200600_302600_NS6detail15normal_iteratorINS9_10device_ptrIiEEEESE_SE_iNS9_10multipliesIiEENS9_8equal_toIiEEiEE10hipError_tPvRmT2_T3_T4_T5_mT6_T7_P12ihipStream_tbENKUlT_T0_E_clISt17integral_constantIbLb0EESY_IbLb1EEEEDaSU_SV_EUlSU_E_NS1_11comp_targetILNS1_3genE0ELNS1_11target_archE4294967295ELNS1_3gpuE0ELNS1_3repE0EEENS1_30default_config_static_selectorELNS0_4arch9wavefront6targetE0EEEvT1_
; %bb.0:
	.section	.rodata,"a",@progbits
	.p2align	6, 0x0
	.amdhsa_kernel _ZN7rocprim17ROCPRIM_400000_NS6detail17trampoline_kernelINS0_14default_configENS1_27scan_by_key_config_selectorIiiEEZZNS1_16scan_by_key_implILNS1_25lookback_scan_determinismE0ELb1ES3_N6thrust23THRUST_200600_302600_NS6detail15normal_iteratorINS9_10device_ptrIiEEEESE_SE_iNS9_10multipliesIiEENS9_8equal_toIiEEiEE10hipError_tPvRmT2_T3_T4_T5_mT6_T7_P12ihipStream_tbENKUlT_T0_E_clISt17integral_constantIbLb0EESY_IbLb1EEEEDaSU_SV_EUlSU_E_NS1_11comp_targetILNS1_3genE0ELNS1_11target_archE4294967295ELNS1_3gpuE0ELNS1_3repE0EEENS1_30default_config_static_selectorELNS0_4arch9wavefront6targetE0EEEvT1_
		.amdhsa_group_segment_fixed_size 0
		.amdhsa_private_segment_fixed_size 0
		.amdhsa_kernarg_size 112
		.amdhsa_user_sgpr_count 6
		.amdhsa_user_sgpr_private_segment_buffer 1
		.amdhsa_user_sgpr_dispatch_ptr 0
		.amdhsa_user_sgpr_queue_ptr 0
		.amdhsa_user_sgpr_kernarg_segment_ptr 1
		.amdhsa_user_sgpr_dispatch_id 0
		.amdhsa_user_sgpr_flat_scratch_init 0
		.amdhsa_user_sgpr_private_segment_size 0
		.amdhsa_wavefront_size32 1
		.amdhsa_uses_dynamic_stack 0
		.amdhsa_system_sgpr_private_segment_wavefront_offset 0
		.amdhsa_system_sgpr_workgroup_id_x 1
		.amdhsa_system_sgpr_workgroup_id_y 0
		.amdhsa_system_sgpr_workgroup_id_z 0
		.amdhsa_system_sgpr_workgroup_info 0
		.amdhsa_system_vgpr_workitem_id 0
		.amdhsa_next_free_vgpr 1
		.amdhsa_next_free_sgpr 1
		.amdhsa_reserve_vcc 0
		.amdhsa_reserve_flat_scratch 0
		.amdhsa_float_round_mode_32 0
		.amdhsa_float_round_mode_16_64 0
		.amdhsa_float_denorm_mode_32 3
		.amdhsa_float_denorm_mode_16_64 3
		.amdhsa_dx10_clamp 1
		.amdhsa_ieee_mode 1
		.amdhsa_fp16_overflow 0
		.amdhsa_workgroup_processor_mode 1
		.amdhsa_memory_ordered 1
		.amdhsa_forward_progress 1
		.amdhsa_shared_vgpr_count 0
		.amdhsa_exception_fp_ieee_invalid_op 0
		.amdhsa_exception_fp_denorm_src 0
		.amdhsa_exception_fp_ieee_div_zero 0
		.amdhsa_exception_fp_ieee_overflow 0
		.amdhsa_exception_fp_ieee_underflow 0
		.amdhsa_exception_fp_ieee_inexact 0
		.amdhsa_exception_int_div_zero 0
	.end_amdhsa_kernel
	.section	.text._ZN7rocprim17ROCPRIM_400000_NS6detail17trampoline_kernelINS0_14default_configENS1_27scan_by_key_config_selectorIiiEEZZNS1_16scan_by_key_implILNS1_25lookback_scan_determinismE0ELb1ES3_N6thrust23THRUST_200600_302600_NS6detail15normal_iteratorINS9_10device_ptrIiEEEESE_SE_iNS9_10multipliesIiEENS9_8equal_toIiEEiEE10hipError_tPvRmT2_T3_T4_T5_mT6_T7_P12ihipStream_tbENKUlT_T0_E_clISt17integral_constantIbLb0EESY_IbLb1EEEEDaSU_SV_EUlSU_E_NS1_11comp_targetILNS1_3genE0ELNS1_11target_archE4294967295ELNS1_3gpuE0ELNS1_3repE0EEENS1_30default_config_static_selectorELNS0_4arch9wavefront6targetE0EEEvT1_,"axG",@progbits,_ZN7rocprim17ROCPRIM_400000_NS6detail17trampoline_kernelINS0_14default_configENS1_27scan_by_key_config_selectorIiiEEZZNS1_16scan_by_key_implILNS1_25lookback_scan_determinismE0ELb1ES3_N6thrust23THRUST_200600_302600_NS6detail15normal_iteratorINS9_10device_ptrIiEEEESE_SE_iNS9_10multipliesIiEENS9_8equal_toIiEEiEE10hipError_tPvRmT2_T3_T4_T5_mT6_T7_P12ihipStream_tbENKUlT_T0_E_clISt17integral_constantIbLb0EESY_IbLb1EEEEDaSU_SV_EUlSU_E_NS1_11comp_targetILNS1_3genE0ELNS1_11target_archE4294967295ELNS1_3gpuE0ELNS1_3repE0EEENS1_30default_config_static_selectorELNS0_4arch9wavefront6targetE0EEEvT1_,comdat
.Lfunc_end524:
	.size	_ZN7rocprim17ROCPRIM_400000_NS6detail17trampoline_kernelINS0_14default_configENS1_27scan_by_key_config_selectorIiiEEZZNS1_16scan_by_key_implILNS1_25lookback_scan_determinismE0ELb1ES3_N6thrust23THRUST_200600_302600_NS6detail15normal_iteratorINS9_10device_ptrIiEEEESE_SE_iNS9_10multipliesIiEENS9_8equal_toIiEEiEE10hipError_tPvRmT2_T3_T4_T5_mT6_T7_P12ihipStream_tbENKUlT_T0_E_clISt17integral_constantIbLb0EESY_IbLb1EEEEDaSU_SV_EUlSU_E_NS1_11comp_targetILNS1_3genE0ELNS1_11target_archE4294967295ELNS1_3gpuE0ELNS1_3repE0EEENS1_30default_config_static_selectorELNS0_4arch9wavefront6targetE0EEEvT1_, .Lfunc_end524-_ZN7rocprim17ROCPRIM_400000_NS6detail17trampoline_kernelINS0_14default_configENS1_27scan_by_key_config_selectorIiiEEZZNS1_16scan_by_key_implILNS1_25lookback_scan_determinismE0ELb1ES3_N6thrust23THRUST_200600_302600_NS6detail15normal_iteratorINS9_10device_ptrIiEEEESE_SE_iNS9_10multipliesIiEENS9_8equal_toIiEEiEE10hipError_tPvRmT2_T3_T4_T5_mT6_T7_P12ihipStream_tbENKUlT_T0_E_clISt17integral_constantIbLb0EESY_IbLb1EEEEDaSU_SV_EUlSU_E_NS1_11comp_targetILNS1_3genE0ELNS1_11target_archE4294967295ELNS1_3gpuE0ELNS1_3repE0EEENS1_30default_config_static_selectorELNS0_4arch9wavefront6targetE0EEEvT1_
                                        ; -- End function
	.set _ZN7rocprim17ROCPRIM_400000_NS6detail17trampoline_kernelINS0_14default_configENS1_27scan_by_key_config_selectorIiiEEZZNS1_16scan_by_key_implILNS1_25lookback_scan_determinismE0ELb1ES3_N6thrust23THRUST_200600_302600_NS6detail15normal_iteratorINS9_10device_ptrIiEEEESE_SE_iNS9_10multipliesIiEENS9_8equal_toIiEEiEE10hipError_tPvRmT2_T3_T4_T5_mT6_T7_P12ihipStream_tbENKUlT_T0_E_clISt17integral_constantIbLb0EESY_IbLb1EEEEDaSU_SV_EUlSU_E_NS1_11comp_targetILNS1_3genE0ELNS1_11target_archE4294967295ELNS1_3gpuE0ELNS1_3repE0EEENS1_30default_config_static_selectorELNS0_4arch9wavefront6targetE0EEEvT1_.num_vgpr, 0
	.set _ZN7rocprim17ROCPRIM_400000_NS6detail17trampoline_kernelINS0_14default_configENS1_27scan_by_key_config_selectorIiiEEZZNS1_16scan_by_key_implILNS1_25lookback_scan_determinismE0ELb1ES3_N6thrust23THRUST_200600_302600_NS6detail15normal_iteratorINS9_10device_ptrIiEEEESE_SE_iNS9_10multipliesIiEENS9_8equal_toIiEEiEE10hipError_tPvRmT2_T3_T4_T5_mT6_T7_P12ihipStream_tbENKUlT_T0_E_clISt17integral_constantIbLb0EESY_IbLb1EEEEDaSU_SV_EUlSU_E_NS1_11comp_targetILNS1_3genE0ELNS1_11target_archE4294967295ELNS1_3gpuE0ELNS1_3repE0EEENS1_30default_config_static_selectorELNS0_4arch9wavefront6targetE0EEEvT1_.num_agpr, 0
	.set _ZN7rocprim17ROCPRIM_400000_NS6detail17trampoline_kernelINS0_14default_configENS1_27scan_by_key_config_selectorIiiEEZZNS1_16scan_by_key_implILNS1_25lookback_scan_determinismE0ELb1ES3_N6thrust23THRUST_200600_302600_NS6detail15normal_iteratorINS9_10device_ptrIiEEEESE_SE_iNS9_10multipliesIiEENS9_8equal_toIiEEiEE10hipError_tPvRmT2_T3_T4_T5_mT6_T7_P12ihipStream_tbENKUlT_T0_E_clISt17integral_constantIbLb0EESY_IbLb1EEEEDaSU_SV_EUlSU_E_NS1_11comp_targetILNS1_3genE0ELNS1_11target_archE4294967295ELNS1_3gpuE0ELNS1_3repE0EEENS1_30default_config_static_selectorELNS0_4arch9wavefront6targetE0EEEvT1_.numbered_sgpr, 0
	.set _ZN7rocprim17ROCPRIM_400000_NS6detail17trampoline_kernelINS0_14default_configENS1_27scan_by_key_config_selectorIiiEEZZNS1_16scan_by_key_implILNS1_25lookback_scan_determinismE0ELb1ES3_N6thrust23THRUST_200600_302600_NS6detail15normal_iteratorINS9_10device_ptrIiEEEESE_SE_iNS9_10multipliesIiEENS9_8equal_toIiEEiEE10hipError_tPvRmT2_T3_T4_T5_mT6_T7_P12ihipStream_tbENKUlT_T0_E_clISt17integral_constantIbLb0EESY_IbLb1EEEEDaSU_SV_EUlSU_E_NS1_11comp_targetILNS1_3genE0ELNS1_11target_archE4294967295ELNS1_3gpuE0ELNS1_3repE0EEENS1_30default_config_static_selectorELNS0_4arch9wavefront6targetE0EEEvT1_.num_named_barrier, 0
	.set _ZN7rocprim17ROCPRIM_400000_NS6detail17trampoline_kernelINS0_14default_configENS1_27scan_by_key_config_selectorIiiEEZZNS1_16scan_by_key_implILNS1_25lookback_scan_determinismE0ELb1ES3_N6thrust23THRUST_200600_302600_NS6detail15normal_iteratorINS9_10device_ptrIiEEEESE_SE_iNS9_10multipliesIiEENS9_8equal_toIiEEiEE10hipError_tPvRmT2_T3_T4_T5_mT6_T7_P12ihipStream_tbENKUlT_T0_E_clISt17integral_constantIbLb0EESY_IbLb1EEEEDaSU_SV_EUlSU_E_NS1_11comp_targetILNS1_3genE0ELNS1_11target_archE4294967295ELNS1_3gpuE0ELNS1_3repE0EEENS1_30default_config_static_selectorELNS0_4arch9wavefront6targetE0EEEvT1_.private_seg_size, 0
	.set _ZN7rocprim17ROCPRIM_400000_NS6detail17trampoline_kernelINS0_14default_configENS1_27scan_by_key_config_selectorIiiEEZZNS1_16scan_by_key_implILNS1_25lookback_scan_determinismE0ELb1ES3_N6thrust23THRUST_200600_302600_NS6detail15normal_iteratorINS9_10device_ptrIiEEEESE_SE_iNS9_10multipliesIiEENS9_8equal_toIiEEiEE10hipError_tPvRmT2_T3_T4_T5_mT6_T7_P12ihipStream_tbENKUlT_T0_E_clISt17integral_constantIbLb0EESY_IbLb1EEEEDaSU_SV_EUlSU_E_NS1_11comp_targetILNS1_3genE0ELNS1_11target_archE4294967295ELNS1_3gpuE0ELNS1_3repE0EEENS1_30default_config_static_selectorELNS0_4arch9wavefront6targetE0EEEvT1_.uses_vcc, 0
	.set _ZN7rocprim17ROCPRIM_400000_NS6detail17trampoline_kernelINS0_14default_configENS1_27scan_by_key_config_selectorIiiEEZZNS1_16scan_by_key_implILNS1_25lookback_scan_determinismE0ELb1ES3_N6thrust23THRUST_200600_302600_NS6detail15normal_iteratorINS9_10device_ptrIiEEEESE_SE_iNS9_10multipliesIiEENS9_8equal_toIiEEiEE10hipError_tPvRmT2_T3_T4_T5_mT6_T7_P12ihipStream_tbENKUlT_T0_E_clISt17integral_constantIbLb0EESY_IbLb1EEEEDaSU_SV_EUlSU_E_NS1_11comp_targetILNS1_3genE0ELNS1_11target_archE4294967295ELNS1_3gpuE0ELNS1_3repE0EEENS1_30default_config_static_selectorELNS0_4arch9wavefront6targetE0EEEvT1_.uses_flat_scratch, 0
	.set _ZN7rocprim17ROCPRIM_400000_NS6detail17trampoline_kernelINS0_14default_configENS1_27scan_by_key_config_selectorIiiEEZZNS1_16scan_by_key_implILNS1_25lookback_scan_determinismE0ELb1ES3_N6thrust23THRUST_200600_302600_NS6detail15normal_iteratorINS9_10device_ptrIiEEEESE_SE_iNS9_10multipliesIiEENS9_8equal_toIiEEiEE10hipError_tPvRmT2_T3_T4_T5_mT6_T7_P12ihipStream_tbENKUlT_T0_E_clISt17integral_constantIbLb0EESY_IbLb1EEEEDaSU_SV_EUlSU_E_NS1_11comp_targetILNS1_3genE0ELNS1_11target_archE4294967295ELNS1_3gpuE0ELNS1_3repE0EEENS1_30default_config_static_selectorELNS0_4arch9wavefront6targetE0EEEvT1_.has_dyn_sized_stack, 0
	.set _ZN7rocprim17ROCPRIM_400000_NS6detail17trampoline_kernelINS0_14default_configENS1_27scan_by_key_config_selectorIiiEEZZNS1_16scan_by_key_implILNS1_25lookback_scan_determinismE0ELb1ES3_N6thrust23THRUST_200600_302600_NS6detail15normal_iteratorINS9_10device_ptrIiEEEESE_SE_iNS9_10multipliesIiEENS9_8equal_toIiEEiEE10hipError_tPvRmT2_T3_T4_T5_mT6_T7_P12ihipStream_tbENKUlT_T0_E_clISt17integral_constantIbLb0EESY_IbLb1EEEEDaSU_SV_EUlSU_E_NS1_11comp_targetILNS1_3genE0ELNS1_11target_archE4294967295ELNS1_3gpuE0ELNS1_3repE0EEENS1_30default_config_static_selectorELNS0_4arch9wavefront6targetE0EEEvT1_.has_recursion, 0
	.set _ZN7rocprim17ROCPRIM_400000_NS6detail17trampoline_kernelINS0_14default_configENS1_27scan_by_key_config_selectorIiiEEZZNS1_16scan_by_key_implILNS1_25lookback_scan_determinismE0ELb1ES3_N6thrust23THRUST_200600_302600_NS6detail15normal_iteratorINS9_10device_ptrIiEEEESE_SE_iNS9_10multipliesIiEENS9_8equal_toIiEEiEE10hipError_tPvRmT2_T3_T4_T5_mT6_T7_P12ihipStream_tbENKUlT_T0_E_clISt17integral_constantIbLb0EESY_IbLb1EEEEDaSU_SV_EUlSU_E_NS1_11comp_targetILNS1_3genE0ELNS1_11target_archE4294967295ELNS1_3gpuE0ELNS1_3repE0EEENS1_30default_config_static_selectorELNS0_4arch9wavefront6targetE0EEEvT1_.has_indirect_call, 0
	.section	.AMDGPU.csdata,"",@progbits
; Kernel info:
; codeLenInByte = 0
; TotalNumSgprs: 0
; NumVgprs: 0
; ScratchSize: 0
; MemoryBound: 0
; FloatMode: 240
; IeeeMode: 1
; LDSByteSize: 0 bytes/workgroup (compile time only)
; SGPRBlocks: 0
; VGPRBlocks: 0
; NumSGPRsForWavesPerEU: 1
; NumVGPRsForWavesPerEU: 1
; Occupancy: 16
; WaveLimiterHint : 0
; COMPUTE_PGM_RSRC2:SCRATCH_EN: 0
; COMPUTE_PGM_RSRC2:USER_SGPR: 6
; COMPUTE_PGM_RSRC2:TRAP_HANDLER: 0
; COMPUTE_PGM_RSRC2:TGID_X_EN: 1
; COMPUTE_PGM_RSRC2:TGID_Y_EN: 0
; COMPUTE_PGM_RSRC2:TGID_Z_EN: 0
; COMPUTE_PGM_RSRC2:TIDIG_COMP_CNT: 0
	.section	.text._ZN7rocprim17ROCPRIM_400000_NS6detail17trampoline_kernelINS0_14default_configENS1_27scan_by_key_config_selectorIiiEEZZNS1_16scan_by_key_implILNS1_25lookback_scan_determinismE0ELb1ES3_N6thrust23THRUST_200600_302600_NS6detail15normal_iteratorINS9_10device_ptrIiEEEESE_SE_iNS9_10multipliesIiEENS9_8equal_toIiEEiEE10hipError_tPvRmT2_T3_T4_T5_mT6_T7_P12ihipStream_tbENKUlT_T0_E_clISt17integral_constantIbLb0EESY_IbLb1EEEEDaSU_SV_EUlSU_E_NS1_11comp_targetILNS1_3genE10ELNS1_11target_archE1201ELNS1_3gpuE5ELNS1_3repE0EEENS1_30default_config_static_selectorELNS0_4arch9wavefront6targetE0EEEvT1_,"axG",@progbits,_ZN7rocprim17ROCPRIM_400000_NS6detail17trampoline_kernelINS0_14default_configENS1_27scan_by_key_config_selectorIiiEEZZNS1_16scan_by_key_implILNS1_25lookback_scan_determinismE0ELb1ES3_N6thrust23THRUST_200600_302600_NS6detail15normal_iteratorINS9_10device_ptrIiEEEESE_SE_iNS9_10multipliesIiEENS9_8equal_toIiEEiEE10hipError_tPvRmT2_T3_T4_T5_mT6_T7_P12ihipStream_tbENKUlT_T0_E_clISt17integral_constantIbLb0EESY_IbLb1EEEEDaSU_SV_EUlSU_E_NS1_11comp_targetILNS1_3genE10ELNS1_11target_archE1201ELNS1_3gpuE5ELNS1_3repE0EEENS1_30default_config_static_selectorELNS0_4arch9wavefront6targetE0EEEvT1_,comdat
	.protected	_ZN7rocprim17ROCPRIM_400000_NS6detail17trampoline_kernelINS0_14default_configENS1_27scan_by_key_config_selectorIiiEEZZNS1_16scan_by_key_implILNS1_25lookback_scan_determinismE0ELb1ES3_N6thrust23THRUST_200600_302600_NS6detail15normal_iteratorINS9_10device_ptrIiEEEESE_SE_iNS9_10multipliesIiEENS9_8equal_toIiEEiEE10hipError_tPvRmT2_T3_T4_T5_mT6_T7_P12ihipStream_tbENKUlT_T0_E_clISt17integral_constantIbLb0EESY_IbLb1EEEEDaSU_SV_EUlSU_E_NS1_11comp_targetILNS1_3genE10ELNS1_11target_archE1201ELNS1_3gpuE5ELNS1_3repE0EEENS1_30default_config_static_selectorELNS0_4arch9wavefront6targetE0EEEvT1_ ; -- Begin function _ZN7rocprim17ROCPRIM_400000_NS6detail17trampoline_kernelINS0_14default_configENS1_27scan_by_key_config_selectorIiiEEZZNS1_16scan_by_key_implILNS1_25lookback_scan_determinismE0ELb1ES3_N6thrust23THRUST_200600_302600_NS6detail15normal_iteratorINS9_10device_ptrIiEEEESE_SE_iNS9_10multipliesIiEENS9_8equal_toIiEEiEE10hipError_tPvRmT2_T3_T4_T5_mT6_T7_P12ihipStream_tbENKUlT_T0_E_clISt17integral_constantIbLb0EESY_IbLb1EEEEDaSU_SV_EUlSU_E_NS1_11comp_targetILNS1_3genE10ELNS1_11target_archE1201ELNS1_3gpuE5ELNS1_3repE0EEENS1_30default_config_static_selectorELNS0_4arch9wavefront6targetE0EEEvT1_
	.globl	_ZN7rocprim17ROCPRIM_400000_NS6detail17trampoline_kernelINS0_14default_configENS1_27scan_by_key_config_selectorIiiEEZZNS1_16scan_by_key_implILNS1_25lookback_scan_determinismE0ELb1ES3_N6thrust23THRUST_200600_302600_NS6detail15normal_iteratorINS9_10device_ptrIiEEEESE_SE_iNS9_10multipliesIiEENS9_8equal_toIiEEiEE10hipError_tPvRmT2_T3_T4_T5_mT6_T7_P12ihipStream_tbENKUlT_T0_E_clISt17integral_constantIbLb0EESY_IbLb1EEEEDaSU_SV_EUlSU_E_NS1_11comp_targetILNS1_3genE10ELNS1_11target_archE1201ELNS1_3gpuE5ELNS1_3repE0EEENS1_30default_config_static_selectorELNS0_4arch9wavefront6targetE0EEEvT1_
	.p2align	8
	.type	_ZN7rocprim17ROCPRIM_400000_NS6detail17trampoline_kernelINS0_14default_configENS1_27scan_by_key_config_selectorIiiEEZZNS1_16scan_by_key_implILNS1_25lookback_scan_determinismE0ELb1ES3_N6thrust23THRUST_200600_302600_NS6detail15normal_iteratorINS9_10device_ptrIiEEEESE_SE_iNS9_10multipliesIiEENS9_8equal_toIiEEiEE10hipError_tPvRmT2_T3_T4_T5_mT6_T7_P12ihipStream_tbENKUlT_T0_E_clISt17integral_constantIbLb0EESY_IbLb1EEEEDaSU_SV_EUlSU_E_NS1_11comp_targetILNS1_3genE10ELNS1_11target_archE1201ELNS1_3gpuE5ELNS1_3repE0EEENS1_30default_config_static_selectorELNS0_4arch9wavefront6targetE0EEEvT1_,@function
_ZN7rocprim17ROCPRIM_400000_NS6detail17trampoline_kernelINS0_14default_configENS1_27scan_by_key_config_selectorIiiEEZZNS1_16scan_by_key_implILNS1_25lookback_scan_determinismE0ELb1ES3_N6thrust23THRUST_200600_302600_NS6detail15normal_iteratorINS9_10device_ptrIiEEEESE_SE_iNS9_10multipliesIiEENS9_8equal_toIiEEiEE10hipError_tPvRmT2_T3_T4_T5_mT6_T7_P12ihipStream_tbENKUlT_T0_E_clISt17integral_constantIbLb0EESY_IbLb1EEEEDaSU_SV_EUlSU_E_NS1_11comp_targetILNS1_3genE10ELNS1_11target_archE1201ELNS1_3gpuE5ELNS1_3repE0EEENS1_30default_config_static_selectorELNS0_4arch9wavefront6targetE0EEEvT1_: ; @_ZN7rocprim17ROCPRIM_400000_NS6detail17trampoline_kernelINS0_14default_configENS1_27scan_by_key_config_selectorIiiEEZZNS1_16scan_by_key_implILNS1_25lookback_scan_determinismE0ELb1ES3_N6thrust23THRUST_200600_302600_NS6detail15normal_iteratorINS9_10device_ptrIiEEEESE_SE_iNS9_10multipliesIiEENS9_8equal_toIiEEiEE10hipError_tPvRmT2_T3_T4_T5_mT6_T7_P12ihipStream_tbENKUlT_T0_E_clISt17integral_constantIbLb0EESY_IbLb1EEEEDaSU_SV_EUlSU_E_NS1_11comp_targetILNS1_3genE10ELNS1_11target_archE1201ELNS1_3gpuE5ELNS1_3repE0EEENS1_30default_config_static_selectorELNS0_4arch9wavefront6targetE0EEEvT1_
; %bb.0:
	.section	.rodata,"a",@progbits
	.p2align	6, 0x0
	.amdhsa_kernel _ZN7rocprim17ROCPRIM_400000_NS6detail17trampoline_kernelINS0_14default_configENS1_27scan_by_key_config_selectorIiiEEZZNS1_16scan_by_key_implILNS1_25lookback_scan_determinismE0ELb1ES3_N6thrust23THRUST_200600_302600_NS6detail15normal_iteratorINS9_10device_ptrIiEEEESE_SE_iNS9_10multipliesIiEENS9_8equal_toIiEEiEE10hipError_tPvRmT2_T3_T4_T5_mT6_T7_P12ihipStream_tbENKUlT_T0_E_clISt17integral_constantIbLb0EESY_IbLb1EEEEDaSU_SV_EUlSU_E_NS1_11comp_targetILNS1_3genE10ELNS1_11target_archE1201ELNS1_3gpuE5ELNS1_3repE0EEENS1_30default_config_static_selectorELNS0_4arch9wavefront6targetE0EEEvT1_
		.amdhsa_group_segment_fixed_size 0
		.amdhsa_private_segment_fixed_size 0
		.amdhsa_kernarg_size 112
		.amdhsa_user_sgpr_count 6
		.amdhsa_user_sgpr_private_segment_buffer 1
		.amdhsa_user_sgpr_dispatch_ptr 0
		.amdhsa_user_sgpr_queue_ptr 0
		.amdhsa_user_sgpr_kernarg_segment_ptr 1
		.amdhsa_user_sgpr_dispatch_id 0
		.amdhsa_user_sgpr_flat_scratch_init 0
		.amdhsa_user_sgpr_private_segment_size 0
		.amdhsa_wavefront_size32 1
		.amdhsa_uses_dynamic_stack 0
		.amdhsa_system_sgpr_private_segment_wavefront_offset 0
		.amdhsa_system_sgpr_workgroup_id_x 1
		.amdhsa_system_sgpr_workgroup_id_y 0
		.amdhsa_system_sgpr_workgroup_id_z 0
		.amdhsa_system_sgpr_workgroup_info 0
		.amdhsa_system_vgpr_workitem_id 0
		.amdhsa_next_free_vgpr 1
		.amdhsa_next_free_sgpr 1
		.amdhsa_reserve_vcc 0
		.amdhsa_reserve_flat_scratch 0
		.amdhsa_float_round_mode_32 0
		.amdhsa_float_round_mode_16_64 0
		.amdhsa_float_denorm_mode_32 3
		.amdhsa_float_denorm_mode_16_64 3
		.amdhsa_dx10_clamp 1
		.amdhsa_ieee_mode 1
		.amdhsa_fp16_overflow 0
		.amdhsa_workgroup_processor_mode 1
		.amdhsa_memory_ordered 1
		.amdhsa_forward_progress 1
		.amdhsa_shared_vgpr_count 0
		.amdhsa_exception_fp_ieee_invalid_op 0
		.amdhsa_exception_fp_denorm_src 0
		.amdhsa_exception_fp_ieee_div_zero 0
		.amdhsa_exception_fp_ieee_overflow 0
		.amdhsa_exception_fp_ieee_underflow 0
		.amdhsa_exception_fp_ieee_inexact 0
		.amdhsa_exception_int_div_zero 0
	.end_amdhsa_kernel
	.section	.text._ZN7rocprim17ROCPRIM_400000_NS6detail17trampoline_kernelINS0_14default_configENS1_27scan_by_key_config_selectorIiiEEZZNS1_16scan_by_key_implILNS1_25lookback_scan_determinismE0ELb1ES3_N6thrust23THRUST_200600_302600_NS6detail15normal_iteratorINS9_10device_ptrIiEEEESE_SE_iNS9_10multipliesIiEENS9_8equal_toIiEEiEE10hipError_tPvRmT2_T3_T4_T5_mT6_T7_P12ihipStream_tbENKUlT_T0_E_clISt17integral_constantIbLb0EESY_IbLb1EEEEDaSU_SV_EUlSU_E_NS1_11comp_targetILNS1_3genE10ELNS1_11target_archE1201ELNS1_3gpuE5ELNS1_3repE0EEENS1_30default_config_static_selectorELNS0_4arch9wavefront6targetE0EEEvT1_,"axG",@progbits,_ZN7rocprim17ROCPRIM_400000_NS6detail17trampoline_kernelINS0_14default_configENS1_27scan_by_key_config_selectorIiiEEZZNS1_16scan_by_key_implILNS1_25lookback_scan_determinismE0ELb1ES3_N6thrust23THRUST_200600_302600_NS6detail15normal_iteratorINS9_10device_ptrIiEEEESE_SE_iNS9_10multipliesIiEENS9_8equal_toIiEEiEE10hipError_tPvRmT2_T3_T4_T5_mT6_T7_P12ihipStream_tbENKUlT_T0_E_clISt17integral_constantIbLb0EESY_IbLb1EEEEDaSU_SV_EUlSU_E_NS1_11comp_targetILNS1_3genE10ELNS1_11target_archE1201ELNS1_3gpuE5ELNS1_3repE0EEENS1_30default_config_static_selectorELNS0_4arch9wavefront6targetE0EEEvT1_,comdat
.Lfunc_end525:
	.size	_ZN7rocprim17ROCPRIM_400000_NS6detail17trampoline_kernelINS0_14default_configENS1_27scan_by_key_config_selectorIiiEEZZNS1_16scan_by_key_implILNS1_25lookback_scan_determinismE0ELb1ES3_N6thrust23THRUST_200600_302600_NS6detail15normal_iteratorINS9_10device_ptrIiEEEESE_SE_iNS9_10multipliesIiEENS9_8equal_toIiEEiEE10hipError_tPvRmT2_T3_T4_T5_mT6_T7_P12ihipStream_tbENKUlT_T0_E_clISt17integral_constantIbLb0EESY_IbLb1EEEEDaSU_SV_EUlSU_E_NS1_11comp_targetILNS1_3genE10ELNS1_11target_archE1201ELNS1_3gpuE5ELNS1_3repE0EEENS1_30default_config_static_selectorELNS0_4arch9wavefront6targetE0EEEvT1_, .Lfunc_end525-_ZN7rocprim17ROCPRIM_400000_NS6detail17trampoline_kernelINS0_14default_configENS1_27scan_by_key_config_selectorIiiEEZZNS1_16scan_by_key_implILNS1_25lookback_scan_determinismE0ELb1ES3_N6thrust23THRUST_200600_302600_NS6detail15normal_iteratorINS9_10device_ptrIiEEEESE_SE_iNS9_10multipliesIiEENS9_8equal_toIiEEiEE10hipError_tPvRmT2_T3_T4_T5_mT6_T7_P12ihipStream_tbENKUlT_T0_E_clISt17integral_constantIbLb0EESY_IbLb1EEEEDaSU_SV_EUlSU_E_NS1_11comp_targetILNS1_3genE10ELNS1_11target_archE1201ELNS1_3gpuE5ELNS1_3repE0EEENS1_30default_config_static_selectorELNS0_4arch9wavefront6targetE0EEEvT1_
                                        ; -- End function
	.set _ZN7rocprim17ROCPRIM_400000_NS6detail17trampoline_kernelINS0_14default_configENS1_27scan_by_key_config_selectorIiiEEZZNS1_16scan_by_key_implILNS1_25lookback_scan_determinismE0ELb1ES3_N6thrust23THRUST_200600_302600_NS6detail15normal_iteratorINS9_10device_ptrIiEEEESE_SE_iNS9_10multipliesIiEENS9_8equal_toIiEEiEE10hipError_tPvRmT2_T3_T4_T5_mT6_T7_P12ihipStream_tbENKUlT_T0_E_clISt17integral_constantIbLb0EESY_IbLb1EEEEDaSU_SV_EUlSU_E_NS1_11comp_targetILNS1_3genE10ELNS1_11target_archE1201ELNS1_3gpuE5ELNS1_3repE0EEENS1_30default_config_static_selectorELNS0_4arch9wavefront6targetE0EEEvT1_.num_vgpr, 0
	.set _ZN7rocprim17ROCPRIM_400000_NS6detail17trampoline_kernelINS0_14default_configENS1_27scan_by_key_config_selectorIiiEEZZNS1_16scan_by_key_implILNS1_25lookback_scan_determinismE0ELb1ES3_N6thrust23THRUST_200600_302600_NS6detail15normal_iteratorINS9_10device_ptrIiEEEESE_SE_iNS9_10multipliesIiEENS9_8equal_toIiEEiEE10hipError_tPvRmT2_T3_T4_T5_mT6_T7_P12ihipStream_tbENKUlT_T0_E_clISt17integral_constantIbLb0EESY_IbLb1EEEEDaSU_SV_EUlSU_E_NS1_11comp_targetILNS1_3genE10ELNS1_11target_archE1201ELNS1_3gpuE5ELNS1_3repE0EEENS1_30default_config_static_selectorELNS0_4arch9wavefront6targetE0EEEvT1_.num_agpr, 0
	.set _ZN7rocprim17ROCPRIM_400000_NS6detail17trampoline_kernelINS0_14default_configENS1_27scan_by_key_config_selectorIiiEEZZNS1_16scan_by_key_implILNS1_25lookback_scan_determinismE0ELb1ES3_N6thrust23THRUST_200600_302600_NS6detail15normal_iteratorINS9_10device_ptrIiEEEESE_SE_iNS9_10multipliesIiEENS9_8equal_toIiEEiEE10hipError_tPvRmT2_T3_T4_T5_mT6_T7_P12ihipStream_tbENKUlT_T0_E_clISt17integral_constantIbLb0EESY_IbLb1EEEEDaSU_SV_EUlSU_E_NS1_11comp_targetILNS1_3genE10ELNS1_11target_archE1201ELNS1_3gpuE5ELNS1_3repE0EEENS1_30default_config_static_selectorELNS0_4arch9wavefront6targetE0EEEvT1_.numbered_sgpr, 0
	.set _ZN7rocprim17ROCPRIM_400000_NS6detail17trampoline_kernelINS0_14default_configENS1_27scan_by_key_config_selectorIiiEEZZNS1_16scan_by_key_implILNS1_25lookback_scan_determinismE0ELb1ES3_N6thrust23THRUST_200600_302600_NS6detail15normal_iteratorINS9_10device_ptrIiEEEESE_SE_iNS9_10multipliesIiEENS9_8equal_toIiEEiEE10hipError_tPvRmT2_T3_T4_T5_mT6_T7_P12ihipStream_tbENKUlT_T0_E_clISt17integral_constantIbLb0EESY_IbLb1EEEEDaSU_SV_EUlSU_E_NS1_11comp_targetILNS1_3genE10ELNS1_11target_archE1201ELNS1_3gpuE5ELNS1_3repE0EEENS1_30default_config_static_selectorELNS0_4arch9wavefront6targetE0EEEvT1_.num_named_barrier, 0
	.set _ZN7rocprim17ROCPRIM_400000_NS6detail17trampoline_kernelINS0_14default_configENS1_27scan_by_key_config_selectorIiiEEZZNS1_16scan_by_key_implILNS1_25lookback_scan_determinismE0ELb1ES3_N6thrust23THRUST_200600_302600_NS6detail15normal_iteratorINS9_10device_ptrIiEEEESE_SE_iNS9_10multipliesIiEENS9_8equal_toIiEEiEE10hipError_tPvRmT2_T3_T4_T5_mT6_T7_P12ihipStream_tbENKUlT_T0_E_clISt17integral_constantIbLb0EESY_IbLb1EEEEDaSU_SV_EUlSU_E_NS1_11comp_targetILNS1_3genE10ELNS1_11target_archE1201ELNS1_3gpuE5ELNS1_3repE0EEENS1_30default_config_static_selectorELNS0_4arch9wavefront6targetE0EEEvT1_.private_seg_size, 0
	.set _ZN7rocprim17ROCPRIM_400000_NS6detail17trampoline_kernelINS0_14default_configENS1_27scan_by_key_config_selectorIiiEEZZNS1_16scan_by_key_implILNS1_25lookback_scan_determinismE0ELb1ES3_N6thrust23THRUST_200600_302600_NS6detail15normal_iteratorINS9_10device_ptrIiEEEESE_SE_iNS9_10multipliesIiEENS9_8equal_toIiEEiEE10hipError_tPvRmT2_T3_T4_T5_mT6_T7_P12ihipStream_tbENKUlT_T0_E_clISt17integral_constantIbLb0EESY_IbLb1EEEEDaSU_SV_EUlSU_E_NS1_11comp_targetILNS1_3genE10ELNS1_11target_archE1201ELNS1_3gpuE5ELNS1_3repE0EEENS1_30default_config_static_selectorELNS0_4arch9wavefront6targetE0EEEvT1_.uses_vcc, 0
	.set _ZN7rocprim17ROCPRIM_400000_NS6detail17trampoline_kernelINS0_14default_configENS1_27scan_by_key_config_selectorIiiEEZZNS1_16scan_by_key_implILNS1_25lookback_scan_determinismE0ELb1ES3_N6thrust23THRUST_200600_302600_NS6detail15normal_iteratorINS9_10device_ptrIiEEEESE_SE_iNS9_10multipliesIiEENS9_8equal_toIiEEiEE10hipError_tPvRmT2_T3_T4_T5_mT6_T7_P12ihipStream_tbENKUlT_T0_E_clISt17integral_constantIbLb0EESY_IbLb1EEEEDaSU_SV_EUlSU_E_NS1_11comp_targetILNS1_3genE10ELNS1_11target_archE1201ELNS1_3gpuE5ELNS1_3repE0EEENS1_30default_config_static_selectorELNS0_4arch9wavefront6targetE0EEEvT1_.uses_flat_scratch, 0
	.set _ZN7rocprim17ROCPRIM_400000_NS6detail17trampoline_kernelINS0_14default_configENS1_27scan_by_key_config_selectorIiiEEZZNS1_16scan_by_key_implILNS1_25lookback_scan_determinismE0ELb1ES3_N6thrust23THRUST_200600_302600_NS6detail15normal_iteratorINS9_10device_ptrIiEEEESE_SE_iNS9_10multipliesIiEENS9_8equal_toIiEEiEE10hipError_tPvRmT2_T3_T4_T5_mT6_T7_P12ihipStream_tbENKUlT_T0_E_clISt17integral_constantIbLb0EESY_IbLb1EEEEDaSU_SV_EUlSU_E_NS1_11comp_targetILNS1_3genE10ELNS1_11target_archE1201ELNS1_3gpuE5ELNS1_3repE0EEENS1_30default_config_static_selectorELNS0_4arch9wavefront6targetE0EEEvT1_.has_dyn_sized_stack, 0
	.set _ZN7rocprim17ROCPRIM_400000_NS6detail17trampoline_kernelINS0_14default_configENS1_27scan_by_key_config_selectorIiiEEZZNS1_16scan_by_key_implILNS1_25lookback_scan_determinismE0ELb1ES3_N6thrust23THRUST_200600_302600_NS6detail15normal_iteratorINS9_10device_ptrIiEEEESE_SE_iNS9_10multipliesIiEENS9_8equal_toIiEEiEE10hipError_tPvRmT2_T3_T4_T5_mT6_T7_P12ihipStream_tbENKUlT_T0_E_clISt17integral_constantIbLb0EESY_IbLb1EEEEDaSU_SV_EUlSU_E_NS1_11comp_targetILNS1_3genE10ELNS1_11target_archE1201ELNS1_3gpuE5ELNS1_3repE0EEENS1_30default_config_static_selectorELNS0_4arch9wavefront6targetE0EEEvT1_.has_recursion, 0
	.set _ZN7rocprim17ROCPRIM_400000_NS6detail17trampoline_kernelINS0_14default_configENS1_27scan_by_key_config_selectorIiiEEZZNS1_16scan_by_key_implILNS1_25lookback_scan_determinismE0ELb1ES3_N6thrust23THRUST_200600_302600_NS6detail15normal_iteratorINS9_10device_ptrIiEEEESE_SE_iNS9_10multipliesIiEENS9_8equal_toIiEEiEE10hipError_tPvRmT2_T3_T4_T5_mT6_T7_P12ihipStream_tbENKUlT_T0_E_clISt17integral_constantIbLb0EESY_IbLb1EEEEDaSU_SV_EUlSU_E_NS1_11comp_targetILNS1_3genE10ELNS1_11target_archE1201ELNS1_3gpuE5ELNS1_3repE0EEENS1_30default_config_static_selectorELNS0_4arch9wavefront6targetE0EEEvT1_.has_indirect_call, 0
	.section	.AMDGPU.csdata,"",@progbits
; Kernel info:
; codeLenInByte = 0
; TotalNumSgprs: 0
; NumVgprs: 0
; ScratchSize: 0
; MemoryBound: 0
; FloatMode: 240
; IeeeMode: 1
; LDSByteSize: 0 bytes/workgroup (compile time only)
; SGPRBlocks: 0
; VGPRBlocks: 0
; NumSGPRsForWavesPerEU: 1
; NumVGPRsForWavesPerEU: 1
; Occupancy: 16
; WaveLimiterHint : 0
; COMPUTE_PGM_RSRC2:SCRATCH_EN: 0
; COMPUTE_PGM_RSRC2:USER_SGPR: 6
; COMPUTE_PGM_RSRC2:TRAP_HANDLER: 0
; COMPUTE_PGM_RSRC2:TGID_X_EN: 1
; COMPUTE_PGM_RSRC2:TGID_Y_EN: 0
; COMPUTE_PGM_RSRC2:TGID_Z_EN: 0
; COMPUTE_PGM_RSRC2:TIDIG_COMP_CNT: 0
	.section	.text._ZN7rocprim17ROCPRIM_400000_NS6detail17trampoline_kernelINS0_14default_configENS1_27scan_by_key_config_selectorIiiEEZZNS1_16scan_by_key_implILNS1_25lookback_scan_determinismE0ELb1ES3_N6thrust23THRUST_200600_302600_NS6detail15normal_iteratorINS9_10device_ptrIiEEEESE_SE_iNS9_10multipliesIiEENS9_8equal_toIiEEiEE10hipError_tPvRmT2_T3_T4_T5_mT6_T7_P12ihipStream_tbENKUlT_T0_E_clISt17integral_constantIbLb0EESY_IbLb1EEEEDaSU_SV_EUlSU_E_NS1_11comp_targetILNS1_3genE5ELNS1_11target_archE942ELNS1_3gpuE9ELNS1_3repE0EEENS1_30default_config_static_selectorELNS0_4arch9wavefront6targetE0EEEvT1_,"axG",@progbits,_ZN7rocprim17ROCPRIM_400000_NS6detail17trampoline_kernelINS0_14default_configENS1_27scan_by_key_config_selectorIiiEEZZNS1_16scan_by_key_implILNS1_25lookback_scan_determinismE0ELb1ES3_N6thrust23THRUST_200600_302600_NS6detail15normal_iteratorINS9_10device_ptrIiEEEESE_SE_iNS9_10multipliesIiEENS9_8equal_toIiEEiEE10hipError_tPvRmT2_T3_T4_T5_mT6_T7_P12ihipStream_tbENKUlT_T0_E_clISt17integral_constantIbLb0EESY_IbLb1EEEEDaSU_SV_EUlSU_E_NS1_11comp_targetILNS1_3genE5ELNS1_11target_archE942ELNS1_3gpuE9ELNS1_3repE0EEENS1_30default_config_static_selectorELNS0_4arch9wavefront6targetE0EEEvT1_,comdat
	.protected	_ZN7rocprim17ROCPRIM_400000_NS6detail17trampoline_kernelINS0_14default_configENS1_27scan_by_key_config_selectorIiiEEZZNS1_16scan_by_key_implILNS1_25lookback_scan_determinismE0ELb1ES3_N6thrust23THRUST_200600_302600_NS6detail15normal_iteratorINS9_10device_ptrIiEEEESE_SE_iNS9_10multipliesIiEENS9_8equal_toIiEEiEE10hipError_tPvRmT2_T3_T4_T5_mT6_T7_P12ihipStream_tbENKUlT_T0_E_clISt17integral_constantIbLb0EESY_IbLb1EEEEDaSU_SV_EUlSU_E_NS1_11comp_targetILNS1_3genE5ELNS1_11target_archE942ELNS1_3gpuE9ELNS1_3repE0EEENS1_30default_config_static_selectorELNS0_4arch9wavefront6targetE0EEEvT1_ ; -- Begin function _ZN7rocprim17ROCPRIM_400000_NS6detail17trampoline_kernelINS0_14default_configENS1_27scan_by_key_config_selectorIiiEEZZNS1_16scan_by_key_implILNS1_25lookback_scan_determinismE0ELb1ES3_N6thrust23THRUST_200600_302600_NS6detail15normal_iteratorINS9_10device_ptrIiEEEESE_SE_iNS9_10multipliesIiEENS9_8equal_toIiEEiEE10hipError_tPvRmT2_T3_T4_T5_mT6_T7_P12ihipStream_tbENKUlT_T0_E_clISt17integral_constantIbLb0EESY_IbLb1EEEEDaSU_SV_EUlSU_E_NS1_11comp_targetILNS1_3genE5ELNS1_11target_archE942ELNS1_3gpuE9ELNS1_3repE0EEENS1_30default_config_static_selectorELNS0_4arch9wavefront6targetE0EEEvT1_
	.globl	_ZN7rocprim17ROCPRIM_400000_NS6detail17trampoline_kernelINS0_14default_configENS1_27scan_by_key_config_selectorIiiEEZZNS1_16scan_by_key_implILNS1_25lookback_scan_determinismE0ELb1ES3_N6thrust23THRUST_200600_302600_NS6detail15normal_iteratorINS9_10device_ptrIiEEEESE_SE_iNS9_10multipliesIiEENS9_8equal_toIiEEiEE10hipError_tPvRmT2_T3_T4_T5_mT6_T7_P12ihipStream_tbENKUlT_T0_E_clISt17integral_constantIbLb0EESY_IbLb1EEEEDaSU_SV_EUlSU_E_NS1_11comp_targetILNS1_3genE5ELNS1_11target_archE942ELNS1_3gpuE9ELNS1_3repE0EEENS1_30default_config_static_selectorELNS0_4arch9wavefront6targetE0EEEvT1_
	.p2align	8
	.type	_ZN7rocprim17ROCPRIM_400000_NS6detail17trampoline_kernelINS0_14default_configENS1_27scan_by_key_config_selectorIiiEEZZNS1_16scan_by_key_implILNS1_25lookback_scan_determinismE0ELb1ES3_N6thrust23THRUST_200600_302600_NS6detail15normal_iteratorINS9_10device_ptrIiEEEESE_SE_iNS9_10multipliesIiEENS9_8equal_toIiEEiEE10hipError_tPvRmT2_T3_T4_T5_mT6_T7_P12ihipStream_tbENKUlT_T0_E_clISt17integral_constantIbLb0EESY_IbLb1EEEEDaSU_SV_EUlSU_E_NS1_11comp_targetILNS1_3genE5ELNS1_11target_archE942ELNS1_3gpuE9ELNS1_3repE0EEENS1_30default_config_static_selectorELNS0_4arch9wavefront6targetE0EEEvT1_,@function
_ZN7rocprim17ROCPRIM_400000_NS6detail17trampoline_kernelINS0_14default_configENS1_27scan_by_key_config_selectorIiiEEZZNS1_16scan_by_key_implILNS1_25lookback_scan_determinismE0ELb1ES3_N6thrust23THRUST_200600_302600_NS6detail15normal_iteratorINS9_10device_ptrIiEEEESE_SE_iNS9_10multipliesIiEENS9_8equal_toIiEEiEE10hipError_tPvRmT2_T3_T4_T5_mT6_T7_P12ihipStream_tbENKUlT_T0_E_clISt17integral_constantIbLb0EESY_IbLb1EEEEDaSU_SV_EUlSU_E_NS1_11comp_targetILNS1_3genE5ELNS1_11target_archE942ELNS1_3gpuE9ELNS1_3repE0EEENS1_30default_config_static_selectorELNS0_4arch9wavefront6targetE0EEEvT1_: ; @_ZN7rocprim17ROCPRIM_400000_NS6detail17trampoline_kernelINS0_14default_configENS1_27scan_by_key_config_selectorIiiEEZZNS1_16scan_by_key_implILNS1_25lookback_scan_determinismE0ELb1ES3_N6thrust23THRUST_200600_302600_NS6detail15normal_iteratorINS9_10device_ptrIiEEEESE_SE_iNS9_10multipliesIiEENS9_8equal_toIiEEiEE10hipError_tPvRmT2_T3_T4_T5_mT6_T7_P12ihipStream_tbENKUlT_T0_E_clISt17integral_constantIbLb0EESY_IbLb1EEEEDaSU_SV_EUlSU_E_NS1_11comp_targetILNS1_3genE5ELNS1_11target_archE942ELNS1_3gpuE9ELNS1_3repE0EEENS1_30default_config_static_selectorELNS0_4arch9wavefront6targetE0EEEvT1_
; %bb.0:
	.section	.rodata,"a",@progbits
	.p2align	6, 0x0
	.amdhsa_kernel _ZN7rocprim17ROCPRIM_400000_NS6detail17trampoline_kernelINS0_14default_configENS1_27scan_by_key_config_selectorIiiEEZZNS1_16scan_by_key_implILNS1_25lookback_scan_determinismE0ELb1ES3_N6thrust23THRUST_200600_302600_NS6detail15normal_iteratorINS9_10device_ptrIiEEEESE_SE_iNS9_10multipliesIiEENS9_8equal_toIiEEiEE10hipError_tPvRmT2_T3_T4_T5_mT6_T7_P12ihipStream_tbENKUlT_T0_E_clISt17integral_constantIbLb0EESY_IbLb1EEEEDaSU_SV_EUlSU_E_NS1_11comp_targetILNS1_3genE5ELNS1_11target_archE942ELNS1_3gpuE9ELNS1_3repE0EEENS1_30default_config_static_selectorELNS0_4arch9wavefront6targetE0EEEvT1_
		.amdhsa_group_segment_fixed_size 0
		.amdhsa_private_segment_fixed_size 0
		.amdhsa_kernarg_size 112
		.amdhsa_user_sgpr_count 6
		.amdhsa_user_sgpr_private_segment_buffer 1
		.amdhsa_user_sgpr_dispatch_ptr 0
		.amdhsa_user_sgpr_queue_ptr 0
		.amdhsa_user_sgpr_kernarg_segment_ptr 1
		.amdhsa_user_sgpr_dispatch_id 0
		.amdhsa_user_sgpr_flat_scratch_init 0
		.amdhsa_user_sgpr_private_segment_size 0
		.amdhsa_wavefront_size32 1
		.amdhsa_uses_dynamic_stack 0
		.amdhsa_system_sgpr_private_segment_wavefront_offset 0
		.amdhsa_system_sgpr_workgroup_id_x 1
		.amdhsa_system_sgpr_workgroup_id_y 0
		.amdhsa_system_sgpr_workgroup_id_z 0
		.amdhsa_system_sgpr_workgroup_info 0
		.amdhsa_system_vgpr_workitem_id 0
		.amdhsa_next_free_vgpr 1
		.amdhsa_next_free_sgpr 1
		.amdhsa_reserve_vcc 0
		.amdhsa_reserve_flat_scratch 0
		.amdhsa_float_round_mode_32 0
		.amdhsa_float_round_mode_16_64 0
		.amdhsa_float_denorm_mode_32 3
		.amdhsa_float_denorm_mode_16_64 3
		.amdhsa_dx10_clamp 1
		.amdhsa_ieee_mode 1
		.amdhsa_fp16_overflow 0
		.amdhsa_workgroup_processor_mode 1
		.amdhsa_memory_ordered 1
		.amdhsa_forward_progress 1
		.amdhsa_shared_vgpr_count 0
		.amdhsa_exception_fp_ieee_invalid_op 0
		.amdhsa_exception_fp_denorm_src 0
		.amdhsa_exception_fp_ieee_div_zero 0
		.amdhsa_exception_fp_ieee_overflow 0
		.amdhsa_exception_fp_ieee_underflow 0
		.amdhsa_exception_fp_ieee_inexact 0
		.amdhsa_exception_int_div_zero 0
	.end_amdhsa_kernel
	.section	.text._ZN7rocprim17ROCPRIM_400000_NS6detail17trampoline_kernelINS0_14default_configENS1_27scan_by_key_config_selectorIiiEEZZNS1_16scan_by_key_implILNS1_25lookback_scan_determinismE0ELb1ES3_N6thrust23THRUST_200600_302600_NS6detail15normal_iteratorINS9_10device_ptrIiEEEESE_SE_iNS9_10multipliesIiEENS9_8equal_toIiEEiEE10hipError_tPvRmT2_T3_T4_T5_mT6_T7_P12ihipStream_tbENKUlT_T0_E_clISt17integral_constantIbLb0EESY_IbLb1EEEEDaSU_SV_EUlSU_E_NS1_11comp_targetILNS1_3genE5ELNS1_11target_archE942ELNS1_3gpuE9ELNS1_3repE0EEENS1_30default_config_static_selectorELNS0_4arch9wavefront6targetE0EEEvT1_,"axG",@progbits,_ZN7rocprim17ROCPRIM_400000_NS6detail17trampoline_kernelINS0_14default_configENS1_27scan_by_key_config_selectorIiiEEZZNS1_16scan_by_key_implILNS1_25lookback_scan_determinismE0ELb1ES3_N6thrust23THRUST_200600_302600_NS6detail15normal_iteratorINS9_10device_ptrIiEEEESE_SE_iNS9_10multipliesIiEENS9_8equal_toIiEEiEE10hipError_tPvRmT2_T3_T4_T5_mT6_T7_P12ihipStream_tbENKUlT_T0_E_clISt17integral_constantIbLb0EESY_IbLb1EEEEDaSU_SV_EUlSU_E_NS1_11comp_targetILNS1_3genE5ELNS1_11target_archE942ELNS1_3gpuE9ELNS1_3repE0EEENS1_30default_config_static_selectorELNS0_4arch9wavefront6targetE0EEEvT1_,comdat
.Lfunc_end526:
	.size	_ZN7rocprim17ROCPRIM_400000_NS6detail17trampoline_kernelINS0_14default_configENS1_27scan_by_key_config_selectorIiiEEZZNS1_16scan_by_key_implILNS1_25lookback_scan_determinismE0ELb1ES3_N6thrust23THRUST_200600_302600_NS6detail15normal_iteratorINS9_10device_ptrIiEEEESE_SE_iNS9_10multipliesIiEENS9_8equal_toIiEEiEE10hipError_tPvRmT2_T3_T4_T5_mT6_T7_P12ihipStream_tbENKUlT_T0_E_clISt17integral_constantIbLb0EESY_IbLb1EEEEDaSU_SV_EUlSU_E_NS1_11comp_targetILNS1_3genE5ELNS1_11target_archE942ELNS1_3gpuE9ELNS1_3repE0EEENS1_30default_config_static_selectorELNS0_4arch9wavefront6targetE0EEEvT1_, .Lfunc_end526-_ZN7rocprim17ROCPRIM_400000_NS6detail17trampoline_kernelINS0_14default_configENS1_27scan_by_key_config_selectorIiiEEZZNS1_16scan_by_key_implILNS1_25lookback_scan_determinismE0ELb1ES3_N6thrust23THRUST_200600_302600_NS6detail15normal_iteratorINS9_10device_ptrIiEEEESE_SE_iNS9_10multipliesIiEENS9_8equal_toIiEEiEE10hipError_tPvRmT2_T3_T4_T5_mT6_T7_P12ihipStream_tbENKUlT_T0_E_clISt17integral_constantIbLb0EESY_IbLb1EEEEDaSU_SV_EUlSU_E_NS1_11comp_targetILNS1_3genE5ELNS1_11target_archE942ELNS1_3gpuE9ELNS1_3repE0EEENS1_30default_config_static_selectorELNS0_4arch9wavefront6targetE0EEEvT1_
                                        ; -- End function
	.set _ZN7rocprim17ROCPRIM_400000_NS6detail17trampoline_kernelINS0_14default_configENS1_27scan_by_key_config_selectorIiiEEZZNS1_16scan_by_key_implILNS1_25lookback_scan_determinismE0ELb1ES3_N6thrust23THRUST_200600_302600_NS6detail15normal_iteratorINS9_10device_ptrIiEEEESE_SE_iNS9_10multipliesIiEENS9_8equal_toIiEEiEE10hipError_tPvRmT2_T3_T4_T5_mT6_T7_P12ihipStream_tbENKUlT_T0_E_clISt17integral_constantIbLb0EESY_IbLb1EEEEDaSU_SV_EUlSU_E_NS1_11comp_targetILNS1_3genE5ELNS1_11target_archE942ELNS1_3gpuE9ELNS1_3repE0EEENS1_30default_config_static_selectorELNS0_4arch9wavefront6targetE0EEEvT1_.num_vgpr, 0
	.set _ZN7rocprim17ROCPRIM_400000_NS6detail17trampoline_kernelINS0_14default_configENS1_27scan_by_key_config_selectorIiiEEZZNS1_16scan_by_key_implILNS1_25lookback_scan_determinismE0ELb1ES3_N6thrust23THRUST_200600_302600_NS6detail15normal_iteratorINS9_10device_ptrIiEEEESE_SE_iNS9_10multipliesIiEENS9_8equal_toIiEEiEE10hipError_tPvRmT2_T3_T4_T5_mT6_T7_P12ihipStream_tbENKUlT_T0_E_clISt17integral_constantIbLb0EESY_IbLb1EEEEDaSU_SV_EUlSU_E_NS1_11comp_targetILNS1_3genE5ELNS1_11target_archE942ELNS1_3gpuE9ELNS1_3repE0EEENS1_30default_config_static_selectorELNS0_4arch9wavefront6targetE0EEEvT1_.num_agpr, 0
	.set _ZN7rocprim17ROCPRIM_400000_NS6detail17trampoline_kernelINS0_14default_configENS1_27scan_by_key_config_selectorIiiEEZZNS1_16scan_by_key_implILNS1_25lookback_scan_determinismE0ELb1ES3_N6thrust23THRUST_200600_302600_NS6detail15normal_iteratorINS9_10device_ptrIiEEEESE_SE_iNS9_10multipliesIiEENS9_8equal_toIiEEiEE10hipError_tPvRmT2_T3_T4_T5_mT6_T7_P12ihipStream_tbENKUlT_T0_E_clISt17integral_constantIbLb0EESY_IbLb1EEEEDaSU_SV_EUlSU_E_NS1_11comp_targetILNS1_3genE5ELNS1_11target_archE942ELNS1_3gpuE9ELNS1_3repE0EEENS1_30default_config_static_selectorELNS0_4arch9wavefront6targetE0EEEvT1_.numbered_sgpr, 0
	.set _ZN7rocprim17ROCPRIM_400000_NS6detail17trampoline_kernelINS0_14default_configENS1_27scan_by_key_config_selectorIiiEEZZNS1_16scan_by_key_implILNS1_25lookback_scan_determinismE0ELb1ES3_N6thrust23THRUST_200600_302600_NS6detail15normal_iteratorINS9_10device_ptrIiEEEESE_SE_iNS9_10multipliesIiEENS9_8equal_toIiEEiEE10hipError_tPvRmT2_T3_T4_T5_mT6_T7_P12ihipStream_tbENKUlT_T0_E_clISt17integral_constantIbLb0EESY_IbLb1EEEEDaSU_SV_EUlSU_E_NS1_11comp_targetILNS1_3genE5ELNS1_11target_archE942ELNS1_3gpuE9ELNS1_3repE0EEENS1_30default_config_static_selectorELNS0_4arch9wavefront6targetE0EEEvT1_.num_named_barrier, 0
	.set _ZN7rocprim17ROCPRIM_400000_NS6detail17trampoline_kernelINS0_14default_configENS1_27scan_by_key_config_selectorIiiEEZZNS1_16scan_by_key_implILNS1_25lookback_scan_determinismE0ELb1ES3_N6thrust23THRUST_200600_302600_NS6detail15normal_iteratorINS9_10device_ptrIiEEEESE_SE_iNS9_10multipliesIiEENS9_8equal_toIiEEiEE10hipError_tPvRmT2_T3_T4_T5_mT6_T7_P12ihipStream_tbENKUlT_T0_E_clISt17integral_constantIbLb0EESY_IbLb1EEEEDaSU_SV_EUlSU_E_NS1_11comp_targetILNS1_3genE5ELNS1_11target_archE942ELNS1_3gpuE9ELNS1_3repE0EEENS1_30default_config_static_selectorELNS0_4arch9wavefront6targetE0EEEvT1_.private_seg_size, 0
	.set _ZN7rocprim17ROCPRIM_400000_NS6detail17trampoline_kernelINS0_14default_configENS1_27scan_by_key_config_selectorIiiEEZZNS1_16scan_by_key_implILNS1_25lookback_scan_determinismE0ELb1ES3_N6thrust23THRUST_200600_302600_NS6detail15normal_iteratorINS9_10device_ptrIiEEEESE_SE_iNS9_10multipliesIiEENS9_8equal_toIiEEiEE10hipError_tPvRmT2_T3_T4_T5_mT6_T7_P12ihipStream_tbENKUlT_T0_E_clISt17integral_constantIbLb0EESY_IbLb1EEEEDaSU_SV_EUlSU_E_NS1_11comp_targetILNS1_3genE5ELNS1_11target_archE942ELNS1_3gpuE9ELNS1_3repE0EEENS1_30default_config_static_selectorELNS0_4arch9wavefront6targetE0EEEvT1_.uses_vcc, 0
	.set _ZN7rocprim17ROCPRIM_400000_NS6detail17trampoline_kernelINS0_14default_configENS1_27scan_by_key_config_selectorIiiEEZZNS1_16scan_by_key_implILNS1_25lookback_scan_determinismE0ELb1ES3_N6thrust23THRUST_200600_302600_NS6detail15normal_iteratorINS9_10device_ptrIiEEEESE_SE_iNS9_10multipliesIiEENS9_8equal_toIiEEiEE10hipError_tPvRmT2_T3_T4_T5_mT6_T7_P12ihipStream_tbENKUlT_T0_E_clISt17integral_constantIbLb0EESY_IbLb1EEEEDaSU_SV_EUlSU_E_NS1_11comp_targetILNS1_3genE5ELNS1_11target_archE942ELNS1_3gpuE9ELNS1_3repE0EEENS1_30default_config_static_selectorELNS0_4arch9wavefront6targetE0EEEvT1_.uses_flat_scratch, 0
	.set _ZN7rocprim17ROCPRIM_400000_NS6detail17trampoline_kernelINS0_14default_configENS1_27scan_by_key_config_selectorIiiEEZZNS1_16scan_by_key_implILNS1_25lookback_scan_determinismE0ELb1ES3_N6thrust23THRUST_200600_302600_NS6detail15normal_iteratorINS9_10device_ptrIiEEEESE_SE_iNS9_10multipliesIiEENS9_8equal_toIiEEiEE10hipError_tPvRmT2_T3_T4_T5_mT6_T7_P12ihipStream_tbENKUlT_T0_E_clISt17integral_constantIbLb0EESY_IbLb1EEEEDaSU_SV_EUlSU_E_NS1_11comp_targetILNS1_3genE5ELNS1_11target_archE942ELNS1_3gpuE9ELNS1_3repE0EEENS1_30default_config_static_selectorELNS0_4arch9wavefront6targetE0EEEvT1_.has_dyn_sized_stack, 0
	.set _ZN7rocprim17ROCPRIM_400000_NS6detail17trampoline_kernelINS0_14default_configENS1_27scan_by_key_config_selectorIiiEEZZNS1_16scan_by_key_implILNS1_25lookback_scan_determinismE0ELb1ES3_N6thrust23THRUST_200600_302600_NS6detail15normal_iteratorINS9_10device_ptrIiEEEESE_SE_iNS9_10multipliesIiEENS9_8equal_toIiEEiEE10hipError_tPvRmT2_T3_T4_T5_mT6_T7_P12ihipStream_tbENKUlT_T0_E_clISt17integral_constantIbLb0EESY_IbLb1EEEEDaSU_SV_EUlSU_E_NS1_11comp_targetILNS1_3genE5ELNS1_11target_archE942ELNS1_3gpuE9ELNS1_3repE0EEENS1_30default_config_static_selectorELNS0_4arch9wavefront6targetE0EEEvT1_.has_recursion, 0
	.set _ZN7rocprim17ROCPRIM_400000_NS6detail17trampoline_kernelINS0_14default_configENS1_27scan_by_key_config_selectorIiiEEZZNS1_16scan_by_key_implILNS1_25lookback_scan_determinismE0ELb1ES3_N6thrust23THRUST_200600_302600_NS6detail15normal_iteratorINS9_10device_ptrIiEEEESE_SE_iNS9_10multipliesIiEENS9_8equal_toIiEEiEE10hipError_tPvRmT2_T3_T4_T5_mT6_T7_P12ihipStream_tbENKUlT_T0_E_clISt17integral_constantIbLb0EESY_IbLb1EEEEDaSU_SV_EUlSU_E_NS1_11comp_targetILNS1_3genE5ELNS1_11target_archE942ELNS1_3gpuE9ELNS1_3repE0EEENS1_30default_config_static_selectorELNS0_4arch9wavefront6targetE0EEEvT1_.has_indirect_call, 0
	.section	.AMDGPU.csdata,"",@progbits
; Kernel info:
; codeLenInByte = 0
; TotalNumSgprs: 0
; NumVgprs: 0
; ScratchSize: 0
; MemoryBound: 0
; FloatMode: 240
; IeeeMode: 1
; LDSByteSize: 0 bytes/workgroup (compile time only)
; SGPRBlocks: 0
; VGPRBlocks: 0
; NumSGPRsForWavesPerEU: 1
; NumVGPRsForWavesPerEU: 1
; Occupancy: 16
; WaveLimiterHint : 0
; COMPUTE_PGM_RSRC2:SCRATCH_EN: 0
; COMPUTE_PGM_RSRC2:USER_SGPR: 6
; COMPUTE_PGM_RSRC2:TRAP_HANDLER: 0
; COMPUTE_PGM_RSRC2:TGID_X_EN: 1
; COMPUTE_PGM_RSRC2:TGID_Y_EN: 0
; COMPUTE_PGM_RSRC2:TGID_Z_EN: 0
; COMPUTE_PGM_RSRC2:TIDIG_COMP_CNT: 0
	.section	.text._ZN7rocprim17ROCPRIM_400000_NS6detail17trampoline_kernelINS0_14default_configENS1_27scan_by_key_config_selectorIiiEEZZNS1_16scan_by_key_implILNS1_25lookback_scan_determinismE0ELb1ES3_N6thrust23THRUST_200600_302600_NS6detail15normal_iteratorINS9_10device_ptrIiEEEESE_SE_iNS9_10multipliesIiEENS9_8equal_toIiEEiEE10hipError_tPvRmT2_T3_T4_T5_mT6_T7_P12ihipStream_tbENKUlT_T0_E_clISt17integral_constantIbLb0EESY_IbLb1EEEEDaSU_SV_EUlSU_E_NS1_11comp_targetILNS1_3genE4ELNS1_11target_archE910ELNS1_3gpuE8ELNS1_3repE0EEENS1_30default_config_static_selectorELNS0_4arch9wavefront6targetE0EEEvT1_,"axG",@progbits,_ZN7rocprim17ROCPRIM_400000_NS6detail17trampoline_kernelINS0_14default_configENS1_27scan_by_key_config_selectorIiiEEZZNS1_16scan_by_key_implILNS1_25lookback_scan_determinismE0ELb1ES3_N6thrust23THRUST_200600_302600_NS6detail15normal_iteratorINS9_10device_ptrIiEEEESE_SE_iNS9_10multipliesIiEENS9_8equal_toIiEEiEE10hipError_tPvRmT2_T3_T4_T5_mT6_T7_P12ihipStream_tbENKUlT_T0_E_clISt17integral_constantIbLb0EESY_IbLb1EEEEDaSU_SV_EUlSU_E_NS1_11comp_targetILNS1_3genE4ELNS1_11target_archE910ELNS1_3gpuE8ELNS1_3repE0EEENS1_30default_config_static_selectorELNS0_4arch9wavefront6targetE0EEEvT1_,comdat
	.protected	_ZN7rocprim17ROCPRIM_400000_NS6detail17trampoline_kernelINS0_14default_configENS1_27scan_by_key_config_selectorIiiEEZZNS1_16scan_by_key_implILNS1_25lookback_scan_determinismE0ELb1ES3_N6thrust23THRUST_200600_302600_NS6detail15normal_iteratorINS9_10device_ptrIiEEEESE_SE_iNS9_10multipliesIiEENS9_8equal_toIiEEiEE10hipError_tPvRmT2_T3_T4_T5_mT6_T7_P12ihipStream_tbENKUlT_T0_E_clISt17integral_constantIbLb0EESY_IbLb1EEEEDaSU_SV_EUlSU_E_NS1_11comp_targetILNS1_3genE4ELNS1_11target_archE910ELNS1_3gpuE8ELNS1_3repE0EEENS1_30default_config_static_selectorELNS0_4arch9wavefront6targetE0EEEvT1_ ; -- Begin function _ZN7rocprim17ROCPRIM_400000_NS6detail17trampoline_kernelINS0_14default_configENS1_27scan_by_key_config_selectorIiiEEZZNS1_16scan_by_key_implILNS1_25lookback_scan_determinismE0ELb1ES3_N6thrust23THRUST_200600_302600_NS6detail15normal_iteratorINS9_10device_ptrIiEEEESE_SE_iNS9_10multipliesIiEENS9_8equal_toIiEEiEE10hipError_tPvRmT2_T3_T4_T5_mT6_T7_P12ihipStream_tbENKUlT_T0_E_clISt17integral_constantIbLb0EESY_IbLb1EEEEDaSU_SV_EUlSU_E_NS1_11comp_targetILNS1_3genE4ELNS1_11target_archE910ELNS1_3gpuE8ELNS1_3repE0EEENS1_30default_config_static_selectorELNS0_4arch9wavefront6targetE0EEEvT1_
	.globl	_ZN7rocprim17ROCPRIM_400000_NS6detail17trampoline_kernelINS0_14default_configENS1_27scan_by_key_config_selectorIiiEEZZNS1_16scan_by_key_implILNS1_25lookback_scan_determinismE0ELb1ES3_N6thrust23THRUST_200600_302600_NS6detail15normal_iteratorINS9_10device_ptrIiEEEESE_SE_iNS9_10multipliesIiEENS9_8equal_toIiEEiEE10hipError_tPvRmT2_T3_T4_T5_mT6_T7_P12ihipStream_tbENKUlT_T0_E_clISt17integral_constantIbLb0EESY_IbLb1EEEEDaSU_SV_EUlSU_E_NS1_11comp_targetILNS1_3genE4ELNS1_11target_archE910ELNS1_3gpuE8ELNS1_3repE0EEENS1_30default_config_static_selectorELNS0_4arch9wavefront6targetE0EEEvT1_
	.p2align	8
	.type	_ZN7rocprim17ROCPRIM_400000_NS6detail17trampoline_kernelINS0_14default_configENS1_27scan_by_key_config_selectorIiiEEZZNS1_16scan_by_key_implILNS1_25lookback_scan_determinismE0ELb1ES3_N6thrust23THRUST_200600_302600_NS6detail15normal_iteratorINS9_10device_ptrIiEEEESE_SE_iNS9_10multipliesIiEENS9_8equal_toIiEEiEE10hipError_tPvRmT2_T3_T4_T5_mT6_T7_P12ihipStream_tbENKUlT_T0_E_clISt17integral_constantIbLb0EESY_IbLb1EEEEDaSU_SV_EUlSU_E_NS1_11comp_targetILNS1_3genE4ELNS1_11target_archE910ELNS1_3gpuE8ELNS1_3repE0EEENS1_30default_config_static_selectorELNS0_4arch9wavefront6targetE0EEEvT1_,@function
_ZN7rocprim17ROCPRIM_400000_NS6detail17trampoline_kernelINS0_14default_configENS1_27scan_by_key_config_selectorIiiEEZZNS1_16scan_by_key_implILNS1_25lookback_scan_determinismE0ELb1ES3_N6thrust23THRUST_200600_302600_NS6detail15normal_iteratorINS9_10device_ptrIiEEEESE_SE_iNS9_10multipliesIiEENS9_8equal_toIiEEiEE10hipError_tPvRmT2_T3_T4_T5_mT6_T7_P12ihipStream_tbENKUlT_T0_E_clISt17integral_constantIbLb0EESY_IbLb1EEEEDaSU_SV_EUlSU_E_NS1_11comp_targetILNS1_3genE4ELNS1_11target_archE910ELNS1_3gpuE8ELNS1_3repE0EEENS1_30default_config_static_selectorELNS0_4arch9wavefront6targetE0EEEvT1_: ; @_ZN7rocprim17ROCPRIM_400000_NS6detail17trampoline_kernelINS0_14default_configENS1_27scan_by_key_config_selectorIiiEEZZNS1_16scan_by_key_implILNS1_25lookback_scan_determinismE0ELb1ES3_N6thrust23THRUST_200600_302600_NS6detail15normal_iteratorINS9_10device_ptrIiEEEESE_SE_iNS9_10multipliesIiEENS9_8equal_toIiEEiEE10hipError_tPvRmT2_T3_T4_T5_mT6_T7_P12ihipStream_tbENKUlT_T0_E_clISt17integral_constantIbLb0EESY_IbLb1EEEEDaSU_SV_EUlSU_E_NS1_11comp_targetILNS1_3genE4ELNS1_11target_archE910ELNS1_3gpuE8ELNS1_3repE0EEENS1_30default_config_static_selectorELNS0_4arch9wavefront6targetE0EEEvT1_
; %bb.0:
	.section	.rodata,"a",@progbits
	.p2align	6, 0x0
	.amdhsa_kernel _ZN7rocprim17ROCPRIM_400000_NS6detail17trampoline_kernelINS0_14default_configENS1_27scan_by_key_config_selectorIiiEEZZNS1_16scan_by_key_implILNS1_25lookback_scan_determinismE0ELb1ES3_N6thrust23THRUST_200600_302600_NS6detail15normal_iteratorINS9_10device_ptrIiEEEESE_SE_iNS9_10multipliesIiEENS9_8equal_toIiEEiEE10hipError_tPvRmT2_T3_T4_T5_mT6_T7_P12ihipStream_tbENKUlT_T0_E_clISt17integral_constantIbLb0EESY_IbLb1EEEEDaSU_SV_EUlSU_E_NS1_11comp_targetILNS1_3genE4ELNS1_11target_archE910ELNS1_3gpuE8ELNS1_3repE0EEENS1_30default_config_static_selectorELNS0_4arch9wavefront6targetE0EEEvT1_
		.amdhsa_group_segment_fixed_size 0
		.amdhsa_private_segment_fixed_size 0
		.amdhsa_kernarg_size 112
		.amdhsa_user_sgpr_count 6
		.amdhsa_user_sgpr_private_segment_buffer 1
		.amdhsa_user_sgpr_dispatch_ptr 0
		.amdhsa_user_sgpr_queue_ptr 0
		.amdhsa_user_sgpr_kernarg_segment_ptr 1
		.amdhsa_user_sgpr_dispatch_id 0
		.amdhsa_user_sgpr_flat_scratch_init 0
		.amdhsa_user_sgpr_private_segment_size 0
		.amdhsa_wavefront_size32 1
		.amdhsa_uses_dynamic_stack 0
		.amdhsa_system_sgpr_private_segment_wavefront_offset 0
		.amdhsa_system_sgpr_workgroup_id_x 1
		.amdhsa_system_sgpr_workgroup_id_y 0
		.amdhsa_system_sgpr_workgroup_id_z 0
		.amdhsa_system_sgpr_workgroup_info 0
		.amdhsa_system_vgpr_workitem_id 0
		.amdhsa_next_free_vgpr 1
		.amdhsa_next_free_sgpr 1
		.amdhsa_reserve_vcc 0
		.amdhsa_reserve_flat_scratch 0
		.amdhsa_float_round_mode_32 0
		.amdhsa_float_round_mode_16_64 0
		.amdhsa_float_denorm_mode_32 3
		.amdhsa_float_denorm_mode_16_64 3
		.amdhsa_dx10_clamp 1
		.amdhsa_ieee_mode 1
		.amdhsa_fp16_overflow 0
		.amdhsa_workgroup_processor_mode 1
		.amdhsa_memory_ordered 1
		.amdhsa_forward_progress 1
		.amdhsa_shared_vgpr_count 0
		.amdhsa_exception_fp_ieee_invalid_op 0
		.amdhsa_exception_fp_denorm_src 0
		.amdhsa_exception_fp_ieee_div_zero 0
		.amdhsa_exception_fp_ieee_overflow 0
		.amdhsa_exception_fp_ieee_underflow 0
		.amdhsa_exception_fp_ieee_inexact 0
		.amdhsa_exception_int_div_zero 0
	.end_amdhsa_kernel
	.section	.text._ZN7rocprim17ROCPRIM_400000_NS6detail17trampoline_kernelINS0_14default_configENS1_27scan_by_key_config_selectorIiiEEZZNS1_16scan_by_key_implILNS1_25lookback_scan_determinismE0ELb1ES3_N6thrust23THRUST_200600_302600_NS6detail15normal_iteratorINS9_10device_ptrIiEEEESE_SE_iNS9_10multipliesIiEENS9_8equal_toIiEEiEE10hipError_tPvRmT2_T3_T4_T5_mT6_T7_P12ihipStream_tbENKUlT_T0_E_clISt17integral_constantIbLb0EESY_IbLb1EEEEDaSU_SV_EUlSU_E_NS1_11comp_targetILNS1_3genE4ELNS1_11target_archE910ELNS1_3gpuE8ELNS1_3repE0EEENS1_30default_config_static_selectorELNS0_4arch9wavefront6targetE0EEEvT1_,"axG",@progbits,_ZN7rocprim17ROCPRIM_400000_NS6detail17trampoline_kernelINS0_14default_configENS1_27scan_by_key_config_selectorIiiEEZZNS1_16scan_by_key_implILNS1_25lookback_scan_determinismE0ELb1ES3_N6thrust23THRUST_200600_302600_NS6detail15normal_iteratorINS9_10device_ptrIiEEEESE_SE_iNS9_10multipliesIiEENS9_8equal_toIiEEiEE10hipError_tPvRmT2_T3_T4_T5_mT6_T7_P12ihipStream_tbENKUlT_T0_E_clISt17integral_constantIbLb0EESY_IbLb1EEEEDaSU_SV_EUlSU_E_NS1_11comp_targetILNS1_3genE4ELNS1_11target_archE910ELNS1_3gpuE8ELNS1_3repE0EEENS1_30default_config_static_selectorELNS0_4arch9wavefront6targetE0EEEvT1_,comdat
.Lfunc_end527:
	.size	_ZN7rocprim17ROCPRIM_400000_NS6detail17trampoline_kernelINS0_14default_configENS1_27scan_by_key_config_selectorIiiEEZZNS1_16scan_by_key_implILNS1_25lookback_scan_determinismE0ELb1ES3_N6thrust23THRUST_200600_302600_NS6detail15normal_iteratorINS9_10device_ptrIiEEEESE_SE_iNS9_10multipliesIiEENS9_8equal_toIiEEiEE10hipError_tPvRmT2_T3_T4_T5_mT6_T7_P12ihipStream_tbENKUlT_T0_E_clISt17integral_constantIbLb0EESY_IbLb1EEEEDaSU_SV_EUlSU_E_NS1_11comp_targetILNS1_3genE4ELNS1_11target_archE910ELNS1_3gpuE8ELNS1_3repE0EEENS1_30default_config_static_selectorELNS0_4arch9wavefront6targetE0EEEvT1_, .Lfunc_end527-_ZN7rocprim17ROCPRIM_400000_NS6detail17trampoline_kernelINS0_14default_configENS1_27scan_by_key_config_selectorIiiEEZZNS1_16scan_by_key_implILNS1_25lookback_scan_determinismE0ELb1ES3_N6thrust23THRUST_200600_302600_NS6detail15normal_iteratorINS9_10device_ptrIiEEEESE_SE_iNS9_10multipliesIiEENS9_8equal_toIiEEiEE10hipError_tPvRmT2_T3_T4_T5_mT6_T7_P12ihipStream_tbENKUlT_T0_E_clISt17integral_constantIbLb0EESY_IbLb1EEEEDaSU_SV_EUlSU_E_NS1_11comp_targetILNS1_3genE4ELNS1_11target_archE910ELNS1_3gpuE8ELNS1_3repE0EEENS1_30default_config_static_selectorELNS0_4arch9wavefront6targetE0EEEvT1_
                                        ; -- End function
	.set _ZN7rocprim17ROCPRIM_400000_NS6detail17trampoline_kernelINS0_14default_configENS1_27scan_by_key_config_selectorIiiEEZZNS1_16scan_by_key_implILNS1_25lookback_scan_determinismE0ELb1ES3_N6thrust23THRUST_200600_302600_NS6detail15normal_iteratorINS9_10device_ptrIiEEEESE_SE_iNS9_10multipliesIiEENS9_8equal_toIiEEiEE10hipError_tPvRmT2_T3_T4_T5_mT6_T7_P12ihipStream_tbENKUlT_T0_E_clISt17integral_constantIbLb0EESY_IbLb1EEEEDaSU_SV_EUlSU_E_NS1_11comp_targetILNS1_3genE4ELNS1_11target_archE910ELNS1_3gpuE8ELNS1_3repE0EEENS1_30default_config_static_selectorELNS0_4arch9wavefront6targetE0EEEvT1_.num_vgpr, 0
	.set _ZN7rocprim17ROCPRIM_400000_NS6detail17trampoline_kernelINS0_14default_configENS1_27scan_by_key_config_selectorIiiEEZZNS1_16scan_by_key_implILNS1_25lookback_scan_determinismE0ELb1ES3_N6thrust23THRUST_200600_302600_NS6detail15normal_iteratorINS9_10device_ptrIiEEEESE_SE_iNS9_10multipliesIiEENS9_8equal_toIiEEiEE10hipError_tPvRmT2_T3_T4_T5_mT6_T7_P12ihipStream_tbENKUlT_T0_E_clISt17integral_constantIbLb0EESY_IbLb1EEEEDaSU_SV_EUlSU_E_NS1_11comp_targetILNS1_3genE4ELNS1_11target_archE910ELNS1_3gpuE8ELNS1_3repE0EEENS1_30default_config_static_selectorELNS0_4arch9wavefront6targetE0EEEvT1_.num_agpr, 0
	.set _ZN7rocprim17ROCPRIM_400000_NS6detail17trampoline_kernelINS0_14default_configENS1_27scan_by_key_config_selectorIiiEEZZNS1_16scan_by_key_implILNS1_25lookback_scan_determinismE0ELb1ES3_N6thrust23THRUST_200600_302600_NS6detail15normal_iteratorINS9_10device_ptrIiEEEESE_SE_iNS9_10multipliesIiEENS9_8equal_toIiEEiEE10hipError_tPvRmT2_T3_T4_T5_mT6_T7_P12ihipStream_tbENKUlT_T0_E_clISt17integral_constantIbLb0EESY_IbLb1EEEEDaSU_SV_EUlSU_E_NS1_11comp_targetILNS1_3genE4ELNS1_11target_archE910ELNS1_3gpuE8ELNS1_3repE0EEENS1_30default_config_static_selectorELNS0_4arch9wavefront6targetE0EEEvT1_.numbered_sgpr, 0
	.set _ZN7rocprim17ROCPRIM_400000_NS6detail17trampoline_kernelINS0_14default_configENS1_27scan_by_key_config_selectorIiiEEZZNS1_16scan_by_key_implILNS1_25lookback_scan_determinismE0ELb1ES3_N6thrust23THRUST_200600_302600_NS6detail15normal_iteratorINS9_10device_ptrIiEEEESE_SE_iNS9_10multipliesIiEENS9_8equal_toIiEEiEE10hipError_tPvRmT2_T3_T4_T5_mT6_T7_P12ihipStream_tbENKUlT_T0_E_clISt17integral_constantIbLb0EESY_IbLb1EEEEDaSU_SV_EUlSU_E_NS1_11comp_targetILNS1_3genE4ELNS1_11target_archE910ELNS1_3gpuE8ELNS1_3repE0EEENS1_30default_config_static_selectorELNS0_4arch9wavefront6targetE0EEEvT1_.num_named_barrier, 0
	.set _ZN7rocprim17ROCPRIM_400000_NS6detail17trampoline_kernelINS0_14default_configENS1_27scan_by_key_config_selectorIiiEEZZNS1_16scan_by_key_implILNS1_25lookback_scan_determinismE0ELb1ES3_N6thrust23THRUST_200600_302600_NS6detail15normal_iteratorINS9_10device_ptrIiEEEESE_SE_iNS9_10multipliesIiEENS9_8equal_toIiEEiEE10hipError_tPvRmT2_T3_T4_T5_mT6_T7_P12ihipStream_tbENKUlT_T0_E_clISt17integral_constantIbLb0EESY_IbLb1EEEEDaSU_SV_EUlSU_E_NS1_11comp_targetILNS1_3genE4ELNS1_11target_archE910ELNS1_3gpuE8ELNS1_3repE0EEENS1_30default_config_static_selectorELNS0_4arch9wavefront6targetE0EEEvT1_.private_seg_size, 0
	.set _ZN7rocprim17ROCPRIM_400000_NS6detail17trampoline_kernelINS0_14default_configENS1_27scan_by_key_config_selectorIiiEEZZNS1_16scan_by_key_implILNS1_25lookback_scan_determinismE0ELb1ES3_N6thrust23THRUST_200600_302600_NS6detail15normal_iteratorINS9_10device_ptrIiEEEESE_SE_iNS9_10multipliesIiEENS9_8equal_toIiEEiEE10hipError_tPvRmT2_T3_T4_T5_mT6_T7_P12ihipStream_tbENKUlT_T0_E_clISt17integral_constantIbLb0EESY_IbLb1EEEEDaSU_SV_EUlSU_E_NS1_11comp_targetILNS1_3genE4ELNS1_11target_archE910ELNS1_3gpuE8ELNS1_3repE0EEENS1_30default_config_static_selectorELNS0_4arch9wavefront6targetE0EEEvT1_.uses_vcc, 0
	.set _ZN7rocprim17ROCPRIM_400000_NS6detail17trampoline_kernelINS0_14default_configENS1_27scan_by_key_config_selectorIiiEEZZNS1_16scan_by_key_implILNS1_25lookback_scan_determinismE0ELb1ES3_N6thrust23THRUST_200600_302600_NS6detail15normal_iteratorINS9_10device_ptrIiEEEESE_SE_iNS9_10multipliesIiEENS9_8equal_toIiEEiEE10hipError_tPvRmT2_T3_T4_T5_mT6_T7_P12ihipStream_tbENKUlT_T0_E_clISt17integral_constantIbLb0EESY_IbLb1EEEEDaSU_SV_EUlSU_E_NS1_11comp_targetILNS1_3genE4ELNS1_11target_archE910ELNS1_3gpuE8ELNS1_3repE0EEENS1_30default_config_static_selectorELNS0_4arch9wavefront6targetE0EEEvT1_.uses_flat_scratch, 0
	.set _ZN7rocprim17ROCPRIM_400000_NS6detail17trampoline_kernelINS0_14default_configENS1_27scan_by_key_config_selectorIiiEEZZNS1_16scan_by_key_implILNS1_25lookback_scan_determinismE0ELb1ES3_N6thrust23THRUST_200600_302600_NS6detail15normal_iteratorINS9_10device_ptrIiEEEESE_SE_iNS9_10multipliesIiEENS9_8equal_toIiEEiEE10hipError_tPvRmT2_T3_T4_T5_mT6_T7_P12ihipStream_tbENKUlT_T0_E_clISt17integral_constantIbLb0EESY_IbLb1EEEEDaSU_SV_EUlSU_E_NS1_11comp_targetILNS1_3genE4ELNS1_11target_archE910ELNS1_3gpuE8ELNS1_3repE0EEENS1_30default_config_static_selectorELNS0_4arch9wavefront6targetE0EEEvT1_.has_dyn_sized_stack, 0
	.set _ZN7rocprim17ROCPRIM_400000_NS6detail17trampoline_kernelINS0_14default_configENS1_27scan_by_key_config_selectorIiiEEZZNS1_16scan_by_key_implILNS1_25lookback_scan_determinismE0ELb1ES3_N6thrust23THRUST_200600_302600_NS6detail15normal_iteratorINS9_10device_ptrIiEEEESE_SE_iNS9_10multipliesIiEENS9_8equal_toIiEEiEE10hipError_tPvRmT2_T3_T4_T5_mT6_T7_P12ihipStream_tbENKUlT_T0_E_clISt17integral_constantIbLb0EESY_IbLb1EEEEDaSU_SV_EUlSU_E_NS1_11comp_targetILNS1_3genE4ELNS1_11target_archE910ELNS1_3gpuE8ELNS1_3repE0EEENS1_30default_config_static_selectorELNS0_4arch9wavefront6targetE0EEEvT1_.has_recursion, 0
	.set _ZN7rocprim17ROCPRIM_400000_NS6detail17trampoline_kernelINS0_14default_configENS1_27scan_by_key_config_selectorIiiEEZZNS1_16scan_by_key_implILNS1_25lookback_scan_determinismE0ELb1ES3_N6thrust23THRUST_200600_302600_NS6detail15normal_iteratorINS9_10device_ptrIiEEEESE_SE_iNS9_10multipliesIiEENS9_8equal_toIiEEiEE10hipError_tPvRmT2_T3_T4_T5_mT6_T7_P12ihipStream_tbENKUlT_T0_E_clISt17integral_constantIbLb0EESY_IbLb1EEEEDaSU_SV_EUlSU_E_NS1_11comp_targetILNS1_3genE4ELNS1_11target_archE910ELNS1_3gpuE8ELNS1_3repE0EEENS1_30default_config_static_selectorELNS0_4arch9wavefront6targetE0EEEvT1_.has_indirect_call, 0
	.section	.AMDGPU.csdata,"",@progbits
; Kernel info:
; codeLenInByte = 0
; TotalNumSgprs: 0
; NumVgprs: 0
; ScratchSize: 0
; MemoryBound: 0
; FloatMode: 240
; IeeeMode: 1
; LDSByteSize: 0 bytes/workgroup (compile time only)
; SGPRBlocks: 0
; VGPRBlocks: 0
; NumSGPRsForWavesPerEU: 1
; NumVGPRsForWavesPerEU: 1
; Occupancy: 16
; WaveLimiterHint : 0
; COMPUTE_PGM_RSRC2:SCRATCH_EN: 0
; COMPUTE_PGM_RSRC2:USER_SGPR: 6
; COMPUTE_PGM_RSRC2:TRAP_HANDLER: 0
; COMPUTE_PGM_RSRC2:TGID_X_EN: 1
; COMPUTE_PGM_RSRC2:TGID_Y_EN: 0
; COMPUTE_PGM_RSRC2:TGID_Z_EN: 0
; COMPUTE_PGM_RSRC2:TIDIG_COMP_CNT: 0
	.section	.text._ZN7rocprim17ROCPRIM_400000_NS6detail17trampoline_kernelINS0_14default_configENS1_27scan_by_key_config_selectorIiiEEZZNS1_16scan_by_key_implILNS1_25lookback_scan_determinismE0ELb1ES3_N6thrust23THRUST_200600_302600_NS6detail15normal_iteratorINS9_10device_ptrIiEEEESE_SE_iNS9_10multipliesIiEENS9_8equal_toIiEEiEE10hipError_tPvRmT2_T3_T4_T5_mT6_T7_P12ihipStream_tbENKUlT_T0_E_clISt17integral_constantIbLb0EESY_IbLb1EEEEDaSU_SV_EUlSU_E_NS1_11comp_targetILNS1_3genE3ELNS1_11target_archE908ELNS1_3gpuE7ELNS1_3repE0EEENS1_30default_config_static_selectorELNS0_4arch9wavefront6targetE0EEEvT1_,"axG",@progbits,_ZN7rocprim17ROCPRIM_400000_NS6detail17trampoline_kernelINS0_14default_configENS1_27scan_by_key_config_selectorIiiEEZZNS1_16scan_by_key_implILNS1_25lookback_scan_determinismE0ELb1ES3_N6thrust23THRUST_200600_302600_NS6detail15normal_iteratorINS9_10device_ptrIiEEEESE_SE_iNS9_10multipliesIiEENS9_8equal_toIiEEiEE10hipError_tPvRmT2_T3_T4_T5_mT6_T7_P12ihipStream_tbENKUlT_T0_E_clISt17integral_constantIbLb0EESY_IbLb1EEEEDaSU_SV_EUlSU_E_NS1_11comp_targetILNS1_3genE3ELNS1_11target_archE908ELNS1_3gpuE7ELNS1_3repE0EEENS1_30default_config_static_selectorELNS0_4arch9wavefront6targetE0EEEvT1_,comdat
	.protected	_ZN7rocprim17ROCPRIM_400000_NS6detail17trampoline_kernelINS0_14default_configENS1_27scan_by_key_config_selectorIiiEEZZNS1_16scan_by_key_implILNS1_25lookback_scan_determinismE0ELb1ES3_N6thrust23THRUST_200600_302600_NS6detail15normal_iteratorINS9_10device_ptrIiEEEESE_SE_iNS9_10multipliesIiEENS9_8equal_toIiEEiEE10hipError_tPvRmT2_T3_T4_T5_mT6_T7_P12ihipStream_tbENKUlT_T0_E_clISt17integral_constantIbLb0EESY_IbLb1EEEEDaSU_SV_EUlSU_E_NS1_11comp_targetILNS1_3genE3ELNS1_11target_archE908ELNS1_3gpuE7ELNS1_3repE0EEENS1_30default_config_static_selectorELNS0_4arch9wavefront6targetE0EEEvT1_ ; -- Begin function _ZN7rocprim17ROCPRIM_400000_NS6detail17trampoline_kernelINS0_14default_configENS1_27scan_by_key_config_selectorIiiEEZZNS1_16scan_by_key_implILNS1_25lookback_scan_determinismE0ELb1ES3_N6thrust23THRUST_200600_302600_NS6detail15normal_iteratorINS9_10device_ptrIiEEEESE_SE_iNS9_10multipliesIiEENS9_8equal_toIiEEiEE10hipError_tPvRmT2_T3_T4_T5_mT6_T7_P12ihipStream_tbENKUlT_T0_E_clISt17integral_constantIbLb0EESY_IbLb1EEEEDaSU_SV_EUlSU_E_NS1_11comp_targetILNS1_3genE3ELNS1_11target_archE908ELNS1_3gpuE7ELNS1_3repE0EEENS1_30default_config_static_selectorELNS0_4arch9wavefront6targetE0EEEvT1_
	.globl	_ZN7rocprim17ROCPRIM_400000_NS6detail17trampoline_kernelINS0_14default_configENS1_27scan_by_key_config_selectorIiiEEZZNS1_16scan_by_key_implILNS1_25lookback_scan_determinismE0ELb1ES3_N6thrust23THRUST_200600_302600_NS6detail15normal_iteratorINS9_10device_ptrIiEEEESE_SE_iNS9_10multipliesIiEENS9_8equal_toIiEEiEE10hipError_tPvRmT2_T3_T4_T5_mT6_T7_P12ihipStream_tbENKUlT_T0_E_clISt17integral_constantIbLb0EESY_IbLb1EEEEDaSU_SV_EUlSU_E_NS1_11comp_targetILNS1_3genE3ELNS1_11target_archE908ELNS1_3gpuE7ELNS1_3repE0EEENS1_30default_config_static_selectorELNS0_4arch9wavefront6targetE0EEEvT1_
	.p2align	8
	.type	_ZN7rocprim17ROCPRIM_400000_NS6detail17trampoline_kernelINS0_14default_configENS1_27scan_by_key_config_selectorIiiEEZZNS1_16scan_by_key_implILNS1_25lookback_scan_determinismE0ELb1ES3_N6thrust23THRUST_200600_302600_NS6detail15normal_iteratorINS9_10device_ptrIiEEEESE_SE_iNS9_10multipliesIiEENS9_8equal_toIiEEiEE10hipError_tPvRmT2_T3_T4_T5_mT6_T7_P12ihipStream_tbENKUlT_T0_E_clISt17integral_constantIbLb0EESY_IbLb1EEEEDaSU_SV_EUlSU_E_NS1_11comp_targetILNS1_3genE3ELNS1_11target_archE908ELNS1_3gpuE7ELNS1_3repE0EEENS1_30default_config_static_selectorELNS0_4arch9wavefront6targetE0EEEvT1_,@function
_ZN7rocprim17ROCPRIM_400000_NS6detail17trampoline_kernelINS0_14default_configENS1_27scan_by_key_config_selectorIiiEEZZNS1_16scan_by_key_implILNS1_25lookback_scan_determinismE0ELb1ES3_N6thrust23THRUST_200600_302600_NS6detail15normal_iteratorINS9_10device_ptrIiEEEESE_SE_iNS9_10multipliesIiEENS9_8equal_toIiEEiEE10hipError_tPvRmT2_T3_T4_T5_mT6_T7_P12ihipStream_tbENKUlT_T0_E_clISt17integral_constantIbLb0EESY_IbLb1EEEEDaSU_SV_EUlSU_E_NS1_11comp_targetILNS1_3genE3ELNS1_11target_archE908ELNS1_3gpuE7ELNS1_3repE0EEENS1_30default_config_static_selectorELNS0_4arch9wavefront6targetE0EEEvT1_: ; @_ZN7rocprim17ROCPRIM_400000_NS6detail17trampoline_kernelINS0_14default_configENS1_27scan_by_key_config_selectorIiiEEZZNS1_16scan_by_key_implILNS1_25lookback_scan_determinismE0ELb1ES3_N6thrust23THRUST_200600_302600_NS6detail15normal_iteratorINS9_10device_ptrIiEEEESE_SE_iNS9_10multipliesIiEENS9_8equal_toIiEEiEE10hipError_tPvRmT2_T3_T4_T5_mT6_T7_P12ihipStream_tbENKUlT_T0_E_clISt17integral_constantIbLb0EESY_IbLb1EEEEDaSU_SV_EUlSU_E_NS1_11comp_targetILNS1_3genE3ELNS1_11target_archE908ELNS1_3gpuE7ELNS1_3repE0EEENS1_30default_config_static_selectorELNS0_4arch9wavefront6targetE0EEEvT1_
; %bb.0:
	.section	.rodata,"a",@progbits
	.p2align	6, 0x0
	.amdhsa_kernel _ZN7rocprim17ROCPRIM_400000_NS6detail17trampoline_kernelINS0_14default_configENS1_27scan_by_key_config_selectorIiiEEZZNS1_16scan_by_key_implILNS1_25lookback_scan_determinismE0ELb1ES3_N6thrust23THRUST_200600_302600_NS6detail15normal_iteratorINS9_10device_ptrIiEEEESE_SE_iNS9_10multipliesIiEENS9_8equal_toIiEEiEE10hipError_tPvRmT2_T3_T4_T5_mT6_T7_P12ihipStream_tbENKUlT_T0_E_clISt17integral_constantIbLb0EESY_IbLb1EEEEDaSU_SV_EUlSU_E_NS1_11comp_targetILNS1_3genE3ELNS1_11target_archE908ELNS1_3gpuE7ELNS1_3repE0EEENS1_30default_config_static_selectorELNS0_4arch9wavefront6targetE0EEEvT1_
		.amdhsa_group_segment_fixed_size 0
		.amdhsa_private_segment_fixed_size 0
		.amdhsa_kernarg_size 112
		.amdhsa_user_sgpr_count 6
		.amdhsa_user_sgpr_private_segment_buffer 1
		.amdhsa_user_sgpr_dispatch_ptr 0
		.amdhsa_user_sgpr_queue_ptr 0
		.amdhsa_user_sgpr_kernarg_segment_ptr 1
		.amdhsa_user_sgpr_dispatch_id 0
		.amdhsa_user_sgpr_flat_scratch_init 0
		.amdhsa_user_sgpr_private_segment_size 0
		.amdhsa_wavefront_size32 1
		.amdhsa_uses_dynamic_stack 0
		.amdhsa_system_sgpr_private_segment_wavefront_offset 0
		.amdhsa_system_sgpr_workgroup_id_x 1
		.amdhsa_system_sgpr_workgroup_id_y 0
		.amdhsa_system_sgpr_workgroup_id_z 0
		.amdhsa_system_sgpr_workgroup_info 0
		.amdhsa_system_vgpr_workitem_id 0
		.amdhsa_next_free_vgpr 1
		.amdhsa_next_free_sgpr 1
		.amdhsa_reserve_vcc 0
		.amdhsa_reserve_flat_scratch 0
		.amdhsa_float_round_mode_32 0
		.amdhsa_float_round_mode_16_64 0
		.amdhsa_float_denorm_mode_32 3
		.amdhsa_float_denorm_mode_16_64 3
		.amdhsa_dx10_clamp 1
		.amdhsa_ieee_mode 1
		.amdhsa_fp16_overflow 0
		.amdhsa_workgroup_processor_mode 1
		.amdhsa_memory_ordered 1
		.amdhsa_forward_progress 1
		.amdhsa_shared_vgpr_count 0
		.amdhsa_exception_fp_ieee_invalid_op 0
		.amdhsa_exception_fp_denorm_src 0
		.amdhsa_exception_fp_ieee_div_zero 0
		.amdhsa_exception_fp_ieee_overflow 0
		.amdhsa_exception_fp_ieee_underflow 0
		.amdhsa_exception_fp_ieee_inexact 0
		.amdhsa_exception_int_div_zero 0
	.end_amdhsa_kernel
	.section	.text._ZN7rocprim17ROCPRIM_400000_NS6detail17trampoline_kernelINS0_14default_configENS1_27scan_by_key_config_selectorIiiEEZZNS1_16scan_by_key_implILNS1_25lookback_scan_determinismE0ELb1ES3_N6thrust23THRUST_200600_302600_NS6detail15normal_iteratorINS9_10device_ptrIiEEEESE_SE_iNS9_10multipliesIiEENS9_8equal_toIiEEiEE10hipError_tPvRmT2_T3_T4_T5_mT6_T7_P12ihipStream_tbENKUlT_T0_E_clISt17integral_constantIbLb0EESY_IbLb1EEEEDaSU_SV_EUlSU_E_NS1_11comp_targetILNS1_3genE3ELNS1_11target_archE908ELNS1_3gpuE7ELNS1_3repE0EEENS1_30default_config_static_selectorELNS0_4arch9wavefront6targetE0EEEvT1_,"axG",@progbits,_ZN7rocprim17ROCPRIM_400000_NS6detail17trampoline_kernelINS0_14default_configENS1_27scan_by_key_config_selectorIiiEEZZNS1_16scan_by_key_implILNS1_25lookback_scan_determinismE0ELb1ES3_N6thrust23THRUST_200600_302600_NS6detail15normal_iteratorINS9_10device_ptrIiEEEESE_SE_iNS9_10multipliesIiEENS9_8equal_toIiEEiEE10hipError_tPvRmT2_T3_T4_T5_mT6_T7_P12ihipStream_tbENKUlT_T0_E_clISt17integral_constantIbLb0EESY_IbLb1EEEEDaSU_SV_EUlSU_E_NS1_11comp_targetILNS1_3genE3ELNS1_11target_archE908ELNS1_3gpuE7ELNS1_3repE0EEENS1_30default_config_static_selectorELNS0_4arch9wavefront6targetE0EEEvT1_,comdat
.Lfunc_end528:
	.size	_ZN7rocprim17ROCPRIM_400000_NS6detail17trampoline_kernelINS0_14default_configENS1_27scan_by_key_config_selectorIiiEEZZNS1_16scan_by_key_implILNS1_25lookback_scan_determinismE0ELb1ES3_N6thrust23THRUST_200600_302600_NS6detail15normal_iteratorINS9_10device_ptrIiEEEESE_SE_iNS9_10multipliesIiEENS9_8equal_toIiEEiEE10hipError_tPvRmT2_T3_T4_T5_mT6_T7_P12ihipStream_tbENKUlT_T0_E_clISt17integral_constantIbLb0EESY_IbLb1EEEEDaSU_SV_EUlSU_E_NS1_11comp_targetILNS1_3genE3ELNS1_11target_archE908ELNS1_3gpuE7ELNS1_3repE0EEENS1_30default_config_static_selectorELNS0_4arch9wavefront6targetE0EEEvT1_, .Lfunc_end528-_ZN7rocprim17ROCPRIM_400000_NS6detail17trampoline_kernelINS0_14default_configENS1_27scan_by_key_config_selectorIiiEEZZNS1_16scan_by_key_implILNS1_25lookback_scan_determinismE0ELb1ES3_N6thrust23THRUST_200600_302600_NS6detail15normal_iteratorINS9_10device_ptrIiEEEESE_SE_iNS9_10multipliesIiEENS9_8equal_toIiEEiEE10hipError_tPvRmT2_T3_T4_T5_mT6_T7_P12ihipStream_tbENKUlT_T0_E_clISt17integral_constantIbLb0EESY_IbLb1EEEEDaSU_SV_EUlSU_E_NS1_11comp_targetILNS1_3genE3ELNS1_11target_archE908ELNS1_3gpuE7ELNS1_3repE0EEENS1_30default_config_static_selectorELNS0_4arch9wavefront6targetE0EEEvT1_
                                        ; -- End function
	.set _ZN7rocprim17ROCPRIM_400000_NS6detail17trampoline_kernelINS0_14default_configENS1_27scan_by_key_config_selectorIiiEEZZNS1_16scan_by_key_implILNS1_25lookback_scan_determinismE0ELb1ES3_N6thrust23THRUST_200600_302600_NS6detail15normal_iteratorINS9_10device_ptrIiEEEESE_SE_iNS9_10multipliesIiEENS9_8equal_toIiEEiEE10hipError_tPvRmT2_T3_T4_T5_mT6_T7_P12ihipStream_tbENKUlT_T0_E_clISt17integral_constantIbLb0EESY_IbLb1EEEEDaSU_SV_EUlSU_E_NS1_11comp_targetILNS1_3genE3ELNS1_11target_archE908ELNS1_3gpuE7ELNS1_3repE0EEENS1_30default_config_static_selectorELNS0_4arch9wavefront6targetE0EEEvT1_.num_vgpr, 0
	.set _ZN7rocprim17ROCPRIM_400000_NS6detail17trampoline_kernelINS0_14default_configENS1_27scan_by_key_config_selectorIiiEEZZNS1_16scan_by_key_implILNS1_25lookback_scan_determinismE0ELb1ES3_N6thrust23THRUST_200600_302600_NS6detail15normal_iteratorINS9_10device_ptrIiEEEESE_SE_iNS9_10multipliesIiEENS9_8equal_toIiEEiEE10hipError_tPvRmT2_T3_T4_T5_mT6_T7_P12ihipStream_tbENKUlT_T0_E_clISt17integral_constantIbLb0EESY_IbLb1EEEEDaSU_SV_EUlSU_E_NS1_11comp_targetILNS1_3genE3ELNS1_11target_archE908ELNS1_3gpuE7ELNS1_3repE0EEENS1_30default_config_static_selectorELNS0_4arch9wavefront6targetE0EEEvT1_.num_agpr, 0
	.set _ZN7rocprim17ROCPRIM_400000_NS6detail17trampoline_kernelINS0_14default_configENS1_27scan_by_key_config_selectorIiiEEZZNS1_16scan_by_key_implILNS1_25lookback_scan_determinismE0ELb1ES3_N6thrust23THRUST_200600_302600_NS6detail15normal_iteratorINS9_10device_ptrIiEEEESE_SE_iNS9_10multipliesIiEENS9_8equal_toIiEEiEE10hipError_tPvRmT2_T3_T4_T5_mT6_T7_P12ihipStream_tbENKUlT_T0_E_clISt17integral_constantIbLb0EESY_IbLb1EEEEDaSU_SV_EUlSU_E_NS1_11comp_targetILNS1_3genE3ELNS1_11target_archE908ELNS1_3gpuE7ELNS1_3repE0EEENS1_30default_config_static_selectorELNS0_4arch9wavefront6targetE0EEEvT1_.numbered_sgpr, 0
	.set _ZN7rocprim17ROCPRIM_400000_NS6detail17trampoline_kernelINS0_14default_configENS1_27scan_by_key_config_selectorIiiEEZZNS1_16scan_by_key_implILNS1_25lookback_scan_determinismE0ELb1ES3_N6thrust23THRUST_200600_302600_NS6detail15normal_iteratorINS9_10device_ptrIiEEEESE_SE_iNS9_10multipliesIiEENS9_8equal_toIiEEiEE10hipError_tPvRmT2_T3_T4_T5_mT6_T7_P12ihipStream_tbENKUlT_T0_E_clISt17integral_constantIbLb0EESY_IbLb1EEEEDaSU_SV_EUlSU_E_NS1_11comp_targetILNS1_3genE3ELNS1_11target_archE908ELNS1_3gpuE7ELNS1_3repE0EEENS1_30default_config_static_selectorELNS0_4arch9wavefront6targetE0EEEvT1_.num_named_barrier, 0
	.set _ZN7rocprim17ROCPRIM_400000_NS6detail17trampoline_kernelINS0_14default_configENS1_27scan_by_key_config_selectorIiiEEZZNS1_16scan_by_key_implILNS1_25lookback_scan_determinismE0ELb1ES3_N6thrust23THRUST_200600_302600_NS6detail15normal_iteratorINS9_10device_ptrIiEEEESE_SE_iNS9_10multipliesIiEENS9_8equal_toIiEEiEE10hipError_tPvRmT2_T3_T4_T5_mT6_T7_P12ihipStream_tbENKUlT_T0_E_clISt17integral_constantIbLb0EESY_IbLb1EEEEDaSU_SV_EUlSU_E_NS1_11comp_targetILNS1_3genE3ELNS1_11target_archE908ELNS1_3gpuE7ELNS1_3repE0EEENS1_30default_config_static_selectorELNS0_4arch9wavefront6targetE0EEEvT1_.private_seg_size, 0
	.set _ZN7rocprim17ROCPRIM_400000_NS6detail17trampoline_kernelINS0_14default_configENS1_27scan_by_key_config_selectorIiiEEZZNS1_16scan_by_key_implILNS1_25lookback_scan_determinismE0ELb1ES3_N6thrust23THRUST_200600_302600_NS6detail15normal_iteratorINS9_10device_ptrIiEEEESE_SE_iNS9_10multipliesIiEENS9_8equal_toIiEEiEE10hipError_tPvRmT2_T3_T4_T5_mT6_T7_P12ihipStream_tbENKUlT_T0_E_clISt17integral_constantIbLb0EESY_IbLb1EEEEDaSU_SV_EUlSU_E_NS1_11comp_targetILNS1_3genE3ELNS1_11target_archE908ELNS1_3gpuE7ELNS1_3repE0EEENS1_30default_config_static_selectorELNS0_4arch9wavefront6targetE0EEEvT1_.uses_vcc, 0
	.set _ZN7rocprim17ROCPRIM_400000_NS6detail17trampoline_kernelINS0_14default_configENS1_27scan_by_key_config_selectorIiiEEZZNS1_16scan_by_key_implILNS1_25lookback_scan_determinismE0ELb1ES3_N6thrust23THRUST_200600_302600_NS6detail15normal_iteratorINS9_10device_ptrIiEEEESE_SE_iNS9_10multipliesIiEENS9_8equal_toIiEEiEE10hipError_tPvRmT2_T3_T4_T5_mT6_T7_P12ihipStream_tbENKUlT_T0_E_clISt17integral_constantIbLb0EESY_IbLb1EEEEDaSU_SV_EUlSU_E_NS1_11comp_targetILNS1_3genE3ELNS1_11target_archE908ELNS1_3gpuE7ELNS1_3repE0EEENS1_30default_config_static_selectorELNS0_4arch9wavefront6targetE0EEEvT1_.uses_flat_scratch, 0
	.set _ZN7rocprim17ROCPRIM_400000_NS6detail17trampoline_kernelINS0_14default_configENS1_27scan_by_key_config_selectorIiiEEZZNS1_16scan_by_key_implILNS1_25lookback_scan_determinismE0ELb1ES3_N6thrust23THRUST_200600_302600_NS6detail15normal_iteratorINS9_10device_ptrIiEEEESE_SE_iNS9_10multipliesIiEENS9_8equal_toIiEEiEE10hipError_tPvRmT2_T3_T4_T5_mT6_T7_P12ihipStream_tbENKUlT_T0_E_clISt17integral_constantIbLb0EESY_IbLb1EEEEDaSU_SV_EUlSU_E_NS1_11comp_targetILNS1_3genE3ELNS1_11target_archE908ELNS1_3gpuE7ELNS1_3repE0EEENS1_30default_config_static_selectorELNS0_4arch9wavefront6targetE0EEEvT1_.has_dyn_sized_stack, 0
	.set _ZN7rocprim17ROCPRIM_400000_NS6detail17trampoline_kernelINS0_14default_configENS1_27scan_by_key_config_selectorIiiEEZZNS1_16scan_by_key_implILNS1_25lookback_scan_determinismE0ELb1ES3_N6thrust23THRUST_200600_302600_NS6detail15normal_iteratorINS9_10device_ptrIiEEEESE_SE_iNS9_10multipliesIiEENS9_8equal_toIiEEiEE10hipError_tPvRmT2_T3_T4_T5_mT6_T7_P12ihipStream_tbENKUlT_T0_E_clISt17integral_constantIbLb0EESY_IbLb1EEEEDaSU_SV_EUlSU_E_NS1_11comp_targetILNS1_3genE3ELNS1_11target_archE908ELNS1_3gpuE7ELNS1_3repE0EEENS1_30default_config_static_selectorELNS0_4arch9wavefront6targetE0EEEvT1_.has_recursion, 0
	.set _ZN7rocprim17ROCPRIM_400000_NS6detail17trampoline_kernelINS0_14default_configENS1_27scan_by_key_config_selectorIiiEEZZNS1_16scan_by_key_implILNS1_25lookback_scan_determinismE0ELb1ES3_N6thrust23THRUST_200600_302600_NS6detail15normal_iteratorINS9_10device_ptrIiEEEESE_SE_iNS9_10multipliesIiEENS9_8equal_toIiEEiEE10hipError_tPvRmT2_T3_T4_T5_mT6_T7_P12ihipStream_tbENKUlT_T0_E_clISt17integral_constantIbLb0EESY_IbLb1EEEEDaSU_SV_EUlSU_E_NS1_11comp_targetILNS1_3genE3ELNS1_11target_archE908ELNS1_3gpuE7ELNS1_3repE0EEENS1_30default_config_static_selectorELNS0_4arch9wavefront6targetE0EEEvT1_.has_indirect_call, 0
	.section	.AMDGPU.csdata,"",@progbits
; Kernel info:
; codeLenInByte = 0
; TotalNumSgprs: 0
; NumVgprs: 0
; ScratchSize: 0
; MemoryBound: 0
; FloatMode: 240
; IeeeMode: 1
; LDSByteSize: 0 bytes/workgroup (compile time only)
; SGPRBlocks: 0
; VGPRBlocks: 0
; NumSGPRsForWavesPerEU: 1
; NumVGPRsForWavesPerEU: 1
; Occupancy: 16
; WaveLimiterHint : 0
; COMPUTE_PGM_RSRC2:SCRATCH_EN: 0
; COMPUTE_PGM_RSRC2:USER_SGPR: 6
; COMPUTE_PGM_RSRC2:TRAP_HANDLER: 0
; COMPUTE_PGM_RSRC2:TGID_X_EN: 1
; COMPUTE_PGM_RSRC2:TGID_Y_EN: 0
; COMPUTE_PGM_RSRC2:TGID_Z_EN: 0
; COMPUTE_PGM_RSRC2:TIDIG_COMP_CNT: 0
	.section	.text._ZN7rocprim17ROCPRIM_400000_NS6detail17trampoline_kernelINS0_14default_configENS1_27scan_by_key_config_selectorIiiEEZZNS1_16scan_by_key_implILNS1_25lookback_scan_determinismE0ELb1ES3_N6thrust23THRUST_200600_302600_NS6detail15normal_iteratorINS9_10device_ptrIiEEEESE_SE_iNS9_10multipliesIiEENS9_8equal_toIiEEiEE10hipError_tPvRmT2_T3_T4_T5_mT6_T7_P12ihipStream_tbENKUlT_T0_E_clISt17integral_constantIbLb0EESY_IbLb1EEEEDaSU_SV_EUlSU_E_NS1_11comp_targetILNS1_3genE2ELNS1_11target_archE906ELNS1_3gpuE6ELNS1_3repE0EEENS1_30default_config_static_selectorELNS0_4arch9wavefront6targetE0EEEvT1_,"axG",@progbits,_ZN7rocprim17ROCPRIM_400000_NS6detail17trampoline_kernelINS0_14default_configENS1_27scan_by_key_config_selectorIiiEEZZNS1_16scan_by_key_implILNS1_25lookback_scan_determinismE0ELb1ES3_N6thrust23THRUST_200600_302600_NS6detail15normal_iteratorINS9_10device_ptrIiEEEESE_SE_iNS9_10multipliesIiEENS9_8equal_toIiEEiEE10hipError_tPvRmT2_T3_T4_T5_mT6_T7_P12ihipStream_tbENKUlT_T0_E_clISt17integral_constantIbLb0EESY_IbLb1EEEEDaSU_SV_EUlSU_E_NS1_11comp_targetILNS1_3genE2ELNS1_11target_archE906ELNS1_3gpuE6ELNS1_3repE0EEENS1_30default_config_static_selectorELNS0_4arch9wavefront6targetE0EEEvT1_,comdat
	.protected	_ZN7rocprim17ROCPRIM_400000_NS6detail17trampoline_kernelINS0_14default_configENS1_27scan_by_key_config_selectorIiiEEZZNS1_16scan_by_key_implILNS1_25lookback_scan_determinismE0ELb1ES3_N6thrust23THRUST_200600_302600_NS6detail15normal_iteratorINS9_10device_ptrIiEEEESE_SE_iNS9_10multipliesIiEENS9_8equal_toIiEEiEE10hipError_tPvRmT2_T3_T4_T5_mT6_T7_P12ihipStream_tbENKUlT_T0_E_clISt17integral_constantIbLb0EESY_IbLb1EEEEDaSU_SV_EUlSU_E_NS1_11comp_targetILNS1_3genE2ELNS1_11target_archE906ELNS1_3gpuE6ELNS1_3repE0EEENS1_30default_config_static_selectorELNS0_4arch9wavefront6targetE0EEEvT1_ ; -- Begin function _ZN7rocprim17ROCPRIM_400000_NS6detail17trampoline_kernelINS0_14default_configENS1_27scan_by_key_config_selectorIiiEEZZNS1_16scan_by_key_implILNS1_25lookback_scan_determinismE0ELb1ES3_N6thrust23THRUST_200600_302600_NS6detail15normal_iteratorINS9_10device_ptrIiEEEESE_SE_iNS9_10multipliesIiEENS9_8equal_toIiEEiEE10hipError_tPvRmT2_T3_T4_T5_mT6_T7_P12ihipStream_tbENKUlT_T0_E_clISt17integral_constantIbLb0EESY_IbLb1EEEEDaSU_SV_EUlSU_E_NS1_11comp_targetILNS1_3genE2ELNS1_11target_archE906ELNS1_3gpuE6ELNS1_3repE0EEENS1_30default_config_static_selectorELNS0_4arch9wavefront6targetE0EEEvT1_
	.globl	_ZN7rocprim17ROCPRIM_400000_NS6detail17trampoline_kernelINS0_14default_configENS1_27scan_by_key_config_selectorIiiEEZZNS1_16scan_by_key_implILNS1_25lookback_scan_determinismE0ELb1ES3_N6thrust23THRUST_200600_302600_NS6detail15normal_iteratorINS9_10device_ptrIiEEEESE_SE_iNS9_10multipliesIiEENS9_8equal_toIiEEiEE10hipError_tPvRmT2_T3_T4_T5_mT6_T7_P12ihipStream_tbENKUlT_T0_E_clISt17integral_constantIbLb0EESY_IbLb1EEEEDaSU_SV_EUlSU_E_NS1_11comp_targetILNS1_3genE2ELNS1_11target_archE906ELNS1_3gpuE6ELNS1_3repE0EEENS1_30default_config_static_selectorELNS0_4arch9wavefront6targetE0EEEvT1_
	.p2align	8
	.type	_ZN7rocprim17ROCPRIM_400000_NS6detail17trampoline_kernelINS0_14default_configENS1_27scan_by_key_config_selectorIiiEEZZNS1_16scan_by_key_implILNS1_25lookback_scan_determinismE0ELb1ES3_N6thrust23THRUST_200600_302600_NS6detail15normal_iteratorINS9_10device_ptrIiEEEESE_SE_iNS9_10multipliesIiEENS9_8equal_toIiEEiEE10hipError_tPvRmT2_T3_T4_T5_mT6_T7_P12ihipStream_tbENKUlT_T0_E_clISt17integral_constantIbLb0EESY_IbLb1EEEEDaSU_SV_EUlSU_E_NS1_11comp_targetILNS1_3genE2ELNS1_11target_archE906ELNS1_3gpuE6ELNS1_3repE0EEENS1_30default_config_static_selectorELNS0_4arch9wavefront6targetE0EEEvT1_,@function
_ZN7rocprim17ROCPRIM_400000_NS6detail17trampoline_kernelINS0_14default_configENS1_27scan_by_key_config_selectorIiiEEZZNS1_16scan_by_key_implILNS1_25lookback_scan_determinismE0ELb1ES3_N6thrust23THRUST_200600_302600_NS6detail15normal_iteratorINS9_10device_ptrIiEEEESE_SE_iNS9_10multipliesIiEENS9_8equal_toIiEEiEE10hipError_tPvRmT2_T3_T4_T5_mT6_T7_P12ihipStream_tbENKUlT_T0_E_clISt17integral_constantIbLb0EESY_IbLb1EEEEDaSU_SV_EUlSU_E_NS1_11comp_targetILNS1_3genE2ELNS1_11target_archE906ELNS1_3gpuE6ELNS1_3repE0EEENS1_30default_config_static_selectorELNS0_4arch9wavefront6targetE0EEEvT1_: ; @_ZN7rocprim17ROCPRIM_400000_NS6detail17trampoline_kernelINS0_14default_configENS1_27scan_by_key_config_selectorIiiEEZZNS1_16scan_by_key_implILNS1_25lookback_scan_determinismE0ELb1ES3_N6thrust23THRUST_200600_302600_NS6detail15normal_iteratorINS9_10device_ptrIiEEEESE_SE_iNS9_10multipliesIiEENS9_8equal_toIiEEiEE10hipError_tPvRmT2_T3_T4_T5_mT6_T7_P12ihipStream_tbENKUlT_T0_E_clISt17integral_constantIbLb0EESY_IbLb1EEEEDaSU_SV_EUlSU_E_NS1_11comp_targetILNS1_3genE2ELNS1_11target_archE906ELNS1_3gpuE6ELNS1_3repE0EEENS1_30default_config_static_selectorELNS0_4arch9wavefront6targetE0EEEvT1_
; %bb.0:
	.section	.rodata,"a",@progbits
	.p2align	6, 0x0
	.amdhsa_kernel _ZN7rocprim17ROCPRIM_400000_NS6detail17trampoline_kernelINS0_14default_configENS1_27scan_by_key_config_selectorIiiEEZZNS1_16scan_by_key_implILNS1_25lookback_scan_determinismE0ELb1ES3_N6thrust23THRUST_200600_302600_NS6detail15normal_iteratorINS9_10device_ptrIiEEEESE_SE_iNS9_10multipliesIiEENS9_8equal_toIiEEiEE10hipError_tPvRmT2_T3_T4_T5_mT6_T7_P12ihipStream_tbENKUlT_T0_E_clISt17integral_constantIbLb0EESY_IbLb1EEEEDaSU_SV_EUlSU_E_NS1_11comp_targetILNS1_3genE2ELNS1_11target_archE906ELNS1_3gpuE6ELNS1_3repE0EEENS1_30default_config_static_selectorELNS0_4arch9wavefront6targetE0EEEvT1_
		.amdhsa_group_segment_fixed_size 0
		.amdhsa_private_segment_fixed_size 0
		.amdhsa_kernarg_size 112
		.amdhsa_user_sgpr_count 6
		.amdhsa_user_sgpr_private_segment_buffer 1
		.amdhsa_user_sgpr_dispatch_ptr 0
		.amdhsa_user_sgpr_queue_ptr 0
		.amdhsa_user_sgpr_kernarg_segment_ptr 1
		.amdhsa_user_sgpr_dispatch_id 0
		.amdhsa_user_sgpr_flat_scratch_init 0
		.amdhsa_user_sgpr_private_segment_size 0
		.amdhsa_wavefront_size32 1
		.amdhsa_uses_dynamic_stack 0
		.amdhsa_system_sgpr_private_segment_wavefront_offset 0
		.amdhsa_system_sgpr_workgroup_id_x 1
		.amdhsa_system_sgpr_workgroup_id_y 0
		.amdhsa_system_sgpr_workgroup_id_z 0
		.amdhsa_system_sgpr_workgroup_info 0
		.amdhsa_system_vgpr_workitem_id 0
		.amdhsa_next_free_vgpr 1
		.amdhsa_next_free_sgpr 1
		.amdhsa_reserve_vcc 0
		.amdhsa_reserve_flat_scratch 0
		.amdhsa_float_round_mode_32 0
		.amdhsa_float_round_mode_16_64 0
		.amdhsa_float_denorm_mode_32 3
		.amdhsa_float_denorm_mode_16_64 3
		.amdhsa_dx10_clamp 1
		.amdhsa_ieee_mode 1
		.amdhsa_fp16_overflow 0
		.amdhsa_workgroup_processor_mode 1
		.amdhsa_memory_ordered 1
		.amdhsa_forward_progress 1
		.amdhsa_shared_vgpr_count 0
		.amdhsa_exception_fp_ieee_invalid_op 0
		.amdhsa_exception_fp_denorm_src 0
		.amdhsa_exception_fp_ieee_div_zero 0
		.amdhsa_exception_fp_ieee_overflow 0
		.amdhsa_exception_fp_ieee_underflow 0
		.amdhsa_exception_fp_ieee_inexact 0
		.amdhsa_exception_int_div_zero 0
	.end_amdhsa_kernel
	.section	.text._ZN7rocprim17ROCPRIM_400000_NS6detail17trampoline_kernelINS0_14default_configENS1_27scan_by_key_config_selectorIiiEEZZNS1_16scan_by_key_implILNS1_25lookback_scan_determinismE0ELb1ES3_N6thrust23THRUST_200600_302600_NS6detail15normal_iteratorINS9_10device_ptrIiEEEESE_SE_iNS9_10multipliesIiEENS9_8equal_toIiEEiEE10hipError_tPvRmT2_T3_T4_T5_mT6_T7_P12ihipStream_tbENKUlT_T0_E_clISt17integral_constantIbLb0EESY_IbLb1EEEEDaSU_SV_EUlSU_E_NS1_11comp_targetILNS1_3genE2ELNS1_11target_archE906ELNS1_3gpuE6ELNS1_3repE0EEENS1_30default_config_static_selectorELNS0_4arch9wavefront6targetE0EEEvT1_,"axG",@progbits,_ZN7rocprim17ROCPRIM_400000_NS6detail17trampoline_kernelINS0_14default_configENS1_27scan_by_key_config_selectorIiiEEZZNS1_16scan_by_key_implILNS1_25lookback_scan_determinismE0ELb1ES3_N6thrust23THRUST_200600_302600_NS6detail15normal_iteratorINS9_10device_ptrIiEEEESE_SE_iNS9_10multipliesIiEENS9_8equal_toIiEEiEE10hipError_tPvRmT2_T3_T4_T5_mT6_T7_P12ihipStream_tbENKUlT_T0_E_clISt17integral_constantIbLb0EESY_IbLb1EEEEDaSU_SV_EUlSU_E_NS1_11comp_targetILNS1_3genE2ELNS1_11target_archE906ELNS1_3gpuE6ELNS1_3repE0EEENS1_30default_config_static_selectorELNS0_4arch9wavefront6targetE0EEEvT1_,comdat
.Lfunc_end529:
	.size	_ZN7rocprim17ROCPRIM_400000_NS6detail17trampoline_kernelINS0_14default_configENS1_27scan_by_key_config_selectorIiiEEZZNS1_16scan_by_key_implILNS1_25lookback_scan_determinismE0ELb1ES3_N6thrust23THRUST_200600_302600_NS6detail15normal_iteratorINS9_10device_ptrIiEEEESE_SE_iNS9_10multipliesIiEENS9_8equal_toIiEEiEE10hipError_tPvRmT2_T3_T4_T5_mT6_T7_P12ihipStream_tbENKUlT_T0_E_clISt17integral_constantIbLb0EESY_IbLb1EEEEDaSU_SV_EUlSU_E_NS1_11comp_targetILNS1_3genE2ELNS1_11target_archE906ELNS1_3gpuE6ELNS1_3repE0EEENS1_30default_config_static_selectorELNS0_4arch9wavefront6targetE0EEEvT1_, .Lfunc_end529-_ZN7rocprim17ROCPRIM_400000_NS6detail17trampoline_kernelINS0_14default_configENS1_27scan_by_key_config_selectorIiiEEZZNS1_16scan_by_key_implILNS1_25lookback_scan_determinismE0ELb1ES3_N6thrust23THRUST_200600_302600_NS6detail15normal_iteratorINS9_10device_ptrIiEEEESE_SE_iNS9_10multipliesIiEENS9_8equal_toIiEEiEE10hipError_tPvRmT2_T3_T4_T5_mT6_T7_P12ihipStream_tbENKUlT_T0_E_clISt17integral_constantIbLb0EESY_IbLb1EEEEDaSU_SV_EUlSU_E_NS1_11comp_targetILNS1_3genE2ELNS1_11target_archE906ELNS1_3gpuE6ELNS1_3repE0EEENS1_30default_config_static_selectorELNS0_4arch9wavefront6targetE0EEEvT1_
                                        ; -- End function
	.set _ZN7rocprim17ROCPRIM_400000_NS6detail17trampoline_kernelINS0_14default_configENS1_27scan_by_key_config_selectorIiiEEZZNS1_16scan_by_key_implILNS1_25lookback_scan_determinismE0ELb1ES3_N6thrust23THRUST_200600_302600_NS6detail15normal_iteratorINS9_10device_ptrIiEEEESE_SE_iNS9_10multipliesIiEENS9_8equal_toIiEEiEE10hipError_tPvRmT2_T3_T4_T5_mT6_T7_P12ihipStream_tbENKUlT_T0_E_clISt17integral_constantIbLb0EESY_IbLb1EEEEDaSU_SV_EUlSU_E_NS1_11comp_targetILNS1_3genE2ELNS1_11target_archE906ELNS1_3gpuE6ELNS1_3repE0EEENS1_30default_config_static_selectorELNS0_4arch9wavefront6targetE0EEEvT1_.num_vgpr, 0
	.set _ZN7rocprim17ROCPRIM_400000_NS6detail17trampoline_kernelINS0_14default_configENS1_27scan_by_key_config_selectorIiiEEZZNS1_16scan_by_key_implILNS1_25lookback_scan_determinismE0ELb1ES3_N6thrust23THRUST_200600_302600_NS6detail15normal_iteratorINS9_10device_ptrIiEEEESE_SE_iNS9_10multipliesIiEENS9_8equal_toIiEEiEE10hipError_tPvRmT2_T3_T4_T5_mT6_T7_P12ihipStream_tbENKUlT_T0_E_clISt17integral_constantIbLb0EESY_IbLb1EEEEDaSU_SV_EUlSU_E_NS1_11comp_targetILNS1_3genE2ELNS1_11target_archE906ELNS1_3gpuE6ELNS1_3repE0EEENS1_30default_config_static_selectorELNS0_4arch9wavefront6targetE0EEEvT1_.num_agpr, 0
	.set _ZN7rocprim17ROCPRIM_400000_NS6detail17trampoline_kernelINS0_14default_configENS1_27scan_by_key_config_selectorIiiEEZZNS1_16scan_by_key_implILNS1_25lookback_scan_determinismE0ELb1ES3_N6thrust23THRUST_200600_302600_NS6detail15normal_iteratorINS9_10device_ptrIiEEEESE_SE_iNS9_10multipliesIiEENS9_8equal_toIiEEiEE10hipError_tPvRmT2_T3_T4_T5_mT6_T7_P12ihipStream_tbENKUlT_T0_E_clISt17integral_constantIbLb0EESY_IbLb1EEEEDaSU_SV_EUlSU_E_NS1_11comp_targetILNS1_3genE2ELNS1_11target_archE906ELNS1_3gpuE6ELNS1_3repE0EEENS1_30default_config_static_selectorELNS0_4arch9wavefront6targetE0EEEvT1_.numbered_sgpr, 0
	.set _ZN7rocprim17ROCPRIM_400000_NS6detail17trampoline_kernelINS0_14default_configENS1_27scan_by_key_config_selectorIiiEEZZNS1_16scan_by_key_implILNS1_25lookback_scan_determinismE0ELb1ES3_N6thrust23THRUST_200600_302600_NS6detail15normal_iteratorINS9_10device_ptrIiEEEESE_SE_iNS9_10multipliesIiEENS9_8equal_toIiEEiEE10hipError_tPvRmT2_T3_T4_T5_mT6_T7_P12ihipStream_tbENKUlT_T0_E_clISt17integral_constantIbLb0EESY_IbLb1EEEEDaSU_SV_EUlSU_E_NS1_11comp_targetILNS1_3genE2ELNS1_11target_archE906ELNS1_3gpuE6ELNS1_3repE0EEENS1_30default_config_static_selectorELNS0_4arch9wavefront6targetE0EEEvT1_.num_named_barrier, 0
	.set _ZN7rocprim17ROCPRIM_400000_NS6detail17trampoline_kernelINS0_14default_configENS1_27scan_by_key_config_selectorIiiEEZZNS1_16scan_by_key_implILNS1_25lookback_scan_determinismE0ELb1ES3_N6thrust23THRUST_200600_302600_NS6detail15normal_iteratorINS9_10device_ptrIiEEEESE_SE_iNS9_10multipliesIiEENS9_8equal_toIiEEiEE10hipError_tPvRmT2_T3_T4_T5_mT6_T7_P12ihipStream_tbENKUlT_T0_E_clISt17integral_constantIbLb0EESY_IbLb1EEEEDaSU_SV_EUlSU_E_NS1_11comp_targetILNS1_3genE2ELNS1_11target_archE906ELNS1_3gpuE6ELNS1_3repE0EEENS1_30default_config_static_selectorELNS0_4arch9wavefront6targetE0EEEvT1_.private_seg_size, 0
	.set _ZN7rocprim17ROCPRIM_400000_NS6detail17trampoline_kernelINS0_14default_configENS1_27scan_by_key_config_selectorIiiEEZZNS1_16scan_by_key_implILNS1_25lookback_scan_determinismE0ELb1ES3_N6thrust23THRUST_200600_302600_NS6detail15normal_iteratorINS9_10device_ptrIiEEEESE_SE_iNS9_10multipliesIiEENS9_8equal_toIiEEiEE10hipError_tPvRmT2_T3_T4_T5_mT6_T7_P12ihipStream_tbENKUlT_T0_E_clISt17integral_constantIbLb0EESY_IbLb1EEEEDaSU_SV_EUlSU_E_NS1_11comp_targetILNS1_3genE2ELNS1_11target_archE906ELNS1_3gpuE6ELNS1_3repE0EEENS1_30default_config_static_selectorELNS0_4arch9wavefront6targetE0EEEvT1_.uses_vcc, 0
	.set _ZN7rocprim17ROCPRIM_400000_NS6detail17trampoline_kernelINS0_14default_configENS1_27scan_by_key_config_selectorIiiEEZZNS1_16scan_by_key_implILNS1_25lookback_scan_determinismE0ELb1ES3_N6thrust23THRUST_200600_302600_NS6detail15normal_iteratorINS9_10device_ptrIiEEEESE_SE_iNS9_10multipliesIiEENS9_8equal_toIiEEiEE10hipError_tPvRmT2_T3_T4_T5_mT6_T7_P12ihipStream_tbENKUlT_T0_E_clISt17integral_constantIbLb0EESY_IbLb1EEEEDaSU_SV_EUlSU_E_NS1_11comp_targetILNS1_3genE2ELNS1_11target_archE906ELNS1_3gpuE6ELNS1_3repE0EEENS1_30default_config_static_selectorELNS0_4arch9wavefront6targetE0EEEvT1_.uses_flat_scratch, 0
	.set _ZN7rocprim17ROCPRIM_400000_NS6detail17trampoline_kernelINS0_14default_configENS1_27scan_by_key_config_selectorIiiEEZZNS1_16scan_by_key_implILNS1_25lookback_scan_determinismE0ELb1ES3_N6thrust23THRUST_200600_302600_NS6detail15normal_iteratorINS9_10device_ptrIiEEEESE_SE_iNS9_10multipliesIiEENS9_8equal_toIiEEiEE10hipError_tPvRmT2_T3_T4_T5_mT6_T7_P12ihipStream_tbENKUlT_T0_E_clISt17integral_constantIbLb0EESY_IbLb1EEEEDaSU_SV_EUlSU_E_NS1_11comp_targetILNS1_3genE2ELNS1_11target_archE906ELNS1_3gpuE6ELNS1_3repE0EEENS1_30default_config_static_selectorELNS0_4arch9wavefront6targetE0EEEvT1_.has_dyn_sized_stack, 0
	.set _ZN7rocprim17ROCPRIM_400000_NS6detail17trampoline_kernelINS0_14default_configENS1_27scan_by_key_config_selectorIiiEEZZNS1_16scan_by_key_implILNS1_25lookback_scan_determinismE0ELb1ES3_N6thrust23THRUST_200600_302600_NS6detail15normal_iteratorINS9_10device_ptrIiEEEESE_SE_iNS9_10multipliesIiEENS9_8equal_toIiEEiEE10hipError_tPvRmT2_T3_T4_T5_mT6_T7_P12ihipStream_tbENKUlT_T0_E_clISt17integral_constantIbLb0EESY_IbLb1EEEEDaSU_SV_EUlSU_E_NS1_11comp_targetILNS1_3genE2ELNS1_11target_archE906ELNS1_3gpuE6ELNS1_3repE0EEENS1_30default_config_static_selectorELNS0_4arch9wavefront6targetE0EEEvT1_.has_recursion, 0
	.set _ZN7rocprim17ROCPRIM_400000_NS6detail17trampoline_kernelINS0_14default_configENS1_27scan_by_key_config_selectorIiiEEZZNS1_16scan_by_key_implILNS1_25lookback_scan_determinismE0ELb1ES3_N6thrust23THRUST_200600_302600_NS6detail15normal_iteratorINS9_10device_ptrIiEEEESE_SE_iNS9_10multipliesIiEENS9_8equal_toIiEEiEE10hipError_tPvRmT2_T3_T4_T5_mT6_T7_P12ihipStream_tbENKUlT_T0_E_clISt17integral_constantIbLb0EESY_IbLb1EEEEDaSU_SV_EUlSU_E_NS1_11comp_targetILNS1_3genE2ELNS1_11target_archE906ELNS1_3gpuE6ELNS1_3repE0EEENS1_30default_config_static_selectorELNS0_4arch9wavefront6targetE0EEEvT1_.has_indirect_call, 0
	.section	.AMDGPU.csdata,"",@progbits
; Kernel info:
; codeLenInByte = 0
; TotalNumSgprs: 0
; NumVgprs: 0
; ScratchSize: 0
; MemoryBound: 0
; FloatMode: 240
; IeeeMode: 1
; LDSByteSize: 0 bytes/workgroup (compile time only)
; SGPRBlocks: 0
; VGPRBlocks: 0
; NumSGPRsForWavesPerEU: 1
; NumVGPRsForWavesPerEU: 1
; Occupancy: 16
; WaveLimiterHint : 0
; COMPUTE_PGM_RSRC2:SCRATCH_EN: 0
; COMPUTE_PGM_RSRC2:USER_SGPR: 6
; COMPUTE_PGM_RSRC2:TRAP_HANDLER: 0
; COMPUTE_PGM_RSRC2:TGID_X_EN: 1
; COMPUTE_PGM_RSRC2:TGID_Y_EN: 0
; COMPUTE_PGM_RSRC2:TGID_Z_EN: 0
; COMPUTE_PGM_RSRC2:TIDIG_COMP_CNT: 0
	.section	.text._ZN7rocprim17ROCPRIM_400000_NS6detail17trampoline_kernelINS0_14default_configENS1_27scan_by_key_config_selectorIiiEEZZNS1_16scan_by_key_implILNS1_25lookback_scan_determinismE0ELb1ES3_N6thrust23THRUST_200600_302600_NS6detail15normal_iteratorINS9_10device_ptrIiEEEESE_SE_iNS9_10multipliesIiEENS9_8equal_toIiEEiEE10hipError_tPvRmT2_T3_T4_T5_mT6_T7_P12ihipStream_tbENKUlT_T0_E_clISt17integral_constantIbLb0EESY_IbLb1EEEEDaSU_SV_EUlSU_E_NS1_11comp_targetILNS1_3genE10ELNS1_11target_archE1200ELNS1_3gpuE4ELNS1_3repE0EEENS1_30default_config_static_selectorELNS0_4arch9wavefront6targetE0EEEvT1_,"axG",@progbits,_ZN7rocprim17ROCPRIM_400000_NS6detail17trampoline_kernelINS0_14default_configENS1_27scan_by_key_config_selectorIiiEEZZNS1_16scan_by_key_implILNS1_25lookback_scan_determinismE0ELb1ES3_N6thrust23THRUST_200600_302600_NS6detail15normal_iteratorINS9_10device_ptrIiEEEESE_SE_iNS9_10multipliesIiEENS9_8equal_toIiEEiEE10hipError_tPvRmT2_T3_T4_T5_mT6_T7_P12ihipStream_tbENKUlT_T0_E_clISt17integral_constantIbLb0EESY_IbLb1EEEEDaSU_SV_EUlSU_E_NS1_11comp_targetILNS1_3genE10ELNS1_11target_archE1200ELNS1_3gpuE4ELNS1_3repE0EEENS1_30default_config_static_selectorELNS0_4arch9wavefront6targetE0EEEvT1_,comdat
	.protected	_ZN7rocprim17ROCPRIM_400000_NS6detail17trampoline_kernelINS0_14default_configENS1_27scan_by_key_config_selectorIiiEEZZNS1_16scan_by_key_implILNS1_25lookback_scan_determinismE0ELb1ES3_N6thrust23THRUST_200600_302600_NS6detail15normal_iteratorINS9_10device_ptrIiEEEESE_SE_iNS9_10multipliesIiEENS9_8equal_toIiEEiEE10hipError_tPvRmT2_T3_T4_T5_mT6_T7_P12ihipStream_tbENKUlT_T0_E_clISt17integral_constantIbLb0EESY_IbLb1EEEEDaSU_SV_EUlSU_E_NS1_11comp_targetILNS1_3genE10ELNS1_11target_archE1200ELNS1_3gpuE4ELNS1_3repE0EEENS1_30default_config_static_selectorELNS0_4arch9wavefront6targetE0EEEvT1_ ; -- Begin function _ZN7rocprim17ROCPRIM_400000_NS6detail17trampoline_kernelINS0_14default_configENS1_27scan_by_key_config_selectorIiiEEZZNS1_16scan_by_key_implILNS1_25lookback_scan_determinismE0ELb1ES3_N6thrust23THRUST_200600_302600_NS6detail15normal_iteratorINS9_10device_ptrIiEEEESE_SE_iNS9_10multipliesIiEENS9_8equal_toIiEEiEE10hipError_tPvRmT2_T3_T4_T5_mT6_T7_P12ihipStream_tbENKUlT_T0_E_clISt17integral_constantIbLb0EESY_IbLb1EEEEDaSU_SV_EUlSU_E_NS1_11comp_targetILNS1_3genE10ELNS1_11target_archE1200ELNS1_3gpuE4ELNS1_3repE0EEENS1_30default_config_static_selectorELNS0_4arch9wavefront6targetE0EEEvT1_
	.globl	_ZN7rocprim17ROCPRIM_400000_NS6detail17trampoline_kernelINS0_14default_configENS1_27scan_by_key_config_selectorIiiEEZZNS1_16scan_by_key_implILNS1_25lookback_scan_determinismE0ELb1ES3_N6thrust23THRUST_200600_302600_NS6detail15normal_iteratorINS9_10device_ptrIiEEEESE_SE_iNS9_10multipliesIiEENS9_8equal_toIiEEiEE10hipError_tPvRmT2_T3_T4_T5_mT6_T7_P12ihipStream_tbENKUlT_T0_E_clISt17integral_constantIbLb0EESY_IbLb1EEEEDaSU_SV_EUlSU_E_NS1_11comp_targetILNS1_3genE10ELNS1_11target_archE1200ELNS1_3gpuE4ELNS1_3repE0EEENS1_30default_config_static_selectorELNS0_4arch9wavefront6targetE0EEEvT1_
	.p2align	8
	.type	_ZN7rocprim17ROCPRIM_400000_NS6detail17trampoline_kernelINS0_14default_configENS1_27scan_by_key_config_selectorIiiEEZZNS1_16scan_by_key_implILNS1_25lookback_scan_determinismE0ELb1ES3_N6thrust23THRUST_200600_302600_NS6detail15normal_iteratorINS9_10device_ptrIiEEEESE_SE_iNS9_10multipliesIiEENS9_8equal_toIiEEiEE10hipError_tPvRmT2_T3_T4_T5_mT6_T7_P12ihipStream_tbENKUlT_T0_E_clISt17integral_constantIbLb0EESY_IbLb1EEEEDaSU_SV_EUlSU_E_NS1_11comp_targetILNS1_3genE10ELNS1_11target_archE1200ELNS1_3gpuE4ELNS1_3repE0EEENS1_30default_config_static_selectorELNS0_4arch9wavefront6targetE0EEEvT1_,@function
_ZN7rocprim17ROCPRIM_400000_NS6detail17trampoline_kernelINS0_14default_configENS1_27scan_by_key_config_selectorIiiEEZZNS1_16scan_by_key_implILNS1_25lookback_scan_determinismE0ELb1ES3_N6thrust23THRUST_200600_302600_NS6detail15normal_iteratorINS9_10device_ptrIiEEEESE_SE_iNS9_10multipliesIiEENS9_8equal_toIiEEiEE10hipError_tPvRmT2_T3_T4_T5_mT6_T7_P12ihipStream_tbENKUlT_T0_E_clISt17integral_constantIbLb0EESY_IbLb1EEEEDaSU_SV_EUlSU_E_NS1_11comp_targetILNS1_3genE10ELNS1_11target_archE1200ELNS1_3gpuE4ELNS1_3repE0EEENS1_30default_config_static_selectorELNS0_4arch9wavefront6targetE0EEEvT1_: ; @_ZN7rocprim17ROCPRIM_400000_NS6detail17trampoline_kernelINS0_14default_configENS1_27scan_by_key_config_selectorIiiEEZZNS1_16scan_by_key_implILNS1_25lookback_scan_determinismE0ELb1ES3_N6thrust23THRUST_200600_302600_NS6detail15normal_iteratorINS9_10device_ptrIiEEEESE_SE_iNS9_10multipliesIiEENS9_8equal_toIiEEiEE10hipError_tPvRmT2_T3_T4_T5_mT6_T7_P12ihipStream_tbENKUlT_T0_E_clISt17integral_constantIbLb0EESY_IbLb1EEEEDaSU_SV_EUlSU_E_NS1_11comp_targetILNS1_3genE10ELNS1_11target_archE1200ELNS1_3gpuE4ELNS1_3repE0EEENS1_30default_config_static_selectorELNS0_4arch9wavefront6targetE0EEEvT1_
; %bb.0:
	.section	.rodata,"a",@progbits
	.p2align	6, 0x0
	.amdhsa_kernel _ZN7rocprim17ROCPRIM_400000_NS6detail17trampoline_kernelINS0_14default_configENS1_27scan_by_key_config_selectorIiiEEZZNS1_16scan_by_key_implILNS1_25lookback_scan_determinismE0ELb1ES3_N6thrust23THRUST_200600_302600_NS6detail15normal_iteratorINS9_10device_ptrIiEEEESE_SE_iNS9_10multipliesIiEENS9_8equal_toIiEEiEE10hipError_tPvRmT2_T3_T4_T5_mT6_T7_P12ihipStream_tbENKUlT_T0_E_clISt17integral_constantIbLb0EESY_IbLb1EEEEDaSU_SV_EUlSU_E_NS1_11comp_targetILNS1_3genE10ELNS1_11target_archE1200ELNS1_3gpuE4ELNS1_3repE0EEENS1_30default_config_static_selectorELNS0_4arch9wavefront6targetE0EEEvT1_
		.amdhsa_group_segment_fixed_size 0
		.amdhsa_private_segment_fixed_size 0
		.amdhsa_kernarg_size 112
		.amdhsa_user_sgpr_count 6
		.amdhsa_user_sgpr_private_segment_buffer 1
		.amdhsa_user_sgpr_dispatch_ptr 0
		.amdhsa_user_sgpr_queue_ptr 0
		.amdhsa_user_sgpr_kernarg_segment_ptr 1
		.amdhsa_user_sgpr_dispatch_id 0
		.amdhsa_user_sgpr_flat_scratch_init 0
		.amdhsa_user_sgpr_private_segment_size 0
		.amdhsa_wavefront_size32 1
		.amdhsa_uses_dynamic_stack 0
		.amdhsa_system_sgpr_private_segment_wavefront_offset 0
		.amdhsa_system_sgpr_workgroup_id_x 1
		.amdhsa_system_sgpr_workgroup_id_y 0
		.amdhsa_system_sgpr_workgroup_id_z 0
		.amdhsa_system_sgpr_workgroup_info 0
		.amdhsa_system_vgpr_workitem_id 0
		.amdhsa_next_free_vgpr 1
		.amdhsa_next_free_sgpr 1
		.amdhsa_reserve_vcc 0
		.amdhsa_reserve_flat_scratch 0
		.amdhsa_float_round_mode_32 0
		.amdhsa_float_round_mode_16_64 0
		.amdhsa_float_denorm_mode_32 3
		.amdhsa_float_denorm_mode_16_64 3
		.amdhsa_dx10_clamp 1
		.amdhsa_ieee_mode 1
		.amdhsa_fp16_overflow 0
		.amdhsa_workgroup_processor_mode 1
		.amdhsa_memory_ordered 1
		.amdhsa_forward_progress 1
		.amdhsa_shared_vgpr_count 0
		.amdhsa_exception_fp_ieee_invalid_op 0
		.amdhsa_exception_fp_denorm_src 0
		.amdhsa_exception_fp_ieee_div_zero 0
		.amdhsa_exception_fp_ieee_overflow 0
		.amdhsa_exception_fp_ieee_underflow 0
		.amdhsa_exception_fp_ieee_inexact 0
		.amdhsa_exception_int_div_zero 0
	.end_amdhsa_kernel
	.section	.text._ZN7rocprim17ROCPRIM_400000_NS6detail17trampoline_kernelINS0_14default_configENS1_27scan_by_key_config_selectorIiiEEZZNS1_16scan_by_key_implILNS1_25lookback_scan_determinismE0ELb1ES3_N6thrust23THRUST_200600_302600_NS6detail15normal_iteratorINS9_10device_ptrIiEEEESE_SE_iNS9_10multipliesIiEENS9_8equal_toIiEEiEE10hipError_tPvRmT2_T3_T4_T5_mT6_T7_P12ihipStream_tbENKUlT_T0_E_clISt17integral_constantIbLb0EESY_IbLb1EEEEDaSU_SV_EUlSU_E_NS1_11comp_targetILNS1_3genE10ELNS1_11target_archE1200ELNS1_3gpuE4ELNS1_3repE0EEENS1_30default_config_static_selectorELNS0_4arch9wavefront6targetE0EEEvT1_,"axG",@progbits,_ZN7rocprim17ROCPRIM_400000_NS6detail17trampoline_kernelINS0_14default_configENS1_27scan_by_key_config_selectorIiiEEZZNS1_16scan_by_key_implILNS1_25lookback_scan_determinismE0ELb1ES3_N6thrust23THRUST_200600_302600_NS6detail15normal_iteratorINS9_10device_ptrIiEEEESE_SE_iNS9_10multipliesIiEENS9_8equal_toIiEEiEE10hipError_tPvRmT2_T3_T4_T5_mT6_T7_P12ihipStream_tbENKUlT_T0_E_clISt17integral_constantIbLb0EESY_IbLb1EEEEDaSU_SV_EUlSU_E_NS1_11comp_targetILNS1_3genE10ELNS1_11target_archE1200ELNS1_3gpuE4ELNS1_3repE0EEENS1_30default_config_static_selectorELNS0_4arch9wavefront6targetE0EEEvT1_,comdat
.Lfunc_end530:
	.size	_ZN7rocprim17ROCPRIM_400000_NS6detail17trampoline_kernelINS0_14default_configENS1_27scan_by_key_config_selectorIiiEEZZNS1_16scan_by_key_implILNS1_25lookback_scan_determinismE0ELb1ES3_N6thrust23THRUST_200600_302600_NS6detail15normal_iteratorINS9_10device_ptrIiEEEESE_SE_iNS9_10multipliesIiEENS9_8equal_toIiEEiEE10hipError_tPvRmT2_T3_T4_T5_mT6_T7_P12ihipStream_tbENKUlT_T0_E_clISt17integral_constantIbLb0EESY_IbLb1EEEEDaSU_SV_EUlSU_E_NS1_11comp_targetILNS1_3genE10ELNS1_11target_archE1200ELNS1_3gpuE4ELNS1_3repE0EEENS1_30default_config_static_selectorELNS0_4arch9wavefront6targetE0EEEvT1_, .Lfunc_end530-_ZN7rocprim17ROCPRIM_400000_NS6detail17trampoline_kernelINS0_14default_configENS1_27scan_by_key_config_selectorIiiEEZZNS1_16scan_by_key_implILNS1_25lookback_scan_determinismE0ELb1ES3_N6thrust23THRUST_200600_302600_NS6detail15normal_iteratorINS9_10device_ptrIiEEEESE_SE_iNS9_10multipliesIiEENS9_8equal_toIiEEiEE10hipError_tPvRmT2_T3_T4_T5_mT6_T7_P12ihipStream_tbENKUlT_T0_E_clISt17integral_constantIbLb0EESY_IbLb1EEEEDaSU_SV_EUlSU_E_NS1_11comp_targetILNS1_3genE10ELNS1_11target_archE1200ELNS1_3gpuE4ELNS1_3repE0EEENS1_30default_config_static_selectorELNS0_4arch9wavefront6targetE0EEEvT1_
                                        ; -- End function
	.set _ZN7rocprim17ROCPRIM_400000_NS6detail17trampoline_kernelINS0_14default_configENS1_27scan_by_key_config_selectorIiiEEZZNS1_16scan_by_key_implILNS1_25lookback_scan_determinismE0ELb1ES3_N6thrust23THRUST_200600_302600_NS6detail15normal_iteratorINS9_10device_ptrIiEEEESE_SE_iNS9_10multipliesIiEENS9_8equal_toIiEEiEE10hipError_tPvRmT2_T3_T4_T5_mT6_T7_P12ihipStream_tbENKUlT_T0_E_clISt17integral_constantIbLb0EESY_IbLb1EEEEDaSU_SV_EUlSU_E_NS1_11comp_targetILNS1_3genE10ELNS1_11target_archE1200ELNS1_3gpuE4ELNS1_3repE0EEENS1_30default_config_static_selectorELNS0_4arch9wavefront6targetE0EEEvT1_.num_vgpr, 0
	.set _ZN7rocprim17ROCPRIM_400000_NS6detail17trampoline_kernelINS0_14default_configENS1_27scan_by_key_config_selectorIiiEEZZNS1_16scan_by_key_implILNS1_25lookback_scan_determinismE0ELb1ES3_N6thrust23THRUST_200600_302600_NS6detail15normal_iteratorINS9_10device_ptrIiEEEESE_SE_iNS9_10multipliesIiEENS9_8equal_toIiEEiEE10hipError_tPvRmT2_T3_T4_T5_mT6_T7_P12ihipStream_tbENKUlT_T0_E_clISt17integral_constantIbLb0EESY_IbLb1EEEEDaSU_SV_EUlSU_E_NS1_11comp_targetILNS1_3genE10ELNS1_11target_archE1200ELNS1_3gpuE4ELNS1_3repE0EEENS1_30default_config_static_selectorELNS0_4arch9wavefront6targetE0EEEvT1_.num_agpr, 0
	.set _ZN7rocprim17ROCPRIM_400000_NS6detail17trampoline_kernelINS0_14default_configENS1_27scan_by_key_config_selectorIiiEEZZNS1_16scan_by_key_implILNS1_25lookback_scan_determinismE0ELb1ES3_N6thrust23THRUST_200600_302600_NS6detail15normal_iteratorINS9_10device_ptrIiEEEESE_SE_iNS9_10multipliesIiEENS9_8equal_toIiEEiEE10hipError_tPvRmT2_T3_T4_T5_mT6_T7_P12ihipStream_tbENKUlT_T0_E_clISt17integral_constantIbLb0EESY_IbLb1EEEEDaSU_SV_EUlSU_E_NS1_11comp_targetILNS1_3genE10ELNS1_11target_archE1200ELNS1_3gpuE4ELNS1_3repE0EEENS1_30default_config_static_selectorELNS0_4arch9wavefront6targetE0EEEvT1_.numbered_sgpr, 0
	.set _ZN7rocprim17ROCPRIM_400000_NS6detail17trampoline_kernelINS0_14default_configENS1_27scan_by_key_config_selectorIiiEEZZNS1_16scan_by_key_implILNS1_25lookback_scan_determinismE0ELb1ES3_N6thrust23THRUST_200600_302600_NS6detail15normal_iteratorINS9_10device_ptrIiEEEESE_SE_iNS9_10multipliesIiEENS9_8equal_toIiEEiEE10hipError_tPvRmT2_T3_T4_T5_mT6_T7_P12ihipStream_tbENKUlT_T0_E_clISt17integral_constantIbLb0EESY_IbLb1EEEEDaSU_SV_EUlSU_E_NS1_11comp_targetILNS1_3genE10ELNS1_11target_archE1200ELNS1_3gpuE4ELNS1_3repE0EEENS1_30default_config_static_selectorELNS0_4arch9wavefront6targetE0EEEvT1_.num_named_barrier, 0
	.set _ZN7rocprim17ROCPRIM_400000_NS6detail17trampoline_kernelINS0_14default_configENS1_27scan_by_key_config_selectorIiiEEZZNS1_16scan_by_key_implILNS1_25lookback_scan_determinismE0ELb1ES3_N6thrust23THRUST_200600_302600_NS6detail15normal_iteratorINS9_10device_ptrIiEEEESE_SE_iNS9_10multipliesIiEENS9_8equal_toIiEEiEE10hipError_tPvRmT2_T3_T4_T5_mT6_T7_P12ihipStream_tbENKUlT_T0_E_clISt17integral_constantIbLb0EESY_IbLb1EEEEDaSU_SV_EUlSU_E_NS1_11comp_targetILNS1_3genE10ELNS1_11target_archE1200ELNS1_3gpuE4ELNS1_3repE0EEENS1_30default_config_static_selectorELNS0_4arch9wavefront6targetE0EEEvT1_.private_seg_size, 0
	.set _ZN7rocprim17ROCPRIM_400000_NS6detail17trampoline_kernelINS0_14default_configENS1_27scan_by_key_config_selectorIiiEEZZNS1_16scan_by_key_implILNS1_25lookback_scan_determinismE0ELb1ES3_N6thrust23THRUST_200600_302600_NS6detail15normal_iteratorINS9_10device_ptrIiEEEESE_SE_iNS9_10multipliesIiEENS9_8equal_toIiEEiEE10hipError_tPvRmT2_T3_T4_T5_mT6_T7_P12ihipStream_tbENKUlT_T0_E_clISt17integral_constantIbLb0EESY_IbLb1EEEEDaSU_SV_EUlSU_E_NS1_11comp_targetILNS1_3genE10ELNS1_11target_archE1200ELNS1_3gpuE4ELNS1_3repE0EEENS1_30default_config_static_selectorELNS0_4arch9wavefront6targetE0EEEvT1_.uses_vcc, 0
	.set _ZN7rocprim17ROCPRIM_400000_NS6detail17trampoline_kernelINS0_14default_configENS1_27scan_by_key_config_selectorIiiEEZZNS1_16scan_by_key_implILNS1_25lookback_scan_determinismE0ELb1ES3_N6thrust23THRUST_200600_302600_NS6detail15normal_iteratorINS9_10device_ptrIiEEEESE_SE_iNS9_10multipliesIiEENS9_8equal_toIiEEiEE10hipError_tPvRmT2_T3_T4_T5_mT6_T7_P12ihipStream_tbENKUlT_T0_E_clISt17integral_constantIbLb0EESY_IbLb1EEEEDaSU_SV_EUlSU_E_NS1_11comp_targetILNS1_3genE10ELNS1_11target_archE1200ELNS1_3gpuE4ELNS1_3repE0EEENS1_30default_config_static_selectorELNS0_4arch9wavefront6targetE0EEEvT1_.uses_flat_scratch, 0
	.set _ZN7rocprim17ROCPRIM_400000_NS6detail17trampoline_kernelINS0_14default_configENS1_27scan_by_key_config_selectorIiiEEZZNS1_16scan_by_key_implILNS1_25lookback_scan_determinismE0ELb1ES3_N6thrust23THRUST_200600_302600_NS6detail15normal_iteratorINS9_10device_ptrIiEEEESE_SE_iNS9_10multipliesIiEENS9_8equal_toIiEEiEE10hipError_tPvRmT2_T3_T4_T5_mT6_T7_P12ihipStream_tbENKUlT_T0_E_clISt17integral_constantIbLb0EESY_IbLb1EEEEDaSU_SV_EUlSU_E_NS1_11comp_targetILNS1_3genE10ELNS1_11target_archE1200ELNS1_3gpuE4ELNS1_3repE0EEENS1_30default_config_static_selectorELNS0_4arch9wavefront6targetE0EEEvT1_.has_dyn_sized_stack, 0
	.set _ZN7rocprim17ROCPRIM_400000_NS6detail17trampoline_kernelINS0_14default_configENS1_27scan_by_key_config_selectorIiiEEZZNS1_16scan_by_key_implILNS1_25lookback_scan_determinismE0ELb1ES3_N6thrust23THRUST_200600_302600_NS6detail15normal_iteratorINS9_10device_ptrIiEEEESE_SE_iNS9_10multipliesIiEENS9_8equal_toIiEEiEE10hipError_tPvRmT2_T3_T4_T5_mT6_T7_P12ihipStream_tbENKUlT_T0_E_clISt17integral_constantIbLb0EESY_IbLb1EEEEDaSU_SV_EUlSU_E_NS1_11comp_targetILNS1_3genE10ELNS1_11target_archE1200ELNS1_3gpuE4ELNS1_3repE0EEENS1_30default_config_static_selectorELNS0_4arch9wavefront6targetE0EEEvT1_.has_recursion, 0
	.set _ZN7rocprim17ROCPRIM_400000_NS6detail17trampoline_kernelINS0_14default_configENS1_27scan_by_key_config_selectorIiiEEZZNS1_16scan_by_key_implILNS1_25lookback_scan_determinismE0ELb1ES3_N6thrust23THRUST_200600_302600_NS6detail15normal_iteratorINS9_10device_ptrIiEEEESE_SE_iNS9_10multipliesIiEENS9_8equal_toIiEEiEE10hipError_tPvRmT2_T3_T4_T5_mT6_T7_P12ihipStream_tbENKUlT_T0_E_clISt17integral_constantIbLb0EESY_IbLb1EEEEDaSU_SV_EUlSU_E_NS1_11comp_targetILNS1_3genE10ELNS1_11target_archE1200ELNS1_3gpuE4ELNS1_3repE0EEENS1_30default_config_static_selectorELNS0_4arch9wavefront6targetE0EEEvT1_.has_indirect_call, 0
	.section	.AMDGPU.csdata,"",@progbits
; Kernel info:
; codeLenInByte = 0
; TotalNumSgprs: 0
; NumVgprs: 0
; ScratchSize: 0
; MemoryBound: 0
; FloatMode: 240
; IeeeMode: 1
; LDSByteSize: 0 bytes/workgroup (compile time only)
; SGPRBlocks: 0
; VGPRBlocks: 0
; NumSGPRsForWavesPerEU: 1
; NumVGPRsForWavesPerEU: 1
; Occupancy: 16
; WaveLimiterHint : 0
; COMPUTE_PGM_RSRC2:SCRATCH_EN: 0
; COMPUTE_PGM_RSRC2:USER_SGPR: 6
; COMPUTE_PGM_RSRC2:TRAP_HANDLER: 0
; COMPUTE_PGM_RSRC2:TGID_X_EN: 1
; COMPUTE_PGM_RSRC2:TGID_Y_EN: 0
; COMPUTE_PGM_RSRC2:TGID_Z_EN: 0
; COMPUTE_PGM_RSRC2:TIDIG_COMP_CNT: 0
	.section	.text._ZN7rocprim17ROCPRIM_400000_NS6detail17trampoline_kernelINS0_14default_configENS1_27scan_by_key_config_selectorIiiEEZZNS1_16scan_by_key_implILNS1_25lookback_scan_determinismE0ELb1ES3_N6thrust23THRUST_200600_302600_NS6detail15normal_iteratorINS9_10device_ptrIiEEEESE_SE_iNS9_10multipliesIiEENS9_8equal_toIiEEiEE10hipError_tPvRmT2_T3_T4_T5_mT6_T7_P12ihipStream_tbENKUlT_T0_E_clISt17integral_constantIbLb0EESY_IbLb1EEEEDaSU_SV_EUlSU_E_NS1_11comp_targetILNS1_3genE9ELNS1_11target_archE1100ELNS1_3gpuE3ELNS1_3repE0EEENS1_30default_config_static_selectorELNS0_4arch9wavefront6targetE0EEEvT1_,"axG",@progbits,_ZN7rocprim17ROCPRIM_400000_NS6detail17trampoline_kernelINS0_14default_configENS1_27scan_by_key_config_selectorIiiEEZZNS1_16scan_by_key_implILNS1_25lookback_scan_determinismE0ELb1ES3_N6thrust23THRUST_200600_302600_NS6detail15normal_iteratorINS9_10device_ptrIiEEEESE_SE_iNS9_10multipliesIiEENS9_8equal_toIiEEiEE10hipError_tPvRmT2_T3_T4_T5_mT6_T7_P12ihipStream_tbENKUlT_T0_E_clISt17integral_constantIbLb0EESY_IbLb1EEEEDaSU_SV_EUlSU_E_NS1_11comp_targetILNS1_3genE9ELNS1_11target_archE1100ELNS1_3gpuE3ELNS1_3repE0EEENS1_30default_config_static_selectorELNS0_4arch9wavefront6targetE0EEEvT1_,comdat
	.protected	_ZN7rocprim17ROCPRIM_400000_NS6detail17trampoline_kernelINS0_14default_configENS1_27scan_by_key_config_selectorIiiEEZZNS1_16scan_by_key_implILNS1_25lookback_scan_determinismE0ELb1ES3_N6thrust23THRUST_200600_302600_NS6detail15normal_iteratorINS9_10device_ptrIiEEEESE_SE_iNS9_10multipliesIiEENS9_8equal_toIiEEiEE10hipError_tPvRmT2_T3_T4_T5_mT6_T7_P12ihipStream_tbENKUlT_T0_E_clISt17integral_constantIbLb0EESY_IbLb1EEEEDaSU_SV_EUlSU_E_NS1_11comp_targetILNS1_3genE9ELNS1_11target_archE1100ELNS1_3gpuE3ELNS1_3repE0EEENS1_30default_config_static_selectorELNS0_4arch9wavefront6targetE0EEEvT1_ ; -- Begin function _ZN7rocprim17ROCPRIM_400000_NS6detail17trampoline_kernelINS0_14default_configENS1_27scan_by_key_config_selectorIiiEEZZNS1_16scan_by_key_implILNS1_25lookback_scan_determinismE0ELb1ES3_N6thrust23THRUST_200600_302600_NS6detail15normal_iteratorINS9_10device_ptrIiEEEESE_SE_iNS9_10multipliesIiEENS9_8equal_toIiEEiEE10hipError_tPvRmT2_T3_T4_T5_mT6_T7_P12ihipStream_tbENKUlT_T0_E_clISt17integral_constantIbLb0EESY_IbLb1EEEEDaSU_SV_EUlSU_E_NS1_11comp_targetILNS1_3genE9ELNS1_11target_archE1100ELNS1_3gpuE3ELNS1_3repE0EEENS1_30default_config_static_selectorELNS0_4arch9wavefront6targetE0EEEvT1_
	.globl	_ZN7rocprim17ROCPRIM_400000_NS6detail17trampoline_kernelINS0_14default_configENS1_27scan_by_key_config_selectorIiiEEZZNS1_16scan_by_key_implILNS1_25lookback_scan_determinismE0ELb1ES3_N6thrust23THRUST_200600_302600_NS6detail15normal_iteratorINS9_10device_ptrIiEEEESE_SE_iNS9_10multipliesIiEENS9_8equal_toIiEEiEE10hipError_tPvRmT2_T3_T4_T5_mT6_T7_P12ihipStream_tbENKUlT_T0_E_clISt17integral_constantIbLb0EESY_IbLb1EEEEDaSU_SV_EUlSU_E_NS1_11comp_targetILNS1_3genE9ELNS1_11target_archE1100ELNS1_3gpuE3ELNS1_3repE0EEENS1_30default_config_static_selectorELNS0_4arch9wavefront6targetE0EEEvT1_
	.p2align	8
	.type	_ZN7rocprim17ROCPRIM_400000_NS6detail17trampoline_kernelINS0_14default_configENS1_27scan_by_key_config_selectorIiiEEZZNS1_16scan_by_key_implILNS1_25lookback_scan_determinismE0ELb1ES3_N6thrust23THRUST_200600_302600_NS6detail15normal_iteratorINS9_10device_ptrIiEEEESE_SE_iNS9_10multipliesIiEENS9_8equal_toIiEEiEE10hipError_tPvRmT2_T3_T4_T5_mT6_T7_P12ihipStream_tbENKUlT_T0_E_clISt17integral_constantIbLb0EESY_IbLb1EEEEDaSU_SV_EUlSU_E_NS1_11comp_targetILNS1_3genE9ELNS1_11target_archE1100ELNS1_3gpuE3ELNS1_3repE0EEENS1_30default_config_static_selectorELNS0_4arch9wavefront6targetE0EEEvT1_,@function
_ZN7rocprim17ROCPRIM_400000_NS6detail17trampoline_kernelINS0_14default_configENS1_27scan_by_key_config_selectorIiiEEZZNS1_16scan_by_key_implILNS1_25lookback_scan_determinismE0ELb1ES3_N6thrust23THRUST_200600_302600_NS6detail15normal_iteratorINS9_10device_ptrIiEEEESE_SE_iNS9_10multipliesIiEENS9_8equal_toIiEEiEE10hipError_tPvRmT2_T3_T4_T5_mT6_T7_P12ihipStream_tbENKUlT_T0_E_clISt17integral_constantIbLb0EESY_IbLb1EEEEDaSU_SV_EUlSU_E_NS1_11comp_targetILNS1_3genE9ELNS1_11target_archE1100ELNS1_3gpuE3ELNS1_3repE0EEENS1_30default_config_static_selectorELNS0_4arch9wavefront6targetE0EEEvT1_: ; @_ZN7rocprim17ROCPRIM_400000_NS6detail17trampoline_kernelINS0_14default_configENS1_27scan_by_key_config_selectorIiiEEZZNS1_16scan_by_key_implILNS1_25lookback_scan_determinismE0ELb1ES3_N6thrust23THRUST_200600_302600_NS6detail15normal_iteratorINS9_10device_ptrIiEEEESE_SE_iNS9_10multipliesIiEENS9_8equal_toIiEEiEE10hipError_tPvRmT2_T3_T4_T5_mT6_T7_P12ihipStream_tbENKUlT_T0_E_clISt17integral_constantIbLb0EESY_IbLb1EEEEDaSU_SV_EUlSU_E_NS1_11comp_targetILNS1_3genE9ELNS1_11target_archE1100ELNS1_3gpuE3ELNS1_3repE0EEENS1_30default_config_static_selectorELNS0_4arch9wavefront6targetE0EEEvT1_
; %bb.0:
	.section	.rodata,"a",@progbits
	.p2align	6, 0x0
	.amdhsa_kernel _ZN7rocprim17ROCPRIM_400000_NS6detail17trampoline_kernelINS0_14default_configENS1_27scan_by_key_config_selectorIiiEEZZNS1_16scan_by_key_implILNS1_25lookback_scan_determinismE0ELb1ES3_N6thrust23THRUST_200600_302600_NS6detail15normal_iteratorINS9_10device_ptrIiEEEESE_SE_iNS9_10multipliesIiEENS9_8equal_toIiEEiEE10hipError_tPvRmT2_T3_T4_T5_mT6_T7_P12ihipStream_tbENKUlT_T0_E_clISt17integral_constantIbLb0EESY_IbLb1EEEEDaSU_SV_EUlSU_E_NS1_11comp_targetILNS1_3genE9ELNS1_11target_archE1100ELNS1_3gpuE3ELNS1_3repE0EEENS1_30default_config_static_selectorELNS0_4arch9wavefront6targetE0EEEvT1_
		.amdhsa_group_segment_fixed_size 0
		.amdhsa_private_segment_fixed_size 0
		.amdhsa_kernarg_size 112
		.amdhsa_user_sgpr_count 6
		.amdhsa_user_sgpr_private_segment_buffer 1
		.amdhsa_user_sgpr_dispatch_ptr 0
		.amdhsa_user_sgpr_queue_ptr 0
		.amdhsa_user_sgpr_kernarg_segment_ptr 1
		.amdhsa_user_sgpr_dispatch_id 0
		.amdhsa_user_sgpr_flat_scratch_init 0
		.amdhsa_user_sgpr_private_segment_size 0
		.amdhsa_wavefront_size32 1
		.amdhsa_uses_dynamic_stack 0
		.amdhsa_system_sgpr_private_segment_wavefront_offset 0
		.amdhsa_system_sgpr_workgroup_id_x 1
		.amdhsa_system_sgpr_workgroup_id_y 0
		.amdhsa_system_sgpr_workgroup_id_z 0
		.amdhsa_system_sgpr_workgroup_info 0
		.amdhsa_system_vgpr_workitem_id 0
		.amdhsa_next_free_vgpr 1
		.amdhsa_next_free_sgpr 1
		.amdhsa_reserve_vcc 0
		.amdhsa_reserve_flat_scratch 0
		.amdhsa_float_round_mode_32 0
		.amdhsa_float_round_mode_16_64 0
		.amdhsa_float_denorm_mode_32 3
		.amdhsa_float_denorm_mode_16_64 3
		.amdhsa_dx10_clamp 1
		.amdhsa_ieee_mode 1
		.amdhsa_fp16_overflow 0
		.amdhsa_workgroup_processor_mode 1
		.amdhsa_memory_ordered 1
		.amdhsa_forward_progress 1
		.amdhsa_shared_vgpr_count 0
		.amdhsa_exception_fp_ieee_invalid_op 0
		.amdhsa_exception_fp_denorm_src 0
		.amdhsa_exception_fp_ieee_div_zero 0
		.amdhsa_exception_fp_ieee_overflow 0
		.amdhsa_exception_fp_ieee_underflow 0
		.amdhsa_exception_fp_ieee_inexact 0
		.amdhsa_exception_int_div_zero 0
	.end_amdhsa_kernel
	.section	.text._ZN7rocprim17ROCPRIM_400000_NS6detail17trampoline_kernelINS0_14default_configENS1_27scan_by_key_config_selectorIiiEEZZNS1_16scan_by_key_implILNS1_25lookback_scan_determinismE0ELb1ES3_N6thrust23THRUST_200600_302600_NS6detail15normal_iteratorINS9_10device_ptrIiEEEESE_SE_iNS9_10multipliesIiEENS9_8equal_toIiEEiEE10hipError_tPvRmT2_T3_T4_T5_mT6_T7_P12ihipStream_tbENKUlT_T0_E_clISt17integral_constantIbLb0EESY_IbLb1EEEEDaSU_SV_EUlSU_E_NS1_11comp_targetILNS1_3genE9ELNS1_11target_archE1100ELNS1_3gpuE3ELNS1_3repE0EEENS1_30default_config_static_selectorELNS0_4arch9wavefront6targetE0EEEvT1_,"axG",@progbits,_ZN7rocprim17ROCPRIM_400000_NS6detail17trampoline_kernelINS0_14default_configENS1_27scan_by_key_config_selectorIiiEEZZNS1_16scan_by_key_implILNS1_25lookback_scan_determinismE0ELb1ES3_N6thrust23THRUST_200600_302600_NS6detail15normal_iteratorINS9_10device_ptrIiEEEESE_SE_iNS9_10multipliesIiEENS9_8equal_toIiEEiEE10hipError_tPvRmT2_T3_T4_T5_mT6_T7_P12ihipStream_tbENKUlT_T0_E_clISt17integral_constantIbLb0EESY_IbLb1EEEEDaSU_SV_EUlSU_E_NS1_11comp_targetILNS1_3genE9ELNS1_11target_archE1100ELNS1_3gpuE3ELNS1_3repE0EEENS1_30default_config_static_selectorELNS0_4arch9wavefront6targetE0EEEvT1_,comdat
.Lfunc_end531:
	.size	_ZN7rocprim17ROCPRIM_400000_NS6detail17trampoline_kernelINS0_14default_configENS1_27scan_by_key_config_selectorIiiEEZZNS1_16scan_by_key_implILNS1_25lookback_scan_determinismE0ELb1ES3_N6thrust23THRUST_200600_302600_NS6detail15normal_iteratorINS9_10device_ptrIiEEEESE_SE_iNS9_10multipliesIiEENS9_8equal_toIiEEiEE10hipError_tPvRmT2_T3_T4_T5_mT6_T7_P12ihipStream_tbENKUlT_T0_E_clISt17integral_constantIbLb0EESY_IbLb1EEEEDaSU_SV_EUlSU_E_NS1_11comp_targetILNS1_3genE9ELNS1_11target_archE1100ELNS1_3gpuE3ELNS1_3repE0EEENS1_30default_config_static_selectorELNS0_4arch9wavefront6targetE0EEEvT1_, .Lfunc_end531-_ZN7rocprim17ROCPRIM_400000_NS6detail17trampoline_kernelINS0_14default_configENS1_27scan_by_key_config_selectorIiiEEZZNS1_16scan_by_key_implILNS1_25lookback_scan_determinismE0ELb1ES3_N6thrust23THRUST_200600_302600_NS6detail15normal_iteratorINS9_10device_ptrIiEEEESE_SE_iNS9_10multipliesIiEENS9_8equal_toIiEEiEE10hipError_tPvRmT2_T3_T4_T5_mT6_T7_P12ihipStream_tbENKUlT_T0_E_clISt17integral_constantIbLb0EESY_IbLb1EEEEDaSU_SV_EUlSU_E_NS1_11comp_targetILNS1_3genE9ELNS1_11target_archE1100ELNS1_3gpuE3ELNS1_3repE0EEENS1_30default_config_static_selectorELNS0_4arch9wavefront6targetE0EEEvT1_
                                        ; -- End function
	.set _ZN7rocprim17ROCPRIM_400000_NS6detail17trampoline_kernelINS0_14default_configENS1_27scan_by_key_config_selectorIiiEEZZNS1_16scan_by_key_implILNS1_25lookback_scan_determinismE0ELb1ES3_N6thrust23THRUST_200600_302600_NS6detail15normal_iteratorINS9_10device_ptrIiEEEESE_SE_iNS9_10multipliesIiEENS9_8equal_toIiEEiEE10hipError_tPvRmT2_T3_T4_T5_mT6_T7_P12ihipStream_tbENKUlT_T0_E_clISt17integral_constantIbLb0EESY_IbLb1EEEEDaSU_SV_EUlSU_E_NS1_11comp_targetILNS1_3genE9ELNS1_11target_archE1100ELNS1_3gpuE3ELNS1_3repE0EEENS1_30default_config_static_selectorELNS0_4arch9wavefront6targetE0EEEvT1_.num_vgpr, 0
	.set _ZN7rocprim17ROCPRIM_400000_NS6detail17trampoline_kernelINS0_14default_configENS1_27scan_by_key_config_selectorIiiEEZZNS1_16scan_by_key_implILNS1_25lookback_scan_determinismE0ELb1ES3_N6thrust23THRUST_200600_302600_NS6detail15normal_iteratorINS9_10device_ptrIiEEEESE_SE_iNS9_10multipliesIiEENS9_8equal_toIiEEiEE10hipError_tPvRmT2_T3_T4_T5_mT6_T7_P12ihipStream_tbENKUlT_T0_E_clISt17integral_constantIbLb0EESY_IbLb1EEEEDaSU_SV_EUlSU_E_NS1_11comp_targetILNS1_3genE9ELNS1_11target_archE1100ELNS1_3gpuE3ELNS1_3repE0EEENS1_30default_config_static_selectorELNS0_4arch9wavefront6targetE0EEEvT1_.num_agpr, 0
	.set _ZN7rocprim17ROCPRIM_400000_NS6detail17trampoline_kernelINS0_14default_configENS1_27scan_by_key_config_selectorIiiEEZZNS1_16scan_by_key_implILNS1_25lookback_scan_determinismE0ELb1ES3_N6thrust23THRUST_200600_302600_NS6detail15normal_iteratorINS9_10device_ptrIiEEEESE_SE_iNS9_10multipliesIiEENS9_8equal_toIiEEiEE10hipError_tPvRmT2_T3_T4_T5_mT6_T7_P12ihipStream_tbENKUlT_T0_E_clISt17integral_constantIbLb0EESY_IbLb1EEEEDaSU_SV_EUlSU_E_NS1_11comp_targetILNS1_3genE9ELNS1_11target_archE1100ELNS1_3gpuE3ELNS1_3repE0EEENS1_30default_config_static_selectorELNS0_4arch9wavefront6targetE0EEEvT1_.numbered_sgpr, 0
	.set _ZN7rocprim17ROCPRIM_400000_NS6detail17trampoline_kernelINS0_14default_configENS1_27scan_by_key_config_selectorIiiEEZZNS1_16scan_by_key_implILNS1_25lookback_scan_determinismE0ELb1ES3_N6thrust23THRUST_200600_302600_NS6detail15normal_iteratorINS9_10device_ptrIiEEEESE_SE_iNS9_10multipliesIiEENS9_8equal_toIiEEiEE10hipError_tPvRmT2_T3_T4_T5_mT6_T7_P12ihipStream_tbENKUlT_T0_E_clISt17integral_constantIbLb0EESY_IbLb1EEEEDaSU_SV_EUlSU_E_NS1_11comp_targetILNS1_3genE9ELNS1_11target_archE1100ELNS1_3gpuE3ELNS1_3repE0EEENS1_30default_config_static_selectorELNS0_4arch9wavefront6targetE0EEEvT1_.num_named_barrier, 0
	.set _ZN7rocprim17ROCPRIM_400000_NS6detail17trampoline_kernelINS0_14default_configENS1_27scan_by_key_config_selectorIiiEEZZNS1_16scan_by_key_implILNS1_25lookback_scan_determinismE0ELb1ES3_N6thrust23THRUST_200600_302600_NS6detail15normal_iteratorINS9_10device_ptrIiEEEESE_SE_iNS9_10multipliesIiEENS9_8equal_toIiEEiEE10hipError_tPvRmT2_T3_T4_T5_mT6_T7_P12ihipStream_tbENKUlT_T0_E_clISt17integral_constantIbLb0EESY_IbLb1EEEEDaSU_SV_EUlSU_E_NS1_11comp_targetILNS1_3genE9ELNS1_11target_archE1100ELNS1_3gpuE3ELNS1_3repE0EEENS1_30default_config_static_selectorELNS0_4arch9wavefront6targetE0EEEvT1_.private_seg_size, 0
	.set _ZN7rocprim17ROCPRIM_400000_NS6detail17trampoline_kernelINS0_14default_configENS1_27scan_by_key_config_selectorIiiEEZZNS1_16scan_by_key_implILNS1_25lookback_scan_determinismE0ELb1ES3_N6thrust23THRUST_200600_302600_NS6detail15normal_iteratorINS9_10device_ptrIiEEEESE_SE_iNS9_10multipliesIiEENS9_8equal_toIiEEiEE10hipError_tPvRmT2_T3_T4_T5_mT6_T7_P12ihipStream_tbENKUlT_T0_E_clISt17integral_constantIbLb0EESY_IbLb1EEEEDaSU_SV_EUlSU_E_NS1_11comp_targetILNS1_3genE9ELNS1_11target_archE1100ELNS1_3gpuE3ELNS1_3repE0EEENS1_30default_config_static_selectorELNS0_4arch9wavefront6targetE0EEEvT1_.uses_vcc, 0
	.set _ZN7rocprim17ROCPRIM_400000_NS6detail17trampoline_kernelINS0_14default_configENS1_27scan_by_key_config_selectorIiiEEZZNS1_16scan_by_key_implILNS1_25lookback_scan_determinismE0ELb1ES3_N6thrust23THRUST_200600_302600_NS6detail15normal_iteratorINS9_10device_ptrIiEEEESE_SE_iNS9_10multipliesIiEENS9_8equal_toIiEEiEE10hipError_tPvRmT2_T3_T4_T5_mT6_T7_P12ihipStream_tbENKUlT_T0_E_clISt17integral_constantIbLb0EESY_IbLb1EEEEDaSU_SV_EUlSU_E_NS1_11comp_targetILNS1_3genE9ELNS1_11target_archE1100ELNS1_3gpuE3ELNS1_3repE0EEENS1_30default_config_static_selectorELNS0_4arch9wavefront6targetE0EEEvT1_.uses_flat_scratch, 0
	.set _ZN7rocprim17ROCPRIM_400000_NS6detail17trampoline_kernelINS0_14default_configENS1_27scan_by_key_config_selectorIiiEEZZNS1_16scan_by_key_implILNS1_25lookback_scan_determinismE0ELb1ES3_N6thrust23THRUST_200600_302600_NS6detail15normal_iteratorINS9_10device_ptrIiEEEESE_SE_iNS9_10multipliesIiEENS9_8equal_toIiEEiEE10hipError_tPvRmT2_T3_T4_T5_mT6_T7_P12ihipStream_tbENKUlT_T0_E_clISt17integral_constantIbLb0EESY_IbLb1EEEEDaSU_SV_EUlSU_E_NS1_11comp_targetILNS1_3genE9ELNS1_11target_archE1100ELNS1_3gpuE3ELNS1_3repE0EEENS1_30default_config_static_selectorELNS0_4arch9wavefront6targetE0EEEvT1_.has_dyn_sized_stack, 0
	.set _ZN7rocprim17ROCPRIM_400000_NS6detail17trampoline_kernelINS0_14default_configENS1_27scan_by_key_config_selectorIiiEEZZNS1_16scan_by_key_implILNS1_25lookback_scan_determinismE0ELb1ES3_N6thrust23THRUST_200600_302600_NS6detail15normal_iteratorINS9_10device_ptrIiEEEESE_SE_iNS9_10multipliesIiEENS9_8equal_toIiEEiEE10hipError_tPvRmT2_T3_T4_T5_mT6_T7_P12ihipStream_tbENKUlT_T0_E_clISt17integral_constantIbLb0EESY_IbLb1EEEEDaSU_SV_EUlSU_E_NS1_11comp_targetILNS1_3genE9ELNS1_11target_archE1100ELNS1_3gpuE3ELNS1_3repE0EEENS1_30default_config_static_selectorELNS0_4arch9wavefront6targetE0EEEvT1_.has_recursion, 0
	.set _ZN7rocprim17ROCPRIM_400000_NS6detail17trampoline_kernelINS0_14default_configENS1_27scan_by_key_config_selectorIiiEEZZNS1_16scan_by_key_implILNS1_25lookback_scan_determinismE0ELb1ES3_N6thrust23THRUST_200600_302600_NS6detail15normal_iteratorINS9_10device_ptrIiEEEESE_SE_iNS9_10multipliesIiEENS9_8equal_toIiEEiEE10hipError_tPvRmT2_T3_T4_T5_mT6_T7_P12ihipStream_tbENKUlT_T0_E_clISt17integral_constantIbLb0EESY_IbLb1EEEEDaSU_SV_EUlSU_E_NS1_11comp_targetILNS1_3genE9ELNS1_11target_archE1100ELNS1_3gpuE3ELNS1_3repE0EEENS1_30default_config_static_selectorELNS0_4arch9wavefront6targetE0EEEvT1_.has_indirect_call, 0
	.section	.AMDGPU.csdata,"",@progbits
; Kernel info:
; codeLenInByte = 0
; TotalNumSgprs: 0
; NumVgprs: 0
; ScratchSize: 0
; MemoryBound: 0
; FloatMode: 240
; IeeeMode: 1
; LDSByteSize: 0 bytes/workgroup (compile time only)
; SGPRBlocks: 0
; VGPRBlocks: 0
; NumSGPRsForWavesPerEU: 1
; NumVGPRsForWavesPerEU: 1
; Occupancy: 16
; WaveLimiterHint : 0
; COMPUTE_PGM_RSRC2:SCRATCH_EN: 0
; COMPUTE_PGM_RSRC2:USER_SGPR: 6
; COMPUTE_PGM_RSRC2:TRAP_HANDLER: 0
; COMPUTE_PGM_RSRC2:TGID_X_EN: 1
; COMPUTE_PGM_RSRC2:TGID_Y_EN: 0
; COMPUTE_PGM_RSRC2:TGID_Z_EN: 0
; COMPUTE_PGM_RSRC2:TIDIG_COMP_CNT: 0
	.section	.text._ZN7rocprim17ROCPRIM_400000_NS6detail17trampoline_kernelINS0_14default_configENS1_27scan_by_key_config_selectorIiiEEZZNS1_16scan_by_key_implILNS1_25lookback_scan_determinismE0ELb1ES3_N6thrust23THRUST_200600_302600_NS6detail15normal_iteratorINS9_10device_ptrIiEEEESE_SE_iNS9_10multipliesIiEENS9_8equal_toIiEEiEE10hipError_tPvRmT2_T3_T4_T5_mT6_T7_P12ihipStream_tbENKUlT_T0_E_clISt17integral_constantIbLb0EESY_IbLb1EEEEDaSU_SV_EUlSU_E_NS1_11comp_targetILNS1_3genE8ELNS1_11target_archE1030ELNS1_3gpuE2ELNS1_3repE0EEENS1_30default_config_static_selectorELNS0_4arch9wavefront6targetE0EEEvT1_,"axG",@progbits,_ZN7rocprim17ROCPRIM_400000_NS6detail17trampoline_kernelINS0_14default_configENS1_27scan_by_key_config_selectorIiiEEZZNS1_16scan_by_key_implILNS1_25lookback_scan_determinismE0ELb1ES3_N6thrust23THRUST_200600_302600_NS6detail15normal_iteratorINS9_10device_ptrIiEEEESE_SE_iNS9_10multipliesIiEENS9_8equal_toIiEEiEE10hipError_tPvRmT2_T3_T4_T5_mT6_T7_P12ihipStream_tbENKUlT_T0_E_clISt17integral_constantIbLb0EESY_IbLb1EEEEDaSU_SV_EUlSU_E_NS1_11comp_targetILNS1_3genE8ELNS1_11target_archE1030ELNS1_3gpuE2ELNS1_3repE0EEENS1_30default_config_static_selectorELNS0_4arch9wavefront6targetE0EEEvT1_,comdat
	.protected	_ZN7rocprim17ROCPRIM_400000_NS6detail17trampoline_kernelINS0_14default_configENS1_27scan_by_key_config_selectorIiiEEZZNS1_16scan_by_key_implILNS1_25lookback_scan_determinismE0ELb1ES3_N6thrust23THRUST_200600_302600_NS6detail15normal_iteratorINS9_10device_ptrIiEEEESE_SE_iNS9_10multipliesIiEENS9_8equal_toIiEEiEE10hipError_tPvRmT2_T3_T4_T5_mT6_T7_P12ihipStream_tbENKUlT_T0_E_clISt17integral_constantIbLb0EESY_IbLb1EEEEDaSU_SV_EUlSU_E_NS1_11comp_targetILNS1_3genE8ELNS1_11target_archE1030ELNS1_3gpuE2ELNS1_3repE0EEENS1_30default_config_static_selectorELNS0_4arch9wavefront6targetE0EEEvT1_ ; -- Begin function _ZN7rocprim17ROCPRIM_400000_NS6detail17trampoline_kernelINS0_14default_configENS1_27scan_by_key_config_selectorIiiEEZZNS1_16scan_by_key_implILNS1_25lookback_scan_determinismE0ELb1ES3_N6thrust23THRUST_200600_302600_NS6detail15normal_iteratorINS9_10device_ptrIiEEEESE_SE_iNS9_10multipliesIiEENS9_8equal_toIiEEiEE10hipError_tPvRmT2_T3_T4_T5_mT6_T7_P12ihipStream_tbENKUlT_T0_E_clISt17integral_constantIbLb0EESY_IbLb1EEEEDaSU_SV_EUlSU_E_NS1_11comp_targetILNS1_3genE8ELNS1_11target_archE1030ELNS1_3gpuE2ELNS1_3repE0EEENS1_30default_config_static_selectorELNS0_4arch9wavefront6targetE0EEEvT1_
	.globl	_ZN7rocprim17ROCPRIM_400000_NS6detail17trampoline_kernelINS0_14default_configENS1_27scan_by_key_config_selectorIiiEEZZNS1_16scan_by_key_implILNS1_25lookback_scan_determinismE0ELb1ES3_N6thrust23THRUST_200600_302600_NS6detail15normal_iteratorINS9_10device_ptrIiEEEESE_SE_iNS9_10multipliesIiEENS9_8equal_toIiEEiEE10hipError_tPvRmT2_T3_T4_T5_mT6_T7_P12ihipStream_tbENKUlT_T0_E_clISt17integral_constantIbLb0EESY_IbLb1EEEEDaSU_SV_EUlSU_E_NS1_11comp_targetILNS1_3genE8ELNS1_11target_archE1030ELNS1_3gpuE2ELNS1_3repE0EEENS1_30default_config_static_selectorELNS0_4arch9wavefront6targetE0EEEvT1_
	.p2align	8
	.type	_ZN7rocprim17ROCPRIM_400000_NS6detail17trampoline_kernelINS0_14default_configENS1_27scan_by_key_config_selectorIiiEEZZNS1_16scan_by_key_implILNS1_25lookback_scan_determinismE0ELb1ES3_N6thrust23THRUST_200600_302600_NS6detail15normal_iteratorINS9_10device_ptrIiEEEESE_SE_iNS9_10multipliesIiEENS9_8equal_toIiEEiEE10hipError_tPvRmT2_T3_T4_T5_mT6_T7_P12ihipStream_tbENKUlT_T0_E_clISt17integral_constantIbLb0EESY_IbLb1EEEEDaSU_SV_EUlSU_E_NS1_11comp_targetILNS1_3genE8ELNS1_11target_archE1030ELNS1_3gpuE2ELNS1_3repE0EEENS1_30default_config_static_selectorELNS0_4arch9wavefront6targetE0EEEvT1_,@function
_ZN7rocprim17ROCPRIM_400000_NS6detail17trampoline_kernelINS0_14default_configENS1_27scan_by_key_config_selectorIiiEEZZNS1_16scan_by_key_implILNS1_25lookback_scan_determinismE0ELb1ES3_N6thrust23THRUST_200600_302600_NS6detail15normal_iteratorINS9_10device_ptrIiEEEESE_SE_iNS9_10multipliesIiEENS9_8equal_toIiEEiEE10hipError_tPvRmT2_T3_T4_T5_mT6_T7_P12ihipStream_tbENKUlT_T0_E_clISt17integral_constantIbLb0EESY_IbLb1EEEEDaSU_SV_EUlSU_E_NS1_11comp_targetILNS1_3genE8ELNS1_11target_archE1030ELNS1_3gpuE2ELNS1_3repE0EEENS1_30default_config_static_selectorELNS0_4arch9wavefront6targetE0EEEvT1_: ; @_ZN7rocprim17ROCPRIM_400000_NS6detail17trampoline_kernelINS0_14default_configENS1_27scan_by_key_config_selectorIiiEEZZNS1_16scan_by_key_implILNS1_25lookback_scan_determinismE0ELb1ES3_N6thrust23THRUST_200600_302600_NS6detail15normal_iteratorINS9_10device_ptrIiEEEESE_SE_iNS9_10multipliesIiEENS9_8equal_toIiEEiEE10hipError_tPvRmT2_T3_T4_T5_mT6_T7_P12ihipStream_tbENKUlT_T0_E_clISt17integral_constantIbLb0EESY_IbLb1EEEEDaSU_SV_EUlSU_E_NS1_11comp_targetILNS1_3genE8ELNS1_11target_archE1030ELNS1_3gpuE2ELNS1_3repE0EEENS1_30default_config_static_selectorELNS0_4arch9wavefront6targetE0EEEvT1_
; %bb.0:
	s_clause 0x2
	s_load_dword s22, s[4:5], 0x20
	s_load_dwordx4 s[16:19], s[4:5], 0x28
	s_load_dwordx2 s[20:21], s[4:5], 0x38
	v_cmp_eq_u32_e64 s0, 0, v0
	s_and_saveexec_b32 s1, s0
	s_cbranch_execz .LBB532_4
; %bb.1:
	s_mov_b32 s3, exec_lo
	s_mov_b32 s2, exec_lo
	v_mbcnt_lo_u32_b32 v1, s3, 0
                                        ; implicit-def: $vgpr2
	v_cmpx_eq_u32_e32 0, v1
	s_cbranch_execz .LBB532_3
; %bb.2:
	s_load_dwordx2 s[6:7], s[4:5], 0x68
	s_bcnt1_i32_b32 s3, s3
	v_mov_b32_e32 v2, 0
	v_mov_b32_e32 v3, s3
	s_waitcnt lgkmcnt(0)
	global_atomic_add v2, v2, v3, s[6:7] glc
.LBB532_3:
	s_or_b32 exec_lo, exec_lo, s2
	s_waitcnt vmcnt(0)
	v_readfirstlane_b32 s2, v2
	v_mov_b32_e32 v2, 0
	v_add_nc_u32_e32 v1, s2, v1
	ds_write_b32 v2, v1
.LBB532_4:
	s_or_b32 exec_lo, exec_lo, s1
	v_mov_b32_e32 v2, 0
	s_clause 0x2
	s_load_dwordx8 s[8:15], s[4:5], 0x0
	s_load_dword s1, s[4:5], 0x40
	s_load_dwordx4 s[4:7], s[4:5], 0x48
	s_waitcnt lgkmcnt(0)
	s_barrier
	buffer_gl0_inv
	ds_read_b32 v5, v2
	s_waitcnt lgkmcnt(0)
	s_barrier
	buffer_gl0_inv
	s_barrier
	buffer_gl0_inv
	s_lshl_b64 s[10:11], s[10:11], 2
	s_mul_i32 s2, s21, s1
	s_add_u32 s8, s8, s10
	s_mul_hi_u32 s3, s20, s1
	s_mul_i32 s1, s20, s1
	s_addc_u32 s19, s9, s11
	v_mul_lo_u32 v1, 0x300, v5
	s_add_u32 s12, s12, s10
	s_addc_u32 s13, s13, s11
	s_add_i32 s3, s3, s2
	v_add_co_u32 v3, s1, s1, v5
	v_add_co_ci_u32_e64 v4, null, s3, 0, s1
	v_lshlrev_b64 v[9:10], 2, v[1:2]
	s_add_u32 s2, s4, -1
	s_addc_u32 s3, s5, -1
	v_readfirstlane_b32 s9, v5
	v_cmp_le_u64_e64 s1, s[2:3], v[3:4]
	v_add_co_u32 v4, vcc_lo, s8, v9
	v_add_co_ci_u32_e64 v5, null, s19, v10, vcc_lo
	v_add_co_u32 v8, vcc_lo, s12, v9
	v_add_co_ci_u32_e64 v15, null, s13, v10, vcc_lo
	s_and_b32 vcc_lo, exec_lo, s1
	s_mul_i32 s8, s2, 0xfffffd00
	s_cbranch_vccz .LBB532_24
; %bb.5:
	flat_load_dword v1, v[4:5]
	s_add_i32 s5, s8, s18
	v_cmp_gt_u32_e32 vcc_lo, s5, v0
	s_waitcnt vmcnt(0) lgkmcnt(0)
	v_mov_b32_e32 v2, v1
	s_and_saveexec_b32 s3, vcc_lo
	s_cbranch_execz .LBB532_7
; %bb.6:
	v_lshlrev_b32_e32 v2, 2, v0
	v_add_co_u32 v2, s2, v4, v2
	v_add_co_ci_u32_e64 v3, null, 0, v5, s2
	flat_load_dword v2, v[2:3]
.LBB532_7:
	s_or_b32 exec_lo, exec_lo, s3
	v_or_b32_e32 v3, 0x100, v0
	v_cmp_gt_u32_e64 s2, s5, v3
	v_mov_b32_e32 v3, v1
	s_and_saveexec_b32 s4, s2
	s_cbranch_execz .LBB532_9
; %bb.8:
	v_lshlrev_b32_e32 v3, 2, v0
	v_add_co_u32 v6, s3, v4, v3
	v_add_co_ci_u32_e64 v7, null, 0, v5, s3
	flat_load_dword v3, v[6:7] offset:1024
.LBB532_9:
	s_or_b32 exec_lo, exec_lo, s4
	v_or_b32_e32 v6, 0x200, v0
	v_cmp_gt_u32_e64 s3, s5, v6
	v_lshlrev_b32_e32 v11, 2, v6
	s_and_saveexec_b32 s12, s3
	s_cbranch_execz .LBB532_11
; %bb.10:
	v_add_co_u32 v6, s4, v4, v11
	v_add_co_ci_u32_e64 v7, null, 0, v5, s4
	flat_load_dword v1, v[6:7]
.LBB532_11:
	s_or_b32 exec_lo, exec_lo, s12
	v_lshlrev_b32_e32 v12, 2, v0
	s_mov_b32 s12, exec_lo
	s_waitcnt vmcnt(0) lgkmcnt(0)
	ds_write2st64_b32 v12, v2, v3 offset1:4
	ds_write_b32 v12, v1 offset:2048
	s_waitcnt lgkmcnt(0)
	s_barrier
	buffer_gl0_inv
	flat_load_dword v16, v[4:5]
	v_lshlrev_b32_e32 v1, 3, v0
	v_add_nc_u32_e32 v17, v12, v1
	ds_read_b32 v18, v17
	ds_read2_b32 v[6:7], v17 offset0:1 offset1:2
	s_waitcnt lgkmcnt(1)
	ds_write_b32 v12, v18 offset:4096
	s_waitcnt vmcnt(0) lgkmcnt(0)
	s_barrier
	buffer_gl0_inv
	v_cmpx_ne_u32_e32 0xff, v0
; %bb.12:
	v_sub_nc_u32_e32 v1, 0, v1
	v_add_nc_u32_e32 v1, v17, v1
	ds_read_b32 v16, v1 offset:4100
; %bb.13:
	s_or_b32 exec_lo, exec_lo, s12
	v_mov_b32_e32 v1, 0
	s_waitcnt lgkmcnt(0)
	s_barrier
	buffer_gl0_inv
	v_mov_b32_e32 v2, v1
	v_mov_b32_e32 v3, v1
	s_and_saveexec_b32 s4, vcc_lo
	s_cbranch_execnz .LBB532_138
; %bb.14:
	s_or_b32 exec_lo, exec_lo, s4
	s_and_saveexec_b32 s4, s2
	s_cbranch_execnz .LBB532_139
.LBB532_15:
	s_or_b32 exec_lo, exec_lo, s4
	v_mul_u32_u24_e32 v19, 3, v0
	s_and_saveexec_b32 s2, s3
	s_cbranch_execz .LBB532_17
.LBB532_16:
	v_add_co_u32 v13, vcc_lo, v8, v11
	v_add_co_ci_u32_e64 v14, null, 0, v15, vcc_lo
	flat_load_dword v3, v[13:14]
.LBB532_17:
	s_or_b32 exec_lo, exec_lo, s2
	s_waitcnt vmcnt(0) lgkmcnt(0)
	ds_write2st64_b32 v12, v1, v2 offset1:4
	ds_write_b32 v12, v3 offset:2048
	v_mov_b32_e32 v11, 0
	v_mov_b32_e32 v1, 0
	;; [unrolled: 1-line block ×6, first 2 shown]
	s_mov_b32 s3, 0
	s_mov_b32 s12, 0
	s_mov_b32 s4, exec_lo
	s_waitcnt lgkmcnt(0)
	s_barrier
	buffer_gl0_inv
                                        ; implicit-def: $sgpr2
                                        ; implicit-def: $vgpr3
	v_cmpx_gt_u32_e64 s5, v19
	s_cbranch_execz .LBB532_23
; %bb.18:
	ds_read_b32 v3, v17
	v_cmp_ne_u32_e32 vcc_lo, v18, v6
	v_mov_b32_e32 v1, 0
	v_add_nc_u32_e32 v13, 1, v19
	v_mov_b32_e32 v2, 0
	s_mov_b32 s13, 0
	v_cndmask_b32_e64 v12, 0, 1, vcc_lo
	v_cmp_eq_u32_e32 vcc_lo, v18, v6
	s_mov_b32 s12, exec_lo
                                        ; implicit-def: $sgpr2
	s_waitcnt lgkmcnt(0)
	v_cndmask_b32_e32 v11, s22, v3, vcc_lo
                                        ; implicit-def: $vgpr3
	v_cmpx_gt_u32_e64 s5, v13
	s_cbranch_execz .LBB532_22
; %bb.19:
	ds_read2_b32 v[13:14], v17 offset0:1 offset1:2
	v_cmp_ne_u32_e32 vcc_lo, v6, v7
	v_add_nc_u32_e32 v3, 2, v19
                                        ; implicit-def: $sgpr2
	v_cndmask_b32_e64 v2, 0, 1, vcc_lo
	v_cmp_eq_u32_e32 vcc_lo, v6, v7
	s_waitcnt lgkmcnt(0)
	v_cndmask_b32_e32 v1, s22, v13, vcc_lo
	v_cmp_gt_u32_e32 vcc_lo, s5, v3
	s_mov_b32 s5, 0
                                        ; implicit-def: $vgpr3
	s_and_saveexec_b32 s13, vcc_lo
	s_xor_b32 s13, exec_lo, s13
; %bb.20:
	v_cmp_ne_u32_e64 s2, v7, v16
	s_mov_b32 s5, exec_lo
	v_cndmask_b32_e64 v3, v14, s22, s2
; %bb.21:
	s_or_b32 exec_lo, exec_lo, s13
	s_and_b32 s13, s5, exec_lo
.LBB532_22:
	s_or_b32 exec_lo, exec_lo, s12
	v_mov_b32_e32 v14, v2
	v_mov_b32_e32 v13, v1
	s_and_b32 s12, s13, exec_lo
.LBB532_23:
	s_or_b32 exec_lo, exec_lo, s4
	v_lshlrev_b32_e32 v20, 2, v0
	v_lshlrev_b32_e32 v21, 3, v0
	s_and_b32 vcc_lo, exec_lo, s3
	s_cbranch_vccnz .LBB532_25
	s_branch .LBB532_28
.LBB532_24:
	s_mov_b32 s12, 0
                                        ; implicit-def: $sgpr2
                                        ; implicit-def: $vgpr3
                                        ; implicit-def: $vgpr11_vgpr12
                                        ; implicit-def: $vgpr1_vgpr2
                                        ; implicit-def: $vgpr13_vgpr14
	v_lshlrev_b32_e32 v20, 2, v0
	v_lshlrev_b32_e32 v21, 3, v0
	s_cbranch_execz .LBB532_28
.LBB532_25:
	v_add_co_u32 v1, vcc_lo, v4, v20
	v_add_co_ci_u32_e64 v2, null, 0, v5, vcc_lo
	s_mov_b32 s2, exec_lo
	v_add_co_u32 v6, vcc_lo, 0x800, v1
	v_add_co_ci_u32_e64 v7, null, 0, v2, vcc_lo
	s_clause 0x2
	flat_load_dword v3, v[1:2]
	flat_load_dword v11, v[1:2] offset:1024
	flat_load_dword v6, v[6:7]
	v_add_co_u32 v1, vcc_lo, 0x800, v4
	v_add_co_ci_u32_e64 v2, null, 0, v5, vcc_lo
	s_waitcnt vmcnt(1) lgkmcnt(1)
	ds_write2st64_b32 v20, v3, v11 offset1:4
	s_waitcnt vmcnt(0) lgkmcnt(1)
	ds_write_b32 v20, v6 offset:2048
	s_waitcnt lgkmcnt(0)
	s_barrier
	buffer_gl0_inv
	flat_load_dword v5, v[1:2] offset:1024
	v_add_nc_u32_e32 v1, v20, v21
	ds_read_b32 v6, v1
	ds_read2_b32 v[3:4], v1 offset0:1 offset1:2
	s_waitcnt lgkmcnt(1)
	ds_write_b32 v20, v6 offset:4096
	s_waitcnt vmcnt(0) lgkmcnt(0)
	s_barrier
	buffer_gl0_inv
	v_cmpx_ne_u32_e32 0xff, v0
; %bb.26:
	v_sub_nc_u32_e32 v2, 0, v21
	v_add_nc_u32_e32 v2, v1, v2
	ds_read_b32 v5, v2 offset:4100
; %bb.27:
	s_or_b32 exec_lo, exec_lo, s2
	v_add_co_u32 v7, vcc_lo, v8, v20
	v_add_co_ci_u32_e64 v8, null, 0, v15, vcc_lo
	s_waitcnt lgkmcnt(0)
	v_add_co_u32 v11, vcc_lo, 0x800, v7
	v_add_co_ci_u32_e64 v12, null, 0, v8, vcc_lo
	s_barrier
	buffer_gl0_inv
	s_clause 0x2
	flat_load_dword v2, v[7:8]
	flat_load_dword v7, v[7:8] offset:1024
	flat_load_dword v8, v[11:12]
	v_cmp_eq_u32_e32 vcc_lo, v6, v3
	v_cmp_ne_u32_e64 s2, v4, v5
	s_mov_b32 s12, -1
	s_waitcnt vmcnt(1) lgkmcnt(1)
	ds_write2st64_b32 v20, v2, v7 offset1:4
	s_waitcnt vmcnt(0) lgkmcnt(1)
	ds_write_b32 v20, v8 offset:2048
	s_waitcnt lgkmcnt(0)
	s_barrier
	buffer_gl0_inv
	ds_read2_b32 v[7:8], v1 offset1:1
	ds_read_b32 v13, v1 offset:8
	s_waitcnt lgkmcnt(1)
	v_cndmask_b32_e32 v11, s22, v7, vcc_lo
	v_cmp_eq_u32_e32 vcc_lo, v3, v4
	v_cndmask_b32_e32 v1, s22, v8, vcc_lo
	v_cmp_ne_u32_e32 vcc_lo, v3, v4
	v_cndmask_b32_e64 v2, 0, 1, vcc_lo
	v_cmp_ne_u32_e32 vcc_lo, v6, v3
	s_waitcnt lgkmcnt(0)
	v_cndmask_b32_e64 v3, v13, s22, s2
	v_mov_b32_e32 v14, v2
	v_cndmask_b32_e64 v12, 0, 1, vcc_lo
	v_mov_b32_e32 v13, v1
.LBB532_28:
	v_mov_b32_e32 v15, 0
	v_mov_b32_e32 v16, 0
	s_and_saveexec_b32 s3, s12
; %bb.29:
	v_cndmask_b32_e64 v4, 0, 1, s2
	v_mov_b32_e32 v14, v2
	v_mov_b32_e32 v13, v1
	;; [unrolled: 1-line block ×4, first 2 shown]
; %bb.30:
	s_or_b32 exec_lo, exec_lo, s3
	v_or_b32_e32 v23, v14, v16
	v_mbcnt_lo_u32_b32 v22, -1, 0
	s_cmp_lg_u32 s9, 0
	s_mov_b32 s4, 0
	s_barrier
	buffer_gl0_inv
	s_cbranch_scc0 .LBB532_88
; %bb.31:
	s_mov_b32 s5, 1
	v_and_b32_e32 v2, 0xff, v23
	v_cmp_gt_u64_e64 s2, s[4:5], v[13:14]
	v_cmp_gt_u64_e32 vcc_lo, s[4:5], v[15:16]
	s_mov_b32 s3, exec_lo
	v_cndmask_b32_e64 v1, 1, v11, s2
	v_mul_lo_u32 v3, v1, v13
	v_mov_b32_e32 v1, 0
	v_cndmask_b32_e32 v3, 1, v3, vcc_lo
	v_cmp_eq_u64_e32 vcc_lo, 0, v[1:2]
	v_and_b32_e32 v2, 15, v22
	v_mul_lo_u32 v3, v3, v15
	v_cndmask_b32_e32 v4, 1, v12, vcc_lo
	v_and_b32_e32 v5, 0xff, v4
	v_mov_b32_dpp v6, v3 row_shr:1 row_mask:0xf bank_mask:0xf
	v_mov_b32_dpp v7, v5 row_shr:1 row_mask:0xf bank_mask:0xf
	v_cmpx_ne_u32_e32 0, v2
	s_cbranch_execz .LBB532_33
; %bb.32:
	v_and_b32_e32 v5, 1, v4
	v_cmp_eq_u16_sdwa vcc_lo, v4, v1 src0_sel:BYTE_0 src1_sel:DWORD
	v_and_b32_e32 v7, 1, v7
	v_cndmask_b32_e32 v1, 1, v6, vcc_lo
	v_cmp_eq_u32_e32 vcc_lo, 1, v5
	v_mul_lo_u32 v3, v1, v3
	v_cndmask_b32_e64 v4, v7, 1, vcc_lo
	v_and_b32_e32 v5, 0xffff, v4
.LBB532_33:
	s_or_b32 exec_lo, exec_lo, s3
	v_mov_b32_dpp v1, v3 row_shr:2 row_mask:0xf bank_mask:0xf
	v_mov_b32_dpp v6, v5 row_shr:2 row_mask:0xf bank_mask:0xf
	s_mov_b32 s3, exec_lo
	v_cmpx_lt_u32_e32 1, v2
	s_cbranch_execz .LBB532_35
; %bb.34:
	v_mov_b32_e32 v5, 0
	v_and_b32_e32 v7, 1, v4
	v_and_b32_e32 v6, 1, v6
	v_cmp_eq_u16_sdwa vcc_lo, v4, v5 src0_sel:BYTE_0 src1_sel:DWORD
	v_cndmask_b32_e32 v1, 1, v1, vcc_lo
	v_cmp_eq_u32_e32 vcc_lo, 1, v7
	v_mul_lo_u32 v3, v1, v3
	v_cndmask_b32_e64 v4, v6, 1, vcc_lo
	v_and_b32_e32 v5, 0xffff, v4
.LBB532_35:
	s_or_b32 exec_lo, exec_lo, s3
	v_mov_b32_dpp v1, v3 row_shr:4 row_mask:0xf bank_mask:0xf
	v_mov_b32_dpp v6, v5 row_shr:4 row_mask:0xf bank_mask:0xf
	s_mov_b32 s3, exec_lo
	v_cmpx_lt_u32_e32 3, v2
	s_cbranch_execz .LBB532_37
; %bb.36:
	v_mov_b32_e32 v5, 0
	v_and_b32_e32 v7, 1, v4
	v_and_b32_e32 v6, 1, v6
	v_cmp_eq_u16_sdwa vcc_lo, v4, v5 src0_sel:BYTE_0 src1_sel:DWORD
	v_cndmask_b32_e32 v1, 1, v1, vcc_lo
	v_cmp_eq_u32_e32 vcc_lo, 1, v7
	v_mul_lo_u32 v3, v1, v3
	v_cndmask_b32_e64 v4, v6, 1, vcc_lo
	v_and_b32_e32 v5, 0xffff, v4
.LBB532_37:
	;; [unrolled: 17-line block ×3, first 2 shown]
	s_or_b32 exec_lo, exec_lo, s3
	ds_swizzle_b32 v2, v3 offset:swizzle(BROADCAST,32,15)
	ds_swizzle_b32 v1, v5 offset:swizzle(BROADCAST,32,15)
	v_and_b32_e32 v5, 16, v22
	s_mov_b32 s3, exec_lo
	v_cmpx_ne_u32_e32 0, v5
	s_cbranch_execz .LBB532_41
; %bb.40:
	v_mov_b32_e32 v5, 0
	s_waitcnt lgkmcnt(0)
	v_and_b32_e32 v1, 1, v1
	v_cmp_eq_u16_sdwa vcc_lo, v4, v5 src0_sel:BYTE_0 src1_sel:DWORD
	v_and_b32_e32 v4, 1, v4
	v_cndmask_b32_e32 v2, 1, v2, vcc_lo
	v_cmp_eq_u32_e32 vcc_lo, 1, v4
	v_mul_lo_u32 v3, v2, v3
	v_cndmask_b32_e64 v4, v1, 1, vcc_lo
.LBB532_41:
	s_or_b32 exec_lo, exec_lo, s3
	s_waitcnt lgkmcnt(1)
	v_lshrrev_b32_e32 v2, 5, v0
	s_waitcnt lgkmcnt(0)
	v_or_b32_e32 v1, 31, v0
	s_mov_b32 s3, exec_lo
	v_lshlrev_b32_e32 v5, 3, v2
	v_cmpx_eq_u32_e64 v0, v1
	s_cbranch_execz .LBB532_43
; %bb.42:
	ds_write_b32 v5, v3
	ds_write_b8 v5, v4 offset:4
.LBB532_43:
	s_or_b32 exec_lo, exec_lo, s3
	s_mov_b32 s3, exec_lo
	s_waitcnt lgkmcnt(0)
	s_barrier
	buffer_gl0_inv
	v_cmpx_gt_u32_e32 8, v0
	s_cbranch_execz .LBB532_51
; %bb.44:
	ds_read_b64 v[1:2], v21
	v_and_b32_e32 v6, 7, v22
	s_mov_b32 s4, exec_lo
	s_waitcnt lgkmcnt(0)
	v_and_b32_e32 v7, 0xffffff00, v2
	v_mov_b32_dpp v17, v1 row_shr:1 row_mask:0xf bank_mask:0xf
	v_mov_b32_dpp v18, v2 row_shr:1 row_mask:0xf bank_mask:0xf
	v_mov_b32_e32 v8, v2
	v_cmpx_ne_u32_e32 0, v6
	s_cbranch_execz .LBB532_46
; %bb.45:
	v_mov_b32_e32 v8, 0
	v_and_b32_e32 v19, 1, v2
	v_and_b32_e32 v18, 1, v18
	v_cmp_eq_u16_sdwa vcc_lo, v2, v8 src0_sel:BYTE_0 src1_sel:DWORD
	v_cndmask_b32_e32 v8, 1, v17, vcc_lo
	v_cmp_eq_u32_e32 vcc_lo, 1, v19
	v_mul_lo_u32 v1, v8, v1
	v_cndmask_b32_e64 v2, v18, 1, vcc_lo
	v_or_b32_sdwa v8, v7, v2 dst_sel:DWORD dst_unused:UNUSED_PAD src0_sel:DWORD src1_sel:WORD_0
.LBB532_46:
	s_or_b32 exec_lo, exec_lo, s4
	v_mov_b32_dpp v17, v1 row_shr:2 row_mask:0xf bank_mask:0xf
	v_mov_b32_dpp v18, v8 row_shr:2 row_mask:0xf bank_mask:0xf
	s_mov_b32 s4, exec_lo
	v_cmpx_lt_u32_e32 1, v6
	s_cbranch_execz .LBB532_48
; %bb.47:
	v_mov_b32_e32 v8, 0
	v_and_b32_e32 v19, 1, v2
	v_and_b32_e32 v18, 1, v18
	v_cmp_eq_u16_sdwa vcc_lo, v2, v8 src0_sel:BYTE_0 src1_sel:DWORD
	v_cndmask_b32_e32 v8, 1, v17, vcc_lo
	v_cmp_eq_u32_e32 vcc_lo, 1, v19
	v_mul_lo_u32 v1, v8, v1
	v_cndmask_b32_e64 v2, v18, 1, vcc_lo
	v_or_b32_sdwa v8, v7, v2 dst_sel:DWORD dst_unused:UNUSED_PAD src0_sel:DWORD src1_sel:WORD_0
.LBB532_48:
	s_or_b32 exec_lo, exec_lo, s4
	v_mov_b32_dpp v17, v1 row_shr:4 row_mask:0xf bank_mask:0xf
	v_mov_b32_dpp v7, v8 row_shr:4 row_mask:0xf bank_mask:0xf
	s_mov_b32 s4, exec_lo
	v_cmpx_lt_u32_e32 3, v6
	s_cbranch_execz .LBB532_50
; %bb.49:
	v_mov_b32_e32 v6, 0
	v_and_b32_e32 v7, 1, v7
	v_cmp_eq_u16_sdwa vcc_lo, v2, v6 src0_sel:BYTE_0 src1_sel:DWORD
	v_and_b32_e32 v2, 1, v2
	v_cndmask_b32_e32 v6, 1, v17, vcc_lo
	v_cmp_eq_u32_e32 vcc_lo, 1, v2
	v_mul_lo_u32 v1, v6, v1
	v_cndmask_b32_e64 v2, v7, 1, vcc_lo
.LBB532_50:
	s_or_b32 exec_lo, exec_lo, s4
	ds_write_b32 v21, v1
	ds_write_b8 v21, v2 offset:4
.LBB532_51:
	s_or_b32 exec_lo, exec_lo, s3
	v_mov_b32_e32 v25, 0
	v_mov_b32_e32 v24, 0
	s_mov_b32 s4, exec_lo
	v_cmp_gt_u32_e32 vcc_lo, 32, v0
	s_waitcnt lgkmcnt(0)
	s_barrier
	buffer_gl0_inv
	v_cmpx_lt_u32_e32 31, v0
	s_cbranch_execz .LBB532_53
; %bb.52:
	v_add_nc_u32_e32 v1, -8, v5
	v_and_b32_e32 v2, 1, v4
	ds_read_b32 v24, v1
	v_add_nc_u32_e32 v1, -4, v5
	ds_read_u8 v25, v1
	v_mov_b32_e32 v1, 0
	v_cmp_eq_u16_sdwa s3, v4, v1 src0_sel:BYTE_0 src1_sel:DWORD
	s_waitcnt lgkmcnt(1)
	v_cndmask_b32_e64 v1, 1, v24, s3
	v_cmp_eq_u32_e64 s3, 1, v2
	v_mul_lo_u32 v3, v1, v3
	s_waitcnt lgkmcnt(0)
	v_cndmask_b32_e64 v4, v25, 1, s3
.LBB532_53:
	s_or_b32 exec_lo, exec_lo, s4
	v_sub_co_u32 v1, s3, v22, 1
	v_and_b32_e32 v2, 0xff, v4
	v_cmp_gt_i32_e64 s4, 0, v1
	v_cndmask_b32_e64 v1, v1, v22, s4
	v_lshlrev_b32_e32 v1, 2, v1
	ds_bpermute_b32 v26, v1, v3
	ds_bpermute_b32 v27, v1, v2
	s_and_saveexec_b32 s12, vcc_lo
	s_cbranch_execz .LBB532_93
; %bb.54:
	v_mov_b32_e32 v4, 0
	ds_read_b64 v[1:2], v4 offset:56
	s_and_saveexec_b32 s4, s3
	s_cbranch_execz .LBB532_56
; %bb.55:
	s_add_i32 s24, s9, 32
	s_mov_b32 s25, 0
	v_mov_b32_e32 v3, 1
	s_lshl_b64 s[24:25], s[24:25], 4
	s_add_u32 s24, s16, s24
	s_addc_u32 s25, s17, s25
	v_mov_b32_e32 v5, s24
	v_mov_b32_e32 v6, s25
	s_waitcnt lgkmcnt(0)
	;;#ASMSTART
	global_store_dwordx4 v[5:6], v[1:4] off	
s_waitcnt vmcnt(0)
	;;#ASMEND
.LBB532_56:
	s_or_b32 exec_lo, exec_lo, s4
	v_xad_u32 v17, v22, -1, s9
	s_mov_b32 s5, 0
	v_add_nc_u32_e32 v3, 32, v17
	v_lshlrev_b64 v[5:6], 4, v[3:4]
	v_add_co_u32 v18, vcc_lo, s16, v5
	v_add_co_ci_u32_e64 v19, null, s17, v6, vcc_lo
	;;#ASMSTART
	global_load_dwordx4 v[5:8], v[18:19] off glc dlc	
s_waitcnt vmcnt(0)
	;;#ASMEND
	v_and_b32_e32 v6, 0xff, v6
	v_cmp_eq_u16_sdwa s13, v7, v4 src0_sel:BYTE_0 src1_sel:DWORD
	s_and_saveexec_b32 s4, s13
	s_cbranch_execz .LBB532_60
; %bb.57:
	v_mov_b32_e32 v3, 0
.LBB532_58:                             ; =>This Inner Loop Header: Depth=1
	;;#ASMSTART
	global_load_dwordx4 v[5:8], v[18:19] off glc dlc	
s_waitcnt vmcnt(0)
	;;#ASMEND
	v_cmp_ne_u16_sdwa s13, v7, v3 src0_sel:BYTE_0 src1_sel:DWORD
	s_or_b32 s5, s13, s5
	s_andn2_b32 exec_lo, exec_lo, s5
	s_cbranch_execnz .LBB532_58
; %bb.59:
	s_or_b32 exec_lo, exec_lo, s5
	v_and_b32_e32 v6, 0xff, v6
.LBB532_60:
	s_or_b32 exec_lo, exec_lo, s4
	v_cmp_ne_u32_e32 vcc_lo, 31, v22
	v_mov_b32_e32 v4, 2
	v_lshlrev_b32_e64 v28, v22, -1
	s_mov_b32 s13, exec_lo
	v_add_co_ci_u32_e64 v3, null, 0, v22, vcc_lo
	v_cmp_eq_u16_sdwa s4, v7, v4 src0_sel:BYTE_0 src1_sel:DWORD
	v_mov_b32_e32 v4, v6
	v_lshlrev_b32_e32 v19, 2, v3
	v_and_or_b32 v3, s4, v28, 0x80000000
	s_mov_b32 s4, 0
	ds_bpermute_b32 v8, v19, v5
	ds_bpermute_b32 v18, v19, v6
	v_ffbl_b32_e32 v3, v3
	v_cmpx_lt_u32_e64 v22, v3
	s_cbranch_execz .LBB532_62
; %bb.61:
	s_mov_b32 s5, 1
	v_and_b32_e32 v4, 1, v6
	v_cmp_gt_u64_e32 vcc_lo, s[4:5], v[5:6]
	s_waitcnt lgkmcnt(0)
	v_and_b32_e32 v18, 1, v18
	v_cndmask_b32_e32 v8, 1, v8, vcc_lo
	v_cmp_eq_u32_e32 vcc_lo, 1, v4
	v_mul_lo_u32 v5, v8, v5
	v_cndmask_b32_e64 v6, v18, 1, vcc_lo
	v_and_b32_e32 v4, 0xffff, v6
.LBB532_62:
	s_or_b32 exec_lo, exec_lo, s13
	v_cmp_gt_u32_e32 vcc_lo, 30, v22
	v_add_nc_u32_e32 v30, 2, v22
	s_mov_b32 s4, exec_lo
	s_waitcnt lgkmcnt(1)
	v_cndmask_b32_e64 v8, 0, 2, vcc_lo
	v_add_lshl_u32 v29, v8, v22, 2
	ds_bpermute_b32 v8, v29, v5
	s_waitcnt lgkmcnt(1)
	ds_bpermute_b32 v18, v29, v4
	v_cmpx_le_u32_e64 v30, v3
	s_cbranch_execz .LBB532_64
; %bb.63:
	v_and_b32_e32 v4, 1, v6
	v_cmp_eq_u16_e32 vcc_lo, 0, v6
	s_waitcnt lgkmcnt(0)
	v_and_b32_e32 v18, 1, v18
	v_cndmask_b32_e32 v8, 1, v8, vcc_lo
	v_cmp_eq_u32_e32 vcc_lo, 1, v4
	v_mul_lo_u32 v5, v8, v5
	v_cndmask_b32_e64 v6, v18, 1, vcc_lo
	v_and_b32_e32 v4, 0xffff, v6
.LBB532_64:
	s_or_b32 exec_lo, exec_lo, s4
	v_cmp_gt_u32_e32 vcc_lo, 28, v22
	v_add_nc_u32_e32 v32, 4, v22
	s_mov_b32 s4, exec_lo
	s_waitcnt lgkmcnt(1)
	v_cndmask_b32_e64 v8, 0, 4, vcc_lo
	v_add_lshl_u32 v31, v8, v22, 2
	ds_bpermute_b32 v8, v31, v5
	s_waitcnt lgkmcnt(1)
	ds_bpermute_b32 v18, v31, v4
	v_cmpx_le_u32_e64 v32, v3
	s_cbranch_execz .LBB532_66
; %bb.65:
	v_and_b32_e32 v4, 1, v6
	v_cmp_eq_u16_e32 vcc_lo, 0, v6
	s_waitcnt lgkmcnt(0)
	v_and_b32_e32 v18, 1, v18
	v_cndmask_b32_e32 v8, 1, v8, vcc_lo
	v_cmp_eq_u32_e32 vcc_lo, 1, v4
	v_mul_lo_u32 v5, v8, v5
	v_cndmask_b32_e64 v6, v18, 1, vcc_lo
	v_and_b32_e32 v4, 0xffff, v6
.LBB532_66:
	;; [unrolled: 23-line block ×3, first 2 shown]
	s_or_b32 exec_lo, exec_lo, s4
	v_lshl_or_b32 v37, v22, 2, 64
	v_add_nc_u32_e32 v38, 16, v22
	s_mov_b32 s4, exec_lo
	s_waitcnt lgkmcnt(1)
	ds_bpermute_b32 v8, v37, v5
	ds_bpermute_b32 v4, v37, v4
	v_cmpx_le_u32_e64 v38, v3
	s_cbranch_execz .LBB532_70
; %bb.69:
	v_cmp_eq_u16_e32 vcc_lo, 0, v6
	v_and_b32_e32 v6, 1, v6
	s_waitcnt lgkmcnt(0)
	v_and_b32_e32 v4, 1, v4
	v_cndmask_b32_e32 v3, 1, v8, vcc_lo
	v_cmp_eq_u32_e32 vcc_lo, 1, v6
	v_mul_lo_u32 v5, v3, v5
	v_cndmask_b32_e64 v6, v4, 1, vcc_lo
.LBB532_70:
	s_or_b32 exec_lo, exec_lo, s4
	s_waitcnt lgkmcnt(2)
	v_mov_b32_e32 v18, 0
	v_mov_b32_e32 v39, 2
	s_mov_b32 s4, 0
	s_mov_b32 s5, 1
	s_branch .LBB532_73
.LBB532_71:                             ;   in Loop: Header=BB532_73 Depth=1
	s_or_b32 exec_lo, exec_lo, s13
	v_cmp_eq_u16_sdwa vcc_lo, v35, v18 src0_sel:BYTE_0 src1_sel:DWORD
	s_waitcnt lgkmcnt(0)
	v_and_b32_e32 v4, 1, v35
	v_and_b32_e32 v6, 1, v6
	v_subrev_nc_u32_e32 v17, 32, v17
	s_mov_b32 s13, 0
	v_cndmask_b32_e32 v3, 1, v5, vcc_lo
	v_cmp_eq_u32_e32 vcc_lo, 1, v4
	v_mul_lo_u32 v5, v3, v36
	v_cndmask_b32_e64 v6, v6, 1, vcc_lo
.LBB532_72:                             ;   in Loop: Header=BB532_73 Depth=1
	s_and_b32 vcc_lo, exec_lo, s13
	s_cbranch_vccnz .LBB532_89
.LBB532_73:                             ; =>This Loop Header: Depth=1
                                        ;     Child Loop BB532_76 Depth 2
	v_cmp_ne_u16_sdwa s13, v7, v39 src0_sel:BYTE_0 src1_sel:DWORD
	v_mov_b32_e32 v35, v6
	v_mov_b32_e32 v36, v5
                                        ; implicit-def: $vgpr6
	s_cmp_lg_u32 s13, exec_lo
	s_mov_b32 s13, -1
	s_cbranch_scc1 .LBB532_72
; %bb.74:                               ;   in Loop: Header=BB532_73 Depth=1
	s_waitcnt lgkmcnt(0)
	v_lshlrev_b64 v[3:4], 4, v[17:18]
	v_add_co_u32 v3, vcc_lo, s16, v3
	v_add_co_ci_u32_e64 v4, null, s17, v4, vcc_lo
	;;#ASMSTART
	global_load_dwordx4 v[5:8], v[3:4] off glc dlc	
s_waitcnt vmcnt(0)
	;;#ASMEND
	v_and_b32_e32 v6, 0xff, v6
	v_cmp_eq_u16_sdwa s19, v7, v18 src0_sel:BYTE_0 src1_sel:DWORD
	s_and_saveexec_b32 s13, s19
	s_cbranch_execz .LBB532_78
; %bb.75:                               ;   in Loop: Header=BB532_73 Depth=1
	s_mov_b32 s19, 0
.LBB532_76:                             ;   Parent Loop BB532_73 Depth=1
                                        ; =>  This Inner Loop Header: Depth=2
	;;#ASMSTART
	global_load_dwordx4 v[5:8], v[3:4] off glc dlc	
s_waitcnt vmcnt(0)
	;;#ASMEND
	v_cmp_ne_u16_sdwa s23, v7, v18 src0_sel:BYTE_0 src1_sel:DWORD
	s_or_b32 s19, s23, s19
	s_andn2_b32 exec_lo, exec_lo, s19
	s_cbranch_execnz .LBB532_76
; %bb.77:                               ;   in Loop: Header=BB532_73 Depth=1
	s_or_b32 exec_lo, exec_lo, s19
	v_and_b32_e32 v6, 0xff, v6
.LBB532_78:                             ;   in Loop: Header=BB532_73 Depth=1
	s_or_b32 exec_lo, exec_lo, s13
	ds_bpermute_b32 v8, v19, v5
	ds_bpermute_b32 v40, v19, v6
	v_cmp_eq_u16_sdwa s13, v7, v39 src0_sel:BYTE_0 src1_sel:DWORD
	v_mov_b32_e32 v4, v6
	v_and_or_b32 v3, s13, v28, 0x80000000
	s_mov_b32 s13, exec_lo
	v_ffbl_b32_e32 v3, v3
	v_cmpx_lt_u32_e64 v22, v3
	s_cbranch_execz .LBB532_80
; %bb.79:                               ;   in Loop: Header=BB532_73 Depth=1
	v_cmp_gt_u64_e32 vcc_lo, s[4:5], v[5:6]
	v_and_b32_e32 v4, 1, v6
	s_waitcnt lgkmcnt(0)
	v_and_b32_e32 v40, 1, v40
	v_cndmask_b32_e32 v8, 1, v8, vcc_lo
	v_cmp_eq_u32_e32 vcc_lo, 1, v4
	v_mul_lo_u32 v5, v8, v5
	v_cndmask_b32_e64 v6, v40, 1, vcc_lo
	v_and_b32_e32 v4, 0xffff, v6
.LBB532_80:                             ;   in Loop: Header=BB532_73 Depth=1
	s_or_b32 exec_lo, exec_lo, s13
	s_waitcnt lgkmcnt(1)
	ds_bpermute_b32 v8, v29, v5
	s_waitcnt lgkmcnt(1)
	ds_bpermute_b32 v40, v29, v4
	s_mov_b32 s13, exec_lo
	v_cmpx_le_u32_e64 v30, v3
	s_cbranch_execz .LBB532_82
; %bb.81:                               ;   in Loop: Header=BB532_73 Depth=1
	v_and_b32_e32 v4, 1, v6
	v_cmp_eq_u16_e32 vcc_lo, 0, v6
	s_waitcnt lgkmcnt(0)
	v_and_b32_e32 v40, 1, v40
	v_cndmask_b32_e32 v8, 1, v8, vcc_lo
	v_cmp_eq_u32_e32 vcc_lo, 1, v4
	v_mul_lo_u32 v5, v8, v5
	v_cndmask_b32_e64 v6, v40, 1, vcc_lo
	v_and_b32_e32 v4, 0xffff, v6
.LBB532_82:                             ;   in Loop: Header=BB532_73 Depth=1
	s_or_b32 exec_lo, exec_lo, s13
	s_waitcnt lgkmcnt(1)
	ds_bpermute_b32 v8, v31, v5
	s_waitcnt lgkmcnt(1)
	ds_bpermute_b32 v40, v31, v4
	s_mov_b32 s13, exec_lo
	v_cmpx_le_u32_e64 v32, v3
	s_cbranch_execz .LBB532_84
; %bb.83:                               ;   in Loop: Header=BB532_73 Depth=1
	v_and_b32_e32 v4, 1, v6
	v_cmp_eq_u16_e32 vcc_lo, 0, v6
	s_waitcnt lgkmcnt(0)
	v_and_b32_e32 v40, 1, v40
	v_cndmask_b32_e32 v8, 1, v8, vcc_lo
	v_cmp_eq_u32_e32 vcc_lo, 1, v4
	v_mul_lo_u32 v5, v8, v5
	v_cndmask_b32_e64 v6, v40, 1, vcc_lo
	v_and_b32_e32 v4, 0xffff, v6
.LBB532_84:                             ;   in Loop: Header=BB532_73 Depth=1
	s_or_b32 exec_lo, exec_lo, s13
	s_waitcnt lgkmcnt(1)
	ds_bpermute_b32 v8, v33, v5
	s_waitcnt lgkmcnt(1)
	ds_bpermute_b32 v40, v33, v4
	s_mov_b32 s13, exec_lo
	v_cmpx_le_u32_e64 v34, v3
	s_cbranch_execz .LBB532_86
; %bb.85:                               ;   in Loop: Header=BB532_73 Depth=1
	v_and_b32_e32 v4, 1, v6
	v_cmp_eq_u16_e32 vcc_lo, 0, v6
	s_waitcnt lgkmcnt(0)
	v_and_b32_e32 v40, 1, v40
	v_cndmask_b32_e32 v8, 1, v8, vcc_lo
	v_cmp_eq_u32_e32 vcc_lo, 1, v4
	v_mul_lo_u32 v5, v8, v5
	v_cndmask_b32_e64 v6, v40, 1, vcc_lo
	v_and_b32_e32 v4, 0xffff, v6
.LBB532_86:                             ;   in Loop: Header=BB532_73 Depth=1
	s_or_b32 exec_lo, exec_lo, s13
	s_waitcnt lgkmcnt(1)
	ds_bpermute_b32 v8, v37, v5
	ds_bpermute_b32 v4, v37, v4
	s_mov_b32 s13, exec_lo
	v_cmpx_le_u32_e64 v38, v3
	s_cbranch_execz .LBB532_71
; %bb.87:                               ;   in Loop: Header=BB532_73 Depth=1
	v_cmp_eq_u16_e32 vcc_lo, 0, v6
	v_and_b32_e32 v6, 1, v6
	s_waitcnt lgkmcnt(1)
	v_cndmask_b32_e32 v3, 1, v8, vcc_lo
	v_cmp_eq_u32_e32 vcc_lo, 1, v6
	v_mul_lo_u32 v5, v3, v5
	s_waitcnt lgkmcnt(0)
	v_cndmask_b32_e64 v6, v4, 1, vcc_lo
	s_branch .LBB532_71
.LBB532_88:
                                        ; implicit-def: $vgpr6
                                        ; implicit-def: $vgpr5
                                        ; implicit-def: $vgpr7
	s_cbranch_execnz .LBB532_94
	s_branch .LBB532_121
.LBB532_89:
	s_and_saveexec_b32 s4, s3
	s_cbranch_execz .LBB532_91
; %bb.90:
	s_waitcnt lgkmcnt(0)
	v_mov_b32_e32 v4, 0
	v_and_b32_e32 v3, 1, v2
	s_mov_b32 s25, 0
	s_add_i32 s24, s9, 32
	v_and_b32_e32 v5, 1, v35
	v_cmp_eq_u32_sdwa vcc_lo, v2, v4 src0_sel:BYTE_0 src1_sel:DWORD
	s_lshl_b64 s[24:25], s[24:25], 4
	s_add_u32 s24, s16, s24
	s_addc_u32 s25, s17, s25
	v_cndmask_b32_e32 v2, 1, v36, vcc_lo
	v_cmp_eq_u32_e32 vcc_lo, 1, v3
	v_mov_b32_e32 v3, 2
	v_mul_lo_u32 v1, v2, v1
	v_cndmask_b32_e64 v2, v5, 1, vcc_lo
	v_mov_b32_e32 v5, s24
	v_mov_b32_e32 v6, s25
	;;#ASMSTART
	global_store_dwordx4 v[5:6], v[1:4] off	
s_waitcnt vmcnt(0)
	;;#ASMEND
.LBB532_91:
	s_or_b32 exec_lo, exec_lo, s4
	s_and_b32 exec_lo, exec_lo, s0
	s_cbranch_execz .LBB532_93
; %bb.92:
	v_mov_b32_e32 v1, 0
	ds_write_b32 v1, v36 offset:56
	ds_write_b8 v1, v35 offset:60
.LBB532_93:
	s_or_b32 exec_lo, exec_lo, s12
	v_mov_b32_e32 v1, 0
	s_waitcnt lgkmcnt(0)
	s_barrier
	buffer_gl0_inv
	v_cndmask_b32_e64 v2, v27, v25, s3
	ds_read_b32 v3, v1 offset:56
	v_cndmask_b32_e64 v4, v26, v24, s3
	v_cmp_eq_u16_sdwa vcc_lo, v2, v1 src0_sel:BYTE_0 src1_sel:DWORD
	s_waitcnt lgkmcnt(0)
	v_cndmask_b32_e32 v2, 1, v3, vcc_lo
	v_mul_lo_u32 v4, v2, v4
	v_and_b32_e32 v2, 0xff, v12
	v_cmp_eq_u64_e32 vcc_lo, 0, v[1:2]
	v_cndmask_b32_e64 v6, v4, v3, s0
	v_cndmask_b32_e32 v1, 1, v6, vcc_lo
	v_mul_lo_u32 v5, v1, v11
	v_cndmask_b32_e64 v1, 1, v5, s2
	v_mul_lo_u32 v7, v1, v13
	s_branch .LBB532_121
.LBB532_94:
	s_cmp_eq_u64 s[20:21], 0
	v_mov_b32_e32 v3, s22
	s_cselect_b32 s2, -1, 0
	s_cmp_eq_u64 s[6:7], 0
	s_cselect_b32 s3, -1, 0
	s_or_b32 s2, s2, s3
	s_and_b32 vcc_lo, exec_lo, s2
	s_cbranch_vccnz .LBB532_96
; %bb.95:
	v_mov_b32_e32 v1, 0
	global_load_dword v3, v1, s[6:7]
.LBB532_96:
	s_mov_b32 s2, 0
	s_mov_b32 s3, 1
	v_and_b32_e32 v2, 0xff, v23
	v_cmp_gt_u64_e32 vcc_lo, s[2:3], v[13:14]
	v_cmp_gt_u64_e64 s2, s[2:3], v[15:16]
	s_mov_b32 s3, exec_lo
	v_cndmask_b32_e32 v1, 1, v11, vcc_lo
	v_mul_lo_u32 v4, v1, v13
	v_mov_b32_e32 v1, 0
	v_cndmask_b32_e64 v4, 1, v4, s2
	v_cmp_eq_u64_e64 s2, 0, v[1:2]
	v_and_b32_e32 v2, 15, v22
	v_mul_lo_u32 v4, v4, v15
	v_cndmask_b32_e64 v5, 1, v12, s2
	v_and_b32_e32 v6, 0xff, v5
	v_mov_b32_dpp v7, v4 row_shr:1 row_mask:0xf bank_mask:0xf
	v_mov_b32_dpp v8, v6 row_shr:1 row_mask:0xf bank_mask:0xf
	v_cmpx_ne_u32_e32 0, v2
	s_cbranch_execz .LBB532_98
; %bb.97:
	v_and_b32_e32 v6, 1, v5
	v_cmp_eq_u16_sdwa s2, v5, v1 src0_sel:BYTE_0 src1_sel:DWORD
	v_and_b32_e32 v8, 1, v8
	v_cndmask_b32_e64 v1, 1, v7, s2
	v_cmp_eq_u32_e64 s2, 1, v6
	v_mul_lo_u32 v4, v1, v4
	v_cndmask_b32_e64 v5, v8, 1, s2
	v_and_b32_e32 v6, 0xffff, v5
.LBB532_98:
	s_or_b32 exec_lo, exec_lo, s3
	v_mov_b32_dpp v1, v4 row_shr:2 row_mask:0xf bank_mask:0xf
	v_mov_b32_dpp v7, v6 row_shr:2 row_mask:0xf bank_mask:0xf
	s_mov_b32 s3, exec_lo
	v_cmpx_lt_u32_e32 1, v2
	s_cbranch_execz .LBB532_100
; %bb.99:
	v_mov_b32_e32 v6, 0
	v_and_b32_e32 v8, 1, v5
	v_and_b32_e32 v7, 1, v7
	v_cmp_eq_u16_sdwa s2, v5, v6 src0_sel:BYTE_0 src1_sel:DWORD
	v_cndmask_b32_e64 v1, 1, v1, s2
	v_cmp_eq_u32_e64 s2, 1, v8
	v_mul_lo_u32 v4, v1, v4
	v_cndmask_b32_e64 v5, v7, 1, s2
	v_and_b32_e32 v6, 0xffff, v5
.LBB532_100:
	s_or_b32 exec_lo, exec_lo, s3
	v_mov_b32_dpp v1, v4 row_shr:4 row_mask:0xf bank_mask:0xf
	v_mov_b32_dpp v7, v6 row_shr:4 row_mask:0xf bank_mask:0xf
	s_mov_b32 s3, exec_lo
	v_cmpx_lt_u32_e32 3, v2
	s_cbranch_execz .LBB532_102
; %bb.101:
	v_mov_b32_e32 v6, 0
	v_and_b32_e32 v8, 1, v5
	v_and_b32_e32 v7, 1, v7
	v_cmp_eq_u16_sdwa s2, v5, v6 src0_sel:BYTE_0 src1_sel:DWORD
	v_cndmask_b32_e64 v1, 1, v1, s2
	v_cmp_eq_u32_e64 s2, 1, v8
	v_mul_lo_u32 v4, v1, v4
	v_cndmask_b32_e64 v5, v7, 1, s2
	v_and_b32_e32 v6, 0xffff, v5
.LBB532_102:
	;; [unrolled: 17-line block ×3, first 2 shown]
	s_or_b32 exec_lo, exec_lo, s3
	ds_swizzle_b32 v2, v4 offset:swizzle(BROADCAST,32,15)
	ds_swizzle_b32 v1, v6 offset:swizzle(BROADCAST,32,15)
	v_and_b32_e32 v6, 16, v22
	s_mov_b32 s3, exec_lo
	v_cmpx_ne_u32_e32 0, v6
	s_cbranch_execz .LBB532_106
; %bb.105:
	v_mov_b32_e32 v6, 0
	s_waitcnt lgkmcnt(0)
	v_and_b32_e32 v1, 1, v1
	v_cmp_eq_u16_sdwa s2, v5, v6 src0_sel:BYTE_0 src1_sel:DWORD
	v_and_b32_e32 v5, 1, v5
	v_cndmask_b32_e64 v2, 1, v2, s2
	v_cmp_eq_u32_e64 s2, 1, v5
	v_mul_lo_u32 v4, v2, v4
	v_cndmask_b32_e64 v5, v1, 1, s2
.LBB532_106:
	s_or_b32 exec_lo, exec_lo, s3
	s_waitcnt lgkmcnt(1)
	v_lshrrev_b32_e32 v2, 5, v0
	s_waitcnt lgkmcnt(0)
	v_or_b32_e32 v1, 31, v0
	s_mov_b32 s3, exec_lo
	v_lshlrev_b32_e32 v6, 3, v2
	v_cmpx_eq_u32_e64 v0, v1
	s_cbranch_execz .LBB532_108
; %bb.107:
	ds_write_b32 v6, v4
	ds_write_b8 v6, v5 offset:4
.LBB532_108:
	s_or_b32 exec_lo, exec_lo, s3
	s_mov_b32 s3, exec_lo
	s_waitcnt vmcnt(0) lgkmcnt(0)
	s_barrier
	buffer_gl0_inv
	v_cmpx_gt_u32_e32 8, v0
	s_cbranch_execz .LBB532_116
; %bb.109:
	ds_read_b64 v[1:2], v21
	v_and_b32_e32 v7, 7, v22
	s_mov_b32 s4, exec_lo
	s_waitcnt lgkmcnt(0)
	v_and_b32_e32 v8, 0xffffff00, v2
	v_mov_b32_dpp v15, v1 row_shr:1 row_mask:0xf bank_mask:0xf
	v_mov_b32_dpp v16, v2 row_shr:1 row_mask:0xf bank_mask:0xf
	v_mov_b32_e32 v14, v2
	v_cmpx_ne_u32_e32 0, v7
	s_cbranch_execz .LBB532_111
; %bb.110:
	v_mov_b32_e32 v14, 0
	v_and_b32_e32 v17, 1, v2
	v_and_b32_e32 v16, 1, v16
	v_cmp_eq_u16_sdwa s2, v2, v14 src0_sel:BYTE_0 src1_sel:DWORD
	v_cndmask_b32_e64 v14, 1, v15, s2
	v_cmp_eq_u32_e64 s2, 1, v17
	v_mul_lo_u32 v1, v14, v1
	v_cndmask_b32_e64 v2, v16, 1, s2
	v_or_b32_sdwa v14, v8, v2 dst_sel:DWORD dst_unused:UNUSED_PAD src0_sel:DWORD src1_sel:WORD_0
.LBB532_111:
	s_or_b32 exec_lo, exec_lo, s4
	v_mov_b32_dpp v15, v1 row_shr:2 row_mask:0xf bank_mask:0xf
	v_mov_b32_dpp v16, v14 row_shr:2 row_mask:0xf bank_mask:0xf
	s_mov_b32 s4, exec_lo
	v_cmpx_lt_u32_e32 1, v7
	s_cbranch_execz .LBB532_113
; %bb.112:
	v_mov_b32_e32 v14, 0
	v_and_b32_e32 v17, 1, v2
	v_and_b32_e32 v16, 1, v16
	v_cmp_eq_u16_sdwa s2, v2, v14 src0_sel:BYTE_0 src1_sel:DWORD
	v_cndmask_b32_e64 v14, 1, v15, s2
	v_cmp_eq_u32_e64 s2, 1, v17
	v_mul_lo_u32 v1, v14, v1
	v_cndmask_b32_e64 v2, v16, 1, s2
	v_or_b32_sdwa v14, v8, v2 dst_sel:DWORD dst_unused:UNUSED_PAD src0_sel:DWORD src1_sel:WORD_0
.LBB532_113:
	s_or_b32 exec_lo, exec_lo, s4
	v_mov_b32_dpp v15, v1 row_shr:4 row_mask:0xf bank_mask:0xf
	v_mov_b32_dpp v8, v14 row_shr:4 row_mask:0xf bank_mask:0xf
	s_mov_b32 s4, exec_lo
	v_cmpx_lt_u32_e32 3, v7
	s_cbranch_execz .LBB532_115
; %bb.114:
	v_mov_b32_e32 v7, 0
	v_and_b32_e32 v8, 1, v8
	v_cmp_eq_u16_sdwa s2, v2, v7 src0_sel:BYTE_0 src1_sel:DWORD
	v_and_b32_e32 v2, 1, v2
	v_cndmask_b32_e64 v7, 1, v15, s2
	v_cmp_eq_u32_e64 s2, 1, v2
	v_mul_lo_u32 v1, v7, v1
	v_cndmask_b32_e64 v2, v8, 1, s2
.LBB532_115:
	s_or_b32 exec_lo, exec_lo, s4
	ds_write_b32 v21, v1
	ds_write_b8 v21, v2 offset:4
.LBB532_116:
	s_or_b32 exec_lo, exec_lo, s3
	v_mov_b32_e32 v2, v3
	s_mov_b32 s3, exec_lo
	s_waitcnt lgkmcnt(0)
	s_barrier
	buffer_gl0_inv
	v_cmpx_lt_u32_e32 31, v0
	s_cbranch_execz .LBB532_118
; %bb.117:
	v_add_nc_u32_e32 v1, -4, v6
	v_add_nc_u32_e32 v2, -8, v6
	ds_read_u8 v1, v1
	ds_read_b32 v2, v2
	s_waitcnt lgkmcnt(1)
	v_cmp_eq_u16_e64 s2, 0, v1
	v_cndmask_b32_e64 v1, 1, v3, s2
	s_waitcnt lgkmcnt(0)
	v_mul_lo_u32 v2, v1, v2
.LBB532_118:
	s_or_b32 exec_lo, exec_lo, s3
	v_mov_b32_e32 v1, 0
	v_sub_co_u32 v6, s2, v22, 1
	v_cmp_eq_u16_sdwa s3, v5, v1 src0_sel:BYTE_0 src1_sel:DWORD
	v_cndmask_b32_e64 v5, 1, v2, s3
	v_cmp_gt_i32_e64 s3, 0, v6
	v_mul_lo_u32 v4, v5, v4
	v_cndmask_b32_e64 v6, v6, v22, s3
	v_lshlrev_b32_e32 v5, 2, v6
	ds_bpermute_b32 v4, v5, v4
	s_waitcnt lgkmcnt(0)
	v_cndmask_b32_e64 v6, v4, v2, s2
	v_and_b32_e32 v2, 0xff, v12
	v_cndmask_b32_e64 v4, v6, v3, s0
	v_cmp_eq_u64_e64 s2, 0, v[1:2]
	v_cndmask_b32_e64 v2, 1, v4, s2
	v_mul_lo_u32 v5, v2, v11
	v_cndmask_b32_e32 v2, 1, v5, vcc_lo
	s_and_saveexec_b32 s2, s0
	s_cbranch_execz .LBB532_120
; %bb.119:
	ds_read_u8 v4, v1 offset:60
	ds_read_b32 v6, v1 offset:56
	v_mov_b32_e32 v16, v1
	s_add_u32 s4, s16, 0x200
	s_addc_u32 s5, s17, 0
	v_mov_b32_e32 v17, v1
	v_mov_b32_e32 v8, s5
	;; [unrolled: 1-line block ×3, first 2 shown]
	s_waitcnt lgkmcnt(1)
	v_and_b32_e32 v15, 0xffff, v4
	v_cmp_eq_u64_e32 vcc_lo, 0, v[15:16]
	v_mov_b32_e32 v16, 2
	v_cndmask_b32_e32 v4, 1, v3, vcc_lo
	s_waitcnt lgkmcnt(0)
	v_mul_lo_u32 v14, v4, v6
	v_mov_b32_e32 v6, v3
	;;#ASMSTART
	global_store_dwordx4 v[7:8], v[14:17] off	
s_waitcnt vmcnt(0)
	;;#ASMEND
.LBB532_120:
	s_or_b32 exec_lo, exec_lo, s2
	v_mul_lo_u32 v7, v2, v13
.LBB532_121:
	s_add_u32 s0, s14, s10
	s_addc_u32 s2, s15, s11
	v_add_co_u32 v8, vcc_lo, s0, v9
	v_add_co_ci_u32_e64 v9, null, s2, v10, vcc_lo
	v_mov_b32_e32 v3, 0
	s_and_b32 vcc_lo, exec_lo, s1
	s_cbranch_vccz .LBB532_133
; %bb.122:
	v_mul_u32_u24_e32 v1, 3, v0
	v_mov_b32_e32 v4, 0
	v_mov_b32_e32 v2, 0
	s_add_i32 s8, s8, s18
	s_mov_b32 s0, exec_lo
	v_cmpx_gt_u32_e64 s8, v1
	s_cbranch_execz .LBB532_128
; %bb.123:
	v_add_nc_u32_e32 v3, 1, v1
	v_mov_b32_e32 v2, 0
	v_mov_b32_e32 v4, 0
	s_mov_b32 s1, exec_lo
	v_cmpx_gt_u32_e64 s8, v3
	s_cbranch_execz .LBB532_127
; %bb.124:
	v_add_nc_u32_e32 v2, 2, v1
	v_cmp_gt_u32_e32 vcc_lo, s8, v2
	v_mov_b32_e32 v2, 0
	s_and_saveexec_b32 s2, vcc_lo
; %bb.125:
	v_mov_b32_e32 v2, v7
; %bb.126:
	s_or_b32 exec_lo, exec_lo, s2
	v_mov_b32_e32 v4, v5
.LBB532_127:
	s_or_b32 exec_lo, exec_lo, s1
	v_mov_b32_e32 v3, v6
.LBB532_128:
	s_or_b32 exec_lo, exec_lo, s0
	v_lshlrev_b32_e32 v10, 2, v1
	s_barrier
	buffer_gl0_inv
	s_mov_b32 s0, exec_lo
	v_sub_nc_u32_e32 v1, v10, v21
	ds_write2_b32 v10, v3, v4 offset1:1
	ds_write_b32 v10, v2 offset:8
	s_waitcnt lgkmcnt(0)
	s_barrier
	buffer_gl0_inv
	ds_read2st64_b32 v[1:2], v1 offset0:4 offset1:8
	v_add_co_u32 v3, vcc_lo, v8, v20
	v_add_co_ci_u32_e64 v4, null, 0, v9, vcc_lo
	v_cmpx_gt_u32_e64 s8, v0
	s_cbranch_execz .LBB532_130
; %bb.129:
	v_sub_nc_u32_e32 v11, 0, v21
	v_add_nc_u32_e32 v10, v10, v11
	ds_read_b32 v10, v10
	s_waitcnt lgkmcnt(0)
	flat_store_dword v[3:4], v10
.LBB532_130:
	s_or_b32 exec_lo, exec_lo, s0
	v_or_b32_e32 v10, 0x100, v0
	s_mov_b32 s0, exec_lo
	v_cmpx_gt_u32_e64 s8, v10
	s_cbranch_execz .LBB532_132
; %bb.131:
	s_waitcnt lgkmcnt(0)
	flat_store_dword v[3:4], v1 offset:1024
.LBB532_132:
	s_or_b32 exec_lo, exec_lo, s0
	s_waitcnt lgkmcnt(0)
	v_or_b32_e32 v1, 0x200, v0
	v_cmp_gt_u32_e64 s0, s8, v1
	s_branch .LBB532_135
.LBB532_133:
	s_mov_b32 s0, 0
                                        ; implicit-def: $vgpr2
	s_cbranch_execz .LBB532_135
; %bb.134:
	v_mul_u32_u24_e32 v1, 12, v0
	s_waitcnt_vscnt null, 0x0
	s_barrier
	buffer_gl0_inv
	s_or_b32 s0, s0, exec_lo
	v_sub_nc_u32_e32 v2, v1, v21
	ds_write2_b32 v1, v6, v5 offset1:1
	ds_write_b32 v1, v7 offset:8
	s_waitcnt lgkmcnt(0)
	s_barrier
	buffer_gl0_inv
	ds_read2st64_b32 v[3:4], v2 offset1:4
	ds_read_b32 v2, v2 offset:2048
	v_add_co_u32 v5, vcc_lo, v8, v20
	v_add_co_ci_u32_e64 v6, null, 0, v9, vcc_lo
	s_waitcnt lgkmcnt(1)
	flat_store_dword v[5:6], v3
	flat_store_dword v[5:6], v4 offset:1024
.LBB532_135:
	s_and_saveexec_b32 s1, s0
	s_cbranch_execnz .LBB532_137
; %bb.136:
	s_endpgm
.LBB532_137:
	v_lshlrev_b32_e32 v0, 2, v0
	v_add_co_u32 v0, vcc_lo, v8, v0
	v_add_co_ci_u32_e64 v1, null, 0, v9, vcc_lo
	v_add_co_u32 v0, vcc_lo, 0x800, v0
	v_add_co_ci_u32_e64 v1, null, 0, v1, vcc_lo
	s_waitcnt lgkmcnt(2)
	flat_store_dword v[0:1], v2
	s_endpgm
.LBB532_138:
	v_add_co_u32 v2, vcc_lo, v8, v12
	v_add_co_ci_u32_e64 v3, null, 0, v15, vcc_lo
	v_mov_b32_e32 v20, v1
	v_mov_b32_e32 v21, v1
	flat_load_dword v19, v[2:3]
	s_waitcnt vmcnt(0) lgkmcnt(0)
	v_mov_b32_e32 v1, v19
	v_mov_b32_e32 v2, v20
	;; [unrolled: 1-line block ×3, first 2 shown]
	s_or_b32 exec_lo, exec_lo, s4
	s_and_saveexec_b32 s4, s2
	s_cbranch_execz .LBB532_15
.LBB532_139:
	v_add_co_u32 v13, vcc_lo, v8, v12
	v_add_co_ci_u32_e64 v14, null, 0, v15, vcc_lo
	flat_load_dword v2, v[13:14] offset:1024
	s_or_b32 exec_lo, exec_lo, s4
	v_mul_u32_u24_e32 v19, 3, v0
	s_and_saveexec_b32 s2, s3
	s_cbranch_execnz .LBB532_16
	s_branch .LBB532_17
	.section	.rodata,"a",@progbits
	.p2align	6, 0x0
	.amdhsa_kernel _ZN7rocprim17ROCPRIM_400000_NS6detail17trampoline_kernelINS0_14default_configENS1_27scan_by_key_config_selectorIiiEEZZNS1_16scan_by_key_implILNS1_25lookback_scan_determinismE0ELb1ES3_N6thrust23THRUST_200600_302600_NS6detail15normal_iteratorINS9_10device_ptrIiEEEESE_SE_iNS9_10multipliesIiEENS9_8equal_toIiEEiEE10hipError_tPvRmT2_T3_T4_T5_mT6_T7_P12ihipStream_tbENKUlT_T0_E_clISt17integral_constantIbLb0EESY_IbLb1EEEEDaSU_SV_EUlSU_E_NS1_11comp_targetILNS1_3genE8ELNS1_11target_archE1030ELNS1_3gpuE2ELNS1_3repE0EEENS1_30default_config_static_selectorELNS0_4arch9wavefront6targetE0EEEvT1_
		.amdhsa_group_segment_fixed_size 5120
		.amdhsa_private_segment_fixed_size 0
		.amdhsa_kernarg_size 112
		.amdhsa_user_sgpr_count 6
		.amdhsa_user_sgpr_private_segment_buffer 1
		.amdhsa_user_sgpr_dispatch_ptr 0
		.amdhsa_user_sgpr_queue_ptr 0
		.amdhsa_user_sgpr_kernarg_segment_ptr 1
		.amdhsa_user_sgpr_dispatch_id 0
		.amdhsa_user_sgpr_flat_scratch_init 0
		.amdhsa_user_sgpr_private_segment_size 0
		.amdhsa_wavefront_size32 1
		.amdhsa_uses_dynamic_stack 0
		.amdhsa_system_sgpr_private_segment_wavefront_offset 0
		.amdhsa_system_sgpr_workgroup_id_x 1
		.amdhsa_system_sgpr_workgroup_id_y 0
		.amdhsa_system_sgpr_workgroup_id_z 0
		.amdhsa_system_sgpr_workgroup_info 0
		.amdhsa_system_vgpr_workitem_id 0
		.amdhsa_next_free_vgpr 41
		.amdhsa_next_free_sgpr 26
		.amdhsa_reserve_vcc 1
		.amdhsa_reserve_flat_scratch 1
		.amdhsa_float_round_mode_32 0
		.amdhsa_float_round_mode_16_64 0
		.amdhsa_float_denorm_mode_32 3
		.amdhsa_float_denorm_mode_16_64 3
		.amdhsa_dx10_clamp 1
		.amdhsa_ieee_mode 1
		.amdhsa_fp16_overflow 0
		.amdhsa_workgroup_processor_mode 1
		.amdhsa_memory_ordered 1
		.amdhsa_forward_progress 1
		.amdhsa_shared_vgpr_count 0
		.amdhsa_exception_fp_ieee_invalid_op 0
		.amdhsa_exception_fp_denorm_src 0
		.amdhsa_exception_fp_ieee_div_zero 0
		.amdhsa_exception_fp_ieee_overflow 0
		.amdhsa_exception_fp_ieee_underflow 0
		.amdhsa_exception_fp_ieee_inexact 0
		.amdhsa_exception_int_div_zero 0
	.end_amdhsa_kernel
	.section	.text._ZN7rocprim17ROCPRIM_400000_NS6detail17trampoline_kernelINS0_14default_configENS1_27scan_by_key_config_selectorIiiEEZZNS1_16scan_by_key_implILNS1_25lookback_scan_determinismE0ELb1ES3_N6thrust23THRUST_200600_302600_NS6detail15normal_iteratorINS9_10device_ptrIiEEEESE_SE_iNS9_10multipliesIiEENS9_8equal_toIiEEiEE10hipError_tPvRmT2_T3_T4_T5_mT6_T7_P12ihipStream_tbENKUlT_T0_E_clISt17integral_constantIbLb0EESY_IbLb1EEEEDaSU_SV_EUlSU_E_NS1_11comp_targetILNS1_3genE8ELNS1_11target_archE1030ELNS1_3gpuE2ELNS1_3repE0EEENS1_30default_config_static_selectorELNS0_4arch9wavefront6targetE0EEEvT1_,"axG",@progbits,_ZN7rocprim17ROCPRIM_400000_NS6detail17trampoline_kernelINS0_14default_configENS1_27scan_by_key_config_selectorIiiEEZZNS1_16scan_by_key_implILNS1_25lookback_scan_determinismE0ELb1ES3_N6thrust23THRUST_200600_302600_NS6detail15normal_iteratorINS9_10device_ptrIiEEEESE_SE_iNS9_10multipliesIiEENS9_8equal_toIiEEiEE10hipError_tPvRmT2_T3_T4_T5_mT6_T7_P12ihipStream_tbENKUlT_T0_E_clISt17integral_constantIbLb0EESY_IbLb1EEEEDaSU_SV_EUlSU_E_NS1_11comp_targetILNS1_3genE8ELNS1_11target_archE1030ELNS1_3gpuE2ELNS1_3repE0EEENS1_30default_config_static_selectorELNS0_4arch9wavefront6targetE0EEEvT1_,comdat
.Lfunc_end532:
	.size	_ZN7rocprim17ROCPRIM_400000_NS6detail17trampoline_kernelINS0_14default_configENS1_27scan_by_key_config_selectorIiiEEZZNS1_16scan_by_key_implILNS1_25lookback_scan_determinismE0ELb1ES3_N6thrust23THRUST_200600_302600_NS6detail15normal_iteratorINS9_10device_ptrIiEEEESE_SE_iNS9_10multipliesIiEENS9_8equal_toIiEEiEE10hipError_tPvRmT2_T3_T4_T5_mT6_T7_P12ihipStream_tbENKUlT_T0_E_clISt17integral_constantIbLb0EESY_IbLb1EEEEDaSU_SV_EUlSU_E_NS1_11comp_targetILNS1_3genE8ELNS1_11target_archE1030ELNS1_3gpuE2ELNS1_3repE0EEENS1_30default_config_static_selectorELNS0_4arch9wavefront6targetE0EEEvT1_, .Lfunc_end532-_ZN7rocprim17ROCPRIM_400000_NS6detail17trampoline_kernelINS0_14default_configENS1_27scan_by_key_config_selectorIiiEEZZNS1_16scan_by_key_implILNS1_25lookback_scan_determinismE0ELb1ES3_N6thrust23THRUST_200600_302600_NS6detail15normal_iteratorINS9_10device_ptrIiEEEESE_SE_iNS9_10multipliesIiEENS9_8equal_toIiEEiEE10hipError_tPvRmT2_T3_T4_T5_mT6_T7_P12ihipStream_tbENKUlT_T0_E_clISt17integral_constantIbLb0EESY_IbLb1EEEEDaSU_SV_EUlSU_E_NS1_11comp_targetILNS1_3genE8ELNS1_11target_archE1030ELNS1_3gpuE2ELNS1_3repE0EEENS1_30default_config_static_selectorELNS0_4arch9wavefront6targetE0EEEvT1_
                                        ; -- End function
	.set _ZN7rocprim17ROCPRIM_400000_NS6detail17trampoline_kernelINS0_14default_configENS1_27scan_by_key_config_selectorIiiEEZZNS1_16scan_by_key_implILNS1_25lookback_scan_determinismE0ELb1ES3_N6thrust23THRUST_200600_302600_NS6detail15normal_iteratorINS9_10device_ptrIiEEEESE_SE_iNS9_10multipliesIiEENS9_8equal_toIiEEiEE10hipError_tPvRmT2_T3_T4_T5_mT6_T7_P12ihipStream_tbENKUlT_T0_E_clISt17integral_constantIbLb0EESY_IbLb1EEEEDaSU_SV_EUlSU_E_NS1_11comp_targetILNS1_3genE8ELNS1_11target_archE1030ELNS1_3gpuE2ELNS1_3repE0EEENS1_30default_config_static_selectorELNS0_4arch9wavefront6targetE0EEEvT1_.num_vgpr, 41
	.set _ZN7rocprim17ROCPRIM_400000_NS6detail17trampoline_kernelINS0_14default_configENS1_27scan_by_key_config_selectorIiiEEZZNS1_16scan_by_key_implILNS1_25lookback_scan_determinismE0ELb1ES3_N6thrust23THRUST_200600_302600_NS6detail15normal_iteratorINS9_10device_ptrIiEEEESE_SE_iNS9_10multipliesIiEENS9_8equal_toIiEEiEE10hipError_tPvRmT2_T3_T4_T5_mT6_T7_P12ihipStream_tbENKUlT_T0_E_clISt17integral_constantIbLb0EESY_IbLb1EEEEDaSU_SV_EUlSU_E_NS1_11comp_targetILNS1_3genE8ELNS1_11target_archE1030ELNS1_3gpuE2ELNS1_3repE0EEENS1_30default_config_static_selectorELNS0_4arch9wavefront6targetE0EEEvT1_.num_agpr, 0
	.set _ZN7rocprim17ROCPRIM_400000_NS6detail17trampoline_kernelINS0_14default_configENS1_27scan_by_key_config_selectorIiiEEZZNS1_16scan_by_key_implILNS1_25lookback_scan_determinismE0ELb1ES3_N6thrust23THRUST_200600_302600_NS6detail15normal_iteratorINS9_10device_ptrIiEEEESE_SE_iNS9_10multipliesIiEENS9_8equal_toIiEEiEE10hipError_tPvRmT2_T3_T4_T5_mT6_T7_P12ihipStream_tbENKUlT_T0_E_clISt17integral_constantIbLb0EESY_IbLb1EEEEDaSU_SV_EUlSU_E_NS1_11comp_targetILNS1_3genE8ELNS1_11target_archE1030ELNS1_3gpuE2ELNS1_3repE0EEENS1_30default_config_static_selectorELNS0_4arch9wavefront6targetE0EEEvT1_.numbered_sgpr, 26
	.set _ZN7rocprim17ROCPRIM_400000_NS6detail17trampoline_kernelINS0_14default_configENS1_27scan_by_key_config_selectorIiiEEZZNS1_16scan_by_key_implILNS1_25lookback_scan_determinismE0ELb1ES3_N6thrust23THRUST_200600_302600_NS6detail15normal_iteratorINS9_10device_ptrIiEEEESE_SE_iNS9_10multipliesIiEENS9_8equal_toIiEEiEE10hipError_tPvRmT2_T3_T4_T5_mT6_T7_P12ihipStream_tbENKUlT_T0_E_clISt17integral_constantIbLb0EESY_IbLb1EEEEDaSU_SV_EUlSU_E_NS1_11comp_targetILNS1_3genE8ELNS1_11target_archE1030ELNS1_3gpuE2ELNS1_3repE0EEENS1_30default_config_static_selectorELNS0_4arch9wavefront6targetE0EEEvT1_.num_named_barrier, 0
	.set _ZN7rocprim17ROCPRIM_400000_NS6detail17trampoline_kernelINS0_14default_configENS1_27scan_by_key_config_selectorIiiEEZZNS1_16scan_by_key_implILNS1_25lookback_scan_determinismE0ELb1ES3_N6thrust23THRUST_200600_302600_NS6detail15normal_iteratorINS9_10device_ptrIiEEEESE_SE_iNS9_10multipliesIiEENS9_8equal_toIiEEiEE10hipError_tPvRmT2_T3_T4_T5_mT6_T7_P12ihipStream_tbENKUlT_T0_E_clISt17integral_constantIbLb0EESY_IbLb1EEEEDaSU_SV_EUlSU_E_NS1_11comp_targetILNS1_3genE8ELNS1_11target_archE1030ELNS1_3gpuE2ELNS1_3repE0EEENS1_30default_config_static_selectorELNS0_4arch9wavefront6targetE0EEEvT1_.private_seg_size, 0
	.set _ZN7rocprim17ROCPRIM_400000_NS6detail17trampoline_kernelINS0_14default_configENS1_27scan_by_key_config_selectorIiiEEZZNS1_16scan_by_key_implILNS1_25lookback_scan_determinismE0ELb1ES3_N6thrust23THRUST_200600_302600_NS6detail15normal_iteratorINS9_10device_ptrIiEEEESE_SE_iNS9_10multipliesIiEENS9_8equal_toIiEEiEE10hipError_tPvRmT2_T3_T4_T5_mT6_T7_P12ihipStream_tbENKUlT_T0_E_clISt17integral_constantIbLb0EESY_IbLb1EEEEDaSU_SV_EUlSU_E_NS1_11comp_targetILNS1_3genE8ELNS1_11target_archE1030ELNS1_3gpuE2ELNS1_3repE0EEENS1_30default_config_static_selectorELNS0_4arch9wavefront6targetE0EEEvT1_.uses_vcc, 1
	.set _ZN7rocprim17ROCPRIM_400000_NS6detail17trampoline_kernelINS0_14default_configENS1_27scan_by_key_config_selectorIiiEEZZNS1_16scan_by_key_implILNS1_25lookback_scan_determinismE0ELb1ES3_N6thrust23THRUST_200600_302600_NS6detail15normal_iteratorINS9_10device_ptrIiEEEESE_SE_iNS9_10multipliesIiEENS9_8equal_toIiEEiEE10hipError_tPvRmT2_T3_T4_T5_mT6_T7_P12ihipStream_tbENKUlT_T0_E_clISt17integral_constantIbLb0EESY_IbLb1EEEEDaSU_SV_EUlSU_E_NS1_11comp_targetILNS1_3genE8ELNS1_11target_archE1030ELNS1_3gpuE2ELNS1_3repE0EEENS1_30default_config_static_selectorELNS0_4arch9wavefront6targetE0EEEvT1_.uses_flat_scratch, 1
	.set _ZN7rocprim17ROCPRIM_400000_NS6detail17trampoline_kernelINS0_14default_configENS1_27scan_by_key_config_selectorIiiEEZZNS1_16scan_by_key_implILNS1_25lookback_scan_determinismE0ELb1ES3_N6thrust23THRUST_200600_302600_NS6detail15normal_iteratorINS9_10device_ptrIiEEEESE_SE_iNS9_10multipliesIiEENS9_8equal_toIiEEiEE10hipError_tPvRmT2_T3_T4_T5_mT6_T7_P12ihipStream_tbENKUlT_T0_E_clISt17integral_constantIbLb0EESY_IbLb1EEEEDaSU_SV_EUlSU_E_NS1_11comp_targetILNS1_3genE8ELNS1_11target_archE1030ELNS1_3gpuE2ELNS1_3repE0EEENS1_30default_config_static_selectorELNS0_4arch9wavefront6targetE0EEEvT1_.has_dyn_sized_stack, 0
	.set _ZN7rocprim17ROCPRIM_400000_NS6detail17trampoline_kernelINS0_14default_configENS1_27scan_by_key_config_selectorIiiEEZZNS1_16scan_by_key_implILNS1_25lookback_scan_determinismE0ELb1ES3_N6thrust23THRUST_200600_302600_NS6detail15normal_iteratorINS9_10device_ptrIiEEEESE_SE_iNS9_10multipliesIiEENS9_8equal_toIiEEiEE10hipError_tPvRmT2_T3_T4_T5_mT6_T7_P12ihipStream_tbENKUlT_T0_E_clISt17integral_constantIbLb0EESY_IbLb1EEEEDaSU_SV_EUlSU_E_NS1_11comp_targetILNS1_3genE8ELNS1_11target_archE1030ELNS1_3gpuE2ELNS1_3repE0EEENS1_30default_config_static_selectorELNS0_4arch9wavefront6targetE0EEEvT1_.has_recursion, 0
	.set _ZN7rocprim17ROCPRIM_400000_NS6detail17trampoline_kernelINS0_14default_configENS1_27scan_by_key_config_selectorIiiEEZZNS1_16scan_by_key_implILNS1_25lookback_scan_determinismE0ELb1ES3_N6thrust23THRUST_200600_302600_NS6detail15normal_iteratorINS9_10device_ptrIiEEEESE_SE_iNS9_10multipliesIiEENS9_8equal_toIiEEiEE10hipError_tPvRmT2_T3_T4_T5_mT6_T7_P12ihipStream_tbENKUlT_T0_E_clISt17integral_constantIbLb0EESY_IbLb1EEEEDaSU_SV_EUlSU_E_NS1_11comp_targetILNS1_3genE8ELNS1_11target_archE1030ELNS1_3gpuE2ELNS1_3repE0EEENS1_30default_config_static_selectorELNS0_4arch9wavefront6targetE0EEEvT1_.has_indirect_call, 0
	.section	.AMDGPU.csdata,"",@progbits
; Kernel info:
; codeLenInByte = 6476
; TotalNumSgprs: 28
; NumVgprs: 41
; ScratchSize: 0
; MemoryBound: 0
; FloatMode: 240
; IeeeMode: 1
; LDSByteSize: 5120 bytes/workgroup (compile time only)
; SGPRBlocks: 0
; VGPRBlocks: 5
; NumSGPRsForWavesPerEU: 28
; NumVGPRsForWavesPerEU: 41
; Occupancy: 16
; WaveLimiterHint : 1
; COMPUTE_PGM_RSRC2:SCRATCH_EN: 0
; COMPUTE_PGM_RSRC2:USER_SGPR: 6
; COMPUTE_PGM_RSRC2:TRAP_HANDLER: 0
; COMPUTE_PGM_RSRC2:TGID_X_EN: 1
; COMPUTE_PGM_RSRC2:TGID_Y_EN: 0
; COMPUTE_PGM_RSRC2:TGID_Z_EN: 0
; COMPUTE_PGM_RSRC2:TIDIG_COMP_CNT: 0
	.section	.text._ZN7rocprim17ROCPRIM_400000_NS6detail17trampoline_kernelINS0_14default_configENS1_27scan_by_key_config_selectorIiiEEZZNS1_16scan_by_key_implILNS1_25lookback_scan_determinismE0ELb1ES3_N6thrust23THRUST_200600_302600_NS6detail15normal_iteratorINS9_10device_ptrIiEEEESE_SE_iNS9_4plusIvEENS9_8equal_toIiEEiEE10hipError_tPvRmT2_T3_T4_T5_mT6_T7_P12ihipStream_tbENKUlT_T0_E_clISt17integral_constantIbLb0EESZ_EEDaSU_SV_EUlSU_E_NS1_11comp_targetILNS1_3genE0ELNS1_11target_archE4294967295ELNS1_3gpuE0ELNS1_3repE0EEENS1_30default_config_static_selectorELNS0_4arch9wavefront6targetE0EEEvT1_,"axG",@progbits,_ZN7rocprim17ROCPRIM_400000_NS6detail17trampoline_kernelINS0_14default_configENS1_27scan_by_key_config_selectorIiiEEZZNS1_16scan_by_key_implILNS1_25lookback_scan_determinismE0ELb1ES3_N6thrust23THRUST_200600_302600_NS6detail15normal_iteratorINS9_10device_ptrIiEEEESE_SE_iNS9_4plusIvEENS9_8equal_toIiEEiEE10hipError_tPvRmT2_T3_T4_T5_mT6_T7_P12ihipStream_tbENKUlT_T0_E_clISt17integral_constantIbLb0EESZ_EEDaSU_SV_EUlSU_E_NS1_11comp_targetILNS1_3genE0ELNS1_11target_archE4294967295ELNS1_3gpuE0ELNS1_3repE0EEENS1_30default_config_static_selectorELNS0_4arch9wavefront6targetE0EEEvT1_,comdat
	.protected	_ZN7rocprim17ROCPRIM_400000_NS6detail17trampoline_kernelINS0_14default_configENS1_27scan_by_key_config_selectorIiiEEZZNS1_16scan_by_key_implILNS1_25lookback_scan_determinismE0ELb1ES3_N6thrust23THRUST_200600_302600_NS6detail15normal_iteratorINS9_10device_ptrIiEEEESE_SE_iNS9_4plusIvEENS9_8equal_toIiEEiEE10hipError_tPvRmT2_T3_T4_T5_mT6_T7_P12ihipStream_tbENKUlT_T0_E_clISt17integral_constantIbLb0EESZ_EEDaSU_SV_EUlSU_E_NS1_11comp_targetILNS1_3genE0ELNS1_11target_archE4294967295ELNS1_3gpuE0ELNS1_3repE0EEENS1_30default_config_static_selectorELNS0_4arch9wavefront6targetE0EEEvT1_ ; -- Begin function _ZN7rocprim17ROCPRIM_400000_NS6detail17trampoline_kernelINS0_14default_configENS1_27scan_by_key_config_selectorIiiEEZZNS1_16scan_by_key_implILNS1_25lookback_scan_determinismE0ELb1ES3_N6thrust23THRUST_200600_302600_NS6detail15normal_iteratorINS9_10device_ptrIiEEEESE_SE_iNS9_4plusIvEENS9_8equal_toIiEEiEE10hipError_tPvRmT2_T3_T4_T5_mT6_T7_P12ihipStream_tbENKUlT_T0_E_clISt17integral_constantIbLb0EESZ_EEDaSU_SV_EUlSU_E_NS1_11comp_targetILNS1_3genE0ELNS1_11target_archE4294967295ELNS1_3gpuE0ELNS1_3repE0EEENS1_30default_config_static_selectorELNS0_4arch9wavefront6targetE0EEEvT1_
	.globl	_ZN7rocprim17ROCPRIM_400000_NS6detail17trampoline_kernelINS0_14default_configENS1_27scan_by_key_config_selectorIiiEEZZNS1_16scan_by_key_implILNS1_25lookback_scan_determinismE0ELb1ES3_N6thrust23THRUST_200600_302600_NS6detail15normal_iteratorINS9_10device_ptrIiEEEESE_SE_iNS9_4plusIvEENS9_8equal_toIiEEiEE10hipError_tPvRmT2_T3_T4_T5_mT6_T7_P12ihipStream_tbENKUlT_T0_E_clISt17integral_constantIbLb0EESZ_EEDaSU_SV_EUlSU_E_NS1_11comp_targetILNS1_3genE0ELNS1_11target_archE4294967295ELNS1_3gpuE0ELNS1_3repE0EEENS1_30default_config_static_selectorELNS0_4arch9wavefront6targetE0EEEvT1_
	.p2align	8
	.type	_ZN7rocprim17ROCPRIM_400000_NS6detail17trampoline_kernelINS0_14default_configENS1_27scan_by_key_config_selectorIiiEEZZNS1_16scan_by_key_implILNS1_25lookback_scan_determinismE0ELb1ES3_N6thrust23THRUST_200600_302600_NS6detail15normal_iteratorINS9_10device_ptrIiEEEESE_SE_iNS9_4plusIvEENS9_8equal_toIiEEiEE10hipError_tPvRmT2_T3_T4_T5_mT6_T7_P12ihipStream_tbENKUlT_T0_E_clISt17integral_constantIbLb0EESZ_EEDaSU_SV_EUlSU_E_NS1_11comp_targetILNS1_3genE0ELNS1_11target_archE4294967295ELNS1_3gpuE0ELNS1_3repE0EEENS1_30default_config_static_selectorELNS0_4arch9wavefront6targetE0EEEvT1_,@function
_ZN7rocprim17ROCPRIM_400000_NS6detail17trampoline_kernelINS0_14default_configENS1_27scan_by_key_config_selectorIiiEEZZNS1_16scan_by_key_implILNS1_25lookback_scan_determinismE0ELb1ES3_N6thrust23THRUST_200600_302600_NS6detail15normal_iteratorINS9_10device_ptrIiEEEESE_SE_iNS9_4plusIvEENS9_8equal_toIiEEiEE10hipError_tPvRmT2_T3_T4_T5_mT6_T7_P12ihipStream_tbENKUlT_T0_E_clISt17integral_constantIbLb0EESZ_EEDaSU_SV_EUlSU_E_NS1_11comp_targetILNS1_3genE0ELNS1_11target_archE4294967295ELNS1_3gpuE0ELNS1_3repE0EEENS1_30default_config_static_selectorELNS0_4arch9wavefront6targetE0EEEvT1_: ; @_ZN7rocprim17ROCPRIM_400000_NS6detail17trampoline_kernelINS0_14default_configENS1_27scan_by_key_config_selectorIiiEEZZNS1_16scan_by_key_implILNS1_25lookback_scan_determinismE0ELb1ES3_N6thrust23THRUST_200600_302600_NS6detail15normal_iteratorINS9_10device_ptrIiEEEESE_SE_iNS9_4plusIvEENS9_8equal_toIiEEiEE10hipError_tPvRmT2_T3_T4_T5_mT6_T7_P12ihipStream_tbENKUlT_T0_E_clISt17integral_constantIbLb0EESZ_EEDaSU_SV_EUlSU_E_NS1_11comp_targetILNS1_3genE0ELNS1_11target_archE4294967295ELNS1_3gpuE0ELNS1_3repE0EEENS1_30default_config_static_selectorELNS0_4arch9wavefront6targetE0EEEvT1_
; %bb.0:
	.section	.rodata,"a",@progbits
	.p2align	6, 0x0
	.amdhsa_kernel _ZN7rocprim17ROCPRIM_400000_NS6detail17trampoline_kernelINS0_14default_configENS1_27scan_by_key_config_selectorIiiEEZZNS1_16scan_by_key_implILNS1_25lookback_scan_determinismE0ELb1ES3_N6thrust23THRUST_200600_302600_NS6detail15normal_iteratorINS9_10device_ptrIiEEEESE_SE_iNS9_4plusIvEENS9_8equal_toIiEEiEE10hipError_tPvRmT2_T3_T4_T5_mT6_T7_P12ihipStream_tbENKUlT_T0_E_clISt17integral_constantIbLb0EESZ_EEDaSU_SV_EUlSU_E_NS1_11comp_targetILNS1_3genE0ELNS1_11target_archE4294967295ELNS1_3gpuE0ELNS1_3repE0EEENS1_30default_config_static_selectorELNS0_4arch9wavefront6targetE0EEEvT1_
		.amdhsa_group_segment_fixed_size 0
		.amdhsa_private_segment_fixed_size 0
		.amdhsa_kernarg_size 112
		.amdhsa_user_sgpr_count 6
		.amdhsa_user_sgpr_private_segment_buffer 1
		.amdhsa_user_sgpr_dispatch_ptr 0
		.amdhsa_user_sgpr_queue_ptr 0
		.amdhsa_user_sgpr_kernarg_segment_ptr 1
		.amdhsa_user_sgpr_dispatch_id 0
		.amdhsa_user_sgpr_flat_scratch_init 0
		.amdhsa_user_sgpr_private_segment_size 0
		.amdhsa_wavefront_size32 1
		.amdhsa_uses_dynamic_stack 0
		.amdhsa_system_sgpr_private_segment_wavefront_offset 0
		.amdhsa_system_sgpr_workgroup_id_x 1
		.amdhsa_system_sgpr_workgroup_id_y 0
		.amdhsa_system_sgpr_workgroup_id_z 0
		.amdhsa_system_sgpr_workgroup_info 0
		.amdhsa_system_vgpr_workitem_id 0
		.amdhsa_next_free_vgpr 1
		.amdhsa_next_free_sgpr 1
		.amdhsa_reserve_vcc 0
		.amdhsa_reserve_flat_scratch 0
		.amdhsa_float_round_mode_32 0
		.amdhsa_float_round_mode_16_64 0
		.amdhsa_float_denorm_mode_32 3
		.amdhsa_float_denorm_mode_16_64 3
		.amdhsa_dx10_clamp 1
		.amdhsa_ieee_mode 1
		.amdhsa_fp16_overflow 0
		.amdhsa_workgroup_processor_mode 1
		.amdhsa_memory_ordered 1
		.amdhsa_forward_progress 1
		.amdhsa_shared_vgpr_count 0
		.amdhsa_exception_fp_ieee_invalid_op 0
		.amdhsa_exception_fp_denorm_src 0
		.amdhsa_exception_fp_ieee_div_zero 0
		.amdhsa_exception_fp_ieee_overflow 0
		.amdhsa_exception_fp_ieee_underflow 0
		.amdhsa_exception_fp_ieee_inexact 0
		.amdhsa_exception_int_div_zero 0
	.end_amdhsa_kernel
	.section	.text._ZN7rocprim17ROCPRIM_400000_NS6detail17trampoline_kernelINS0_14default_configENS1_27scan_by_key_config_selectorIiiEEZZNS1_16scan_by_key_implILNS1_25lookback_scan_determinismE0ELb1ES3_N6thrust23THRUST_200600_302600_NS6detail15normal_iteratorINS9_10device_ptrIiEEEESE_SE_iNS9_4plusIvEENS9_8equal_toIiEEiEE10hipError_tPvRmT2_T3_T4_T5_mT6_T7_P12ihipStream_tbENKUlT_T0_E_clISt17integral_constantIbLb0EESZ_EEDaSU_SV_EUlSU_E_NS1_11comp_targetILNS1_3genE0ELNS1_11target_archE4294967295ELNS1_3gpuE0ELNS1_3repE0EEENS1_30default_config_static_selectorELNS0_4arch9wavefront6targetE0EEEvT1_,"axG",@progbits,_ZN7rocprim17ROCPRIM_400000_NS6detail17trampoline_kernelINS0_14default_configENS1_27scan_by_key_config_selectorIiiEEZZNS1_16scan_by_key_implILNS1_25lookback_scan_determinismE0ELb1ES3_N6thrust23THRUST_200600_302600_NS6detail15normal_iteratorINS9_10device_ptrIiEEEESE_SE_iNS9_4plusIvEENS9_8equal_toIiEEiEE10hipError_tPvRmT2_T3_T4_T5_mT6_T7_P12ihipStream_tbENKUlT_T0_E_clISt17integral_constantIbLb0EESZ_EEDaSU_SV_EUlSU_E_NS1_11comp_targetILNS1_3genE0ELNS1_11target_archE4294967295ELNS1_3gpuE0ELNS1_3repE0EEENS1_30default_config_static_selectorELNS0_4arch9wavefront6targetE0EEEvT1_,comdat
.Lfunc_end533:
	.size	_ZN7rocprim17ROCPRIM_400000_NS6detail17trampoline_kernelINS0_14default_configENS1_27scan_by_key_config_selectorIiiEEZZNS1_16scan_by_key_implILNS1_25lookback_scan_determinismE0ELb1ES3_N6thrust23THRUST_200600_302600_NS6detail15normal_iteratorINS9_10device_ptrIiEEEESE_SE_iNS9_4plusIvEENS9_8equal_toIiEEiEE10hipError_tPvRmT2_T3_T4_T5_mT6_T7_P12ihipStream_tbENKUlT_T0_E_clISt17integral_constantIbLb0EESZ_EEDaSU_SV_EUlSU_E_NS1_11comp_targetILNS1_3genE0ELNS1_11target_archE4294967295ELNS1_3gpuE0ELNS1_3repE0EEENS1_30default_config_static_selectorELNS0_4arch9wavefront6targetE0EEEvT1_, .Lfunc_end533-_ZN7rocprim17ROCPRIM_400000_NS6detail17trampoline_kernelINS0_14default_configENS1_27scan_by_key_config_selectorIiiEEZZNS1_16scan_by_key_implILNS1_25lookback_scan_determinismE0ELb1ES3_N6thrust23THRUST_200600_302600_NS6detail15normal_iteratorINS9_10device_ptrIiEEEESE_SE_iNS9_4plusIvEENS9_8equal_toIiEEiEE10hipError_tPvRmT2_T3_T4_T5_mT6_T7_P12ihipStream_tbENKUlT_T0_E_clISt17integral_constantIbLb0EESZ_EEDaSU_SV_EUlSU_E_NS1_11comp_targetILNS1_3genE0ELNS1_11target_archE4294967295ELNS1_3gpuE0ELNS1_3repE0EEENS1_30default_config_static_selectorELNS0_4arch9wavefront6targetE0EEEvT1_
                                        ; -- End function
	.set _ZN7rocprim17ROCPRIM_400000_NS6detail17trampoline_kernelINS0_14default_configENS1_27scan_by_key_config_selectorIiiEEZZNS1_16scan_by_key_implILNS1_25lookback_scan_determinismE0ELb1ES3_N6thrust23THRUST_200600_302600_NS6detail15normal_iteratorINS9_10device_ptrIiEEEESE_SE_iNS9_4plusIvEENS9_8equal_toIiEEiEE10hipError_tPvRmT2_T3_T4_T5_mT6_T7_P12ihipStream_tbENKUlT_T0_E_clISt17integral_constantIbLb0EESZ_EEDaSU_SV_EUlSU_E_NS1_11comp_targetILNS1_3genE0ELNS1_11target_archE4294967295ELNS1_3gpuE0ELNS1_3repE0EEENS1_30default_config_static_selectorELNS0_4arch9wavefront6targetE0EEEvT1_.num_vgpr, 0
	.set _ZN7rocprim17ROCPRIM_400000_NS6detail17trampoline_kernelINS0_14default_configENS1_27scan_by_key_config_selectorIiiEEZZNS1_16scan_by_key_implILNS1_25lookback_scan_determinismE0ELb1ES3_N6thrust23THRUST_200600_302600_NS6detail15normal_iteratorINS9_10device_ptrIiEEEESE_SE_iNS9_4plusIvEENS9_8equal_toIiEEiEE10hipError_tPvRmT2_T3_T4_T5_mT6_T7_P12ihipStream_tbENKUlT_T0_E_clISt17integral_constantIbLb0EESZ_EEDaSU_SV_EUlSU_E_NS1_11comp_targetILNS1_3genE0ELNS1_11target_archE4294967295ELNS1_3gpuE0ELNS1_3repE0EEENS1_30default_config_static_selectorELNS0_4arch9wavefront6targetE0EEEvT1_.num_agpr, 0
	.set _ZN7rocprim17ROCPRIM_400000_NS6detail17trampoline_kernelINS0_14default_configENS1_27scan_by_key_config_selectorIiiEEZZNS1_16scan_by_key_implILNS1_25lookback_scan_determinismE0ELb1ES3_N6thrust23THRUST_200600_302600_NS6detail15normal_iteratorINS9_10device_ptrIiEEEESE_SE_iNS9_4plusIvEENS9_8equal_toIiEEiEE10hipError_tPvRmT2_T3_T4_T5_mT6_T7_P12ihipStream_tbENKUlT_T0_E_clISt17integral_constantIbLb0EESZ_EEDaSU_SV_EUlSU_E_NS1_11comp_targetILNS1_3genE0ELNS1_11target_archE4294967295ELNS1_3gpuE0ELNS1_3repE0EEENS1_30default_config_static_selectorELNS0_4arch9wavefront6targetE0EEEvT1_.numbered_sgpr, 0
	.set _ZN7rocprim17ROCPRIM_400000_NS6detail17trampoline_kernelINS0_14default_configENS1_27scan_by_key_config_selectorIiiEEZZNS1_16scan_by_key_implILNS1_25lookback_scan_determinismE0ELb1ES3_N6thrust23THRUST_200600_302600_NS6detail15normal_iteratorINS9_10device_ptrIiEEEESE_SE_iNS9_4plusIvEENS9_8equal_toIiEEiEE10hipError_tPvRmT2_T3_T4_T5_mT6_T7_P12ihipStream_tbENKUlT_T0_E_clISt17integral_constantIbLb0EESZ_EEDaSU_SV_EUlSU_E_NS1_11comp_targetILNS1_3genE0ELNS1_11target_archE4294967295ELNS1_3gpuE0ELNS1_3repE0EEENS1_30default_config_static_selectorELNS0_4arch9wavefront6targetE0EEEvT1_.num_named_barrier, 0
	.set _ZN7rocprim17ROCPRIM_400000_NS6detail17trampoline_kernelINS0_14default_configENS1_27scan_by_key_config_selectorIiiEEZZNS1_16scan_by_key_implILNS1_25lookback_scan_determinismE0ELb1ES3_N6thrust23THRUST_200600_302600_NS6detail15normal_iteratorINS9_10device_ptrIiEEEESE_SE_iNS9_4plusIvEENS9_8equal_toIiEEiEE10hipError_tPvRmT2_T3_T4_T5_mT6_T7_P12ihipStream_tbENKUlT_T0_E_clISt17integral_constantIbLb0EESZ_EEDaSU_SV_EUlSU_E_NS1_11comp_targetILNS1_3genE0ELNS1_11target_archE4294967295ELNS1_3gpuE0ELNS1_3repE0EEENS1_30default_config_static_selectorELNS0_4arch9wavefront6targetE0EEEvT1_.private_seg_size, 0
	.set _ZN7rocprim17ROCPRIM_400000_NS6detail17trampoline_kernelINS0_14default_configENS1_27scan_by_key_config_selectorIiiEEZZNS1_16scan_by_key_implILNS1_25lookback_scan_determinismE0ELb1ES3_N6thrust23THRUST_200600_302600_NS6detail15normal_iteratorINS9_10device_ptrIiEEEESE_SE_iNS9_4plusIvEENS9_8equal_toIiEEiEE10hipError_tPvRmT2_T3_T4_T5_mT6_T7_P12ihipStream_tbENKUlT_T0_E_clISt17integral_constantIbLb0EESZ_EEDaSU_SV_EUlSU_E_NS1_11comp_targetILNS1_3genE0ELNS1_11target_archE4294967295ELNS1_3gpuE0ELNS1_3repE0EEENS1_30default_config_static_selectorELNS0_4arch9wavefront6targetE0EEEvT1_.uses_vcc, 0
	.set _ZN7rocprim17ROCPRIM_400000_NS6detail17trampoline_kernelINS0_14default_configENS1_27scan_by_key_config_selectorIiiEEZZNS1_16scan_by_key_implILNS1_25lookback_scan_determinismE0ELb1ES3_N6thrust23THRUST_200600_302600_NS6detail15normal_iteratorINS9_10device_ptrIiEEEESE_SE_iNS9_4plusIvEENS9_8equal_toIiEEiEE10hipError_tPvRmT2_T3_T4_T5_mT6_T7_P12ihipStream_tbENKUlT_T0_E_clISt17integral_constantIbLb0EESZ_EEDaSU_SV_EUlSU_E_NS1_11comp_targetILNS1_3genE0ELNS1_11target_archE4294967295ELNS1_3gpuE0ELNS1_3repE0EEENS1_30default_config_static_selectorELNS0_4arch9wavefront6targetE0EEEvT1_.uses_flat_scratch, 0
	.set _ZN7rocprim17ROCPRIM_400000_NS6detail17trampoline_kernelINS0_14default_configENS1_27scan_by_key_config_selectorIiiEEZZNS1_16scan_by_key_implILNS1_25lookback_scan_determinismE0ELb1ES3_N6thrust23THRUST_200600_302600_NS6detail15normal_iteratorINS9_10device_ptrIiEEEESE_SE_iNS9_4plusIvEENS9_8equal_toIiEEiEE10hipError_tPvRmT2_T3_T4_T5_mT6_T7_P12ihipStream_tbENKUlT_T0_E_clISt17integral_constantIbLb0EESZ_EEDaSU_SV_EUlSU_E_NS1_11comp_targetILNS1_3genE0ELNS1_11target_archE4294967295ELNS1_3gpuE0ELNS1_3repE0EEENS1_30default_config_static_selectorELNS0_4arch9wavefront6targetE0EEEvT1_.has_dyn_sized_stack, 0
	.set _ZN7rocprim17ROCPRIM_400000_NS6detail17trampoline_kernelINS0_14default_configENS1_27scan_by_key_config_selectorIiiEEZZNS1_16scan_by_key_implILNS1_25lookback_scan_determinismE0ELb1ES3_N6thrust23THRUST_200600_302600_NS6detail15normal_iteratorINS9_10device_ptrIiEEEESE_SE_iNS9_4plusIvEENS9_8equal_toIiEEiEE10hipError_tPvRmT2_T3_T4_T5_mT6_T7_P12ihipStream_tbENKUlT_T0_E_clISt17integral_constantIbLb0EESZ_EEDaSU_SV_EUlSU_E_NS1_11comp_targetILNS1_3genE0ELNS1_11target_archE4294967295ELNS1_3gpuE0ELNS1_3repE0EEENS1_30default_config_static_selectorELNS0_4arch9wavefront6targetE0EEEvT1_.has_recursion, 0
	.set _ZN7rocprim17ROCPRIM_400000_NS6detail17trampoline_kernelINS0_14default_configENS1_27scan_by_key_config_selectorIiiEEZZNS1_16scan_by_key_implILNS1_25lookback_scan_determinismE0ELb1ES3_N6thrust23THRUST_200600_302600_NS6detail15normal_iteratorINS9_10device_ptrIiEEEESE_SE_iNS9_4plusIvEENS9_8equal_toIiEEiEE10hipError_tPvRmT2_T3_T4_T5_mT6_T7_P12ihipStream_tbENKUlT_T0_E_clISt17integral_constantIbLb0EESZ_EEDaSU_SV_EUlSU_E_NS1_11comp_targetILNS1_3genE0ELNS1_11target_archE4294967295ELNS1_3gpuE0ELNS1_3repE0EEENS1_30default_config_static_selectorELNS0_4arch9wavefront6targetE0EEEvT1_.has_indirect_call, 0
	.section	.AMDGPU.csdata,"",@progbits
; Kernel info:
; codeLenInByte = 0
; TotalNumSgprs: 0
; NumVgprs: 0
; ScratchSize: 0
; MemoryBound: 0
; FloatMode: 240
; IeeeMode: 1
; LDSByteSize: 0 bytes/workgroup (compile time only)
; SGPRBlocks: 0
; VGPRBlocks: 0
; NumSGPRsForWavesPerEU: 1
; NumVGPRsForWavesPerEU: 1
; Occupancy: 16
; WaveLimiterHint : 0
; COMPUTE_PGM_RSRC2:SCRATCH_EN: 0
; COMPUTE_PGM_RSRC2:USER_SGPR: 6
; COMPUTE_PGM_RSRC2:TRAP_HANDLER: 0
; COMPUTE_PGM_RSRC2:TGID_X_EN: 1
; COMPUTE_PGM_RSRC2:TGID_Y_EN: 0
; COMPUTE_PGM_RSRC2:TGID_Z_EN: 0
; COMPUTE_PGM_RSRC2:TIDIG_COMP_CNT: 0
	.section	.text._ZN7rocprim17ROCPRIM_400000_NS6detail17trampoline_kernelINS0_14default_configENS1_27scan_by_key_config_selectorIiiEEZZNS1_16scan_by_key_implILNS1_25lookback_scan_determinismE0ELb1ES3_N6thrust23THRUST_200600_302600_NS6detail15normal_iteratorINS9_10device_ptrIiEEEESE_SE_iNS9_4plusIvEENS9_8equal_toIiEEiEE10hipError_tPvRmT2_T3_T4_T5_mT6_T7_P12ihipStream_tbENKUlT_T0_E_clISt17integral_constantIbLb0EESZ_EEDaSU_SV_EUlSU_E_NS1_11comp_targetILNS1_3genE10ELNS1_11target_archE1201ELNS1_3gpuE5ELNS1_3repE0EEENS1_30default_config_static_selectorELNS0_4arch9wavefront6targetE0EEEvT1_,"axG",@progbits,_ZN7rocprim17ROCPRIM_400000_NS6detail17trampoline_kernelINS0_14default_configENS1_27scan_by_key_config_selectorIiiEEZZNS1_16scan_by_key_implILNS1_25lookback_scan_determinismE0ELb1ES3_N6thrust23THRUST_200600_302600_NS6detail15normal_iteratorINS9_10device_ptrIiEEEESE_SE_iNS9_4plusIvEENS9_8equal_toIiEEiEE10hipError_tPvRmT2_T3_T4_T5_mT6_T7_P12ihipStream_tbENKUlT_T0_E_clISt17integral_constantIbLb0EESZ_EEDaSU_SV_EUlSU_E_NS1_11comp_targetILNS1_3genE10ELNS1_11target_archE1201ELNS1_3gpuE5ELNS1_3repE0EEENS1_30default_config_static_selectorELNS0_4arch9wavefront6targetE0EEEvT1_,comdat
	.protected	_ZN7rocprim17ROCPRIM_400000_NS6detail17trampoline_kernelINS0_14default_configENS1_27scan_by_key_config_selectorIiiEEZZNS1_16scan_by_key_implILNS1_25lookback_scan_determinismE0ELb1ES3_N6thrust23THRUST_200600_302600_NS6detail15normal_iteratorINS9_10device_ptrIiEEEESE_SE_iNS9_4plusIvEENS9_8equal_toIiEEiEE10hipError_tPvRmT2_T3_T4_T5_mT6_T7_P12ihipStream_tbENKUlT_T0_E_clISt17integral_constantIbLb0EESZ_EEDaSU_SV_EUlSU_E_NS1_11comp_targetILNS1_3genE10ELNS1_11target_archE1201ELNS1_3gpuE5ELNS1_3repE0EEENS1_30default_config_static_selectorELNS0_4arch9wavefront6targetE0EEEvT1_ ; -- Begin function _ZN7rocprim17ROCPRIM_400000_NS6detail17trampoline_kernelINS0_14default_configENS1_27scan_by_key_config_selectorIiiEEZZNS1_16scan_by_key_implILNS1_25lookback_scan_determinismE0ELb1ES3_N6thrust23THRUST_200600_302600_NS6detail15normal_iteratorINS9_10device_ptrIiEEEESE_SE_iNS9_4plusIvEENS9_8equal_toIiEEiEE10hipError_tPvRmT2_T3_T4_T5_mT6_T7_P12ihipStream_tbENKUlT_T0_E_clISt17integral_constantIbLb0EESZ_EEDaSU_SV_EUlSU_E_NS1_11comp_targetILNS1_3genE10ELNS1_11target_archE1201ELNS1_3gpuE5ELNS1_3repE0EEENS1_30default_config_static_selectorELNS0_4arch9wavefront6targetE0EEEvT1_
	.globl	_ZN7rocprim17ROCPRIM_400000_NS6detail17trampoline_kernelINS0_14default_configENS1_27scan_by_key_config_selectorIiiEEZZNS1_16scan_by_key_implILNS1_25lookback_scan_determinismE0ELb1ES3_N6thrust23THRUST_200600_302600_NS6detail15normal_iteratorINS9_10device_ptrIiEEEESE_SE_iNS9_4plusIvEENS9_8equal_toIiEEiEE10hipError_tPvRmT2_T3_T4_T5_mT6_T7_P12ihipStream_tbENKUlT_T0_E_clISt17integral_constantIbLb0EESZ_EEDaSU_SV_EUlSU_E_NS1_11comp_targetILNS1_3genE10ELNS1_11target_archE1201ELNS1_3gpuE5ELNS1_3repE0EEENS1_30default_config_static_selectorELNS0_4arch9wavefront6targetE0EEEvT1_
	.p2align	8
	.type	_ZN7rocprim17ROCPRIM_400000_NS6detail17trampoline_kernelINS0_14default_configENS1_27scan_by_key_config_selectorIiiEEZZNS1_16scan_by_key_implILNS1_25lookback_scan_determinismE0ELb1ES3_N6thrust23THRUST_200600_302600_NS6detail15normal_iteratorINS9_10device_ptrIiEEEESE_SE_iNS9_4plusIvEENS9_8equal_toIiEEiEE10hipError_tPvRmT2_T3_T4_T5_mT6_T7_P12ihipStream_tbENKUlT_T0_E_clISt17integral_constantIbLb0EESZ_EEDaSU_SV_EUlSU_E_NS1_11comp_targetILNS1_3genE10ELNS1_11target_archE1201ELNS1_3gpuE5ELNS1_3repE0EEENS1_30default_config_static_selectorELNS0_4arch9wavefront6targetE0EEEvT1_,@function
_ZN7rocprim17ROCPRIM_400000_NS6detail17trampoline_kernelINS0_14default_configENS1_27scan_by_key_config_selectorIiiEEZZNS1_16scan_by_key_implILNS1_25lookback_scan_determinismE0ELb1ES3_N6thrust23THRUST_200600_302600_NS6detail15normal_iteratorINS9_10device_ptrIiEEEESE_SE_iNS9_4plusIvEENS9_8equal_toIiEEiEE10hipError_tPvRmT2_T3_T4_T5_mT6_T7_P12ihipStream_tbENKUlT_T0_E_clISt17integral_constantIbLb0EESZ_EEDaSU_SV_EUlSU_E_NS1_11comp_targetILNS1_3genE10ELNS1_11target_archE1201ELNS1_3gpuE5ELNS1_3repE0EEENS1_30default_config_static_selectorELNS0_4arch9wavefront6targetE0EEEvT1_: ; @_ZN7rocprim17ROCPRIM_400000_NS6detail17trampoline_kernelINS0_14default_configENS1_27scan_by_key_config_selectorIiiEEZZNS1_16scan_by_key_implILNS1_25lookback_scan_determinismE0ELb1ES3_N6thrust23THRUST_200600_302600_NS6detail15normal_iteratorINS9_10device_ptrIiEEEESE_SE_iNS9_4plusIvEENS9_8equal_toIiEEiEE10hipError_tPvRmT2_T3_T4_T5_mT6_T7_P12ihipStream_tbENKUlT_T0_E_clISt17integral_constantIbLb0EESZ_EEDaSU_SV_EUlSU_E_NS1_11comp_targetILNS1_3genE10ELNS1_11target_archE1201ELNS1_3gpuE5ELNS1_3repE0EEENS1_30default_config_static_selectorELNS0_4arch9wavefront6targetE0EEEvT1_
; %bb.0:
	.section	.rodata,"a",@progbits
	.p2align	6, 0x0
	.amdhsa_kernel _ZN7rocprim17ROCPRIM_400000_NS6detail17trampoline_kernelINS0_14default_configENS1_27scan_by_key_config_selectorIiiEEZZNS1_16scan_by_key_implILNS1_25lookback_scan_determinismE0ELb1ES3_N6thrust23THRUST_200600_302600_NS6detail15normal_iteratorINS9_10device_ptrIiEEEESE_SE_iNS9_4plusIvEENS9_8equal_toIiEEiEE10hipError_tPvRmT2_T3_T4_T5_mT6_T7_P12ihipStream_tbENKUlT_T0_E_clISt17integral_constantIbLb0EESZ_EEDaSU_SV_EUlSU_E_NS1_11comp_targetILNS1_3genE10ELNS1_11target_archE1201ELNS1_3gpuE5ELNS1_3repE0EEENS1_30default_config_static_selectorELNS0_4arch9wavefront6targetE0EEEvT1_
		.amdhsa_group_segment_fixed_size 0
		.amdhsa_private_segment_fixed_size 0
		.amdhsa_kernarg_size 112
		.amdhsa_user_sgpr_count 6
		.amdhsa_user_sgpr_private_segment_buffer 1
		.amdhsa_user_sgpr_dispatch_ptr 0
		.amdhsa_user_sgpr_queue_ptr 0
		.amdhsa_user_sgpr_kernarg_segment_ptr 1
		.amdhsa_user_sgpr_dispatch_id 0
		.amdhsa_user_sgpr_flat_scratch_init 0
		.amdhsa_user_sgpr_private_segment_size 0
		.amdhsa_wavefront_size32 1
		.amdhsa_uses_dynamic_stack 0
		.amdhsa_system_sgpr_private_segment_wavefront_offset 0
		.amdhsa_system_sgpr_workgroup_id_x 1
		.amdhsa_system_sgpr_workgroup_id_y 0
		.amdhsa_system_sgpr_workgroup_id_z 0
		.amdhsa_system_sgpr_workgroup_info 0
		.amdhsa_system_vgpr_workitem_id 0
		.amdhsa_next_free_vgpr 1
		.amdhsa_next_free_sgpr 1
		.amdhsa_reserve_vcc 0
		.amdhsa_reserve_flat_scratch 0
		.amdhsa_float_round_mode_32 0
		.amdhsa_float_round_mode_16_64 0
		.amdhsa_float_denorm_mode_32 3
		.amdhsa_float_denorm_mode_16_64 3
		.amdhsa_dx10_clamp 1
		.amdhsa_ieee_mode 1
		.amdhsa_fp16_overflow 0
		.amdhsa_workgroup_processor_mode 1
		.amdhsa_memory_ordered 1
		.amdhsa_forward_progress 1
		.amdhsa_shared_vgpr_count 0
		.amdhsa_exception_fp_ieee_invalid_op 0
		.amdhsa_exception_fp_denorm_src 0
		.amdhsa_exception_fp_ieee_div_zero 0
		.amdhsa_exception_fp_ieee_overflow 0
		.amdhsa_exception_fp_ieee_underflow 0
		.amdhsa_exception_fp_ieee_inexact 0
		.amdhsa_exception_int_div_zero 0
	.end_amdhsa_kernel
	.section	.text._ZN7rocprim17ROCPRIM_400000_NS6detail17trampoline_kernelINS0_14default_configENS1_27scan_by_key_config_selectorIiiEEZZNS1_16scan_by_key_implILNS1_25lookback_scan_determinismE0ELb1ES3_N6thrust23THRUST_200600_302600_NS6detail15normal_iteratorINS9_10device_ptrIiEEEESE_SE_iNS9_4plusIvEENS9_8equal_toIiEEiEE10hipError_tPvRmT2_T3_T4_T5_mT6_T7_P12ihipStream_tbENKUlT_T0_E_clISt17integral_constantIbLb0EESZ_EEDaSU_SV_EUlSU_E_NS1_11comp_targetILNS1_3genE10ELNS1_11target_archE1201ELNS1_3gpuE5ELNS1_3repE0EEENS1_30default_config_static_selectorELNS0_4arch9wavefront6targetE0EEEvT1_,"axG",@progbits,_ZN7rocprim17ROCPRIM_400000_NS6detail17trampoline_kernelINS0_14default_configENS1_27scan_by_key_config_selectorIiiEEZZNS1_16scan_by_key_implILNS1_25lookback_scan_determinismE0ELb1ES3_N6thrust23THRUST_200600_302600_NS6detail15normal_iteratorINS9_10device_ptrIiEEEESE_SE_iNS9_4plusIvEENS9_8equal_toIiEEiEE10hipError_tPvRmT2_T3_T4_T5_mT6_T7_P12ihipStream_tbENKUlT_T0_E_clISt17integral_constantIbLb0EESZ_EEDaSU_SV_EUlSU_E_NS1_11comp_targetILNS1_3genE10ELNS1_11target_archE1201ELNS1_3gpuE5ELNS1_3repE0EEENS1_30default_config_static_selectorELNS0_4arch9wavefront6targetE0EEEvT1_,comdat
.Lfunc_end534:
	.size	_ZN7rocprim17ROCPRIM_400000_NS6detail17trampoline_kernelINS0_14default_configENS1_27scan_by_key_config_selectorIiiEEZZNS1_16scan_by_key_implILNS1_25lookback_scan_determinismE0ELb1ES3_N6thrust23THRUST_200600_302600_NS6detail15normal_iteratorINS9_10device_ptrIiEEEESE_SE_iNS9_4plusIvEENS9_8equal_toIiEEiEE10hipError_tPvRmT2_T3_T4_T5_mT6_T7_P12ihipStream_tbENKUlT_T0_E_clISt17integral_constantIbLb0EESZ_EEDaSU_SV_EUlSU_E_NS1_11comp_targetILNS1_3genE10ELNS1_11target_archE1201ELNS1_3gpuE5ELNS1_3repE0EEENS1_30default_config_static_selectorELNS0_4arch9wavefront6targetE0EEEvT1_, .Lfunc_end534-_ZN7rocprim17ROCPRIM_400000_NS6detail17trampoline_kernelINS0_14default_configENS1_27scan_by_key_config_selectorIiiEEZZNS1_16scan_by_key_implILNS1_25lookback_scan_determinismE0ELb1ES3_N6thrust23THRUST_200600_302600_NS6detail15normal_iteratorINS9_10device_ptrIiEEEESE_SE_iNS9_4plusIvEENS9_8equal_toIiEEiEE10hipError_tPvRmT2_T3_T4_T5_mT6_T7_P12ihipStream_tbENKUlT_T0_E_clISt17integral_constantIbLb0EESZ_EEDaSU_SV_EUlSU_E_NS1_11comp_targetILNS1_3genE10ELNS1_11target_archE1201ELNS1_3gpuE5ELNS1_3repE0EEENS1_30default_config_static_selectorELNS0_4arch9wavefront6targetE0EEEvT1_
                                        ; -- End function
	.set _ZN7rocprim17ROCPRIM_400000_NS6detail17trampoline_kernelINS0_14default_configENS1_27scan_by_key_config_selectorIiiEEZZNS1_16scan_by_key_implILNS1_25lookback_scan_determinismE0ELb1ES3_N6thrust23THRUST_200600_302600_NS6detail15normal_iteratorINS9_10device_ptrIiEEEESE_SE_iNS9_4plusIvEENS9_8equal_toIiEEiEE10hipError_tPvRmT2_T3_T4_T5_mT6_T7_P12ihipStream_tbENKUlT_T0_E_clISt17integral_constantIbLb0EESZ_EEDaSU_SV_EUlSU_E_NS1_11comp_targetILNS1_3genE10ELNS1_11target_archE1201ELNS1_3gpuE5ELNS1_3repE0EEENS1_30default_config_static_selectorELNS0_4arch9wavefront6targetE0EEEvT1_.num_vgpr, 0
	.set _ZN7rocprim17ROCPRIM_400000_NS6detail17trampoline_kernelINS0_14default_configENS1_27scan_by_key_config_selectorIiiEEZZNS1_16scan_by_key_implILNS1_25lookback_scan_determinismE0ELb1ES3_N6thrust23THRUST_200600_302600_NS6detail15normal_iteratorINS9_10device_ptrIiEEEESE_SE_iNS9_4plusIvEENS9_8equal_toIiEEiEE10hipError_tPvRmT2_T3_T4_T5_mT6_T7_P12ihipStream_tbENKUlT_T0_E_clISt17integral_constantIbLb0EESZ_EEDaSU_SV_EUlSU_E_NS1_11comp_targetILNS1_3genE10ELNS1_11target_archE1201ELNS1_3gpuE5ELNS1_3repE0EEENS1_30default_config_static_selectorELNS0_4arch9wavefront6targetE0EEEvT1_.num_agpr, 0
	.set _ZN7rocprim17ROCPRIM_400000_NS6detail17trampoline_kernelINS0_14default_configENS1_27scan_by_key_config_selectorIiiEEZZNS1_16scan_by_key_implILNS1_25lookback_scan_determinismE0ELb1ES3_N6thrust23THRUST_200600_302600_NS6detail15normal_iteratorINS9_10device_ptrIiEEEESE_SE_iNS9_4plusIvEENS9_8equal_toIiEEiEE10hipError_tPvRmT2_T3_T4_T5_mT6_T7_P12ihipStream_tbENKUlT_T0_E_clISt17integral_constantIbLb0EESZ_EEDaSU_SV_EUlSU_E_NS1_11comp_targetILNS1_3genE10ELNS1_11target_archE1201ELNS1_3gpuE5ELNS1_3repE0EEENS1_30default_config_static_selectorELNS0_4arch9wavefront6targetE0EEEvT1_.numbered_sgpr, 0
	.set _ZN7rocprim17ROCPRIM_400000_NS6detail17trampoline_kernelINS0_14default_configENS1_27scan_by_key_config_selectorIiiEEZZNS1_16scan_by_key_implILNS1_25lookback_scan_determinismE0ELb1ES3_N6thrust23THRUST_200600_302600_NS6detail15normal_iteratorINS9_10device_ptrIiEEEESE_SE_iNS9_4plusIvEENS9_8equal_toIiEEiEE10hipError_tPvRmT2_T3_T4_T5_mT6_T7_P12ihipStream_tbENKUlT_T0_E_clISt17integral_constantIbLb0EESZ_EEDaSU_SV_EUlSU_E_NS1_11comp_targetILNS1_3genE10ELNS1_11target_archE1201ELNS1_3gpuE5ELNS1_3repE0EEENS1_30default_config_static_selectorELNS0_4arch9wavefront6targetE0EEEvT1_.num_named_barrier, 0
	.set _ZN7rocprim17ROCPRIM_400000_NS6detail17trampoline_kernelINS0_14default_configENS1_27scan_by_key_config_selectorIiiEEZZNS1_16scan_by_key_implILNS1_25lookback_scan_determinismE0ELb1ES3_N6thrust23THRUST_200600_302600_NS6detail15normal_iteratorINS9_10device_ptrIiEEEESE_SE_iNS9_4plusIvEENS9_8equal_toIiEEiEE10hipError_tPvRmT2_T3_T4_T5_mT6_T7_P12ihipStream_tbENKUlT_T0_E_clISt17integral_constantIbLb0EESZ_EEDaSU_SV_EUlSU_E_NS1_11comp_targetILNS1_3genE10ELNS1_11target_archE1201ELNS1_3gpuE5ELNS1_3repE0EEENS1_30default_config_static_selectorELNS0_4arch9wavefront6targetE0EEEvT1_.private_seg_size, 0
	.set _ZN7rocprim17ROCPRIM_400000_NS6detail17trampoline_kernelINS0_14default_configENS1_27scan_by_key_config_selectorIiiEEZZNS1_16scan_by_key_implILNS1_25lookback_scan_determinismE0ELb1ES3_N6thrust23THRUST_200600_302600_NS6detail15normal_iteratorINS9_10device_ptrIiEEEESE_SE_iNS9_4plusIvEENS9_8equal_toIiEEiEE10hipError_tPvRmT2_T3_T4_T5_mT6_T7_P12ihipStream_tbENKUlT_T0_E_clISt17integral_constantIbLb0EESZ_EEDaSU_SV_EUlSU_E_NS1_11comp_targetILNS1_3genE10ELNS1_11target_archE1201ELNS1_3gpuE5ELNS1_3repE0EEENS1_30default_config_static_selectorELNS0_4arch9wavefront6targetE0EEEvT1_.uses_vcc, 0
	.set _ZN7rocprim17ROCPRIM_400000_NS6detail17trampoline_kernelINS0_14default_configENS1_27scan_by_key_config_selectorIiiEEZZNS1_16scan_by_key_implILNS1_25lookback_scan_determinismE0ELb1ES3_N6thrust23THRUST_200600_302600_NS6detail15normal_iteratorINS9_10device_ptrIiEEEESE_SE_iNS9_4plusIvEENS9_8equal_toIiEEiEE10hipError_tPvRmT2_T3_T4_T5_mT6_T7_P12ihipStream_tbENKUlT_T0_E_clISt17integral_constantIbLb0EESZ_EEDaSU_SV_EUlSU_E_NS1_11comp_targetILNS1_3genE10ELNS1_11target_archE1201ELNS1_3gpuE5ELNS1_3repE0EEENS1_30default_config_static_selectorELNS0_4arch9wavefront6targetE0EEEvT1_.uses_flat_scratch, 0
	.set _ZN7rocprim17ROCPRIM_400000_NS6detail17trampoline_kernelINS0_14default_configENS1_27scan_by_key_config_selectorIiiEEZZNS1_16scan_by_key_implILNS1_25lookback_scan_determinismE0ELb1ES3_N6thrust23THRUST_200600_302600_NS6detail15normal_iteratorINS9_10device_ptrIiEEEESE_SE_iNS9_4plusIvEENS9_8equal_toIiEEiEE10hipError_tPvRmT2_T3_T4_T5_mT6_T7_P12ihipStream_tbENKUlT_T0_E_clISt17integral_constantIbLb0EESZ_EEDaSU_SV_EUlSU_E_NS1_11comp_targetILNS1_3genE10ELNS1_11target_archE1201ELNS1_3gpuE5ELNS1_3repE0EEENS1_30default_config_static_selectorELNS0_4arch9wavefront6targetE0EEEvT1_.has_dyn_sized_stack, 0
	.set _ZN7rocprim17ROCPRIM_400000_NS6detail17trampoline_kernelINS0_14default_configENS1_27scan_by_key_config_selectorIiiEEZZNS1_16scan_by_key_implILNS1_25lookback_scan_determinismE0ELb1ES3_N6thrust23THRUST_200600_302600_NS6detail15normal_iteratorINS9_10device_ptrIiEEEESE_SE_iNS9_4plusIvEENS9_8equal_toIiEEiEE10hipError_tPvRmT2_T3_T4_T5_mT6_T7_P12ihipStream_tbENKUlT_T0_E_clISt17integral_constantIbLb0EESZ_EEDaSU_SV_EUlSU_E_NS1_11comp_targetILNS1_3genE10ELNS1_11target_archE1201ELNS1_3gpuE5ELNS1_3repE0EEENS1_30default_config_static_selectorELNS0_4arch9wavefront6targetE0EEEvT1_.has_recursion, 0
	.set _ZN7rocprim17ROCPRIM_400000_NS6detail17trampoline_kernelINS0_14default_configENS1_27scan_by_key_config_selectorIiiEEZZNS1_16scan_by_key_implILNS1_25lookback_scan_determinismE0ELb1ES3_N6thrust23THRUST_200600_302600_NS6detail15normal_iteratorINS9_10device_ptrIiEEEESE_SE_iNS9_4plusIvEENS9_8equal_toIiEEiEE10hipError_tPvRmT2_T3_T4_T5_mT6_T7_P12ihipStream_tbENKUlT_T0_E_clISt17integral_constantIbLb0EESZ_EEDaSU_SV_EUlSU_E_NS1_11comp_targetILNS1_3genE10ELNS1_11target_archE1201ELNS1_3gpuE5ELNS1_3repE0EEENS1_30default_config_static_selectorELNS0_4arch9wavefront6targetE0EEEvT1_.has_indirect_call, 0
	.section	.AMDGPU.csdata,"",@progbits
; Kernel info:
; codeLenInByte = 0
; TotalNumSgprs: 0
; NumVgprs: 0
; ScratchSize: 0
; MemoryBound: 0
; FloatMode: 240
; IeeeMode: 1
; LDSByteSize: 0 bytes/workgroup (compile time only)
; SGPRBlocks: 0
; VGPRBlocks: 0
; NumSGPRsForWavesPerEU: 1
; NumVGPRsForWavesPerEU: 1
; Occupancy: 16
; WaveLimiterHint : 0
; COMPUTE_PGM_RSRC2:SCRATCH_EN: 0
; COMPUTE_PGM_RSRC2:USER_SGPR: 6
; COMPUTE_PGM_RSRC2:TRAP_HANDLER: 0
; COMPUTE_PGM_RSRC2:TGID_X_EN: 1
; COMPUTE_PGM_RSRC2:TGID_Y_EN: 0
; COMPUTE_PGM_RSRC2:TGID_Z_EN: 0
; COMPUTE_PGM_RSRC2:TIDIG_COMP_CNT: 0
	.section	.text._ZN7rocprim17ROCPRIM_400000_NS6detail17trampoline_kernelINS0_14default_configENS1_27scan_by_key_config_selectorIiiEEZZNS1_16scan_by_key_implILNS1_25lookback_scan_determinismE0ELb1ES3_N6thrust23THRUST_200600_302600_NS6detail15normal_iteratorINS9_10device_ptrIiEEEESE_SE_iNS9_4plusIvEENS9_8equal_toIiEEiEE10hipError_tPvRmT2_T3_T4_T5_mT6_T7_P12ihipStream_tbENKUlT_T0_E_clISt17integral_constantIbLb0EESZ_EEDaSU_SV_EUlSU_E_NS1_11comp_targetILNS1_3genE5ELNS1_11target_archE942ELNS1_3gpuE9ELNS1_3repE0EEENS1_30default_config_static_selectorELNS0_4arch9wavefront6targetE0EEEvT1_,"axG",@progbits,_ZN7rocprim17ROCPRIM_400000_NS6detail17trampoline_kernelINS0_14default_configENS1_27scan_by_key_config_selectorIiiEEZZNS1_16scan_by_key_implILNS1_25lookback_scan_determinismE0ELb1ES3_N6thrust23THRUST_200600_302600_NS6detail15normal_iteratorINS9_10device_ptrIiEEEESE_SE_iNS9_4plusIvEENS9_8equal_toIiEEiEE10hipError_tPvRmT2_T3_T4_T5_mT6_T7_P12ihipStream_tbENKUlT_T0_E_clISt17integral_constantIbLb0EESZ_EEDaSU_SV_EUlSU_E_NS1_11comp_targetILNS1_3genE5ELNS1_11target_archE942ELNS1_3gpuE9ELNS1_3repE0EEENS1_30default_config_static_selectorELNS0_4arch9wavefront6targetE0EEEvT1_,comdat
	.protected	_ZN7rocprim17ROCPRIM_400000_NS6detail17trampoline_kernelINS0_14default_configENS1_27scan_by_key_config_selectorIiiEEZZNS1_16scan_by_key_implILNS1_25lookback_scan_determinismE0ELb1ES3_N6thrust23THRUST_200600_302600_NS6detail15normal_iteratorINS9_10device_ptrIiEEEESE_SE_iNS9_4plusIvEENS9_8equal_toIiEEiEE10hipError_tPvRmT2_T3_T4_T5_mT6_T7_P12ihipStream_tbENKUlT_T0_E_clISt17integral_constantIbLb0EESZ_EEDaSU_SV_EUlSU_E_NS1_11comp_targetILNS1_3genE5ELNS1_11target_archE942ELNS1_3gpuE9ELNS1_3repE0EEENS1_30default_config_static_selectorELNS0_4arch9wavefront6targetE0EEEvT1_ ; -- Begin function _ZN7rocprim17ROCPRIM_400000_NS6detail17trampoline_kernelINS0_14default_configENS1_27scan_by_key_config_selectorIiiEEZZNS1_16scan_by_key_implILNS1_25lookback_scan_determinismE0ELb1ES3_N6thrust23THRUST_200600_302600_NS6detail15normal_iteratorINS9_10device_ptrIiEEEESE_SE_iNS9_4plusIvEENS9_8equal_toIiEEiEE10hipError_tPvRmT2_T3_T4_T5_mT6_T7_P12ihipStream_tbENKUlT_T0_E_clISt17integral_constantIbLb0EESZ_EEDaSU_SV_EUlSU_E_NS1_11comp_targetILNS1_3genE5ELNS1_11target_archE942ELNS1_3gpuE9ELNS1_3repE0EEENS1_30default_config_static_selectorELNS0_4arch9wavefront6targetE0EEEvT1_
	.globl	_ZN7rocprim17ROCPRIM_400000_NS6detail17trampoline_kernelINS0_14default_configENS1_27scan_by_key_config_selectorIiiEEZZNS1_16scan_by_key_implILNS1_25lookback_scan_determinismE0ELb1ES3_N6thrust23THRUST_200600_302600_NS6detail15normal_iteratorINS9_10device_ptrIiEEEESE_SE_iNS9_4plusIvEENS9_8equal_toIiEEiEE10hipError_tPvRmT2_T3_T4_T5_mT6_T7_P12ihipStream_tbENKUlT_T0_E_clISt17integral_constantIbLb0EESZ_EEDaSU_SV_EUlSU_E_NS1_11comp_targetILNS1_3genE5ELNS1_11target_archE942ELNS1_3gpuE9ELNS1_3repE0EEENS1_30default_config_static_selectorELNS0_4arch9wavefront6targetE0EEEvT1_
	.p2align	8
	.type	_ZN7rocprim17ROCPRIM_400000_NS6detail17trampoline_kernelINS0_14default_configENS1_27scan_by_key_config_selectorIiiEEZZNS1_16scan_by_key_implILNS1_25lookback_scan_determinismE0ELb1ES3_N6thrust23THRUST_200600_302600_NS6detail15normal_iteratorINS9_10device_ptrIiEEEESE_SE_iNS9_4plusIvEENS9_8equal_toIiEEiEE10hipError_tPvRmT2_T3_T4_T5_mT6_T7_P12ihipStream_tbENKUlT_T0_E_clISt17integral_constantIbLb0EESZ_EEDaSU_SV_EUlSU_E_NS1_11comp_targetILNS1_3genE5ELNS1_11target_archE942ELNS1_3gpuE9ELNS1_3repE0EEENS1_30default_config_static_selectorELNS0_4arch9wavefront6targetE0EEEvT1_,@function
_ZN7rocprim17ROCPRIM_400000_NS6detail17trampoline_kernelINS0_14default_configENS1_27scan_by_key_config_selectorIiiEEZZNS1_16scan_by_key_implILNS1_25lookback_scan_determinismE0ELb1ES3_N6thrust23THRUST_200600_302600_NS6detail15normal_iteratorINS9_10device_ptrIiEEEESE_SE_iNS9_4plusIvEENS9_8equal_toIiEEiEE10hipError_tPvRmT2_T3_T4_T5_mT6_T7_P12ihipStream_tbENKUlT_T0_E_clISt17integral_constantIbLb0EESZ_EEDaSU_SV_EUlSU_E_NS1_11comp_targetILNS1_3genE5ELNS1_11target_archE942ELNS1_3gpuE9ELNS1_3repE0EEENS1_30default_config_static_selectorELNS0_4arch9wavefront6targetE0EEEvT1_: ; @_ZN7rocprim17ROCPRIM_400000_NS6detail17trampoline_kernelINS0_14default_configENS1_27scan_by_key_config_selectorIiiEEZZNS1_16scan_by_key_implILNS1_25lookback_scan_determinismE0ELb1ES3_N6thrust23THRUST_200600_302600_NS6detail15normal_iteratorINS9_10device_ptrIiEEEESE_SE_iNS9_4plusIvEENS9_8equal_toIiEEiEE10hipError_tPvRmT2_T3_T4_T5_mT6_T7_P12ihipStream_tbENKUlT_T0_E_clISt17integral_constantIbLb0EESZ_EEDaSU_SV_EUlSU_E_NS1_11comp_targetILNS1_3genE5ELNS1_11target_archE942ELNS1_3gpuE9ELNS1_3repE0EEENS1_30default_config_static_selectorELNS0_4arch9wavefront6targetE0EEEvT1_
; %bb.0:
	.section	.rodata,"a",@progbits
	.p2align	6, 0x0
	.amdhsa_kernel _ZN7rocprim17ROCPRIM_400000_NS6detail17trampoline_kernelINS0_14default_configENS1_27scan_by_key_config_selectorIiiEEZZNS1_16scan_by_key_implILNS1_25lookback_scan_determinismE0ELb1ES3_N6thrust23THRUST_200600_302600_NS6detail15normal_iteratorINS9_10device_ptrIiEEEESE_SE_iNS9_4plusIvEENS9_8equal_toIiEEiEE10hipError_tPvRmT2_T3_T4_T5_mT6_T7_P12ihipStream_tbENKUlT_T0_E_clISt17integral_constantIbLb0EESZ_EEDaSU_SV_EUlSU_E_NS1_11comp_targetILNS1_3genE5ELNS1_11target_archE942ELNS1_3gpuE9ELNS1_3repE0EEENS1_30default_config_static_selectorELNS0_4arch9wavefront6targetE0EEEvT1_
		.amdhsa_group_segment_fixed_size 0
		.amdhsa_private_segment_fixed_size 0
		.amdhsa_kernarg_size 112
		.amdhsa_user_sgpr_count 6
		.amdhsa_user_sgpr_private_segment_buffer 1
		.amdhsa_user_sgpr_dispatch_ptr 0
		.amdhsa_user_sgpr_queue_ptr 0
		.amdhsa_user_sgpr_kernarg_segment_ptr 1
		.amdhsa_user_sgpr_dispatch_id 0
		.amdhsa_user_sgpr_flat_scratch_init 0
		.amdhsa_user_sgpr_private_segment_size 0
		.amdhsa_wavefront_size32 1
		.amdhsa_uses_dynamic_stack 0
		.amdhsa_system_sgpr_private_segment_wavefront_offset 0
		.amdhsa_system_sgpr_workgroup_id_x 1
		.amdhsa_system_sgpr_workgroup_id_y 0
		.amdhsa_system_sgpr_workgroup_id_z 0
		.amdhsa_system_sgpr_workgroup_info 0
		.amdhsa_system_vgpr_workitem_id 0
		.amdhsa_next_free_vgpr 1
		.amdhsa_next_free_sgpr 1
		.amdhsa_reserve_vcc 0
		.amdhsa_reserve_flat_scratch 0
		.amdhsa_float_round_mode_32 0
		.amdhsa_float_round_mode_16_64 0
		.amdhsa_float_denorm_mode_32 3
		.amdhsa_float_denorm_mode_16_64 3
		.amdhsa_dx10_clamp 1
		.amdhsa_ieee_mode 1
		.amdhsa_fp16_overflow 0
		.amdhsa_workgroup_processor_mode 1
		.amdhsa_memory_ordered 1
		.amdhsa_forward_progress 1
		.amdhsa_shared_vgpr_count 0
		.amdhsa_exception_fp_ieee_invalid_op 0
		.amdhsa_exception_fp_denorm_src 0
		.amdhsa_exception_fp_ieee_div_zero 0
		.amdhsa_exception_fp_ieee_overflow 0
		.amdhsa_exception_fp_ieee_underflow 0
		.amdhsa_exception_fp_ieee_inexact 0
		.amdhsa_exception_int_div_zero 0
	.end_amdhsa_kernel
	.section	.text._ZN7rocprim17ROCPRIM_400000_NS6detail17trampoline_kernelINS0_14default_configENS1_27scan_by_key_config_selectorIiiEEZZNS1_16scan_by_key_implILNS1_25lookback_scan_determinismE0ELb1ES3_N6thrust23THRUST_200600_302600_NS6detail15normal_iteratorINS9_10device_ptrIiEEEESE_SE_iNS9_4plusIvEENS9_8equal_toIiEEiEE10hipError_tPvRmT2_T3_T4_T5_mT6_T7_P12ihipStream_tbENKUlT_T0_E_clISt17integral_constantIbLb0EESZ_EEDaSU_SV_EUlSU_E_NS1_11comp_targetILNS1_3genE5ELNS1_11target_archE942ELNS1_3gpuE9ELNS1_3repE0EEENS1_30default_config_static_selectorELNS0_4arch9wavefront6targetE0EEEvT1_,"axG",@progbits,_ZN7rocprim17ROCPRIM_400000_NS6detail17trampoline_kernelINS0_14default_configENS1_27scan_by_key_config_selectorIiiEEZZNS1_16scan_by_key_implILNS1_25lookback_scan_determinismE0ELb1ES3_N6thrust23THRUST_200600_302600_NS6detail15normal_iteratorINS9_10device_ptrIiEEEESE_SE_iNS9_4plusIvEENS9_8equal_toIiEEiEE10hipError_tPvRmT2_T3_T4_T5_mT6_T7_P12ihipStream_tbENKUlT_T0_E_clISt17integral_constantIbLb0EESZ_EEDaSU_SV_EUlSU_E_NS1_11comp_targetILNS1_3genE5ELNS1_11target_archE942ELNS1_3gpuE9ELNS1_3repE0EEENS1_30default_config_static_selectorELNS0_4arch9wavefront6targetE0EEEvT1_,comdat
.Lfunc_end535:
	.size	_ZN7rocprim17ROCPRIM_400000_NS6detail17trampoline_kernelINS0_14default_configENS1_27scan_by_key_config_selectorIiiEEZZNS1_16scan_by_key_implILNS1_25lookback_scan_determinismE0ELb1ES3_N6thrust23THRUST_200600_302600_NS6detail15normal_iteratorINS9_10device_ptrIiEEEESE_SE_iNS9_4plusIvEENS9_8equal_toIiEEiEE10hipError_tPvRmT2_T3_T4_T5_mT6_T7_P12ihipStream_tbENKUlT_T0_E_clISt17integral_constantIbLb0EESZ_EEDaSU_SV_EUlSU_E_NS1_11comp_targetILNS1_3genE5ELNS1_11target_archE942ELNS1_3gpuE9ELNS1_3repE0EEENS1_30default_config_static_selectorELNS0_4arch9wavefront6targetE0EEEvT1_, .Lfunc_end535-_ZN7rocprim17ROCPRIM_400000_NS6detail17trampoline_kernelINS0_14default_configENS1_27scan_by_key_config_selectorIiiEEZZNS1_16scan_by_key_implILNS1_25lookback_scan_determinismE0ELb1ES3_N6thrust23THRUST_200600_302600_NS6detail15normal_iteratorINS9_10device_ptrIiEEEESE_SE_iNS9_4plusIvEENS9_8equal_toIiEEiEE10hipError_tPvRmT2_T3_T4_T5_mT6_T7_P12ihipStream_tbENKUlT_T0_E_clISt17integral_constantIbLb0EESZ_EEDaSU_SV_EUlSU_E_NS1_11comp_targetILNS1_3genE5ELNS1_11target_archE942ELNS1_3gpuE9ELNS1_3repE0EEENS1_30default_config_static_selectorELNS0_4arch9wavefront6targetE0EEEvT1_
                                        ; -- End function
	.set _ZN7rocprim17ROCPRIM_400000_NS6detail17trampoline_kernelINS0_14default_configENS1_27scan_by_key_config_selectorIiiEEZZNS1_16scan_by_key_implILNS1_25lookback_scan_determinismE0ELb1ES3_N6thrust23THRUST_200600_302600_NS6detail15normal_iteratorINS9_10device_ptrIiEEEESE_SE_iNS9_4plusIvEENS9_8equal_toIiEEiEE10hipError_tPvRmT2_T3_T4_T5_mT6_T7_P12ihipStream_tbENKUlT_T0_E_clISt17integral_constantIbLb0EESZ_EEDaSU_SV_EUlSU_E_NS1_11comp_targetILNS1_3genE5ELNS1_11target_archE942ELNS1_3gpuE9ELNS1_3repE0EEENS1_30default_config_static_selectorELNS0_4arch9wavefront6targetE0EEEvT1_.num_vgpr, 0
	.set _ZN7rocprim17ROCPRIM_400000_NS6detail17trampoline_kernelINS0_14default_configENS1_27scan_by_key_config_selectorIiiEEZZNS1_16scan_by_key_implILNS1_25lookback_scan_determinismE0ELb1ES3_N6thrust23THRUST_200600_302600_NS6detail15normal_iteratorINS9_10device_ptrIiEEEESE_SE_iNS9_4plusIvEENS9_8equal_toIiEEiEE10hipError_tPvRmT2_T3_T4_T5_mT6_T7_P12ihipStream_tbENKUlT_T0_E_clISt17integral_constantIbLb0EESZ_EEDaSU_SV_EUlSU_E_NS1_11comp_targetILNS1_3genE5ELNS1_11target_archE942ELNS1_3gpuE9ELNS1_3repE0EEENS1_30default_config_static_selectorELNS0_4arch9wavefront6targetE0EEEvT1_.num_agpr, 0
	.set _ZN7rocprim17ROCPRIM_400000_NS6detail17trampoline_kernelINS0_14default_configENS1_27scan_by_key_config_selectorIiiEEZZNS1_16scan_by_key_implILNS1_25lookback_scan_determinismE0ELb1ES3_N6thrust23THRUST_200600_302600_NS6detail15normal_iteratorINS9_10device_ptrIiEEEESE_SE_iNS9_4plusIvEENS9_8equal_toIiEEiEE10hipError_tPvRmT2_T3_T4_T5_mT6_T7_P12ihipStream_tbENKUlT_T0_E_clISt17integral_constantIbLb0EESZ_EEDaSU_SV_EUlSU_E_NS1_11comp_targetILNS1_3genE5ELNS1_11target_archE942ELNS1_3gpuE9ELNS1_3repE0EEENS1_30default_config_static_selectorELNS0_4arch9wavefront6targetE0EEEvT1_.numbered_sgpr, 0
	.set _ZN7rocprim17ROCPRIM_400000_NS6detail17trampoline_kernelINS0_14default_configENS1_27scan_by_key_config_selectorIiiEEZZNS1_16scan_by_key_implILNS1_25lookback_scan_determinismE0ELb1ES3_N6thrust23THRUST_200600_302600_NS6detail15normal_iteratorINS9_10device_ptrIiEEEESE_SE_iNS9_4plusIvEENS9_8equal_toIiEEiEE10hipError_tPvRmT2_T3_T4_T5_mT6_T7_P12ihipStream_tbENKUlT_T0_E_clISt17integral_constantIbLb0EESZ_EEDaSU_SV_EUlSU_E_NS1_11comp_targetILNS1_3genE5ELNS1_11target_archE942ELNS1_3gpuE9ELNS1_3repE0EEENS1_30default_config_static_selectorELNS0_4arch9wavefront6targetE0EEEvT1_.num_named_barrier, 0
	.set _ZN7rocprim17ROCPRIM_400000_NS6detail17trampoline_kernelINS0_14default_configENS1_27scan_by_key_config_selectorIiiEEZZNS1_16scan_by_key_implILNS1_25lookback_scan_determinismE0ELb1ES3_N6thrust23THRUST_200600_302600_NS6detail15normal_iteratorINS9_10device_ptrIiEEEESE_SE_iNS9_4plusIvEENS9_8equal_toIiEEiEE10hipError_tPvRmT2_T3_T4_T5_mT6_T7_P12ihipStream_tbENKUlT_T0_E_clISt17integral_constantIbLb0EESZ_EEDaSU_SV_EUlSU_E_NS1_11comp_targetILNS1_3genE5ELNS1_11target_archE942ELNS1_3gpuE9ELNS1_3repE0EEENS1_30default_config_static_selectorELNS0_4arch9wavefront6targetE0EEEvT1_.private_seg_size, 0
	.set _ZN7rocprim17ROCPRIM_400000_NS6detail17trampoline_kernelINS0_14default_configENS1_27scan_by_key_config_selectorIiiEEZZNS1_16scan_by_key_implILNS1_25lookback_scan_determinismE0ELb1ES3_N6thrust23THRUST_200600_302600_NS6detail15normal_iteratorINS9_10device_ptrIiEEEESE_SE_iNS9_4plusIvEENS9_8equal_toIiEEiEE10hipError_tPvRmT2_T3_T4_T5_mT6_T7_P12ihipStream_tbENKUlT_T0_E_clISt17integral_constantIbLb0EESZ_EEDaSU_SV_EUlSU_E_NS1_11comp_targetILNS1_3genE5ELNS1_11target_archE942ELNS1_3gpuE9ELNS1_3repE0EEENS1_30default_config_static_selectorELNS0_4arch9wavefront6targetE0EEEvT1_.uses_vcc, 0
	.set _ZN7rocprim17ROCPRIM_400000_NS6detail17trampoline_kernelINS0_14default_configENS1_27scan_by_key_config_selectorIiiEEZZNS1_16scan_by_key_implILNS1_25lookback_scan_determinismE0ELb1ES3_N6thrust23THRUST_200600_302600_NS6detail15normal_iteratorINS9_10device_ptrIiEEEESE_SE_iNS9_4plusIvEENS9_8equal_toIiEEiEE10hipError_tPvRmT2_T3_T4_T5_mT6_T7_P12ihipStream_tbENKUlT_T0_E_clISt17integral_constantIbLb0EESZ_EEDaSU_SV_EUlSU_E_NS1_11comp_targetILNS1_3genE5ELNS1_11target_archE942ELNS1_3gpuE9ELNS1_3repE0EEENS1_30default_config_static_selectorELNS0_4arch9wavefront6targetE0EEEvT1_.uses_flat_scratch, 0
	.set _ZN7rocprim17ROCPRIM_400000_NS6detail17trampoline_kernelINS0_14default_configENS1_27scan_by_key_config_selectorIiiEEZZNS1_16scan_by_key_implILNS1_25lookback_scan_determinismE0ELb1ES3_N6thrust23THRUST_200600_302600_NS6detail15normal_iteratorINS9_10device_ptrIiEEEESE_SE_iNS9_4plusIvEENS9_8equal_toIiEEiEE10hipError_tPvRmT2_T3_T4_T5_mT6_T7_P12ihipStream_tbENKUlT_T0_E_clISt17integral_constantIbLb0EESZ_EEDaSU_SV_EUlSU_E_NS1_11comp_targetILNS1_3genE5ELNS1_11target_archE942ELNS1_3gpuE9ELNS1_3repE0EEENS1_30default_config_static_selectorELNS0_4arch9wavefront6targetE0EEEvT1_.has_dyn_sized_stack, 0
	.set _ZN7rocprim17ROCPRIM_400000_NS6detail17trampoline_kernelINS0_14default_configENS1_27scan_by_key_config_selectorIiiEEZZNS1_16scan_by_key_implILNS1_25lookback_scan_determinismE0ELb1ES3_N6thrust23THRUST_200600_302600_NS6detail15normal_iteratorINS9_10device_ptrIiEEEESE_SE_iNS9_4plusIvEENS9_8equal_toIiEEiEE10hipError_tPvRmT2_T3_T4_T5_mT6_T7_P12ihipStream_tbENKUlT_T0_E_clISt17integral_constantIbLb0EESZ_EEDaSU_SV_EUlSU_E_NS1_11comp_targetILNS1_3genE5ELNS1_11target_archE942ELNS1_3gpuE9ELNS1_3repE0EEENS1_30default_config_static_selectorELNS0_4arch9wavefront6targetE0EEEvT1_.has_recursion, 0
	.set _ZN7rocprim17ROCPRIM_400000_NS6detail17trampoline_kernelINS0_14default_configENS1_27scan_by_key_config_selectorIiiEEZZNS1_16scan_by_key_implILNS1_25lookback_scan_determinismE0ELb1ES3_N6thrust23THRUST_200600_302600_NS6detail15normal_iteratorINS9_10device_ptrIiEEEESE_SE_iNS9_4plusIvEENS9_8equal_toIiEEiEE10hipError_tPvRmT2_T3_T4_T5_mT6_T7_P12ihipStream_tbENKUlT_T0_E_clISt17integral_constantIbLb0EESZ_EEDaSU_SV_EUlSU_E_NS1_11comp_targetILNS1_3genE5ELNS1_11target_archE942ELNS1_3gpuE9ELNS1_3repE0EEENS1_30default_config_static_selectorELNS0_4arch9wavefront6targetE0EEEvT1_.has_indirect_call, 0
	.section	.AMDGPU.csdata,"",@progbits
; Kernel info:
; codeLenInByte = 0
; TotalNumSgprs: 0
; NumVgprs: 0
; ScratchSize: 0
; MemoryBound: 0
; FloatMode: 240
; IeeeMode: 1
; LDSByteSize: 0 bytes/workgroup (compile time only)
; SGPRBlocks: 0
; VGPRBlocks: 0
; NumSGPRsForWavesPerEU: 1
; NumVGPRsForWavesPerEU: 1
; Occupancy: 16
; WaveLimiterHint : 0
; COMPUTE_PGM_RSRC2:SCRATCH_EN: 0
; COMPUTE_PGM_RSRC2:USER_SGPR: 6
; COMPUTE_PGM_RSRC2:TRAP_HANDLER: 0
; COMPUTE_PGM_RSRC2:TGID_X_EN: 1
; COMPUTE_PGM_RSRC2:TGID_Y_EN: 0
; COMPUTE_PGM_RSRC2:TGID_Z_EN: 0
; COMPUTE_PGM_RSRC2:TIDIG_COMP_CNT: 0
	.section	.text._ZN7rocprim17ROCPRIM_400000_NS6detail17trampoline_kernelINS0_14default_configENS1_27scan_by_key_config_selectorIiiEEZZNS1_16scan_by_key_implILNS1_25lookback_scan_determinismE0ELb1ES3_N6thrust23THRUST_200600_302600_NS6detail15normal_iteratorINS9_10device_ptrIiEEEESE_SE_iNS9_4plusIvEENS9_8equal_toIiEEiEE10hipError_tPvRmT2_T3_T4_T5_mT6_T7_P12ihipStream_tbENKUlT_T0_E_clISt17integral_constantIbLb0EESZ_EEDaSU_SV_EUlSU_E_NS1_11comp_targetILNS1_3genE4ELNS1_11target_archE910ELNS1_3gpuE8ELNS1_3repE0EEENS1_30default_config_static_selectorELNS0_4arch9wavefront6targetE0EEEvT1_,"axG",@progbits,_ZN7rocprim17ROCPRIM_400000_NS6detail17trampoline_kernelINS0_14default_configENS1_27scan_by_key_config_selectorIiiEEZZNS1_16scan_by_key_implILNS1_25lookback_scan_determinismE0ELb1ES3_N6thrust23THRUST_200600_302600_NS6detail15normal_iteratorINS9_10device_ptrIiEEEESE_SE_iNS9_4plusIvEENS9_8equal_toIiEEiEE10hipError_tPvRmT2_T3_T4_T5_mT6_T7_P12ihipStream_tbENKUlT_T0_E_clISt17integral_constantIbLb0EESZ_EEDaSU_SV_EUlSU_E_NS1_11comp_targetILNS1_3genE4ELNS1_11target_archE910ELNS1_3gpuE8ELNS1_3repE0EEENS1_30default_config_static_selectorELNS0_4arch9wavefront6targetE0EEEvT1_,comdat
	.protected	_ZN7rocprim17ROCPRIM_400000_NS6detail17trampoline_kernelINS0_14default_configENS1_27scan_by_key_config_selectorIiiEEZZNS1_16scan_by_key_implILNS1_25lookback_scan_determinismE0ELb1ES3_N6thrust23THRUST_200600_302600_NS6detail15normal_iteratorINS9_10device_ptrIiEEEESE_SE_iNS9_4plusIvEENS9_8equal_toIiEEiEE10hipError_tPvRmT2_T3_T4_T5_mT6_T7_P12ihipStream_tbENKUlT_T0_E_clISt17integral_constantIbLb0EESZ_EEDaSU_SV_EUlSU_E_NS1_11comp_targetILNS1_3genE4ELNS1_11target_archE910ELNS1_3gpuE8ELNS1_3repE0EEENS1_30default_config_static_selectorELNS0_4arch9wavefront6targetE0EEEvT1_ ; -- Begin function _ZN7rocprim17ROCPRIM_400000_NS6detail17trampoline_kernelINS0_14default_configENS1_27scan_by_key_config_selectorIiiEEZZNS1_16scan_by_key_implILNS1_25lookback_scan_determinismE0ELb1ES3_N6thrust23THRUST_200600_302600_NS6detail15normal_iteratorINS9_10device_ptrIiEEEESE_SE_iNS9_4plusIvEENS9_8equal_toIiEEiEE10hipError_tPvRmT2_T3_T4_T5_mT6_T7_P12ihipStream_tbENKUlT_T0_E_clISt17integral_constantIbLb0EESZ_EEDaSU_SV_EUlSU_E_NS1_11comp_targetILNS1_3genE4ELNS1_11target_archE910ELNS1_3gpuE8ELNS1_3repE0EEENS1_30default_config_static_selectorELNS0_4arch9wavefront6targetE0EEEvT1_
	.globl	_ZN7rocprim17ROCPRIM_400000_NS6detail17trampoline_kernelINS0_14default_configENS1_27scan_by_key_config_selectorIiiEEZZNS1_16scan_by_key_implILNS1_25lookback_scan_determinismE0ELb1ES3_N6thrust23THRUST_200600_302600_NS6detail15normal_iteratorINS9_10device_ptrIiEEEESE_SE_iNS9_4plusIvEENS9_8equal_toIiEEiEE10hipError_tPvRmT2_T3_T4_T5_mT6_T7_P12ihipStream_tbENKUlT_T0_E_clISt17integral_constantIbLb0EESZ_EEDaSU_SV_EUlSU_E_NS1_11comp_targetILNS1_3genE4ELNS1_11target_archE910ELNS1_3gpuE8ELNS1_3repE0EEENS1_30default_config_static_selectorELNS0_4arch9wavefront6targetE0EEEvT1_
	.p2align	8
	.type	_ZN7rocprim17ROCPRIM_400000_NS6detail17trampoline_kernelINS0_14default_configENS1_27scan_by_key_config_selectorIiiEEZZNS1_16scan_by_key_implILNS1_25lookback_scan_determinismE0ELb1ES3_N6thrust23THRUST_200600_302600_NS6detail15normal_iteratorINS9_10device_ptrIiEEEESE_SE_iNS9_4plusIvEENS9_8equal_toIiEEiEE10hipError_tPvRmT2_T3_T4_T5_mT6_T7_P12ihipStream_tbENKUlT_T0_E_clISt17integral_constantIbLb0EESZ_EEDaSU_SV_EUlSU_E_NS1_11comp_targetILNS1_3genE4ELNS1_11target_archE910ELNS1_3gpuE8ELNS1_3repE0EEENS1_30default_config_static_selectorELNS0_4arch9wavefront6targetE0EEEvT1_,@function
_ZN7rocprim17ROCPRIM_400000_NS6detail17trampoline_kernelINS0_14default_configENS1_27scan_by_key_config_selectorIiiEEZZNS1_16scan_by_key_implILNS1_25lookback_scan_determinismE0ELb1ES3_N6thrust23THRUST_200600_302600_NS6detail15normal_iteratorINS9_10device_ptrIiEEEESE_SE_iNS9_4plusIvEENS9_8equal_toIiEEiEE10hipError_tPvRmT2_T3_T4_T5_mT6_T7_P12ihipStream_tbENKUlT_T0_E_clISt17integral_constantIbLb0EESZ_EEDaSU_SV_EUlSU_E_NS1_11comp_targetILNS1_3genE4ELNS1_11target_archE910ELNS1_3gpuE8ELNS1_3repE0EEENS1_30default_config_static_selectorELNS0_4arch9wavefront6targetE0EEEvT1_: ; @_ZN7rocprim17ROCPRIM_400000_NS6detail17trampoline_kernelINS0_14default_configENS1_27scan_by_key_config_selectorIiiEEZZNS1_16scan_by_key_implILNS1_25lookback_scan_determinismE0ELb1ES3_N6thrust23THRUST_200600_302600_NS6detail15normal_iteratorINS9_10device_ptrIiEEEESE_SE_iNS9_4plusIvEENS9_8equal_toIiEEiEE10hipError_tPvRmT2_T3_T4_T5_mT6_T7_P12ihipStream_tbENKUlT_T0_E_clISt17integral_constantIbLb0EESZ_EEDaSU_SV_EUlSU_E_NS1_11comp_targetILNS1_3genE4ELNS1_11target_archE910ELNS1_3gpuE8ELNS1_3repE0EEENS1_30default_config_static_selectorELNS0_4arch9wavefront6targetE0EEEvT1_
; %bb.0:
	.section	.rodata,"a",@progbits
	.p2align	6, 0x0
	.amdhsa_kernel _ZN7rocprim17ROCPRIM_400000_NS6detail17trampoline_kernelINS0_14default_configENS1_27scan_by_key_config_selectorIiiEEZZNS1_16scan_by_key_implILNS1_25lookback_scan_determinismE0ELb1ES3_N6thrust23THRUST_200600_302600_NS6detail15normal_iteratorINS9_10device_ptrIiEEEESE_SE_iNS9_4plusIvEENS9_8equal_toIiEEiEE10hipError_tPvRmT2_T3_T4_T5_mT6_T7_P12ihipStream_tbENKUlT_T0_E_clISt17integral_constantIbLb0EESZ_EEDaSU_SV_EUlSU_E_NS1_11comp_targetILNS1_3genE4ELNS1_11target_archE910ELNS1_3gpuE8ELNS1_3repE0EEENS1_30default_config_static_selectorELNS0_4arch9wavefront6targetE0EEEvT1_
		.amdhsa_group_segment_fixed_size 0
		.amdhsa_private_segment_fixed_size 0
		.amdhsa_kernarg_size 112
		.amdhsa_user_sgpr_count 6
		.amdhsa_user_sgpr_private_segment_buffer 1
		.amdhsa_user_sgpr_dispatch_ptr 0
		.amdhsa_user_sgpr_queue_ptr 0
		.amdhsa_user_sgpr_kernarg_segment_ptr 1
		.amdhsa_user_sgpr_dispatch_id 0
		.amdhsa_user_sgpr_flat_scratch_init 0
		.amdhsa_user_sgpr_private_segment_size 0
		.amdhsa_wavefront_size32 1
		.amdhsa_uses_dynamic_stack 0
		.amdhsa_system_sgpr_private_segment_wavefront_offset 0
		.amdhsa_system_sgpr_workgroup_id_x 1
		.amdhsa_system_sgpr_workgroup_id_y 0
		.amdhsa_system_sgpr_workgroup_id_z 0
		.amdhsa_system_sgpr_workgroup_info 0
		.amdhsa_system_vgpr_workitem_id 0
		.amdhsa_next_free_vgpr 1
		.amdhsa_next_free_sgpr 1
		.amdhsa_reserve_vcc 0
		.amdhsa_reserve_flat_scratch 0
		.amdhsa_float_round_mode_32 0
		.amdhsa_float_round_mode_16_64 0
		.amdhsa_float_denorm_mode_32 3
		.amdhsa_float_denorm_mode_16_64 3
		.amdhsa_dx10_clamp 1
		.amdhsa_ieee_mode 1
		.amdhsa_fp16_overflow 0
		.amdhsa_workgroup_processor_mode 1
		.amdhsa_memory_ordered 1
		.amdhsa_forward_progress 1
		.amdhsa_shared_vgpr_count 0
		.amdhsa_exception_fp_ieee_invalid_op 0
		.amdhsa_exception_fp_denorm_src 0
		.amdhsa_exception_fp_ieee_div_zero 0
		.amdhsa_exception_fp_ieee_overflow 0
		.amdhsa_exception_fp_ieee_underflow 0
		.amdhsa_exception_fp_ieee_inexact 0
		.amdhsa_exception_int_div_zero 0
	.end_amdhsa_kernel
	.section	.text._ZN7rocprim17ROCPRIM_400000_NS6detail17trampoline_kernelINS0_14default_configENS1_27scan_by_key_config_selectorIiiEEZZNS1_16scan_by_key_implILNS1_25lookback_scan_determinismE0ELb1ES3_N6thrust23THRUST_200600_302600_NS6detail15normal_iteratorINS9_10device_ptrIiEEEESE_SE_iNS9_4plusIvEENS9_8equal_toIiEEiEE10hipError_tPvRmT2_T3_T4_T5_mT6_T7_P12ihipStream_tbENKUlT_T0_E_clISt17integral_constantIbLb0EESZ_EEDaSU_SV_EUlSU_E_NS1_11comp_targetILNS1_3genE4ELNS1_11target_archE910ELNS1_3gpuE8ELNS1_3repE0EEENS1_30default_config_static_selectorELNS0_4arch9wavefront6targetE0EEEvT1_,"axG",@progbits,_ZN7rocprim17ROCPRIM_400000_NS6detail17trampoline_kernelINS0_14default_configENS1_27scan_by_key_config_selectorIiiEEZZNS1_16scan_by_key_implILNS1_25lookback_scan_determinismE0ELb1ES3_N6thrust23THRUST_200600_302600_NS6detail15normal_iteratorINS9_10device_ptrIiEEEESE_SE_iNS9_4plusIvEENS9_8equal_toIiEEiEE10hipError_tPvRmT2_T3_T4_T5_mT6_T7_P12ihipStream_tbENKUlT_T0_E_clISt17integral_constantIbLb0EESZ_EEDaSU_SV_EUlSU_E_NS1_11comp_targetILNS1_3genE4ELNS1_11target_archE910ELNS1_3gpuE8ELNS1_3repE0EEENS1_30default_config_static_selectorELNS0_4arch9wavefront6targetE0EEEvT1_,comdat
.Lfunc_end536:
	.size	_ZN7rocprim17ROCPRIM_400000_NS6detail17trampoline_kernelINS0_14default_configENS1_27scan_by_key_config_selectorIiiEEZZNS1_16scan_by_key_implILNS1_25lookback_scan_determinismE0ELb1ES3_N6thrust23THRUST_200600_302600_NS6detail15normal_iteratorINS9_10device_ptrIiEEEESE_SE_iNS9_4plusIvEENS9_8equal_toIiEEiEE10hipError_tPvRmT2_T3_T4_T5_mT6_T7_P12ihipStream_tbENKUlT_T0_E_clISt17integral_constantIbLb0EESZ_EEDaSU_SV_EUlSU_E_NS1_11comp_targetILNS1_3genE4ELNS1_11target_archE910ELNS1_3gpuE8ELNS1_3repE0EEENS1_30default_config_static_selectorELNS0_4arch9wavefront6targetE0EEEvT1_, .Lfunc_end536-_ZN7rocprim17ROCPRIM_400000_NS6detail17trampoline_kernelINS0_14default_configENS1_27scan_by_key_config_selectorIiiEEZZNS1_16scan_by_key_implILNS1_25lookback_scan_determinismE0ELb1ES3_N6thrust23THRUST_200600_302600_NS6detail15normal_iteratorINS9_10device_ptrIiEEEESE_SE_iNS9_4plusIvEENS9_8equal_toIiEEiEE10hipError_tPvRmT2_T3_T4_T5_mT6_T7_P12ihipStream_tbENKUlT_T0_E_clISt17integral_constantIbLb0EESZ_EEDaSU_SV_EUlSU_E_NS1_11comp_targetILNS1_3genE4ELNS1_11target_archE910ELNS1_3gpuE8ELNS1_3repE0EEENS1_30default_config_static_selectorELNS0_4arch9wavefront6targetE0EEEvT1_
                                        ; -- End function
	.set _ZN7rocprim17ROCPRIM_400000_NS6detail17trampoline_kernelINS0_14default_configENS1_27scan_by_key_config_selectorIiiEEZZNS1_16scan_by_key_implILNS1_25lookback_scan_determinismE0ELb1ES3_N6thrust23THRUST_200600_302600_NS6detail15normal_iteratorINS9_10device_ptrIiEEEESE_SE_iNS9_4plusIvEENS9_8equal_toIiEEiEE10hipError_tPvRmT2_T3_T4_T5_mT6_T7_P12ihipStream_tbENKUlT_T0_E_clISt17integral_constantIbLb0EESZ_EEDaSU_SV_EUlSU_E_NS1_11comp_targetILNS1_3genE4ELNS1_11target_archE910ELNS1_3gpuE8ELNS1_3repE0EEENS1_30default_config_static_selectorELNS0_4arch9wavefront6targetE0EEEvT1_.num_vgpr, 0
	.set _ZN7rocprim17ROCPRIM_400000_NS6detail17trampoline_kernelINS0_14default_configENS1_27scan_by_key_config_selectorIiiEEZZNS1_16scan_by_key_implILNS1_25lookback_scan_determinismE0ELb1ES3_N6thrust23THRUST_200600_302600_NS6detail15normal_iteratorINS9_10device_ptrIiEEEESE_SE_iNS9_4plusIvEENS9_8equal_toIiEEiEE10hipError_tPvRmT2_T3_T4_T5_mT6_T7_P12ihipStream_tbENKUlT_T0_E_clISt17integral_constantIbLb0EESZ_EEDaSU_SV_EUlSU_E_NS1_11comp_targetILNS1_3genE4ELNS1_11target_archE910ELNS1_3gpuE8ELNS1_3repE0EEENS1_30default_config_static_selectorELNS0_4arch9wavefront6targetE0EEEvT1_.num_agpr, 0
	.set _ZN7rocprim17ROCPRIM_400000_NS6detail17trampoline_kernelINS0_14default_configENS1_27scan_by_key_config_selectorIiiEEZZNS1_16scan_by_key_implILNS1_25lookback_scan_determinismE0ELb1ES3_N6thrust23THRUST_200600_302600_NS6detail15normal_iteratorINS9_10device_ptrIiEEEESE_SE_iNS9_4plusIvEENS9_8equal_toIiEEiEE10hipError_tPvRmT2_T3_T4_T5_mT6_T7_P12ihipStream_tbENKUlT_T0_E_clISt17integral_constantIbLb0EESZ_EEDaSU_SV_EUlSU_E_NS1_11comp_targetILNS1_3genE4ELNS1_11target_archE910ELNS1_3gpuE8ELNS1_3repE0EEENS1_30default_config_static_selectorELNS0_4arch9wavefront6targetE0EEEvT1_.numbered_sgpr, 0
	.set _ZN7rocprim17ROCPRIM_400000_NS6detail17trampoline_kernelINS0_14default_configENS1_27scan_by_key_config_selectorIiiEEZZNS1_16scan_by_key_implILNS1_25lookback_scan_determinismE0ELb1ES3_N6thrust23THRUST_200600_302600_NS6detail15normal_iteratorINS9_10device_ptrIiEEEESE_SE_iNS9_4plusIvEENS9_8equal_toIiEEiEE10hipError_tPvRmT2_T3_T4_T5_mT6_T7_P12ihipStream_tbENKUlT_T0_E_clISt17integral_constantIbLb0EESZ_EEDaSU_SV_EUlSU_E_NS1_11comp_targetILNS1_3genE4ELNS1_11target_archE910ELNS1_3gpuE8ELNS1_3repE0EEENS1_30default_config_static_selectorELNS0_4arch9wavefront6targetE0EEEvT1_.num_named_barrier, 0
	.set _ZN7rocprim17ROCPRIM_400000_NS6detail17trampoline_kernelINS0_14default_configENS1_27scan_by_key_config_selectorIiiEEZZNS1_16scan_by_key_implILNS1_25lookback_scan_determinismE0ELb1ES3_N6thrust23THRUST_200600_302600_NS6detail15normal_iteratorINS9_10device_ptrIiEEEESE_SE_iNS9_4plusIvEENS9_8equal_toIiEEiEE10hipError_tPvRmT2_T3_T4_T5_mT6_T7_P12ihipStream_tbENKUlT_T0_E_clISt17integral_constantIbLb0EESZ_EEDaSU_SV_EUlSU_E_NS1_11comp_targetILNS1_3genE4ELNS1_11target_archE910ELNS1_3gpuE8ELNS1_3repE0EEENS1_30default_config_static_selectorELNS0_4arch9wavefront6targetE0EEEvT1_.private_seg_size, 0
	.set _ZN7rocprim17ROCPRIM_400000_NS6detail17trampoline_kernelINS0_14default_configENS1_27scan_by_key_config_selectorIiiEEZZNS1_16scan_by_key_implILNS1_25lookback_scan_determinismE0ELb1ES3_N6thrust23THRUST_200600_302600_NS6detail15normal_iteratorINS9_10device_ptrIiEEEESE_SE_iNS9_4plusIvEENS9_8equal_toIiEEiEE10hipError_tPvRmT2_T3_T4_T5_mT6_T7_P12ihipStream_tbENKUlT_T0_E_clISt17integral_constantIbLb0EESZ_EEDaSU_SV_EUlSU_E_NS1_11comp_targetILNS1_3genE4ELNS1_11target_archE910ELNS1_3gpuE8ELNS1_3repE0EEENS1_30default_config_static_selectorELNS0_4arch9wavefront6targetE0EEEvT1_.uses_vcc, 0
	.set _ZN7rocprim17ROCPRIM_400000_NS6detail17trampoline_kernelINS0_14default_configENS1_27scan_by_key_config_selectorIiiEEZZNS1_16scan_by_key_implILNS1_25lookback_scan_determinismE0ELb1ES3_N6thrust23THRUST_200600_302600_NS6detail15normal_iteratorINS9_10device_ptrIiEEEESE_SE_iNS9_4plusIvEENS9_8equal_toIiEEiEE10hipError_tPvRmT2_T3_T4_T5_mT6_T7_P12ihipStream_tbENKUlT_T0_E_clISt17integral_constantIbLb0EESZ_EEDaSU_SV_EUlSU_E_NS1_11comp_targetILNS1_3genE4ELNS1_11target_archE910ELNS1_3gpuE8ELNS1_3repE0EEENS1_30default_config_static_selectorELNS0_4arch9wavefront6targetE0EEEvT1_.uses_flat_scratch, 0
	.set _ZN7rocprim17ROCPRIM_400000_NS6detail17trampoline_kernelINS0_14default_configENS1_27scan_by_key_config_selectorIiiEEZZNS1_16scan_by_key_implILNS1_25lookback_scan_determinismE0ELb1ES3_N6thrust23THRUST_200600_302600_NS6detail15normal_iteratorINS9_10device_ptrIiEEEESE_SE_iNS9_4plusIvEENS9_8equal_toIiEEiEE10hipError_tPvRmT2_T3_T4_T5_mT6_T7_P12ihipStream_tbENKUlT_T0_E_clISt17integral_constantIbLb0EESZ_EEDaSU_SV_EUlSU_E_NS1_11comp_targetILNS1_3genE4ELNS1_11target_archE910ELNS1_3gpuE8ELNS1_3repE0EEENS1_30default_config_static_selectorELNS0_4arch9wavefront6targetE0EEEvT1_.has_dyn_sized_stack, 0
	.set _ZN7rocprim17ROCPRIM_400000_NS6detail17trampoline_kernelINS0_14default_configENS1_27scan_by_key_config_selectorIiiEEZZNS1_16scan_by_key_implILNS1_25lookback_scan_determinismE0ELb1ES3_N6thrust23THRUST_200600_302600_NS6detail15normal_iteratorINS9_10device_ptrIiEEEESE_SE_iNS9_4plusIvEENS9_8equal_toIiEEiEE10hipError_tPvRmT2_T3_T4_T5_mT6_T7_P12ihipStream_tbENKUlT_T0_E_clISt17integral_constantIbLb0EESZ_EEDaSU_SV_EUlSU_E_NS1_11comp_targetILNS1_3genE4ELNS1_11target_archE910ELNS1_3gpuE8ELNS1_3repE0EEENS1_30default_config_static_selectorELNS0_4arch9wavefront6targetE0EEEvT1_.has_recursion, 0
	.set _ZN7rocprim17ROCPRIM_400000_NS6detail17trampoline_kernelINS0_14default_configENS1_27scan_by_key_config_selectorIiiEEZZNS1_16scan_by_key_implILNS1_25lookback_scan_determinismE0ELb1ES3_N6thrust23THRUST_200600_302600_NS6detail15normal_iteratorINS9_10device_ptrIiEEEESE_SE_iNS9_4plusIvEENS9_8equal_toIiEEiEE10hipError_tPvRmT2_T3_T4_T5_mT6_T7_P12ihipStream_tbENKUlT_T0_E_clISt17integral_constantIbLb0EESZ_EEDaSU_SV_EUlSU_E_NS1_11comp_targetILNS1_3genE4ELNS1_11target_archE910ELNS1_3gpuE8ELNS1_3repE0EEENS1_30default_config_static_selectorELNS0_4arch9wavefront6targetE0EEEvT1_.has_indirect_call, 0
	.section	.AMDGPU.csdata,"",@progbits
; Kernel info:
; codeLenInByte = 0
; TotalNumSgprs: 0
; NumVgprs: 0
; ScratchSize: 0
; MemoryBound: 0
; FloatMode: 240
; IeeeMode: 1
; LDSByteSize: 0 bytes/workgroup (compile time only)
; SGPRBlocks: 0
; VGPRBlocks: 0
; NumSGPRsForWavesPerEU: 1
; NumVGPRsForWavesPerEU: 1
; Occupancy: 16
; WaveLimiterHint : 0
; COMPUTE_PGM_RSRC2:SCRATCH_EN: 0
; COMPUTE_PGM_RSRC2:USER_SGPR: 6
; COMPUTE_PGM_RSRC2:TRAP_HANDLER: 0
; COMPUTE_PGM_RSRC2:TGID_X_EN: 1
; COMPUTE_PGM_RSRC2:TGID_Y_EN: 0
; COMPUTE_PGM_RSRC2:TGID_Z_EN: 0
; COMPUTE_PGM_RSRC2:TIDIG_COMP_CNT: 0
	.section	.text._ZN7rocprim17ROCPRIM_400000_NS6detail17trampoline_kernelINS0_14default_configENS1_27scan_by_key_config_selectorIiiEEZZNS1_16scan_by_key_implILNS1_25lookback_scan_determinismE0ELb1ES3_N6thrust23THRUST_200600_302600_NS6detail15normal_iteratorINS9_10device_ptrIiEEEESE_SE_iNS9_4plusIvEENS9_8equal_toIiEEiEE10hipError_tPvRmT2_T3_T4_T5_mT6_T7_P12ihipStream_tbENKUlT_T0_E_clISt17integral_constantIbLb0EESZ_EEDaSU_SV_EUlSU_E_NS1_11comp_targetILNS1_3genE3ELNS1_11target_archE908ELNS1_3gpuE7ELNS1_3repE0EEENS1_30default_config_static_selectorELNS0_4arch9wavefront6targetE0EEEvT1_,"axG",@progbits,_ZN7rocprim17ROCPRIM_400000_NS6detail17trampoline_kernelINS0_14default_configENS1_27scan_by_key_config_selectorIiiEEZZNS1_16scan_by_key_implILNS1_25lookback_scan_determinismE0ELb1ES3_N6thrust23THRUST_200600_302600_NS6detail15normal_iteratorINS9_10device_ptrIiEEEESE_SE_iNS9_4plusIvEENS9_8equal_toIiEEiEE10hipError_tPvRmT2_T3_T4_T5_mT6_T7_P12ihipStream_tbENKUlT_T0_E_clISt17integral_constantIbLb0EESZ_EEDaSU_SV_EUlSU_E_NS1_11comp_targetILNS1_3genE3ELNS1_11target_archE908ELNS1_3gpuE7ELNS1_3repE0EEENS1_30default_config_static_selectorELNS0_4arch9wavefront6targetE0EEEvT1_,comdat
	.protected	_ZN7rocprim17ROCPRIM_400000_NS6detail17trampoline_kernelINS0_14default_configENS1_27scan_by_key_config_selectorIiiEEZZNS1_16scan_by_key_implILNS1_25lookback_scan_determinismE0ELb1ES3_N6thrust23THRUST_200600_302600_NS6detail15normal_iteratorINS9_10device_ptrIiEEEESE_SE_iNS9_4plusIvEENS9_8equal_toIiEEiEE10hipError_tPvRmT2_T3_T4_T5_mT6_T7_P12ihipStream_tbENKUlT_T0_E_clISt17integral_constantIbLb0EESZ_EEDaSU_SV_EUlSU_E_NS1_11comp_targetILNS1_3genE3ELNS1_11target_archE908ELNS1_3gpuE7ELNS1_3repE0EEENS1_30default_config_static_selectorELNS0_4arch9wavefront6targetE0EEEvT1_ ; -- Begin function _ZN7rocprim17ROCPRIM_400000_NS6detail17trampoline_kernelINS0_14default_configENS1_27scan_by_key_config_selectorIiiEEZZNS1_16scan_by_key_implILNS1_25lookback_scan_determinismE0ELb1ES3_N6thrust23THRUST_200600_302600_NS6detail15normal_iteratorINS9_10device_ptrIiEEEESE_SE_iNS9_4plusIvEENS9_8equal_toIiEEiEE10hipError_tPvRmT2_T3_T4_T5_mT6_T7_P12ihipStream_tbENKUlT_T0_E_clISt17integral_constantIbLb0EESZ_EEDaSU_SV_EUlSU_E_NS1_11comp_targetILNS1_3genE3ELNS1_11target_archE908ELNS1_3gpuE7ELNS1_3repE0EEENS1_30default_config_static_selectorELNS0_4arch9wavefront6targetE0EEEvT1_
	.globl	_ZN7rocprim17ROCPRIM_400000_NS6detail17trampoline_kernelINS0_14default_configENS1_27scan_by_key_config_selectorIiiEEZZNS1_16scan_by_key_implILNS1_25lookback_scan_determinismE0ELb1ES3_N6thrust23THRUST_200600_302600_NS6detail15normal_iteratorINS9_10device_ptrIiEEEESE_SE_iNS9_4plusIvEENS9_8equal_toIiEEiEE10hipError_tPvRmT2_T3_T4_T5_mT6_T7_P12ihipStream_tbENKUlT_T0_E_clISt17integral_constantIbLb0EESZ_EEDaSU_SV_EUlSU_E_NS1_11comp_targetILNS1_3genE3ELNS1_11target_archE908ELNS1_3gpuE7ELNS1_3repE0EEENS1_30default_config_static_selectorELNS0_4arch9wavefront6targetE0EEEvT1_
	.p2align	8
	.type	_ZN7rocprim17ROCPRIM_400000_NS6detail17trampoline_kernelINS0_14default_configENS1_27scan_by_key_config_selectorIiiEEZZNS1_16scan_by_key_implILNS1_25lookback_scan_determinismE0ELb1ES3_N6thrust23THRUST_200600_302600_NS6detail15normal_iteratorINS9_10device_ptrIiEEEESE_SE_iNS9_4plusIvEENS9_8equal_toIiEEiEE10hipError_tPvRmT2_T3_T4_T5_mT6_T7_P12ihipStream_tbENKUlT_T0_E_clISt17integral_constantIbLb0EESZ_EEDaSU_SV_EUlSU_E_NS1_11comp_targetILNS1_3genE3ELNS1_11target_archE908ELNS1_3gpuE7ELNS1_3repE0EEENS1_30default_config_static_selectorELNS0_4arch9wavefront6targetE0EEEvT1_,@function
_ZN7rocprim17ROCPRIM_400000_NS6detail17trampoline_kernelINS0_14default_configENS1_27scan_by_key_config_selectorIiiEEZZNS1_16scan_by_key_implILNS1_25lookback_scan_determinismE0ELb1ES3_N6thrust23THRUST_200600_302600_NS6detail15normal_iteratorINS9_10device_ptrIiEEEESE_SE_iNS9_4plusIvEENS9_8equal_toIiEEiEE10hipError_tPvRmT2_T3_T4_T5_mT6_T7_P12ihipStream_tbENKUlT_T0_E_clISt17integral_constantIbLb0EESZ_EEDaSU_SV_EUlSU_E_NS1_11comp_targetILNS1_3genE3ELNS1_11target_archE908ELNS1_3gpuE7ELNS1_3repE0EEENS1_30default_config_static_selectorELNS0_4arch9wavefront6targetE0EEEvT1_: ; @_ZN7rocprim17ROCPRIM_400000_NS6detail17trampoline_kernelINS0_14default_configENS1_27scan_by_key_config_selectorIiiEEZZNS1_16scan_by_key_implILNS1_25lookback_scan_determinismE0ELb1ES3_N6thrust23THRUST_200600_302600_NS6detail15normal_iteratorINS9_10device_ptrIiEEEESE_SE_iNS9_4plusIvEENS9_8equal_toIiEEiEE10hipError_tPvRmT2_T3_T4_T5_mT6_T7_P12ihipStream_tbENKUlT_T0_E_clISt17integral_constantIbLb0EESZ_EEDaSU_SV_EUlSU_E_NS1_11comp_targetILNS1_3genE3ELNS1_11target_archE908ELNS1_3gpuE7ELNS1_3repE0EEENS1_30default_config_static_selectorELNS0_4arch9wavefront6targetE0EEEvT1_
; %bb.0:
	.section	.rodata,"a",@progbits
	.p2align	6, 0x0
	.amdhsa_kernel _ZN7rocprim17ROCPRIM_400000_NS6detail17trampoline_kernelINS0_14default_configENS1_27scan_by_key_config_selectorIiiEEZZNS1_16scan_by_key_implILNS1_25lookback_scan_determinismE0ELb1ES3_N6thrust23THRUST_200600_302600_NS6detail15normal_iteratorINS9_10device_ptrIiEEEESE_SE_iNS9_4plusIvEENS9_8equal_toIiEEiEE10hipError_tPvRmT2_T3_T4_T5_mT6_T7_P12ihipStream_tbENKUlT_T0_E_clISt17integral_constantIbLb0EESZ_EEDaSU_SV_EUlSU_E_NS1_11comp_targetILNS1_3genE3ELNS1_11target_archE908ELNS1_3gpuE7ELNS1_3repE0EEENS1_30default_config_static_selectorELNS0_4arch9wavefront6targetE0EEEvT1_
		.amdhsa_group_segment_fixed_size 0
		.amdhsa_private_segment_fixed_size 0
		.amdhsa_kernarg_size 112
		.amdhsa_user_sgpr_count 6
		.amdhsa_user_sgpr_private_segment_buffer 1
		.amdhsa_user_sgpr_dispatch_ptr 0
		.amdhsa_user_sgpr_queue_ptr 0
		.amdhsa_user_sgpr_kernarg_segment_ptr 1
		.amdhsa_user_sgpr_dispatch_id 0
		.amdhsa_user_sgpr_flat_scratch_init 0
		.amdhsa_user_sgpr_private_segment_size 0
		.amdhsa_wavefront_size32 1
		.amdhsa_uses_dynamic_stack 0
		.amdhsa_system_sgpr_private_segment_wavefront_offset 0
		.amdhsa_system_sgpr_workgroup_id_x 1
		.amdhsa_system_sgpr_workgroup_id_y 0
		.amdhsa_system_sgpr_workgroup_id_z 0
		.amdhsa_system_sgpr_workgroup_info 0
		.amdhsa_system_vgpr_workitem_id 0
		.amdhsa_next_free_vgpr 1
		.amdhsa_next_free_sgpr 1
		.amdhsa_reserve_vcc 0
		.amdhsa_reserve_flat_scratch 0
		.amdhsa_float_round_mode_32 0
		.amdhsa_float_round_mode_16_64 0
		.amdhsa_float_denorm_mode_32 3
		.amdhsa_float_denorm_mode_16_64 3
		.amdhsa_dx10_clamp 1
		.amdhsa_ieee_mode 1
		.amdhsa_fp16_overflow 0
		.amdhsa_workgroup_processor_mode 1
		.amdhsa_memory_ordered 1
		.amdhsa_forward_progress 1
		.amdhsa_shared_vgpr_count 0
		.amdhsa_exception_fp_ieee_invalid_op 0
		.amdhsa_exception_fp_denorm_src 0
		.amdhsa_exception_fp_ieee_div_zero 0
		.amdhsa_exception_fp_ieee_overflow 0
		.amdhsa_exception_fp_ieee_underflow 0
		.amdhsa_exception_fp_ieee_inexact 0
		.amdhsa_exception_int_div_zero 0
	.end_amdhsa_kernel
	.section	.text._ZN7rocprim17ROCPRIM_400000_NS6detail17trampoline_kernelINS0_14default_configENS1_27scan_by_key_config_selectorIiiEEZZNS1_16scan_by_key_implILNS1_25lookback_scan_determinismE0ELb1ES3_N6thrust23THRUST_200600_302600_NS6detail15normal_iteratorINS9_10device_ptrIiEEEESE_SE_iNS9_4plusIvEENS9_8equal_toIiEEiEE10hipError_tPvRmT2_T3_T4_T5_mT6_T7_P12ihipStream_tbENKUlT_T0_E_clISt17integral_constantIbLb0EESZ_EEDaSU_SV_EUlSU_E_NS1_11comp_targetILNS1_3genE3ELNS1_11target_archE908ELNS1_3gpuE7ELNS1_3repE0EEENS1_30default_config_static_selectorELNS0_4arch9wavefront6targetE0EEEvT1_,"axG",@progbits,_ZN7rocprim17ROCPRIM_400000_NS6detail17trampoline_kernelINS0_14default_configENS1_27scan_by_key_config_selectorIiiEEZZNS1_16scan_by_key_implILNS1_25lookback_scan_determinismE0ELb1ES3_N6thrust23THRUST_200600_302600_NS6detail15normal_iteratorINS9_10device_ptrIiEEEESE_SE_iNS9_4plusIvEENS9_8equal_toIiEEiEE10hipError_tPvRmT2_T3_T4_T5_mT6_T7_P12ihipStream_tbENKUlT_T0_E_clISt17integral_constantIbLb0EESZ_EEDaSU_SV_EUlSU_E_NS1_11comp_targetILNS1_3genE3ELNS1_11target_archE908ELNS1_3gpuE7ELNS1_3repE0EEENS1_30default_config_static_selectorELNS0_4arch9wavefront6targetE0EEEvT1_,comdat
.Lfunc_end537:
	.size	_ZN7rocprim17ROCPRIM_400000_NS6detail17trampoline_kernelINS0_14default_configENS1_27scan_by_key_config_selectorIiiEEZZNS1_16scan_by_key_implILNS1_25lookback_scan_determinismE0ELb1ES3_N6thrust23THRUST_200600_302600_NS6detail15normal_iteratorINS9_10device_ptrIiEEEESE_SE_iNS9_4plusIvEENS9_8equal_toIiEEiEE10hipError_tPvRmT2_T3_T4_T5_mT6_T7_P12ihipStream_tbENKUlT_T0_E_clISt17integral_constantIbLb0EESZ_EEDaSU_SV_EUlSU_E_NS1_11comp_targetILNS1_3genE3ELNS1_11target_archE908ELNS1_3gpuE7ELNS1_3repE0EEENS1_30default_config_static_selectorELNS0_4arch9wavefront6targetE0EEEvT1_, .Lfunc_end537-_ZN7rocprim17ROCPRIM_400000_NS6detail17trampoline_kernelINS0_14default_configENS1_27scan_by_key_config_selectorIiiEEZZNS1_16scan_by_key_implILNS1_25lookback_scan_determinismE0ELb1ES3_N6thrust23THRUST_200600_302600_NS6detail15normal_iteratorINS9_10device_ptrIiEEEESE_SE_iNS9_4plusIvEENS9_8equal_toIiEEiEE10hipError_tPvRmT2_T3_T4_T5_mT6_T7_P12ihipStream_tbENKUlT_T0_E_clISt17integral_constantIbLb0EESZ_EEDaSU_SV_EUlSU_E_NS1_11comp_targetILNS1_3genE3ELNS1_11target_archE908ELNS1_3gpuE7ELNS1_3repE0EEENS1_30default_config_static_selectorELNS0_4arch9wavefront6targetE0EEEvT1_
                                        ; -- End function
	.set _ZN7rocprim17ROCPRIM_400000_NS6detail17trampoline_kernelINS0_14default_configENS1_27scan_by_key_config_selectorIiiEEZZNS1_16scan_by_key_implILNS1_25lookback_scan_determinismE0ELb1ES3_N6thrust23THRUST_200600_302600_NS6detail15normal_iteratorINS9_10device_ptrIiEEEESE_SE_iNS9_4plusIvEENS9_8equal_toIiEEiEE10hipError_tPvRmT2_T3_T4_T5_mT6_T7_P12ihipStream_tbENKUlT_T0_E_clISt17integral_constantIbLb0EESZ_EEDaSU_SV_EUlSU_E_NS1_11comp_targetILNS1_3genE3ELNS1_11target_archE908ELNS1_3gpuE7ELNS1_3repE0EEENS1_30default_config_static_selectorELNS0_4arch9wavefront6targetE0EEEvT1_.num_vgpr, 0
	.set _ZN7rocprim17ROCPRIM_400000_NS6detail17trampoline_kernelINS0_14default_configENS1_27scan_by_key_config_selectorIiiEEZZNS1_16scan_by_key_implILNS1_25lookback_scan_determinismE0ELb1ES3_N6thrust23THRUST_200600_302600_NS6detail15normal_iteratorINS9_10device_ptrIiEEEESE_SE_iNS9_4plusIvEENS9_8equal_toIiEEiEE10hipError_tPvRmT2_T3_T4_T5_mT6_T7_P12ihipStream_tbENKUlT_T0_E_clISt17integral_constantIbLb0EESZ_EEDaSU_SV_EUlSU_E_NS1_11comp_targetILNS1_3genE3ELNS1_11target_archE908ELNS1_3gpuE7ELNS1_3repE0EEENS1_30default_config_static_selectorELNS0_4arch9wavefront6targetE0EEEvT1_.num_agpr, 0
	.set _ZN7rocprim17ROCPRIM_400000_NS6detail17trampoline_kernelINS0_14default_configENS1_27scan_by_key_config_selectorIiiEEZZNS1_16scan_by_key_implILNS1_25lookback_scan_determinismE0ELb1ES3_N6thrust23THRUST_200600_302600_NS6detail15normal_iteratorINS9_10device_ptrIiEEEESE_SE_iNS9_4plusIvEENS9_8equal_toIiEEiEE10hipError_tPvRmT2_T3_T4_T5_mT6_T7_P12ihipStream_tbENKUlT_T0_E_clISt17integral_constantIbLb0EESZ_EEDaSU_SV_EUlSU_E_NS1_11comp_targetILNS1_3genE3ELNS1_11target_archE908ELNS1_3gpuE7ELNS1_3repE0EEENS1_30default_config_static_selectorELNS0_4arch9wavefront6targetE0EEEvT1_.numbered_sgpr, 0
	.set _ZN7rocprim17ROCPRIM_400000_NS6detail17trampoline_kernelINS0_14default_configENS1_27scan_by_key_config_selectorIiiEEZZNS1_16scan_by_key_implILNS1_25lookback_scan_determinismE0ELb1ES3_N6thrust23THRUST_200600_302600_NS6detail15normal_iteratorINS9_10device_ptrIiEEEESE_SE_iNS9_4plusIvEENS9_8equal_toIiEEiEE10hipError_tPvRmT2_T3_T4_T5_mT6_T7_P12ihipStream_tbENKUlT_T0_E_clISt17integral_constantIbLb0EESZ_EEDaSU_SV_EUlSU_E_NS1_11comp_targetILNS1_3genE3ELNS1_11target_archE908ELNS1_3gpuE7ELNS1_3repE0EEENS1_30default_config_static_selectorELNS0_4arch9wavefront6targetE0EEEvT1_.num_named_barrier, 0
	.set _ZN7rocprim17ROCPRIM_400000_NS6detail17trampoline_kernelINS0_14default_configENS1_27scan_by_key_config_selectorIiiEEZZNS1_16scan_by_key_implILNS1_25lookback_scan_determinismE0ELb1ES3_N6thrust23THRUST_200600_302600_NS6detail15normal_iteratorINS9_10device_ptrIiEEEESE_SE_iNS9_4plusIvEENS9_8equal_toIiEEiEE10hipError_tPvRmT2_T3_T4_T5_mT6_T7_P12ihipStream_tbENKUlT_T0_E_clISt17integral_constantIbLb0EESZ_EEDaSU_SV_EUlSU_E_NS1_11comp_targetILNS1_3genE3ELNS1_11target_archE908ELNS1_3gpuE7ELNS1_3repE0EEENS1_30default_config_static_selectorELNS0_4arch9wavefront6targetE0EEEvT1_.private_seg_size, 0
	.set _ZN7rocprim17ROCPRIM_400000_NS6detail17trampoline_kernelINS0_14default_configENS1_27scan_by_key_config_selectorIiiEEZZNS1_16scan_by_key_implILNS1_25lookback_scan_determinismE0ELb1ES3_N6thrust23THRUST_200600_302600_NS6detail15normal_iteratorINS9_10device_ptrIiEEEESE_SE_iNS9_4plusIvEENS9_8equal_toIiEEiEE10hipError_tPvRmT2_T3_T4_T5_mT6_T7_P12ihipStream_tbENKUlT_T0_E_clISt17integral_constantIbLb0EESZ_EEDaSU_SV_EUlSU_E_NS1_11comp_targetILNS1_3genE3ELNS1_11target_archE908ELNS1_3gpuE7ELNS1_3repE0EEENS1_30default_config_static_selectorELNS0_4arch9wavefront6targetE0EEEvT1_.uses_vcc, 0
	.set _ZN7rocprim17ROCPRIM_400000_NS6detail17trampoline_kernelINS0_14default_configENS1_27scan_by_key_config_selectorIiiEEZZNS1_16scan_by_key_implILNS1_25lookback_scan_determinismE0ELb1ES3_N6thrust23THRUST_200600_302600_NS6detail15normal_iteratorINS9_10device_ptrIiEEEESE_SE_iNS9_4plusIvEENS9_8equal_toIiEEiEE10hipError_tPvRmT2_T3_T4_T5_mT6_T7_P12ihipStream_tbENKUlT_T0_E_clISt17integral_constantIbLb0EESZ_EEDaSU_SV_EUlSU_E_NS1_11comp_targetILNS1_3genE3ELNS1_11target_archE908ELNS1_3gpuE7ELNS1_3repE0EEENS1_30default_config_static_selectorELNS0_4arch9wavefront6targetE0EEEvT1_.uses_flat_scratch, 0
	.set _ZN7rocprim17ROCPRIM_400000_NS6detail17trampoline_kernelINS0_14default_configENS1_27scan_by_key_config_selectorIiiEEZZNS1_16scan_by_key_implILNS1_25lookback_scan_determinismE0ELb1ES3_N6thrust23THRUST_200600_302600_NS6detail15normal_iteratorINS9_10device_ptrIiEEEESE_SE_iNS9_4plusIvEENS9_8equal_toIiEEiEE10hipError_tPvRmT2_T3_T4_T5_mT6_T7_P12ihipStream_tbENKUlT_T0_E_clISt17integral_constantIbLb0EESZ_EEDaSU_SV_EUlSU_E_NS1_11comp_targetILNS1_3genE3ELNS1_11target_archE908ELNS1_3gpuE7ELNS1_3repE0EEENS1_30default_config_static_selectorELNS0_4arch9wavefront6targetE0EEEvT1_.has_dyn_sized_stack, 0
	.set _ZN7rocprim17ROCPRIM_400000_NS6detail17trampoline_kernelINS0_14default_configENS1_27scan_by_key_config_selectorIiiEEZZNS1_16scan_by_key_implILNS1_25lookback_scan_determinismE0ELb1ES3_N6thrust23THRUST_200600_302600_NS6detail15normal_iteratorINS9_10device_ptrIiEEEESE_SE_iNS9_4plusIvEENS9_8equal_toIiEEiEE10hipError_tPvRmT2_T3_T4_T5_mT6_T7_P12ihipStream_tbENKUlT_T0_E_clISt17integral_constantIbLb0EESZ_EEDaSU_SV_EUlSU_E_NS1_11comp_targetILNS1_3genE3ELNS1_11target_archE908ELNS1_3gpuE7ELNS1_3repE0EEENS1_30default_config_static_selectorELNS0_4arch9wavefront6targetE0EEEvT1_.has_recursion, 0
	.set _ZN7rocprim17ROCPRIM_400000_NS6detail17trampoline_kernelINS0_14default_configENS1_27scan_by_key_config_selectorIiiEEZZNS1_16scan_by_key_implILNS1_25lookback_scan_determinismE0ELb1ES3_N6thrust23THRUST_200600_302600_NS6detail15normal_iteratorINS9_10device_ptrIiEEEESE_SE_iNS9_4plusIvEENS9_8equal_toIiEEiEE10hipError_tPvRmT2_T3_T4_T5_mT6_T7_P12ihipStream_tbENKUlT_T0_E_clISt17integral_constantIbLb0EESZ_EEDaSU_SV_EUlSU_E_NS1_11comp_targetILNS1_3genE3ELNS1_11target_archE908ELNS1_3gpuE7ELNS1_3repE0EEENS1_30default_config_static_selectorELNS0_4arch9wavefront6targetE0EEEvT1_.has_indirect_call, 0
	.section	.AMDGPU.csdata,"",@progbits
; Kernel info:
; codeLenInByte = 0
; TotalNumSgprs: 0
; NumVgprs: 0
; ScratchSize: 0
; MemoryBound: 0
; FloatMode: 240
; IeeeMode: 1
; LDSByteSize: 0 bytes/workgroup (compile time only)
; SGPRBlocks: 0
; VGPRBlocks: 0
; NumSGPRsForWavesPerEU: 1
; NumVGPRsForWavesPerEU: 1
; Occupancy: 16
; WaveLimiterHint : 0
; COMPUTE_PGM_RSRC2:SCRATCH_EN: 0
; COMPUTE_PGM_RSRC2:USER_SGPR: 6
; COMPUTE_PGM_RSRC2:TRAP_HANDLER: 0
; COMPUTE_PGM_RSRC2:TGID_X_EN: 1
; COMPUTE_PGM_RSRC2:TGID_Y_EN: 0
; COMPUTE_PGM_RSRC2:TGID_Z_EN: 0
; COMPUTE_PGM_RSRC2:TIDIG_COMP_CNT: 0
	.section	.text._ZN7rocprim17ROCPRIM_400000_NS6detail17trampoline_kernelINS0_14default_configENS1_27scan_by_key_config_selectorIiiEEZZNS1_16scan_by_key_implILNS1_25lookback_scan_determinismE0ELb1ES3_N6thrust23THRUST_200600_302600_NS6detail15normal_iteratorINS9_10device_ptrIiEEEESE_SE_iNS9_4plusIvEENS9_8equal_toIiEEiEE10hipError_tPvRmT2_T3_T4_T5_mT6_T7_P12ihipStream_tbENKUlT_T0_E_clISt17integral_constantIbLb0EESZ_EEDaSU_SV_EUlSU_E_NS1_11comp_targetILNS1_3genE2ELNS1_11target_archE906ELNS1_3gpuE6ELNS1_3repE0EEENS1_30default_config_static_selectorELNS0_4arch9wavefront6targetE0EEEvT1_,"axG",@progbits,_ZN7rocprim17ROCPRIM_400000_NS6detail17trampoline_kernelINS0_14default_configENS1_27scan_by_key_config_selectorIiiEEZZNS1_16scan_by_key_implILNS1_25lookback_scan_determinismE0ELb1ES3_N6thrust23THRUST_200600_302600_NS6detail15normal_iteratorINS9_10device_ptrIiEEEESE_SE_iNS9_4plusIvEENS9_8equal_toIiEEiEE10hipError_tPvRmT2_T3_T4_T5_mT6_T7_P12ihipStream_tbENKUlT_T0_E_clISt17integral_constantIbLb0EESZ_EEDaSU_SV_EUlSU_E_NS1_11comp_targetILNS1_3genE2ELNS1_11target_archE906ELNS1_3gpuE6ELNS1_3repE0EEENS1_30default_config_static_selectorELNS0_4arch9wavefront6targetE0EEEvT1_,comdat
	.protected	_ZN7rocprim17ROCPRIM_400000_NS6detail17trampoline_kernelINS0_14default_configENS1_27scan_by_key_config_selectorIiiEEZZNS1_16scan_by_key_implILNS1_25lookback_scan_determinismE0ELb1ES3_N6thrust23THRUST_200600_302600_NS6detail15normal_iteratorINS9_10device_ptrIiEEEESE_SE_iNS9_4plusIvEENS9_8equal_toIiEEiEE10hipError_tPvRmT2_T3_T4_T5_mT6_T7_P12ihipStream_tbENKUlT_T0_E_clISt17integral_constantIbLb0EESZ_EEDaSU_SV_EUlSU_E_NS1_11comp_targetILNS1_3genE2ELNS1_11target_archE906ELNS1_3gpuE6ELNS1_3repE0EEENS1_30default_config_static_selectorELNS0_4arch9wavefront6targetE0EEEvT1_ ; -- Begin function _ZN7rocprim17ROCPRIM_400000_NS6detail17trampoline_kernelINS0_14default_configENS1_27scan_by_key_config_selectorIiiEEZZNS1_16scan_by_key_implILNS1_25lookback_scan_determinismE0ELb1ES3_N6thrust23THRUST_200600_302600_NS6detail15normal_iteratorINS9_10device_ptrIiEEEESE_SE_iNS9_4plusIvEENS9_8equal_toIiEEiEE10hipError_tPvRmT2_T3_T4_T5_mT6_T7_P12ihipStream_tbENKUlT_T0_E_clISt17integral_constantIbLb0EESZ_EEDaSU_SV_EUlSU_E_NS1_11comp_targetILNS1_3genE2ELNS1_11target_archE906ELNS1_3gpuE6ELNS1_3repE0EEENS1_30default_config_static_selectorELNS0_4arch9wavefront6targetE0EEEvT1_
	.globl	_ZN7rocprim17ROCPRIM_400000_NS6detail17trampoline_kernelINS0_14default_configENS1_27scan_by_key_config_selectorIiiEEZZNS1_16scan_by_key_implILNS1_25lookback_scan_determinismE0ELb1ES3_N6thrust23THRUST_200600_302600_NS6detail15normal_iteratorINS9_10device_ptrIiEEEESE_SE_iNS9_4plusIvEENS9_8equal_toIiEEiEE10hipError_tPvRmT2_T3_T4_T5_mT6_T7_P12ihipStream_tbENKUlT_T0_E_clISt17integral_constantIbLb0EESZ_EEDaSU_SV_EUlSU_E_NS1_11comp_targetILNS1_3genE2ELNS1_11target_archE906ELNS1_3gpuE6ELNS1_3repE0EEENS1_30default_config_static_selectorELNS0_4arch9wavefront6targetE0EEEvT1_
	.p2align	8
	.type	_ZN7rocprim17ROCPRIM_400000_NS6detail17trampoline_kernelINS0_14default_configENS1_27scan_by_key_config_selectorIiiEEZZNS1_16scan_by_key_implILNS1_25lookback_scan_determinismE0ELb1ES3_N6thrust23THRUST_200600_302600_NS6detail15normal_iteratorINS9_10device_ptrIiEEEESE_SE_iNS9_4plusIvEENS9_8equal_toIiEEiEE10hipError_tPvRmT2_T3_T4_T5_mT6_T7_P12ihipStream_tbENKUlT_T0_E_clISt17integral_constantIbLb0EESZ_EEDaSU_SV_EUlSU_E_NS1_11comp_targetILNS1_3genE2ELNS1_11target_archE906ELNS1_3gpuE6ELNS1_3repE0EEENS1_30default_config_static_selectorELNS0_4arch9wavefront6targetE0EEEvT1_,@function
_ZN7rocprim17ROCPRIM_400000_NS6detail17trampoline_kernelINS0_14default_configENS1_27scan_by_key_config_selectorIiiEEZZNS1_16scan_by_key_implILNS1_25lookback_scan_determinismE0ELb1ES3_N6thrust23THRUST_200600_302600_NS6detail15normal_iteratorINS9_10device_ptrIiEEEESE_SE_iNS9_4plusIvEENS9_8equal_toIiEEiEE10hipError_tPvRmT2_T3_T4_T5_mT6_T7_P12ihipStream_tbENKUlT_T0_E_clISt17integral_constantIbLb0EESZ_EEDaSU_SV_EUlSU_E_NS1_11comp_targetILNS1_3genE2ELNS1_11target_archE906ELNS1_3gpuE6ELNS1_3repE0EEENS1_30default_config_static_selectorELNS0_4arch9wavefront6targetE0EEEvT1_: ; @_ZN7rocprim17ROCPRIM_400000_NS6detail17trampoline_kernelINS0_14default_configENS1_27scan_by_key_config_selectorIiiEEZZNS1_16scan_by_key_implILNS1_25lookback_scan_determinismE0ELb1ES3_N6thrust23THRUST_200600_302600_NS6detail15normal_iteratorINS9_10device_ptrIiEEEESE_SE_iNS9_4plusIvEENS9_8equal_toIiEEiEE10hipError_tPvRmT2_T3_T4_T5_mT6_T7_P12ihipStream_tbENKUlT_T0_E_clISt17integral_constantIbLb0EESZ_EEDaSU_SV_EUlSU_E_NS1_11comp_targetILNS1_3genE2ELNS1_11target_archE906ELNS1_3gpuE6ELNS1_3repE0EEENS1_30default_config_static_selectorELNS0_4arch9wavefront6targetE0EEEvT1_
; %bb.0:
	.section	.rodata,"a",@progbits
	.p2align	6, 0x0
	.amdhsa_kernel _ZN7rocprim17ROCPRIM_400000_NS6detail17trampoline_kernelINS0_14default_configENS1_27scan_by_key_config_selectorIiiEEZZNS1_16scan_by_key_implILNS1_25lookback_scan_determinismE0ELb1ES3_N6thrust23THRUST_200600_302600_NS6detail15normal_iteratorINS9_10device_ptrIiEEEESE_SE_iNS9_4plusIvEENS9_8equal_toIiEEiEE10hipError_tPvRmT2_T3_T4_T5_mT6_T7_P12ihipStream_tbENKUlT_T0_E_clISt17integral_constantIbLb0EESZ_EEDaSU_SV_EUlSU_E_NS1_11comp_targetILNS1_3genE2ELNS1_11target_archE906ELNS1_3gpuE6ELNS1_3repE0EEENS1_30default_config_static_selectorELNS0_4arch9wavefront6targetE0EEEvT1_
		.amdhsa_group_segment_fixed_size 0
		.amdhsa_private_segment_fixed_size 0
		.amdhsa_kernarg_size 112
		.amdhsa_user_sgpr_count 6
		.amdhsa_user_sgpr_private_segment_buffer 1
		.amdhsa_user_sgpr_dispatch_ptr 0
		.amdhsa_user_sgpr_queue_ptr 0
		.amdhsa_user_sgpr_kernarg_segment_ptr 1
		.amdhsa_user_sgpr_dispatch_id 0
		.amdhsa_user_sgpr_flat_scratch_init 0
		.amdhsa_user_sgpr_private_segment_size 0
		.amdhsa_wavefront_size32 1
		.amdhsa_uses_dynamic_stack 0
		.amdhsa_system_sgpr_private_segment_wavefront_offset 0
		.amdhsa_system_sgpr_workgroup_id_x 1
		.amdhsa_system_sgpr_workgroup_id_y 0
		.amdhsa_system_sgpr_workgroup_id_z 0
		.amdhsa_system_sgpr_workgroup_info 0
		.amdhsa_system_vgpr_workitem_id 0
		.amdhsa_next_free_vgpr 1
		.amdhsa_next_free_sgpr 1
		.amdhsa_reserve_vcc 0
		.amdhsa_reserve_flat_scratch 0
		.amdhsa_float_round_mode_32 0
		.amdhsa_float_round_mode_16_64 0
		.amdhsa_float_denorm_mode_32 3
		.amdhsa_float_denorm_mode_16_64 3
		.amdhsa_dx10_clamp 1
		.amdhsa_ieee_mode 1
		.amdhsa_fp16_overflow 0
		.amdhsa_workgroup_processor_mode 1
		.amdhsa_memory_ordered 1
		.amdhsa_forward_progress 1
		.amdhsa_shared_vgpr_count 0
		.amdhsa_exception_fp_ieee_invalid_op 0
		.amdhsa_exception_fp_denorm_src 0
		.amdhsa_exception_fp_ieee_div_zero 0
		.amdhsa_exception_fp_ieee_overflow 0
		.amdhsa_exception_fp_ieee_underflow 0
		.amdhsa_exception_fp_ieee_inexact 0
		.amdhsa_exception_int_div_zero 0
	.end_amdhsa_kernel
	.section	.text._ZN7rocprim17ROCPRIM_400000_NS6detail17trampoline_kernelINS0_14default_configENS1_27scan_by_key_config_selectorIiiEEZZNS1_16scan_by_key_implILNS1_25lookback_scan_determinismE0ELb1ES3_N6thrust23THRUST_200600_302600_NS6detail15normal_iteratorINS9_10device_ptrIiEEEESE_SE_iNS9_4plusIvEENS9_8equal_toIiEEiEE10hipError_tPvRmT2_T3_T4_T5_mT6_T7_P12ihipStream_tbENKUlT_T0_E_clISt17integral_constantIbLb0EESZ_EEDaSU_SV_EUlSU_E_NS1_11comp_targetILNS1_3genE2ELNS1_11target_archE906ELNS1_3gpuE6ELNS1_3repE0EEENS1_30default_config_static_selectorELNS0_4arch9wavefront6targetE0EEEvT1_,"axG",@progbits,_ZN7rocprim17ROCPRIM_400000_NS6detail17trampoline_kernelINS0_14default_configENS1_27scan_by_key_config_selectorIiiEEZZNS1_16scan_by_key_implILNS1_25lookback_scan_determinismE0ELb1ES3_N6thrust23THRUST_200600_302600_NS6detail15normal_iteratorINS9_10device_ptrIiEEEESE_SE_iNS9_4plusIvEENS9_8equal_toIiEEiEE10hipError_tPvRmT2_T3_T4_T5_mT6_T7_P12ihipStream_tbENKUlT_T0_E_clISt17integral_constantIbLb0EESZ_EEDaSU_SV_EUlSU_E_NS1_11comp_targetILNS1_3genE2ELNS1_11target_archE906ELNS1_3gpuE6ELNS1_3repE0EEENS1_30default_config_static_selectorELNS0_4arch9wavefront6targetE0EEEvT1_,comdat
.Lfunc_end538:
	.size	_ZN7rocprim17ROCPRIM_400000_NS6detail17trampoline_kernelINS0_14default_configENS1_27scan_by_key_config_selectorIiiEEZZNS1_16scan_by_key_implILNS1_25lookback_scan_determinismE0ELb1ES3_N6thrust23THRUST_200600_302600_NS6detail15normal_iteratorINS9_10device_ptrIiEEEESE_SE_iNS9_4plusIvEENS9_8equal_toIiEEiEE10hipError_tPvRmT2_T3_T4_T5_mT6_T7_P12ihipStream_tbENKUlT_T0_E_clISt17integral_constantIbLb0EESZ_EEDaSU_SV_EUlSU_E_NS1_11comp_targetILNS1_3genE2ELNS1_11target_archE906ELNS1_3gpuE6ELNS1_3repE0EEENS1_30default_config_static_selectorELNS0_4arch9wavefront6targetE0EEEvT1_, .Lfunc_end538-_ZN7rocprim17ROCPRIM_400000_NS6detail17trampoline_kernelINS0_14default_configENS1_27scan_by_key_config_selectorIiiEEZZNS1_16scan_by_key_implILNS1_25lookback_scan_determinismE0ELb1ES3_N6thrust23THRUST_200600_302600_NS6detail15normal_iteratorINS9_10device_ptrIiEEEESE_SE_iNS9_4plusIvEENS9_8equal_toIiEEiEE10hipError_tPvRmT2_T3_T4_T5_mT6_T7_P12ihipStream_tbENKUlT_T0_E_clISt17integral_constantIbLb0EESZ_EEDaSU_SV_EUlSU_E_NS1_11comp_targetILNS1_3genE2ELNS1_11target_archE906ELNS1_3gpuE6ELNS1_3repE0EEENS1_30default_config_static_selectorELNS0_4arch9wavefront6targetE0EEEvT1_
                                        ; -- End function
	.set _ZN7rocprim17ROCPRIM_400000_NS6detail17trampoline_kernelINS0_14default_configENS1_27scan_by_key_config_selectorIiiEEZZNS1_16scan_by_key_implILNS1_25lookback_scan_determinismE0ELb1ES3_N6thrust23THRUST_200600_302600_NS6detail15normal_iteratorINS9_10device_ptrIiEEEESE_SE_iNS9_4plusIvEENS9_8equal_toIiEEiEE10hipError_tPvRmT2_T3_T4_T5_mT6_T7_P12ihipStream_tbENKUlT_T0_E_clISt17integral_constantIbLb0EESZ_EEDaSU_SV_EUlSU_E_NS1_11comp_targetILNS1_3genE2ELNS1_11target_archE906ELNS1_3gpuE6ELNS1_3repE0EEENS1_30default_config_static_selectorELNS0_4arch9wavefront6targetE0EEEvT1_.num_vgpr, 0
	.set _ZN7rocprim17ROCPRIM_400000_NS6detail17trampoline_kernelINS0_14default_configENS1_27scan_by_key_config_selectorIiiEEZZNS1_16scan_by_key_implILNS1_25lookback_scan_determinismE0ELb1ES3_N6thrust23THRUST_200600_302600_NS6detail15normal_iteratorINS9_10device_ptrIiEEEESE_SE_iNS9_4plusIvEENS9_8equal_toIiEEiEE10hipError_tPvRmT2_T3_T4_T5_mT6_T7_P12ihipStream_tbENKUlT_T0_E_clISt17integral_constantIbLb0EESZ_EEDaSU_SV_EUlSU_E_NS1_11comp_targetILNS1_3genE2ELNS1_11target_archE906ELNS1_3gpuE6ELNS1_3repE0EEENS1_30default_config_static_selectorELNS0_4arch9wavefront6targetE0EEEvT1_.num_agpr, 0
	.set _ZN7rocprim17ROCPRIM_400000_NS6detail17trampoline_kernelINS0_14default_configENS1_27scan_by_key_config_selectorIiiEEZZNS1_16scan_by_key_implILNS1_25lookback_scan_determinismE0ELb1ES3_N6thrust23THRUST_200600_302600_NS6detail15normal_iteratorINS9_10device_ptrIiEEEESE_SE_iNS9_4plusIvEENS9_8equal_toIiEEiEE10hipError_tPvRmT2_T3_T4_T5_mT6_T7_P12ihipStream_tbENKUlT_T0_E_clISt17integral_constantIbLb0EESZ_EEDaSU_SV_EUlSU_E_NS1_11comp_targetILNS1_3genE2ELNS1_11target_archE906ELNS1_3gpuE6ELNS1_3repE0EEENS1_30default_config_static_selectorELNS0_4arch9wavefront6targetE0EEEvT1_.numbered_sgpr, 0
	.set _ZN7rocprim17ROCPRIM_400000_NS6detail17trampoline_kernelINS0_14default_configENS1_27scan_by_key_config_selectorIiiEEZZNS1_16scan_by_key_implILNS1_25lookback_scan_determinismE0ELb1ES3_N6thrust23THRUST_200600_302600_NS6detail15normal_iteratorINS9_10device_ptrIiEEEESE_SE_iNS9_4plusIvEENS9_8equal_toIiEEiEE10hipError_tPvRmT2_T3_T4_T5_mT6_T7_P12ihipStream_tbENKUlT_T0_E_clISt17integral_constantIbLb0EESZ_EEDaSU_SV_EUlSU_E_NS1_11comp_targetILNS1_3genE2ELNS1_11target_archE906ELNS1_3gpuE6ELNS1_3repE0EEENS1_30default_config_static_selectorELNS0_4arch9wavefront6targetE0EEEvT1_.num_named_barrier, 0
	.set _ZN7rocprim17ROCPRIM_400000_NS6detail17trampoline_kernelINS0_14default_configENS1_27scan_by_key_config_selectorIiiEEZZNS1_16scan_by_key_implILNS1_25lookback_scan_determinismE0ELb1ES3_N6thrust23THRUST_200600_302600_NS6detail15normal_iteratorINS9_10device_ptrIiEEEESE_SE_iNS9_4plusIvEENS9_8equal_toIiEEiEE10hipError_tPvRmT2_T3_T4_T5_mT6_T7_P12ihipStream_tbENKUlT_T0_E_clISt17integral_constantIbLb0EESZ_EEDaSU_SV_EUlSU_E_NS1_11comp_targetILNS1_3genE2ELNS1_11target_archE906ELNS1_3gpuE6ELNS1_3repE0EEENS1_30default_config_static_selectorELNS0_4arch9wavefront6targetE0EEEvT1_.private_seg_size, 0
	.set _ZN7rocprim17ROCPRIM_400000_NS6detail17trampoline_kernelINS0_14default_configENS1_27scan_by_key_config_selectorIiiEEZZNS1_16scan_by_key_implILNS1_25lookback_scan_determinismE0ELb1ES3_N6thrust23THRUST_200600_302600_NS6detail15normal_iteratorINS9_10device_ptrIiEEEESE_SE_iNS9_4plusIvEENS9_8equal_toIiEEiEE10hipError_tPvRmT2_T3_T4_T5_mT6_T7_P12ihipStream_tbENKUlT_T0_E_clISt17integral_constantIbLb0EESZ_EEDaSU_SV_EUlSU_E_NS1_11comp_targetILNS1_3genE2ELNS1_11target_archE906ELNS1_3gpuE6ELNS1_3repE0EEENS1_30default_config_static_selectorELNS0_4arch9wavefront6targetE0EEEvT1_.uses_vcc, 0
	.set _ZN7rocprim17ROCPRIM_400000_NS6detail17trampoline_kernelINS0_14default_configENS1_27scan_by_key_config_selectorIiiEEZZNS1_16scan_by_key_implILNS1_25lookback_scan_determinismE0ELb1ES3_N6thrust23THRUST_200600_302600_NS6detail15normal_iteratorINS9_10device_ptrIiEEEESE_SE_iNS9_4plusIvEENS9_8equal_toIiEEiEE10hipError_tPvRmT2_T3_T4_T5_mT6_T7_P12ihipStream_tbENKUlT_T0_E_clISt17integral_constantIbLb0EESZ_EEDaSU_SV_EUlSU_E_NS1_11comp_targetILNS1_3genE2ELNS1_11target_archE906ELNS1_3gpuE6ELNS1_3repE0EEENS1_30default_config_static_selectorELNS0_4arch9wavefront6targetE0EEEvT1_.uses_flat_scratch, 0
	.set _ZN7rocprim17ROCPRIM_400000_NS6detail17trampoline_kernelINS0_14default_configENS1_27scan_by_key_config_selectorIiiEEZZNS1_16scan_by_key_implILNS1_25lookback_scan_determinismE0ELb1ES3_N6thrust23THRUST_200600_302600_NS6detail15normal_iteratorINS9_10device_ptrIiEEEESE_SE_iNS9_4plusIvEENS9_8equal_toIiEEiEE10hipError_tPvRmT2_T3_T4_T5_mT6_T7_P12ihipStream_tbENKUlT_T0_E_clISt17integral_constantIbLb0EESZ_EEDaSU_SV_EUlSU_E_NS1_11comp_targetILNS1_3genE2ELNS1_11target_archE906ELNS1_3gpuE6ELNS1_3repE0EEENS1_30default_config_static_selectorELNS0_4arch9wavefront6targetE0EEEvT1_.has_dyn_sized_stack, 0
	.set _ZN7rocprim17ROCPRIM_400000_NS6detail17trampoline_kernelINS0_14default_configENS1_27scan_by_key_config_selectorIiiEEZZNS1_16scan_by_key_implILNS1_25lookback_scan_determinismE0ELb1ES3_N6thrust23THRUST_200600_302600_NS6detail15normal_iteratorINS9_10device_ptrIiEEEESE_SE_iNS9_4plusIvEENS9_8equal_toIiEEiEE10hipError_tPvRmT2_T3_T4_T5_mT6_T7_P12ihipStream_tbENKUlT_T0_E_clISt17integral_constantIbLb0EESZ_EEDaSU_SV_EUlSU_E_NS1_11comp_targetILNS1_3genE2ELNS1_11target_archE906ELNS1_3gpuE6ELNS1_3repE0EEENS1_30default_config_static_selectorELNS0_4arch9wavefront6targetE0EEEvT1_.has_recursion, 0
	.set _ZN7rocprim17ROCPRIM_400000_NS6detail17trampoline_kernelINS0_14default_configENS1_27scan_by_key_config_selectorIiiEEZZNS1_16scan_by_key_implILNS1_25lookback_scan_determinismE0ELb1ES3_N6thrust23THRUST_200600_302600_NS6detail15normal_iteratorINS9_10device_ptrIiEEEESE_SE_iNS9_4plusIvEENS9_8equal_toIiEEiEE10hipError_tPvRmT2_T3_T4_T5_mT6_T7_P12ihipStream_tbENKUlT_T0_E_clISt17integral_constantIbLb0EESZ_EEDaSU_SV_EUlSU_E_NS1_11comp_targetILNS1_3genE2ELNS1_11target_archE906ELNS1_3gpuE6ELNS1_3repE0EEENS1_30default_config_static_selectorELNS0_4arch9wavefront6targetE0EEEvT1_.has_indirect_call, 0
	.section	.AMDGPU.csdata,"",@progbits
; Kernel info:
; codeLenInByte = 0
; TotalNumSgprs: 0
; NumVgprs: 0
; ScratchSize: 0
; MemoryBound: 0
; FloatMode: 240
; IeeeMode: 1
; LDSByteSize: 0 bytes/workgroup (compile time only)
; SGPRBlocks: 0
; VGPRBlocks: 0
; NumSGPRsForWavesPerEU: 1
; NumVGPRsForWavesPerEU: 1
; Occupancy: 16
; WaveLimiterHint : 0
; COMPUTE_PGM_RSRC2:SCRATCH_EN: 0
; COMPUTE_PGM_RSRC2:USER_SGPR: 6
; COMPUTE_PGM_RSRC2:TRAP_HANDLER: 0
; COMPUTE_PGM_RSRC2:TGID_X_EN: 1
; COMPUTE_PGM_RSRC2:TGID_Y_EN: 0
; COMPUTE_PGM_RSRC2:TGID_Z_EN: 0
; COMPUTE_PGM_RSRC2:TIDIG_COMP_CNT: 0
	.section	.text._ZN7rocprim17ROCPRIM_400000_NS6detail17trampoline_kernelINS0_14default_configENS1_27scan_by_key_config_selectorIiiEEZZNS1_16scan_by_key_implILNS1_25lookback_scan_determinismE0ELb1ES3_N6thrust23THRUST_200600_302600_NS6detail15normal_iteratorINS9_10device_ptrIiEEEESE_SE_iNS9_4plusIvEENS9_8equal_toIiEEiEE10hipError_tPvRmT2_T3_T4_T5_mT6_T7_P12ihipStream_tbENKUlT_T0_E_clISt17integral_constantIbLb0EESZ_EEDaSU_SV_EUlSU_E_NS1_11comp_targetILNS1_3genE10ELNS1_11target_archE1200ELNS1_3gpuE4ELNS1_3repE0EEENS1_30default_config_static_selectorELNS0_4arch9wavefront6targetE0EEEvT1_,"axG",@progbits,_ZN7rocprim17ROCPRIM_400000_NS6detail17trampoline_kernelINS0_14default_configENS1_27scan_by_key_config_selectorIiiEEZZNS1_16scan_by_key_implILNS1_25lookback_scan_determinismE0ELb1ES3_N6thrust23THRUST_200600_302600_NS6detail15normal_iteratorINS9_10device_ptrIiEEEESE_SE_iNS9_4plusIvEENS9_8equal_toIiEEiEE10hipError_tPvRmT2_T3_T4_T5_mT6_T7_P12ihipStream_tbENKUlT_T0_E_clISt17integral_constantIbLb0EESZ_EEDaSU_SV_EUlSU_E_NS1_11comp_targetILNS1_3genE10ELNS1_11target_archE1200ELNS1_3gpuE4ELNS1_3repE0EEENS1_30default_config_static_selectorELNS0_4arch9wavefront6targetE0EEEvT1_,comdat
	.protected	_ZN7rocprim17ROCPRIM_400000_NS6detail17trampoline_kernelINS0_14default_configENS1_27scan_by_key_config_selectorIiiEEZZNS1_16scan_by_key_implILNS1_25lookback_scan_determinismE0ELb1ES3_N6thrust23THRUST_200600_302600_NS6detail15normal_iteratorINS9_10device_ptrIiEEEESE_SE_iNS9_4plusIvEENS9_8equal_toIiEEiEE10hipError_tPvRmT2_T3_T4_T5_mT6_T7_P12ihipStream_tbENKUlT_T0_E_clISt17integral_constantIbLb0EESZ_EEDaSU_SV_EUlSU_E_NS1_11comp_targetILNS1_3genE10ELNS1_11target_archE1200ELNS1_3gpuE4ELNS1_3repE0EEENS1_30default_config_static_selectorELNS0_4arch9wavefront6targetE0EEEvT1_ ; -- Begin function _ZN7rocprim17ROCPRIM_400000_NS6detail17trampoline_kernelINS0_14default_configENS1_27scan_by_key_config_selectorIiiEEZZNS1_16scan_by_key_implILNS1_25lookback_scan_determinismE0ELb1ES3_N6thrust23THRUST_200600_302600_NS6detail15normal_iteratorINS9_10device_ptrIiEEEESE_SE_iNS9_4plusIvEENS9_8equal_toIiEEiEE10hipError_tPvRmT2_T3_T4_T5_mT6_T7_P12ihipStream_tbENKUlT_T0_E_clISt17integral_constantIbLb0EESZ_EEDaSU_SV_EUlSU_E_NS1_11comp_targetILNS1_3genE10ELNS1_11target_archE1200ELNS1_3gpuE4ELNS1_3repE0EEENS1_30default_config_static_selectorELNS0_4arch9wavefront6targetE0EEEvT1_
	.globl	_ZN7rocprim17ROCPRIM_400000_NS6detail17trampoline_kernelINS0_14default_configENS1_27scan_by_key_config_selectorIiiEEZZNS1_16scan_by_key_implILNS1_25lookback_scan_determinismE0ELb1ES3_N6thrust23THRUST_200600_302600_NS6detail15normal_iteratorINS9_10device_ptrIiEEEESE_SE_iNS9_4plusIvEENS9_8equal_toIiEEiEE10hipError_tPvRmT2_T3_T4_T5_mT6_T7_P12ihipStream_tbENKUlT_T0_E_clISt17integral_constantIbLb0EESZ_EEDaSU_SV_EUlSU_E_NS1_11comp_targetILNS1_3genE10ELNS1_11target_archE1200ELNS1_3gpuE4ELNS1_3repE0EEENS1_30default_config_static_selectorELNS0_4arch9wavefront6targetE0EEEvT1_
	.p2align	8
	.type	_ZN7rocprim17ROCPRIM_400000_NS6detail17trampoline_kernelINS0_14default_configENS1_27scan_by_key_config_selectorIiiEEZZNS1_16scan_by_key_implILNS1_25lookback_scan_determinismE0ELb1ES3_N6thrust23THRUST_200600_302600_NS6detail15normal_iteratorINS9_10device_ptrIiEEEESE_SE_iNS9_4plusIvEENS9_8equal_toIiEEiEE10hipError_tPvRmT2_T3_T4_T5_mT6_T7_P12ihipStream_tbENKUlT_T0_E_clISt17integral_constantIbLb0EESZ_EEDaSU_SV_EUlSU_E_NS1_11comp_targetILNS1_3genE10ELNS1_11target_archE1200ELNS1_3gpuE4ELNS1_3repE0EEENS1_30default_config_static_selectorELNS0_4arch9wavefront6targetE0EEEvT1_,@function
_ZN7rocprim17ROCPRIM_400000_NS6detail17trampoline_kernelINS0_14default_configENS1_27scan_by_key_config_selectorIiiEEZZNS1_16scan_by_key_implILNS1_25lookback_scan_determinismE0ELb1ES3_N6thrust23THRUST_200600_302600_NS6detail15normal_iteratorINS9_10device_ptrIiEEEESE_SE_iNS9_4plusIvEENS9_8equal_toIiEEiEE10hipError_tPvRmT2_T3_T4_T5_mT6_T7_P12ihipStream_tbENKUlT_T0_E_clISt17integral_constantIbLb0EESZ_EEDaSU_SV_EUlSU_E_NS1_11comp_targetILNS1_3genE10ELNS1_11target_archE1200ELNS1_3gpuE4ELNS1_3repE0EEENS1_30default_config_static_selectorELNS0_4arch9wavefront6targetE0EEEvT1_: ; @_ZN7rocprim17ROCPRIM_400000_NS6detail17trampoline_kernelINS0_14default_configENS1_27scan_by_key_config_selectorIiiEEZZNS1_16scan_by_key_implILNS1_25lookback_scan_determinismE0ELb1ES3_N6thrust23THRUST_200600_302600_NS6detail15normal_iteratorINS9_10device_ptrIiEEEESE_SE_iNS9_4plusIvEENS9_8equal_toIiEEiEE10hipError_tPvRmT2_T3_T4_T5_mT6_T7_P12ihipStream_tbENKUlT_T0_E_clISt17integral_constantIbLb0EESZ_EEDaSU_SV_EUlSU_E_NS1_11comp_targetILNS1_3genE10ELNS1_11target_archE1200ELNS1_3gpuE4ELNS1_3repE0EEENS1_30default_config_static_selectorELNS0_4arch9wavefront6targetE0EEEvT1_
; %bb.0:
	.section	.rodata,"a",@progbits
	.p2align	6, 0x0
	.amdhsa_kernel _ZN7rocprim17ROCPRIM_400000_NS6detail17trampoline_kernelINS0_14default_configENS1_27scan_by_key_config_selectorIiiEEZZNS1_16scan_by_key_implILNS1_25lookback_scan_determinismE0ELb1ES3_N6thrust23THRUST_200600_302600_NS6detail15normal_iteratorINS9_10device_ptrIiEEEESE_SE_iNS9_4plusIvEENS9_8equal_toIiEEiEE10hipError_tPvRmT2_T3_T4_T5_mT6_T7_P12ihipStream_tbENKUlT_T0_E_clISt17integral_constantIbLb0EESZ_EEDaSU_SV_EUlSU_E_NS1_11comp_targetILNS1_3genE10ELNS1_11target_archE1200ELNS1_3gpuE4ELNS1_3repE0EEENS1_30default_config_static_selectorELNS0_4arch9wavefront6targetE0EEEvT1_
		.amdhsa_group_segment_fixed_size 0
		.amdhsa_private_segment_fixed_size 0
		.amdhsa_kernarg_size 112
		.amdhsa_user_sgpr_count 6
		.amdhsa_user_sgpr_private_segment_buffer 1
		.amdhsa_user_sgpr_dispatch_ptr 0
		.amdhsa_user_sgpr_queue_ptr 0
		.amdhsa_user_sgpr_kernarg_segment_ptr 1
		.amdhsa_user_sgpr_dispatch_id 0
		.amdhsa_user_sgpr_flat_scratch_init 0
		.amdhsa_user_sgpr_private_segment_size 0
		.amdhsa_wavefront_size32 1
		.amdhsa_uses_dynamic_stack 0
		.amdhsa_system_sgpr_private_segment_wavefront_offset 0
		.amdhsa_system_sgpr_workgroup_id_x 1
		.amdhsa_system_sgpr_workgroup_id_y 0
		.amdhsa_system_sgpr_workgroup_id_z 0
		.amdhsa_system_sgpr_workgroup_info 0
		.amdhsa_system_vgpr_workitem_id 0
		.amdhsa_next_free_vgpr 1
		.amdhsa_next_free_sgpr 1
		.amdhsa_reserve_vcc 0
		.amdhsa_reserve_flat_scratch 0
		.amdhsa_float_round_mode_32 0
		.amdhsa_float_round_mode_16_64 0
		.amdhsa_float_denorm_mode_32 3
		.amdhsa_float_denorm_mode_16_64 3
		.amdhsa_dx10_clamp 1
		.amdhsa_ieee_mode 1
		.amdhsa_fp16_overflow 0
		.amdhsa_workgroup_processor_mode 1
		.amdhsa_memory_ordered 1
		.amdhsa_forward_progress 1
		.amdhsa_shared_vgpr_count 0
		.amdhsa_exception_fp_ieee_invalid_op 0
		.amdhsa_exception_fp_denorm_src 0
		.amdhsa_exception_fp_ieee_div_zero 0
		.amdhsa_exception_fp_ieee_overflow 0
		.amdhsa_exception_fp_ieee_underflow 0
		.amdhsa_exception_fp_ieee_inexact 0
		.amdhsa_exception_int_div_zero 0
	.end_amdhsa_kernel
	.section	.text._ZN7rocprim17ROCPRIM_400000_NS6detail17trampoline_kernelINS0_14default_configENS1_27scan_by_key_config_selectorIiiEEZZNS1_16scan_by_key_implILNS1_25lookback_scan_determinismE0ELb1ES3_N6thrust23THRUST_200600_302600_NS6detail15normal_iteratorINS9_10device_ptrIiEEEESE_SE_iNS9_4plusIvEENS9_8equal_toIiEEiEE10hipError_tPvRmT2_T3_T4_T5_mT6_T7_P12ihipStream_tbENKUlT_T0_E_clISt17integral_constantIbLb0EESZ_EEDaSU_SV_EUlSU_E_NS1_11comp_targetILNS1_3genE10ELNS1_11target_archE1200ELNS1_3gpuE4ELNS1_3repE0EEENS1_30default_config_static_selectorELNS0_4arch9wavefront6targetE0EEEvT1_,"axG",@progbits,_ZN7rocprim17ROCPRIM_400000_NS6detail17trampoline_kernelINS0_14default_configENS1_27scan_by_key_config_selectorIiiEEZZNS1_16scan_by_key_implILNS1_25lookback_scan_determinismE0ELb1ES3_N6thrust23THRUST_200600_302600_NS6detail15normal_iteratorINS9_10device_ptrIiEEEESE_SE_iNS9_4plusIvEENS9_8equal_toIiEEiEE10hipError_tPvRmT2_T3_T4_T5_mT6_T7_P12ihipStream_tbENKUlT_T0_E_clISt17integral_constantIbLb0EESZ_EEDaSU_SV_EUlSU_E_NS1_11comp_targetILNS1_3genE10ELNS1_11target_archE1200ELNS1_3gpuE4ELNS1_3repE0EEENS1_30default_config_static_selectorELNS0_4arch9wavefront6targetE0EEEvT1_,comdat
.Lfunc_end539:
	.size	_ZN7rocprim17ROCPRIM_400000_NS6detail17trampoline_kernelINS0_14default_configENS1_27scan_by_key_config_selectorIiiEEZZNS1_16scan_by_key_implILNS1_25lookback_scan_determinismE0ELb1ES3_N6thrust23THRUST_200600_302600_NS6detail15normal_iteratorINS9_10device_ptrIiEEEESE_SE_iNS9_4plusIvEENS9_8equal_toIiEEiEE10hipError_tPvRmT2_T3_T4_T5_mT6_T7_P12ihipStream_tbENKUlT_T0_E_clISt17integral_constantIbLb0EESZ_EEDaSU_SV_EUlSU_E_NS1_11comp_targetILNS1_3genE10ELNS1_11target_archE1200ELNS1_3gpuE4ELNS1_3repE0EEENS1_30default_config_static_selectorELNS0_4arch9wavefront6targetE0EEEvT1_, .Lfunc_end539-_ZN7rocprim17ROCPRIM_400000_NS6detail17trampoline_kernelINS0_14default_configENS1_27scan_by_key_config_selectorIiiEEZZNS1_16scan_by_key_implILNS1_25lookback_scan_determinismE0ELb1ES3_N6thrust23THRUST_200600_302600_NS6detail15normal_iteratorINS9_10device_ptrIiEEEESE_SE_iNS9_4plusIvEENS9_8equal_toIiEEiEE10hipError_tPvRmT2_T3_T4_T5_mT6_T7_P12ihipStream_tbENKUlT_T0_E_clISt17integral_constantIbLb0EESZ_EEDaSU_SV_EUlSU_E_NS1_11comp_targetILNS1_3genE10ELNS1_11target_archE1200ELNS1_3gpuE4ELNS1_3repE0EEENS1_30default_config_static_selectorELNS0_4arch9wavefront6targetE0EEEvT1_
                                        ; -- End function
	.set _ZN7rocprim17ROCPRIM_400000_NS6detail17trampoline_kernelINS0_14default_configENS1_27scan_by_key_config_selectorIiiEEZZNS1_16scan_by_key_implILNS1_25lookback_scan_determinismE0ELb1ES3_N6thrust23THRUST_200600_302600_NS6detail15normal_iteratorINS9_10device_ptrIiEEEESE_SE_iNS9_4plusIvEENS9_8equal_toIiEEiEE10hipError_tPvRmT2_T3_T4_T5_mT6_T7_P12ihipStream_tbENKUlT_T0_E_clISt17integral_constantIbLb0EESZ_EEDaSU_SV_EUlSU_E_NS1_11comp_targetILNS1_3genE10ELNS1_11target_archE1200ELNS1_3gpuE4ELNS1_3repE0EEENS1_30default_config_static_selectorELNS0_4arch9wavefront6targetE0EEEvT1_.num_vgpr, 0
	.set _ZN7rocprim17ROCPRIM_400000_NS6detail17trampoline_kernelINS0_14default_configENS1_27scan_by_key_config_selectorIiiEEZZNS1_16scan_by_key_implILNS1_25lookback_scan_determinismE0ELb1ES3_N6thrust23THRUST_200600_302600_NS6detail15normal_iteratorINS9_10device_ptrIiEEEESE_SE_iNS9_4plusIvEENS9_8equal_toIiEEiEE10hipError_tPvRmT2_T3_T4_T5_mT6_T7_P12ihipStream_tbENKUlT_T0_E_clISt17integral_constantIbLb0EESZ_EEDaSU_SV_EUlSU_E_NS1_11comp_targetILNS1_3genE10ELNS1_11target_archE1200ELNS1_3gpuE4ELNS1_3repE0EEENS1_30default_config_static_selectorELNS0_4arch9wavefront6targetE0EEEvT1_.num_agpr, 0
	.set _ZN7rocprim17ROCPRIM_400000_NS6detail17trampoline_kernelINS0_14default_configENS1_27scan_by_key_config_selectorIiiEEZZNS1_16scan_by_key_implILNS1_25lookback_scan_determinismE0ELb1ES3_N6thrust23THRUST_200600_302600_NS6detail15normal_iteratorINS9_10device_ptrIiEEEESE_SE_iNS9_4plusIvEENS9_8equal_toIiEEiEE10hipError_tPvRmT2_T3_T4_T5_mT6_T7_P12ihipStream_tbENKUlT_T0_E_clISt17integral_constantIbLb0EESZ_EEDaSU_SV_EUlSU_E_NS1_11comp_targetILNS1_3genE10ELNS1_11target_archE1200ELNS1_3gpuE4ELNS1_3repE0EEENS1_30default_config_static_selectorELNS0_4arch9wavefront6targetE0EEEvT1_.numbered_sgpr, 0
	.set _ZN7rocprim17ROCPRIM_400000_NS6detail17trampoline_kernelINS0_14default_configENS1_27scan_by_key_config_selectorIiiEEZZNS1_16scan_by_key_implILNS1_25lookback_scan_determinismE0ELb1ES3_N6thrust23THRUST_200600_302600_NS6detail15normal_iteratorINS9_10device_ptrIiEEEESE_SE_iNS9_4plusIvEENS9_8equal_toIiEEiEE10hipError_tPvRmT2_T3_T4_T5_mT6_T7_P12ihipStream_tbENKUlT_T0_E_clISt17integral_constantIbLb0EESZ_EEDaSU_SV_EUlSU_E_NS1_11comp_targetILNS1_3genE10ELNS1_11target_archE1200ELNS1_3gpuE4ELNS1_3repE0EEENS1_30default_config_static_selectorELNS0_4arch9wavefront6targetE0EEEvT1_.num_named_barrier, 0
	.set _ZN7rocprim17ROCPRIM_400000_NS6detail17trampoline_kernelINS0_14default_configENS1_27scan_by_key_config_selectorIiiEEZZNS1_16scan_by_key_implILNS1_25lookback_scan_determinismE0ELb1ES3_N6thrust23THRUST_200600_302600_NS6detail15normal_iteratorINS9_10device_ptrIiEEEESE_SE_iNS9_4plusIvEENS9_8equal_toIiEEiEE10hipError_tPvRmT2_T3_T4_T5_mT6_T7_P12ihipStream_tbENKUlT_T0_E_clISt17integral_constantIbLb0EESZ_EEDaSU_SV_EUlSU_E_NS1_11comp_targetILNS1_3genE10ELNS1_11target_archE1200ELNS1_3gpuE4ELNS1_3repE0EEENS1_30default_config_static_selectorELNS0_4arch9wavefront6targetE0EEEvT1_.private_seg_size, 0
	.set _ZN7rocprim17ROCPRIM_400000_NS6detail17trampoline_kernelINS0_14default_configENS1_27scan_by_key_config_selectorIiiEEZZNS1_16scan_by_key_implILNS1_25lookback_scan_determinismE0ELb1ES3_N6thrust23THRUST_200600_302600_NS6detail15normal_iteratorINS9_10device_ptrIiEEEESE_SE_iNS9_4plusIvEENS9_8equal_toIiEEiEE10hipError_tPvRmT2_T3_T4_T5_mT6_T7_P12ihipStream_tbENKUlT_T0_E_clISt17integral_constantIbLb0EESZ_EEDaSU_SV_EUlSU_E_NS1_11comp_targetILNS1_3genE10ELNS1_11target_archE1200ELNS1_3gpuE4ELNS1_3repE0EEENS1_30default_config_static_selectorELNS0_4arch9wavefront6targetE0EEEvT1_.uses_vcc, 0
	.set _ZN7rocprim17ROCPRIM_400000_NS6detail17trampoline_kernelINS0_14default_configENS1_27scan_by_key_config_selectorIiiEEZZNS1_16scan_by_key_implILNS1_25lookback_scan_determinismE0ELb1ES3_N6thrust23THRUST_200600_302600_NS6detail15normal_iteratorINS9_10device_ptrIiEEEESE_SE_iNS9_4plusIvEENS9_8equal_toIiEEiEE10hipError_tPvRmT2_T3_T4_T5_mT6_T7_P12ihipStream_tbENKUlT_T0_E_clISt17integral_constantIbLb0EESZ_EEDaSU_SV_EUlSU_E_NS1_11comp_targetILNS1_3genE10ELNS1_11target_archE1200ELNS1_3gpuE4ELNS1_3repE0EEENS1_30default_config_static_selectorELNS0_4arch9wavefront6targetE0EEEvT1_.uses_flat_scratch, 0
	.set _ZN7rocprim17ROCPRIM_400000_NS6detail17trampoline_kernelINS0_14default_configENS1_27scan_by_key_config_selectorIiiEEZZNS1_16scan_by_key_implILNS1_25lookback_scan_determinismE0ELb1ES3_N6thrust23THRUST_200600_302600_NS6detail15normal_iteratorINS9_10device_ptrIiEEEESE_SE_iNS9_4plusIvEENS9_8equal_toIiEEiEE10hipError_tPvRmT2_T3_T4_T5_mT6_T7_P12ihipStream_tbENKUlT_T0_E_clISt17integral_constantIbLb0EESZ_EEDaSU_SV_EUlSU_E_NS1_11comp_targetILNS1_3genE10ELNS1_11target_archE1200ELNS1_3gpuE4ELNS1_3repE0EEENS1_30default_config_static_selectorELNS0_4arch9wavefront6targetE0EEEvT1_.has_dyn_sized_stack, 0
	.set _ZN7rocprim17ROCPRIM_400000_NS6detail17trampoline_kernelINS0_14default_configENS1_27scan_by_key_config_selectorIiiEEZZNS1_16scan_by_key_implILNS1_25lookback_scan_determinismE0ELb1ES3_N6thrust23THRUST_200600_302600_NS6detail15normal_iteratorINS9_10device_ptrIiEEEESE_SE_iNS9_4plusIvEENS9_8equal_toIiEEiEE10hipError_tPvRmT2_T3_T4_T5_mT6_T7_P12ihipStream_tbENKUlT_T0_E_clISt17integral_constantIbLb0EESZ_EEDaSU_SV_EUlSU_E_NS1_11comp_targetILNS1_3genE10ELNS1_11target_archE1200ELNS1_3gpuE4ELNS1_3repE0EEENS1_30default_config_static_selectorELNS0_4arch9wavefront6targetE0EEEvT1_.has_recursion, 0
	.set _ZN7rocprim17ROCPRIM_400000_NS6detail17trampoline_kernelINS0_14default_configENS1_27scan_by_key_config_selectorIiiEEZZNS1_16scan_by_key_implILNS1_25lookback_scan_determinismE0ELb1ES3_N6thrust23THRUST_200600_302600_NS6detail15normal_iteratorINS9_10device_ptrIiEEEESE_SE_iNS9_4plusIvEENS9_8equal_toIiEEiEE10hipError_tPvRmT2_T3_T4_T5_mT6_T7_P12ihipStream_tbENKUlT_T0_E_clISt17integral_constantIbLb0EESZ_EEDaSU_SV_EUlSU_E_NS1_11comp_targetILNS1_3genE10ELNS1_11target_archE1200ELNS1_3gpuE4ELNS1_3repE0EEENS1_30default_config_static_selectorELNS0_4arch9wavefront6targetE0EEEvT1_.has_indirect_call, 0
	.section	.AMDGPU.csdata,"",@progbits
; Kernel info:
; codeLenInByte = 0
; TotalNumSgprs: 0
; NumVgprs: 0
; ScratchSize: 0
; MemoryBound: 0
; FloatMode: 240
; IeeeMode: 1
; LDSByteSize: 0 bytes/workgroup (compile time only)
; SGPRBlocks: 0
; VGPRBlocks: 0
; NumSGPRsForWavesPerEU: 1
; NumVGPRsForWavesPerEU: 1
; Occupancy: 16
; WaveLimiterHint : 0
; COMPUTE_PGM_RSRC2:SCRATCH_EN: 0
; COMPUTE_PGM_RSRC2:USER_SGPR: 6
; COMPUTE_PGM_RSRC2:TRAP_HANDLER: 0
; COMPUTE_PGM_RSRC2:TGID_X_EN: 1
; COMPUTE_PGM_RSRC2:TGID_Y_EN: 0
; COMPUTE_PGM_RSRC2:TGID_Z_EN: 0
; COMPUTE_PGM_RSRC2:TIDIG_COMP_CNT: 0
	.section	.text._ZN7rocprim17ROCPRIM_400000_NS6detail17trampoline_kernelINS0_14default_configENS1_27scan_by_key_config_selectorIiiEEZZNS1_16scan_by_key_implILNS1_25lookback_scan_determinismE0ELb1ES3_N6thrust23THRUST_200600_302600_NS6detail15normal_iteratorINS9_10device_ptrIiEEEESE_SE_iNS9_4plusIvEENS9_8equal_toIiEEiEE10hipError_tPvRmT2_T3_T4_T5_mT6_T7_P12ihipStream_tbENKUlT_T0_E_clISt17integral_constantIbLb0EESZ_EEDaSU_SV_EUlSU_E_NS1_11comp_targetILNS1_3genE9ELNS1_11target_archE1100ELNS1_3gpuE3ELNS1_3repE0EEENS1_30default_config_static_selectorELNS0_4arch9wavefront6targetE0EEEvT1_,"axG",@progbits,_ZN7rocprim17ROCPRIM_400000_NS6detail17trampoline_kernelINS0_14default_configENS1_27scan_by_key_config_selectorIiiEEZZNS1_16scan_by_key_implILNS1_25lookback_scan_determinismE0ELb1ES3_N6thrust23THRUST_200600_302600_NS6detail15normal_iteratorINS9_10device_ptrIiEEEESE_SE_iNS9_4plusIvEENS9_8equal_toIiEEiEE10hipError_tPvRmT2_T3_T4_T5_mT6_T7_P12ihipStream_tbENKUlT_T0_E_clISt17integral_constantIbLb0EESZ_EEDaSU_SV_EUlSU_E_NS1_11comp_targetILNS1_3genE9ELNS1_11target_archE1100ELNS1_3gpuE3ELNS1_3repE0EEENS1_30default_config_static_selectorELNS0_4arch9wavefront6targetE0EEEvT1_,comdat
	.protected	_ZN7rocprim17ROCPRIM_400000_NS6detail17trampoline_kernelINS0_14default_configENS1_27scan_by_key_config_selectorIiiEEZZNS1_16scan_by_key_implILNS1_25lookback_scan_determinismE0ELb1ES3_N6thrust23THRUST_200600_302600_NS6detail15normal_iteratorINS9_10device_ptrIiEEEESE_SE_iNS9_4plusIvEENS9_8equal_toIiEEiEE10hipError_tPvRmT2_T3_T4_T5_mT6_T7_P12ihipStream_tbENKUlT_T0_E_clISt17integral_constantIbLb0EESZ_EEDaSU_SV_EUlSU_E_NS1_11comp_targetILNS1_3genE9ELNS1_11target_archE1100ELNS1_3gpuE3ELNS1_3repE0EEENS1_30default_config_static_selectorELNS0_4arch9wavefront6targetE0EEEvT1_ ; -- Begin function _ZN7rocprim17ROCPRIM_400000_NS6detail17trampoline_kernelINS0_14default_configENS1_27scan_by_key_config_selectorIiiEEZZNS1_16scan_by_key_implILNS1_25lookback_scan_determinismE0ELb1ES3_N6thrust23THRUST_200600_302600_NS6detail15normal_iteratorINS9_10device_ptrIiEEEESE_SE_iNS9_4plusIvEENS9_8equal_toIiEEiEE10hipError_tPvRmT2_T3_T4_T5_mT6_T7_P12ihipStream_tbENKUlT_T0_E_clISt17integral_constantIbLb0EESZ_EEDaSU_SV_EUlSU_E_NS1_11comp_targetILNS1_3genE9ELNS1_11target_archE1100ELNS1_3gpuE3ELNS1_3repE0EEENS1_30default_config_static_selectorELNS0_4arch9wavefront6targetE0EEEvT1_
	.globl	_ZN7rocprim17ROCPRIM_400000_NS6detail17trampoline_kernelINS0_14default_configENS1_27scan_by_key_config_selectorIiiEEZZNS1_16scan_by_key_implILNS1_25lookback_scan_determinismE0ELb1ES3_N6thrust23THRUST_200600_302600_NS6detail15normal_iteratorINS9_10device_ptrIiEEEESE_SE_iNS9_4plusIvEENS9_8equal_toIiEEiEE10hipError_tPvRmT2_T3_T4_T5_mT6_T7_P12ihipStream_tbENKUlT_T0_E_clISt17integral_constantIbLb0EESZ_EEDaSU_SV_EUlSU_E_NS1_11comp_targetILNS1_3genE9ELNS1_11target_archE1100ELNS1_3gpuE3ELNS1_3repE0EEENS1_30default_config_static_selectorELNS0_4arch9wavefront6targetE0EEEvT1_
	.p2align	8
	.type	_ZN7rocprim17ROCPRIM_400000_NS6detail17trampoline_kernelINS0_14default_configENS1_27scan_by_key_config_selectorIiiEEZZNS1_16scan_by_key_implILNS1_25lookback_scan_determinismE0ELb1ES3_N6thrust23THRUST_200600_302600_NS6detail15normal_iteratorINS9_10device_ptrIiEEEESE_SE_iNS9_4plusIvEENS9_8equal_toIiEEiEE10hipError_tPvRmT2_T3_T4_T5_mT6_T7_P12ihipStream_tbENKUlT_T0_E_clISt17integral_constantIbLb0EESZ_EEDaSU_SV_EUlSU_E_NS1_11comp_targetILNS1_3genE9ELNS1_11target_archE1100ELNS1_3gpuE3ELNS1_3repE0EEENS1_30default_config_static_selectorELNS0_4arch9wavefront6targetE0EEEvT1_,@function
_ZN7rocprim17ROCPRIM_400000_NS6detail17trampoline_kernelINS0_14default_configENS1_27scan_by_key_config_selectorIiiEEZZNS1_16scan_by_key_implILNS1_25lookback_scan_determinismE0ELb1ES3_N6thrust23THRUST_200600_302600_NS6detail15normal_iteratorINS9_10device_ptrIiEEEESE_SE_iNS9_4plusIvEENS9_8equal_toIiEEiEE10hipError_tPvRmT2_T3_T4_T5_mT6_T7_P12ihipStream_tbENKUlT_T0_E_clISt17integral_constantIbLb0EESZ_EEDaSU_SV_EUlSU_E_NS1_11comp_targetILNS1_3genE9ELNS1_11target_archE1100ELNS1_3gpuE3ELNS1_3repE0EEENS1_30default_config_static_selectorELNS0_4arch9wavefront6targetE0EEEvT1_: ; @_ZN7rocprim17ROCPRIM_400000_NS6detail17trampoline_kernelINS0_14default_configENS1_27scan_by_key_config_selectorIiiEEZZNS1_16scan_by_key_implILNS1_25lookback_scan_determinismE0ELb1ES3_N6thrust23THRUST_200600_302600_NS6detail15normal_iteratorINS9_10device_ptrIiEEEESE_SE_iNS9_4plusIvEENS9_8equal_toIiEEiEE10hipError_tPvRmT2_T3_T4_T5_mT6_T7_P12ihipStream_tbENKUlT_T0_E_clISt17integral_constantIbLb0EESZ_EEDaSU_SV_EUlSU_E_NS1_11comp_targetILNS1_3genE9ELNS1_11target_archE1100ELNS1_3gpuE3ELNS1_3repE0EEENS1_30default_config_static_selectorELNS0_4arch9wavefront6targetE0EEEvT1_
; %bb.0:
	.section	.rodata,"a",@progbits
	.p2align	6, 0x0
	.amdhsa_kernel _ZN7rocprim17ROCPRIM_400000_NS6detail17trampoline_kernelINS0_14default_configENS1_27scan_by_key_config_selectorIiiEEZZNS1_16scan_by_key_implILNS1_25lookback_scan_determinismE0ELb1ES3_N6thrust23THRUST_200600_302600_NS6detail15normal_iteratorINS9_10device_ptrIiEEEESE_SE_iNS9_4plusIvEENS9_8equal_toIiEEiEE10hipError_tPvRmT2_T3_T4_T5_mT6_T7_P12ihipStream_tbENKUlT_T0_E_clISt17integral_constantIbLb0EESZ_EEDaSU_SV_EUlSU_E_NS1_11comp_targetILNS1_3genE9ELNS1_11target_archE1100ELNS1_3gpuE3ELNS1_3repE0EEENS1_30default_config_static_selectorELNS0_4arch9wavefront6targetE0EEEvT1_
		.amdhsa_group_segment_fixed_size 0
		.amdhsa_private_segment_fixed_size 0
		.amdhsa_kernarg_size 112
		.amdhsa_user_sgpr_count 6
		.amdhsa_user_sgpr_private_segment_buffer 1
		.amdhsa_user_sgpr_dispatch_ptr 0
		.amdhsa_user_sgpr_queue_ptr 0
		.amdhsa_user_sgpr_kernarg_segment_ptr 1
		.amdhsa_user_sgpr_dispatch_id 0
		.amdhsa_user_sgpr_flat_scratch_init 0
		.amdhsa_user_sgpr_private_segment_size 0
		.amdhsa_wavefront_size32 1
		.amdhsa_uses_dynamic_stack 0
		.amdhsa_system_sgpr_private_segment_wavefront_offset 0
		.amdhsa_system_sgpr_workgroup_id_x 1
		.amdhsa_system_sgpr_workgroup_id_y 0
		.amdhsa_system_sgpr_workgroup_id_z 0
		.amdhsa_system_sgpr_workgroup_info 0
		.amdhsa_system_vgpr_workitem_id 0
		.amdhsa_next_free_vgpr 1
		.amdhsa_next_free_sgpr 1
		.amdhsa_reserve_vcc 0
		.amdhsa_reserve_flat_scratch 0
		.amdhsa_float_round_mode_32 0
		.amdhsa_float_round_mode_16_64 0
		.amdhsa_float_denorm_mode_32 3
		.amdhsa_float_denorm_mode_16_64 3
		.amdhsa_dx10_clamp 1
		.amdhsa_ieee_mode 1
		.amdhsa_fp16_overflow 0
		.amdhsa_workgroup_processor_mode 1
		.amdhsa_memory_ordered 1
		.amdhsa_forward_progress 1
		.amdhsa_shared_vgpr_count 0
		.amdhsa_exception_fp_ieee_invalid_op 0
		.amdhsa_exception_fp_denorm_src 0
		.amdhsa_exception_fp_ieee_div_zero 0
		.amdhsa_exception_fp_ieee_overflow 0
		.amdhsa_exception_fp_ieee_underflow 0
		.amdhsa_exception_fp_ieee_inexact 0
		.amdhsa_exception_int_div_zero 0
	.end_amdhsa_kernel
	.section	.text._ZN7rocprim17ROCPRIM_400000_NS6detail17trampoline_kernelINS0_14default_configENS1_27scan_by_key_config_selectorIiiEEZZNS1_16scan_by_key_implILNS1_25lookback_scan_determinismE0ELb1ES3_N6thrust23THRUST_200600_302600_NS6detail15normal_iteratorINS9_10device_ptrIiEEEESE_SE_iNS9_4plusIvEENS9_8equal_toIiEEiEE10hipError_tPvRmT2_T3_T4_T5_mT6_T7_P12ihipStream_tbENKUlT_T0_E_clISt17integral_constantIbLb0EESZ_EEDaSU_SV_EUlSU_E_NS1_11comp_targetILNS1_3genE9ELNS1_11target_archE1100ELNS1_3gpuE3ELNS1_3repE0EEENS1_30default_config_static_selectorELNS0_4arch9wavefront6targetE0EEEvT1_,"axG",@progbits,_ZN7rocprim17ROCPRIM_400000_NS6detail17trampoline_kernelINS0_14default_configENS1_27scan_by_key_config_selectorIiiEEZZNS1_16scan_by_key_implILNS1_25lookback_scan_determinismE0ELb1ES3_N6thrust23THRUST_200600_302600_NS6detail15normal_iteratorINS9_10device_ptrIiEEEESE_SE_iNS9_4plusIvEENS9_8equal_toIiEEiEE10hipError_tPvRmT2_T3_T4_T5_mT6_T7_P12ihipStream_tbENKUlT_T0_E_clISt17integral_constantIbLb0EESZ_EEDaSU_SV_EUlSU_E_NS1_11comp_targetILNS1_3genE9ELNS1_11target_archE1100ELNS1_3gpuE3ELNS1_3repE0EEENS1_30default_config_static_selectorELNS0_4arch9wavefront6targetE0EEEvT1_,comdat
.Lfunc_end540:
	.size	_ZN7rocprim17ROCPRIM_400000_NS6detail17trampoline_kernelINS0_14default_configENS1_27scan_by_key_config_selectorIiiEEZZNS1_16scan_by_key_implILNS1_25lookback_scan_determinismE0ELb1ES3_N6thrust23THRUST_200600_302600_NS6detail15normal_iteratorINS9_10device_ptrIiEEEESE_SE_iNS9_4plusIvEENS9_8equal_toIiEEiEE10hipError_tPvRmT2_T3_T4_T5_mT6_T7_P12ihipStream_tbENKUlT_T0_E_clISt17integral_constantIbLb0EESZ_EEDaSU_SV_EUlSU_E_NS1_11comp_targetILNS1_3genE9ELNS1_11target_archE1100ELNS1_3gpuE3ELNS1_3repE0EEENS1_30default_config_static_selectorELNS0_4arch9wavefront6targetE0EEEvT1_, .Lfunc_end540-_ZN7rocprim17ROCPRIM_400000_NS6detail17trampoline_kernelINS0_14default_configENS1_27scan_by_key_config_selectorIiiEEZZNS1_16scan_by_key_implILNS1_25lookback_scan_determinismE0ELb1ES3_N6thrust23THRUST_200600_302600_NS6detail15normal_iteratorINS9_10device_ptrIiEEEESE_SE_iNS9_4plusIvEENS9_8equal_toIiEEiEE10hipError_tPvRmT2_T3_T4_T5_mT6_T7_P12ihipStream_tbENKUlT_T0_E_clISt17integral_constantIbLb0EESZ_EEDaSU_SV_EUlSU_E_NS1_11comp_targetILNS1_3genE9ELNS1_11target_archE1100ELNS1_3gpuE3ELNS1_3repE0EEENS1_30default_config_static_selectorELNS0_4arch9wavefront6targetE0EEEvT1_
                                        ; -- End function
	.set _ZN7rocprim17ROCPRIM_400000_NS6detail17trampoline_kernelINS0_14default_configENS1_27scan_by_key_config_selectorIiiEEZZNS1_16scan_by_key_implILNS1_25lookback_scan_determinismE0ELb1ES3_N6thrust23THRUST_200600_302600_NS6detail15normal_iteratorINS9_10device_ptrIiEEEESE_SE_iNS9_4plusIvEENS9_8equal_toIiEEiEE10hipError_tPvRmT2_T3_T4_T5_mT6_T7_P12ihipStream_tbENKUlT_T0_E_clISt17integral_constantIbLb0EESZ_EEDaSU_SV_EUlSU_E_NS1_11comp_targetILNS1_3genE9ELNS1_11target_archE1100ELNS1_3gpuE3ELNS1_3repE0EEENS1_30default_config_static_selectorELNS0_4arch9wavefront6targetE0EEEvT1_.num_vgpr, 0
	.set _ZN7rocprim17ROCPRIM_400000_NS6detail17trampoline_kernelINS0_14default_configENS1_27scan_by_key_config_selectorIiiEEZZNS1_16scan_by_key_implILNS1_25lookback_scan_determinismE0ELb1ES3_N6thrust23THRUST_200600_302600_NS6detail15normal_iteratorINS9_10device_ptrIiEEEESE_SE_iNS9_4plusIvEENS9_8equal_toIiEEiEE10hipError_tPvRmT2_T3_T4_T5_mT6_T7_P12ihipStream_tbENKUlT_T0_E_clISt17integral_constantIbLb0EESZ_EEDaSU_SV_EUlSU_E_NS1_11comp_targetILNS1_3genE9ELNS1_11target_archE1100ELNS1_3gpuE3ELNS1_3repE0EEENS1_30default_config_static_selectorELNS0_4arch9wavefront6targetE0EEEvT1_.num_agpr, 0
	.set _ZN7rocprim17ROCPRIM_400000_NS6detail17trampoline_kernelINS0_14default_configENS1_27scan_by_key_config_selectorIiiEEZZNS1_16scan_by_key_implILNS1_25lookback_scan_determinismE0ELb1ES3_N6thrust23THRUST_200600_302600_NS6detail15normal_iteratorINS9_10device_ptrIiEEEESE_SE_iNS9_4plusIvEENS9_8equal_toIiEEiEE10hipError_tPvRmT2_T3_T4_T5_mT6_T7_P12ihipStream_tbENKUlT_T0_E_clISt17integral_constantIbLb0EESZ_EEDaSU_SV_EUlSU_E_NS1_11comp_targetILNS1_3genE9ELNS1_11target_archE1100ELNS1_3gpuE3ELNS1_3repE0EEENS1_30default_config_static_selectorELNS0_4arch9wavefront6targetE0EEEvT1_.numbered_sgpr, 0
	.set _ZN7rocprim17ROCPRIM_400000_NS6detail17trampoline_kernelINS0_14default_configENS1_27scan_by_key_config_selectorIiiEEZZNS1_16scan_by_key_implILNS1_25lookback_scan_determinismE0ELb1ES3_N6thrust23THRUST_200600_302600_NS6detail15normal_iteratorINS9_10device_ptrIiEEEESE_SE_iNS9_4plusIvEENS9_8equal_toIiEEiEE10hipError_tPvRmT2_T3_T4_T5_mT6_T7_P12ihipStream_tbENKUlT_T0_E_clISt17integral_constantIbLb0EESZ_EEDaSU_SV_EUlSU_E_NS1_11comp_targetILNS1_3genE9ELNS1_11target_archE1100ELNS1_3gpuE3ELNS1_3repE0EEENS1_30default_config_static_selectorELNS0_4arch9wavefront6targetE0EEEvT1_.num_named_barrier, 0
	.set _ZN7rocprim17ROCPRIM_400000_NS6detail17trampoline_kernelINS0_14default_configENS1_27scan_by_key_config_selectorIiiEEZZNS1_16scan_by_key_implILNS1_25lookback_scan_determinismE0ELb1ES3_N6thrust23THRUST_200600_302600_NS6detail15normal_iteratorINS9_10device_ptrIiEEEESE_SE_iNS9_4plusIvEENS9_8equal_toIiEEiEE10hipError_tPvRmT2_T3_T4_T5_mT6_T7_P12ihipStream_tbENKUlT_T0_E_clISt17integral_constantIbLb0EESZ_EEDaSU_SV_EUlSU_E_NS1_11comp_targetILNS1_3genE9ELNS1_11target_archE1100ELNS1_3gpuE3ELNS1_3repE0EEENS1_30default_config_static_selectorELNS0_4arch9wavefront6targetE0EEEvT1_.private_seg_size, 0
	.set _ZN7rocprim17ROCPRIM_400000_NS6detail17trampoline_kernelINS0_14default_configENS1_27scan_by_key_config_selectorIiiEEZZNS1_16scan_by_key_implILNS1_25lookback_scan_determinismE0ELb1ES3_N6thrust23THRUST_200600_302600_NS6detail15normal_iteratorINS9_10device_ptrIiEEEESE_SE_iNS9_4plusIvEENS9_8equal_toIiEEiEE10hipError_tPvRmT2_T3_T4_T5_mT6_T7_P12ihipStream_tbENKUlT_T0_E_clISt17integral_constantIbLb0EESZ_EEDaSU_SV_EUlSU_E_NS1_11comp_targetILNS1_3genE9ELNS1_11target_archE1100ELNS1_3gpuE3ELNS1_3repE0EEENS1_30default_config_static_selectorELNS0_4arch9wavefront6targetE0EEEvT1_.uses_vcc, 0
	.set _ZN7rocprim17ROCPRIM_400000_NS6detail17trampoline_kernelINS0_14default_configENS1_27scan_by_key_config_selectorIiiEEZZNS1_16scan_by_key_implILNS1_25lookback_scan_determinismE0ELb1ES3_N6thrust23THRUST_200600_302600_NS6detail15normal_iteratorINS9_10device_ptrIiEEEESE_SE_iNS9_4plusIvEENS9_8equal_toIiEEiEE10hipError_tPvRmT2_T3_T4_T5_mT6_T7_P12ihipStream_tbENKUlT_T0_E_clISt17integral_constantIbLb0EESZ_EEDaSU_SV_EUlSU_E_NS1_11comp_targetILNS1_3genE9ELNS1_11target_archE1100ELNS1_3gpuE3ELNS1_3repE0EEENS1_30default_config_static_selectorELNS0_4arch9wavefront6targetE0EEEvT1_.uses_flat_scratch, 0
	.set _ZN7rocprim17ROCPRIM_400000_NS6detail17trampoline_kernelINS0_14default_configENS1_27scan_by_key_config_selectorIiiEEZZNS1_16scan_by_key_implILNS1_25lookback_scan_determinismE0ELb1ES3_N6thrust23THRUST_200600_302600_NS6detail15normal_iteratorINS9_10device_ptrIiEEEESE_SE_iNS9_4plusIvEENS9_8equal_toIiEEiEE10hipError_tPvRmT2_T3_T4_T5_mT6_T7_P12ihipStream_tbENKUlT_T0_E_clISt17integral_constantIbLb0EESZ_EEDaSU_SV_EUlSU_E_NS1_11comp_targetILNS1_3genE9ELNS1_11target_archE1100ELNS1_3gpuE3ELNS1_3repE0EEENS1_30default_config_static_selectorELNS0_4arch9wavefront6targetE0EEEvT1_.has_dyn_sized_stack, 0
	.set _ZN7rocprim17ROCPRIM_400000_NS6detail17trampoline_kernelINS0_14default_configENS1_27scan_by_key_config_selectorIiiEEZZNS1_16scan_by_key_implILNS1_25lookback_scan_determinismE0ELb1ES3_N6thrust23THRUST_200600_302600_NS6detail15normal_iteratorINS9_10device_ptrIiEEEESE_SE_iNS9_4plusIvEENS9_8equal_toIiEEiEE10hipError_tPvRmT2_T3_T4_T5_mT6_T7_P12ihipStream_tbENKUlT_T0_E_clISt17integral_constantIbLb0EESZ_EEDaSU_SV_EUlSU_E_NS1_11comp_targetILNS1_3genE9ELNS1_11target_archE1100ELNS1_3gpuE3ELNS1_3repE0EEENS1_30default_config_static_selectorELNS0_4arch9wavefront6targetE0EEEvT1_.has_recursion, 0
	.set _ZN7rocprim17ROCPRIM_400000_NS6detail17trampoline_kernelINS0_14default_configENS1_27scan_by_key_config_selectorIiiEEZZNS1_16scan_by_key_implILNS1_25lookback_scan_determinismE0ELb1ES3_N6thrust23THRUST_200600_302600_NS6detail15normal_iteratorINS9_10device_ptrIiEEEESE_SE_iNS9_4plusIvEENS9_8equal_toIiEEiEE10hipError_tPvRmT2_T3_T4_T5_mT6_T7_P12ihipStream_tbENKUlT_T0_E_clISt17integral_constantIbLb0EESZ_EEDaSU_SV_EUlSU_E_NS1_11comp_targetILNS1_3genE9ELNS1_11target_archE1100ELNS1_3gpuE3ELNS1_3repE0EEENS1_30default_config_static_selectorELNS0_4arch9wavefront6targetE0EEEvT1_.has_indirect_call, 0
	.section	.AMDGPU.csdata,"",@progbits
; Kernel info:
; codeLenInByte = 0
; TotalNumSgprs: 0
; NumVgprs: 0
; ScratchSize: 0
; MemoryBound: 0
; FloatMode: 240
; IeeeMode: 1
; LDSByteSize: 0 bytes/workgroup (compile time only)
; SGPRBlocks: 0
; VGPRBlocks: 0
; NumSGPRsForWavesPerEU: 1
; NumVGPRsForWavesPerEU: 1
; Occupancy: 16
; WaveLimiterHint : 0
; COMPUTE_PGM_RSRC2:SCRATCH_EN: 0
; COMPUTE_PGM_RSRC2:USER_SGPR: 6
; COMPUTE_PGM_RSRC2:TRAP_HANDLER: 0
; COMPUTE_PGM_RSRC2:TGID_X_EN: 1
; COMPUTE_PGM_RSRC2:TGID_Y_EN: 0
; COMPUTE_PGM_RSRC2:TGID_Z_EN: 0
; COMPUTE_PGM_RSRC2:TIDIG_COMP_CNT: 0
	.section	.text._ZN7rocprim17ROCPRIM_400000_NS6detail17trampoline_kernelINS0_14default_configENS1_27scan_by_key_config_selectorIiiEEZZNS1_16scan_by_key_implILNS1_25lookback_scan_determinismE0ELb1ES3_N6thrust23THRUST_200600_302600_NS6detail15normal_iteratorINS9_10device_ptrIiEEEESE_SE_iNS9_4plusIvEENS9_8equal_toIiEEiEE10hipError_tPvRmT2_T3_T4_T5_mT6_T7_P12ihipStream_tbENKUlT_T0_E_clISt17integral_constantIbLb0EESZ_EEDaSU_SV_EUlSU_E_NS1_11comp_targetILNS1_3genE8ELNS1_11target_archE1030ELNS1_3gpuE2ELNS1_3repE0EEENS1_30default_config_static_selectorELNS0_4arch9wavefront6targetE0EEEvT1_,"axG",@progbits,_ZN7rocprim17ROCPRIM_400000_NS6detail17trampoline_kernelINS0_14default_configENS1_27scan_by_key_config_selectorIiiEEZZNS1_16scan_by_key_implILNS1_25lookback_scan_determinismE0ELb1ES3_N6thrust23THRUST_200600_302600_NS6detail15normal_iteratorINS9_10device_ptrIiEEEESE_SE_iNS9_4plusIvEENS9_8equal_toIiEEiEE10hipError_tPvRmT2_T3_T4_T5_mT6_T7_P12ihipStream_tbENKUlT_T0_E_clISt17integral_constantIbLb0EESZ_EEDaSU_SV_EUlSU_E_NS1_11comp_targetILNS1_3genE8ELNS1_11target_archE1030ELNS1_3gpuE2ELNS1_3repE0EEENS1_30default_config_static_selectorELNS0_4arch9wavefront6targetE0EEEvT1_,comdat
	.protected	_ZN7rocprim17ROCPRIM_400000_NS6detail17trampoline_kernelINS0_14default_configENS1_27scan_by_key_config_selectorIiiEEZZNS1_16scan_by_key_implILNS1_25lookback_scan_determinismE0ELb1ES3_N6thrust23THRUST_200600_302600_NS6detail15normal_iteratorINS9_10device_ptrIiEEEESE_SE_iNS9_4plusIvEENS9_8equal_toIiEEiEE10hipError_tPvRmT2_T3_T4_T5_mT6_T7_P12ihipStream_tbENKUlT_T0_E_clISt17integral_constantIbLb0EESZ_EEDaSU_SV_EUlSU_E_NS1_11comp_targetILNS1_3genE8ELNS1_11target_archE1030ELNS1_3gpuE2ELNS1_3repE0EEENS1_30default_config_static_selectorELNS0_4arch9wavefront6targetE0EEEvT1_ ; -- Begin function _ZN7rocprim17ROCPRIM_400000_NS6detail17trampoline_kernelINS0_14default_configENS1_27scan_by_key_config_selectorIiiEEZZNS1_16scan_by_key_implILNS1_25lookback_scan_determinismE0ELb1ES3_N6thrust23THRUST_200600_302600_NS6detail15normal_iteratorINS9_10device_ptrIiEEEESE_SE_iNS9_4plusIvEENS9_8equal_toIiEEiEE10hipError_tPvRmT2_T3_T4_T5_mT6_T7_P12ihipStream_tbENKUlT_T0_E_clISt17integral_constantIbLb0EESZ_EEDaSU_SV_EUlSU_E_NS1_11comp_targetILNS1_3genE8ELNS1_11target_archE1030ELNS1_3gpuE2ELNS1_3repE0EEENS1_30default_config_static_selectorELNS0_4arch9wavefront6targetE0EEEvT1_
	.globl	_ZN7rocprim17ROCPRIM_400000_NS6detail17trampoline_kernelINS0_14default_configENS1_27scan_by_key_config_selectorIiiEEZZNS1_16scan_by_key_implILNS1_25lookback_scan_determinismE0ELb1ES3_N6thrust23THRUST_200600_302600_NS6detail15normal_iteratorINS9_10device_ptrIiEEEESE_SE_iNS9_4plusIvEENS9_8equal_toIiEEiEE10hipError_tPvRmT2_T3_T4_T5_mT6_T7_P12ihipStream_tbENKUlT_T0_E_clISt17integral_constantIbLb0EESZ_EEDaSU_SV_EUlSU_E_NS1_11comp_targetILNS1_3genE8ELNS1_11target_archE1030ELNS1_3gpuE2ELNS1_3repE0EEENS1_30default_config_static_selectorELNS0_4arch9wavefront6targetE0EEEvT1_
	.p2align	8
	.type	_ZN7rocprim17ROCPRIM_400000_NS6detail17trampoline_kernelINS0_14default_configENS1_27scan_by_key_config_selectorIiiEEZZNS1_16scan_by_key_implILNS1_25lookback_scan_determinismE0ELb1ES3_N6thrust23THRUST_200600_302600_NS6detail15normal_iteratorINS9_10device_ptrIiEEEESE_SE_iNS9_4plusIvEENS9_8equal_toIiEEiEE10hipError_tPvRmT2_T3_T4_T5_mT6_T7_P12ihipStream_tbENKUlT_T0_E_clISt17integral_constantIbLb0EESZ_EEDaSU_SV_EUlSU_E_NS1_11comp_targetILNS1_3genE8ELNS1_11target_archE1030ELNS1_3gpuE2ELNS1_3repE0EEENS1_30default_config_static_selectorELNS0_4arch9wavefront6targetE0EEEvT1_,@function
_ZN7rocprim17ROCPRIM_400000_NS6detail17trampoline_kernelINS0_14default_configENS1_27scan_by_key_config_selectorIiiEEZZNS1_16scan_by_key_implILNS1_25lookback_scan_determinismE0ELb1ES3_N6thrust23THRUST_200600_302600_NS6detail15normal_iteratorINS9_10device_ptrIiEEEESE_SE_iNS9_4plusIvEENS9_8equal_toIiEEiEE10hipError_tPvRmT2_T3_T4_T5_mT6_T7_P12ihipStream_tbENKUlT_T0_E_clISt17integral_constantIbLb0EESZ_EEDaSU_SV_EUlSU_E_NS1_11comp_targetILNS1_3genE8ELNS1_11target_archE1030ELNS1_3gpuE2ELNS1_3repE0EEENS1_30default_config_static_selectorELNS0_4arch9wavefront6targetE0EEEvT1_: ; @_ZN7rocprim17ROCPRIM_400000_NS6detail17trampoline_kernelINS0_14default_configENS1_27scan_by_key_config_selectorIiiEEZZNS1_16scan_by_key_implILNS1_25lookback_scan_determinismE0ELb1ES3_N6thrust23THRUST_200600_302600_NS6detail15normal_iteratorINS9_10device_ptrIiEEEESE_SE_iNS9_4plusIvEENS9_8equal_toIiEEiEE10hipError_tPvRmT2_T3_T4_T5_mT6_T7_P12ihipStream_tbENKUlT_T0_E_clISt17integral_constantIbLb0EESZ_EEDaSU_SV_EUlSU_E_NS1_11comp_targetILNS1_3genE8ELNS1_11target_archE1030ELNS1_3gpuE2ELNS1_3repE0EEENS1_30default_config_static_selectorELNS0_4arch9wavefront6targetE0EEEvT1_
; %bb.0:
	s_clause 0x5
	s_load_dwordx8 s[8:15], s[4:5], 0x0
	s_load_dwordx2 s[24:25], s[4:5], 0x38
	s_load_dword s2, s[4:5], 0x40
	s_load_dwordx4 s[20:23], s[4:5], 0x48
	s_load_dword s26, s[4:5], 0x20
	s_load_dwordx4 s[16:19], s[4:5], 0x28
	s_mov_b32 s1, 0
	s_mul_i32 s0, s6, 0x300
	s_waitcnt lgkmcnt(0)
	s_barrier
	buffer_gl0_inv
	s_lshl_b64 s[4:5], s[10:11], 2
	s_add_u32 s10, s8, s4
	s_addc_u32 s11, s9, s5
	s_mul_i32 s3, s25, s2
	s_mul_hi_u32 s7, s24, s2
	s_add_u32 s12, s12, s4
	s_addc_u32 s13, s13, s5
	s_lshl_b64 s[8:9], s[0:1], 2
	s_add_i32 s7, s7, s3
	s_add_u32 s10, s10, s8
	s_addc_u32 s11, s11, s9
	s_mul_i32 s0, s24, s2
	s_add_u32 s3, s12, s8
	s_addc_u32 s13, s13, s9
	s_add_u32 s28, s0, s6
	s_addc_u32 s29, s7, 0
	s_add_u32 s20, s20, -1
	s_addc_u32 s21, s21, -1
	s_mul_i32 s12, s20, 0xfffffd00
	v_cmp_ge_u64_e64 s7, s[28:29], s[20:21]
	s_and_b32 vcc_lo, exec_lo, s7
	s_cbranch_vccz .LBB541_20
; %bb.1:
	v_mov_b32_e32 v1, s10
	v_mov_b32_e32 v2, s11
	s_add_i32 s19, s12, s18
	v_cmp_gt_u32_e32 vcc_lo, s19, v0
	flat_load_dword v1, v[1:2]
	s_waitcnt vmcnt(0) lgkmcnt(0)
	v_mov_b32_e32 v2, v1
	s_and_saveexec_b32 s0, vcc_lo
	s_cbranch_execz .LBB541_3
; %bb.2:
	v_lshlrev_b32_e32 v2, 2, v0
	v_add_co_u32 v2, s1, s10, v2
	v_add_co_ci_u32_e64 v3, null, s11, 0, s1
	flat_load_dword v2, v[2:3]
.LBB541_3:
	s_or_b32 exec_lo, exec_lo, s0
	v_or_b32_e32 v3, 0x100, v0
	v_cmp_gt_u32_e64 s0, s19, v3
	v_mov_b32_e32 v3, v1
	s_and_saveexec_b32 s1, s0
	s_cbranch_execz .LBB541_5
; %bb.4:
	v_lshlrev_b32_e32 v3, 2, v0
	v_add_co_u32 v3, s2, s10, v3
	v_add_co_ci_u32_e64 v4, null, s11, 0, s2
	flat_load_dword v3, v[3:4] offset:1024
.LBB541_5:
	s_or_b32 exec_lo, exec_lo, s1
	v_or_b32_e32 v4, 0x200, v0
	v_cmp_gt_u32_e64 s1, s19, v4
	v_lshlrev_b32_e32 v9, 2, v4
	s_and_saveexec_b32 s2, s1
	s_cbranch_execz .LBB541_7
; %bb.6:
	v_add_co_u32 v4, s20, s10, v9
	v_add_co_ci_u32_e64 v5, null, s11, 0, s20
	flat_load_dword v1, v[4:5]
.LBB541_7:
	s_or_b32 exec_lo, exec_lo, s2
	v_mov_b32_e32 v4, s10
	v_lshlrev_b32_e32 v10, 2, v0
	v_mov_b32_e32 v5, s11
	s_mov_b32 s20, exec_lo
	s_waitcnt vmcnt(0) lgkmcnt(0)
	ds_write2st64_b32 v10, v2, v3 offset1:4
	ds_write_b32 v10, v1 offset:2048
	s_waitcnt lgkmcnt(0)
	s_barrier
	buffer_gl0_inv
	flat_load_dword v8, v[4:5]
	v_lshlrev_b32_e32 v1, 3, v0
	v_add_nc_u32_e32 v6, v10, v1
	ds_read_b32 v7, v6
	ds_read2_b32 v[4:5], v6 offset0:1 offset1:2
	s_waitcnt lgkmcnt(1)
	ds_write_b32 v10, v7 offset:4096
	s_waitcnt vmcnt(0) lgkmcnt(0)
	s_barrier
	buffer_gl0_inv
	v_cmpx_ne_u32_e32 0xff, v0
; %bb.8:
	v_sub_nc_u32_e32 v1, 0, v1
	v_add_nc_u32_e32 v1, v6, v1
	ds_read_b32 v8, v1 offset:4100
; %bb.9:
	s_or_b32 exec_lo, exec_lo, s20
	v_mov_b32_e32 v1, 0
	s_waitcnt lgkmcnt(0)
	s_barrier
	buffer_gl0_inv
	v_mov_b32_e32 v2, v1
	v_mov_b32_e32 v3, v1
	s_and_saveexec_b32 s2, vcc_lo
	s_cbranch_execnz .LBB541_90
; %bb.10:
	s_or_b32 exec_lo, exec_lo, s2
	s_and_saveexec_b32 s2, s0
	s_cbranch_execnz .LBB541_91
.LBB541_11:
	s_or_b32 exec_lo, exec_lo, s2
	v_mul_u32_u24_e32 v13, 3, v0
	s_and_saveexec_b32 s0, s1
	s_cbranch_execz .LBB541_13
.LBB541_12:
	v_add_co_u32 v11, s1, s3, v9
	v_add_co_ci_u32_e64 v12, null, s13, 0, s1
	flat_load_dword v3, v[11:12]
.LBB541_13:
	s_or_b32 exec_lo, exec_lo, s0
	s_waitcnt vmcnt(0) lgkmcnt(0)
	ds_write2st64_b32 v10, v1, v2 offset1:4
	ds_write_b32 v10, v3 offset:2048
	v_mov_b32_e32 v9, 0
	v_mov_b32_e32 v1, 0
	;; [unrolled: 1-line block ×6, first 2 shown]
	s_mov_b32 s2, 0
	s_mov_b32 s1, 0
	s_mov_b32 s20, exec_lo
	s_waitcnt lgkmcnt(0)
	s_barrier
	buffer_gl0_inv
                                        ; implicit-def: $sgpr0
                                        ; implicit-def: $vgpr3
	v_cmpx_gt_u32_e64 s19, v13
	s_cbranch_execz .LBB541_19
; %bb.14:
	ds_read_b32 v3, v6
	v_cmp_ne_u32_e32 vcc_lo, v7, v4
	v_mov_b32_e32 v1, 0
	v_add_nc_u32_e32 v11, 1, v13
	v_mov_b32_e32 v2, 0
	s_mov_b32 s21, 0
	v_cndmask_b32_e64 v10, 0, 1, vcc_lo
	v_cmp_eq_u32_e32 vcc_lo, v7, v4
	s_mov_b32 s1, exec_lo
                                        ; implicit-def: $sgpr0
	s_waitcnt lgkmcnt(0)
	v_cndmask_b32_e32 v9, s26, v3, vcc_lo
                                        ; implicit-def: $vgpr3
	v_cmpx_gt_u32_e64 s19, v11
	s_cbranch_execz .LBB541_18
; %bb.15:
	ds_read2_b32 v[6:7], v6 offset0:1 offset1:2
	v_cmp_ne_u32_e32 vcc_lo, v4, v5
	v_add_nc_u32_e32 v3, 2, v13
                                        ; implicit-def: $sgpr0
	v_cndmask_b32_e64 v2, 0, 1, vcc_lo
	v_cmp_eq_u32_e32 vcc_lo, v4, v5
	s_waitcnt lgkmcnt(0)
	v_cndmask_b32_e32 v1, s26, v6, vcc_lo
	v_cmp_gt_u32_e32 vcc_lo, s19, v3
	s_mov_b32 s19, 0
                                        ; implicit-def: $vgpr3
	s_and_saveexec_b32 s21, vcc_lo
	s_xor_b32 s21, exec_lo, s21
; %bb.16:
	v_cmp_ne_u32_e64 s0, v5, v8
	s_mov_b32 s19, exec_lo
	v_cndmask_b32_e64 v3, v7, s26, s0
; %bb.17:
	s_or_b32 exec_lo, exec_lo, s21
	s_and_b32 s21, s19, exec_lo
.LBB541_18:
	s_or_b32 exec_lo, exec_lo, s1
	v_mov_b32_e32 v12, v2
	v_mov_b32_e32 v11, v1
	s_and_b32 s1, s21, exec_lo
.LBB541_19:
	s_or_b32 exec_lo, exec_lo, s20
	v_lshlrev_b32_e32 v18, 2, v0
	v_lshlrev_b32_e32 v19, 3, v0
	s_and_b32 vcc_lo, exec_lo, s2
	s_cbranch_vccnz .LBB541_21
	s_branch .LBB541_24
.LBB541_20:
                                        ; implicit-def: $sgpr0
                                        ; implicit-def: $vgpr3
                                        ; implicit-def: $vgpr9_vgpr10
                                        ; implicit-def: $vgpr1_vgpr2
                                        ; implicit-def: $vgpr11_vgpr12
	v_lshlrev_b32_e32 v18, 2, v0
	v_lshlrev_b32_e32 v19, 3, v0
	s_cbranch_execz .LBB541_24
.LBB541_21:
	v_add_co_u32 v1, s0, s10, v18
	v_add_co_ci_u32_e64 v2, null, s11, 0, s0
	v_add_co_u32 v3, vcc_lo, 0x800, v1
	v_add_co_ci_u32_e64 v4, null, 0, v2, vcc_lo
	s_clause 0x2
	flat_load_dword v5, v[1:2]
	flat_load_dword v6, v[1:2] offset:1024
	flat_load_dword v3, v[3:4]
	v_add_co_u32 v1, s0, 0x800, s10
	v_add_co_ci_u32_e64 v2, null, 0, s11, s0
	s_mov_b32 s0, exec_lo
	s_waitcnt vmcnt(1) lgkmcnt(1)
	ds_write2st64_b32 v18, v5, v6 offset1:4
	s_waitcnt vmcnt(0) lgkmcnt(1)
	ds_write_b32 v18, v3 offset:2048
	s_waitcnt lgkmcnt(0)
	s_barrier
	buffer_gl0_inv
	flat_load_dword v5, v[1:2] offset:1024
	v_add_nc_u32_e32 v1, v18, v19
	ds_read_b32 v6, v1
	ds_read2_b32 v[3:4], v1 offset0:1 offset1:2
	s_waitcnt lgkmcnt(1)
	ds_write_b32 v18, v6 offset:4096
	s_waitcnt vmcnt(0) lgkmcnt(0)
	s_barrier
	buffer_gl0_inv
	v_cmpx_ne_u32_e32 0xff, v0
; %bb.22:
	v_sub_nc_u32_e32 v2, 0, v19
	v_add_nc_u32_e32 v2, v1, v2
	ds_read_b32 v5, v2 offset:4100
; %bb.23:
	s_or_b32 exec_lo, exec_lo, s0
	v_add_co_u32 v7, s0, s3, v18
	v_add_co_ci_u32_e64 v8, null, s13, 0, s0
	s_waitcnt lgkmcnt(0)
	v_add_co_u32 v9, vcc_lo, 0x800, v7
	v_add_co_ci_u32_e64 v10, null, 0, v8, vcc_lo
	s_barrier
	buffer_gl0_inv
	s_clause 0x2
	flat_load_dword v2, v[7:8]
	flat_load_dword v7, v[7:8] offset:1024
	flat_load_dword v8, v[9:10]
	v_cmp_eq_u32_e32 vcc_lo, v6, v3
	v_cmp_ne_u32_e64 s0, v4, v5
	s_mov_b32 s1, -1
	s_waitcnt vmcnt(1) lgkmcnt(1)
	ds_write2st64_b32 v18, v2, v7 offset1:4
	s_waitcnt vmcnt(0) lgkmcnt(1)
	ds_write_b32 v18, v8 offset:2048
	s_waitcnt lgkmcnt(0)
	s_barrier
	buffer_gl0_inv
	ds_read2_b32 v[7:8], v1 offset1:1
	ds_read_b32 v11, v1 offset:8
	s_waitcnt lgkmcnt(1)
	v_cndmask_b32_e32 v9, s26, v7, vcc_lo
	v_cmp_eq_u32_e32 vcc_lo, v3, v4
	v_cndmask_b32_e32 v1, s26, v8, vcc_lo
	v_cmp_ne_u32_e32 vcc_lo, v3, v4
	v_cndmask_b32_e64 v2, 0, 1, vcc_lo
	v_cmp_ne_u32_e32 vcc_lo, v6, v3
	s_waitcnt lgkmcnt(0)
	v_cndmask_b32_e64 v3, v11, s26, s0
	v_mov_b32_e32 v12, v2
	v_cndmask_b32_e64 v10, 0, 1, vcc_lo
	v_mov_b32_e32 v11, v1
.LBB541_24:
	v_mov_b32_e32 v13, 0
	v_mov_b32_e32 v14, 0
	s_and_saveexec_b32 s2, s1
; %bb.25:
	v_cndmask_b32_e64 v4, 0, 1, s0
	v_mov_b32_e32 v12, v2
	v_mov_b32_e32 v11, v1
	;; [unrolled: 1-line block ×4, first 2 shown]
; %bb.26:
	s_or_b32 exec_lo, exec_lo, s2
	v_or_b32_e32 v23, v12, v14
	v_mbcnt_lo_u32_b32 v20, -1, 0
	v_lshrrev_b32_e32 v21, 5, v0
	v_or_b32_e32 v22, 31, v0
	s_cmp_lg_u32 s6, 0
	s_mov_b32 s2, 0
	s_barrier
	buffer_gl0_inv
	s_cbranch_scc0 .LBB541_52
; %bb.27:
	v_and_b32_e32 v2, 0xff, v23
	v_mov_b32_e32 v1, 0
	s_mov_b32 s3, 1
	v_cmp_gt_u64_e64 s0, s[2:3], v[11:12]
	v_cmp_eq_u64_e32 vcc_lo, 0, v[1:2]
	v_cndmask_b32_e64 v3, 0, v9, s0
	v_cndmask_b32_e32 v2, 1, v10, vcc_lo
	v_cmp_gt_u64_e32 vcc_lo, s[2:3], v[13:14]
	v_add_nc_u32_e32 v3, v3, v11
	v_and_b32_e32 v4, 0xff, v2
	v_and_b32_e32 v6, 1, v2
	v_cndmask_b32_e32 v3, 0, v3, vcc_lo
	v_mov_b32_dpp v5, v4 row_shr:1 row_mask:0xf bank_mask:0xf
	v_cmp_eq_u32_e32 vcc_lo, 1, v6
	v_and_b32_e32 v6, 15, v20
	v_add_nc_u32_e32 v3, v3, v13
	v_and_b32_e32 v5, 1, v5
	v_mov_b32_dpp v7, v3 row_shr:1 row_mask:0xf bank_mask:0xf
	v_cndmask_b32_e64 v5, v5, 1, vcc_lo
	v_cmp_eq_u16_e32 vcc_lo, 0, v4
	v_and_b32_e32 v8, 0xffff, v5
	v_cndmask_b32_e32 v7, 0, v7, vcc_lo
	v_cmp_eq_u32_e32 vcc_lo, 0, v6
	v_cndmask_b32_e32 v4, v8, v4, vcc_lo
	v_cndmask_b32_e32 v2, v5, v2, vcc_lo
	v_cndmask_b32_e64 v7, v7, 0, vcc_lo
	v_mov_b32_dpp v5, v4 row_shr:2 row_mask:0xf bank_mask:0xf
	v_and_b32_e32 v8, 1, v2
	v_add_nc_u32_e32 v3, v7, v3
	v_cmp_eq_u16_sdwa s2, v2, v1 src0_sel:BYTE_0 src1_sel:DWORD
	v_and_b32_e32 v5, 1, v5
	v_cmp_eq_u32_e32 vcc_lo, 1, v8
	v_cndmask_b32_e64 v5, v5, 1, vcc_lo
	v_cmp_lt_u32_e32 vcc_lo, 1, v6
	v_and_b32_e32 v8, 0xffff, v5
	v_cndmask_b32_e32 v5, v2, v5, vcc_lo
	v_mov_b32_dpp v2, v3 row_shr:2 row_mask:0xf bank_mask:0xf
	v_cndmask_b32_e32 v4, v4, v8, vcc_lo
	v_and_b32_e32 v7, 1, v5
	s_and_b32 vcc_lo, vcc_lo, s2
	v_cndmask_b32_e32 v2, 0, v2, vcc_lo
	v_mov_b32_dpp v8, v4 row_shr:4 row_mask:0xf bank_mask:0xf
	v_cmp_eq_u32_e64 s1, 1, v7
	v_cmp_lt_u32_e32 vcc_lo, 3, v6
	v_add_nc_u32_e32 v2, v2, v3
	v_and_b32_e32 v8, 1, v8
	v_cndmask_b32_e64 v7, v8, 1, s1
	v_cmp_eq_u16_sdwa s1, v5, v1 src0_sel:BYTE_0 src1_sel:DWORD
	v_and_b32_e32 v8, 0xffff, v7
	v_cndmask_b32_e32 v3, v5, v7, vcc_lo
	v_mov_b32_dpp v5, v2 row_shr:4 row_mask:0xf bank_mask:0xf
	v_cndmask_b32_e32 v4, v4, v8, vcc_lo
	s_and_b32 vcc_lo, vcc_lo, s1
	v_and_b32_e32 v8, 1, v3
	v_cndmask_b32_e32 v5, 0, v5, vcc_lo
	v_cmp_eq_u16_sdwa s1, v3, v1 src0_sel:BYTE_0 src1_sel:DWORD
	v_mov_b32_dpp v7, v4 row_shr:8 row_mask:0xf bank_mask:0xf
	v_cmp_eq_u32_e32 vcc_lo, 1, v8
	v_add_nc_u32_e32 v2, v5, v2
	v_and_b32_e32 v7, 1, v7
	v_cndmask_b32_e64 v5, v7, 1, vcc_lo
	v_cmp_lt_u32_e32 vcc_lo, 7, v6
	v_mov_b32_dpp v6, v2 row_shr:8 row_mask:0xf bank_mask:0xf
	s_and_b32 s1, vcc_lo, s1
	v_cndmask_b32_e32 v7, v3, v5, vcc_lo
	v_cndmask_b32_e64 v3, 0, v6, s1
	v_and_b32_e32 v5, 0xffff, v5
	v_and_b32_e32 v6, 16, v20
	v_add_nc_u32_e32 v2, v3, v2
	v_cndmask_b32_e32 v3, v4, v5, vcc_lo
	v_cmp_eq_u16_sdwa vcc_lo, v7, v1 src0_sel:BYTE_0 src1_sel:DWORD
	v_bfe_i32 v5, v20, 4, 1
	v_cmp_eq_u32_e64 s1, 0, v6
	ds_swizzle_b32 v4, v2 offset:swizzle(BROADCAST,32,15)
	ds_swizzle_b32 v3, v3 offset:swizzle(BROADCAST,32,15)
	s_waitcnt lgkmcnt(1)
	v_cndmask_b32_e32 v1, 0, v4, vcc_lo
	v_and_b32_e32 v4, 1, v7
	s_waitcnt lgkmcnt(0)
	v_and_b32_e32 v3, 1, v3
	v_and_b32_e32 v1, v5, v1
	v_cmp_eq_u32_e32 vcc_lo, 1, v4
	v_lshlrev_b32_e32 v5, 3, v21
	v_cndmask_b32_e64 v4, v3, 1, vcc_lo
	v_add_nc_u32_e32 v3, v1, v2
	v_cndmask_b32_e64 v4, v4, v7, s1
	s_mov_b32 s1, exec_lo
	v_cmpx_eq_u32_e64 v0, v22
	s_cbranch_execz .LBB541_29
; %bb.28:
	ds_write_b32 v5, v3
	ds_write_b8 v5, v4 offset:4
.LBB541_29:
	s_or_b32 exec_lo, exec_lo, s1
	s_mov_b32 s1, exec_lo
	s_waitcnt lgkmcnt(0)
	s_barrier
	buffer_gl0_inv
	v_cmpx_gt_u32_e32 8, v0
	s_cbranch_execz .LBB541_35
; %bb.30:
	ds_read_b64 v[1:2], v19
	v_and_b32_e32 v6, 7, v20
	s_mov_b32 s2, exec_lo
	s_waitcnt lgkmcnt(0)
	v_and_b32_e32 v7, 0xffffff00, v2
	v_mov_b32_dpp v15, v1 row_shr:1 row_mask:0xf bank_mask:0xf
	v_mov_b32_dpp v16, v2 row_shr:1 row_mask:0xf bank_mask:0xf
	v_mov_b32_e32 v8, v2
	v_cmpx_ne_u32_e32 0, v6
	s_cbranch_execz .LBB541_32
; %bb.31:
	v_mov_b32_e32 v8, 0
	v_and_b32_e32 v17, 1, v2
	v_and_b32_e32 v16, 1, v16
	v_cmp_eq_u16_sdwa vcc_lo, v2, v8 src0_sel:BYTE_0 src1_sel:DWORD
	v_cndmask_b32_e32 v2, 0, v15, vcc_lo
	v_cmp_eq_u32_e32 vcc_lo, 1, v17
	v_add_nc_u32_e32 v1, v2, v1
	v_cndmask_b32_e64 v15, v16, 1, vcc_lo
	v_or_b32_sdwa v8, v7, v15 dst_sel:DWORD dst_unused:UNUSED_PAD src0_sel:DWORD src1_sel:WORD_0
	v_mov_b32_e32 v2, v15
.LBB541_32:
	s_or_b32 exec_lo, exec_lo, s2
	v_mov_b32_dpp v15, v1 row_shr:2 row_mask:0xf bank_mask:0xf
	v_mov_b32_dpp v16, v8 row_shr:2 row_mask:0xf bank_mask:0xf
	s_mov_b32 s2, exec_lo
	v_cmpx_lt_u32_e32 1, v6
	s_cbranch_execz .LBB541_34
; %bb.33:
	v_mov_b32_e32 v8, 0
	v_and_b32_e32 v17, 1, v2
	v_and_b32_e32 v16, 1, v16
	v_cmp_eq_u16_sdwa vcc_lo, v2, v8 src0_sel:BYTE_0 src1_sel:DWORD
	v_cndmask_b32_e32 v2, 0, v15, vcc_lo
	v_cmp_eq_u32_e32 vcc_lo, 1, v17
	v_add_nc_u32_e32 v1, v2, v1
	v_cndmask_b32_e64 v15, v16, 1, vcc_lo
	v_or_b32_sdwa v8, v7, v15 dst_sel:DWORD dst_unused:UNUSED_PAD src0_sel:DWORD src1_sel:WORD_0
	v_mov_b32_e32 v2, v15
.LBB541_34:
	s_or_b32 exec_lo, exec_lo, s2
	v_mov_b32_dpp v7, v8 row_shr:4 row_mask:0xf bank_mask:0xf
	v_and_b32_e32 v15, 1, v2
	v_mov_b32_e32 v8, 0
	v_and_b32_e32 v7, 1, v7
	v_cmp_eq_u32_e32 vcc_lo, 1, v15
	v_cmp_eq_u16_sdwa s2, v2, v8 src0_sel:BYTE_0 src1_sel:DWORD
	v_cndmask_b32_e64 v7, v7, 1, vcc_lo
	v_cmp_lt_u32_e32 vcc_lo, 3, v6
	v_mov_b32_dpp v6, v1 row_shr:4 row_mask:0xf bank_mask:0xf
	v_cndmask_b32_e32 v2, v2, v7, vcc_lo
	s_and_b32 vcc_lo, vcc_lo, s2
	v_cndmask_b32_e32 v6, 0, v6, vcc_lo
	v_add_nc_u32_e32 v1, v6, v1
	ds_write_b32 v19, v1
	ds_write_b8 v19, v2 offset:4
.LBB541_35:
	s_or_b32 exec_lo, exec_lo, s1
	v_mov_b32_e32 v25, 0
	v_mov_b32_e32 v24, 0
	s_mov_b32 s2, exec_lo
	v_cmp_gt_u32_e32 vcc_lo, 32, v0
	s_waitcnt lgkmcnt(0)
	s_barrier
	buffer_gl0_inv
	v_cmpx_lt_u32_e32 31, v0
	s_cbranch_execz .LBB541_37
; %bb.36:
	v_add_nc_u32_e32 v1, -8, v5
	v_and_b32_e32 v2, 1, v4
	ds_read_b32 v24, v1
	v_add_nc_u32_e32 v1, -4, v5
	ds_read_u8 v25, v1
	v_mov_b32_e32 v1, 0
	v_cmp_eq_u16_sdwa s1, v4, v1 src0_sel:BYTE_0 src1_sel:DWORD
	s_waitcnt lgkmcnt(1)
	v_cndmask_b32_e64 v1, 0, v24, s1
	v_cmp_eq_u32_e64 s1, 1, v2
	v_add_nc_u32_e32 v3, v1, v3
	s_waitcnt lgkmcnt(0)
	v_cndmask_b32_e64 v4, v25, 1, s1
.LBB541_37:
	s_or_b32 exec_lo, exec_lo, s2
	v_sub_co_u32 v1, s1, v20, 1
	v_and_b32_e32 v2, 0xff, v4
	v_cmp_gt_i32_e64 s2, 0, v1
	v_cndmask_b32_e64 v1, v1, v20, s2
	v_lshlrev_b32_e32 v1, 2, v1
	ds_bpermute_b32 v26, v1, v3
	ds_bpermute_b32 v27, v1, v2
	s_and_saveexec_b32 s3, vcc_lo
	s_cbranch_execz .LBB541_57
; %bb.38:
	v_mov_b32_e32 v4, 0
	ds_read_b64 v[1:2], v4 offset:56
	s_and_saveexec_b32 s2, s1
	s_cbranch_execz .LBB541_40
; %bb.39:
	s_add_i32 s10, s6, 32
	s_mov_b32 s11, 0
	v_mov_b32_e32 v3, 1
	s_lshl_b64 s[10:11], s[10:11], 4
	s_add_u32 s10, s16, s10
	s_addc_u32 s11, s17, s11
	v_mov_b32_e32 v5, s10
	v_mov_b32_e32 v6, s11
	s_waitcnt lgkmcnt(0)
	;;#ASMSTART
	global_store_dwordx4 v[5:6], v[1:4] off	
s_waitcnt vmcnt(0)
	;;#ASMEND
.LBB541_40:
	s_or_b32 exec_lo, exec_lo, s2
	v_xad_u32 v15, v20, -1, s6
	s_mov_b32 s10, 0
	v_add_nc_u32_e32 v3, 32, v15
	v_lshlrev_b64 v[5:6], 4, v[3:4]
	v_add_co_u32 v16, vcc_lo, s16, v5
	v_add_co_ci_u32_e64 v17, null, s17, v6, vcc_lo
	;;#ASMSTART
	global_load_dwordx4 v[5:8], v[16:17] off glc dlc	
s_waitcnt vmcnt(0)
	;;#ASMEND
	v_and_b32_e32 v6, 0xff, v6
	v_cmp_eq_u16_sdwa s11, v7, v4 src0_sel:BYTE_0 src1_sel:DWORD
	s_and_saveexec_b32 s2, s11
	s_cbranch_execz .LBB541_44
; %bb.41:
	v_mov_b32_e32 v3, 0
.LBB541_42:                             ; =>This Inner Loop Header: Depth=1
	;;#ASMSTART
	global_load_dwordx4 v[5:8], v[16:17] off glc dlc	
s_waitcnt vmcnt(0)
	;;#ASMEND
	v_cmp_ne_u16_sdwa s11, v7, v3 src0_sel:BYTE_0 src1_sel:DWORD
	s_or_b32 s10, s11, s10
	s_andn2_b32 exec_lo, exec_lo, s10
	s_cbranch_execnz .LBB541_42
; %bb.43:
	s_or_b32 exec_lo, exec_lo, s10
	v_and_b32_e32 v6, 0xff, v6
.LBB541_44:
	s_or_b32 exec_lo, exec_lo, s2
	v_cmp_ne_u32_e32 vcc_lo, 31, v20
	v_mov_b32_e32 v28, 2
	v_lshlrev_b32_e64 v29, v20, -1
	v_and_b32_e32 v8, 1, v6
	s_mov_b32 s10, 0
	v_add_co_ci_u32_e64 v3, null, 0, v20, vcc_lo
	v_cmp_eq_u16_sdwa s2, v7, v28 src0_sel:BYTE_0 src1_sel:DWORD
	v_cmp_eq_u32_e32 vcc_lo, 1, v8
	s_mov_b32 s11, 1
	v_lshlrev_b32_e32 v17, 2, v3
	v_add_nc_u32_e32 v37, 8, v20
	v_and_or_b32 v4, s2, v29, 0x80000000
	v_cmp_gt_u64_e64 s2, s[10:11], v[5:6]
	v_lshl_or_b32 v38, v20, 2, 64
	ds_bpermute_b32 v3, v17, v6
	ds_bpermute_b32 v16, v17, v5
	v_ffbl_b32_e32 v4, v4
	v_add_nc_u32_e32 v39, 16, v20
	s_waitcnt lgkmcnt(1)
	v_and_b32_e32 v3, 1, v3
	v_cndmask_b32_e64 v3, v3, 1, vcc_lo
	v_cmp_gt_u32_e32 vcc_lo, 30, v20
	v_and_b32_e32 v31, 0xffff, v3
	v_cndmask_b32_e64 v8, 0, 2, vcc_lo
	v_cmp_lt_u32_e32 vcc_lo, v20, v4
	v_add_lshl_u32 v30, v8, v20, 2
	v_cndmask_b32_e32 v8, v6, v31, vcc_lo
	v_cndmask_b32_e32 v3, v6, v3, vcc_lo
	s_and_b32 vcc_lo, vcc_lo, s2
	s_waitcnt lgkmcnt(0)
	v_cndmask_b32_e32 v6, 0, v16, vcc_lo
	ds_bpermute_b32 v31, v30, v8
	v_and_b32_e32 v16, 1, v3
	v_add_nc_u32_e32 v5, v6, v5
	v_cmp_eq_u32_e32 vcc_lo, 1, v16
	v_mov_b32_e32 v16, 0
	ds_bpermute_b32 v6, v30, v5
	v_cmp_eq_u16_sdwa s2, v3, v16 src0_sel:BYTE_0 src1_sel:DWORD
	s_waitcnt lgkmcnt(1)
	v_and_b32_e32 v32, 1, v31
	v_add_nc_u32_e32 v31, 2, v20
	v_cndmask_b32_e64 v33, v32, 1, vcc_lo
	v_cmp_gt_u32_e32 vcc_lo, 28, v20
	v_and_b32_e32 v34, 0xffff, v33
	v_cndmask_b32_e64 v32, 0, 4, vcc_lo
	v_cmp_gt_u32_e32 vcc_lo, v31, v4
	v_add_lshl_u32 v32, v32, v20, 2
	v_cndmask_b32_e32 v8, v34, v8, vcc_lo
	v_cndmask_b32_e32 v35, v33, v3, vcc_lo
	s_waitcnt lgkmcnt(0)
	v_cndmask_b32_e64 v3, 0, v6, s2
	v_add_nc_u32_e32 v33, 4, v20
	ds_bpermute_b32 v6, v32, v8
	v_and_b32_e32 v34, 1, v35
	v_cndmask_b32_e64 v3, v3, 0, vcc_lo
	v_cmp_eq_u16_sdwa s2, v35, v16 src0_sel:BYTE_0 src1_sel:DWORD
	v_cmp_eq_u32_e32 vcc_lo, 1, v34
	v_add_nc_u32_e32 v3, v3, v5
	ds_bpermute_b32 v5, v32, v3
	s_waitcnt lgkmcnt(1)
	v_and_b32_e32 v6, 1, v6
	v_cndmask_b32_e64 v6, v6, 1, vcc_lo
	v_cmp_gt_u32_e32 vcc_lo, 24, v20
	v_and_b32_e32 v36, 0xffff, v6
	v_cndmask_b32_e64 v34, 0, 8, vcc_lo
	v_cmp_gt_u32_e32 vcc_lo, v33, v4
	s_waitcnt lgkmcnt(0)
	v_cndmask_b32_e64 v5, 0, v5, s2
	v_add_lshl_u32 v34, v34, v20, 2
	v_cndmask_b32_e32 v8, v36, v8, vcc_lo
	v_cndmask_b32_e32 v6, v6, v35, vcc_lo
	v_cndmask_b32_e64 v5, v5, 0, vcc_lo
	ds_bpermute_b32 v35, v34, v8
	v_and_b32_e32 v36, 1, v6
	v_add_nc_u32_e32 v3, v5, v3
	v_cmp_eq_u32_e32 vcc_lo, 1, v36
	ds_bpermute_b32 v5, v34, v3
	s_waitcnt lgkmcnt(1)
	v_and_b32_e32 v35, 1, v35
	v_cndmask_b32_e64 v35, v35, 1, vcc_lo
	v_cmp_eq_u16_sdwa vcc_lo, v6, v16 src0_sel:BYTE_0 src1_sel:DWORD
	v_and_b32_e32 v36, 0xffff, v35
	s_waitcnt lgkmcnt(0)
	v_cndmask_b32_e32 v5, 0, v5, vcc_lo
	v_cmp_gt_u32_e32 vcc_lo, v37, v4
	v_cndmask_b32_e64 v5, v5, 0, vcc_lo
	v_cndmask_b32_e32 v8, v36, v8, vcc_lo
	v_cndmask_b32_e32 v6, v35, v6, vcc_lo
	v_add_nc_u32_e32 v3, v5, v3
	ds_bpermute_b32 v5, v38, v8
	v_and_b32_e32 v35, 1, v6
	v_cmp_eq_u16_sdwa vcc_lo, v6, v16 src0_sel:BYTE_0 src1_sel:DWORD
	ds_bpermute_b32 v8, v38, v3
	s_waitcnt lgkmcnt(1)
	v_and_b32_e32 v5, 1, v5
	s_waitcnt lgkmcnt(0)
	v_cndmask_b32_e32 v8, 0, v8, vcc_lo
	v_cmp_eq_u32_e32 vcc_lo, 1, v35
	v_cndmask_b32_e64 v5, v5, 1, vcc_lo
	v_cmp_gt_u32_e32 vcc_lo, v39, v4
	v_cndmask_b32_e32 v4, v5, v6, vcc_lo
	v_cndmask_b32_e64 v5, v8, 0, vcc_lo
	v_add_nc_u32_e32 v3, v5, v3
	s_branch .LBB541_48
.LBB541_45:                             ;   in Loop: Header=BB541_48 Depth=1
	s_or_b32 exec_lo, exec_lo, s13
	v_and_b32_e32 v6, 0xff, v6
.LBB541_46:                             ;   in Loop: Header=BB541_48 Depth=1
	s_or_b32 exec_lo, exec_lo, s2
	ds_bpermute_b32 v3, v17, v6
	v_cmp_eq_u16_sdwa s2, v7, v28 src0_sel:BYTE_0 src1_sel:DWORD
	v_and_b32_e32 v4, 1, v6
	v_subrev_nc_u32_e32 v15, 32, v15
	v_and_or_b32 v8, s2, v29, 0x80000000
	v_cmp_eq_u32_e32 vcc_lo, 1, v4
	v_cmp_gt_u64_e64 s2, s[10:11], v[5:6]
	v_ffbl_b32_e32 v4, v8
	ds_bpermute_b32 v8, v17, v5
	s_waitcnt lgkmcnt(1)
	v_and_b32_e32 v3, 1, v3
	v_cndmask_b32_e64 v3, v3, 1, vcc_lo
	v_cmp_lt_u32_e32 vcc_lo, v20, v4
	v_and_b32_e32 v40, 0xffff, v3
	v_cndmask_b32_e32 v3, v6, v3, vcc_lo
	v_cndmask_b32_e32 v40, v6, v40, vcc_lo
	s_and_b32 vcc_lo, vcc_lo, s2
	v_cmp_eq_u16_sdwa s2, v3, v16 src0_sel:BYTE_0 src1_sel:DWORD
	s_waitcnt lgkmcnt(0)
	v_cndmask_b32_e32 v6, 0, v8, vcc_lo
	v_and_b32_e32 v8, 1, v3
	ds_bpermute_b32 v41, v30, v40
	v_add_nc_u32_e32 v5, v6, v5
	v_cmp_eq_u32_e32 vcc_lo, 1, v8
	ds_bpermute_b32 v6, v30, v5
	s_waitcnt lgkmcnt(1)
	v_and_b32_e32 v41, 1, v41
	v_cndmask_b32_e64 v8, v41, 1, vcc_lo
	v_cmp_gt_u32_e32 vcc_lo, v31, v4
	v_and_b32_e32 v41, 0xffff, v8
	v_cndmask_b32_e32 v8, v8, v3, vcc_lo
	s_waitcnt lgkmcnt(0)
	v_cndmask_b32_e64 v3, 0, v6, s2
	v_cndmask_b32_e32 v40, v41, v40, vcc_lo
	v_and_b32_e32 v41, 1, v8
	v_cndmask_b32_e64 v3, v3, 0, vcc_lo
	v_cmp_eq_u16_sdwa s2, v8, v16 src0_sel:BYTE_0 src1_sel:DWORD
	ds_bpermute_b32 v6, v32, v40
	v_cmp_eq_u32_e32 vcc_lo, 1, v41
	v_add_nc_u32_e32 v3, v3, v5
	ds_bpermute_b32 v5, v32, v3
	s_waitcnt lgkmcnt(1)
	v_and_b32_e32 v6, 1, v6
	v_cndmask_b32_e64 v6, v6, 1, vcc_lo
	v_cmp_gt_u32_e32 vcc_lo, v33, v4
	s_waitcnt lgkmcnt(0)
	v_cndmask_b32_e64 v5, 0, v5, s2
	s_mov_b32 s2, 0
	v_and_b32_e32 v41, 0xffff, v6
	v_cndmask_b32_e32 v6, v6, v8, vcc_lo
	v_cndmask_b32_e64 v5, v5, 0, vcc_lo
	v_cndmask_b32_e32 v8, v41, v40, vcc_lo
	v_and_b32_e32 v41, 1, v6
	v_add_nc_u32_e32 v3, v5, v3
	ds_bpermute_b32 v40, v34, v8
	v_cmp_eq_u32_e32 vcc_lo, 1, v41
	ds_bpermute_b32 v5, v34, v3
	s_waitcnt lgkmcnt(1)
	v_and_b32_e32 v40, 1, v40
	v_cndmask_b32_e64 v40, v40, 1, vcc_lo
	v_cmp_eq_u16_sdwa vcc_lo, v6, v16 src0_sel:BYTE_0 src1_sel:DWORD
	v_and_b32_e32 v41, 0xffff, v40
	s_waitcnt lgkmcnt(0)
	v_cndmask_b32_e32 v5, 0, v5, vcc_lo
	v_cmp_gt_u32_e32 vcc_lo, v37, v4
	v_cndmask_b32_e64 v5, v5, 0, vcc_lo
	v_cndmask_b32_e32 v8, v41, v8, vcc_lo
	v_cndmask_b32_e32 v6, v40, v6, vcc_lo
	v_add_nc_u32_e32 v3, v5, v3
	ds_bpermute_b32 v5, v38, v8
	v_and_b32_e32 v40, 1, v6
	ds_bpermute_b32 v8, v38, v3
	v_cmp_eq_u32_e32 vcc_lo, 1, v40
	s_waitcnt lgkmcnt(1)
	v_cndmask_b32_e64 v5, v5, 1, vcc_lo
	v_cmp_eq_u16_sdwa vcc_lo, v6, v16 src0_sel:BYTE_0 src1_sel:DWORD
	s_waitcnt lgkmcnt(0)
	v_cndmask_b32_e32 v8, 0, v8, vcc_lo
	v_cmp_gt_u32_e32 vcc_lo, v39, v4
	v_cndmask_b32_e32 v4, v5, v6, vcc_lo
	v_cndmask_b32_e64 v5, v8, 0, vcc_lo
	v_cmp_eq_u16_sdwa vcc_lo, v35, v16 src0_sel:BYTE_0 src1_sel:DWORD
	v_and_b32_e32 v4, 1, v4
	v_add_nc_u32_e32 v3, v5, v3
	v_and_b32_e32 v5, 1, v35
	v_cndmask_b32_e32 v3, 0, v3, vcc_lo
	v_cmp_eq_u32_e32 vcc_lo, 1, v5
	v_add_nc_u32_e32 v3, v3, v36
	v_cndmask_b32_e64 v4, v4, 1, vcc_lo
.LBB541_47:                             ;   in Loop: Header=BB541_48 Depth=1
	s_and_b32 vcc_lo, exec_lo, s2
	s_cbranch_vccnz .LBB541_53
.LBB541_48:                             ; =>This Loop Header: Depth=1
                                        ;     Child Loop BB541_51 Depth 2
	v_cmp_ne_u16_sdwa s2, v7, v28 src0_sel:BYTE_0 src1_sel:DWORD
	v_mov_b32_e32 v35, v4
	v_mov_b32_e32 v36, v3
                                        ; implicit-def: $vgpr4
                                        ; implicit-def: $vgpr3
                                        ; implicit-def: $vgpr7
	s_cmp_lg_u32 s2, exec_lo
	s_mov_b32 s2, -1
	s_cbranch_scc1 .LBB541_47
; %bb.49:                               ;   in Loop: Header=BB541_48 Depth=1
	v_lshlrev_b64 v[3:4], 4, v[15:16]
	v_add_co_u32 v3, vcc_lo, s16, v3
	v_add_co_ci_u32_e64 v4, null, s17, v4, vcc_lo
	;;#ASMSTART
	global_load_dwordx4 v[5:8], v[3:4] off glc dlc	
s_waitcnt vmcnt(0)
	;;#ASMEND
	v_and_b32_e32 v6, 0xff, v6
	v_cmp_eq_u16_sdwa s13, v7, v16 src0_sel:BYTE_0 src1_sel:DWORD
	s_and_saveexec_b32 s2, s13
	s_cbranch_execz .LBB541_46
; %bb.50:                               ;   in Loop: Header=BB541_48 Depth=1
	s_mov_b32 s13, 0
.LBB541_51:                             ;   Parent Loop BB541_48 Depth=1
                                        ; =>  This Inner Loop Header: Depth=2
	;;#ASMSTART
	global_load_dwordx4 v[5:8], v[3:4] off glc dlc	
s_waitcnt vmcnt(0)
	;;#ASMEND
	v_cmp_ne_u16_sdwa s19, v7, v16 src0_sel:BYTE_0 src1_sel:DWORD
	s_or_b32 s13, s19, s13
	s_andn2_b32 exec_lo, exec_lo, s13
	s_cbranch_execnz .LBB541_51
	s_branch .LBB541_45
.LBB541_52:
                                        ; implicit-def: $vgpr6
                                        ; implicit-def: $vgpr5
                                        ; implicit-def: $vgpr7
	s_cbranch_execnz .LBB541_58
	s_branch .LBB541_73
.LBB541_53:
	s_and_saveexec_b32 s2, s1
	s_cbranch_execz .LBB541_55
; %bb.54:
	v_mov_b32_e32 v4, 0
	v_and_b32_e32 v3, 1, v2
	s_mov_b32 s11, 0
	s_add_i32 s10, s6, 32
	v_and_b32_e32 v5, 1, v35
	v_cmp_eq_u32_sdwa vcc_lo, v2, v4 src0_sel:BYTE_0 src1_sel:DWORD
	s_lshl_b64 s[10:11], s[10:11], 4
	s_add_u32 s10, s16, s10
	s_addc_u32 s11, s17, s11
	v_cndmask_b32_e32 v2, 0, v36, vcc_lo
	v_cmp_eq_u32_e32 vcc_lo, 1, v3
	v_mov_b32_e32 v3, 2
	v_add_nc_u32_e32 v1, v2, v1
	v_cndmask_b32_e64 v2, v5, 1, vcc_lo
	v_mov_b32_e32 v5, s10
	v_mov_b32_e32 v6, s11
	;;#ASMSTART
	global_store_dwordx4 v[5:6], v[1:4] off	
s_waitcnt vmcnt(0)
	;;#ASMEND
.LBB541_55:
	s_or_b32 exec_lo, exec_lo, s2
	v_cmp_eq_u32_e32 vcc_lo, 0, v0
	s_and_b32 exec_lo, exec_lo, vcc_lo
	s_cbranch_execz .LBB541_57
; %bb.56:
	v_mov_b32_e32 v1, 0
	ds_write_b32 v1, v36 offset:56
	ds_write_b8 v1, v35 offset:60
.LBB541_57:
	s_or_b32 exec_lo, exec_lo, s3
	v_mov_b32_e32 v1, 0
	s_waitcnt lgkmcnt(0)
	s_barrier
	buffer_gl0_inv
	v_cndmask_b32_e64 v2, v27, v25, s1
	ds_read_b32 v3, v1 offset:56
	v_cndmask_b32_e64 v4, v26, v24, s1
	v_cmp_eq_u16_sdwa vcc_lo, v2, v1 src0_sel:BYTE_0 src1_sel:DWORD
	s_waitcnt lgkmcnt(0)
	v_cndmask_b32_e32 v2, 0, v3, vcc_lo
	v_cmp_eq_u32_e32 vcc_lo, 0, v0
	v_add_nc_u32_e32 v4, v2, v4
	v_and_b32_e32 v2, 0xff, v10
	v_cndmask_b32_e32 v6, v4, v3, vcc_lo
	v_cmp_eq_u64_e32 vcc_lo, 0, v[1:2]
	v_cndmask_b32_e32 v1, 0, v6, vcc_lo
	v_add_nc_u32_e32 v5, v1, v9
	v_cndmask_b32_e64 v1, 0, v5, s0
	v_add_nc_u32_e32 v7, v1, v11
	s_branch .LBB541_73
.LBB541_58:
	s_cmp_eq_u64 s[24:25], 0
	v_mov_b32_e32 v3, s26
	s_cselect_b32 s0, -1, 0
	s_cmp_eq_u64 s[22:23], 0
	s_cselect_b32 s1, -1, 0
	s_or_b32 s0, s0, s1
	s_and_b32 vcc_lo, exec_lo, s0
	s_cbranch_vccnz .LBB541_60
; %bb.59:
	v_mov_b32_e32 v1, 0
	global_load_dword v3, v1, s[22:23]
.LBB541_60:
	v_and_b32_e32 v2, 0xff, v23
	v_mov_b32_e32 v1, 0
	s_mov_b32 s2, 0
	s_mov_b32 s3, 1
	v_cmp_gt_u64_e32 vcc_lo, s[2:3], v[11:12]
	v_cmp_eq_u64_e64 s0, 0, v[1:2]
	v_cndmask_b32_e32 v4, 0, v9, vcc_lo
	v_cndmask_b32_e64 v2, 1, v10, s0
	v_cmp_gt_u64_e64 s0, s[2:3], v[13:14]
	v_add_nc_u32_e32 v4, v4, v11
	v_and_b32_e32 v5, 0xff, v2
	v_and_b32_e32 v7, 1, v2
	v_cndmask_b32_e64 v4, 0, v4, s0
	v_mov_b32_dpp v6, v5 row_shr:1 row_mask:0xf bank_mask:0xf
	v_cmp_eq_u32_e64 s0, 1, v7
	v_and_b32_e32 v7, 15, v20
	v_add_nc_u32_e32 v4, v4, v13
	v_and_b32_e32 v6, 1, v6
	v_mov_b32_dpp v8, v4 row_shr:1 row_mask:0xf bank_mask:0xf
	v_cndmask_b32_e64 v6, v6, 1, s0
	v_cmp_eq_u16_e64 s0, 0, v5
	v_and_b32_e32 v12, 0xffff, v6
	v_cndmask_b32_e64 v8, 0, v8, s0
	v_cmp_eq_u32_e64 s0, 0, v7
	v_cndmask_b32_e64 v5, v12, v5, s0
	v_cndmask_b32_e64 v2, v6, v2, s0
	;; [unrolled: 1-line block ×3, first 2 shown]
	v_mov_b32_dpp v6, v5 row_shr:2 row_mask:0xf bank_mask:0xf
	v_and_b32_e32 v12, 1, v2
	v_add_nc_u32_e32 v4, v8, v4
	v_cmp_eq_u16_sdwa s2, v2, v1 src0_sel:BYTE_0 src1_sel:DWORD
	v_and_b32_e32 v6, 1, v6
	v_cmp_eq_u32_e64 s0, 1, v12
	v_cndmask_b32_e64 v6, v6, 1, s0
	v_cmp_lt_u32_e64 s0, 1, v7
	v_and_b32_e32 v12, 0xffff, v6
	v_cndmask_b32_e64 v6, v2, v6, s0
	v_mov_b32_dpp v2, v4 row_shr:2 row_mask:0xf bank_mask:0xf
	v_cndmask_b32_e64 v5, v5, v12, s0
	v_and_b32_e32 v8, 1, v6
	s_and_b32 s0, s0, s2
	v_cndmask_b32_e64 v2, 0, v2, s0
	v_mov_b32_dpp v12, v5 row_shr:4 row_mask:0xf bank_mask:0xf
	v_cmp_eq_u32_e64 s1, 1, v8
	v_cmp_lt_u32_e64 s0, 3, v7
	v_add_nc_u32_e32 v2, v2, v4
	v_and_b32_e32 v12, 1, v12
	v_cndmask_b32_e64 v8, v12, 1, s1
	v_cmp_eq_u16_sdwa s1, v6, v1 src0_sel:BYTE_0 src1_sel:DWORD
	v_and_b32_e32 v12, 0xffff, v8
	v_cndmask_b32_e64 v4, v6, v8, s0
	v_mov_b32_dpp v6, v2 row_shr:4 row_mask:0xf bank_mask:0xf
	v_cndmask_b32_e64 v5, v5, v12, s0
	s_and_b32 s0, s0, s1
	v_and_b32_e32 v12, 1, v4
	v_cndmask_b32_e64 v6, 0, v6, s0
	v_cmp_eq_u16_sdwa s1, v4, v1 src0_sel:BYTE_0 src1_sel:DWORD
	v_mov_b32_dpp v8, v5 row_shr:8 row_mask:0xf bank_mask:0xf
	v_cmp_eq_u32_e64 s0, 1, v12
	v_add_nc_u32_e32 v2, v6, v2
	v_and_b32_e32 v8, 1, v8
	v_cndmask_b32_e64 v6, v8, 1, s0
	v_cmp_lt_u32_e64 s0, 7, v7
	v_mov_b32_dpp v7, v2 row_shr:8 row_mask:0xf bank_mask:0xf
	s_and_b32 s1, s0, s1
	v_cndmask_b32_e64 v8, v4, v6, s0
	v_cndmask_b32_e64 v4, 0, v7, s1
	v_and_b32_e32 v6, 0xffff, v6
	v_and_b32_e32 v7, 16, v20
	v_add_nc_u32_e32 v2, v4, v2
	v_cndmask_b32_e64 v4, v5, v6, s0
	v_cmp_eq_u16_sdwa s0, v8, v1 src0_sel:BYTE_0 src1_sel:DWORD
	v_bfe_i32 v6, v20, 4, 1
	v_cmp_eq_u32_e64 s1, 0, v7
	ds_swizzle_b32 v5, v2 offset:swizzle(BROADCAST,32,15)
	ds_swizzle_b32 v4, v4 offset:swizzle(BROADCAST,32,15)
	s_waitcnt lgkmcnt(1)
	v_cndmask_b32_e64 v1, 0, v5, s0
	v_and_b32_e32 v5, 1, v8
	s_waitcnt lgkmcnt(0)
	v_and_b32_e32 v4, 1, v4
	v_and_b32_e32 v1, v6, v1
	v_cmp_eq_u32_e64 s0, 1, v5
	v_lshlrev_b32_e32 v6, 3, v21
	v_cndmask_b32_e64 v5, v4, 1, s0
	v_add_nc_u32_e32 v4, v1, v2
	v_cndmask_b32_e64 v5, v5, v8, s1
	s_mov_b32 s1, exec_lo
	v_cmpx_eq_u32_e64 v0, v22
	s_cbranch_execz .LBB541_62
; %bb.61:
	ds_write_b32 v6, v4
	ds_write_b8 v6, v5 offset:4
.LBB541_62:
	s_or_b32 exec_lo, exec_lo, s1
	s_mov_b32 s1, exec_lo
	s_waitcnt vmcnt(0) lgkmcnt(0)
	s_barrier
	buffer_gl0_inv
	v_cmpx_gt_u32_e32 8, v0
	s_cbranch_execz .LBB541_68
; %bb.63:
	ds_read_b64 v[1:2], v19
	v_and_b32_e32 v7, 7, v20
	s_mov_b32 s2, exec_lo
	s_waitcnt lgkmcnt(0)
	v_and_b32_e32 v8, 0xffffff00, v2
	v_mov_b32_dpp v13, v1 row_shr:1 row_mask:0xf bank_mask:0xf
	v_mov_b32_dpp v14, v2 row_shr:1 row_mask:0xf bank_mask:0xf
	v_mov_b32_e32 v12, v2
	v_cmpx_ne_u32_e32 0, v7
	s_cbranch_execz .LBB541_65
; %bb.64:
	v_mov_b32_e32 v12, 0
	v_and_b32_e32 v15, 1, v2
	v_and_b32_e32 v14, 1, v14
	v_cmp_eq_u16_sdwa s0, v2, v12 src0_sel:BYTE_0 src1_sel:DWORD
	v_cndmask_b32_e64 v2, 0, v13, s0
	v_cmp_eq_u32_e64 s0, 1, v15
	v_add_nc_u32_e32 v1, v2, v1
	v_cndmask_b32_e64 v13, v14, 1, s0
	v_or_b32_sdwa v12, v8, v13 dst_sel:DWORD dst_unused:UNUSED_PAD src0_sel:DWORD src1_sel:WORD_0
	v_mov_b32_e32 v2, v13
.LBB541_65:
	s_or_b32 exec_lo, exec_lo, s2
	v_mov_b32_dpp v13, v1 row_shr:2 row_mask:0xf bank_mask:0xf
	v_mov_b32_dpp v14, v12 row_shr:2 row_mask:0xf bank_mask:0xf
	s_mov_b32 s2, exec_lo
	v_cmpx_lt_u32_e32 1, v7
	s_cbranch_execz .LBB541_67
; %bb.66:
	v_mov_b32_e32 v12, 0
	v_and_b32_e32 v15, 1, v2
	v_and_b32_e32 v14, 1, v14
	v_cmp_eq_u16_sdwa s0, v2, v12 src0_sel:BYTE_0 src1_sel:DWORD
	v_cndmask_b32_e64 v2, 0, v13, s0
	v_cmp_eq_u32_e64 s0, 1, v15
	v_add_nc_u32_e32 v1, v2, v1
	v_cndmask_b32_e64 v13, v14, 1, s0
	v_or_b32_sdwa v12, v8, v13 dst_sel:DWORD dst_unused:UNUSED_PAD src0_sel:DWORD src1_sel:WORD_0
	v_mov_b32_e32 v2, v13
.LBB541_67:
	s_or_b32 exec_lo, exec_lo, s2
	v_mov_b32_dpp v8, v12 row_shr:4 row_mask:0xf bank_mask:0xf
	v_and_b32_e32 v13, 1, v2
	v_mov_b32_e32 v12, 0
	v_and_b32_e32 v8, 1, v8
	v_cmp_eq_u32_e64 s0, 1, v13
	v_cmp_eq_u16_sdwa s2, v2, v12 src0_sel:BYTE_0 src1_sel:DWORD
	v_cndmask_b32_e64 v8, v8, 1, s0
	v_cmp_lt_u32_e64 s0, 3, v7
	v_mov_b32_dpp v7, v1 row_shr:4 row_mask:0xf bank_mask:0xf
	v_cndmask_b32_e64 v2, v2, v8, s0
	s_and_b32 s0, s0, s2
	v_cndmask_b32_e64 v7, 0, v7, s0
	v_add_nc_u32_e32 v1, v7, v1
	ds_write_b32 v19, v1
	ds_write_b8 v19, v2 offset:4
.LBB541_68:
	s_or_b32 exec_lo, exec_lo, s1
	v_mov_b32_e32 v2, v3
	s_mov_b32 s1, exec_lo
	s_waitcnt lgkmcnt(0)
	s_barrier
	buffer_gl0_inv
	v_cmpx_lt_u32_e32 31, v0
	s_cbranch_execz .LBB541_70
; %bb.69:
	v_add_nc_u32_e32 v1, -4, v6
	v_add_nc_u32_e32 v2, -8, v6
	ds_read_u8 v1, v1
	ds_read_b32 v2, v2
	s_waitcnt lgkmcnt(1)
	v_cmp_eq_u16_e64 s0, 0, v1
	v_cndmask_b32_e64 v1, 0, v3, s0
	s_waitcnt lgkmcnt(0)
	v_add_nc_u32_e32 v2, v1, v2
.LBB541_70:
	s_or_b32 exec_lo, exec_lo, s1
	v_mov_b32_e32 v1, 0
	v_sub_co_u32 v6, s0, v20, 1
	v_cmp_eq_u16_sdwa s1, v5, v1 src0_sel:BYTE_0 src1_sel:DWORD
	v_cndmask_b32_e64 v5, 0, v2, s1
	v_cmp_gt_i32_e64 s1, 0, v6
	v_add_nc_u32_e32 v4, v5, v4
	v_cndmask_b32_e64 v6, v6, v20, s1
	v_lshlrev_b32_e32 v5, 2, v6
	ds_bpermute_b32 v4, v5, v4
	s_waitcnt lgkmcnt(0)
	v_cndmask_b32_e64 v6, v4, v2, s0
	v_and_b32_e32 v2, 0xff, v10
	v_cmp_eq_u32_e64 s0, 0, v0
	v_cmp_eq_u64_e64 s1, 0, v[1:2]
	v_cndmask_b32_e64 v4, v6, v3, s0
	v_cndmask_b32_e64 v2, 0, v4, s1
	v_add_nc_u32_e32 v5, v2, v9
	v_cndmask_b32_e32 v2, 0, v5, vcc_lo
	s_and_saveexec_b32 s1, s0
	s_cbranch_execz .LBB541_72
; %bb.71:
	ds_read_u8 v4, v1 offset:60
	ds_read_b32 v6, v1 offset:56
	v_mov_b32_e32 v9, v1
	s_add_u32 s2, s16, 0x200
	s_addc_u32 s3, s17, 0
	v_mov_b32_e32 v10, v1
	v_mov_b32_e32 v13, s3
	;; [unrolled: 1-line block ×3, first 2 shown]
	s_waitcnt lgkmcnt(1)
	v_and_b32_e32 v8, 0xffff, v4
	v_cmp_eq_u64_e32 vcc_lo, 0, v[8:9]
	v_mov_b32_e32 v9, 2
	v_cndmask_b32_e32 v4, 0, v3, vcc_lo
	s_waitcnt lgkmcnt(0)
	v_add_nc_u32_e32 v7, v4, v6
	v_mov_b32_e32 v6, v3
	;;#ASMSTART
	global_store_dwordx4 v[12:13], v[7:10] off	
s_waitcnt vmcnt(0)
	;;#ASMEND
.LBB541_72:
	s_or_b32 exec_lo, exec_lo, s1
	v_add_nc_u32_e32 v7, v2, v11
.LBB541_73:
	s_add_u32 s0, s14, s4
	v_mov_b32_e32 v3, 0
	s_addc_u32 s1, s15, s5
	s_add_u32 s0, s0, s8
	s_addc_u32 s1, s1, s9
	s_and_b32 vcc_lo, exec_lo, s7
	s_cbranch_vccz .LBB541_85
; %bb.74:
	v_mul_u32_u24_e32 v1, 3, v0
	v_mov_b32_e32 v4, 0
	v_mov_b32_e32 v2, 0
	s_add_i32 s12, s12, s18
	s_mov_b32 s2, exec_lo
	v_cmpx_gt_u32_e64 s12, v1
	s_cbranch_execz .LBB541_80
; %bb.75:
	v_add_nc_u32_e32 v3, 1, v1
	v_mov_b32_e32 v2, 0
	v_mov_b32_e32 v4, 0
	s_mov_b32 s3, exec_lo
	v_cmpx_gt_u32_e64 s12, v3
	s_cbranch_execz .LBB541_79
; %bb.76:
	v_add_nc_u32_e32 v2, 2, v1
	v_cmp_gt_u32_e32 vcc_lo, s12, v2
	v_mov_b32_e32 v2, 0
	s_and_saveexec_b32 s4, vcc_lo
; %bb.77:
	v_mov_b32_e32 v2, v7
; %bb.78:
	s_or_b32 exec_lo, exec_lo, s4
	v_mov_b32_e32 v4, v5
.LBB541_79:
	s_or_b32 exec_lo, exec_lo, s3
	v_mov_b32_e32 v3, v6
.LBB541_80:
	s_or_b32 exec_lo, exec_lo, s2
	v_lshlrev_b32_e32 v8, 2, v1
	s_barrier
	buffer_gl0_inv
	v_sub_nc_u32_e32 v1, v8, v19
	ds_write2_b32 v8, v3, v4 offset1:1
	ds_write_b32 v8, v2 offset:8
	s_waitcnt lgkmcnt(0)
	s_barrier
	buffer_gl0_inv
	ds_read2st64_b32 v[1:2], v1 offset0:4 offset1:8
	v_add_co_u32 v3, s2, s0, v18
	v_add_co_ci_u32_e64 v4, null, s1, 0, s2
	s_mov_b32 s2, exec_lo
	v_cmpx_gt_u32_e64 s12, v0
	s_cbranch_execz .LBB541_82
; %bb.81:
	v_sub_nc_u32_e32 v9, 0, v19
	v_add_nc_u32_e32 v8, v8, v9
	ds_read_b32 v8, v8
	s_waitcnt lgkmcnt(0)
	flat_store_dword v[3:4], v8
.LBB541_82:
	s_or_b32 exec_lo, exec_lo, s2
	v_or_b32_e32 v8, 0x100, v0
	s_mov_b32 s2, exec_lo
	v_cmpx_gt_u32_e64 s12, v8
	s_cbranch_execz .LBB541_84
; %bb.83:
	s_waitcnt lgkmcnt(0)
	flat_store_dword v[3:4], v1 offset:1024
.LBB541_84:
	s_or_b32 exec_lo, exec_lo, s2
	s_waitcnt lgkmcnt(0)
	v_or_b32_e32 v1, 0x200, v0
	v_cmp_gt_u32_e64 s2, s12, v1
	s_branch .LBB541_87
.LBB541_85:
	s_mov_b32 s2, 0
                                        ; implicit-def: $vgpr2
	s_cbranch_execz .LBB541_87
; %bb.86:
	v_mul_u32_u24_e32 v1, 12, v0
	s_waitcnt_vscnt null, 0x0
	s_barrier
	buffer_gl0_inv
	s_or_b32 s2, s2, exec_lo
	v_sub_nc_u32_e32 v2, v1, v19
	ds_write2_b32 v1, v6, v5 offset1:1
	ds_write_b32 v1, v7 offset:8
	s_waitcnt lgkmcnt(0)
	s_barrier
	buffer_gl0_inv
	ds_read2st64_b32 v[3:4], v2 offset1:4
	ds_read_b32 v2, v2 offset:2048
	v_add_co_u32 v5, s3, s0, v18
	v_add_co_ci_u32_e64 v6, null, s1, 0, s3
	s_waitcnt lgkmcnt(1)
	flat_store_dword v[5:6], v3
	flat_store_dword v[5:6], v4 offset:1024
.LBB541_87:
	s_and_saveexec_b32 s3, s2
	s_cbranch_execnz .LBB541_89
; %bb.88:
	s_endpgm
.LBB541_89:
	v_lshlrev_b32_e32 v0, 2, v0
	v_add_co_u32 v0, s0, s0, v0
	v_add_co_ci_u32_e64 v1, null, s1, 0, s0
	v_add_co_u32 v0, vcc_lo, 0x800, v0
	v_add_co_ci_u32_e64 v1, null, 0, v1, vcc_lo
	s_waitcnt lgkmcnt(2)
	flat_store_dword v[0:1], v2
	s_endpgm
.LBB541_90:
	v_add_co_u32 v2, s20, s3, v10
	v_add_co_ci_u32_e64 v3, null, s13, 0, s20
	v_mov_b32_e32 v12, v1
	v_mov_b32_e32 v13, v1
	flat_load_dword v11, v[2:3]
	s_waitcnt vmcnt(0) lgkmcnt(0)
	v_mov_b32_e32 v1, v11
	v_mov_b32_e32 v2, v12
	;; [unrolled: 1-line block ×3, first 2 shown]
	s_or_b32 exec_lo, exec_lo, s2
	s_and_saveexec_b32 s2, s0
	s_cbranch_execz .LBB541_11
.LBB541_91:
	v_add_co_u32 v11, s0, s3, v10
	v_add_co_ci_u32_e64 v12, null, s13, 0, s0
	flat_load_dword v2, v[11:12] offset:1024
	s_or_b32 exec_lo, exec_lo, s2
	v_mul_u32_u24_e32 v13, 3, v0
	s_and_saveexec_b32 s0, s1
	s_cbranch_execnz .LBB541_12
	s_branch .LBB541_13
	.section	.rodata,"a",@progbits
	.p2align	6, 0x0
	.amdhsa_kernel _ZN7rocprim17ROCPRIM_400000_NS6detail17trampoline_kernelINS0_14default_configENS1_27scan_by_key_config_selectorIiiEEZZNS1_16scan_by_key_implILNS1_25lookback_scan_determinismE0ELb1ES3_N6thrust23THRUST_200600_302600_NS6detail15normal_iteratorINS9_10device_ptrIiEEEESE_SE_iNS9_4plusIvEENS9_8equal_toIiEEiEE10hipError_tPvRmT2_T3_T4_T5_mT6_T7_P12ihipStream_tbENKUlT_T0_E_clISt17integral_constantIbLb0EESZ_EEDaSU_SV_EUlSU_E_NS1_11comp_targetILNS1_3genE8ELNS1_11target_archE1030ELNS1_3gpuE2ELNS1_3repE0EEENS1_30default_config_static_selectorELNS0_4arch9wavefront6targetE0EEEvT1_
		.amdhsa_group_segment_fixed_size 5120
		.amdhsa_private_segment_fixed_size 0
		.amdhsa_kernarg_size 112
		.amdhsa_user_sgpr_count 6
		.amdhsa_user_sgpr_private_segment_buffer 1
		.amdhsa_user_sgpr_dispatch_ptr 0
		.amdhsa_user_sgpr_queue_ptr 0
		.amdhsa_user_sgpr_kernarg_segment_ptr 1
		.amdhsa_user_sgpr_dispatch_id 0
		.amdhsa_user_sgpr_flat_scratch_init 0
		.amdhsa_user_sgpr_private_segment_size 0
		.amdhsa_wavefront_size32 1
		.amdhsa_uses_dynamic_stack 0
		.amdhsa_system_sgpr_private_segment_wavefront_offset 0
		.amdhsa_system_sgpr_workgroup_id_x 1
		.amdhsa_system_sgpr_workgroup_id_y 0
		.amdhsa_system_sgpr_workgroup_id_z 0
		.amdhsa_system_sgpr_workgroup_info 0
		.amdhsa_system_vgpr_workitem_id 0
		.amdhsa_next_free_vgpr 42
		.amdhsa_next_free_sgpr 30
		.amdhsa_reserve_vcc 1
		.amdhsa_reserve_flat_scratch 1
		.amdhsa_float_round_mode_32 0
		.amdhsa_float_round_mode_16_64 0
		.amdhsa_float_denorm_mode_32 3
		.amdhsa_float_denorm_mode_16_64 3
		.amdhsa_dx10_clamp 1
		.amdhsa_ieee_mode 1
		.amdhsa_fp16_overflow 0
		.amdhsa_workgroup_processor_mode 1
		.amdhsa_memory_ordered 1
		.amdhsa_forward_progress 1
		.amdhsa_shared_vgpr_count 0
		.amdhsa_exception_fp_ieee_invalid_op 0
		.amdhsa_exception_fp_denorm_src 0
		.amdhsa_exception_fp_ieee_div_zero 0
		.amdhsa_exception_fp_ieee_overflow 0
		.amdhsa_exception_fp_ieee_underflow 0
		.amdhsa_exception_fp_ieee_inexact 0
		.amdhsa_exception_int_div_zero 0
	.end_amdhsa_kernel
	.section	.text._ZN7rocprim17ROCPRIM_400000_NS6detail17trampoline_kernelINS0_14default_configENS1_27scan_by_key_config_selectorIiiEEZZNS1_16scan_by_key_implILNS1_25lookback_scan_determinismE0ELb1ES3_N6thrust23THRUST_200600_302600_NS6detail15normal_iteratorINS9_10device_ptrIiEEEESE_SE_iNS9_4plusIvEENS9_8equal_toIiEEiEE10hipError_tPvRmT2_T3_T4_T5_mT6_T7_P12ihipStream_tbENKUlT_T0_E_clISt17integral_constantIbLb0EESZ_EEDaSU_SV_EUlSU_E_NS1_11comp_targetILNS1_3genE8ELNS1_11target_archE1030ELNS1_3gpuE2ELNS1_3repE0EEENS1_30default_config_static_selectorELNS0_4arch9wavefront6targetE0EEEvT1_,"axG",@progbits,_ZN7rocprim17ROCPRIM_400000_NS6detail17trampoline_kernelINS0_14default_configENS1_27scan_by_key_config_selectorIiiEEZZNS1_16scan_by_key_implILNS1_25lookback_scan_determinismE0ELb1ES3_N6thrust23THRUST_200600_302600_NS6detail15normal_iteratorINS9_10device_ptrIiEEEESE_SE_iNS9_4plusIvEENS9_8equal_toIiEEiEE10hipError_tPvRmT2_T3_T4_T5_mT6_T7_P12ihipStream_tbENKUlT_T0_E_clISt17integral_constantIbLb0EESZ_EEDaSU_SV_EUlSU_E_NS1_11comp_targetILNS1_3genE8ELNS1_11target_archE1030ELNS1_3gpuE2ELNS1_3repE0EEENS1_30default_config_static_selectorELNS0_4arch9wavefront6targetE0EEEvT1_,comdat
.Lfunc_end541:
	.size	_ZN7rocprim17ROCPRIM_400000_NS6detail17trampoline_kernelINS0_14default_configENS1_27scan_by_key_config_selectorIiiEEZZNS1_16scan_by_key_implILNS1_25lookback_scan_determinismE0ELb1ES3_N6thrust23THRUST_200600_302600_NS6detail15normal_iteratorINS9_10device_ptrIiEEEESE_SE_iNS9_4plusIvEENS9_8equal_toIiEEiEE10hipError_tPvRmT2_T3_T4_T5_mT6_T7_P12ihipStream_tbENKUlT_T0_E_clISt17integral_constantIbLb0EESZ_EEDaSU_SV_EUlSU_E_NS1_11comp_targetILNS1_3genE8ELNS1_11target_archE1030ELNS1_3gpuE2ELNS1_3repE0EEENS1_30default_config_static_selectorELNS0_4arch9wavefront6targetE0EEEvT1_, .Lfunc_end541-_ZN7rocprim17ROCPRIM_400000_NS6detail17trampoline_kernelINS0_14default_configENS1_27scan_by_key_config_selectorIiiEEZZNS1_16scan_by_key_implILNS1_25lookback_scan_determinismE0ELb1ES3_N6thrust23THRUST_200600_302600_NS6detail15normal_iteratorINS9_10device_ptrIiEEEESE_SE_iNS9_4plusIvEENS9_8equal_toIiEEiEE10hipError_tPvRmT2_T3_T4_T5_mT6_T7_P12ihipStream_tbENKUlT_T0_E_clISt17integral_constantIbLb0EESZ_EEDaSU_SV_EUlSU_E_NS1_11comp_targetILNS1_3genE8ELNS1_11target_archE1030ELNS1_3gpuE2ELNS1_3repE0EEENS1_30default_config_static_selectorELNS0_4arch9wavefront6targetE0EEEvT1_
                                        ; -- End function
	.set _ZN7rocprim17ROCPRIM_400000_NS6detail17trampoline_kernelINS0_14default_configENS1_27scan_by_key_config_selectorIiiEEZZNS1_16scan_by_key_implILNS1_25lookback_scan_determinismE0ELb1ES3_N6thrust23THRUST_200600_302600_NS6detail15normal_iteratorINS9_10device_ptrIiEEEESE_SE_iNS9_4plusIvEENS9_8equal_toIiEEiEE10hipError_tPvRmT2_T3_T4_T5_mT6_T7_P12ihipStream_tbENKUlT_T0_E_clISt17integral_constantIbLb0EESZ_EEDaSU_SV_EUlSU_E_NS1_11comp_targetILNS1_3genE8ELNS1_11target_archE1030ELNS1_3gpuE2ELNS1_3repE0EEENS1_30default_config_static_selectorELNS0_4arch9wavefront6targetE0EEEvT1_.num_vgpr, 42
	.set _ZN7rocprim17ROCPRIM_400000_NS6detail17trampoline_kernelINS0_14default_configENS1_27scan_by_key_config_selectorIiiEEZZNS1_16scan_by_key_implILNS1_25lookback_scan_determinismE0ELb1ES3_N6thrust23THRUST_200600_302600_NS6detail15normal_iteratorINS9_10device_ptrIiEEEESE_SE_iNS9_4plusIvEENS9_8equal_toIiEEiEE10hipError_tPvRmT2_T3_T4_T5_mT6_T7_P12ihipStream_tbENKUlT_T0_E_clISt17integral_constantIbLb0EESZ_EEDaSU_SV_EUlSU_E_NS1_11comp_targetILNS1_3genE8ELNS1_11target_archE1030ELNS1_3gpuE2ELNS1_3repE0EEENS1_30default_config_static_selectorELNS0_4arch9wavefront6targetE0EEEvT1_.num_agpr, 0
	.set _ZN7rocprim17ROCPRIM_400000_NS6detail17trampoline_kernelINS0_14default_configENS1_27scan_by_key_config_selectorIiiEEZZNS1_16scan_by_key_implILNS1_25lookback_scan_determinismE0ELb1ES3_N6thrust23THRUST_200600_302600_NS6detail15normal_iteratorINS9_10device_ptrIiEEEESE_SE_iNS9_4plusIvEENS9_8equal_toIiEEiEE10hipError_tPvRmT2_T3_T4_T5_mT6_T7_P12ihipStream_tbENKUlT_T0_E_clISt17integral_constantIbLb0EESZ_EEDaSU_SV_EUlSU_E_NS1_11comp_targetILNS1_3genE8ELNS1_11target_archE1030ELNS1_3gpuE2ELNS1_3repE0EEENS1_30default_config_static_selectorELNS0_4arch9wavefront6targetE0EEEvT1_.numbered_sgpr, 30
	.set _ZN7rocprim17ROCPRIM_400000_NS6detail17trampoline_kernelINS0_14default_configENS1_27scan_by_key_config_selectorIiiEEZZNS1_16scan_by_key_implILNS1_25lookback_scan_determinismE0ELb1ES3_N6thrust23THRUST_200600_302600_NS6detail15normal_iteratorINS9_10device_ptrIiEEEESE_SE_iNS9_4plusIvEENS9_8equal_toIiEEiEE10hipError_tPvRmT2_T3_T4_T5_mT6_T7_P12ihipStream_tbENKUlT_T0_E_clISt17integral_constantIbLb0EESZ_EEDaSU_SV_EUlSU_E_NS1_11comp_targetILNS1_3genE8ELNS1_11target_archE1030ELNS1_3gpuE2ELNS1_3repE0EEENS1_30default_config_static_selectorELNS0_4arch9wavefront6targetE0EEEvT1_.num_named_barrier, 0
	.set _ZN7rocprim17ROCPRIM_400000_NS6detail17trampoline_kernelINS0_14default_configENS1_27scan_by_key_config_selectorIiiEEZZNS1_16scan_by_key_implILNS1_25lookback_scan_determinismE0ELb1ES3_N6thrust23THRUST_200600_302600_NS6detail15normal_iteratorINS9_10device_ptrIiEEEESE_SE_iNS9_4plusIvEENS9_8equal_toIiEEiEE10hipError_tPvRmT2_T3_T4_T5_mT6_T7_P12ihipStream_tbENKUlT_T0_E_clISt17integral_constantIbLb0EESZ_EEDaSU_SV_EUlSU_E_NS1_11comp_targetILNS1_3genE8ELNS1_11target_archE1030ELNS1_3gpuE2ELNS1_3repE0EEENS1_30default_config_static_selectorELNS0_4arch9wavefront6targetE0EEEvT1_.private_seg_size, 0
	.set _ZN7rocprim17ROCPRIM_400000_NS6detail17trampoline_kernelINS0_14default_configENS1_27scan_by_key_config_selectorIiiEEZZNS1_16scan_by_key_implILNS1_25lookback_scan_determinismE0ELb1ES3_N6thrust23THRUST_200600_302600_NS6detail15normal_iteratorINS9_10device_ptrIiEEEESE_SE_iNS9_4plusIvEENS9_8equal_toIiEEiEE10hipError_tPvRmT2_T3_T4_T5_mT6_T7_P12ihipStream_tbENKUlT_T0_E_clISt17integral_constantIbLb0EESZ_EEDaSU_SV_EUlSU_E_NS1_11comp_targetILNS1_3genE8ELNS1_11target_archE1030ELNS1_3gpuE2ELNS1_3repE0EEENS1_30default_config_static_selectorELNS0_4arch9wavefront6targetE0EEEvT1_.uses_vcc, 1
	.set _ZN7rocprim17ROCPRIM_400000_NS6detail17trampoline_kernelINS0_14default_configENS1_27scan_by_key_config_selectorIiiEEZZNS1_16scan_by_key_implILNS1_25lookback_scan_determinismE0ELb1ES3_N6thrust23THRUST_200600_302600_NS6detail15normal_iteratorINS9_10device_ptrIiEEEESE_SE_iNS9_4plusIvEENS9_8equal_toIiEEiEE10hipError_tPvRmT2_T3_T4_T5_mT6_T7_P12ihipStream_tbENKUlT_T0_E_clISt17integral_constantIbLb0EESZ_EEDaSU_SV_EUlSU_E_NS1_11comp_targetILNS1_3genE8ELNS1_11target_archE1030ELNS1_3gpuE2ELNS1_3repE0EEENS1_30default_config_static_selectorELNS0_4arch9wavefront6targetE0EEEvT1_.uses_flat_scratch, 1
	.set _ZN7rocprim17ROCPRIM_400000_NS6detail17trampoline_kernelINS0_14default_configENS1_27scan_by_key_config_selectorIiiEEZZNS1_16scan_by_key_implILNS1_25lookback_scan_determinismE0ELb1ES3_N6thrust23THRUST_200600_302600_NS6detail15normal_iteratorINS9_10device_ptrIiEEEESE_SE_iNS9_4plusIvEENS9_8equal_toIiEEiEE10hipError_tPvRmT2_T3_T4_T5_mT6_T7_P12ihipStream_tbENKUlT_T0_E_clISt17integral_constantIbLb0EESZ_EEDaSU_SV_EUlSU_E_NS1_11comp_targetILNS1_3genE8ELNS1_11target_archE1030ELNS1_3gpuE2ELNS1_3repE0EEENS1_30default_config_static_selectorELNS0_4arch9wavefront6targetE0EEEvT1_.has_dyn_sized_stack, 0
	.set _ZN7rocprim17ROCPRIM_400000_NS6detail17trampoline_kernelINS0_14default_configENS1_27scan_by_key_config_selectorIiiEEZZNS1_16scan_by_key_implILNS1_25lookback_scan_determinismE0ELb1ES3_N6thrust23THRUST_200600_302600_NS6detail15normal_iteratorINS9_10device_ptrIiEEEESE_SE_iNS9_4plusIvEENS9_8equal_toIiEEiEE10hipError_tPvRmT2_T3_T4_T5_mT6_T7_P12ihipStream_tbENKUlT_T0_E_clISt17integral_constantIbLb0EESZ_EEDaSU_SV_EUlSU_E_NS1_11comp_targetILNS1_3genE8ELNS1_11target_archE1030ELNS1_3gpuE2ELNS1_3repE0EEENS1_30default_config_static_selectorELNS0_4arch9wavefront6targetE0EEEvT1_.has_recursion, 0
	.set _ZN7rocprim17ROCPRIM_400000_NS6detail17trampoline_kernelINS0_14default_configENS1_27scan_by_key_config_selectorIiiEEZZNS1_16scan_by_key_implILNS1_25lookback_scan_determinismE0ELb1ES3_N6thrust23THRUST_200600_302600_NS6detail15normal_iteratorINS9_10device_ptrIiEEEESE_SE_iNS9_4plusIvEENS9_8equal_toIiEEiEE10hipError_tPvRmT2_T3_T4_T5_mT6_T7_P12ihipStream_tbENKUlT_T0_E_clISt17integral_constantIbLb0EESZ_EEDaSU_SV_EUlSU_E_NS1_11comp_targetILNS1_3genE8ELNS1_11target_archE1030ELNS1_3gpuE2ELNS1_3repE0EEENS1_30default_config_static_selectorELNS0_4arch9wavefront6targetE0EEEvT1_.has_indirect_call, 0
	.section	.AMDGPU.csdata,"",@progbits
; Kernel info:
; codeLenInByte = 6184
; TotalNumSgprs: 32
; NumVgprs: 42
; ScratchSize: 0
; MemoryBound: 0
; FloatMode: 240
; IeeeMode: 1
; LDSByteSize: 5120 bytes/workgroup (compile time only)
; SGPRBlocks: 0
; VGPRBlocks: 5
; NumSGPRsForWavesPerEU: 32
; NumVGPRsForWavesPerEU: 42
; Occupancy: 16
; WaveLimiterHint : 1
; COMPUTE_PGM_RSRC2:SCRATCH_EN: 0
; COMPUTE_PGM_RSRC2:USER_SGPR: 6
; COMPUTE_PGM_RSRC2:TRAP_HANDLER: 0
; COMPUTE_PGM_RSRC2:TGID_X_EN: 1
; COMPUTE_PGM_RSRC2:TGID_Y_EN: 0
; COMPUTE_PGM_RSRC2:TGID_Z_EN: 0
; COMPUTE_PGM_RSRC2:TIDIG_COMP_CNT: 0
	.section	.text._ZN7rocprim17ROCPRIM_400000_NS6detail17trampoline_kernelINS0_14default_configENS1_27scan_by_key_config_selectorIiiEEZZNS1_16scan_by_key_implILNS1_25lookback_scan_determinismE0ELb1ES3_N6thrust23THRUST_200600_302600_NS6detail15normal_iteratorINS9_10device_ptrIiEEEESE_SE_iNS9_4plusIvEENS9_8equal_toIiEEiEE10hipError_tPvRmT2_T3_T4_T5_mT6_T7_P12ihipStream_tbENKUlT_T0_E_clISt17integral_constantIbLb1EESZ_EEDaSU_SV_EUlSU_E_NS1_11comp_targetILNS1_3genE0ELNS1_11target_archE4294967295ELNS1_3gpuE0ELNS1_3repE0EEENS1_30default_config_static_selectorELNS0_4arch9wavefront6targetE0EEEvT1_,"axG",@progbits,_ZN7rocprim17ROCPRIM_400000_NS6detail17trampoline_kernelINS0_14default_configENS1_27scan_by_key_config_selectorIiiEEZZNS1_16scan_by_key_implILNS1_25lookback_scan_determinismE0ELb1ES3_N6thrust23THRUST_200600_302600_NS6detail15normal_iteratorINS9_10device_ptrIiEEEESE_SE_iNS9_4plusIvEENS9_8equal_toIiEEiEE10hipError_tPvRmT2_T3_T4_T5_mT6_T7_P12ihipStream_tbENKUlT_T0_E_clISt17integral_constantIbLb1EESZ_EEDaSU_SV_EUlSU_E_NS1_11comp_targetILNS1_3genE0ELNS1_11target_archE4294967295ELNS1_3gpuE0ELNS1_3repE0EEENS1_30default_config_static_selectorELNS0_4arch9wavefront6targetE0EEEvT1_,comdat
	.protected	_ZN7rocprim17ROCPRIM_400000_NS6detail17trampoline_kernelINS0_14default_configENS1_27scan_by_key_config_selectorIiiEEZZNS1_16scan_by_key_implILNS1_25lookback_scan_determinismE0ELb1ES3_N6thrust23THRUST_200600_302600_NS6detail15normal_iteratorINS9_10device_ptrIiEEEESE_SE_iNS9_4plusIvEENS9_8equal_toIiEEiEE10hipError_tPvRmT2_T3_T4_T5_mT6_T7_P12ihipStream_tbENKUlT_T0_E_clISt17integral_constantIbLb1EESZ_EEDaSU_SV_EUlSU_E_NS1_11comp_targetILNS1_3genE0ELNS1_11target_archE4294967295ELNS1_3gpuE0ELNS1_3repE0EEENS1_30default_config_static_selectorELNS0_4arch9wavefront6targetE0EEEvT1_ ; -- Begin function _ZN7rocprim17ROCPRIM_400000_NS6detail17trampoline_kernelINS0_14default_configENS1_27scan_by_key_config_selectorIiiEEZZNS1_16scan_by_key_implILNS1_25lookback_scan_determinismE0ELb1ES3_N6thrust23THRUST_200600_302600_NS6detail15normal_iteratorINS9_10device_ptrIiEEEESE_SE_iNS9_4plusIvEENS9_8equal_toIiEEiEE10hipError_tPvRmT2_T3_T4_T5_mT6_T7_P12ihipStream_tbENKUlT_T0_E_clISt17integral_constantIbLb1EESZ_EEDaSU_SV_EUlSU_E_NS1_11comp_targetILNS1_3genE0ELNS1_11target_archE4294967295ELNS1_3gpuE0ELNS1_3repE0EEENS1_30default_config_static_selectorELNS0_4arch9wavefront6targetE0EEEvT1_
	.globl	_ZN7rocprim17ROCPRIM_400000_NS6detail17trampoline_kernelINS0_14default_configENS1_27scan_by_key_config_selectorIiiEEZZNS1_16scan_by_key_implILNS1_25lookback_scan_determinismE0ELb1ES3_N6thrust23THRUST_200600_302600_NS6detail15normal_iteratorINS9_10device_ptrIiEEEESE_SE_iNS9_4plusIvEENS9_8equal_toIiEEiEE10hipError_tPvRmT2_T3_T4_T5_mT6_T7_P12ihipStream_tbENKUlT_T0_E_clISt17integral_constantIbLb1EESZ_EEDaSU_SV_EUlSU_E_NS1_11comp_targetILNS1_3genE0ELNS1_11target_archE4294967295ELNS1_3gpuE0ELNS1_3repE0EEENS1_30default_config_static_selectorELNS0_4arch9wavefront6targetE0EEEvT1_
	.p2align	8
	.type	_ZN7rocprim17ROCPRIM_400000_NS6detail17trampoline_kernelINS0_14default_configENS1_27scan_by_key_config_selectorIiiEEZZNS1_16scan_by_key_implILNS1_25lookback_scan_determinismE0ELb1ES3_N6thrust23THRUST_200600_302600_NS6detail15normal_iteratorINS9_10device_ptrIiEEEESE_SE_iNS9_4plusIvEENS9_8equal_toIiEEiEE10hipError_tPvRmT2_T3_T4_T5_mT6_T7_P12ihipStream_tbENKUlT_T0_E_clISt17integral_constantIbLb1EESZ_EEDaSU_SV_EUlSU_E_NS1_11comp_targetILNS1_3genE0ELNS1_11target_archE4294967295ELNS1_3gpuE0ELNS1_3repE0EEENS1_30default_config_static_selectorELNS0_4arch9wavefront6targetE0EEEvT1_,@function
_ZN7rocprim17ROCPRIM_400000_NS6detail17trampoline_kernelINS0_14default_configENS1_27scan_by_key_config_selectorIiiEEZZNS1_16scan_by_key_implILNS1_25lookback_scan_determinismE0ELb1ES3_N6thrust23THRUST_200600_302600_NS6detail15normal_iteratorINS9_10device_ptrIiEEEESE_SE_iNS9_4plusIvEENS9_8equal_toIiEEiEE10hipError_tPvRmT2_T3_T4_T5_mT6_T7_P12ihipStream_tbENKUlT_T0_E_clISt17integral_constantIbLb1EESZ_EEDaSU_SV_EUlSU_E_NS1_11comp_targetILNS1_3genE0ELNS1_11target_archE4294967295ELNS1_3gpuE0ELNS1_3repE0EEENS1_30default_config_static_selectorELNS0_4arch9wavefront6targetE0EEEvT1_: ; @_ZN7rocprim17ROCPRIM_400000_NS6detail17trampoline_kernelINS0_14default_configENS1_27scan_by_key_config_selectorIiiEEZZNS1_16scan_by_key_implILNS1_25lookback_scan_determinismE0ELb1ES3_N6thrust23THRUST_200600_302600_NS6detail15normal_iteratorINS9_10device_ptrIiEEEESE_SE_iNS9_4plusIvEENS9_8equal_toIiEEiEE10hipError_tPvRmT2_T3_T4_T5_mT6_T7_P12ihipStream_tbENKUlT_T0_E_clISt17integral_constantIbLb1EESZ_EEDaSU_SV_EUlSU_E_NS1_11comp_targetILNS1_3genE0ELNS1_11target_archE4294967295ELNS1_3gpuE0ELNS1_3repE0EEENS1_30default_config_static_selectorELNS0_4arch9wavefront6targetE0EEEvT1_
; %bb.0:
	.section	.rodata,"a",@progbits
	.p2align	6, 0x0
	.amdhsa_kernel _ZN7rocprim17ROCPRIM_400000_NS6detail17trampoline_kernelINS0_14default_configENS1_27scan_by_key_config_selectorIiiEEZZNS1_16scan_by_key_implILNS1_25lookback_scan_determinismE0ELb1ES3_N6thrust23THRUST_200600_302600_NS6detail15normal_iteratorINS9_10device_ptrIiEEEESE_SE_iNS9_4plusIvEENS9_8equal_toIiEEiEE10hipError_tPvRmT2_T3_T4_T5_mT6_T7_P12ihipStream_tbENKUlT_T0_E_clISt17integral_constantIbLb1EESZ_EEDaSU_SV_EUlSU_E_NS1_11comp_targetILNS1_3genE0ELNS1_11target_archE4294967295ELNS1_3gpuE0ELNS1_3repE0EEENS1_30default_config_static_selectorELNS0_4arch9wavefront6targetE0EEEvT1_
		.amdhsa_group_segment_fixed_size 0
		.amdhsa_private_segment_fixed_size 0
		.amdhsa_kernarg_size 112
		.amdhsa_user_sgpr_count 6
		.amdhsa_user_sgpr_private_segment_buffer 1
		.amdhsa_user_sgpr_dispatch_ptr 0
		.amdhsa_user_sgpr_queue_ptr 0
		.amdhsa_user_sgpr_kernarg_segment_ptr 1
		.amdhsa_user_sgpr_dispatch_id 0
		.amdhsa_user_sgpr_flat_scratch_init 0
		.amdhsa_user_sgpr_private_segment_size 0
		.amdhsa_wavefront_size32 1
		.amdhsa_uses_dynamic_stack 0
		.amdhsa_system_sgpr_private_segment_wavefront_offset 0
		.amdhsa_system_sgpr_workgroup_id_x 1
		.amdhsa_system_sgpr_workgroup_id_y 0
		.amdhsa_system_sgpr_workgroup_id_z 0
		.amdhsa_system_sgpr_workgroup_info 0
		.amdhsa_system_vgpr_workitem_id 0
		.amdhsa_next_free_vgpr 1
		.amdhsa_next_free_sgpr 1
		.amdhsa_reserve_vcc 0
		.amdhsa_reserve_flat_scratch 0
		.amdhsa_float_round_mode_32 0
		.amdhsa_float_round_mode_16_64 0
		.amdhsa_float_denorm_mode_32 3
		.amdhsa_float_denorm_mode_16_64 3
		.amdhsa_dx10_clamp 1
		.amdhsa_ieee_mode 1
		.amdhsa_fp16_overflow 0
		.amdhsa_workgroup_processor_mode 1
		.amdhsa_memory_ordered 1
		.amdhsa_forward_progress 1
		.amdhsa_shared_vgpr_count 0
		.amdhsa_exception_fp_ieee_invalid_op 0
		.amdhsa_exception_fp_denorm_src 0
		.amdhsa_exception_fp_ieee_div_zero 0
		.amdhsa_exception_fp_ieee_overflow 0
		.amdhsa_exception_fp_ieee_underflow 0
		.amdhsa_exception_fp_ieee_inexact 0
		.amdhsa_exception_int_div_zero 0
	.end_amdhsa_kernel
	.section	.text._ZN7rocprim17ROCPRIM_400000_NS6detail17trampoline_kernelINS0_14default_configENS1_27scan_by_key_config_selectorIiiEEZZNS1_16scan_by_key_implILNS1_25lookback_scan_determinismE0ELb1ES3_N6thrust23THRUST_200600_302600_NS6detail15normal_iteratorINS9_10device_ptrIiEEEESE_SE_iNS9_4plusIvEENS9_8equal_toIiEEiEE10hipError_tPvRmT2_T3_T4_T5_mT6_T7_P12ihipStream_tbENKUlT_T0_E_clISt17integral_constantIbLb1EESZ_EEDaSU_SV_EUlSU_E_NS1_11comp_targetILNS1_3genE0ELNS1_11target_archE4294967295ELNS1_3gpuE0ELNS1_3repE0EEENS1_30default_config_static_selectorELNS0_4arch9wavefront6targetE0EEEvT1_,"axG",@progbits,_ZN7rocprim17ROCPRIM_400000_NS6detail17trampoline_kernelINS0_14default_configENS1_27scan_by_key_config_selectorIiiEEZZNS1_16scan_by_key_implILNS1_25lookback_scan_determinismE0ELb1ES3_N6thrust23THRUST_200600_302600_NS6detail15normal_iteratorINS9_10device_ptrIiEEEESE_SE_iNS9_4plusIvEENS9_8equal_toIiEEiEE10hipError_tPvRmT2_T3_T4_T5_mT6_T7_P12ihipStream_tbENKUlT_T0_E_clISt17integral_constantIbLb1EESZ_EEDaSU_SV_EUlSU_E_NS1_11comp_targetILNS1_3genE0ELNS1_11target_archE4294967295ELNS1_3gpuE0ELNS1_3repE0EEENS1_30default_config_static_selectorELNS0_4arch9wavefront6targetE0EEEvT1_,comdat
.Lfunc_end542:
	.size	_ZN7rocprim17ROCPRIM_400000_NS6detail17trampoline_kernelINS0_14default_configENS1_27scan_by_key_config_selectorIiiEEZZNS1_16scan_by_key_implILNS1_25lookback_scan_determinismE0ELb1ES3_N6thrust23THRUST_200600_302600_NS6detail15normal_iteratorINS9_10device_ptrIiEEEESE_SE_iNS9_4plusIvEENS9_8equal_toIiEEiEE10hipError_tPvRmT2_T3_T4_T5_mT6_T7_P12ihipStream_tbENKUlT_T0_E_clISt17integral_constantIbLb1EESZ_EEDaSU_SV_EUlSU_E_NS1_11comp_targetILNS1_3genE0ELNS1_11target_archE4294967295ELNS1_3gpuE0ELNS1_3repE0EEENS1_30default_config_static_selectorELNS0_4arch9wavefront6targetE0EEEvT1_, .Lfunc_end542-_ZN7rocprim17ROCPRIM_400000_NS6detail17trampoline_kernelINS0_14default_configENS1_27scan_by_key_config_selectorIiiEEZZNS1_16scan_by_key_implILNS1_25lookback_scan_determinismE0ELb1ES3_N6thrust23THRUST_200600_302600_NS6detail15normal_iteratorINS9_10device_ptrIiEEEESE_SE_iNS9_4plusIvEENS9_8equal_toIiEEiEE10hipError_tPvRmT2_T3_T4_T5_mT6_T7_P12ihipStream_tbENKUlT_T0_E_clISt17integral_constantIbLb1EESZ_EEDaSU_SV_EUlSU_E_NS1_11comp_targetILNS1_3genE0ELNS1_11target_archE4294967295ELNS1_3gpuE0ELNS1_3repE0EEENS1_30default_config_static_selectorELNS0_4arch9wavefront6targetE0EEEvT1_
                                        ; -- End function
	.set _ZN7rocprim17ROCPRIM_400000_NS6detail17trampoline_kernelINS0_14default_configENS1_27scan_by_key_config_selectorIiiEEZZNS1_16scan_by_key_implILNS1_25lookback_scan_determinismE0ELb1ES3_N6thrust23THRUST_200600_302600_NS6detail15normal_iteratorINS9_10device_ptrIiEEEESE_SE_iNS9_4plusIvEENS9_8equal_toIiEEiEE10hipError_tPvRmT2_T3_T4_T5_mT6_T7_P12ihipStream_tbENKUlT_T0_E_clISt17integral_constantIbLb1EESZ_EEDaSU_SV_EUlSU_E_NS1_11comp_targetILNS1_3genE0ELNS1_11target_archE4294967295ELNS1_3gpuE0ELNS1_3repE0EEENS1_30default_config_static_selectorELNS0_4arch9wavefront6targetE0EEEvT1_.num_vgpr, 0
	.set _ZN7rocprim17ROCPRIM_400000_NS6detail17trampoline_kernelINS0_14default_configENS1_27scan_by_key_config_selectorIiiEEZZNS1_16scan_by_key_implILNS1_25lookback_scan_determinismE0ELb1ES3_N6thrust23THRUST_200600_302600_NS6detail15normal_iteratorINS9_10device_ptrIiEEEESE_SE_iNS9_4plusIvEENS9_8equal_toIiEEiEE10hipError_tPvRmT2_T3_T4_T5_mT6_T7_P12ihipStream_tbENKUlT_T0_E_clISt17integral_constantIbLb1EESZ_EEDaSU_SV_EUlSU_E_NS1_11comp_targetILNS1_3genE0ELNS1_11target_archE4294967295ELNS1_3gpuE0ELNS1_3repE0EEENS1_30default_config_static_selectorELNS0_4arch9wavefront6targetE0EEEvT1_.num_agpr, 0
	.set _ZN7rocprim17ROCPRIM_400000_NS6detail17trampoline_kernelINS0_14default_configENS1_27scan_by_key_config_selectorIiiEEZZNS1_16scan_by_key_implILNS1_25lookback_scan_determinismE0ELb1ES3_N6thrust23THRUST_200600_302600_NS6detail15normal_iteratorINS9_10device_ptrIiEEEESE_SE_iNS9_4plusIvEENS9_8equal_toIiEEiEE10hipError_tPvRmT2_T3_T4_T5_mT6_T7_P12ihipStream_tbENKUlT_T0_E_clISt17integral_constantIbLb1EESZ_EEDaSU_SV_EUlSU_E_NS1_11comp_targetILNS1_3genE0ELNS1_11target_archE4294967295ELNS1_3gpuE0ELNS1_3repE0EEENS1_30default_config_static_selectorELNS0_4arch9wavefront6targetE0EEEvT1_.numbered_sgpr, 0
	.set _ZN7rocprim17ROCPRIM_400000_NS6detail17trampoline_kernelINS0_14default_configENS1_27scan_by_key_config_selectorIiiEEZZNS1_16scan_by_key_implILNS1_25lookback_scan_determinismE0ELb1ES3_N6thrust23THRUST_200600_302600_NS6detail15normal_iteratorINS9_10device_ptrIiEEEESE_SE_iNS9_4plusIvEENS9_8equal_toIiEEiEE10hipError_tPvRmT2_T3_T4_T5_mT6_T7_P12ihipStream_tbENKUlT_T0_E_clISt17integral_constantIbLb1EESZ_EEDaSU_SV_EUlSU_E_NS1_11comp_targetILNS1_3genE0ELNS1_11target_archE4294967295ELNS1_3gpuE0ELNS1_3repE0EEENS1_30default_config_static_selectorELNS0_4arch9wavefront6targetE0EEEvT1_.num_named_barrier, 0
	.set _ZN7rocprim17ROCPRIM_400000_NS6detail17trampoline_kernelINS0_14default_configENS1_27scan_by_key_config_selectorIiiEEZZNS1_16scan_by_key_implILNS1_25lookback_scan_determinismE0ELb1ES3_N6thrust23THRUST_200600_302600_NS6detail15normal_iteratorINS9_10device_ptrIiEEEESE_SE_iNS9_4plusIvEENS9_8equal_toIiEEiEE10hipError_tPvRmT2_T3_T4_T5_mT6_T7_P12ihipStream_tbENKUlT_T0_E_clISt17integral_constantIbLb1EESZ_EEDaSU_SV_EUlSU_E_NS1_11comp_targetILNS1_3genE0ELNS1_11target_archE4294967295ELNS1_3gpuE0ELNS1_3repE0EEENS1_30default_config_static_selectorELNS0_4arch9wavefront6targetE0EEEvT1_.private_seg_size, 0
	.set _ZN7rocprim17ROCPRIM_400000_NS6detail17trampoline_kernelINS0_14default_configENS1_27scan_by_key_config_selectorIiiEEZZNS1_16scan_by_key_implILNS1_25lookback_scan_determinismE0ELb1ES3_N6thrust23THRUST_200600_302600_NS6detail15normal_iteratorINS9_10device_ptrIiEEEESE_SE_iNS9_4plusIvEENS9_8equal_toIiEEiEE10hipError_tPvRmT2_T3_T4_T5_mT6_T7_P12ihipStream_tbENKUlT_T0_E_clISt17integral_constantIbLb1EESZ_EEDaSU_SV_EUlSU_E_NS1_11comp_targetILNS1_3genE0ELNS1_11target_archE4294967295ELNS1_3gpuE0ELNS1_3repE0EEENS1_30default_config_static_selectorELNS0_4arch9wavefront6targetE0EEEvT1_.uses_vcc, 0
	.set _ZN7rocprim17ROCPRIM_400000_NS6detail17trampoline_kernelINS0_14default_configENS1_27scan_by_key_config_selectorIiiEEZZNS1_16scan_by_key_implILNS1_25lookback_scan_determinismE0ELb1ES3_N6thrust23THRUST_200600_302600_NS6detail15normal_iteratorINS9_10device_ptrIiEEEESE_SE_iNS9_4plusIvEENS9_8equal_toIiEEiEE10hipError_tPvRmT2_T3_T4_T5_mT6_T7_P12ihipStream_tbENKUlT_T0_E_clISt17integral_constantIbLb1EESZ_EEDaSU_SV_EUlSU_E_NS1_11comp_targetILNS1_3genE0ELNS1_11target_archE4294967295ELNS1_3gpuE0ELNS1_3repE0EEENS1_30default_config_static_selectorELNS0_4arch9wavefront6targetE0EEEvT1_.uses_flat_scratch, 0
	.set _ZN7rocprim17ROCPRIM_400000_NS6detail17trampoline_kernelINS0_14default_configENS1_27scan_by_key_config_selectorIiiEEZZNS1_16scan_by_key_implILNS1_25lookback_scan_determinismE0ELb1ES3_N6thrust23THRUST_200600_302600_NS6detail15normal_iteratorINS9_10device_ptrIiEEEESE_SE_iNS9_4plusIvEENS9_8equal_toIiEEiEE10hipError_tPvRmT2_T3_T4_T5_mT6_T7_P12ihipStream_tbENKUlT_T0_E_clISt17integral_constantIbLb1EESZ_EEDaSU_SV_EUlSU_E_NS1_11comp_targetILNS1_3genE0ELNS1_11target_archE4294967295ELNS1_3gpuE0ELNS1_3repE0EEENS1_30default_config_static_selectorELNS0_4arch9wavefront6targetE0EEEvT1_.has_dyn_sized_stack, 0
	.set _ZN7rocprim17ROCPRIM_400000_NS6detail17trampoline_kernelINS0_14default_configENS1_27scan_by_key_config_selectorIiiEEZZNS1_16scan_by_key_implILNS1_25lookback_scan_determinismE0ELb1ES3_N6thrust23THRUST_200600_302600_NS6detail15normal_iteratorINS9_10device_ptrIiEEEESE_SE_iNS9_4plusIvEENS9_8equal_toIiEEiEE10hipError_tPvRmT2_T3_T4_T5_mT6_T7_P12ihipStream_tbENKUlT_T0_E_clISt17integral_constantIbLb1EESZ_EEDaSU_SV_EUlSU_E_NS1_11comp_targetILNS1_3genE0ELNS1_11target_archE4294967295ELNS1_3gpuE0ELNS1_3repE0EEENS1_30default_config_static_selectorELNS0_4arch9wavefront6targetE0EEEvT1_.has_recursion, 0
	.set _ZN7rocprim17ROCPRIM_400000_NS6detail17trampoline_kernelINS0_14default_configENS1_27scan_by_key_config_selectorIiiEEZZNS1_16scan_by_key_implILNS1_25lookback_scan_determinismE0ELb1ES3_N6thrust23THRUST_200600_302600_NS6detail15normal_iteratorINS9_10device_ptrIiEEEESE_SE_iNS9_4plusIvEENS9_8equal_toIiEEiEE10hipError_tPvRmT2_T3_T4_T5_mT6_T7_P12ihipStream_tbENKUlT_T0_E_clISt17integral_constantIbLb1EESZ_EEDaSU_SV_EUlSU_E_NS1_11comp_targetILNS1_3genE0ELNS1_11target_archE4294967295ELNS1_3gpuE0ELNS1_3repE0EEENS1_30default_config_static_selectorELNS0_4arch9wavefront6targetE0EEEvT1_.has_indirect_call, 0
	.section	.AMDGPU.csdata,"",@progbits
; Kernel info:
; codeLenInByte = 0
; TotalNumSgprs: 0
; NumVgprs: 0
; ScratchSize: 0
; MemoryBound: 0
; FloatMode: 240
; IeeeMode: 1
; LDSByteSize: 0 bytes/workgroup (compile time only)
; SGPRBlocks: 0
; VGPRBlocks: 0
; NumSGPRsForWavesPerEU: 1
; NumVGPRsForWavesPerEU: 1
; Occupancy: 16
; WaveLimiterHint : 0
; COMPUTE_PGM_RSRC2:SCRATCH_EN: 0
; COMPUTE_PGM_RSRC2:USER_SGPR: 6
; COMPUTE_PGM_RSRC2:TRAP_HANDLER: 0
; COMPUTE_PGM_RSRC2:TGID_X_EN: 1
; COMPUTE_PGM_RSRC2:TGID_Y_EN: 0
; COMPUTE_PGM_RSRC2:TGID_Z_EN: 0
; COMPUTE_PGM_RSRC2:TIDIG_COMP_CNT: 0
	.section	.text._ZN7rocprim17ROCPRIM_400000_NS6detail17trampoline_kernelINS0_14default_configENS1_27scan_by_key_config_selectorIiiEEZZNS1_16scan_by_key_implILNS1_25lookback_scan_determinismE0ELb1ES3_N6thrust23THRUST_200600_302600_NS6detail15normal_iteratorINS9_10device_ptrIiEEEESE_SE_iNS9_4plusIvEENS9_8equal_toIiEEiEE10hipError_tPvRmT2_T3_T4_T5_mT6_T7_P12ihipStream_tbENKUlT_T0_E_clISt17integral_constantIbLb1EESZ_EEDaSU_SV_EUlSU_E_NS1_11comp_targetILNS1_3genE10ELNS1_11target_archE1201ELNS1_3gpuE5ELNS1_3repE0EEENS1_30default_config_static_selectorELNS0_4arch9wavefront6targetE0EEEvT1_,"axG",@progbits,_ZN7rocprim17ROCPRIM_400000_NS6detail17trampoline_kernelINS0_14default_configENS1_27scan_by_key_config_selectorIiiEEZZNS1_16scan_by_key_implILNS1_25lookback_scan_determinismE0ELb1ES3_N6thrust23THRUST_200600_302600_NS6detail15normal_iteratorINS9_10device_ptrIiEEEESE_SE_iNS9_4plusIvEENS9_8equal_toIiEEiEE10hipError_tPvRmT2_T3_T4_T5_mT6_T7_P12ihipStream_tbENKUlT_T0_E_clISt17integral_constantIbLb1EESZ_EEDaSU_SV_EUlSU_E_NS1_11comp_targetILNS1_3genE10ELNS1_11target_archE1201ELNS1_3gpuE5ELNS1_3repE0EEENS1_30default_config_static_selectorELNS0_4arch9wavefront6targetE0EEEvT1_,comdat
	.protected	_ZN7rocprim17ROCPRIM_400000_NS6detail17trampoline_kernelINS0_14default_configENS1_27scan_by_key_config_selectorIiiEEZZNS1_16scan_by_key_implILNS1_25lookback_scan_determinismE0ELb1ES3_N6thrust23THRUST_200600_302600_NS6detail15normal_iteratorINS9_10device_ptrIiEEEESE_SE_iNS9_4plusIvEENS9_8equal_toIiEEiEE10hipError_tPvRmT2_T3_T4_T5_mT6_T7_P12ihipStream_tbENKUlT_T0_E_clISt17integral_constantIbLb1EESZ_EEDaSU_SV_EUlSU_E_NS1_11comp_targetILNS1_3genE10ELNS1_11target_archE1201ELNS1_3gpuE5ELNS1_3repE0EEENS1_30default_config_static_selectorELNS0_4arch9wavefront6targetE0EEEvT1_ ; -- Begin function _ZN7rocprim17ROCPRIM_400000_NS6detail17trampoline_kernelINS0_14default_configENS1_27scan_by_key_config_selectorIiiEEZZNS1_16scan_by_key_implILNS1_25lookback_scan_determinismE0ELb1ES3_N6thrust23THRUST_200600_302600_NS6detail15normal_iteratorINS9_10device_ptrIiEEEESE_SE_iNS9_4plusIvEENS9_8equal_toIiEEiEE10hipError_tPvRmT2_T3_T4_T5_mT6_T7_P12ihipStream_tbENKUlT_T0_E_clISt17integral_constantIbLb1EESZ_EEDaSU_SV_EUlSU_E_NS1_11comp_targetILNS1_3genE10ELNS1_11target_archE1201ELNS1_3gpuE5ELNS1_3repE0EEENS1_30default_config_static_selectorELNS0_4arch9wavefront6targetE0EEEvT1_
	.globl	_ZN7rocprim17ROCPRIM_400000_NS6detail17trampoline_kernelINS0_14default_configENS1_27scan_by_key_config_selectorIiiEEZZNS1_16scan_by_key_implILNS1_25lookback_scan_determinismE0ELb1ES3_N6thrust23THRUST_200600_302600_NS6detail15normal_iteratorINS9_10device_ptrIiEEEESE_SE_iNS9_4plusIvEENS9_8equal_toIiEEiEE10hipError_tPvRmT2_T3_T4_T5_mT6_T7_P12ihipStream_tbENKUlT_T0_E_clISt17integral_constantIbLb1EESZ_EEDaSU_SV_EUlSU_E_NS1_11comp_targetILNS1_3genE10ELNS1_11target_archE1201ELNS1_3gpuE5ELNS1_3repE0EEENS1_30default_config_static_selectorELNS0_4arch9wavefront6targetE0EEEvT1_
	.p2align	8
	.type	_ZN7rocprim17ROCPRIM_400000_NS6detail17trampoline_kernelINS0_14default_configENS1_27scan_by_key_config_selectorIiiEEZZNS1_16scan_by_key_implILNS1_25lookback_scan_determinismE0ELb1ES3_N6thrust23THRUST_200600_302600_NS6detail15normal_iteratorINS9_10device_ptrIiEEEESE_SE_iNS9_4plusIvEENS9_8equal_toIiEEiEE10hipError_tPvRmT2_T3_T4_T5_mT6_T7_P12ihipStream_tbENKUlT_T0_E_clISt17integral_constantIbLb1EESZ_EEDaSU_SV_EUlSU_E_NS1_11comp_targetILNS1_3genE10ELNS1_11target_archE1201ELNS1_3gpuE5ELNS1_3repE0EEENS1_30default_config_static_selectorELNS0_4arch9wavefront6targetE0EEEvT1_,@function
_ZN7rocprim17ROCPRIM_400000_NS6detail17trampoline_kernelINS0_14default_configENS1_27scan_by_key_config_selectorIiiEEZZNS1_16scan_by_key_implILNS1_25lookback_scan_determinismE0ELb1ES3_N6thrust23THRUST_200600_302600_NS6detail15normal_iteratorINS9_10device_ptrIiEEEESE_SE_iNS9_4plusIvEENS9_8equal_toIiEEiEE10hipError_tPvRmT2_T3_T4_T5_mT6_T7_P12ihipStream_tbENKUlT_T0_E_clISt17integral_constantIbLb1EESZ_EEDaSU_SV_EUlSU_E_NS1_11comp_targetILNS1_3genE10ELNS1_11target_archE1201ELNS1_3gpuE5ELNS1_3repE0EEENS1_30default_config_static_selectorELNS0_4arch9wavefront6targetE0EEEvT1_: ; @_ZN7rocprim17ROCPRIM_400000_NS6detail17trampoline_kernelINS0_14default_configENS1_27scan_by_key_config_selectorIiiEEZZNS1_16scan_by_key_implILNS1_25lookback_scan_determinismE0ELb1ES3_N6thrust23THRUST_200600_302600_NS6detail15normal_iteratorINS9_10device_ptrIiEEEESE_SE_iNS9_4plusIvEENS9_8equal_toIiEEiEE10hipError_tPvRmT2_T3_T4_T5_mT6_T7_P12ihipStream_tbENKUlT_T0_E_clISt17integral_constantIbLb1EESZ_EEDaSU_SV_EUlSU_E_NS1_11comp_targetILNS1_3genE10ELNS1_11target_archE1201ELNS1_3gpuE5ELNS1_3repE0EEENS1_30default_config_static_selectorELNS0_4arch9wavefront6targetE0EEEvT1_
; %bb.0:
	.section	.rodata,"a",@progbits
	.p2align	6, 0x0
	.amdhsa_kernel _ZN7rocprim17ROCPRIM_400000_NS6detail17trampoline_kernelINS0_14default_configENS1_27scan_by_key_config_selectorIiiEEZZNS1_16scan_by_key_implILNS1_25lookback_scan_determinismE0ELb1ES3_N6thrust23THRUST_200600_302600_NS6detail15normal_iteratorINS9_10device_ptrIiEEEESE_SE_iNS9_4plusIvEENS9_8equal_toIiEEiEE10hipError_tPvRmT2_T3_T4_T5_mT6_T7_P12ihipStream_tbENKUlT_T0_E_clISt17integral_constantIbLb1EESZ_EEDaSU_SV_EUlSU_E_NS1_11comp_targetILNS1_3genE10ELNS1_11target_archE1201ELNS1_3gpuE5ELNS1_3repE0EEENS1_30default_config_static_selectorELNS0_4arch9wavefront6targetE0EEEvT1_
		.amdhsa_group_segment_fixed_size 0
		.amdhsa_private_segment_fixed_size 0
		.amdhsa_kernarg_size 112
		.amdhsa_user_sgpr_count 6
		.amdhsa_user_sgpr_private_segment_buffer 1
		.amdhsa_user_sgpr_dispatch_ptr 0
		.amdhsa_user_sgpr_queue_ptr 0
		.amdhsa_user_sgpr_kernarg_segment_ptr 1
		.amdhsa_user_sgpr_dispatch_id 0
		.amdhsa_user_sgpr_flat_scratch_init 0
		.amdhsa_user_sgpr_private_segment_size 0
		.amdhsa_wavefront_size32 1
		.amdhsa_uses_dynamic_stack 0
		.amdhsa_system_sgpr_private_segment_wavefront_offset 0
		.amdhsa_system_sgpr_workgroup_id_x 1
		.amdhsa_system_sgpr_workgroup_id_y 0
		.amdhsa_system_sgpr_workgroup_id_z 0
		.amdhsa_system_sgpr_workgroup_info 0
		.amdhsa_system_vgpr_workitem_id 0
		.amdhsa_next_free_vgpr 1
		.amdhsa_next_free_sgpr 1
		.amdhsa_reserve_vcc 0
		.amdhsa_reserve_flat_scratch 0
		.amdhsa_float_round_mode_32 0
		.amdhsa_float_round_mode_16_64 0
		.amdhsa_float_denorm_mode_32 3
		.amdhsa_float_denorm_mode_16_64 3
		.amdhsa_dx10_clamp 1
		.amdhsa_ieee_mode 1
		.amdhsa_fp16_overflow 0
		.amdhsa_workgroup_processor_mode 1
		.amdhsa_memory_ordered 1
		.amdhsa_forward_progress 1
		.amdhsa_shared_vgpr_count 0
		.amdhsa_exception_fp_ieee_invalid_op 0
		.amdhsa_exception_fp_denorm_src 0
		.amdhsa_exception_fp_ieee_div_zero 0
		.amdhsa_exception_fp_ieee_overflow 0
		.amdhsa_exception_fp_ieee_underflow 0
		.amdhsa_exception_fp_ieee_inexact 0
		.amdhsa_exception_int_div_zero 0
	.end_amdhsa_kernel
	.section	.text._ZN7rocprim17ROCPRIM_400000_NS6detail17trampoline_kernelINS0_14default_configENS1_27scan_by_key_config_selectorIiiEEZZNS1_16scan_by_key_implILNS1_25lookback_scan_determinismE0ELb1ES3_N6thrust23THRUST_200600_302600_NS6detail15normal_iteratorINS9_10device_ptrIiEEEESE_SE_iNS9_4plusIvEENS9_8equal_toIiEEiEE10hipError_tPvRmT2_T3_T4_T5_mT6_T7_P12ihipStream_tbENKUlT_T0_E_clISt17integral_constantIbLb1EESZ_EEDaSU_SV_EUlSU_E_NS1_11comp_targetILNS1_3genE10ELNS1_11target_archE1201ELNS1_3gpuE5ELNS1_3repE0EEENS1_30default_config_static_selectorELNS0_4arch9wavefront6targetE0EEEvT1_,"axG",@progbits,_ZN7rocprim17ROCPRIM_400000_NS6detail17trampoline_kernelINS0_14default_configENS1_27scan_by_key_config_selectorIiiEEZZNS1_16scan_by_key_implILNS1_25lookback_scan_determinismE0ELb1ES3_N6thrust23THRUST_200600_302600_NS6detail15normal_iteratorINS9_10device_ptrIiEEEESE_SE_iNS9_4plusIvEENS9_8equal_toIiEEiEE10hipError_tPvRmT2_T3_T4_T5_mT6_T7_P12ihipStream_tbENKUlT_T0_E_clISt17integral_constantIbLb1EESZ_EEDaSU_SV_EUlSU_E_NS1_11comp_targetILNS1_3genE10ELNS1_11target_archE1201ELNS1_3gpuE5ELNS1_3repE0EEENS1_30default_config_static_selectorELNS0_4arch9wavefront6targetE0EEEvT1_,comdat
.Lfunc_end543:
	.size	_ZN7rocprim17ROCPRIM_400000_NS6detail17trampoline_kernelINS0_14default_configENS1_27scan_by_key_config_selectorIiiEEZZNS1_16scan_by_key_implILNS1_25lookback_scan_determinismE0ELb1ES3_N6thrust23THRUST_200600_302600_NS6detail15normal_iteratorINS9_10device_ptrIiEEEESE_SE_iNS9_4plusIvEENS9_8equal_toIiEEiEE10hipError_tPvRmT2_T3_T4_T5_mT6_T7_P12ihipStream_tbENKUlT_T0_E_clISt17integral_constantIbLb1EESZ_EEDaSU_SV_EUlSU_E_NS1_11comp_targetILNS1_3genE10ELNS1_11target_archE1201ELNS1_3gpuE5ELNS1_3repE0EEENS1_30default_config_static_selectorELNS0_4arch9wavefront6targetE0EEEvT1_, .Lfunc_end543-_ZN7rocprim17ROCPRIM_400000_NS6detail17trampoline_kernelINS0_14default_configENS1_27scan_by_key_config_selectorIiiEEZZNS1_16scan_by_key_implILNS1_25lookback_scan_determinismE0ELb1ES3_N6thrust23THRUST_200600_302600_NS6detail15normal_iteratorINS9_10device_ptrIiEEEESE_SE_iNS9_4plusIvEENS9_8equal_toIiEEiEE10hipError_tPvRmT2_T3_T4_T5_mT6_T7_P12ihipStream_tbENKUlT_T0_E_clISt17integral_constantIbLb1EESZ_EEDaSU_SV_EUlSU_E_NS1_11comp_targetILNS1_3genE10ELNS1_11target_archE1201ELNS1_3gpuE5ELNS1_3repE0EEENS1_30default_config_static_selectorELNS0_4arch9wavefront6targetE0EEEvT1_
                                        ; -- End function
	.set _ZN7rocprim17ROCPRIM_400000_NS6detail17trampoline_kernelINS0_14default_configENS1_27scan_by_key_config_selectorIiiEEZZNS1_16scan_by_key_implILNS1_25lookback_scan_determinismE0ELb1ES3_N6thrust23THRUST_200600_302600_NS6detail15normal_iteratorINS9_10device_ptrIiEEEESE_SE_iNS9_4plusIvEENS9_8equal_toIiEEiEE10hipError_tPvRmT2_T3_T4_T5_mT6_T7_P12ihipStream_tbENKUlT_T0_E_clISt17integral_constantIbLb1EESZ_EEDaSU_SV_EUlSU_E_NS1_11comp_targetILNS1_3genE10ELNS1_11target_archE1201ELNS1_3gpuE5ELNS1_3repE0EEENS1_30default_config_static_selectorELNS0_4arch9wavefront6targetE0EEEvT1_.num_vgpr, 0
	.set _ZN7rocprim17ROCPRIM_400000_NS6detail17trampoline_kernelINS0_14default_configENS1_27scan_by_key_config_selectorIiiEEZZNS1_16scan_by_key_implILNS1_25lookback_scan_determinismE0ELb1ES3_N6thrust23THRUST_200600_302600_NS6detail15normal_iteratorINS9_10device_ptrIiEEEESE_SE_iNS9_4plusIvEENS9_8equal_toIiEEiEE10hipError_tPvRmT2_T3_T4_T5_mT6_T7_P12ihipStream_tbENKUlT_T0_E_clISt17integral_constantIbLb1EESZ_EEDaSU_SV_EUlSU_E_NS1_11comp_targetILNS1_3genE10ELNS1_11target_archE1201ELNS1_3gpuE5ELNS1_3repE0EEENS1_30default_config_static_selectorELNS0_4arch9wavefront6targetE0EEEvT1_.num_agpr, 0
	.set _ZN7rocprim17ROCPRIM_400000_NS6detail17trampoline_kernelINS0_14default_configENS1_27scan_by_key_config_selectorIiiEEZZNS1_16scan_by_key_implILNS1_25lookback_scan_determinismE0ELb1ES3_N6thrust23THRUST_200600_302600_NS6detail15normal_iteratorINS9_10device_ptrIiEEEESE_SE_iNS9_4plusIvEENS9_8equal_toIiEEiEE10hipError_tPvRmT2_T3_T4_T5_mT6_T7_P12ihipStream_tbENKUlT_T0_E_clISt17integral_constantIbLb1EESZ_EEDaSU_SV_EUlSU_E_NS1_11comp_targetILNS1_3genE10ELNS1_11target_archE1201ELNS1_3gpuE5ELNS1_3repE0EEENS1_30default_config_static_selectorELNS0_4arch9wavefront6targetE0EEEvT1_.numbered_sgpr, 0
	.set _ZN7rocprim17ROCPRIM_400000_NS6detail17trampoline_kernelINS0_14default_configENS1_27scan_by_key_config_selectorIiiEEZZNS1_16scan_by_key_implILNS1_25lookback_scan_determinismE0ELb1ES3_N6thrust23THRUST_200600_302600_NS6detail15normal_iteratorINS9_10device_ptrIiEEEESE_SE_iNS9_4plusIvEENS9_8equal_toIiEEiEE10hipError_tPvRmT2_T3_T4_T5_mT6_T7_P12ihipStream_tbENKUlT_T0_E_clISt17integral_constantIbLb1EESZ_EEDaSU_SV_EUlSU_E_NS1_11comp_targetILNS1_3genE10ELNS1_11target_archE1201ELNS1_3gpuE5ELNS1_3repE0EEENS1_30default_config_static_selectorELNS0_4arch9wavefront6targetE0EEEvT1_.num_named_barrier, 0
	.set _ZN7rocprim17ROCPRIM_400000_NS6detail17trampoline_kernelINS0_14default_configENS1_27scan_by_key_config_selectorIiiEEZZNS1_16scan_by_key_implILNS1_25lookback_scan_determinismE0ELb1ES3_N6thrust23THRUST_200600_302600_NS6detail15normal_iteratorINS9_10device_ptrIiEEEESE_SE_iNS9_4plusIvEENS9_8equal_toIiEEiEE10hipError_tPvRmT2_T3_T4_T5_mT6_T7_P12ihipStream_tbENKUlT_T0_E_clISt17integral_constantIbLb1EESZ_EEDaSU_SV_EUlSU_E_NS1_11comp_targetILNS1_3genE10ELNS1_11target_archE1201ELNS1_3gpuE5ELNS1_3repE0EEENS1_30default_config_static_selectorELNS0_4arch9wavefront6targetE0EEEvT1_.private_seg_size, 0
	.set _ZN7rocprim17ROCPRIM_400000_NS6detail17trampoline_kernelINS0_14default_configENS1_27scan_by_key_config_selectorIiiEEZZNS1_16scan_by_key_implILNS1_25lookback_scan_determinismE0ELb1ES3_N6thrust23THRUST_200600_302600_NS6detail15normal_iteratorINS9_10device_ptrIiEEEESE_SE_iNS9_4plusIvEENS9_8equal_toIiEEiEE10hipError_tPvRmT2_T3_T4_T5_mT6_T7_P12ihipStream_tbENKUlT_T0_E_clISt17integral_constantIbLb1EESZ_EEDaSU_SV_EUlSU_E_NS1_11comp_targetILNS1_3genE10ELNS1_11target_archE1201ELNS1_3gpuE5ELNS1_3repE0EEENS1_30default_config_static_selectorELNS0_4arch9wavefront6targetE0EEEvT1_.uses_vcc, 0
	.set _ZN7rocprim17ROCPRIM_400000_NS6detail17trampoline_kernelINS0_14default_configENS1_27scan_by_key_config_selectorIiiEEZZNS1_16scan_by_key_implILNS1_25lookback_scan_determinismE0ELb1ES3_N6thrust23THRUST_200600_302600_NS6detail15normal_iteratorINS9_10device_ptrIiEEEESE_SE_iNS9_4plusIvEENS9_8equal_toIiEEiEE10hipError_tPvRmT2_T3_T4_T5_mT6_T7_P12ihipStream_tbENKUlT_T0_E_clISt17integral_constantIbLb1EESZ_EEDaSU_SV_EUlSU_E_NS1_11comp_targetILNS1_3genE10ELNS1_11target_archE1201ELNS1_3gpuE5ELNS1_3repE0EEENS1_30default_config_static_selectorELNS0_4arch9wavefront6targetE0EEEvT1_.uses_flat_scratch, 0
	.set _ZN7rocprim17ROCPRIM_400000_NS6detail17trampoline_kernelINS0_14default_configENS1_27scan_by_key_config_selectorIiiEEZZNS1_16scan_by_key_implILNS1_25lookback_scan_determinismE0ELb1ES3_N6thrust23THRUST_200600_302600_NS6detail15normal_iteratorINS9_10device_ptrIiEEEESE_SE_iNS9_4plusIvEENS9_8equal_toIiEEiEE10hipError_tPvRmT2_T3_T4_T5_mT6_T7_P12ihipStream_tbENKUlT_T0_E_clISt17integral_constantIbLb1EESZ_EEDaSU_SV_EUlSU_E_NS1_11comp_targetILNS1_3genE10ELNS1_11target_archE1201ELNS1_3gpuE5ELNS1_3repE0EEENS1_30default_config_static_selectorELNS0_4arch9wavefront6targetE0EEEvT1_.has_dyn_sized_stack, 0
	.set _ZN7rocprim17ROCPRIM_400000_NS6detail17trampoline_kernelINS0_14default_configENS1_27scan_by_key_config_selectorIiiEEZZNS1_16scan_by_key_implILNS1_25lookback_scan_determinismE0ELb1ES3_N6thrust23THRUST_200600_302600_NS6detail15normal_iteratorINS9_10device_ptrIiEEEESE_SE_iNS9_4plusIvEENS9_8equal_toIiEEiEE10hipError_tPvRmT2_T3_T4_T5_mT6_T7_P12ihipStream_tbENKUlT_T0_E_clISt17integral_constantIbLb1EESZ_EEDaSU_SV_EUlSU_E_NS1_11comp_targetILNS1_3genE10ELNS1_11target_archE1201ELNS1_3gpuE5ELNS1_3repE0EEENS1_30default_config_static_selectorELNS0_4arch9wavefront6targetE0EEEvT1_.has_recursion, 0
	.set _ZN7rocprim17ROCPRIM_400000_NS6detail17trampoline_kernelINS0_14default_configENS1_27scan_by_key_config_selectorIiiEEZZNS1_16scan_by_key_implILNS1_25lookback_scan_determinismE0ELb1ES3_N6thrust23THRUST_200600_302600_NS6detail15normal_iteratorINS9_10device_ptrIiEEEESE_SE_iNS9_4plusIvEENS9_8equal_toIiEEiEE10hipError_tPvRmT2_T3_T4_T5_mT6_T7_P12ihipStream_tbENKUlT_T0_E_clISt17integral_constantIbLb1EESZ_EEDaSU_SV_EUlSU_E_NS1_11comp_targetILNS1_3genE10ELNS1_11target_archE1201ELNS1_3gpuE5ELNS1_3repE0EEENS1_30default_config_static_selectorELNS0_4arch9wavefront6targetE0EEEvT1_.has_indirect_call, 0
	.section	.AMDGPU.csdata,"",@progbits
; Kernel info:
; codeLenInByte = 0
; TotalNumSgprs: 0
; NumVgprs: 0
; ScratchSize: 0
; MemoryBound: 0
; FloatMode: 240
; IeeeMode: 1
; LDSByteSize: 0 bytes/workgroup (compile time only)
; SGPRBlocks: 0
; VGPRBlocks: 0
; NumSGPRsForWavesPerEU: 1
; NumVGPRsForWavesPerEU: 1
; Occupancy: 16
; WaveLimiterHint : 0
; COMPUTE_PGM_RSRC2:SCRATCH_EN: 0
; COMPUTE_PGM_RSRC2:USER_SGPR: 6
; COMPUTE_PGM_RSRC2:TRAP_HANDLER: 0
; COMPUTE_PGM_RSRC2:TGID_X_EN: 1
; COMPUTE_PGM_RSRC2:TGID_Y_EN: 0
; COMPUTE_PGM_RSRC2:TGID_Z_EN: 0
; COMPUTE_PGM_RSRC2:TIDIG_COMP_CNT: 0
	.section	.text._ZN7rocprim17ROCPRIM_400000_NS6detail17trampoline_kernelINS0_14default_configENS1_27scan_by_key_config_selectorIiiEEZZNS1_16scan_by_key_implILNS1_25lookback_scan_determinismE0ELb1ES3_N6thrust23THRUST_200600_302600_NS6detail15normal_iteratorINS9_10device_ptrIiEEEESE_SE_iNS9_4plusIvEENS9_8equal_toIiEEiEE10hipError_tPvRmT2_T3_T4_T5_mT6_T7_P12ihipStream_tbENKUlT_T0_E_clISt17integral_constantIbLb1EESZ_EEDaSU_SV_EUlSU_E_NS1_11comp_targetILNS1_3genE5ELNS1_11target_archE942ELNS1_3gpuE9ELNS1_3repE0EEENS1_30default_config_static_selectorELNS0_4arch9wavefront6targetE0EEEvT1_,"axG",@progbits,_ZN7rocprim17ROCPRIM_400000_NS6detail17trampoline_kernelINS0_14default_configENS1_27scan_by_key_config_selectorIiiEEZZNS1_16scan_by_key_implILNS1_25lookback_scan_determinismE0ELb1ES3_N6thrust23THRUST_200600_302600_NS6detail15normal_iteratorINS9_10device_ptrIiEEEESE_SE_iNS9_4plusIvEENS9_8equal_toIiEEiEE10hipError_tPvRmT2_T3_T4_T5_mT6_T7_P12ihipStream_tbENKUlT_T0_E_clISt17integral_constantIbLb1EESZ_EEDaSU_SV_EUlSU_E_NS1_11comp_targetILNS1_3genE5ELNS1_11target_archE942ELNS1_3gpuE9ELNS1_3repE0EEENS1_30default_config_static_selectorELNS0_4arch9wavefront6targetE0EEEvT1_,comdat
	.protected	_ZN7rocprim17ROCPRIM_400000_NS6detail17trampoline_kernelINS0_14default_configENS1_27scan_by_key_config_selectorIiiEEZZNS1_16scan_by_key_implILNS1_25lookback_scan_determinismE0ELb1ES3_N6thrust23THRUST_200600_302600_NS6detail15normal_iteratorINS9_10device_ptrIiEEEESE_SE_iNS9_4plusIvEENS9_8equal_toIiEEiEE10hipError_tPvRmT2_T3_T4_T5_mT6_T7_P12ihipStream_tbENKUlT_T0_E_clISt17integral_constantIbLb1EESZ_EEDaSU_SV_EUlSU_E_NS1_11comp_targetILNS1_3genE5ELNS1_11target_archE942ELNS1_3gpuE9ELNS1_3repE0EEENS1_30default_config_static_selectorELNS0_4arch9wavefront6targetE0EEEvT1_ ; -- Begin function _ZN7rocprim17ROCPRIM_400000_NS6detail17trampoline_kernelINS0_14default_configENS1_27scan_by_key_config_selectorIiiEEZZNS1_16scan_by_key_implILNS1_25lookback_scan_determinismE0ELb1ES3_N6thrust23THRUST_200600_302600_NS6detail15normal_iteratorINS9_10device_ptrIiEEEESE_SE_iNS9_4plusIvEENS9_8equal_toIiEEiEE10hipError_tPvRmT2_T3_T4_T5_mT6_T7_P12ihipStream_tbENKUlT_T0_E_clISt17integral_constantIbLb1EESZ_EEDaSU_SV_EUlSU_E_NS1_11comp_targetILNS1_3genE5ELNS1_11target_archE942ELNS1_3gpuE9ELNS1_3repE0EEENS1_30default_config_static_selectorELNS0_4arch9wavefront6targetE0EEEvT1_
	.globl	_ZN7rocprim17ROCPRIM_400000_NS6detail17trampoline_kernelINS0_14default_configENS1_27scan_by_key_config_selectorIiiEEZZNS1_16scan_by_key_implILNS1_25lookback_scan_determinismE0ELb1ES3_N6thrust23THRUST_200600_302600_NS6detail15normal_iteratorINS9_10device_ptrIiEEEESE_SE_iNS9_4plusIvEENS9_8equal_toIiEEiEE10hipError_tPvRmT2_T3_T4_T5_mT6_T7_P12ihipStream_tbENKUlT_T0_E_clISt17integral_constantIbLb1EESZ_EEDaSU_SV_EUlSU_E_NS1_11comp_targetILNS1_3genE5ELNS1_11target_archE942ELNS1_3gpuE9ELNS1_3repE0EEENS1_30default_config_static_selectorELNS0_4arch9wavefront6targetE0EEEvT1_
	.p2align	8
	.type	_ZN7rocprim17ROCPRIM_400000_NS6detail17trampoline_kernelINS0_14default_configENS1_27scan_by_key_config_selectorIiiEEZZNS1_16scan_by_key_implILNS1_25lookback_scan_determinismE0ELb1ES3_N6thrust23THRUST_200600_302600_NS6detail15normal_iteratorINS9_10device_ptrIiEEEESE_SE_iNS9_4plusIvEENS9_8equal_toIiEEiEE10hipError_tPvRmT2_T3_T4_T5_mT6_T7_P12ihipStream_tbENKUlT_T0_E_clISt17integral_constantIbLb1EESZ_EEDaSU_SV_EUlSU_E_NS1_11comp_targetILNS1_3genE5ELNS1_11target_archE942ELNS1_3gpuE9ELNS1_3repE0EEENS1_30default_config_static_selectorELNS0_4arch9wavefront6targetE0EEEvT1_,@function
_ZN7rocprim17ROCPRIM_400000_NS6detail17trampoline_kernelINS0_14default_configENS1_27scan_by_key_config_selectorIiiEEZZNS1_16scan_by_key_implILNS1_25lookback_scan_determinismE0ELb1ES3_N6thrust23THRUST_200600_302600_NS6detail15normal_iteratorINS9_10device_ptrIiEEEESE_SE_iNS9_4plusIvEENS9_8equal_toIiEEiEE10hipError_tPvRmT2_T3_T4_T5_mT6_T7_P12ihipStream_tbENKUlT_T0_E_clISt17integral_constantIbLb1EESZ_EEDaSU_SV_EUlSU_E_NS1_11comp_targetILNS1_3genE5ELNS1_11target_archE942ELNS1_3gpuE9ELNS1_3repE0EEENS1_30default_config_static_selectorELNS0_4arch9wavefront6targetE0EEEvT1_: ; @_ZN7rocprim17ROCPRIM_400000_NS6detail17trampoline_kernelINS0_14default_configENS1_27scan_by_key_config_selectorIiiEEZZNS1_16scan_by_key_implILNS1_25lookback_scan_determinismE0ELb1ES3_N6thrust23THRUST_200600_302600_NS6detail15normal_iteratorINS9_10device_ptrIiEEEESE_SE_iNS9_4plusIvEENS9_8equal_toIiEEiEE10hipError_tPvRmT2_T3_T4_T5_mT6_T7_P12ihipStream_tbENKUlT_T0_E_clISt17integral_constantIbLb1EESZ_EEDaSU_SV_EUlSU_E_NS1_11comp_targetILNS1_3genE5ELNS1_11target_archE942ELNS1_3gpuE9ELNS1_3repE0EEENS1_30default_config_static_selectorELNS0_4arch9wavefront6targetE0EEEvT1_
; %bb.0:
	.section	.rodata,"a",@progbits
	.p2align	6, 0x0
	.amdhsa_kernel _ZN7rocprim17ROCPRIM_400000_NS6detail17trampoline_kernelINS0_14default_configENS1_27scan_by_key_config_selectorIiiEEZZNS1_16scan_by_key_implILNS1_25lookback_scan_determinismE0ELb1ES3_N6thrust23THRUST_200600_302600_NS6detail15normal_iteratorINS9_10device_ptrIiEEEESE_SE_iNS9_4plusIvEENS9_8equal_toIiEEiEE10hipError_tPvRmT2_T3_T4_T5_mT6_T7_P12ihipStream_tbENKUlT_T0_E_clISt17integral_constantIbLb1EESZ_EEDaSU_SV_EUlSU_E_NS1_11comp_targetILNS1_3genE5ELNS1_11target_archE942ELNS1_3gpuE9ELNS1_3repE0EEENS1_30default_config_static_selectorELNS0_4arch9wavefront6targetE0EEEvT1_
		.amdhsa_group_segment_fixed_size 0
		.amdhsa_private_segment_fixed_size 0
		.amdhsa_kernarg_size 112
		.amdhsa_user_sgpr_count 6
		.amdhsa_user_sgpr_private_segment_buffer 1
		.amdhsa_user_sgpr_dispatch_ptr 0
		.amdhsa_user_sgpr_queue_ptr 0
		.amdhsa_user_sgpr_kernarg_segment_ptr 1
		.amdhsa_user_sgpr_dispatch_id 0
		.amdhsa_user_sgpr_flat_scratch_init 0
		.amdhsa_user_sgpr_private_segment_size 0
		.amdhsa_wavefront_size32 1
		.amdhsa_uses_dynamic_stack 0
		.amdhsa_system_sgpr_private_segment_wavefront_offset 0
		.amdhsa_system_sgpr_workgroup_id_x 1
		.amdhsa_system_sgpr_workgroup_id_y 0
		.amdhsa_system_sgpr_workgroup_id_z 0
		.amdhsa_system_sgpr_workgroup_info 0
		.amdhsa_system_vgpr_workitem_id 0
		.amdhsa_next_free_vgpr 1
		.amdhsa_next_free_sgpr 1
		.amdhsa_reserve_vcc 0
		.amdhsa_reserve_flat_scratch 0
		.amdhsa_float_round_mode_32 0
		.amdhsa_float_round_mode_16_64 0
		.amdhsa_float_denorm_mode_32 3
		.amdhsa_float_denorm_mode_16_64 3
		.amdhsa_dx10_clamp 1
		.amdhsa_ieee_mode 1
		.amdhsa_fp16_overflow 0
		.amdhsa_workgroup_processor_mode 1
		.amdhsa_memory_ordered 1
		.amdhsa_forward_progress 1
		.amdhsa_shared_vgpr_count 0
		.amdhsa_exception_fp_ieee_invalid_op 0
		.amdhsa_exception_fp_denorm_src 0
		.amdhsa_exception_fp_ieee_div_zero 0
		.amdhsa_exception_fp_ieee_overflow 0
		.amdhsa_exception_fp_ieee_underflow 0
		.amdhsa_exception_fp_ieee_inexact 0
		.amdhsa_exception_int_div_zero 0
	.end_amdhsa_kernel
	.section	.text._ZN7rocprim17ROCPRIM_400000_NS6detail17trampoline_kernelINS0_14default_configENS1_27scan_by_key_config_selectorIiiEEZZNS1_16scan_by_key_implILNS1_25lookback_scan_determinismE0ELb1ES3_N6thrust23THRUST_200600_302600_NS6detail15normal_iteratorINS9_10device_ptrIiEEEESE_SE_iNS9_4plusIvEENS9_8equal_toIiEEiEE10hipError_tPvRmT2_T3_T4_T5_mT6_T7_P12ihipStream_tbENKUlT_T0_E_clISt17integral_constantIbLb1EESZ_EEDaSU_SV_EUlSU_E_NS1_11comp_targetILNS1_3genE5ELNS1_11target_archE942ELNS1_3gpuE9ELNS1_3repE0EEENS1_30default_config_static_selectorELNS0_4arch9wavefront6targetE0EEEvT1_,"axG",@progbits,_ZN7rocprim17ROCPRIM_400000_NS6detail17trampoline_kernelINS0_14default_configENS1_27scan_by_key_config_selectorIiiEEZZNS1_16scan_by_key_implILNS1_25lookback_scan_determinismE0ELb1ES3_N6thrust23THRUST_200600_302600_NS6detail15normal_iteratorINS9_10device_ptrIiEEEESE_SE_iNS9_4plusIvEENS9_8equal_toIiEEiEE10hipError_tPvRmT2_T3_T4_T5_mT6_T7_P12ihipStream_tbENKUlT_T0_E_clISt17integral_constantIbLb1EESZ_EEDaSU_SV_EUlSU_E_NS1_11comp_targetILNS1_3genE5ELNS1_11target_archE942ELNS1_3gpuE9ELNS1_3repE0EEENS1_30default_config_static_selectorELNS0_4arch9wavefront6targetE0EEEvT1_,comdat
.Lfunc_end544:
	.size	_ZN7rocprim17ROCPRIM_400000_NS6detail17trampoline_kernelINS0_14default_configENS1_27scan_by_key_config_selectorIiiEEZZNS1_16scan_by_key_implILNS1_25lookback_scan_determinismE0ELb1ES3_N6thrust23THRUST_200600_302600_NS6detail15normal_iteratorINS9_10device_ptrIiEEEESE_SE_iNS9_4plusIvEENS9_8equal_toIiEEiEE10hipError_tPvRmT2_T3_T4_T5_mT6_T7_P12ihipStream_tbENKUlT_T0_E_clISt17integral_constantIbLb1EESZ_EEDaSU_SV_EUlSU_E_NS1_11comp_targetILNS1_3genE5ELNS1_11target_archE942ELNS1_3gpuE9ELNS1_3repE0EEENS1_30default_config_static_selectorELNS0_4arch9wavefront6targetE0EEEvT1_, .Lfunc_end544-_ZN7rocprim17ROCPRIM_400000_NS6detail17trampoline_kernelINS0_14default_configENS1_27scan_by_key_config_selectorIiiEEZZNS1_16scan_by_key_implILNS1_25lookback_scan_determinismE0ELb1ES3_N6thrust23THRUST_200600_302600_NS6detail15normal_iteratorINS9_10device_ptrIiEEEESE_SE_iNS9_4plusIvEENS9_8equal_toIiEEiEE10hipError_tPvRmT2_T3_T4_T5_mT6_T7_P12ihipStream_tbENKUlT_T0_E_clISt17integral_constantIbLb1EESZ_EEDaSU_SV_EUlSU_E_NS1_11comp_targetILNS1_3genE5ELNS1_11target_archE942ELNS1_3gpuE9ELNS1_3repE0EEENS1_30default_config_static_selectorELNS0_4arch9wavefront6targetE0EEEvT1_
                                        ; -- End function
	.set _ZN7rocprim17ROCPRIM_400000_NS6detail17trampoline_kernelINS0_14default_configENS1_27scan_by_key_config_selectorIiiEEZZNS1_16scan_by_key_implILNS1_25lookback_scan_determinismE0ELb1ES3_N6thrust23THRUST_200600_302600_NS6detail15normal_iteratorINS9_10device_ptrIiEEEESE_SE_iNS9_4plusIvEENS9_8equal_toIiEEiEE10hipError_tPvRmT2_T3_T4_T5_mT6_T7_P12ihipStream_tbENKUlT_T0_E_clISt17integral_constantIbLb1EESZ_EEDaSU_SV_EUlSU_E_NS1_11comp_targetILNS1_3genE5ELNS1_11target_archE942ELNS1_3gpuE9ELNS1_3repE0EEENS1_30default_config_static_selectorELNS0_4arch9wavefront6targetE0EEEvT1_.num_vgpr, 0
	.set _ZN7rocprim17ROCPRIM_400000_NS6detail17trampoline_kernelINS0_14default_configENS1_27scan_by_key_config_selectorIiiEEZZNS1_16scan_by_key_implILNS1_25lookback_scan_determinismE0ELb1ES3_N6thrust23THRUST_200600_302600_NS6detail15normal_iteratorINS9_10device_ptrIiEEEESE_SE_iNS9_4plusIvEENS9_8equal_toIiEEiEE10hipError_tPvRmT2_T3_T4_T5_mT6_T7_P12ihipStream_tbENKUlT_T0_E_clISt17integral_constantIbLb1EESZ_EEDaSU_SV_EUlSU_E_NS1_11comp_targetILNS1_3genE5ELNS1_11target_archE942ELNS1_3gpuE9ELNS1_3repE0EEENS1_30default_config_static_selectorELNS0_4arch9wavefront6targetE0EEEvT1_.num_agpr, 0
	.set _ZN7rocprim17ROCPRIM_400000_NS6detail17trampoline_kernelINS0_14default_configENS1_27scan_by_key_config_selectorIiiEEZZNS1_16scan_by_key_implILNS1_25lookback_scan_determinismE0ELb1ES3_N6thrust23THRUST_200600_302600_NS6detail15normal_iteratorINS9_10device_ptrIiEEEESE_SE_iNS9_4plusIvEENS9_8equal_toIiEEiEE10hipError_tPvRmT2_T3_T4_T5_mT6_T7_P12ihipStream_tbENKUlT_T0_E_clISt17integral_constantIbLb1EESZ_EEDaSU_SV_EUlSU_E_NS1_11comp_targetILNS1_3genE5ELNS1_11target_archE942ELNS1_3gpuE9ELNS1_3repE0EEENS1_30default_config_static_selectorELNS0_4arch9wavefront6targetE0EEEvT1_.numbered_sgpr, 0
	.set _ZN7rocprim17ROCPRIM_400000_NS6detail17trampoline_kernelINS0_14default_configENS1_27scan_by_key_config_selectorIiiEEZZNS1_16scan_by_key_implILNS1_25lookback_scan_determinismE0ELb1ES3_N6thrust23THRUST_200600_302600_NS6detail15normal_iteratorINS9_10device_ptrIiEEEESE_SE_iNS9_4plusIvEENS9_8equal_toIiEEiEE10hipError_tPvRmT2_T3_T4_T5_mT6_T7_P12ihipStream_tbENKUlT_T0_E_clISt17integral_constantIbLb1EESZ_EEDaSU_SV_EUlSU_E_NS1_11comp_targetILNS1_3genE5ELNS1_11target_archE942ELNS1_3gpuE9ELNS1_3repE0EEENS1_30default_config_static_selectorELNS0_4arch9wavefront6targetE0EEEvT1_.num_named_barrier, 0
	.set _ZN7rocprim17ROCPRIM_400000_NS6detail17trampoline_kernelINS0_14default_configENS1_27scan_by_key_config_selectorIiiEEZZNS1_16scan_by_key_implILNS1_25lookback_scan_determinismE0ELb1ES3_N6thrust23THRUST_200600_302600_NS6detail15normal_iteratorINS9_10device_ptrIiEEEESE_SE_iNS9_4plusIvEENS9_8equal_toIiEEiEE10hipError_tPvRmT2_T3_T4_T5_mT6_T7_P12ihipStream_tbENKUlT_T0_E_clISt17integral_constantIbLb1EESZ_EEDaSU_SV_EUlSU_E_NS1_11comp_targetILNS1_3genE5ELNS1_11target_archE942ELNS1_3gpuE9ELNS1_3repE0EEENS1_30default_config_static_selectorELNS0_4arch9wavefront6targetE0EEEvT1_.private_seg_size, 0
	.set _ZN7rocprim17ROCPRIM_400000_NS6detail17trampoline_kernelINS0_14default_configENS1_27scan_by_key_config_selectorIiiEEZZNS1_16scan_by_key_implILNS1_25lookback_scan_determinismE0ELb1ES3_N6thrust23THRUST_200600_302600_NS6detail15normal_iteratorINS9_10device_ptrIiEEEESE_SE_iNS9_4plusIvEENS9_8equal_toIiEEiEE10hipError_tPvRmT2_T3_T4_T5_mT6_T7_P12ihipStream_tbENKUlT_T0_E_clISt17integral_constantIbLb1EESZ_EEDaSU_SV_EUlSU_E_NS1_11comp_targetILNS1_3genE5ELNS1_11target_archE942ELNS1_3gpuE9ELNS1_3repE0EEENS1_30default_config_static_selectorELNS0_4arch9wavefront6targetE0EEEvT1_.uses_vcc, 0
	.set _ZN7rocprim17ROCPRIM_400000_NS6detail17trampoline_kernelINS0_14default_configENS1_27scan_by_key_config_selectorIiiEEZZNS1_16scan_by_key_implILNS1_25lookback_scan_determinismE0ELb1ES3_N6thrust23THRUST_200600_302600_NS6detail15normal_iteratorINS9_10device_ptrIiEEEESE_SE_iNS9_4plusIvEENS9_8equal_toIiEEiEE10hipError_tPvRmT2_T3_T4_T5_mT6_T7_P12ihipStream_tbENKUlT_T0_E_clISt17integral_constantIbLb1EESZ_EEDaSU_SV_EUlSU_E_NS1_11comp_targetILNS1_3genE5ELNS1_11target_archE942ELNS1_3gpuE9ELNS1_3repE0EEENS1_30default_config_static_selectorELNS0_4arch9wavefront6targetE0EEEvT1_.uses_flat_scratch, 0
	.set _ZN7rocprim17ROCPRIM_400000_NS6detail17trampoline_kernelINS0_14default_configENS1_27scan_by_key_config_selectorIiiEEZZNS1_16scan_by_key_implILNS1_25lookback_scan_determinismE0ELb1ES3_N6thrust23THRUST_200600_302600_NS6detail15normal_iteratorINS9_10device_ptrIiEEEESE_SE_iNS9_4plusIvEENS9_8equal_toIiEEiEE10hipError_tPvRmT2_T3_T4_T5_mT6_T7_P12ihipStream_tbENKUlT_T0_E_clISt17integral_constantIbLb1EESZ_EEDaSU_SV_EUlSU_E_NS1_11comp_targetILNS1_3genE5ELNS1_11target_archE942ELNS1_3gpuE9ELNS1_3repE0EEENS1_30default_config_static_selectorELNS0_4arch9wavefront6targetE0EEEvT1_.has_dyn_sized_stack, 0
	.set _ZN7rocprim17ROCPRIM_400000_NS6detail17trampoline_kernelINS0_14default_configENS1_27scan_by_key_config_selectorIiiEEZZNS1_16scan_by_key_implILNS1_25lookback_scan_determinismE0ELb1ES3_N6thrust23THRUST_200600_302600_NS6detail15normal_iteratorINS9_10device_ptrIiEEEESE_SE_iNS9_4plusIvEENS9_8equal_toIiEEiEE10hipError_tPvRmT2_T3_T4_T5_mT6_T7_P12ihipStream_tbENKUlT_T0_E_clISt17integral_constantIbLb1EESZ_EEDaSU_SV_EUlSU_E_NS1_11comp_targetILNS1_3genE5ELNS1_11target_archE942ELNS1_3gpuE9ELNS1_3repE0EEENS1_30default_config_static_selectorELNS0_4arch9wavefront6targetE0EEEvT1_.has_recursion, 0
	.set _ZN7rocprim17ROCPRIM_400000_NS6detail17trampoline_kernelINS0_14default_configENS1_27scan_by_key_config_selectorIiiEEZZNS1_16scan_by_key_implILNS1_25lookback_scan_determinismE0ELb1ES3_N6thrust23THRUST_200600_302600_NS6detail15normal_iteratorINS9_10device_ptrIiEEEESE_SE_iNS9_4plusIvEENS9_8equal_toIiEEiEE10hipError_tPvRmT2_T3_T4_T5_mT6_T7_P12ihipStream_tbENKUlT_T0_E_clISt17integral_constantIbLb1EESZ_EEDaSU_SV_EUlSU_E_NS1_11comp_targetILNS1_3genE5ELNS1_11target_archE942ELNS1_3gpuE9ELNS1_3repE0EEENS1_30default_config_static_selectorELNS0_4arch9wavefront6targetE0EEEvT1_.has_indirect_call, 0
	.section	.AMDGPU.csdata,"",@progbits
; Kernel info:
; codeLenInByte = 0
; TotalNumSgprs: 0
; NumVgprs: 0
; ScratchSize: 0
; MemoryBound: 0
; FloatMode: 240
; IeeeMode: 1
; LDSByteSize: 0 bytes/workgroup (compile time only)
; SGPRBlocks: 0
; VGPRBlocks: 0
; NumSGPRsForWavesPerEU: 1
; NumVGPRsForWavesPerEU: 1
; Occupancy: 16
; WaveLimiterHint : 0
; COMPUTE_PGM_RSRC2:SCRATCH_EN: 0
; COMPUTE_PGM_RSRC2:USER_SGPR: 6
; COMPUTE_PGM_RSRC2:TRAP_HANDLER: 0
; COMPUTE_PGM_RSRC2:TGID_X_EN: 1
; COMPUTE_PGM_RSRC2:TGID_Y_EN: 0
; COMPUTE_PGM_RSRC2:TGID_Z_EN: 0
; COMPUTE_PGM_RSRC2:TIDIG_COMP_CNT: 0
	.section	.text._ZN7rocprim17ROCPRIM_400000_NS6detail17trampoline_kernelINS0_14default_configENS1_27scan_by_key_config_selectorIiiEEZZNS1_16scan_by_key_implILNS1_25lookback_scan_determinismE0ELb1ES3_N6thrust23THRUST_200600_302600_NS6detail15normal_iteratorINS9_10device_ptrIiEEEESE_SE_iNS9_4plusIvEENS9_8equal_toIiEEiEE10hipError_tPvRmT2_T3_T4_T5_mT6_T7_P12ihipStream_tbENKUlT_T0_E_clISt17integral_constantIbLb1EESZ_EEDaSU_SV_EUlSU_E_NS1_11comp_targetILNS1_3genE4ELNS1_11target_archE910ELNS1_3gpuE8ELNS1_3repE0EEENS1_30default_config_static_selectorELNS0_4arch9wavefront6targetE0EEEvT1_,"axG",@progbits,_ZN7rocprim17ROCPRIM_400000_NS6detail17trampoline_kernelINS0_14default_configENS1_27scan_by_key_config_selectorIiiEEZZNS1_16scan_by_key_implILNS1_25lookback_scan_determinismE0ELb1ES3_N6thrust23THRUST_200600_302600_NS6detail15normal_iteratorINS9_10device_ptrIiEEEESE_SE_iNS9_4plusIvEENS9_8equal_toIiEEiEE10hipError_tPvRmT2_T3_T4_T5_mT6_T7_P12ihipStream_tbENKUlT_T0_E_clISt17integral_constantIbLb1EESZ_EEDaSU_SV_EUlSU_E_NS1_11comp_targetILNS1_3genE4ELNS1_11target_archE910ELNS1_3gpuE8ELNS1_3repE0EEENS1_30default_config_static_selectorELNS0_4arch9wavefront6targetE0EEEvT1_,comdat
	.protected	_ZN7rocprim17ROCPRIM_400000_NS6detail17trampoline_kernelINS0_14default_configENS1_27scan_by_key_config_selectorIiiEEZZNS1_16scan_by_key_implILNS1_25lookback_scan_determinismE0ELb1ES3_N6thrust23THRUST_200600_302600_NS6detail15normal_iteratorINS9_10device_ptrIiEEEESE_SE_iNS9_4plusIvEENS9_8equal_toIiEEiEE10hipError_tPvRmT2_T3_T4_T5_mT6_T7_P12ihipStream_tbENKUlT_T0_E_clISt17integral_constantIbLb1EESZ_EEDaSU_SV_EUlSU_E_NS1_11comp_targetILNS1_3genE4ELNS1_11target_archE910ELNS1_3gpuE8ELNS1_3repE0EEENS1_30default_config_static_selectorELNS0_4arch9wavefront6targetE0EEEvT1_ ; -- Begin function _ZN7rocprim17ROCPRIM_400000_NS6detail17trampoline_kernelINS0_14default_configENS1_27scan_by_key_config_selectorIiiEEZZNS1_16scan_by_key_implILNS1_25lookback_scan_determinismE0ELb1ES3_N6thrust23THRUST_200600_302600_NS6detail15normal_iteratorINS9_10device_ptrIiEEEESE_SE_iNS9_4plusIvEENS9_8equal_toIiEEiEE10hipError_tPvRmT2_T3_T4_T5_mT6_T7_P12ihipStream_tbENKUlT_T0_E_clISt17integral_constantIbLb1EESZ_EEDaSU_SV_EUlSU_E_NS1_11comp_targetILNS1_3genE4ELNS1_11target_archE910ELNS1_3gpuE8ELNS1_3repE0EEENS1_30default_config_static_selectorELNS0_4arch9wavefront6targetE0EEEvT1_
	.globl	_ZN7rocprim17ROCPRIM_400000_NS6detail17trampoline_kernelINS0_14default_configENS1_27scan_by_key_config_selectorIiiEEZZNS1_16scan_by_key_implILNS1_25lookback_scan_determinismE0ELb1ES3_N6thrust23THRUST_200600_302600_NS6detail15normal_iteratorINS9_10device_ptrIiEEEESE_SE_iNS9_4plusIvEENS9_8equal_toIiEEiEE10hipError_tPvRmT2_T3_T4_T5_mT6_T7_P12ihipStream_tbENKUlT_T0_E_clISt17integral_constantIbLb1EESZ_EEDaSU_SV_EUlSU_E_NS1_11comp_targetILNS1_3genE4ELNS1_11target_archE910ELNS1_3gpuE8ELNS1_3repE0EEENS1_30default_config_static_selectorELNS0_4arch9wavefront6targetE0EEEvT1_
	.p2align	8
	.type	_ZN7rocprim17ROCPRIM_400000_NS6detail17trampoline_kernelINS0_14default_configENS1_27scan_by_key_config_selectorIiiEEZZNS1_16scan_by_key_implILNS1_25lookback_scan_determinismE0ELb1ES3_N6thrust23THRUST_200600_302600_NS6detail15normal_iteratorINS9_10device_ptrIiEEEESE_SE_iNS9_4plusIvEENS9_8equal_toIiEEiEE10hipError_tPvRmT2_T3_T4_T5_mT6_T7_P12ihipStream_tbENKUlT_T0_E_clISt17integral_constantIbLb1EESZ_EEDaSU_SV_EUlSU_E_NS1_11comp_targetILNS1_3genE4ELNS1_11target_archE910ELNS1_3gpuE8ELNS1_3repE0EEENS1_30default_config_static_selectorELNS0_4arch9wavefront6targetE0EEEvT1_,@function
_ZN7rocprim17ROCPRIM_400000_NS6detail17trampoline_kernelINS0_14default_configENS1_27scan_by_key_config_selectorIiiEEZZNS1_16scan_by_key_implILNS1_25lookback_scan_determinismE0ELb1ES3_N6thrust23THRUST_200600_302600_NS6detail15normal_iteratorINS9_10device_ptrIiEEEESE_SE_iNS9_4plusIvEENS9_8equal_toIiEEiEE10hipError_tPvRmT2_T3_T4_T5_mT6_T7_P12ihipStream_tbENKUlT_T0_E_clISt17integral_constantIbLb1EESZ_EEDaSU_SV_EUlSU_E_NS1_11comp_targetILNS1_3genE4ELNS1_11target_archE910ELNS1_3gpuE8ELNS1_3repE0EEENS1_30default_config_static_selectorELNS0_4arch9wavefront6targetE0EEEvT1_: ; @_ZN7rocprim17ROCPRIM_400000_NS6detail17trampoline_kernelINS0_14default_configENS1_27scan_by_key_config_selectorIiiEEZZNS1_16scan_by_key_implILNS1_25lookback_scan_determinismE0ELb1ES3_N6thrust23THRUST_200600_302600_NS6detail15normal_iteratorINS9_10device_ptrIiEEEESE_SE_iNS9_4plusIvEENS9_8equal_toIiEEiEE10hipError_tPvRmT2_T3_T4_T5_mT6_T7_P12ihipStream_tbENKUlT_T0_E_clISt17integral_constantIbLb1EESZ_EEDaSU_SV_EUlSU_E_NS1_11comp_targetILNS1_3genE4ELNS1_11target_archE910ELNS1_3gpuE8ELNS1_3repE0EEENS1_30default_config_static_selectorELNS0_4arch9wavefront6targetE0EEEvT1_
; %bb.0:
	.section	.rodata,"a",@progbits
	.p2align	6, 0x0
	.amdhsa_kernel _ZN7rocprim17ROCPRIM_400000_NS6detail17trampoline_kernelINS0_14default_configENS1_27scan_by_key_config_selectorIiiEEZZNS1_16scan_by_key_implILNS1_25lookback_scan_determinismE0ELb1ES3_N6thrust23THRUST_200600_302600_NS6detail15normal_iteratorINS9_10device_ptrIiEEEESE_SE_iNS9_4plusIvEENS9_8equal_toIiEEiEE10hipError_tPvRmT2_T3_T4_T5_mT6_T7_P12ihipStream_tbENKUlT_T0_E_clISt17integral_constantIbLb1EESZ_EEDaSU_SV_EUlSU_E_NS1_11comp_targetILNS1_3genE4ELNS1_11target_archE910ELNS1_3gpuE8ELNS1_3repE0EEENS1_30default_config_static_selectorELNS0_4arch9wavefront6targetE0EEEvT1_
		.amdhsa_group_segment_fixed_size 0
		.amdhsa_private_segment_fixed_size 0
		.amdhsa_kernarg_size 112
		.amdhsa_user_sgpr_count 6
		.amdhsa_user_sgpr_private_segment_buffer 1
		.amdhsa_user_sgpr_dispatch_ptr 0
		.amdhsa_user_sgpr_queue_ptr 0
		.amdhsa_user_sgpr_kernarg_segment_ptr 1
		.amdhsa_user_sgpr_dispatch_id 0
		.amdhsa_user_sgpr_flat_scratch_init 0
		.amdhsa_user_sgpr_private_segment_size 0
		.amdhsa_wavefront_size32 1
		.amdhsa_uses_dynamic_stack 0
		.amdhsa_system_sgpr_private_segment_wavefront_offset 0
		.amdhsa_system_sgpr_workgroup_id_x 1
		.amdhsa_system_sgpr_workgroup_id_y 0
		.amdhsa_system_sgpr_workgroup_id_z 0
		.amdhsa_system_sgpr_workgroup_info 0
		.amdhsa_system_vgpr_workitem_id 0
		.amdhsa_next_free_vgpr 1
		.amdhsa_next_free_sgpr 1
		.amdhsa_reserve_vcc 0
		.amdhsa_reserve_flat_scratch 0
		.amdhsa_float_round_mode_32 0
		.amdhsa_float_round_mode_16_64 0
		.amdhsa_float_denorm_mode_32 3
		.amdhsa_float_denorm_mode_16_64 3
		.amdhsa_dx10_clamp 1
		.amdhsa_ieee_mode 1
		.amdhsa_fp16_overflow 0
		.amdhsa_workgroup_processor_mode 1
		.amdhsa_memory_ordered 1
		.amdhsa_forward_progress 1
		.amdhsa_shared_vgpr_count 0
		.amdhsa_exception_fp_ieee_invalid_op 0
		.amdhsa_exception_fp_denorm_src 0
		.amdhsa_exception_fp_ieee_div_zero 0
		.amdhsa_exception_fp_ieee_overflow 0
		.amdhsa_exception_fp_ieee_underflow 0
		.amdhsa_exception_fp_ieee_inexact 0
		.amdhsa_exception_int_div_zero 0
	.end_amdhsa_kernel
	.section	.text._ZN7rocprim17ROCPRIM_400000_NS6detail17trampoline_kernelINS0_14default_configENS1_27scan_by_key_config_selectorIiiEEZZNS1_16scan_by_key_implILNS1_25lookback_scan_determinismE0ELb1ES3_N6thrust23THRUST_200600_302600_NS6detail15normal_iteratorINS9_10device_ptrIiEEEESE_SE_iNS9_4plusIvEENS9_8equal_toIiEEiEE10hipError_tPvRmT2_T3_T4_T5_mT6_T7_P12ihipStream_tbENKUlT_T0_E_clISt17integral_constantIbLb1EESZ_EEDaSU_SV_EUlSU_E_NS1_11comp_targetILNS1_3genE4ELNS1_11target_archE910ELNS1_3gpuE8ELNS1_3repE0EEENS1_30default_config_static_selectorELNS0_4arch9wavefront6targetE0EEEvT1_,"axG",@progbits,_ZN7rocprim17ROCPRIM_400000_NS6detail17trampoline_kernelINS0_14default_configENS1_27scan_by_key_config_selectorIiiEEZZNS1_16scan_by_key_implILNS1_25lookback_scan_determinismE0ELb1ES3_N6thrust23THRUST_200600_302600_NS6detail15normal_iteratorINS9_10device_ptrIiEEEESE_SE_iNS9_4plusIvEENS9_8equal_toIiEEiEE10hipError_tPvRmT2_T3_T4_T5_mT6_T7_P12ihipStream_tbENKUlT_T0_E_clISt17integral_constantIbLb1EESZ_EEDaSU_SV_EUlSU_E_NS1_11comp_targetILNS1_3genE4ELNS1_11target_archE910ELNS1_3gpuE8ELNS1_3repE0EEENS1_30default_config_static_selectorELNS0_4arch9wavefront6targetE0EEEvT1_,comdat
.Lfunc_end545:
	.size	_ZN7rocprim17ROCPRIM_400000_NS6detail17trampoline_kernelINS0_14default_configENS1_27scan_by_key_config_selectorIiiEEZZNS1_16scan_by_key_implILNS1_25lookback_scan_determinismE0ELb1ES3_N6thrust23THRUST_200600_302600_NS6detail15normal_iteratorINS9_10device_ptrIiEEEESE_SE_iNS9_4plusIvEENS9_8equal_toIiEEiEE10hipError_tPvRmT2_T3_T4_T5_mT6_T7_P12ihipStream_tbENKUlT_T0_E_clISt17integral_constantIbLb1EESZ_EEDaSU_SV_EUlSU_E_NS1_11comp_targetILNS1_3genE4ELNS1_11target_archE910ELNS1_3gpuE8ELNS1_3repE0EEENS1_30default_config_static_selectorELNS0_4arch9wavefront6targetE0EEEvT1_, .Lfunc_end545-_ZN7rocprim17ROCPRIM_400000_NS6detail17trampoline_kernelINS0_14default_configENS1_27scan_by_key_config_selectorIiiEEZZNS1_16scan_by_key_implILNS1_25lookback_scan_determinismE0ELb1ES3_N6thrust23THRUST_200600_302600_NS6detail15normal_iteratorINS9_10device_ptrIiEEEESE_SE_iNS9_4plusIvEENS9_8equal_toIiEEiEE10hipError_tPvRmT2_T3_T4_T5_mT6_T7_P12ihipStream_tbENKUlT_T0_E_clISt17integral_constantIbLb1EESZ_EEDaSU_SV_EUlSU_E_NS1_11comp_targetILNS1_3genE4ELNS1_11target_archE910ELNS1_3gpuE8ELNS1_3repE0EEENS1_30default_config_static_selectorELNS0_4arch9wavefront6targetE0EEEvT1_
                                        ; -- End function
	.set _ZN7rocprim17ROCPRIM_400000_NS6detail17trampoline_kernelINS0_14default_configENS1_27scan_by_key_config_selectorIiiEEZZNS1_16scan_by_key_implILNS1_25lookback_scan_determinismE0ELb1ES3_N6thrust23THRUST_200600_302600_NS6detail15normal_iteratorINS9_10device_ptrIiEEEESE_SE_iNS9_4plusIvEENS9_8equal_toIiEEiEE10hipError_tPvRmT2_T3_T4_T5_mT6_T7_P12ihipStream_tbENKUlT_T0_E_clISt17integral_constantIbLb1EESZ_EEDaSU_SV_EUlSU_E_NS1_11comp_targetILNS1_3genE4ELNS1_11target_archE910ELNS1_3gpuE8ELNS1_3repE0EEENS1_30default_config_static_selectorELNS0_4arch9wavefront6targetE0EEEvT1_.num_vgpr, 0
	.set _ZN7rocprim17ROCPRIM_400000_NS6detail17trampoline_kernelINS0_14default_configENS1_27scan_by_key_config_selectorIiiEEZZNS1_16scan_by_key_implILNS1_25lookback_scan_determinismE0ELb1ES3_N6thrust23THRUST_200600_302600_NS6detail15normal_iteratorINS9_10device_ptrIiEEEESE_SE_iNS9_4plusIvEENS9_8equal_toIiEEiEE10hipError_tPvRmT2_T3_T4_T5_mT6_T7_P12ihipStream_tbENKUlT_T0_E_clISt17integral_constantIbLb1EESZ_EEDaSU_SV_EUlSU_E_NS1_11comp_targetILNS1_3genE4ELNS1_11target_archE910ELNS1_3gpuE8ELNS1_3repE0EEENS1_30default_config_static_selectorELNS0_4arch9wavefront6targetE0EEEvT1_.num_agpr, 0
	.set _ZN7rocprim17ROCPRIM_400000_NS6detail17trampoline_kernelINS0_14default_configENS1_27scan_by_key_config_selectorIiiEEZZNS1_16scan_by_key_implILNS1_25lookback_scan_determinismE0ELb1ES3_N6thrust23THRUST_200600_302600_NS6detail15normal_iteratorINS9_10device_ptrIiEEEESE_SE_iNS9_4plusIvEENS9_8equal_toIiEEiEE10hipError_tPvRmT2_T3_T4_T5_mT6_T7_P12ihipStream_tbENKUlT_T0_E_clISt17integral_constantIbLb1EESZ_EEDaSU_SV_EUlSU_E_NS1_11comp_targetILNS1_3genE4ELNS1_11target_archE910ELNS1_3gpuE8ELNS1_3repE0EEENS1_30default_config_static_selectorELNS0_4arch9wavefront6targetE0EEEvT1_.numbered_sgpr, 0
	.set _ZN7rocprim17ROCPRIM_400000_NS6detail17trampoline_kernelINS0_14default_configENS1_27scan_by_key_config_selectorIiiEEZZNS1_16scan_by_key_implILNS1_25lookback_scan_determinismE0ELb1ES3_N6thrust23THRUST_200600_302600_NS6detail15normal_iteratorINS9_10device_ptrIiEEEESE_SE_iNS9_4plusIvEENS9_8equal_toIiEEiEE10hipError_tPvRmT2_T3_T4_T5_mT6_T7_P12ihipStream_tbENKUlT_T0_E_clISt17integral_constantIbLb1EESZ_EEDaSU_SV_EUlSU_E_NS1_11comp_targetILNS1_3genE4ELNS1_11target_archE910ELNS1_3gpuE8ELNS1_3repE0EEENS1_30default_config_static_selectorELNS0_4arch9wavefront6targetE0EEEvT1_.num_named_barrier, 0
	.set _ZN7rocprim17ROCPRIM_400000_NS6detail17trampoline_kernelINS0_14default_configENS1_27scan_by_key_config_selectorIiiEEZZNS1_16scan_by_key_implILNS1_25lookback_scan_determinismE0ELb1ES3_N6thrust23THRUST_200600_302600_NS6detail15normal_iteratorINS9_10device_ptrIiEEEESE_SE_iNS9_4plusIvEENS9_8equal_toIiEEiEE10hipError_tPvRmT2_T3_T4_T5_mT6_T7_P12ihipStream_tbENKUlT_T0_E_clISt17integral_constantIbLb1EESZ_EEDaSU_SV_EUlSU_E_NS1_11comp_targetILNS1_3genE4ELNS1_11target_archE910ELNS1_3gpuE8ELNS1_3repE0EEENS1_30default_config_static_selectorELNS0_4arch9wavefront6targetE0EEEvT1_.private_seg_size, 0
	.set _ZN7rocprim17ROCPRIM_400000_NS6detail17trampoline_kernelINS0_14default_configENS1_27scan_by_key_config_selectorIiiEEZZNS1_16scan_by_key_implILNS1_25lookback_scan_determinismE0ELb1ES3_N6thrust23THRUST_200600_302600_NS6detail15normal_iteratorINS9_10device_ptrIiEEEESE_SE_iNS9_4plusIvEENS9_8equal_toIiEEiEE10hipError_tPvRmT2_T3_T4_T5_mT6_T7_P12ihipStream_tbENKUlT_T0_E_clISt17integral_constantIbLb1EESZ_EEDaSU_SV_EUlSU_E_NS1_11comp_targetILNS1_3genE4ELNS1_11target_archE910ELNS1_3gpuE8ELNS1_3repE0EEENS1_30default_config_static_selectorELNS0_4arch9wavefront6targetE0EEEvT1_.uses_vcc, 0
	.set _ZN7rocprim17ROCPRIM_400000_NS6detail17trampoline_kernelINS0_14default_configENS1_27scan_by_key_config_selectorIiiEEZZNS1_16scan_by_key_implILNS1_25lookback_scan_determinismE0ELb1ES3_N6thrust23THRUST_200600_302600_NS6detail15normal_iteratorINS9_10device_ptrIiEEEESE_SE_iNS9_4plusIvEENS9_8equal_toIiEEiEE10hipError_tPvRmT2_T3_T4_T5_mT6_T7_P12ihipStream_tbENKUlT_T0_E_clISt17integral_constantIbLb1EESZ_EEDaSU_SV_EUlSU_E_NS1_11comp_targetILNS1_3genE4ELNS1_11target_archE910ELNS1_3gpuE8ELNS1_3repE0EEENS1_30default_config_static_selectorELNS0_4arch9wavefront6targetE0EEEvT1_.uses_flat_scratch, 0
	.set _ZN7rocprim17ROCPRIM_400000_NS6detail17trampoline_kernelINS0_14default_configENS1_27scan_by_key_config_selectorIiiEEZZNS1_16scan_by_key_implILNS1_25lookback_scan_determinismE0ELb1ES3_N6thrust23THRUST_200600_302600_NS6detail15normal_iteratorINS9_10device_ptrIiEEEESE_SE_iNS9_4plusIvEENS9_8equal_toIiEEiEE10hipError_tPvRmT2_T3_T4_T5_mT6_T7_P12ihipStream_tbENKUlT_T0_E_clISt17integral_constantIbLb1EESZ_EEDaSU_SV_EUlSU_E_NS1_11comp_targetILNS1_3genE4ELNS1_11target_archE910ELNS1_3gpuE8ELNS1_3repE0EEENS1_30default_config_static_selectorELNS0_4arch9wavefront6targetE0EEEvT1_.has_dyn_sized_stack, 0
	.set _ZN7rocprim17ROCPRIM_400000_NS6detail17trampoline_kernelINS0_14default_configENS1_27scan_by_key_config_selectorIiiEEZZNS1_16scan_by_key_implILNS1_25lookback_scan_determinismE0ELb1ES3_N6thrust23THRUST_200600_302600_NS6detail15normal_iteratorINS9_10device_ptrIiEEEESE_SE_iNS9_4plusIvEENS9_8equal_toIiEEiEE10hipError_tPvRmT2_T3_T4_T5_mT6_T7_P12ihipStream_tbENKUlT_T0_E_clISt17integral_constantIbLb1EESZ_EEDaSU_SV_EUlSU_E_NS1_11comp_targetILNS1_3genE4ELNS1_11target_archE910ELNS1_3gpuE8ELNS1_3repE0EEENS1_30default_config_static_selectorELNS0_4arch9wavefront6targetE0EEEvT1_.has_recursion, 0
	.set _ZN7rocprim17ROCPRIM_400000_NS6detail17trampoline_kernelINS0_14default_configENS1_27scan_by_key_config_selectorIiiEEZZNS1_16scan_by_key_implILNS1_25lookback_scan_determinismE0ELb1ES3_N6thrust23THRUST_200600_302600_NS6detail15normal_iteratorINS9_10device_ptrIiEEEESE_SE_iNS9_4plusIvEENS9_8equal_toIiEEiEE10hipError_tPvRmT2_T3_T4_T5_mT6_T7_P12ihipStream_tbENKUlT_T0_E_clISt17integral_constantIbLb1EESZ_EEDaSU_SV_EUlSU_E_NS1_11comp_targetILNS1_3genE4ELNS1_11target_archE910ELNS1_3gpuE8ELNS1_3repE0EEENS1_30default_config_static_selectorELNS0_4arch9wavefront6targetE0EEEvT1_.has_indirect_call, 0
	.section	.AMDGPU.csdata,"",@progbits
; Kernel info:
; codeLenInByte = 0
; TotalNumSgprs: 0
; NumVgprs: 0
; ScratchSize: 0
; MemoryBound: 0
; FloatMode: 240
; IeeeMode: 1
; LDSByteSize: 0 bytes/workgroup (compile time only)
; SGPRBlocks: 0
; VGPRBlocks: 0
; NumSGPRsForWavesPerEU: 1
; NumVGPRsForWavesPerEU: 1
; Occupancy: 16
; WaveLimiterHint : 0
; COMPUTE_PGM_RSRC2:SCRATCH_EN: 0
; COMPUTE_PGM_RSRC2:USER_SGPR: 6
; COMPUTE_PGM_RSRC2:TRAP_HANDLER: 0
; COMPUTE_PGM_RSRC2:TGID_X_EN: 1
; COMPUTE_PGM_RSRC2:TGID_Y_EN: 0
; COMPUTE_PGM_RSRC2:TGID_Z_EN: 0
; COMPUTE_PGM_RSRC2:TIDIG_COMP_CNT: 0
	.section	.text._ZN7rocprim17ROCPRIM_400000_NS6detail17trampoline_kernelINS0_14default_configENS1_27scan_by_key_config_selectorIiiEEZZNS1_16scan_by_key_implILNS1_25lookback_scan_determinismE0ELb1ES3_N6thrust23THRUST_200600_302600_NS6detail15normal_iteratorINS9_10device_ptrIiEEEESE_SE_iNS9_4plusIvEENS9_8equal_toIiEEiEE10hipError_tPvRmT2_T3_T4_T5_mT6_T7_P12ihipStream_tbENKUlT_T0_E_clISt17integral_constantIbLb1EESZ_EEDaSU_SV_EUlSU_E_NS1_11comp_targetILNS1_3genE3ELNS1_11target_archE908ELNS1_3gpuE7ELNS1_3repE0EEENS1_30default_config_static_selectorELNS0_4arch9wavefront6targetE0EEEvT1_,"axG",@progbits,_ZN7rocprim17ROCPRIM_400000_NS6detail17trampoline_kernelINS0_14default_configENS1_27scan_by_key_config_selectorIiiEEZZNS1_16scan_by_key_implILNS1_25lookback_scan_determinismE0ELb1ES3_N6thrust23THRUST_200600_302600_NS6detail15normal_iteratorINS9_10device_ptrIiEEEESE_SE_iNS9_4plusIvEENS9_8equal_toIiEEiEE10hipError_tPvRmT2_T3_T4_T5_mT6_T7_P12ihipStream_tbENKUlT_T0_E_clISt17integral_constantIbLb1EESZ_EEDaSU_SV_EUlSU_E_NS1_11comp_targetILNS1_3genE3ELNS1_11target_archE908ELNS1_3gpuE7ELNS1_3repE0EEENS1_30default_config_static_selectorELNS0_4arch9wavefront6targetE0EEEvT1_,comdat
	.protected	_ZN7rocprim17ROCPRIM_400000_NS6detail17trampoline_kernelINS0_14default_configENS1_27scan_by_key_config_selectorIiiEEZZNS1_16scan_by_key_implILNS1_25lookback_scan_determinismE0ELb1ES3_N6thrust23THRUST_200600_302600_NS6detail15normal_iteratorINS9_10device_ptrIiEEEESE_SE_iNS9_4plusIvEENS9_8equal_toIiEEiEE10hipError_tPvRmT2_T3_T4_T5_mT6_T7_P12ihipStream_tbENKUlT_T0_E_clISt17integral_constantIbLb1EESZ_EEDaSU_SV_EUlSU_E_NS1_11comp_targetILNS1_3genE3ELNS1_11target_archE908ELNS1_3gpuE7ELNS1_3repE0EEENS1_30default_config_static_selectorELNS0_4arch9wavefront6targetE0EEEvT1_ ; -- Begin function _ZN7rocprim17ROCPRIM_400000_NS6detail17trampoline_kernelINS0_14default_configENS1_27scan_by_key_config_selectorIiiEEZZNS1_16scan_by_key_implILNS1_25lookback_scan_determinismE0ELb1ES3_N6thrust23THRUST_200600_302600_NS6detail15normal_iteratorINS9_10device_ptrIiEEEESE_SE_iNS9_4plusIvEENS9_8equal_toIiEEiEE10hipError_tPvRmT2_T3_T4_T5_mT6_T7_P12ihipStream_tbENKUlT_T0_E_clISt17integral_constantIbLb1EESZ_EEDaSU_SV_EUlSU_E_NS1_11comp_targetILNS1_3genE3ELNS1_11target_archE908ELNS1_3gpuE7ELNS1_3repE0EEENS1_30default_config_static_selectorELNS0_4arch9wavefront6targetE0EEEvT1_
	.globl	_ZN7rocprim17ROCPRIM_400000_NS6detail17trampoline_kernelINS0_14default_configENS1_27scan_by_key_config_selectorIiiEEZZNS1_16scan_by_key_implILNS1_25lookback_scan_determinismE0ELb1ES3_N6thrust23THRUST_200600_302600_NS6detail15normal_iteratorINS9_10device_ptrIiEEEESE_SE_iNS9_4plusIvEENS9_8equal_toIiEEiEE10hipError_tPvRmT2_T3_T4_T5_mT6_T7_P12ihipStream_tbENKUlT_T0_E_clISt17integral_constantIbLb1EESZ_EEDaSU_SV_EUlSU_E_NS1_11comp_targetILNS1_3genE3ELNS1_11target_archE908ELNS1_3gpuE7ELNS1_3repE0EEENS1_30default_config_static_selectorELNS0_4arch9wavefront6targetE0EEEvT1_
	.p2align	8
	.type	_ZN7rocprim17ROCPRIM_400000_NS6detail17trampoline_kernelINS0_14default_configENS1_27scan_by_key_config_selectorIiiEEZZNS1_16scan_by_key_implILNS1_25lookback_scan_determinismE0ELb1ES3_N6thrust23THRUST_200600_302600_NS6detail15normal_iteratorINS9_10device_ptrIiEEEESE_SE_iNS9_4plusIvEENS9_8equal_toIiEEiEE10hipError_tPvRmT2_T3_T4_T5_mT6_T7_P12ihipStream_tbENKUlT_T0_E_clISt17integral_constantIbLb1EESZ_EEDaSU_SV_EUlSU_E_NS1_11comp_targetILNS1_3genE3ELNS1_11target_archE908ELNS1_3gpuE7ELNS1_3repE0EEENS1_30default_config_static_selectorELNS0_4arch9wavefront6targetE0EEEvT1_,@function
_ZN7rocprim17ROCPRIM_400000_NS6detail17trampoline_kernelINS0_14default_configENS1_27scan_by_key_config_selectorIiiEEZZNS1_16scan_by_key_implILNS1_25lookback_scan_determinismE0ELb1ES3_N6thrust23THRUST_200600_302600_NS6detail15normal_iteratorINS9_10device_ptrIiEEEESE_SE_iNS9_4plusIvEENS9_8equal_toIiEEiEE10hipError_tPvRmT2_T3_T4_T5_mT6_T7_P12ihipStream_tbENKUlT_T0_E_clISt17integral_constantIbLb1EESZ_EEDaSU_SV_EUlSU_E_NS1_11comp_targetILNS1_3genE3ELNS1_11target_archE908ELNS1_3gpuE7ELNS1_3repE0EEENS1_30default_config_static_selectorELNS0_4arch9wavefront6targetE0EEEvT1_: ; @_ZN7rocprim17ROCPRIM_400000_NS6detail17trampoline_kernelINS0_14default_configENS1_27scan_by_key_config_selectorIiiEEZZNS1_16scan_by_key_implILNS1_25lookback_scan_determinismE0ELb1ES3_N6thrust23THRUST_200600_302600_NS6detail15normal_iteratorINS9_10device_ptrIiEEEESE_SE_iNS9_4plusIvEENS9_8equal_toIiEEiEE10hipError_tPvRmT2_T3_T4_T5_mT6_T7_P12ihipStream_tbENKUlT_T0_E_clISt17integral_constantIbLb1EESZ_EEDaSU_SV_EUlSU_E_NS1_11comp_targetILNS1_3genE3ELNS1_11target_archE908ELNS1_3gpuE7ELNS1_3repE0EEENS1_30default_config_static_selectorELNS0_4arch9wavefront6targetE0EEEvT1_
; %bb.0:
	.section	.rodata,"a",@progbits
	.p2align	6, 0x0
	.amdhsa_kernel _ZN7rocprim17ROCPRIM_400000_NS6detail17trampoline_kernelINS0_14default_configENS1_27scan_by_key_config_selectorIiiEEZZNS1_16scan_by_key_implILNS1_25lookback_scan_determinismE0ELb1ES3_N6thrust23THRUST_200600_302600_NS6detail15normal_iteratorINS9_10device_ptrIiEEEESE_SE_iNS9_4plusIvEENS9_8equal_toIiEEiEE10hipError_tPvRmT2_T3_T4_T5_mT6_T7_P12ihipStream_tbENKUlT_T0_E_clISt17integral_constantIbLb1EESZ_EEDaSU_SV_EUlSU_E_NS1_11comp_targetILNS1_3genE3ELNS1_11target_archE908ELNS1_3gpuE7ELNS1_3repE0EEENS1_30default_config_static_selectorELNS0_4arch9wavefront6targetE0EEEvT1_
		.amdhsa_group_segment_fixed_size 0
		.amdhsa_private_segment_fixed_size 0
		.amdhsa_kernarg_size 112
		.amdhsa_user_sgpr_count 6
		.amdhsa_user_sgpr_private_segment_buffer 1
		.amdhsa_user_sgpr_dispatch_ptr 0
		.amdhsa_user_sgpr_queue_ptr 0
		.amdhsa_user_sgpr_kernarg_segment_ptr 1
		.amdhsa_user_sgpr_dispatch_id 0
		.amdhsa_user_sgpr_flat_scratch_init 0
		.amdhsa_user_sgpr_private_segment_size 0
		.amdhsa_wavefront_size32 1
		.amdhsa_uses_dynamic_stack 0
		.amdhsa_system_sgpr_private_segment_wavefront_offset 0
		.amdhsa_system_sgpr_workgroup_id_x 1
		.amdhsa_system_sgpr_workgroup_id_y 0
		.amdhsa_system_sgpr_workgroup_id_z 0
		.amdhsa_system_sgpr_workgroup_info 0
		.amdhsa_system_vgpr_workitem_id 0
		.amdhsa_next_free_vgpr 1
		.amdhsa_next_free_sgpr 1
		.amdhsa_reserve_vcc 0
		.amdhsa_reserve_flat_scratch 0
		.amdhsa_float_round_mode_32 0
		.amdhsa_float_round_mode_16_64 0
		.amdhsa_float_denorm_mode_32 3
		.amdhsa_float_denorm_mode_16_64 3
		.amdhsa_dx10_clamp 1
		.amdhsa_ieee_mode 1
		.amdhsa_fp16_overflow 0
		.amdhsa_workgroup_processor_mode 1
		.amdhsa_memory_ordered 1
		.amdhsa_forward_progress 1
		.amdhsa_shared_vgpr_count 0
		.amdhsa_exception_fp_ieee_invalid_op 0
		.amdhsa_exception_fp_denorm_src 0
		.amdhsa_exception_fp_ieee_div_zero 0
		.amdhsa_exception_fp_ieee_overflow 0
		.amdhsa_exception_fp_ieee_underflow 0
		.amdhsa_exception_fp_ieee_inexact 0
		.amdhsa_exception_int_div_zero 0
	.end_amdhsa_kernel
	.section	.text._ZN7rocprim17ROCPRIM_400000_NS6detail17trampoline_kernelINS0_14default_configENS1_27scan_by_key_config_selectorIiiEEZZNS1_16scan_by_key_implILNS1_25lookback_scan_determinismE0ELb1ES3_N6thrust23THRUST_200600_302600_NS6detail15normal_iteratorINS9_10device_ptrIiEEEESE_SE_iNS9_4plusIvEENS9_8equal_toIiEEiEE10hipError_tPvRmT2_T3_T4_T5_mT6_T7_P12ihipStream_tbENKUlT_T0_E_clISt17integral_constantIbLb1EESZ_EEDaSU_SV_EUlSU_E_NS1_11comp_targetILNS1_3genE3ELNS1_11target_archE908ELNS1_3gpuE7ELNS1_3repE0EEENS1_30default_config_static_selectorELNS0_4arch9wavefront6targetE0EEEvT1_,"axG",@progbits,_ZN7rocprim17ROCPRIM_400000_NS6detail17trampoline_kernelINS0_14default_configENS1_27scan_by_key_config_selectorIiiEEZZNS1_16scan_by_key_implILNS1_25lookback_scan_determinismE0ELb1ES3_N6thrust23THRUST_200600_302600_NS6detail15normal_iteratorINS9_10device_ptrIiEEEESE_SE_iNS9_4plusIvEENS9_8equal_toIiEEiEE10hipError_tPvRmT2_T3_T4_T5_mT6_T7_P12ihipStream_tbENKUlT_T0_E_clISt17integral_constantIbLb1EESZ_EEDaSU_SV_EUlSU_E_NS1_11comp_targetILNS1_3genE3ELNS1_11target_archE908ELNS1_3gpuE7ELNS1_3repE0EEENS1_30default_config_static_selectorELNS0_4arch9wavefront6targetE0EEEvT1_,comdat
.Lfunc_end546:
	.size	_ZN7rocprim17ROCPRIM_400000_NS6detail17trampoline_kernelINS0_14default_configENS1_27scan_by_key_config_selectorIiiEEZZNS1_16scan_by_key_implILNS1_25lookback_scan_determinismE0ELb1ES3_N6thrust23THRUST_200600_302600_NS6detail15normal_iteratorINS9_10device_ptrIiEEEESE_SE_iNS9_4plusIvEENS9_8equal_toIiEEiEE10hipError_tPvRmT2_T3_T4_T5_mT6_T7_P12ihipStream_tbENKUlT_T0_E_clISt17integral_constantIbLb1EESZ_EEDaSU_SV_EUlSU_E_NS1_11comp_targetILNS1_3genE3ELNS1_11target_archE908ELNS1_3gpuE7ELNS1_3repE0EEENS1_30default_config_static_selectorELNS0_4arch9wavefront6targetE0EEEvT1_, .Lfunc_end546-_ZN7rocprim17ROCPRIM_400000_NS6detail17trampoline_kernelINS0_14default_configENS1_27scan_by_key_config_selectorIiiEEZZNS1_16scan_by_key_implILNS1_25lookback_scan_determinismE0ELb1ES3_N6thrust23THRUST_200600_302600_NS6detail15normal_iteratorINS9_10device_ptrIiEEEESE_SE_iNS9_4plusIvEENS9_8equal_toIiEEiEE10hipError_tPvRmT2_T3_T4_T5_mT6_T7_P12ihipStream_tbENKUlT_T0_E_clISt17integral_constantIbLb1EESZ_EEDaSU_SV_EUlSU_E_NS1_11comp_targetILNS1_3genE3ELNS1_11target_archE908ELNS1_3gpuE7ELNS1_3repE0EEENS1_30default_config_static_selectorELNS0_4arch9wavefront6targetE0EEEvT1_
                                        ; -- End function
	.set _ZN7rocprim17ROCPRIM_400000_NS6detail17trampoline_kernelINS0_14default_configENS1_27scan_by_key_config_selectorIiiEEZZNS1_16scan_by_key_implILNS1_25lookback_scan_determinismE0ELb1ES3_N6thrust23THRUST_200600_302600_NS6detail15normal_iteratorINS9_10device_ptrIiEEEESE_SE_iNS9_4plusIvEENS9_8equal_toIiEEiEE10hipError_tPvRmT2_T3_T4_T5_mT6_T7_P12ihipStream_tbENKUlT_T0_E_clISt17integral_constantIbLb1EESZ_EEDaSU_SV_EUlSU_E_NS1_11comp_targetILNS1_3genE3ELNS1_11target_archE908ELNS1_3gpuE7ELNS1_3repE0EEENS1_30default_config_static_selectorELNS0_4arch9wavefront6targetE0EEEvT1_.num_vgpr, 0
	.set _ZN7rocprim17ROCPRIM_400000_NS6detail17trampoline_kernelINS0_14default_configENS1_27scan_by_key_config_selectorIiiEEZZNS1_16scan_by_key_implILNS1_25lookback_scan_determinismE0ELb1ES3_N6thrust23THRUST_200600_302600_NS6detail15normal_iteratorINS9_10device_ptrIiEEEESE_SE_iNS9_4plusIvEENS9_8equal_toIiEEiEE10hipError_tPvRmT2_T3_T4_T5_mT6_T7_P12ihipStream_tbENKUlT_T0_E_clISt17integral_constantIbLb1EESZ_EEDaSU_SV_EUlSU_E_NS1_11comp_targetILNS1_3genE3ELNS1_11target_archE908ELNS1_3gpuE7ELNS1_3repE0EEENS1_30default_config_static_selectorELNS0_4arch9wavefront6targetE0EEEvT1_.num_agpr, 0
	.set _ZN7rocprim17ROCPRIM_400000_NS6detail17trampoline_kernelINS0_14default_configENS1_27scan_by_key_config_selectorIiiEEZZNS1_16scan_by_key_implILNS1_25lookback_scan_determinismE0ELb1ES3_N6thrust23THRUST_200600_302600_NS6detail15normal_iteratorINS9_10device_ptrIiEEEESE_SE_iNS9_4plusIvEENS9_8equal_toIiEEiEE10hipError_tPvRmT2_T3_T4_T5_mT6_T7_P12ihipStream_tbENKUlT_T0_E_clISt17integral_constantIbLb1EESZ_EEDaSU_SV_EUlSU_E_NS1_11comp_targetILNS1_3genE3ELNS1_11target_archE908ELNS1_3gpuE7ELNS1_3repE0EEENS1_30default_config_static_selectorELNS0_4arch9wavefront6targetE0EEEvT1_.numbered_sgpr, 0
	.set _ZN7rocprim17ROCPRIM_400000_NS6detail17trampoline_kernelINS0_14default_configENS1_27scan_by_key_config_selectorIiiEEZZNS1_16scan_by_key_implILNS1_25lookback_scan_determinismE0ELb1ES3_N6thrust23THRUST_200600_302600_NS6detail15normal_iteratorINS9_10device_ptrIiEEEESE_SE_iNS9_4plusIvEENS9_8equal_toIiEEiEE10hipError_tPvRmT2_T3_T4_T5_mT6_T7_P12ihipStream_tbENKUlT_T0_E_clISt17integral_constantIbLb1EESZ_EEDaSU_SV_EUlSU_E_NS1_11comp_targetILNS1_3genE3ELNS1_11target_archE908ELNS1_3gpuE7ELNS1_3repE0EEENS1_30default_config_static_selectorELNS0_4arch9wavefront6targetE0EEEvT1_.num_named_barrier, 0
	.set _ZN7rocprim17ROCPRIM_400000_NS6detail17trampoline_kernelINS0_14default_configENS1_27scan_by_key_config_selectorIiiEEZZNS1_16scan_by_key_implILNS1_25lookback_scan_determinismE0ELb1ES3_N6thrust23THRUST_200600_302600_NS6detail15normal_iteratorINS9_10device_ptrIiEEEESE_SE_iNS9_4plusIvEENS9_8equal_toIiEEiEE10hipError_tPvRmT2_T3_T4_T5_mT6_T7_P12ihipStream_tbENKUlT_T0_E_clISt17integral_constantIbLb1EESZ_EEDaSU_SV_EUlSU_E_NS1_11comp_targetILNS1_3genE3ELNS1_11target_archE908ELNS1_3gpuE7ELNS1_3repE0EEENS1_30default_config_static_selectorELNS0_4arch9wavefront6targetE0EEEvT1_.private_seg_size, 0
	.set _ZN7rocprim17ROCPRIM_400000_NS6detail17trampoline_kernelINS0_14default_configENS1_27scan_by_key_config_selectorIiiEEZZNS1_16scan_by_key_implILNS1_25lookback_scan_determinismE0ELb1ES3_N6thrust23THRUST_200600_302600_NS6detail15normal_iteratorINS9_10device_ptrIiEEEESE_SE_iNS9_4plusIvEENS9_8equal_toIiEEiEE10hipError_tPvRmT2_T3_T4_T5_mT6_T7_P12ihipStream_tbENKUlT_T0_E_clISt17integral_constantIbLb1EESZ_EEDaSU_SV_EUlSU_E_NS1_11comp_targetILNS1_3genE3ELNS1_11target_archE908ELNS1_3gpuE7ELNS1_3repE0EEENS1_30default_config_static_selectorELNS0_4arch9wavefront6targetE0EEEvT1_.uses_vcc, 0
	.set _ZN7rocprim17ROCPRIM_400000_NS6detail17trampoline_kernelINS0_14default_configENS1_27scan_by_key_config_selectorIiiEEZZNS1_16scan_by_key_implILNS1_25lookback_scan_determinismE0ELb1ES3_N6thrust23THRUST_200600_302600_NS6detail15normal_iteratorINS9_10device_ptrIiEEEESE_SE_iNS9_4plusIvEENS9_8equal_toIiEEiEE10hipError_tPvRmT2_T3_T4_T5_mT6_T7_P12ihipStream_tbENKUlT_T0_E_clISt17integral_constantIbLb1EESZ_EEDaSU_SV_EUlSU_E_NS1_11comp_targetILNS1_3genE3ELNS1_11target_archE908ELNS1_3gpuE7ELNS1_3repE0EEENS1_30default_config_static_selectorELNS0_4arch9wavefront6targetE0EEEvT1_.uses_flat_scratch, 0
	.set _ZN7rocprim17ROCPRIM_400000_NS6detail17trampoline_kernelINS0_14default_configENS1_27scan_by_key_config_selectorIiiEEZZNS1_16scan_by_key_implILNS1_25lookback_scan_determinismE0ELb1ES3_N6thrust23THRUST_200600_302600_NS6detail15normal_iteratorINS9_10device_ptrIiEEEESE_SE_iNS9_4plusIvEENS9_8equal_toIiEEiEE10hipError_tPvRmT2_T3_T4_T5_mT6_T7_P12ihipStream_tbENKUlT_T0_E_clISt17integral_constantIbLb1EESZ_EEDaSU_SV_EUlSU_E_NS1_11comp_targetILNS1_3genE3ELNS1_11target_archE908ELNS1_3gpuE7ELNS1_3repE0EEENS1_30default_config_static_selectorELNS0_4arch9wavefront6targetE0EEEvT1_.has_dyn_sized_stack, 0
	.set _ZN7rocprim17ROCPRIM_400000_NS6detail17trampoline_kernelINS0_14default_configENS1_27scan_by_key_config_selectorIiiEEZZNS1_16scan_by_key_implILNS1_25lookback_scan_determinismE0ELb1ES3_N6thrust23THRUST_200600_302600_NS6detail15normal_iteratorINS9_10device_ptrIiEEEESE_SE_iNS9_4plusIvEENS9_8equal_toIiEEiEE10hipError_tPvRmT2_T3_T4_T5_mT6_T7_P12ihipStream_tbENKUlT_T0_E_clISt17integral_constantIbLb1EESZ_EEDaSU_SV_EUlSU_E_NS1_11comp_targetILNS1_3genE3ELNS1_11target_archE908ELNS1_3gpuE7ELNS1_3repE0EEENS1_30default_config_static_selectorELNS0_4arch9wavefront6targetE0EEEvT1_.has_recursion, 0
	.set _ZN7rocprim17ROCPRIM_400000_NS6detail17trampoline_kernelINS0_14default_configENS1_27scan_by_key_config_selectorIiiEEZZNS1_16scan_by_key_implILNS1_25lookback_scan_determinismE0ELb1ES3_N6thrust23THRUST_200600_302600_NS6detail15normal_iteratorINS9_10device_ptrIiEEEESE_SE_iNS9_4plusIvEENS9_8equal_toIiEEiEE10hipError_tPvRmT2_T3_T4_T5_mT6_T7_P12ihipStream_tbENKUlT_T0_E_clISt17integral_constantIbLb1EESZ_EEDaSU_SV_EUlSU_E_NS1_11comp_targetILNS1_3genE3ELNS1_11target_archE908ELNS1_3gpuE7ELNS1_3repE0EEENS1_30default_config_static_selectorELNS0_4arch9wavefront6targetE0EEEvT1_.has_indirect_call, 0
	.section	.AMDGPU.csdata,"",@progbits
; Kernel info:
; codeLenInByte = 0
; TotalNumSgprs: 0
; NumVgprs: 0
; ScratchSize: 0
; MemoryBound: 0
; FloatMode: 240
; IeeeMode: 1
; LDSByteSize: 0 bytes/workgroup (compile time only)
; SGPRBlocks: 0
; VGPRBlocks: 0
; NumSGPRsForWavesPerEU: 1
; NumVGPRsForWavesPerEU: 1
; Occupancy: 16
; WaveLimiterHint : 0
; COMPUTE_PGM_RSRC2:SCRATCH_EN: 0
; COMPUTE_PGM_RSRC2:USER_SGPR: 6
; COMPUTE_PGM_RSRC2:TRAP_HANDLER: 0
; COMPUTE_PGM_RSRC2:TGID_X_EN: 1
; COMPUTE_PGM_RSRC2:TGID_Y_EN: 0
; COMPUTE_PGM_RSRC2:TGID_Z_EN: 0
; COMPUTE_PGM_RSRC2:TIDIG_COMP_CNT: 0
	.section	.text._ZN7rocprim17ROCPRIM_400000_NS6detail17trampoline_kernelINS0_14default_configENS1_27scan_by_key_config_selectorIiiEEZZNS1_16scan_by_key_implILNS1_25lookback_scan_determinismE0ELb1ES3_N6thrust23THRUST_200600_302600_NS6detail15normal_iteratorINS9_10device_ptrIiEEEESE_SE_iNS9_4plusIvEENS9_8equal_toIiEEiEE10hipError_tPvRmT2_T3_T4_T5_mT6_T7_P12ihipStream_tbENKUlT_T0_E_clISt17integral_constantIbLb1EESZ_EEDaSU_SV_EUlSU_E_NS1_11comp_targetILNS1_3genE2ELNS1_11target_archE906ELNS1_3gpuE6ELNS1_3repE0EEENS1_30default_config_static_selectorELNS0_4arch9wavefront6targetE0EEEvT1_,"axG",@progbits,_ZN7rocprim17ROCPRIM_400000_NS6detail17trampoline_kernelINS0_14default_configENS1_27scan_by_key_config_selectorIiiEEZZNS1_16scan_by_key_implILNS1_25lookback_scan_determinismE0ELb1ES3_N6thrust23THRUST_200600_302600_NS6detail15normal_iteratorINS9_10device_ptrIiEEEESE_SE_iNS9_4plusIvEENS9_8equal_toIiEEiEE10hipError_tPvRmT2_T3_T4_T5_mT6_T7_P12ihipStream_tbENKUlT_T0_E_clISt17integral_constantIbLb1EESZ_EEDaSU_SV_EUlSU_E_NS1_11comp_targetILNS1_3genE2ELNS1_11target_archE906ELNS1_3gpuE6ELNS1_3repE0EEENS1_30default_config_static_selectorELNS0_4arch9wavefront6targetE0EEEvT1_,comdat
	.protected	_ZN7rocprim17ROCPRIM_400000_NS6detail17trampoline_kernelINS0_14default_configENS1_27scan_by_key_config_selectorIiiEEZZNS1_16scan_by_key_implILNS1_25lookback_scan_determinismE0ELb1ES3_N6thrust23THRUST_200600_302600_NS6detail15normal_iteratorINS9_10device_ptrIiEEEESE_SE_iNS9_4plusIvEENS9_8equal_toIiEEiEE10hipError_tPvRmT2_T3_T4_T5_mT6_T7_P12ihipStream_tbENKUlT_T0_E_clISt17integral_constantIbLb1EESZ_EEDaSU_SV_EUlSU_E_NS1_11comp_targetILNS1_3genE2ELNS1_11target_archE906ELNS1_3gpuE6ELNS1_3repE0EEENS1_30default_config_static_selectorELNS0_4arch9wavefront6targetE0EEEvT1_ ; -- Begin function _ZN7rocprim17ROCPRIM_400000_NS6detail17trampoline_kernelINS0_14default_configENS1_27scan_by_key_config_selectorIiiEEZZNS1_16scan_by_key_implILNS1_25lookback_scan_determinismE0ELb1ES3_N6thrust23THRUST_200600_302600_NS6detail15normal_iteratorINS9_10device_ptrIiEEEESE_SE_iNS9_4plusIvEENS9_8equal_toIiEEiEE10hipError_tPvRmT2_T3_T4_T5_mT6_T7_P12ihipStream_tbENKUlT_T0_E_clISt17integral_constantIbLb1EESZ_EEDaSU_SV_EUlSU_E_NS1_11comp_targetILNS1_3genE2ELNS1_11target_archE906ELNS1_3gpuE6ELNS1_3repE0EEENS1_30default_config_static_selectorELNS0_4arch9wavefront6targetE0EEEvT1_
	.globl	_ZN7rocprim17ROCPRIM_400000_NS6detail17trampoline_kernelINS0_14default_configENS1_27scan_by_key_config_selectorIiiEEZZNS1_16scan_by_key_implILNS1_25lookback_scan_determinismE0ELb1ES3_N6thrust23THRUST_200600_302600_NS6detail15normal_iteratorINS9_10device_ptrIiEEEESE_SE_iNS9_4plusIvEENS9_8equal_toIiEEiEE10hipError_tPvRmT2_T3_T4_T5_mT6_T7_P12ihipStream_tbENKUlT_T0_E_clISt17integral_constantIbLb1EESZ_EEDaSU_SV_EUlSU_E_NS1_11comp_targetILNS1_3genE2ELNS1_11target_archE906ELNS1_3gpuE6ELNS1_3repE0EEENS1_30default_config_static_selectorELNS0_4arch9wavefront6targetE0EEEvT1_
	.p2align	8
	.type	_ZN7rocprim17ROCPRIM_400000_NS6detail17trampoline_kernelINS0_14default_configENS1_27scan_by_key_config_selectorIiiEEZZNS1_16scan_by_key_implILNS1_25lookback_scan_determinismE0ELb1ES3_N6thrust23THRUST_200600_302600_NS6detail15normal_iteratorINS9_10device_ptrIiEEEESE_SE_iNS9_4plusIvEENS9_8equal_toIiEEiEE10hipError_tPvRmT2_T3_T4_T5_mT6_T7_P12ihipStream_tbENKUlT_T0_E_clISt17integral_constantIbLb1EESZ_EEDaSU_SV_EUlSU_E_NS1_11comp_targetILNS1_3genE2ELNS1_11target_archE906ELNS1_3gpuE6ELNS1_3repE0EEENS1_30default_config_static_selectorELNS0_4arch9wavefront6targetE0EEEvT1_,@function
_ZN7rocprim17ROCPRIM_400000_NS6detail17trampoline_kernelINS0_14default_configENS1_27scan_by_key_config_selectorIiiEEZZNS1_16scan_by_key_implILNS1_25lookback_scan_determinismE0ELb1ES3_N6thrust23THRUST_200600_302600_NS6detail15normal_iteratorINS9_10device_ptrIiEEEESE_SE_iNS9_4plusIvEENS9_8equal_toIiEEiEE10hipError_tPvRmT2_T3_T4_T5_mT6_T7_P12ihipStream_tbENKUlT_T0_E_clISt17integral_constantIbLb1EESZ_EEDaSU_SV_EUlSU_E_NS1_11comp_targetILNS1_3genE2ELNS1_11target_archE906ELNS1_3gpuE6ELNS1_3repE0EEENS1_30default_config_static_selectorELNS0_4arch9wavefront6targetE0EEEvT1_: ; @_ZN7rocprim17ROCPRIM_400000_NS6detail17trampoline_kernelINS0_14default_configENS1_27scan_by_key_config_selectorIiiEEZZNS1_16scan_by_key_implILNS1_25lookback_scan_determinismE0ELb1ES3_N6thrust23THRUST_200600_302600_NS6detail15normal_iteratorINS9_10device_ptrIiEEEESE_SE_iNS9_4plusIvEENS9_8equal_toIiEEiEE10hipError_tPvRmT2_T3_T4_T5_mT6_T7_P12ihipStream_tbENKUlT_T0_E_clISt17integral_constantIbLb1EESZ_EEDaSU_SV_EUlSU_E_NS1_11comp_targetILNS1_3genE2ELNS1_11target_archE906ELNS1_3gpuE6ELNS1_3repE0EEENS1_30default_config_static_selectorELNS0_4arch9wavefront6targetE0EEEvT1_
; %bb.0:
	.section	.rodata,"a",@progbits
	.p2align	6, 0x0
	.amdhsa_kernel _ZN7rocprim17ROCPRIM_400000_NS6detail17trampoline_kernelINS0_14default_configENS1_27scan_by_key_config_selectorIiiEEZZNS1_16scan_by_key_implILNS1_25lookback_scan_determinismE0ELb1ES3_N6thrust23THRUST_200600_302600_NS6detail15normal_iteratorINS9_10device_ptrIiEEEESE_SE_iNS9_4plusIvEENS9_8equal_toIiEEiEE10hipError_tPvRmT2_T3_T4_T5_mT6_T7_P12ihipStream_tbENKUlT_T0_E_clISt17integral_constantIbLb1EESZ_EEDaSU_SV_EUlSU_E_NS1_11comp_targetILNS1_3genE2ELNS1_11target_archE906ELNS1_3gpuE6ELNS1_3repE0EEENS1_30default_config_static_selectorELNS0_4arch9wavefront6targetE0EEEvT1_
		.amdhsa_group_segment_fixed_size 0
		.amdhsa_private_segment_fixed_size 0
		.amdhsa_kernarg_size 112
		.amdhsa_user_sgpr_count 6
		.amdhsa_user_sgpr_private_segment_buffer 1
		.amdhsa_user_sgpr_dispatch_ptr 0
		.amdhsa_user_sgpr_queue_ptr 0
		.amdhsa_user_sgpr_kernarg_segment_ptr 1
		.amdhsa_user_sgpr_dispatch_id 0
		.amdhsa_user_sgpr_flat_scratch_init 0
		.amdhsa_user_sgpr_private_segment_size 0
		.amdhsa_wavefront_size32 1
		.amdhsa_uses_dynamic_stack 0
		.amdhsa_system_sgpr_private_segment_wavefront_offset 0
		.amdhsa_system_sgpr_workgroup_id_x 1
		.amdhsa_system_sgpr_workgroup_id_y 0
		.amdhsa_system_sgpr_workgroup_id_z 0
		.amdhsa_system_sgpr_workgroup_info 0
		.amdhsa_system_vgpr_workitem_id 0
		.amdhsa_next_free_vgpr 1
		.amdhsa_next_free_sgpr 1
		.amdhsa_reserve_vcc 0
		.amdhsa_reserve_flat_scratch 0
		.amdhsa_float_round_mode_32 0
		.amdhsa_float_round_mode_16_64 0
		.amdhsa_float_denorm_mode_32 3
		.amdhsa_float_denorm_mode_16_64 3
		.amdhsa_dx10_clamp 1
		.amdhsa_ieee_mode 1
		.amdhsa_fp16_overflow 0
		.amdhsa_workgroup_processor_mode 1
		.amdhsa_memory_ordered 1
		.amdhsa_forward_progress 1
		.amdhsa_shared_vgpr_count 0
		.amdhsa_exception_fp_ieee_invalid_op 0
		.amdhsa_exception_fp_denorm_src 0
		.amdhsa_exception_fp_ieee_div_zero 0
		.amdhsa_exception_fp_ieee_overflow 0
		.amdhsa_exception_fp_ieee_underflow 0
		.amdhsa_exception_fp_ieee_inexact 0
		.amdhsa_exception_int_div_zero 0
	.end_amdhsa_kernel
	.section	.text._ZN7rocprim17ROCPRIM_400000_NS6detail17trampoline_kernelINS0_14default_configENS1_27scan_by_key_config_selectorIiiEEZZNS1_16scan_by_key_implILNS1_25lookback_scan_determinismE0ELb1ES3_N6thrust23THRUST_200600_302600_NS6detail15normal_iteratorINS9_10device_ptrIiEEEESE_SE_iNS9_4plusIvEENS9_8equal_toIiEEiEE10hipError_tPvRmT2_T3_T4_T5_mT6_T7_P12ihipStream_tbENKUlT_T0_E_clISt17integral_constantIbLb1EESZ_EEDaSU_SV_EUlSU_E_NS1_11comp_targetILNS1_3genE2ELNS1_11target_archE906ELNS1_3gpuE6ELNS1_3repE0EEENS1_30default_config_static_selectorELNS0_4arch9wavefront6targetE0EEEvT1_,"axG",@progbits,_ZN7rocprim17ROCPRIM_400000_NS6detail17trampoline_kernelINS0_14default_configENS1_27scan_by_key_config_selectorIiiEEZZNS1_16scan_by_key_implILNS1_25lookback_scan_determinismE0ELb1ES3_N6thrust23THRUST_200600_302600_NS6detail15normal_iteratorINS9_10device_ptrIiEEEESE_SE_iNS9_4plusIvEENS9_8equal_toIiEEiEE10hipError_tPvRmT2_T3_T4_T5_mT6_T7_P12ihipStream_tbENKUlT_T0_E_clISt17integral_constantIbLb1EESZ_EEDaSU_SV_EUlSU_E_NS1_11comp_targetILNS1_3genE2ELNS1_11target_archE906ELNS1_3gpuE6ELNS1_3repE0EEENS1_30default_config_static_selectorELNS0_4arch9wavefront6targetE0EEEvT1_,comdat
.Lfunc_end547:
	.size	_ZN7rocprim17ROCPRIM_400000_NS6detail17trampoline_kernelINS0_14default_configENS1_27scan_by_key_config_selectorIiiEEZZNS1_16scan_by_key_implILNS1_25lookback_scan_determinismE0ELb1ES3_N6thrust23THRUST_200600_302600_NS6detail15normal_iteratorINS9_10device_ptrIiEEEESE_SE_iNS9_4plusIvEENS9_8equal_toIiEEiEE10hipError_tPvRmT2_T3_T4_T5_mT6_T7_P12ihipStream_tbENKUlT_T0_E_clISt17integral_constantIbLb1EESZ_EEDaSU_SV_EUlSU_E_NS1_11comp_targetILNS1_3genE2ELNS1_11target_archE906ELNS1_3gpuE6ELNS1_3repE0EEENS1_30default_config_static_selectorELNS0_4arch9wavefront6targetE0EEEvT1_, .Lfunc_end547-_ZN7rocprim17ROCPRIM_400000_NS6detail17trampoline_kernelINS0_14default_configENS1_27scan_by_key_config_selectorIiiEEZZNS1_16scan_by_key_implILNS1_25lookback_scan_determinismE0ELb1ES3_N6thrust23THRUST_200600_302600_NS6detail15normal_iteratorINS9_10device_ptrIiEEEESE_SE_iNS9_4plusIvEENS9_8equal_toIiEEiEE10hipError_tPvRmT2_T3_T4_T5_mT6_T7_P12ihipStream_tbENKUlT_T0_E_clISt17integral_constantIbLb1EESZ_EEDaSU_SV_EUlSU_E_NS1_11comp_targetILNS1_3genE2ELNS1_11target_archE906ELNS1_3gpuE6ELNS1_3repE0EEENS1_30default_config_static_selectorELNS0_4arch9wavefront6targetE0EEEvT1_
                                        ; -- End function
	.set _ZN7rocprim17ROCPRIM_400000_NS6detail17trampoline_kernelINS0_14default_configENS1_27scan_by_key_config_selectorIiiEEZZNS1_16scan_by_key_implILNS1_25lookback_scan_determinismE0ELb1ES3_N6thrust23THRUST_200600_302600_NS6detail15normal_iteratorINS9_10device_ptrIiEEEESE_SE_iNS9_4plusIvEENS9_8equal_toIiEEiEE10hipError_tPvRmT2_T3_T4_T5_mT6_T7_P12ihipStream_tbENKUlT_T0_E_clISt17integral_constantIbLb1EESZ_EEDaSU_SV_EUlSU_E_NS1_11comp_targetILNS1_3genE2ELNS1_11target_archE906ELNS1_3gpuE6ELNS1_3repE0EEENS1_30default_config_static_selectorELNS0_4arch9wavefront6targetE0EEEvT1_.num_vgpr, 0
	.set _ZN7rocprim17ROCPRIM_400000_NS6detail17trampoline_kernelINS0_14default_configENS1_27scan_by_key_config_selectorIiiEEZZNS1_16scan_by_key_implILNS1_25lookback_scan_determinismE0ELb1ES3_N6thrust23THRUST_200600_302600_NS6detail15normal_iteratorINS9_10device_ptrIiEEEESE_SE_iNS9_4plusIvEENS9_8equal_toIiEEiEE10hipError_tPvRmT2_T3_T4_T5_mT6_T7_P12ihipStream_tbENKUlT_T0_E_clISt17integral_constantIbLb1EESZ_EEDaSU_SV_EUlSU_E_NS1_11comp_targetILNS1_3genE2ELNS1_11target_archE906ELNS1_3gpuE6ELNS1_3repE0EEENS1_30default_config_static_selectorELNS0_4arch9wavefront6targetE0EEEvT1_.num_agpr, 0
	.set _ZN7rocprim17ROCPRIM_400000_NS6detail17trampoline_kernelINS0_14default_configENS1_27scan_by_key_config_selectorIiiEEZZNS1_16scan_by_key_implILNS1_25lookback_scan_determinismE0ELb1ES3_N6thrust23THRUST_200600_302600_NS6detail15normal_iteratorINS9_10device_ptrIiEEEESE_SE_iNS9_4plusIvEENS9_8equal_toIiEEiEE10hipError_tPvRmT2_T3_T4_T5_mT6_T7_P12ihipStream_tbENKUlT_T0_E_clISt17integral_constantIbLb1EESZ_EEDaSU_SV_EUlSU_E_NS1_11comp_targetILNS1_3genE2ELNS1_11target_archE906ELNS1_3gpuE6ELNS1_3repE0EEENS1_30default_config_static_selectorELNS0_4arch9wavefront6targetE0EEEvT1_.numbered_sgpr, 0
	.set _ZN7rocprim17ROCPRIM_400000_NS6detail17trampoline_kernelINS0_14default_configENS1_27scan_by_key_config_selectorIiiEEZZNS1_16scan_by_key_implILNS1_25lookback_scan_determinismE0ELb1ES3_N6thrust23THRUST_200600_302600_NS6detail15normal_iteratorINS9_10device_ptrIiEEEESE_SE_iNS9_4plusIvEENS9_8equal_toIiEEiEE10hipError_tPvRmT2_T3_T4_T5_mT6_T7_P12ihipStream_tbENKUlT_T0_E_clISt17integral_constantIbLb1EESZ_EEDaSU_SV_EUlSU_E_NS1_11comp_targetILNS1_3genE2ELNS1_11target_archE906ELNS1_3gpuE6ELNS1_3repE0EEENS1_30default_config_static_selectorELNS0_4arch9wavefront6targetE0EEEvT1_.num_named_barrier, 0
	.set _ZN7rocprim17ROCPRIM_400000_NS6detail17trampoline_kernelINS0_14default_configENS1_27scan_by_key_config_selectorIiiEEZZNS1_16scan_by_key_implILNS1_25lookback_scan_determinismE0ELb1ES3_N6thrust23THRUST_200600_302600_NS6detail15normal_iteratorINS9_10device_ptrIiEEEESE_SE_iNS9_4plusIvEENS9_8equal_toIiEEiEE10hipError_tPvRmT2_T3_T4_T5_mT6_T7_P12ihipStream_tbENKUlT_T0_E_clISt17integral_constantIbLb1EESZ_EEDaSU_SV_EUlSU_E_NS1_11comp_targetILNS1_3genE2ELNS1_11target_archE906ELNS1_3gpuE6ELNS1_3repE0EEENS1_30default_config_static_selectorELNS0_4arch9wavefront6targetE0EEEvT1_.private_seg_size, 0
	.set _ZN7rocprim17ROCPRIM_400000_NS6detail17trampoline_kernelINS0_14default_configENS1_27scan_by_key_config_selectorIiiEEZZNS1_16scan_by_key_implILNS1_25lookback_scan_determinismE0ELb1ES3_N6thrust23THRUST_200600_302600_NS6detail15normal_iteratorINS9_10device_ptrIiEEEESE_SE_iNS9_4plusIvEENS9_8equal_toIiEEiEE10hipError_tPvRmT2_T3_T4_T5_mT6_T7_P12ihipStream_tbENKUlT_T0_E_clISt17integral_constantIbLb1EESZ_EEDaSU_SV_EUlSU_E_NS1_11comp_targetILNS1_3genE2ELNS1_11target_archE906ELNS1_3gpuE6ELNS1_3repE0EEENS1_30default_config_static_selectorELNS0_4arch9wavefront6targetE0EEEvT1_.uses_vcc, 0
	.set _ZN7rocprim17ROCPRIM_400000_NS6detail17trampoline_kernelINS0_14default_configENS1_27scan_by_key_config_selectorIiiEEZZNS1_16scan_by_key_implILNS1_25lookback_scan_determinismE0ELb1ES3_N6thrust23THRUST_200600_302600_NS6detail15normal_iteratorINS9_10device_ptrIiEEEESE_SE_iNS9_4plusIvEENS9_8equal_toIiEEiEE10hipError_tPvRmT2_T3_T4_T5_mT6_T7_P12ihipStream_tbENKUlT_T0_E_clISt17integral_constantIbLb1EESZ_EEDaSU_SV_EUlSU_E_NS1_11comp_targetILNS1_3genE2ELNS1_11target_archE906ELNS1_3gpuE6ELNS1_3repE0EEENS1_30default_config_static_selectorELNS0_4arch9wavefront6targetE0EEEvT1_.uses_flat_scratch, 0
	.set _ZN7rocprim17ROCPRIM_400000_NS6detail17trampoline_kernelINS0_14default_configENS1_27scan_by_key_config_selectorIiiEEZZNS1_16scan_by_key_implILNS1_25lookback_scan_determinismE0ELb1ES3_N6thrust23THRUST_200600_302600_NS6detail15normal_iteratorINS9_10device_ptrIiEEEESE_SE_iNS9_4plusIvEENS9_8equal_toIiEEiEE10hipError_tPvRmT2_T3_T4_T5_mT6_T7_P12ihipStream_tbENKUlT_T0_E_clISt17integral_constantIbLb1EESZ_EEDaSU_SV_EUlSU_E_NS1_11comp_targetILNS1_3genE2ELNS1_11target_archE906ELNS1_3gpuE6ELNS1_3repE0EEENS1_30default_config_static_selectorELNS0_4arch9wavefront6targetE0EEEvT1_.has_dyn_sized_stack, 0
	.set _ZN7rocprim17ROCPRIM_400000_NS6detail17trampoline_kernelINS0_14default_configENS1_27scan_by_key_config_selectorIiiEEZZNS1_16scan_by_key_implILNS1_25lookback_scan_determinismE0ELb1ES3_N6thrust23THRUST_200600_302600_NS6detail15normal_iteratorINS9_10device_ptrIiEEEESE_SE_iNS9_4plusIvEENS9_8equal_toIiEEiEE10hipError_tPvRmT2_T3_T4_T5_mT6_T7_P12ihipStream_tbENKUlT_T0_E_clISt17integral_constantIbLb1EESZ_EEDaSU_SV_EUlSU_E_NS1_11comp_targetILNS1_3genE2ELNS1_11target_archE906ELNS1_3gpuE6ELNS1_3repE0EEENS1_30default_config_static_selectorELNS0_4arch9wavefront6targetE0EEEvT1_.has_recursion, 0
	.set _ZN7rocprim17ROCPRIM_400000_NS6detail17trampoline_kernelINS0_14default_configENS1_27scan_by_key_config_selectorIiiEEZZNS1_16scan_by_key_implILNS1_25lookback_scan_determinismE0ELb1ES3_N6thrust23THRUST_200600_302600_NS6detail15normal_iteratorINS9_10device_ptrIiEEEESE_SE_iNS9_4plusIvEENS9_8equal_toIiEEiEE10hipError_tPvRmT2_T3_T4_T5_mT6_T7_P12ihipStream_tbENKUlT_T0_E_clISt17integral_constantIbLb1EESZ_EEDaSU_SV_EUlSU_E_NS1_11comp_targetILNS1_3genE2ELNS1_11target_archE906ELNS1_3gpuE6ELNS1_3repE0EEENS1_30default_config_static_selectorELNS0_4arch9wavefront6targetE0EEEvT1_.has_indirect_call, 0
	.section	.AMDGPU.csdata,"",@progbits
; Kernel info:
; codeLenInByte = 0
; TotalNumSgprs: 0
; NumVgprs: 0
; ScratchSize: 0
; MemoryBound: 0
; FloatMode: 240
; IeeeMode: 1
; LDSByteSize: 0 bytes/workgroup (compile time only)
; SGPRBlocks: 0
; VGPRBlocks: 0
; NumSGPRsForWavesPerEU: 1
; NumVGPRsForWavesPerEU: 1
; Occupancy: 16
; WaveLimiterHint : 0
; COMPUTE_PGM_RSRC2:SCRATCH_EN: 0
; COMPUTE_PGM_RSRC2:USER_SGPR: 6
; COMPUTE_PGM_RSRC2:TRAP_HANDLER: 0
; COMPUTE_PGM_RSRC2:TGID_X_EN: 1
; COMPUTE_PGM_RSRC2:TGID_Y_EN: 0
; COMPUTE_PGM_RSRC2:TGID_Z_EN: 0
; COMPUTE_PGM_RSRC2:TIDIG_COMP_CNT: 0
	.section	.text._ZN7rocprim17ROCPRIM_400000_NS6detail17trampoline_kernelINS0_14default_configENS1_27scan_by_key_config_selectorIiiEEZZNS1_16scan_by_key_implILNS1_25lookback_scan_determinismE0ELb1ES3_N6thrust23THRUST_200600_302600_NS6detail15normal_iteratorINS9_10device_ptrIiEEEESE_SE_iNS9_4plusIvEENS9_8equal_toIiEEiEE10hipError_tPvRmT2_T3_T4_T5_mT6_T7_P12ihipStream_tbENKUlT_T0_E_clISt17integral_constantIbLb1EESZ_EEDaSU_SV_EUlSU_E_NS1_11comp_targetILNS1_3genE10ELNS1_11target_archE1200ELNS1_3gpuE4ELNS1_3repE0EEENS1_30default_config_static_selectorELNS0_4arch9wavefront6targetE0EEEvT1_,"axG",@progbits,_ZN7rocprim17ROCPRIM_400000_NS6detail17trampoline_kernelINS0_14default_configENS1_27scan_by_key_config_selectorIiiEEZZNS1_16scan_by_key_implILNS1_25lookback_scan_determinismE0ELb1ES3_N6thrust23THRUST_200600_302600_NS6detail15normal_iteratorINS9_10device_ptrIiEEEESE_SE_iNS9_4plusIvEENS9_8equal_toIiEEiEE10hipError_tPvRmT2_T3_T4_T5_mT6_T7_P12ihipStream_tbENKUlT_T0_E_clISt17integral_constantIbLb1EESZ_EEDaSU_SV_EUlSU_E_NS1_11comp_targetILNS1_3genE10ELNS1_11target_archE1200ELNS1_3gpuE4ELNS1_3repE0EEENS1_30default_config_static_selectorELNS0_4arch9wavefront6targetE0EEEvT1_,comdat
	.protected	_ZN7rocprim17ROCPRIM_400000_NS6detail17trampoline_kernelINS0_14default_configENS1_27scan_by_key_config_selectorIiiEEZZNS1_16scan_by_key_implILNS1_25lookback_scan_determinismE0ELb1ES3_N6thrust23THRUST_200600_302600_NS6detail15normal_iteratorINS9_10device_ptrIiEEEESE_SE_iNS9_4plusIvEENS9_8equal_toIiEEiEE10hipError_tPvRmT2_T3_T4_T5_mT6_T7_P12ihipStream_tbENKUlT_T0_E_clISt17integral_constantIbLb1EESZ_EEDaSU_SV_EUlSU_E_NS1_11comp_targetILNS1_3genE10ELNS1_11target_archE1200ELNS1_3gpuE4ELNS1_3repE0EEENS1_30default_config_static_selectorELNS0_4arch9wavefront6targetE0EEEvT1_ ; -- Begin function _ZN7rocprim17ROCPRIM_400000_NS6detail17trampoline_kernelINS0_14default_configENS1_27scan_by_key_config_selectorIiiEEZZNS1_16scan_by_key_implILNS1_25lookback_scan_determinismE0ELb1ES3_N6thrust23THRUST_200600_302600_NS6detail15normal_iteratorINS9_10device_ptrIiEEEESE_SE_iNS9_4plusIvEENS9_8equal_toIiEEiEE10hipError_tPvRmT2_T3_T4_T5_mT6_T7_P12ihipStream_tbENKUlT_T0_E_clISt17integral_constantIbLb1EESZ_EEDaSU_SV_EUlSU_E_NS1_11comp_targetILNS1_3genE10ELNS1_11target_archE1200ELNS1_3gpuE4ELNS1_3repE0EEENS1_30default_config_static_selectorELNS0_4arch9wavefront6targetE0EEEvT1_
	.globl	_ZN7rocprim17ROCPRIM_400000_NS6detail17trampoline_kernelINS0_14default_configENS1_27scan_by_key_config_selectorIiiEEZZNS1_16scan_by_key_implILNS1_25lookback_scan_determinismE0ELb1ES3_N6thrust23THRUST_200600_302600_NS6detail15normal_iteratorINS9_10device_ptrIiEEEESE_SE_iNS9_4plusIvEENS9_8equal_toIiEEiEE10hipError_tPvRmT2_T3_T4_T5_mT6_T7_P12ihipStream_tbENKUlT_T0_E_clISt17integral_constantIbLb1EESZ_EEDaSU_SV_EUlSU_E_NS1_11comp_targetILNS1_3genE10ELNS1_11target_archE1200ELNS1_3gpuE4ELNS1_3repE0EEENS1_30default_config_static_selectorELNS0_4arch9wavefront6targetE0EEEvT1_
	.p2align	8
	.type	_ZN7rocprim17ROCPRIM_400000_NS6detail17trampoline_kernelINS0_14default_configENS1_27scan_by_key_config_selectorIiiEEZZNS1_16scan_by_key_implILNS1_25lookback_scan_determinismE0ELb1ES3_N6thrust23THRUST_200600_302600_NS6detail15normal_iteratorINS9_10device_ptrIiEEEESE_SE_iNS9_4plusIvEENS9_8equal_toIiEEiEE10hipError_tPvRmT2_T3_T4_T5_mT6_T7_P12ihipStream_tbENKUlT_T0_E_clISt17integral_constantIbLb1EESZ_EEDaSU_SV_EUlSU_E_NS1_11comp_targetILNS1_3genE10ELNS1_11target_archE1200ELNS1_3gpuE4ELNS1_3repE0EEENS1_30default_config_static_selectorELNS0_4arch9wavefront6targetE0EEEvT1_,@function
_ZN7rocprim17ROCPRIM_400000_NS6detail17trampoline_kernelINS0_14default_configENS1_27scan_by_key_config_selectorIiiEEZZNS1_16scan_by_key_implILNS1_25lookback_scan_determinismE0ELb1ES3_N6thrust23THRUST_200600_302600_NS6detail15normal_iteratorINS9_10device_ptrIiEEEESE_SE_iNS9_4plusIvEENS9_8equal_toIiEEiEE10hipError_tPvRmT2_T3_T4_T5_mT6_T7_P12ihipStream_tbENKUlT_T0_E_clISt17integral_constantIbLb1EESZ_EEDaSU_SV_EUlSU_E_NS1_11comp_targetILNS1_3genE10ELNS1_11target_archE1200ELNS1_3gpuE4ELNS1_3repE0EEENS1_30default_config_static_selectorELNS0_4arch9wavefront6targetE0EEEvT1_: ; @_ZN7rocprim17ROCPRIM_400000_NS6detail17trampoline_kernelINS0_14default_configENS1_27scan_by_key_config_selectorIiiEEZZNS1_16scan_by_key_implILNS1_25lookback_scan_determinismE0ELb1ES3_N6thrust23THRUST_200600_302600_NS6detail15normal_iteratorINS9_10device_ptrIiEEEESE_SE_iNS9_4plusIvEENS9_8equal_toIiEEiEE10hipError_tPvRmT2_T3_T4_T5_mT6_T7_P12ihipStream_tbENKUlT_T0_E_clISt17integral_constantIbLb1EESZ_EEDaSU_SV_EUlSU_E_NS1_11comp_targetILNS1_3genE10ELNS1_11target_archE1200ELNS1_3gpuE4ELNS1_3repE0EEENS1_30default_config_static_selectorELNS0_4arch9wavefront6targetE0EEEvT1_
; %bb.0:
	.section	.rodata,"a",@progbits
	.p2align	6, 0x0
	.amdhsa_kernel _ZN7rocprim17ROCPRIM_400000_NS6detail17trampoline_kernelINS0_14default_configENS1_27scan_by_key_config_selectorIiiEEZZNS1_16scan_by_key_implILNS1_25lookback_scan_determinismE0ELb1ES3_N6thrust23THRUST_200600_302600_NS6detail15normal_iteratorINS9_10device_ptrIiEEEESE_SE_iNS9_4plusIvEENS9_8equal_toIiEEiEE10hipError_tPvRmT2_T3_T4_T5_mT6_T7_P12ihipStream_tbENKUlT_T0_E_clISt17integral_constantIbLb1EESZ_EEDaSU_SV_EUlSU_E_NS1_11comp_targetILNS1_3genE10ELNS1_11target_archE1200ELNS1_3gpuE4ELNS1_3repE0EEENS1_30default_config_static_selectorELNS0_4arch9wavefront6targetE0EEEvT1_
		.amdhsa_group_segment_fixed_size 0
		.amdhsa_private_segment_fixed_size 0
		.amdhsa_kernarg_size 112
		.amdhsa_user_sgpr_count 6
		.amdhsa_user_sgpr_private_segment_buffer 1
		.amdhsa_user_sgpr_dispatch_ptr 0
		.amdhsa_user_sgpr_queue_ptr 0
		.amdhsa_user_sgpr_kernarg_segment_ptr 1
		.amdhsa_user_sgpr_dispatch_id 0
		.amdhsa_user_sgpr_flat_scratch_init 0
		.amdhsa_user_sgpr_private_segment_size 0
		.amdhsa_wavefront_size32 1
		.amdhsa_uses_dynamic_stack 0
		.amdhsa_system_sgpr_private_segment_wavefront_offset 0
		.amdhsa_system_sgpr_workgroup_id_x 1
		.amdhsa_system_sgpr_workgroup_id_y 0
		.amdhsa_system_sgpr_workgroup_id_z 0
		.amdhsa_system_sgpr_workgroup_info 0
		.amdhsa_system_vgpr_workitem_id 0
		.amdhsa_next_free_vgpr 1
		.amdhsa_next_free_sgpr 1
		.amdhsa_reserve_vcc 0
		.amdhsa_reserve_flat_scratch 0
		.amdhsa_float_round_mode_32 0
		.amdhsa_float_round_mode_16_64 0
		.amdhsa_float_denorm_mode_32 3
		.amdhsa_float_denorm_mode_16_64 3
		.amdhsa_dx10_clamp 1
		.amdhsa_ieee_mode 1
		.amdhsa_fp16_overflow 0
		.amdhsa_workgroup_processor_mode 1
		.amdhsa_memory_ordered 1
		.amdhsa_forward_progress 1
		.amdhsa_shared_vgpr_count 0
		.amdhsa_exception_fp_ieee_invalid_op 0
		.amdhsa_exception_fp_denorm_src 0
		.amdhsa_exception_fp_ieee_div_zero 0
		.amdhsa_exception_fp_ieee_overflow 0
		.amdhsa_exception_fp_ieee_underflow 0
		.amdhsa_exception_fp_ieee_inexact 0
		.amdhsa_exception_int_div_zero 0
	.end_amdhsa_kernel
	.section	.text._ZN7rocprim17ROCPRIM_400000_NS6detail17trampoline_kernelINS0_14default_configENS1_27scan_by_key_config_selectorIiiEEZZNS1_16scan_by_key_implILNS1_25lookback_scan_determinismE0ELb1ES3_N6thrust23THRUST_200600_302600_NS6detail15normal_iteratorINS9_10device_ptrIiEEEESE_SE_iNS9_4plusIvEENS9_8equal_toIiEEiEE10hipError_tPvRmT2_T3_T4_T5_mT6_T7_P12ihipStream_tbENKUlT_T0_E_clISt17integral_constantIbLb1EESZ_EEDaSU_SV_EUlSU_E_NS1_11comp_targetILNS1_3genE10ELNS1_11target_archE1200ELNS1_3gpuE4ELNS1_3repE0EEENS1_30default_config_static_selectorELNS0_4arch9wavefront6targetE0EEEvT1_,"axG",@progbits,_ZN7rocprim17ROCPRIM_400000_NS6detail17trampoline_kernelINS0_14default_configENS1_27scan_by_key_config_selectorIiiEEZZNS1_16scan_by_key_implILNS1_25lookback_scan_determinismE0ELb1ES3_N6thrust23THRUST_200600_302600_NS6detail15normal_iteratorINS9_10device_ptrIiEEEESE_SE_iNS9_4plusIvEENS9_8equal_toIiEEiEE10hipError_tPvRmT2_T3_T4_T5_mT6_T7_P12ihipStream_tbENKUlT_T0_E_clISt17integral_constantIbLb1EESZ_EEDaSU_SV_EUlSU_E_NS1_11comp_targetILNS1_3genE10ELNS1_11target_archE1200ELNS1_3gpuE4ELNS1_3repE0EEENS1_30default_config_static_selectorELNS0_4arch9wavefront6targetE0EEEvT1_,comdat
.Lfunc_end548:
	.size	_ZN7rocprim17ROCPRIM_400000_NS6detail17trampoline_kernelINS0_14default_configENS1_27scan_by_key_config_selectorIiiEEZZNS1_16scan_by_key_implILNS1_25lookback_scan_determinismE0ELb1ES3_N6thrust23THRUST_200600_302600_NS6detail15normal_iteratorINS9_10device_ptrIiEEEESE_SE_iNS9_4plusIvEENS9_8equal_toIiEEiEE10hipError_tPvRmT2_T3_T4_T5_mT6_T7_P12ihipStream_tbENKUlT_T0_E_clISt17integral_constantIbLb1EESZ_EEDaSU_SV_EUlSU_E_NS1_11comp_targetILNS1_3genE10ELNS1_11target_archE1200ELNS1_3gpuE4ELNS1_3repE0EEENS1_30default_config_static_selectorELNS0_4arch9wavefront6targetE0EEEvT1_, .Lfunc_end548-_ZN7rocprim17ROCPRIM_400000_NS6detail17trampoline_kernelINS0_14default_configENS1_27scan_by_key_config_selectorIiiEEZZNS1_16scan_by_key_implILNS1_25lookback_scan_determinismE0ELb1ES3_N6thrust23THRUST_200600_302600_NS6detail15normal_iteratorINS9_10device_ptrIiEEEESE_SE_iNS9_4plusIvEENS9_8equal_toIiEEiEE10hipError_tPvRmT2_T3_T4_T5_mT6_T7_P12ihipStream_tbENKUlT_T0_E_clISt17integral_constantIbLb1EESZ_EEDaSU_SV_EUlSU_E_NS1_11comp_targetILNS1_3genE10ELNS1_11target_archE1200ELNS1_3gpuE4ELNS1_3repE0EEENS1_30default_config_static_selectorELNS0_4arch9wavefront6targetE0EEEvT1_
                                        ; -- End function
	.set _ZN7rocprim17ROCPRIM_400000_NS6detail17trampoline_kernelINS0_14default_configENS1_27scan_by_key_config_selectorIiiEEZZNS1_16scan_by_key_implILNS1_25lookback_scan_determinismE0ELb1ES3_N6thrust23THRUST_200600_302600_NS6detail15normal_iteratorINS9_10device_ptrIiEEEESE_SE_iNS9_4plusIvEENS9_8equal_toIiEEiEE10hipError_tPvRmT2_T3_T4_T5_mT6_T7_P12ihipStream_tbENKUlT_T0_E_clISt17integral_constantIbLb1EESZ_EEDaSU_SV_EUlSU_E_NS1_11comp_targetILNS1_3genE10ELNS1_11target_archE1200ELNS1_3gpuE4ELNS1_3repE0EEENS1_30default_config_static_selectorELNS0_4arch9wavefront6targetE0EEEvT1_.num_vgpr, 0
	.set _ZN7rocprim17ROCPRIM_400000_NS6detail17trampoline_kernelINS0_14default_configENS1_27scan_by_key_config_selectorIiiEEZZNS1_16scan_by_key_implILNS1_25lookback_scan_determinismE0ELb1ES3_N6thrust23THRUST_200600_302600_NS6detail15normal_iteratorINS9_10device_ptrIiEEEESE_SE_iNS9_4plusIvEENS9_8equal_toIiEEiEE10hipError_tPvRmT2_T3_T4_T5_mT6_T7_P12ihipStream_tbENKUlT_T0_E_clISt17integral_constantIbLb1EESZ_EEDaSU_SV_EUlSU_E_NS1_11comp_targetILNS1_3genE10ELNS1_11target_archE1200ELNS1_3gpuE4ELNS1_3repE0EEENS1_30default_config_static_selectorELNS0_4arch9wavefront6targetE0EEEvT1_.num_agpr, 0
	.set _ZN7rocprim17ROCPRIM_400000_NS6detail17trampoline_kernelINS0_14default_configENS1_27scan_by_key_config_selectorIiiEEZZNS1_16scan_by_key_implILNS1_25lookback_scan_determinismE0ELb1ES3_N6thrust23THRUST_200600_302600_NS6detail15normal_iteratorINS9_10device_ptrIiEEEESE_SE_iNS9_4plusIvEENS9_8equal_toIiEEiEE10hipError_tPvRmT2_T3_T4_T5_mT6_T7_P12ihipStream_tbENKUlT_T0_E_clISt17integral_constantIbLb1EESZ_EEDaSU_SV_EUlSU_E_NS1_11comp_targetILNS1_3genE10ELNS1_11target_archE1200ELNS1_3gpuE4ELNS1_3repE0EEENS1_30default_config_static_selectorELNS0_4arch9wavefront6targetE0EEEvT1_.numbered_sgpr, 0
	.set _ZN7rocprim17ROCPRIM_400000_NS6detail17trampoline_kernelINS0_14default_configENS1_27scan_by_key_config_selectorIiiEEZZNS1_16scan_by_key_implILNS1_25lookback_scan_determinismE0ELb1ES3_N6thrust23THRUST_200600_302600_NS6detail15normal_iteratorINS9_10device_ptrIiEEEESE_SE_iNS9_4plusIvEENS9_8equal_toIiEEiEE10hipError_tPvRmT2_T3_T4_T5_mT6_T7_P12ihipStream_tbENKUlT_T0_E_clISt17integral_constantIbLb1EESZ_EEDaSU_SV_EUlSU_E_NS1_11comp_targetILNS1_3genE10ELNS1_11target_archE1200ELNS1_3gpuE4ELNS1_3repE0EEENS1_30default_config_static_selectorELNS0_4arch9wavefront6targetE0EEEvT1_.num_named_barrier, 0
	.set _ZN7rocprim17ROCPRIM_400000_NS6detail17trampoline_kernelINS0_14default_configENS1_27scan_by_key_config_selectorIiiEEZZNS1_16scan_by_key_implILNS1_25lookback_scan_determinismE0ELb1ES3_N6thrust23THRUST_200600_302600_NS6detail15normal_iteratorINS9_10device_ptrIiEEEESE_SE_iNS9_4plusIvEENS9_8equal_toIiEEiEE10hipError_tPvRmT2_T3_T4_T5_mT6_T7_P12ihipStream_tbENKUlT_T0_E_clISt17integral_constantIbLb1EESZ_EEDaSU_SV_EUlSU_E_NS1_11comp_targetILNS1_3genE10ELNS1_11target_archE1200ELNS1_3gpuE4ELNS1_3repE0EEENS1_30default_config_static_selectorELNS0_4arch9wavefront6targetE0EEEvT1_.private_seg_size, 0
	.set _ZN7rocprim17ROCPRIM_400000_NS6detail17trampoline_kernelINS0_14default_configENS1_27scan_by_key_config_selectorIiiEEZZNS1_16scan_by_key_implILNS1_25lookback_scan_determinismE0ELb1ES3_N6thrust23THRUST_200600_302600_NS6detail15normal_iteratorINS9_10device_ptrIiEEEESE_SE_iNS9_4plusIvEENS9_8equal_toIiEEiEE10hipError_tPvRmT2_T3_T4_T5_mT6_T7_P12ihipStream_tbENKUlT_T0_E_clISt17integral_constantIbLb1EESZ_EEDaSU_SV_EUlSU_E_NS1_11comp_targetILNS1_3genE10ELNS1_11target_archE1200ELNS1_3gpuE4ELNS1_3repE0EEENS1_30default_config_static_selectorELNS0_4arch9wavefront6targetE0EEEvT1_.uses_vcc, 0
	.set _ZN7rocprim17ROCPRIM_400000_NS6detail17trampoline_kernelINS0_14default_configENS1_27scan_by_key_config_selectorIiiEEZZNS1_16scan_by_key_implILNS1_25lookback_scan_determinismE0ELb1ES3_N6thrust23THRUST_200600_302600_NS6detail15normal_iteratorINS9_10device_ptrIiEEEESE_SE_iNS9_4plusIvEENS9_8equal_toIiEEiEE10hipError_tPvRmT2_T3_T4_T5_mT6_T7_P12ihipStream_tbENKUlT_T0_E_clISt17integral_constantIbLb1EESZ_EEDaSU_SV_EUlSU_E_NS1_11comp_targetILNS1_3genE10ELNS1_11target_archE1200ELNS1_3gpuE4ELNS1_3repE0EEENS1_30default_config_static_selectorELNS0_4arch9wavefront6targetE0EEEvT1_.uses_flat_scratch, 0
	.set _ZN7rocprim17ROCPRIM_400000_NS6detail17trampoline_kernelINS0_14default_configENS1_27scan_by_key_config_selectorIiiEEZZNS1_16scan_by_key_implILNS1_25lookback_scan_determinismE0ELb1ES3_N6thrust23THRUST_200600_302600_NS6detail15normal_iteratorINS9_10device_ptrIiEEEESE_SE_iNS9_4plusIvEENS9_8equal_toIiEEiEE10hipError_tPvRmT2_T3_T4_T5_mT6_T7_P12ihipStream_tbENKUlT_T0_E_clISt17integral_constantIbLb1EESZ_EEDaSU_SV_EUlSU_E_NS1_11comp_targetILNS1_3genE10ELNS1_11target_archE1200ELNS1_3gpuE4ELNS1_3repE0EEENS1_30default_config_static_selectorELNS0_4arch9wavefront6targetE0EEEvT1_.has_dyn_sized_stack, 0
	.set _ZN7rocprim17ROCPRIM_400000_NS6detail17trampoline_kernelINS0_14default_configENS1_27scan_by_key_config_selectorIiiEEZZNS1_16scan_by_key_implILNS1_25lookback_scan_determinismE0ELb1ES3_N6thrust23THRUST_200600_302600_NS6detail15normal_iteratorINS9_10device_ptrIiEEEESE_SE_iNS9_4plusIvEENS9_8equal_toIiEEiEE10hipError_tPvRmT2_T3_T4_T5_mT6_T7_P12ihipStream_tbENKUlT_T0_E_clISt17integral_constantIbLb1EESZ_EEDaSU_SV_EUlSU_E_NS1_11comp_targetILNS1_3genE10ELNS1_11target_archE1200ELNS1_3gpuE4ELNS1_3repE0EEENS1_30default_config_static_selectorELNS0_4arch9wavefront6targetE0EEEvT1_.has_recursion, 0
	.set _ZN7rocprim17ROCPRIM_400000_NS6detail17trampoline_kernelINS0_14default_configENS1_27scan_by_key_config_selectorIiiEEZZNS1_16scan_by_key_implILNS1_25lookback_scan_determinismE0ELb1ES3_N6thrust23THRUST_200600_302600_NS6detail15normal_iteratorINS9_10device_ptrIiEEEESE_SE_iNS9_4plusIvEENS9_8equal_toIiEEiEE10hipError_tPvRmT2_T3_T4_T5_mT6_T7_P12ihipStream_tbENKUlT_T0_E_clISt17integral_constantIbLb1EESZ_EEDaSU_SV_EUlSU_E_NS1_11comp_targetILNS1_3genE10ELNS1_11target_archE1200ELNS1_3gpuE4ELNS1_3repE0EEENS1_30default_config_static_selectorELNS0_4arch9wavefront6targetE0EEEvT1_.has_indirect_call, 0
	.section	.AMDGPU.csdata,"",@progbits
; Kernel info:
; codeLenInByte = 0
; TotalNumSgprs: 0
; NumVgprs: 0
; ScratchSize: 0
; MemoryBound: 0
; FloatMode: 240
; IeeeMode: 1
; LDSByteSize: 0 bytes/workgroup (compile time only)
; SGPRBlocks: 0
; VGPRBlocks: 0
; NumSGPRsForWavesPerEU: 1
; NumVGPRsForWavesPerEU: 1
; Occupancy: 16
; WaveLimiterHint : 0
; COMPUTE_PGM_RSRC2:SCRATCH_EN: 0
; COMPUTE_PGM_RSRC2:USER_SGPR: 6
; COMPUTE_PGM_RSRC2:TRAP_HANDLER: 0
; COMPUTE_PGM_RSRC2:TGID_X_EN: 1
; COMPUTE_PGM_RSRC2:TGID_Y_EN: 0
; COMPUTE_PGM_RSRC2:TGID_Z_EN: 0
; COMPUTE_PGM_RSRC2:TIDIG_COMP_CNT: 0
	.section	.text._ZN7rocprim17ROCPRIM_400000_NS6detail17trampoline_kernelINS0_14default_configENS1_27scan_by_key_config_selectorIiiEEZZNS1_16scan_by_key_implILNS1_25lookback_scan_determinismE0ELb1ES3_N6thrust23THRUST_200600_302600_NS6detail15normal_iteratorINS9_10device_ptrIiEEEESE_SE_iNS9_4plusIvEENS9_8equal_toIiEEiEE10hipError_tPvRmT2_T3_T4_T5_mT6_T7_P12ihipStream_tbENKUlT_T0_E_clISt17integral_constantIbLb1EESZ_EEDaSU_SV_EUlSU_E_NS1_11comp_targetILNS1_3genE9ELNS1_11target_archE1100ELNS1_3gpuE3ELNS1_3repE0EEENS1_30default_config_static_selectorELNS0_4arch9wavefront6targetE0EEEvT1_,"axG",@progbits,_ZN7rocprim17ROCPRIM_400000_NS6detail17trampoline_kernelINS0_14default_configENS1_27scan_by_key_config_selectorIiiEEZZNS1_16scan_by_key_implILNS1_25lookback_scan_determinismE0ELb1ES3_N6thrust23THRUST_200600_302600_NS6detail15normal_iteratorINS9_10device_ptrIiEEEESE_SE_iNS9_4plusIvEENS9_8equal_toIiEEiEE10hipError_tPvRmT2_T3_T4_T5_mT6_T7_P12ihipStream_tbENKUlT_T0_E_clISt17integral_constantIbLb1EESZ_EEDaSU_SV_EUlSU_E_NS1_11comp_targetILNS1_3genE9ELNS1_11target_archE1100ELNS1_3gpuE3ELNS1_3repE0EEENS1_30default_config_static_selectorELNS0_4arch9wavefront6targetE0EEEvT1_,comdat
	.protected	_ZN7rocprim17ROCPRIM_400000_NS6detail17trampoline_kernelINS0_14default_configENS1_27scan_by_key_config_selectorIiiEEZZNS1_16scan_by_key_implILNS1_25lookback_scan_determinismE0ELb1ES3_N6thrust23THRUST_200600_302600_NS6detail15normal_iteratorINS9_10device_ptrIiEEEESE_SE_iNS9_4plusIvEENS9_8equal_toIiEEiEE10hipError_tPvRmT2_T3_T4_T5_mT6_T7_P12ihipStream_tbENKUlT_T0_E_clISt17integral_constantIbLb1EESZ_EEDaSU_SV_EUlSU_E_NS1_11comp_targetILNS1_3genE9ELNS1_11target_archE1100ELNS1_3gpuE3ELNS1_3repE0EEENS1_30default_config_static_selectorELNS0_4arch9wavefront6targetE0EEEvT1_ ; -- Begin function _ZN7rocprim17ROCPRIM_400000_NS6detail17trampoline_kernelINS0_14default_configENS1_27scan_by_key_config_selectorIiiEEZZNS1_16scan_by_key_implILNS1_25lookback_scan_determinismE0ELb1ES3_N6thrust23THRUST_200600_302600_NS6detail15normal_iteratorINS9_10device_ptrIiEEEESE_SE_iNS9_4plusIvEENS9_8equal_toIiEEiEE10hipError_tPvRmT2_T3_T4_T5_mT6_T7_P12ihipStream_tbENKUlT_T0_E_clISt17integral_constantIbLb1EESZ_EEDaSU_SV_EUlSU_E_NS1_11comp_targetILNS1_3genE9ELNS1_11target_archE1100ELNS1_3gpuE3ELNS1_3repE0EEENS1_30default_config_static_selectorELNS0_4arch9wavefront6targetE0EEEvT1_
	.globl	_ZN7rocprim17ROCPRIM_400000_NS6detail17trampoline_kernelINS0_14default_configENS1_27scan_by_key_config_selectorIiiEEZZNS1_16scan_by_key_implILNS1_25lookback_scan_determinismE0ELb1ES3_N6thrust23THRUST_200600_302600_NS6detail15normal_iteratorINS9_10device_ptrIiEEEESE_SE_iNS9_4plusIvEENS9_8equal_toIiEEiEE10hipError_tPvRmT2_T3_T4_T5_mT6_T7_P12ihipStream_tbENKUlT_T0_E_clISt17integral_constantIbLb1EESZ_EEDaSU_SV_EUlSU_E_NS1_11comp_targetILNS1_3genE9ELNS1_11target_archE1100ELNS1_3gpuE3ELNS1_3repE0EEENS1_30default_config_static_selectorELNS0_4arch9wavefront6targetE0EEEvT1_
	.p2align	8
	.type	_ZN7rocprim17ROCPRIM_400000_NS6detail17trampoline_kernelINS0_14default_configENS1_27scan_by_key_config_selectorIiiEEZZNS1_16scan_by_key_implILNS1_25lookback_scan_determinismE0ELb1ES3_N6thrust23THRUST_200600_302600_NS6detail15normal_iteratorINS9_10device_ptrIiEEEESE_SE_iNS9_4plusIvEENS9_8equal_toIiEEiEE10hipError_tPvRmT2_T3_T4_T5_mT6_T7_P12ihipStream_tbENKUlT_T0_E_clISt17integral_constantIbLb1EESZ_EEDaSU_SV_EUlSU_E_NS1_11comp_targetILNS1_3genE9ELNS1_11target_archE1100ELNS1_3gpuE3ELNS1_3repE0EEENS1_30default_config_static_selectorELNS0_4arch9wavefront6targetE0EEEvT1_,@function
_ZN7rocprim17ROCPRIM_400000_NS6detail17trampoline_kernelINS0_14default_configENS1_27scan_by_key_config_selectorIiiEEZZNS1_16scan_by_key_implILNS1_25lookback_scan_determinismE0ELb1ES3_N6thrust23THRUST_200600_302600_NS6detail15normal_iteratorINS9_10device_ptrIiEEEESE_SE_iNS9_4plusIvEENS9_8equal_toIiEEiEE10hipError_tPvRmT2_T3_T4_T5_mT6_T7_P12ihipStream_tbENKUlT_T0_E_clISt17integral_constantIbLb1EESZ_EEDaSU_SV_EUlSU_E_NS1_11comp_targetILNS1_3genE9ELNS1_11target_archE1100ELNS1_3gpuE3ELNS1_3repE0EEENS1_30default_config_static_selectorELNS0_4arch9wavefront6targetE0EEEvT1_: ; @_ZN7rocprim17ROCPRIM_400000_NS6detail17trampoline_kernelINS0_14default_configENS1_27scan_by_key_config_selectorIiiEEZZNS1_16scan_by_key_implILNS1_25lookback_scan_determinismE0ELb1ES3_N6thrust23THRUST_200600_302600_NS6detail15normal_iteratorINS9_10device_ptrIiEEEESE_SE_iNS9_4plusIvEENS9_8equal_toIiEEiEE10hipError_tPvRmT2_T3_T4_T5_mT6_T7_P12ihipStream_tbENKUlT_T0_E_clISt17integral_constantIbLb1EESZ_EEDaSU_SV_EUlSU_E_NS1_11comp_targetILNS1_3genE9ELNS1_11target_archE1100ELNS1_3gpuE3ELNS1_3repE0EEENS1_30default_config_static_selectorELNS0_4arch9wavefront6targetE0EEEvT1_
; %bb.0:
	.section	.rodata,"a",@progbits
	.p2align	6, 0x0
	.amdhsa_kernel _ZN7rocprim17ROCPRIM_400000_NS6detail17trampoline_kernelINS0_14default_configENS1_27scan_by_key_config_selectorIiiEEZZNS1_16scan_by_key_implILNS1_25lookback_scan_determinismE0ELb1ES3_N6thrust23THRUST_200600_302600_NS6detail15normal_iteratorINS9_10device_ptrIiEEEESE_SE_iNS9_4plusIvEENS9_8equal_toIiEEiEE10hipError_tPvRmT2_T3_T4_T5_mT6_T7_P12ihipStream_tbENKUlT_T0_E_clISt17integral_constantIbLb1EESZ_EEDaSU_SV_EUlSU_E_NS1_11comp_targetILNS1_3genE9ELNS1_11target_archE1100ELNS1_3gpuE3ELNS1_3repE0EEENS1_30default_config_static_selectorELNS0_4arch9wavefront6targetE0EEEvT1_
		.amdhsa_group_segment_fixed_size 0
		.amdhsa_private_segment_fixed_size 0
		.amdhsa_kernarg_size 112
		.amdhsa_user_sgpr_count 6
		.amdhsa_user_sgpr_private_segment_buffer 1
		.amdhsa_user_sgpr_dispatch_ptr 0
		.amdhsa_user_sgpr_queue_ptr 0
		.amdhsa_user_sgpr_kernarg_segment_ptr 1
		.amdhsa_user_sgpr_dispatch_id 0
		.amdhsa_user_sgpr_flat_scratch_init 0
		.amdhsa_user_sgpr_private_segment_size 0
		.amdhsa_wavefront_size32 1
		.amdhsa_uses_dynamic_stack 0
		.amdhsa_system_sgpr_private_segment_wavefront_offset 0
		.amdhsa_system_sgpr_workgroup_id_x 1
		.amdhsa_system_sgpr_workgroup_id_y 0
		.amdhsa_system_sgpr_workgroup_id_z 0
		.amdhsa_system_sgpr_workgroup_info 0
		.amdhsa_system_vgpr_workitem_id 0
		.amdhsa_next_free_vgpr 1
		.amdhsa_next_free_sgpr 1
		.amdhsa_reserve_vcc 0
		.amdhsa_reserve_flat_scratch 0
		.amdhsa_float_round_mode_32 0
		.amdhsa_float_round_mode_16_64 0
		.amdhsa_float_denorm_mode_32 3
		.amdhsa_float_denorm_mode_16_64 3
		.amdhsa_dx10_clamp 1
		.amdhsa_ieee_mode 1
		.amdhsa_fp16_overflow 0
		.amdhsa_workgroup_processor_mode 1
		.amdhsa_memory_ordered 1
		.amdhsa_forward_progress 1
		.amdhsa_shared_vgpr_count 0
		.amdhsa_exception_fp_ieee_invalid_op 0
		.amdhsa_exception_fp_denorm_src 0
		.amdhsa_exception_fp_ieee_div_zero 0
		.amdhsa_exception_fp_ieee_overflow 0
		.amdhsa_exception_fp_ieee_underflow 0
		.amdhsa_exception_fp_ieee_inexact 0
		.amdhsa_exception_int_div_zero 0
	.end_amdhsa_kernel
	.section	.text._ZN7rocprim17ROCPRIM_400000_NS6detail17trampoline_kernelINS0_14default_configENS1_27scan_by_key_config_selectorIiiEEZZNS1_16scan_by_key_implILNS1_25lookback_scan_determinismE0ELb1ES3_N6thrust23THRUST_200600_302600_NS6detail15normal_iteratorINS9_10device_ptrIiEEEESE_SE_iNS9_4plusIvEENS9_8equal_toIiEEiEE10hipError_tPvRmT2_T3_T4_T5_mT6_T7_P12ihipStream_tbENKUlT_T0_E_clISt17integral_constantIbLb1EESZ_EEDaSU_SV_EUlSU_E_NS1_11comp_targetILNS1_3genE9ELNS1_11target_archE1100ELNS1_3gpuE3ELNS1_3repE0EEENS1_30default_config_static_selectorELNS0_4arch9wavefront6targetE0EEEvT1_,"axG",@progbits,_ZN7rocprim17ROCPRIM_400000_NS6detail17trampoline_kernelINS0_14default_configENS1_27scan_by_key_config_selectorIiiEEZZNS1_16scan_by_key_implILNS1_25lookback_scan_determinismE0ELb1ES3_N6thrust23THRUST_200600_302600_NS6detail15normal_iteratorINS9_10device_ptrIiEEEESE_SE_iNS9_4plusIvEENS9_8equal_toIiEEiEE10hipError_tPvRmT2_T3_T4_T5_mT6_T7_P12ihipStream_tbENKUlT_T0_E_clISt17integral_constantIbLb1EESZ_EEDaSU_SV_EUlSU_E_NS1_11comp_targetILNS1_3genE9ELNS1_11target_archE1100ELNS1_3gpuE3ELNS1_3repE0EEENS1_30default_config_static_selectorELNS0_4arch9wavefront6targetE0EEEvT1_,comdat
.Lfunc_end549:
	.size	_ZN7rocprim17ROCPRIM_400000_NS6detail17trampoline_kernelINS0_14default_configENS1_27scan_by_key_config_selectorIiiEEZZNS1_16scan_by_key_implILNS1_25lookback_scan_determinismE0ELb1ES3_N6thrust23THRUST_200600_302600_NS6detail15normal_iteratorINS9_10device_ptrIiEEEESE_SE_iNS9_4plusIvEENS9_8equal_toIiEEiEE10hipError_tPvRmT2_T3_T4_T5_mT6_T7_P12ihipStream_tbENKUlT_T0_E_clISt17integral_constantIbLb1EESZ_EEDaSU_SV_EUlSU_E_NS1_11comp_targetILNS1_3genE9ELNS1_11target_archE1100ELNS1_3gpuE3ELNS1_3repE0EEENS1_30default_config_static_selectorELNS0_4arch9wavefront6targetE0EEEvT1_, .Lfunc_end549-_ZN7rocprim17ROCPRIM_400000_NS6detail17trampoline_kernelINS0_14default_configENS1_27scan_by_key_config_selectorIiiEEZZNS1_16scan_by_key_implILNS1_25lookback_scan_determinismE0ELb1ES3_N6thrust23THRUST_200600_302600_NS6detail15normal_iteratorINS9_10device_ptrIiEEEESE_SE_iNS9_4plusIvEENS9_8equal_toIiEEiEE10hipError_tPvRmT2_T3_T4_T5_mT6_T7_P12ihipStream_tbENKUlT_T0_E_clISt17integral_constantIbLb1EESZ_EEDaSU_SV_EUlSU_E_NS1_11comp_targetILNS1_3genE9ELNS1_11target_archE1100ELNS1_3gpuE3ELNS1_3repE0EEENS1_30default_config_static_selectorELNS0_4arch9wavefront6targetE0EEEvT1_
                                        ; -- End function
	.set _ZN7rocprim17ROCPRIM_400000_NS6detail17trampoline_kernelINS0_14default_configENS1_27scan_by_key_config_selectorIiiEEZZNS1_16scan_by_key_implILNS1_25lookback_scan_determinismE0ELb1ES3_N6thrust23THRUST_200600_302600_NS6detail15normal_iteratorINS9_10device_ptrIiEEEESE_SE_iNS9_4plusIvEENS9_8equal_toIiEEiEE10hipError_tPvRmT2_T3_T4_T5_mT6_T7_P12ihipStream_tbENKUlT_T0_E_clISt17integral_constantIbLb1EESZ_EEDaSU_SV_EUlSU_E_NS1_11comp_targetILNS1_3genE9ELNS1_11target_archE1100ELNS1_3gpuE3ELNS1_3repE0EEENS1_30default_config_static_selectorELNS0_4arch9wavefront6targetE0EEEvT1_.num_vgpr, 0
	.set _ZN7rocprim17ROCPRIM_400000_NS6detail17trampoline_kernelINS0_14default_configENS1_27scan_by_key_config_selectorIiiEEZZNS1_16scan_by_key_implILNS1_25lookback_scan_determinismE0ELb1ES3_N6thrust23THRUST_200600_302600_NS6detail15normal_iteratorINS9_10device_ptrIiEEEESE_SE_iNS9_4plusIvEENS9_8equal_toIiEEiEE10hipError_tPvRmT2_T3_T4_T5_mT6_T7_P12ihipStream_tbENKUlT_T0_E_clISt17integral_constantIbLb1EESZ_EEDaSU_SV_EUlSU_E_NS1_11comp_targetILNS1_3genE9ELNS1_11target_archE1100ELNS1_3gpuE3ELNS1_3repE0EEENS1_30default_config_static_selectorELNS0_4arch9wavefront6targetE0EEEvT1_.num_agpr, 0
	.set _ZN7rocprim17ROCPRIM_400000_NS6detail17trampoline_kernelINS0_14default_configENS1_27scan_by_key_config_selectorIiiEEZZNS1_16scan_by_key_implILNS1_25lookback_scan_determinismE0ELb1ES3_N6thrust23THRUST_200600_302600_NS6detail15normal_iteratorINS9_10device_ptrIiEEEESE_SE_iNS9_4plusIvEENS9_8equal_toIiEEiEE10hipError_tPvRmT2_T3_T4_T5_mT6_T7_P12ihipStream_tbENKUlT_T0_E_clISt17integral_constantIbLb1EESZ_EEDaSU_SV_EUlSU_E_NS1_11comp_targetILNS1_3genE9ELNS1_11target_archE1100ELNS1_3gpuE3ELNS1_3repE0EEENS1_30default_config_static_selectorELNS0_4arch9wavefront6targetE0EEEvT1_.numbered_sgpr, 0
	.set _ZN7rocprim17ROCPRIM_400000_NS6detail17trampoline_kernelINS0_14default_configENS1_27scan_by_key_config_selectorIiiEEZZNS1_16scan_by_key_implILNS1_25lookback_scan_determinismE0ELb1ES3_N6thrust23THRUST_200600_302600_NS6detail15normal_iteratorINS9_10device_ptrIiEEEESE_SE_iNS9_4plusIvEENS9_8equal_toIiEEiEE10hipError_tPvRmT2_T3_T4_T5_mT6_T7_P12ihipStream_tbENKUlT_T0_E_clISt17integral_constantIbLb1EESZ_EEDaSU_SV_EUlSU_E_NS1_11comp_targetILNS1_3genE9ELNS1_11target_archE1100ELNS1_3gpuE3ELNS1_3repE0EEENS1_30default_config_static_selectorELNS0_4arch9wavefront6targetE0EEEvT1_.num_named_barrier, 0
	.set _ZN7rocprim17ROCPRIM_400000_NS6detail17trampoline_kernelINS0_14default_configENS1_27scan_by_key_config_selectorIiiEEZZNS1_16scan_by_key_implILNS1_25lookback_scan_determinismE0ELb1ES3_N6thrust23THRUST_200600_302600_NS6detail15normal_iteratorINS9_10device_ptrIiEEEESE_SE_iNS9_4plusIvEENS9_8equal_toIiEEiEE10hipError_tPvRmT2_T3_T4_T5_mT6_T7_P12ihipStream_tbENKUlT_T0_E_clISt17integral_constantIbLb1EESZ_EEDaSU_SV_EUlSU_E_NS1_11comp_targetILNS1_3genE9ELNS1_11target_archE1100ELNS1_3gpuE3ELNS1_3repE0EEENS1_30default_config_static_selectorELNS0_4arch9wavefront6targetE0EEEvT1_.private_seg_size, 0
	.set _ZN7rocprim17ROCPRIM_400000_NS6detail17trampoline_kernelINS0_14default_configENS1_27scan_by_key_config_selectorIiiEEZZNS1_16scan_by_key_implILNS1_25lookback_scan_determinismE0ELb1ES3_N6thrust23THRUST_200600_302600_NS6detail15normal_iteratorINS9_10device_ptrIiEEEESE_SE_iNS9_4plusIvEENS9_8equal_toIiEEiEE10hipError_tPvRmT2_T3_T4_T5_mT6_T7_P12ihipStream_tbENKUlT_T0_E_clISt17integral_constantIbLb1EESZ_EEDaSU_SV_EUlSU_E_NS1_11comp_targetILNS1_3genE9ELNS1_11target_archE1100ELNS1_3gpuE3ELNS1_3repE0EEENS1_30default_config_static_selectorELNS0_4arch9wavefront6targetE0EEEvT1_.uses_vcc, 0
	.set _ZN7rocprim17ROCPRIM_400000_NS6detail17trampoline_kernelINS0_14default_configENS1_27scan_by_key_config_selectorIiiEEZZNS1_16scan_by_key_implILNS1_25lookback_scan_determinismE0ELb1ES3_N6thrust23THRUST_200600_302600_NS6detail15normal_iteratorINS9_10device_ptrIiEEEESE_SE_iNS9_4plusIvEENS9_8equal_toIiEEiEE10hipError_tPvRmT2_T3_T4_T5_mT6_T7_P12ihipStream_tbENKUlT_T0_E_clISt17integral_constantIbLb1EESZ_EEDaSU_SV_EUlSU_E_NS1_11comp_targetILNS1_3genE9ELNS1_11target_archE1100ELNS1_3gpuE3ELNS1_3repE0EEENS1_30default_config_static_selectorELNS0_4arch9wavefront6targetE0EEEvT1_.uses_flat_scratch, 0
	.set _ZN7rocprim17ROCPRIM_400000_NS6detail17trampoline_kernelINS0_14default_configENS1_27scan_by_key_config_selectorIiiEEZZNS1_16scan_by_key_implILNS1_25lookback_scan_determinismE0ELb1ES3_N6thrust23THRUST_200600_302600_NS6detail15normal_iteratorINS9_10device_ptrIiEEEESE_SE_iNS9_4plusIvEENS9_8equal_toIiEEiEE10hipError_tPvRmT2_T3_T4_T5_mT6_T7_P12ihipStream_tbENKUlT_T0_E_clISt17integral_constantIbLb1EESZ_EEDaSU_SV_EUlSU_E_NS1_11comp_targetILNS1_3genE9ELNS1_11target_archE1100ELNS1_3gpuE3ELNS1_3repE0EEENS1_30default_config_static_selectorELNS0_4arch9wavefront6targetE0EEEvT1_.has_dyn_sized_stack, 0
	.set _ZN7rocprim17ROCPRIM_400000_NS6detail17trampoline_kernelINS0_14default_configENS1_27scan_by_key_config_selectorIiiEEZZNS1_16scan_by_key_implILNS1_25lookback_scan_determinismE0ELb1ES3_N6thrust23THRUST_200600_302600_NS6detail15normal_iteratorINS9_10device_ptrIiEEEESE_SE_iNS9_4plusIvEENS9_8equal_toIiEEiEE10hipError_tPvRmT2_T3_T4_T5_mT6_T7_P12ihipStream_tbENKUlT_T0_E_clISt17integral_constantIbLb1EESZ_EEDaSU_SV_EUlSU_E_NS1_11comp_targetILNS1_3genE9ELNS1_11target_archE1100ELNS1_3gpuE3ELNS1_3repE0EEENS1_30default_config_static_selectorELNS0_4arch9wavefront6targetE0EEEvT1_.has_recursion, 0
	.set _ZN7rocprim17ROCPRIM_400000_NS6detail17trampoline_kernelINS0_14default_configENS1_27scan_by_key_config_selectorIiiEEZZNS1_16scan_by_key_implILNS1_25lookback_scan_determinismE0ELb1ES3_N6thrust23THRUST_200600_302600_NS6detail15normal_iteratorINS9_10device_ptrIiEEEESE_SE_iNS9_4plusIvEENS9_8equal_toIiEEiEE10hipError_tPvRmT2_T3_T4_T5_mT6_T7_P12ihipStream_tbENKUlT_T0_E_clISt17integral_constantIbLb1EESZ_EEDaSU_SV_EUlSU_E_NS1_11comp_targetILNS1_3genE9ELNS1_11target_archE1100ELNS1_3gpuE3ELNS1_3repE0EEENS1_30default_config_static_selectorELNS0_4arch9wavefront6targetE0EEEvT1_.has_indirect_call, 0
	.section	.AMDGPU.csdata,"",@progbits
; Kernel info:
; codeLenInByte = 0
; TotalNumSgprs: 0
; NumVgprs: 0
; ScratchSize: 0
; MemoryBound: 0
; FloatMode: 240
; IeeeMode: 1
; LDSByteSize: 0 bytes/workgroup (compile time only)
; SGPRBlocks: 0
; VGPRBlocks: 0
; NumSGPRsForWavesPerEU: 1
; NumVGPRsForWavesPerEU: 1
; Occupancy: 16
; WaveLimiterHint : 0
; COMPUTE_PGM_RSRC2:SCRATCH_EN: 0
; COMPUTE_PGM_RSRC2:USER_SGPR: 6
; COMPUTE_PGM_RSRC2:TRAP_HANDLER: 0
; COMPUTE_PGM_RSRC2:TGID_X_EN: 1
; COMPUTE_PGM_RSRC2:TGID_Y_EN: 0
; COMPUTE_PGM_RSRC2:TGID_Z_EN: 0
; COMPUTE_PGM_RSRC2:TIDIG_COMP_CNT: 0
	.section	.text._ZN7rocprim17ROCPRIM_400000_NS6detail17trampoline_kernelINS0_14default_configENS1_27scan_by_key_config_selectorIiiEEZZNS1_16scan_by_key_implILNS1_25lookback_scan_determinismE0ELb1ES3_N6thrust23THRUST_200600_302600_NS6detail15normal_iteratorINS9_10device_ptrIiEEEESE_SE_iNS9_4plusIvEENS9_8equal_toIiEEiEE10hipError_tPvRmT2_T3_T4_T5_mT6_T7_P12ihipStream_tbENKUlT_T0_E_clISt17integral_constantIbLb1EESZ_EEDaSU_SV_EUlSU_E_NS1_11comp_targetILNS1_3genE8ELNS1_11target_archE1030ELNS1_3gpuE2ELNS1_3repE0EEENS1_30default_config_static_selectorELNS0_4arch9wavefront6targetE0EEEvT1_,"axG",@progbits,_ZN7rocprim17ROCPRIM_400000_NS6detail17trampoline_kernelINS0_14default_configENS1_27scan_by_key_config_selectorIiiEEZZNS1_16scan_by_key_implILNS1_25lookback_scan_determinismE0ELb1ES3_N6thrust23THRUST_200600_302600_NS6detail15normal_iteratorINS9_10device_ptrIiEEEESE_SE_iNS9_4plusIvEENS9_8equal_toIiEEiEE10hipError_tPvRmT2_T3_T4_T5_mT6_T7_P12ihipStream_tbENKUlT_T0_E_clISt17integral_constantIbLb1EESZ_EEDaSU_SV_EUlSU_E_NS1_11comp_targetILNS1_3genE8ELNS1_11target_archE1030ELNS1_3gpuE2ELNS1_3repE0EEENS1_30default_config_static_selectorELNS0_4arch9wavefront6targetE0EEEvT1_,comdat
	.protected	_ZN7rocprim17ROCPRIM_400000_NS6detail17trampoline_kernelINS0_14default_configENS1_27scan_by_key_config_selectorIiiEEZZNS1_16scan_by_key_implILNS1_25lookback_scan_determinismE0ELb1ES3_N6thrust23THRUST_200600_302600_NS6detail15normal_iteratorINS9_10device_ptrIiEEEESE_SE_iNS9_4plusIvEENS9_8equal_toIiEEiEE10hipError_tPvRmT2_T3_T4_T5_mT6_T7_P12ihipStream_tbENKUlT_T0_E_clISt17integral_constantIbLb1EESZ_EEDaSU_SV_EUlSU_E_NS1_11comp_targetILNS1_3genE8ELNS1_11target_archE1030ELNS1_3gpuE2ELNS1_3repE0EEENS1_30default_config_static_selectorELNS0_4arch9wavefront6targetE0EEEvT1_ ; -- Begin function _ZN7rocprim17ROCPRIM_400000_NS6detail17trampoline_kernelINS0_14default_configENS1_27scan_by_key_config_selectorIiiEEZZNS1_16scan_by_key_implILNS1_25lookback_scan_determinismE0ELb1ES3_N6thrust23THRUST_200600_302600_NS6detail15normal_iteratorINS9_10device_ptrIiEEEESE_SE_iNS9_4plusIvEENS9_8equal_toIiEEiEE10hipError_tPvRmT2_T3_T4_T5_mT6_T7_P12ihipStream_tbENKUlT_T0_E_clISt17integral_constantIbLb1EESZ_EEDaSU_SV_EUlSU_E_NS1_11comp_targetILNS1_3genE8ELNS1_11target_archE1030ELNS1_3gpuE2ELNS1_3repE0EEENS1_30default_config_static_selectorELNS0_4arch9wavefront6targetE0EEEvT1_
	.globl	_ZN7rocprim17ROCPRIM_400000_NS6detail17trampoline_kernelINS0_14default_configENS1_27scan_by_key_config_selectorIiiEEZZNS1_16scan_by_key_implILNS1_25lookback_scan_determinismE0ELb1ES3_N6thrust23THRUST_200600_302600_NS6detail15normal_iteratorINS9_10device_ptrIiEEEESE_SE_iNS9_4plusIvEENS9_8equal_toIiEEiEE10hipError_tPvRmT2_T3_T4_T5_mT6_T7_P12ihipStream_tbENKUlT_T0_E_clISt17integral_constantIbLb1EESZ_EEDaSU_SV_EUlSU_E_NS1_11comp_targetILNS1_3genE8ELNS1_11target_archE1030ELNS1_3gpuE2ELNS1_3repE0EEENS1_30default_config_static_selectorELNS0_4arch9wavefront6targetE0EEEvT1_
	.p2align	8
	.type	_ZN7rocprim17ROCPRIM_400000_NS6detail17trampoline_kernelINS0_14default_configENS1_27scan_by_key_config_selectorIiiEEZZNS1_16scan_by_key_implILNS1_25lookback_scan_determinismE0ELb1ES3_N6thrust23THRUST_200600_302600_NS6detail15normal_iteratorINS9_10device_ptrIiEEEESE_SE_iNS9_4plusIvEENS9_8equal_toIiEEiEE10hipError_tPvRmT2_T3_T4_T5_mT6_T7_P12ihipStream_tbENKUlT_T0_E_clISt17integral_constantIbLb1EESZ_EEDaSU_SV_EUlSU_E_NS1_11comp_targetILNS1_3genE8ELNS1_11target_archE1030ELNS1_3gpuE2ELNS1_3repE0EEENS1_30default_config_static_selectorELNS0_4arch9wavefront6targetE0EEEvT1_,@function
_ZN7rocprim17ROCPRIM_400000_NS6detail17trampoline_kernelINS0_14default_configENS1_27scan_by_key_config_selectorIiiEEZZNS1_16scan_by_key_implILNS1_25lookback_scan_determinismE0ELb1ES3_N6thrust23THRUST_200600_302600_NS6detail15normal_iteratorINS9_10device_ptrIiEEEESE_SE_iNS9_4plusIvEENS9_8equal_toIiEEiEE10hipError_tPvRmT2_T3_T4_T5_mT6_T7_P12ihipStream_tbENKUlT_T0_E_clISt17integral_constantIbLb1EESZ_EEDaSU_SV_EUlSU_E_NS1_11comp_targetILNS1_3genE8ELNS1_11target_archE1030ELNS1_3gpuE2ELNS1_3repE0EEENS1_30default_config_static_selectorELNS0_4arch9wavefront6targetE0EEEvT1_: ; @_ZN7rocprim17ROCPRIM_400000_NS6detail17trampoline_kernelINS0_14default_configENS1_27scan_by_key_config_selectorIiiEEZZNS1_16scan_by_key_implILNS1_25lookback_scan_determinismE0ELb1ES3_N6thrust23THRUST_200600_302600_NS6detail15normal_iteratorINS9_10device_ptrIiEEEESE_SE_iNS9_4plusIvEENS9_8equal_toIiEEiEE10hipError_tPvRmT2_T3_T4_T5_mT6_T7_P12ihipStream_tbENKUlT_T0_E_clISt17integral_constantIbLb1EESZ_EEDaSU_SV_EUlSU_E_NS1_11comp_targetILNS1_3genE8ELNS1_11target_archE1030ELNS1_3gpuE2ELNS1_3repE0EEENS1_30default_config_static_selectorELNS0_4arch9wavefront6targetE0EEEvT1_
; %bb.0:
	s_endpgm
	.section	.rodata,"a",@progbits
	.p2align	6, 0x0
	.amdhsa_kernel _ZN7rocprim17ROCPRIM_400000_NS6detail17trampoline_kernelINS0_14default_configENS1_27scan_by_key_config_selectorIiiEEZZNS1_16scan_by_key_implILNS1_25lookback_scan_determinismE0ELb1ES3_N6thrust23THRUST_200600_302600_NS6detail15normal_iteratorINS9_10device_ptrIiEEEESE_SE_iNS9_4plusIvEENS9_8equal_toIiEEiEE10hipError_tPvRmT2_T3_T4_T5_mT6_T7_P12ihipStream_tbENKUlT_T0_E_clISt17integral_constantIbLb1EESZ_EEDaSU_SV_EUlSU_E_NS1_11comp_targetILNS1_3genE8ELNS1_11target_archE1030ELNS1_3gpuE2ELNS1_3repE0EEENS1_30default_config_static_selectorELNS0_4arch9wavefront6targetE0EEEvT1_
		.amdhsa_group_segment_fixed_size 0
		.amdhsa_private_segment_fixed_size 0
		.amdhsa_kernarg_size 112
		.amdhsa_user_sgpr_count 6
		.amdhsa_user_sgpr_private_segment_buffer 1
		.amdhsa_user_sgpr_dispatch_ptr 0
		.amdhsa_user_sgpr_queue_ptr 0
		.amdhsa_user_sgpr_kernarg_segment_ptr 1
		.amdhsa_user_sgpr_dispatch_id 0
		.amdhsa_user_sgpr_flat_scratch_init 0
		.amdhsa_user_sgpr_private_segment_size 0
		.amdhsa_wavefront_size32 1
		.amdhsa_uses_dynamic_stack 0
		.amdhsa_system_sgpr_private_segment_wavefront_offset 0
		.amdhsa_system_sgpr_workgroup_id_x 1
		.amdhsa_system_sgpr_workgroup_id_y 0
		.amdhsa_system_sgpr_workgroup_id_z 0
		.amdhsa_system_sgpr_workgroup_info 0
		.amdhsa_system_vgpr_workitem_id 0
		.amdhsa_next_free_vgpr 1
		.amdhsa_next_free_sgpr 1
		.amdhsa_reserve_vcc 0
		.amdhsa_reserve_flat_scratch 0
		.amdhsa_float_round_mode_32 0
		.amdhsa_float_round_mode_16_64 0
		.amdhsa_float_denorm_mode_32 3
		.amdhsa_float_denorm_mode_16_64 3
		.amdhsa_dx10_clamp 1
		.amdhsa_ieee_mode 1
		.amdhsa_fp16_overflow 0
		.amdhsa_workgroup_processor_mode 1
		.amdhsa_memory_ordered 1
		.amdhsa_forward_progress 1
		.amdhsa_shared_vgpr_count 0
		.amdhsa_exception_fp_ieee_invalid_op 0
		.amdhsa_exception_fp_denorm_src 0
		.amdhsa_exception_fp_ieee_div_zero 0
		.amdhsa_exception_fp_ieee_overflow 0
		.amdhsa_exception_fp_ieee_underflow 0
		.amdhsa_exception_fp_ieee_inexact 0
		.amdhsa_exception_int_div_zero 0
	.end_amdhsa_kernel
	.section	.text._ZN7rocprim17ROCPRIM_400000_NS6detail17trampoline_kernelINS0_14default_configENS1_27scan_by_key_config_selectorIiiEEZZNS1_16scan_by_key_implILNS1_25lookback_scan_determinismE0ELb1ES3_N6thrust23THRUST_200600_302600_NS6detail15normal_iteratorINS9_10device_ptrIiEEEESE_SE_iNS9_4plusIvEENS9_8equal_toIiEEiEE10hipError_tPvRmT2_T3_T4_T5_mT6_T7_P12ihipStream_tbENKUlT_T0_E_clISt17integral_constantIbLb1EESZ_EEDaSU_SV_EUlSU_E_NS1_11comp_targetILNS1_3genE8ELNS1_11target_archE1030ELNS1_3gpuE2ELNS1_3repE0EEENS1_30default_config_static_selectorELNS0_4arch9wavefront6targetE0EEEvT1_,"axG",@progbits,_ZN7rocprim17ROCPRIM_400000_NS6detail17trampoline_kernelINS0_14default_configENS1_27scan_by_key_config_selectorIiiEEZZNS1_16scan_by_key_implILNS1_25lookback_scan_determinismE0ELb1ES3_N6thrust23THRUST_200600_302600_NS6detail15normal_iteratorINS9_10device_ptrIiEEEESE_SE_iNS9_4plusIvEENS9_8equal_toIiEEiEE10hipError_tPvRmT2_T3_T4_T5_mT6_T7_P12ihipStream_tbENKUlT_T0_E_clISt17integral_constantIbLb1EESZ_EEDaSU_SV_EUlSU_E_NS1_11comp_targetILNS1_3genE8ELNS1_11target_archE1030ELNS1_3gpuE2ELNS1_3repE0EEENS1_30default_config_static_selectorELNS0_4arch9wavefront6targetE0EEEvT1_,comdat
.Lfunc_end550:
	.size	_ZN7rocprim17ROCPRIM_400000_NS6detail17trampoline_kernelINS0_14default_configENS1_27scan_by_key_config_selectorIiiEEZZNS1_16scan_by_key_implILNS1_25lookback_scan_determinismE0ELb1ES3_N6thrust23THRUST_200600_302600_NS6detail15normal_iteratorINS9_10device_ptrIiEEEESE_SE_iNS9_4plusIvEENS9_8equal_toIiEEiEE10hipError_tPvRmT2_T3_T4_T5_mT6_T7_P12ihipStream_tbENKUlT_T0_E_clISt17integral_constantIbLb1EESZ_EEDaSU_SV_EUlSU_E_NS1_11comp_targetILNS1_3genE8ELNS1_11target_archE1030ELNS1_3gpuE2ELNS1_3repE0EEENS1_30default_config_static_selectorELNS0_4arch9wavefront6targetE0EEEvT1_, .Lfunc_end550-_ZN7rocprim17ROCPRIM_400000_NS6detail17trampoline_kernelINS0_14default_configENS1_27scan_by_key_config_selectorIiiEEZZNS1_16scan_by_key_implILNS1_25lookback_scan_determinismE0ELb1ES3_N6thrust23THRUST_200600_302600_NS6detail15normal_iteratorINS9_10device_ptrIiEEEESE_SE_iNS9_4plusIvEENS9_8equal_toIiEEiEE10hipError_tPvRmT2_T3_T4_T5_mT6_T7_P12ihipStream_tbENKUlT_T0_E_clISt17integral_constantIbLb1EESZ_EEDaSU_SV_EUlSU_E_NS1_11comp_targetILNS1_3genE8ELNS1_11target_archE1030ELNS1_3gpuE2ELNS1_3repE0EEENS1_30default_config_static_selectorELNS0_4arch9wavefront6targetE0EEEvT1_
                                        ; -- End function
	.set _ZN7rocprim17ROCPRIM_400000_NS6detail17trampoline_kernelINS0_14default_configENS1_27scan_by_key_config_selectorIiiEEZZNS1_16scan_by_key_implILNS1_25lookback_scan_determinismE0ELb1ES3_N6thrust23THRUST_200600_302600_NS6detail15normal_iteratorINS9_10device_ptrIiEEEESE_SE_iNS9_4plusIvEENS9_8equal_toIiEEiEE10hipError_tPvRmT2_T3_T4_T5_mT6_T7_P12ihipStream_tbENKUlT_T0_E_clISt17integral_constantIbLb1EESZ_EEDaSU_SV_EUlSU_E_NS1_11comp_targetILNS1_3genE8ELNS1_11target_archE1030ELNS1_3gpuE2ELNS1_3repE0EEENS1_30default_config_static_selectorELNS0_4arch9wavefront6targetE0EEEvT1_.num_vgpr, 0
	.set _ZN7rocprim17ROCPRIM_400000_NS6detail17trampoline_kernelINS0_14default_configENS1_27scan_by_key_config_selectorIiiEEZZNS1_16scan_by_key_implILNS1_25lookback_scan_determinismE0ELb1ES3_N6thrust23THRUST_200600_302600_NS6detail15normal_iteratorINS9_10device_ptrIiEEEESE_SE_iNS9_4plusIvEENS9_8equal_toIiEEiEE10hipError_tPvRmT2_T3_T4_T5_mT6_T7_P12ihipStream_tbENKUlT_T0_E_clISt17integral_constantIbLb1EESZ_EEDaSU_SV_EUlSU_E_NS1_11comp_targetILNS1_3genE8ELNS1_11target_archE1030ELNS1_3gpuE2ELNS1_3repE0EEENS1_30default_config_static_selectorELNS0_4arch9wavefront6targetE0EEEvT1_.num_agpr, 0
	.set _ZN7rocprim17ROCPRIM_400000_NS6detail17trampoline_kernelINS0_14default_configENS1_27scan_by_key_config_selectorIiiEEZZNS1_16scan_by_key_implILNS1_25lookback_scan_determinismE0ELb1ES3_N6thrust23THRUST_200600_302600_NS6detail15normal_iteratorINS9_10device_ptrIiEEEESE_SE_iNS9_4plusIvEENS9_8equal_toIiEEiEE10hipError_tPvRmT2_T3_T4_T5_mT6_T7_P12ihipStream_tbENKUlT_T0_E_clISt17integral_constantIbLb1EESZ_EEDaSU_SV_EUlSU_E_NS1_11comp_targetILNS1_3genE8ELNS1_11target_archE1030ELNS1_3gpuE2ELNS1_3repE0EEENS1_30default_config_static_selectorELNS0_4arch9wavefront6targetE0EEEvT1_.numbered_sgpr, 0
	.set _ZN7rocprim17ROCPRIM_400000_NS6detail17trampoline_kernelINS0_14default_configENS1_27scan_by_key_config_selectorIiiEEZZNS1_16scan_by_key_implILNS1_25lookback_scan_determinismE0ELb1ES3_N6thrust23THRUST_200600_302600_NS6detail15normal_iteratorINS9_10device_ptrIiEEEESE_SE_iNS9_4plusIvEENS9_8equal_toIiEEiEE10hipError_tPvRmT2_T3_T4_T5_mT6_T7_P12ihipStream_tbENKUlT_T0_E_clISt17integral_constantIbLb1EESZ_EEDaSU_SV_EUlSU_E_NS1_11comp_targetILNS1_3genE8ELNS1_11target_archE1030ELNS1_3gpuE2ELNS1_3repE0EEENS1_30default_config_static_selectorELNS0_4arch9wavefront6targetE0EEEvT1_.num_named_barrier, 0
	.set _ZN7rocprim17ROCPRIM_400000_NS6detail17trampoline_kernelINS0_14default_configENS1_27scan_by_key_config_selectorIiiEEZZNS1_16scan_by_key_implILNS1_25lookback_scan_determinismE0ELb1ES3_N6thrust23THRUST_200600_302600_NS6detail15normal_iteratorINS9_10device_ptrIiEEEESE_SE_iNS9_4plusIvEENS9_8equal_toIiEEiEE10hipError_tPvRmT2_T3_T4_T5_mT6_T7_P12ihipStream_tbENKUlT_T0_E_clISt17integral_constantIbLb1EESZ_EEDaSU_SV_EUlSU_E_NS1_11comp_targetILNS1_3genE8ELNS1_11target_archE1030ELNS1_3gpuE2ELNS1_3repE0EEENS1_30default_config_static_selectorELNS0_4arch9wavefront6targetE0EEEvT1_.private_seg_size, 0
	.set _ZN7rocprim17ROCPRIM_400000_NS6detail17trampoline_kernelINS0_14default_configENS1_27scan_by_key_config_selectorIiiEEZZNS1_16scan_by_key_implILNS1_25lookback_scan_determinismE0ELb1ES3_N6thrust23THRUST_200600_302600_NS6detail15normal_iteratorINS9_10device_ptrIiEEEESE_SE_iNS9_4plusIvEENS9_8equal_toIiEEiEE10hipError_tPvRmT2_T3_T4_T5_mT6_T7_P12ihipStream_tbENKUlT_T0_E_clISt17integral_constantIbLb1EESZ_EEDaSU_SV_EUlSU_E_NS1_11comp_targetILNS1_3genE8ELNS1_11target_archE1030ELNS1_3gpuE2ELNS1_3repE0EEENS1_30default_config_static_selectorELNS0_4arch9wavefront6targetE0EEEvT1_.uses_vcc, 0
	.set _ZN7rocprim17ROCPRIM_400000_NS6detail17trampoline_kernelINS0_14default_configENS1_27scan_by_key_config_selectorIiiEEZZNS1_16scan_by_key_implILNS1_25lookback_scan_determinismE0ELb1ES3_N6thrust23THRUST_200600_302600_NS6detail15normal_iteratorINS9_10device_ptrIiEEEESE_SE_iNS9_4plusIvEENS9_8equal_toIiEEiEE10hipError_tPvRmT2_T3_T4_T5_mT6_T7_P12ihipStream_tbENKUlT_T0_E_clISt17integral_constantIbLb1EESZ_EEDaSU_SV_EUlSU_E_NS1_11comp_targetILNS1_3genE8ELNS1_11target_archE1030ELNS1_3gpuE2ELNS1_3repE0EEENS1_30default_config_static_selectorELNS0_4arch9wavefront6targetE0EEEvT1_.uses_flat_scratch, 0
	.set _ZN7rocprim17ROCPRIM_400000_NS6detail17trampoline_kernelINS0_14default_configENS1_27scan_by_key_config_selectorIiiEEZZNS1_16scan_by_key_implILNS1_25lookback_scan_determinismE0ELb1ES3_N6thrust23THRUST_200600_302600_NS6detail15normal_iteratorINS9_10device_ptrIiEEEESE_SE_iNS9_4plusIvEENS9_8equal_toIiEEiEE10hipError_tPvRmT2_T3_T4_T5_mT6_T7_P12ihipStream_tbENKUlT_T0_E_clISt17integral_constantIbLb1EESZ_EEDaSU_SV_EUlSU_E_NS1_11comp_targetILNS1_3genE8ELNS1_11target_archE1030ELNS1_3gpuE2ELNS1_3repE0EEENS1_30default_config_static_selectorELNS0_4arch9wavefront6targetE0EEEvT1_.has_dyn_sized_stack, 0
	.set _ZN7rocprim17ROCPRIM_400000_NS6detail17trampoline_kernelINS0_14default_configENS1_27scan_by_key_config_selectorIiiEEZZNS1_16scan_by_key_implILNS1_25lookback_scan_determinismE0ELb1ES3_N6thrust23THRUST_200600_302600_NS6detail15normal_iteratorINS9_10device_ptrIiEEEESE_SE_iNS9_4plusIvEENS9_8equal_toIiEEiEE10hipError_tPvRmT2_T3_T4_T5_mT6_T7_P12ihipStream_tbENKUlT_T0_E_clISt17integral_constantIbLb1EESZ_EEDaSU_SV_EUlSU_E_NS1_11comp_targetILNS1_3genE8ELNS1_11target_archE1030ELNS1_3gpuE2ELNS1_3repE0EEENS1_30default_config_static_selectorELNS0_4arch9wavefront6targetE0EEEvT1_.has_recursion, 0
	.set _ZN7rocprim17ROCPRIM_400000_NS6detail17trampoline_kernelINS0_14default_configENS1_27scan_by_key_config_selectorIiiEEZZNS1_16scan_by_key_implILNS1_25lookback_scan_determinismE0ELb1ES3_N6thrust23THRUST_200600_302600_NS6detail15normal_iteratorINS9_10device_ptrIiEEEESE_SE_iNS9_4plusIvEENS9_8equal_toIiEEiEE10hipError_tPvRmT2_T3_T4_T5_mT6_T7_P12ihipStream_tbENKUlT_T0_E_clISt17integral_constantIbLb1EESZ_EEDaSU_SV_EUlSU_E_NS1_11comp_targetILNS1_3genE8ELNS1_11target_archE1030ELNS1_3gpuE2ELNS1_3repE0EEENS1_30default_config_static_selectorELNS0_4arch9wavefront6targetE0EEEvT1_.has_indirect_call, 0
	.section	.AMDGPU.csdata,"",@progbits
; Kernel info:
; codeLenInByte = 4
; TotalNumSgprs: 0
; NumVgprs: 0
; ScratchSize: 0
; MemoryBound: 0
; FloatMode: 240
; IeeeMode: 1
; LDSByteSize: 0 bytes/workgroup (compile time only)
; SGPRBlocks: 0
; VGPRBlocks: 0
; NumSGPRsForWavesPerEU: 1
; NumVGPRsForWavesPerEU: 1
; Occupancy: 16
; WaveLimiterHint : 0
; COMPUTE_PGM_RSRC2:SCRATCH_EN: 0
; COMPUTE_PGM_RSRC2:USER_SGPR: 6
; COMPUTE_PGM_RSRC2:TRAP_HANDLER: 0
; COMPUTE_PGM_RSRC2:TGID_X_EN: 1
; COMPUTE_PGM_RSRC2:TGID_Y_EN: 0
; COMPUTE_PGM_RSRC2:TGID_Z_EN: 0
; COMPUTE_PGM_RSRC2:TIDIG_COMP_CNT: 0
	.section	.text._ZN7rocprim17ROCPRIM_400000_NS6detail17trampoline_kernelINS0_14default_configENS1_27scan_by_key_config_selectorIiiEEZZNS1_16scan_by_key_implILNS1_25lookback_scan_determinismE0ELb1ES3_N6thrust23THRUST_200600_302600_NS6detail15normal_iteratorINS9_10device_ptrIiEEEESE_SE_iNS9_4plusIvEENS9_8equal_toIiEEiEE10hipError_tPvRmT2_T3_T4_T5_mT6_T7_P12ihipStream_tbENKUlT_T0_E_clISt17integral_constantIbLb1EESY_IbLb0EEEEDaSU_SV_EUlSU_E_NS1_11comp_targetILNS1_3genE0ELNS1_11target_archE4294967295ELNS1_3gpuE0ELNS1_3repE0EEENS1_30default_config_static_selectorELNS0_4arch9wavefront6targetE0EEEvT1_,"axG",@progbits,_ZN7rocprim17ROCPRIM_400000_NS6detail17trampoline_kernelINS0_14default_configENS1_27scan_by_key_config_selectorIiiEEZZNS1_16scan_by_key_implILNS1_25lookback_scan_determinismE0ELb1ES3_N6thrust23THRUST_200600_302600_NS6detail15normal_iteratorINS9_10device_ptrIiEEEESE_SE_iNS9_4plusIvEENS9_8equal_toIiEEiEE10hipError_tPvRmT2_T3_T4_T5_mT6_T7_P12ihipStream_tbENKUlT_T0_E_clISt17integral_constantIbLb1EESY_IbLb0EEEEDaSU_SV_EUlSU_E_NS1_11comp_targetILNS1_3genE0ELNS1_11target_archE4294967295ELNS1_3gpuE0ELNS1_3repE0EEENS1_30default_config_static_selectorELNS0_4arch9wavefront6targetE0EEEvT1_,comdat
	.protected	_ZN7rocprim17ROCPRIM_400000_NS6detail17trampoline_kernelINS0_14default_configENS1_27scan_by_key_config_selectorIiiEEZZNS1_16scan_by_key_implILNS1_25lookback_scan_determinismE0ELb1ES3_N6thrust23THRUST_200600_302600_NS6detail15normal_iteratorINS9_10device_ptrIiEEEESE_SE_iNS9_4plusIvEENS9_8equal_toIiEEiEE10hipError_tPvRmT2_T3_T4_T5_mT6_T7_P12ihipStream_tbENKUlT_T0_E_clISt17integral_constantIbLb1EESY_IbLb0EEEEDaSU_SV_EUlSU_E_NS1_11comp_targetILNS1_3genE0ELNS1_11target_archE4294967295ELNS1_3gpuE0ELNS1_3repE0EEENS1_30default_config_static_selectorELNS0_4arch9wavefront6targetE0EEEvT1_ ; -- Begin function _ZN7rocprim17ROCPRIM_400000_NS6detail17trampoline_kernelINS0_14default_configENS1_27scan_by_key_config_selectorIiiEEZZNS1_16scan_by_key_implILNS1_25lookback_scan_determinismE0ELb1ES3_N6thrust23THRUST_200600_302600_NS6detail15normal_iteratorINS9_10device_ptrIiEEEESE_SE_iNS9_4plusIvEENS9_8equal_toIiEEiEE10hipError_tPvRmT2_T3_T4_T5_mT6_T7_P12ihipStream_tbENKUlT_T0_E_clISt17integral_constantIbLb1EESY_IbLb0EEEEDaSU_SV_EUlSU_E_NS1_11comp_targetILNS1_3genE0ELNS1_11target_archE4294967295ELNS1_3gpuE0ELNS1_3repE0EEENS1_30default_config_static_selectorELNS0_4arch9wavefront6targetE0EEEvT1_
	.globl	_ZN7rocprim17ROCPRIM_400000_NS6detail17trampoline_kernelINS0_14default_configENS1_27scan_by_key_config_selectorIiiEEZZNS1_16scan_by_key_implILNS1_25lookback_scan_determinismE0ELb1ES3_N6thrust23THRUST_200600_302600_NS6detail15normal_iteratorINS9_10device_ptrIiEEEESE_SE_iNS9_4plusIvEENS9_8equal_toIiEEiEE10hipError_tPvRmT2_T3_T4_T5_mT6_T7_P12ihipStream_tbENKUlT_T0_E_clISt17integral_constantIbLb1EESY_IbLb0EEEEDaSU_SV_EUlSU_E_NS1_11comp_targetILNS1_3genE0ELNS1_11target_archE4294967295ELNS1_3gpuE0ELNS1_3repE0EEENS1_30default_config_static_selectorELNS0_4arch9wavefront6targetE0EEEvT1_
	.p2align	8
	.type	_ZN7rocprim17ROCPRIM_400000_NS6detail17trampoline_kernelINS0_14default_configENS1_27scan_by_key_config_selectorIiiEEZZNS1_16scan_by_key_implILNS1_25lookback_scan_determinismE0ELb1ES3_N6thrust23THRUST_200600_302600_NS6detail15normal_iteratorINS9_10device_ptrIiEEEESE_SE_iNS9_4plusIvEENS9_8equal_toIiEEiEE10hipError_tPvRmT2_T3_T4_T5_mT6_T7_P12ihipStream_tbENKUlT_T0_E_clISt17integral_constantIbLb1EESY_IbLb0EEEEDaSU_SV_EUlSU_E_NS1_11comp_targetILNS1_3genE0ELNS1_11target_archE4294967295ELNS1_3gpuE0ELNS1_3repE0EEENS1_30default_config_static_selectorELNS0_4arch9wavefront6targetE0EEEvT1_,@function
_ZN7rocprim17ROCPRIM_400000_NS6detail17trampoline_kernelINS0_14default_configENS1_27scan_by_key_config_selectorIiiEEZZNS1_16scan_by_key_implILNS1_25lookback_scan_determinismE0ELb1ES3_N6thrust23THRUST_200600_302600_NS6detail15normal_iteratorINS9_10device_ptrIiEEEESE_SE_iNS9_4plusIvEENS9_8equal_toIiEEiEE10hipError_tPvRmT2_T3_T4_T5_mT6_T7_P12ihipStream_tbENKUlT_T0_E_clISt17integral_constantIbLb1EESY_IbLb0EEEEDaSU_SV_EUlSU_E_NS1_11comp_targetILNS1_3genE0ELNS1_11target_archE4294967295ELNS1_3gpuE0ELNS1_3repE0EEENS1_30default_config_static_selectorELNS0_4arch9wavefront6targetE0EEEvT1_: ; @_ZN7rocprim17ROCPRIM_400000_NS6detail17trampoline_kernelINS0_14default_configENS1_27scan_by_key_config_selectorIiiEEZZNS1_16scan_by_key_implILNS1_25lookback_scan_determinismE0ELb1ES3_N6thrust23THRUST_200600_302600_NS6detail15normal_iteratorINS9_10device_ptrIiEEEESE_SE_iNS9_4plusIvEENS9_8equal_toIiEEiEE10hipError_tPvRmT2_T3_T4_T5_mT6_T7_P12ihipStream_tbENKUlT_T0_E_clISt17integral_constantIbLb1EESY_IbLb0EEEEDaSU_SV_EUlSU_E_NS1_11comp_targetILNS1_3genE0ELNS1_11target_archE4294967295ELNS1_3gpuE0ELNS1_3repE0EEENS1_30default_config_static_selectorELNS0_4arch9wavefront6targetE0EEEvT1_
; %bb.0:
	.section	.rodata,"a",@progbits
	.p2align	6, 0x0
	.amdhsa_kernel _ZN7rocprim17ROCPRIM_400000_NS6detail17trampoline_kernelINS0_14default_configENS1_27scan_by_key_config_selectorIiiEEZZNS1_16scan_by_key_implILNS1_25lookback_scan_determinismE0ELb1ES3_N6thrust23THRUST_200600_302600_NS6detail15normal_iteratorINS9_10device_ptrIiEEEESE_SE_iNS9_4plusIvEENS9_8equal_toIiEEiEE10hipError_tPvRmT2_T3_T4_T5_mT6_T7_P12ihipStream_tbENKUlT_T0_E_clISt17integral_constantIbLb1EESY_IbLb0EEEEDaSU_SV_EUlSU_E_NS1_11comp_targetILNS1_3genE0ELNS1_11target_archE4294967295ELNS1_3gpuE0ELNS1_3repE0EEENS1_30default_config_static_selectorELNS0_4arch9wavefront6targetE0EEEvT1_
		.amdhsa_group_segment_fixed_size 0
		.amdhsa_private_segment_fixed_size 0
		.amdhsa_kernarg_size 112
		.amdhsa_user_sgpr_count 6
		.amdhsa_user_sgpr_private_segment_buffer 1
		.amdhsa_user_sgpr_dispatch_ptr 0
		.amdhsa_user_sgpr_queue_ptr 0
		.amdhsa_user_sgpr_kernarg_segment_ptr 1
		.amdhsa_user_sgpr_dispatch_id 0
		.amdhsa_user_sgpr_flat_scratch_init 0
		.amdhsa_user_sgpr_private_segment_size 0
		.amdhsa_wavefront_size32 1
		.amdhsa_uses_dynamic_stack 0
		.amdhsa_system_sgpr_private_segment_wavefront_offset 0
		.amdhsa_system_sgpr_workgroup_id_x 1
		.amdhsa_system_sgpr_workgroup_id_y 0
		.amdhsa_system_sgpr_workgroup_id_z 0
		.amdhsa_system_sgpr_workgroup_info 0
		.amdhsa_system_vgpr_workitem_id 0
		.amdhsa_next_free_vgpr 1
		.amdhsa_next_free_sgpr 1
		.amdhsa_reserve_vcc 0
		.amdhsa_reserve_flat_scratch 0
		.amdhsa_float_round_mode_32 0
		.amdhsa_float_round_mode_16_64 0
		.amdhsa_float_denorm_mode_32 3
		.amdhsa_float_denorm_mode_16_64 3
		.amdhsa_dx10_clamp 1
		.amdhsa_ieee_mode 1
		.amdhsa_fp16_overflow 0
		.amdhsa_workgroup_processor_mode 1
		.amdhsa_memory_ordered 1
		.amdhsa_forward_progress 1
		.amdhsa_shared_vgpr_count 0
		.amdhsa_exception_fp_ieee_invalid_op 0
		.amdhsa_exception_fp_denorm_src 0
		.amdhsa_exception_fp_ieee_div_zero 0
		.amdhsa_exception_fp_ieee_overflow 0
		.amdhsa_exception_fp_ieee_underflow 0
		.amdhsa_exception_fp_ieee_inexact 0
		.amdhsa_exception_int_div_zero 0
	.end_amdhsa_kernel
	.section	.text._ZN7rocprim17ROCPRIM_400000_NS6detail17trampoline_kernelINS0_14default_configENS1_27scan_by_key_config_selectorIiiEEZZNS1_16scan_by_key_implILNS1_25lookback_scan_determinismE0ELb1ES3_N6thrust23THRUST_200600_302600_NS6detail15normal_iteratorINS9_10device_ptrIiEEEESE_SE_iNS9_4plusIvEENS9_8equal_toIiEEiEE10hipError_tPvRmT2_T3_T4_T5_mT6_T7_P12ihipStream_tbENKUlT_T0_E_clISt17integral_constantIbLb1EESY_IbLb0EEEEDaSU_SV_EUlSU_E_NS1_11comp_targetILNS1_3genE0ELNS1_11target_archE4294967295ELNS1_3gpuE0ELNS1_3repE0EEENS1_30default_config_static_selectorELNS0_4arch9wavefront6targetE0EEEvT1_,"axG",@progbits,_ZN7rocprim17ROCPRIM_400000_NS6detail17trampoline_kernelINS0_14default_configENS1_27scan_by_key_config_selectorIiiEEZZNS1_16scan_by_key_implILNS1_25lookback_scan_determinismE0ELb1ES3_N6thrust23THRUST_200600_302600_NS6detail15normal_iteratorINS9_10device_ptrIiEEEESE_SE_iNS9_4plusIvEENS9_8equal_toIiEEiEE10hipError_tPvRmT2_T3_T4_T5_mT6_T7_P12ihipStream_tbENKUlT_T0_E_clISt17integral_constantIbLb1EESY_IbLb0EEEEDaSU_SV_EUlSU_E_NS1_11comp_targetILNS1_3genE0ELNS1_11target_archE4294967295ELNS1_3gpuE0ELNS1_3repE0EEENS1_30default_config_static_selectorELNS0_4arch9wavefront6targetE0EEEvT1_,comdat
.Lfunc_end551:
	.size	_ZN7rocprim17ROCPRIM_400000_NS6detail17trampoline_kernelINS0_14default_configENS1_27scan_by_key_config_selectorIiiEEZZNS1_16scan_by_key_implILNS1_25lookback_scan_determinismE0ELb1ES3_N6thrust23THRUST_200600_302600_NS6detail15normal_iteratorINS9_10device_ptrIiEEEESE_SE_iNS9_4plusIvEENS9_8equal_toIiEEiEE10hipError_tPvRmT2_T3_T4_T5_mT6_T7_P12ihipStream_tbENKUlT_T0_E_clISt17integral_constantIbLb1EESY_IbLb0EEEEDaSU_SV_EUlSU_E_NS1_11comp_targetILNS1_3genE0ELNS1_11target_archE4294967295ELNS1_3gpuE0ELNS1_3repE0EEENS1_30default_config_static_selectorELNS0_4arch9wavefront6targetE0EEEvT1_, .Lfunc_end551-_ZN7rocprim17ROCPRIM_400000_NS6detail17trampoline_kernelINS0_14default_configENS1_27scan_by_key_config_selectorIiiEEZZNS1_16scan_by_key_implILNS1_25lookback_scan_determinismE0ELb1ES3_N6thrust23THRUST_200600_302600_NS6detail15normal_iteratorINS9_10device_ptrIiEEEESE_SE_iNS9_4plusIvEENS9_8equal_toIiEEiEE10hipError_tPvRmT2_T3_T4_T5_mT6_T7_P12ihipStream_tbENKUlT_T0_E_clISt17integral_constantIbLb1EESY_IbLb0EEEEDaSU_SV_EUlSU_E_NS1_11comp_targetILNS1_3genE0ELNS1_11target_archE4294967295ELNS1_3gpuE0ELNS1_3repE0EEENS1_30default_config_static_selectorELNS0_4arch9wavefront6targetE0EEEvT1_
                                        ; -- End function
	.set _ZN7rocprim17ROCPRIM_400000_NS6detail17trampoline_kernelINS0_14default_configENS1_27scan_by_key_config_selectorIiiEEZZNS1_16scan_by_key_implILNS1_25lookback_scan_determinismE0ELb1ES3_N6thrust23THRUST_200600_302600_NS6detail15normal_iteratorINS9_10device_ptrIiEEEESE_SE_iNS9_4plusIvEENS9_8equal_toIiEEiEE10hipError_tPvRmT2_T3_T4_T5_mT6_T7_P12ihipStream_tbENKUlT_T0_E_clISt17integral_constantIbLb1EESY_IbLb0EEEEDaSU_SV_EUlSU_E_NS1_11comp_targetILNS1_3genE0ELNS1_11target_archE4294967295ELNS1_3gpuE0ELNS1_3repE0EEENS1_30default_config_static_selectorELNS0_4arch9wavefront6targetE0EEEvT1_.num_vgpr, 0
	.set _ZN7rocprim17ROCPRIM_400000_NS6detail17trampoline_kernelINS0_14default_configENS1_27scan_by_key_config_selectorIiiEEZZNS1_16scan_by_key_implILNS1_25lookback_scan_determinismE0ELb1ES3_N6thrust23THRUST_200600_302600_NS6detail15normal_iteratorINS9_10device_ptrIiEEEESE_SE_iNS9_4plusIvEENS9_8equal_toIiEEiEE10hipError_tPvRmT2_T3_T4_T5_mT6_T7_P12ihipStream_tbENKUlT_T0_E_clISt17integral_constantIbLb1EESY_IbLb0EEEEDaSU_SV_EUlSU_E_NS1_11comp_targetILNS1_3genE0ELNS1_11target_archE4294967295ELNS1_3gpuE0ELNS1_3repE0EEENS1_30default_config_static_selectorELNS0_4arch9wavefront6targetE0EEEvT1_.num_agpr, 0
	.set _ZN7rocprim17ROCPRIM_400000_NS6detail17trampoline_kernelINS0_14default_configENS1_27scan_by_key_config_selectorIiiEEZZNS1_16scan_by_key_implILNS1_25lookback_scan_determinismE0ELb1ES3_N6thrust23THRUST_200600_302600_NS6detail15normal_iteratorINS9_10device_ptrIiEEEESE_SE_iNS9_4plusIvEENS9_8equal_toIiEEiEE10hipError_tPvRmT2_T3_T4_T5_mT6_T7_P12ihipStream_tbENKUlT_T0_E_clISt17integral_constantIbLb1EESY_IbLb0EEEEDaSU_SV_EUlSU_E_NS1_11comp_targetILNS1_3genE0ELNS1_11target_archE4294967295ELNS1_3gpuE0ELNS1_3repE0EEENS1_30default_config_static_selectorELNS0_4arch9wavefront6targetE0EEEvT1_.numbered_sgpr, 0
	.set _ZN7rocprim17ROCPRIM_400000_NS6detail17trampoline_kernelINS0_14default_configENS1_27scan_by_key_config_selectorIiiEEZZNS1_16scan_by_key_implILNS1_25lookback_scan_determinismE0ELb1ES3_N6thrust23THRUST_200600_302600_NS6detail15normal_iteratorINS9_10device_ptrIiEEEESE_SE_iNS9_4plusIvEENS9_8equal_toIiEEiEE10hipError_tPvRmT2_T3_T4_T5_mT6_T7_P12ihipStream_tbENKUlT_T0_E_clISt17integral_constantIbLb1EESY_IbLb0EEEEDaSU_SV_EUlSU_E_NS1_11comp_targetILNS1_3genE0ELNS1_11target_archE4294967295ELNS1_3gpuE0ELNS1_3repE0EEENS1_30default_config_static_selectorELNS0_4arch9wavefront6targetE0EEEvT1_.num_named_barrier, 0
	.set _ZN7rocprim17ROCPRIM_400000_NS6detail17trampoline_kernelINS0_14default_configENS1_27scan_by_key_config_selectorIiiEEZZNS1_16scan_by_key_implILNS1_25lookback_scan_determinismE0ELb1ES3_N6thrust23THRUST_200600_302600_NS6detail15normal_iteratorINS9_10device_ptrIiEEEESE_SE_iNS9_4plusIvEENS9_8equal_toIiEEiEE10hipError_tPvRmT2_T3_T4_T5_mT6_T7_P12ihipStream_tbENKUlT_T0_E_clISt17integral_constantIbLb1EESY_IbLb0EEEEDaSU_SV_EUlSU_E_NS1_11comp_targetILNS1_3genE0ELNS1_11target_archE4294967295ELNS1_3gpuE0ELNS1_3repE0EEENS1_30default_config_static_selectorELNS0_4arch9wavefront6targetE0EEEvT1_.private_seg_size, 0
	.set _ZN7rocprim17ROCPRIM_400000_NS6detail17trampoline_kernelINS0_14default_configENS1_27scan_by_key_config_selectorIiiEEZZNS1_16scan_by_key_implILNS1_25lookback_scan_determinismE0ELb1ES3_N6thrust23THRUST_200600_302600_NS6detail15normal_iteratorINS9_10device_ptrIiEEEESE_SE_iNS9_4plusIvEENS9_8equal_toIiEEiEE10hipError_tPvRmT2_T3_T4_T5_mT6_T7_P12ihipStream_tbENKUlT_T0_E_clISt17integral_constantIbLb1EESY_IbLb0EEEEDaSU_SV_EUlSU_E_NS1_11comp_targetILNS1_3genE0ELNS1_11target_archE4294967295ELNS1_3gpuE0ELNS1_3repE0EEENS1_30default_config_static_selectorELNS0_4arch9wavefront6targetE0EEEvT1_.uses_vcc, 0
	.set _ZN7rocprim17ROCPRIM_400000_NS6detail17trampoline_kernelINS0_14default_configENS1_27scan_by_key_config_selectorIiiEEZZNS1_16scan_by_key_implILNS1_25lookback_scan_determinismE0ELb1ES3_N6thrust23THRUST_200600_302600_NS6detail15normal_iteratorINS9_10device_ptrIiEEEESE_SE_iNS9_4plusIvEENS9_8equal_toIiEEiEE10hipError_tPvRmT2_T3_T4_T5_mT6_T7_P12ihipStream_tbENKUlT_T0_E_clISt17integral_constantIbLb1EESY_IbLb0EEEEDaSU_SV_EUlSU_E_NS1_11comp_targetILNS1_3genE0ELNS1_11target_archE4294967295ELNS1_3gpuE0ELNS1_3repE0EEENS1_30default_config_static_selectorELNS0_4arch9wavefront6targetE0EEEvT1_.uses_flat_scratch, 0
	.set _ZN7rocprim17ROCPRIM_400000_NS6detail17trampoline_kernelINS0_14default_configENS1_27scan_by_key_config_selectorIiiEEZZNS1_16scan_by_key_implILNS1_25lookback_scan_determinismE0ELb1ES3_N6thrust23THRUST_200600_302600_NS6detail15normal_iteratorINS9_10device_ptrIiEEEESE_SE_iNS9_4plusIvEENS9_8equal_toIiEEiEE10hipError_tPvRmT2_T3_T4_T5_mT6_T7_P12ihipStream_tbENKUlT_T0_E_clISt17integral_constantIbLb1EESY_IbLb0EEEEDaSU_SV_EUlSU_E_NS1_11comp_targetILNS1_3genE0ELNS1_11target_archE4294967295ELNS1_3gpuE0ELNS1_3repE0EEENS1_30default_config_static_selectorELNS0_4arch9wavefront6targetE0EEEvT1_.has_dyn_sized_stack, 0
	.set _ZN7rocprim17ROCPRIM_400000_NS6detail17trampoline_kernelINS0_14default_configENS1_27scan_by_key_config_selectorIiiEEZZNS1_16scan_by_key_implILNS1_25lookback_scan_determinismE0ELb1ES3_N6thrust23THRUST_200600_302600_NS6detail15normal_iteratorINS9_10device_ptrIiEEEESE_SE_iNS9_4plusIvEENS9_8equal_toIiEEiEE10hipError_tPvRmT2_T3_T4_T5_mT6_T7_P12ihipStream_tbENKUlT_T0_E_clISt17integral_constantIbLb1EESY_IbLb0EEEEDaSU_SV_EUlSU_E_NS1_11comp_targetILNS1_3genE0ELNS1_11target_archE4294967295ELNS1_3gpuE0ELNS1_3repE0EEENS1_30default_config_static_selectorELNS0_4arch9wavefront6targetE0EEEvT1_.has_recursion, 0
	.set _ZN7rocprim17ROCPRIM_400000_NS6detail17trampoline_kernelINS0_14default_configENS1_27scan_by_key_config_selectorIiiEEZZNS1_16scan_by_key_implILNS1_25lookback_scan_determinismE0ELb1ES3_N6thrust23THRUST_200600_302600_NS6detail15normal_iteratorINS9_10device_ptrIiEEEESE_SE_iNS9_4plusIvEENS9_8equal_toIiEEiEE10hipError_tPvRmT2_T3_T4_T5_mT6_T7_P12ihipStream_tbENKUlT_T0_E_clISt17integral_constantIbLb1EESY_IbLb0EEEEDaSU_SV_EUlSU_E_NS1_11comp_targetILNS1_3genE0ELNS1_11target_archE4294967295ELNS1_3gpuE0ELNS1_3repE0EEENS1_30default_config_static_selectorELNS0_4arch9wavefront6targetE0EEEvT1_.has_indirect_call, 0
	.section	.AMDGPU.csdata,"",@progbits
; Kernel info:
; codeLenInByte = 0
; TotalNumSgprs: 0
; NumVgprs: 0
; ScratchSize: 0
; MemoryBound: 0
; FloatMode: 240
; IeeeMode: 1
; LDSByteSize: 0 bytes/workgroup (compile time only)
; SGPRBlocks: 0
; VGPRBlocks: 0
; NumSGPRsForWavesPerEU: 1
; NumVGPRsForWavesPerEU: 1
; Occupancy: 16
; WaveLimiterHint : 0
; COMPUTE_PGM_RSRC2:SCRATCH_EN: 0
; COMPUTE_PGM_RSRC2:USER_SGPR: 6
; COMPUTE_PGM_RSRC2:TRAP_HANDLER: 0
; COMPUTE_PGM_RSRC2:TGID_X_EN: 1
; COMPUTE_PGM_RSRC2:TGID_Y_EN: 0
; COMPUTE_PGM_RSRC2:TGID_Z_EN: 0
; COMPUTE_PGM_RSRC2:TIDIG_COMP_CNT: 0
	.section	.text._ZN7rocprim17ROCPRIM_400000_NS6detail17trampoline_kernelINS0_14default_configENS1_27scan_by_key_config_selectorIiiEEZZNS1_16scan_by_key_implILNS1_25lookback_scan_determinismE0ELb1ES3_N6thrust23THRUST_200600_302600_NS6detail15normal_iteratorINS9_10device_ptrIiEEEESE_SE_iNS9_4plusIvEENS9_8equal_toIiEEiEE10hipError_tPvRmT2_T3_T4_T5_mT6_T7_P12ihipStream_tbENKUlT_T0_E_clISt17integral_constantIbLb1EESY_IbLb0EEEEDaSU_SV_EUlSU_E_NS1_11comp_targetILNS1_3genE10ELNS1_11target_archE1201ELNS1_3gpuE5ELNS1_3repE0EEENS1_30default_config_static_selectorELNS0_4arch9wavefront6targetE0EEEvT1_,"axG",@progbits,_ZN7rocprim17ROCPRIM_400000_NS6detail17trampoline_kernelINS0_14default_configENS1_27scan_by_key_config_selectorIiiEEZZNS1_16scan_by_key_implILNS1_25lookback_scan_determinismE0ELb1ES3_N6thrust23THRUST_200600_302600_NS6detail15normal_iteratorINS9_10device_ptrIiEEEESE_SE_iNS9_4plusIvEENS9_8equal_toIiEEiEE10hipError_tPvRmT2_T3_T4_T5_mT6_T7_P12ihipStream_tbENKUlT_T0_E_clISt17integral_constantIbLb1EESY_IbLb0EEEEDaSU_SV_EUlSU_E_NS1_11comp_targetILNS1_3genE10ELNS1_11target_archE1201ELNS1_3gpuE5ELNS1_3repE0EEENS1_30default_config_static_selectorELNS0_4arch9wavefront6targetE0EEEvT1_,comdat
	.protected	_ZN7rocprim17ROCPRIM_400000_NS6detail17trampoline_kernelINS0_14default_configENS1_27scan_by_key_config_selectorIiiEEZZNS1_16scan_by_key_implILNS1_25lookback_scan_determinismE0ELb1ES3_N6thrust23THRUST_200600_302600_NS6detail15normal_iteratorINS9_10device_ptrIiEEEESE_SE_iNS9_4plusIvEENS9_8equal_toIiEEiEE10hipError_tPvRmT2_T3_T4_T5_mT6_T7_P12ihipStream_tbENKUlT_T0_E_clISt17integral_constantIbLb1EESY_IbLb0EEEEDaSU_SV_EUlSU_E_NS1_11comp_targetILNS1_3genE10ELNS1_11target_archE1201ELNS1_3gpuE5ELNS1_3repE0EEENS1_30default_config_static_selectorELNS0_4arch9wavefront6targetE0EEEvT1_ ; -- Begin function _ZN7rocprim17ROCPRIM_400000_NS6detail17trampoline_kernelINS0_14default_configENS1_27scan_by_key_config_selectorIiiEEZZNS1_16scan_by_key_implILNS1_25lookback_scan_determinismE0ELb1ES3_N6thrust23THRUST_200600_302600_NS6detail15normal_iteratorINS9_10device_ptrIiEEEESE_SE_iNS9_4plusIvEENS9_8equal_toIiEEiEE10hipError_tPvRmT2_T3_T4_T5_mT6_T7_P12ihipStream_tbENKUlT_T0_E_clISt17integral_constantIbLb1EESY_IbLb0EEEEDaSU_SV_EUlSU_E_NS1_11comp_targetILNS1_3genE10ELNS1_11target_archE1201ELNS1_3gpuE5ELNS1_3repE0EEENS1_30default_config_static_selectorELNS0_4arch9wavefront6targetE0EEEvT1_
	.globl	_ZN7rocprim17ROCPRIM_400000_NS6detail17trampoline_kernelINS0_14default_configENS1_27scan_by_key_config_selectorIiiEEZZNS1_16scan_by_key_implILNS1_25lookback_scan_determinismE0ELb1ES3_N6thrust23THRUST_200600_302600_NS6detail15normal_iteratorINS9_10device_ptrIiEEEESE_SE_iNS9_4plusIvEENS9_8equal_toIiEEiEE10hipError_tPvRmT2_T3_T4_T5_mT6_T7_P12ihipStream_tbENKUlT_T0_E_clISt17integral_constantIbLb1EESY_IbLb0EEEEDaSU_SV_EUlSU_E_NS1_11comp_targetILNS1_3genE10ELNS1_11target_archE1201ELNS1_3gpuE5ELNS1_3repE0EEENS1_30default_config_static_selectorELNS0_4arch9wavefront6targetE0EEEvT1_
	.p2align	8
	.type	_ZN7rocprim17ROCPRIM_400000_NS6detail17trampoline_kernelINS0_14default_configENS1_27scan_by_key_config_selectorIiiEEZZNS1_16scan_by_key_implILNS1_25lookback_scan_determinismE0ELb1ES3_N6thrust23THRUST_200600_302600_NS6detail15normal_iteratorINS9_10device_ptrIiEEEESE_SE_iNS9_4plusIvEENS9_8equal_toIiEEiEE10hipError_tPvRmT2_T3_T4_T5_mT6_T7_P12ihipStream_tbENKUlT_T0_E_clISt17integral_constantIbLb1EESY_IbLb0EEEEDaSU_SV_EUlSU_E_NS1_11comp_targetILNS1_3genE10ELNS1_11target_archE1201ELNS1_3gpuE5ELNS1_3repE0EEENS1_30default_config_static_selectorELNS0_4arch9wavefront6targetE0EEEvT1_,@function
_ZN7rocprim17ROCPRIM_400000_NS6detail17trampoline_kernelINS0_14default_configENS1_27scan_by_key_config_selectorIiiEEZZNS1_16scan_by_key_implILNS1_25lookback_scan_determinismE0ELb1ES3_N6thrust23THRUST_200600_302600_NS6detail15normal_iteratorINS9_10device_ptrIiEEEESE_SE_iNS9_4plusIvEENS9_8equal_toIiEEiEE10hipError_tPvRmT2_T3_T4_T5_mT6_T7_P12ihipStream_tbENKUlT_T0_E_clISt17integral_constantIbLb1EESY_IbLb0EEEEDaSU_SV_EUlSU_E_NS1_11comp_targetILNS1_3genE10ELNS1_11target_archE1201ELNS1_3gpuE5ELNS1_3repE0EEENS1_30default_config_static_selectorELNS0_4arch9wavefront6targetE0EEEvT1_: ; @_ZN7rocprim17ROCPRIM_400000_NS6detail17trampoline_kernelINS0_14default_configENS1_27scan_by_key_config_selectorIiiEEZZNS1_16scan_by_key_implILNS1_25lookback_scan_determinismE0ELb1ES3_N6thrust23THRUST_200600_302600_NS6detail15normal_iteratorINS9_10device_ptrIiEEEESE_SE_iNS9_4plusIvEENS9_8equal_toIiEEiEE10hipError_tPvRmT2_T3_T4_T5_mT6_T7_P12ihipStream_tbENKUlT_T0_E_clISt17integral_constantIbLb1EESY_IbLb0EEEEDaSU_SV_EUlSU_E_NS1_11comp_targetILNS1_3genE10ELNS1_11target_archE1201ELNS1_3gpuE5ELNS1_3repE0EEENS1_30default_config_static_selectorELNS0_4arch9wavefront6targetE0EEEvT1_
; %bb.0:
	.section	.rodata,"a",@progbits
	.p2align	6, 0x0
	.amdhsa_kernel _ZN7rocprim17ROCPRIM_400000_NS6detail17trampoline_kernelINS0_14default_configENS1_27scan_by_key_config_selectorIiiEEZZNS1_16scan_by_key_implILNS1_25lookback_scan_determinismE0ELb1ES3_N6thrust23THRUST_200600_302600_NS6detail15normal_iteratorINS9_10device_ptrIiEEEESE_SE_iNS9_4plusIvEENS9_8equal_toIiEEiEE10hipError_tPvRmT2_T3_T4_T5_mT6_T7_P12ihipStream_tbENKUlT_T0_E_clISt17integral_constantIbLb1EESY_IbLb0EEEEDaSU_SV_EUlSU_E_NS1_11comp_targetILNS1_3genE10ELNS1_11target_archE1201ELNS1_3gpuE5ELNS1_3repE0EEENS1_30default_config_static_selectorELNS0_4arch9wavefront6targetE0EEEvT1_
		.amdhsa_group_segment_fixed_size 0
		.amdhsa_private_segment_fixed_size 0
		.amdhsa_kernarg_size 112
		.amdhsa_user_sgpr_count 6
		.amdhsa_user_sgpr_private_segment_buffer 1
		.amdhsa_user_sgpr_dispatch_ptr 0
		.amdhsa_user_sgpr_queue_ptr 0
		.amdhsa_user_sgpr_kernarg_segment_ptr 1
		.amdhsa_user_sgpr_dispatch_id 0
		.amdhsa_user_sgpr_flat_scratch_init 0
		.amdhsa_user_sgpr_private_segment_size 0
		.amdhsa_wavefront_size32 1
		.amdhsa_uses_dynamic_stack 0
		.amdhsa_system_sgpr_private_segment_wavefront_offset 0
		.amdhsa_system_sgpr_workgroup_id_x 1
		.amdhsa_system_sgpr_workgroup_id_y 0
		.amdhsa_system_sgpr_workgroup_id_z 0
		.amdhsa_system_sgpr_workgroup_info 0
		.amdhsa_system_vgpr_workitem_id 0
		.amdhsa_next_free_vgpr 1
		.amdhsa_next_free_sgpr 1
		.amdhsa_reserve_vcc 0
		.amdhsa_reserve_flat_scratch 0
		.amdhsa_float_round_mode_32 0
		.amdhsa_float_round_mode_16_64 0
		.amdhsa_float_denorm_mode_32 3
		.amdhsa_float_denorm_mode_16_64 3
		.amdhsa_dx10_clamp 1
		.amdhsa_ieee_mode 1
		.amdhsa_fp16_overflow 0
		.amdhsa_workgroup_processor_mode 1
		.amdhsa_memory_ordered 1
		.amdhsa_forward_progress 1
		.amdhsa_shared_vgpr_count 0
		.amdhsa_exception_fp_ieee_invalid_op 0
		.amdhsa_exception_fp_denorm_src 0
		.amdhsa_exception_fp_ieee_div_zero 0
		.amdhsa_exception_fp_ieee_overflow 0
		.amdhsa_exception_fp_ieee_underflow 0
		.amdhsa_exception_fp_ieee_inexact 0
		.amdhsa_exception_int_div_zero 0
	.end_amdhsa_kernel
	.section	.text._ZN7rocprim17ROCPRIM_400000_NS6detail17trampoline_kernelINS0_14default_configENS1_27scan_by_key_config_selectorIiiEEZZNS1_16scan_by_key_implILNS1_25lookback_scan_determinismE0ELb1ES3_N6thrust23THRUST_200600_302600_NS6detail15normal_iteratorINS9_10device_ptrIiEEEESE_SE_iNS9_4plusIvEENS9_8equal_toIiEEiEE10hipError_tPvRmT2_T3_T4_T5_mT6_T7_P12ihipStream_tbENKUlT_T0_E_clISt17integral_constantIbLb1EESY_IbLb0EEEEDaSU_SV_EUlSU_E_NS1_11comp_targetILNS1_3genE10ELNS1_11target_archE1201ELNS1_3gpuE5ELNS1_3repE0EEENS1_30default_config_static_selectorELNS0_4arch9wavefront6targetE0EEEvT1_,"axG",@progbits,_ZN7rocprim17ROCPRIM_400000_NS6detail17trampoline_kernelINS0_14default_configENS1_27scan_by_key_config_selectorIiiEEZZNS1_16scan_by_key_implILNS1_25lookback_scan_determinismE0ELb1ES3_N6thrust23THRUST_200600_302600_NS6detail15normal_iteratorINS9_10device_ptrIiEEEESE_SE_iNS9_4plusIvEENS9_8equal_toIiEEiEE10hipError_tPvRmT2_T3_T4_T5_mT6_T7_P12ihipStream_tbENKUlT_T0_E_clISt17integral_constantIbLb1EESY_IbLb0EEEEDaSU_SV_EUlSU_E_NS1_11comp_targetILNS1_3genE10ELNS1_11target_archE1201ELNS1_3gpuE5ELNS1_3repE0EEENS1_30default_config_static_selectorELNS0_4arch9wavefront6targetE0EEEvT1_,comdat
.Lfunc_end552:
	.size	_ZN7rocprim17ROCPRIM_400000_NS6detail17trampoline_kernelINS0_14default_configENS1_27scan_by_key_config_selectorIiiEEZZNS1_16scan_by_key_implILNS1_25lookback_scan_determinismE0ELb1ES3_N6thrust23THRUST_200600_302600_NS6detail15normal_iteratorINS9_10device_ptrIiEEEESE_SE_iNS9_4plusIvEENS9_8equal_toIiEEiEE10hipError_tPvRmT2_T3_T4_T5_mT6_T7_P12ihipStream_tbENKUlT_T0_E_clISt17integral_constantIbLb1EESY_IbLb0EEEEDaSU_SV_EUlSU_E_NS1_11comp_targetILNS1_3genE10ELNS1_11target_archE1201ELNS1_3gpuE5ELNS1_3repE0EEENS1_30default_config_static_selectorELNS0_4arch9wavefront6targetE0EEEvT1_, .Lfunc_end552-_ZN7rocprim17ROCPRIM_400000_NS6detail17trampoline_kernelINS0_14default_configENS1_27scan_by_key_config_selectorIiiEEZZNS1_16scan_by_key_implILNS1_25lookback_scan_determinismE0ELb1ES3_N6thrust23THRUST_200600_302600_NS6detail15normal_iteratorINS9_10device_ptrIiEEEESE_SE_iNS9_4plusIvEENS9_8equal_toIiEEiEE10hipError_tPvRmT2_T3_T4_T5_mT6_T7_P12ihipStream_tbENKUlT_T0_E_clISt17integral_constantIbLb1EESY_IbLb0EEEEDaSU_SV_EUlSU_E_NS1_11comp_targetILNS1_3genE10ELNS1_11target_archE1201ELNS1_3gpuE5ELNS1_3repE0EEENS1_30default_config_static_selectorELNS0_4arch9wavefront6targetE0EEEvT1_
                                        ; -- End function
	.set _ZN7rocprim17ROCPRIM_400000_NS6detail17trampoline_kernelINS0_14default_configENS1_27scan_by_key_config_selectorIiiEEZZNS1_16scan_by_key_implILNS1_25lookback_scan_determinismE0ELb1ES3_N6thrust23THRUST_200600_302600_NS6detail15normal_iteratorINS9_10device_ptrIiEEEESE_SE_iNS9_4plusIvEENS9_8equal_toIiEEiEE10hipError_tPvRmT2_T3_T4_T5_mT6_T7_P12ihipStream_tbENKUlT_T0_E_clISt17integral_constantIbLb1EESY_IbLb0EEEEDaSU_SV_EUlSU_E_NS1_11comp_targetILNS1_3genE10ELNS1_11target_archE1201ELNS1_3gpuE5ELNS1_3repE0EEENS1_30default_config_static_selectorELNS0_4arch9wavefront6targetE0EEEvT1_.num_vgpr, 0
	.set _ZN7rocprim17ROCPRIM_400000_NS6detail17trampoline_kernelINS0_14default_configENS1_27scan_by_key_config_selectorIiiEEZZNS1_16scan_by_key_implILNS1_25lookback_scan_determinismE0ELb1ES3_N6thrust23THRUST_200600_302600_NS6detail15normal_iteratorINS9_10device_ptrIiEEEESE_SE_iNS9_4plusIvEENS9_8equal_toIiEEiEE10hipError_tPvRmT2_T3_T4_T5_mT6_T7_P12ihipStream_tbENKUlT_T0_E_clISt17integral_constantIbLb1EESY_IbLb0EEEEDaSU_SV_EUlSU_E_NS1_11comp_targetILNS1_3genE10ELNS1_11target_archE1201ELNS1_3gpuE5ELNS1_3repE0EEENS1_30default_config_static_selectorELNS0_4arch9wavefront6targetE0EEEvT1_.num_agpr, 0
	.set _ZN7rocprim17ROCPRIM_400000_NS6detail17trampoline_kernelINS0_14default_configENS1_27scan_by_key_config_selectorIiiEEZZNS1_16scan_by_key_implILNS1_25lookback_scan_determinismE0ELb1ES3_N6thrust23THRUST_200600_302600_NS6detail15normal_iteratorINS9_10device_ptrIiEEEESE_SE_iNS9_4plusIvEENS9_8equal_toIiEEiEE10hipError_tPvRmT2_T3_T4_T5_mT6_T7_P12ihipStream_tbENKUlT_T0_E_clISt17integral_constantIbLb1EESY_IbLb0EEEEDaSU_SV_EUlSU_E_NS1_11comp_targetILNS1_3genE10ELNS1_11target_archE1201ELNS1_3gpuE5ELNS1_3repE0EEENS1_30default_config_static_selectorELNS0_4arch9wavefront6targetE0EEEvT1_.numbered_sgpr, 0
	.set _ZN7rocprim17ROCPRIM_400000_NS6detail17trampoline_kernelINS0_14default_configENS1_27scan_by_key_config_selectorIiiEEZZNS1_16scan_by_key_implILNS1_25lookback_scan_determinismE0ELb1ES3_N6thrust23THRUST_200600_302600_NS6detail15normal_iteratorINS9_10device_ptrIiEEEESE_SE_iNS9_4plusIvEENS9_8equal_toIiEEiEE10hipError_tPvRmT2_T3_T4_T5_mT6_T7_P12ihipStream_tbENKUlT_T0_E_clISt17integral_constantIbLb1EESY_IbLb0EEEEDaSU_SV_EUlSU_E_NS1_11comp_targetILNS1_3genE10ELNS1_11target_archE1201ELNS1_3gpuE5ELNS1_3repE0EEENS1_30default_config_static_selectorELNS0_4arch9wavefront6targetE0EEEvT1_.num_named_barrier, 0
	.set _ZN7rocprim17ROCPRIM_400000_NS6detail17trampoline_kernelINS0_14default_configENS1_27scan_by_key_config_selectorIiiEEZZNS1_16scan_by_key_implILNS1_25lookback_scan_determinismE0ELb1ES3_N6thrust23THRUST_200600_302600_NS6detail15normal_iteratorINS9_10device_ptrIiEEEESE_SE_iNS9_4plusIvEENS9_8equal_toIiEEiEE10hipError_tPvRmT2_T3_T4_T5_mT6_T7_P12ihipStream_tbENKUlT_T0_E_clISt17integral_constantIbLb1EESY_IbLb0EEEEDaSU_SV_EUlSU_E_NS1_11comp_targetILNS1_3genE10ELNS1_11target_archE1201ELNS1_3gpuE5ELNS1_3repE0EEENS1_30default_config_static_selectorELNS0_4arch9wavefront6targetE0EEEvT1_.private_seg_size, 0
	.set _ZN7rocprim17ROCPRIM_400000_NS6detail17trampoline_kernelINS0_14default_configENS1_27scan_by_key_config_selectorIiiEEZZNS1_16scan_by_key_implILNS1_25lookback_scan_determinismE0ELb1ES3_N6thrust23THRUST_200600_302600_NS6detail15normal_iteratorINS9_10device_ptrIiEEEESE_SE_iNS9_4plusIvEENS9_8equal_toIiEEiEE10hipError_tPvRmT2_T3_T4_T5_mT6_T7_P12ihipStream_tbENKUlT_T0_E_clISt17integral_constantIbLb1EESY_IbLb0EEEEDaSU_SV_EUlSU_E_NS1_11comp_targetILNS1_3genE10ELNS1_11target_archE1201ELNS1_3gpuE5ELNS1_3repE0EEENS1_30default_config_static_selectorELNS0_4arch9wavefront6targetE0EEEvT1_.uses_vcc, 0
	.set _ZN7rocprim17ROCPRIM_400000_NS6detail17trampoline_kernelINS0_14default_configENS1_27scan_by_key_config_selectorIiiEEZZNS1_16scan_by_key_implILNS1_25lookback_scan_determinismE0ELb1ES3_N6thrust23THRUST_200600_302600_NS6detail15normal_iteratorINS9_10device_ptrIiEEEESE_SE_iNS9_4plusIvEENS9_8equal_toIiEEiEE10hipError_tPvRmT2_T3_T4_T5_mT6_T7_P12ihipStream_tbENKUlT_T0_E_clISt17integral_constantIbLb1EESY_IbLb0EEEEDaSU_SV_EUlSU_E_NS1_11comp_targetILNS1_3genE10ELNS1_11target_archE1201ELNS1_3gpuE5ELNS1_3repE0EEENS1_30default_config_static_selectorELNS0_4arch9wavefront6targetE0EEEvT1_.uses_flat_scratch, 0
	.set _ZN7rocprim17ROCPRIM_400000_NS6detail17trampoline_kernelINS0_14default_configENS1_27scan_by_key_config_selectorIiiEEZZNS1_16scan_by_key_implILNS1_25lookback_scan_determinismE0ELb1ES3_N6thrust23THRUST_200600_302600_NS6detail15normal_iteratorINS9_10device_ptrIiEEEESE_SE_iNS9_4plusIvEENS9_8equal_toIiEEiEE10hipError_tPvRmT2_T3_T4_T5_mT6_T7_P12ihipStream_tbENKUlT_T0_E_clISt17integral_constantIbLb1EESY_IbLb0EEEEDaSU_SV_EUlSU_E_NS1_11comp_targetILNS1_3genE10ELNS1_11target_archE1201ELNS1_3gpuE5ELNS1_3repE0EEENS1_30default_config_static_selectorELNS0_4arch9wavefront6targetE0EEEvT1_.has_dyn_sized_stack, 0
	.set _ZN7rocprim17ROCPRIM_400000_NS6detail17trampoline_kernelINS0_14default_configENS1_27scan_by_key_config_selectorIiiEEZZNS1_16scan_by_key_implILNS1_25lookback_scan_determinismE0ELb1ES3_N6thrust23THRUST_200600_302600_NS6detail15normal_iteratorINS9_10device_ptrIiEEEESE_SE_iNS9_4plusIvEENS9_8equal_toIiEEiEE10hipError_tPvRmT2_T3_T4_T5_mT6_T7_P12ihipStream_tbENKUlT_T0_E_clISt17integral_constantIbLb1EESY_IbLb0EEEEDaSU_SV_EUlSU_E_NS1_11comp_targetILNS1_3genE10ELNS1_11target_archE1201ELNS1_3gpuE5ELNS1_3repE0EEENS1_30default_config_static_selectorELNS0_4arch9wavefront6targetE0EEEvT1_.has_recursion, 0
	.set _ZN7rocprim17ROCPRIM_400000_NS6detail17trampoline_kernelINS0_14default_configENS1_27scan_by_key_config_selectorIiiEEZZNS1_16scan_by_key_implILNS1_25lookback_scan_determinismE0ELb1ES3_N6thrust23THRUST_200600_302600_NS6detail15normal_iteratorINS9_10device_ptrIiEEEESE_SE_iNS9_4plusIvEENS9_8equal_toIiEEiEE10hipError_tPvRmT2_T3_T4_T5_mT6_T7_P12ihipStream_tbENKUlT_T0_E_clISt17integral_constantIbLb1EESY_IbLb0EEEEDaSU_SV_EUlSU_E_NS1_11comp_targetILNS1_3genE10ELNS1_11target_archE1201ELNS1_3gpuE5ELNS1_3repE0EEENS1_30default_config_static_selectorELNS0_4arch9wavefront6targetE0EEEvT1_.has_indirect_call, 0
	.section	.AMDGPU.csdata,"",@progbits
; Kernel info:
; codeLenInByte = 0
; TotalNumSgprs: 0
; NumVgprs: 0
; ScratchSize: 0
; MemoryBound: 0
; FloatMode: 240
; IeeeMode: 1
; LDSByteSize: 0 bytes/workgroup (compile time only)
; SGPRBlocks: 0
; VGPRBlocks: 0
; NumSGPRsForWavesPerEU: 1
; NumVGPRsForWavesPerEU: 1
; Occupancy: 16
; WaveLimiterHint : 0
; COMPUTE_PGM_RSRC2:SCRATCH_EN: 0
; COMPUTE_PGM_RSRC2:USER_SGPR: 6
; COMPUTE_PGM_RSRC2:TRAP_HANDLER: 0
; COMPUTE_PGM_RSRC2:TGID_X_EN: 1
; COMPUTE_PGM_RSRC2:TGID_Y_EN: 0
; COMPUTE_PGM_RSRC2:TGID_Z_EN: 0
; COMPUTE_PGM_RSRC2:TIDIG_COMP_CNT: 0
	.section	.text._ZN7rocprim17ROCPRIM_400000_NS6detail17trampoline_kernelINS0_14default_configENS1_27scan_by_key_config_selectorIiiEEZZNS1_16scan_by_key_implILNS1_25lookback_scan_determinismE0ELb1ES3_N6thrust23THRUST_200600_302600_NS6detail15normal_iteratorINS9_10device_ptrIiEEEESE_SE_iNS9_4plusIvEENS9_8equal_toIiEEiEE10hipError_tPvRmT2_T3_T4_T5_mT6_T7_P12ihipStream_tbENKUlT_T0_E_clISt17integral_constantIbLb1EESY_IbLb0EEEEDaSU_SV_EUlSU_E_NS1_11comp_targetILNS1_3genE5ELNS1_11target_archE942ELNS1_3gpuE9ELNS1_3repE0EEENS1_30default_config_static_selectorELNS0_4arch9wavefront6targetE0EEEvT1_,"axG",@progbits,_ZN7rocprim17ROCPRIM_400000_NS6detail17trampoline_kernelINS0_14default_configENS1_27scan_by_key_config_selectorIiiEEZZNS1_16scan_by_key_implILNS1_25lookback_scan_determinismE0ELb1ES3_N6thrust23THRUST_200600_302600_NS6detail15normal_iteratorINS9_10device_ptrIiEEEESE_SE_iNS9_4plusIvEENS9_8equal_toIiEEiEE10hipError_tPvRmT2_T3_T4_T5_mT6_T7_P12ihipStream_tbENKUlT_T0_E_clISt17integral_constantIbLb1EESY_IbLb0EEEEDaSU_SV_EUlSU_E_NS1_11comp_targetILNS1_3genE5ELNS1_11target_archE942ELNS1_3gpuE9ELNS1_3repE0EEENS1_30default_config_static_selectorELNS0_4arch9wavefront6targetE0EEEvT1_,comdat
	.protected	_ZN7rocprim17ROCPRIM_400000_NS6detail17trampoline_kernelINS0_14default_configENS1_27scan_by_key_config_selectorIiiEEZZNS1_16scan_by_key_implILNS1_25lookback_scan_determinismE0ELb1ES3_N6thrust23THRUST_200600_302600_NS6detail15normal_iteratorINS9_10device_ptrIiEEEESE_SE_iNS9_4plusIvEENS9_8equal_toIiEEiEE10hipError_tPvRmT2_T3_T4_T5_mT6_T7_P12ihipStream_tbENKUlT_T0_E_clISt17integral_constantIbLb1EESY_IbLb0EEEEDaSU_SV_EUlSU_E_NS1_11comp_targetILNS1_3genE5ELNS1_11target_archE942ELNS1_3gpuE9ELNS1_3repE0EEENS1_30default_config_static_selectorELNS0_4arch9wavefront6targetE0EEEvT1_ ; -- Begin function _ZN7rocprim17ROCPRIM_400000_NS6detail17trampoline_kernelINS0_14default_configENS1_27scan_by_key_config_selectorIiiEEZZNS1_16scan_by_key_implILNS1_25lookback_scan_determinismE0ELb1ES3_N6thrust23THRUST_200600_302600_NS6detail15normal_iteratorINS9_10device_ptrIiEEEESE_SE_iNS9_4plusIvEENS9_8equal_toIiEEiEE10hipError_tPvRmT2_T3_T4_T5_mT6_T7_P12ihipStream_tbENKUlT_T0_E_clISt17integral_constantIbLb1EESY_IbLb0EEEEDaSU_SV_EUlSU_E_NS1_11comp_targetILNS1_3genE5ELNS1_11target_archE942ELNS1_3gpuE9ELNS1_3repE0EEENS1_30default_config_static_selectorELNS0_4arch9wavefront6targetE0EEEvT1_
	.globl	_ZN7rocprim17ROCPRIM_400000_NS6detail17trampoline_kernelINS0_14default_configENS1_27scan_by_key_config_selectorIiiEEZZNS1_16scan_by_key_implILNS1_25lookback_scan_determinismE0ELb1ES3_N6thrust23THRUST_200600_302600_NS6detail15normal_iteratorINS9_10device_ptrIiEEEESE_SE_iNS9_4plusIvEENS9_8equal_toIiEEiEE10hipError_tPvRmT2_T3_T4_T5_mT6_T7_P12ihipStream_tbENKUlT_T0_E_clISt17integral_constantIbLb1EESY_IbLb0EEEEDaSU_SV_EUlSU_E_NS1_11comp_targetILNS1_3genE5ELNS1_11target_archE942ELNS1_3gpuE9ELNS1_3repE0EEENS1_30default_config_static_selectorELNS0_4arch9wavefront6targetE0EEEvT1_
	.p2align	8
	.type	_ZN7rocprim17ROCPRIM_400000_NS6detail17trampoline_kernelINS0_14default_configENS1_27scan_by_key_config_selectorIiiEEZZNS1_16scan_by_key_implILNS1_25lookback_scan_determinismE0ELb1ES3_N6thrust23THRUST_200600_302600_NS6detail15normal_iteratorINS9_10device_ptrIiEEEESE_SE_iNS9_4plusIvEENS9_8equal_toIiEEiEE10hipError_tPvRmT2_T3_T4_T5_mT6_T7_P12ihipStream_tbENKUlT_T0_E_clISt17integral_constantIbLb1EESY_IbLb0EEEEDaSU_SV_EUlSU_E_NS1_11comp_targetILNS1_3genE5ELNS1_11target_archE942ELNS1_3gpuE9ELNS1_3repE0EEENS1_30default_config_static_selectorELNS0_4arch9wavefront6targetE0EEEvT1_,@function
_ZN7rocprim17ROCPRIM_400000_NS6detail17trampoline_kernelINS0_14default_configENS1_27scan_by_key_config_selectorIiiEEZZNS1_16scan_by_key_implILNS1_25lookback_scan_determinismE0ELb1ES3_N6thrust23THRUST_200600_302600_NS6detail15normal_iteratorINS9_10device_ptrIiEEEESE_SE_iNS9_4plusIvEENS9_8equal_toIiEEiEE10hipError_tPvRmT2_T3_T4_T5_mT6_T7_P12ihipStream_tbENKUlT_T0_E_clISt17integral_constantIbLb1EESY_IbLb0EEEEDaSU_SV_EUlSU_E_NS1_11comp_targetILNS1_3genE5ELNS1_11target_archE942ELNS1_3gpuE9ELNS1_3repE0EEENS1_30default_config_static_selectorELNS0_4arch9wavefront6targetE0EEEvT1_: ; @_ZN7rocprim17ROCPRIM_400000_NS6detail17trampoline_kernelINS0_14default_configENS1_27scan_by_key_config_selectorIiiEEZZNS1_16scan_by_key_implILNS1_25lookback_scan_determinismE0ELb1ES3_N6thrust23THRUST_200600_302600_NS6detail15normal_iteratorINS9_10device_ptrIiEEEESE_SE_iNS9_4plusIvEENS9_8equal_toIiEEiEE10hipError_tPvRmT2_T3_T4_T5_mT6_T7_P12ihipStream_tbENKUlT_T0_E_clISt17integral_constantIbLb1EESY_IbLb0EEEEDaSU_SV_EUlSU_E_NS1_11comp_targetILNS1_3genE5ELNS1_11target_archE942ELNS1_3gpuE9ELNS1_3repE0EEENS1_30default_config_static_selectorELNS0_4arch9wavefront6targetE0EEEvT1_
; %bb.0:
	.section	.rodata,"a",@progbits
	.p2align	6, 0x0
	.amdhsa_kernel _ZN7rocprim17ROCPRIM_400000_NS6detail17trampoline_kernelINS0_14default_configENS1_27scan_by_key_config_selectorIiiEEZZNS1_16scan_by_key_implILNS1_25lookback_scan_determinismE0ELb1ES3_N6thrust23THRUST_200600_302600_NS6detail15normal_iteratorINS9_10device_ptrIiEEEESE_SE_iNS9_4plusIvEENS9_8equal_toIiEEiEE10hipError_tPvRmT2_T3_T4_T5_mT6_T7_P12ihipStream_tbENKUlT_T0_E_clISt17integral_constantIbLb1EESY_IbLb0EEEEDaSU_SV_EUlSU_E_NS1_11comp_targetILNS1_3genE5ELNS1_11target_archE942ELNS1_3gpuE9ELNS1_3repE0EEENS1_30default_config_static_selectorELNS0_4arch9wavefront6targetE0EEEvT1_
		.amdhsa_group_segment_fixed_size 0
		.amdhsa_private_segment_fixed_size 0
		.amdhsa_kernarg_size 112
		.amdhsa_user_sgpr_count 6
		.amdhsa_user_sgpr_private_segment_buffer 1
		.amdhsa_user_sgpr_dispatch_ptr 0
		.amdhsa_user_sgpr_queue_ptr 0
		.amdhsa_user_sgpr_kernarg_segment_ptr 1
		.amdhsa_user_sgpr_dispatch_id 0
		.amdhsa_user_sgpr_flat_scratch_init 0
		.amdhsa_user_sgpr_private_segment_size 0
		.amdhsa_wavefront_size32 1
		.amdhsa_uses_dynamic_stack 0
		.amdhsa_system_sgpr_private_segment_wavefront_offset 0
		.amdhsa_system_sgpr_workgroup_id_x 1
		.amdhsa_system_sgpr_workgroup_id_y 0
		.amdhsa_system_sgpr_workgroup_id_z 0
		.amdhsa_system_sgpr_workgroup_info 0
		.amdhsa_system_vgpr_workitem_id 0
		.amdhsa_next_free_vgpr 1
		.amdhsa_next_free_sgpr 1
		.amdhsa_reserve_vcc 0
		.amdhsa_reserve_flat_scratch 0
		.amdhsa_float_round_mode_32 0
		.amdhsa_float_round_mode_16_64 0
		.amdhsa_float_denorm_mode_32 3
		.amdhsa_float_denorm_mode_16_64 3
		.amdhsa_dx10_clamp 1
		.amdhsa_ieee_mode 1
		.amdhsa_fp16_overflow 0
		.amdhsa_workgroup_processor_mode 1
		.amdhsa_memory_ordered 1
		.amdhsa_forward_progress 1
		.amdhsa_shared_vgpr_count 0
		.amdhsa_exception_fp_ieee_invalid_op 0
		.amdhsa_exception_fp_denorm_src 0
		.amdhsa_exception_fp_ieee_div_zero 0
		.amdhsa_exception_fp_ieee_overflow 0
		.amdhsa_exception_fp_ieee_underflow 0
		.amdhsa_exception_fp_ieee_inexact 0
		.amdhsa_exception_int_div_zero 0
	.end_amdhsa_kernel
	.section	.text._ZN7rocprim17ROCPRIM_400000_NS6detail17trampoline_kernelINS0_14default_configENS1_27scan_by_key_config_selectorIiiEEZZNS1_16scan_by_key_implILNS1_25lookback_scan_determinismE0ELb1ES3_N6thrust23THRUST_200600_302600_NS6detail15normal_iteratorINS9_10device_ptrIiEEEESE_SE_iNS9_4plusIvEENS9_8equal_toIiEEiEE10hipError_tPvRmT2_T3_T4_T5_mT6_T7_P12ihipStream_tbENKUlT_T0_E_clISt17integral_constantIbLb1EESY_IbLb0EEEEDaSU_SV_EUlSU_E_NS1_11comp_targetILNS1_3genE5ELNS1_11target_archE942ELNS1_3gpuE9ELNS1_3repE0EEENS1_30default_config_static_selectorELNS0_4arch9wavefront6targetE0EEEvT1_,"axG",@progbits,_ZN7rocprim17ROCPRIM_400000_NS6detail17trampoline_kernelINS0_14default_configENS1_27scan_by_key_config_selectorIiiEEZZNS1_16scan_by_key_implILNS1_25lookback_scan_determinismE0ELb1ES3_N6thrust23THRUST_200600_302600_NS6detail15normal_iteratorINS9_10device_ptrIiEEEESE_SE_iNS9_4plusIvEENS9_8equal_toIiEEiEE10hipError_tPvRmT2_T3_T4_T5_mT6_T7_P12ihipStream_tbENKUlT_T0_E_clISt17integral_constantIbLb1EESY_IbLb0EEEEDaSU_SV_EUlSU_E_NS1_11comp_targetILNS1_3genE5ELNS1_11target_archE942ELNS1_3gpuE9ELNS1_3repE0EEENS1_30default_config_static_selectorELNS0_4arch9wavefront6targetE0EEEvT1_,comdat
.Lfunc_end553:
	.size	_ZN7rocprim17ROCPRIM_400000_NS6detail17trampoline_kernelINS0_14default_configENS1_27scan_by_key_config_selectorIiiEEZZNS1_16scan_by_key_implILNS1_25lookback_scan_determinismE0ELb1ES3_N6thrust23THRUST_200600_302600_NS6detail15normal_iteratorINS9_10device_ptrIiEEEESE_SE_iNS9_4plusIvEENS9_8equal_toIiEEiEE10hipError_tPvRmT2_T3_T4_T5_mT6_T7_P12ihipStream_tbENKUlT_T0_E_clISt17integral_constantIbLb1EESY_IbLb0EEEEDaSU_SV_EUlSU_E_NS1_11comp_targetILNS1_3genE5ELNS1_11target_archE942ELNS1_3gpuE9ELNS1_3repE0EEENS1_30default_config_static_selectorELNS0_4arch9wavefront6targetE0EEEvT1_, .Lfunc_end553-_ZN7rocprim17ROCPRIM_400000_NS6detail17trampoline_kernelINS0_14default_configENS1_27scan_by_key_config_selectorIiiEEZZNS1_16scan_by_key_implILNS1_25lookback_scan_determinismE0ELb1ES3_N6thrust23THRUST_200600_302600_NS6detail15normal_iteratorINS9_10device_ptrIiEEEESE_SE_iNS9_4plusIvEENS9_8equal_toIiEEiEE10hipError_tPvRmT2_T3_T4_T5_mT6_T7_P12ihipStream_tbENKUlT_T0_E_clISt17integral_constantIbLb1EESY_IbLb0EEEEDaSU_SV_EUlSU_E_NS1_11comp_targetILNS1_3genE5ELNS1_11target_archE942ELNS1_3gpuE9ELNS1_3repE0EEENS1_30default_config_static_selectorELNS0_4arch9wavefront6targetE0EEEvT1_
                                        ; -- End function
	.set _ZN7rocprim17ROCPRIM_400000_NS6detail17trampoline_kernelINS0_14default_configENS1_27scan_by_key_config_selectorIiiEEZZNS1_16scan_by_key_implILNS1_25lookback_scan_determinismE0ELb1ES3_N6thrust23THRUST_200600_302600_NS6detail15normal_iteratorINS9_10device_ptrIiEEEESE_SE_iNS9_4plusIvEENS9_8equal_toIiEEiEE10hipError_tPvRmT2_T3_T4_T5_mT6_T7_P12ihipStream_tbENKUlT_T0_E_clISt17integral_constantIbLb1EESY_IbLb0EEEEDaSU_SV_EUlSU_E_NS1_11comp_targetILNS1_3genE5ELNS1_11target_archE942ELNS1_3gpuE9ELNS1_3repE0EEENS1_30default_config_static_selectorELNS0_4arch9wavefront6targetE0EEEvT1_.num_vgpr, 0
	.set _ZN7rocprim17ROCPRIM_400000_NS6detail17trampoline_kernelINS0_14default_configENS1_27scan_by_key_config_selectorIiiEEZZNS1_16scan_by_key_implILNS1_25lookback_scan_determinismE0ELb1ES3_N6thrust23THRUST_200600_302600_NS6detail15normal_iteratorINS9_10device_ptrIiEEEESE_SE_iNS9_4plusIvEENS9_8equal_toIiEEiEE10hipError_tPvRmT2_T3_T4_T5_mT6_T7_P12ihipStream_tbENKUlT_T0_E_clISt17integral_constantIbLb1EESY_IbLb0EEEEDaSU_SV_EUlSU_E_NS1_11comp_targetILNS1_3genE5ELNS1_11target_archE942ELNS1_3gpuE9ELNS1_3repE0EEENS1_30default_config_static_selectorELNS0_4arch9wavefront6targetE0EEEvT1_.num_agpr, 0
	.set _ZN7rocprim17ROCPRIM_400000_NS6detail17trampoline_kernelINS0_14default_configENS1_27scan_by_key_config_selectorIiiEEZZNS1_16scan_by_key_implILNS1_25lookback_scan_determinismE0ELb1ES3_N6thrust23THRUST_200600_302600_NS6detail15normal_iteratorINS9_10device_ptrIiEEEESE_SE_iNS9_4plusIvEENS9_8equal_toIiEEiEE10hipError_tPvRmT2_T3_T4_T5_mT6_T7_P12ihipStream_tbENKUlT_T0_E_clISt17integral_constantIbLb1EESY_IbLb0EEEEDaSU_SV_EUlSU_E_NS1_11comp_targetILNS1_3genE5ELNS1_11target_archE942ELNS1_3gpuE9ELNS1_3repE0EEENS1_30default_config_static_selectorELNS0_4arch9wavefront6targetE0EEEvT1_.numbered_sgpr, 0
	.set _ZN7rocprim17ROCPRIM_400000_NS6detail17trampoline_kernelINS0_14default_configENS1_27scan_by_key_config_selectorIiiEEZZNS1_16scan_by_key_implILNS1_25lookback_scan_determinismE0ELb1ES3_N6thrust23THRUST_200600_302600_NS6detail15normal_iteratorINS9_10device_ptrIiEEEESE_SE_iNS9_4plusIvEENS9_8equal_toIiEEiEE10hipError_tPvRmT2_T3_T4_T5_mT6_T7_P12ihipStream_tbENKUlT_T0_E_clISt17integral_constantIbLb1EESY_IbLb0EEEEDaSU_SV_EUlSU_E_NS1_11comp_targetILNS1_3genE5ELNS1_11target_archE942ELNS1_3gpuE9ELNS1_3repE0EEENS1_30default_config_static_selectorELNS0_4arch9wavefront6targetE0EEEvT1_.num_named_barrier, 0
	.set _ZN7rocprim17ROCPRIM_400000_NS6detail17trampoline_kernelINS0_14default_configENS1_27scan_by_key_config_selectorIiiEEZZNS1_16scan_by_key_implILNS1_25lookback_scan_determinismE0ELb1ES3_N6thrust23THRUST_200600_302600_NS6detail15normal_iteratorINS9_10device_ptrIiEEEESE_SE_iNS9_4plusIvEENS9_8equal_toIiEEiEE10hipError_tPvRmT2_T3_T4_T5_mT6_T7_P12ihipStream_tbENKUlT_T0_E_clISt17integral_constantIbLb1EESY_IbLb0EEEEDaSU_SV_EUlSU_E_NS1_11comp_targetILNS1_3genE5ELNS1_11target_archE942ELNS1_3gpuE9ELNS1_3repE0EEENS1_30default_config_static_selectorELNS0_4arch9wavefront6targetE0EEEvT1_.private_seg_size, 0
	.set _ZN7rocprim17ROCPRIM_400000_NS6detail17trampoline_kernelINS0_14default_configENS1_27scan_by_key_config_selectorIiiEEZZNS1_16scan_by_key_implILNS1_25lookback_scan_determinismE0ELb1ES3_N6thrust23THRUST_200600_302600_NS6detail15normal_iteratorINS9_10device_ptrIiEEEESE_SE_iNS9_4plusIvEENS9_8equal_toIiEEiEE10hipError_tPvRmT2_T3_T4_T5_mT6_T7_P12ihipStream_tbENKUlT_T0_E_clISt17integral_constantIbLb1EESY_IbLb0EEEEDaSU_SV_EUlSU_E_NS1_11comp_targetILNS1_3genE5ELNS1_11target_archE942ELNS1_3gpuE9ELNS1_3repE0EEENS1_30default_config_static_selectorELNS0_4arch9wavefront6targetE0EEEvT1_.uses_vcc, 0
	.set _ZN7rocprim17ROCPRIM_400000_NS6detail17trampoline_kernelINS0_14default_configENS1_27scan_by_key_config_selectorIiiEEZZNS1_16scan_by_key_implILNS1_25lookback_scan_determinismE0ELb1ES3_N6thrust23THRUST_200600_302600_NS6detail15normal_iteratorINS9_10device_ptrIiEEEESE_SE_iNS9_4plusIvEENS9_8equal_toIiEEiEE10hipError_tPvRmT2_T3_T4_T5_mT6_T7_P12ihipStream_tbENKUlT_T0_E_clISt17integral_constantIbLb1EESY_IbLb0EEEEDaSU_SV_EUlSU_E_NS1_11comp_targetILNS1_3genE5ELNS1_11target_archE942ELNS1_3gpuE9ELNS1_3repE0EEENS1_30default_config_static_selectorELNS0_4arch9wavefront6targetE0EEEvT1_.uses_flat_scratch, 0
	.set _ZN7rocprim17ROCPRIM_400000_NS6detail17trampoline_kernelINS0_14default_configENS1_27scan_by_key_config_selectorIiiEEZZNS1_16scan_by_key_implILNS1_25lookback_scan_determinismE0ELb1ES3_N6thrust23THRUST_200600_302600_NS6detail15normal_iteratorINS9_10device_ptrIiEEEESE_SE_iNS9_4plusIvEENS9_8equal_toIiEEiEE10hipError_tPvRmT2_T3_T4_T5_mT6_T7_P12ihipStream_tbENKUlT_T0_E_clISt17integral_constantIbLb1EESY_IbLb0EEEEDaSU_SV_EUlSU_E_NS1_11comp_targetILNS1_3genE5ELNS1_11target_archE942ELNS1_3gpuE9ELNS1_3repE0EEENS1_30default_config_static_selectorELNS0_4arch9wavefront6targetE0EEEvT1_.has_dyn_sized_stack, 0
	.set _ZN7rocprim17ROCPRIM_400000_NS6detail17trampoline_kernelINS0_14default_configENS1_27scan_by_key_config_selectorIiiEEZZNS1_16scan_by_key_implILNS1_25lookback_scan_determinismE0ELb1ES3_N6thrust23THRUST_200600_302600_NS6detail15normal_iteratorINS9_10device_ptrIiEEEESE_SE_iNS9_4plusIvEENS9_8equal_toIiEEiEE10hipError_tPvRmT2_T3_T4_T5_mT6_T7_P12ihipStream_tbENKUlT_T0_E_clISt17integral_constantIbLb1EESY_IbLb0EEEEDaSU_SV_EUlSU_E_NS1_11comp_targetILNS1_3genE5ELNS1_11target_archE942ELNS1_3gpuE9ELNS1_3repE0EEENS1_30default_config_static_selectorELNS0_4arch9wavefront6targetE0EEEvT1_.has_recursion, 0
	.set _ZN7rocprim17ROCPRIM_400000_NS6detail17trampoline_kernelINS0_14default_configENS1_27scan_by_key_config_selectorIiiEEZZNS1_16scan_by_key_implILNS1_25lookback_scan_determinismE0ELb1ES3_N6thrust23THRUST_200600_302600_NS6detail15normal_iteratorINS9_10device_ptrIiEEEESE_SE_iNS9_4plusIvEENS9_8equal_toIiEEiEE10hipError_tPvRmT2_T3_T4_T5_mT6_T7_P12ihipStream_tbENKUlT_T0_E_clISt17integral_constantIbLb1EESY_IbLb0EEEEDaSU_SV_EUlSU_E_NS1_11comp_targetILNS1_3genE5ELNS1_11target_archE942ELNS1_3gpuE9ELNS1_3repE0EEENS1_30default_config_static_selectorELNS0_4arch9wavefront6targetE0EEEvT1_.has_indirect_call, 0
	.section	.AMDGPU.csdata,"",@progbits
; Kernel info:
; codeLenInByte = 0
; TotalNumSgprs: 0
; NumVgprs: 0
; ScratchSize: 0
; MemoryBound: 0
; FloatMode: 240
; IeeeMode: 1
; LDSByteSize: 0 bytes/workgroup (compile time only)
; SGPRBlocks: 0
; VGPRBlocks: 0
; NumSGPRsForWavesPerEU: 1
; NumVGPRsForWavesPerEU: 1
; Occupancy: 16
; WaveLimiterHint : 0
; COMPUTE_PGM_RSRC2:SCRATCH_EN: 0
; COMPUTE_PGM_RSRC2:USER_SGPR: 6
; COMPUTE_PGM_RSRC2:TRAP_HANDLER: 0
; COMPUTE_PGM_RSRC2:TGID_X_EN: 1
; COMPUTE_PGM_RSRC2:TGID_Y_EN: 0
; COMPUTE_PGM_RSRC2:TGID_Z_EN: 0
; COMPUTE_PGM_RSRC2:TIDIG_COMP_CNT: 0
	.section	.text._ZN7rocprim17ROCPRIM_400000_NS6detail17trampoline_kernelINS0_14default_configENS1_27scan_by_key_config_selectorIiiEEZZNS1_16scan_by_key_implILNS1_25lookback_scan_determinismE0ELb1ES3_N6thrust23THRUST_200600_302600_NS6detail15normal_iteratorINS9_10device_ptrIiEEEESE_SE_iNS9_4plusIvEENS9_8equal_toIiEEiEE10hipError_tPvRmT2_T3_T4_T5_mT6_T7_P12ihipStream_tbENKUlT_T0_E_clISt17integral_constantIbLb1EESY_IbLb0EEEEDaSU_SV_EUlSU_E_NS1_11comp_targetILNS1_3genE4ELNS1_11target_archE910ELNS1_3gpuE8ELNS1_3repE0EEENS1_30default_config_static_selectorELNS0_4arch9wavefront6targetE0EEEvT1_,"axG",@progbits,_ZN7rocprim17ROCPRIM_400000_NS6detail17trampoline_kernelINS0_14default_configENS1_27scan_by_key_config_selectorIiiEEZZNS1_16scan_by_key_implILNS1_25lookback_scan_determinismE0ELb1ES3_N6thrust23THRUST_200600_302600_NS6detail15normal_iteratorINS9_10device_ptrIiEEEESE_SE_iNS9_4plusIvEENS9_8equal_toIiEEiEE10hipError_tPvRmT2_T3_T4_T5_mT6_T7_P12ihipStream_tbENKUlT_T0_E_clISt17integral_constantIbLb1EESY_IbLb0EEEEDaSU_SV_EUlSU_E_NS1_11comp_targetILNS1_3genE4ELNS1_11target_archE910ELNS1_3gpuE8ELNS1_3repE0EEENS1_30default_config_static_selectorELNS0_4arch9wavefront6targetE0EEEvT1_,comdat
	.protected	_ZN7rocprim17ROCPRIM_400000_NS6detail17trampoline_kernelINS0_14default_configENS1_27scan_by_key_config_selectorIiiEEZZNS1_16scan_by_key_implILNS1_25lookback_scan_determinismE0ELb1ES3_N6thrust23THRUST_200600_302600_NS6detail15normal_iteratorINS9_10device_ptrIiEEEESE_SE_iNS9_4plusIvEENS9_8equal_toIiEEiEE10hipError_tPvRmT2_T3_T4_T5_mT6_T7_P12ihipStream_tbENKUlT_T0_E_clISt17integral_constantIbLb1EESY_IbLb0EEEEDaSU_SV_EUlSU_E_NS1_11comp_targetILNS1_3genE4ELNS1_11target_archE910ELNS1_3gpuE8ELNS1_3repE0EEENS1_30default_config_static_selectorELNS0_4arch9wavefront6targetE0EEEvT1_ ; -- Begin function _ZN7rocprim17ROCPRIM_400000_NS6detail17trampoline_kernelINS0_14default_configENS1_27scan_by_key_config_selectorIiiEEZZNS1_16scan_by_key_implILNS1_25lookback_scan_determinismE0ELb1ES3_N6thrust23THRUST_200600_302600_NS6detail15normal_iteratorINS9_10device_ptrIiEEEESE_SE_iNS9_4plusIvEENS9_8equal_toIiEEiEE10hipError_tPvRmT2_T3_T4_T5_mT6_T7_P12ihipStream_tbENKUlT_T0_E_clISt17integral_constantIbLb1EESY_IbLb0EEEEDaSU_SV_EUlSU_E_NS1_11comp_targetILNS1_3genE4ELNS1_11target_archE910ELNS1_3gpuE8ELNS1_3repE0EEENS1_30default_config_static_selectorELNS0_4arch9wavefront6targetE0EEEvT1_
	.globl	_ZN7rocprim17ROCPRIM_400000_NS6detail17trampoline_kernelINS0_14default_configENS1_27scan_by_key_config_selectorIiiEEZZNS1_16scan_by_key_implILNS1_25lookback_scan_determinismE0ELb1ES3_N6thrust23THRUST_200600_302600_NS6detail15normal_iteratorINS9_10device_ptrIiEEEESE_SE_iNS9_4plusIvEENS9_8equal_toIiEEiEE10hipError_tPvRmT2_T3_T4_T5_mT6_T7_P12ihipStream_tbENKUlT_T0_E_clISt17integral_constantIbLb1EESY_IbLb0EEEEDaSU_SV_EUlSU_E_NS1_11comp_targetILNS1_3genE4ELNS1_11target_archE910ELNS1_3gpuE8ELNS1_3repE0EEENS1_30default_config_static_selectorELNS0_4arch9wavefront6targetE0EEEvT1_
	.p2align	8
	.type	_ZN7rocprim17ROCPRIM_400000_NS6detail17trampoline_kernelINS0_14default_configENS1_27scan_by_key_config_selectorIiiEEZZNS1_16scan_by_key_implILNS1_25lookback_scan_determinismE0ELb1ES3_N6thrust23THRUST_200600_302600_NS6detail15normal_iteratorINS9_10device_ptrIiEEEESE_SE_iNS9_4plusIvEENS9_8equal_toIiEEiEE10hipError_tPvRmT2_T3_T4_T5_mT6_T7_P12ihipStream_tbENKUlT_T0_E_clISt17integral_constantIbLb1EESY_IbLb0EEEEDaSU_SV_EUlSU_E_NS1_11comp_targetILNS1_3genE4ELNS1_11target_archE910ELNS1_3gpuE8ELNS1_3repE0EEENS1_30default_config_static_selectorELNS0_4arch9wavefront6targetE0EEEvT1_,@function
_ZN7rocprim17ROCPRIM_400000_NS6detail17trampoline_kernelINS0_14default_configENS1_27scan_by_key_config_selectorIiiEEZZNS1_16scan_by_key_implILNS1_25lookback_scan_determinismE0ELb1ES3_N6thrust23THRUST_200600_302600_NS6detail15normal_iteratorINS9_10device_ptrIiEEEESE_SE_iNS9_4plusIvEENS9_8equal_toIiEEiEE10hipError_tPvRmT2_T3_T4_T5_mT6_T7_P12ihipStream_tbENKUlT_T0_E_clISt17integral_constantIbLb1EESY_IbLb0EEEEDaSU_SV_EUlSU_E_NS1_11comp_targetILNS1_3genE4ELNS1_11target_archE910ELNS1_3gpuE8ELNS1_3repE0EEENS1_30default_config_static_selectorELNS0_4arch9wavefront6targetE0EEEvT1_: ; @_ZN7rocprim17ROCPRIM_400000_NS6detail17trampoline_kernelINS0_14default_configENS1_27scan_by_key_config_selectorIiiEEZZNS1_16scan_by_key_implILNS1_25lookback_scan_determinismE0ELb1ES3_N6thrust23THRUST_200600_302600_NS6detail15normal_iteratorINS9_10device_ptrIiEEEESE_SE_iNS9_4plusIvEENS9_8equal_toIiEEiEE10hipError_tPvRmT2_T3_T4_T5_mT6_T7_P12ihipStream_tbENKUlT_T0_E_clISt17integral_constantIbLb1EESY_IbLb0EEEEDaSU_SV_EUlSU_E_NS1_11comp_targetILNS1_3genE4ELNS1_11target_archE910ELNS1_3gpuE8ELNS1_3repE0EEENS1_30default_config_static_selectorELNS0_4arch9wavefront6targetE0EEEvT1_
; %bb.0:
	.section	.rodata,"a",@progbits
	.p2align	6, 0x0
	.amdhsa_kernel _ZN7rocprim17ROCPRIM_400000_NS6detail17trampoline_kernelINS0_14default_configENS1_27scan_by_key_config_selectorIiiEEZZNS1_16scan_by_key_implILNS1_25lookback_scan_determinismE0ELb1ES3_N6thrust23THRUST_200600_302600_NS6detail15normal_iteratorINS9_10device_ptrIiEEEESE_SE_iNS9_4plusIvEENS9_8equal_toIiEEiEE10hipError_tPvRmT2_T3_T4_T5_mT6_T7_P12ihipStream_tbENKUlT_T0_E_clISt17integral_constantIbLb1EESY_IbLb0EEEEDaSU_SV_EUlSU_E_NS1_11comp_targetILNS1_3genE4ELNS1_11target_archE910ELNS1_3gpuE8ELNS1_3repE0EEENS1_30default_config_static_selectorELNS0_4arch9wavefront6targetE0EEEvT1_
		.amdhsa_group_segment_fixed_size 0
		.amdhsa_private_segment_fixed_size 0
		.amdhsa_kernarg_size 112
		.amdhsa_user_sgpr_count 6
		.amdhsa_user_sgpr_private_segment_buffer 1
		.amdhsa_user_sgpr_dispatch_ptr 0
		.amdhsa_user_sgpr_queue_ptr 0
		.amdhsa_user_sgpr_kernarg_segment_ptr 1
		.amdhsa_user_sgpr_dispatch_id 0
		.amdhsa_user_sgpr_flat_scratch_init 0
		.amdhsa_user_sgpr_private_segment_size 0
		.amdhsa_wavefront_size32 1
		.amdhsa_uses_dynamic_stack 0
		.amdhsa_system_sgpr_private_segment_wavefront_offset 0
		.amdhsa_system_sgpr_workgroup_id_x 1
		.amdhsa_system_sgpr_workgroup_id_y 0
		.amdhsa_system_sgpr_workgroup_id_z 0
		.amdhsa_system_sgpr_workgroup_info 0
		.amdhsa_system_vgpr_workitem_id 0
		.amdhsa_next_free_vgpr 1
		.amdhsa_next_free_sgpr 1
		.amdhsa_reserve_vcc 0
		.amdhsa_reserve_flat_scratch 0
		.amdhsa_float_round_mode_32 0
		.amdhsa_float_round_mode_16_64 0
		.amdhsa_float_denorm_mode_32 3
		.amdhsa_float_denorm_mode_16_64 3
		.amdhsa_dx10_clamp 1
		.amdhsa_ieee_mode 1
		.amdhsa_fp16_overflow 0
		.amdhsa_workgroup_processor_mode 1
		.amdhsa_memory_ordered 1
		.amdhsa_forward_progress 1
		.amdhsa_shared_vgpr_count 0
		.amdhsa_exception_fp_ieee_invalid_op 0
		.amdhsa_exception_fp_denorm_src 0
		.amdhsa_exception_fp_ieee_div_zero 0
		.amdhsa_exception_fp_ieee_overflow 0
		.amdhsa_exception_fp_ieee_underflow 0
		.amdhsa_exception_fp_ieee_inexact 0
		.amdhsa_exception_int_div_zero 0
	.end_amdhsa_kernel
	.section	.text._ZN7rocprim17ROCPRIM_400000_NS6detail17trampoline_kernelINS0_14default_configENS1_27scan_by_key_config_selectorIiiEEZZNS1_16scan_by_key_implILNS1_25lookback_scan_determinismE0ELb1ES3_N6thrust23THRUST_200600_302600_NS6detail15normal_iteratorINS9_10device_ptrIiEEEESE_SE_iNS9_4plusIvEENS9_8equal_toIiEEiEE10hipError_tPvRmT2_T3_T4_T5_mT6_T7_P12ihipStream_tbENKUlT_T0_E_clISt17integral_constantIbLb1EESY_IbLb0EEEEDaSU_SV_EUlSU_E_NS1_11comp_targetILNS1_3genE4ELNS1_11target_archE910ELNS1_3gpuE8ELNS1_3repE0EEENS1_30default_config_static_selectorELNS0_4arch9wavefront6targetE0EEEvT1_,"axG",@progbits,_ZN7rocprim17ROCPRIM_400000_NS6detail17trampoline_kernelINS0_14default_configENS1_27scan_by_key_config_selectorIiiEEZZNS1_16scan_by_key_implILNS1_25lookback_scan_determinismE0ELb1ES3_N6thrust23THRUST_200600_302600_NS6detail15normal_iteratorINS9_10device_ptrIiEEEESE_SE_iNS9_4plusIvEENS9_8equal_toIiEEiEE10hipError_tPvRmT2_T3_T4_T5_mT6_T7_P12ihipStream_tbENKUlT_T0_E_clISt17integral_constantIbLb1EESY_IbLb0EEEEDaSU_SV_EUlSU_E_NS1_11comp_targetILNS1_3genE4ELNS1_11target_archE910ELNS1_3gpuE8ELNS1_3repE0EEENS1_30default_config_static_selectorELNS0_4arch9wavefront6targetE0EEEvT1_,comdat
.Lfunc_end554:
	.size	_ZN7rocprim17ROCPRIM_400000_NS6detail17trampoline_kernelINS0_14default_configENS1_27scan_by_key_config_selectorIiiEEZZNS1_16scan_by_key_implILNS1_25lookback_scan_determinismE0ELb1ES3_N6thrust23THRUST_200600_302600_NS6detail15normal_iteratorINS9_10device_ptrIiEEEESE_SE_iNS9_4plusIvEENS9_8equal_toIiEEiEE10hipError_tPvRmT2_T3_T4_T5_mT6_T7_P12ihipStream_tbENKUlT_T0_E_clISt17integral_constantIbLb1EESY_IbLb0EEEEDaSU_SV_EUlSU_E_NS1_11comp_targetILNS1_3genE4ELNS1_11target_archE910ELNS1_3gpuE8ELNS1_3repE0EEENS1_30default_config_static_selectorELNS0_4arch9wavefront6targetE0EEEvT1_, .Lfunc_end554-_ZN7rocprim17ROCPRIM_400000_NS6detail17trampoline_kernelINS0_14default_configENS1_27scan_by_key_config_selectorIiiEEZZNS1_16scan_by_key_implILNS1_25lookback_scan_determinismE0ELb1ES3_N6thrust23THRUST_200600_302600_NS6detail15normal_iteratorINS9_10device_ptrIiEEEESE_SE_iNS9_4plusIvEENS9_8equal_toIiEEiEE10hipError_tPvRmT2_T3_T4_T5_mT6_T7_P12ihipStream_tbENKUlT_T0_E_clISt17integral_constantIbLb1EESY_IbLb0EEEEDaSU_SV_EUlSU_E_NS1_11comp_targetILNS1_3genE4ELNS1_11target_archE910ELNS1_3gpuE8ELNS1_3repE0EEENS1_30default_config_static_selectorELNS0_4arch9wavefront6targetE0EEEvT1_
                                        ; -- End function
	.set _ZN7rocprim17ROCPRIM_400000_NS6detail17trampoline_kernelINS0_14default_configENS1_27scan_by_key_config_selectorIiiEEZZNS1_16scan_by_key_implILNS1_25lookback_scan_determinismE0ELb1ES3_N6thrust23THRUST_200600_302600_NS6detail15normal_iteratorINS9_10device_ptrIiEEEESE_SE_iNS9_4plusIvEENS9_8equal_toIiEEiEE10hipError_tPvRmT2_T3_T4_T5_mT6_T7_P12ihipStream_tbENKUlT_T0_E_clISt17integral_constantIbLb1EESY_IbLb0EEEEDaSU_SV_EUlSU_E_NS1_11comp_targetILNS1_3genE4ELNS1_11target_archE910ELNS1_3gpuE8ELNS1_3repE0EEENS1_30default_config_static_selectorELNS0_4arch9wavefront6targetE0EEEvT1_.num_vgpr, 0
	.set _ZN7rocprim17ROCPRIM_400000_NS6detail17trampoline_kernelINS0_14default_configENS1_27scan_by_key_config_selectorIiiEEZZNS1_16scan_by_key_implILNS1_25lookback_scan_determinismE0ELb1ES3_N6thrust23THRUST_200600_302600_NS6detail15normal_iteratorINS9_10device_ptrIiEEEESE_SE_iNS9_4plusIvEENS9_8equal_toIiEEiEE10hipError_tPvRmT2_T3_T4_T5_mT6_T7_P12ihipStream_tbENKUlT_T0_E_clISt17integral_constantIbLb1EESY_IbLb0EEEEDaSU_SV_EUlSU_E_NS1_11comp_targetILNS1_3genE4ELNS1_11target_archE910ELNS1_3gpuE8ELNS1_3repE0EEENS1_30default_config_static_selectorELNS0_4arch9wavefront6targetE0EEEvT1_.num_agpr, 0
	.set _ZN7rocprim17ROCPRIM_400000_NS6detail17trampoline_kernelINS0_14default_configENS1_27scan_by_key_config_selectorIiiEEZZNS1_16scan_by_key_implILNS1_25lookback_scan_determinismE0ELb1ES3_N6thrust23THRUST_200600_302600_NS6detail15normal_iteratorINS9_10device_ptrIiEEEESE_SE_iNS9_4plusIvEENS9_8equal_toIiEEiEE10hipError_tPvRmT2_T3_T4_T5_mT6_T7_P12ihipStream_tbENKUlT_T0_E_clISt17integral_constantIbLb1EESY_IbLb0EEEEDaSU_SV_EUlSU_E_NS1_11comp_targetILNS1_3genE4ELNS1_11target_archE910ELNS1_3gpuE8ELNS1_3repE0EEENS1_30default_config_static_selectorELNS0_4arch9wavefront6targetE0EEEvT1_.numbered_sgpr, 0
	.set _ZN7rocprim17ROCPRIM_400000_NS6detail17trampoline_kernelINS0_14default_configENS1_27scan_by_key_config_selectorIiiEEZZNS1_16scan_by_key_implILNS1_25lookback_scan_determinismE0ELb1ES3_N6thrust23THRUST_200600_302600_NS6detail15normal_iteratorINS9_10device_ptrIiEEEESE_SE_iNS9_4plusIvEENS9_8equal_toIiEEiEE10hipError_tPvRmT2_T3_T4_T5_mT6_T7_P12ihipStream_tbENKUlT_T0_E_clISt17integral_constantIbLb1EESY_IbLb0EEEEDaSU_SV_EUlSU_E_NS1_11comp_targetILNS1_3genE4ELNS1_11target_archE910ELNS1_3gpuE8ELNS1_3repE0EEENS1_30default_config_static_selectorELNS0_4arch9wavefront6targetE0EEEvT1_.num_named_barrier, 0
	.set _ZN7rocprim17ROCPRIM_400000_NS6detail17trampoline_kernelINS0_14default_configENS1_27scan_by_key_config_selectorIiiEEZZNS1_16scan_by_key_implILNS1_25lookback_scan_determinismE0ELb1ES3_N6thrust23THRUST_200600_302600_NS6detail15normal_iteratorINS9_10device_ptrIiEEEESE_SE_iNS9_4plusIvEENS9_8equal_toIiEEiEE10hipError_tPvRmT2_T3_T4_T5_mT6_T7_P12ihipStream_tbENKUlT_T0_E_clISt17integral_constantIbLb1EESY_IbLb0EEEEDaSU_SV_EUlSU_E_NS1_11comp_targetILNS1_3genE4ELNS1_11target_archE910ELNS1_3gpuE8ELNS1_3repE0EEENS1_30default_config_static_selectorELNS0_4arch9wavefront6targetE0EEEvT1_.private_seg_size, 0
	.set _ZN7rocprim17ROCPRIM_400000_NS6detail17trampoline_kernelINS0_14default_configENS1_27scan_by_key_config_selectorIiiEEZZNS1_16scan_by_key_implILNS1_25lookback_scan_determinismE0ELb1ES3_N6thrust23THRUST_200600_302600_NS6detail15normal_iteratorINS9_10device_ptrIiEEEESE_SE_iNS9_4plusIvEENS9_8equal_toIiEEiEE10hipError_tPvRmT2_T3_T4_T5_mT6_T7_P12ihipStream_tbENKUlT_T0_E_clISt17integral_constantIbLb1EESY_IbLb0EEEEDaSU_SV_EUlSU_E_NS1_11comp_targetILNS1_3genE4ELNS1_11target_archE910ELNS1_3gpuE8ELNS1_3repE0EEENS1_30default_config_static_selectorELNS0_4arch9wavefront6targetE0EEEvT1_.uses_vcc, 0
	.set _ZN7rocprim17ROCPRIM_400000_NS6detail17trampoline_kernelINS0_14default_configENS1_27scan_by_key_config_selectorIiiEEZZNS1_16scan_by_key_implILNS1_25lookback_scan_determinismE0ELb1ES3_N6thrust23THRUST_200600_302600_NS6detail15normal_iteratorINS9_10device_ptrIiEEEESE_SE_iNS9_4plusIvEENS9_8equal_toIiEEiEE10hipError_tPvRmT2_T3_T4_T5_mT6_T7_P12ihipStream_tbENKUlT_T0_E_clISt17integral_constantIbLb1EESY_IbLb0EEEEDaSU_SV_EUlSU_E_NS1_11comp_targetILNS1_3genE4ELNS1_11target_archE910ELNS1_3gpuE8ELNS1_3repE0EEENS1_30default_config_static_selectorELNS0_4arch9wavefront6targetE0EEEvT1_.uses_flat_scratch, 0
	.set _ZN7rocprim17ROCPRIM_400000_NS6detail17trampoline_kernelINS0_14default_configENS1_27scan_by_key_config_selectorIiiEEZZNS1_16scan_by_key_implILNS1_25lookback_scan_determinismE0ELb1ES3_N6thrust23THRUST_200600_302600_NS6detail15normal_iteratorINS9_10device_ptrIiEEEESE_SE_iNS9_4plusIvEENS9_8equal_toIiEEiEE10hipError_tPvRmT2_T3_T4_T5_mT6_T7_P12ihipStream_tbENKUlT_T0_E_clISt17integral_constantIbLb1EESY_IbLb0EEEEDaSU_SV_EUlSU_E_NS1_11comp_targetILNS1_3genE4ELNS1_11target_archE910ELNS1_3gpuE8ELNS1_3repE0EEENS1_30default_config_static_selectorELNS0_4arch9wavefront6targetE0EEEvT1_.has_dyn_sized_stack, 0
	.set _ZN7rocprim17ROCPRIM_400000_NS6detail17trampoline_kernelINS0_14default_configENS1_27scan_by_key_config_selectorIiiEEZZNS1_16scan_by_key_implILNS1_25lookback_scan_determinismE0ELb1ES3_N6thrust23THRUST_200600_302600_NS6detail15normal_iteratorINS9_10device_ptrIiEEEESE_SE_iNS9_4plusIvEENS9_8equal_toIiEEiEE10hipError_tPvRmT2_T3_T4_T5_mT6_T7_P12ihipStream_tbENKUlT_T0_E_clISt17integral_constantIbLb1EESY_IbLb0EEEEDaSU_SV_EUlSU_E_NS1_11comp_targetILNS1_3genE4ELNS1_11target_archE910ELNS1_3gpuE8ELNS1_3repE0EEENS1_30default_config_static_selectorELNS0_4arch9wavefront6targetE0EEEvT1_.has_recursion, 0
	.set _ZN7rocprim17ROCPRIM_400000_NS6detail17trampoline_kernelINS0_14default_configENS1_27scan_by_key_config_selectorIiiEEZZNS1_16scan_by_key_implILNS1_25lookback_scan_determinismE0ELb1ES3_N6thrust23THRUST_200600_302600_NS6detail15normal_iteratorINS9_10device_ptrIiEEEESE_SE_iNS9_4plusIvEENS9_8equal_toIiEEiEE10hipError_tPvRmT2_T3_T4_T5_mT6_T7_P12ihipStream_tbENKUlT_T0_E_clISt17integral_constantIbLb1EESY_IbLb0EEEEDaSU_SV_EUlSU_E_NS1_11comp_targetILNS1_3genE4ELNS1_11target_archE910ELNS1_3gpuE8ELNS1_3repE0EEENS1_30default_config_static_selectorELNS0_4arch9wavefront6targetE0EEEvT1_.has_indirect_call, 0
	.section	.AMDGPU.csdata,"",@progbits
; Kernel info:
; codeLenInByte = 0
; TotalNumSgprs: 0
; NumVgprs: 0
; ScratchSize: 0
; MemoryBound: 0
; FloatMode: 240
; IeeeMode: 1
; LDSByteSize: 0 bytes/workgroup (compile time only)
; SGPRBlocks: 0
; VGPRBlocks: 0
; NumSGPRsForWavesPerEU: 1
; NumVGPRsForWavesPerEU: 1
; Occupancy: 16
; WaveLimiterHint : 0
; COMPUTE_PGM_RSRC2:SCRATCH_EN: 0
; COMPUTE_PGM_RSRC2:USER_SGPR: 6
; COMPUTE_PGM_RSRC2:TRAP_HANDLER: 0
; COMPUTE_PGM_RSRC2:TGID_X_EN: 1
; COMPUTE_PGM_RSRC2:TGID_Y_EN: 0
; COMPUTE_PGM_RSRC2:TGID_Z_EN: 0
; COMPUTE_PGM_RSRC2:TIDIG_COMP_CNT: 0
	.section	.text._ZN7rocprim17ROCPRIM_400000_NS6detail17trampoline_kernelINS0_14default_configENS1_27scan_by_key_config_selectorIiiEEZZNS1_16scan_by_key_implILNS1_25lookback_scan_determinismE0ELb1ES3_N6thrust23THRUST_200600_302600_NS6detail15normal_iteratorINS9_10device_ptrIiEEEESE_SE_iNS9_4plusIvEENS9_8equal_toIiEEiEE10hipError_tPvRmT2_T3_T4_T5_mT6_T7_P12ihipStream_tbENKUlT_T0_E_clISt17integral_constantIbLb1EESY_IbLb0EEEEDaSU_SV_EUlSU_E_NS1_11comp_targetILNS1_3genE3ELNS1_11target_archE908ELNS1_3gpuE7ELNS1_3repE0EEENS1_30default_config_static_selectorELNS0_4arch9wavefront6targetE0EEEvT1_,"axG",@progbits,_ZN7rocprim17ROCPRIM_400000_NS6detail17trampoline_kernelINS0_14default_configENS1_27scan_by_key_config_selectorIiiEEZZNS1_16scan_by_key_implILNS1_25lookback_scan_determinismE0ELb1ES3_N6thrust23THRUST_200600_302600_NS6detail15normal_iteratorINS9_10device_ptrIiEEEESE_SE_iNS9_4plusIvEENS9_8equal_toIiEEiEE10hipError_tPvRmT2_T3_T4_T5_mT6_T7_P12ihipStream_tbENKUlT_T0_E_clISt17integral_constantIbLb1EESY_IbLb0EEEEDaSU_SV_EUlSU_E_NS1_11comp_targetILNS1_3genE3ELNS1_11target_archE908ELNS1_3gpuE7ELNS1_3repE0EEENS1_30default_config_static_selectorELNS0_4arch9wavefront6targetE0EEEvT1_,comdat
	.protected	_ZN7rocprim17ROCPRIM_400000_NS6detail17trampoline_kernelINS0_14default_configENS1_27scan_by_key_config_selectorIiiEEZZNS1_16scan_by_key_implILNS1_25lookback_scan_determinismE0ELb1ES3_N6thrust23THRUST_200600_302600_NS6detail15normal_iteratorINS9_10device_ptrIiEEEESE_SE_iNS9_4plusIvEENS9_8equal_toIiEEiEE10hipError_tPvRmT2_T3_T4_T5_mT6_T7_P12ihipStream_tbENKUlT_T0_E_clISt17integral_constantIbLb1EESY_IbLb0EEEEDaSU_SV_EUlSU_E_NS1_11comp_targetILNS1_3genE3ELNS1_11target_archE908ELNS1_3gpuE7ELNS1_3repE0EEENS1_30default_config_static_selectorELNS0_4arch9wavefront6targetE0EEEvT1_ ; -- Begin function _ZN7rocprim17ROCPRIM_400000_NS6detail17trampoline_kernelINS0_14default_configENS1_27scan_by_key_config_selectorIiiEEZZNS1_16scan_by_key_implILNS1_25lookback_scan_determinismE0ELb1ES3_N6thrust23THRUST_200600_302600_NS6detail15normal_iteratorINS9_10device_ptrIiEEEESE_SE_iNS9_4plusIvEENS9_8equal_toIiEEiEE10hipError_tPvRmT2_T3_T4_T5_mT6_T7_P12ihipStream_tbENKUlT_T0_E_clISt17integral_constantIbLb1EESY_IbLb0EEEEDaSU_SV_EUlSU_E_NS1_11comp_targetILNS1_3genE3ELNS1_11target_archE908ELNS1_3gpuE7ELNS1_3repE0EEENS1_30default_config_static_selectorELNS0_4arch9wavefront6targetE0EEEvT1_
	.globl	_ZN7rocprim17ROCPRIM_400000_NS6detail17trampoline_kernelINS0_14default_configENS1_27scan_by_key_config_selectorIiiEEZZNS1_16scan_by_key_implILNS1_25lookback_scan_determinismE0ELb1ES3_N6thrust23THRUST_200600_302600_NS6detail15normal_iteratorINS9_10device_ptrIiEEEESE_SE_iNS9_4plusIvEENS9_8equal_toIiEEiEE10hipError_tPvRmT2_T3_T4_T5_mT6_T7_P12ihipStream_tbENKUlT_T0_E_clISt17integral_constantIbLb1EESY_IbLb0EEEEDaSU_SV_EUlSU_E_NS1_11comp_targetILNS1_3genE3ELNS1_11target_archE908ELNS1_3gpuE7ELNS1_3repE0EEENS1_30default_config_static_selectorELNS0_4arch9wavefront6targetE0EEEvT1_
	.p2align	8
	.type	_ZN7rocprim17ROCPRIM_400000_NS6detail17trampoline_kernelINS0_14default_configENS1_27scan_by_key_config_selectorIiiEEZZNS1_16scan_by_key_implILNS1_25lookback_scan_determinismE0ELb1ES3_N6thrust23THRUST_200600_302600_NS6detail15normal_iteratorINS9_10device_ptrIiEEEESE_SE_iNS9_4plusIvEENS9_8equal_toIiEEiEE10hipError_tPvRmT2_T3_T4_T5_mT6_T7_P12ihipStream_tbENKUlT_T0_E_clISt17integral_constantIbLb1EESY_IbLb0EEEEDaSU_SV_EUlSU_E_NS1_11comp_targetILNS1_3genE3ELNS1_11target_archE908ELNS1_3gpuE7ELNS1_3repE0EEENS1_30default_config_static_selectorELNS0_4arch9wavefront6targetE0EEEvT1_,@function
_ZN7rocprim17ROCPRIM_400000_NS6detail17trampoline_kernelINS0_14default_configENS1_27scan_by_key_config_selectorIiiEEZZNS1_16scan_by_key_implILNS1_25lookback_scan_determinismE0ELb1ES3_N6thrust23THRUST_200600_302600_NS6detail15normal_iteratorINS9_10device_ptrIiEEEESE_SE_iNS9_4plusIvEENS9_8equal_toIiEEiEE10hipError_tPvRmT2_T3_T4_T5_mT6_T7_P12ihipStream_tbENKUlT_T0_E_clISt17integral_constantIbLb1EESY_IbLb0EEEEDaSU_SV_EUlSU_E_NS1_11comp_targetILNS1_3genE3ELNS1_11target_archE908ELNS1_3gpuE7ELNS1_3repE0EEENS1_30default_config_static_selectorELNS0_4arch9wavefront6targetE0EEEvT1_: ; @_ZN7rocprim17ROCPRIM_400000_NS6detail17trampoline_kernelINS0_14default_configENS1_27scan_by_key_config_selectorIiiEEZZNS1_16scan_by_key_implILNS1_25lookback_scan_determinismE0ELb1ES3_N6thrust23THRUST_200600_302600_NS6detail15normal_iteratorINS9_10device_ptrIiEEEESE_SE_iNS9_4plusIvEENS9_8equal_toIiEEiEE10hipError_tPvRmT2_T3_T4_T5_mT6_T7_P12ihipStream_tbENKUlT_T0_E_clISt17integral_constantIbLb1EESY_IbLb0EEEEDaSU_SV_EUlSU_E_NS1_11comp_targetILNS1_3genE3ELNS1_11target_archE908ELNS1_3gpuE7ELNS1_3repE0EEENS1_30default_config_static_selectorELNS0_4arch9wavefront6targetE0EEEvT1_
; %bb.0:
	.section	.rodata,"a",@progbits
	.p2align	6, 0x0
	.amdhsa_kernel _ZN7rocprim17ROCPRIM_400000_NS6detail17trampoline_kernelINS0_14default_configENS1_27scan_by_key_config_selectorIiiEEZZNS1_16scan_by_key_implILNS1_25lookback_scan_determinismE0ELb1ES3_N6thrust23THRUST_200600_302600_NS6detail15normal_iteratorINS9_10device_ptrIiEEEESE_SE_iNS9_4plusIvEENS9_8equal_toIiEEiEE10hipError_tPvRmT2_T3_T4_T5_mT6_T7_P12ihipStream_tbENKUlT_T0_E_clISt17integral_constantIbLb1EESY_IbLb0EEEEDaSU_SV_EUlSU_E_NS1_11comp_targetILNS1_3genE3ELNS1_11target_archE908ELNS1_3gpuE7ELNS1_3repE0EEENS1_30default_config_static_selectorELNS0_4arch9wavefront6targetE0EEEvT1_
		.amdhsa_group_segment_fixed_size 0
		.amdhsa_private_segment_fixed_size 0
		.amdhsa_kernarg_size 112
		.amdhsa_user_sgpr_count 6
		.amdhsa_user_sgpr_private_segment_buffer 1
		.amdhsa_user_sgpr_dispatch_ptr 0
		.amdhsa_user_sgpr_queue_ptr 0
		.amdhsa_user_sgpr_kernarg_segment_ptr 1
		.amdhsa_user_sgpr_dispatch_id 0
		.amdhsa_user_sgpr_flat_scratch_init 0
		.amdhsa_user_sgpr_private_segment_size 0
		.amdhsa_wavefront_size32 1
		.amdhsa_uses_dynamic_stack 0
		.amdhsa_system_sgpr_private_segment_wavefront_offset 0
		.amdhsa_system_sgpr_workgroup_id_x 1
		.amdhsa_system_sgpr_workgroup_id_y 0
		.amdhsa_system_sgpr_workgroup_id_z 0
		.amdhsa_system_sgpr_workgroup_info 0
		.amdhsa_system_vgpr_workitem_id 0
		.amdhsa_next_free_vgpr 1
		.amdhsa_next_free_sgpr 1
		.amdhsa_reserve_vcc 0
		.amdhsa_reserve_flat_scratch 0
		.amdhsa_float_round_mode_32 0
		.amdhsa_float_round_mode_16_64 0
		.amdhsa_float_denorm_mode_32 3
		.amdhsa_float_denorm_mode_16_64 3
		.amdhsa_dx10_clamp 1
		.amdhsa_ieee_mode 1
		.amdhsa_fp16_overflow 0
		.amdhsa_workgroup_processor_mode 1
		.amdhsa_memory_ordered 1
		.amdhsa_forward_progress 1
		.amdhsa_shared_vgpr_count 0
		.amdhsa_exception_fp_ieee_invalid_op 0
		.amdhsa_exception_fp_denorm_src 0
		.amdhsa_exception_fp_ieee_div_zero 0
		.amdhsa_exception_fp_ieee_overflow 0
		.amdhsa_exception_fp_ieee_underflow 0
		.amdhsa_exception_fp_ieee_inexact 0
		.amdhsa_exception_int_div_zero 0
	.end_amdhsa_kernel
	.section	.text._ZN7rocprim17ROCPRIM_400000_NS6detail17trampoline_kernelINS0_14default_configENS1_27scan_by_key_config_selectorIiiEEZZNS1_16scan_by_key_implILNS1_25lookback_scan_determinismE0ELb1ES3_N6thrust23THRUST_200600_302600_NS6detail15normal_iteratorINS9_10device_ptrIiEEEESE_SE_iNS9_4plusIvEENS9_8equal_toIiEEiEE10hipError_tPvRmT2_T3_T4_T5_mT6_T7_P12ihipStream_tbENKUlT_T0_E_clISt17integral_constantIbLb1EESY_IbLb0EEEEDaSU_SV_EUlSU_E_NS1_11comp_targetILNS1_3genE3ELNS1_11target_archE908ELNS1_3gpuE7ELNS1_3repE0EEENS1_30default_config_static_selectorELNS0_4arch9wavefront6targetE0EEEvT1_,"axG",@progbits,_ZN7rocprim17ROCPRIM_400000_NS6detail17trampoline_kernelINS0_14default_configENS1_27scan_by_key_config_selectorIiiEEZZNS1_16scan_by_key_implILNS1_25lookback_scan_determinismE0ELb1ES3_N6thrust23THRUST_200600_302600_NS6detail15normal_iteratorINS9_10device_ptrIiEEEESE_SE_iNS9_4plusIvEENS9_8equal_toIiEEiEE10hipError_tPvRmT2_T3_T4_T5_mT6_T7_P12ihipStream_tbENKUlT_T0_E_clISt17integral_constantIbLb1EESY_IbLb0EEEEDaSU_SV_EUlSU_E_NS1_11comp_targetILNS1_3genE3ELNS1_11target_archE908ELNS1_3gpuE7ELNS1_3repE0EEENS1_30default_config_static_selectorELNS0_4arch9wavefront6targetE0EEEvT1_,comdat
.Lfunc_end555:
	.size	_ZN7rocprim17ROCPRIM_400000_NS6detail17trampoline_kernelINS0_14default_configENS1_27scan_by_key_config_selectorIiiEEZZNS1_16scan_by_key_implILNS1_25lookback_scan_determinismE0ELb1ES3_N6thrust23THRUST_200600_302600_NS6detail15normal_iteratorINS9_10device_ptrIiEEEESE_SE_iNS9_4plusIvEENS9_8equal_toIiEEiEE10hipError_tPvRmT2_T3_T4_T5_mT6_T7_P12ihipStream_tbENKUlT_T0_E_clISt17integral_constantIbLb1EESY_IbLb0EEEEDaSU_SV_EUlSU_E_NS1_11comp_targetILNS1_3genE3ELNS1_11target_archE908ELNS1_3gpuE7ELNS1_3repE0EEENS1_30default_config_static_selectorELNS0_4arch9wavefront6targetE0EEEvT1_, .Lfunc_end555-_ZN7rocprim17ROCPRIM_400000_NS6detail17trampoline_kernelINS0_14default_configENS1_27scan_by_key_config_selectorIiiEEZZNS1_16scan_by_key_implILNS1_25lookback_scan_determinismE0ELb1ES3_N6thrust23THRUST_200600_302600_NS6detail15normal_iteratorINS9_10device_ptrIiEEEESE_SE_iNS9_4plusIvEENS9_8equal_toIiEEiEE10hipError_tPvRmT2_T3_T4_T5_mT6_T7_P12ihipStream_tbENKUlT_T0_E_clISt17integral_constantIbLb1EESY_IbLb0EEEEDaSU_SV_EUlSU_E_NS1_11comp_targetILNS1_3genE3ELNS1_11target_archE908ELNS1_3gpuE7ELNS1_3repE0EEENS1_30default_config_static_selectorELNS0_4arch9wavefront6targetE0EEEvT1_
                                        ; -- End function
	.set _ZN7rocprim17ROCPRIM_400000_NS6detail17trampoline_kernelINS0_14default_configENS1_27scan_by_key_config_selectorIiiEEZZNS1_16scan_by_key_implILNS1_25lookback_scan_determinismE0ELb1ES3_N6thrust23THRUST_200600_302600_NS6detail15normal_iteratorINS9_10device_ptrIiEEEESE_SE_iNS9_4plusIvEENS9_8equal_toIiEEiEE10hipError_tPvRmT2_T3_T4_T5_mT6_T7_P12ihipStream_tbENKUlT_T0_E_clISt17integral_constantIbLb1EESY_IbLb0EEEEDaSU_SV_EUlSU_E_NS1_11comp_targetILNS1_3genE3ELNS1_11target_archE908ELNS1_3gpuE7ELNS1_3repE0EEENS1_30default_config_static_selectorELNS0_4arch9wavefront6targetE0EEEvT1_.num_vgpr, 0
	.set _ZN7rocprim17ROCPRIM_400000_NS6detail17trampoline_kernelINS0_14default_configENS1_27scan_by_key_config_selectorIiiEEZZNS1_16scan_by_key_implILNS1_25lookback_scan_determinismE0ELb1ES3_N6thrust23THRUST_200600_302600_NS6detail15normal_iteratorINS9_10device_ptrIiEEEESE_SE_iNS9_4plusIvEENS9_8equal_toIiEEiEE10hipError_tPvRmT2_T3_T4_T5_mT6_T7_P12ihipStream_tbENKUlT_T0_E_clISt17integral_constantIbLb1EESY_IbLb0EEEEDaSU_SV_EUlSU_E_NS1_11comp_targetILNS1_3genE3ELNS1_11target_archE908ELNS1_3gpuE7ELNS1_3repE0EEENS1_30default_config_static_selectorELNS0_4arch9wavefront6targetE0EEEvT1_.num_agpr, 0
	.set _ZN7rocprim17ROCPRIM_400000_NS6detail17trampoline_kernelINS0_14default_configENS1_27scan_by_key_config_selectorIiiEEZZNS1_16scan_by_key_implILNS1_25lookback_scan_determinismE0ELb1ES3_N6thrust23THRUST_200600_302600_NS6detail15normal_iteratorINS9_10device_ptrIiEEEESE_SE_iNS9_4plusIvEENS9_8equal_toIiEEiEE10hipError_tPvRmT2_T3_T4_T5_mT6_T7_P12ihipStream_tbENKUlT_T0_E_clISt17integral_constantIbLb1EESY_IbLb0EEEEDaSU_SV_EUlSU_E_NS1_11comp_targetILNS1_3genE3ELNS1_11target_archE908ELNS1_3gpuE7ELNS1_3repE0EEENS1_30default_config_static_selectorELNS0_4arch9wavefront6targetE0EEEvT1_.numbered_sgpr, 0
	.set _ZN7rocprim17ROCPRIM_400000_NS6detail17trampoline_kernelINS0_14default_configENS1_27scan_by_key_config_selectorIiiEEZZNS1_16scan_by_key_implILNS1_25lookback_scan_determinismE0ELb1ES3_N6thrust23THRUST_200600_302600_NS6detail15normal_iteratorINS9_10device_ptrIiEEEESE_SE_iNS9_4plusIvEENS9_8equal_toIiEEiEE10hipError_tPvRmT2_T3_T4_T5_mT6_T7_P12ihipStream_tbENKUlT_T0_E_clISt17integral_constantIbLb1EESY_IbLb0EEEEDaSU_SV_EUlSU_E_NS1_11comp_targetILNS1_3genE3ELNS1_11target_archE908ELNS1_3gpuE7ELNS1_3repE0EEENS1_30default_config_static_selectorELNS0_4arch9wavefront6targetE0EEEvT1_.num_named_barrier, 0
	.set _ZN7rocprim17ROCPRIM_400000_NS6detail17trampoline_kernelINS0_14default_configENS1_27scan_by_key_config_selectorIiiEEZZNS1_16scan_by_key_implILNS1_25lookback_scan_determinismE0ELb1ES3_N6thrust23THRUST_200600_302600_NS6detail15normal_iteratorINS9_10device_ptrIiEEEESE_SE_iNS9_4plusIvEENS9_8equal_toIiEEiEE10hipError_tPvRmT2_T3_T4_T5_mT6_T7_P12ihipStream_tbENKUlT_T0_E_clISt17integral_constantIbLb1EESY_IbLb0EEEEDaSU_SV_EUlSU_E_NS1_11comp_targetILNS1_3genE3ELNS1_11target_archE908ELNS1_3gpuE7ELNS1_3repE0EEENS1_30default_config_static_selectorELNS0_4arch9wavefront6targetE0EEEvT1_.private_seg_size, 0
	.set _ZN7rocprim17ROCPRIM_400000_NS6detail17trampoline_kernelINS0_14default_configENS1_27scan_by_key_config_selectorIiiEEZZNS1_16scan_by_key_implILNS1_25lookback_scan_determinismE0ELb1ES3_N6thrust23THRUST_200600_302600_NS6detail15normal_iteratorINS9_10device_ptrIiEEEESE_SE_iNS9_4plusIvEENS9_8equal_toIiEEiEE10hipError_tPvRmT2_T3_T4_T5_mT6_T7_P12ihipStream_tbENKUlT_T0_E_clISt17integral_constantIbLb1EESY_IbLb0EEEEDaSU_SV_EUlSU_E_NS1_11comp_targetILNS1_3genE3ELNS1_11target_archE908ELNS1_3gpuE7ELNS1_3repE0EEENS1_30default_config_static_selectorELNS0_4arch9wavefront6targetE0EEEvT1_.uses_vcc, 0
	.set _ZN7rocprim17ROCPRIM_400000_NS6detail17trampoline_kernelINS0_14default_configENS1_27scan_by_key_config_selectorIiiEEZZNS1_16scan_by_key_implILNS1_25lookback_scan_determinismE0ELb1ES3_N6thrust23THRUST_200600_302600_NS6detail15normal_iteratorINS9_10device_ptrIiEEEESE_SE_iNS9_4plusIvEENS9_8equal_toIiEEiEE10hipError_tPvRmT2_T3_T4_T5_mT6_T7_P12ihipStream_tbENKUlT_T0_E_clISt17integral_constantIbLb1EESY_IbLb0EEEEDaSU_SV_EUlSU_E_NS1_11comp_targetILNS1_3genE3ELNS1_11target_archE908ELNS1_3gpuE7ELNS1_3repE0EEENS1_30default_config_static_selectorELNS0_4arch9wavefront6targetE0EEEvT1_.uses_flat_scratch, 0
	.set _ZN7rocprim17ROCPRIM_400000_NS6detail17trampoline_kernelINS0_14default_configENS1_27scan_by_key_config_selectorIiiEEZZNS1_16scan_by_key_implILNS1_25lookback_scan_determinismE0ELb1ES3_N6thrust23THRUST_200600_302600_NS6detail15normal_iteratorINS9_10device_ptrIiEEEESE_SE_iNS9_4plusIvEENS9_8equal_toIiEEiEE10hipError_tPvRmT2_T3_T4_T5_mT6_T7_P12ihipStream_tbENKUlT_T0_E_clISt17integral_constantIbLb1EESY_IbLb0EEEEDaSU_SV_EUlSU_E_NS1_11comp_targetILNS1_3genE3ELNS1_11target_archE908ELNS1_3gpuE7ELNS1_3repE0EEENS1_30default_config_static_selectorELNS0_4arch9wavefront6targetE0EEEvT1_.has_dyn_sized_stack, 0
	.set _ZN7rocprim17ROCPRIM_400000_NS6detail17trampoline_kernelINS0_14default_configENS1_27scan_by_key_config_selectorIiiEEZZNS1_16scan_by_key_implILNS1_25lookback_scan_determinismE0ELb1ES3_N6thrust23THRUST_200600_302600_NS6detail15normal_iteratorINS9_10device_ptrIiEEEESE_SE_iNS9_4plusIvEENS9_8equal_toIiEEiEE10hipError_tPvRmT2_T3_T4_T5_mT6_T7_P12ihipStream_tbENKUlT_T0_E_clISt17integral_constantIbLb1EESY_IbLb0EEEEDaSU_SV_EUlSU_E_NS1_11comp_targetILNS1_3genE3ELNS1_11target_archE908ELNS1_3gpuE7ELNS1_3repE0EEENS1_30default_config_static_selectorELNS0_4arch9wavefront6targetE0EEEvT1_.has_recursion, 0
	.set _ZN7rocprim17ROCPRIM_400000_NS6detail17trampoline_kernelINS0_14default_configENS1_27scan_by_key_config_selectorIiiEEZZNS1_16scan_by_key_implILNS1_25lookback_scan_determinismE0ELb1ES3_N6thrust23THRUST_200600_302600_NS6detail15normal_iteratorINS9_10device_ptrIiEEEESE_SE_iNS9_4plusIvEENS9_8equal_toIiEEiEE10hipError_tPvRmT2_T3_T4_T5_mT6_T7_P12ihipStream_tbENKUlT_T0_E_clISt17integral_constantIbLb1EESY_IbLb0EEEEDaSU_SV_EUlSU_E_NS1_11comp_targetILNS1_3genE3ELNS1_11target_archE908ELNS1_3gpuE7ELNS1_3repE0EEENS1_30default_config_static_selectorELNS0_4arch9wavefront6targetE0EEEvT1_.has_indirect_call, 0
	.section	.AMDGPU.csdata,"",@progbits
; Kernel info:
; codeLenInByte = 0
; TotalNumSgprs: 0
; NumVgprs: 0
; ScratchSize: 0
; MemoryBound: 0
; FloatMode: 240
; IeeeMode: 1
; LDSByteSize: 0 bytes/workgroup (compile time only)
; SGPRBlocks: 0
; VGPRBlocks: 0
; NumSGPRsForWavesPerEU: 1
; NumVGPRsForWavesPerEU: 1
; Occupancy: 16
; WaveLimiterHint : 0
; COMPUTE_PGM_RSRC2:SCRATCH_EN: 0
; COMPUTE_PGM_RSRC2:USER_SGPR: 6
; COMPUTE_PGM_RSRC2:TRAP_HANDLER: 0
; COMPUTE_PGM_RSRC2:TGID_X_EN: 1
; COMPUTE_PGM_RSRC2:TGID_Y_EN: 0
; COMPUTE_PGM_RSRC2:TGID_Z_EN: 0
; COMPUTE_PGM_RSRC2:TIDIG_COMP_CNT: 0
	.section	.text._ZN7rocprim17ROCPRIM_400000_NS6detail17trampoline_kernelINS0_14default_configENS1_27scan_by_key_config_selectorIiiEEZZNS1_16scan_by_key_implILNS1_25lookback_scan_determinismE0ELb1ES3_N6thrust23THRUST_200600_302600_NS6detail15normal_iteratorINS9_10device_ptrIiEEEESE_SE_iNS9_4plusIvEENS9_8equal_toIiEEiEE10hipError_tPvRmT2_T3_T4_T5_mT6_T7_P12ihipStream_tbENKUlT_T0_E_clISt17integral_constantIbLb1EESY_IbLb0EEEEDaSU_SV_EUlSU_E_NS1_11comp_targetILNS1_3genE2ELNS1_11target_archE906ELNS1_3gpuE6ELNS1_3repE0EEENS1_30default_config_static_selectorELNS0_4arch9wavefront6targetE0EEEvT1_,"axG",@progbits,_ZN7rocprim17ROCPRIM_400000_NS6detail17trampoline_kernelINS0_14default_configENS1_27scan_by_key_config_selectorIiiEEZZNS1_16scan_by_key_implILNS1_25lookback_scan_determinismE0ELb1ES3_N6thrust23THRUST_200600_302600_NS6detail15normal_iteratorINS9_10device_ptrIiEEEESE_SE_iNS9_4plusIvEENS9_8equal_toIiEEiEE10hipError_tPvRmT2_T3_T4_T5_mT6_T7_P12ihipStream_tbENKUlT_T0_E_clISt17integral_constantIbLb1EESY_IbLb0EEEEDaSU_SV_EUlSU_E_NS1_11comp_targetILNS1_3genE2ELNS1_11target_archE906ELNS1_3gpuE6ELNS1_3repE0EEENS1_30default_config_static_selectorELNS0_4arch9wavefront6targetE0EEEvT1_,comdat
	.protected	_ZN7rocprim17ROCPRIM_400000_NS6detail17trampoline_kernelINS0_14default_configENS1_27scan_by_key_config_selectorIiiEEZZNS1_16scan_by_key_implILNS1_25lookback_scan_determinismE0ELb1ES3_N6thrust23THRUST_200600_302600_NS6detail15normal_iteratorINS9_10device_ptrIiEEEESE_SE_iNS9_4plusIvEENS9_8equal_toIiEEiEE10hipError_tPvRmT2_T3_T4_T5_mT6_T7_P12ihipStream_tbENKUlT_T0_E_clISt17integral_constantIbLb1EESY_IbLb0EEEEDaSU_SV_EUlSU_E_NS1_11comp_targetILNS1_3genE2ELNS1_11target_archE906ELNS1_3gpuE6ELNS1_3repE0EEENS1_30default_config_static_selectorELNS0_4arch9wavefront6targetE0EEEvT1_ ; -- Begin function _ZN7rocprim17ROCPRIM_400000_NS6detail17trampoline_kernelINS0_14default_configENS1_27scan_by_key_config_selectorIiiEEZZNS1_16scan_by_key_implILNS1_25lookback_scan_determinismE0ELb1ES3_N6thrust23THRUST_200600_302600_NS6detail15normal_iteratorINS9_10device_ptrIiEEEESE_SE_iNS9_4plusIvEENS9_8equal_toIiEEiEE10hipError_tPvRmT2_T3_T4_T5_mT6_T7_P12ihipStream_tbENKUlT_T0_E_clISt17integral_constantIbLb1EESY_IbLb0EEEEDaSU_SV_EUlSU_E_NS1_11comp_targetILNS1_3genE2ELNS1_11target_archE906ELNS1_3gpuE6ELNS1_3repE0EEENS1_30default_config_static_selectorELNS0_4arch9wavefront6targetE0EEEvT1_
	.globl	_ZN7rocprim17ROCPRIM_400000_NS6detail17trampoline_kernelINS0_14default_configENS1_27scan_by_key_config_selectorIiiEEZZNS1_16scan_by_key_implILNS1_25lookback_scan_determinismE0ELb1ES3_N6thrust23THRUST_200600_302600_NS6detail15normal_iteratorINS9_10device_ptrIiEEEESE_SE_iNS9_4plusIvEENS9_8equal_toIiEEiEE10hipError_tPvRmT2_T3_T4_T5_mT6_T7_P12ihipStream_tbENKUlT_T0_E_clISt17integral_constantIbLb1EESY_IbLb0EEEEDaSU_SV_EUlSU_E_NS1_11comp_targetILNS1_3genE2ELNS1_11target_archE906ELNS1_3gpuE6ELNS1_3repE0EEENS1_30default_config_static_selectorELNS0_4arch9wavefront6targetE0EEEvT1_
	.p2align	8
	.type	_ZN7rocprim17ROCPRIM_400000_NS6detail17trampoline_kernelINS0_14default_configENS1_27scan_by_key_config_selectorIiiEEZZNS1_16scan_by_key_implILNS1_25lookback_scan_determinismE0ELb1ES3_N6thrust23THRUST_200600_302600_NS6detail15normal_iteratorINS9_10device_ptrIiEEEESE_SE_iNS9_4plusIvEENS9_8equal_toIiEEiEE10hipError_tPvRmT2_T3_T4_T5_mT6_T7_P12ihipStream_tbENKUlT_T0_E_clISt17integral_constantIbLb1EESY_IbLb0EEEEDaSU_SV_EUlSU_E_NS1_11comp_targetILNS1_3genE2ELNS1_11target_archE906ELNS1_3gpuE6ELNS1_3repE0EEENS1_30default_config_static_selectorELNS0_4arch9wavefront6targetE0EEEvT1_,@function
_ZN7rocprim17ROCPRIM_400000_NS6detail17trampoline_kernelINS0_14default_configENS1_27scan_by_key_config_selectorIiiEEZZNS1_16scan_by_key_implILNS1_25lookback_scan_determinismE0ELb1ES3_N6thrust23THRUST_200600_302600_NS6detail15normal_iteratorINS9_10device_ptrIiEEEESE_SE_iNS9_4plusIvEENS9_8equal_toIiEEiEE10hipError_tPvRmT2_T3_T4_T5_mT6_T7_P12ihipStream_tbENKUlT_T0_E_clISt17integral_constantIbLb1EESY_IbLb0EEEEDaSU_SV_EUlSU_E_NS1_11comp_targetILNS1_3genE2ELNS1_11target_archE906ELNS1_3gpuE6ELNS1_3repE0EEENS1_30default_config_static_selectorELNS0_4arch9wavefront6targetE0EEEvT1_: ; @_ZN7rocprim17ROCPRIM_400000_NS6detail17trampoline_kernelINS0_14default_configENS1_27scan_by_key_config_selectorIiiEEZZNS1_16scan_by_key_implILNS1_25lookback_scan_determinismE0ELb1ES3_N6thrust23THRUST_200600_302600_NS6detail15normal_iteratorINS9_10device_ptrIiEEEESE_SE_iNS9_4plusIvEENS9_8equal_toIiEEiEE10hipError_tPvRmT2_T3_T4_T5_mT6_T7_P12ihipStream_tbENKUlT_T0_E_clISt17integral_constantIbLb1EESY_IbLb0EEEEDaSU_SV_EUlSU_E_NS1_11comp_targetILNS1_3genE2ELNS1_11target_archE906ELNS1_3gpuE6ELNS1_3repE0EEENS1_30default_config_static_selectorELNS0_4arch9wavefront6targetE0EEEvT1_
; %bb.0:
	.section	.rodata,"a",@progbits
	.p2align	6, 0x0
	.amdhsa_kernel _ZN7rocprim17ROCPRIM_400000_NS6detail17trampoline_kernelINS0_14default_configENS1_27scan_by_key_config_selectorIiiEEZZNS1_16scan_by_key_implILNS1_25lookback_scan_determinismE0ELb1ES3_N6thrust23THRUST_200600_302600_NS6detail15normal_iteratorINS9_10device_ptrIiEEEESE_SE_iNS9_4plusIvEENS9_8equal_toIiEEiEE10hipError_tPvRmT2_T3_T4_T5_mT6_T7_P12ihipStream_tbENKUlT_T0_E_clISt17integral_constantIbLb1EESY_IbLb0EEEEDaSU_SV_EUlSU_E_NS1_11comp_targetILNS1_3genE2ELNS1_11target_archE906ELNS1_3gpuE6ELNS1_3repE0EEENS1_30default_config_static_selectorELNS0_4arch9wavefront6targetE0EEEvT1_
		.amdhsa_group_segment_fixed_size 0
		.amdhsa_private_segment_fixed_size 0
		.amdhsa_kernarg_size 112
		.amdhsa_user_sgpr_count 6
		.amdhsa_user_sgpr_private_segment_buffer 1
		.amdhsa_user_sgpr_dispatch_ptr 0
		.amdhsa_user_sgpr_queue_ptr 0
		.amdhsa_user_sgpr_kernarg_segment_ptr 1
		.amdhsa_user_sgpr_dispatch_id 0
		.amdhsa_user_sgpr_flat_scratch_init 0
		.amdhsa_user_sgpr_private_segment_size 0
		.amdhsa_wavefront_size32 1
		.amdhsa_uses_dynamic_stack 0
		.amdhsa_system_sgpr_private_segment_wavefront_offset 0
		.amdhsa_system_sgpr_workgroup_id_x 1
		.amdhsa_system_sgpr_workgroup_id_y 0
		.amdhsa_system_sgpr_workgroup_id_z 0
		.amdhsa_system_sgpr_workgroup_info 0
		.amdhsa_system_vgpr_workitem_id 0
		.amdhsa_next_free_vgpr 1
		.amdhsa_next_free_sgpr 1
		.amdhsa_reserve_vcc 0
		.amdhsa_reserve_flat_scratch 0
		.amdhsa_float_round_mode_32 0
		.amdhsa_float_round_mode_16_64 0
		.amdhsa_float_denorm_mode_32 3
		.amdhsa_float_denorm_mode_16_64 3
		.amdhsa_dx10_clamp 1
		.amdhsa_ieee_mode 1
		.amdhsa_fp16_overflow 0
		.amdhsa_workgroup_processor_mode 1
		.amdhsa_memory_ordered 1
		.amdhsa_forward_progress 1
		.amdhsa_shared_vgpr_count 0
		.amdhsa_exception_fp_ieee_invalid_op 0
		.amdhsa_exception_fp_denorm_src 0
		.amdhsa_exception_fp_ieee_div_zero 0
		.amdhsa_exception_fp_ieee_overflow 0
		.amdhsa_exception_fp_ieee_underflow 0
		.amdhsa_exception_fp_ieee_inexact 0
		.amdhsa_exception_int_div_zero 0
	.end_amdhsa_kernel
	.section	.text._ZN7rocprim17ROCPRIM_400000_NS6detail17trampoline_kernelINS0_14default_configENS1_27scan_by_key_config_selectorIiiEEZZNS1_16scan_by_key_implILNS1_25lookback_scan_determinismE0ELb1ES3_N6thrust23THRUST_200600_302600_NS6detail15normal_iteratorINS9_10device_ptrIiEEEESE_SE_iNS9_4plusIvEENS9_8equal_toIiEEiEE10hipError_tPvRmT2_T3_T4_T5_mT6_T7_P12ihipStream_tbENKUlT_T0_E_clISt17integral_constantIbLb1EESY_IbLb0EEEEDaSU_SV_EUlSU_E_NS1_11comp_targetILNS1_3genE2ELNS1_11target_archE906ELNS1_3gpuE6ELNS1_3repE0EEENS1_30default_config_static_selectorELNS0_4arch9wavefront6targetE0EEEvT1_,"axG",@progbits,_ZN7rocprim17ROCPRIM_400000_NS6detail17trampoline_kernelINS0_14default_configENS1_27scan_by_key_config_selectorIiiEEZZNS1_16scan_by_key_implILNS1_25lookback_scan_determinismE0ELb1ES3_N6thrust23THRUST_200600_302600_NS6detail15normal_iteratorINS9_10device_ptrIiEEEESE_SE_iNS9_4plusIvEENS9_8equal_toIiEEiEE10hipError_tPvRmT2_T3_T4_T5_mT6_T7_P12ihipStream_tbENKUlT_T0_E_clISt17integral_constantIbLb1EESY_IbLb0EEEEDaSU_SV_EUlSU_E_NS1_11comp_targetILNS1_3genE2ELNS1_11target_archE906ELNS1_3gpuE6ELNS1_3repE0EEENS1_30default_config_static_selectorELNS0_4arch9wavefront6targetE0EEEvT1_,comdat
.Lfunc_end556:
	.size	_ZN7rocprim17ROCPRIM_400000_NS6detail17trampoline_kernelINS0_14default_configENS1_27scan_by_key_config_selectorIiiEEZZNS1_16scan_by_key_implILNS1_25lookback_scan_determinismE0ELb1ES3_N6thrust23THRUST_200600_302600_NS6detail15normal_iteratorINS9_10device_ptrIiEEEESE_SE_iNS9_4plusIvEENS9_8equal_toIiEEiEE10hipError_tPvRmT2_T3_T4_T5_mT6_T7_P12ihipStream_tbENKUlT_T0_E_clISt17integral_constantIbLb1EESY_IbLb0EEEEDaSU_SV_EUlSU_E_NS1_11comp_targetILNS1_3genE2ELNS1_11target_archE906ELNS1_3gpuE6ELNS1_3repE0EEENS1_30default_config_static_selectorELNS0_4arch9wavefront6targetE0EEEvT1_, .Lfunc_end556-_ZN7rocprim17ROCPRIM_400000_NS6detail17trampoline_kernelINS0_14default_configENS1_27scan_by_key_config_selectorIiiEEZZNS1_16scan_by_key_implILNS1_25lookback_scan_determinismE0ELb1ES3_N6thrust23THRUST_200600_302600_NS6detail15normal_iteratorINS9_10device_ptrIiEEEESE_SE_iNS9_4plusIvEENS9_8equal_toIiEEiEE10hipError_tPvRmT2_T3_T4_T5_mT6_T7_P12ihipStream_tbENKUlT_T0_E_clISt17integral_constantIbLb1EESY_IbLb0EEEEDaSU_SV_EUlSU_E_NS1_11comp_targetILNS1_3genE2ELNS1_11target_archE906ELNS1_3gpuE6ELNS1_3repE0EEENS1_30default_config_static_selectorELNS0_4arch9wavefront6targetE0EEEvT1_
                                        ; -- End function
	.set _ZN7rocprim17ROCPRIM_400000_NS6detail17trampoline_kernelINS0_14default_configENS1_27scan_by_key_config_selectorIiiEEZZNS1_16scan_by_key_implILNS1_25lookback_scan_determinismE0ELb1ES3_N6thrust23THRUST_200600_302600_NS6detail15normal_iteratorINS9_10device_ptrIiEEEESE_SE_iNS9_4plusIvEENS9_8equal_toIiEEiEE10hipError_tPvRmT2_T3_T4_T5_mT6_T7_P12ihipStream_tbENKUlT_T0_E_clISt17integral_constantIbLb1EESY_IbLb0EEEEDaSU_SV_EUlSU_E_NS1_11comp_targetILNS1_3genE2ELNS1_11target_archE906ELNS1_3gpuE6ELNS1_3repE0EEENS1_30default_config_static_selectorELNS0_4arch9wavefront6targetE0EEEvT1_.num_vgpr, 0
	.set _ZN7rocprim17ROCPRIM_400000_NS6detail17trampoline_kernelINS0_14default_configENS1_27scan_by_key_config_selectorIiiEEZZNS1_16scan_by_key_implILNS1_25lookback_scan_determinismE0ELb1ES3_N6thrust23THRUST_200600_302600_NS6detail15normal_iteratorINS9_10device_ptrIiEEEESE_SE_iNS9_4plusIvEENS9_8equal_toIiEEiEE10hipError_tPvRmT2_T3_T4_T5_mT6_T7_P12ihipStream_tbENKUlT_T0_E_clISt17integral_constantIbLb1EESY_IbLb0EEEEDaSU_SV_EUlSU_E_NS1_11comp_targetILNS1_3genE2ELNS1_11target_archE906ELNS1_3gpuE6ELNS1_3repE0EEENS1_30default_config_static_selectorELNS0_4arch9wavefront6targetE0EEEvT1_.num_agpr, 0
	.set _ZN7rocprim17ROCPRIM_400000_NS6detail17trampoline_kernelINS0_14default_configENS1_27scan_by_key_config_selectorIiiEEZZNS1_16scan_by_key_implILNS1_25lookback_scan_determinismE0ELb1ES3_N6thrust23THRUST_200600_302600_NS6detail15normal_iteratorINS9_10device_ptrIiEEEESE_SE_iNS9_4plusIvEENS9_8equal_toIiEEiEE10hipError_tPvRmT2_T3_T4_T5_mT6_T7_P12ihipStream_tbENKUlT_T0_E_clISt17integral_constantIbLb1EESY_IbLb0EEEEDaSU_SV_EUlSU_E_NS1_11comp_targetILNS1_3genE2ELNS1_11target_archE906ELNS1_3gpuE6ELNS1_3repE0EEENS1_30default_config_static_selectorELNS0_4arch9wavefront6targetE0EEEvT1_.numbered_sgpr, 0
	.set _ZN7rocprim17ROCPRIM_400000_NS6detail17trampoline_kernelINS0_14default_configENS1_27scan_by_key_config_selectorIiiEEZZNS1_16scan_by_key_implILNS1_25lookback_scan_determinismE0ELb1ES3_N6thrust23THRUST_200600_302600_NS6detail15normal_iteratorINS9_10device_ptrIiEEEESE_SE_iNS9_4plusIvEENS9_8equal_toIiEEiEE10hipError_tPvRmT2_T3_T4_T5_mT6_T7_P12ihipStream_tbENKUlT_T0_E_clISt17integral_constantIbLb1EESY_IbLb0EEEEDaSU_SV_EUlSU_E_NS1_11comp_targetILNS1_3genE2ELNS1_11target_archE906ELNS1_3gpuE6ELNS1_3repE0EEENS1_30default_config_static_selectorELNS0_4arch9wavefront6targetE0EEEvT1_.num_named_barrier, 0
	.set _ZN7rocprim17ROCPRIM_400000_NS6detail17trampoline_kernelINS0_14default_configENS1_27scan_by_key_config_selectorIiiEEZZNS1_16scan_by_key_implILNS1_25lookback_scan_determinismE0ELb1ES3_N6thrust23THRUST_200600_302600_NS6detail15normal_iteratorINS9_10device_ptrIiEEEESE_SE_iNS9_4plusIvEENS9_8equal_toIiEEiEE10hipError_tPvRmT2_T3_T4_T5_mT6_T7_P12ihipStream_tbENKUlT_T0_E_clISt17integral_constantIbLb1EESY_IbLb0EEEEDaSU_SV_EUlSU_E_NS1_11comp_targetILNS1_3genE2ELNS1_11target_archE906ELNS1_3gpuE6ELNS1_3repE0EEENS1_30default_config_static_selectorELNS0_4arch9wavefront6targetE0EEEvT1_.private_seg_size, 0
	.set _ZN7rocprim17ROCPRIM_400000_NS6detail17trampoline_kernelINS0_14default_configENS1_27scan_by_key_config_selectorIiiEEZZNS1_16scan_by_key_implILNS1_25lookback_scan_determinismE0ELb1ES3_N6thrust23THRUST_200600_302600_NS6detail15normal_iteratorINS9_10device_ptrIiEEEESE_SE_iNS9_4plusIvEENS9_8equal_toIiEEiEE10hipError_tPvRmT2_T3_T4_T5_mT6_T7_P12ihipStream_tbENKUlT_T0_E_clISt17integral_constantIbLb1EESY_IbLb0EEEEDaSU_SV_EUlSU_E_NS1_11comp_targetILNS1_3genE2ELNS1_11target_archE906ELNS1_3gpuE6ELNS1_3repE0EEENS1_30default_config_static_selectorELNS0_4arch9wavefront6targetE0EEEvT1_.uses_vcc, 0
	.set _ZN7rocprim17ROCPRIM_400000_NS6detail17trampoline_kernelINS0_14default_configENS1_27scan_by_key_config_selectorIiiEEZZNS1_16scan_by_key_implILNS1_25lookback_scan_determinismE0ELb1ES3_N6thrust23THRUST_200600_302600_NS6detail15normal_iteratorINS9_10device_ptrIiEEEESE_SE_iNS9_4plusIvEENS9_8equal_toIiEEiEE10hipError_tPvRmT2_T3_T4_T5_mT6_T7_P12ihipStream_tbENKUlT_T0_E_clISt17integral_constantIbLb1EESY_IbLb0EEEEDaSU_SV_EUlSU_E_NS1_11comp_targetILNS1_3genE2ELNS1_11target_archE906ELNS1_3gpuE6ELNS1_3repE0EEENS1_30default_config_static_selectorELNS0_4arch9wavefront6targetE0EEEvT1_.uses_flat_scratch, 0
	.set _ZN7rocprim17ROCPRIM_400000_NS6detail17trampoline_kernelINS0_14default_configENS1_27scan_by_key_config_selectorIiiEEZZNS1_16scan_by_key_implILNS1_25lookback_scan_determinismE0ELb1ES3_N6thrust23THRUST_200600_302600_NS6detail15normal_iteratorINS9_10device_ptrIiEEEESE_SE_iNS9_4plusIvEENS9_8equal_toIiEEiEE10hipError_tPvRmT2_T3_T4_T5_mT6_T7_P12ihipStream_tbENKUlT_T0_E_clISt17integral_constantIbLb1EESY_IbLb0EEEEDaSU_SV_EUlSU_E_NS1_11comp_targetILNS1_3genE2ELNS1_11target_archE906ELNS1_3gpuE6ELNS1_3repE0EEENS1_30default_config_static_selectorELNS0_4arch9wavefront6targetE0EEEvT1_.has_dyn_sized_stack, 0
	.set _ZN7rocprim17ROCPRIM_400000_NS6detail17trampoline_kernelINS0_14default_configENS1_27scan_by_key_config_selectorIiiEEZZNS1_16scan_by_key_implILNS1_25lookback_scan_determinismE0ELb1ES3_N6thrust23THRUST_200600_302600_NS6detail15normal_iteratorINS9_10device_ptrIiEEEESE_SE_iNS9_4plusIvEENS9_8equal_toIiEEiEE10hipError_tPvRmT2_T3_T4_T5_mT6_T7_P12ihipStream_tbENKUlT_T0_E_clISt17integral_constantIbLb1EESY_IbLb0EEEEDaSU_SV_EUlSU_E_NS1_11comp_targetILNS1_3genE2ELNS1_11target_archE906ELNS1_3gpuE6ELNS1_3repE0EEENS1_30default_config_static_selectorELNS0_4arch9wavefront6targetE0EEEvT1_.has_recursion, 0
	.set _ZN7rocprim17ROCPRIM_400000_NS6detail17trampoline_kernelINS0_14default_configENS1_27scan_by_key_config_selectorIiiEEZZNS1_16scan_by_key_implILNS1_25lookback_scan_determinismE0ELb1ES3_N6thrust23THRUST_200600_302600_NS6detail15normal_iteratorINS9_10device_ptrIiEEEESE_SE_iNS9_4plusIvEENS9_8equal_toIiEEiEE10hipError_tPvRmT2_T3_T4_T5_mT6_T7_P12ihipStream_tbENKUlT_T0_E_clISt17integral_constantIbLb1EESY_IbLb0EEEEDaSU_SV_EUlSU_E_NS1_11comp_targetILNS1_3genE2ELNS1_11target_archE906ELNS1_3gpuE6ELNS1_3repE0EEENS1_30default_config_static_selectorELNS0_4arch9wavefront6targetE0EEEvT1_.has_indirect_call, 0
	.section	.AMDGPU.csdata,"",@progbits
; Kernel info:
; codeLenInByte = 0
; TotalNumSgprs: 0
; NumVgprs: 0
; ScratchSize: 0
; MemoryBound: 0
; FloatMode: 240
; IeeeMode: 1
; LDSByteSize: 0 bytes/workgroup (compile time only)
; SGPRBlocks: 0
; VGPRBlocks: 0
; NumSGPRsForWavesPerEU: 1
; NumVGPRsForWavesPerEU: 1
; Occupancy: 16
; WaveLimiterHint : 0
; COMPUTE_PGM_RSRC2:SCRATCH_EN: 0
; COMPUTE_PGM_RSRC2:USER_SGPR: 6
; COMPUTE_PGM_RSRC2:TRAP_HANDLER: 0
; COMPUTE_PGM_RSRC2:TGID_X_EN: 1
; COMPUTE_PGM_RSRC2:TGID_Y_EN: 0
; COMPUTE_PGM_RSRC2:TGID_Z_EN: 0
; COMPUTE_PGM_RSRC2:TIDIG_COMP_CNT: 0
	.section	.text._ZN7rocprim17ROCPRIM_400000_NS6detail17trampoline_kernelINS0_14default_configENS1_27scan_by_key_config_selectorIiiEEZZNS1_16scan_by_key_implILNS1_25lookback_scan_determinismE0ELb1ES3_N6thrust23THRUST_200600_302600_NS6detail15normal_iteratorINS9_10device_ptrIiEEEESE_SE_iNS9_4plusIvEENS9_8equal_toIiEEiEE10hipError_tPvRmT2_T3_T4_T5_mT6_T7_P12ihipStream_tbENKUlT_T0_E_clISt17integral_constantIbLb1EESY_IbLb0EEEEDaSU_SV_EUlSU_E_NS1_11comp_targetILNS1_3genE10ELNS1_11target_archE1200ELNS1_3gpuE4ELNS1_3repE0EEENS1_30default_config_static_selectorELNS0_4arch9wavefront6targetE0EEEvT1_,"axG",@progbits,_ZN7rocprim17ROCPRIM_400000_NS6detail17trampoline_kernelINS0_14default_configENS1_27scan_by_key_config_selectorIiiEEZZNS1_16scan_by_key_implILNS1_25lookback_scan_determinismE0ELb1ES3_N6thrust23THRUST_200600_302600_NS6detail15normal_iteratorINS9_10device_ptrIiEEEESE_SE_iNS9_4plusIvEENS9_8equal_toIiEEiEE10hipError_tPvRmT2_T3_T4_T5_mT6_T7_P12ihipStream_tbENKUlT_T0_E_clISt17integral_constantIbLb1EESY_IbLb0EEEEDaSU_SV_EUlSU_E_NS1_11comp_targetILNS1_3genE10ELNS1_11target_archE1200ELNS1_3gpuE4ELNS1_3repE0EEENS1_30default_config_static_selectorELNS0_4arch9wavefront6targetE0EEEvT1_,comdat
	.protected	_ZN7rocprim17ROCPRIM_400000_NS6detail17trampoline_kernelINS0_14default_configENS1_27scan_by_key_config_selectorIiiEEZZNS1_16scan_by_key_implILNS1_25lookback_scan_determinismE0ELb1ES3_N6thrust23THRUST_200600_302600_NS6detail15normal_iteratorINS9_10device_ptrIiEEEESE_SE_iNS9_4plusIvEENS9_8equal_toIiEEiEE10hipError_tPvRmT2_T3_T4_T5_mT6_T7_P12ihipStream_tbENKUlT_T0_E_clISt17integral_constantIbLb1EESY_IbLb0EEEEDaSU_SV_EUlSU_E_NS1_11comp_targetILNS1_3genE10ELNS1_11target_archE1200ELNS1_3gpuE4ELNS1_3repE0EEENS1_30default_config_static_selectorELNS0_4arch9wavefront6targetE0EEEvT1_ ; -- Begin function _ZN7rocprim17ROCPRIM_400000_NS6detail17trampoline_kernelINS0_14default_configENS1_27scan_by_key_config_selectorIiiEEZZNS1_16scan_by_key_implILNS1_25lookback_scan_determinismE0ELb1ES3_N6thrust23THRUST_200600_302600_NS6detail15normal_iteratorINS9_10device_ptrIiEEEESE_SE_iNS9_4plusIvEENS9_8equal_toIiEEiEE10hipError_tPvRmT2_T3_T4_T5_mT6_T7_P12ihipStream_tbENKUlT_T0_E_clISt17integral_constantIbLb1EESY_IbLb0EEEEDaSU_SV_EUlSU_E_NS1_11comp_targetILNS1_3genE10ELNS1_11target_archE1200ELNS1_3gpuE4ELNS1_3repE0EEENS1_30default_config_static_selectorELNS0_4arch9wavefront6targetE0EEEvT1_
	.globl	_ZN7rocprim17ROCPRIM_400000_NS6detail17trampoline_kernelINS0_14default_configENS1_27scan_by_key_config_selectorIiiEEZZNS1_16scan_by_key_implILNS1_25lookback_scan_determinismE0ELb1ES3_N6thrust23THRUST_200600_302600_NS6detail15normal_iteratorINS9_10device_ptrIiEEEESE_SE_iNS9_4plusIvEENS9_8equal_toIiEEiEE10hipError_tPvRmT2_T3_T4_T5_mT6_T7_P12ihipStream_tbENKUlT_T0_E_clISt17integral_constantIbLb1EESY_IbLb0EEEEDaSU_SV_EUlSU_E_NS1_11comp_targetILNS1_3genE10ELNS1_11target_archE1200ELNS1_3gpuE4ELNS1_3repE0EEENS1_30default_config_static_selectorELNS0_4arch9wavefront6targetE0EEEvT1_
	.p2align	8
	.type	_ZN7rocprim17ROCPRIM_400000_NS6detail17trampoline_kernelINS0_14default_configENS1_27scan_by_key_config_selectorIiiEEZZNS1_16scan_by_key_implILNS1_25lookback_scan_determinismE0ELb1ES3_N6thrust23THRUST_200600_302600_NS6detail15normal_iteratorINS9_10device_ptrIiEEEESE_SE_iNS9_4plusIvEENS9_8equal_toIiEEiEE10hipError_tPvRmT2_T3_T4_T5_mT6_T7_P12ihipStream_tbENKUlT_T0_E_clISt17integral_constantIbLb1EESY_IbLb0EEEEDaSU_SV_EUlSU_E_NS1_11comp_targetILNS1_3genE10ELNS1_11target_archE1200ELNS1_3gpuE4ELNS1_3repE0EEENS1_30default_config_static_selectorELNS0_4arch9wavefront6targetE0EEEvT1_,@function
_ZN7rocprim17ROCPRIM_400000_NS6detail17trampoline_kernelINS0_14default_configENS1_27scan_by_key_config_selectorIiiEEZZNS1_16scan_by_key_implILNS1_25lookback_scan_determinismE0ELb1ES3_N6thrust23THRUST_200600_302600_NS6detail15normal_iteratorINS9_10device_ptrIiEEEESE_SE_iNS9_4plusIvEENS9_8equal_toIiEEiEE10hipError_tPvRmT2_T3_T4_T5_mT6_T7_P12ihipStream_tbENKUlT_T0_E_clISt17integral_constantIbLb1EESY_IbLb0EEEEDaSU_SV_EUlSU_E_NS1_11comp_targetILNS1_3genE10ELNS1_11target_archE1200ELNS1_3gpuE4ELNS1_3repE0EEENS1_30default_config_static_selectorELNS0_4arch9wavefront6targetE0EEEvT1_: ; @_ZN7rocprim17ROCPRIM_400000_NS6detail17trampoline_kernelINS0_14default_configENS1_27scan_by_key_config_selectorIiiEEZZNS1_16scan_by_key_implILNS1_25lookback_scan_determinismE0ELb1ES3_N6thrust23THRUST_200600_302600_NS6detail15normal_iteratorINS9_10device_ptrIiEEEESE_SE_iNS9_4plusIvEENS9_8equal_toIiEEiEE10hipError_tPvRmT2_T3_T4_T5_mT6_T7_P12ihipStream_tbENKUlT_T0_E_clISt17integral_constantIbLb1EESY_IbLb0EEEEDaSU_SV_EUlSU_E_NS1_11comp_targetILNS1_3genE10ELNS1_11target_archE1200ELNS1_3gpuE4ELNS1_3repE0EEENS1_30default_config_static_selectorELNS0_4arch9wavefront6targetE0EEEvT1_
; %bb.0:
	.section	.rodata,"a",@progbits
	.p2align	6, 0x0
	.amdhsa_kernel _ZN7rocprim17ROCPRIM_400000_NS6detail17trampoline_kernelINS0_14default_configENS1_27scan_by_key_config_selectorIiiEEZZNS1_16scan_by_key_implILNS1_25lookback_scan_determinismE0ELb1ES3_N6thrust23THRUST_200600_302600_NS6detail15normal_iteratorINS9_10device_ptrIiEEEESE_SE_iNS9_4plusIvEENS9_8equal_toIiEEiEE10hipError_tPvRmT2_T3_T4_T5_mT6_T7_P12ihipStream_tbENKUlT_T0_E_clISt17integral_constantIbLb1EESY_IbLb0EEEEDaSU_SV_EUlSU_E_NS1_11comp_targetILNS1_3genE10ELNS1_11target_archE1200ELNS1_3gpuE4ELNS1_3repE0EEENS1_30default_config_static_selectorELNS0_4arch9wavefront6targetE0EEEvT1_
		.amdhsa_group_segment_fixed_size 0
		.amdhsa_private_segment_fixed_size 0
		.amdhsa_kernarg_size 112
		.amdhsa_user_sgpr_count 6
		.amdhsa_user_sgpr_private_segment_buffer 1
		.amdhsa_user_sgpr_dispatch_ptr 0
		.amdhsa_user_sgpr_queue_ptr 0
		.amdhsa_user_sgpr_kernarg_segment_ptr 1
		.amdhsa_user_sgpr_dispatch_id 0
		.amdhsa_user_sgpr_flat_scratch_init 0
		.amdhsa_user_sgpr_private_segment_size 0
		.amdhsa_wavefront_size32 1
		.amdhsa_uses_dynamic_stack 0
		.amdhsa_system_sgpr_private_segment_wavefront_offset 0
		.amdhsa_system_sgpr_workgroup_id_x 1
		.amdhsa_system_sgpr_workgroup_id_y 0
		.amdhsa_system_sgpr_workgroup_id_z 0
		.amdhsa_system_sgpr_workgroup_info 0
		.amdhsa_system_vgpr_workitem_id 0
		.amdhsa_next_free_vgpr 1
		.amdhsa_next_free_sgpr 1
		.amdhsa_reserve_vcc 0
		.amdhsa_reserve_flat_scratch 0
		.amdhsa_float_round_mode_32 0
		.amdhsa_float_round_mode_16_64 0
		.amdhsa_float_denorm_mode_32 3
		.amdhsa_float_denorm_mode_16_64 3
		.amdhsa_dx10_clamp 1
		.amdhsa_ieee_mode 1
		.amdhsa_fp16_overflow 0
		.amdhsa_workgroup_processor_mode 1
		.amdhsa_memory_ordered 1
		.amdhsa_forward_progress 1
		.amdhsa_shared_vgpr_count 0
		.amdhsa_exception_fp_ieee_invalid_op 0
		.amdhsa_exception_fp_denorm_src 0
		.amdhsa_exception_fp_ieee_div_zero 0
		.amdhsa_exception_fp_ieee_overflow 0
		.amdhsa_exception_fp_ieee_underflow 0
		.amdhsa_exception_fp_ieee_inexact 0
		.amdhsa_exception_int_div_zero 0
	.end_amdhsa_kernel
	.section	.text._ZN7rocprim17ROCPRIM_400000_NS6detail17trampoline_kernelINS0_14default_configENS1_27scan_by_key_config_selectorIiiEEZZNS1_16scan_by_key_implILNS1_25lookback_scan_determinismE0ELb1ES3_N6thrust23THRUST_200600_302600_NS6detail15normal_iteratorINS9_10device_ptrIiEEEESE_SE_iNS9_4plusIvEENS9_8equal_toIiEEiEE10hipError_tPvRmT2_T3_T4_T5_mT6_T7_P12ihipStream_tbENKUlT_T0_E_clISt17integral_constantIbLb1EESY_IbLb0EEEEDaSU_SV_EUlSU_E_NS1_11comp_targetILNS1_3genE10ELNS1_11target_archE1200ELNS1_3gpuE4ELNS1_3repE0EEENS1_30default_config_static_selectorELNS0_4arch9wavefront6targetE0EEEvT1_,"axG",@progbits,_ZN7rocprim17ROCPRIM_400000_NS6detail17trampoline_kernelINS0_14default_configENS1_27scan_by_key_config_selectorIiiEEZZNS1_16scan_by_key_implILNS1_25lookback_scan_determinismE0ELb1ES3_N6thrust23THRUST_200600_302600_NS6detail15normal_iteratorINS9_10device_ptrIiEEEESE_SE_iNS9_4plusIvEENS9_8equal_toIiEEiEE10hipError_tPvRmT2_T3_T4_T5_mT6_T7_P12ihipStream_tbENKUlT_T0_E_clISt17integral_constantIbLb1EESY_IbLb0EEEEDaSU_SV_EUlSU_E_NS1_11comp_targetILNS1_3genE10ELNS1_11target_archE1200ELNS1_3gpuE4ELNS1_3repE0EEENS1_30default_config_static_selectorELNS0_4arch9wavefront6targetE0EEEvT1_,comdat
.Lfunc_end557:
	.size	_ZN7rocprim17ROCPRIM_400000_NS6detail17trampoline_kernelINS0_14default_configENS1_27scan_by_key_config_selectorIiiEEZZNS1_16scan_by_key_implILNS1_25lookback_scan_determinismE0ELb1ES3_N6thrust23THRUST_200600_302600_NS6detail15normal_iteratorINS9_10device_ptrIiEEEESE_SE_iNS9_4plusIvEENS9_8equal_toIiEEiEE10hipError_tPvRmT2_T3_T4_T5_mT6_T7_P12ihipStream_tbENKUlT_T0_E_clISt17integral_constantIbLb1EESY_IbLb0EEEEDaSU_SV_EUlSU_E_NS1_11comp_targetILNS1_3genE10ELNS1_11target_archE1200ELNS1_3gpuE4ELNS1_3repE0EEENS1_30default_config_static_selectorELNS0_4arch9wavefront6targetE0EEEvT1_, .Lfunc_end557-_ZN7rocprim17ROCPRIM_400000_NS6detail17trampoline_kernelINS0_14default_configENS1_27scan_by_key_config_selectorIiiEEZZNS1_16scan_by_key_implILNS1_25lookback_scan_determinismE0ELb1ES3_N6thrust23THRUST_200600_302600_NS6detail15normal_iteratorINS9_10device_ptrIiEEEESE_SE_iNS9_4plusIvEENS9_8equal_toIiEEiEE10hipError_tPvRmT2_T3_T4_T5_mT6_T7_P12ihipStream_tbENKUlT_T0_E_clISt17integral_constantIbLb1EESY_IbLb0EEEEDaSU_SV_EUlSU_E_NS1_11comp_targetILNS1_3genE10ELNS1_11target_archE1200ELNS1_3gpuE4ELNS1_3repE0EEENS1_30default_config_static_selectorELNS0_4arch9wavefront6targetE0EEEvT1_
                                        ; -- End function
	.set _ZN7rocprim17ROCPRIM_400000_NS6detail17trampoline_kernelINS0_14default_configENS1_27scan_by_key_config_selectorIiiEEZZNS1_16scan_by_key_implILNS1_25lookback_scan_determinismE0ELb1ES3_N6thrust23THRUST_200600_302600_NS6detail15normal_iteratorINS9_10device_ptrIiEEEESE_SE_iNS9_4plusIvEENS9_8equal_toIiEEiEE10hipError_tPvRmT2_T3_T4_T5_mT6_T7_P12ihipStream_tbENKUlT_T0_E_clISt17integral_constantIbLb1EESY_IbLb0EEEEDaSU_SV_EUlSU_E_NS1_11comp_targetILNS1_3genE10ELNS1_11target_archE1200ELNS1_3gpuE4ELNS1_3repE0EEENS1_30default_config_static_selectorELNS0_4arch9wavefront6targetE0EEEvT1_.num_vgpr, 0
	.set _ZN7rocprim17ROCPRIM_400000_NS6detail17trampoline_kernelINS0_14default_configENS1_27scan_by_key_config_selectorIiiEEZZNS1_16scan_by_key_implILNS1_25lookback_scan_determinismE0ELb1ES3_N6thrust23THRUST_200600_302600_NS6detail15normal_iteratorINS9_10device_ptrIiEEEESE_SE_iNS9_4plusIvEENS9_8equal_toIiEEiEE10hipError_tPvRmT2_T3_T4_T5_mT6_T7_P12ihipStream_tbENKUlT_T0_E_clISt17integral_constantIbLb1EESY_IbLb0EEEEDaSU_SV_EUlSU_E_NS1_11comp_targetILNS1_3genE10ELNS1_11target_archE1200ELNS1_3gpuE4ELNS1_3repE0EEENS1_30default_config_static_selectorELNS0_4arch9wavefront6targetE0EEEvT1_.num_agpr, 0
	.set _ZN7rocprim17ROCPRIM_400000_NS6detail17trampoline_kernelINS0_14default_configENS1_27scan_by_key_config_selectorIiiEEZZNS1_16scan_by_key_implILNS1_25lookback_scan_determinismE0ELb1ES3_N6thrust23THRUST_200600_302600_NS6detail15normal_iteratorINS9_10device_ptrIiEEEESE_SE_iNS9_4plusIvEENS9_8equal_toIiEEiEE10hipError_tPvRmT2_T3_T4_T5_mT6_T7_P12ihipStream_tbENKUlT_T0_E_clISt17integral_constantIbLb1EESY_IbLb0EEEEDaSU_SV_EUlSU_E_NS1_11comp_targetILNS1_3genE10ELNS1_11target_archE1200ELNS1_3gpuE4ELNS1_3repE0EEENS1_30default_config_static_selectorELNS0_4arch9wavefront6targetE0EEEvT1_.numbered_sgpr, 0
	.set _ZN7rocprim17ROCPRIM_400000_NS6detail17trampoline_kernelINS0_14default_configENS1_27scan_by_key_config_selectorIiiEEZZNS1_16scan_by_key_implILNS1_25lookback_scan_determinismE0ELb1ES3_N6thrust23THRUST_200600_302600_NS6detail15normal_iteratorINS9_10device_ptrIiEEEESE_SE_iNS9_4plusIvEENS9_8equal_toIiEEiEE10hipError_tPvRmT2_T3_T4_T5_mT6_T7_P12ihipStream_tbENKUlT_T0_E_clISt17integral_constantIbLb1EESY_IbLb0EEEEDaSU_SV_EUlSU_E_NS1_11comp_targetILNS1_3genE10ELNS1_11target_archE1200ELNS1_3gpuE4ELNS1_3repE0EEENS1_30default_config_static_selectorELNS0_4arch9wavefront6targetE0EEEvT1_.num_named_barrier, 0
	.set _ZN7rocprim17ROCPRIM_400000_NS6detail17trampoline_kernelINS0_14default_configENS1_27scan_by_key_config_selectorIiiEEZZNS1_16scan_by_key_implILNS1_25lookback_scan_determinismE0ELb1ES3_N6thrust23THRUST_200600_302600_NS6detail15normal_iteratorINS9_10device_ptrIiEEEESE_SE_iNS9_4plusIvEENS9_8equal_toIiEEiEE10hipError_tPvRmT2_T3_T4_T5_mT6_T7_P12ihipStream_tbENKUlT_T0_E_clISt17integral_constantIbLb1EESY_IbLb0EEEEDaSU_SV_EUlSU_E_NS1_11comp_targetILNS1_3genE10ELNS1_11target_archE1200ELNS1_3gpuE4ELNS1_3repE0EEENS1_30default_config_static_selectorELNS0_4arch9wavefront6targetE0EEEvT1_.private_seg_size, 0
	.set _ZN7rocprim17ROCPRIM_400000_NS6detail17trampoline_kernelINS0_14default_configENS1_27scan_by_key_config_selectorIiiEEZZNS1_16scan_by_key_implILNS1_25lookback_scan_determinismE0ELb1ES3_N6thrust23THRUST_200600_302600_NS6detail15normal_iteratorINS9_10device_ptrIiEEEESE_SE_iNS9_4plusIvEENS9_8equal_toIiEEiEE10hipError_tPvRmT2_T3_T4_T5_mT6_T7_P12ihipStream_tbENKUlT_T0_E_clISt17integral_constantIbLb1EESY_IbLb0EEEEDaSU_SV_EUlSU_E_NS1_11comp_targetILNS1_3genE10ELNS1_11target_archE1200ELNS1_3gpuE4ELNS1_3repE0EEENS1_30default_config_static_selectorELNS0_4arch9wavefront6targetE0EEEvT1_.uses_vcc, 0
	.set _ZN7rocprim17ROCPRIM_400000_NS6detail17trampoline_kernelINS0_14default_configENS1_27scan_by_key_config_selectorIiiEEZZNS1_16scan_by_key_implILNS1_25lookback_scan_determinismE0ELb1ES3_N6thrust23THRUST_200600_302600_NS6detail15normal_iteratorINS9_10device_ptrIiEEEESE_SE_iNS9_4plusIvEENS9_8equal_toIiEEiEE10hipError_tPvRmT2_T3_T4_T5_mT6_T7_P12ihipStream_tbENKUlT_T0_E_clISt17integral_constantIbLb1EESY_IbLb0EEEEDaSU_SV_EUlSU_E_NS1_11comp_targetILNS1_3genE10ELNS1_11target_archE1200ELNS1_3gpuE4ELNS1_3repE0EEENS1_30default_config_static_selectorELNS0_4arch9wavefront6targetE0EEEvT1_.uses_flat_scratch, 0
	.set _ZN7rocprim17ROCPRIM_400000_NS6detail17trampoline_kernelINS0_14default_configENS1_27scan_by_key_config_selectorIiiEEZZNS1_16scan_by_key_implILNS1_25lookback_scan_determinismE0ELb1ES3_N6thrust23THRUST_200600_302600_NS6detail15normal_iteratorINS9_10device_ptrIiEEEESE_SE_iNS9_4plusIvEENS9_8equal_toIiEEiEE10hipError_tPvRmT2_T3_T4_T5_mT6_T7_P12ihipStream_tbENKUlT_T0_E_clISt17integral_constantIbLb1EESY_IbLb0EEEEDaSU_SV_EUlSU_E_NS1_11comp_targetILNS1_3genE10ELNS1_11target_archE1200ELNS1_3gpuE4ELNS1_3repE0EEENS1_30default_config_static_selectorELNS0_4arch9wavefront6targetE0EEEvT1_.has_dyn_sized_stack, 0
	.set _ZN7rocprim17ROCPRIM_400000_NS6detail17trampoline_kernelINS0_14default_configENS1_27scan_by_key_config_selectorIiiEEZZNS1_16scan_by_key_implILNS1_25lookback_scan_determinismE0ELb1ES3_N6thrust23THRUST_200600_302600_NS6detail15normal_iteratorINS9_10device_ptrIiEEEESE_SE_iNS9_4plusIvEENS9_8equal_toIiEEiEE10hipError_tPvRmT2_T3_T4_T5_mT6_T7_P12ihipStream_tbENKUlT_T0_E_clISt17integral_constantIbLb1EESY_IbLb0EEEEDaSU_SV_EUlSU_E_NS1_11comp_targetILNS1_3genE10ELNS1_11target_archE1200ELNS1_3gpuE4ELNS1_3repE0EEENS1_30default_config_static_selectorELNS0_4arch9wavefront6targetE0EEEvT1_.has_recursion, 0
	.set _ZN7rocprim17ROCPRIM_400000_NS6detail17trampoline_kernelINS0_14default_configENS1_27scan_by_key_config_selectorIiiEEZZNS1_16scan_by_key_implILNS1_25lookback_scan_determinismE0ELb1ES3_N6thrust23THRUST_200600_302600_NS6detail15normal_iteratorINS9_10device_ptrIiEEEESE_SE_iNS9_4plusIvEENS9_8equal_toIiEEiEE10hipError_tPvRmT2_T3_T4_T5_mT6_T7_P12ihipStream_tbENKUlT_T0_E_clISt17integral_constantIbLb1EESY_IbLb0EEEEDaSU_SV_EUlSU_E_NS1_11comp_targetILNS1_3genE10ELNS1_11target_archE1200ELNS1_3gpuE4ELNS1_3repE0EEENS1_30default_config_static_selectorELNS0_4arch9wavefront6targetE0EEEvT1_.has_indirect_call, 0
	.section	.AMDGPU.csdata,"",@progbits
; Kernel info:
; codeLenInByte = 0
; TotalNumSgprs: 0
; NumVgprs: 0
; ScratchSize: 0
; MemoryBound: 0
; FloatMode: 240
; IeeeMode: 1
; LDSByteSize: 0 bytes/workgroup (compile time only)
; SGPRBlocks: 0
; VGPRBlocks: 0
; NumSGPRsForWavesPerEU: 1
; NumVGPRsForWavesPerEU: 1
; Occupancy: 16
; WaveLimiterHint : 0
; COMPUTE_PGM_RSRC2:SCRATCH_EN: 0
; COMPUTE_PGM_RSRC2:USER_SGPR: 6
; COMPUTE_PGM_RSRC2:TRAP_HANDLER: 0
; COMPUTE_PGM_RSRC2:TGID_X_EN: 1
; COMPUTE_PGM_RSRC2:TGID_Y_EN: 0
; COMPUTE_PGM_RSRC2:TGID_Z_EN: 0
; COMPUTE_PGM_RSRC2:TIDIG_COMP_CNT: 0
	.section	.text._ZN7rocprim17ROCPRIM_400000_NS6detail17trampoline_kernelINS0_14default_configENS1_27scan_by_key_config_selectorIiiEEZZNS1_16scan_by_key_implILNS1_25lookback_scan_determinismE0ELb1ES3_N6thrust23THRUST_200600_302600_NS6detail15normal_iteratorINS9_10device_ptrIiEEEESE_SE_iNS9_4plusIvEENS9_8equal_toIiEEiEE10hipError_tPvRmT2_T3_T4_T5_mT6_T7_P12ihipStream_tbENKUlT_T0_E_clISt17integral_constantIbLb1EESY_IbLb0EEEEDaSU_SV_EUlSU_E_NS1_11comp_targetILNS1_3genE9ELNS1_11target_archE1100ELNS1_3gpuE3ELNS1_3repE0EEENS1_30default_config_static_selectorELNS0_4arch9wavefront6targetE0EEEvT1_,"axG",@progbits,_ZN7rocprim17ROCPRIM_400000_NS6detail17trampoline_kernelINS0_14default_configENS1_27scan_by_key_config_selectorIiiEEZZNS1_16scan_by_key_implILNS1_25lookback_scan_determinismE0ELb1ES3_N6thrust23THRUST_200600_302600_NS6detail15normal_iteratorINS9_10device_ptrIiEEEESE_SE_iNS9_4plusIvEENS9_8equal_toIiEEiEE10hipError_tPvRmT2_T3_T4_T5_mT6_T7_P12ihipStream_tbENKUlT_T0_E_clISt17integral_constantIbLb1EESY_IbLb0EEEEDaSU_SV_EUlSU_E_NS1_11comp_targetILNS1_3genE9ELNS1_11target_archE1100ELNS1_3gpuE3ELNS1_3repE0EEENS1_30default_config_static_selectorELNS0_4arch9wavefront6targetE0EEEvT1_,comdat
	.protected	_ZN7rocprim17ROCPRIM_400000_NS6detail17trampoline_kernelINS0_14default_configENS1_27scan_by_key_config_selectorIiiEEZZNS1_16scan_by_key_implILNS1_25lookback_scan_determinismE0ELb1ES3_N6thrust23THRUST_200600_302600_NS6detail15normal_iteratorINS9_10device_ptrIiEEEESE_SE_iNS9_4plusIvEENS9_8equal_toIiEEiEE10hipError_tPvRmT2_T3_T4_T5_mT6_T7_P12ihipStream_tbENKUlT_T0_E_clISt17integral_constantIbLb1EESY_IbLb0EEEEDaSU_SV_EUlSU_E_NS1_11comp_targetILNS1_3genE9ELNS1_11target_archE1100ELNS1_3gpuE3ELNS1_3repE0EEENS1_30default_config_static_selectorELNS0_4arch9wavefront6targetE0EEEvT1_ ; -- Begin function _ZN7rocprim17ROCPRIM_400000_NS6detail17trampoline_kernelINS0_14default_configENS1_27scan_by_key_config_selectorIiiEEZZNS1_16scan_by_key_implILNS1_25lookback_scan_determinismE0ELb1ES3_N6thrust23THRUST_200600_302600_NS6detail15normal_iteratorINS9_10device_ptrIiEEEESE_SE_iNS9_4plusIvEENS9_8equal_toIiEEiEE10hipError_tPvRmT2_T3_T4_T5_mT6_T7_P12ihipStream_tbENKUlT_T0_E_clISt17integral_constantIbLb1EESY_IbLb0EEEEDaSU_SV_EUlSU_E_NS1_11comp_targetILNS1_3genE9ELNS1_11target_archE1100ELNS1_3gpuE3ELNS1_3repE0EEENS1_30default_config_static_selectorELNS0_4arch9wavefront6targetE0EEEvT1_
	.globl	_ZN7rocprim17ROCPRIM_400000_NS6detail17trampoline_kernelINS0_14default_configENS1_27scan_by_key_config_selectorIiiEEZZNS1_16scan_by_key_implILNS1_25lookback_scan_determinismE0ELb1ES3_N6thrust23THRUST_200600_302600_NS6detail15normal_iteratorINS9_10device_ptrIiEEEESE_SE_iNS9_4plusIvEENS9_8equal_toIiEEiEE10hipError_tPvRmT2_T3_T4_T5_mT6_T7_P12ihipStream_tbENKUlT_T0_E_clISt17integral_constantIbLb1EESY_IbLb0EEEEDaSU_SV_EUlSU_E_NS1_11comp_targetILNS1_3genE9ELNS1_11target_archE1100ELNS1_3gpuE3ELNS1_3repE0EEENS1_30default_config_static_selectorELNS0_4arch9wavefront6targetE0EEEvT1_
	.p2align	8
	.type	_ZN7rocprim17ROCPRIM_400000_NS6detail17trampoline_kernelINS0_14default_configENS1_27scan_by_key_config_selectorIiiEEZZNS1_16scan_by_key_implILNS1_25lookback_scan_determinismE0ELb1ES3_N6thrust23THRUST_200600_302600_NS6detail15normal_iteratorINS9_10device_ptrIiEEEESE_SE_iNS9_4plusIvEENS9_8equal_toIiEEiEE10hipError_tPvRmT2_T3_T4_T5_mT6_T7_P12ihipStream_tbENKUlT_T0_E_clISt17integral_constantIbLb1EESY_IbLb0EEEEDaSU_SV_EUlSU_E_NS1_11comp_targetILNS1_3genE9ELNS1_11target_archE1100ELNS1_3gpuE3ELNS1_3repE0EEENS1_30default_config_static_selectorELNS0_4arch9wavefront6targetE0EEEvT1_,@function
_ZN7rocprim17ROCPRIM_400000_NS6detail17trampoline_kernelINS0_14default_configENS1_27scan_by_key_config_selectorIiiEEZZNS1_16scan_by_key_implILNS1_25lookback_scan_determinismE0ELb1ES3_N6thrust23THRUST_200600_302600_NS6detail15normal_iteratorINS9_10device_ptrIiEEEESE_SE_iNS9_4plusIvEENS9_8equal_toIiEEiEE10hipError_tPvRmT2_T3_T4_T5_mT6_T7_P12ihipStream_tbENKUlT_T0_E_clISt17integral_constantIbLb1EESY_IbLb0EEEEDaSU_SV_EUlSU_E_NS1_11comp_targetILNS1_3genE9ELNS1_11target_archE1100ELNS1_3gpuE3ELNS1_3repE0EEENS1_30default_config_static_selectorELNS0_4arch9wavefront6targetE0EEEvT1_: ; @_ZN7rocprim17ROCPRIM_400000_NS6detail17trampoline_kernelINS0_14default_configENS1_27scan_by_key_config_selectorIiiEEZZNS1_16scan_by_key_implILNS1_25lookback_scan_determinismE0ELb1ES3_N6thrust23THRUST_200600_302600_NS6detail15normal_iteratorINS9_10device_ptrIiEEEESE_SE_iNS9_4plusIvEENS9_8equal_toIiEEiEE10hipError_tPvRmT2_T3_T4_T5_mT6_T7_P12ihipStream_tbENKUlT_T0_E_clISt17integral_constantIbLb1EESY_IbLb0EEEEDaSU_SV_EUlSU_E_NS1_11comp_targetILNS1_3genE9ELNS1_11target_archE1100ELNS1_3gpuE3ELNS1_3repE0EEENS1_30default_config_static_selectorELNS0_4arch9wavefront6targetE0EEEvT1_
; %bb.0:
	.section	.rodata,"a",@progbits
	.p2align	6, 0x0
	.amdhsa_kernel _ZN7rocprim17ROCPRIM_400000_NS6detail17trampoline_kernelINS0_14default_configENS1_27scan_by_key_config_selectorIiiEEZZNS1_16scan_by_key_implILNS1_25lookback_scan_determinismE0ELb1ES3_N6thrust23THRUST_200600_302600_NS6detail15normal_iteratorINS9_10device_ptrIiEEEESE_SE_iNS9_4plusIvEENS9_8equal_toIiEEiEE10hipError_tPvRmT2_T3_T4_T5_mT6_T7_P12ihipStream_tbENKUlT_T0_E_clISt17integral_constantIbLb1EESY_IbLb0EEEEDaSU_SV_EUlSU_E_NS1_11comp_targetILNS1_3genE9ELNS1_11target_archE1100ELNS1_3gpuE3ELNS1_3repE0EEENS1_30default_config_static_selectorELNS0_4arch9wavefront6targetE0EEEvT1_
		.amdhsa_group_segment_fixed_size 0
		.amdhsa_private_segment_fixed_size 0
		.amdhsa_kernarg_size 112
		.amdhsa_user_sgpr_count 6
		.amdhsa_user_sgpr_private_segment_buffer 1
		.amdhsa_user_sgpr_dispatch_ptr 0
		.amdhsa_user_sgpr_queue_ptr 0
		.amdhsa_user_sgpr_kernarg_segment_ptr 1
		.amdhsa_user_sgpr_dispatch_id 0
		.amdhsa_user_sgpr_flat_scratch_init 0
		.amdhsa_user_sgpr_private_segment_size 0
		.amdhsa_wavefront_size32 1
		.amdhsa_uses_dynamic_stack 0
		.amdhsa_system_sgpr_private_segment_wavefront_offset 0
		.amdhsa_system_sgpr_workgroup_id_x 1
		.amdhsa_system_sgpr_workgroup_id_y 0
		.amdhsa_system_sgpr_workgroup_id_z 0
		.amdhsa_system_sgpr_workgroup_info 0
		.amdhsa_system_vgpr_workitem_id 0
		.amdhsa_next_free_vgpr 1
		.amdhsa_next_free_sgpr 1
		.amdhsa_reserve_vcc 0
		.amdhsa_reserve_flat_scratch 0
		.amdhsa_float_round_mode_32 0
		.amdhsa_float_round_mode_16_64 0
		.amdhsa_float_denorm_mode_32 3
		.amdhsa_float_denorm_mode_16_64 3
		.amdhsa_dx10_clamp 1
		.amdhsa_ieee_mode 1
		.amdhsa_fp16_overflow 0
		.amdhsa_workgroup_processor_mode 1
		.amdhsa_memory_ordered 1
		.amdhsa_forward_progress 1
		.amdhsa_shared_vgpr_count 0
		.amdhsa_exception_fp_ieee_invalid_op 0
		.amdhsa_exception_fp_denorm_src 0
		.amdhsa_exception_fp_ieee_div_zero 0
		.amdhsa_exception_fp_ieee_overflow 0
		.amdhsa_exception_fp_ieee_underflow 0
		.amdhsa_exception_fp_ieee_inexact 0
		.amdhsa_exception_int_div_zero 0
	.end_amdhsa_kernel
	.section	.text._ZN7rocprim17ROCPRIM_400000_NS6detail17trampoline_kernelINS0_14default_configENS1_27scan_by_key_config_selectorIiiEEZZNS1_16scan_by_key_implILNS1_25lookback_scan_determinismE0ELb1ES3_N6thrust23THRUST_200600_302600_NS6detail15normal_iteratorINS9_10device_ptrIiEEEESE_SE_iNS9_4plusIvEENS9_8equal_toIiEEiEE10hipError_tPvRmT2_T3_T4_T5_mT6_T7_P12ihipStream_tbENKUlT_T0_E_clISt17integral_constantIbLb1EESY_IbLb0EEEEDaSU_SV_EUlSU_E_NS1_11comp_targetILNS1_3genE9ELNS1_11target_archE1100ELNS1_3gpuE3ELNS1_3repE0EEENS1_30default_config_static_selectorELNS0_4arch9wavefront6targetE0EEEvT1_,"axG",@progbits,_ZN7rocprim17ROCPRIM_400000_NS6detail17trampoline_kernelINS0_14default_configENS1_27scan_by_key_config_selectorIiiEEZZNS1_16scan_by_key_implILNS1_25lookback_scan_determinismE0ELb1ES3_N6thrust23THRUST_200600_302600_NS6detail15normal_iteratorINS9_10device_ptrIiEEEESE_SE_iNS9_4plusIvEENS9_8equal_toIiEEiEE10hipError_tPvRmT2_T3_T4_T5_mT6_T7_P12ihipStream_tbENKUlT_T0_E_clISt17integral_constantIbLb1EESY_IbLb0EEEEDaSU_SV_EUlSU_E_NS1_11comp_targetILNS1_3genE9ELNS1_11target_archE1100ELNS1_3gpuE3ELNS1_3repE0EEENS1_30default_config_static_selectorELNS0_4arch9wavefront6targetE0EEEvT1_,comdat
.Lfunc_end558:
	.size	_ZN7rocprim17ROCPRIM_400000_NS6detail17trampoline_kernelINS0_14default_configENS1_27scan_by_key_config_selectorIiiEEZZNS1_16scan_by_key_implILNS1_25lookback_scan_determinismE0ELb1ES3_N6thrust23THRUST_200600_302600_NS6detail15normal_iteratorINS9_10device_ptrIiEEEESE_SE_iNS9_4plusIvEENS9_8equal_toIiEEiEE10hipError_tPvRmT2_T3_T4_T5_mT6_T7_P12ihipStream_tbENKUlT_T0_E_clISt17integral_constantIbLb1EESY_IbLb0EEEEDaSU_SV_EUlSU_E_NS1_11comp_targetILNS1_3genE9ELNS1_11target_archE1100ELNS1_3gpuE3ELNS1_3repE0EEENS1_30default_config_static_selectorELNS0_4arch9wavefront6targetE0EEEvT1_, .Lfunc_end558-_ZN7rocprim17ROCPRIM_400000_NS6detail17trampoline_kernelINS0_14default_configENS1_27scan_by_key_config_selectorIiiEEZZNS1_16scan_by_key_implILNS1_25lookback_scan_determinismE0ELb1ES3_N6thrust23THRUST_200600_302600_NS6detail15normal_iteratorINS9_10device_ptrIiEEEESE_SE_iNS9_4plusIvEENS9_8equal_toIiEEiEE10hipError_tPvRmT2_T3_T4_T5_mT6_T7_P12ihipStream_tbENKUlT_T0_E_clISt17integral_constantIbLb1EESY_IbLb0EEEEDaSU_SV_EUlSU_E_NS1_11comp_targetILNS1_3genE9ELNS1_11target_archE1100ELNS1_3gpuE3ELNS1_3repE0EEENS1_30default_config_static_selectorELNS0_4arch9wavefront6targetE0EEEvT1_
                                        ; -- End function
	.set _ZN7rocprim17ROCPRIM_400000_NS6detail17trampoline_kernelINS0_14default_configENS1_27scan_by_key_config_selectorIiiEEZZNS1_16scan_by_key_implILNS1_25lookback_scan_determinismE0ELb1ES3_N6thrust23THRUST_200600_302600_NS6detail15normal_iteratorINS9_10device_ptrIiEEEESE_SE_iNS9_4plusIvEENS9_8equal_toIiEEiEE10hipError_tPvRmT2_T3_T4_T5_mT6_T7_P12ihipStream_tbENKUlT_T0_E_clISt17integral_constantIbLb1EESY_IbLb0EEEEDaSU_SV_EUlSU_E_NS1_11comp_targetILNS1_3genE9ELNS1_11target_archE1100ELNS1_3gpuE3ELNS1_3repE0EEENS1_30default_config_static_selectorELNS0_4arch9wavefront6targetE0EEEvT1_.num_vgpr, 0
	.set _ZN7rocprim17ROCPRIM_400000_NS6detail17trampoline_kernelINS0_14default_configENS1_27scan_by_key_config_selectorIiiEEZZNS1_16scan_by_key_implILNS1_25lookback_scan_determinismE0ELb1ES3_N6thrust23THRUST_200600_302600_NS6detail15normal_iteratorINS9_10device_ptrIiEEEESE_SE_iNS9_4plusIvEENS9_8equal_toIiEEiEE10hipError_tPvRmT2_T3_T4_T5_mT6_T7_P12ihipStream_tbENKUlT_T0_E_clISt17integral_constantIbLb1EESY_IbLb0EEEEDaSU_SV_EUlSU_E_NS1_11comp_targetILNS1_3genE9ELNS1_11target_archE1100ELNS1_3gpuE3ELNS1_3repE0EEENS1_30default_config_static_selectorELNS0_4arch9wavefront6targetE0EEEvT1_.num_agpr, 0
	.set _ZN7rocprim17ROCPRIM_400000_NS6detail17trampoline_kernelINS0_14default_configENS1_27scan_by_key_config_selectorIiiEEZZNS1_16scan_by_key_implILNS1_25lookback_scan_determinismE0ELb1ES3_N6thrust23THRUST_200600_302600_NS6detail15normal_iteratorINS9_10device_ptrIiEEEESE_SE_iNS9_4plusIvEENS9_8equal_toIiEEiEE10hipError_tPvRmT2_T3_T4_T5_mT6_T7_P12ihipStream_tbENKUlT_T0_E_clISt17integral_constantIbLb1EESY_IbLb0EEEEDaSU_SV_EUlSU_E_NS1_11comp_targetILNS1_3genE9ELNS1_11target_archE1100ELNS1_3gpuE3ELNS1_3repE0EEENS1_30default_config_static_selectorELNS0_4arch9wavefront6targetE0EEEvT1_.numbered_sgpr, 0
	.set _ZN7rocprim17ROCPRIM_400000_NS6detail17trampoline_kernelINS0_14default_configENS1_27scan_by_key_config_selectorIiiEEZZNS1_16scan_by_key_implILNS1_25lookback_scan_determinismE0ELb1ES3_N6thrust23THRUST_200600_302600_NS6detail15normal_iteratorINS9_10device_ptrIiEEEESE_SE_iNS9_4plusIvEENS9_8equal_toIiEEiEE10hipError_tPvRmT2_T3_T4_T5_mT6_T7_P12ihipStream_tbENKUlT_T0_E_clISt17integral_constantIbLb1EESY_IbLb0EEEEDaSU_SV_EUlSU_E_NS1_11comp_targetILNS1_3genE9ELNS1_11target_archE1100ELNS1_3gpuE3ELNS1_3repE0EEENS1_30default_config_static_selectorELNS0_4arch9wavefront6targetE0EEEvT1_.num_named_barrier, 0
	.set _ZN7rocprim17ROCPRIM_400000_NS6detail17trampoline_kernelINS0_14default_configENS1_27scan_by_key_config_selectorIiiEEZZNS1_16scan_by_key_implILNS1_25lookback_scan_determinismE0ELb1ES3_N6thrust23THRUST_200600_302600_NS6detail15normal_iteratorINS9_10device_ptrIiEEEESE_SE_iNS9_4plusIvEENS9_8equal_toIiEEiEE10hipError_tPvRmT2_T3_T4_T5_mT6_T7_P12ihipStream_tbENKUlT_T0_E_clISt17integral_constantIbLb1EESY_IbLb0EEEEDaSU_SV_EUlSU_E_NS1_11comp_targetILNS1_3genE9ELNS1_11target_archE1100ELNS1_3gpuE3ELNS1_3repE0EEENS1_30default_config_static_selectorELNS0_4arch9wavefront6targetE0EEEvT1_.private_seg_size, 0
	.set _ZN7rocprim17ROCPRIM_400000_NS6detail17trampoline_kernelINS0_14default_configENS1_27scan_by_key_config_selectorIiiEEZZNS1_16scan_by_key_implILNS1_25lookback_scan_determinismE0ELb1ES3_N6thrust23THRUST_200600_302600_NS6detail15normal_iteratorINS9_10device_ptrIiEEEESE_SE_iNS9_4plusIvEENS9_8equal_toIiEEiEE10hipError_tPvRmT2_T3_T4_T5_mT6_T7_P12ihipStream_tbENKUlT_T0_E_clISt17integral_constantIbLb1EESY_IbLb0EEEEDaSU_SV_EUlSU_E_NS1_11comp_targetILNS1_3genE9ELNS1_11target_archE1100ELNS1_3gpuE3ELNS1_3repE0EEENS1_30default_config_static_selectorELNS0_4arch9wavefront6targetE0EEEvT1_.uses_vcc, 0
	.set _ZN7rocprim17ROCPRIM_400000_NS6detail17trampoline_kernelINS0_14default_configENS1_27scan_by_key_config_selectorIiiEEZZNS1_16scan_by_key_implILNS1_25lookback_scan_determinismE0ELb1ES3_N6thrust23THRUST_200600_302600_NS6detail15normal_iteratorINS9_10device_ptrIiEEEESE_SE_iNS9_4plusIvEENS9_8equal_toIiEEiEE10hipError_tPvRmT2_T3_T4_T5_mT6_T7_P12ihipStream_tbENKUlT_T0_E_clISt17integral_constantIbLb1EESY_IbLb0EEEEDaSU_SV_EUlSU_E_NS1_11comp_targetILNS1_3genE9ELNS1_11target_archE1100ELNS1_3gpuE3ELNS1_3repE0EEENS1_30default_config_static_selectorELNS0_4arch9wavefront6targetE0EEEvT1_.uses_flat_scratch, 0
	.set _ZN7rocprim17ROCPRIM_400000_NS6detail17trampoline_kernelINS0_14default_configENS1_27scan_by_key_config_selectorIiiEEZZNS1_16scan_by_key_implILNS1_25lookback_scan_determinismE0ELb1ES3_N6thrust23THRUST_200600_302600_NS6detail15normal_iteratorINS9_10device_ptrIiEEEESE_SE_iNS9_4plusIvEENS9_8equal_toIiEEiEE10hipError_tPvRmT2_T3_T4_T5_mT6_T7_P12ihipStream_tbENKUlT_T0_E_clISt17integral_constantIbLb1EESY_IbLb0EEEEDaSU_SV_EUlSU_E_NS1_11comp_targetILNS1_3genE9ELNS1_11target_archE1100ELNS1_3gpuE3ELNS1_3repE0EEENS1_30default_config_static_selectorELNS0_4arch9wavefront6targetE0EEEvT1_.has_dyn_sized_stack, 0
	.set _ZN7rocprim17ROCPRIM_400000_NS6detail17trampoline_kernelINS0_14default_configENS1_27scan_by_key_config_selectorIiiEEZZNS1_16scan_by_key_implILNS1_25lookback_scan_determinismE0ELb1ES3_N6thrust23THRUST_200600_302600_NS6detail15normal_iteratorINS9_10device_ptrIiEEEESE_SE_iNS9_4plusIvEENS9_8equal_toIiEEiEE10hipError_tPvRmT2_T3_T4_T5_mT6_T7_P12ihipStream_tbENKUlT_T0_E_clISt17integral_constantIbLb1EESY_IbLb0EEEEDaSU_SV_EUlSU_E_NS1_11comp_targetILNS1_3genE9ELNS1_11target_archE1100ELNS1_3gpuE3ELNS1_3repE0EEENS1_30default_config_static_selectorELNS0_4arch9wavefront6targetE0EEEvT1_.has_recursion, 0
	.set _ZN7rocprim17ROCPRIM_400000_NS6detail17trampoline_kernelINS0_14default_configENS1_27scan_by_key_config_selectorIiiEEZZNS1_16scan_by_key_implILNS1_25lookback_scan_determinismE0ELb1ES3_N6thrust23THRUST_200600_302600_NS6detail15normal_iteratorINS9_10device_ptrIiEEEESE_SE_iNS9_4plusIvEENS9_8equal_toIiEEiEE10hipError_tPvRmT2_T3_T4_T5_mT6_T7_P12ihipStream_tbENKUlT_T0_E_clISt17integral_constantIbLb1EESY_IbLb0EEEEDaSU_SV_EUlSU_E_NS1_11comp_targetILNS1_3genE9ELNS1_11target_archE1100ELNS1_3gpuE3ELNS1_3repE0EEENS1_30default_config_static_selectorELNS0_4arch9wavefront6targetE0EEEvT1_.has_indirect_call, 0
	.section	.AMDGPU.csdata,"",@progbits
; Kernel info:
; codeLenInByte = 0
; TotalNumSgprs: 0
; NumVgprs: 0
; ScratchSize: 0
; MemoryBound: 0
; FloatMode: 240
; IeeeMode: 1
; LDSByteSize: 0 bytes/workgroup (compile time only)
; SGPRBlocks: 0
; VGPRBlocks: 0
; NumSGPRsForWavesPerEU: 1
; NumVGPRsForWavesPerEU: 1
; Occupancy: 16
; WaveLimiterHint : 0
; COMPUTE_PGM_RSRC2:SCRATCH_EN: 0
; COMPUTE_PGM_RSRC2:USER_SGPR: 6
; COMPUTE_PGM_RSRC2:TRAP_HANDLER: 0
; COMPUTE_PGM_RSRC2:TGID_X_EN: 1
; COMPUTE_PGM_RSRC2:TGID_Y_EN: 0
; COMPUTE_PGM_RSRC2:TGID_Z_EN: 0
; COMPUTE_PGM_RSRC2:TIDIG_COMP_CNT: 0
	.section	.text._ZN7rocprim17ROCPRIM_400000_NS6detail17trampoline_kernelINS0_14default_configENS1_27scan_by_key_config_selectorIiiEEZZNS1_16scan_by_key_implILNS1_25lookback_scan_determinismE0ELb1ES3_N6thrust23THRUST_200600_302600_NS6detail15normal_iteratorINS9_10device_ptrIiEEEESE_SE_iNS9_4plusIvEENS9_8equal_toIiEEiEE10hipError_tPvRmT2_T3_T4_T5_mT6_T7_P12ihipStream_tbENKUlT_T0_E_clISt17integral_constantIbLb1EESY_IbLb0EEEEDaSU_SV_EUlSU_E_NS1_11comp_targetILNS1_3genE8ELNS1_11target_archE1030ELNS1_3gpuE2ELNS1_3repE0EEENS1_30default_config_static_selectorELNS0_4arch9wavefront6targetE0EEEvT1_,"axG",@progbits,_ZN7rocprim17ROCPRIM_400000_NS6detail17trampoline_kernelINS0_14default_configENS1_27scan_by_key_config_selectorIiiEEZZNS1_16scan_by_key_implILNS1_25lookback_scan_determinismE0ELb1ES3_N6thrust23THRUST_200600_302600_NS6detail15normal_iteratorINS9_10device_ptrIiEEEESE_SE_iNS9_4plusIvEENS9_8equal_toIiEEiEE10hipError_tPvRmT2_T3_T4_T5_mT6_T7_P12ihipStream_tbENKUlT_T0_E_clISt17integral_constantIbLb1EESY_IbLb0EEEEDaSU_SV_EUlSU_E_NS1_11comp_targetILNS1_3genE8ELNS1_11target_archE1030ELNS1_3gpuE2ELNS1_3repE0EEENS1_30default_config_static_selectorELNS0_4arch9wavefront6targetE0EEEvT1_,comdat
	.protected	_ZN7rocprim17ROCPRIM_400000_NS6detail17trampoline_kernelINS0_14default_configENS1_27scan_by_key_config_selectorIiiEEZZNS1_16scan_by_key_implILNS1_25lookback_scan_determinismE0ELb1ES3_N6thrust23THRUST_200600_302600_NS6detail15normal_iteratorINS9_10device_ptrIiEEEESE_SE_iNS9_4plusIvEENS9_8equal_toIiEEiEE10hipError_tPvRmT2_T3_T4_T5_mT6_T7_P12ihipStream_tbENKUlT_T0_E_clISt17integral_constantIbLb1EESY_IbLb0EEEEDaSU_SV_EUlSU_E_NS1_11comp_targetILNS1_3genE8ELNS1_11target_archE1030ELNS1_3gpuE2ELNS1_3repE0EEENS1_30default_config_static_selectorELNS0_4arch9wavefront6targetE0EEEvT1_ ; -- Begin function _ZN7rocprim17ROCPRIM_400000_NS6detail17trampoline_kernelINS0_14default_configENS1_27scan_by_key_config_selectorIiiEEZZNS1_16scan_by_key_implILNS1_25lookback_scan_determinismE0ELb1ES3_N6thrust23THRUST_200600_302600_NS6detail15normal_iteratorINS9_10device_ptrIiEEEESE_SE_iNS9_4plusIvEENS9_8equal_toIiEEiEE10hipError_tPvRmT2_T3_T4_T5_mT6_T7_P12ihipStream_tbENKUlT_T0_E_clISt17integral_constantIbLb1EESY_IbLb0EEEEDaSU_SV_EUlSU_E_NS1_11comp_targetILNS1_3genE8ELNS1_11target_archE1030ELNS1_3gpuE2ELNS1_3repE0EEENS1_30default_config_static_selectorELNS0_4arch9wavefront6targetE0EEEvT1_
	.globl	_ZN7rocprim17ROCPRIM_400000_NS6detail17trampoline_kernelINS0_14default_configENS1_27scan_by_key_config_selectorIiiEEZZNS1_16scan_by_key_implILNS1_25lookback_scan_determinismE0ELb1ES3_N6thrust23THRUST_200600_302600_NS6detail15normal_iteratorINS9_10device_ptrIiEEEESE_SE_iNS9_4plusIvEENS9_8equal_toIiEEiEE10hipError_tPvRmT2_T3_T4_T5_mT6_T7_P12ihipStream_tbENKUlT_T0_E_clISt17integral_constantIbLb1EESY_IbLb0EEEEDaSU_SV_EUlSU_E_NS1_11comp_targetILNS1_3genE8ELNS1_11target_archE1030ELNS1_3gpuE2ELNS1_3repE0EEENS1_30default_config_static_selectorELNS0_4arch9wavefront6targetE0EEEvT1_
	.p2align	8
	.type	_ZN7rocprim17ROCPRIM_400000_NS6detail17trampoline_kernelINS0_14default_configENS1_27scan_by_key_config_selectorIiiEEZZNS1_16scan_by_key_implILNS1_25lookback_scan_determinismE0ELb1ES3_N6thrust23THRUST_200600_302600_NS6detail15normal_iteratorINS9_10device_ptrIiEEEESE_SE_iNS9_4plusIvEENS9_8equal_toIiEEiEE10hipError_tPvRmT2_T3_T4_T5_mT6_T7_P12ihipStream_tbENKUlT_T0_E_clISt17integral_constantIbLb1EESY_IbLb0EEEEDaSU_SV_EUlSU_E_NS1_11comp_targetILNS1_3genE8ELNS1_11target_archE1030ELNS1_3gpuE2ELNS1_3repE0EEENS1_30default_config_static_selectorELNS0_4arch9wavefront6targetE0EEEvT1_,@function
_ZN7rocprim17ROCPRIM_400000_NS6detail17trampoline_kernelINS0_14default_configENS1_27scan_by_key_config_selectorIiiEEZZNS1_16scan_by_key_implILNS1_25lookback_scan_determinismE0ELb1ES3_N6thrust23THRUST_200600_302600_NS6detail15normal_iteratorINS9_10device_ptrIiEEEESE_SE_iNS9_4plusIvEENS9_8equal_toIiEEiEE10hipError_tPvRmT2_T3_T4_T5_mT6_T7_P12ihipStream_tbENKUlT_T0_E_clISt17integral_constantIbLb1EESY_IbLb0EEEEDaSU_SV_EUlSU_E_NS1_11comp_targetILNS1_3genE8ELNS1_11target_archE1030ELNS1_3gpuE2ELNS1_3repE0EEENS1_30default_config_static_selectorELNS0_4arch9wavefront6targetE0EEEvT1_: ; @_ZN7rocprim17ROCPRIM_400000_NS6detail17trampoline_kernelINS0_14default_configENS1_27scan_by_key_config_selectorIiiEEZZNS1_16scan_by_key_implILNS1_25lookback_scan_determinismE0ELb1ES3_N6thrust23THRUST_200600_302600_NS6detail15normal_iteratorINS9_10device_ptrIiEEEESE_SE_iNS9_4plusIvEENS9_8equal_toIiEEiEE10hipError_tPvRmT2_T3_T4_T5_mT6_T7_P12ihipStream_tbENKUlT_T0_E_clISt17integral_constantIbLb1EESY_IbLb0EEEEDaSU_SV_EUlSU_E_NS1_11comp_targetILNS1_3genE8ELNS1_11target_archE1030ELNS1_3gpuE2ELNS1_3repE0EEENS1_30default_config_static_selectorELNS0_4arch9wavefront6targetE0EEEvT1_
; %bb.0:
	s_endpgm
	.section	.rodata,"a",@progbits
	.p2align	6, 0x0
	.amdhsa_kernel _ZN7rocprim17ROCPRIM_400000_NS6detail17trampoline_kernelINS0_14default_configENS1_27scan_by_key_config_selectorIiiEEZZNS1_16scan_by_key_implILNS1_25lookback_scan_determinismE0ELb1ES3_N6thrust23THRUST_200600_302600_NS6detail15normal_iteratorINS9_10device_ptrIiEEEESE_SE_iNS9_4plusIvEENS9_8equal_toIiEEiEE10hipError_tPvRmT2_T3_T4_T5_mT6_T7_P12ihipStream_tbENKUlT_T0_E_clISt17integral_constantIbLb1EESY_IbLb0EEEEDaSU_SV_EUlSU_E_NS1_11comp_targetILNS1_3genE8ELNS1_11target_archE1030ELNS1_3gpuE2ELNS1_3repE0EEENS1_30default_config_static_selectorELNS0_4arch9wavefront6targetE0EEEvT1_
		.amdhsa_group_segment_fixed_size 0
		.amdhsa_private_segment_fixed_size 0
		.amdhsa_kernarg_size 112
		.amdhsa_user_sgpr_count 6
		.amdhsa_user_sgpr_private_segment_buffer 1
		.amdhsa_user_sgpr_dispatch_ptr 0
		.amdhsa_user_sgpr_queue_ptr 0
		.amdhsa_user_sgpr_kernarg_segment_ptr 1
		.amdhsa_user_sgpr_dispatch_id 0
		.amdhsa_user_sgpr_flat_scratch_init 0
		.amdhsa_user_sgpr_private_segment_size 0
		.amdhsa_wavefront_size32 1
		.amdhsa_uses_dynamic_stack 0
		.amdhsa_system_sgpr_private_segment_wavefront_offset 0
		.amdhsa_system_sgpr_workgroup_id_x 1
		.amdhsa_system_sgpr_workgroup_id_y 0
		.amdhsa_system_sgpr_workgroup_id_z 0
		.amdhsa_system_sgpr_workgroup_info 0
		.amdhsa_system_vgpr_workitem_id 0
		.amdhsa_next_free_vgpr 1
		.amdhsa_next_free_sgpr 1
		.amdhsa_reserve_vcc 0
		.amdhsa_reserve_flat_scratch 0
		.amdhsa_float_round_mode_32 0
		.amdhsa_float_round_mode_16_64 0
		.amdhsa_float_denorm_mode_32 3
		.amdhsa_float_denorm_mode_16_64 3
		.amdhsa_dx10_clamp 1
		.amdhsa_ieee_mode 1
		.amdhsa_fp16_overflow 0
		.amdhsa_workgroup_processor_mode 1
		.amdhsa_memory_ordered 1
		.amdhsa_forward_progress 1
		.amdhsa_shared_vgpr_count 0
		.amdhsa_exception_fp_ieee_invalid_op 0
		.amdhsa_exception_fp_denorm_src 0
		.amdhsa_exception_fp_ieee_div_zero 0
		.amdhsa_exception_fp_ieee_overflow 0
		.amdhsa_exception_fp_ieee_underflow 0
		.amdhsa_exception_fp_ieee_inexact 0
		.amdhsa_exception_int_div_zero 0
	.end_amdhsa_kernel
	.section	.text._ZN7rocprim17ROCPRIM_400000_NS6detail17trampoline_kernelINS0_14default_configENS1_27scan_by_key_config_selectorIiiEEZZNS1_16scan_by_key_implILNS1_25lookback_scan_determinismE0ELb1ES3_N6thrust23THRUST_200600_302600_NS6detail15normal_iteratorINS9_10device_ptrIiEEEESE_SE_iNS9_4plusIvEENS9_8equal_toIiEEiEE10hipError_tPvRmT2_T3_T4_T5_mT6_T7_P12ihipStream_tbENKUlT_T0_E_clISt17integral_constantIbLb1EESY_IbLb0EEEEDaSU_SV_EUlSU_E_NS1_11comp_targetILNS1_3genE8ELNS1_11target_archE1030ELNS1_3gpuE2ELNS1_3repE0EEENS1_30default_config_static_selectorELNS0_4arch9wavefront6targetE0EEEvT1_,"axG",@progbits,_ZN7rocprim17ROCPRIM_400000_NS6detail17trampoline_kernelINS0_14default_configENS1_27scan_by_key_config_selectorIiiEEZZNS1_16scan_by_key_implILNS1_25lookback_scan_determinismE0ELb1ES3_N6thrust23THRUST_200600_302600_NS6detail15normal_iteratorINS9_10device_ptrIiEEEESE_SE_iNS9_4plusIvEENS9_8equal_toIiEEiEE10hipError_tPvRmT2_T3_T4_T5_mT6_T7_P12ihipStream_tbENKUlT_T0_E_clISt17integral_constantIbLb1EESY_IbLb0EEEEDaSU_SV_EUlSU_E_NS1_11comp_targetILNS1_3genE8ELNS1_11target_archE1030ELNS1_3gpuE2ELNS1_3repE0EEENS1_30default_config_static_selectorELNS0_4arch9wavefront6targetE0EEEvT1_,comdat
.Lfunc_end559:
	.size	_ZN7rocprim17ROCPRIM_400000_NS6detail17trampoline_kernelINS0_14default_configENS1_27scan_by_key_config_selectorIiiEEZZNS1_16scan_by_key_implILNS1_25lookback_scan_determinismE0ELb1ES3_N6thrust23THRUST_200600_302600_NS6detail15normal_iteratorINS9_10device_ptrIiEEEESE_SE_iNS9_4plusIvEENS9_8equal_toIiEEiEE10hipError_tPvRmT2_T3_T4_T5_mT6_T7_P12ihipStream_tbENKUlT_T0_E_clISt17integral_constantIbLb1EESY_IbLb0EEEEDaSU_SV_EUlSU_E_NS1_11comp_targetILNS1_3genE8ELNS1_11target_archE1030ELNS1_3gpuE2ELNS1_3repE0EEENS1_30default_config_static_selectorELNS0_4arch9wavefront6targetE0EEEvT1_, .Lfunc_end559-_ZN7rocprim17ROCPRIM_400000_NS6detail17trampoline_kernelINS0_14default_configENS1_27scan_by_key_config_selectorIiiEEZZNS1_16scan_by_key_implILNS1_25lookback_scan_determinismE0ELb1ES3_N6thrust23THRUST_200600_302600_NS6detail15normal_iteratorINS9_10device_ptrIiEEEESE_SE_iNS9_4plusIvEENS9_8equal_toIiEEiEE10hipError_tPvRmT2_T3_T4_T5_mT6_T7_P12ihipStream_tbENKUlT_T0_E_clISt17integral_constantIbLb1EESY_IbLb0EEEEDaSU_SV_EUlSU_E_NS1_11comp_targetILNS1_3genE8ELNS1_11target_archE1030ELNS1_3gpuE2ELNS1_3repE0EEENS1_30default_config_static_selectorELNS0_4arch9wavefront6targetE0EEEvT1_
                                        ; -- End function
	.set _ZN7rocprim17ROCPRIM_400000_NS6detail17trampoline_kernelINS0_14default_configENS1_27scan_by_key_config_selectorIiiEEZZNS1_16scan_by_key_implILNS1_25lookback_scan_determinismE0ELb1ES3_N6thrust23THRUST_200600_302600_NS6detail15normal_iteratorINS9_10device_ptrIiEEEESE_SE_iNS9_4plusIvEENS9_8equal_toIiEEiEE10hipError_tPvRmT2_T3_T4_T5_mT6_T7_P12ihipStream_tbENKUlT_T0_E_clISt17integral_constantIbLb1EESY_IbLb0EEEEDaSU_SV_EUlSU_E_NS1_11comp_targetILNS1_3genE8ELNS1_11target_archE1030ELNS1_3gpuE2ELNS1_3repE0EEENS1_30default_config_static_selectorELNS0_4arch9wavefront6targetE0EEEvT1_.num_vgpr, 0
	.set _ZN7rocprim17ROCPRIM_400000_NS6detail17trampoline_kernelINS0_14default_configENS1_27scan_by_key_config_selectorIiiEEZZNS1_16scan_by_key_implILNS1_25lookback_scan_determinismE0ELb1ES3_N6thrust23THRUST_200600_302600_NS6detail15normal_iteratorINS9_10device_ptrIiEEEESE_SE_iNS9_4plusIvEENS9_8equal_toIiEEiEE10hipError_tPvRmT2_T3_T4_T5_mT6_T7_P12ihipStream_tbENKUlT_T0_E_clISt17integral_constantIbLb1EESY_IbLb0EEEEDaSU_SV_EUlSU_E_NS1_11comp_targetILNS1_3genE8ELNS1_11target_archE1030ELNS1_3gpuE2ELNS1_3repE0EEENS1_30default_config_static_selectorELNS0_4arch9wavefront6targetE0EEEvT1_.num_agpr, 0
	.set _ZN7rocprim17ROCPRIM_400000_NS6detail17trampoline_kernelINS0_14default_configENS1_27scan_by_key_config_selectorIiiEEZZNS1_16scan_by_key_implILNS1_25lookback_scan_determinismE0ELb1ES3_N6thrust23THRUST_200600_302600_NS6detail15normal_iteratorINS9_10device_ptrIiEEEESE_SE_iNS9_4plusIvEENS9_8equal_toIiEEiEE10hipError_tPvRmT2_T3_T4_T5_mT6_T7_P12ihipStream_tbENKUlT_T0_E_clISt17integral_constantIbLb1EESY_IbLb0EEEEDaSU_SV_EUlSU_E_NS1_11comp_targetILNS1_3genE8ELNS1_11target_archE1030ELNS1_3gpuE2ELNS1_3repE0EEENS1_30default_config_static_selectorELNS0_4arch9wavefront6targetE0EEEvT1_.numbered_sgpr, 0
	.set _ZN7rocprim17ROCPRIM_400000_NS6detail17trampoline_kernelINS0_14default_configENS1_27scan_by_key_config_selectorIiiEEZZNS1_16scan_by_key_implILNS1_25lookback_scan_determinismE0ELb1ES3_N6thrust23THRUST_200600_302600_NS6detail15normal_iteratorINS9_10device_ptrIiEEEESE_SE_iNS9_4plusIvEENS9_8equal_toIiEEiEE10hipError_tPvRmT2_T3_T4_T5_mT6_T7_P12ihipStream_tbENKUlT_T0_E_clISt17integral_constantIbLb1EESY_IbLb0EEEEDaSU_SV_EUlSU_E_NS1_11comp_targetILNS1_3genE8ELNS1_11target_archE1030ELNS1_3gpuE2ELNS1_3repE0EEENS1_30default_config_static_selectorELNS0_4arch9wavefront6targetE0EEEvT1_.num_named_barrier, 0
	.set _ZN7rocprim17ROCPRIM_400000_NS6detail17trampoline_kernelINS0_14default_configENS1_27scan_by_key_config_selectorIiiEEZZNS1_16scan_by_key_implILNS1_25lookback_scan_determinismE0ELb1ES3_N6thrust23THRUST_200600_302600_NS6detail15normal_iteratorINS9_10device_ptrIiEEEESE_SE_iNS9_4plusIvEENS9_8equal_toIiEEiEE10hipError_tPvRmT2_T3_T4_T5_mT6_T7_P12ihipStream_tbENKUlT_T0_E_clISt17integral_constantIbLb1EESY_IbLb0EEEEDaSU_SV_EUlSU_E_NS1_11comp_targetILNS1_3genE8ELNS1_11target_archE1030ELNS1_3gpuE2ELNS1_3repE0EEENS1_30default_config_static_selectorELNS0_4arch9wavefront6targetE0EEEvT1_.private_seg_size, 0
	.set _ZN7rocprim17ROCPRIM_400000_NS6detail17trampoline_kernelINS0_14default_configENS1_27scan_by_key_config_selectorIiiEEZZNS1_16scan_by_key_implILNS1_25lookback_scan_determinismE0ELb1ES3_N6thrust23THRUST_200600_302600_NS6detail15normal_iteratorINS9_10device_ptrIiEEEESE_SE_iNS9_4plusIvEENS9_8equal_toIiEEiEE10hipError_tPvRmT2_T3_T4_T5_mT6_T7_P12ihipStream_tbENKUlT_T0_E_clISt17integral_constantIbLb1EESY_IbLb0EEEEDaSU_SV_EUlSU_E_NS1_11comp_targetILNS1_3genE8ELNS1_11target_archE1030ELNS1_3gpuE2ELNS1_3repE0EEENS1_30default_config_static_selectorELNS0_4arch9wavefront6targetE0EEEvT1_.uses_vcc, 0
	.set _ZN7rocprim17ROCPRIM_400000_NS6detail17trampoline_kernelINS0_14default_configENS1_27scan_by_key_config_selectorIiiEEZZNS1_16scan_by_key_implILNS1_25lookback_scan_determinismE0ELb1ES3_N6thrust23THRUST_200600_302600_NS6detail15normal_iteratorINS9_10device_ptrIiEEEESE_SE_iNS9_4plusIvEENS9_8equal_toIiEEiEE10hipError_tPvRmT2_T3_T4_T5_mT6_T7_P12ihipStream_tbENKUlT_T0_E_clISt17integral_constantIbLb1EESY_IbLb0EEEEDaSU_SV_EUlSU_E_NS1_11comp_targetILNS1_3genE8ELNS1_11target_archE1030ELNS1_3gpuE2ELNS1_3repE0EEENS1_30default_config_static_selectorELNS0_4arch9wavefront6targetE0EEEvT1_.uses_flat_scratch, 0
	.set _ZN7rocprim17ROCPRIM_400000_NS6detail17trampoline_kernelINS0_14default_configENS1_27scan_by_key_config_selectorIiiEEZZNS1_16scan_by_key_implILNS1_25lookback_scan_determinismE0ELb1ES3_N6thrust23THRUST_200600_302600_NS6detail15normal_iteratorINS9_10device_ptrIiEEEESE_SE_iNS9_4plusIvEENS9_8equal_toIiEEiEE10hipError_tPvRmT2_T3_T4_T5_mT6_T7_P12ihipStream_tbENKUlT_T0_E_clISt17integral_constantIbLb1EESY_IbLb0EEEEDaSU_SV_EUlSU_E_NS1_11comp_targetILNS1_3genE8ELNS1_11target_archE1030ELNS1_3gpuE2ELNS1_3repE0EEENS1_30default_config_static_selectorELNS0_4arch9wavefront6targetE0EEEvT1_.has_dyn_sized_stack, 0
	.set _ZN7rocprim17ROCPRIM_400000_NS6detail17trampoline_kernelINS0_14default_configENS1_27scan_by_key_config_selectorIiiEEZZNS1_16scan_by_key_implILNS1_25lookback_scan_determinismE0ELb1ES3_N6thrust23THRUST_200600_302600_NS6detail15normal_iteratorINS9_10device_ptrIiEEEESE_SE_iNS9_4plusIvEENS9_8equal_toIiEEiEE10hipError_tPvRmT2_T3_T4_T5_mT6_T7_P12ihipStream_tbENKUlT_T0_E_clISt17integral_constantIbLb1EESY_IbLb0EEEEDaSU_SV_EUlSU_E_NS1_11comp_targetILNS1_3genE8ELNS1_11target_archE1030ELNS1_3gpuE2ELNS1_3repE0EEENS1_30default_config_static_selectorELNS0_4arch9wavefront6targetE0EEEvT1_.has_recursion, 0
	.set _ZN7rocprim17ROCPRIM_400000_NS6detail17trampoline_kernelINS0_14default_configENS1_27scan_by_key_config_selectorIiiEEZZNS1_16scan_by_key_implILNS1_25lookback_scan_determinismE0ELb1ES3_N6thrust23THRUST_200600_302600_NS6detail15normal_iteratorINS9_10device_ptrIiEEEESE_SE_iNS9_4plusIvEENS9_8equal_toIiEEiEE10hipError_tPvRmT2_T3_T4_T5_mT6_T7_P12ihipStream_tbENKUlT_T0_E_clISt17integral_constantIbLb1EESY_IbLb0EEEEDaSU_SV_EUlSU_E_NS1_11comp_targetILNS1_3genE8ELNS1_11target_archE1030ELNS1_3gpuE2ELNS1_3repE0EEENS1_30default_config_static_selectorELNS0_4arch9wavefront6targetE0EEEvT1_.has_indirect_call, 0
	.section	.AMDGPU.csdata,"",@progbits
; Kernel info:
; codeLenInByte = 4
; TotalNumSgprs: 0
; NumVgprs: 0
; ScratchSize: 0
; MemoryBound: 0
; FloatMode: 240
; IeeeMode: 1
; LDSByteSize: 0 bytes/workgroup (compile time only)
; SGPRBlocks: 0
; VGPRBlocks: 0
; NumSGPRsForWavesPerEU: 1
; NumVGPRsForWavesPerEU: 1
; Occupancy: 16
; WaveLimiterHint : 0
; COMPUTE_PGM_RSRC2:SCRATCH_EN: 0
; COMPUTE_PGM_RSRC2:USER_SGPR: 6
; COMPUTE_PGM_RSRC2:TRAP_HANDLER: 0
; COMPUTE_PGM_RSRC2:TGID_X_EN: 1
; COMPUTE_PGM_RSRC2:TGID_Y_EN: 0
; COMPUTE_PGM_RSRC2:TGID_Z_EN: 0
; COMPUTE_PGM_RSRC2:TIDIG_COMP_CNT: 0
	.section	.text._ZN7rocprim17ROCPRIM_400000_NS6detail17trampoline_kernelINS0_14default_configENS1_27scan_by_key_config_selectorIiiEEZZNS1_16scan_by_key_implILNS1_25lookback_scan_determinismE0ELb1ES3_N6thrust23THRUST_200600_302600_NS6detail15normal_iteratorINS9_10device_ptrIiEEEESE_SE_iNS9_4plusIvEENS9_8equal_toIiEEiEE10hipError_tPvRmT2_T3_T4_T5_mT6_T7_P12ihipStream_tbENKUlT_T0_E_clISt17integral_constantIbLb0EESY_IbLb1EEEEDaSU_SV_EUlSU_E_NS1_11comp_targetILNS1_3genE0ELNS1_11target_archE4294967295ELNS1_3gpuE0ELNS1_3repE0EEENS1_30default_config_static_selectorELNS0_4arch9wavefront6targetE0EEEvT1_,"axG",@progbits,_ZN7rocprim17ROCPRIM_400000_NS6detail17trampoline_kernelINS0_14default_configENS1_27scan_by_key_config_selectorIiiEEZZNS1_16scan_by_key_implILNS1_25lookback_scan_determinismE0ELb1ES3_N6thrust23THRUST_200600_302600_NS6detail15normal_iteratorINS9_10device_ptrIiEEEESE_SE_iNS9_4plusIvEENS9_8equal_toIiEEiEE10hipError_tPvRmT2_T3_T4_T5_mT6_T7_P12ihipStream_tbENKUlT_T0_E_clISt17integral_constantIbLb0EESY_IbLb1EEEEDaSU_SV_EUlSU_E_NS1_11comp_targetILNS1_3genE0ELNS1_11target_archE4294967295ELNS1_3gpuE0ELNS1_3repE0EEENS1_30default_config_static_selectorELNS0_4arch9wavefront6targetE0EEEvT1_,comdat
	.protected	_ZN7rocprim17ROCPRIM_400000_NS6detail17trampoline_kernelINS0_14default_configENS1_27scan_by_key_config_selectorIiiEEZZNS1_16scan_by_key_implILNS1_25lookback_scan_determinismE0ELb1ES3_N6thrust23THRUST_200600_302600_NS6detail15normal_iteratorINS9_10device_ptrIiEEEESE_SE_iNS9_4plusIvEENS9_8equal_toIiEEiEE10hipError_tPvRmT2_T3_T4_T5_mT6_T7_P12ihipStream_tbENKUlT_T0_E_clISt17integral_constantIbLb0EESY_IbLb1EEEEDaSU_SV_EUlSU_E_NS1_11comp_targetILNS1_3genE0ELNS1_11target_archE4294967295ELNS1_3gpuE0ELNS1_3repE0EEENS1_30default_config_static_selectorELNS0_4arch9wavefront6targetE0EEEvT1_ ; -- Begin function _ZN7rocprim17ROCPRIM_400000_NS6detail17trampoline_kernelINS0_14default_configENS1_27scan_by_key_config_selectorIiiEEZZNS1_16scan_by_key_implILNS1_25lookback_scan_determinismE0ELb1ES3_N6thrust23THRUST_200600_302600_NS6detail15normal_iteratorINS9_10device_ptrIiEEEESE_SE_iNS9_4plusIvEENS9_8equal_toIiEEiEE10hipError_tPvRmT2_T3_T4_T5_mT6_T7_P12ihipStream_tbENKUlT_T0_E_clISt17integral_constantIbLb0EESY_IbLb1EEEEDaSU_SV_EUlSU_E_NS1_11comp_targetILNS1_3genE0ELNS1_11target_archE4294967295ELNS1_3gpuE0ELNS1_3repE0EEENS1_30default_config_static_selectorELNS0_4arch9wavefront6targetE0EEEvT1_
	.globl	_ZN7rocprim17ROCPRIM_400000_NS6detail17trampoline_kernelINS0_14default_configENS1_27scan_by_key_config_selectorIiiEEZZNS1_16scan_by_key_implILNS1_25lookback_scan_determinismE0ELb1ES3_N6thrust23THRUST_200600_302600_NS6detail15normal_iteratorINS9_10device_ptrIiEEEESE_SE_iNS9_4plusIvEENS9_8equal_toIiEEiEE10hipError_tPvRmT2_T3_T4_T5_mT6_T7_P12ihipStream_tbENKUlT_T0_E_clISt17integral_constantIbLb0EESY_IbLb1EEEEDaSU_SV_EUlSU_E_NS1_11comp_targetILNS1_3genE0ELNS1_11target_archE4294967295ELNS1_3gpuE0ELNS1_3repE0EEENS1_30default_config_static_selectorELNS0_4arch9wavefront6targetE0EEEvT1_
	.p2align	8
	.type	_ZN7rocprim17ROCPRIM_400000_NS6detail17trampoline_kernelINS0_14default_configENS1_27scan_by_key_config_selectorIiiEEZZNS1_16scan_by_key_implILNS1_25lookback_scan_determinismE0ELb1ES3_N6thrust23THRUST_200600_302600_NS6detail15normal_iteratorINS9_10device_ptrIiEEEESE_SE_iNS9_4plusIvEENS9_8equal_toIiEEiEE10hipError_tPvRmT2_T3_T4_T5_mT6_T7_P12ihipStream_tbENKUlT_T0_E_clISt17integral_constantIbLb0EESY_IbLb1EEEEDaSU_SV_EUlSU_E_NS1_11comp_targetILNS1_3genE0ELNS1_11target_archE4294967295ELNS1_3gpuE0ELNS1_3repE0EEENS1_30default_config_static_selectorELNS0_4arch9wavefront6targetE0EEEvT1_,@function
_ZN7rocprim17ROCPRIM_400000_NS6detail17trampoline_kernelINS0_14default_configENS1_27scan_by_key_config_selectorIiiEEZZNS1_16scan_by_key_implILNS1_25lookback_scan_determinismE0ELb1ES3_N6thrust23THRUST_200600_302600_NS6detail15normal_iteratorINS9_10device_ptrIiEEEESE_SE_iNS9_4plusIvEENS9_8equal_toIiEEiEE10hipError_tPvRmT2_T3_T4_T5_mT6_T7_P12ihipStream_tbENKUlT_T0_E_clISt17integral_constantIbLb0EESY_IbLb1EEEEDaSU_SV_EUlSU_E_NS1_11comp_targetILNS1_3genE0ELNS1_11target_archE4294967295ELNS1_3gpuE0ELNS1_3repE0EEENS1_30default_config_static_selectorELNS0_4arch9wavefront6targetE0EEEvT1_: ; @_ZN7rocprim17ROCPRIM_400000_NS6detail17trampoline_kernelINS0_14default_configENS1_27scan_by_key_config_selectorIiiEEZZNS1_16scan_by_key_implILNS1_25lookback_scan_determinismE0ELb1ES3_N6thrust23THRUST_200600_302600_NS6detail15normal_iteratorINS9_10device_ptrIiEEEESE_SE_iNS9_4plusIvEENS9_8equal_toIiEEiEE10hipError_tPvRmT2_T3_T4_T5_mT6_T7_P12ihipStream_tbENKUlT_T0_E_clISt17integral_constantIbLb0EESY_IbLb1EEEEDaSU_SV_EUlSU_E_NS1_11comp_targetILNS1_3genE0ELNS1_11target_archE4294967295ELNS1_3gpuE0ELNS1_3repE0EEENS1_30default_config_static_selectorELNS0_4arch9wavefront6targetE0EEEvT1_
; %bb.0:
	.section	.rodata,"a",@progbits
	.p2align	6, 0x0
	.amdhsa_kernel _ZN7rocprim17ROCPRIM_400000_NS6detail17trampoline_kernelINS0_14default_configENS1_27scan_by_key_config_selectorIiiEEZZNS1_16scan_by_key_implILNS1_25lookback_scan_determinismE0ELb1ES3_N6thrust23THRUST_200600_302600_NS6detail15normal_iteratorINS9_10device_ptrIiEEEESE_SE_iNS9_4plusIvEENS9_8equal_toIiEEiEE10hipError_tPvRmT2_T3_T4_T5_mT6_T7_P12ihipStream_tbENKUlT_T0_E_clISt17integral_constantIbLb0EESY_IbLb1EEEEDaSU_SV_EUlSU_E_NS1_11comp_targetILNS1_3genE0ELNS1_11target_archE4294967295ELNS1_3gpuE0ELNS1_3repE0EEENS1_30default_config_static_selectorELNS0_4arch9wavefront6targetE0EEEvT1_
		.amdhsa_group_segment_fixed_size 0
		.amdhsa_private_segment_fixed_size 0
		.amdhsa_kernarg_size 112
		.amdhsa_user_sgpr_count 6
		.amdhsa_user_sgpr_private_segment_buffer 1
		.amdhsa_user_sgpr_dispatch_ptr 0
		.amdhsa_user_sgpr_queue_ptr 0
		.amdhsa_user_sgpr_kernarg_segment_ptr 1
		.amdhsa_user_sgpr_dispatch_id 0
		.amdhsa_user_sgpr_flat_scratch_init 0
		.amdhsa_user_sgpr_private_segment_size 0
		.amdhsa_wavefront_size32 1
		.amdhsa_uses_dynamic_stack 0
		.amdhsa_system_sgpr_private_segment_wavefront_offset 0
		.amdhsa_system_sgpr_workgroup_id_x 1
		.amdhsa_system_sgpr_workgroup_id_y 0
		.amdhsa_system_sgpr_workgroup_id_z 0
		.amdhsa_system_sgpr_workgroup_info 0
		.amdhsa_system_vgpr_workitem_id 0
		.amdhsa_next_free_vgpr 1
		.amdhsa_next_free_sgpr 1
		.amdhsa_reserve_vcc 0
		.amdhsa_reserve_flat_scratch 0
		.amdhsa_float_round_mode_32 0
		.amdhsa_float_round_mode_16_64 0
		.amdhsa_float_denorm_mode_32 3
		.amdhsa_float_denorm_mode_16_64 3
		.amdhsa_dx10_clamp 1
		.amdhsa_ieee_mode 1
		.amdhsa_fp16_overflow 0
		.amdhsa_workgroup_processor_mode 1
		.amdhsa_memory_ordered 1
		.amdhsa_forward_progress 1
		.amdhsa_shared_vgpr_count 0
		.amdhsa_exception_fp_ieee_invalid_op 0
		.amdhsa_exception_fp_denorm_src 0
		.amdhsa_exception_fp_ieee_div_zero 0
		.amdhsa_exception_fp_ieee_overflow 0
		.amdhsa_exception_fp_ieee_underflow 0
		.amdhsa_exception_fp_ieee_inexact 0
		.amdhsa_exception_int_div_zero 0
	.end_amdhsa_kernel
	.section	.text._ZN7rocprim17ROCPRIM_400000_NS6detail17trampoline_kernelINS0_14default_configENS1_27scan_by_key_config_selectorIiiEEZZNS1_16scan_by_key_implILNS1_25lookback_scan_determinismE0ELb1ES3_N6thrust23THRUST_200600_302600_NS6detail15normal_iteratorINS9_10device_ptrIiEEEESE_SE_iNS9_4plusIvEENS9_8equal_toIiEEiEE10hipError_tPvRmT2_T3_T4_T5_mT6_T7_P12ihipStream_tbENKUlT_T0_E_clISt17integral_constantIbLb0EESY_IbLb1EEEEDaSU_SV_EUlSU_E_NS1_11comp_targetILNS1_3genE0ELNS1_11target_archE4294967295ELNS1_3gpuE0ELNS1_3repE0EEENS1_30default_config_static_selectorELNS0_4arch9wavefront6targetE0EEEvT1_,"axG",@progbits,_ZN7rocprim17ROCPRIM_400000_NS6detail17trampoline_kernelINS0_14default_configENS1_27scan_by_key_config_selectorIiiEEZZNS1_16scan_by_key_implILNS1_25lookback_scan_determinismE0ELb1ES3_N6thrust23THRUST_200600_302600_NS6detail15normal_iteratorINS9_10device_ptrIiEEEESE_SE_iNS9_4plusIvEENS9_8equal_toIiEEiEE10hipError_tPvRmT2_T3_T4_T5_mT6_T7_P12ihipStream_tbENKUlT_T0_E_clISt17integral_constantIbLb0EESY_IbLb1EEEEDaSU_SV_EUlSU_E_NS1_11comp_targetILNS1_3genE0ELNS1_11target_archE4294967295ELNS1_3gpuE0ELNS1_3repE0EEENS1_30default_config_static_selectorELNS0_4arch9wavefront6targetE0EEEvT1_,comdat
.Lfunc_end560:
	.size	_ZN7rocprim17ROCPRIM_400000_NS6detail17trampoline_kernelINS0_14default_configENS1_27scan_by_key_config_selectorIiiEEZZNS1_16scan_by_key_implILNS1_25lookback_scan_determinismE0ELb1ES3_N6thrust23THRUST_200600_302600_NS6detail15normal_iteratorINS9_10device_ptrIiEEEESE_SE_iNS9_4plusIvEENS9_8equal_toIiEEiEE10hipError_tPvRmT2_T3_T4_T5_mT6_T7_P12ihipStream_tbENKUlT_T0_E_clISt17integral_constantIbLb0EESY_IbLb1EEEEDaSU_SV_EUlSU_E_NS1_11comp_targetILNS1_3genE0ELNS1_11target_archE4294967295ELNS1_3gpuE0ELNS1_3repE0EEENS1_30default_config_static_selectorELNS0_4arch9wavefront6targetE0EEEvT1_, .Lfunc_end560-_ZN7rocprim17ROCPRIM_400000_NS6detail17trampoline_kernelINS0_14default_configENS1_27scan_by_key_config_selectorIiiEEZZNS1_16scan_by_key_implILNS1_25lookback_scan_determinismE0ELb1ES3_N6thrust23THRUST_200600_302600_NS6detail15normal_iteratorINS9_10device_ptrIiEEEESE_SE_iNS9_4plusIvEENS9_8equal_toIiEEiEE10hipError_tPvRmT2_T3_T4_T5_mT6_T7_P12ihipStream_tbENKUlT_T0_E_clISt17integral_constantIbLb0EESY_IbLb1EEEEDaSU_SV_EUlSU_E_NS1_11comp_targetILNS1_3genE0ELNS1_11target_archE4294967295ELNS1_3gpuE0ELNS1_3repE0EEENS1_30default_config_static_selectorELNS0_4arch9wavefront6targetE0EEEvT1_
                                        ; -- End function
	.set _ZN7rocprim17ROCPRIM_400000_NS6detail17trampoline_kernelINS0_14default_configENS1_27scan_by_key_config_selectorIiiEEZZNS1_16scan_by_key_implILNS1_25lookback_scan_determinismE0ELb1ES3_N6thrust23THRUST_200600_302600_NS6detail15normal_iteratorINS9_10device_ptrIiEEEESE_SE_iNS9_4plusIvEENS9_8equal_toIiEEiEE10hipError_tPvRmT2_T3_T4_T5_mT6_T7_P12ihipStream_tbENKUlT_T0_E_clISt17integral_constantIbLb0EESY_IbLb1EEEEDaSU_SV_EUlSU_E_NS1_11comp_targetILNS1_3genE0ELNS1_11target_archE4294967295ELNS1_3gpuE0ELNS1_3repE0EEENS1_30default_config_static_selectorELNS0_4arch9wavefront6targetE0EEEvT1_.num_vgpr, 0
	.set _ZN7rocprim17ROCPRIM_400000_NS6detail17trampoline_kernelINS0_14default_configENS1_27scan_by_key_config_selectorIiiEEZZNS1_16scan_by_key_implILNS1_25lookback_scan_determinismE0ELb1ES3_N6thrust23THRUST_200600_302600_NS6detail15normal_iteratorINS9_10device_ptrIiEEEESE_SE_iNS9_4plusIvEENS9_8equal_toIiEEiEE10hipError_tPvRmT2_T3_T4_T5_mT6_T7_P12ihipStream_tbENKUlT_T0_E_clISt17integral_constantIbLb0EESY_IbLb1EEEEDaSU_SV_EUlSU_E_NS1_11comp_targetILNS1_3genE0ELNS1_11target_archE4294967295ELNS1_3gpuE0ELNS1_3repE0EEENS1_30default_config_static_selectorELNS0_4arch9wavefront6targetE0EEEvT1_.num_agpr, 0
	.set _ZN7rocprim17ROCPRIM_400000_NS6detail17trampoline_kernelINS0_14default_configENS1_27scan_by_key_config_selectorIiiEEZZNS1_16scan_by_key_implILNS1_25lookback_scan_determinismE0ELb1ES3_N6thrust23THRUST_200600_302600_NS6detail15normal_iteratorINS9_10device_ptrIiEEEESE_SE_iNS9_4plusIvEENS9_8equal_toIiEEiEE10hipError_tPvRmT2_T3_T4_T5_mT6_T7_P12ihipStream_tbENKUlT_T0_E_clISt17integral_constantIbLb0EESY_IbLb1EEEEDaSU_SV_EUlSU_E_NS1_11comp_targetILNS1_3genE0ELNS1_11target_archE4294967295ELNS1_3gpuE0ELNS1_3repE0EEENS1_30default_config_static_selectorELNS0_4arch9wavefront6targetE0EEEvT1_.numbered_sgpr, 0
	.set _ZN7rocprim17ROCPRIM_400000_NS6detail17trampoline_kernelINS0_14default_configENS1_27scan_by_key_config_selectorIiiEEZZNS1_16scan_by_key_implILNS1_25lookback_scan_determinismE0ELb1ES3_N6thrust23THRUST_200600_302600_NS6detail15normal_iteratorINS9_10device_ptrIiEEEESE_SE_iNS9_4plusIvEENS9_8equal_toIiEEiEE10hipError_tPvRmT2_T3_T4_T5_mT6_T7_P12ihipStream_tbENKUlT_T0_E_clISt17integral_constantIbLb0EESY_IbLb1EEEEDaSU_SV_EUlSU_E_NS1_11comp_targetILNS1_3genE0ELNS1_11target_archE4294967295ELNS1_3gpuE0ELNS1_3repE0EEENS1_30default_config_static_selectorELNS0_4arch9wavefront6targetE0EEEvT1_.num_named_barrier, 0
	.set _ZN7rocprim17ROCPRIM_400000_NS6detail17trampoline_kernelINS0_14default_configENS1_27scan_by_key_config_selectorIiiEEZZNS1_16scan_by_key_implILNS1_25lookback_scan_determinismE0ELb1ES3_N6thrust23THRUST_200600_302600_NS6detail15normal_iteratorINS9_10device_ptrIiEEEESE_SE_iNS9_4plusIvEENS9_8equal_toIiEEiEE10hipError_tPvRmT2_T3_T4_T5_mT6_T7_P12ihipStream_tbENKUlT_T0_E_clISt17integral_constantIbLb0EESY_IbLb1EEEEDaSU_SV_EUlSU_E_NS1_11comp_targetILNS1_3genE0ELNS1_11target_archE4294967295ELNS1_3gpuE0ELNS1_3repE0EEENS1_30default_config_static_selectorELNS0_4arch9wavefront6targetE0EEEvT1_.private_seg_size, 0
	.set _ZN7rocprim17ROCPRIM_400000_NS6detail17trampoline_kernelINS0_14default_configENS1_27scan_by_key_config_selectorIiiEEZZNS1_16scan_by_key_implILNS1_25lookback_scan_determinismE0ELb1ES3_N6thrust23THRUST_200600_302600_NS6detail15normal_iteratorINS9_10device_ptrIiEEEESE_SE_iNS9_4plusIvEENS9_8equal_toIiEEiEE10hipError_tPvRmT2_T3_T4_T5_mT6_T7_P12ihipStream_tbENKUlT_T0_E_clISt17integral_constantIbLb0EESY_IbLb1EEEEDaSU_SV_EUlSU_E_NS1_11comp_targetILNS1_3genE0ELNS1_11target_archE4294967295ELNS1_3gpuE0ELNS1_3repE0EEENS1_30default_config_static_selectorELNS0_4arch9wavefront6targetE0EEEvT1_.uses_vcc, 0
	.set _ZN7rocprim17ROCPRIM_400000_NS6detail17trampoline_kernelINS0_14default_configENS1_27scan_by_key_config_selectorIiiEEZZNS1_16scan_by_key_implILNS1_25lookback_scan_determinismE0ELb1ES3_N6thrust23THRUST_200600_302600_NS6detail15normal_iteratorINS9_10device_ptrIiEEEESE_SE_iNS9_4plusIvEENS9_8equal_toIiEEiEE10hipError_tPvRmT2_T3_T4_T5_mT6_T7_P12ihipStream_tbENKUlT_T0_E_clISt17integral_constantIbLb0EESY_IbLb1EEEEDaSU_SV_EUlSU_E_NS1_11comp_targetILNS1_3genE0ELNS1_11target_archE4294967295ELNS1_3gpuE0ELNS1_3repE0EEENS1_30default_config_static_selectorELNS0_4arch9wavefront6targetE0EEEvT1_.uses_flat_scratch, 0
	.set _ZN7rocprim17ROCPRIM_400000_NS6detail17trampoline_kernelINS0_14default_configENS1_27scan_by_key_config_selectorIiiEEZZNS1_16scan_by_key_implILNS1_25lookback_scan_determinismE0ELb1ES3_N6thrust23THRUST_200600_302600_NS6detail15normal_iteratorINS9_10device_ptrIiEEEESE_SE_iNS9_4plusIvEENS9_8equal_toIiEEiEE10hipError_tPvRmT2_T3_T4_T5_mT6_T7_P12ihipStream_tbENKUlT_T0_E_clISt17integral_constantIbLb0EESY_IbLb1EEEEDaSU_SV_EUlSU_E_NS1_11comp_targetILNS1_3genE0ELNS1_11target_archE4294967295ELNS1_3gpuE0ELNS1_3repE0EEENS1_30default_config_static_selectorELNS0_4arch9wavefront6targetE0EEEvT1_.has_dyn_sized_stack, 0
	.set _ZN7rocprim17ROCPRIM_400000_NS6detail17trampoline_kernelINS0_14default_configENS1_27scan_by_key_config_selectorIiiEEZZNS1_16scan_by_key_implILNS1_25lookback_scan_determinismE0ELb1ES3_N6thrust23THRUST_200600_302600_NS6detail15normal_iteratorINS9_10device_ptrIiEEEESE_SE_iNS9_4plusIvEENS9_8equal_toIiEEiEE10hipError_tPvRmT2_T3_T4_T5_mT6_T7_P12ihipStream_tbENKUlT_T0_E_clISt17integral_constantIbLb0EESY_IbLb1EEEEDaSU_SV_EUlSU_E_NS1_11comp_targetILNS1_3genE0ELNS1_11target_archE4294967295ELNS1_3gpuE0ELNS1_3repE0EEENS1_30default_config_static_selectorELNS0_4arch9wavefront6targetE0EEEvT1_.has_recursion, 0
	.set _ZN7rocprim17ROCPRIM_400000_NS6detail17trampoline_kernelINS0_14default_configENS1_27scan_by_key_config_selectorIiiEEZZNS1_16scan_by_key_implILNS1_25lookback_scan_determinismE0ELb1ES3_N6thrust23THRUST_200600_302600_NS6detail15normal_iteratorINS9_10device_ptrIiEEEESE_SE_iNS9_4plusIvEENS9_8equal_toIiEEiEE10hipError_tPvRmT2_T3_T4_T5_mT6_T7_P12ihipStream_tbENKUlT_T0_E_clISt17integral_constantIbLb0EESY_IbLb1EEEEDaSU_SV_EUlSU_E_NS1_11comp_targetILNS1_3genE0ELNS1_11target_archE4294967295ELNS1_3gpuE0ELNS1_3repE0EEENS1_30default_config_static_selectorELNS0_4arch9wavefront6targetE0EEEvT1_.has_indirect_call, 0
	.section	.AMDGPU.csdata,"",@progbits
; Kernel info:
; codeLenInByte = 0
; TotalNumSgprs: 0
; NumVgprs: 0
; ScratchSize: 0
; MemoryBound: 0
; FloatMode: 240
; IeeeMode: 1
; LDSByteSize: 0 bytes/workgroup (compile time only)
; SGPRBlocks: 0
; VGPRBlocks: 0
; NumSGPRsForWavesPerEU: 1
; NumVGPRsForWavesPerEU: 1
; Occupancy: 16
; WaveLimiterHint : 0
; COMPUTE_PGM_RSRC2:SCRATCH_EN: 0
; COMPUTE_PGM_RSRC2:USER_SGPR: 6
; COMPUTE_PGM_RSRC2:TRAP_HANDLER: 0
; COMPUTE_PGM_RSRC2:TGID_X_EN: 1
; COMPUTE_PGM_RSRC2:TGID_Y_EN: 0
; COMPUTE_PGM_RSRC2:TGID_Z_EN: 0
; COMPUTE_PGM_RSRC2:TIDIG_COMP_CNT: 0
	.section	.text._ZN7rocprim17ROCPRIM_400000_NS6detail17trampoline_kernelINS0_14default_configENS1_27scan_by_key_config_selectorIiiEEZZNS1_16scan_by_key_implILNS1_25lookback_scan_determinismE0ELb1ES3_N6thrust23THRUST_200600_302600_NS6detail15normal_iteratorINS9_10device_ptrIiEEEESE_SE_iNS9_4plusIvEENS9_8equal_toIiEEiEE10hipError_tPvRmT2_T3_T4_T5_mT6_T7_P12ihipStream_tbENKUlT_T0_E_clISt17integral_constantIbLb0EESY_IbLb1EEEEDaSU_SV_EUlSU_E_NS1_11comp_targetILNS1_3genE10ELNS1_11target_archE1201ELNS1_3gpuE5ELNS1_3repE0EEENS1_30default_config_static_selectorELNS0_4arch9wavefront6targetE0EEEvT1_,"axG",@progbits,_ZN7rocprim17ROCPRIM_400000_NS6detail17trampoline_kernelINS0_14default_configENS1_27scan_by_key_config_selectorIiiEEZZNS1_16scan_by_key_implILNS1_25lookback_scan_determinismE0ELb1ES3_N6thrust23THRUST_200600_302600_NS6detail15normal_iteratorINS9_10device_ptrIiEEEESE_SE_iNS9_4plusIvEENS9_8equal_toIiEEiEE10hipError_tPvRmT2_T3_T4_T5_mT6_T7_P12ihipStream_tbENKUlT_T0_E_clISt17integral_constantIbLb0EESY_IbLb1EEEEDaSU_SV_EUlSU_E_NS1_11comp_targetILNS1_3genE10ELNS1_11target_archE1201ELNS1_3gpuE5ELNS1_3repE0EEENS1_30default_config_static_selectorELNS0_4arch9wavefront6targetE0EEEvT1_,comdat
	.protected	_ZN7rocprim17ROCPRIM_400000_NS6detail17trampoline_kernelINS0_14default_configENS1_27scan_by_key_config_selectorIiiEEZZNS1_16scan_by_key_implILNS1_25lookback_scan_determinismE0ELb1ES3_N6thrust23THRUST_200600_302600_NS6detail15normal_iteratorINS9_10device_ptrIiEEEESE_SE_iNS9_4plusIvEENS9_8equal_toIiEEiEE10hipError_tPvRmT2_T3_T4_T5_mT6_T7_P12ihipStream_tbENKUlT_T0_E_clISt17integral_constantIbLb0EESY_IbLb1EEEEDaSU_SV_EUlSU_E_NS1_11comp_targetILNS1_3genE10ELNS1_11target_archE1201ELNS1_3gpuE5ELNS1_3repE0EEENS1_30default_config_static_selectorELNS0_4arch9wavefront6targetE0EEEvT1_ ; -- Begin function _ZN7rocprim17ROCPRIM_400000_NS6detail17trampoline_kernelINS0_14default_configENS1_27scan_by_key_config_selectorIiiEEZZNS1_16scan_by_key_implILNS1_25lookback_scan_determinismE0ELb1ES3_N6thrust23THRUST_200600_302600_NS6detail15normal_iteratorINS9_10device_ptrIiEEEESE_SE_iNS9_4plusIvEENS9_8equal_toIiEEiEE10hipError_tPvRmT2_T3_T4_T5_mT6_T7_P12ihipStream_tbENKUlT_T0_E_clISt17integral_constantIbLb0EESY_IbLb1EEEEDaSU_SV_EUlSU_E_NS1_11comp_targetILNS1_3genE10ELNS1_11target_archE1201ELNS1_3gpuE5ELNS1_3repE0EEENS1_30default_config_static_selectorELNS0_4arch9wavefront6targetE0EEEvT1_
	.globl	_ZN7rocprim17ROCPRIM_400000_NS6detail17trampoline_kernelINS0_14default_configENS1_27scan_by_key_config_selectorIiiEEZZNS1_16scan_by_key_implILNS1_25lookback_scan_determinismE0ELb1ES3_N6thrust23THRUST_200600_302600_NS6detail15normal_iteratorINS9_10device_ptrIiEEEESE_SE_iNS9_4plusIvEENS9_8equal_toIiEEiEE10hipError_tPvRmT2_T3_T4_T5_mT6_T7_P12ihipStream_tbENKUlT_T0_E_clISt17integral_constantIbLb0EESY_IbLb1EEEEDaSU_SV_EUlSU_E_NS1_11comp_targetILNS1_3genE10ELNS1_11target_archE1201ELNS1_3gpuE5ELNS1_3repE0EEENS1_30default_config_static_selectorELNS0_4arch9wavefront6targetE0EEEvT1_
	.p2align	8
	.type	_ZN7rocprim17ROCPRIM_400000_NS6detail17trampoline_kernelINS0_14default_configENS1_27scan_by_key_config_selectorIiiEEZZNS1_16scan_by_key_implILNS1_25lookback_scan_determinismE0ELb1ES3_N6thrust23THRUST_200600_302600_NS6detail15normal_iteratorINS9_10device_ptrIiEEEESE_SE_iNS9_4plusIvEENS9_8equal_toIiEEiEE10hipError_tPvRmT2_T3_T4_T5_mT6_T7_P12ihipStream_tbENKUlT_T0_E_clISt17integral_constantIbLb0EESY_IbLb1EEEEDaSU_SV_EUlSU_E_NS1_11comp_targetILNS1_3genE10ELNS1_11target_archE1201ELNS1_3gpuE5ELNS1_3repE0EEENS1_30default_config_static_selectorELNS0_4arch9wavefront6targetE0EEEvT1_,@function
_ZN7rocprim17ROCPRIM_400000_NS6detail17trampoline_kernelINS0_14default_configENS1_27scan_by_key_config_selectorIiiEEZZNS1_16scan_by_key_implILNS1_25lookback_scan_determinismE0ELb1ES3_N6thrust23THRUST_200600_302600_NS6detail15normal_iteratorINS9_10device_ptrIiEEEESE_SE_iNS9_4plusIvEENS9_8equal_toIiEEiEE10hipError_tPvRmT2_T3_T4_T5_mT6_T7_P12ihipStream_tbENKUlT_T0_E_clISt17integral_constantIbLb0EESY_IbLb1EEEEDaSU_SV_EUlSU_E_NS1_11comp_targetILNS1_3genE10ELNS1_11target_archE1201ELNS1_3gpuE5ELNS1_3repE0EEENS1_30default_config_static_selectorELNS0_4arch9wavefront6targetE0EEEvT1_: ; @_ZN7rocprim17ROCPRIM_400000_NS6detail17trampoline_kernelINS0_14default_configENS1_27scan_by_key_config_selectorIiiEEZZNS1_16scan_by_key_implILNS1_25lookback_scan_determinismE0ELb1ES3_N6thrust23THRUST_200600_302600_NS6detail15normal_iteratorINS9_10device_ptrIiEEEESE_SE_iNS9_4plusIvEENS9_8equal_toIiEEiEE10hipError_tPvRmT2_T3_T4_T5_mT6_T7_P12ihipStream_tbENKUlT_T0_E_clISt17integral_constantIbLb0EESY_IbLb1EEEEDaSU_SV_EUlSU_E_NS1_11comp_targetILNS1_3genE10ELNS1_11target_archE1201ELNS1_3gpuE5ELNS1_3repE0EEENS1_30default_config_static_selectorELNS0_4arch9wavefront6targetE0EEEvT1_
; %bb.0:
	.section	.rodata,"a",@progbits
	.p2align	6, 0x0
	.amdhsa_kernel _ZN7rocprim17ROCPRIM_400000_NS6detail17trampoline_kernelINS0_14default_configENS1_27scan_by_key_config_selectorIiiEEZZNS1_16scan_by_key_implILNS1_25lookback_scan_determinismE0ELb1ES3_N6thrust23THRUST_200600_302600_NS6detail15normal_iteratorINS9_10device_ptrIiEEEESE_SE_iNS9_4plusIvEENS9_8equal_toIiEEiEE10hipError_tPvRmT2_T3_T4_T5_mT6_T7_P12ihipStream_tbENKUlT_T0_E_clISt17integral_constantIbLb0EESY_IbLb1EEEEDaSU_SV_EUlSU_E_NS1_11comp_targetILNS1_3genE10ELNS1_11target_archE1201ELNS1_3gpuE5ELNS1_3repE0EEENS1_30default_config_static_selectorELNS0_4arch9wavefront6targetE0EEEvT1_
		.amdhsa_group_segment_fixed_size 0
		.amdhsa_private_segment_fixed_size 0
		.amdhsa_kernarg_size 112
		.amdhsa_user_sgpr_count 6
		.amdhsa_user_sgpr_private_segment_buffer 1
		.amdhsa_user_sgpr_dispatch_ptr 0
		.amdhsa_user_sgpr_queue_ptr 0
		.amdhsa_user_sgpr_kernarg_segment_ptr 1
		.amdhsa_user_sgpr_dispatch_id 0
		.amdhsa_user_sgpr_flat_scratch_init 0
		.amdhsa_user_sgpr_private_segment_size 0
		.amdhsa_wavefront_size32 1
		.amdhsa_uses_dynamic_stack 0
		.amdhsa_system_sgpr_private_segment_wavefront_offset 0
		.amdhsa_system_sgpr_workgroup_id_x 1
		.amdhsa_system_sgpr_workgroup_id_y 0
		.amdhsa_system_sgpr_workgroup_id_z 0
		.amdhsa_system_sgpr_workgroup_info 0
		.amdhsa_system_vgpr_workitem_id 0
		.amdhsa_next_free_vgpr 1
		.amdhsa_next_free_sgpr 1
		.amdhsa_reserve_vcc 0
		.amdhsa_reserve_flat_scratch 0
		.amdhsa_float_round_mode_32 0
		.amdhsa_float_round_mode_16_64 0
		.amdhsa_float_denorm_mode_32 3
		.amdhsa_float_denorm_mode_16_64 3
		.amdhsa_dx10_clamp 1
		.amdhsa_ieee_mode 1
		.amdhsa_fp16_overflow 0
		.amdhsa_workgroup_processor_mode 1
		.amdhsa_memory_ordered 1
		.amdhsa_forward_progress 1
		.amdhsa_shared_vgpr_count 0
		.amdhsa_exception_fp_ieee_invalid_op 0
		.amdhsa_exception_fp_denorm_src 0
		.amdhsa_exception_fp_ieee_div_zero 0
		.amdhsa_exception_fp_ieee_overflow 0
		.amdhsa_exception_fp_ieee_underflow 0
		.amdhsa_exception_fp_ieee_inexact 0
		.amdhsa_exception_int_div_zero 0
	.end_amdhsa_kernel
	.section	.text._ZN7rocprim17ROCPRIM_400000_NS6detail17trampoline_kernelINS0_14default_configENS1_27scan_by_key_config_selectorIiiEEZZNS1_16scan_by_key_implILNS1_25lookback_scan_determinismE0ELb1ES3_N6thrust23THRUST_200600_302600_NS6detail15normal_iteratorINS9_10device_ptrIiEEEESE_SE_iNS9_4plusIvEENS9_8equal_toIiEEiEE10hipError_tPvRmT2_T3_T4_T5_mT6_T7_P12ihipStream_tbENKUlT_T0_E_clISt17integral_constantIbLb0EESY_IbLb1EEEEDaSU_SV_EUlSU_E_NS1_11comp_targetILNS1_3genE10ELNS1_11target_archE1201ELNS1_3gpuE5ELNS1_3repE0EEENS1_30default_config_static_selectorELNS0_4arch9wavefront6targetE0EEEvT1_,"axG",@progbits,_ZN7rocprim17ROCPRIM_400000_NS6detail17trampoline_kernelINS0_14default_configENS1_27scan_by_key_config_selectorIiiEEZZNS1_16scan_by_key_implILNS1_25lookback_scan_determinismE0ELb1ES3_N6thrust23THRUST_200600_302600_NS6detail15normal_iteratorINS9_10device_ptrIiEEEESE_SE_iNS9_4plusIvEENS9_8equal_toIiEEiEE10hipError_tPvRmT2_T3_T4_T5_mT6_T7_P12ihipStream_tbENKUlT_T0_E_clISt17integral_constantIbLb0EESY_IbLb1EEEEDaSU_SV_EUlSU_E_NS1_11comp_targetILNS1_3genE10ELNS1_11target_archE1201ELNS1_3gpuE5ELNS1_3repE0EEENS1_30default_config_static_selectorELNS0_4arch9wavefront6targetE0EEEvT1_,comdat
.Lfunc_end561:
	.size	_ZN7rocprim17ROCPRIM_400000_NS6detail17trampoline_kernelINS0_14default_configENS1_27scan_by_key_config_selectorIiiEEZZNS1_16scan_by_key_implILNS1_25lookback_scan_determinismE0ELb1ES3_N6thrust23THRUST_200600_302600_NS6detail15normal_iteratorINS9_10device_ptrIiEEEESE_SE_iNS9_4plusIvEENS9_8equal_toIiEEiEE10hipError_tPvRmT2_T3_T4_T5_mT6_T7_P12ihipStream_tbENKUlT_T0_E_clISt17integral_constantIbLb0EESY_IbLb1EEEEDaSU_SV_EUlSU_E_NS1_11comp_targetILNS1_3genE10ELNS1_11target_archE1201ELNS1_3gpuE5ELNS1_3repE0EEENS1_30default_config_static_selectorELNS0_4arch9wavefront6targetE0EEEvT1_, .Lfunc_end561-_ZN7rocprim17ROCPRIM_400000_NS6detail17trampoline_kernelINS0_14default_configENS1_27scan_by_key_config_selectorIiiEEZZNS1_16scan_by_key_implILNS1_25lookback_scan_determinismE0ELb1ES3_N6thrust23THRUST_200600_302600_NS6detail15normal_iteratorINS9_10device_ptrIiEEEESE_SE_iNS9_4plusIvEENS9_8equal_toIiEEiEE10hipError_tPvRmT2_T3_T4_T5_mT6_T7_P12ihipStream_tbENKUlT_T0_E_clISt17integral_constantIbLb0EESY_IbLb1EEEEDaSU_SV_EUlSU_E_NS1_11comp_targetILNS1_3genE10ELNS1_11target_archE1201ELNS1_3gpuE5ELNS1_3repE0EEENS1_30default_config_static_selectorELNS0_4arch9wavefront6targetE0EEEvT1_
                                        ; -- End function
	.set _ZN7rocprim17ROCPRIM_400000_NS6detail17trampoline_kernelINS0_14default_configENS1_27scan_by_key_config_selectorIiiEEZZNS1_16scan_by_key_implILNS1_25lookback_scan_determinismE0ELb1ES3_N6thrust23THRUST_200600_302600_NS6detail15normal_iteratorINS9_10device_ptrIiEEEESE_SE_iNS9_4plusIvEENS9_8equal_toIiEEiEE10hipError_tPvRmT2_T3_T4_T5_mT6_T7_P12ihipStream_tbENKUlT_T0_E_clISt17integral_constantIbLb0EESY_IbLb1EEEEDaSU_SV_EUlSU_E_NS1_11comp_targetILNS1_3genE10ELNS1_11target_archE1201ELNS1_3gpuE5ELNS1_3repE0EEENS1_30default_config_static_selectorELNS0_4arch9wavefront6targetE0EEEvT1_.num_vgpr, 0
	.set _ZN7rocprim17ROCPRIM_400000_NS6detail17trampoline_kernelINS0_14default_configENS1_27scan_by_key_config_selectorIiiEEZZNS1_16scan_by_key_implILNS1_25lookback_scan_determinismE0ELb1ES3_N6thrust23THRUST_200600_302600_NS6detail15normal_iteratorINS9_10device_ptrIiEEEESE_SE_iNS9_4plusIvEENS9_8equal_toIiEEiEE10hipError_tPvRmT2_T3_T4_T5_mT6_T7_P12ihipStream_tbENKUlT_T0_E_clISt17integral_constantIbLb0EESY_IbLb1EEEEDaSU_SV_EUlSU_E_NS1_11comp_targetILNS1_3genE10ELNS1_11target_archE1201ELNS1_3gpuE5ELNS1_3repE0EEENS1_30default_config_static_selectorELNS0_4arch9wavefront6targetE0EEEvT1_.num_agpr, 0
	.set _ZN7rocprim17ROCPRIM_400000_NS6detail17trampoline_kernelINS0_14default_configENS1_27scan_by_key_config_selectorIiiEEZZNS1_16scan_by_key_implILNS1_25lookback_scan_determinismE0ELb1ES3_N6thrust23THRUST_200600_302600_NS6detail15normal_iteratorINS9_10device_ptrIiEEEESE_SE_iNS9_4plusIvEENS9_8equal_toIiEEiEE10hipError_tPvRmT2_T3_T4_T5_mT6_T7_P12ihipStream_tbENKUlT_T0_E_clISt17integral_constantIbLb0EESY_IbLb1EEEEDaSU_SV_EUlSU_E_NS1_11comp_targetILNS1_3genE10ELNS1_11target_archE1201ELNS1_3gpuE5ELNS1_3repE0EEENS1_30default_config_static_selectorELNS0_4arch9wavefront6targetE0EEEvT1_.numbered_sgpr, 0
	.set _ZN7rocprim17ROCPRIM_400000_NS6detail17trampoline_kernelINS0_14default_configENS1_27scan_by_key_config_selectorIiiEEZZNS1_16scan_by_key_implILNS1_25lookback_scan_determinismE0ELb1ES3_N6thrust23THRUST_200600_302600_NS6detail15normal_iteratorINS9_10device_ptrIiEEEESE_SE_iNS9_4plusIvEENS9_8equal_toIiEEiEE10hipError_tPvRmT2_T3_T4_T5_mT6_T7_P12ihipStream_tbENKUlT_T0_E_clISt17integral_constantIbLb0EESY_IbLb1EEEEDaSU_SV_EUlSU_E_NS1_11comp_targetILNS1_3genE10ELNS1_11target_archE1201ELNS1_3gpuE5ELNS1_3repE0EEENS1_30default_config_static_selectorELNS0_4arch9wavefront6targetE0EEEvT1_.num_named_barrier, 0
	.set _ZN7rocprim17ROCPRIM_400000_NS6detail17trampoline_kernelINS0_14default_configENS1_27scan_by_key_config_selectorIiiEEZZNS1_16scan_by_key_implILNS1_25lookback_scan_determinismE0ELb1ES3_N6thrust23THRUST_200600_302600_NS6detail15normal_iteratorINS9_10device_ptrIiEEEESE_SE_iNS9_4plusIvEENS9_8equal_toIiEEiEE10hipError_tPvRmT2_T3_T4_T5_mT6_T7_P12ihipStream_tbENKUlT_T0_E_clISt17integral_constantIbLb0EESY_IbLb1EEEEDaSU_SV_EUlSU_E_NS1_11comp_targetILNS1_3genE10ELNS1_11target_archE1201ELNS1_3gpuE5ELNS1_3repE0EEENS1_30default_config_static_selectorELNS0_4arch9wavefront6targetE0EEEvT1_.private_seg_size, 0
	.set _ZN7rocprim17ROCPRIM_400000_NS6detail17trampoline_kernelINS0_14default_configENS1_27scan_by_key_config_selectorIiiEEZZNS1_16scan_by_key_implILNS1_25lookback_scan_determinismE0ELb1ES3_N6thrust23THRUST_200600_302600_NS6detail15normal_iteratorINS9_10device_ptrIiEEEESE_SE_iNS9_4plusIvEENS9_8equal_toIiEEiEE10hipError_tPvRmT2_T3_T4_T5_mT6_T7_P12ihipStream_tbENKUlT_T0_E_clISt17integral_constantIbLb0EESY_IbLb1EEEEDaSU_SV_EUlSU_E_NS1_11comp_targetILNS1_3genE10ELNS1_11target_archE1201ELNS1_3gpuE5ELNS1_3repE0EEENS1_30default_config_static_selectorELNS0_4arch9wavefront6targetE0EEEvT1_.uses_vcc, 0
	.set _ZN7rocprim17ROCPRIM_400000_NS6detail17trampoline_kernelINS0_14default_configENS1_27scan_by_key_config_selectorIiiEEZZNS1_16scan_by_key_implILNS1_25lookback_scan_determinismE0ELb1ES3_N6thrust23THRUST_200600_302600_NS6detail15normal_iteratorINS9_10device_ptrIiEEEESE_SE_iNS9_4plusIvEENS9_8equal_toIiEEiEE10hipError_tPvRmT2_T3_T4_T5_mT6_T7_P12ihipStream_tbENKUlT_T0_E_clISt17integral_constantIbLb0EESY_IbLb1EEEEDaSU_SV_EUlSU_E_NS1_11comp_targetILNS1_3genE10ELNS1_11target_archE1201ELNS1_3gpuE5ELNS1_3repE0EEENS1_30default_config_static_selectorELNS0_4arch9wavefront6targetE0EEEvT1_.uses_flat_scratch, 0
	.set _ZN7rocprim17ROCPRIM_400000_NS6detail17trampoline_kernelINS0_14default_configENS1_27scan_by_key_config_selectorIiiEEZZNS1_16scan_by_key_implILNS1_25lookback_scan_determinismE0ELb1ES3_N6thrust23THRUST_200600_302600_NS6detail15normal_iteratorINS9_10device_ptrIiEEEESE_SE_iNS9_4plusIvEENS9_8equal_toIiEEiEE10hipError_tPvRmT2_T3_T4_T5_mT6_T7_P12ihipStream_tbENKUlT_T0_E_clISt17integral_constantIbLb0EESY_IbLb1EEEEDaSU_SV_EUlSU_E_NS1_11comp_targetILNS1_3genE10ELNS1_11target_archE1201ELNS1_3gpuE5ELNS1_3repE0EEENS1_30default_config_static_selectorELNS0_4arch9wavefront6targetE0EEEvT1_.has_dyn_sized_stack, 0
	.set _ZN7rocprim17ROCPRIM_400000_NS6detail17trampoline_kernelINS0_14default_configENS1_27scan_by_key_config_selectorIiiEEZZNS1_16scan_by_key_implILNS1_25lookback_scan_determinismE0ELb1ES3_N6thrust23THRUST_200600_302600_NS6detail15normal_iteratorINS9_10device_ptrIiEEEESE_SE_iNS9_4plusIvEENS9_8equal_toIiEEiEE10hipError_tPvRmT2_T3_T4_T5_mT6_T7_P12ihipStream_tbENKUlT_T0_E_clISt17integral_constantIbLb0EESY_IbLb1EEEEDaSU_SV_EUlSU_E_NS1_11comp_targetILNS1_3genE10ELNS1_11target_archE1201ELNS1_3gpuE5ELNS1_3repE0EEENS1_30default_config_static_selectorELNS0_4arch9wavefront6targetE0EEEvT1_.has_recursion, 0
	.set _ZN7rocprim17ROCPRIM_400000_NS6detail17trampoline_kernelINS0_14default_configENS1_27scan_by_key_config_selectorIiiEEZZNS1_16scan_by_key_implILNS1_25lookback_scan_determinismE0ELb1ES3_N6thrust23THRUST_200600_302600_NS6detail15normal_iteratorINS9_10device_ptrIiEEEESE_SE_iNS9_4plusIvEENS9_8equal_toIiEEiEE10hipError_tPvRmT2_T3_T4_T5_mT6_T7_P12ihipStream_tbENKUlT_T0_E_clISt17integral_constantIbLb0EESY_IbLb1EEEEDaSU_SV_EUlSU_E_NS1_11comp_targetILNS1_3genE10ELNS1_11target_archE1201ELNS1_3gpuE5ELNS1_3repE0EEENS1_30default_config_static_selectorELNS0_4arch9wavefront6targetE0EEEvT1_.has_indirect_call, 0
	.section	.AMDGPU.csdata,"",@progbits
; Kernel info:
; codeLenInByte = 0
; TotalNumSgprs: 0
; NumVgprs: 0
; ScratchSize: 0
; MemoryBound: 0
; FloatMode: 240
; IeeeMode: 1
; LDSByteSize: 0 bytes/workgroup (compile time only)
; SGPRBlocks: 0
; VGPRBlocks: 0
; NumSGPRsForWavesPerEU: 1
; NumVGPRsForWavesPerEU: 1
; Occupancy: 16
; WaveLimiterHint : 0
; COMPUTE_PGM_RSRC2:SCRATCH_EN: 0
; COMPUTE_PGM_RSRC2:USER_SGPR: 6
; COMPUTE_PGM_RSRC2:TRAP_HANDLER: 0
; COMPUTE_PGM_RSRC2:TGID_X_EN: 1
; COMPUTE_PGM_RSRC2:TGID_Y_EN: 0
; COMPUTE_PGM_RSRC2:TGID_Z_EN: 0
; COMPUTE_PGM_RSRC2:TIDIG_COMP_CNT: 0
	.section	.text._ZN7rocprim17ROCPRIM_400000_NS6detail17trampoline_kernelINS0_14default_configENS1_27scan_by_key_config_selectorIiiEEZZNS1_16scan_by_key_implILNS1_25lookback_scan_determinismE0ELb1ES3_N6thrust23THRUST_200600_302600_NS6detail15normal_iteratorINS9_10device_ptrIiEEEESE_SE_iNS9_4plusIvEENS9_8equal_toIiEEiEE10hipError_tPvRmT2_T3_T4_T5_mT6_T7_P12ihipStream_tbENKUlT_T0_E_clISt17integral_constantIbLb0EESY_IbLb1EEEEDaSU_SV_EUlSU_E_NS1_11comp_targetILNS1_3genE5ELNS1_11target_archE942ELNS1_3gpuE9ELNS1_3repE0EEENS1_30default_config_static_selectorELNS0_4arch9wavefront6targetE0EEEvT1_,"axG",@progbits,_ZN7rocprim17ROCPRIM_400000_NS6detail17trampoline_kernelINS0_14default_configENS1_27scan_by_key_config_selectorIiiEEZZNS1_16scan_by_key_implILNS1_25lookback_scan_determinismE0ELb1ES3_N6thrust23THRUST_200600_302600_NS6detail15normal_iteratorINS9_10device_ptrIiEEEESE_SE_iNS9_4plusIvEENS9_8equal_toIiEEiEE10hipError_tPvRmT2_T3_T4_T5_mT6_T7_P12ihipStream_tbENKUlT_T0_E_clISt17integral_constantIbLb0EESY_IbLb1EEEEDaSU_SV_EUlSU_E_NS1_11comp_targetILNS1_3genE5ELNS1_11target_archE942ELNS1_3gpuE9ELNS1_3repE0EEENS1_30default_config_static_selectorELNS0_4arch9wavefront6targetE0EEEvT1_,comdat
	.protected	_ZN7rocprim17ROCPRIM_400000_NS6detail17trampoline_kernelINS0_14default_configENS1_27scan_by_key_config_selectorIiiEEZZNS1_16scan_by_key_implILNS1_25lookback_scan_determinismE0ELb1ES3_N6thrust23THRUST_200600_302600_NS6detail15normal_iteratorINS9_10device_ptrIiEEEESE_SE_iNS9_4plusIvEENS9_8equal_toIiEEiEE10hipError_tPvRmT2_T3_T4_T5_mT6_T7_P12ihipStream_tbENKUlT_T0_E_clISt17integral_constantIbLb0EESY_IbLb1EEEEDaSU_SV_EUlSU_E_NS1_11comp_targetILNS1_3genE5ELNS1_11target_archE942ELNS1_3gpuE9ELNS1_3repE0EEENS1_30default_config_static_selectorELNS0_4arch9wavefront6targetE0EEEvT1_ ; -- Begin function _ZN7rocprim17ROCPRIM_400000_NS6detail17trampoline_kernelINS0_14default_configENS1_27scan_by_key_config_selectorIiiEEZZNS1_16scan_by_key_implILNS1_25lookback_scan_determinismE0ELb1ES3_N6thrust23THRUST_200600_302600_NS6detail15normal_iteratorINS9_10device_ptrIiEEEESE_SE_iNS9_4plusIvEENS9_8equal_toIiEEiEE10hipError_tPvRmT2_T3_T4_T5_mT6_T7_P12ihipStream_tbENKUlT_T0_E_clISt17integral_constantIbLb0EESY_IbLb1EEEEDaSU_SV_EUlSU_E_NS1_11comp_targetILNS1_3genE5ELNS1_11target_archE942ELNS1_3gpuE9ELNS1_3repE0EEENS1_30default_config_static_selectorELNS0_4arch9wavefront6targetE0EEEvT1_
	.globl	_ZN7rocprim17ROCPRIM_400000_NS6detail17trampoline_kernelINS0_14default_configENS1_27scan_by_key_config_selectorIiiEEZZNS1_16scan_by_key_implILNS1_25lookback_scan_determinismE0ELb1ES3_N6thrust23THRUST_200600_302600_NS6detail15normal_iteratorINS9_10device_ptrIiEEEESE_SE_iNS9_4plusIvEENS9_8equal_toIiEEiEE10hipError_tPvRmT2_T3_T4_T5_mT6_T7_P12ihipStream_tbENKUlT_T0_E_clISt17integral_constantIbLb0EESY_IbLb1EEEEDaSU_SV_EUlSU_E_NS1_11comp_targetILNS1_3genE5ELNS1_11target_archE942ELNS1_3gpuE9ELNS1_3repE0EEENS1_30default_config_static_selectorELNS0_4arch9wavefront6targetE0EEEvT1_
	.p2align	8
	.type	_ZN7rocprim17ROCPRIM_400000_NS6detail17trampoline_kernelINS0_14default_configENS1_27scan_by_key_config_selectorIiiEEZZNS1_16scan_by_key_implILNS1_25lookback_scan_determinismE0ELb1ES3_N6thrust23THRUST_200600_302600_NS6detail15normal_iteratorINS9_10device_ptrIiEEEESE_SE_iNS9_4plusIvEENS9_8equal_toIiEEiEE10hipError_tPvRmT2_T3_T4_T5_mT6_T7_P12ihipStream_tbENKUlT_T0_E_clISt17integral_constantIbLb0EESY_IbLb1EEEEDaSU_SV_EUlSU_E_NS1_11comp_targetILNS1_3genE5ELNS1_11target_archE942ELNS1_3gpuE9ELNS1_3repE0EEENS1_30default_config_static_selectorELNS0_4arch9wavefront6targetE0EEEvT1_,@function
_ZN7rocprim17ROCPRIM_400000_NS6detail17trampoline_kernelINS0_14default_configENS1_27scan_by_key_config_selectorIiiEEZZNS1_16scan_by_key_implILNS1_25lookback_scan_determinismE0ELb1ES3_N6thrust23THRUST_200600_302600_NS6detail15normal_iteratorINS9_10device_ptrIiEEEESE_SE_iNS9_4plusIvEENS9_8equal_toIiEEiEE10hipError_tPvRmT2_T3_T4_T5_mT6_T7_P12ihipStream_tbENKUlT_T0_E_clISt17integral_constantIbLb0EESY_IbLb1EEEEDaSU_SV_EUlSU_E_NS1_11comp_targetILNS1_3genE5ELNS1_11target_archE942ELNS1_3gpuE9ELNS1_3repE0EEENS1_30default_config_static_selectorELNS0_4arch9wavefront6targetE0EEEvT1_: ; @_ZN7rocprim17ROCPRIM_400000_NS6detail17trampoline_kernelINS0_14default_configENS1_27scan_by_key_config_selectorIiiEEZZNS1_16scan_by_key_implILNS1_25lookback_scan_determinismE0ELb1ES3_N6thrust23THRUST_200600_302600_NS6detail15normal_iteratorINS9_10device_ptrIiEEEESE_SE_iNS9_4plusIvEENS9_8equal_toIiEEiEE10hipError_tPvRmT2_T3_T4_T5_mT6_T7_P12ihipStream_tbENKUlT_T0_E_clISt17integral_constantIbLb0EESY_IbLb1EEEEDaSU_SV_EUlSU_E_NS1_11comp_targetILNS1_3genE5ELNS1_11target_archE942ELNS1_3gpuE9ELNS1_3repE0EEENS1_30default_config_static_selectorELNS0_4arch9wavefront6targetE0EEEvT1_
; %bb.0:
	.section	.rodata,"a",@progbits
	.p2align	6, 0x0
	.amdhsa_kernel _ZN7rocprim17ROCPRIM_400000_NS6detail17trampoline_kernelINS0_14default_configENS1_27scan_by_key_config_selectorIiiEEZZNS1_16scan_by_key_implILNS1_25lookback_scan_determinismE0ELb1ES3_N6thrust23THRUST_200600_302600_NS6detail15normal_iteratorINS9_10device_ptrIiEEEESE_SE_iNS9_4plusIvEENS9_8equal_toIiEEiEE10hipError_tPvRmT2_T3_T4_T5_mT6_T7_P12ihipStream_tbENKUlT_T0_E_clISt17integral_constantIbLb0EESY_IbLb1EEEEDaSU_SV_EUlSU_E_NS1_11comp_targetILNS1_3genE5ELNS1_11target_archE942ELNS1_3gpuE9ELNS1_3repE0EEENS1_30default_config_static_selectorELNS0_4arch9wavefront6targetE0EEEvT1_
		.amdhsa_group_segment_fixed_size 0
		.amdhsa_private_segment_fixed_size 0
		.amdhsa_kernarg_size 112
		.amdhsa_user_sgpr_count 6
		.amdhsa_user_sgpr_private_segment_buffer 1
		.amdhsa_user_sgpr_dispatch_ptr 0
		.amdhsa_user_sgpr_queue_ptr 0
		.amdhsa_user_sgpr_kernarg_segment_ptr 1
		.amdhsa_user_sgpr_dispatch_id 0
		.amdhsa_user_sgpr_flat_scratch_init 0
		.amdhsa_user_sgpr_private_segment_size 0
		.amdhsa_wavefront_size32 1
		.amdhsa_uses_dynamic_stack 0
		.amdhsa_system_sgpr_private_segment_wavefront_offset 0
		.amdhsa_system_sgpr_workgroup_id_x 1
		.amdhsa_system_sgpr_workgroup_id_y 0
		.amdhsa_system_sgpr_workgroup_id_z 0
		.amdhsa_system_sgpr_workgroup_info 0
		.amdhsa_system_vgpr_workitem_id 0
		.amdhsa_next_free_vgpr 1
		.amdhsa_next_free_sgpr 1
		.amdhsa_reserve_vcc 0
		.amdhsa_reserve_flat_scratch 0
		.amdhsa_float_round_mode_32 0
		.amdhsa_float_round_mode_16_64 0
		.amdhsa_float_denorm_mode_32 3
		.amdhsa_float_denorm_mode_16_64 3
		.amdhsa_dx10_clamp 1
		.amdhsa_ieee_mode 1
		.amdhsa_fp16_overflow 0
		.amdhsa_workgroup_processor_mode 1
		.amdhsa_memory_ordered 1
		.amdhsa_forward_progress 1
		.amdhsa_shared_vgpr_count 0
		.amdhsa_exception_fp_ieee_invalid_op 0
		.amdhsa_exception_fp_denorm_src 0
		.amdhsa_exception_fp_ieee_div_zero 0
		.amdhsa_exception_fp_ieee_overflow 0
		.amdhsa_exception_fp_ieee_underflow 0
		.amdhsa_exception_fp_ieee_inexact 0
		.amdhsa_exception_int_div_zero 0
	.end_amdhsa_kernel
	.section	.text._ZN7rocprim17ROCPRIM_400000_NS6detail17trampoline_kernelINS0_14default_configENS1_27scan_by_key_config_selectorIiiEEZZNS1_16scan_by_key_implILNS1_25lookback_scan_determinismE0ELb1ES3_N6thrust23THRUST_200600_302600_NS6detail15normal_iteratorINS9_10device_ptrIiEEEESE_SE_iNS9_4plusIvEENS9_8equal_toIiEEiEE10hipError_tPvRmT2_T3_T4_T5_mT6_T7_P12ihipStream_tbENKUlT_T0_E_clISt17integral_constantIbLb0EESY_IbLb1EEEEDaSU_SV_EUlSU_E_NS1_11comp_targetILNS1_3genE5ELNS1_11target_archE942ELNS1_3gpuE9ELNS1_3repE0EEENS1_30default_config_static_selectorELNS0_4arch9wavefront6targetE0EEEvT1_,"axG",@progbits,_ZN7rocprim17ROCPRIM_400000_NS6detail17trampoline_kernelINS0_14default_configENS1_27scan_by_key_config_selectorIiiEEZZNS1_16scan_by_key_implILNS1_25lookback_scan_determinismE0ELb1ES3_N6thrust23THRUST_200600_302600_NS6detail15normal_iteratorINS9_10device_ptrIiEEEESE_SE_iNS9_4plusIvEENS9_8equal_toIiEEiEE10hipError_tPvRmT2_T3_T4_T5_mT6_T7_P12ihipStream_tbENKUlT_T0_E_clISt17integral_constantIbLb0EESY_IbLb1EEEEDaSU_SV_EUlSU_E_NS1_11comp_targetILNS1_3genE5ELNS1_11target_archE942ELNS1_3gpuE9ELNS1_3repE0EEENS1_30default_config_static_selectorELNS0_4arch9wavefront6targetE0EEEvT1_,comdat
.Lfunc_end562:
	.size	_ZN7rocprim17ROCPRIM_400000_NS6detail17trampoline_kernelINS0_14default_configENS1_27scan_by_key_config_selectorIiiEEZZNS1_16scan_by_key_implILNS1_25lookback_scan_determinismE0ELb1ES3_N6thrust23THRUST_200600_302600_NS6detail15normal_iteratorINS9_10device_ptrIiEEEESE_SE_iNS9_4plusIvEENS9_8equal_toIiEEiEE10hipError_tPvRmT2_T3_T4_T5_mT6_T7_P12ihipStream_tbENKUlT_T0_E_clISt17integral_constantIbLb0EESY_IbLb1EEEEDaSU_SV_EUlSU_E_NS1_11comp_targetILNS1_3genE5ELNS1_11target_archE942ELNS1_3gpuE9ELNS1_3repE0EEENS1_30default_config_static_selectorELNS0_4arch9wavefront6targetE0EEEvT1_, .Lfunc_end562-_ZN7rocprim17ROCPRIM_400000_NS6detail17trampoline_kernelINS0_14default_configENS1_27scan_by_key_config_selectorIiiEEZZNS1_16scan_by_key_implILNS1_25lookback_scan_determinismE0ELb1ES3_N6thrust23THRUST_200600_302600_NS6detail15normal_iteratorINS9_10device_ptrIiEEEESE_SE_iNS9_4plusIvEENS9_8equal_toIiEEiEE10hipError_tPvRmT2_T3_T4_T5_mT6_T7_P12ihipStream_tbENKUlT_T0_E_clISt17integral_constantIbLb0EESY_IbLb1EEEEDaSU_SV_EUlSU_E_NS1_11comp_targetILNS1_3genE5ELNS1_11target_archE942ELNS1_3gpuE9ELNS1_3repE0EEENS1_30default_config_static_selectorELNS0_4arch9wavefront6targetE0EEEvT1_
                                        ; -- End function
	.set _ZN7rocprim17ROCPRIM_400000_NS6detail17trampoline_kernelINS0_14default_configENS1_27scan_by_key_config_selectorIiiEEZZNS1_16scan_by_key_implILNS1_25lookback_scan_determinismE0ELb1ES3_N6thrust23THRUST_200600_302600_NS6detail15normal_iteratorINS9_10device_ptrIiEEEESE_SE_iNS9_4plusIvEENS9_8equal_toIiEEiEE10hipError_tPvRmT2_T3_T4_T5_mT6_T7_P12ihipStream_tbENKUlT_T0_E_clISt17integral_constantIbLb0EESY_IbLb1EEEEDaSU_SV_EUlSU_E_NS1_11comp_targetILNS1_3genE5ELNS1_11target_archE942ELNS1_3gpuE9ELNS1_3repE0EEENS1_30default_config_static_selectorELNS0_4arch9wavefront6targetE0EEEvT1_.num_vgpr, 0
	.set _ZN7rocprim17ROCPRIM_400000_NS6detail17trampoline_kernelINS0_14default_configENS1_27scan_by_key_config_selectorIiiEEZZNS1_16scan_by_key_implILNS1_25lookback_scan_determinismE0ELb1ES3_N6thrust23THRUST_200600_302600_NS6detail15normal_iteratorINS9_10device_ptrIiEEEESE_SE_iNS9_4plusIvEENS9_8equal_toIiEEiEE10hipError_tPvRmT2_T3_T4_T5_mT6_T7_P12ihipStream_tbENKUlT_T0_E_clISt17integral_constantIbLb0EESY_IbLb1EEEEDaSU_SV_EUlSU_E_NS1_11comp_targetILNS1_3genE5ELNS1_11target_archE942ELNS1_3gpuE9ELNS1_3repE0EEENS1_30default_config_static_selectorELNS0_4arch9wavefront6targetE0EEEvT1_.num_agpr, 0
	.set _ZN7rocprim17ROCPRIM_400000_NS6detail17trampoline_kernelINS0_14default_configENS1_27scan_by_key_config_selectorIiiEEZZNS1_16scan_by_key_implILNS1_25lookback_scan_determinismE0ELb1ES3_N6thrust23THRUST_200600_302600_NS6detail15normal_iteratorINS9_10device_ptrIiEEEESE_SE_iNS9_4plusIvEENS9_8equal_toIiEEiEE10hipError_tPvRmT2_T3_T4_T5_mT6_T7_P12ihipStream_tbENKUlT_T0_E_clISt17integral_constantIbLb0EESY_IbLb1EEEEDaSU_SV_EUlSU_E_NS1_11comp_targetILNS1_3genE5ELNS1_11target_archE942ELNS1_3gpuE9ELNS1_3repE0EEENS1_30default_config_static_selectorELNS0_4arch9wavefront6targetE0EEEvT1_.numbered_sgpr, 0
	.set _ZN7rocprim17ROCPRIM_400000_NS6detail17trampoline_kernelINS0_14default_configENS1_27scan_by_key_config_selectorIiiEEZZNS1_16scan_by_key_implILNS1_25lookback_scan_determinismE0ELb1ES3_N6thrust23THRUST_200600_302600_NS6detail15normal_iteratorINS9_10device_ptrIiEEEESE_SE_iNS9_4plusIvEENS9_8equal_toIiEEiEE10hipError_tPvRmT2_T3_T4_T5_mT6_T7_P12ihipStream_tbENKUlT_T0_E_clISt17integral_constantIbLb0EESY_IbLb1EEEEDaSU_SV_EUlSU_E_NS1_11comp_targetILNS1_3genE5ELNS1_11target_archE942ELNS1_3gpuE9ELNS1_3repE0EEENS1_30default_config_static_selectorELNS0_4arch9wavefront6targetE0EEEvT1_.num_named_barrier, 0
	.set _ZN7rocprim17ROCPRIM_400000_NS6detail17trampoline_kernelINS0_14default_configENS1_27scan_by_key_config_selectorIiiEEZZNS1_16scan_by_key_implILNS1_25lookback_scan_determinismE0ELb1ES3_N6thrust23THRUST_200600_302600_NS6detail15normal_iteratorINS9_10device_ptrIiEEEESE_SE_iNS9_4plusIvEENS9_8equal_toIiEEiEE10hipError_tPvRmT2_T3_T4_T5_mT6_T7_P12ihipStream_tbENKUlT_T0_E_clISt17integral_constantIbLb0EESY_IbLb1EEEEDaSU_SV_EUlSU_E_NS1_11comp_targetILNS1_3genE5ELNS1_11target_archE942ELNS1_3gpuE9ELNS1_3repE0EEENS1_30default_config_static_selectorELNS0_4arch9wavefront6targetE0EEEvT1_.private_seg_size, 0
	.set _ZN7rocprim17ROCPRIM_400000_NS6detail17trampoline_kernelINS0_14default_configENS1_27scan_by_key_config_selectorIiiEEZZNS1_16scan_by_key_implILNS1_25lookback_scan_determinismE0ELb1ES3_N6thrust23THRUST_200600_302600_NS6detail15normal_iteratorINS9_10device_ptrIiEEEESE_SE_iNS9_4plusIvEENS9_8equal_toIiEEiEE10hipError_tPvRmT2_T3_T4_T5_mT6_T7_P12ihipStream_tbENKUlT_T0_E_clISt17integral_constantIbLb0EESY_IbLb1EEEEDaSU_SV_EUlSU_E_NS1_11comp_targetILNS1_3genE5ELNS1_11target_archE942ELNS1_3gpuE9ELNS1_3repE0EEENS1_30default_config_static_selectorELNS0_4arch9wavefront6targetE0EEEvT1_.uses_vcc, 0
	.set _ZN7rocprim17ROCPRIM_400000_NS6detail17trampoline_kernelINS0_14default_configENS1_27scan_by_key_config_selectorIiiEEZZNS1_16scan_by_key_implILNS1_25lookback_scan_determinismE0ELb1ES3_N6thrust23THRUST_200600_302600_NS6detail15normal_iteratorINS9_10device_ptrIiEEEESE_SE_iNS9_4plusIvEENS9_8equal_toIiEEiEE10hipError_tPvRmT2_T3_T4_T5_mT6_T7_P12ihipStream_tbENKUlT_T0_E_clISt17integral_constantIbLb0EESY_IbLb1EEEEDaSU_SV_EUlSU_E_NS1_11comp_targetILNS1_3genE5ELNS1_11target_archE942ELNS1_3gpuE9ELNS1_3repE0EEENS1_30default_config_static_selectorELNS0_4arch9wavefront6targetE0EEEvT1_.uses_flat_scratch, 0
	.set _ZN7rocprim17ROCPRIM_400000_NS6detail17trampoline_kernelINS0_14default_configENS1_27scan_by_key_config_selectorIiiEEZZNS1_16scan_by_key_implILNS1_25lookback_scan_determinismE0ELb1ES3_N6thrust23THRUST_200600_302600_NS6detail15normal_iteratorINS9_10device_ptrIiEEEESE_SE_iNS9_4plusIvEENS9_8equal_toIiEEiEE10hipError_tPvRmT2_T3_T4_T5_mT6_T7_P12ihipStream_tbENKUlT_T0_E_clISt17integral_constantIbLb0EESY_IbLb1EEEEDaSU_SV_EUlSU_E_NS1_11comp_targetILNS1_3genE5ELNS1_11target_archE942ELNS1_3gpuE9ELNS1_3repE0EEENS1_30default_config_static_selectorELNS0_4arch9wavefront6targetE0EEEvT1_.has_dyn_sized_stack, 0
	.set _ZN7rocprim17ROCPRIM_400000_NS6detail17trampoline_kernelINS0_14default_configENS1_27scan_by_key_config_selectorIiiEEZZNS1_16scan_by_key_implILNS1_25lookback_scan_determinismE0ELb1ES3_N6thrust23THRUST_200600_302600_NS6detail15normal_iteratorINS9_10device_ptrIiEEEESE_SE_iNS9_4plusIvEENS9_8equal_toIiEEiEE10hipError_tPvRmT2_T3_T4_T5_mT6_T7_P12ihipStream_tbENKUlT_T0_E_clISt17integral_constantIbLb0EESY_IbLb1EEEEDaSU_SV_EUlSU_E_NS1_11comp_targetILNS1_3genE5ELNS1_11target_archE942ELNS1_3gpuE9ELNS1_3repE0EEENS1_30default_config_static_selectorELNS0_4arch9wavefront6targetE0EEEvT1_.has_recursion, 0
	.set _ZN7rocprim17ROCPRIM_400000_NS6detail17trampoline_kernelINS0_14default_configENS1_27scan_by_key_config_selectorIiiEEZZNS1_16scan_by_key_implILNS1_25lookback_scan_determinismE0ELb1ES3_N6thrust23THRUST_200600_302600_NS6detail15normal_iteratorINS9_10device_ptrIiEEEESE_SE_iNS9_4plusIvEENS9_8equal_toIiEEiEE10hipError_tPvRmT2_T3_T4_T5_mT6_T7_P12ihipStream_tbENKUlT_T0_E_clISt17integral_constantIbLb0EESY_IbLb1EEEEDaSU_SV_EUlSU_E_NS1_11comp_targetILNS1_3genE5ELNS1_11target_archE942ELNS1_3gpuE9ELNS1_3repE0EEENS1_30default_config_static_selectorELNS0_4arch9wavefront6targetE0EEEvT1_.has_indirect_call, 0
	.section	.AMDGPU.csdata,"",@progbits
; Kernel info:
; codeLenInByte = 0
; TotalNumSgprs: 0
; NumVgprs: 0
; ScratchSize: 0
; MemoryBound: 0
; FloatMode: 240
; IeeeMode: 1
; LDSByteSize: 0 bytes/workgroup (compile time only)
; SGPRBlocks: 0
; VGPRBlocks: 0
; NumSGPRsForWavesPerEU: 1
; NumVGPRsForWavesPerEU: 1
; Occupancy: 16
; WaveLimiterHint : 0
; COMPUTE_PGM_RSRC2:SCRATCH_EN: 0
; COMPUTE_PGM_RSRC2:USER_SGPR: 6
; COMPUTE_PGM_RSRC2:TRAP_HANDLER: 0
; COMPUTE_PGM_RSRC2:TGID_X_EN: 1
; COMPUTE_PGM_RSRC2:TGID_Y_EN: 0
; COMPUTE_PGM_RSRC2:TGID_Z_EN: 0
; COMPUTE_PGM_RSRC2:TIDIG_COMP_CNT: 0
	.section	.text._ZN7rocprim17ROCPRIM_400000_NS6detail17trampoline_kernelINS0_14default_configENS1_27scan_by_key_config_selectorIiiEEZZNS1_16scan_by_key_implILNS1_25lookback_scan_determinismE0ELb1ES3_N6thrust23THRUST_200600_302600_NS6detail15normal_iteratorINS9_10device_ptrIiEEEESE_SE_iNS9_4plusIvEENS9_8equal_toIiEEiEE10hipError_tPvRmT2_T3_T4_T5_mT6_T7_P12ihipStream_tbENKUlT_T0_E_clISt17integral_constantIbLb0EESY_IbLb1EEEEDaSU_SV_EUlSU_E_NS1_11comp_targetILNS1_3genE4ELNS1_11target_archE910ELNS1_3gpuE8ELNS1_3repE0EEENS1_30default_config_static_selectorELNS0_4arch9wavefront6targetE0EEEvT1_,"axG",@progbits,_ZN7rocprim17ROCPRIM_400000_NS6detail17trampoline_kernelINS0_14default_configENS1_27scan_by_key_config_selectorIiiEEZZNS1_16scan_by_key_implILNS1_25lookback_scan_determinismE0ELb1ES3_N6thrust23THRUST_200600_302600_NS6detail15normal_iteratorINS9_10device_ptrIiEEEESE_SE_iNS9_4plusIvEENS9_8equal_toIiEEiEE10hipError_tPvRmT2_T3_T4_T5_mT6_T7_P12ihipStream_tbENKUlT_T0_E_clISt17integral_constantIbLb0EESY_IbLb1EEEEDaSU_SV_EUlSU_E_NS1_11comp_targetILNS1_3genE4ELNS1_11target_archE910ELNS1_3gpuE8ELNS1_3repE0EEENS1_30default_config_static_selectorELNS0_4arch9wavefront6targetE0EEEvT1_,comdat
	.protected	_ZN7rocprim17ROCPRIM_400000_NS6detail17trampoline_kernelINS0_14default_configENS1_27scan_by_key_config_selectorIiiEEZZNS1_16scan_by_key_implILNS1_25lookback_scan_determinismE0ELb1ES3_N6thrust23THRUST_200600_302600_NS6detail15normal_iteratorINS9_10device_ptrIiEEEESE_SE_iNS9_4plusIvEENS9_8equal_toIiEEiEE10hipError_tPvRmT2_T3_T4_T5_mT6_T7_P12ihipStream_tbENKUlT_T0_E_clISt17integral_constantIbLb0EESY_IbLb1EEEEDaSU_SV_EUlSU_E_NS1_11comp_targetILNS1_3genE4ELNS1_11target_archE910ELNS1_3gpuE8ELNS1_3repE0EEENS1_30default_config_static_selectorELNS0_4arch9wavefront6targetE0EEEvT1_ ; -- Begin function _ZN7rocprim17ROCPRIM_400000_NS6detail17trampoline_kernelINS0_14default_configENS1_27scan_by_key_config_selectorIiiEEZZNS1_16scan_by_key_implILNS1_25lookback_scan_determinismE0ELb1ES3_N6thrust23THRUST_200600_302600_NS6detail15normal_iteratorINS9_10device_ptrIiEEEESE_SE_iNS9_4plusIvEENS9_8equal_toIiEEiEE10hipError_tPvRmT2_T3_T4_T5_mT6_T7_P12ihipStream_tbENKUlT_T0_E_clISt17integral_constantIbLb0EESY_IbLb1EEEEDaSU_SV_EUlSU_E_NS1_11comp_targetILNS1_3genE4ELNS1_11target_archE910ELNS1_3gpuE8ELNS1_3repE0EEENS1_30default_config_static_selectorELNS0_4arch9wavefront6targetE0EEEvT1_
	.globl	_ZN7rocprim17ROCPRIM_400000_NS6detail17trampoline_kernelINS0_14default_configENS1_27scan_by_key_config_selectorIiiEEZZNS1_16scan_by_key_implILNS1_25lookback_scan_determinismE0ELb1ES3_N6thrust23THRUST_200600_302600_NS6detail15normal_iteratorINS9_10device_ptrIiEEEESE_SE_iNS9_4plusIvEENS9_8equal_toIiEEiEE10hipError_tPvRmT2_T3_T4_T5_mT6_T7_P12ihipStream_tbENKUlT_T0_E_clISt17integral_constantIbLb0EESY_IbLb1EEEEDaSU_SV_EUlSU_E_NS1_11comp_targetILNS1_3genE4ELNS1_11target_archE910ELNS1_3gpuE8ELNS1_3repE0EEENS1_30default_config_static_selectorELNS0_4arch9wavefront6targetE0EEEvT1_
	.p2align	8
	.type	_ZN7rocprim17ROCPRIM_400000_NS6detail17trampoline_kernelINS0_14default_configENS1_27scan_by_key_config_selectorIiiEEZZNS1_16scan_by_key_implILNS1_25lookback_scan_determinismE0ELb1ES3_N6thrust23THRUST_200600_302600_NS6detail15normal_iteratorINS9_10device_ptrIiEEEESE_SE_iNS9_4plusIvEENS9_8equal_toIiEEiEE10hipError_tPvRmT2_T3_T4_T5_mT6_T7_P12ihipStream_tbENKUlT_T0_E_clISt17integral_constantIbLb0EESY_IbLb1EEEEDaSU_SV_EUlSU_E_NS1_11comp_targetILNS1_3genE4ELNS1_11target_archE910ELNS1_3gpuE8ELNS1_3repE0EEENS1_30default_config_static_selectorELNS0_4arch9wavefront6targetE0EEEvT1_,@function
_ZN7rocprim17ROCPRIM_400000_NS6detail17trampoline_kernelINS0_14default_configENS1_27scan_by_key_config_selectorIiiEEZZNS1_16scan_by_key_implILNS1_25lookback_scan_determinismE0ELb1ES3_N6thrust23THRUST_200600_302600_NS6detail15normal_iteratorINS9_10device_ptrIiEEEESE_SE_iNS9_4plusIvEENS9_8equal_toIiEEiEE10hipError_tPvRmT2_T3_T4_T5_mT6_T7_P12ihipStream_tbENKUlT_T0_E_clISt17integral_constantIbLb0EESY_IbLb1EEEEDaSU_SV_EUlSU_E_NS1_11comp_targetILNS1_3genE4ELNS1_11target_archE910ELNS1_3gpuE8ELNS1_3repE0EEENS1_30default_config_static_selectorELNS0_4arch9wavefront6targetE0EEEvT1_: ; @_ZN7rocprim17ROCPRIM_400000_NS6detail17trampoline_kernelINS0_14default_configENS1_27scan_by_key_config_selectorIiiEEZZNS1_16scan_by_key_implILNS1_25lookback_scan_determinismE0ELb1ES3_N6thrust23THRUST_200600_302600_NS6detail15normal_iteratorINS9_10device_ptrIiEEEESE_SE_iNS9_4plusIvEENS9_8equal_toIiEEiEE10hipError_tPvRmT2_T3_T4_T5_mT6_T7_P12ihipStream_tbENKUlT_T0_E_clISt17integral_constantIbLb0EESY_IbLb1EEEEDaSU_SV_EUlSU_E_NS1_11comp_targetILNS1_3genE4ELNS1_11target_archE910ELNS1_3gpuE8ELNS1_3repE0EEENS1_30default_config_static_selectorELNS0_4arch9wavefront6targetE0EEEvT1_
; %bb.0:
	.section	.rodata,"a",@progbits
	.p2align	6, 0x0
	.amdhsa_kernel _ZN7rocprim17ROCPRIM_400000_NS6detail17trampoline_kernelINS0_14default_configENS1_27scan_by_key_config_selectorIiiEEZZNS1_16scan_by_key_implILNS1_25lookback_scan_determinismE0ELb1ES3_N6thrust23THRUST_200600_302600_NS6detail15normal_iteratorINS9_10device_ptrIiEEEESE_SE_iNS9_4plusIvEENS9_8equal_toIiEEiEE10hipError_tPvRmT2_T3_T4_T5_mT6_T7_P12ihipStream_tbENKUlT_T0_E_clISt17integral_constantIbLb0EESY_IbLb1EEEEDaSU_SV_EUlSU_E_NS1_11comp_targetILNS1_3genE4ELNS1_11target_archE910ELNS1_3gpuE8ELNS1_3repE0EEENS1_30default_config_static_selectorELNS0_4arch9wavefront6targetE0EEEvT1_
		.amdhsa_group_segment_fixed_size 0
		.amdhsa_private_segment_fixed_size 0
		.amdhsa_kernarg_size 112
		.amdhsa_user_sgpr_count 6
		.amdhsa_user_sgpr_private_segment_buffer 1
		.amdhsa_user_sgpr_dispatch_ptr 0
		.amdhsa_user_sgpr_queue_ptr 0
		.amdhsa_user_sgpr_kernarg_segment_ptr 1
		.amdhsa_user_sgpr_dispatch_id 0
		.amdhsa_user_sgpr_flat_scratch_init 0
		.amdhsa_user_sgpr_private_segment_size 0
		.amdhsa_wavefront_size32 1
		.amdhsa_uses_dynamic_stack 0
		.amdhsa_system_sgpr_private_segment_wavefront_offset 0
		.amdhsa_system_sgpr_workgroup_id_x 1
		.amdhsa_system_sgpr_workgroup_id_y 0
		.amdhsa_system_sgpr_workgroup_id_z 0
		.amdhsa_system_sgpr_workgroup_info 0
		.amdhsa_system_vgpr_workitem_id 0
		.amdhsa_next_free_vgpr 1
		.amdhsa_next_free_sgpr 1
		.amdhsa_reserve_vcc 0
		.amdhsa_reserve_flat_scratch 0
		.amdhsa_float_round_mode_32 0
		.amdhsa_float_round_mode_16_64 0
		.amdhsa_float_denorm_mode_32 3
		.amdhsa_float_denorm_mode_16_64 3
		.amdhsa_dx10_clamp 1
		.amdhsa_ieee_mode 1
		.amdhsa_fp16_overflow 0
		.amdhsa_workgroup_processor_mode 1
		.amdhsa_memory_ordered 1
		.amdhsa_forward_progress 1
		.amdhsa_shared_vgpr_count 0
		.amdhsa_exception_fp_ieee_invalid_op 0
		.amdhsa_exception_fp_denorm_src 0
		.amdhsa_exception_fp_ieee_div_zero 0
		.amdhsa_exception_fp_ieee_overflow 0
		.amdhsa_exception_fp_ieee_underflow 0
		.amdhsa_exception_fp_ieee_inexact 0
		.amdhsa_exception_int_div_zero 0
	.end_amdhsa_kernel
	.section	.text._ZN7rocprim17ROCPRIM_400000_NS6detail17trampoline_kernelINS0_14default_configENS1_27scan_by_key_config_selectorIiiEEZZNS1_16scan_by_key_implILNS1_25lookback_scan_determinismE0ELb1ES3_N6thrust23THRUST_200600_302600_NS6detail15normal_iteratorINS9_10device_ptrIiEEEESE_SE_iNS9_4plusIvEENS9_8equal_toIiEEiEE10hipError_tPvRmT2_T3_T4_T5_mT6_T7_P12ihipStream_tbENKUlT_T0_E_clISt17integral_constantIbLb0EESY_IbLb1EEEEDaSU_SV_EUlSU_E_NS1_11comp_targetILNS1_3genE4ELNS1_11target_archE910ELNS1_3gpuE8ELNS1_3repE0EEENS1_30default_config_static_selectorELNS0_4arch9wavefront6targetE0EEEvT1_,"axG",@progbits,_ZN7rocprim17ROCPRIM_400000_NS6detail17trampoline_kernelINS0_14default_configENS1_27scan_by_key_config_selectorIiiEEZZNS1_16scan_by_key_implILNS1_25lookback_scan_determinismE0ELb1ES3_N6thrust23THRUST_200600_302600_NS6detail15normal_iteratorINS9_10device_ptrIiEEEESE_SE_iNS9_4plusIvEENS9_8equal_toIiEEiEE10hipError_tPvRmT2_T3_T4_T5_mT6_T7_P12ihipStream_tbENKUlT_T0_E_clISt17integral_constantIbLb0EESY_IbLb1EEEEDaSU_SV_EUlSU_E_NS1_11comp_targetILNS1_3genE4ELNS1_11target_archE910ELNS1_3gpuE8ELNS1_3repE0EEENS1_30default_config_static_selectorELNS0_4arch9wavefront6targetE0EEEvT1_,comdat
.Lfunc_end563:
	.size	_ZN7rocprim17ROCPRIM_400000_NS6detail17trampoline_kernelINS0_14default_configENS1_27scan_by_key_config_selectorIiiEEZZNS1_16scan_by_key_implILNS1_25lookback_scan_determinismE0ELb1ES3_N6thrust23THRUST_200600_302600_NS6detail15normal_iteratorINS9_10device_ptrIiEEEESE_SE_iNS9_4plusIvEENS9_8equal_toIiEEiEE10hipError_tPvRmT2_T3_T4_T5_mT6_T7_P12ihipStream_tbENKUlT_T0_E_clISt17integral_constantIbLb0EESY_IbLb1EEEEDaSU_SV_EUlSU_E_NS1_11comp_targetILNS1_3genE4ELNS1_11target_archE910ELNS1_3gpuE8ELNS1_3repE0EEENS1_30default_config_static_selectorELNS0_4arch9wavefront6targetE0EEEvT1_, .Lfunc_end563-_ZN7rocprim17ROCPRIM_400000_NS6detail17trampoline_kernelINS0_14default_configENS1_27scan_by_key_config_selectorIiiEEZZNS1_16scan_by_key_implILNS1_25lookback_scan_determinismE0ELb1ES3_N6thrust23THRUST_200600_302600_NS6detail15normal_iteratorINS9_10device_ptrIiEEEESE_SE_iNS9_4plusIvEENS9_8equal_toIiEEiEE10hipError_tPvRmT2_T3_T4_T5_mT6_T7_P12ihipStream_tbENKUlT_T0_E_clISt17integral_constantIbLb0EESY_IbLb1EEEEDaSU_SV_EUlSU_E_NS1_11comp_targetILNS1_3genE4ELNS1_11target_archE910ELNS1_3gpuE8ELNS1_3repE0EEENS1_30default_config_static_selectorELNS0_4arch9wavefront6targetE0EEEvT1_
                                        ; -- End function
	.set _ZN7rocprim17ROCPRIM_400000_NS6detail17trampoline_kernelINS0_14default_configENS1_27scan_by_key_config_selectorIiiEEZZNS1_16scan_by_key_implILNS1_25lookback_scan_determinismE0ELb1ES3_N6thrust23THRUST_200600_302600_NS6detail15normal_iteratorINS9_10device_ptrIiEEEESE_SE_iNS9_4plusIvEENS9_8equal_toIiEEiEE10hipError_tPvRmT2_T3_T4_T5_mT6_T7_P12ihipStream_tbENKUlT_T0_E_clISt17integral_constantIbLb0EESY_IbLb1EEEEDaSU_SV_EUlSU_E_NS1_11comp_targetILNS1_3genE4ELNS1_11target_archE910ELNS1_3gpuE8ELNS1_3repE0EEENS1_30default_config_static_selectorELNS0_4arch9wavefront6targetE0EEEvT1_.num_vgpr, 0
	.set _ZN7rocprim17ROCPRIM_400000_NS6detail17trampoline_kernelINS0_14default_configENS1_27scan_by_key_config_selectorIiiEEZZNS1_16scan_by_key_implILNS1_25lookback_scan_determinismE0ELb1ES3_N6thrust23THRUST_200600_302600_NS6detail15normal_iteratorINS9_10device_ptrIiEEEESE_SE_iNS9_4plusIvEENS9_8equal_toIiEEiEE10hipError_tPvRmT2_T3_T4_T5_mT6_T7_P12ihipStream_tbENKUlT_T0_E_clISt17integral_constantIbLb0EESY_IbLb1EEEEDaSU_SV_EUlSU_E_NS1_11comp_targetILNS1_3genE4ELNS1_11target_archE910ELNS1_3gpuE8ELNS1_3repE0EEENS1_30default_config_static_selectorELNS0_4arch9wavefront6targetE0EEEvT1_.num_agpr, 0
	.set _ZN7rocprim17ROCPRIM_400000_NS6detail17trampoline_kernelINS0_14default_configENS1_27scan_by_key_config_selectorIiiEEZZNS1_16scan_by_key_implILNS1_25lookback_scan_determinismE0ELb1ES3_N6thrust23THRUST_200600_302600_NS6detail15normal_iteratorINS9_10device_ptrIiEEEESE_SE_iNS9_4plusIvEENS9_8equal_toIiEEiEE10hipError_tPvRmT2_T3_T4_T5_mT6_T7_P12ihipStream_tbENKUlT_T0_E_clISt17integral_constantIbLb0EESY_IbLb1EEEEDaSU_SV_EUlSU_E_NS1_11comp_targetILNS1_3genE4ELNS1_11target_archE910ELNS1_3gpuE8ELNS1_3repE0EEENS1_30default_config_static_selectorELNS0_4arch9wavefront6targetE0EEEvT1_.numbered_sgpr, 0
	.set _ZN7rocprim17ROCPRIM_400000_NS6detail17trampoline_kernelINS0_14default_configENS1_27scan_by_key_config_selectorIiiEEZZNS1_16scan_by_key_implILNS1_25lookback_scan_determinismE0ELb1ES3_N6thrust23THRUST_200600_302600_NS6detail15normal_iteratorINS9_10device_ptrIiEEEESE_SE_iNS9_4plusIvEENS9_8equal_toIiEEiEE10hipError_tPvRmT2_T3_T4_T5_mT6_T7_P12ihipStream_tbENKUlT_T0_E_clISt17integral_constantIbLb0EESY_IbLb1EEEEDaSU_SV_EUlSU_E_NS1_11comp_targetILNS1_3genE4ELNS1_11target_archE910ELNS1_3gpuE8ELNS1_3repE0EEENS1_30default_config_static_selectorELNS0_4arch9wavefront6targetE0EEEvT1_.num_named_barrier, 0
	.set _ZN7rocprim17ROCPRIM_400000_NS6detail17trampoline_kernelINS0_14default_configENS1_27scan_by_key_config_selectorIiiEEZZNS1_16scan_by_key_implILNS1_25lookback_scan_determinismE0ELb1ES3_N6thrust23THRUST_200600_302600_NS6detail15normal_iteratorINS9_10device_ptrIiEEEESE_SE_iNS9_4plusIvEENS9_8equal_toIiEEiEE10hipError_tPvRmT2_T3_T4_T5_mT6_T7_P12ihipStream_tbENKUlT_T0_E_clISt17integral_constantIbLb0EESY_IbLb1EEEEDaSU_SV_EUlSU_E_NS1_11comp_targetILNS1_3genE4ELNS1_11target_archE910ELNS1_3gpuE8ELNS1_3repE0EEENS1_30default_config_static_selectorELNS0_4arch9wavefront6targetE0EEEvT1_.private_seg_size, 0
	.set _ZN7rocprim17ROCPRIM_400000_NS6detail17trampoline_kernelINS0_14default_configENS1_27scan_by_key_config_selectorIiiEEZZNS1_16scan_by_key_implILNS1_25lookback_scan_determinismE0ELb1ES3_N6thrust23THRUST_200600_302600_NS6detail15normal_iteratorINS9_10device_ptrIiEEEESE_SE_iNS9_4plusIvEENS9_8equal_toIiEEiEE10hipError_tPvRmT2_T3_T4_T5_mT6_T7_P12ihipStream_tbENKUlT_T0_E_clISt17integral_constantIbLb0EESY_IbLb1EEEEDaSU_SV_EUlSU_E_NS1_11comp_targetILNS1_3genE4ELNS1_11target_archE910ELNS1_3gpuE8ELNS1_3repE0EEENS1_30default_config_static_selectorELNS0_4arch9wavefront6targetE0EEEvT1_.uses_vcc, 0
	.set _ZN7rocprim17ROCPRIM_400000_NS6detail17trampoline_kernelINS0_14default_configENS1_27scan_by_key_config_selectorIiiEEZZNS1_16scan_by_key_implILNS1_25lookback_scan_determinismE0ELb1ES3_N6thrust23THRUST_200600_302600_NS6detail15normal_iteratorINS9_10device_ptrIiEEEESE_SE_iNS9_4plusIvEENS9_8equal_toIiEEiEE10hipError_tPvRmT2_T3_T4_T5_mT6_T7_P12ihipStream_tbENKUlT_T0_E_clISt17integral_constantIbLb0EESY_IbLb1EEEEDaSU_SV_EUlSU_E_NS1_11comp_targetILNS1_3genE4ELNS1_11target_archE910ELNS1_3gpuE8ELNS1_3repE0EEENS1_30default_config_static_selectorELNS0_4arch9wavefront6targetE0EEEvT1_.uses_flat_scratch, 0
	.set _ZN7rocprim17ROCPRIM_400000_NS6detail17trampoline_kernelINS0_14default_configENS1_27scan_by_key_config_selectorIiiEEZZNS1_16scan_by_key_implILNS1_25lookback_scan_determinismE0ELb1ES3_N6thrust23THRUST_200600_302600_NS6detail15normal_iteratorINS9_10device_ptrIiEEEESE_SE_iNS9_4plusIvEENS9_8equal_toIiEEiEE10hipError_tPvRmT2_T3_T4_T5_mT6_T7_P12ihipStream_tbENKUlT_T0_E_clISt17integral_constantIbLb0EESY_IbLb1EEEEDaSU_SV_EUlSU_E_NS1_11comp_targetILNS1_3genE4ELNS1_11target_archE910ELNS1_3gpuE8ELNS1_3repE0EEENS1_30default_config_static_selectorELNS0_4arch9wavefront6targetE0EEEvT1_.has_dyn_sized_stack, 0
	.set _ZN7rocprim17ROCPRIM_400000_NS6detail17trampoline_kernelINS0_14default_configENS1_27scan_by_key_config_selectorIiiEEZZNS1_16scan_by_key_implILNS1_25lookback_scan_determinismE0ELb1ES3_N6thrust23THRUST_200600_302600_NS6detail15normal_iteratorINS9_10device_ptrIiEEEESE_SE_iNS9_4plusIvEENS9_8equal_toIiEEiEE10hipError_tPvRmT2_T3_T4_T5_mT6_T7_P12ihipStream_tbENKUlT_T0_E_clISt17integral_constantIbLb0EESY_IbLb1EEEEDaSU_SV_EUlSU_E_NS1_11comp_targetILNS1_3genE4ELNS1_11target_archE910ELNS1_3gpuE8ELNS1_3repE0EEENS1_30default_config_static_selectorELNS0_4arch9wavefront6targetE0EEEvT1_.has_recursion, 0
	.set _ZN7rocprim17ROCPRIM_400000_NS6detail17trampoline_kernelINS0_14default_configENS1_27scan_by_key_config_selectorIiiEEZZNS1_16scan_by_key_implILNS1_25lookback_scan_determinismE0ELb1ES3_N6thrust23THRUST_200600_302600_NS6detail15normal_iteratorINS9_10device_ptrIiEEEESE_SE_iNS9_4plusIvEENS9_8equal_toIiEEiEE10hipError_tPvRmT2_T3_T4_T5_mT6_T7_P12ihipStream_tbENKUlT_T0_E_clISt17integral_constantIbLb0EESY_IbLb1EEEEDaSU_SV_EUlSU_E_NS1_11comp_targetILNS1_3genE4ELNS1_11target_archE910ELNS1_3gpuE8ELNS1_3repE0EEENS1_30default_config_static_selectorELNS0_4arch9wavefront6targetE0EEEvT1_.has_indirect_call, 0
	.section	.AMDGPU.csdata,"",@progbits
; Kernel info:
; codeLenInByte = 0
; TotalNumSgprs: 0
; NumVgprs: 0
; ScratchSize: 0
; MemoryBound: 0
; FloatMode: 240
; IeeeMode: 1
; LDSByteSize: 0 bytes/workgroup (compile time only)
; SGPRBlocks: 0
; VGPRBlocks: 0
; NumSGPRsForWavesPerEU: 1
; NumVGPRsForWavesPerEU: 1
; Occupancy: 16
; WaveLimiterHint : 0
; COMPUTE_PGM_RSRC2:SCRATCH_EN: 0
; COMPUTE_PGM_RSRC2:USER_SGPR: 6
; COMPUTE_PGM_RSRC2:TRAP_HANDLER: 0
; COMPUTE_PGM_RSRC2:TGID_X_EN: 1
; COMPUTE_PGM_RSRC2:TGID_Y_EN: 0
; COMPUTE_PGM_RSRC2:TGID_Z_EN: 0
; COMPUTE_PGM_RSRC2:TIDIG_COMP_CNT: 0
	.section	.text._ZN7rocprim17ROCPRIM_400000_NS6detail17trampoline_kernelINS0_14default_configENS1_27scan_by_key_config_selectorIiiEEZZNS1_16scan_by_key_implILNS1_25lookback_scan_determinismE0ELb1ES3_N6thrust23THRUST_200600_302600_NS6detail15normal_iteratorINS9_10device_ptrIiEEEESE_SE_iNS9_4plusIvEENS9_8equal_toIiEEiEE10hipError_tPvRmT2_T3_T4_T5_mT6_T7_P12ihipStream_tbENKUlT_T0_E_clISt17integral_constantIbLb0EESY_IbLb1EEEEDaSU_SV_EUlSU_E_NS1_11comp_targetILNS1_3genE3ELNS1_11target_archE908ELNS1_3gpuE7ELNS1_3repE0EEENS1_30default_config_static_selectorELNS0_4arch9wavefront6targetE0EEEvT1_,"axG",@progbits,_ZN7rocprim17ROCPRIM_400000_NS6detail17trampoline_kernelINS0_14default_configENS1_27scan_by_key_config_selectorIiiEEZZNS1_16scan_by_key_implILNS1_25lookback_scan_determinismE0ELb1ES3_N6thrust23THRUST_200600_302600_NS6detail15normal_iteratorINS9_10device_ptrIiEEEESE_SE_iNS9_4plusIvEENS9_8equal_toIiEEiEE10hipError_tPvRmT2_T3_T4_T5_mT6_T7_P12ihipStream_tbENKUlT_T0_E_clISt17integral_constantIbLb0EESY_IbLb1EEEEDaSU_SV_EUlSU_E_NS1_11comp_targetILNS1_3genE3ELNS1_11target_archE908ELNS1_3gpuE7ELNS1_3repE0EEENS1_30default_config_static_selectorELNS0_4arch9wavefront6targetE0EEEvT1_,comdat
	.protected	_ZN7rocprim17ROCPRIM_400000_NS6detail17trampoline_kernelINS0_14default_configENS1_27scan_by_key_config_selectorIiiEEZZNS1_16scan_by_key_implILNS1_25lookback_scan_determinismE0ELb1ES3_N6thrust23THRUST_200600_302600_NS6detail15normal_iteratorINS9_10device_ptrIiEEEESE_SE_iNS9_4plusIvEENS9_8equal_toIiEEiEE10hipError_tPvRmT2_T3_T4_T5_mT6_T7_P12ihipStream_tbENKUlT_T0_E_clISt17integral_constantIbLb0EESY_IbLb1EEEEDaSU_SV_EUlSU_E_NS1_11comp_targetILNS1_3genE3ELNS1_11target_archE908ELNS1_3gpuE7ELNS1_3repE0EEENS1_30default_config_static_selectorELNS0_4arch9wavefront6targetE0EEEvT1_ ; -- Begin function _ZN7rocprim17ROCPRIM_400000_NS6detail17trampoline_kernelINS0_14default_configENS1_27scan_by_key_config_selectorIiiEEZZNS1_16scan_by_key_implILNS1_25lookback_scan_determinismE0ELb1ES3_N6thrust23THRUST_200600_302600_NS6detail15normal_iteratorINS9_10device_ptrIiEEEESE_SE_iNS9_4plusIvEENS9_8equal_toIiEEiEE10hipError_tPvRmT2_T3_T4_T5_mT6_T7_P12ihipStream_tbENKUlT_T0_E_clISt17integral_constantIbLb0EESY_IbLb1EEEEDaSU_SV_EUlSU_E_NS1_11comp_targetILNS1_3genE3ELNS1_11target_archE908ELNS1_3gpuE7ELNS1_3repE0EEENS1_30default_config_static_selectorELNS0_4arch9wavefront6targetE0EEEvT1_
	.globl	_ZN7rocprim17ROCPRIM_400000_NS6detail17trampoline_kernelINS0_14default_configENS1_27scan_by_key_config_selectorIiiEEZZNS1_16scan_by_key_implILNS1_25lookback_scan_determinismE0ELb1ES3_N6thrust23THRUST_200600_302600_NS6detail15normal_iteratorINS9_10device_ptrIiEEEESE_SE_iNS9_4plusIvEENS9_8equal_toIiEEiEE10hipError_tPvRmT2_T3_T4_T5_mT6_T7_P12ihipStream_tbENKUlT_T0_E_clISt17integral_constantIbLb0EESY_IbLb1EEEEDaSU_SV_EUlSU_E_NS1_11comp_targetILNS1_3genE3ELNS1_11target_archE908ELNS1_3gpuE7ELNS1_3repE0EEENS1_30default_config_static_selectorELNS0_4arch9wavefront6targetE0EEEvT1_
	.p2align	8
	.type	_ZN7rocprim17ROCPRIM_400000_NS6detail17trampoline_kernelINS0_14default_configENS1_27scan_by_key_config_selectorIiiEEZZNS1_16scan_by_key_implILNS1_25lookback_scan_determinismE0ELb1ES3_N6thrust23THRUST_200600_302600_NS6detail15normal_iteratorINS9_10device_ptrIiEEEESE_SE_iNS9_4plusIvEENS9_8equal_toIiEEiEE10hipError_tPvRmT2_T3_T4_T5_mT6_T7_P12ihipStream_tbENKUlT_T0_E_clISt17integral_constantIbLb0EESY_IbLb1EEEEDaSU_SV_EUlSU_E_NS1_11comp_targetILNS1_3genE3ELNS1_11target_archE908ELNS1_3gpuE7ELNS1_3repE0EEENS1_30default_config_static_selectorELNS0_4arch9wavefront6targetE0EEEvT1_,@function
_ZN7rocprim17ROCPRIM_400000_NS6detail17trampoline_kernelINS0_14default_configENS1_27scan_by_key_config_selectorIiiEEZZNS1_16scan_by_key_implILNS1_25lookback_scan_determinismE0ELb1ES3_N6thrust23THRUST_200600_302600_NS6detail15normal_iteratorINS9_10device_ptrIiEEEESE_SE_iNS9_4plusIvEENS9_8equal_toIiEEiEE10hipError_tPvRmT2_T3_T4_T5_mT6_T7_P12ihipStream_tbENKUlT_T0_E_clISt17integral_constantIbLb0EESY_IbLb1EEEEDaSU_SV_EUlSU_E_NS1_11comp_targetILNS1_3genE3ELNS1_11target_archE908ELNS1_3gpuE7ELNS1_3repE0EEENS1_30default_config_static_selectorELNS0_4arch9wavefront6targetE0EEEvT1_: ; @_ZN7rocprim17ROCPRIM_400000_NS6detail17trampoline_kernelINS0_14default_configENS1_27scan_by_key_config_selectorIiiEEZZNS1_16scan_by_key_implILNS1_25lookback_scan_determinismE0ELb1ES3_N6thrust23THRUST_200600_302600_NS6detail15normal_iteratorINS9_10device_ptrIiEEEESE_SE_iNS9_4plusIvEENS9_8equal_toIiEEiEE10hipError_tPvRmT2_T3_T4_T5_mT6_T7_P12ihipStream_tbENKUlT_T0_E_clISt17integral_constantIbLb0EESY_IbLb1EEEEDaSU_SV_EUlSU_E_NS1_11comp_targetILNS1_3genE3ELNS1_11target_archE908ELNS1_3gpuE7ELNS1_3repE0EEENS1_30default_config_static_selectorELNS0_4arch9wavefront6targetE0EEEvT1_
; %bb.0:
	.section	.rodata,"a",@progbits
	.p2align	6, 0x0
	.amdhsa_kernel _ZN7rocprim17ROCPRIM_400000_NS6detail17trampoline_kernelINS0_14default_configENS1_27scan_by_key_config_selectorIiiEEZZNS1_16scan_by_key_implILNS1_25lookback_scan_determinismE0ELb1ES3_N6thrust23THRUST_200600_302600_NS6detail15normal_iteratorINS9_10device_ptrIiEEEESE_SE_iNS9_4plusIvEENS9_8equal_toIiEEiEE10hipError_tPvRmT2_T3_T4_T5_mT6_T7_P12ihipStream_tbENKUlT_T0_E_clISt17integral_constantIbLb0EESY_IbLb1EEEEDaSU_SV_EUlSU_E_NS1_11comp_targetILNS1_3genE3ELNS1_11target_archE908ELNS1_3gpuE7ELNS1_3repE0EEENS1_30default_config_static_selectorELNS0_4arch9wavefront6targetE0EEEvT1_
		.amdhsa_group_segment_fixed_size 0
		.amdhsa_private_segment_fixed_size 0
		.amdhsa_kernarg_size 112
		.amdhsa_user_sgpr_count 6
		.amdhsa_user_sgpr_private_segment_buffer 1
		.amdhsa_user_sgpr_dispatch_ptr 0
		.amdhsa_user_sgpr_queue_ptr 0
		.amdhsa_user_sgpr_kernarg_segment_ptr 1
		.amdhsa_user_sgpr_dispatch_id 0
		.amdhsa_user_sgpr_flat_scratch_init 0
		.amdhsa_user_sgpr_private_segment_size 0
		.amdhsa_wavefront_size32 1
		.amdhsa_uses_dynamic_stack 0
		.amdhsa_system_sgpr_private_segment_wavefront_offset 0
		.amdhsa_system_sgpr_workgroup_id_x 1
		.amdhsa_system_sgpr_workgroup_id_y 0
		.amdhsa_system_sgpr_workgroup_id_z 0
		.amdhsa_system_sgpr_workgroup_info 0
		.amdhsa_system_vgpr_workitem_id 0
		.amdhsa_next_free_vgpr 1
		.amdhsa_next_free_sgpr 1
		.amdhsa_reserve_vcc 0
		.amdhsa_reserve_flat_scratch 0
		.amdhsa_float_round_mode_32 0
		.amdhsa_float_round_mode_16_64 0
		.amdhsa_float_denorm_mode_32 3
		.amdhsa_float_denorm_mode_16_64 3
		.amdhsa_dx10_clamp 1
		.amdhsa_ieee_mode 1
		.amdhsa_fp16_overflow 0
		.amdhsa_workgroup_processor_mode 1
		.amdhsa_memory_ordered 1
		.amdhsa_forward_progress 1
		.amdhsa_shared_vgpr_count 0
		.amdhsa_exception_fp_ieee_invalid_op 0
		.amdhsa_exception_fp_denorm_src 0
		.amdhsa_exception_fp_ieee_div_zero 0
		.amdhsa_exception_fp_ieee_overflow 0
		.amdhsa_exception_fp_ieee_underflow 0
		.amdhsa_exception_fp_ieee_inexact 0
		.amdhsa_exception_int_div_zero 0
	.end_amdhsa_kernel
	.section	.text._ZN7rocprim17ROCPRIM_400000_NS6detail17trampoline_kernelINS0_14default_configENS1_27scan_by_key_config_selectorIiiEEZZNS1_16scan_by_key_implILNS1_25lookback_scan_determinismE0ELb1ES3_N6thrust23THRUST_200600_302600_NS6detail15normal_iteratorINS9_10device_ptrIiEEEESE_SE_iNS9_4plusIvEENS9_8equal_toIiEEiEE10hipError_tPvRmT2_T3_T4_T5_mT6_T7_P12ihipStream_tbENKUlT_T0_E_clISt17integral_constantIbLb0EESY_IbLb1EEEEDaSU_SV_EUlSU_E_NS1_11comp_targetILNS1_3genE3ELNS1_11target_archE908ELNS1_3gpuE7ELNS1_3repE0EEENS1_30default_config_static_selectorELNS0_4arch9wavefront6targetE0EEEvT1_,"axG",@progbits,_ZN7rocprim17ROCPRIM_400000_NS6detail17trampoline_kernelINS0_14default_configENS1_27scan_by_key_config_selectorIiiEEZZNS1_16scan_by_key_implILNS1_25lookback_scan_determinismE0ELb1ES3_N6thrust23THRUST_200600_302600_NS6detail15normal_iteratorINS9_10device_ptrIiEEEESE_SE_iNS9_4plusIvEENS9_8equal_toIiEEiEE10hipError_tPvRmT2_T3_T4_T5_mT6_T7_P12ihipStream_tbENKUlT_T0_E_clISt17integral_constantIbLb0EESY_IbLb1EEEEDaSU_SV_EUlSU_E_NS1_11comp_targetILNS1_3genE3ELNS1_11target_archE908ELNS1_3gpuE7ELNS1_3repE0EEENS1_30default_config_static_selectorELNS0_4arch9wavefront6targetE0EEEvT1_,comdat
.Lfunc_end564:
	.size	_ZN7rocprim17ROCPRIM_400000_NS6detail17trampoline_kernelINS0_14default_configENS1_27scan_by_key_config_selectorIiiEEZZNS1_16scan_by_key_implILNS1_25lookback_scan_determinismE0ELb1ES3_N6thrust23THRUST_200600_302600_NS6detail15normal_iteratorINS9_10device_ptrIiEEEESE_SE_iNS9_4plusIvEENS9_8equal_toIiEEiEE10hipError_tPvRmT2_T3_T4_T5_mT6_T7_P12ihipStream_tbENKUlT_T0_E_clISt17integral_constantIbLb0EESY_IbLb1EEEEDaSU_SV_EUlSU_E_NS1_11comp_targetILNS1_3genE3ELNS1_11target_archE908ELNS1_3gpuE7ELNS1_3repE0EEENS1_30default_config_static_selectorELNS0_4arch9wavefront6targetE0EEEvT1_, .Lfunc_end564-_ZN7rocprim17ROCPRIM_400000_NS6detail17trampoline_kernelINS0_14default_configENS1_27scan_by_key_config_selectorIiiEEZZNS1_16scan_by_key_implILNS1_25lookback_scan_determinismE0ELb1ES3_N6thrust23THRUST_200600_302600_NS6detail15normal_iteratorINS9_10device_ptrIiEEEESE_SE_iNS9_4plusIvEENS9_8equal_toIiEEiEE10hipError_tPvRmT2_T3_T4_T5_mT6_T7_P12ihipStream_tbENKUlT_T0_E_clISt17integral_constantIbLb0EESY_IbLb1EEEEDaSU_SV_EUlSU_E_NS1_11comp_targetILNS1_3genE3ELNS1_11target_archE908ELNS1_3gpuE7ELNS1_3repE0EEENS1_30default_config_static_selectorELNS0_4arch9wavefront6targetE0EEEvT1_
                                        ; -- End function
	.set _ZN7rocprim17ROCPRIM_400000_NS6detail17trampoline_kernelINS0_14default_configENS1_27scan_by_key_config_selectorIiiEEZZNS1_16scan_by_key_implILNS1_25lookback_scan_determinismE0ELb1ES3_N6thrust23THRUST_200600_302600_NS6detail15normal_iteratorINS9_10device_ptrIiEEEESE_SE_iNS9_4plusIvEENS9_8equal_toIiEEiEE10hipError_tPvRmT2_T3_T4_T5_mT6_T7_P12ihipStream_tbENKUlT_T0_E_clISt17integral_constantIbLb0EESY_IbLb1EEEEDaSU_SV_EUlSU_E_NS1_11comp_targetILNS1_3genE3ELNS1_11target_archE908ELNS1_3gpuE7ELNS1_3repE0EEENS1_30default_config_static_selectorELNS0_4arch9wavefront6targetE0EEEvT1_.num_vgpr, 0
	.set _ZN7rocprim17ROCPRIM_400000_NS6detail17trampoline_kernelINS0_14default_configENS1_27scan_by_key_config_selectorIiiEEZZNS1_16scan_by_key_implILNS1_25lookback_scan_determinismE0ELb1ES3_N6thrust23THRUST_200600_302600_NS6detail15normal_iteratorINS9_10device_ptrIiEEEESE_SE_iNS9_4plusIvEENS9_8equal_toIiEEiEE10hipError_tPvRmT2_T3_T4_T5_mT6_T7_P12ihipStream_tbENKUlT_T0_E_clISt17integral_constantIbLb0EESY_IbLb1EEEEDaSU_SV_EUlSU_E_NS1_11comp_targetILNS1_3genE3ELNS1_11target_archE908ELNS1_3gpuE7ELNS1_3repE0EEENS1_30default_config_static_selectorELNS0_4arch9wavefront6targetE0EEEvT1_.num_agpr, 0
	.set _ZN7rocprim17ROCPRIM_400000_NS6detail17trampoline_kernelINS0_14default_configENS1_27scan_by_key_config_selectorIiiEEZZNS1_16scan_by_key_implILNS1_25lookback_scan_determinismE0ELb1ES3_N6thrust23THRUST_200600_302600_NS6detail15normal_iteratorINS9_10device_ptrIiEEEESE_SE_iNS9_4plusIvEENS9_8equal_toIiEEiEE10hipError_tPvRmT2_T3_T4_T5_mT6_T7_P12ihipStream_tbENKUlT_T0_E_clISt17integral_constantIbLb0EESY_IbLb1EEEEDaSU_SV_EUlSU_E_NS1_11comp_targetILNS1_3genE3ELNS1_11target_archE908ELNS1_3gpuE7ELNS1_3repE0EEENS1_30default_config_static_selectorELNS0_4arch9wavefront6targetE0EEEvT1_.numbered_sgpr, 0
	.set _ZN7rocprim17ROCPRIM_400000_NS6detail17trampoline_kernelINS0_14default_configENS1_27scan_by_key_config_selectorIiiEEZZNS1_16scan_by_key_implILNS1_25lookback_scan_determinismE0ELb1ES3_N6thrust23THRUST_200600_302600_NS6detail15normal_iteratorINS9_10device_ptrIiEEEESE_SE_iNS9_4plusIvEENS9_8equal_toIiEEiEE10hipError_tPvRmT2_T3_T4_T5_mT6_T7_P12ihipStream_tbENKUlT_T0_E_clISt17integral_constantIbLb0EESY_IbLb1EEEEDaSU_SV_EUlSU_E_NS1_11comp_targetILNS1_3genE3ELNS1_11target_archE908ELNS1_3gpuE7ELNS1_3repE0EEENS1_30default_config_static_selectorELNS0_4arch9wavefront6targetE0EEEvT1_.num_named_barrier, 0
	.set _ZN7rocprim17ROCPRIM_400000_NS6detail17trampoline_kernelINS0_14default_configENS1_27scan_by_key_config_selectorIiiEEZZNS1_16scan_by_key_implILNS1_25lookback_scan_determinismE0ELb1ES3_N6thrust23THRUST_200600_302600_NS6detail15normal_iteratorINS9_10device_ptrIiEEEESE_SE_iNS9_4plusIvEENS9_8equal_toIiEEiEE10hipError_tPvRmT2_T3_T4_T5_mT6_T7_P12ihipStream_tbENKUlT_T0_E_clISt17integral_constantIbLb0EESY_IbLb1EEEEDaSU_SV_EUlSU_E_NS1_11comp_targetILNS1_3genE3ELNS1_11target_archE908ELNS1_3gpuE7ELNS1_3repE0EEENS1_30default_config_static_selectorELNS0_4arch9wavefront6targetE0EEEvT1_.private_seg_size, 0
	.set _ZN7rocprim17ROCPRIM_400000_NS6detail17trampoline_kernelINS0_14default_configENS1_27scan_by_key_config_selectorIiiEEZZNS1_16scan_by_key_implILNS1_25lookback_scan_determinismE0ELb1ES3_N6thrust23THRUST_200600_302600_NS6detail15normal_iteratorINS9_10device_ptrIiEEEESE_SE_iNS9_4plusIvEENS9_8equal_toIiEEiEE10hipError_tPvRmT2_T3_T4_T5_mT6_T7_P12ihipStream_tbENKUlT_T0_E_clISt17integral_constantIbLb0EESY_IbLb1EEEEDaSU_SV_EUlSU_E_NS1_11comp_targetILNS1_3genE3ELNS1_11target_archE908ELNS1_3gpuE7ELNS1_3repE0EEENS1_30default_config_static_selectorELNS0_4arch9wavefront6targetE0EEEvT1_.uses_vcc, 0
	.set _ZN7rocprim17ROCPRIM_400000_NS6detail17trampoline_kernelINS0_14default_configENS1_27scan_by_key_config_selectorIiiEEZZNS1_16scan_by_key_implILNS1_25lookback_scan_determinismE0ELb1ES3_N6thrust23THRUST_200600_302600_NS6detail15normal_iteratorINS9_10device_ptrIiEEEESE_SE_iNS9_4plusIvEENS9_8equal_toIiEEiEE10hipError_tPvRmT2_T3_T4_T5_mT6_T7_P12ihipStream_tbENKUlT_T0_E_clISt17integral_constantIbLb0EESY_IbLb1EEEEDaSU_SV_EUlSU_E_NS1_11comp_targetILNS1_3genE3ELNS1_11target_archE908ELNS1_3gpuE7ELNS1_3repE0EEENS1_30default_config_static_selectorELNS0_4arch9wavefront6targetE0EEEvT1_.uses_flat_scratch, 0
	.set _ZN7rocprim17ROCPRIM_400000_NS6detail17trampoline_kernelINS0_14default_configENS1_27scan_by_key_config_selectorIiiEEZZNS1_16scan_by_key_implILNS1_25lookback_scan_determinismE0ELb1ES3_N6thrust23THRUST_200600_302600_NS6detail15normal_iteratorINS9_10device_ptrIiEEEESE_SE_iNS9_4plusIvEENS9_8equal_toIiEEiEE10hipError_tPvRmT2_T3_T4_T5_mT6_T7_P12ihipStream_tbENKUlT_T0_E_clISt17integral_constantIbLb0EESY_IbLb1EEEEDaSU_SV_EUlSU_E_NS1_11comp_targetILNS1_3genE3ELNS1_11target_archE908ELNS1_3gpuE7ELNS1_3repE0EEENS1_30default_config_static_selectorELNS0_4arch9wavefront6targetE0EEEvT1_.has_dyn_sized_stack, 0
	.set _ZN7rocprim17ROCPRIM_400000_NS6detail17trampoline_kernelINS0_14default_configENS1_27scan_by_key_config_selectorIiiEEZZNS1_16scan_by_key_implILNS1_25lookback_scan_determinismE0ELb1ES3_N6thrust23THRUST_200600_302600_NS6detail15normal_iteratorINS9_10device_ptrIiEEEESE_SE_iNS9_4plusIvEENS9_8equal_toIiEEiEE10hipError_tPvRmT2_T3_T4_T5_mT6_T7_P12ihipStream_tbENKUlT_T0_E_clISt17integral_constantIbLb0EESY_IbLb1EEEEDaSU_SV_EUlSU_E_NS1_11comp_targetILNS1_3genE3ELNS1_11target_archE908ELNS1_3gpuE7ELNS1_3repE0EEENS1_30default_config_static_selectorELNS0_4arch9wavefront6targetE0EEEvT1_.has_recursion, 0
	.set _ZN7rocprim17ROCPRIM_400000_NS6detail17trampoline_kernelINS0_14default_configENS1_27scan_by_key_config_selectorIiiEEZZNS1_16scan_by_key_implILNS1_25lookback_scan_determinismE0ELb1ES3_N6thrust23THRUST_200600_302600_NS6detail15normal_iteratorINS9_10device_ptrIiEEEESE_SE_iNS9_4plusIvEENS9_8equal_toIiEEiEE10hipError_tPvRmT2_T3_T4_T5_mT6_T7_P12ihipStream_tbENKUlT_T0_E_clISt17integral_constantIbLb0EESY_IbLb1EEEEDaSU_SV_EUlSU_E_NS1_11comp_targetILNS1_3genE3ELNS1_11target_archE908ELNS1_3gpuE7ELNS1_3repE0EEENS1_30default_config_static_selectorELNS0_4arch9wavefront6targetE0EEEvT1_.has_indirect_call, 0
	.section	.AMDGPU.csdata,"",@progbits
; Kernel info:
; codeLenInByte = 0
; TotalNumSgprs: 0
; NumVgprs: 0
; ScratchSize: 0
; MemoryBound: 0
; FloatMode: 240
; IeeeMode: 1
; LDSByteSize: 0 bytes/workgroup (compile time only)
; SGPRBlocks: 0
; VGPRBlocks: 0
; NumSGPRsForWavesPerEU: 1
; NumVGPRsForWavesPerEU: 1
; Occupancy: 16
; WaveLimiterHint : 0
; COMPUTE_PGM_RSRC2:SCRATCH_EN: 0
; COMPUTE_PGM_RSRC2:USER_SGPR: 6
; COMPUTE_PGM_RSRC2:TRAP_HANDLER: 0
; COMPUTE_PGM_RSRC2:TGID_X_EN: 1
; COMPUTE_PGM_RSRC2:TGID_Y_EN: 0
; COMPUTE_PGM_RSRC2:TGID_Z_EN: 0
; COMPUTE_PGM_RSRC2:TIDIG_COMP_CNT: 0
	.section	.text._ZN7rocprim17ROCPRIM_400000_NS6detail17trampoline_kernelINS0_14default_configENS1_27scan_by_key_config_selectorIiiEEZZNS1_16scan_by_key_implILNS1_25lookback_scan_determinismE0ELb1ES3_N6thrust23THRUST_200600_302600_NS6detail15normal_iteratorINS9_10device_ptrIiEEEESE_SE_iNS9_4plusIvEENS9_8equal_toIiEEiEE10hipError_tPvRmT2_T3_T4_T5_mT6_T7_P12ihipStream_tbENKUlT_T0_E_clISt17integral_constantIbLb0EESY_IbLb1EEEEDaSU_SV_EUlSU_E_NS1_11comp_targetILNS1_3genE2ELNS1_11target_archE906ELNS1_3gpuE6ELNS1_3repE0EEENS1_30default_config_static_selectorELNS0_4arch9wavefront6targetE0EEEvT1_,"axG",@progbits,_ZN7rocprim17ROCPRIM_400000_NS6detail17trampoline_kernelINS0_14default_configENS1_27scan_by_key_config_selectorIiiEEZZNS1_16scan_by_key_implILNS1_25lookback_scan_determinismE0ELb1ES3_N6thrust23THRUST_200600_302600_NS6detail15normal_iteratorINS9_10device_ptrIiEEEESE_SE_iNS9_4plusIvEENS9_8equal_toIiEEiEE10hipError_tPvRmT2_T3_T4_T5_mT6_T7_P12ihipStream_tbENKUlT_T0_E_clISt17integral_constantIbLb0EESY_IbLb1EEEEDaSU_SV_EUlSU_E_NS1_11comp_targetILNS1_3genE2ELNS1_11target_archE906ELNS1_3gpuE6ELNS1_3repE0EEENS1_30default_config_static_selectorELNS0_4arch9wavefront6targetE0EEEvT1_,comdat
	.protected	_ZN7rocprim17ROCPRIM_400000_NS6detail17trampoline_kernelINS0_14default_configENS1_27scan_by_key_config_selectorIiiEEZZNS1_16scan_by_key_implILNS1_25lookback_scan_determinismE0ELb1ES3_N6thrust23THRUST_200600_302600_NS6detail15normal_iteratorINS9_10device_ptrIiEEEESE_SE_iNS9_4plusIvEENS9_8equal_toIiEEiEE10hipError_tPvRmT2_T3_T4_T5_mT6_T7_P12ihipStream_tbENKUlT_T0_E_clISt17integral_constantIbLb0EESY_IbLb1EEEEDaSU_SV_EUlSU_E_NS1_11comp_targetILNS1_3genE2ELNS1_11target_archE906ELNS1_3gpuE6ELNS1_3repE0EEENS1_30default_config_static_selectorELNS0_4arch9wavefront6targetE0EEEvT1_ ; -- Begin function _ZN7rocprim17ROCPRIM_400000_NS6detail17trampoline_kernelINS0_14default_configENS1_27scan_by_key_config_selectorIiiEEZZNS1_16scan_by_key_implILNS1_25lookback_scan_determinismE0ELb1ES3_N6thrust23THRUST_200600_302600_NS6detail15normal_iteratorINS9_10device_ptrIiEEEESE_SE_iNS9_4plusIvEENS9_8equal_toIiEEiEE10hipError_tPvRmT2_T3_T4_T5_mT6_T7_P12ihipStream_tbENKUlT_T0_E_clISt17integral_constantIbLb0EESY_IbLb1EEEEDaSU_SV_EUlSU_E_NS1_11comp_targetILNS1_3genE2ELNS1_11target_archE906ELNS1_3gpuE6ELNS1_3repE0EEENS1_30default_config_static_selectorELNS0_4arch9wavefront6targetE0EEEvT1_
	.globl	_ZN7rocprim17ROCPRIM_400000_NS6detail17trampoline_kernelINS0_14default_configENS1_27scan_by_key_config_selectorIiiEEZZNS1_16scan_by_key_implILNS1_25lookback_scan_determinismE0ELb1ES3_N6thrust23THRUST_200600_302600_NS6detail15normal_iteratorINS9_10device_ptrIiEEEESE_SE_iNS9_4plusIvEENS9_8equal_toIiEEiEE10hipError_tPvRmT2_T3_T4_T5_mT6_T7_P12ihipStream_tbENKUlT_T0_E_clISt17integral_constantIbLb0EESY_IbLb1EEEEDaSU_SV_EUlSU_E_NS1_11comp_targetILNS1_3genE2ELNS1_11target_archE906ELNS1_3gpuE6ELNS1_3repE0EEENS1_30default_config_static_selectorELNS0_4arch9wavefront6targetE0EEEvT1_
	.p2align	8
	.type	_ZN7rocprim17ROCPRIM_400000_NS6detail17trampoline_kernelINS0_14default_configENS1_27scan_by_key_config_selectorIiiEEZZNS1_16scan_by_key_implILNS1_25lookback_scan_determinismE0ELb1ES3_N6thrust23THRUST_200600_302600_NS6detail15normal_iteratorINS9_10device_ptrIiEEEESE_SE_iNS9_4plusIvEENS9_8equal_toIiEEiEE10hipError_tPvRmT2_T3_T4_T5_mT6_T7_P12ihipStream_tbENKUlT_T0_E_clISt17integral_constantIbLb0EESY_IbLb1EEEEDaSU_SV_EUlSU_E_NS1_11comp_targetILNS1_3genE2ELNS1_11target_archE906ELNS1_3gpuE6ELNS1_3repE0EEENS1_30default_config_static_selectorELNS0_4arch9wavefront6targetE0EEEvT1_,@function
_ZN7rocprim17ROCPRIM_400000_NS6detail17trampoline_kernelINS0_14default_configENS1_27scan_by_key_config_selectorIiiEEZZNS1_16scan_by_key_implILNS1_25lookback_scan_determinismE0ELb1ES3_N6thrust23THRUST_200600_302600_NS6detail15normal_iteratorINS9_10device_ptrIiEEEESE_SE_iNS9_4plusIvEENS9_8equal_toIiEEiEE10hipError_tPvRmT2_T3_T4_T5_mT6_T7_P12ihipStream_tbENKUlT_T0_E_clISt17integral_constantIbLb0EESY_IbLb1EEEEDaSU_SV_EUlSU_E_NS1_11comp_targetILNS1_3genE2ELNS1_11target_archE906ELNS1_3gpuE6ELNS1_3repE0EEENS1_30default_config_static_selectorELNS0_4arch9wavefront6targetE0EEEvT1_: ; @_ZN7rocprim17ROCPRIM_400000_NS6detail17trampoline_kernelINS0_14default_configENS1_27scan_by_key_config_selectorIiiEEZZNS1_16scan_by_key_implILNS1_25lookback_scan_determinismE0ELb1ES3_N6thrust23THRUST_200600_302600_NS6detail15normal_iteratorINS9_10device_ptrIiEEEESE_SE_iNS9_4plusIvEENS9_8equal_toIiEEiEE10hipError_tPvRmT2_T3_T4_T5_mT6_T7_P12ihipStream_tbENKUlT_T0_E_clISt17integral_constantIbLb0EESY_IbLb1EEEEDaSU_SV_EUlSU_E_NS1_11comp_targetILNS1_3genE2ELNS1_11target_archE906ELNS1_3gpuE6ELNS1_3repE0EEENS1_30default_config_static_selectorELNS0_4arch9wavefront6targetE0EEEvT1_
; %bb.0:
	.section	.rodata,"a",@progbits
	.p2align	6, 0x0
	.amdhsa_kernel _ZN7rocprim17ROCPRIM_400000_NS6detail17trampoline_kernelINS0_14default_configENS1_27scan_by_key_config_selectorIiiEEZZNS1_16scan_by_key_implILNS1_25lookback_scan_determinismE0ELb1ES3_N6thrust23THRUST_200600_302600_NS6detail15normal_iteratorINS9_10device_ptrIiEEEESE_SE_iNS9_4plusIvEENS9_8equal_toIiEEiEE10hipError_tPvRmT2_T3_T4_T5_mT6_T7_P12ihipStream_tbENKUlT_T0_E_clISt17integral_constantIbLb0EESY_IbLb1EEEEDaSU_SV_EUlSU_E_NS1_11comp_targetILNS1_3genE2ELNS1_11target_archE906ELNS1_3gpuE6ELNS1_3repE0EEENS1_30default_config_static_selectorELNS0_4arch9wavefront6targetE0EEEvT1_
		.amdhsa_group_segment_fixed_size 0
		.amdhsa_private_segment_fixed_size 0
		.amdhsa_kernarg_size 112
		.amdhsa_user_sgpr_count 6
		.amdhsa_user_sgpr_private_segment_buffer 1
		.amdhsa_user_sgpr_dispatch_ptr 0
		.amdhsa_user_sgpr_queue_ptr 0
		.amdhsa_user_sgpr_kernarg_segment_ptr 1
		.amdhsa_user_sgpr_dispatch_id 0
		.amdhsa_user_sgpr_flat_scratch_init 0
		.amdhsa_user_sgpr_private_segment_size 0
		.amdhsa_wavefront_size32 1
		.amdhsa_uses_dynamic_stack 0
		.amdhsa_system_sgpr_private_segment_wavefront_offset 0
		.amdhsa_system_sgpr_workgroup_id_x 1
		.amdhsa_system_sgpr_workgroup_id_y 0
		.amdhsa_system_sgpr_workgroup_id_z 0
		.amdhsa_system_sgpr_workgroup_info 0
		.amdhsa_system_vgpr_workitem_id 0
		.amdhsa_next_free_vgpr 1
		.amdhsa_next_free_sgpr 1
		.amdhsa_reserve_vcc 0
		.amdhsa_reserve_flat_scratch 0
		.amdhsa_float_round_mode_32 0
		.amdhsa_float_round_mode_16_64 0
		.amdhsa_float_denorm_mode_32 3
		.amdhsa_float_denorm_mode_16_64 3
		.amdhsa_dx10_clamp 1
		.amdhsa_ieee_mode 1
		.amdhsa_fp16_overflow 0
		.amdhsa_workgroup_processor_mode 1
		.amdhsa_memory_ordered 1
		.amdhsa_forward_progress 1
		.amdhsa_shared_vgpr_count 0
		.amdhsa_exception_fp_ieee_invalid_op 0
		.amdhsa_exception_fp_denorm_src 0
		.amdhsa_exception_fp_ieee_div_zero 0
		.amdhsa_exception_fp_ieee_overflow 0
		.amdhsa_exception_fp_ieee_underflow 0
		.amdhsa_exception_fp_ieee_inexact 0
		.amdhsa_exception_int_div_zero 0
	.end_amdhsa_kernel
	.section	.text._ZN7rocprim17ROCPRIM_400000_NS6detail17trampoline_kernelINS0_14default_configENS1_27scan_by_key_config_selectorIiiEEZZNS1_16scan_by_key_implILNS1_25lookback_scan_determinismE0ELb1ES3_N6thrust23THRUST_200600_302600_NS6detail15normal_iteratorINS9_10device_ptrIiEEEESE_SE_iNS9_4plusIvEENS9_8equal_toIiEEiEE10hipError_tPvRmT2_T3_T4_T5_mT6_T7_P12ihipStream_tbENKUlT_T0_E_clISt17integral_constantIbLb0EESY_IbLb1EEEEDaSU_SV_EUlSU_E_NS1_11comp_targetILNS1_3genE2ELNS1_11target_archE906ELNS1_3gpuE6ELNS1_3repE0EEENS1_30default_config_static_selectorELNS0_4arch9wavefront6targetE0EEEvT1_,"axG",@progbits,_ZN7rocprim17ROCPRIM_400000_NS6detail17trampoline_kernelINS0_14default_configENS1_27scan_by_key_config_selectorIiiEEZZNS1_16scan_by_key_implILNS1_25lookback_scan_determinismE0ELb1ES3_N6thrust23THRUST_200600_302600_NS6detail15normal_iteratorINS9_10device_ptrIiEEEESE_SE_iNS9_4plusIvEENS9_8equal_toIiEEiEE10hipError_tPvRmT2_T3_T4_T5_mT6_T7_P12ihipStream_tbENKUlT_T0_E_clISt17integral_constantIbLb0EESY_IbLb1EEEEDaSU_SV_EUlSU_E_NS1_11comp_targetILNS1_3genE2ELNS1_11target_archE906ELNS1_3gpuE6ELNS1_3repE0EEENS1_30default_config_static_selectorELNS0_4arch9wavefront6targetE0EEEvT1_,comdat
.Lfunc_end565:
	.size	_ZN7rocprim17ROCPRIM_400000_NS6detail17trampoline_kernelINS0_14default_configENS1_27scan_by_key_config_selectorIiiEEZZNS1_16scan_by_key_implILNS1_25lookback_scan_determinismE0ELb1ES3_N6thrust23THRUST_200600_302600_NS6detail15normal_iteratorINS9_10device_ptrIiEEEESE_SE_iNS9_4plusIvEENS9_8equal_toIiEEiEE10hipError_tPvRmT2_T3_T4_T5_mT6_T7_P12ihipStream_tbENKUlT_T0_E_clISt17integral_constantIbLb0EESY_IbLb1EEEEDaSU_SV_EUlSU_E_NS1_11comp_targetILNS1_3genE2ELNS1_11target_archE906ELNS1_3gpuE6ELNS1_3repE0EEENS1_30default_config_static_selectorELNS0_4arch9wavefront6targetE0EEEvT1_, .Lfunc_end565-_ZN7rocprim17ROCPRIM_400000_NS6detail17trampoline_kernelINS0_14default_configENS1_27scan_by_key_config_selectorIiiEEZZNS1_16scan_by_key_implILNS1_25lookback_scan_determinismE0ELb1ES3_N6thrust23THRUST_200600_302600_NS6detail15normal_iteratorINS9_10device_ptrIiEEEESE_SE_iNS9_4plusIvEENS9_8equal_toIiEEiEE10hipError_tPvRmT2_T3_T4_T5_mT6_T7_P12ihipStream_tbENKUlT_T0_E_clISt17integral_constantIbLb0EESY_IbLb1EEEEDaSU_SV_EUlSU_E_NS1_11comp_targetILNS1_3genE2ELNS1_11target_archE906ELNS1_3gpuE6ELNS1_3repE0EEENS1_30default_config_static_selectorELNS0_4arch9wavefront6targetE0EEEvT1_
                                        ; -- End function
	.set _ZN7rocprim17ROCPRIM_400000_NS6detail17trampoline_kernelINS0_14default_configENS1_27scan_by_key_config_selectorIiiEEZZNS1_16scan_by_key_implILNS1_25lookback_scan_determinismE0ELb1ES3_N6thrust23THRUST_200600_302600_NS6detail15normal_iteratorINS9_10device_ptrIiEEEESE_SE_iNS9_4plusIvEENS9_8equal_toIiEEiEE10hipError_tPvRmT2_T3_T4_T5_mT6_T7_P12ihipStream_tbENKUlT_T0_E_clISt17integral_constantIbLb0EESY_IbLb1EEEEDaSU_SV_EUlSU_E_NS1_11comp_targetILNS1_3genE2ELNS1_11target_archE906ELNS1_3gpuE6ELNS1_3repE0EEENS1_30default_config_static_selectorELNS0_4arch9wavefront6targetE0EEEvT1_.num_vgpr, 0
	.set _ZN7rocprim17ROCPRIM_400000_NS6detail17trampoline_kernelINS0_14default_configENS1_27scan_by_key_config_selectorIiiEEZZNS1_16scan_by_key_implILNS1_25lookback_scan_determinismE0ELb1ES3_N6thrust23THRUST_200600_302600_NS6detail15normal_iteratorINS9_10device_ptrIiEEEESE_SE_iNS9_4plusIvEENS9_8equal_toIiEEiEE10hipError_tPvRmT2_T3_T4_T5_mT6_T7_P12ihipStream_tbENKUlT_T0_E_clISt17integral_constantIbLb0EESY_IbLb1EEEEDaSU_SV_EUlSU_E_NS1_11comp_targetILNS1_3genE2ELNS1_11target_archE906ELNS1_3gpuE6ELNS1_3repE0EEENS1_30default_config_static_selectorELNS0_4arch9wavefront6targetE0EEEvT1_.num_agpr, 0
	.set _ZN7rocprim17ROCPRIM_400000_NS6detail17trampoline_kernelINS0_14default_configENS1_27scan_by_key_config_selectorIiiEEZZNS1_16scan_by_key_implILNS1_25lookback_scan_determinismE0ELb1ES3_N6thrust23THRUST_200600_302600_NS6detail15normal_iteratorINS9_10device_ptrIiEEEESE_SE_iNS9_4plusIvEENS9_8equal_toIiEEiEE10hipError_tPvRmT2_T3_T4_T5_mT6_T7_P12ihipStream_tbENKUlT_T0_E_clISt17integral_constantIbLb0EESY_IbLb1EEEEDaSU_SV_EUlSU_E_NS1_11comp_targetILNS1_3genE2ELNS1_11target_archE906ELNS1_3gpuE6ELNS1_3repE0EEENS1_30default_config_static_selectorELNS0_4arch9wavefront6targetE0EEEvT1_.numbered_sgpr, 0
	.set _ZN7rocprim17ROCPRIM_400000_NS6detail17trampoline_kernelINS0_14default_configENS1_27scan_by_key_config_selectorIiiEEZZNS1_16scan_by_key_implILNS1_25lookback_scan_determinismE0ELb1ES3_N6thrust23THRUST_200600_302600_NS6detail15normal_iteratorINS9_10device_ptrIiEEEESE_SE_iNS9_4plusIvEENS9_8equal_toIiEEiEE10hipError_tPvRmT2_T3_T4_T5_mT6_T7_P12ihipStream_tbENKUlT_T0_E_clISt17integral_constantIbLb0EESY_IbLb1EEEEDaSU_SV_EUlSU_E_NS1_11comp_targetILNS1_3genE2ELNS1_11target_archE906ELNS1_3gpuE6ELNS1_3repE0EEENS1_30default_config_static_selectorELNS0_4arch9wavefront6targetE0EEEvT1_.num_named_barrier, 0
	.set _ZN7rocprim17ROCPRIM_400000_NS6detail17trampoline_kernelINS0_14default_configENS1_27scan_by_key_config_selectorIiiEEZZNS1_16scan_by_key_implILNS1_25lookback_scan_determinismE0ELb1ES3_N6thrust23THRUST_200600_302600_NS6detail15normal_iteratorINS9_10device_ptrIiEEEESE_SE_iNS9_4plusIvEENS9_8equal_toIiEEiEE10hipError_tPvRmT2_T3_T4_T5_mT6_T7_P12ihipStream_tbENKUlT_T0_E_clISt17integral_constantIbLb0EESY_IbLb1EEEEDaSU_SV_EUlSU_E_NS1_11comp_targetILNS1_3genE2ELNS1_11target_archE906ELNS1_3gpuE6ELNS1_3repE0EEENS1_30default_config_static_selectorELNS0_4arch9wavefront6targetE0EEEvT1_.private_seg_size, 0
	.set _ZN7rocprim17ROCPRIM_400000_NS6detail17trampoline_kernelINS0_14default_configENS1_27scan_by_key_config_selectorIiiEEZZNS1_16scan_by_key_implILNS1_25lookback_scan_determinismE0ELb1ES3_N6thrust23THRUST_200600_302600_NS6detail15normal_iteratorINS9_10device_ptrIiEEEESE_SE_iNS9_4plusIvEENS9_8equal_toIiEEiEE10hipError_tPvRmT2_T3_T4_T5_mT6_T7_P12ihipStream_tbENKUlT_T0_E_clISt17integral_constantIbLb0EESY_IbLb1EEEEDaSU_SV_EUlSU_E_NS1_11comp_targetILNS1_3genE2ELNS1_11target_archE906ELNS1_3gpuE6ELNS1_3repE0EEENS1_30default_config_static_selectorELNS0_4arch9wavefront6targetE0EEEvT1_.uses_vcc, 0
	.set _ZN7rocprim17ROCPRIM_400000_NS6detail17trampoline_kernelINS0_14default_configENS1_27scan_by_key_config_selectorIiiEEZZNS1_16scan_by_key_implILNS1_25lookback_scan_determinismE0ELb1ES3_N6thrust23THRUST_200600_302600_NS6detail15normal_iteratorINS9_10device_ptrIiEEEESE_SE_iNS9_4plusIvEENS9_8equal_toIiEEiEE10hipError_tPvRmT2_T3_T4_T5_mT6_T7_P12ihipStream_tbENKUlT_T0_E_clISt17integral_constantIbLb0EESY_IbLb1EEEEDaSU_SV_EUlSU_E_NS1_11comp_targetILNS1_3genE2ELNS1_11target_archE906ELNS1_3gpuE6ELNS1_3repE0EEENS1_30default_config_static_selectorELNS0_4arch9wavefront6targetE0EEEvT1_.uses_flat_scratch, 0
	.set _ZN7rocprim17ROCPRIM_400000_NS6detail17trampoline_kernelINS0_14default_configENS1_27scan_by_key_config_selectorIiiEEZZNS1_16scan_by_key_implILNS1_25lookback_scan_determinismE0ELb1ES3_N6thrust23THRUST_200600_302600_NS6detail15normal_iteratorINS9_10device_ptrIiEEEESE_SE_iNS9_4plusIvEENS9_8equal_toIiEEiEE10hipError_tPvRmT2_T3_T4_T5_mT6_T7_P12ihipStream_tbENKUlT_T0_E_clISt17integral_constantIbLb0EESY_IbLb1EEEEDaSU_SV_EUlSU_E_NS1_11comp_targetILNS1_3genE2ELNS1_11target_archE906ELNS1_3gpuE6ELNS1_3repE0EEENS1_30default_config_static_selectorELNS0_4arch9wavefront6targetE0EEEvT1_.has_dyn_sized_stack, 0
	.set _ZN7rocprim17ROCPRIM_400000_NS6detail17trampoline_kernelINS0_14default_configENS1_27scan_by_key_config_selectorIiiEEZZNS1_16scan_by_key_implILNS1_25lookback_scan_determinismE0ELb1ES3_N6thrust23THRUST_200600_302600_NS6detail15normal_iteratorINS9_10device_ptrIiEEEESE_SE_iNS9_4plusIvEENS9_8equal_toIiEEiEE10hipError_tPvRmT2_T3_T4_T5_mT6_T7_P12ihipStream_tbENKUlT_T0_E_clISt17integral_constantIbLb0EESY_IbLb1EEEEDaSU_SV_EUlSU_E_NS1_11comp_targetILNS1_3genE2ELNS1_11target_archE906ELNS1_3gpuE6ELNS1_3repE0EEENS1_30default_config_static_selectorELNS0_4arch9wavefront6targetE0EEEvT1_.has_recursion, 0
	.set _ZN7rocprim17ROCPRIM_400000_NS6detail17trampoline_kernelINS0_14default_configENS1_27scan_by_key_config_selectorIiiEEZZNS1_16scan_by_key_implILNS1_25lookback_scan_determinismE0ELb1ES3_N6thrust23THRUST_200600_302600_NS6detail15normal_iteratorINS9_10device_ptrIiEEEESE_SE_iNS9_4plusIvEENS9_8equal_toIiEEiEE10hipError_tPvRmT2_T3_T4_T5_mT6_T7_P12ihipStream_tbENKUlT_T0_E_clISt17integral_constantIbLb0EESY_IbLb1EEEEDaSU_SV_EUlSU_E_NS1_11comp_targetILNS1_3genE2ELNS1_11target_archE906ELNS1_3gpuE6ELNS1_3repE0EEENS1_30default_config_static_selectorELNS0_4arch9wavefront6targetE0EEEvT1_.has_indirect_call, 0
	.section	.AMDGPU.csdata,"",@progbits
; Kernel info:
; codeLenInByte = 0
; TotalNumSgprs: 0
; NumVgprs: 0
; ScratchSize: 0
; MemoryBound: 0
; FloatMode: 240
; IeeeMode: 1
; LDSByteSize: 0 bytes/workgroup (compile time only)
; SGPRBlocks: 0
; VGPRBlocks: 0
; NumSGPRsForWavesPerEU: 1
; NumVGPRsForWavesPerEU: 1
; Occupancy: 16
; WaveLimiterHint : 0
; COMPUTE_PGM_RSRC2:SCRATCH_EN: 0
; COMPUTE_PGM_RSRC2:USER_SGPR: 6
; COMPUTE_PGM_RSRC2:TRAP_HANDLER: 0
; COMPUTE_PGM_RSRC2:TGID_X_EN: 1
; COMPUTE_PGM_RSRC2:TGID_Y_EN: 0
; COMPUTE_PGM_RSRC2:TGID_Z_EN: 0
; COMPUTE_PGM_RSRC2:TIDIG_COMP_CNT: 0
	.section	.text._ZN7rocprim17ROCPRIM_400000_NS6detail17trampoline_kernelINS0_14default_configENS1_27scan_by_key_config_selectorIiiEEZZNS1_16scan_by_key_implILNS1_25lookback_scan_determinismE0ELb1ES3_N6thrust23THRUST_200600_302600_NS6detail15normal_iteratorINS9_10device_ptrIiEEEESE_SE_iNS9_4plusIvEENS9_8equal_toIiEEiEE10hipError_tPvRmT2_T3_T4_T5_mT6_T7_P12ihipStream_tbENKUlT_T0_E_clISt17integral_constantIbLb0EESY_IbLb1EEEEDaSU_SV_EUlSU_E_NS1_11comp_targetILNS1_3genE10ELNS1_11target_archE1200ELNS1_3gpuE4ELNS1_3repE0EEENS1_30default_config_static_selectorELNS0_4arch9wavefront6targetE0EEEvT1_,"axG",@progbits,_ZN7rocprim17ROCPRIM_400000_NS6detail17trampoline_kernelINS0_14default_configENS1_27scan_by_key_config_selectorIiiEEZZNS1_16scan_by_key_implILNS1_25lookback_scan_determinismE0ELb1ES3_N6thrust23THRUST_200600_302600_NS6detail15normal_iteratorINS9_10device_ptrIiEEEESE_SE_iNS9_4plusIvEENS9_8equal_toIiEEiEE10hipError_tPvRmT2_T3_T4_T5_mT6_T7_P12ihipStream_tbENKUlT_T0_E_clISt17integral_constantIbLb0EESY_IbLb1EEEEDaSU_SV_EUlSU_E_NS1_11comp_targetILNS1_3genE10ELNS1_11target_archE1200ELNS1_3gpuE4ELNS1_3repE0EEENS1_30default_config_static_selectorELNS0_4arch9wavefront6targetE0EEEvT1_,comdat
	.protected	_ZN7rocprim17ROCPRIM_400000_NS6detail17trampoline_kernelINS0_14default_configENS1_27scan_by_key_config_selectorIiiEEZZNS1_16scan_by_key_implILNS1_25lookback_scan_determinismE0ELb1ES3_N6thrust23THRUST_200600_302600_NS6detail15normal_iteratorINS9_10device_ptrIiEEEESE_SE_iNS9_4plusIvEENS9_8equal_toIiEEiEE10hipError_tPvRmT2_T3_T4_T5_mT6_T7_P12ihipStream_tbENKUlT_T0_E_clISt17integral_constantIbLb0EESY_IbLb1EEEEDaSU_SV_EUlSU_E_NS1_11comp_targetILNS1_3genE10ELNS1_11target_archE1200ELNS1_3gpuE4ELNS1_3repE0EEENS1_30default_config_static_selectorELNS0_4arch9wavefront6targetE0EEEvT1_ ; -- Begin function _ZN7rocprim17ROCPRIM_400000_NS6detail17trampoline_kernelINS0_14default_configENS1_27scan_by_key_config_selectorIiiEEZZNS1_16scan_by_key_implILNS1_25lookback_scan_determinismE0ELb1ES3_N6thrust23THRUST_200600_302600_NS6detail15normal_iteratorINS9_10device_ptrIiEEEESE_SE_iNS9_4plusIvEENS9_8equal_toIiEEiEE10hipError_tPvRmT2_T3_T4_T5_mT6_T7_P12ihipStream_tbENKUlT_T0_E_clISt17integral_constantIbLb0EESY_IbLb1EEEEDaSU_SV_EUlSU_E_NS1_11comp_targetILNS1_3genE10ELNS1_11target_archE1200ELNS1_3gpuE4ELNS1_3repE0EEENS1_30default_config_static_selectorELNS0_4arch9wavefront6targetE0EEEvT1_
	.globl	_ZN7rocprim17ROCPRIM_400000_NS6detail17trampoline_kernelINS0_14default_configENS1_27scan_by_key_config_selectorIiiEEZZNS1_16scan_by_key_implILNS1_25lookback_scan_determinismE0ELb1ES3_N6thrust23THRUST_200600_302600_NS6detail15normal_iteratorINS9_10device_ptrIiEEEESE_SE_iNS9_4plusIvEENS9_8equal_toIiEEiEE10hipError_tPvRmT2_T3_T4_T5_mT6_T7_P12ihipStream_tbENKUlT_T0_E_clISt17integral_constantIbLb0EESY_IbLb1EEEEDaSU_SV_EUlSU_E_NS1_11comp_targetILNS1_3genE10ELNS1_11target_archE1200ELNS1_3gpuE4ELNS1_3repE0EEENS1_30default_config_static_selectorELNS0_4arch9wavefront6targetE0EEEvT1_
	.p2align	8
	.type	_ZN7rocprim17ROCPRIM_400000_NS6detail17trampoline_kernelINS0_14default_configENS1_27scan_by_key_config_selectorIiiEEZZNS1_16scan_by_key_implILNS1_25lookback_scan_determinismE0ELb1ES3_N6thrust23THRUST_200600_302600_NS6detail15normal_iteratorINS9_10device_ptrIiEEEESE_SE_iNS9_4plusIvEENS9_8equal_toIiEEiEE10hipError_tPvRmT2_T3_T4_T5_mT6_T7_P12ihipStream_tbENKUlT_T0_E_clISt17integral_constantIbLb0EESY_IbLb1EEEEDaSU_SV_EUlSU_E_NS1_11comp_targetILNS1_3genE10ELNS1_11target_archE1200ELNS1_3gpuE4ELNS1_3repE0EEENS1_30default_config_static_selectorELNS0_4arch9wavefront6targetE0EEEvT1_,@function
_ZN7rocprim17ROCPRIM_400000_NS6detail17trampoline_kernelINS0_14default_configENS1_27scan_by_key_config_selectorIiiEEZZNS1_16scan_by_key_implILNS1_25lookback_scan_determinismE0ELb1ES3_N6thrust23THRUST_200600_302600_NS6detail15normal_iteratorINS9_10device_ptrIiEEEESE_SE_iNS9_4plusIvEENS9_8equal_toIiEEiEE10hipError_tPvRmT2_T3_T4_T5_mT6_T7_P12ihipStream_tbENKUlT_T0_E_clISt17integral_constantIbLb0EESY_IbLb1EEEEDaSU_SV_EUlSU_E_NS1_11comp_targetILNS1_3genE10ELNS1_11target_archE1200ELNS1_3gpuE4ELNS1_3repE0EEENS1_30default_config_static_selectorELNS0_4arch9wavefront6targetE0EEEvT1_: ; @_ZN7rocprim17ROCPRIM_400000_NS6detail17trampoline_kernelINS0_14default_configENS1_27scan_by_key_config_selectorIiiEEZZNS1_16scan_by_key_implILNS1_25lookback_scan_determinismE0ELb1ES3_N6thrust23THRUST_200600_302600_NS6detail15normal_iteratorINS9_10device_ptrIiEEEESE_SE_iNS9_4plusIvEENS9_8equal_toIiEEiEE10hipError_tPvRmT2_T3_T4_T5_mT6_T7_P12ihipStream_tbENKUlT_T0_E_clISt17integral_constantIbLb0EESY_IbLb1EEEEDaSU_SV_EUlSU_E_NS1_11comp_targetILNS1_3genE10ELNS1_11target_archE1200ELNS1_3gpuE4ELNS1_3repE0EEENS1_30default_config_static_selectorELNS0_4arch9wavefront6targetE0EEEvT1_
; %bb.0:
	.section	.rodata,"a",@progbits
	.p2align	6, 0x0
	.amdhsa_kernel _ZN7rocprim17ROCPRIM_400000_NS6detail17trampoline_kernelINS0_14default_configENS1_27scan_by_key_config_selectorIiiEEZZNS1_16scan_by_key_implILNS1_25lookback_scan_determinismE0ELb1ES3_N6thrust23THRUST_200600_302600_NS6detail15normal_iteratorINS9_10device_ptrIiEEEESE_SE_iNS9_4plusIvEENS9_8equal_toIiEEiEE10hipError_tPvRmT2_T3_T4_T5_mT6_T7_P12ihipStream_tbENKUlT_T0_E_clISt17integral_constantIbLb0EESY_IbLb1EEEEDaSU_SV_EUlSU_E_NS1_11comp_targetILNS1_3genE10ELNS1_11target_archE1200ELNS1_3gpuE4ELNS1_3repE0EEENS1_30default_config_static_selectorELNS0_4arch9wavefront6targetE0EEEvT1_
		.amdhsa_group_segment_fixed_size 0
		.amdhsa_private_segment_fixed_size 0
		.amdhsa_kernarg_size 112
		.amdhsa_user_sgpr_count 6
		.amdhsa_user_sgpr_private_segment_buffer 1
		.amdhsa_user_sgpr_dispatch_ptr 0
		.amdhsa_user_sgpr_queue_ptr 0
		.amdhsa_user_sgpr_kernarg_segment_ptr 1
		.amdhsa_user_sgpr_dispatch_id 0
		.amdhsa_user_sgpr_flat_scratch_init 0
		.amdhsa_user_sgpr_private_segment_size 0
		.amdhsa_wavefront_size32 1
		.amdhsa_uses_dynamic_stack 0
		.amdhsa_system_sgpr_private_segment_wavefront_offset 0
		.amdhsa_system_sgpr_workgroup_id_x 1
		.amdhsa_system_sgpr_workgroup_id_y 0
		.amdhsa_system_sgpr_workgroup_id_z 0
		.amdhsa_system_sgpr_workgroup_info 0
		.amdhsa_system_vgpr_workitem_id 0
		.amdhsa_next_free_vgpr 1
		.amdhsa_next_free_sgpr 1
		.amdhsa_reserve_vcc 0
		.amdhsa_reserve_flat_scratch 0
		.amdhsa_float_round_mode_32 0
		.amdhsa_float_round_mode_16_64 0
		.amdhsa_float_denorm_mode_32 3
		.amdhsa_float_denorm_mode_16_64 3
		.amdhsa_dx10_clamp 1
		.amdhsa_ieee_mode 1
		.amdhsa_fp16_overflow 0
		.amdhsa_workgroup_processor_mode 1
		.amdhsa_memory_ordered 1
		.amdhsa_forward_progress 1
		.amdhsa_shared_vgpr_count 0
		.amdhsa_exception_fp_ieee_invalid_op 0
		.amdhsa_exception_fp_denorm_src 0
		.amdhsa_exception_fp_ieee_div_zero 0
		.amdhsa_exception_fp_ieee_overflow 0
		.amdhsa_exception_fp_ieee_underflow 0
		.amdhsa_exception_fp_ieee_inexact 0
		.amdhsa_exception_int_div_zero 0
	.end_amdhsa_kernel
	.section	.text._ZN7rocprim17ROCPRIM_400000_NS6detail17trampoline_kernelINS0_14default_configENS1_27scan_by_key_config_selectorIiiEEZZNS1_16scan_by_key_implILNS1_25lookback_scan_determinismE0ELb1ES3_N6thrust23THRUST_200600_302600_NS6detail15normal_iteratorINS9_10device_ptrIiEEEESE_SE_iNS9_4plusIvEENS9_8equal_toIiEEiEE10hipError_tPvRmT2_T3_T4_T5_mT6_T7_P12ihipStream_tbENKUlT_T0_E_clISt17integral_constantIbLb0EESY_IbLb1EEEEDaSU_SV_EUlSU_E_NS1_11comp_targetILNS1_3genE10ELNS1_11target_archE1200ELNS1_3gpuE4ELNS1_3repE0EEENS1_30default_config_static_selectorELNS0_4arch9wavefront6targetE0EEEvT1_,"axG",@progbits,_ZN7rocprim17ROCPRIM_400000_NS6detail17trampoline_kernelINS0_14default_configENS1_27scan_by_key_config_selectorIiiEEZZNS1_16scan_by_key_implILNS1_25lookback_scan_determinismE0ELb1ES3_N6thrust23THRUST_200600_302600_NS6detail15normal_iteratorINS9_10device_ptrIiEEEESE_SE_iNS9_4plusIvEENS9_8equal_toIiEEiEE10hipError_tPvRmT2_T3_T4_T5_mT6_T7_P12ihipStream_tbENKUlT_T0_E_clISt17integral_constantIbLb0EESY_IbLb1EEEEDaSU_SV_EUlSU_E_NS1_11comp_targetILNS1_3genE10ELNS1_11target_archE1200ELNS1_3gpuE4ELNS1_3repE0EEENS1_30default_config_static_selectorELNS0_4arch9wavefront6targetE0EEEvT1_,comdat
.Lfunc_end566:
	.size	_ZN7rocprim17ROCPRIM_400000_NS6detail17trampoline_kernelINS0_14default_configENS1_27scan_by_key_config_selectorIiiEEZZNS1_16scan_by_key_implILNS1_25lookback_scan_determinismE0ELb1ES3_N6thrust23THRUST_200600_302600_NS6detail15normal_iteratorINS9_10device_ptrIiEEEESE_SE_iNS9_4plusIvEENS9_8equal_toIiEEiEE10hipError_tPvRmT2_T3_T4_T5_mT6_T7_P12ihipStream_tbENKUlT_T0_E_clISt17integral_constantIbLb0EESY_IbLb1EEEEDaSU_SV_EUlSU_E_NS1_11comp_targetILNS1_3genE10ELNS1_11target_archE1200ELNS1_3gpuE4ELNS1_3repE0EEENS1_30default_config_static_selectorELNS0_4arch9wavefront6targetE0EEEvT1_, .Lfunc_end566-_ZN7rocprim17ROCPRIM_400000_NS6detail17trampoline_kernelINS0_14default_configENS1_27scan_by_key_config_selectorIiiEEZZNS1_16scan_by_key_implILNS1_25lookback_scan_determinismE0ELb1ES3_N6thrust23THRUST_200600_302600_NS6detail15normal_iteratorINS9_10device_ptrIiEEEESE_SE_iNS9_4plusIvEENS9_8equal_toIiEEiEE10hipError_tPvRmT2_T3_T4_T5_mT6_T7_P12ihipStream_tbENKUlT_T0_E_clISt17integral_constantIbLb0EESY_IbLb1EEEEDaSU_SV_EUlSU_E_NS1_11comp_targetILNS1_3genE10ELNS1_11target_archE1200ELNS1_3gpuE4ELNS1_3repE0EEENS1_30default_config_static_selectorELNS0_4arch9wavefront6targetE0EEEvT1_
                                        ; -- End function
	.set _ZN7rocprim17ROCPRIM_400000_NS6detail17trampoline_kernelINS0_14default_configENS1_27scan_by_key_config_selectorIiiEEZZNS1_16scan_by_key_implILNS1_25lookback_scan_determinismE0ELb1ES3_N6thrust23THRUST_200600_302600_NS6detail15normal_iteratorINS9_10device_ptrIiEEEESE_SE_iNS9_4plusIvEENS9_8equal_toIiEEiEE10hipError_tPvRmT2_T3_T4_T5_mT6_T7_P12ihipStream_tbENKUlT_T0_E_clISt17integral_constantIbLb0EESY_IbLb1EEEEDaSU_SV_EUlSU_E_NS1_11comp_targetILNS1_3genE10ELNS1_11target_archE1200ELNS1_3gpuE4ELNS1_3repE0EEENS1_30default_config_static_selectorELNS0_4arch9wavefront6targetE0EEEvT1_.num_vgpr, 0
	.set _ZN7rocprim17ROCPRIM_400000_NS6detail17trampoline_kernelINS0_14default_configENS1_27scan_by_key_config_selectorIiiEEZZNS1_16scan_by_key_implILNS1_25lookback_scan_determinismE0ELb1ES3_N6thrust23THRUST_200600_302600_NS6detail15normal_iteratorINS9_10device_ptrIiEEEESE_SE_iNS9_4plusIvEENS9_8equal_toIiEEiEE10hipError_tPvRmT2_T3_T4_T5_mT6_T7_P12ihipStream_tbENKUlT_T0_E_clISt17integral_constantIbLb0EESY_IbLb1EEEEDaSU_SV_EUlSU_E_NS1_11comp_targetILNS1_3genE10ELNS1_11target_archE1200ELNS1_3gpuE4ELNS1_3repE0EEENS1_30default_config_static_selectorELNS0_4arch9wavefront6targetE0EEEvT1_.num_agpr, 0
	.set _ZN7rocprim17ROCPRIM_400000_NS6detail17trampoline_kernelINS0_14default_configENS1_27scan_by_key_config_selectorIiiEEZZNS1_16scan_by_key_implILNS1_25lookback_scan_determinismE0ELb1ES3_N6thrust23THRUST_200600_302600_NS6detail15normal_iteratorINS9_10device_ptrIiEEEESE_SE_iNS9_4plusIvEENS9_8equal_toIiEEiEE10hipError_tPvRmT2_T3_T4_T5_mT6_T7_P12ihipStream_tbENKUlT_T0_E_clISt17integral_constantIbLb0EESY_IbLb1EEEEDaSU_SV_EUlSU_E_NS1_11comp_targetILNS1_3genE10ELNS1_11target_archE1200ELNS1_3gpuE4ELNS1_3repE0EEENS1_30default_config_static_selectorELNS0_4arch9wavefront6targetE0EEEvT1_.numbered_sgpr, 0
	.set _ZN7rocprim17ROCPRIM_400000_NS6detail17trampoline_kernelINS0_14default_configENS1_27scan_by_key_config_selectorIiiEEZZNS1_16scan_by_key_implILNS1_25lookback_scan_determinismE0ELb1ES3_N6thrust23THRUST_200600_302600_NS6detail15normal_iteratorINS9_10device_ptrIiEEEESE_SE_iNS9_4plusIvEENS9_8equal_toIiEEiEE10hipError_tPvRmT2_T3_T4_T5_mT6_T7_P12ihipStream_tbENKUlT_T0_E_clISt17integral_constantIbLb0EESY_IbLb1EEEEDaSU_SV_EUlSU_E_NS1_11comp_targetILNS1_3genE10ELNS1_11target_archE1200ELNS1_3gpuE4ELNS1_3repE0EEENS1_30default_config_static_selectorELNS0_4arch9wavefront6targetE0EEEvT1_.num_named_barrier, 0
	.set _ZN7rocprim17ROCPRIM_400000_NS6detail17trampoline_kernelINS0_14default_configENS1_27scan_by_key_config_selectorIiiEEZZNS1_16scan_by_key_implILNS1_25lookback_scan_determinismE0ELb1ES3_N6thrust23THRUST_200600_302600_NS6detail15normal_iteratorINS9_10device_ptrIiEEEESE_SE_iNS9_4plusIvEENS9_8equal_toIiEEiEE10hipError_tPvRmT2_T3_T4_T5_mT6_T7_P12ihipStream_tbENKUlT_T0_E_clISt17integral_constantIbLb0EESY_IbLb1EEEEDaSU_SV_EUlSU_E_NS1_11comp_targetILNS1_3genE10ELNS1_11target_archE1200ELNS1_3gpuE4ELNS1_3repE0EEENS1_30default_config_static_selectorELNS0_4arch9wavefront6targetE0EEEvT1_.private_seg_size, 0
	.set _ZN7rocprim17ROCPRIM_400000_NS6detail17trampoline_kernelINS0_14default_configENS1_27scan_by_key_config_selectorIiiEEZZNS1_16scan_by_key_implILNS1_25lookback_scan_determinismE0ELb1ES3_N6thrust23THRUST_200600_302600_NS6detail15normal_iteratorINS9_10device_ptrIiEEEESE_SE_iNS9_4plusIvEENS9_8equal_toIiEEiEE10hipError_tPvRmT2_T3_T4_T5_mT6_T7_P12ihipStream_tbENKUlT_T0_E_clISt17integral_constantIbLb0EESY_IbLb1EEEEDaSU_SV_EUlSU_E_NS1_11comp_targetILNS1_3genE10ELNS1_11target_archE1200ELNS1_3gpuE4ELNS1_3repE0EEENS1_30default_config_static_selectorELNS0_4arch9wavefront6targetE0EEEvT1_.uses_vcc, 0
	.set _ZN7rocprim17ROCPRIM_400000_NS6detail17trampoline_kernelINS0_14default_configENS1_27scan_by_key_config_selectorIiiEEZZNS1_16scan_by_key_implILNS1_25lookback_scan_determinismE0ELb1ES3_N6thrust23THRUST_200600_302600_NS6detail15normal_iteratorINS9_10device_ptrIiEEEESE_SE_iNS9_4plusIvEENS9_8equal_toIiEEiEE10hipError_tPvRmT2_T3_T4_T5_mT6_T7_P12ihipStream_tbENKUlT_T0_E_clISt17integral_constantIbLb0EESY_IbLb1EEEEDaSU_SV_EUlSU_E_NS1_11comp_targetILNS1_3genE10ELNS1_11target_archE1200ELNS1_3gpuE4ELNS1_3repE0EEENS1_30default_config_static_selectorELNS0_4arch9wavefront6targetE0EEEvT1_.uses_flat_scratch, 0
	.set _ZN7rocprim17ROCPRIM_400000_NS6detail17trampoline_kernelINS0_14default_configENS1_27scan_by_key_config_selectorIiiEEZZNS1_16scan_by_key_implILNS1_25lookback_scan_determinismE0ELb1ES3_N6thrust23THRUST_200600_302600_NS6detail15normal_iteratorINS9_10device_ptrIiEEEESE_SE_iNS9_4plusIvEENS9_8equal_toIiEEiEE10hipError_tPvRmT2_T3_T4_T5_mT6_T7_P12ihipStream_tbENKUlT_T0_E_clISt17integral_constantIbLb0EESY_IbLb1EEEEDaSU_SV_EUlSU_E_NS1_11comp_targetILNS1_3genE10ELNS1_11target_archE1200ELNS1_3gpuE4ELNS1_3repE0EEENS1_30default_config_static_selectorELNS0_4arch9wavefront6targetE0EEEvT1_.has_dyn_sized_stack, 0
	.set _ZN7rocprim17ROCPRIM_400000_NS6detail17trampoline_kernelINS0_14default_configENS1_27scan_by_key_config_selectorIiiEEZZNS1_16scan_by_key_implILNS1_25lookback_scan_determinismE0ELb1ES3_N6thrust23THRUST_200600_302600_NS6detail15normal_iteratorINS9_10device_ptrIiEEEESE_SE_iNS9_4plusIvEENS9_8equal_toIiEEiEE10hipError_tPvRmT2_T3_T4_T5_mT6_T7_P12ihipStream_tbENKUlT_T0_E_clISt17integral_constantIbLb0EESY_IbLb1EEEEDaSU_SV_EUlSU_E_NS1_11comp_targetILNS1_3genE10ELNS1_11target_archE1200ELNS1_3gpuE4ELNS1_3repE0EEENS1_30default_config_static_selectorELNS0_4arch9wavefront6targetE0EEEvT1_.has_recursion, 0
	.set _ZN7rocprim17ROCPRIM_400000_NS6detail17trampoline_kernelINS0_14default_configENS1_27scan_by_key_config_selectorIiiEEZZNS1_16scan_by_key_implILNS1_25lookback_scan_determinismE0ELb1ES3_N6thrust23THRUST_200600_302600_NS6detail15normal_iteratorINS9_10device_ptrIiEEEESE_SE_iNS9_4plusIvEENS9_8equal_toIiEEiEE10hipError_tPvRmT2_T3_T4_T5_mT6_T7_P12ihipStream_tbENKUlT_T0_E_clISt17integral_constantIbLb0EESY_IbLb1EEEEDaSU_SV_EUlSU_E_NS1_11comp_targetILNS1_3genE10ELNS1_11target_archE1200ELNS1_3gpuE4ELNS1_3repE0EEENS1_30default_config_static_selectorELNS0_4arch9wavefront6targetE0EEEvT1_.has_indirect_call, 0
	.section	.AMDGPU.csdata,"",@progbits
; Kernel info:
; codeLenInByte = 0
; TotalNumSgprs: 0
; NumVgprs: 0
; ScratchSize: 0
; MemoryBound: 0
; FloatMode: 240
; IeeeMode: 1
; LDSByteSize: 0 bytes/workgroup (compile time only)
; SGPRBlocks: 0
; VGPRBlocks: 0
; NumSGPRsForWavesPerEU: 1
; NumVGPRsForWavesPerEU: 1
; Occupancy: 16
; WaveLimiterHint : 0
; COMPUTE_PGM_RSRC2:SCRATCH_EN: 0
; COMPUTE_PGM_RSRC2:USER_SGPR: 6
; COMPUTE_PGM_RSRC2:TRAP_HANDLER: 0
; COMPUTE_PGM_RSRC2:TGID_X_EN: 1
; COMPUTE_PGM_RSRC2:TGID_Y_EN: 0
; COMPUTE_PGM_RSRC2:TGID_Z_EN: 0
; COMPUTE_PGM_RSRC2:TIDIG_COMP_CNT: 0
	.section	.text._ZN7rocprim17ROCPRIM_400000_NS6detail17trampoline_kernelINS0_14default_configENS1_27scan_by_key_config_selectorIiiEEZZNS1_16scan_by_key_implILNS1_25lookback_scan_determinismE0ELb1ES3_N6thrust23THRUST_200600_302600_NS6detail15normal_iteratorINS9_10device_ptrIiEEEESE_SE_iNS9_4plusIvEENS9_8equal_toIiEEiEE10hipError_tPvRmT2_T3_T4_T5_mT6_T7_P12ihipStream_tbENKUlT_T0_E_clISt17integral_constantIbLb0EESY_IbLb1EEEEDaSU_SV_EUlSU_E_NS1_11comp_targetILNS1_3genE9ELNS1_11target_archE1100ELNS1_3gpuE3ELNS1_3repE0EEENS1_30default_config_static_selectorELNS0_4arch9wavefront6targetE0EEEvT1_,"axG",@progbits,_ZN7rocprim17ROCPRIM_400000_NS6detail17trampoline_kernelINS0_14default_configENS1_27scan_by_key_config_selectorIiiEEZZNS1_16scan_by_key_implILNS1_25lookback_scan_determinismE0ELb1ES3_N6thrust23THRUST_200600_302600_NS6detail15normal_iteratorINS9_10device_ptrIiEEEESE_SE_iNS9_4plusIvEENS9_8equal_toIiEEiEE10hipError_tPvRmT2_T3_T4_T5_mT6_T7_P12ihipStream_tbENKUlT_T0_E_clISt17integral_constantIbLb0EESY_IbLb1EEEEDaSU_SV_EUlSU_E_NS1_11comp_targetILNS1_3genE9ELNS1_11target_archE1100ELNS1_3gpuE3ELNS1_3repE0EEENS1_30default_config_static_selectorELNS0_4arch9wavefront6targetE0EEEvT1_,comdat
	.protected	_ZN7rocprim17ROCPRIM_400000_NS6detail17trampoline_kernelINS0_14default_configENS1_27scan_by_key_config_selectorIiiEEZZNS1_16scan_by_key_implILNS1_25lookback_scan_determinismE0ELb1ES3_N6thrust23THRUST_200600_302600_NS6detail15normal_iteratorINS9_10device_ptrIiEEEESE_SE_iNS9_4plusIvEENS9_8equal_toIiEEiEE10hipError_tPvRmT2_T3_T4_T5_mT6_T7_P12ihipStream_tbENKUlT_T0_E_clISt17integral_constantIbLb0EESY_IbLb1EEEEDaSU_SV_EUlSU_E_NS1_11comp_targetILNS1_3genE9ELNS1_11target_archE1100ELNS1_3gpuE3ELNS1_3repE0EEENS1_30default_config_static_selectorELNS0_4arch9wavefront6targetE0EEEvT1_ ; -- Begin function _ZN7rocprim17ROCPRIM_400000_NS6detail17trampoline_kernelINS0_14default_configENS1_27scan_by_key_config_selectorIiiEEZZNS1_16scan_by_key_implILNS1_25lookback_scan_determinismE0ELb1ES3_N6thrust23THRUST_200600_302600_NS6detail15normal_iteratorINS9_10device_ptrIiEEEESE_SE_iNS9_4plusIvEENS9_8equal_toIiEEiEE10hipError_tPvRmT2_T3_T4_T5_mT6_T7_P12ihipStream_tbENKUlT_T0_E_clISt17integral_constantIbLb0EESY_IbLb1EEEEDaSU_SV_EUlSU_E_NS1_11comp_targetILNS1_3genE9ELNS1_11target_archE1100ELNS1_3gpuE3ELNS1_3repE0EEENS1_30default_config_static_selectorELNS0_4arch9wavefront6targetE0EEEvT1_
	.globl	_ZN7rocprim17ROCPRIM_400000_NS6detail17trampoline_kernelINS0_14default_configENS1_27scan_by_key_config_selectorIiiEEZZNS1_16scan_by_key_implILNS1_25lookback_scan_determinismE0ELb1ES3_N6thrust23THRUST_200600_302600_NS6detail15normal_iteratorINS9_10device_ptrIiEEEESE_SE_iNS9_4plusIvEENS9_8equal_toIiEEiEE10hipError_tPvRmT2_T3_T4_T5_mT6_T7_P12ihipStream_tbENKUlT_T0_E_clISt17integral_constantIbLb0EESY_IbLb1EEEEDaSU_SV_EUlSU_E_NS1_11comp_targetILNS1_3genE9ELNS1_11target_archE1100ELNS1_3gpuE3ELNS1_3repE0EEENS1_30default_config_static_selectorELNS0_4arch9wavefront6targetE0EEEvT1_
	.p2align	8
	.type	_ZN7rocprim17ROCPRIM_400000_NS6detail17trampoline_kernelINS0_14default_configENS1_27scan_by_key_config_selectorIiiEEZZNS1_16scan_by_key_implILNS1_25lookback_scan_determinismE0ELb1ES3_N6thrust23THRUST_200600_302600_NS6detail15normal_iteratorINS9_10device_ptrIiEEEESE_SE_iNS9_4plusIvEENS9_8equal_toIiEEiEE10hipError_tPvRmT2_T3_T4_T5_mT6_T7_P12ihipStream_tbENKUlT_T0_E_clISt17integral_constantIbLb0EESY_IbLb1EEEEDaSU_SV_EUlSU_E_NS1_11comp_targetILNS1_3genE9ELNS1_11target_archE1100ELNS1_3gpuE3ELNS1_3repE0EEENS1_30default_config_static_selectorELNS0_4arch9wavefront6targetE0EEEvT1_,@function
_ZN7rocprim17ROCPRIM_400000_NS6detail17trampoline_kernelINS0_14default_configENS1_27scan_by_key_config_selectorIiiEEZZNS1_16scan_by_key_implILNS1_25lookback_scan_determinismE0ELb1ES3_N6thrust23THRUST_200600_302600_NS6detail15normal_iteratorINS9_10device_ptrIiEEEESE_SE_iNS9_4plusIvEENS9_8equal_toIiEEiEE10hipError_tPvRmT2_T3_T4_T5_mT6_T7_P12ihipStream_tbENKUlT_T0_E_clISt17integral_constantIbLb0EESY_IbLb1EEEEDaSU_SV_EUlSU_E_NS1_11comp_targetILNS1_3genE9ELNS1_11target_archE1100ELNS1_3gpuE3ELNS1_3repE0EEENS1_30default_config_static_selectorELNS0_4arch9wavefront6targetE0EEEvT1_: ; @_ZN7rocprim17ROCPRIM_400000_NS6detail17trampoline_kernelINS0_14default_configENS1_27scan_by_key_config_selectorIiiEEZZNS1_16scan_by_key_implILNS1_25lookback_scan_determinismE0ELb1ES3_N6thrust23THRUST_200600_302600_NS6detail15normal_iteratorINS9_10device_ptrIiEEEESE_SE_iNS9_4plusIvEENS9_8equal_toIiEEiEE10hipError_tPvRmT2_T3_T4_T5_mT6_T7_P12ihipStream_tbENKUlT_T0_E_clISt17integral_constantIbLb0EESY_IbLb1EEEEDaSU_SV_EUlSU_E_NS1_11comp_targetILNS1_3genE9ELNS1_11target_archE1100ELNS1_3gpuE3ELNS1_3repE0EEENS1_30default_config_static_selectorELNS0_4arch9wavefront6targetE0EEEvT1_
; %bb.0:
	.section	.rodata,"a",@progbits
	.p2align	6, 0x0
	.amdhsa_kernel _ZN7rocprim17ROCPRIM_400000_NS6detail17trampoline_kernelINS0_14default_configENS1_27scan_by_key_config_selectorIiiEEZZNS1_16scan_by_key_implILNS1_25lookback_scan_determinismE0ELb1ES3_N6thrust23THRUST_200600_302600_NS6detail15normal_iteratorINS9_10device_ptrIiEEEESE_SE_iNS9_4plusIvEENS9_8equal_toIiEEiEE10hipError_tPvRmT2_T3_T4_T5_mT6_T7_P12ihipStream_tbENKUlT_T0_E_clISt17integral_constantIbLb0EESY_IbLb1EEEEDaSU_SV_EUlSU_E_NS1_11comp_targetILNS1_3genE9ELNS1_11target_archE1100ELNS1_3gpuE3ELNS1_3repE0EEENS1_30default_config_static_selectorELNS0_4arch9wavefront6targetE0EEEvT1_
		.amdhsa_group_segment_fixed_size 0
		.amdhsa_private_segment_fixed_size 0
		.amdhsa_kernarg_size 112
		.amdhsa_user_sgpr_count 6
		.amdhsa_user_sgpr_private_segment_buffer 1
		.amdhsa_user_sgpr_dispatch_ptr 0
		.amdhsa_user_sgpr_queue_ptr 0
		.amdhsa_user_sgpr_kernarg_segment_ptr 1
		.amdhsa_user_sgpr_dispatch_id 0
		.amdhsa_user_sgpr_flat_scratch_init 0
		.amdhsa_user_sgpr_private_segment_size 0
		.amdhsa_wavefront_size32 1
		.amdhsa_uses_dynamic_stack 0
		.amdhsa_system_sgpr_private_segment_wavefront_offset 0
		.amdhsa_system_sgpr_workgroup_id_x 1
		.amdhsa_system_sgpr_workgroup_id_y 0
		.amdhsa_system_sgpr_workgroup_id_z 0
		.amdhsa_system_sgpr_workgroup_info 0
		.amdhsa_system_vgpr_workitem_id 0
		.amdhsa_next_free_vgpr 1
		.amdhsa_next_free_sgpr 1
		.amdhsa_reserve_vcc 0
		.amdhsa_reserve_flat_scratch 0
		.amdhsa_float_round_mode_32 0
		.amdhsa_float_round_mode_16_64 0
		.amdhsa_float_denorm_mode_32 3
		.amdhsa_float_denorm_mode_16_64 3
		.amdhsa_dx10_clamp 1
		.amdhsa_ieee_mode 1
		.amdhsa_fp16_overflow 0
		.amdhsa_workgroup_processor_mode 1
		.amdhsa_memory_ordered 1
		.amdhsa_forward_progress 1
		.amdhsa_shared_vgpr_count 0
		.amdhsa_exception_fp_ieee_invalid_op 0
		.amdhsa_exception_fp_denorm_src 0
		.amdhsa_exception_fp_ieee_div_zero 0
		.amdhsa_exception_fp_ieee_overflow 0
		.amdhsa_exception_fp_ieee_underflow 0
		.amdhsa_exception_fp_ieee_inexact 0
		.amdhsa_exception_int_div_zero 0
	.end_amdhsa_kernel
	.section	.text._ZN7rocprim17ROCPRIM_400000_NS6detail17trampoline_kernelINS0_14default_configENS1_27scan_by_key_config_selectorIiiEEZZNS1_16scan_by_key_implILNS1_25lookback_scan_determinismE0ELb1ES3_N6thrust23THRUST_200600_302600_NS6detail15normal_iteratorINS9_10device_ptrIiEEEESE_SE_iNS9_4plusIvEENS9_8equal_toIiEEiEE10hipError_tPvRmT2_T3_T4_T5_mT6_T7_P12ihipStream_tbENKUlT_T0_E_clISt17integral_constantIbLb0EESY_IbLb1EEEEDaSU_SV_EUlSU_E_NS1_11comp_targetILNS1_3genE9ELNS1_11target_archE1100ELNS1_3gpuE3ELNS1_3repE0EEENS1_30default_config_static_selectorELNS0_4arch9wavefront6targetE0EEEvT1_,"axG",@progbits,_ZN7rocprim17ROCPRIM_400000_NS6detail17trampoline_kernelINS0_14default_configENS1_27scan_by_key_config_selectorIiiEEZZNS1_16scan_by_key_implILNS1_25lookback_scan_determinismE0ELb1ES3_N6thrust23THRUST_200600_302600_NS6detail15normal_iteratorINS9_10device_ptrIiEEEESE_SE_iNS9_4plusIvEENS9_8equal_toIiEEiEE10hipError_tPvRmT2_T3_T4_T5_mT6_T7_P12ihipStream_tbENKUlT_T0_E_clISt17integral_constantIbLb0EESY_IbLb1EEEEDaSU_SV_EUlSU_E_NS1_11comp_targetILNS1_3genE9ELNS1_11target_archE1100ELNS1_3gpuE3ELNS1_3repE0EEENS1_30default_config_static_selectorELNS0_4arch9wavefront6targetE0EEEvT1_,comdat
.Lfunc_end567:
	.size	_ZN7rocprim17ROCPRIM_400000_NS6detail17trampoline_kernelINS0_14default_configENS1_27scan_by_key_config_selectorIiiEEZZNS1_16scan_by_key_implILNS1_25lookback_scan_determinismE0ELb1ES3_N6thrust23THRUST_200600_302600_NS6detail15normal_iteratorINS9_10device_ptrIiEEEESE_SE_iNS9_4plusIvEENS9_8equal_toIiEEiEE10hipError_tPvRmT2_T3_T4_T5_mT6_T7_P12ihipStream_tbENKUlT_T0_E_clISt17integral_constantIbLb0EESY_IbLb1EEEEDaSU_SV_EUlSU_E_NS1_11comp_targetILNS1_3genE9ELNS1_11target_archE1100ELNS1_3gpuE3ELNS1_3repE0EEENS1_30default_config_static_selectorELNS0_4arch9wavefront6targetE0EEEvT1_, .Lfunc_end567-_ZN7rocprim17ROCPRIM_400000_NS6detail17trampoline_kernelINS0_14default_configENS1_27scan_by_key_config_selectorIiiEEZZNS1_16scan_by_key_implILNS1_25lookback_scan_determinismE0ELb1ES3_N6thrust23THRUST_200600_302600_NS6detail15normal_iteratorINS9_10device_ptrIiEEEESE_SE_iNS9_4plusIvEENS9_8equal_toIiEEiEE10hipError_tPvRmT2_T3_T4_T5_mT6_T7_P12ihipStream_tbENKUlT_T0_E_clISt17integral_constantIbLb0EESY_IbLb1EEEEDaSU_SV_EUlSU_E_NS1_11comp_targetILNS1_3genE9ELNS1_11target_archE1100ELNS1_3gpuE3ELNS1_3repE0EEENS1_30default_config_static_selectorELNS0_4arch9wavefront6targetE0EEEvT1_
                                        ; -- End function
	.set _ZN7rocprim17ROCPRIM_400000_NS6detail17trampoline_kernelINS0_14default_configENS1_27scan_by_key_config_selectorIiiEEZZNS1_16scan_by_key_implILNS1_25lookback_scan_determinismE0ELb1ES3_N6thrust23THRUST_200600_302600_NS6detail15normal_iteratorINS9_10device_ptrIiEEEESE_SE_iNS9_4plusIvEENS9_8equal_toIiEEiEE10hipError_tPvRmT2_T3_T4_T5_mT6_T7_P12ihipStream_tbENKUlT_T0_E_clISt17integral_constantIbLb0EESY_IbLb1EEEEDaSU_SV_EUlSU_E_NS1_11comp_targetILNS1_3genE9ELNS1_11target_archE1100ELNS1_3gpuE3ELNS1_3repE0EEENS1_30default_config_static_selectorELNS0_4arch9wavefront6targetE0EEEvT1_.num_vgpr, 0
	.set _ZN7rocprim17ROCPRIM_400000_NS6detail17trampoline_kernelINS0_14default_configENS1_27scan_by_key_config_selectorIiiEEZZNS1_16scan_by_key_implILNS1_25lookback_scan_determinismE0ELb1ES3_N6thrust23THRUST_200600_302600_NS6detail15normal_iteratorINS9_10device_ptrIiEEEESE_SE_iNS9_4plusIvEENS9_8equal_toIiEEiEE10hipError_tPvRmT2_T3_T4_T5_mT6_T7_P12ihipStream_tbENKUlT_T0_E_clISt17integral_constantIbLb0EESY_IbLb1EEEEDaSU_SV_EUlSU_E_NS1_11comp_targetILNS1_3genE9ELNS1_11target_archE1100ELNS1_3gpuE3ELNS1_3repE0EEENS1_30default_config_static_selectorELNS0_4arch9wavefront6targetE0EEEvT1_.num_agpr, 0
	.set _ZN7rocprim17ROCPRIM_400000_NS6detail17trampoline_kernelINS0_14default_configENS1_27scan_by_key_config_selectorIiiEEZZNS1_16scan_by_key_implILNS1_25lookback_scan_determinismE0ELb1ES3_N6thrust23THRUST_200600_302600_NS6detail15normal_iteratorINS9_10device_ptrIiEEEESE_SE_iNS9_4plusIvEENS9_8equal_toIiEEiEE10hipError_tPvRmT2_T3_T4_T5_mT6_T7_P12ihipStream_tbENKUlT_T0_E_clISt17integral_constantIbLb0EESY_IbLb1EEEEDaSU_SV_EUlSU_E_NS1_11comp_targetILNS1_3genE9ELNS1_11target_archE1100ELNS1_3gpuE3ELNS1_3repE0EEENS1_30default_config_static_selectorELNS0_4arch9wavefront6targetE0EEEvT1_.numbered_sgpr, 0
	.set _ZN7rocprim17ROCPRIM_400000_NS6detail17trampoline_kernelINS0_14default_configENS1_27scan_by_key_config_selectorIiiEEZZNS1_16scan_by_key_implILNS1_25lookback_scan_determinismE0ELb1ES3_N6thrust23THRUST_200600_302600_NS6detail15normal_iteratorINS9_10device_ptrIiEEEESE_SE_iNS9_4plusIvEENS9_8equal_toIiEEiEE10hipError_tPvRmT2_T3_T4_T5_mT6_T7_P12ihipStream_tbENKUlT_T0_E_clISt17integral_constantIbLb0EESY_IbLb1EEEEDaSU_SV_EUlSU_E_NS1_11comp_targetILNS1_3genE9ELNS1_11target_archE1100ELNS1_3gpuE3ELNS1_3repE0EEENS1_30default_config_static_selectorELNS0_4arch9wavefront6targetE0EEEvT1_.num_named_barrier, 0
	.set _ZN7rocprim17ROCPRIM_400000_NS6detail17trampoline_kernelINS0_14default_configENS1_27scan_by_key_config_selectorIiiEEZZNS1_16scan_by_key_implILNS1_25lookback_scan_determinismE0ELb1ES3_N6thrust23THRUST_200600_302600_NS6detail15normal_iteratorINS9_10device_ptrIiEEEESE_SE_iNS9_4plusIvEENS9_8equal_toIiEEiEE10hipError_tPvRmT2_T3_T4_T5_mT6_T7_P12ihipStream_tbENKUlT_T0_E_clISt17integral_constantIbLb0EESY_IbLb1EEEEDaSU_SV_EUlSU_E_NS1_11comp_targetILNS1_3genE9ELNS1_11target_archE1100ELNS1_3gpuE3ELNS1_3repE0EEENS1_30default_config_static_selectorELNS0_4arch9wavefront6targetE0EEEvT1_.private_seg_size, 0
	.set _ZN7rocprim17ROCPRIM_400000_NS6detail17trampoline_kernelINS0_14default_configENS1_27scan_by_key_config_selectorIiiEEZZNS1_16scan_by_key_implILNS1_25lookback_scan_determinismE0ELb1ES3_N6thrust23THRUST_200600_302600_NS6detail15normal_iteratorINS9_10device_ptrIiEEEESE_SE_iNS9_4plusIvEENS9_8equal_toIiEEiEE10hipError_tPvRmT2_T3_T4_T5_mT6_T7_P12ihipStream_tbENKUlT_T0_E_clISt17integral_constantIbLb0EESY_IbLb1EEEEDaSU_SV_EUlSU_E_NS1_11comp_targetILNS1_3genE9ELNS1_11target_archE1100ELNS1_3gpuE3ELNS1_3repE0EEENS1_30default_config_static_selectorELNS0_4arch9wavefront6targetE0EEEvT1_.uses_vcc, 0
	.set _ZN7rocprim17ROCPRIM_400000_NS6detail17trampoline_kernelINS0_14default_configENS1_27scan_by_key_config_selectorIiiEEZZNS1_16scan_by_key_implILNS1_25lookback_scan_determinismE0ELb1ES3_N6thrust23THRUST_200600_302600_NS6detail15normal_iteratorINS9_10device_ptrIiEEEESE_SE_iNS9_4plusIvEENS9_8equal_toIiEEiEE10hipError_tPvRmT2_T3_T4_T5_mT6_T7_P12ihipStream_tbENKUlT_T0_E_clISt17integral_constantIbLb0EESY_IbLb1EEEEDaSU_SV_EUlSU_E_NS1_11comp_targetILNS1_3genE9ELNS1_11target_archE1100ELNS1_3gpuE3ELNS1_3repE0EEENS1_30default_config_static_selectorELNS0_4arch9wavefront6targetE0EEEvT1_.uses_flat_scratch, 0
	.set _ZN7rocprim17ROCPRIM_400000_NS6detail17trampoline_kernelINS0_14default_configENS1_27scan_by_key_config_selectorIiiEEZZNS1_16scan_by_key_implILNS1_25lookback_scan_determinismE0ELb1ES3_N6thrust23THRUST_200600_302600_NS6detail15normal_iteratorINS9_10device_ptrIiEEEESE_SE_iNS9_4plusIvEENS9_8equal_toIiEEiEE10hipError_tPvRmT2_T3_T4_T5_mT6_T7_P12ihipStream_tbENKUlT_T0_E_clISt17integral_constantIbLb0EESY_IbLb1EEEEDaSU_SV_EUlSU_E_NS1_11comp_targetILNS1_3genE9ELNS1_11target_archE1100ELNS1_3gpuE3ELNS1_3repE0EEENS1_30default_config_static_selectorELNS0_4arch9wavefront6targetE0EEEvT1_.has_dyn_sized_stack, 0
	.set _ZN7rocprim17ROCPRIM_400000_NS6detail17trampoline_kernelINS0_14default_configENS1_27scan_by_key_config_selectorIiiEEZZNS1_16scan_by_key_implILNS1_25lookback_scan_determinismE0ELb1ES3_N6thrust23THRUST_200600_302600_NS6detail15normal_iteratorINS9_10device_ptrIiEEEESE_SE_iNS9_4plusIvEENS9_8equal_toIiEEiEE10hipError_tPvRmT2_T3_T4_T5_mT6_T7_P12ihipStream_tbENKUlT_T0_E_clISt17integral_constantIbLb0EESY_IbLb1EEEEDaSU_SV_EUlSU_E_NS1_11comp_targetILNS1_3genE9ELNS1_11target_archE1100ELNS1_3gpuE3ELNS1_3repE0EEENS1_30default_config_static_selectorELNS0_4arch9wavefront6targetE0EEEvT1_.has_recursion, 0
	.set _ZN7rocprim17ROCPRIM_400000_NS6detail17trampoline_kernelINS0_14default_configENS1_27scan_by_key_config_selectorIiiEEZZNS1_16scan_by_key_implILNS1_25lookback_scan_determinismE0ELb1ES3_N6thrust23THRUST_200600_302600_NS6detail15normal_iteratorINS9_10device_ptrIiEEEESE_SE_iNS9_4plusIvEENS9_8equal_toIiEEiEE10hipError_tPvRmT2_T3_T4_T5_mT6_T7_P12ihipStream_tbENKUlT_T0_E_clISt17integral_constantIbLb0EESY_IbLb1EEEEDaSU_SV_EUlSU_E_NS1_11comp_targetILNS1_3genE9ELNS1_11target_archE1100ELNS1_3gpuE3ELNS1_3repE0EEENS1_30default_config_static_selectorELNS0_4arch9wavefront6targetE0EEEvT1_.has_indirect_call, 0
	.section	.AMDGPU.csdata,"",@progbits
; Kernel info:
; codeLenInByte = 0
; TotalNumSgprs: 0
; NumVgprs: 0
; ScratchSize: 0
; MemoryBound: 0
; FloatMode: 240
; IeeeMode: 1
; LDSByteSize: 0 bytes/workgroup (compile time only)
; SGPRBlocks: 0
; VGPRBlocks: 0
; NumSGPRsForWavesPerEU: 1
; NumVGPRsForWavesPerEU: 1
; Occupancy: 16
; WaveLimiterHint : 0
; COMPUTE_PGM_RSRC2:SCRATCH_EN: 0
; COMPUTE_PGM_RSRC2:USER_SGPR: 6
; COMPUTE_PGM_RSRC2:TRAP_HANDLER: 0
; COMPUTE_PGM_RSRC2:TGID_X_EN: 1
; COMPUTE_PGM_RSRC2:TGID_Y_EN: 0
; COMPUTE_PGM_RSRC2:TGID_Z_EN: 0
; COMPUTE_PGM_RSRC2:TIDIG_COMP_CNT: 0
	.section	.text._ZN7rocprim17ROCPRIM_400000_NS6detail17trampoline_kernelINS0_14default_configENS1_27scan_by_key_config_selectorIiiEEZZNS1_16scan_by_key_implILNS1_25lookback_scan_determinismE0ELb1ES3_N6thrust23THRUST_200600_302600_NS6detail15normal_iteratorINS9_10device_ptrIiEEEESE_SE_iNS9_4plusIvEENS9_8equal_toIiEEiEE10hipError_tPvRmT2_T3_T4_T5_mT6_T7_P12ihipStream_tbENKUlT_T0_E_clISt17integral_constantIbLb0EESY_IbLb1EEEEDaSU_SV_EUlSU_E_NS1_11comp_targetILNS1_3genE8ELNS1_11target_archE1030ELNS1_3gpuE2ELNS1_3repE0EEENS1_30default_config_static_selectorELNS0_4arch9wavefront6targetE0EEEvT1_,"axG",@progbits,_ZN7rocprim17ROCPRIM_400000_NS6detail17trampoline_kernelINS0_14default_configENS1_27scan_by_key_config_selectorIiiEEZZNS1_16scan_by_key_implILNS1_25lookback_scan_determinismE0ELb1ES3_N6thrust23THRUST_200600_302600_NS6detail15normal_iteratorINS9_10device_ptrIiEEEESE_SE_iNS9_4plusIvEENS9_8equal_toIiEEiEE10hipError_tPvRmT2_T3_T4_T5_mT6_T7_P12ihipStream_tbENKUlT_T0_E_clISt17integral_constantIbLb0EESY_IbLb1EEEEDaSU_SV_EUlSU_E_NS1_11comp_targetILNS1_3genE8ELNS1_11target_archE1030ELNS1_3gpuE2ELNS1_3repE0EEENS1_30default_config_static_selectorELNS0_4arch9wavefront6targetE0EEEvT1_,comdat
	.protected	_ZN7rocprim17ROCPRIM_400000_NS6detail17trampoline_kernelINS0_14default_configENS1_27scan_by_key_config_selectorIiiEEZZNS1_16scan_by_key_implILNS1_25lookback_scan_determinismE0ELb1ES3_N6thrust23THRUST_200600_302600_NS6detail15normal_iteratorINS9_10device_ptrIiEEEESE_SE_iNS9_4plusIvEENS9_8equal_toIiEEiEE10hipError_tPvRmT2_T3_T4_T5_mT6_T7_P12ihipStream_tbENKUlT_T0_E_clISt17integral_constantIbLb0EESY_IbLb1EEEEDaSU_SV_EUlSU_E_NS1_11comp_targetILNS1_3genE8ELNS1_11target_archE1030ELNS1_3gpuE2ELNS1_3repE0EEENS1_30default_config_static_selectorELNS0_4arch9wavefront6targetE0EEEvT1_ ; -- Begin function _ZN7rocprim17ROCPRIM_400000_NS6detail17trampoline_kernelINS0_14default_configENS1_27scan_by_key_config_selectorIiiEEZZNS1_16scan_by_key_implILNS1_25lookback_scan_determinismE0ELb1ES3_N6thrust23THRUST_200600_302600_NS6detail15normal_iteratorINS9_10device_ptrIiEEEESE_SE_iNS9_4plusIvEENS9_8equal_toIiEEiEE10hipError_tPvRmT2_T3_T4_T5_mT6_T7_P12ihipStream_tbENKUlT_T0_E_clISt17integral_constantIbLb0EESY_IbLb1EEEEDaSU_SV_EUlSU_E_NS1_11comp_targetILNS1_3genE8ELNS1_11target_archE1030ELNS1_3gpuE2ELNS1_3repE0EEENS1_30default_config_static_selectorELNS0_4arch9wavefront6targetE0EEEvT1_
	.globl	_ZN7rocprim17ROCPRIM_400000_NS6detail17trampoline_kernelINS0_14default_configENS1_27scan_by_key_config_selectorIiiEEZZNS1_16scan_by_key_implILNS1_25lookback_scan_determinismE0ELb1ES3_N6thrust23THRUST_200600_302600_NS6detail15normal_iteratorINS9_10device_ptrIiEEEESE_SE_iNS9_4plusIvEENS9_8equal_toIiEEiEE10hipError_tPvRmT2_T3_T4_T5_mT6_T7_P12ihipStream_tbENKUlT_T0_E_clISt17integral_constantIbLb0EESY_IbLb1EEEEDaSU_SV_EUlSU_E_NS1_11comp_targetILNS1_3genE8ELNS1_11target_archE1030ELNS1_3gpuE2ELNS1_3repE0EEENS1_30default_config_static_selectorELNS0_4arch9wavefront6targetE0EEEvT1_
	.p2align	8
	.type	_ZN7rocprim17ROCPRIM_400000_NS6detail17trampoline_kernelINS0_14default_configENS1_27scan_by_key_config_selectorIiiEEZZNS1_16scan_by_key_implILNS1_25lookback_scan_determinismE0ELb1ES3_N6thrust23THRUST_200600_302600_NS6detail15normal_iteratorINS9_10device_ptrIiEEEESE_SE_iNS9_4plusIvEENS9_8equal_toIiEEiEE10hipError_tPvRmT2_T3_T4_T5_mT6_T7_P12ihipStream_tbENKUlT_T0_E_clISt17integral_constantIbLb0EESY_IbLb1EEEEDaSU_SV_EUlSU_E_NS1_11comp_targetILNS1_3genE8ELNS1_11target_archE1030ELNS1_3gpuE2ELNS1_3repE0EEENS1_30default_config_static_selectorELNS0_4arch9wavefront6targetE0EEEvT1_,@function
_ZN7rocprim17ROCPRIM_400000_NS6detail17trampoline_kernelINS0_14default_configENS1_27scan_by_key_config_selectorIiiEEZZNS1_16scan_by_key_implILNS1_25lookback_scan_determinismE0ELb1ES3_N6thrust23THRUST_200600_302600_NS6detail15normal_iteratorINS9_10device_ptrIiEEEESE_SE_iNS9_4plusIvEENS9_8equal_toIiEEiEE10hipError_tPvRmT2_T3_T4_T5_mT6_T7_P12ihipStream_tbENKUlT_T0_E_clISt17integral_constantIbLb0EESY_IbLb1EEEEDaSU_SV_EUlSU_E_NS1_11comp_targetILNS1_3genE8ELNS1_11target_archE1030ELNS1_3gpuE2ELNS1_3repE0EEENS1_30default_config_static_selectorELNS0_4arch9wavefront6targetE0EEEvT1_: ; @_ZN7rocprim17ROCPRIM_400000_NS6detail17trampoline_kernelINS0_14default_configENS1_27scan_by_key_config_selectorIiiEEZZNS1_16scan_by_key_implILNS1_25lookback_scan_determinismE0ELb1ES3_N6thrust23THRUST_200600_302600_NS6detail15normal_iteratorINS9_10device_ptrIiEEEESE_SE_iNS9_4plusIvEENS9_8equal_toIiEEiEE10hipError_tPvRmT2_T3_T4_T5_mT6_T7_P12ihipStream_tbENKUlT_T0_E_clISt17integral_constantIbLb0EESY_IbLb1EEEEDaSU_SV_EUlSU_E_NS1_11comp_targetILNS1_3genE8ELNS1_11target_archE1030ELNS1_3gpuE2ELNS1_3repE0EEENS1_30default_config_static_selectorELNS0_4arch9wavefront6targetE0EEEvT1_
; %bb.0:
	s_clause 0x2
	s_load_dword s22, s[4:5], 0x20
	s_load_dwordx4 s[16:19], s[4:5], 0x28
	s_load_dwordx2 s[20:21], s[4:5], 0x38
	v_cmp_eq_u32_e64 s0, 0, v0
	s_and_saveexec_b32 s1, s0
	s_cbranch_execz .LBB568_4
; %bb.1:
	s_mov_b32 s3, exec_lo
	s_mov_b32 s2, exec_lo
	v_mbcnt_lo_u32_b32 v1, s3, 0
                                        ; implicit-def: $vgpr2
	v_cmpx_eq_u32_e32 0, v1
	s_cbranch_execz .LBB568_3
; %bb.2:
	s_load_dwordx2 s[6:7], s[4:5], 0x68
	s_bcnt1_i32_b32 s3, s3
	v_mov_b32_e32 v2, 0
	v_mov_b32_e32 v3, s3
	s_waitcnt lgkmcnt(0)
	global_atomic_add v2, v2, v3, s[6:7] glc
.LBB568_3:
	s_or_b32 exec_lo, exec_lo, s2
	s_waitcnt vmcnt(0)
	v_readfirstlane_b32 s2, v2
	v_mov_b32_e32 v2, 0
	v_add_nc_u32_e32 v1, s2, v1
	ds_write_b32 v2, v1
.LBB568_4:
	s_or_b32 exec_lo, exec_lo, s1
	v_mov_b32_e32 v2, 0
	s_clause 0x2
	s_load_dwordx8 s[8:15], s[4:5], 0x0
	s_load_dword s1, s[4:5], 0x40
	s_load_dwordx4 s[4:7], s[4:5], 0x48
	s_waitcnt lgkmcnt(0)
	s_barrier
	buffer_gl0_inv
	ds_read_b32 v5, v2
	s_waitcnt lgkmcnt(0)
	s_barrier
	buffer_gl0_inv
	s_barrier
	buffer_gl0_inv
	s_lshl_b64 s[10:11], s[10:11], 2
	s_mul_i32 s2, s21, s1
	s_add_u32 s8, s8, s10
	s_mul_hi_u32 s3, s20, s1
	s_mul_i32 s1, s20, s1
	s_addc_u32 s9, s9, s11
	v_mul_lo_u32 v1, 0x300, v5
	s_add_u32 s12, s12, s10
	s_addc_u32 s19, s13, s11
	s_add_i32 s3, s3, s2
	v_add_co_u32 v3, s1, s1, v5
	v_add_co_ci_u32_e64 v4, null, s3, 0, s1
	v_lshlrev_b64 v[9:10], 2, v[1:2]
	s_add_u32 s2, s4, -1
	s_addc_u32 s3, s5, -1
	v_readfirstlane_b32 s13, v5
	v_cmp_le_u64_e64 s1, s[2:3], v[3:4]
	v_add_co_u32 v4, vcc_lo, s8, v9
	v_add_co_ci_u32_e64 v5, null, s9, v10, vcc_lo
	v_add_co_u32 v8, vcc_lo, s12, v9
	v_add_co_ci_u32_e64 v15, null, s19, v10, vcc_lo
	s_and_b32 vcc_lo, exec_lo, s1
	s_mul_i32 s12, s2, 0xfffffd00
	s_cbranch_vccz .LBB568_24
; %bb.5:
	flat_load_dword v1, v[4:5]
	s_add_i32 s5, s12, s18
	v_cmp_gt_u32_e32 vcc_lo, s5, v0
	s_waitcnt vmcnt(0) lgkmcnt(0)
	v_mov_b32_e32 v2, v1
	s_and_saveexec_b32 s3, vcc_lo
	s_cbranch_execz .LBB568_7
; %bb.6:
	v_lshlrev_b32_e32 v2, 2, v0
	v_add_co_u32 v2, s2, v4, v2
	v_add_co_ci_u32_e64 v3, null, 0, v5, s2
	flat_load_dword v2, v[2:3]
.LBB568_7:
	s_or_b32 exec_lo, exec_lo, s3
	v_or_b32_e32 v3, 0x100, v0
	v_cmp_gt_u32_e64 s2, s5, v3
	v_mov_b32_e32 v3, v1
	s_and_saveexec_b32 s4, s2
	s_cbranch_execz .LBB568_9
; %bb.8:
	v_lshlrev_b32_e32 v3, 2, v0
	v_add_co_u32 v6, s3, v4, v3
	v_add_co_ci_u32_e64 v7, null, 0, v5, s3
	flat_load_dword v3, v[6:7] offset:1024
.LBB568_9:
	s_or_b32 exec_lo, exec_lo, s4
	v_or_b32_e32 v6, 0x200, v0
	v_cmp_gt_u32_e64 s3, s5, v6
	v_lshlrev_b32_e32 v11, 2, v6
	s_and_saveexec_b32 s8, s3
	s_cbranch_execz .LBB568_11
; %bb.10:
	v_add_co_u32 v6, s4, v4, v11
	v_add_co_ci_u32_e64 v7, null, 0, v5, s4
	flat_load_dword v1, v[6:7]
.LBB568_11:
	s_or_b32 exec_lo, exec_lo, s8
	v_lshlrev_b32_e32 v12, 2, v0
	s_mov_b32 s8, exec_lo
	s_waitcnt vmcnt(0) lgkmcnt(0)
	ds_write2st64_b32 v12, v2, v3 offset1:4
	ds_write_b32 v12, v1 offset:2048
	s_waitcnt lgkmcnt(0)
	s_barrier
	buffer_gl0_inv
	flat_load_dword v16, v[4:5]
	v_lshlrev_b32_e32 v1, 3, v0
	v_add_nc_u32_e32 v17, v12, v1
	ds_read_b32 v18, v17
	ds_read2_b32 v[6:7], v17 offset0:1 offset1:2
	s_waitcnt lgkmcnt(1)
	ds_write_b32 v12, v18 offset:4096
	s_waitcnt vmcnt(0) lgkmcnt(0)
	s_barrier
	buffer_gl0_inv
	v_cmpx_ne_u32_e32 0xff, v0
; %bb.12:
	v_sub_nc_u32_e32 v1, 0, v1
	v_add_nc_u32_e32 v1, v17, v1
	ds_read_b32 v16, v1 offset:4100
; %bb.13:
	s_or_b32 exec_lo, exec_lo, s8
	v_mov_b32_e32 v1, 0
	s_waitcnt lgkmcnt(0)
	s_barrier
	buffer_gl0_inv
	v_mov_b32_e32 v2, v1
	v_mov_b32_e32 v3, v1
	s_and_saveexec_b32 s4, vcc_lo
	s_cbranch_execnz .LBB568_94
; %bb.14:
	s_or_b32 exec_lo, exec_lo, s4
	s_and_saveexec_b32 s4, s2
	s_cbranch_execnz .LBB568_95
.LBB568_15:
	s_or_b32 exec_lo, exec_lo, s4
	v_mul_u32_u24_e32 v19, 3, v0
	s_and_saveexec_b32 s2, s3
	s_cbranch_execz .LBB568_17
.LBB568_16:
	v_add_co_u32 v13, vcc_lo, v8, v11
	v_add_co_ci_u32_e64 v14, null, 0, v15, vcc_lo
	flat_load_dword v3, v[13:14]
.LBB568_17:
	s_or_b32 exec_lo, exec_lo, s2
	s_waitcnt vmcnt(0) lgkmcnt(0)
	ds_write2st64_b32 v12, v1, v2 offset1:4
	ds_write_b32 v12, v3 offset:2048
	v_mov_b32_e32 v11, 0
	v_mov_b32_e32 v1, 0
	;; [unrolled: 1-line block ×6, first 2 shown]
	s_mov_b32 s3, 0
	s_mov_b32 s8, 0
	s_mov_b32 s4, exec_lo
	s_waitcnt lgkmcnt(0)
	s_barrier
	buffer_gl0_inv
                                        ; implicit-def: $sgpr2
                                        ; implicit-def: $vgpr3
	v_cmpx_gt_u32_e64 s5, v19
	s_cbranch_execz .LBB568_23
; %bb.18:
	ds_read_b32 v3, v17
	v_cmp_ne_u32_e32 vcc_lo, v18, v6
	v_mov_b32_e32 v1, 0
	v_add_nc_u32_e32 v13, 1, v19
	v_mov_b32_e32 v2, 0
	s_mov_b32 s9, 0
	v_cndmask_b32_e64 v12, 0, 1, vcc_lo
	v_cmp_eq_u32_e32 vcc_lo, v18, v6
	s_mov_b32 s8, exec_lo
                                        ; implicit-def: $sgpr2
	s_waitcnt lgkmcnt(0)
	v_cndmask_b32_e32 v11, s22, v3, vcc_lo
                                        ; implicit-def: $vgpr3
	v_cmpx_gt_u32_e64 s5, v13
	s_cbranch_execz .LBB568_22
; %bb.19:
	ds_read2_b32 v[13:14], v17 offset0:1 offset1:2
	v_cmp_ne_u32_e32 vcc_lo, v6, v7
	v_add_nc_u32_e32 v3, 2, v19
                                        ; implicit-def: $sgpr2
	v_cndmask_b32_e64 v2, 0, 1, vcc_lo
	v_cmp_eq_u32_e32 vcc_lo, v6, v7
	s_waitcnt lgkmcnt(0)
	v_cndmask_b32_e32 v1, s22, v13, vcc_lo
	v_cmp_gt_u32_e32 vcc_lo, s5, v3
	s_mov_b32 s5, 0
                                        ; implicit-def: $vgpr3
	s_and_saveexec_b32 s9, vcc_lo
	s_xor_b32 s9, exec_lo, s9
; %bb.20:
	v_cmp_ne_u32_e64 s2, v7, v16
	s_mov_b32 s5, exec_lo
	v_cndmask_b32_e64 v3, v14, s22, s2
; %bb.21:
	s_or_b32 exec_lo, exec_lo, s9
	s_and_b32 s9, s5, exec_lo
.LBB568_22:
	s_or_b32 exec_lo, exec_lo, s8
	v_mov_b32_e32 v14, v2
	v_mov_b32_e32 v13, v1
	s_and_b32 s8, s9, exec_lo
.LBB568_23:
	s_or_b32 exec_lo, exec_lo, s4
	v_lshlrev_b32_e32 v20, 2, v0
	v_lshlrev_b32_e32 v21, 3, v0
	s_and_b32 vcc_lo, exec_lo, s3
	s_cbranch_vccnz .LBB568_25
	s_branch .LBB568_28
.LBB568_24:
	s_mov_b32 s8, 0
                                        ; implicit-def: $sgpr2
                                        ; implicit-def: $vgpr3
                                        ; implicit-def: $vgpr11_vgpr12
                                        ; implicit-def: $vgpr1_vgpr2
                                        ; implicit-def: $vgpr13_vgpr14
	v_lshlrev_b32_e32 v20, 2, v0
	v_lshlrev_b32_e32 v21, 3, v0
	s_cbranch_execz .LBB568_28
.LBB568_25:
	v_add_co_u32 v1, vcc_lo, v4, v20
	v_add_co_ci_u32_e64 v2, null, 0, v5, vcc_lo
	s_mov_b32 s2, exec_lo
	v_add_co_u32 v6, vcc_lo, 0x800, v1
	v_add_co_ci_u32_e64 v7, null, 0, v2, vcc_lo
	s_clause 0x2
	flat_load_dword v3, v[1:2]
	flat_load_dword v11, v[1:2] offset:1024
	flat_load_dword v6, v[6:7]
	v_add_co_u32 v1, vcc_lo, 0x800, v4
	v_add_co_ci_u32_e64 v2, null, 0, v5, vcc_lo
	s_waitcnt vmcnt(1) lgkmcnt(1)
	ds_write2st64_b32 v20, v3, v11 offset1:4
	s_waitcnt vmcnt(0) lgkmcnt(1)
	ds_write_b32 v20, v6 offset:2048
	s_waitcnt lgkmcnt(0)
	s_barrier
	buffer_gl0_inv
	flat_load_dword v5, v[1:2] offset:1024
	v_add_nc_u32_e32 v1, v20, v21
	ds_read_b32 v6, v1
	ds_read2_b32 v[3:4], v1 offset0:1 offset1:2
	s_waitcnt lgkmcnt(1)
	ds_write_b32 v20, v6 offset:4096
	s_waitcnt vmcnt(0) lgkmcnt(0)
	s_barrier
	buffer_gl0_inv
	v_cmpx_ne_u32_e32 0xff, v0
; %bb.26:
	v_sub_nc_u32_e32 v2, 0, v21
	v_add_nc_u32_e32 v2, v1, v2
	ds_read_b32 v5, v2 offset:4100
; %bb.27:
	s_or_b32 exec_lo, exec_lo, s2
	v_add_co_u32 v7, vcc_lo, v8, v20
	v_add_co_ci_u32_e64 v8, null, 0, v15, vcc_lo
	s_waitcnt lgkmcnt(0)
	v_add_co_u32 v11, vcc_lo, 0x800, v7
	v_add_co_ci_u32_e64 v12, null, 0, v8, vcc_lo
	s_barrier
	buffer_gl0_inv
	s_clause 0x2
	flat_load_dword v2, v[7:8]
	flat_load_dword v7, v[7:8] offset:1024
	flat_load_dword v8, v[11:12]
	v_cmp_eq_u32_e32 vcc_lo, v6, v3
	v_cmp_ne_u32_e64 s2, v4, v5
	s_mov_b32 s8, -1
	s_waitcnt vmcnt(1) lgkmcnt(1)
	ds_write2st64_b32 v20, v2, v7 offset1:4
	s_waitcnt vmcnt(0) lgkmcnt(1)
	ds_write_b32 v20, v8 offset:2048
	s_waitcnt lgkmcnt(0)
	s_barrier
	buffer_gl0_inv
	ds_read2_b32 v[7:8], v1 offset1:1
	ds_read_b32 v13, v1 offset:8
	s_waitcnt lgkmcnt(1)
	v_cndmask_b32_e32 v11, s22, v7, vcc_lo
	v_cmp_eq_u32_e32 vcc_lo, v3, v4
	v_cndmask_b32_e32 v1, s22, v8, vcc_lo
	v_cmp_ne_u32_e32 vcc_lo, v3, v4
	v_cndmask_b32_e64 v2, 0, 1, vcc_lo
	v_cmp_ne_u32_e32 vcc_lo, v6, v3
	s_waitcnt lgkmcnt(0)
	v_cndmask_b32_e64 v3, v13, s22, s2
	v_mov_b32_e32 v14, v2
	v_cndmask_b32_e64 v12, 0, 1, vcc_lo
	v_mov_b32_e32 v13, v1
.LBB568_28:
	v_mov_b32_e32 v15, 0
	v_mov_b32_e32 v16, 0
	s_and_saveexec_b32 s3, s8
; %bb.29:
	v_cndmask_b32_e64 v4, 0, 1, s2
	v_mov_b32_e32 v14, v2
	v_mov_b32_e32 v13, v1
	;; [unrolled: 1-line block ×4, first 2 shown]
; %bb.30:
	s_or_b32 exec_lo, exec_lo, s3
	v_or_b32_e32 v25, v14, v16
	v_mbcnt_lo_u32_b32 v22, -1, 0
	v_lshrrev_b32_e32 v23, 5, v0
	v_or_b32_e32 v24, 31, v0
	s_cmp_lg_u32 s13, 0
	s_mov_b32 s4, 0
	s_barrier
	buffer_gl0_inv
	s_cbranch_scc0 .LBB568_56
; %bb.31:
	v_and_b32_e32 v2, 0xff, v25
	v_mov_b32_e32 v1, 0
	s_mov_b32 s5, 1
	v_cmp_gt_u64_e64 s2, s[4:5], v[13:14]
	v_cmp_eq_u64_e32 vcc_lo, 0, v[1:2]
	v_cndmask_b32_e64 v3, 0, v11, s2
	v_cndmask_b32_e32 v2, 1, v12, vcc_lo
	v_cmp_gt_u64_e32 vcc_lo, s[4:5], v[15:16]
	v_add_nc_u32_e32 v3, v3, v13
	v_and_b32_e32 v4, 0xff, v2
	v_and_b32_e32 v6, 1, v2
	v_cndmask_b32_e32 v3, 0, v3, vcc_lo
	v_mov_b32_dpp v5, v4 row_shr:1 row_mask:0xf bank_mask:0xf
	v_cmp_eq_u32_e32 vcc_lo, 1, v6
	v_and_b32_e32 v6, 15, v22
	v_add_nc_u32_e32 v3, v3, v15
	v_and_b32_e32 v5, 1, v5
	v_mov_b32_dpp v7, v3 row_shr:1 row_mask:0xf bank_mask:0xf
	v_cndmask_b32_e64 v5, v5, 1, vcc_lo
	v_cmp_eq_u16_e32 vcc_lo, 0, v4
	v_and_b32_e32 v8, 0xffff, v5
	v_cndmask_b32_e32 v7, 0, v7, vcc_lo
	v_cmp_eq_u32_e32 vcc_lo, 0, v6
	v_cndmask_b32_e32 v4, v8, v4, vcc_lo
	v_cndmask_b32_e32 v2, v5, v2, vcc_lo
	v_cndmask_b32_e64 v7, v7, 0, vcc_lo
	v_mov_b32_dpp v5, v4 row_shr:2 row_mask:0xf bank_mask:0xf
	v_and_b32_e32 v8, 1, v2
	v_add_nc_u32_e32 v3, v7, v3
	v_cmp_eq_u16_sdwa s4, v2, v1 src0_sel:BYTE_0 src1_sel:DWORD
	v_and_b32_e32 v5, 1, v5
	v_cmp_eq_u32_e32 vcc_lo, 1, v8
	v_cndmask_b32_e64 v5, v5, 1, vcc_lo
	v_cmp_lt_u32_e32 vcc_lo, 1, v6
	v_and_b32_e32 v8, 0xffff, v5
	v_cndmask_b32_e32 v5, v2, v5, vcc_lo
	v_mov_b32_dpp v2, v3 row_shr:2 row_mask:0xf bank_mask:0xf
	v_cndmask_b32_e32 v4, v4, v8, vcc_lo
	v_and_b32_e32 v7, 1, v5
	s_and_b32 vcc_lo, vcc_lo, s4
	v_cndmask_b32_e32 v2, 0, v2, vcc_lo
	v_mov_b32_dpp v8, v4 row_shr:4 row_mask:0xf bank_mask:0xf
	v_cmp_eq_u32_e64 s3, 1, v7
	v_cmp_lt_u32_e32 vcc_lo, 3, v6
	v_add_nc_u32_e32 v2, v2, v3
	v_and_b32_e32 v8, 1, v8
	v_cndmask_b32_e64 v7, v8, 1, s3
	v_cmp_eq_u16_sdwa s3, v5, v1 src0_sel:BYTE_0 src1_sel:DWORD
	v_and_b32_e32 v8, 0xffff, v7
	v_cndmask_b32_e32 v3, v5, v7, vcc_lo
	v_mov_b32_dpp v5, v2 row_shr:4 row_mask:0xf bank_mask:0xf
	v_cndmask_b32_e32 v4, v4, v8, vcc_lo
	s_and_b32 vcc_lo, vcc_lo, s3
	v_and_b32_e32 v8, 1, v3
	v_cndmask_b32_e32 v5, 0, v5, vcc_lo
	v_cmp_eq_u16_sdwa s3, v3, v1 src0_sel:BYTE_0 src1_sel:DWORD
	v_mov_b32_dpp v7, v4 row_shr:8 row_mask:0xf bank_mask:0xf
	v_cmp_eq_u32_e32 vcc_lo, 1, v8
	v_add_nc_u32_e32 v2, v5, v2
	v_and_b32_e32 v7, 1, v7
	v_cndmask_b32_e64 v5, v7, 1, vcc_lo
	v_cmp_lt_u32_e32 vcc_lo, 7, v6
	v_mov_b32_dpp v6, v2 row_shr:8 row_mask:0xf bank_mask:0xf
	s_and_b32 s3, vcc_lo, s3
	v_cndmask_b32_e32 v7, v3, v5, vcc_lo
	v_cndmask_b32_e64 v3, 0, v6, s3
	v_and_b32_e32 v5, 0xffff, v5
	v_and_b32_e32 v6, 16, v22
	v_add_nc_u32_e32 v2, v3, v2
	v_cndmask_b32_e32 v3, v4, v5, vcc_lo
	v_cmp_eq_u16_sdwa vcc_lo, v7, v1 src0_sel:BYTE_0 src1_sel:DWORD
	v_bfe_i32 v5, v22, 4, 1
	v_cmp_eq_u32_e64 s3, 0, v6
	ds_swizzle_b32 v4, v2 offset:swizzle(BROADCAST,32,15)
	ds_swizzle_b32 v3, v3 offset:swizzle(BROADCAST,32,15)
	s_waitcnt lgkmcnt(1)
	v_cndmask_b32_e32 v1, 0, v4, vcc_lo
	v_and_b32_e32 v4, 1, v7
	s_waitcnt lgkmcnt(0)
	v_and_b32_e32 v3, 1, v3
	v_and_b32_e32 v1, v5, v1
	v_cmp_eq_u32_e32 vcc_lo, 1, v4
	v_lshlrev_b32_e32 v5, 3, v23
	v_cndmask_b32_e64 v4, v3, 1, vcc_lo
	v_add_nc_u32_e32 v3, v1, v2
	v_cndmask_b32_e64 v4, v4, v7, s3
	s_mov_b32 s3, exec_lo
	v_cmpx_eq_u32_e64 v0, v24
	s_cbranch_execz .LBB568_33
; %bb.32:
	ds_write_b32 v5, v3
	ds_write_b8 v5, v4 offset:4
.LBB568_33:
	s_or_b32 exec_lo, exec_lo, s3
	s_mov_b32 s3, exec_lo
	s_waitcnt lgkmcnt(0)
	s_barrier
	buffer_gl0_inv
	v_cmpx_gt_u32_e32 8, v0
	s_cbranch_execz .LBB568_39
; %bb.34:
	ds_read_b64 v[1:2], v21
	v_and_b32_e32 v6, 7, v22
	s_mov_b32 s4, exec_lo
	s_waitcnt lgkmcnt(0)
	v_and_b32_e32 v7, 0xffffff00, v2
	v_mov_b32_dpp v17, v1 row_shr:1 row_mask:0xf bank_mask:0xf
	v_mov_b32_dpp v18, v2 row_shr:1 row_mask:0xf bank_mask:0xf
	v_mov_b32_e32 v8, v2
	v_cmpx_ne_u32_e32 0, v6
	s_cbranch_execz .LBB568_36
; %bb.35:
	v_mov_b32_e32 v8, 0
	v_and_b32_e32 v19, 1, v2
	v_and_b32_e32 v18, 1, v18
	v_cmp_eq_u16_sdwa vcc_lo, v2, v8 src0_sel:BYTE_0 src1_sel:DWORD
	v_cndmask_b32_e32 v2, 0, v17, vcc_lo
	v_cmp_eq_u32_e32 vcc_lo, 1, v19
	v_add_nc_u32_e32 v1, v2, v1
	v_cndmask_b32_e64 v17, v18, 1, vcc_lo
	v_or_b32_sdwa v8, v7, v17 dst_sel:DWORD dst_unused:UNUSED_PAD src0_sel:DWORD src1_sel:WORD_0
	v_mov_b32_e32 v2, v17
.LBB568_36:
	s_or_b32 exec_lo, exec_lo, s4
	v_mov_b32_dpp v17, v1 row_shr:2 row_mask:0xf bank_mask:0xf
	v_mov_b32_dpp v18, v8 row_shr:2 row_mask:0xf bank_mask:0xf
	s_mov_b32 s4, exec_lo
	v_cmpx_lt_u32_e32 1, v6
	s_cbranch_execz .LBB568_38
; %bb.37:
	v_mov_b32_e32 v8, 0
	v_and_b32_e32 v19, 1, v2
	v_and_b32_e32 v18, 1, v18
	v_cmp_eq_u16_sdwa vcc_lo, v2, v8 src0_sel:BYTE_0 src1_sel:DWORD
	v_cndmask_b32_e32 v2, 0, v17, vcc_lo
	v_cmp_eq_u32_e32 vcc_lo, 1, v19
	v_add_nc_u32_e32 v1, v2, v1
	v_cndmask_b32_e64 v17, v18, 1, vcc_lo
	v_or_b32_sdwa v8, v7, v17 dst_sel:DWORD dst_unused:UNUSED_PAD src0_sel:DWORD src1_sel:WORD_0
	v_mov_b32_e32 v2, v17
.LBB568_38:
	s_or_b32 exec_lo, exec_lo, s4
	v_mov_b32_dpp v7, v8 row_shr:4 row_mask:0xf bank_mask:0xf
	v_and_b32_e32 v17, 1, v2
	v_mov_b32_e32 v8, 0
	v_and_b32_e32 v7, 1, v7
	v_cmp_eq_u32_e32 vcc_lo, 1, v17
	v_cmp_eq_u16_sdwa s4, v2, v8 src0_sel:BYTE_0 src1_sel:DWORD
	v_cndmask_b32_e64 v7, v7, 1, vcc_lo
	v_cmp_lt_u32_e32 vcc_lo, 3, v6
	v_mov_b32_dpp v6, v1 row_shr:4 row_mask:0xf bank_mask:0xf
	v_cndmask_b32_e32 v2, v2, v7, vcc_lo
	s_and_b32 vcc_lo, vcc_lo, s4
	v_cndmask_b32_e32 v6, 0, v6, vcc_lo
	v_add_nc_u32_e32 v1, v6, v1
	ds_write_b32 v21, v1
	ds_write_b8 v21, v2 offset:4
.LBB568_39:
	s_or_b32 exec_lo, exec_lo, s3
	v_mov_b32_e32 v27, 0
	v_mov_b32_e32 v26, 0
	s_mov_b32 s4, exec_lo
	v_cmp_gt_u32_e32 vcc_lo, 32, v0
	s_waitcnt lgkmcnt(0)
	s_barrier
	buffer_gl0_inv
	v_cmpx_lt_u32_e32 31, v0
	s_cbranch_execz .LBB568_41
; %bb.40:
	v_add_nc_u32_e32 v1, -8, v5
	v_and_b32_e32 v2, 1, v4
	ds_read_b32 v26, v1
	v_add_nc_u32_e32 v1, -4, v5
	ds_read_u8 v27, v1
	v_mov_b32_e32 v1, 0
	v_cmp_eq_u16_sdwa s3, v4, v1 src0_sel:BYTE_0 src1_sel:DWORD
	s_waitcnt lgkmcnt(1)
	v_cndmask_b32_e64 v1, 0, v26, s3
	v_cmp_eq_u32_e64 s3, 1, v2
	v_add_nc_u32_e32 v3, v1, v3
	s_waitcnt lgkmcnt(0)
	v_cndmask_b32_e64 v4, v27, 1, s3
.LBB568_41:
	s_or_b32 exec_lo, exec_lo, s4
	v_sub_co_u32 v1, s3, v22, 1
	v_and_b32_e32 v2, 0xff, v4
	v_cmp_gt_i32_e64 s4, 0, v1
	v_cndmask_b32_e64 v1, v1, v22, s4
	v_lshlrev_b32_e32 v1, 2, v1
	ds_bpermute_b32 v28, v1, v3
	ds_bpermute_b32 v29, v1, v2
	s_and_saveexec_b32 s5, vcc_lo
	s_cbranch_execz .LBB568_61
; %bb.42:
	v_mov_b32_e32 v4, 0
	ds_read_b64 v[1:2], v4 offset:56
	s_and_saveexec_b32 s4, s3
	s_cbranch_execz .LBB568_44
; %bb.43:
	s_add_i32 s8, s13, 32
	s_mov_b32 s9, 0
	v_mov_b32_e32 v3, 1
	s_lshl_b64 s[8:9], s[8:9], 4
	s_add_u32 s8, s16, s8
	s_addc_u32 s9, s17, s9
	v_mov_b32_e32 v5, s8
	v_mov_b32_e32 v6, s9
	s_waitcnt lgkmcnt(0)
	;;#ASMSTART
	global_store_dwordx4 v[5:6], v[1:4] off	
s_waitcnt vmcnt(0)
	;;#ASMEND
.LBB568_44:
	s_or_b32 exec_lo, exec_lo, s4
	v_xad_u32 v17, v22, -1, s13
	s_mov_b32 s8, 0
	v_add_nc_u32_e32 v3, 32, v17
	v_lshlrev_b64 v[5:6], 4, v[3:4]
	v_add_co_u32 v18, vcc_lo, s16, v5
	v_add_co_ci_u32_e64 v19, null, s17, v6, vcc_lo
	;;#ASMSTART
	global_load_dwordx4 v[5:8], v[18:19] off glc dlc	
s_waitcnt vmcnt(0)
	;;#ASMEND
	v_and_b32_e32 v6, 0xff, v6
	v_cmp_eq_u16_sdwa s9, v7, v4 src0_sel:BYTE_0 src1_sel:DWORD
	s_and_saveexec_b32 s4, s9
	s_cbranch_execz .LBB568_48
; %bb.45:
	v_mov_b32_e32 v3, 0
.LBB568_46:                             ; =>This Inner Loop Header: Depth=1
	;;#ASMSTART
	global_load_dwordx4 v[5:8], v[18:19] off glc dlc	
s_waitcnt vmcnt(0)
	;;#ASMEND
	v_cmp_ne_u16_sdwa s9, v7, v3 src0_sel:BYTE_0 src1_sel:DWORD
	s_or_b32 s8, s9, s8
	s_andn2_b32 exec_lo, exec_lo, s8
	s_cbranch_execnz .LBB568_46
; %bb.47:
	s_or_b32 exec_lo, exec_lo, s8
	v_and_b32_e32 v6, 0xff, v6
.LBB568_48:
	s_or_b32 exec_lo, exec_lo, s4
	v_cmp_ne_u32_e32 vcc_lo, 31, v22
	v_mov_b32_e32 v30, 2
	v_lshlrev_b32_e64 v31, v22, -1
	v_and_b32_e32 v8, 1, v6
	s_mov_b32 s8, 0
	v_add_co_ci_u32_e64 v3, null, 0, v22, vcc_lo
	v_cmp_eq_u16_sdwa s4, v7, v30 src0_sel:BYTE_0 src1_sel:DWORD
	v_cmp_eq_u32_e32 vcc_lo, 1, v8
	s_mov_b32 s9, 1
	v_lshlrev_b32_e32 v19, 2, v3
	v_add_nc_u32_e32 v39, 8, v22
	v_and_or_b32 v4, s4, v31, 0x80000000
	v_cmp_gt_u64_e64 s4, s[8:9], v[5:6]
	v_lshl_or_b32 v40, v22, 2, 64
	ds_bpermute_b32 v3, v19, v6
	ds_bpermute_b32 v18, v19, v5
	v_ffbl_b32_e32 v4, v4
	v_add_nc_u32_e32 v41, 16, v22
	s_waitcnt lgkmcnt(1)
	v_and_b32_e32 v3, 1, v3
	v_cndmask_b32_e64 v3, v3, 1, vcc_lo
	v_cmp_gt_u32_e32 vcc_lo, 30, v22
	v_and_b32_e32 v33, 0xffff, v3
	v_cndmask_b32_e64 v8, 0, 2, vcc_lo
	v_cmp_lt_u32_e32 vcc_lo, v22, v4
	v_add_lshl_u32 v32, v8, v22, 2
	v_cndmask_b32_e32 v8, v6, v33, vcc_lo
	v_cndmask_b32_e32 v3, v6, v3, vcc_lo
	s_and_b32 vcc_lo, vcc_lo, s4
	s_waitcnt lgkmcnt(0)
	v_cndmask_b32_e32 v6, 0, v18, vcc_lo
	ds_bpermute_b32 v33, v32, v8
	v_and_b32_e32 v18, 1, v3
	v_add_nc_u32_e32 v5, v6, v5
	v_cmp_eq_u32_e32 vcc_lo, 1, v18
	v_mov_b32_e32 v18, 0
	ds_bpermute_b32 v6, v32, v5
	v_cmp_eq_u16_sdwa s4, v3, v18 src0_sel:BYTE_0 src1_sel:DWORD
	s_waitcnt lgkmcnt(1)
	v_and_b32_e32 v34, 1, v33
	v_add_nc_u32_e32 v33, 2, v22
	v_cndmask_b32_e64 v35, v34, 1, vcc_lo
	v_cmp_gt_u32_e32 vcc_lo, 28, v22
	v_and_b32_e32 v36, 0xffff, v35
	v_cndmask_b32_e64 v34, 0, 4, vcc_lo
	v_cmp_gt_u32_e32 vcc_lo, v33, v4
	v_add_lshl_u32 v34, v34, v22, 2
	v_cndmask_b32_e32 v8, v36, v8, vcc_lo
	v_cndmask_b32_e32 v37, v35, v3, vcc_lo
	s_waitcnt lgkmcnt(0)
	v_cndmask_b32_e64 v3, 0, v6, s4
	v_add_nc_u32_e32 v35, 4, v22
	ds_bpermute_b32 v6, v34, v8
	v_and_b32_e32 v36, 1, v37
	v_cndmask_b32_e64 v3, v3, 0, vcc_lo
	v_cmp_eq_u16_sdwa s4, v37, v18 src0_sel:BYTE_0 src1_sel:DWORD
	v_cmp_eq_u32_e32 vcc_lo, 1, v36
	v_add_nc_u32_e32 v3, v3, v5
	ds_bpermute_b32 v5, v34, v3
	s_waitcnt lgkmcnt(1)
	v_and_b32_e32 v6, 1, v6
	v_cndmask_b32_e64 v6, v6, 1, vcc_lo
	v_cmp_gt_u32_e32 vcc_lo, 24, v22
	v_and_b32_e32 v38, 0xffff, v6
	v_cndmask_b32_e64 v36, 0, 8, vcc_lo
	v_cmp_gt_u32_e32 vcc_lo, v35, v4
	s_waitcnt lgkmcnt(0)
	v_cndmask_b32_e64 v5, 0, v5, s4
	v_add_lshl_u32 v36, v36, v22, 2
	v_cndmask_b32_e32 v8, v38, v8, vcc_lo
	v_cndmask_b32_e32 v6, v6, v37, vcc_lo
	v_cndmask_b32_e64 v5, v5, 0, vcc_lo
	ds_bpermute_b32 v37, v36, v8
	v_and_b32_e32 v38, 1, v6
	v_add_nc_u32_e32 v3, v5, v3
	v_cmp_eq_u32_e32 vcc_lo, 1, v38
	ds_bpermute_b32 v5, v36, v3
	s_waitcnt lgkmcnt(1)
	v_and_b32_e32 v37, 1, v37
	v_cndmask_b32_e64 v37, v37, 1, vcc_lo
	v_cmp_eq_u16_sdwa vcc_lo, v6, v18 src0_sel:BYTE_0 src1_sel:DWORD
	v_and_b32_e32 v38, 0xffff, v37
	s_waitcnt lgkmcnt(0)
	v_cndmask_b32_e32 v5, 0, v5, vcc_lo
	v_cmp_gt_u32_e32 vcc_lo, v39, v4
	v_cndmask_b32_e64 v5, v5, 0, vcc_lo
	v_cndmask_b32_e32 v8, v38, v8, vcc_lo
	v_cndmask_b32_e32 v6, v37, v6, vcc_lo
	v_add_nc_u32_e32 v3, v5, v3
	ds_bpermute_b32 v5, v40, v8
	v_and_b32_e32 v37, 1, v6
	v_cmp_eq_u16_sdwa vcc_lo, v6, v18 src0_sel:BYTE_0 src1_sel:DWORD
	ds_bpermute_b32 v8, v40, v3
	s_waitcnt lgkmcnt(1)
	v_and_b32_e32 v5, 1, v5
	s_waitcnt lgkmcnt(0)
	v_cndmask_b32_e32 v8, 0, v8, vcc_lo
	v_cmp_eq_u32_e32 vcc_lo, 1, v37
	v_cndmask_b32_e64 v5, v5, 1, vcc_lo
	v_cmp_gt_u32_e32 vcc_lo, v41, v4
	v_cndmask_b32_e32 v4, v5, v6, vcc_lo
	v_cndmask_b32_e64 v5, v8, 0, vcc_lo
	v_add_nc_u32_e32 v3, v5, v3
	s_branch .LBB568_52
.LBB568_49:                             ;   in Loop: Header=BB568_52 Depth=1
	s_or_b32 exec_lo, exec_lo, s19
	v_and_b32_e32 v6, 0xff, v6
.LBB568_50:                             ;   in Loop: Header=BB568_52 Depth=1
	s_or_b32 exec_lo, exec_lo, s4
	ds_bpermute_b32 v3, v19, v6
	v_cmp_eq_u16_sdwa s4, v7, v30 src0_sel:BYTE_0 src1_sel:DWORD
	v_and_b32_e32 v4, 1, v6
	v_subrev_nc_u32_e32 v17, 32, v17
	v_and_or_b32 v8, s4, v31, 0x80000000
	v_cmp_eq_u32_e32 vcc_lo, 1, v4
	v_cmp_gt_u64_e64 s4, s[8:9], v[5:6]
	v_ffbl_b32_e32 v4, v8
	ds_bpermute_b32 v8, v19, v5
	s_waitcnt lgkmcnt(1)
	v_and_b32_e32 v3, 1, v3
	v_cndmask_b32_e64 v3, v3, 1, vcc_lo
	v_cmp_lt_u32_e32 vcc_lo, v22, v4
	v_and_b32_e32 v42, 0xffff, v3
	v_cndmask_b32_e32 v3, v6, v3, vcc_lo
	v_cndmask_b32_e32 v42, v6, v42, vcc_lo
	s_and_b32 vcc_lo, vcc_lo, s4
	v_cmp_eq_u16_sdwa s4, v3, v18 src0_sel:BYTE_0 src1_sel:DWORD
	s_waitcnt lgkmcnt(0)
	v_cndmask_b32_e32 v6, 0, v8, vcc_lo
	v_and_b32_e32 v8, 1, v3
	ds_bpermute_b32 v43, v32, v42
	v_add_nc_u32_e32 v5, v6, v5
	v_cmp_eq_u32_e32 vcc_lo, 1, v8
	ds_bpermute_b32 v6, v32, v5
	s_waitcnt lgkmcnt(1)
	v_and_b32_e32 v43, 1, v43
	v_cndmask_b32_e64 v8, v43, 1, vcc_lo
	v_cmp_gt_u32_e32 vcc_lo, v33, v4
	v_and_b32_e32 v43, 0xffff, v8
	v_cndmask_b32_e32 v8, v8, v3, vcc_lo
	s_waitcnt lgkmcnt(0)
	v_cndmask_b32_e64 v3, 0, v6, s4
	v_cndmask_b32_e32 v42, v43, v42, vcc_lo
	v_and_b32_e32 v43, 1, v8
	v_cndmask_b32_e64 v3, v3, 0, vcc_lo
	v_cmp_eq_u16_sdwa s4, v8, v18 src0_sel:BYTE_0 src1_sel:DWORD
	ds_bpermute_b32 v6, v34, v42
	v_cmp_eq_u32_e32 vcc_lo, 1, v43
	v_add_nc_u32_e32 v3, v3, v5
	ds_bpermute_b32 v5, v34, v3
	s_waitcnt lgkmcnt(1)
	v_and_b32_e32 v6, 1, v6
	v_cndmask_b32_e64 v6, v6, 1, vcc_lo
	v_cmp_gt_u32_e32 vcc_lo, v35, v4
	s_waitcnt lgkmcnt(0)
	v_cndmask_b32_e64 v5, 0, v5, s4
	s_mov_b32 s4, 0
	v_and_b32_e32 v43, 0xffff, v6
	v_cndmask_b32_e32 v6, v6, v8, vcc_lo
	v_cndmask_b32_e64 v5, v5, 0, vcc_lo
	v_cndmask_b32_e32 v8, v43, v42, vcc_lo
	v_and_b32_e32 v43, 1, v6
	v_add_nc_u32_e32 v3, v5, v3
	ds_bpermute_b32 v42, v36, v8
	v_cmp_eq_u32_e32 vcc_lo, 1, v43
	ds_bpermute_b32 v5, v36, v3
	s_waitcnt lgkmcnt(1)
	v_and_b32_e32 v42, 1, v42
	v_cndmask_b32_e64 v42, v42, 1, vcc_lo
	v_cmp_eq_u16_sdwa vcc_lo, v6, v18 src0_sel:BYTE_0 src1_sel:DWORD
	v_and_b32_e32 v43, 0xffff, v42
	s_waitcnt lgkmcnt(0)
	v_cndmask_b32_e32 v5, 0, v5, vcc_lo
	v_cmp_gt_u32_e32 vcc_lo, v39, v4
	v_cndmask_b32_e64 v5, v5, 0, vcc_lo
	v_cndmask_b32_e32 v8, v43, v8, vcc_lo
	v_cndmask_b32_e32 v6, v42, v6, vcc_lo
	v_add_nc_u32_e32 v3, v5, v3
	ds_bpermute_b32 v5, v40, v8
	v_and_b32_e32 v42, 1, v6
	ds_bpermute_b32 v8, v40, v3
	v_cmp_eq_u32_e32 vcc_lo, 1, v42
	s_waitcnt lgkmcnt(1)
	v_cndmask_b32_e64 v5, v5, 1, vcc_lo
	v_cmp_eq_u16_sdwa vcc_lo, v6, v18 src0_sel:BYTE_0 src1_sel:DWORD
	s_waitcnt lgkmcnt(0)
	v_cndmask_b32_e32 v8, 0, v8, vcc_lo
	v_cmp_gt_u32_e32 vcc_lo, v41, v4
	v_cndmask_b32_e32 v4, v5, v6, vcc_lo
	v_cndmask_b32_e64 v5, v8, 0, vcc_lo
	v_cmp_eq_u16_sdwa vcc_lo, v37, v18 src0_sel:BYTE_0 src1_sel:DWORD
	v_and_b32_e32 v4, 1, v4
	v_add_nc_u32_e32 v3, v5, v3
	v_and_b32_e32 v5, 1, v37
	v_cndmask_b32_e32 v3, 0, v3, vcc_lo
	v_cmp_eq_u32_e32 vcc_lo, 1, v5
	v_add_nc_u32_e32 v3, v3, v38
	v_cndmask_b32_e64 v4, v4, 1, vcc_lo
.LBB568_51:                             ;   in Loop: Header=BB568_52 Depth=1
	s_and_b32 vcc_lo, exec_lo, s4
	s_cbranch_vccnz .LBB568_57
.LBB568_52:                             ; =>This Loop Header: Depth=1
                                        ;     Child Loop BB568_55 Depth 2
	v_cmp_ne_u16_sdwa s4, v7, v30 src0_sel:BYTE_0 src1_sel:DWORD
	v_mov_b32_e32 v37, v4
	v_mov_b32_e32 v38, v3
                                        ; implicit-def: $vgpr4
                                        ; implicit-def: $vgpr3
                                        ; implicit-def: $vgpr7
	s_cmp_lg_u32 s4, exec_lo
	s_mov_b32 s4, -1
	s_cbranch_scc1 .LBB568_51
; %bb.53:                               ;   in Loop: Header=BB568_52 Depth=1
	v_lshlrev_b64 v[3:4], 4, v[17:18]
	v_add_co_u32 v3, vcc_lo, s16, v3
	v_add_co_ci_u32_e64 v4, null, s17, v4, vcc_lo
	;;#ASMSTART
	global_load_dwordx4 v[5:8], v[3:4] off glc dlc	
s_waitcnt vmcnt(0)
	;;#ASMEND
	v_and_b32_e32 v6, 0xff, v6
	v_cmp_eq_u16_sdwa s19, v7, v18 src0_sel:BYTE_0 src1_sel:DWORD
	s_and_saveexec_b32 s4, s19
	s_cbranch_execz .LBB568_50
; %bb.54:                               ;   in Loop: Header=BB568_52 Depth=1
	s_mov_b32 s19, 0
.LBB568_55:                             ;   Parent Loop BB568_52 Depth=1
                                        ; =>  This Inner Loop Header: Depth=2
	;;#ASMSTART
	global_load_dwordx4 v[5:8], v[3:4] off glc dlc	
s_waitcnt vmcnt(0)
	;;#ASMEND
	v_cmp_ne_u16_sdwa s23, v7, v18 src0_sel:BYTE_0 src1_sel:DWORD
	s_or_b32 s19, s23, s19
	s_andn2_b32 exec_lo, exec_lo, s19
	s_cbranch_execnz .LBB568_55
	s_branch .LBB568_49
.LBB568_56:
                                        ; implicit-def: $vgpr6
                                        ; implicit-def: $vgpr5
                                        ; implicit-def: $vgpr7
	s_cbranch_execnz .LBB568_62
	s_branch .LBB568_77
.LBB568_57:
	s_and_saveexec_b32 s4, s3
	s_cbranch_execz .LBB568_59
; %bb.58:
	v_mov_b32_e32 v4, 0
	v_and_b32_e32 v3, 1, v2
	s_mov_b32 s9, 0
	s_add_i32 s8, s13, 32
	v_and_b32_e32 v5, 1, v37
	v_cmp_eq_u32_sdwa vcc_lo, v2, v4 src0_sel:BYTE_0 src1_sel:DWORD
	s_lshl_b64 s[8:9], s[8:9], 4
	s_add_u32 s8, s16, s8
	s_addc_u32 s9, s17, s9
	v_cndmask_b32_e32 v2, 0, v38, vcc_lo
	v_cmp_eq_u32_e32 vcc_lo, 1, v3
	v_mov_b32_e32 v3, 2
	v_add_nc_u32_e32 v1, v2, v1
	v_cndmask_b32_e64 v2, v5, 1, vcc_lo
	v_mov_b32_e32 v5, s8
	v_mov_b32_e32 v6, s9
	;;#ASMSTART
	global_store_dwordx4 v[5:6], v[1:4] off	
s_waitcnt vmcnt(0)
	;;#ASMEND
.LBB568_59:
	s_or_b32 exec_lo, exec_lo, s4
	s_and_b32 exec_lo, exec_lo, s0
	s_cbranch_execz .LBB568_61
; %bb.60:
	v_mov_b32_e32 v1, 0
	ds_write_b32 v1, v38 offset:56
	ds_write_b8 v1, v37 offset:60
.LBB568_61:
	s_or_b32 exec_lo, exec_lo, s5
	v_mov_b32_e32 v1, 0
	s_waitcnt lgkmcnt(0)
	s_barrier
	buffer_gl0_inv
	v_cndmask_b32_e64 v2, v29, v27, s3
	ds_read_b32 v3, v1 offset:56
	v_cndmask_b32_e64 v4, v28, v26, s3
	v_cmp_eq_u16_sdwa vcc_lo, v2, v1 src0_sel:BYTE_0 src1_sel:DWORD
	s_waitcnt lgkmcnt(0)
	v_cndmask_b32_e32 v2, 0, v3, vcc_lo
	v_add_nc_u32_e32 v4, v2, v4
	v_and_b32_e32 v2, 0xff, v12
	v_cndmask_b32_e64 v6, v4, v3, s0
	v_cmp_eq_u64_e32 vcc_lo, 0, v[1:2]
	v_cndmask_b32_e32 v1, 0, v6, vcc_lo
	v_add_nc_u32_e32 v5, v1, v11
	v_cndmask_b32_e64 v1, 0, v5, s2
	v_add_nc_u32_e32 v7, v1, v13
	s_branch .LBB568_77
.LBB568_62:
	s_cmp_eq_u64 s[20:21], 0
	v_mov_b32_e32 v3, s22
	s_cselect_b32 s2, -1, 0
	s_cmp_eq_u64 s[6:7], 0
	s_cselect_b32 s3, -1, 0
	s_or_b32 s2, s2, s3
	s_and_b32 vcc_lo, exec_lo, s2
	s_cbranch_vccnz .LBB568_64
; %bb.63:
	v_mov_b32_e32 v1, 0
	global_load_dword v3, v1, s[6:7]
.LBB568_64:
	v_and_b32_e32 v2, 0xff, v25
	v_mov_b32_e32 v1, 0
	s_mov_b32 s4, 0
	s_mov_b32 s5, 1
	v_cmp_gt_u64_e32 vcc_lo, s[4:5], v[13:14]
	v_cmp_eq_u64_e64 s2, 0, v[1:2]
	v_cndmask_b32_e32 v4, 0, v11, vcc_lo
	v_cndmask_b32_e64 v2, 1, v12, s2
	v_cmp_gt_u64_e64 s2, s[4:5], v[15:16]
	v_add_nc_u32_e32 v4, v4, v13
	v_and_b32_e32 v5, 0xff, v2
	v_and_b32_e32 v7, 1, v2
	v_cndmask_b32_e64 v4, 0, v4, s2
	v_mov_b32_dpp v6, v5 row_shr:1 row_mask:0xf bank_mask:0xf
	v_cmp_eq_u32_e64 s2, 1, v7
	v_and_b32_e32 v7, 15, v22
	v_add_nc_u32_e32 v4, v4, v15
	v_and_b32_e32 v6, 1, v6
	v_mov_b32_dpp v8, v4 row_shr:1 row_mask:0xf bank_mask:0xf
	v_cndmask_b32_e64 v6, v6, 1, s2
	v_cmp_eq_u16_e64 s2, 0, v5
	v_and_b32_e32 v14, 0xffff, v6
	v_cndmask_b32_e64 v8, 0, v8, s2
	v_cmp_eq_u32_e64 s2, 0, v7
	v_cndmask_b32_e64 v5, v14, v5, s2
	v_cndmask_b32_e64 v2, v6, v2, s2
	;; [unrolled: 1-line block ×3, first 2 shown]
	v_mov_b32_dpp v6, v5 row_shr:2 row_mask:0xf bank_mask:0xf
	v_and_b32_e32 v14, 1, v2
	v_add_nc_u32_e32 v4, v8, v4
	v_cmp_eq_u16_sdwa s4, v2, v1 src0_sel:BYTE_0 src1_sel:DWORD
	v_and_b32_e32 v6, 1, v6
	v_cmp_eq_u32_e64 s2, 1, v14
	v_cndmask_b32_e64 v6, v6, 1, s2
	v_cmp_lt_u32_e64 s2, 1, v7
	v_and_b32_e32 v14, 0xffff, v6
	v_cndmask_b32_e64 v6, v2, v6, s2
	v_mov_b32_dpp v2, v4 row_shr:2 row_mask:0xf bank_mask:0xf
	v_cndmask_b32_e64 v5, v5, v14, s2
	v_and_b32_e32 v8, 1, v6
	s_and_b32 s2, s2, s4
	v_cndmask_b32_e64 v2, 0, v2, s2
	v_mov_b32_dpp v14, v5 row_shr:4 row_mask:0xf bank_mask:0xf
	v_cmp_eq_u32_e64 s3, 1, v8
	v_cmp_lt_u32_e64 s2, 3, v7
	v_add_nc_u32_e32 v2, v2, v4
	v_and_b32_e32 v14, 1, v14
	v_cndmask_b32_e64 v8, v14, 1, s3
	v_cmp_eq_u16_sdwa s3, v6, v1 src0_sel:BYTE_0 src1_sel:DWORD
	v_and_b32_e32 v14, 0xffff, v8
	v_cndmask_b32_e64 v4, v6, v8, s2
	v_mov_b32_dpp v6, v2 row_shr:4 row_mask:0xf bank_mask:0xf
	v_cndmask_b32_e64 v5, v5, v14, s2
	s_and_b32 s2, s2, s3
	v_and_b32_e32 v14, 1, v4
	v_cndmask_b32_e64 v6, 0, v6, s2
	v_cmp_eq_u16_sdwa s3, v4, v1 src0_sel:BYTE_0 src1_sel:DWORD
	v_mov_b32_dpp v8, v5 row_shr:8 row_mask:0xf bank_mask:0xf
	v_cmp_eq_u32_e64 s2, 1, v14
	v_add_nc_u32_e32 v2, v6, v2
	v_and_b32_e32 v8, 1, v8
	v_cndmask_b32_e64 v6, v8, 1, s2
	v_cmp_lt_u32_e64 s2, 7, v7
	v_mov_b32_dpp v7, v2 row_shr:8 row_mask:0xf bank_mask:0xf
	s_and_b32 s3, s2, s3
	v_cndmask_b32_e64 v8, v4, v6, s2
	v_cndmask_b32_e64 v4, 0, v7, s3
	v_and_b32_e32 v6, 0xffff, v6
	v_and_b32_e32 v7, 16, v22
	v_add_nc_u32_e32 v2, v4, v2
	v_cndmask_b32_e64 v4, v5, v6, s2
	v_cmp_eq_u16_sdwa s2, v8, v1 src0_sel:BYTE_0 src1_sel:DWORD
	v_bfe_i32 v6, v22, 4, 1
	v_cmp_eq_u32_e64 s3, 0, v7
	ds_swizzle_b32 v5, v2 offset:swizzle(BROADCAST,32,15)
	ds_swizzle_b32 v4, v4 offset:swizzle(BROADCAST,32,15)
	s_waitcnt lgkmcnt(1)
	v_cndmask_b32_e64 v1, 0, v5, s2
	v_and_b32_e32 v5, 1, v8
	s_waitcnt lgkmcnt(0)
	v_and_b32_e32 v4, 1, v4
	v_and_b32_e32 v1, v6, v1
	v_cmp_eq_u32_e64 s2, 1, v5
	v_lshlrev_b32_e32 v6, 3, v23
	v_cndmask_b32_e64 v5, v4, 1, s2
	v_add_nc_u32_e32 v4, v1, v2
	v_cndmask_b32_e64 v5, v5, v8, s3
	s_mov_b32 s3, exec_lo
	v_cmpx_eq_u32_e64 v0, v24
	s_cbranch_execz .LBB568_66
; %bb.65:
	ds_write_b32 v6, v4
	ds_write_b8 v6, v5 offset:4
.LBB568_66:
	s_or_b32 exec_lo, exec_lo, s3
	s_mov_b32 s3, exec_lo
	s_waitcnt vmcnt(0) lgkmcnt(0)
	s_barrier
	buffer_gl0_inv
	v_cmpx_gt_u32_e32 8, v0
	s_cbranch_execz .LBB568_72
; %bb.67:
	ds_read_b64 v[1:2], v21
	v_and_b32_e32 v7, 7, v22
	s_mov_b32 s4, exec_lo
	s_waitcnt lgkmcnt(0)
	v_and_b32_e32 v8, 0xffffff00, v2
	v_mov_b32_dpp v15, v1 row_shr:1 row_mask:0xf bank_mask:0xf
	v_mov_b32_dpp v16, v2 row_shr:1 row_mask:0xf bank_mask:0xf
	v_mov_b32_e32 v14, v2
	v_cmpx_ne_u32_e32 0, v7
	s_cbranch_execz .LBB568_69
; %bb.68:
	v_mov_b32_e32 v14, 0
	v_and_b32_e32 v17, 1, v2
	v_and_b32_e32 v16, 1, v16
	v_cmp_eq_u16_sdwa s2, v2, v14 src0_sel:BYTE_0 src1_sel:DWORD
	v_cndmask_b32_e64 v2, 0, v15, s2
	v_cmp_eq_u32_e64 s2, 1, v17
	v_add_nc_u32_e32 v1, v2, v1
	v_cndmask_b32_e64 v15, v16, 1, s2
	v_or_b32_sdwa v14, v8, v15 dst_sel:DWORD dst_unused:UNUSED_PAD src0_sel:DWORD src1_sel:WORD_0
	v_mov_b32_e32 v2, v15
.LBB568_69:
	s_or_b32 exec_lo, exec_lo, s4
	v_mov_b32_dpp v15, v1 row_shr:2 row_mask:0xf bank_mask:0xf
	v_mov_b32_dpp v16, v14 row_shr:2 row_mask:0xf bank_mask:0xf
	s_mov_b32 s4, exec_lo
	v_cmpx_lt_u32_e32 1, v7
	s_cbranch_execz .LBB568_71
; %bb.70:
	v_mov_b32_e32 v14, 0
	v_and_b32_e32 v17, 1, v2
	v_and_b32_e32 v16, 1, v16
	v_cmp_eq_u16_sdwa s2, v2, v14 src0_sel:BYTE_0 src1_sel:DWORD
	v_cndmask_b32_e64 v2, 0, v15, s2
	v_cmp_eq_u32_e64 s2, 1, v17
	v_add_nc_u32_e32 v1, v2, v1
	v_cndmask_b32_e64 v15, v16, 1, s2
	v_or_b32_sdwa v14, v8, v15 dst_sel:DWORD dst_unused:UNUSED_PAD src0_sel:DWORD src1_sel:WORD_0
	v_mov_b32_e32 v2, v15
.LBB568_71:
	s_or_b32 exec_lo, exec_lo, s4
	v_mov_b32_dpp v8, v14 row_shr:4 row_mask:0xf bank_mask:0xf
	v_and_b32_e32 v15, 1, v2
	v_mov_b32_e32 v14, 0
	v_and_b32_e32 v8, 1, v8
	v_cmp_eq_u32_e64 s2, 1, v15
	v_cmp_eq_u16_sdwa s4, v2, v14 src0_sel:BYTE_0 src1_sel:DWORD
	v_cndmask_b32_e64 v8, v8, 1, s2
	v_cmp_lt_u32_e64 s2, 3, v7
	v_mov_b32_dpp v7, v1 row_shr:4 row_mask:0xf bank_mask:0xf
	v_cndmask_b32_e64 v2, v2, v8, s2
	s_and_b32 s2, s2, s4
	v_cndmask_b32_e64 v7, 0, v7, s2
	v_add_nc_u32_e32 v1, v7, v1
	ds_write_b32 v21, v1
	ds_write_b8 v21, v2 offset:4
.LBB568_72:
	s_or_b32 exec_lo, exec_lo, s3
	v_mov_b32_e32 v2, v3
	s_mov_b32 s3, exec_lo
	s_waitcnt lgkmcnt(0)
	s_barrier
	buffer_gl0_inv
	v_cmpx_lt_u32_e32 31, v0
	s_cbranch_execz .LBB568_74
; %bb.73:
	v_add_nc_u32_e32 v1, -4, v6
	v_add_nc_u32_e32 v2, -8, v6
	ds_read_u8 v1, v1
	ds_read_b32 v2, v2
	s_waitcnt lgkmcnt(1)
	v_cmp_eq_u16_e64 s2, 0, v1
	v_cndmask_b32_e64 v1, 0, v3, s2
	s_waitcnt lgkmcnt(0)
	v_add_nc_u32_e32 v2, v1, v2
.LBB568_74:
	s_or_b32 exec_lo, exec_lo, s3
	v_mov_b32_e32 v1, 0
	v_sub_co_u32 v6, s2, v22, 1
	v_cmp_eq_u16_sdwa s3, v5, v1 src0_sel:BYTE_0 src1_sel:DWORD
	v_cndmask_b32_e64 v5, 0, v2, s3
	v_cmp_gt_i32_e64 s3, 0, v6
	v_add_nc_u32_e32 v4, v5, v4
	v_cndmask_b32_e64 v6, v6, v22, s3
	v_lshlrev_b32_e32 v5, 2, v6
	ds_bpermute_b32 v4, v5, v4
	s_waitcnt lgkmcnt(0)
	v_cndmask_b32_e64 v6, v4, v2, s2
	v_and_b32_e32 v2, 0xff, v12
	v_cndmask_b32_e64 v4, v6, v3, s0
	v_cmp_eq_u64_e64 s2, 0, v[1:2]
	v_cndmask_b32_e64 v2, 0, v4, s2
	v_add_nc_u32_e32 v5, v2, v11
	v_cndmask_b32_e32 v2, 0, v5, vcc_lo
	s_and_saveexec_b32 s2, s0
	s_cbranch_execz .LBB568_76
; %bb.75:
	ds_read_u8 v4, v1 offset:60
	ds_read_b32 v6, v1 offset:56
	v_mov_b32_e32 v16, v1
	s_add_u32 s4, s16, 0x200
	s_addc_u32 s5, s17, 0
	v_mov_b32_e32 v17, v1
	v_mov_b32_e32 v8, s5
	;; [unrolled: 1-line block ×3, first 2 shown]
	s_waitcnt lgkmcnt(1)
	v_and_b32_e32 v15, 0xffff, v4
	v_cmp_eq_u64_e32 vcc_lo, 0, v[15:16]
	v_mov_b32_e32 v16, 2
	v_cndmask_b32_e32 v4, 0, v3, vcc_lo
	s_waitcnt lgkmcnt(0)
	v_add_nc_u32_e32 v14, v4, v6
	v_mov_b32_e32 v6, v3
	;;#ASMSTART
	global_store_dwordx4 v[7:8], v[14:17] off	
s_waitcnt vmcnt(0)
	;;#ASMEND
.LBB568_76:
	s_or_b32 exec_lo, exec_lo, s2
	v_add_nc_u32_e32 v7, v2, v13
.LBB568_77:
	s_add_u32 s0, s14, s10
	s_addc_u32 s2, s15, s11
	v_add_co_u32 v8, vcc_lo, s0, v9
	v_add_co_ci_u32_e64 v9, null, s2, v10, vcc_lo
	v_mov_b32_e32 v3, 0
	s_and_b32 vcc_lo, exec_lo, s1
	s_cbranch_vccz .LBB568_89
; %bb.78:
	v_mul_u32_u24_e32 v1, 3, v0
	v_mov_b32_e32 v4, 0
	v_mov_b32_e32 v2, 0
	s_add_i32 s12, s12, s18
	s_mov_b32 s0, exec_lo
	v_cmpx_gt_u32_e64 s12, v1
	s_cbranch_execz .LBB568_84
; %bb.79:
	v_add_nc_u32_e32 v3, 1, v1
	v_mov_b32_e32 v2, 0
	v_mov_b32_e32 v4, 0
	s_mov_b32 s1, exec_lo
	v_cmpx_gt_u32_e64 s12, v3
	s_cbranch_execz .LBB568_83
; %bb.80:
	v_add_nc_u32_e32 v2, 2, v1
	v_cmp_gt_u32_e32 vcc_lo, s12, v2
	v_mov_b32_e32 v2, 0
	s_and_saveexec_b32 s2, vcc_lo
; %bb.81:
	v_mov_b32_e32 v2, v7
; %bb.82:
	s_or_b32 exec_lo, exec_lo, s2
	v_mov_b32_e32 v4, v5
.LBB568_83:
	s_or_b32 exec_lo, exec_lo, s1
	v_mov_b32_e32 v3, v6
.LBB568_84:
	s_or_b32 exec_lo, exec_lo, s0
	v_lshlrev_b32_e32 v10, 2, v1
	s_barrier
	buffer_gl0_inv
	s_mov_b32 s0, exec_lo
	v_sub_nc_u32_e32 v1, v10, v21
	ds_write2_b32 v10, v3, v4 offset1:1
	ds_write_b32 v10, v2 offset:8
	s_waitcnt lgkmcnt(0)
	s_barrier
	buffer_gl0_inv
	ds_read2st64_b32 v[1:2], v1 offset0:4 offset1:8
	v_add_co_u32 v3, vcc_lo, v8, v20
	v_add_co_ci_u32_e64 v4, null, 0, v9, vcc_lo
	v_cmpx_gt_u32_e64 s12, v0
	s_cbranch_execz .LBB568_86
; %bb.85:
	v_sub_nc_u32_e32 v11, 0, v21
	v_add_nc_u32_e32 v10, v10, v11
	ds_read_b32 v10, v10
	s_waitcnt lgkmcnt(0)
	flat_store_dword v[3:4], v10
.LBB568_86:
	s_or_b32 exec_lo, exec_lo, s0
	v_or_b32_e32 v10, 0x100, v0
	s_mov_b32 s0, exec_lo
	v_cmpx_gt_u32_e64 s12, v10
	s_cbranch_execz .LBB568_88
; %bb.87:
	s_waitcnt lgkmcnt(0)
	flat_store_dword v[3:4], v1 offset:1024
.LBB568_88:
	s_or_b32 exec_lo, exec_lo, s0
	s_waitcnt lgkmcnt(0)
	v_or_b32_e32 v1, 0x200, v0
	v_cmp_gt_u32_e64 s0, s12, v1
	s_branch .LBB568_91
.LBB568_89:
	s_mov_b32 s0, 0
                                        ; implicit-def: $vgpr2
	s_cbranch_execz .LBB568_91
; %bb.90:
	v_mul_u32_u24_e32 v1, 12, v0
	s_waitcnt_vscnt null, 0x0
	s_barrier
	buffer_gl0_inv
	s_or_b32 s0, s0, exec_lo
	v_sub_nc_u32_e32 v2, v1, v21
	ds_write2_b32 v1, v6, v5 offset1:1
	ds_write_b32 v1, v7 offset:8
	s_waitcnt lgkmcnt(0)
	s_barrier
	buffer_gl0_inv
	ds_read2st64_b32 v[3:4], v2 offset1:4
	ds_read_b32 v2, v2 offset:2048
	v_add_co_u32 v5, vcc_lo, v8, v20
	v_add_co_ci_u32_e64 v6, null, 0, v9, vcc_lo
	s_waitcnt lgkmcnt(1)
	flat_store_dword v[5:6], v3
	flat_store_dword v[5:6], v4 offset:1024
.LBB568_91:
	s_and_saveexec_b32 s1, s0
	s_cbranch_execnz .LBB568_93
; %bb.92:
	s_endpgm
.LBB568_93:
	v_lshlrev_b32_e32 v0, 2, v0
	v_add_co_u32 v0, vcc_lo, v8, v0
	v_add_co_ci_u32_e64 v1, null, 0, v9, vcc_lo
	v_add_co_u32 v0, vcc_lo, 0x800, v0
	v_add_co_ci_u32_e64 v1, null, 0, v1, vcc_lo
	s_waitcnt lgkmcnt(2)
	flat_store_dword v[0:1], v2
	s_endpgm
.LBB568_94:
	v_add_co_u32 v2, vcc_lo, v8, v12
	v_add_co_ci_u32_e64 v3, null, 0, v15, vcc_lo
	v_mov_b32_e32 v20, v1
	v_mov_b32_e32 v21, v1
	flat_load_dword v19, v[2:3]
	s_waitcnt vmcnt(0) lgkmcnt(0)
	v_mov_b32_e32 v1, v19
	v_mov_b32_e32 v2, v20
	;; [unrolled: 1-line block ×3, first 2 shown]
	s_or_b32 exec_lo, exec_lo, s4
	s_and_saveexec_b32 s4, s2
	s_cbranch_execz .LBB568_15
.LBB568_95:
	v_add_co_u32 v13, vcc_lo, v8, v12
	v_add_co_ci_u32_e64 v14, null, 0, v15, vcc_lo
	flat_load_dword v2, v[13:14] offset:1024
	s_or_b32 exec_lo, exec_lo, s4
	v_mul_u32_u24_e32 v19, 3, v0
	s_and_saveexec_b32 s2, s3
	s_cbranch_execnz .LBB568_16
	s_branch .LBB568_17
	.section	.rodata,"a",@progbits
	.p2align	6, 0x0
	.amdhsa_kernel _ZN7rocprim17ROCPRIM_400000_NS6detail17trampoline_kernelINS0_14default_configENS1_27scan_by_key_config_selectorIiiEEZZNS1_16scan_by_key_implILNS1_25lookback_scan_determinismE0ELb1ES3_N6thrust23THRUST_200600_302600_NS6detail15normal_iteratorINS9_10device_ptrIiEEEESE_SE_iNS9_4plusIvEENS9_8equal_toIiEEiEE10hipError_tPvRmT2_T3_T4_T5_mT6_T7_P12ihipStream_tbENKUlT_T0_E_clISt17integral_constantIbLb0EESY_IbLb1EEEEDaSU_SV_EUlSU_E_NS1_11comp_targetILNS1_3genE8ELNS1_11target_archE1030ELNS1_3gpuE2ELNS1_3repE0EEENS1_30default_config_static_selectorELNS0_4arch9wavefront6targetE0EEEvT1_
		.amdhsa_group_segment_fixed_size 5120
		.amdhsa_private_segment_fixed_size 0
		.amdhsa_kernarg_size 112
		.amdhsa_user_sgpr_count 6
		.amdhsa_user_sgpr_private_segment_buffer 1
		.amdhsa_user_sgpr_dispatch_ptr 0
		.amdhsa_user_sgpr_queue_ptr 0
		.amdhsa_user_sgpr_kernarg_segment_ptr 1
		.amdhsa_user_sgpr_dispatch_id 0
		.amdhsa_user_sgpr_flat_scratch_init 0
		.amdhsa_user_sgpr_private_segment_size 0
		.amdhsa_wavefront_size32 1
		.amdhsa_uses_dynamic_stack 0
		.amdhsa_system_sgpr_private_segment_wavefront_offset 0
		.amdhsa_system_sgpr_workgroup_id_x 1
		.amdhsa_system_sgpr_workgroup_id_y 0
		.amdhsa_system_sgpr_workgroup_id_z 0
		.amdhsa_system_sgpr_workgroup_info 0
		.amdhsa_system_vgpr_workitem_id 0
		.amdhsa_next_free_vgpr 44
		.amdhsa_next_free_sgpr 24
		.amdhsa_reserve_vcc 1
		.amdhsa_reserve_flat_scratch 1
		.amdhsa_float_round_mode_32 0
		.amdhsa_float_round_mode_16_64 0
		.amdhsa_float_denorm_mode_32 3
		.amdhsa_float_denorm_mode_16_64 3
		.amdhsa_dx10_clamp 1
		.amdhsa_ieee_mode 1
		.amdhsa_fp16_overflow 0
		.amdhsa_workgroup_processor_mode 1
		.amdhsa_memory_ordered 1
		.amdhsa_forward_progress 1
		.amdhsa_shared_vgpr_count 0
		.amdhsa_exception_fp_ieee_invalid_op 0
		.amdhsa_exception_fp_denorm_src 0
		.amdhsa_exception_fp_ieee_div_zero 0
		.amdhsa_exception_fp_ieee_overflow 0
		.amdhsa_exception_fp_ieee_underflow 0
		.amdhsa_exception_fp_ieee_inexact 0
		.amdhsa_exception_int_div_zero 0
	.end_amdhsa_kernel
	.section	.text._ZN7rocprim17ROCPRIM_400000_NS6detail17trampoline_kernelINS0_14default_configENS1_27scan_by_key_config_selectorIiiEEZZNS1_16scan_by_key_implILNS1_25lookback_scan_determinismE0ELb1ES3_N6thrust23THRUST_200600_302600_NS6detail15normal_iteratorINS9_10device_ptrIiEEEESE_SE_iNS9_4plusIvEENS9_8equal_toIiEEiEE10hipError_tPvRmT2_T3_T4_T5_mT6_T7_P12ihipStream_tbENKUlT_T0_E_clISt17integral_constantIbLb0EESY_IbLb1EEEEDaSU_SV_EUlSU_E_NS1_11comp_targetILNS1_3genE8ELNS1_11target_archE1030ELNS1_3gpuE2ELNS1_3repE0EEENS1_30default_config_static_selectorELNS0_4arch9wavefront6targetE0EEEvT1_,"axG",@progbits,_ZN7rocprim17ROCPRIM_400000_NS6detail17trampoline_kernelINS0_14default_configENS1_27scan_by_key_config_selectorIiiEEZZNS1_16scan_by_key_implILNS1_25lookback_scan_determinismE0ELb1ES3_N6thrust23THRUST_200600_302600_NS6detail15normal_iteratorINS9_10device_ptrIiEEEESE_SE_iNS9_4plusIvEENS9_8equal_toIiEEiEE10hipError_tPvRmT2_T3_T4_T5_mT6_T7_P12ihipStream_tbENKUlT_T0_E_clISt17integral_constantIbLb0EESY_IbLb1EEEEDaSU_SV_EUlSU_E_NS1_11comp_targetILNS1_3genE8ELNS1_11target_archE1030ELNS1_3gpuE2ELNS1_3repE0EEENS1_30default_config_static_selectorELNS0_4arch9wavefront6targetE0EEEvT1_,comdat
.Lfunc_end568:
	.size	_ZN7rocprim17ROCPRIM_400000_NS6detail17trampoline_kernelINS0_14default_configENS1_27scan_by_key_config_selectorIiiEEZZNS1_16scan_by_key_implILNS1_25lookback_scan_determinismE0ELb1ES3_N6thrust23THRUST_200600_302600_NS6detail15normal_iteratorINS9_10device_ptrIiEEEESE_SE_iNS9_4plusIvEENS9_8equal_toIiEEiEE10hipError_tPvRmT2_T3_T4_T5_mT6_T7_P12ihipStream_tbENKUlT_T0_E_clISt17integral_constantIbLb0EESY_IbLb1EEEEDaSU_SV_EUlSU_E_NS1_11comp_targetILNS1_3genE8ELNS1_11target_archE1030ELNS1_3gpuE2ELNS1_3repE0EEENS1_30default_config_static_selectorELNS0_4arch9wavefront6targetE0EEEvT1_, .Lfunc_end568-_ZN7rocprim17ROCPRIM_400000_NS6detail17trampoline_kernelINS0_14default_configENS1_27scan_by_key_config_selectorIiiEEZZNS1_16scan_by_key_implILNS1_25lookback_scan_determinismE0ELb1ES3_N6thrust23THRUST_200600_302600_NS6detail15normal_iteratorINS9_10device_ptrIiEEEESE_SE_iNS9_4plusIvEENS9_8equal_toIiEEiEE10hipError_tPvRmT2_T3_T4_T5_mT6_T7_P12ihipStream_tbENKUlT_T0_E_clISt17integral_constantIbLb0EESY_IbLb1EEEEDaSU_SV_EUlSU_E_NS1_11comp_targetILNS1_3genE8ELNS1_11target_archE1030ELNS1_3gpuE2ELNS1_3repE0EEENS1_30default_config_static_selectorELNS0_4arch9wavefront6targetE0EEEvT1_
                                        ; -- End function
	.set _ZN7rocprim17ROCPRIM_400000_NS6detail17trampoline_kernelINS0_14default_configENS1_27scan_by_key_config_selectorIiiEEZZNS1_16scan_by_key_implILNS1_25lookback_scan_determinismE0ELb1ES3_N6thrust23THRUST_200600_302600_NS6detail15normal_iteratorINS9_10device_ptrIiEEEESE_SE_iNS9_4plusIvEENS9_8equal_toIiEEiEE10hipError_tPvRmT2_T3_T4_T5_mT6_T7_P12ihipStream_tbENKUlT_T0_E_clISt17integral_constantIbLb0EESY_IbLb1EEEEDaSU_SV_EUlSU_E_NS1_11comp_targetILNS1_3genE8ELNS1_11target_archE1030ELNS1_3gpuE2ELNS1_3repE0EEENS1_30default_config_static_selectorELNS0_4arch9wavefront6targetE0EEEvT1_.num_vgpr, 44
	.set _ZN7rocprim17ROCPRIM_400000_NS6detail17trampoline_kernelINS0_14default_configENS1_27scan_by_key_config_selectorIiiEEZZNS1_16scan_by_key_implILNS1_25lookback_scan_determinismE0ELb1ES3_N6thrust23THRUST_200600_302600_NS6detail15normal_iteratorINS9_10device_ptrIiEEEESE_SE_iNS9_4plusIvEENS9_8equal_toIiEEiEE10hipError_tPvRmT2_T3_T4_T5_mT6_T7_P12ihipStream_tbENKUlT_T0_E_clISt17integral_constantIbLb0EESY_IbLb1EEEEDaSU_SV_EUlSU_E_NS1_11comp_targetILNS1_3genE8ELNS1_11target_archE1030ELNS1_3gpuE2ELNS1_3repE0EEENS1_30default_config_static_selectorELNS0_4arch9wavefront6targetE0EEEvT1_.num_agpr, 0
	.set _ZN7rocprim17ROCPRIM_400000_NS6detail17trampoline_kernelINS0_14default_configENS1_27scan_by_key_config_selectorIiiEEZZNS1_16scan_by_key_implILNS1_25lookback_scan_determinismE0ELb1ES3_N6thrust23THRUST_200600_302600_NS6detail15normal_iteratorINS9_10device_ptrIiEEEESE_SE_iNS9_4plusIvEENS9_8equal_toIiEEiEE10hipError_tPvRmT2_T3_T4_T5_mT6_T7_P12ihipStream_tbENKUlT_T0_E_clISt17integral_constantIbLb0EESY_IbLb1EEEEDaSU_SV_EUlSU_E_NS1_11comp_targetILNS1_3genE8ELNS1_11target_archE1030ELNS1_3gpuE2ELNS1_3repE0EEENS1_30default_config_static_selectorELNS0_4arch9wavefront6targetE0EEEvT1_.numbered_sgpr, 24
	.set _ZN7rocprim17ROCPRIM_400000_NS6detail17trampoline_kernelINS0_14default_configENS1_27scan_by_key_config_selectorIiiEEZZNS1_16scan_by_key_implILNS1_25lookback_scan_determinismE0ELb1ES3_N6thrust23THRUST_200600_302600_NS6detail15normal_iteratorINS9_10device_ptrIiEEEESE_SE_iNS9_4plusIvEENS9_8equal_toIiEEiEE10hipError_tPvRmT2_T3_T4_T5_mT6_T7_P12ihipStream_tbENKUlT_T0_E_clISt17integral_constantIbLb0EESY_IbLb1EEEEDaSU_SV_EUlSU_E_NS1_11comp_targetILNS1_3genE8ELNS1_11target_archE1030ELNS1_3gpuE2ELNS1_3repE0EEENS1_30default_config_static_selectorELNS0_4arch9wavefront6targetE0EEEvT1_.num_named_barrier, 0
	.set _ZN7rocprim17ROCPRIM_400000_NS6detail17trampoline_kernelINS0_14default_configENS1_27scan_by_key_config_selectorIiiEEZZNS1_16scan_by_key_implILNS1_25lookback_scan_determinismE0ELb1ES3_N6thrust23THRUST_200600_302600_NS6detail15normal_iteratorINS9_10device_ptrIiEEEESE_SE_iNS9_4plusIvEENS9_8equal_toIiEEiEE10hipError_tPvRmT2_T3_T4_T5_mT6_T7_P12ihipStream_tbENKUlT_T0_E_clISt17integral_constantIbLb0EESY_IbLb1EEEEDaSU_SV_EUlSU_E_NS1_11comp_targetILNS1_3genE8ELNS1_11target_archE1030ELNS1_3gpuE2ELNS1_3repE0EEENS1_30default_config_static_selectorELNS0_4arch9wavefront6targetE0EEEvT1_.private_seg_size, 0
	.set _ZN7rocprim17ROCPRIM_400000_NS6detail17trampoline_kernelINS0_14default_configENS1_27scan_by_key_config_selectorIiiEEZZNS1_16scan_by_key_implILNS1_25lookback_scan_determinismE0ELb1ES3_N6thrust23THRUST_200600_302600_NS6detail15normal_iteratorINS9_10device_ptrIiEEEESE_SE_iNS9_4plusIvEENS9_8equal_toIiEEiEE10hipError_tPvRmT2_T3_T4_T5_mT6_T7_P12ihipStream_tbENKUlT_T0_E_clISt17integral_constantIbLb0EESY_IbLb1EEEEDaSU_SV_EUlSU_E_NS1_11comp_targetILNS1_3genE8ELNS1_11target_archE1030ELNS1_3gpuE2ELNS1_3repE0EEENS1_30default_config_static_selectorELNS0_4arch9wavefront6targetE0EEEvT1_.uses_vcc, 1
	.set _ZN7rocprim17ROCPRIM_400000_NS6detail17trampoline_kernelINS0_14default_configENS1_27scan_by_key_config_selectorIiiEEZZNS1_16scan_by_key_implILNS1_25lookback_scan_determinismE0ELb1ES3_N6thrust23THRUST_200600_302600_NS6detail15normal_iteratorINS9_10device_ptrIiEEEESE_SE_iNS9_4plusIvEENS9_8equal_toIiEEiEE10hipError_tPvRmT2_T3_T4_T5_mT6_T7_P12ihipStream_tbENKUlT_T0_E_clISt17integral_constantIbLb0EESY_IbLb1EEEEDaSU_SV_EUlSU_E_NS1_11comp_targetILNS1_3genE8ELNS1_11target_archE1030ELNS1_3gpuE2ELNS1_3repE0EEENS1_30default_config_static_selectorELNS0_4arch9wavefront6targetE0EEEvT1_.uses_flat_scratch, 1
	.set _ZN7rocprim17ROCPRIM_400000_NS6detail17trampoline_kernelINS0_14default_configENS1_27scan_by_key_config_selectorIiiEEZZNS1_16scan_by_key_implILNS1_25lookback_scan_determinismE0ELb1ES3_N6thrust23THRUST_200600_302600_NS6detail15normal_iteratorINS9_10device_ptrIiEEEESE_SE_iNS9_4plusIvEENS9_8equal_toIiEEiEE10hipError_tPvRmT2_T3_T4_T5_mT6_T7_P12ihipStream_tbENKUlT_T0_E_clISt17integral_constantIbLb0EESY_IbLb1EEEEDaSU_SV_EUlSU_E_NS1_11comp_targetILNS1_3genE8ELNS1_11target_archE1030ELNS1_3gpuE2ELNS1_3repE0EEENS1_30default_config_static_selectorELNS0_4arch9wavefront6targetE0EEEvT1_.has_dyn_sized_stack, 0
	.set _ZN7rocprim17ROCPRIM_400000_NS6detail17trampoline_kernelINS0_14default_configENS1_27scan_by_key_config_selectorIiiEEZZNS1_16scan_by_key_implILNS1_25lookback_scan_determinismE0ELb1ES3_N6thrust23THRUST_200600_302600_NS6detail15normal_iteratorINS9_10device_ptrIiEEEESE_SE_iNS9_4plusIvEENS9_8equal_toIiEEiEE10hipError_tPvRmT2_T3_T4_T5_mT6_T7_P12ihipStream_tbENKUlT_T0_E_clISt17integral_constantIbLb0EESY_IbLb1EEEEDaSU_SV_EUlSU_E_NS1_11comp_targetILNS1_3genE8ELNS1_11target_archE1030ELNS1_3gpuE2ELNS1_3repE0EEENS1_30default_config_static_selectorELNS0_4arch9wavefront6targetE0EEEvT1_.has_recursion, 0
	.set _ZN7rocprim17ROCPRIM_400000_NS6detail17trampoline_kernelINS0_14default_configENS1_27scan_by_key_config_selectorIiiEEZZNS1_16scan_by_key_implILNS1_25lookback_scan_determinismE0ELb1ES3_N6thrust23THRUST_200600_302600_NS6detail15normal_iteratorINS9_10device_ptrIiEEEESE_SE_iNS9_4plusIvEENS9_8equal_toIiEEiEE10hipError_tPvRmT2_T3_T4_T5_mT6_T7_P12ihipStream_tbENKUlT_T0_E_clISt17integral_constantIbLb0EESY_IbLb1EEEEDaSU_SV_EUlSU_E_NS1_11comp_targetILNS1_3genE8ELNS1_11target_archE1030ELNS1_3gpuE2ELNS1_3repE0EEENS1_30default_config_static_selectorELNS0_4arch9wavefront6targetE0EEEvT1_.has_indirect_call, 0
	.section	.AMDGPU.csdata,"",@progbits
; Kernel info:
; codeLenInByte = 6348
; TotalNumSgprs: 26
; NumVgprs: 44
; ScratchSize: 0
; MemoryBound: 0
; FloatMode: 240
; IeeeMode: 1
; LDSByteSize: 5120 bytes/workgroup (compile time only)
; SGPRBlocks: 0
; VGPRBlocks: 5
; NumSGPRsForWavesPerEU: 26
; NumVGPRsForWavesPerEU: 44
; Occupancy: 16
; WaveLimiterHint : 1
; COMPUTE_PGM_RSRC2:SCRATCH_EN: 0
; COMPUTE_PGM_RSRC2:USER_SGPR: 6
; COMPUTE_PGM_RSRC2:TRAP_HANDLER: 0
; COMPUTE_PGM_RSRC2:TGID_X_EN: 1
; COMPUTE_PGM_RSRC2:TGID_Y_EN: 0
; COMPUTE_PGM_RSRC2:TGID_Z_EN: 0
; COMPUTE_PGM_RSRC2:TIDIG_COMP_CNT: 0
	.section	.text._ZN7rocprim17ROCPRIM_400000_NS6detail17trampoline_kernelINS0_14default_configENS1_27scan_by_key_config_selectorIssEEZZNS1_16scan_by_key_implILNS1_25lookback_scan_determinismE0ELb1ES3_N6thrust23THRUST_200600_302600_NS6detail15normal_iteratorINS9_10device_ptrIsEEEESE_SE_sNS9_4plusIvEENS9_8equal_toIvEEsEE10hipError_tPvRmT2_T3_T4_T5_mT6_T7_P12ihipStream_tbENKUlT_T0_E_clISt17integral_constantIbLb0EESZ_EEDaSU_SV_EUlSU_E_NS1_11comp_targetILNS1_3genE0ELNS1_11target_archE4294967295ELNS1_3gpuE0ELNS1_3repE0EEENS1_30default_config_static_selectorELNS0_4arch9wavefront6targetE0EEEvT1_,"axG",@progbits,_ZN7rocprim17ROCPRIM_400000_NS6detail17trampoline_kernelINS0_14default_configENS1_27scan_by_key_config_selectorIssEEZZNS1_16scan_by_key_implILNS1_25lookback_scan_determinismE0ELb1ES3_N6thrust23THRUST_200600_302600_NS6detail15normal_iteratorINS9_10device_ptrIsEEEESE_SE_sNS9_4plusIvEENS9_8equal_toIvEEsEE10hipError_tPvRmT2_T3_T4_T5_mT6_T7_P12ihipStream_tbENKUlT_T0_E_clISt17integral_constantIbLb0EESZ_EEDaSU_SV_EUlSU_E_NS1_11comp_targetILNS1_3genE0ELNS1_11target_archE4294967295ELNS1_3gpuE0ELNS1_3repE0EEENS1_30default_config_static_selectorELNS0_4arch9wavefront6targetE0EEEvT1_,comdat
	.protected	_ZN7rocprim17ROCPRIM_400000_NS6detail17trampoline_kernelINS0_14default_configENS1_27scan_by_key_config_selectorIssEEZZNS1_16scan_by_key_implILNS1_25lookback_scan_determinismE0ELb1ES3_N6thrust23THRUST_200600_302600_NS6detail15normal_iteratorINS9_10device_ptrIsEEEESE_SE_sNS9_4plusIvEENS9_8equal_toIvEEsEE10hipError_tPvRmT2_T3_T4_T5_mT6_T7_P12ihipStream_tbENKUlT_T0_E_clISt17integral_constantIbLb0EESZ_EEDaSU_SV_EUlSU_E_NS1_11comp_targetILNS1_3genE0ELNS1_11target_archE4294967295ELNS1_3gpuE0ELNS1_3repE0EEENS1_30default_config_static_selectorELNS0_4arch9wavefront6targetE0EEEvT1_ ; -- Begin function _ZN7rocprim17ROCPRIM_400000_NS6detail17trampoline_kernelINS0_14default_configENS1_27scan_by_key_config_selectorIssEEZZNS1_16scan_by_key_implILNS1_25lookback_scan_determinismE0ELb1ES3_N6thrust23THRUST_200600_302600_NS6detail15normal_iteratorINS9_10device_ptrIsEEEESE_SE_sNS9_4plusIvEENS9_8equal_toIvEEsEE10hipError_tPvRmT2_T3_T4_T5_mT6_T7_P12ihipStream_tbENKUlT_T0_E_clISt17integral_constantIbLb0EESZ_EEDaSU_SV_EUlSU_E_NS1_11comp_targetILNS1_3genE0ELNS1_11target_archE4294967295ELNS1_3gpuE0ELNS1_3repE0EEENS1_30default_config_static_selectorELNS0_4arch9wavefront6targetE0EEEvT1_
	.globl	_ZN7rocprim17ROCPRIM_400000_NS6detail17trampoline_kernelINS0_14default_configENS1_27scan_by_key_config_selectorIssEEZZNS1_16scan_by_key_implILNS1_25lookback_scan_determinismE0ELb1ES3_N6thrust23THRUST_200600_302600_NS6detail15normal_iteratorINS9_10device_ptrIsEEEESE_SE_sNS9_4plusIvEENS9_8equal_toIvEEsEE10hipError_tPvRmT2_T3_T4_T5_mT6_T7_P12ihipStream_tbENKUlT_T0_E_clISt17integral_constantIbLb0EESZ_EEDaSU_SV_EUlSU_E_NS1_11comp_targetILNS1_3genE0ELNS1_11target_archE4294967295ELNS1_3gpuE0ELNS1_3repE0EEENS1_30default_config_static_selectorELNS0_4arch9wavefront6targetE0EEEvT1_
	.p2align	8
	.type	_ZN7rocprim17ROCPRIM_400000_NS6detail17trampoline_kernelINS0_14default_configENS1_27scan_by_key_config_selectorIssEEZZNS1_16scan_by_key_implILNS1_25lookback_scan_determinismE0ELb1ES3_N6thrust23THRUST_200600_302600_NS6detail15normal_iteratorINS9_10device_ptrIsEEEESE_SE_sNS9_4plusIvEENS9_8equal_toIvEEsEE10hipError_tPvRmT2_T3_T4_T5_mT6_T7_P12ihipStream_tbENKUlT_T0_E_clISt17integral_constantIbLb0EESZ_EEDaSU_SV_EUlSU_E_NS1_11comp_targetILNS1_3genE0ELNS1_11target_archE4294967295ELNS1_3gpuE0ELNS1_3repE0EEENS1_30default_config_static_selectorELNS0_4arch9wavefront6targetE0EEEvT1_,@function
_ZN7rocprim17ROCPRIM_400000_NS6detail17trampoline_kernelINS0_14default_configENS1_27scan_by_key_config_selectorIssEEZZNS1_16scan_by_key_implILNS1_25lookback_scan_determinismE0ELb1ES3_N6thrust23THRUST_200600_302600_NS6detail15normal_iteratorINS9_10device_ptrIsEEEESE_SE_sNS9_4plusIvEENS9_8equal_toIvEEsEE10hipError_tPvRmT2_T3_T4_T5_mT6_T7_P12ihipStream_tbENKUlT_T0_E_clISt17integral_constantIbLb0EESZ_EEDaSU_SV_EUlSU_E_NS1_11comp_targetILNS1_3genE0ELNS1_11target_archE4294967295ELNS1_3gpuE0ELNS1_3repE0EEENS1_30default_config_static_selectorELNS0_4arch9wavefront6targetE0EEEvT1_: ; @_ZN7rocprim17ROCPRIM_400000_NS6detail17trampoline_kernelINS0_14default_configENS1_27scan_by_key_config_selectorIssEEZZNS1_16scan_by_key_implILNS1_25lookback_scan_determinismE0ELb1ES3_N6thrust23THRUST_200600_302600_NS6detail15normal_iteratorINS9_10device_ptrIsEEEESE_SE_sNS9_4plusIvEENS9_8equal_toIvEEsEE10hipError_tPvRmT2_T3_T4_T5_mT6_T7_P12ihipStream_tbENKUlT_T0_E_clISt17integral_constantIbLb0EESZ_EEDaSU_SV_EUlSU_E_NS1_11comp_targetILNS1_3genE0ELNS1_11target_archE4294967295ELNS1_3gpuE0ELNS1_3repE0EEENS1_30default_config_static_selectorELNS0_4arch9wavefront6targetE0EEEvT1_
; %bb.0:
	.section	.rodata,"a",@progbits
	.p2align	6, 0x0
	.amdhsa_kernel _ZN7rocprim17ROCPRIM_400000_NS6detail17trampoline_kernelINS0_14default_configENS1_27scan_by_key_config_selectorIssEEZZNS1_16scan_by_key_implILNS1_25lookback_scan_determinismE0ELb1ES3_N6thrust23THRUST_200600_302600_NS6detail15normal_iteratorINS9_10device_ptrIsEEEESE_SE_sNS9_4plusIvEENS9_8equal_toIvEEsEE10hipError_tPvRmT2_T3_T4_T5_mT6_T7_P12ihipStream_tbENKUlT_T0_E_clISt17integral_constantIbLb0EESZ_EEDaSU_SV_EUlSU_E_NS1_11comp_targetILNS1_3genE0ELNS1_11target_archE4294967295ELNS1_3gpuE0ELNS1_3repE0EEENS1_30default_config_static_selectorELNS0_4arch9wavefront6targetE0EEEvT1_
		.amdhsa_group_segment_fixed_size 0
		.amdhsa_private_segment_fixed_size 0
		.amdhsa_kernarg_size 112
		.amdhsa_user_sgpr_count 6
		.amdhsa_user_sgpr_private_segment_buffer 1
		.amdhsa_user_sgpr_dispatch_ptr 0
		.amdhsa_user_sgpr_queue_ptr 0
		.amdhsa_user_sgpr_kernarg_segment_ptr 1
		.amdhsa_user_sgpr_dispatch_id 0
		.amdhsa_user_sgpr_flat_scratch_init 0
		.amdhsa_user_sgpr_private_segment_size 0
		.amdhsa_wavefront_size32 1
		.amdhsa_uses_dynamic_stack 0
		.amdhsa_system_sgpr_private_segment_wavefront_offset 0
		.amdhsa_system_sgpr_workgroup_id_x 1
		.amdhsa_system_sgpr_workgroup_id_y 0
		.amdhsa_system_sgpr_workgroup_id_z 0
		.amdhsa_system_sgpr_workgroup_info 0
		.amdhsa_system_vgpr_workitem_id 0
		.amdhsa_next_free_vgpr 1
		.amdhsa_next_free_sgpr 1
		.amdhsa_reserve_vcc 0
		.amdhsa_reserve_flat_scratch 0
		.amdhsa_float_round_mode_32 0
		.amdhsa_float_round_mode_16_64 0
		.amdhsa_float_denorm_mode_32 3
		.amdhsa_float_denorm_mode_16_64 3
		.amdhsa_dx10_clamp 1
		.amdhsa_ieee_mode 1
		.amdhsa_fp16_overflow 0
		.amdhsa_workgroup_processor_mode 1
		.amdhsa_memory_ordered 1
		.amdhsa_forward_progress 1
		.amdhsa_shared_vgpr_count 0
		.amdhsa_exception_fp_ieee_invalid_op 0
		.amdhsa_exception_fp_denorm_src 0
		.amdhsa_exception_fp_ieee_div_zero 0
		.amdhsa_exception_fp_ieee_overflow 0
		.amdhsa_exception_fp_ieee_underflow 0
		.amdhsa_exception_fp_ieee_inexact 0
		.amdhsa_exception_int_div_zero 0
	.end_amdhsa_kernel
	.section	.text._ZN7rocprim17ROCPRIM_400000_NS6detail17trampoline_kernelINS0_14default_configENS1_27scan_by_key_config_selectorIssEEZZNS1_16scan_by_key_implILNS1_25lookback_scan_determinismE0ELb1ES3_N6thrust23THRUST_200600_302600_NS6detail15normal_iteratorINS9_10device_ptrIsEEEESE_SE_sNS9_4plusIvEENS9_8equal_toIvEEsEE10hipError_tPvRmT2_T3_T4_T5_mT6_T7_P12ihipStream_tbENKUlT_T0_E_clISt17integral_constantIbLb0EESZ_EEDaSU_SV_EUlSU_E_NS1_11comp_targetILNS1_3genE0ELNS1_11target_archE4294967295ELNS1_3gpuE0ELNS1_3repE0EEENS1_30default_config_static_selectorELNS0_4arch9wavefront6targetE0EEEvT1_,"axG",@progbits,_ZN7rocprim17ROCPRIM_400000_NS6detail17trampoline_kernelINS0_14default_configENS1_27scan_by_key_config_selectorIssEEZZNS1_16scan_by_key_implILNS1_25lookback_scan_determinismE0ELb1ES3_N6thrust23THRUST_200600_302600_NS6detail15normal_iteratorINS9_10device_ptrIsEEEESE_SE_sNS9_4plusIvEENS9_8equal_toIvEEsEE10hipError_tPvRmT2_T3_T4_T5_mT6_T7_P12ihipStream_tbENKUlT_T0_E_clISt17integral_constantIbLb0EESZ_EEDaSU_SV_EUlSU_E_NS1_11comp_targetILNS1_3genE0ELNS1_11target_archE4294967295ELNS1_3gpuE0ELNS1_3repE0EEENS1_30default_config_static_selectorELNS0_4arch9wavefront6targetE0EEEvT1_,comdat
.Lfunc_end569:
	.size	_ZN7rocprim17ROCPRIM_400000_NS6detail17trampoline_kernelINS0_14default_configENS1_27scan_by_key_config_selectorIssEEZZNS1_16scan_by_key_implILNS1_25lookback_scan_determinismE0ELb1ES3_N6thrust23THRUST_200600_302600_NS6detail15normal_iteratorINS9_10device_ptrIsEEEESE_SE_sNS9_4plusIvEENS9_8equal_toIvEEsEE10hipError_tPvRmT2_T3_T4_T5_mT6_T7_P12ihipStream_tbENKUlT_T0_E_clISt17integral_constantIbLb0EESZ_EEDaSU_SV_EUlSU_E_NS1_11comp_targetILNS1_3genE0ELNS1_11target_archE4294967295ELNS1_3gpuE0ELNS1_3repE0EEENS1_30default_config_static_selectorELNS0_4arch9wavefront6targetE0EEEvT1_, .Lfunc_end569-_ZN7rocprim17ROCPRIM_400000_NS6detail17trampoline_kernelINS0_14default_configENS1_27scan_by_key_config_selectorIssEEZZNS1_16scan_by_key_implILNS1_25lookback_scan_determinismE0ELb1ES3_N6thrust23THRUST_200600_302600_NS6detail15normal_iteratorINS9_10device_ptrIsEEEESE_SE_sNS9_4plusIvEENS9_8equal_toIvEEsEE10hipError_tPvRmT2_T3_T4_T5_mT6_T7_P12ihipStream_tbENKUlT_T0_E_clISt17integral_constantIbLb0EESZ_EEDaSU_SV_EUlSU_E_NS1_11comp_targetILNS1_3genE0ELNS1_11target_archE4294967295ELNS1_3gpuE0ELNS1_3repE0EEENS1_30default_config_static_selectorELNS0_4arch9wavefront6targetE0EEEvT1_
                                        ; -- End function
	.set _ZN7rocprim17ROCPRIM_400000_NS6detail17trampoline_kernelINS0_14default_configENS1_27scan_by_key_config_selectorIssEEZZNS1_16scan_by_key_implILNS1_25lookback_scan_determinismE0ELb1ES3_N6thrust23THRUST_200600_302600_NS6detail15normal_iteratorINS9_10device_ptrIsEEEESE_SE_sNS9_4plusIvEENS9_8equal_toIvEEsEE10hipError_tPvRmT2_T3_T4_T5_mT6_T7_P12ihipStream_tbENKUlT_T0_E_clISt17integral_constantIbLb0EESZ_EEDaSU_SV_EUlSU_E_NS1_11comp_targetILNS1_3genE0ELNS1_11target_archE4294967295ELNS1_3gpuE0ELNS1_3repE0EEENS1_30default_config_static_selectorELNS0_4arch9wavefront6targetE0EEEvT1_.num_vgpr, 0
	.set _ZN7rocprim17ROCPRIM_400000_NS6detail17trampoline_kernelINS0_14default_configENS1_27scan_by_key_config_selectorIssEEZZNS1_16scan_by_key_implILNS1_25lookback_scan_determinismE0ELb1ES3_N6thrust23THRUST_200600_302600_NS6detail15normal_iteratorINS9_10device_ptrIsEEEESE_SE_sNS9_4plusIvEENS9_8equal_toIvEEsEE10hipError_tPvRmT2_T3_T4_T5_mT6_T7_P12ihipStream_tbENKUlT_T0_E_clISt17integral_constantIbLb0EESZ_EEDaSU_SV_EUlSU_E_NS1_11comp_targetILNS1_3genE0ELNS1_11target_archE4294967295ELNS1_3gpuE0ELNS1_3repE0EEENS1_30default_config_static_selectorELNS0_4arch9wavefront6targetE0EEEvT1_.num_agpr, 0
	.set _ZN7rocprim17ROCPRIM_400000_NS6detail17trampoline_kernelINS0_14default_configENS1_27scan_by_key_config_selectorIssEEZZNS1_16scan_by_key_implILNS1_25lookback_scan_determinismE0ELb1ES3_N6thrust23THRUST_200600_302600_NS6detail15normal_iteratorINS9_10device_ptrIsEEEESE_SE_sNS9_4plusIvEENS9_8equal_toIvEEsEE10hipError_tPvRmT2_T3_T4_T5_mT6_T7_P12ihipStream_tbENKUlT_T0_E_clISt17integral_constantIbLb0EESZ_EEDaSU_SV_EUlSU_E_NS1_11comp_targetILNS1_3genE0ELNS1_11target_archE4294967295ELNS1_3gpuE0ELNS1_3repE0EEENS1_30default_config_static_selectorELNS0_4arch9wavefront6targetE0EEEvT1_.numbered_sgpr, 0
	.set _ZN7rocprim17ROCPRIM_400000_NS6detail17trampoline_kernelINS0_14default_configENS1_27scan_by_key_config_selectorIssEEZZNS1_16scan_by_key_implILNS1_25lookback_scan_determinismE0ELb1ES3_N6thrust23THRUST_200600_302600_NS6detail15normal_iteratorINS9_10device_ptrIsEEEESE_SE_sNS9_4plusIvEENS9_8equal_toIvEEsEE10hipError_tPvRmT2_T3_T4_T5_mT6_T7_P12ihipStream_tbENKUlT_T0_E_clISt17integral_constantIbLb0EESZ_EEDaSU_SV_EUlSU_E_NS1_11comp_targetILNS1_3genE0ELNS1_11target_archE4294967295ELNS1_3gpuE0ELNS1_3repE0EEENS1_30default_config_static_selectorELNS0_4arch9wavefront6targetE0EEEvT1_.num_named_barrier, 0
	.set _ZN7rocprim17ROCPRIM_400000_NS6detail17trampoline_kernelINS0_14default_configENS1_27scan_by_key_config_selectorIssEEZZNS1_16scan_by_key_implILNS1_25lookback_scan_determinismE0ELb1ES3_N6thrust23THRUST_200600_302600_NS6detail15normal_iteratorINS9_10device_ptrIsEEEESE_SE_sNS9_4plusIvEENS9_8equal_toIvEEsEE10hipError_tPvRmT2_T3_T4_T5_mT6_T7_P12ihipStream_tbENKUlT_T0_E_clISt17integral_constantIbLb0EESZ_EEDaSU_SV_EUlSU_E_NS1_11comp_targetILNS1_3genE0ELNS1_11target_archE4294967295ELNS1_3gpuE0ELNS1_3repE0EEENS1_30default_config_static_selectorELNS0_4arch9wavefront6targetE0EEEvT1_.private_seg_size, 0
	.set _ZN7rocprim17ROCPRIM_400000_NS6detail17trampoline_kernelINS0_14default_configENS1_27scan_by_key_config_selectorIssEEZZNS1_16scan_by_key_implILNS1_25lookback_scan_determinismE0ELb1ES3_N6thrust23THRUST_200600_302600_NS6detail15normal_iteratorINS9_10device_ptrIsEEEESE_SE_sNS9_4plusIvEENS9_8equal_toIvEEsEE10hipError_tPvRmT2_T3_T4_T5_mT6_T7_P12ihipStream_tbENKUlT_T0_E_clISt17integral_constantIbLb0EESZ_EEDaSU_SV_EUlSU_E_NS1_11comp_targetILNS1_3genE0ELNS1_11target_archE4294967295ELNS1_3gpuE0ELNS1_3repE0EEENS1_30default_config_static_selectorELNS0_4arch9wavefront6targetE0EEEvT1_.uses_vcc, 0
	.set _ZN7rocprim17ROCPRIM_400000_NS6detail17trampoline_kernelINS0_14default_configENS1_27scan_by_key_config_selectorIssEEZZNS1_16scan_by_key_implILNS1_25lookback_scan_determinismE0ELb1ES3_N6thrust23THRUST_200600_302600_NS6detail15normal_iteratorINS9_10device_ptrIsEEEESE_SE_sNS9_4plusIvEENS9_8equal_toIvEEsEE10hipError_tPvRmT2_T3_T4_T5_mT6_T7_P12ihipStream_tbENKUlT_T0_E_clISt17integral_constantIbLb0EESZ_EEDaSU_SV_EUlSU_E_NS1_11comp_targetILNS1_3genE0ELNS1_11target_archE4294967295ELNS1_3gpuE0ELNS1_3repE0EEENS1_30default_config_static_selectorELNS0_4arch9wavefront6targetE0EEEvT1_.uses_flat_scratch, 0
	.set _ZN7rocprim17ROCPRIM_400000_NS6detail17trampoline_kernelINS0_14default_configENS1_27scan_by_key_config_selectorIssEEZZNS1_16scan_by_key_implILNS1_25lookback_scan_determinismE0ELb1ES3_N6thrust23THRUST_200600_302600_NS6detail15normal_iteratorINS9_10device_ptrIsEEEESE_SE_sNS9_4plusIvEENS9_8equal_toIvEEsEE10hipError_tPvRmT2_T3_T4_T5_mT6_T7_P12ihipStream_tbENKUlT_T0_E_clISt17integral_constantIbLb0EESZ_EEDaSU_SV_EUlSU_E_NS1_11comp_targetILNS1_3genE0ELNS1_11target_archE4294967295ELNS1_3gpuE0ELNS1_3repE0EEENS1_30default_config_static_selectorELNS0_4arch9wavefront6targetE0EEEvT1_.has_dyn_sized_stack, 0
	.set _ZN7rocprim17ROCPRIM_400000_NS6detail17trampoline_kernelINS0_14default_configENS1_27scan_by_key_config_selectorIssEEZZNS1_16scan_by_key_implILNS1_25lookback_scan_determinismE0ELb1ES3_N6thrust23THRUST_200600_302600_NS6detail15normal_iteratorINS9_10device_ptrIsEEEESE_SE_sNS9_4plusIvEENS9_8equal_toIvEEsEE10hipError_tPvRmT2_T3_T4_T5_mT6_T7_P12ihipStream_tbENKUlT_T0_E_clISt17integral_constantIbLb0EESZ_EEDaSU_SV_EUlSU_E_NS1_11comp_targetILNS1_3genE0ELNS1_11target_archE4294967295ELNS1_3gpuE0ELNS1_3repE0EEENS1_30default_config_static_selectorELNS0_4arch9wavefront6targetE0EEEvT1_.has_recursion, 0
	.set _ZN7rocprim17ROCPRIM_400000_NS6detail17trampoline_kernelINS0_14default_configENS1_27scan_by_key_config_selectorIssEEZZNS1_16scan_by_key_implILNS1_25lookback_scan_determinismE0ELb1ES3_N6thrust23THRUST_200600_302600_NS6detail15normal_iteratorINS9_10device_ptrIsEEEESE_SE_sNS9_4plusIvEENS9_8equal_toIvEEsEE10hipError_tPvRmT2_T3_T4_T5_mT6_T7_P12ihipStream_tbENKUlT_T0_E_clISt17integral_constantIbLb0EESZ_EEDaSU_SV_EUlSU_E_NS1_11comp_targetILNS1_3genE0ELNS1_11target_archE4294967295ELNS1_3gpuE0ELNS1_3repE0EEENS1_30default_config_static_selectorELNS0_4arch9wavefront6targetE0EEEvT1_.has_indirect_call, 0
	.section	.AMDGPU.csdata,"",@progbits
; Kernel info:
; codeLenInByte = 0
; TotalNumSgprs: 0
; NumVgprs: 0
; ScratchSize: 0
; MemoryBound: 0
; FloatMode: 240
; IeeeMode: 1
; LDSByteSize: 0 bytes/workgroup (compile time only)
; SGPRBlocks: 0
; VGPRBlocks: 0
; NumSGPRsForWavesPerEU: 1
; NumVGPRsForWavesPerEU: 1
; Occupancy: 16
; WaveLimiterHint : 0
; COMPUTE_PGM_RSRC2:SCRATCH_EN: 0
; COMPUTE_PGM_RSRC2:USER_SGPR: 6
; COMPUTE_PGM_RSRC2:TRAP_HANDLER: 0
; COMPUTE_PGM_RSRC2:TGID_X_EN: 1
; COMPUTE_PGM_RSRC2:TGID_Y_EN: 0
; COMPUTE_PGM_RSRC2:TGID_Z_EN: 0
; COMPUTE_PGM_RSRC2:TIDIG_COMP_CNT: 0
	.section	.text._ZN7rocprim17ROCPRIM_400000_NS6detail17trampoline_kernelINS0_14default_configENS1_27scan_by_key_config_selectorIssEEZZNS1_16scan_by_key_implILNS1_25lookback_scan_determinismE0ELb1ES3_N6thrust23THRUST_200600_302600_NS6detail15normal_iteratorINS9_10device_ptrIsEEEESE_SE_sNS9_4plusIvEENS9_8equal_toIvEEsEE10hipError_tPvRmT2_T3_T4_T5_mT6_T7_P12ihipStream_tbENKUlT_T0_E_clISt17integral_constantIbLb0EESZ_EEDaSU_SV_EUlSU_E_NS1_11comp_targetILNS1_3genE10ELNS1_11target_archE1201ELNS1_3gpuE5ELNS1_3repE0EEENS1_30default_config_static_selectorELNS0_4arch9wavefront6targetE0EEEvT1_,"axG",@progbits,_ZN7rocprim17ROCPRIM_400000_NS6detail17trampoline_kernelINS0_14default_configENS1_27scan_by_key_config_selectorIssEEZZNS1_16scan_by_key_implILNS1_25lookback_scan_determinismE0ELb1ES3_N6thrust23THRUST_200600_302600_NS6detail15normal_iteratorINS9_10device_ptrIsEEEESE_SE_sNS9_4plusIvEENS9_8equal_toIvEEsEE10hipError_tPvRmT2_T3_T4_T5_mT6_T7_P12ihipStream_tbENKUlT_T0_E_clISt17integral_constantIbLb0EESZ_EEDaSU_SV_EUlSU_E_NS1_11comp_targetILNS1_3genE10ELNS1_11target_archE1201ELNS1_3gpuE5ELNS1_3repE0EEENS1_30default_config_static_selectorELNS0_4arch9wavefront6targetE0EEEvT1_,comdat
	.protected	_ZN7rocprim17ROCPRIM_400000_NS6detail17trampoline_kernelINS0_14default_configENS1_27scan_by_key_config_selectorIssEEZZNS1_16scan_by_key_implILNS1_25lookback_scan_determinismE0ELb1ES3_N6thrust23THRUST_200600_302600_NS6detail15normal_iteratorINS9_10device_ptrIsEEEESE_SE_sNS9_4plusIvEENS9_8equal_toIvEEsEE10hipError_tPvRmT2_T3_T4_T5_mT6_T7_P12ihipStream_tbENKUlT_T0_E_clISt17integral_constantIbLb0EESZ_EEDaSU_SV_EUlSU_E_NS1_11comp_targetILNS1_3genE10ELNS1_11target_archE1201ELNS1_3gpuE5ELNS1_3repE0EEENS1_30default_config_static_selectorELNS0_4arch9wavefront6targetE0EEEvT1_ ; -- Begin function _ZN7rocprim17ROCPRIM_400000_NS6detail17trampoline_kernelINS0_14default_configENS1_27scan_by_key_config_selectorIssEEZZNS1_16scan_by_key_implILNS1_25lookback_scan_determinismE0ELb1ES3_N6thrust23THRUST_200600_302600_NS6detail15normal_iteratorINS9_10device_ptrIsEEEESE_SE_sNS9_4plusIvEENS9_8equal_toIvEEsEE10hipError_tPvRmT2_T3_T4_T5_mT6_T7_P12ihipStream_tbENKUlT_T0_E_clISt17integral_constantIbLb0EESZ_EEDaSU_SV_EUlSU_E_NS1_11comp_targetILNS1_3genE10ELNS1_11target_archE1201ELNS1_3gpuE5ELNS1_3repE0EEENS1_30default_config_static_selectorELNS0_4arch9wavefront6targetE0EEEvT1_
	.globl	_ZN7rocprim17ROCPRIM_400000_NS6detail17trampoline_kernelINS0_14default_configENS1_27scan_by_key_config_selectorIssEEZZNS1_16scan_by_key_implILNS1_25lookback_scan_determinismE0ELb1ES3_N6thrust23THRUST_200600_302600_NS6detail15normal_iteratorINS9_10device_ptrIsEEEESE_SE_sNS9_4plusIvEENS9_8equal_toIvEEsEE10hipError_tPvRmT2_T3_T4_T5_mT6_T7_P12ihipStream_tbENKUlT_T0_E_clISt17integral_constantIbLb0EESZ_EEDaSU_SV_EUlSU_E_NS1_11comp_targetILNS1_3genE10ELNS1_11target_archE1201ELNS1_3gpuE5ELNS1_3repE0EEENS1_30default_config_static_selectorELNS0_4arch9wavefront6targetE0EEEvT1_
	.p2align	8
	.type	_ZN7rocprim17ROCPRIM_400000_NS6detail17trampoline_kernelINS0_14default_configENS1_27scan_by_key_config_selectorIssEEZZNS1_16scan_by_key_implILNS1_25lookback_scan_determinismE0ELb1ES3_N6thrust23THRUST_200600_302600_NS6detail15normal_iteratorINS9_10device_ptrIsEEEESE_SE_sNS9_4plusIvEENS9_8equal_toIvEEsEE10hipError_tPvRmT2_T3_T4_T5_mT6_T7_P12ihipStream_tbENKUlT_T0_E_clISt17integral_constantIbLb0EESZ_EEDaSU_SV_EUlSU_E_NS1_11comp_targetILNS1_3genE10ELNS1_11target_archE1201ELNS1_3gpuE5ELNS1_3repE0EEENS1_30default_config_static_selectorELNS0_4arch9wavefront6targetE0EEEvT1_,@function
_ZN7rocprim17ROCPRIM_400000_NS6detail17trampoline_kernelINS0_14default_configENS1_27scan_by_key_config_selectorIssEEZZNS1_16scan_by_key_implILNS1_25lookback_scan_determinismE0ELb1ES3_N6thrust23THRUST_200600_302600_NS6detail15normal_iteratorINS9_10device_ptrIsEEEESE_SE_sNS9_4plusIvEENS9_8equal_toIvEEsEE10hipError_tPvRmT2_T3_T4_T5_mT6_T7_P12ihipStream_tbENKUlT_T0_E_clISt17integral_constantIbLb0EESZ_EEDaSU_SV_EUlSU_E_NS1_11comp_targetILNS1_3genE10ELNS1_11target_archE1201ELNS1_3gpuE5ELNS1_3repE0EEENS1_30default_config_static_selectorELNS0_4arch9wavefront6targetE0EEEvT1_: ; @_ZN7rocprim17ROCPRIM_400000_NS6detail17trampoline_kernelINS0_14default_configENS1_27scan_by_key_config_selectorIssEEZZNS1_16scan_by_key_implILNS1_25lookback_scan_determinismE0ELb1ES3_N6thrust23THRUST_200600_302600_NS6detail15normal_iteratorINS9_10device_ptrIsEEEESE_SE_sNS9_4plusIvEENS9_8equal_toIvEEsEE10hipError_tPvRmT2_T3_T4_T5_mT6_T7_P12ihipStream_tbENKUlT_T0_E_clISt17integral_constantIbLb0EESZ_EEDaSU_SV_EUlSU_E_NS1_11comp_targetILNS1_3genE10ELNS1_11target_archE1201ELNS1_3gpuE5ELNS1_3repE0EEENS1_30default_config_static_selectorELNS0_4arch9wavefront6targetE0EEEvT1_
; %bb.0:
	.section	.rodata,"a",@progbits
	.p2align	6, 0x0
	.amdhsa_kernel _ZN7rocprim17ROCPRIM_400000_NS6detail17trampoline_kernelINS0_14default_configENS1_27scan_by_key_config_selectorIssEEZZNS1_16scan_by_key_implILNS1_25lookback_scan_determinismE0ELb1ES3_N6thrust23THRUST_200600_302600_NS6detail15normal_iteratorINS9_10device_ptrIsEEEESE_SE_sNS9_4plusIvEENS9_8equal_toIvEEsEE10hipError_tPvRmT2_T3_T4_T5_mT6_T7_P12ihipStream_tbENKUlT_T0_E_clISt17integral_constantIbLb0EESZ_EEDaSU_SV_EUlSU_E_NS1_11comp_targetILNS1_3genE10ELNS1_11target_archE1201ELNS1_3gpuE5ELNS1_3repE0EEENS1_30default_config_static_selectorELNS0_4arch9wavefront6targetE0EEEvT1_
		.amdhsa_group_segment_fixed_size 0
		.amdhsa_private_segment_fixed_size 0
		.amdhsa_kernarg_size 112
		.amdhsa_user_sgpr_count 6
		.amdhsa_user_sgpr_private_segment_buffer 1
		.amdhsa_user_sgpr_dispatch_ptr 0
		.amdhsa_user_sgpr_queue_ptr 0
		.amdhsa_user_sgpr_kernarg_segment_ptr 1
		.amdhsa_user_sgpr_dispatch_id 0
		.amdhsa_user_sgpr_flat_scratch_init 0
		.amdhsa_user_sgpr_private_segment_size 0
		.amdhsa_wavefront_size32 1
		.amdhsa_uses_dynamic_stack 0
		.amdhsa_system_sgpr_private_segment_wavefront_offset 0
		.amdhsa_system_sgpr_workgroup_id_x 1
		.amdhsa_system_sgpr_workgroup_id_y 0
		.amdhsa_system_sgpr_workgroup_id_z 0
		.amdhsa_system_sgpr_workgroup_info 0
		.amdhsa_system_vgpr_workitem_id 0
		.amdhsa_next_free_vgpr 1
		.amdhsa_next_free_sgpr 1
		.amdhsa_reserve_vcc 0
		.amdhsa_reserve_flat_scratch 0
		.amdhsa_float_round_mode_32 0
		.amdhsa_float_round_mode_16_64 0
		.amdhsa_float_denorm_mode_32 3
		.amdhsa_float_denorm_mode_16_64 3
		.amdhsa_dx10_clamp 1
		.amdhsa_ieee_mode 1
		.amdhsa_fp16_overflow 0
		.amdhsa_workgroup_processor_mode 1
		.amdhsa_memory_ordered 1
		.amdhsa_forward_progress 1
		.amdhsa_shared_vgpr_count 0
		.amdhsa_exception_fp_ieee_invalid_op 0
		.amdhsa_exception_fp_denorm_src 0
		.amdhsa_exception_fp_ieee_div_zero 0
		.amdhsa_exception_fp_ieee_overflow 0
		.amdhsa_exception_fp_ieee_underflow 0
		.amdhsa_exception_fp_ieee_inexact 0
		.amdhsa_exception_int_div_zero 0
	.end_amdhsa_kernel
	.section	.text._ZN7rocprim17ROCPRIM_400000_NS6detail17trampoline_kernelINS0_14default_configENS1_27scan_by_key_config_selectorIssEEZZNS1_16scan_by_key_implILNS1_25lookback_scan_determinismE0ELb1ES3_N6thrust23THRUST_200600_302600_NS6detail15normal_iteratorINS9_10device_ptrIsEEEESE_SE_sNS9_4plusIvEENS9_8equal_toIvEEsEE10hipError_tPvRmT2_T3_T4_T5_mT6_T7_P12ihipStream_tbENKUlT_T0_E_clISt17integral_constantIbLb0EESZ_EEDaSU_SV_EUlSU_E_NS1_11comp_targetILNS1_3genE10ELNS1_11target_archE1201ELNS1_3gpuE5ELNS1_3repE0EEENS1_30default_config_static_selectorELNS0_4arch9wavefront6targetE0EEEvT1_,"axG",@progbits,_ZN7rocprim17ROCPRIM_400000_NS6detail17trampoline_kernelINS0_14default_configENS1_27scan_by_key_config_selectorIssEEZZNS1_16scan_by_key_implILNS1_25lookback_scan_determinismE0ELb1ES3_N6thrust23THRUST_200600_302600_NS6detail15normal_iteratorINS9_10device_ptrIsEEEESE_SE_sNS9_4plusIvEENS9_8equal_toIvEEsEE10hipError_tPvRmT2_T3_T4_T5_mT6_T7_P12ihipStream_tbENKUlT_T0_E_clISt17integral_constantIbLb0EESZ_EEDaSU_SV_EUlSU_E_NS1_11comp_targetILNS1_3genE10ELNS1_11target_archE1201ELNS1_3gpuE5ELNS1_3repE0EEENS1_30default_config_static_selectorELNS0_4arch9wavefront6targetE0EEEvT1_,comdat
.Lfunc_end570:
	.size	_ZN7rocprim17ROCPRIM_400000_NS6detail17trampoline_kernelINS0_14default_configENS1_27scan_by_key_config_selectorIssEEZZNS1_16scan_by_key_implILNS1_25lookback_scan_determinismE0ELb1ES3_N6thrust23THRUST_200600_302600_NS6detail15normal_iteratorINS9_10device_ptrIsEEEESE_SE_sNS9_4plusIvEENS9_8equal_toIvEEsEE10hipError_tPvRmT2_T3_T4_T5_mT6_T7_P12ihipStream_tbENKUlT_T0_E_clISt17integral_constantIbLb0EESZ_EEDaSU_SV_EUlSU_E_NS1_11comp_targetILNS1_3genE10ELNS1_11target_archE1201ELNS1_3gpuE5ELNS1_3repE0EEENS1_30default_config_static_selectorELNS0_4arch9wavefront6targetE0EEEvT1_, .Lfunc_end570-_ZN7rocprim17ROCPRIM_400000_NS6detail17trampoline_kernelINS0_14default_configENS1_27scan_by_key_config_selectorIssEEZZNS1_16scan_by_key_implILNS1_25lookback_scan_determinismE0ELb1ES3_N6thrust23THRUST_200600_302600_NS6detail15normal_iteratorINS9_10device_ptrIsEEEESE_SE_sNS9_4plusIvEENS9_8equal_toIvEEsEE10hipError_tPvRmT2_T3_T4_T5_mT6_T7_P12ihipStream_tbENKUlT_T0_E_clISt17integral_constantIbLb0EESZ_EEDaSU_SV_EUlSU_E_NS1_11comp_targetILNS1_3genE10ELNS1_11target_archE1201ELNS1_3gpuE5ELNS1_3repE0EEENS1_30default_config_static_selectorELNS0_4arch9wavefront6targetE0EEEvT1_
                                        ; -- End function
	.set _ZN7rocprim17ROCPRIM_400000_NS6detail17trampoline_kernelINS0_14default_configENS1_27scan_by_key_config_selectorIssEEZZNS1_16scan_by_key_implILNS1_25lookback_scan_determinismE0ELb1ES3_N6thrust23THRUST_200600_302600_NS6detail15normal_iteratorINS9_10device_ptrIsEEEESE_SE_sNS9_4plusIvEENS9_8equal_toIvEEsEE10hipError_tPvRmT2_T3_T4_T5_mT6_T7_P12ihipStream_tbENKUlT_T0_E_clISt17integral_constantIbLb0EESZ_EEDaSU_SV_EUlSU_E_NS1_11comp_targetILNS1_3genE10ELNS1_11target_archE1201ELNS1_3gpuE5ELNS1_3repE0EEENS1_30default_config_static_selectorELNS0_4arch9wavefront6targetE0EEEvT1_.num_vgpr, 0
	.set _ZN7rocprim17ROCPRIM_400000_NS6detail17trampoline_kernelINS0_14default_configENS1_27scan_by_key_config_selectorIssEEZZNS1_16scan_by_key_implILNS1_25lookback_scan_determinismE0ELb1ES3_N6thrust23THRUST_200600_302600_NS6detail15normal_iteratorINS9_10device_ptrIsEEEESE_SE_sNS9_4plusIvEENS9_8equal_toIvEEsEE10hipError_tPvRmT2_T3_T4_T5_mT6_T7_P12ihipStream_tbENKUlT_T0_E_clISt17integral_constantIbLb0EESZ_EEDaSU_SV_EUlSU_E_NS1_11comp_targetILNS1_3genE10ELNS1_11target_archE1201ELNS1_3gpuE5ELNS1_3repE0EEENS1_30default_config_static_selectorELNS0_4arch9wavefront6targetE0EEEvT1_.num_agpr, 0
	.set _ZN7rocprim17ROCPRIM_400000_NS6detail17trampoline_kernelINS0_14default_configENS1_27scan_by_key_config_selectorIssEEZZNS1_16scan_by_key_implILNS1_25lookback_scan_determinismE0ELb1ES3_N6thrust23THRUST_200600_302600_NS6detail15normal_iteratorINS9_10device_ptrIsEEEESE_SE_sNS9_4plusIvEENS9_8equal_toIvEEsEE10hipError_tPvRmT2_T3_T4_T5_mT6_T7_P12ihipStream_tbENKUlT_T0_E_clISt17integral_constantIbLb0EESZ_EEDaSU_SV_EUlSU_E_NS1_11comp_targetILNS1_3genE10ELNS1_11target_archE1201ELNS1_3gpuE5ELNS1_3repE0EEENS1_30default_config_static_selectorELNS0_4arch9wavefront6targetE0EEEvT1_.numbered_sgpr, 0
	.set _ZN7rocprim17ROCPRIM_400000_NS6detail17trampoline_kernelINS0_14default_configENS1_27scan_by_key_config_selectorIssEEZZNS1_16scan_by_key_implILNS1_25lookback_scan_determinismE0ELb1ES3_N6thrust23THRUST_200600_302600_NS6detail15normal_iteratorINS9_10device_ptrIsEEEESE_SE_sNS9_4plusIvEENS9_8equal_toIvEEsEE10hipError_tPvRmT2_T3_T4_T5_mT6_T7_P12ihipStream_tbENKUlT_T0_E_clISt17integral_constantIbLb0EESZ_EEDaSU_SV_EUlSU_E_NS1_11comp_targetILNS1_3genE10ELNS1_11target_archE1201ELNS1_3gpuE5ELNS1_3repE0EEENS1_30default_config_static_selectorELNS0_4arch9wavefront6targetE0EEEvT1_.num_named_barrier, 0
	.set _ZN7rocprim17ROCPRIM_400000_NS6detail17trampoline_kernelINS0_14default_configENS1_27scan_by_key_config_selectorIssEEZZNS1_16scan_by_key_implILNS1_25lookback_scan_determinismE0ELb1ES3_N6thrust23THRUST_200600_302600_NS6detail15normal_iteratorINS9_10device_ptrIsEEEESE_SE_sNS9_4plusIvEENS9_8equal_toIvEEsEE10hipError_tPvRmT2_T3_T4_T5_mT6_T7_P12ihipStream_tbENKUlT_T0_E_clISt17integral_constantIbLb0EESZ_EEDaSU_SV_EUlSU_E_NS1_11comp_targetILNS1_3genE10ELNS1_11target_archE1201ELNS1_3gpuE5ELNS1_3repE0EEENS1_30default_config_static_selectorELNS0_4arch9wavefront6targetE0EEEvT1_.private_seg_size, 0
	.set _ZN7rocprim17ROCPRIM_400000_NS6detail17trampoline_kernelINS0_14default_configENS1_27scan_by_key_config_selectorIssEEZZNS1_16scan_by_key_implILNS1_25lookback_scan_determinismE0ELb1ES3_N6thrust23THRUST_200600_302600_NS6detail15normal_iteratorINS9_10device_ptrIsEEEESE_SE_sNS9_4plusIvEENS9_8equal_toIvEEsEE10hipError_tPvRmT2_T3_T4_T5_mT6_T7_P12ihipStream_tbENKUlT_T0_E_clISt17integral_constantIbLb0EESZ_EEDaSU_SV_EUlSU_E_NS1_11comp_targetILNS1_3genE10ELNS1_11target_archE1201ELNS1_3gpuE5ELNS1_3repE0EEENS1_30default_config_static_selectorELNS0_4arch9wavefront6targetE0EEEvT1_.uses_vcc, 0
	.set _ZN7rocprim17ROCPRIM_400000_NS6detail17trampoline_kernelINS0_14default_configENS1_27scan_by_key_config_selectorIssEEZZNS1_16scan_by_key_implILNS1_25lookback_scan_determinismE0ELb1ES3_N6thrust23THRUST_200600_302600_NS6detail15normal_iteratorINS9_10device_ptrIsEEEESE_SE_sNS9_4plusIvEENS9_8equal_toIvEEsEE10hipError_tPvRmT2_T3_T4_T5_mT6_T7_P12ihipStream_tbENKUlT_T0_E_clISt17integral_constantIbLb0EESZ_EEDaSU_SV_EUlSU_E_NS1_11comp_targetILNS1_3genE10ELNS1_11target_archE1201ELNS1_3gpuE5ELNS1_3repE0EEENS1_30default_config_static_selectorELNS0_4arch9wavefront6targetE0EEEvT1_.uses_flat_scratch, 0
	.set _ZN7rocprim17ROCPRIM_400000_NS6detail17trampoline_kernelINS0_14default_configENS1_27scan_by_key_config_selectorIssEEZZNS1_16scan_by_key_implILNS1_25lookback_scan_determinismE0ELb1ES3_N6thrust23THRUST_200600_302600_NS6detail15normal_iteratorINS9_10device_ptrIsEEEESE_SE_sNS9_4plusIvEENS9_8equal_toIvEEsEE10hipError_tPvRmT2_T3_T4_T5_mT6_T7_P12ihipStream_tbENKUlT_T0_E_clISt17integral_constantIbLb0EESZ_EEDaSU_SV_EUlSU_E_NS1_11comp_targetILNS1_3genE10ELNS1_11target_archE1201ELNS1_3gpuE5ELNS1_3repE0EEENS1_30default_config_static_selectorELNS0_4arch9wavefront6targetE0EEEvT1_.has_dyn_sized_stack, 0
	.set _ZN7rocprim17ROCPRIM_400000_NS6detail17trampoline_kernelINS0_14default_configENS1_27scan_by_key_config_selectorIssEEZZNS1_16scan_by_key_implILNS1_25lookback_scan_determinismE0ELb1ES3_N6thrust23THRUST_200600_302600_NS6detail15normal_iteratorINS9_10device_ptrIsEEEESE_SE_sNS9_4plusIvEENS9_8equal_toIvEEsEE10hipError_tPvRmT2_T3_T4_T5_mT6_T7_P12ihipStream_tbENKUlT_T0_E_clISt17integral_constantIbLb0EESZ_EEDaSU_SV_EUlSU_E_NS1_11comp_targetILNS1_3genE10ELNS1_11target_archE1201ELNS1_3gpuE5ELNS1_3repE0EEENS1_30default_config_static_selectorELNS0_4arch9wavefront6targetE0EEEvT1_.has_recursion, 0
	.set _ZN7rocprim17ROCPRIM_400000_NS6detail17trampoline_kernelINS0_14default_configENS1_27scan_by_key_config_selectorIssEEZZNS1_16scan_by_key_implILNS1_25lookback_scan_determinismE0ELb1ES3_N6thrust23THRUST_200600_302600_NS6detail15normal_iteratorINS9_10device_ptrIsEEEESE_SE_sNS9_4plusIvEENS9_8equal_toIvEEsEE10hipError_tPvRmT2_T3_T4_T5_mT6_T7_P12ihipStream_tbENKUlT_T0_E_clISt17integral_constantIbLb0EESZ_EEDaSU_SV_EUlSU_E_NS1_11comp_targetILNS1_3genE10ELNS1_11target_archE1201ELNS1_3gpuE5ELNS1_3repE0EEENS1_30default_config_static_selectorELNS0_4arch9wavefront6targetE0EEEvT1_.has_indirect_call, 0
	.section	.AMDGPU.csdata,"",@progbits
; Kernel info:
; codeLenInByte = 0
; TotalNumSgprs: 0
; NumVgprs: 0
; ScratchSize: 0
; MemoryBound: 0
; FloatMode: 240
; IeeeMode: 1
; LDSByteSize: 0 bytes/workgroup (compile time only)
; SGPRBlocks: 0
; VGPRBlocks: 0
; NumSGPRsForWavesPerEU: 1
; NumVGPRsForWavesPerEU: 1
; Occupancy: 16
; WaveLimiterHint : 0
; COMPUTE_PGM_RSRC2:SCRATCH_EN: 0
; COMPUTE_PGM_RSRC2:USER_SGPR: 6
; COMPUTE_PGM_RSRC2:TRAP_HANDLER: 0
; COMPUTE_PGM_RSRC2:TGID_X_EN: 1
; COMPUTE_PGM_RSRC2:TGID_Y_EN: 0
; COMPUTE_PGM_RSRC2:TGID_Z_EN: 0
; COMPUTE_PGM_RSRC2:TIDIG_COMP_CNT: 0
	.section	.text._ZN7rocprim17ROCPRIM_400000_NS6detail17trampoline_kernelINS0_14default_configENS1_27scan_by_key_config_selectorIssEEZZNS1_16scan_by_key_implILNS1_25lookback_scan_determinismE0ELb1ES3_N6thrust23THRUST_200600_302600_NS6detail15normal_iteratorINS9_10device_ptrIsEEEESE_SE_sNS9_4plusIvEENS9_8equal_toIvEEsEE10hipError_tPvRmT2_T3_T4_T5_mT6_T7_P12ihipStream_tbENKUlT_T0_E_clISt17integral_constantIbLb0EESZ_EEDaSU_SV_EUlSU_E_NS1_11comp_targetILNS1_3genE5ELNS1_11target_archE942ELNS1_3gpuE9ELNS1_3repE0EEENS1_30default_config_static_selectorELNS0_4arch9wavefront6targetE0EEEvT1_,"axG",@progbits,_ZN7rocprim17ROCPRIM_400000_NS6detail17trampoline_kernelINS0_14default_configENS1_27scan_by_key_config_selectorIssEEZZNS1_16scan_by_key_implILNS1_25lookback_scan_determinismE0ELb1ES3_N6thrust23THRUST_200600_302600_NS6detail15normal_iteratorINS9_10device_ptrIsEEEESE_SE_sNS9_4plusIvEENS9_8equal_toIvEEsEE10hipError_tPvRmT2_T3_T4_T5_mT6_T7_P12ihipStream_tbENKUlT_T0_E_clISt17integral_constantIbLb0EESZ_EEDaSU_SV_EUlSU_E_NS1_11comp_targetILNS1_3genE5ELNS1_11target_archE942ELNS1_3gpuE9ELNS1_3repE0EEENS1_30default_config_static_selectorELNS0_4arch9wavefront6targetE0EEEvT1_,comdat
	.protected	_ZN7rocprim17ROCPRIM_400000_NS6detail17trampoline_kernelINS0_14default_configENS1_27scan_by_key_config_selectorIssEEZZNS1_16scan_by_key_implILNS1_25lookback_scan_determinismE0ELb1ES3_N6thrust23THRUST_200600_302600_NS6detail15normal_iteratorINS9_10device_ptrIsEEEESE_SE_sNS9_4plusIvEENS9_8equal_toIvEEsEE10hipError_tPvRmT2_T3_T4_T5_mT6_T7_P12ihipStream_tbENKUlT_T0_E_clISt17integral_constantIbLb0EESZ_EEDaSU_SV_EUlSU_E_NS1_11comp_targetILNS1_3genE5ELNS1_11target_archE942ELNS1_3gpuE9ELNS1_3repE0EEENS1_30default_config_static_selectorELNS0_4arch9wavefront6targetE0EEEvT1_ ; -- Begin function _ZN7rocprim17ROCPRIM_400000_NS6detail17trampoline_kernelINS0_14default_configENS1_27scan_by_key_config_selectorIssEEZZNS1_16scan_by_key_implILNS1_25lookback_scan_determinismE0ELb1ES3_N6thrust23THRUST_200600_302600_NS6detail15normal_iteratorINS9_10device_ptrIsEEEESE_SE_sNS9_4plusIvEENS9_8equal_toIvEEsEE10hipError_tPvRmT2_T3_T4_T5_mT6_T7_P12ihipStream_tbENKUlT_T0_E_clISt17integral_constantIbLb0EESZ_EEDaSU_SV_EUlSU_E_NS1_11comp_targetILNS1_3genE5ELNS1_11target_archE942ELNS1_3gpuE9ELNS1_3repE0EEENS1_30default_config_static_selectorELNS0_4arch9wavefront6targetE0EEEvT1_
	.globl	_ZN7rocprim17ROCPRIM_400000_NS6detail17trampoline_kernelINS0_14default_configENS1_27scan_by_key_config_selectorIssEEZZNS1_16scan_by_key_implILNS1_25lookback_scan_determinismE0ELb1ES3_N6thrust23THRUST_200600_302600_NS6detail15normal_iteratorINS9_10device_ptrIsEEEESE_SE_sNS9_4plusIvEENS9_8equal_toIvEEsEE10hipError_tPvRmT2_T3_T4_T5_mT6_T7_P12ihipStream_tbENKUlT_T0_E_clISt17integral_constantIbLb0EESZ_EEDaSU_SV_EUlSU_E_NS1_11comp_targetILNS1_3genE5ELNS1_11target_archE942ELNS1_3gpuE9ELNS1_3repE0EEENS1_30default_config_static_selectorELNS0_4arch9wavefront6targetE0EEEvT1_
	.p2align	8
	.type	_ZN7rocprim17ROCPRIM_400000_NS6detail17trampoline_kernelINS0_14default_configENS1_27scan_by_key_config_selectorIssEEZZNS1_16scan_by_key_implILNS1_25lookback_scan_determinismE0ELb1ES3_N6thrust23THRUST_200600_302600_NS6detail15normal_iteratorINS9_10device_ptrIsEEEESE_SE_sNS9_4plusIvEENS9_8equal_toIvEEsEE10hipError_tPvRmT2_T3_T4_T5_mT6_T7_P12ihipStream_tbENKUlT_T0_E_clISt17integral_constantIbLb0EESZ_EEDaSU_SV_EUlSU_E_NS1_11comp_targetILNS1_3genE5ELNS1_11target_archE942ELNS1_3gpuE9ELNS1_3repE0EEENS1_30default_config_static_selectorELNS0_4arch9wavefront6targetE0EEEvT1_,@function
_ZN7rocprim17ROCPRIM_400000_NS6detail17trampoline_kernelINS0_14default_configENS1_27scan_by_key_config_selectorIssEEZZNS1_16scan_by_key_implILNS1_25lookback_scan_determinismE0ELb1ES3_N6thrust23THRUST_200600_302600_NS6detail15normal_iteratorINS9_10device_ptrIsEEEESE_SE_sNS9_4plusIvEENS9_8equal_toIvEEsEE10hipError_tPvRmT2_T3_T4_T5_mT6_T7_P12ihipStream_tbENKUlT_T0_E_clISt17integral_constantIbLb0EESZ_EEDaSU_SV_EUlSU_E_NS1_11comp_targetILNS1_3genE5ELNS1_11target_archE942ELNS1_3gpuE9ELNS1_3repE0EEENS1_30default_config_static_selectorELNS0_4arch9wavefront6targetE0EEEvT1_: ; @_ZN7rocprim17ROCPRIM_400000_NS6detail17trampoline_kernelINS0_14default_configENS1_27scan_by_key_config_selectorIssEEZZNS1_16scan_by_key_implILNS1_25lookback_scan_determinismE0ELb1ES3_N6thrust23THRUST_200600_302600_NS6detail15normal_iteratorINS9_10device_ptrIsEEEESE_SE_sNS9_4plusIvEENS9_8equal_toIvEEsEE10hipError_tPvRmT2_T3_T4_T5_mT6_T7_P12ihipStream_tbENKUlT_T0_E_clISt17integral_constantIbLb0EESZ_EEDaSU_SV_EUlSU_E_NS1_11comp_targetILNS1_3genE5ELNS1_11target_archE942ELNS1_3gpuE9ELNS1_3repE0EEENS1_30default_config_static_selectorELNS0_4arch9wavefront6targetE0EEEvT1_
; %bb.0:
	.section	.rodata,"a",@progbits
	.p2align	6, 0x0
	.amdhsa_kernel _ZN7rocprim17ROCPRIM_400000_NS6detail17trampoline_kernelINS0_14default_configENS1_27scan_by_key_config_selectorIssEEZZNS1_16scan_by_key_implILNS1_25lookback_scan_determinismE0ELb1ES3_N6thrust23THRUST_200600_302600_NS6detail15normal_iteratorINS9_10device_ptrIsEEEESE_SE_sNS9_4plusIvEENS9_8equal_toIvEEsEE10hipError_tPvRmT2_T3_T4_T5_mT6_T7_P12ihipStream_tbENKUlT_T0_E_clISt17integral_constantIbLb0EESZ_EEDaSU_SV_EUlSU_E_NS1_11comp_targetILNS1_3genE5ELNS1_11target_archE942ELNS1_3gpuE9ELNS1_3repE0EEENS1_30default_config_static_selectorELNS0_4arch9wavefront6targetE0EEEvT1_
		.amdhsa_group_segment_fixed_size 0
		.amdhsa_private_segment_fixed_size 0
		.amdhsa_kernarg_size 112
		.amdhsa_user_sgpr_count 6
		.amdhsa_user_sgpr_private_segment_buffer 1
		.amdhsa_user_sgpr_dispatch_ptr 0
		.amdhsa_user_sgpr_queue_ptr 0
		.amdhsa_user_sgpr_kernarg_segment_ptr 1
		.amdhsa_user_sgpr_dispatch_id 0
		.amdhsa_user_sgpr_flat_scratch_init 0
		.amdhsa_user_sgpr_private_segment_size 0
		.amdhsa_wavefront_size32 1
		.amdhsa_uses_dynamic_stack 0
		.amdhsa_system_sgpr_private_segment_wavefront_offset 0
		.amdhsa_system_sgpr_workgroup_id_x 1
		.amdhsa_system_sgpr_workgroup_id_y 0
		.amdhsa_system_sgpr_workgroup_id_z 0
		.amdhsa_system_sgpr_workgroup_info 0
		.amdhsa_system_vgpr_workitem_id 0
		.amdhsa_next_free_vgpr 1
		.amdhsa_next_free_sgpr 1
		.amdhsa_reserve_vcc 0
		.amdhsa_reserve_flat_scratch 0
		.amdhsa_float_round_mode_32 0
		.amdhsa_float_round_mode_16_64 0
		.amdhsa_float_denorm_mode_32 3
		.amdhsa_float_denorm_mode_16_64 3
		.amdhsa_dx10_clamp 1
		.amdhsa_ieee_mode 1
		.amdhsa_fp16_overflow 0
		.amdhsa_workgroup_processor_mode 1
		.amdhsa_memory_ordered 1
		.amdhsa_forward_progress 1
		.amdhsa_shared_vgpr_count 0
		.amdhsa_exception_fp_ieee_invalid_op 0
		.amdhsa_exception_fp_denorm_src 0
		.amdhsa_exception_fp_ieee_div_zero 0
		.amdhsa_exception_fp_ieee_overflow 0
		.amdhsa_exception_fp_ieee_underflow 0
		.amdhsa_exception_fp_ieee_inexact 0
		.amdhsa_exception_int_div_zero 0
	.end_amdhsa_kernel
	.section	.text._ZN7rocprim17ROCPRIM_400000_NS6detail17trampoline_kernelINS0_14default_configENS1_27scan_by_key_config_selectorIssEEZZNS1_16scan_by_key_implILNS1_25lookback_scan_determinismE0ELb1ES3_N6thrust23THRUST_200600_302600_NS6detail15normal_iteratorINS9_10device_ptrIsEEEESE_SE_sNS9_4plusIvEENS9_8equal_toIvEEsEE10hipError_tPvRmT2_T3_T4_T5_mT6_T7_P12ihipStream_tbENKUlT_T0_E_clISt17integral_constantIbLb0EESZ_EEDaSU_SV_EUlSU_E_NS1_11comp_targetILNS1_3genE5ELNS1_11target_archE942ELNS1_3gpuE9ELNS1_3repE0EEENS1_30default_config_static_selectorELNS0_4arch9wavefront6targetE0EEEvT1_,"axG",@progbits,_ZN7rocprim17ROCPRIM_400000_NS6detail17trampoline_kernelINS0_14default_configENS1_27scan_by_key_config_selectorIssEEZZNS1_16scan_by_key_implILNS1_25lookback_scan_determinismE0ELb1ES3_N6thrust23THRUST_200600_302600_NS6detail15normal_iteratorINS9_10device_ptrIsEEEESE_SE_sNS9_4plusIvEENS9_8equal_toIvEEsEE10hipError_tPvRmT2_T3_T4_T5_mT6_T7_P12ihipStream_tbENKUlT_T0_E_clISt17integral_constantIbLb0EESZ_EEDaSU_SV_EUlSU_E_NS1_11comp_targetILNS1_3genE5ELNS1_11target_archE942ELNS1_3gpuE9ELNS1_3repE0EEENS1_30default_config_static_selectorELNS0_4arch9wavefront6targetE0EEEvT1_,comdat
.Lfunc_end571:
	.size	_ZN7rocprim17ROCPRIM_400000_NS6detail17trampoline_kernelINS0_14default_configENS1_27scan_by_key_config_selectorIssEEZZNS1_16scan_by_key_implILNS1_25lookback_scan_determinismE0ELb1ES3_N6thrust23THRUST_200600_302600_NS6detail15normal_iteratorINS9_10device_ptrIsEEEESE_SE_sNS9_4plusIvEENS9_8equal_toIvEEsEE10hipError_tPvRmT2_T3_T4_T5_mT6_T7_P12ihipStream_tbENKUlT_T0_E_clISt17integral_constantIbLb0EESZ_EEDaSU_SV_EUlSU_E_NS1_11comp_targetILNS1_3genE5ELNS1_11target_archE942ELNS1_3gpuE9ELNS1_3repE0EEENS1_30default_config_static_selectorELNS0_4arch9wavefront6targetE0EEEvT1_, .Lfunc_end571-_ZN7rocprim17ROCPRIM_400000_NS6detail17trampoline_kernelINS0_14default_configENS1_27scan_by_key_config_selectorIssEEZZNS1_16scan_by_key_implILNS1_25lookback_scan_determinismE0ELb1ES3_N6thrust23THRUST_200600_302600_NS6detail15normal_iteratorINS9_10device_ptrIsEEEESE_SE_sNS9_4plusIvEENS9_8equal_toIvEEsEE10hipError_tPvRmT2_T3_T4_T5_mT6_T7_P12ihipStream_tbENKUlT_T0_E_clISt17integral_constantIbLb0EESZ_EEDaSU_SV_EUlSU_E_NS1_11comp_targetILNS1_3genE5ELNS1_11target_archE942ELNS1_3gpuE9ELNS1_3repE0EEENS1_30default_config_static_selectorELNS0_4arch9wavefront6targetE0EEEvT1_
                                        ; -- End function
	.set _ZN7rocprim17ROCPRIM_400000_NS6detail17trampoline_kernelINS0_14default_configENS1_27scan_by_key_config_selectorIssEEZZNS1_16scan_by_key_implILNS1_25lookback_scan_determinismE0ELb1ES3_N6thrust23THRUST_200600_302600_NS6detail15normal_iteratorINS9_10device_ptrIsEEEESE_SE_sNS9_4plusIvEENS9_8equal_toIvEEsEE10hipError_tPvRmT2_T3_T4_T5_mT6_T7_P12ihipStream_tbENKUlT_T0_E_clISt17integral_constantIbLb0EESZ_EEDaSU_SV_EUlSU_E_NS1_11comp_targetILNS1_3genE5ELNS1_11target_archE942ELNS1_3gpuE9ELNS1_3repE0EEENS1_30default_config_static_selectorELNS0_4arch9wavefront6targetE0EEEvT1_.num_vgpr, 0
	.set _ZN7rocprim17ROCPRIM_400000_NS6detail17trampoline_kernelINS0_14default_configENS1_27scan_by_key_config_selectorIssEEZZNS1_16scan_by_key_implILNS1_25lookback_scan_determinismE0ELb1ES3_N6thrust23THRUST_200600_302600_NS6detail15normal_iteratorINS9_10device_ptrIsEEEESE_SE_sNS9_4plusIvEENS9_8equal_toIvEEsEE10hipError_tPvRmT2_T3_T4_T5_mT6_T7_P12ihipStream_tbENKUlT_T0_E_clISt17integral_constantIbLb0EESZ_EEDaSU_SV_EUlSU_E_NS1_11comp_targetILNS1_3genE5ELNS1_11target_archE942ELNS1_3gpuE9ELNS1_3repE0EEENS1_30default_config_static_selectorELNS0_4arch9wavefront6targetE0EEEvT1_.num_agpr, 0
	.set _ZN7rocprim17ROCPRIM_400000_NS6detail17trampoline_kernelINS0_14default_configENS1_27scan_by_key_config_selectorIssEEZZNS1_16scan_by_key_implILNS1_25lookback_scan_determinismE0ELb1ES3_N6thrust23THRUST_200600_302600_NS6detail15normal_iteratorINS9_10device_ptrIsEEEESE_SE_sNS9_4plusIvEENS9_8equal_toIvEEsEE10hipError_tPvRmT2_T3_T4_T5_mT6_T7_P12ihipStream_tbENKUlT_T0_E_clISt17integral_constantIbLb0EESZ_EEDaSU_SV_EUlSU_E_NS1_11comp_targetILNS1_3genE5ELNS1_11target_archE942ELNS1_3gpuE9ELNS1_3repE0EEENS1_30default_config_static_selectorELNS0_4arch9wavefront6targetE0EEEvT1_.numbered_sgpr, 0
	.set _ZN7rocprim17ROCPRIM_400000_NS6detail17trampoline_kernelINS0_14default_configENS1_27scan_by_key_config_selectorIssEEZZNS1_16scan_by_key_implILNS1_25lookback_scan_determinismE0ELb1ES3_N6thrust23THRUST_200600_302600_NS6detail15normal_iteratorINS9_10device_ptrIsEEEESE_SE_sNS9_4plusIvEENS9_8equal_toIvEEsEE10hipError_tPvRmT2_T3_T4_T5_mT6_T7_P12ihipStream_tbENKUlT_T0_E_clISt17integral_constantIbLb0EESZ_EEDaSU_SV_EUlSU_E_NS1_11comp_targetILNS1_3genE5ELNS1_11target_archE942ELNS1_3gpuE9ELNS1_3repE0EEENS1_30default_config_static_selectorELNS0_4arch9wavefront6targetE0EEEvT1_.num_named_barrier, 0
	.set _ZN7rocprim17ROCPRIM_400000_NS6detail17trampoline_kernelINS0_14default_configENS1_27scan_by_key_config_selectorIssEEZZNS1_16scan_by_key_implILNS1_25lookback_scan_determinismE0ELb1ES3_N6thrust23THRUST_200600_302600_NS6detail15normal_iteratorINS9_10device_ptrIsEEEESE_SE_sNS9_4plusIvEENS9_8equal_toIvEEsEE10hipError_tPvRmT2_T3_T4_T5_mT6_T7_P12ihipStream_tbENKUlT_T0_E_clISt17integral_constantIbLb0EESZ_EEDaSU_SV_EUlSU_E_NS1_11comp_targetILNS1_3genE5ELNS1_11target_archE942ELNS1_3gpuE9ELNS1_3repE0EEENS1_30default_config_static_selectorELNS0_4arch9wavefront6targetE0EEEvT1_.private_seg_size, 0
	.set _ZN7rocprim17ROCPRIM_400000_NS6detail17trampoline_kernelINS0_14default_configENS1_27scan_by_key_config_selectorIssEEZZNS1_16scan_by_key_implILNS1_25lookback_scan_determinismE0ELb1ES3_N6thrust23THRUST_200600_302600_NS6detail15normal_iteratorINS9_10device_ptrIsEEEESE_SE_sNS9_4plusIvEENS9_8equal_toIvEEsEE10hipError_tPvRmT2_T3_T4_T5_mT6_T7_P12ihipStream_tbENKUlT_T0_E_clISt17integral_constantIbLb0EESZ_EEDaSU_SV_EUlSU_E_NS1_11comp_targetILNS1_3genE5ELNS1_11target_archE942ELNS1_3gpuE9ELNS1_3repE0EEENS1_30default_config_static_selectorELNS0_4arch9wavefront6targetE0EEEvT1_.uses_vcc, 0
	.set _ZN7rocprim17ROCPRIM_400000_NS6detail17trampoline_kernelINS0_14default_configENS1_27scan_by_key_config_selectorIssEEZZNS1_16scan_by_key_implILNS1_25lookback_scan_determinismE0ELb1ES3_N6thrust23THRUST_200600_302600_NS6detail15normal_iteratorINS9_10device_ptrIsEEEESE_SE_sNS9_4plusIvEENS9_8equal_toIvEEsEE10hipError_tPvRmT2_T3_T4_T5_mT6_T7_P12ihipStream_tbENKUlT_T0_E_clISt17integral_constantIbLb0EESZ_EEDaSU_SV_EUlSU_E_NS1_11comp_targetILNS1_3genE5ELNS1_11target_archE942ELNS1_3gpuE9ELNS1_3repE0EEENS1_30default_config_static_selectorELNS0_4arch9wavefront6targetE0EEEvT1_.uses_flat_scratch, 0
	.set _ZN7rocprim17ROCPRIM_400000_NS6detail17trampoline_kernelINS0_14default_configENS1_27scan_by_key_config_selectorIssEEZZNS1_16scan_by_key_implILNS1_25lookback_scan_determinismE0ELb1ES3_N6thrust23THRUST_200600_302600_NS6detail15normal_iteratorINS9_10device_ptrIsEEEESE_SE_sNS9_4plusIvEENS9_8equal_toIvEEsEE10hipError_tPvRmT2_T3_T4_T5_mT6_T7_P12ihipStream_tbENKUlT_T0_E_clISt17integral_constantIbLb0EESZ_EEDaSU_SV_EUlSU_E_NS1_11comp_targetILNS1_3genE5ELNS1_11target_archE942ELNS1_3gpuE9ELNS1_3repE0EEENS1_30default_config_static_selectorELNS0_4arch9wavefront6targetE0EEEvT1_.has_dyn_sized_stack, 0
	.set _ZN7rocprim17ROCPRIM_400000_NS6detail17trampoline_kernelINS0_14default_configENS1_27scan_by_key_config_selectorIssEEZZNS1_16scan_by_key_implILNS1_25lookback_scan_determinismE0ELb1ES3_N6thrust23THRUST_200600_302600_NS6detail15normal_iteratorINS9_10device_ptrIsEEEESE_SE_sNS9_4plusIvEENS9_8equal_toIvEEsEE10hipError_tPvRmT2_T3_T4_T5_mT6_T7_P12ihipStream_tbENKUlT_T0_E_clISt17integral_constantIbLb0EESZ_EEDaSU_SV_EUlSU_E_NS1_11comp_targetILNS1_3genE5ELNS1_11target_archE942ELNS1_3gpuE9ELNS1_3repE0EEENS1_30default_config_static_selectorELNS0_4arch9wavefront6targetE0EEEvT1_.has_recursion, 0
	.set _ZN7rocprim17ROCPRIM_400000_NS6detail17trampoline_kernelINS0_14default_configENS1_27scan_by_key_config_selectorIssEEZZNS1_16scan_by_key_implILNS1_25lookback_scan_determinismE0ELb1ES3_N6thrust23THRUST_200600_302600_NS6detail15normal_iteratorINS9_10device_ptrIsEEEESE_SE_sNS9_4plusIvEENS9_8equal_toIvEEsEE10hipError_tPvRmT2_T3_T4_T5_mT6_T7_P12ihipStream_tbENKUlT_T0_E_clISt17integral_constantIbLb0EESZ_EEDaSU_SV_EUlSU_E_NS1_11comp_targetILNS1_3genE5ELNS1_11target_archE942ELNS1_3gpuE9ELNS1_3repE0EEENS1_30default_config_static_selectorELNS0_4arch9wavefront6targetE0EEEvT1_.has_indirect_call, 0
	.section	.AMDGPU.csdata,"",@progbits
; Kernel info:
; codeLenInByte = 0
; TotalNumSgprs: 0
; NumVgprs: 0
; ScratchSize: 0
; MemoryBound: 0
; FloatMode: 240
; IeeeMode: 1
; LDSByteSize: 0 bytes/workgroup (compile time only)
; SGPRBlocks: 0
; VGPRBlocks: 0
; NumSGPRsForWavesPerEU: 1
; NumVGPRsForWavesPerEU: 1
; Occupancy: 16
; WaveLimiterHint : 0
; COMPUTE_PGM_RSRC2:SCRATCH_EN: 0
; COMPUTE_PGM_RSRC2:USER_SGPR: 6
; COMPUTE_PGM_RSRC2:TRAP_HANDLER: 0
; COMPUTE_PGM_RSRC2:TGID_X_EN: 1
; COMPUTE_PGM_RSRC2:TGID_Y_EN: 0
; COMPUTE_PGM_RSRC2:TGID_Z_EN: 0
; COMPUTE_PGM_RSRC2:TIDIG_COMP_CNT: 0
	.section	.text._ZN7rocprim17ROCPRIM_400000_NS6detail17trampoline_kernelINS0_14default_configENS1_27scan_by_key_config_selectorIssEEZZNS1_16scan_by_key_implILNS1_25lookback_scan_determinismE0ELb1ES3_N6thrust23THRUST_200600_302600_NS6detail15normal_iteratorINS9_10device_ptrIsEEEESE_SE_sNS9_4plusIvEENS9_8equal_toIvEEsEE10hipError_tPvRmT2_T3_T4_T5_mT6_T7_P12ihipStream_tbENKUlT_T0_E_clISt17integral_constantIbLb0EESZ_EEDaSU_SV_EUlSU_E_NS1_11comp_targetILNS1_3genE4ELNS1_11target_archE910ELNS1_3gpuE8ELNS1_3repE0EEENS1_30default_config_static_selectorELNS0_4arch9wavefront6targetE0EEEvT1_,"axG",@progbits,_ZN7rocprim17ROCPRIM_400000_NS6detail17trampoline_kernelINS0_14default_configENS1_27scan_by_key_config_selectorIssEEZZNS1_16scan_by_key_implILNS1_25lookback_scan_determinismE0ELb1ES3_N6thrust23THRUST_200600_302600_NS6detail15normal_iteratorINS9_10device_ptrIsEEEESE_SE_sNS9_4plusIvEENS9_8equal_toIvEEsEE10hipError_tPvRmT2_T3_T4_T5_mT6_T7_P12ihipStream_tbENKUlT_T0_E_clISt17integral_constantIbLb0EESZ_EEDaSU_SV_EUlSU_E_NS1_11comp_targetILNS1_3genE4ELNS1_11target_archE910ELNS1_3gpuE8ELNS1_3repE0EEENS1_30default_config_static_selectorELNS0_4arch9wavefront6targetE0EEEvT1_,comdat
	.protected	_ZN7rocprim17ROCPRIM_400000_NS6detail17trampoline_kernelINS0_14default_configENS1_27scan_by_key_config_selectorIssEEZZNS1_16scan_by_key_implILNS1_25lookback_scan_determinismE0ELb1ES3_N6thrust23THRUST_200600_302600_NS6detail15normal_iteratorINS9_10device_ptrIsEEEESE_SE_sNS9_4plusIvEENS9_8equal_toIvEEsEE10hipError_tPvRmT2_T3_T4_T5_mT6_T7_P12ihipStream_tbENKUlT_T0_E_clISt17integral_constantIbLb0EESZ_EEDaSU_SV_EUlSU_E_NS1_11comp_targetILNS1_3genE4ELNS1_11target_archE910ELNS1_3gpuE8ELNS1_3repE0EEENS1_30default_config_static_selectorELNS0_4arch9wavefront6targetE0EEEvT1_ ; -- Begin function _ZN7rocprim17ROCPRIM_400000_NS6detail17trampoline_kernelINS0_14default_configENS1_27scan_by_key_config_selectorIssEEZZNS1_16scan_by_key_implILNS1_25lookback_scan_determinismE0ELb1ES3_N6thrust23THRUST_200600_302600_NS6detail15normal_iteratorINS9_10device_ptrIsEEEESE_SE_sNS9_4plusIvEENS9_8equal_toIvEEsEE10hipError_tPvRmT2_T3_T4_T5_mT6_T7_P12ihipStream_tbENKUlT_T0_E_clISt17integral_constantIbLb0EESZ_EEDaSU_SV_EUlSU_E_NS1_11comp_targetILNS1_3genE4ELNS1_11target_archE910ELNS1_3gpuE8ELNS1_3repE0EEENS1_30default_config_static_selectorELNS0_4arch9wavefront6targetE0EEEvT1_
	.globl	_ZN7rocprim17ROCPRIM_400000_NS6detail17trampoline_kernelINS0_14default_configENS1_27scan_by_key_config_selectorIssEEZZNS1_16scan_by_key_implILNS1_25lookback_scan_determinismE0ELb1ES3_N6thrust23THRUST_200600_302600_NS6detail15normal_iteratorINS9_10device_ptrIsEEEESE_SE_sNS9_4plusIvEENS9_8equal_toIvEEsEE10hipError_tPvRmT2_T3_T4_T5_mT6_T7_P12ihipStream_tbENKUlT_T0_E_clISt17integral_constantIbLb0EESZ_EEDaSU_SV_EUlSU_E_NS1_11comp_targetILNS1_3genE4ELNS1_11target_archE910ELNS1_3gpuE8ELNS1_3repE0EEENS1_30default_config_static_selectorELNS0_4arch9wavefront6targetE0EEEvT1_
	.p2align	8
	.type	_ZN7rocprim17ROCPRIM_400000_NS6detail17trampoline_kernelINS0_14default_configENS1_27scan_by_key_config_selectorIssEEZZNS1_16scan_by_key_implILNS1_25lookback_scan_determinismE0ELb1ES3_N6thrust23THRUST_200600_302600_NS6detail15normal_iteratorINS9_10device_ptrIsEEEESE_SE_sNS9_4plusIvEENS9_8equal_toIvEEsEE10hipError_tPvRmT2_T3_T4_T5_mT6_T7_P12ihipStream_tbENKUlT_T0_E_clISt17integral_constantIbLb0EESZ_EEDaSU_SV_EUlSU_E_NS1_11comp_targetILNS1_3genE4ELNS1_11target_archE910ELNS1_3gpuE8ELNS1_3repE0EEENS1_30default_config_static_selectorELNS0_4arch9wavefront6targetE0EEEvT1_,@function
_ZN7rocprim17ROCPRIM_400000_NS6detail17trampoline_kernelINS0_14default_configENS1_27scan_by_key_config_selectorIssEEZZNS1_16scan_by_key_implILNS1_25lookback_scan_determinismE0ELb1ES3_N6thrust23THRUST_200600_302600_NS6detail15normal_iteratorINS9_10device_ptrIsEEEESE_SE_sNS9_4plusIvEENS9_8equal_toIvEEsEE10hipError_tPvRmT2_T3_T4_T5_mT6_T7_P12ihipStream_tbENKUlT_T0_E_clISt17integral_constantIbLb0EESZ_EEDaSU_SV_EUlSU_E_NS1_11comp_targetILNS1_3genE4ELNS1_11target_archE910ELNS1_3gpuE8ELNS1_3repE0EEENS1_30default_config_static_selectorELNS0_4arch9wavefront6targetE0EEEvT1_: ; @_ZN7rocprim17ROCPRIM_400000_NS6detail17trampoline_kernelINS0_14default_configENS1_27scan_by_key_config_selectorIssEEZZNS1_16scan_by_key_implILNS1_25lookback_scan_determinismE0ELb1ES3_N6thrust23THRUST_200600_302600_NS6detail15normal_iteratorINS9_10device_ptrIsEEEESE_SE_sNS9_4plusIvEENS9_8equal_toIvEEsEE10hipError_tPvRmT2_T3_T4_T5_mT6_T7_P12ihipStream_tbENKUlT_T0_E_clISt17integral_constantIbLb0EESZ_EEDaSU_SV_EUlSU_E_NS1_11comp_targetILNS1_3genE4ELNS1_11target_archE910ELNS1_3gpuE8ELNS1_3repE0EEENS1_30default_config_static_selectorELNS0_4arch9wavefront6targetE0EEEvT1_
; %bb.0:
	.section	.rodata,"a",@progbits
	.p2align	6, 0x0
	.amdhsa_kernel _ZN7rocprim17ROCPRIM_400000_NS6detail17trampoline_kernelINS0_14default_configENS1_27scan_by_key_config_selectorIssEEZZNS1_16scan_by_key_implILNS1_25lookback_scan_determinismE0ELb1ES3_N6thrust23THRUST_200600_302600_NS6detail15normal_iteratorINS9_10device_ptrIsEEEESE_SE_sNS9_4plusIvEENS9_8equal_toIvEEsEE10hipError_tPvRmT2_T3_T4_T5_mT6_T7_P12ihipStream_tbENKUlT_T0_E_clISt17integral_constantIbLb0EESZ_EEDaSU_SV_EUlSU_E_NS1_11comp_targetILNS1_3genE4ELNS1_11target_archE910ELNS1_3gpuE8ELNS1_3repE0EEENS1_30default_config_static_selectorELNS0_4arch9wavefront6targetE0EEEvT1_
		.amdhsa_group_segment_fixed_size 0
		.amdhsa_private_segment_fixed_size 0
		.amdhsa_kernarg_size 112
		.amdhsa_user_sgpr_count 6
		.amdhsa_user_sgpr_private_segment_buffer 1
		.amdhsa_user_sgpr_dispatch_ptr 0
		.amdhsa_user_sgpr_queue_ptr 0
		.amdhsa_user_sgpr_kernarg_segment_ptr 1
		.amdhsa_user_sgpr_dispatch_id 0
		.amdhsa_user_sgpr_flat_scratch_init 0
		.amdhsa_user_sgpr_private_segment_size 0
		.amdhsa_wavefront_size32 1
		.amdhsa_uses_dynamic_stack 0
		.amdhsa_system_sgpr_private_segment_wavefront_offset 0
		.amdhsa_system_sgpr_workgroup_id_x 1
		.amdhsa_system_sgpr_workgroup_id_y 0
		.amdhsa_system_sgpr_workgroup_id_z 0
		.amdhsa_system_sgpr_workgroup_info 0
		.amdhsa_system_vgpr_workitem_id 0
		.amdhsa_next_free_vgpr 1
		.amdhsa_next_free_sgpr 1
		.amdhsa_reserve_vcc 0
		.amdhsa_reserve_flat_scratch 0
		.amdhsa_float_round_mode_32 0
		.amdhsa_float_round_mode_16_64 0
		.amdhsa_float_denorm_mode_32 3
		.amdhsa_float_denorm_mode_16_64 3
		.amdhsa_dx10_clamp 1
		.amdhsa_ieee_mode 1
		.amdhsa_fp16_overflow 0
		.amdhsa_workgroup_processor_mode 1
		.amdhsa_memory_ordered 1
		.amdhsa_forward_progress 1
		.amdhsa_shared_vgpr_count 0
		.amdhsa_exception_fp_ieee_invalid_op 0
		.amdhsa_exception_fp_denorm_src 0
		.amdhsa_exception_fp_ieee_div_zero 0
		.amdhsa_exception_fp_ieee_overflow 0
		.amdhsa_exception_fp_ieee_underflow 0
		.amdhsa_exception_fp_ieee_inexact 0
		.amdhsa_exception_int_div_zero 0
	.end_amdhsa_kernel
	.section	.text._ZN7rocprim17ROCPRIM_400000_NS6detail17trampoline_kernelINS0_14default_configENS1_27scan_by_key_config_selectorIssEEZZNS1_16scan_by_key_implILNS1_25lookback_scan_determinismE0ELb1ES3_N6thrust23THRUST_200600_302600_NS6detail15normal_iteratorINS9_10device_ptrIsEEEESE_SE_sNS9_4plusIvEENS9_8equal_toIvEEsEE10hipError_tPvRmT2_T3_T4_T5_mT6_T7_P12ihipStream_tbENKUlT_T0_E_clISt17integral_constantIbLb0EESZ_EEDaSU_SV_EUlSU_E_NS1_11comp_targetILNS1_3genE4ELNS1_11target_archE910ELNS1_3gpuE8ELNS1_3repE0EEENS1_30default_config_static_selectorELNS0_4arch9wavefront6targetE0EEEvT1_,"axG",@progbits,_ZN7rocprim17ROCPRIM_400000_NS6detail17trampoline_kernelINS0_14default_configENS1_27scan_by_key_config_selectorIssEEZZNS1_16scan_by_key_implILNS1_25lookback_scan_determinismE0ELb1ES3_N6thrust23THRUST_200600_302600_NS6detail15normal_iteratorINS9_10device_ptrIsEEEESE_SE_sNS9_4plusIvEENS9_8equal_toIvEEsEE10hipError_tPvRmT2_T3_T4_T5_mT6_T7_P12ihipStream_tbENKUlT_T0_E_clISt17integral_constantIbLb0EESZ_EEDaSU_SV_EUlSU_E_NS1_11comp_targetILNS1_3genE4ELNS1_11target_archE910ELNS1_3gpuE8ELNS1_3repE0EEENS1_30default_config_static_selectorELNS0_4arch9wavefront6targetE0EEEvT1_,comdat
.Lfunc_end572:
	.size	_ZN7rocprim17ROCPRIM_400000_NS6detail17trampoline_kernelINS0_14default_configENS1_27scan_by_key_config_selectorIssEEZZNS1_16scan_by_key_implILNS1_25lookback_scan_determinismE0ELb1ES3_N6thrust23THRUST_200600_302600_NS6detail15normal_iteratorINS9_10device_ptrIsEEEESE_SE_sNS9_4plusIvEENS9_8equal_toIvEEsEE10hipError_tPvRmT2_T3_T4_T5_mT6_T7_P12ihipStream_tbENKUlT_T0_E_clISt17integral_constantIbLb0EESZ_EEDaSU_SV_EUlSU_E_NS1_11comp_targetILNS1_3genE4ELNS1_11target_archE910ELNS1_3gpuE8ELNS1_3repE0EEENS1_30default_config_static_selectorELNS0_4arch9wavefront6targetE0EEEvT1_, .Lfunc_end572-_ZN7rocprim17ROCPRIM_400000_NS6detail17trampoline_kernelINS0_14default_configENS1_27scan_by_key_config_selectorIssEEZZNS1_16scan_by_key_implILNS1_25lookback_scan_determinismE0ELb1ES3_N6thrust23THRUST_200600_302600_NS6detail15normal_iteratorINS9_10device_ptrIsEEEESE_SE_sNS9_4plusIvEENS9_8equal_toIvEEsEE10hipError_tPvRmT2_T3_T4_T5_mT6_T7_P12ihipStream_tbENKUlT_T0_E_clISt17integral_constantIbLb0EESZ_EEDaSU_SV_EUlSU_E_NS1_11comp_targetILNS1_3genE4ELNS1_11target_archE910ELNS1_3gpuE8ELNS1_3repE0EEENS1_30default_config_static_selectorELNS0_4arch9wavefront6targetE0EEEvT1_
                                        ; -- End function
	.set _ZN7rocprim17ROCPRIM_400000_NS6detail17trampoline_kernelINS0_14default_configENS1_27scan_by_key_config_selectorIssEEZZNS1_16scan_by_key_implILNS1_25lookback_scan_determinismE0ELb1ES3_N6thrust23THRUST_200600_302600_NS6detail15normal_iteratorINS9_10device_ptrIsEEEESE_SE_sNS9_4plusIvEENS9_8equal_toIvEEsEE10hipError_tPvRmT2_T3_T4_T5_mT6_T7_P12ihipStream_tbENKUlT_T0_E_clISt17integral_constantIbLb0EESZ_EEDaSU_SV_EUlSU_E_NS1_11comp_targetILNS1_3genE4ELNS1_11target_archE910ELNS1_3gpuE8ELNS1_3repE0EEENS1_30default_config_static_selectorELNS0_4arch9wavefront6targetE0EEEvT1_.num_vgpr, 0
	.set _ZN7rocprim17ROCPRIM_400000_NS6detail17trampoline_kernelINS0_14default_configENS1_27scan_by_key_config_selectorIssEEZZNS1_16scan_by_key_implILNS1_25lookback_scan_determinismE0ELb1ES3_N6thrust23THRUST_200600_302600_NS6detail15normal_iteratorINS9_10device_ptrIsEEEESE_SE_sNS9_4plusIvEENS9_8equal_toIvEEsEE10hipError_tPvRmT2_T3_T4_T5_mT6_T7_P12ihipStream_tbENKUlT_T0_E_clISt17integral_constantIbLb0EESZ_EEDaSU_SV_EUlSU_E_NS1_11comp_targetILNS1_3genE4ELNS1_11target_archE910ELNS1_3gpuE8ELNS1_3repE0EEENS1_30default_config_static_selectorELNS0_4arch9wavefront6targetE0EEEvT1_.num_agpr, 0
	.set _ZN7rocprim17ROCPRIM_400000_NS6detail17trampoline_kernelINS0_14default_configENS1_27scan_by_key_config_selectorIssEEZZNS1_16scan_by_key_implILNS1_25lookback_scan_determinismE0ELb1ES3_N6thrust23THRUST_200600_302600_NS6detail15normal_iteratorINS9_10device_ptrIsEEEESE_SE_sNS9_4plusIvEENS9_8equal_toIvEEsEE10hipError_tPvRmT2_T3_T4_T5_mT6_T7_P12ihipStream_tbENKUlT_T0_E_clISt17integral_constantIbLb0EESZ_EEDaSU_SV_EUlSU_E_NS1_11comp_targetILNS1_3genE4ELNS1_11target_archE910ELNS1_3gpuE8ELNS1_3repE0EEENS1_30default_config_static_selectorELNS0_4arch9wavefront6targetE0EEEvT1_.numbered_sgpr, 0
	.set _ZN7rocprim17ROCPRIM_400000_NS6detail17trampoline_kernelINS0_14default_configENS1_27scan_by_key_config_selectorIssEEZZNS1_16scan_by_key_implILNS1_25lookback_scan_determinismE0ELb1ES3_N6thrust23THRUST_200600_302600_NS6detail15normal_iteratorINS9_10device_ptrIsEEEESE_SE_sNS9_4plusIvEENS9_8equal_toIvEEsEE10hipError_tPvRmT2_T3_T4_T5_mT6_T7_P12ihipStream_tbENKUlT_T0_E_clISt17integral_constantIbLb0EESZ_EEDaSU_SV_EUlSU_E_NS1_11comp_targetILNS1_3genE4ELNS1_11target_archE910ELNS1_3gpuE8ELNS1_3repE0EEENS1_30default_config_static_selectorELNS0_4arch9wavefront6targetE0EEEvT1_.num_named_barrier, 0
	.set _ZN7rocprim17ROCPRIM_400000_NS6detail17trampoline_kernelINS0_14default_configENS1_27scan_by_key_config_selectorIssEEZZNS1_16scan_by_key_implILNS1_25lookback_scan_determinismE0ELb1ES3_N6thrust23THRUST_200600_302600_NS6detail15normal_iteratorINS9_10device_ptrIsEEEESE_SE_sNS9_4plusIvEENS9_8equal_toIvEEsEE10hipError_tPvRmT2_T3_T4_T5_mT6_T7_P12ihipStream_tbENKUlT_T0_E_clISt17integral_constantIbLb0EESZ_EEDaSU_SV_EUlSU_E_NS1_11comp_targetILNS1_3genE4ELNS1_11target_archE910ELNS1_3gpuE8ELNS1_3repE0EEENS1_30default_config_static_selectorELNS0_4arch9wavefront6targetE0EEEvT1_.private_seg_size, 0
	.set _ZN7rocprim17ROCPRIM_400000_NS6detail17trampoline_kernelINS0_14default_configENS1_27scan_by_key_config_selectorIssEEZZNS1_16scan_by_key_implILNS1_25lookback_scan_determinismE0ELb1ES3_N6thrust23THRUST_200600_302600_NS6detail15normal_iteratorINS9_10device_ptrIsEEEESE_SE_sNS9_4plusIvEENS9_8equal_toIvEEsEE10hipError_tPvRmT2_T3_T4_T5_mT6_T7_P12ihipStream_tbENKUlT_T0_E_clISt17integral_constantIbLb0EESZ_EEDaSU_SV_EUlSU_E_NS1_11comp_targetILNS1_3genE4ELNS1_11target_archE910ELNS1_3gpuE8ELNS1_3repE0EEENS1_30default_config_static_selectorELNS0_4arch9wavefront6targetE0EEEvT1_.uses_vcc, 0
	.set _ZN7rocprim17ROCPRIM_400000_NS6detail17trampoline_kernelINS0_14default_configENS1_27scan_by_key_config_selectorIssEEZZNS1_16scan_by_key_implILNS1_25lookback_scan_determinismE0ELb1ES3_N6thrust23THRUST_200600_302600_NS6detail15normal_iteratorINS9_10device_ptrIsEEEESE_SE_sNS9_4plusIvEENS9_8equal_toIvEEsEE10hipError_tPvRmT2_T3_T4_T5_mT6_T7_P12ihipStream_tbENKUlT_T0_E_clISt17integral_constantIbLb0EESZ_EEDaSU_SV_EUlSU_E_NS1_11comp_targetILNS1_3genE4ELNS1_11target_archE910ELNS1_3gpuE8ELNS1_3repE0EEENS1_30default_config_static_selectorELNS0_4arch9wavefront6targetE0EEEvT1_.uses_flat_scratch, 0
	.set _ZN7rocprim17ROCPRIM_400000_NS6detail17trampoline_kernelINS0_14default_configENS1_27scan_by_key_config_selectorIssEEZZNS1_16scan_by_key_implILNS1_25lookback_scan_determinismE0ELb1ES3_N6thrust23THRUST_200600_302600_NS6detail15normal_iteratorINS9_10device_ptrIsEEEESE_SE_sNS9_4plusIvEENS9_8equal_toIvEEsEE10hipError_tPvRmT2_T3_T4_T5_mT6_T7_P12ihipStream_tbENKUlT_T0_E_clISt17integral_constantIbLb0EESZ_EEDaSU_SV_EUlSU_E_NS1_11comp_targetILNS1_3genE4ELNS1_11target_archE910ELNS1_3gpuE8ELNS1_3repE0EEENS1_30default_config_static_selectorELNS0_4arch9wavefront6targetE0EEEvT1_.has_dyn_sized_stack, 0
	.set _ZN7rocprim17ROCPRIM_400000_NS6detail17trampoline_kernelINS0_14default_configENS1_27scan_by_key_config_selectorIssEEZZNS1_16scan_by_key_implILNS1_25lookback_scan_determinismE0ELb1ES3_N6thrust23THRUST_200600_302600_NS6detail15normal_iteratorINS9_10device_ptrIsEEEESE_SE_sNS9_4plusIvEENS9_8equal_toIvEEsEE10hipError_tPvRmT2_T3_T4_T5_mT6_T7_P12ihipStream_tbENKUlT_T0_E_clISt17integral_constantIbLb0EESZ_EEDaSU_SV_EUlSU_E_NS1_11comp_targetILNS1_3genE4ELNS1_11target_archE910ELNS1_3gpuE8ELNS1_3repE0EEENS1_30default_config_static_selectorELNS0_4arch9wavefront6targetE0EEEvT1_.has_recursion, 0
	.set _ZN7rocprim17ROCPRIM_400000_NS6detail17trampoline_kernelINS0_14default_configENS1_27scan_by_key_config_selectorIssEEZZNS1_16scan_by_key_implILNS1_25lookback_scan_determinismE0ELb1ES3_N6thrust23THRUST_200600_302600_NS6detail15normal_iteratorINS9_10device_ptrIsEEEESE_SE_sNS9_4plusIvEENS9_8equal_toIvEEsEE10hipError_tPvRmT2_T3_T4_T5_mT6_T7_P12ihipStream_tbENKUlT_T0_E_clISt17integral_constantIbLb0EESZ_EEDaSU_SV_EUlSU_E_NS1_11comp_targetILNS1_3genE4ELNS1_11target_archE910ELNS1_3gpuE8ELNS1_3repE0EEENS1_30default_config_static_selectorELNS0_4arch9wavefront6targetE0EEEvT1_.has_indirect_call, 0
	.section	.AMDGPU.csdata,"",@progbits
; Kernel info:
; codeLenInByte = 0
; TotalNumSgprs: 0
; NumVgprs: 0
; ScratchSize: 0
; MemoryBound: 0
; FloatMode: 240
; IeeeMode: 1
; LDSByteSize: 0 bytes/workgroup (compile time only)
; SGPRBlocks: 0
; VGPRBlocks: 0
; NumSGPRsForWavesPerEU: 1
; NumVGPRsForWavesPerEU: 1
; Occupancy: 16
; WaveLimiterHint : 0
; COMPUTE_PGM_RSRC2:SCRATCH_EN: 0
; COMPUTE_PGM_RSRC2:USER_SGPR: 6
; COMPUTE_PGM_RSRC2:TRAP_HANDLER: 0
; COMPUTE_PGM_RSRC2:TGID_X_EN: 1
; COMPUTE_PGM_RSRC2:TGID_Y_EN: 0
; COMPUTE_PGM_RSRC2:TGID_Z_EN: 0
; COMPUTE_PGM_RSRC2:TIDIG_COMP_CNT: 0
	.section	.text._ZN7rocprim17ROCPRIM_400000_NS6detail17trampoline_kernelINS0_14default_configENS1_27scan_by_key_config_selectorIssEEZZNS1_16scan_by_key_implILNS1_25lookback_scan_determinismE0ELb1ES3_N6thrust23THRUST_200600_302600_NS6detail15normal_iteratorINS9_10device_ptrIsEEEESE_SE_sNS9_4plusIvEENS9_8equal_toIvEEsEE10hipError_tPvRmT2_T3_T4_T5_mT6_T7_P12ihipStream_tbENKUlT_T0_E_clISt17integral_constantIbLb0EESZ_EEDaSU_SV_EUlSU_E_NS1_11comp_targetILNS1_3genE3ELNS1_11target_archE908ELNS1_3gpuE7ELNS1_3repE0EEENS1_30default_config_static_selectorELNS0_4arch9wavefront6targetE0EEEvT1_,"axG",@progbits,_ZN7rocprim17ROCPRIM_400000_NS6detail17trampoline_kernelINS0_14default_configENS1_27scan_by_key_config_selectorIssEEZZNS1_16scan_by_key_implILNS1_25lookback_scan_determinismE0ELb1ES3_N6thrust23THRUST_200600_302600_NS6detail15normal_iteratorINS9_10device_ptrIsEEEESE_SE_sNS9_4plusIvEENS9_8equal_toIvEEsEE10hipError_tPvRmT2_T3_T4_T5_mT6_T7_P12ihipStream_tbENKUlT_T0_E_clISt17integral_constantIbLb0EESZ_EEDaSU_SV_EUlSU_E_NS1_11comp_targetILNS1_3genE3ELNS1_11target_archE908ELNS1_3gpuE7ELNS1_3repE0EEENS1_30default_config_static_selectorELNS0_4arch9wavefront6targetE0EEEvT1_,comdat
	.protected	_ZN7rocprim17ROCPRIM_400000_NS6detail17trampoline_kernelINS0_14default_configENS1_27scan_by_key_config_selectorIssEEZZNS1_16scan_by_key_implILNS1_25lookback_scan_determinismE0ELb1ES3_N6thrust23THRUST_200600_302600_NS6detail15normal_iteratorINS9_10device_ptrIsEEEESE_SE_sNS9_4plusIvEENS9_8equal_toIvEEsEE10hipError_tPvRmT2_T3_T4_T5_mT6_T7_P12ihipStream_tbENKUlT_T0_E_clISt17integral_constantIbLb0EESZ_EEDaSU_SV_EUlSU_E_NS1_11comp_targetILNS1_3genE3ELNS1_11target_archE908ELNS1_3gpuE7ELNS1_3repE0EEENS1_30default_config_static_selectorELNS0_4arch9wavefront6targetE0EEEvT1_ ; -- Begin function _ZN7rocprim17ROCPRIM_400000_NS6detail17trampoline_kernelINS0_14default_configENS1_27scan_by_key_config_selectorIssEEZZNS1_16scan_by_key_implILNS1_25lookback_scan_determinismE0ELb1ES3_N6thrust23THRUST_200600_302600_NS6detail15normal_iteratorINS9_10device_ptrIsEEEESE_SE_sNS9_4plusIvEENS9_8equal_toIvEEsEE10hipError_tPvRmT2_T3_T4_T5_mT6_T7_P12ihipStream_tbENKUlT_T0_E_clISt17integral_constantIbLb0EESZ_EEDaSU_SV_EUlSU_E_NS1_11comp_targetILNS1_3genE3ELNS1_11target_archE908ELNS1_3gpuE7ELNS1_3repE0EEENS1_30default_config_static_selectorELNS0_4arch9wavefront6targetE0EEEvT1_
	.globl	_ZN7rocprim17ROCPRIM_400000_NS6detail17trampoline_kernelINS0_14default_configENS1_27scan_by_key_config_selectorIssEEZZNS1_16scan_by_key_implILNS1_25lookback_scan_determinismE0ELb1ES3_N6thrust23THRUST_200600_302600_NS6detail15normal_iteratorINS9_10device_ptrIsEEEESE_SE_sNS9_4plusIvEENS9_8equal_toIvEEsEE10hipError_tPvRmT2_T3_T4_T5_mT6_T7_P12ihipStream_tbENKUlT_T0_E_clISt17integral_constantIbLb0EESZ_EEDaSU_SV_EUlSU_E_NS1_11comp_targetILNS1_3genE3ELNS1_11target_archE908ELNS1_3gpuE7ELNS1_3repE0EEENS1_30default_config_static_selectorELNS0_4arch9wavefront6targetE0EEEvT1_
	.p2align	8
	.type	_ZN7rocprim17ROCPRIM_400000_NS6detail17trampoline_kernelINS0_14default_configENS1_27scan_by_key_config_selectorIssEEZZNS1_16scan_by_key_implILNS1_25lookback_scan_determinismE0ELb1ES3_N6thrust23THRUST_200600_302600_NS6detail15normal_iteratorINS9_10device_ptrIsEEEESE_SE_sNS9_4plusIvEENS9_8equal_toIvEEsEE10hipError_tPvRmT2_T3_T4_T5_mT6_T7_P12ihipStream_tbENKUlT_T0_E_clISt17integral_constantIbLb0EESZ_EEDaSU_SV_EUlSU_E_NS1_11comp_targetILNS1_3genE3ELNS1_11target_archE908ELNS1_3gpuE7ELNS1_3repE0EEENS1_30default_config_static_selectorELNS0_4arch9wavefront6targetE0EEEvT1_,@function
_ZN7rocprim17ROCPRIM_400000_NS6detail17trampoline_kernelINS0_14default_configENS1_27scan_by_key_config_selectorIssEEZZNS1_16scan_by_key_implILNS1_25lookback_scan_determinismE0ELb1ES3_N6thrust23THRUST_200600_302600_NS6detail15normal_iteratorINS9_10device_ptrIsEEEESE_SE_sNS9_4plusIvEENS9_8equal_toIvEEsEE10hipError_tPvRmT2_T3_T4_T5_mT6_T7_P12ihipStream_tbENKUlT_T0_E_clISt17integral_constantIbLb0EESZ_EEDaSU_SV_EUlSU_E_NS1_11comp_targetILNS1_3genE3ELNS1_11target_archE908ELNS1_3gpuE7ELNS1_3repE0EEENS1_30default_config_static_selectorELNS0_4arch9wavefront6targetE0EEEvT1_: ; @_ZN7rocprim17ROCPRIM_400000_NS6detail17trampoline_kernelINS0_14default_configENS1_27scan_by_key_config_selectorIssEEZZNS1_16scan_by_key_implILNS1_25lookback_scan_determinismE0ELb1ES3_N6thrust23THRUST_200600_302600_NS6detail15normal_iteratorINS9_10device_ptrIsEEEESE_SE_sNS9_4plusIvEENS9_8equal_toIvEEsEE10hipError_tPvRmT2_T3_T4_T5_mT6_T7_P12ihipStream_tbENKUlT_T0_E_clISt17integral_constantIbLb0EESZ_EEDaSU_SV_EUlSU_E_NS1_11comp_targetILNS1_3genE3ELNS1_11target_archE908ELNS1_3gpuE7ELNS1_3repE0EEENS1_30default_config_static_selectorELNS0_4arch9wavefront6targetE0EEEvT1_
; %bb.0:
	.section	.rodata,"a",@progbits
	.p2align	6, 0x0
	.amdhsa_kernel _ZN7rocprim17ROCPRIM_400000_NS6detail17trampoline_kernelINS0_14default_configENS1_27scan_by_key_config_selectorIssEEZZNS1_16scan_by_key_implILNS1_25lookback_scan_determinismE0ELb1ES3_N6thrust23THRUST_200600_302600_NS6detail15normal_iteratorINS9_10device_ptrIsEEEESE_SE_sNS9_4plusIvEENS9_8equal_toIvEEsEE10hipError_tPvRmT2_T3_T4_T5_mT6_T7_P12ihipStream_tbENKUlT_T0_E_clISt17integral_constantIbLb0EESZ_EEDaSU_SV_EUlSU_E_NS1_11comp_targetILNS1_3genE3ELNS1_11target_archE908ELNS1_3gpuE7ELNS1_3repE0EEENS1_30default_config_static_selectorELNS0_4arch9wavefront6targetE0EEEvT1_
		.amdhsa_group_segment_fixed_size 0
		.amdhsa_private_segment_fixed_size 0
		.amdhsa_kernarg_size 112
		.amdhsa_user_sgpr_count 6
		.amdhsa_user_sgpr_private_segment_buffer 1
		.amdhsa_user_sgpr_dispatch_ptr 0
		.amdhsa_user_sgpr_queue_ptr 0
		.amdhsa_user_sgpr_kernarg_segment_ptr 1
		.amdhsa_user_sgpr_dispatch_id 0
		.amdhsa_user_sgpr_flat_scratch_init 0
		.amdhsa_user_sgpr_private_segment_size 0
		.amdhsa_wavefront_size32 1
		.amdhsa_uses_dynamic_stack 0
		.amdhsa_system_sgpr_private_segment_wavefront_offset 0
		.amdhsa_system_sgpr_workgroup_id_x 1
		.amdhsa_system_sgpr_workgroup_id_y 0
		.amdhsa_system_sgpr_workgroup_id_z 0
		.amdhsa_system_sgpr_workgroup_info 0
		.amdhsa_system_vgpr_workitem_id 0
		.amdhsa_next_free_vgpr 1
		.amdhsa_next_free_sgpr 1
		.amdhsa_reserve_vcc 0
		.amdhsa_reserve_flat_scratch 0
		.amdhsa_float_round_mode_32 0
		.amdhsa_float_round_mode_16_64 0
		.amdhsa_float_denorm_mode_32 3
		.amdhsa_float_denorm_mode_16_64 3
		.amdhsa_dx10_clamp 1
		.amdhsa_ieee_mode 1
		.amdhsa_fp16_overflow 0
		.amdhsa_workgroup_processor_mode 1
		.amdhsa_memory_ordered 1
		.amdhsa_forward_progress 1
		.amdhsa_shared_vgpr_count 0
		.amdhsa_exception_fp_ieee_invalid_op 0
		.amdhsa_exception_fp_denorm_src 0
		.amdhsa_exception_fp_ieee_div_zero 0
		.amdhsa_exception_fp_ieee_overflow 0
		.amdhsa_exception_fp_ieee_underflow 0
		.amdhsa_exception_fp_ieee_inexact 0
		.amdhsa_exception_int_div_zero 0
	.end_amdhsa_kernel
	.section	.text._ZN7rocprim17ROCPRIM_400000_NS6detail17trampoline_kernelINS0_14default_configENS1_27scan_by_key_config_selectorIssEEZZNS1_16scan_by_key_implILNS1_25lookback_scan_determinismE0ELb1ES3_N6thrust23THRUST_200600_302600_NS6detail15normal_iteratorINS9_10device_ptrIsEEEESE_SE_sNS9_4plusIvEENS9_8equal_toIvEEsEE10hipError_tPvRmT2_T3_T4_T5_mT6_T7_P12ihipStream_tbENKUlT_T0_E_clISt17integral_constantIbLb0EESZ_EEDaSU_SV_EUlSU_E_NS1_11comp_targetILNS1_3genE3ELNS1_11target_archE908ELNS1_3gpuE7ELNS1_3repE0EEENS1_30default_config_static_selectorELNS0_4arch9wavefront6targetE0EEEvT1_,"axG",@progbits,_ZN7rocprim17ROCPRIM_400000_NS6detail17trampoline_kernelINS0_14default_configENS1_27scan_by_key_config_selectorIssEEZZNS1_16scan_by_key_implILNS1_25lookback_scan_determinismE0ELb1ES3_N6thrust23THRUST_200600_302600_NS6detail15normal_iteratorINS9_10device_ptrIsEEEESE_SE_sNS9_4plusIvEENS9_8equal_toIvEEsEE10hipError_tPvRmT2_T3_T4_T5_mT6_T7_P12ihipStream_tbENKUlT_T0_E_clISt17integral_constantIbLb0EESZ_EEDaSU_SV_EUlSU_E_NS1_11comp_targetILNS1_3genE3ELNS1_11target_archE908ELNS1_3gpuE7ELNS1_3repE0EEENS1_30default_config_static_selectorELNS0_4arch9wavefront6targetE0EEEvT1_,comdat
.Lfunc_end573:
	.size	_ZN7rocprim17ROCPRIM_400000_NS6detail17trampoline_kernelINS0_14default_configENS1_27scan_by_key_config_selectorIssEEZZNS1_16scan_by_key_implILNS1_25lookback_scan_determinismE0ELb1ES3_N6thrust23THRUST_200600_302600_NS6detail15normal_iteratorINS9_10device_ptrIsEEEESE_SE_sNS9_4plusIvEENS9_8equal_toIvEEsEE10hipError_tPvRmT2_T3_T4_T5_mT6_T7_P12ihipStream_tbENKUlT_T0_E_clISt17integral_constantIbLb0EESZ_EEDaSU_SV_EUlSU_E_NS1_11comp_targetILNS1_3genE3ELNS1_11target_archE908ELNS1_3gpuE7ELNS1_3repE0EEENS1_30default_config_static_selectorELNS0_4arch9wavefront6targetE0EEEvT1_, .Lfunc_end573-_ZN7rocprim17ROCPRIM_400000_NS6detail17trampoline_kernelINS0_14default_configENS1_27scan_by_key_config_selectorIssEEZZNS1_16scan_by_key_implILNS1_25lookback_scan_determinismE0ELb1ES3_N6thrust23THRUST_200600_302600_NS6detail15normal_iteratorINS9_10device_ptrIsEEEESE_SE_sNS9_4plusIvEENS9_8equal_toIvEEsEE10hipError_tPvRmT2_T3_T4_T5_mT6_T7_P12ihipStream_tbENKUlT_T0_E_clISt17integral_constantIbLb0EESZ_EEDaSU_SV_EUlSU_E_NS1_11comp_targetILNS1_3genE3ELNS1_11target_archE908ELNS1_3gpuE7ELNS1_3repE0EEENS1_30default_config_static_selectorELNS0_4arch9wavefront6targetE0EEEvT1_
                                        ; -- End function
	.set _ZN7rocprim17ROCPRIM_400000_NS6detail17trampoline_kernelINS0_14default_configENS1_27scan_by_key_config_selectorIssEEZZNS1_16scan_by_key_implILNS1_25lookback_scan_determinismE0ELb1ES3_N6thrust23THRUST_200600_302600_NS6detail15normal_iteratorINS9_10device_ptrIsEEEESE_SE_sNS9_4plusIvEENS9_8equal_toIvEEsEE10hipError_tPvRmT2_T3_T4_T5_mT6_T7_P12ihipStream_tbENKUlT_T0_E_clISt17integral_constantIbLb0EESZ_EEDaSU_SV_EUlSU_E_NS1_11comp_targetILNS1_3genE3ELNS1_11target_archE908ELNS1_3gpuE7ELNS1_3repE0EEENS1_30default_config_static_selectorELNS0_4arch9wavefront6targetE0EEEvT1_.num_vgpr, 0
	.set _ZN7rocprim17ROCPRIM_400000_NS6detail17trampoline_kernelINS0_14default_configENS1_27scan_by_key_config_selectorIssEEZZNS1_16scan_by_key_implILNS1_25lookback_scan_determinismE0ELb1ES3_N6thrust23THRUST_200600_302600_NS6detail15normal_iteratorINS9_10device_ptrIsEEEESE_SE_sNS9_4plusIvEENS9_8equal_toIvEEsEE10hipError_tPvRmT2_T3_T4_T5_mT6_T7_P12ihipStream_tbENKUlT_T0_E_clISt17integral_constantIbLb0EESZ_EEDaSU_SV_EUlSU_E_NS1_11comp_targetILNS1_3genE3ELNS1_11target_archE908ELNS1_3gpuE7ELNS1_3repE0EEENS1_30default_config_static_selectorELNS0_4arch9wavefront6targetE0EEEvT1_.num_agpr, 0
	.set _ZN7rocprim17ROCPRIM_400000_NS6detail17trampoline_kernelINS0_14default_configENS1_27scan_by_key_config_selectorIssEEZZNS1_16scan_by_key_implILNS1_25lookback_scan_determinismE0ELb1ES3_N6thrust23THRUST_200600_302600_NS6detail15normal_iteratorINS9_10device_ptrIsEEEESE_SE_sNS9_4plusIvEENS9_8equal_toIvEEsEE10hipError_tPvRmT2_T3_T4_T5_mT6_T7_P12ihipStream_tbENKUlT_T0_E_clISt17integral_constantIbLb0EESZ_EEDaSU_SV_EUlSU_E_NS1_11comp_targetILNS1_3genE3ELNS1_11target_archE908ELNS1_3gpuE7ELNS1_3repE0EEENS1_30default_config_static_selectorELNS0_4arch9wavefront6targetE0EEEvT1_.numbered_sgpr, 0
	.set _ZN7rocprim17ROCPRIM_400000_NS6detail17trampoline_kernelINS0_14default_configENS1_27scan_by_key_config_selectorIssEEZZNS1_16scan_by_key_implILNS1_25lookback_scan_determinismE0ELb1ES3_N6thrust23THRUST_200600_302600_NS6detail15normal_iteratorINS9_10device_ptrIsEEEESE_SE_sNS9_4plusIvEENS9_8equal_toIvEEsEE10hipError_tPvRmT2_T3_T4_T5_mT6_T7_P12ihipStream_tbENKUlT_T0_E_clISt17integral_constantIbLb0EESZ_EEDaSU_SV_EUlSU_E_NS1_11comp_targetILNS1_3genE3ELNS1_11target_archE908ELNS1_3gpuE7ELNS1_3repE0EEENS1_30default_config_static_selectorELNS0_4arch9wavefront6targetE0EEEvT1_.num_named_barrier, 0
	.set _ZN7rocprim17ROCPRIM_400000_NS6detail17trampoline_kernelINS0_14default_configENS1_27scan_by_key_config_selectorIssEEZZNS1_16scan_by_key_implILNS1_25lookback_scan_determinismE0ELb1ES3_N6thrust23THRUST_200600_302600_NS6detail15normal_iteratorINS9_10device_ptrIsEEEESE_SE_sNS9_4plusIvEENS9_8equal_toIvEEsEE10hipError_tPvRmT2_T3_T4_T5_mT6_T7_P12ihipStream_tbENKUlT_T0_E_clISt17integral_constantIbLb0EESZ_EEDaSU_SV_EUlSU_E_NS1_11comp_targetILNS1_3genE3ELNS1_11target_archE908ELNS1_3gpuE7ELNS1_3repE0EEENS1_30default_config_static_selectorELNS0_4arch9wavefront6targetE0EEEvT1_.private_seg_size, 0
	.set _ZN7rocprim17ROCPRIM_400000_NS6detail17trampoline_kernelINS0_14default_configENS1_27scan_by_key_config_selectorIssEEZZNS1_16scan_by_key_implILNS1_25lookback_scan_determinismE0ELb1ES3_N6thrust23THRUST_200600_302600_NS6detail15normal_iteratorINS9_10device_ptrIsEEEESE_SE_sNS9_4plusIvEENS9_8equal_toIvEEsEE10hipError_tPvRmT2_T3_T4_T5_mT6_T7_P12ihipStream_tbENKUlT_T0_E_clISt17integral_constantIbLb0EESZ_EEDaSU_SV_EUlSU_E_NS1_11comp_targetILNS1_3genE3ELNS1_11target_archE908ELNS1_3gpuE7ELNS1_3repE0EEENS1_30default_config_static_selectorELNS0_4arch9wavefront6targetE0EEEvT1_.uses_vcc, 0
	.set _ZN7rocprim17ROCPRIM_400000_NS6detail17trampoline_kernelINS0_14default_configENS1_27scan_by_key_config_selectorIssEEZZNS1_16scan_by_key_implILNS1_25lookback_scan_determinismE0ELb1ES3_N6thrust23THRUST_200600_302600_NS6detail15normal_iteratorINS9_10device_ptrIsEEEESE_SE_sNS9_4plusIvEENS9_8equal_toIvEEsEE10hipError_tPvRmT2_T3_T4_T5_mT6_T7_P12ihipStream_tbENKUlT_T0_E_clISt17integral_constantIbLb0EESZ_EEDaSU_SV_EUlSU_E_NS1_11comp_targetILNS1_3genE3ELNS1_11target_archE908ELNS1_3gpuE7ELNS1_3repE0EEENS1_30default_config_static_selectorELNS0_4arch9wavefront6targetE0EEEvT1_.uses_flat_scratch, 0
	.set _ZN7rocprim17ROCPRIM_400000_NS6detail17trampoline_kernelINS0_14default_configENS1_27scan_by_key_config_selectorIssEEZZNS1_16scan_by_key_implILNS1_25lookback_scan_determinismE0ELb1ES3_N6thrust23THRUST_200600_302600_NS6detail15normal_iteratorINS9_10device_ptrIsEEEESE_SE_sNS9_4plusIvEENS9_8equal_toIvEEsEE10hipError_tPvRmT2_T3_T4_T5_mT6_T7_P12ihipStream_tbENKUlT_T0_E_clISt17integral_constantIbLb0EESZ_EEDaSU_SV_EUlSU_E_NS1_11comp_targetILNS1_3genE3ELNS1_11target_archE908ELNS1_3gpuE7ELNS1_3repE0EEENS1_30default_config_static_selectorELNS0_4arch9wavefront6targetE0EEEvT1_.has_dyn_sized_stack, 0
	.set _ZN7rocprim17ROCPRIM_400000_NS6detail17trampoline_kernelINS0_14default_configENS1_27scan_by_key_config_selectorIssEEZZNS1_16scan_by_key_implILNS1_25lookback_scan_determinismE0ELb1ES3_N6thrust23THRUST_200600_302600_NS6detail15normal_iteratorINS9_10device_ptrIsEEEESE_SE_sNS9_4plusIvEENS9_8equal_toIvEEsEE10hipError_tPvRmT2_T3_T4_T5_mT6_T7_P12ihipStream_tbENKUlT_T0_E_clISt17integral_constantIbLb0EESZ_EEDaSU_SV_EUlSU_E_NS1_11comp_targetILNS1_3genE3ELNS1_11target_archE908ELNS1_3gpuE7ELNS1_3repE0EEENS1_30default_config_static_selectorELNS0_4arch9wavefront6targetE0EEEvT1_.has_recursion, 0
	.set _ZN7rocprim17ROCPRIM_400000_NS6detail17trampoline_kernelINS0_14default_configENS1_27scan_by_key_config_selectorIssEEZZNS1_16scan_by_key_implILNS1_25lookback_scan_determinismE0ELb1ES3_N6thrust23THRUST_200600_302600_NS6detail15normal_iteratorINS9_10device_ptrIsEEEESE_SE_sNS9_4plusIvEENS9_8equal_toIvEEsEE10hipError_tPvRmT2_T3_T4_T5_mT6_T7_P12ihipStream_tbENKUlT_T0_E_clISt17integral_constantIbLb0EESZ_EEDaSU_SV_EUlSU_E_NS1_11comp_targetILNS1_3genE3ELNS1_11target_archE908ELNS1_3gpuE7ELNS1_3repE0EEENS1_30default_config_static_selectorELNS0_4arch9wavefront6targetE0EEEvT1_.has_indirect_call, 0
	.section	.AMDGPU.csdata,"",@progbits
; Kernel info:
; codeLenInByte = 0
; TotalNumSgprs: 0
; NumVgprs: 0
; ScratchSize: 0
; MemoryBound: 0
; FloatMode: 240
; IeeeMode: 1
; LDSByteSize: 0 bytes/workgroup (compile time only)
; SGPRBlocks: 0
; VGPRBlocks: 0
; NumSGPRsForWavesPerEU: 1
; NumVGPRsForWavesPerEU: 1
; Occupancy: 16
; WaveLimiterHint : 0
; COMPUTE_PGM_RSRC2:SCRATCH_EN: 0
; COMPUTE_PGM_RSRC2:USER_SGPR: 6
; COMPUTE_PGM_RSRC2:TRAP_HANDLER: 0
; COMPUTE_PGM_RSRC2:TGID_X_EN: 1
; COMPUTE_PGM_RSRC2:TGID_Y_EN: 0
; COMPUTE_PGM_RSRC2:TGID_Z_EN: 0
; COMPUTE_PGM_RSRC2:TIDIG_COMP_CNT: 0
	.section	.text._ZN7rocprim17ROCPRIM_400000_NS6detail17trampoline_kernelINS0_14default_configENS1_27scan_by_key_config_selectorIssEEZZNS1_16scan_by_key_implILNS1_25lookback_scan_determinismE0ELb1ES3_N6thrust23THRUST_200600_302600_NS6detail15normal_iteratorINS9_10device_ptrIsEEEESE_SE_sNS9_4plusIvEENS9_8equal_toIvEEsEE10hipError_tPvRmT2_T3_T4_T5_mT6_T7_P12ihipStream_tbENKUlT_T0_E_clISt17integral_constantIbLb0EESZ_EEDaSU_SV_EUlSU_E_NS1_11comp_targetILNS1_3genE2ELNS1_11target_archE906ELNS1_3gpuE6ELNS1_3repE0EEENS1_30default_config_static_selectorELNS0_4arch9wavefront6targetE0EEEvT1_,"axG",@progbits,_ZN7rocprim17ROCPRIM_400000_NS6detail17trampoline_kernelINS0_14default_configENS1_27scan_by_key_config_selectorIssEEZZNS1_16scan_by_key_implILNS1_25lookback_scan_determinismE0ELb1ES3_N6thrust23THRUST_200600_302600_NS6detail15normal_iteratorINS9_10device_ptrIsEEEESE_SE_sNS9_4plusIvEENS9_8equal_toIvEEsEE10hipError_tPvRmT2_T3_T4_T5_mT6_T7_P12ihipStream_tbENKUlT_T0_E_clISt17integral_constantIbLb0EESZ_EEDaSU_SV_EUlSU_E_NS1_11comp_targetILNS1_3genE2ELNS1_11target_archE906ELNS1_3gpuE6ELNS1_3repE0EEENS1_30default_config_static_selectorELNS0_4arch9wavefront6targetE0EEEvT1_,comdat
	.protected	_ZN7rocprim17ROCPRIM_400000_NS6detail17trampoline_kernelINS0_14default_configENS1_27scan_by_key_config_selectorIssEEZZNS1_16scan_by_key_implILNS1_25lookback_scan_determinismE0ELb1ES3_N6thrust23THRUST_200600_302600_NS6detail15normal_iteratorINS9_10device_ptrIsEEEESE_SE_sNS9_4plusIvEENS9_8equal_toIvEEsEE10hipError_tPvRmT2_T3_T4_T5_mT6_T7_P12ihipStream_tbENKUlT_T0_E_clISt17integral_constantIbLb0EESZ_EEDaSU_SV_EUlSU_E_NS1_11comp_targetILNS1_3genE2ELNS1_11target_archE906ELNS1_3gpuE6ELNS1_3repE0EEENS1_30default_config_static_selectorELNS0_4arch9wavefront6targetE0EEEvT1_ ; -- Begin function _ZN7rocprim17ROCPRIM_400000_NS6detail17trampoline_kernelINS0_14default_configENS1_27scan_by_key_config_selectorIssEEZZNS1_16scan_by_key_implILNS1_25lookback_scan_determinismE0ELb1ES3_N6thrust23THRUST_200600_302600_NS6detail15normal_iteratorINS9_10device_ptrIsEEEESE_SE_sNS9_4plusIvEENS9_8equal_toIvEEsEE10hipError_tPvRmT2_T3_T4_T5_mT6_T7_P12ihipStream_tbENKUlT_T0_E_clISt17integral_constantIbLb0EESZ_EEDaSU_SV_EUlSU_E_NS1_11comp_targetILNS1_3genE2ELNS1_11target_archE906ELNS1_3gpuE6ELNS1_3repE0EEENS1_30default_config_static_selectorELNS0_4arch9wavefront6targetE0EEEvT1_
	.globl	_ZN7rocprim17ROCPRIM_400000_NS6detail17trampoline_kernelINS0_14default_configENS1_27scan_by_key_config_selectorIssEEZZNS1_16scan_by_key_implILNS1_25lookback_scan_determinismE0ELb1ES3_N6thrust23THRUST_200600_302600_NS6detail15normal_iteratorINS9_10device_ptrIsEEEESE_SE_sNS9_4plusIvEENS9_8equal_toIvEEsEE10hipError_tPvRmT2_T3_T4_T5_mT6_T7_P12ihipStream_tbENKUlT_T0_E_clISt17integral_constantIbLb0EESZ_EEDaSU_SV_EUlSU_E_NS1_11comp_targetILNS1_3genE2ELNS1_11target_archE906ELNS1_3gpuE6ELNS1_3repE0EEENS1_30default_config_static_selectorELNS0_4arch9wavefront6targetE0EEEvT1_
	.p2align	8
	.type	_ZN7rocprim17ROCPRIM_400000_NS6detail17trampoline_kernelINS0_14default_configENS1_27scan_by_key_config_selectorIssEEZZNS1_16scan_by_key_implILNS1_25lookback_scan_determinismE0ELb1ES3_N6thrust23THRUST_200600_302600_NS6detail15normal_iteratorINS9_10device_ptrIsEEEESE_SE_sNS9_4plusIvEENS9_8equal_toIvEEsEE10hipError_tPvRmT2_T3_T4_T5_mT6_T7_P12ihipStream_tbENKUlT_T0_E_clISt17integral_constantIbLb0EESZ_EEDaSU_SV_EUlSU_E_NS1_11comp_targetILNS1_3genE2ELNS1_11target_archE906ELNS1_3gpuE6ELNS1_3repE0EEENS1_30default_config_static_selectorELNS0_4arch9wavefront6targetE0EEEvT1_,@function
_ZN7rocprim17ROCPRIM_400000_NS6detail17trampoline_kernelINS0_14default_configENS1_27scan_by_key_config_selectorIssEEZZNS1_16scan_by_key_implILNS1_25lookback_scan_determinismE0ELb1ES3_N6thrust23THRUST_200600_302600_NS6detail15normal_iteratorINS9_10device_ptrIsEEEESE_SE_sNS9_4plusIvEENS9_8equal_toIvEEsEE10hipError_tPvRmT2_T3_T4_T5_mT6_T7_P12ihipStream_tbENKUlT_T0_E_clISt17integral_constantIbLb0EESZ_EEDaSU_SV_EUlSU_E_NS1_11comp_targetILNS1_3genE2ELNS1_11target_archE906ELNS1_3gpuE6ELNS1_3repE0EEENS1_30default_config_static_selectorELNS0_4arch9wavefront6targetE0EEEvT1_: ; @_ZN7rocprim17ROCPRIM_400000_NS6detail17trampoline_kernelINS0_14default_configENS1_27scan_by_key_config_selectorIssEEZZNS1_16scan_by_key_implILNS1_25lookback_scan_determinismE0ELb1ES3_N6thrust23THRUST_200600_302600_NS6detail15normal_iteratorINS9_10device_ptrIsEEEESE_SE_sNS9_4plusIvEENS9_8equal_toIvEEsEE10hipError_tPvRmT2_T3_T4_T5_mT6_T7_P12ihipStream_tbENKUlT_T0_E_clISt17integral_constantIbLb0EESZ_EEDaSU_SV_EUlSU_E_NS1_11comp_targetILNS1_3genE2ELNS1_11target_archE906ELNS1_3gpuE6ELNS1_3repE0EEENS1_30default_config_static_selectorELNS0_4arch9wavefront6targetE0EEEvT1_
; %bb.0:
	.section	.rodata,"a",@progbits
	.p2align	6, 0x0
	.amdhsa_kernel _ZN7rocprim17ROCPRIM_400000_NS6detail17trampoline_kernelINS0_14default_configENS1_27scan_by_key_config_selectorIssEEZZNS1_16scan_by_key_implILNS1_25lookback_scan_determinismE0ELb1ES3_N6thrust23THRUST_200600_302600_NS6detail15normal_iteratorINS9_10device_ptrIsEEEESE_SE_sNS9_4plusIvEENS9_8equal_toIvEEsEE10hipError_tPvRmT2_T3_T4_T5_mT6_T7_P12ihipStream_tbENKUlT_T0_E_clISt17integral_constantIbLb0EESZ_EEDaSU_SV_EUlSU_E_NS1_11comp_targetILNS1_3genE2ELNS1_11target_archE906ELNS1_3gpuE6ELNS1_3repE0EEENS1_30default_config_static_selectorELNS0_4arch9wavefront6targetE0EEEvT1_
		.amdhsa_group_segment_fixed_size 0
		.amdhsa_private_segment_fixed_size 0
		.amdhsa_kernarg_size 112
		.amdhsa_user_sgpr_count 6
		.amdhsa_user_sgpr_private_segment_buffer 1
		.amdhsa_user_sgpr_dispatch_ptr 0
		.amdhsa_user_sgpr_queue_ptr 0
		.amdhsa_user_sgpr_kernarg_segment_ptr 1
		.amdhsa_user_sgpr_dispatch_id 0
		.amdhsa_user_sgpr_flat_scratch_init 0
		.amdhsa_user_sgpr_private_segment_size 0
		.amdhsa_wavefront_size32 1
		.amdhsa_uses_dynamic_stack 0
		.amdhsa_system_sgpr_private_segment_wavefront_offset 0
		.amdhsa_system_sgpr_workgroup_id_x 1
		.amdhsa_system_sgpr_workgroup_id_y 0
		.amdhsa_system_sgpr_workgroup_id_z 0
		.amdhsa_system_sgpr_workgroup_info 0
		.amdhsa_system_vgpr_workitem_id 0
		.amdhsa_next_free_vgpr 1
		.amdhsa_next_free_sgpr 1
		.amdhsa_reserve_vcc 0
		.amdhsa_reserve_flat_scratch 0
		.amdhsa_float_round_mode_32 0
		.amdhsa_float_round_mode_16_64 0
		.amdhsa_float_denorm_mode_32 3
		.amdhsa_float_denorm_mode_16_64 3
		.amdhsa_dx10_clamp 1
		.amdhsa_ieee_mode 1
		.amdhsa_fp16_overflow 0
		.amdhsa_workgroup_processor_mode 1
		.amdhsa_memory_ordered 1
		.amdhsa_forward_progress 1
		.amdhsa_shared_vgpr_count 0
		.amdhsa_exception_fp_ieee_invalid_op 0
		.amdhsa_exception_fp_denorm_src 0
		.amdhsa_exception_fp_ieee_div_zero 0
		.amdhsa_exception_fp_ieee_overflow 0
		.amdhsa_exception_fp_ieee_underflow 0
		.amdhsa_exception_fp_ieee_inexact 0
		.amdhsa_exception_int_div_zero 0
	.end_amdhsa_kernel
	.section	.text._ZN7rocprim17ROCPRIM_400000_NS6detail17trampoline_kernelINS0_14default_configENS1_27scan_by_key_config_selectorIssEEZZNS1_16scan_by_key_implILNS1_25lookback_scan_determinismE0ELb1ES3_N6thrust23THRUST_200600_302600_NS6detail15normal_iteratorINS9_10device_ptrIsEEEESE_SE_sNS9_4plusIvEENS9_8equal_toIvEEsEE10hipError_tPvRmT2_T3_T4_T5_mT6_T7_P12ihipStream_tbENKUlT_T0_E_clISt17integral_constantIbLb0EESZ_EEDaSU_SV_EUlSU_E_NS1_11comp_targetILNS1_3genE2ELNS1_11target_archE906ELNS1_3gpuE6ELNS1_3repE0EEENS1_30default_config_static_selectorELNS0_4arch9wavefront6targetE0EEEvT1_,"axG",@progbits,_ZN7rocprim17ROCPRIM_400000_NS6detail17trampoline_kernelINS0_14default_configENS1_27scan_by_key_config_selectorIssEEZZNS1_16scan_by_key_implILNS1_25lookback_scan_determinismE0ELb1ES3_N6thrust23THRUST_200600_302600_NS6detail15normal_iteratorINS9_10device_ptrIsEEEESE_SE_sNS9_4plusIvEENS9_8equal_toIvEEsEE10hipError_tPvRmT2_T3_T4_T5_mT6_T7_P12ihipStream_tbENKUlT_T0_E_clISt17integral_constantIbLb0EESZ_EEDaSU_SV_EUlSU_E_NS1_11comp_targetILNS1_3genE2ELNS1_11target_archE906ELNS1_3gpuE6ELNS1_3repE0EEENS1_30default_config_static_selectorELNS0_4arch9wavefront6targetE0EEEvT1_,comdat
.Lfunc_end574:
	.size	_ZN7rocprim17ROCPRIM_400000_NS6detail17trampoline_kernelINS0_14default_configENS1_27scan_by_key_config_selectorIssEEZZNS1_16scan_by_key_implILNS1_25lookback_scan_determinismE0ELb1ES3_N6thrust23THRUST_200600_302600_NS6detail15normal_iteratorINS9_10device_ptrIsEEEESE_SE_sNS9_4plusIvEENS9_8equal_toIvEEsEE10hipError_tPvRmT2_T3_T4_T5_mT6_T7_P12ihipStream_tbENKUlT_T0_E_clISt17integral_constantIbLb0EESZ_EEDaSU_SV_EUlSU_E_NS1_11comp_targetILNS1_3genE2ELNS1_11target_archE906ELNS1_3gpuE6ELNS1_3repE0EEENS1_30default_config_static_selectorELNS0_4arch9wavefront6targetE0EEEvT1_, .Lfunc_end574-_ZN7rocprim17ROCPRIM_400000_NS6detail17trampoline_kernelINS0_14default_configENS1_27scan_by_key_config_selectorIssEEZZNS1_16scan_by_key_implILNS1_25lookback_scan_determinismE0ELb1ES3_N6thrust23THRUST_200600_302600_NS6detail15normal_iteratorINS9_10device_ptrIsEEEESE_SE_sNS9_4plusIvEENS9_8equal_toIvEEsEE10hipError_tPvRmT2_T3_T4_T5_mT6_T7_P12ihipStream_tbENKUlT_T0_E_clISt17integral_constantIbLb0EESZ_EEDaSU_SV_EUlSU_E_NS1_11comp_targetILNS1_3genE2ELNS1_11target_archE906ELNS1_3gpuE6ELNS1_3repE0EEENS1_30default_config_static_selectorELNS0_4arch9wavefront6targetE0EEEvT1_
                                        ; -- End function
	.set _ZN7rocprim17ROCPRIM_400000_NS6detail17trampoline_kernelINS0_14default_configENS1_27scan_by_key_config_selectorIssEEZZNS1_16scan_by_key_implILNS1_25lookback_scan_determinismE0ELb1ES3_N6thrust23THRUST_200600_302600_NS6detail15normal_iteratorINS9_10device_ptrIsEEEESE_SE_sNS9_4plusIvEENS9_8equal_toIvEEsEE10hipError_tPvRmT2_T3_T4_T5_mT6_T7_P12ihipStream_tbENKUlT_T0_E_clISt17integral_constantIbLb0EESZ_EEDaSU_SV_EUlSU_E_NS1_11comp_targetILNS1_3genE2ELNS1_11target_archE906ELNS1_3gpuE6ELNS1_3repE0EEENS1_30default_config_static_selectorELNS0_4arch9wavefront6targetE0EEEvT1_.num_vgpr, 0
	.set _ZN7rocprim17ROCPRIM_400000_NS6detail17trampoline_kernelINS0_14default_configENS1_27scan_by_key_config_selectorIssEEZZNS1_16scan_by_key_implILNS1_25lookback_scan_determinismE0ELb1ES3_N6thrust23THRUST_200600_302600_NS6detail15normal_iteratorINS9_10device_ptrIsEEEESE_SE_sNS9_4plusIvEENS9_8equal_toIvEEsEE10hipError_tPvRmT2_T3_T4_T5_mT6_T7_P12ihipStream_tbENKUlT_T0_E_clISt17integral_constantIbLb0EESZ_EEDaSU_SV_EUlSU_E_NS1_11comp_targetILNS1_3genE2ELNS1_11target_archE906ELNS1_3gpuE6ELNS1_3repE0EEENS1_30default_config_static_selectorELNS0_4arch9wavefront6targetE0EEEvT1_.num_agpr, 0
	.set _ZN7rocprim17ROCPRIM_400000_NS6detail17trampoline_kernelINS0_14default_configENS1_27scan_by_key_config_selectorIssEEZZNS1_16scan_by_key_implILNS1_25lookback_scan_determinismE0ELb1ES3_N6thrust23THRUST_200600_302600_NS6detail15normal_iteratorINS9_10device_ptrIsEEEESE_SE_sNS9_4plusIvEENS9_8equal_toIvEEsEE10hipError_tPvRmT2_T3_T4_T5_mT6_T7_P12ihipStream_tbENKUlT_T0_E_clISt17integral_constantIbLb0EESZ_EEDaSU_SV_EUlSU_E_NS1_11comp_targetILNS1_3genE2ELNS1_11target_archE906ELNS1_3gpuE6ELNS1_3repE0EEENS1_30default_config_static_selectorELNS0_4arch9wavefront6targetE0EEEvT1_.numbered_sgpr, 0
	.set _ZN7rocprim17ROCPRIM_400000_NS6detail17trampoline_kernelINS0_14default_configENS1_27scan_by_key_config_selectorIssEEZZNS1_16scan_by_key_implILNS1_25lookback_scan_determinismE0ELb1ES3_N6thrust23THRUST_200600_302600_NS6detail15normal_iteratorINS9_10device_ptrIsEEEESE_SE_sNS9_4plusIvEENS9_8equal_toIvEEsEE10hipError_tPvRmT2_T3_T4_T5_mT6_T7_P12ihipStream_tbENKUlT_T0_E_clISt17integral_constantIbLb0EESZ_EEDaSU_SV_EUlSU_E_NS1_11comp_targetILNS1_3genE2ELNS1_11target_archE906ELNS1_3gpuE6ELNS1_3repE0EEENS1_30default_config_static_selectorELNS0_4arch9wavefront6targetE0EEEvT1_.num_named_barrier, 0
	.set _ZN7rocprim17ROCPRIM_400000_NS6detail17trampoline_kernelINS0_14default_configENS1_27scan_by_key_config_selectorIssEEZZNS1_16scan_by_key_implILNS1_25lookback_scan_determinismE0ELb1ES3_N6thrust23THRUST_200600_302600_NS6detail15normal_iteratorINS9_10device_ptrIsEEEESE_SE_sNS9_4plusIvEENS9_8equal_toIvEEsEE10hipError_tPvRmT2_T3_T4_T5_mT6_T7_P12ihipStream_tbENKUlT_T0_E_clISt17integral_constantIbLb0EESZ_EEDaSU_SV_EUlSU_E_NS1_11comp_targetILNS1_3genE2ELNS1_11target_archE906ELNS1_3gpuE6ELNS1_3repE0EEENS1_30default_config_static_selectorELNS0_4arch9wavefront6targetE0EEEvT1_.private_seg_size, 0
	.set _ZN7rocprim17ROCPRIM_400000_NS6detail17trampoline_kernelINS0_14default_configENS1_27scan_by_key_config_selectorIssEEZZNS1_16scan_by_key_implILNS1_25lookback_scan_determinismE0ELb1ES3_N6thrust23THRUST_200600_302600_NS6detail15normal_iteratorINS9_10device_ptrIsEEEESE_SE_sNS9_4plusIvEENS9_8equal_toIvEEsEE10hipError_tPvRmT2_T3_T4_T5_mT6_T7_P12ihipStream_tbENKUlT_T0_E_clISt17integral_constantIbLb0EESZ_EEDaSU_SV_EUlSU_E_NS1_11comp_targetILNS1_3genE2ELNS1_11target_archE906ELNS1_3gpuE6ELNS1_3repE0EEENS1_30default_config_static_selectorELNS0_4arch9wavefront6targetE0EEEvT1_.uses_vcc, 0
	.set _ZN7rocprim17ROCPRIM_400000_NS6detail17trampoline_kernelINS0_14default_configENS1_27scan_by_key_config_selectorIssEEZZNS1_16scan_by_key_implILNS1_25lookback_scan_determinismE0ELb1ES3_N6thrust23THRUST_200600_302600_NS6detail15normal_iteratorINS9_10device_ptrIsEEEESE_SE_sNS9_4plusIvEENS9_8equal_toIvEEsEE10hipError_tPvRmT2_T3_T4_T5_mT6_T7_P12ihipStream_tbENKUlT_T0_E_clISt17integral_constantIbLb0EESZ_EEDaSU_SV_EUlSU_E_NS1_11comp_targetILNS1_3genE2ELNS1_11target_archE906ELNS1_3gpuE6ELNS1_3repE0EEENS1_30default_config_static_selectorELNS0_4arch9wavefront6targetE0EEEvT1_.uses_flat_scratch, 0
	.set _ZN7rocprim17ROCPRIM_400000_NS6detail17trampoline_kernelINS0_14default_configENS1_27scan_by_key_config_selectorIssEEZZNS1_16scan_by_key_implILNS1_25lookback_scan_determinismE0ELb1ES3_N6thrust23THRUST_200600_302600_NS6detail15normal_iteratorINS9_10device_ptrIsEEEESE_SE_sNS9_4plusIvEENS9_8equal_toIvEEsEE10hipError_tPvRmT2_T3_T4_T5_mT6_T7_P12ihipStream_tbENKUlT_T0_E_clISt17integral_constantIbLb0EESZ_EEDaSU_SV_EUlSU_E_NS1_11comp_targetILNS1_3genE2ELNS1_11target_archE906ELNS1_3gpuE6ELNS1_3repE0EEENS1_30default_config_static_selectorELNS0_4arch9wavefront6targetE0EEEvT1_.has_dyn_sized_stack, 0
	.set _ZN7rocprim17ROCPRIM_400000_NS6detail17trampoline_kernelINS0_14default_configENS1_27scan_by_key_config_selectorIssEEZZNS1_16scan_by_key_implILNS1_25lookback_scan_determinismE0ELb1ES3_N6thrust23THRUST_200600_302600_NS6detail15normal_iteratorINS9_10device_ptrIsEEEESE_SE_sNS9_4plusIvEENS9_8equal_toIvEEsEE10hipError_tPvRmT2_T3_T4_T5_mT6_T7_P12ihipStream_tbENKUlT_T0_E_clISt17integral_constantIbLb0EESZ_EEDaSU_SV_EUlSU_E_NS1_11comp_targetILNS1_3genE2ELNS1_11target_archE906ELNS1_3gpuE6ELNS1_3repE0EEENS1_30default_config_static_selectorELNS0_4arch9wavefront6targetE0EEEvT1_.has_recursion, 0
	.set _ZN7rocprim17ROCPRIM_400000_NS6detail17trampoline_kernelINS0_14default_configENS1_27scan_by_key_config_selectorIssEEZZNS1_16scan_by_key_implILNS1_25lookback_scan_determinismE0ELb1ES3_N6thrust23THRUST_200600_302600_NS6detail15normal_iteratorINS9_10device_ptrIsEEEESE_SE_sNS9_4plusIvEENS9_8equal_toIvEEsEE10hipError_tPvRmT2_T3_T4_T5_mT6_T7_P12ihipStream_tbENKUlT_T0_E_clISt17integral_constantIbLb0EESZ_EEDaSU_SV_EUlSU_E_NS1_11comp_targetILNS1_3genE2ELNS1_11target_archE906ELNS1_3gpuE6ELNS1_3repE0EEENS1_30default_config_static_selectorELNS0_4arch9wavefront6targetE0EEEvT1_.has_indirect_call, 0
	.section	.AMDGPU.csdata,"",@progbits
; Kernel info:
; codeLenInByte = 0
; TotalNumSgprs: 0
; NumVgprs: 0
; ScratchSize: 0
; MemoryBound: 0
; FloatMode: 240
; IeeeMode: 1
; LDSByteSize: 0 bytes/workgroup (compile time only)
; SGPRBlocks: 0
; VGPRBlocks: 0
; NumSGPRsForWavesPerEU: 1
; NumVGPRsForWavesPerEU: 1
; Occupancy: 16
; WaveLimiterHint : 0
; COMPUTE_PGM_RSRC2:SCRATCH_EN: 0
; COMPUTE_PGM_RSRC2:USER_SGPR: 6
; COMPUTE_PGM_RSRC2:TRAP_HANDLER: 0
; COMPUTE_PGM_RSRC2:TGID_X_EN: 1
; COMPUTE_PGM_RSRC2:TGID_Y_EN: 0
; COMPUTE_PGM_RSRC2:TGID_Z_EN: 0
; COMPUTE_PGM_RSRC2:TIDIG_COMP_CNT: 0
	.section	.text._ZN7rocprim17ROCPRIM_400000_NS6detail17trampoline_kernelINS0_14default_configENS1_27scan_by_key_config_selectorIssEEZZNS1_16scan_by_key_implILNS1_25lookback_scan_determinismE0ELb1ES3_N6thrust23THRUST_200600_302600_NS6detail15normal_iteratorINS9_10device_ptrIsEEEESE_SE_sNS9_4plusIvEENS9_8equal_toIvEEsEE10hipError_tPvRmT2_T3_T4_T5_mT6_T7_P12ihipStream_tbENKUlT_T0_E_clISt17integral_constantIbLb0EESZ_EEDaSU_SV_EUlSU_E_NS1_11comp_targetILNS1_3genE10ELNS1_11target_archE1200ELNS1_3gpuE4ELNS1_3repE0EEENS1_30default_config_static_selectorELNS0_4arch9wavefront6targetE0EEEvT1_,"axG",@progbits,_ZN7rocprim17ROCPRIM_400000_NS6detail17trampoline_kernelINS0_14default_configENS1_27scan_by_key_config_selectorIssEEZZNS1_16scan_by_key_implILNS1_25lookback_scan_determinismE0ELb1ES3_N6thrust23THRUST_200600_302600_NS6detail15normal_iteratorINS9_10device_ptrIsEEEESE_SE_sNS9_4plusIvEENS9_8equal_toIvEEsEE10hipError_tPvRmT2_T3_T4_T5_mT6_T7_P12ihipStream_tbENKUlT_T0_E_clISt17integral_constantIbLb0EESZ_EEDaSU_SV_EUlSU_E_NS1_11comp_targetILNS1_3genE10ELNS1_11target_archE1200ELNS1_3gpuE4ELNS1_3repE0EEENS1_30default_config_static_selectorELNS0_4arch9wavefront6targetE0EEEvT1_,comdat
	.protected	_ZN7rocprim17ROCPRIM_400000_NS6detail17trampoline_kernelINS0_14default_configENS1_27scan_by_key_config_selectorIssEEZZNS1_16scan_by_key_implILNS1_25lookback_scan_determinismE0ELb1ES3_N6thrust23THRUST_200600_302600_NS6detail15normal_iteratorINS9_10device_ptrIsEEEESE_SE_sNS9_4plusIvEENS9_8equal_toIvEEsEE10hipError_tPvRmT2_T3_T4_T5_mT6_T7_P12ihipStream_tbENKUlT_T0_E_clISt17integral_constantIbLb0EESZ_EEDaSU_SV_EUlSU_E_NS1_11comp_targetILNS1_3genE10ELNS1_11target_archE1200ELNS1_3gpuE4ELNS1_3repE0EEENS1_30default_config_static_selectorELNS0_4arch9wavefront6targetE0EEEvT1_ ; -- Begin function _ZN7rocprim17ROCPRIM_400000_NS6detail17trampoline_kernelINS0_14default_configENS1_27scan_by_key_config_selectorIssEEZZNS1_16scan_by_key_implILNS1_25lookback_scan_determinismE0ELb1ES3_N6thrust23THRUST_200600_302600_NS6detail15normal_iteratorINS9_10device_ptrIsEEEESE_SE_sNS9_4plusIvEENS9_8equal_toIvEEsEE10hipError_tPvRmT2_T3_T4_T5_mT6_T7_P12ihipStream_tbENKUlT_T0_E_clISt17integral_constantIbLb0EESZ_EEDaSU_SV_EUlSU_E_NS1_11comp_targetILNS1_3genE10ELNS1_11target_archE1200ELNS1_3gpuE4ELNS1_3repE0EEENS1_30default_config_static_selectorELNS0_4arch9wavefront6targetE0EEEvT1_
	.globl	_ZN7rocprim17ROCPRIM_400000_NS6detail17trampoline_kernelINS0_14default_configENS1_27scan_by_key_config_selectorIssEEZZNS1_16scan_by_key_implILNS1_25lookback_scan_determinismE0ELb1ES3_N6thrust23THRUST_200600_302600_NS6detail15normal_iteratorINS9_10device_ptrIsEEEESE_SE_sNS9_4plusIvEENS9_8equal_toIvEEsEE10hipError_tPvRmT2_T3_T4_T5_mT6_T7_P12ihipStream_tbENKUlT_T0_E_clISt17integral_constantIbLb0EESZ_EEDaSU_SV_EUlSU_E_NS1_11comp_targetILNS1_3genE10ELNS1_11target_archE1200ELNS1_3gpuE4ELNS1_3repE0EEENS1_30default_config_static_selectorELNS0_4arch9wavefront6targetE0EEEvT1_
	.p2align	8
	.type	_ZN7rocprim17ROCPRIM_400000_NS6detail17trampoline_kernelINS0_14default_configENS1_27scan_by_key_config_selectorIssEEZZNS1_16scan_by_key_implILNS1_25lookback_scan_determinismE0ELb1ES3_N6thrust23THRUST_200600_302600_NS6detail15normal_iteratorINS9_10device_ptrIsEEEESE_SE_sNS9_4plusIvEENS9_8equal_toIvEEsEE10hipError_tPvRmT2_T3_T4_T5_mT6_T7_P12ihipStream_tbENKUlT_T0_E_clISt17integral_constantIbLb0EESZ_EEDaSU_SV_EUlSU_E_NS1_11comp_targetILNS1_3genE10ELNS1_11target_archE1200ELNS1_3gpuE4ELNS1_3repE0EEENS1_30default_config_static_selectorELNS0_4arch9wavefront6targetE0EEEvT1_,@function
_ZN7rocprim17ROCPRIM_400000_NS6detail17trampoline_kernelINS0_14default_configENS1_27scan_by_key_config_selectorIssEEZZNS1_16scan_by_key_implILNS1_25lookback_scan_determinismE0ELb1ES3_N6thrust23THRUST_200600_302600_NS6detail15normal_iteratorINS9_10device_ptrIsEEEESE_SE_sNS9_4plusIvEENS9_8equal_toIvEEsEE10hipError_tPvRmT2_T3_T4_T5_mT6_T7_P12ihipStream_tbENKUlT_T0_E_clISt17integral_constantIbLb0EESZ_EEDaSU_SV_EUlSU_E_NS1_11comp_targetILNS1_3genE10ELNS1_11target_archE1200ELNS1_3gpuE4ELNS1_3repE0EEENS1_30default_config_static_selectorELNS0_4arch9wavefront6targetE0EEEvT1_: ; @_ZN7rocprim17ROCPRIM_400000_NS6detail17trampoline_kernelINS0_14default_configENS1_27scan_by_key_config_selectorIssEEZZNS1_16scan_by_key_implILNS1_25lookback_scan_determinismE0ELb1ES3_N6thrust23THRUST_200600_302600_NS6detail15normal_iteratorINS9_10device_ptrIsEEEESE_SE_sNS9_4plusIvEENS9_8equal_toIvEEsEE10hipError_tPvRmT2_T3_T4_T5_mT6_T7_P12ihipStream_tbENKUlT_T0_E_clISt17integral_constantIbLb0EESZ_EEDaSU_SV_EUlSU_E_NS1_11comp_targetILNS1_3genE10ELNS1_11target_archE1200ELNS1_3gpuE4ELNS1_3repE0EEENS1_30default_config_static_selectorELNS0_4arch9wavefront6targetE0EEEvT1_
; %bb.0:
	.section	.rodata,"a",@progbits
	.p2align	6, 0x0
	.amdhsa_kernel _ZN7rocprim17ROCPRIM_400000_NS6detail17trampoline_kernelINS0_14default_configENS1_27scan_by_key_config_selectorIssEEZZNS1_16scan_by_key_implILNS1_25lookback_scan_determinismE0ELb1ES3_N6thrust23THRUST_200600_302600_NS6detail15normal_iteratorINS9_10device_ptrIsEEEESE_SE_sNS9_4plusIvEENS9_8equal_toIvEEsEE10hipError_tPvRmT2_T3_T4_T5_mT6_T7_P12ihipStream_tbENKUlT_T0_E_clISt17integral_constantIbLb0EESZ_EEDaSU_SV_EUlSU_E_NS1_11comp_targetILNS1_3genE10ELNS1_11target_archE1200ELNS1_3gpuE4ELNS1_3repE0EEENS1_30default_config_static_selectorELNS0_4arch9wavefront6targetE0EEEvT1_
		.amdhsa_group_segment_fixed_size 0
		.amdhsa_private_segment_fixed_size 0
		.amdhsa_kernarg_size 112
		.amdhsa_user_sgpr_count 6
		.amdhsa_user_sgpr_private_segment_buffer 1
		.amdhsa_user_sgpr_dispatch_ptr 0
		.amdhsa_user_sgpr_queue_ptr 0
		.amdhsa_user_sgpr_kernarg_segment_ptr 1
		.amdhsa_user_sgpr_dispatch_id 0
		.amdhsa_user_sgpr_flat_scratch_init 0
		.amdhsa_user_sgpr_private_segment_size 0
		.amdhsa_wavefront_size32 1
		.amdhsa_uses_dynamic_stack 0
		.amdhsa_system_sgpr_private_segment_wavefront_offset 0
		.amdhsa_system_sgpr_workgroup_id_x 1
		.amdhsa_system_sgpr_workgroup_id_y 0
		.amdhsa_system_sgpr_workgroup_id_z 0
		.amdhsa_system_sgpr_workgroup_info 0
		.amdhsa_system_vgpr_workitem_id 0
		.amdhsa_next_free_vgpr 1
		.amdhsa_next_free_sgpr 1
		.amdhsa_reserve_vcc 0
		.amdhsa_reserve_flat_scratch 0
		.amdhsa_float_round_mode_32 0
		.amdhsa_float_round_mode_16_64 0
		.amdhsa_float_denorm_mode_32 3
		.amdhsa_float_denorm_mode_16_64 3
		.amdhsa_dx10_clamp 1
		.amdhsa_ieee_mode 1
		.amdhsa_fp16_overflow 0
		.amdhsa_workgroup_processor_mode 1
		.amdhsa_memory_ordered 1
		.amdhsa_forward_progress 1
		.amdhsa_shared_vgpr_count 0
		.amdhsa_exception_fp_ieee_invalid_op 0
		.amdhsa_exception_fp_denorm_src 0
		.amdhsa_exception_fp_ieee_div_zero 0
		.amdhsa_exception_fp_ieee_overflow 0
		.amdhsa_exception_fp_ieee_underflow 0
		.amdhsa_exception_fp_ieee_inexact 0
		.amdhsa_exception_int_div_zero 0
	.end_amdhsa_kernel
	.section	.text._ZN7rocprim17ROCPRIM_400000_NS6detail17trampoline_kernelINS0_14default_configENS1_27scan_by_key_config_selectorIssEEZZNS1_16scan_by_key_implILNS1_25lookback_scan_determinismE0ELb1ES3_N6thrust23THRUST_200600_302600_NS6detail15normal_iteratorINS9_10device_ptrIsEEEESE_SE_sNS9_4plusIvEENS9_8equal_toIvEEsEE10hipError_tPvRmT2_T3_T4_T5_mT6_T7_P12ihipStream_tbENKUlT_T0_E_clISt17integral_constantIbLb0EESZ_EEDaSU_SV_EUlSU_E_NS1_11comp_targetILNS1_3genE10ELNS1_11target_archE1200ELNS1_3gpuE4ELNS1_3repE0EEENS1_30default_config_static_selectorELNS0_4arch9wavefront6targetE0EEEvT1_,"axG",@progbits,_ZN7rocprim17ROCPRIM_400000_NS6detail17trampoline_kernelINS0_14default_configENS1_27scan_by_key_config_selectorIssEEZZNS1_16scan_by_key_implILNS1_25lookback_scan_determinismE0ELb1ES3_N6thrust23THRUST_200600_302600_NS6detail15normal_iteratorINS9_10device_ptrIsEEEESE_SE_sNS9_4plusIvEENS9_8equal_toIvEEsEE10hipError_tPvRmT2_T3_T4_T5_mT6_T7_P12ihipStream_tbENKUlT_T0_E_clISt17integral_constantIbLb0EESZ_EEDaSU_SV_EUlSU_E_NS1_11comp_targetILNS1_3genE10ELNS1_11target_archE1200ELNS1_3gpuE4ELNS1_3repE0EEENS1_30default_config_static_selectorELNS0_4arch9wavefront6targetE0EEEvT1_,comdat
.Lfunc_end575:
	.size	_ZN7rocprim17ROCPRIM_400000_NS6detail17trampoline_kernelINS0_14default_configENS1_27scan_by_key_config_selectorIssEEZZNS1_16scan_by_key_implILNS1_25lookback_scan_determinismE0ELb1ES3_N6thrust23THRUST_200600_302600_NS6detail15normal_iteratorINS9_10device_ptrIsEEEESE_SE_sNS9_4plusIvEENS9_8equal_toIvEEsEE10hipError_tPvRmT2_T3_T4_T5_mT6_T7_P12ihipStream_tbENKUlT_T0_E_clISt17integral_constantIbLb0EESZ_EEDaSU_SV_EUlSU_E_NS1_11comp_targetILNS1_3genE10ELNS1_11target_archE1200ELNS1_3gpuE4ELNS1_3repE0EEENS1_30default_config_static_selectorELNS0_4arch9wavefront6targetE0EEEvT1_, .Lfunc_end575-_ZN7rocprim17ROCPRIM_400000_NS6detail17trampoline_kernelINS0_14default_configENS1_27scan_by_key_config_selectorIssEEZZNS1_16scan_by_key_implILNS1_25lookback_scan_determinismE0ELb1ES3_N6thrust23THRUST_200600_302600_NS6detail15normal_iteratorINS9_10device_ptrIsEEEESE_SE_sNS9_4plusIvEENS9_8equal_toIvEEsEE10hipError_tPvRmT2_T3_T4_T5_mT6_T7_P12ihipStream_tbENKUlT_T0_E_clISt17integral_constantIbLb0EESZ_EEDaSU_SV_EUlSU_E_NS1_11comp_targetILNS1_3genE10ELNS1_11target_archE1200ELNS1_3gpuE4ELNS1_3repE0EEENS1_30default_config_static_selectorELNS0_4arch9wavefront6targetE0EEEvT1_
                                        ; -- End function
	.set _ZN7rocprim17ROCPRIM_400000_NS6detail17trampoline_kernelINS0_14default_configENS1_27scan_by_key_config_selectorIssEEZZNS1_16scan_by_key_implILNS1_25lookback_scan_determinismE0ELb1ES3_N6thrust23THRUST_200600_302600_NS6detail15normal_iteratorINS9_10device_ptrIsEEEESE_SE_sNS9_4plusIvEENS9_8equal_toIvEEsEE10hipError_tPvRmT2_T3_T4_T5_mT6_T7_P12ihipStream_tbENKUlT_T0_E_clISt17integral_constantIbLb0EESZ_EEDaSU_SV_EUlSU_E_NS1_11comp_targetILNS1_3genE10ELNS1_11target_archE1200ELNS1_3gpuE4ELNS1_3repE0EEENS1_30default_config_static_selectorELNS0_4arch9wavefront6targetE0EEEvT1_.num_vgpr, 0
	.set _ZN7rocprim17ROCPRIM_400000_NS6detail17trampoline_kernelINS0_14default_configENS1_27scan_by_key_config_selectorIssEEZZNS1_16scan_by_key_implILNS1_25lookback_scan_determinismE0ELb1ES3_N6thrust23THRUST_200600_302600_NS6detail15normal_iteratorINS9_10device_ptrIsEEEESE_SE_sNS9_4plusIvEENS9_8equal_toIvEEsEE10hipError_tPvRmT2_T3_T4_T5_mT6_T7_P12ihipStream_tbENKUlT_T0_E_clISt17integral_constantIbLb0EESZ_EEDaSU_SV_EUlSU_E_NS1_11comp_targetILNS1_3genE10ELNS1_11target_archE1200ELNS1_3gpuE4ELNS1_3repE0EEENS1_30default_config_static_selectorELNS0_4arch9wavefront6targetE0EEEvT1_.num_agpr, 0
	.set _ZN7rocprim17ROCPRIM_400000_NS6detail17trampoline_kernelINS0_14default_configENS1_27scan_by_key_config_selectorIssEEZZNS1_16scan_by_key_implILNS1_25lookback_scan_determinismE0ELb1ES3_N6thrust23THRUST_200600_302600_NS6detail15normal_iteratorINS9_10device_ptrIsEEEESE_SE_sNS9_4plusIvEENS9_8equal_toIvEEsEE10hipError_tPvRmT2_T3_T4_T5_mT6_T7_P12ihipStream_tbENKUlT_T0_E_clISt17integral_constantIbLb0EESZ_EEDaSU_SV_EUlSU_E_NS1_11comp_targetILNS1_3genE10ELNS1_11target_archE1200ELNS1_3gpuE4ELNS1_3repE0EEENS1_30default_config_static_selectorELNS0_4arch9wavefront6targetE0EEEvT1_.numbered_sgpr, 0
	.set _ZN7rocprim17ROCPRIM_400000_NS6detail17trampoline_kernelINS0_14default_configENS1_27scan_by_key_config_selectorIssEEZZNS1_16scan_by_key_implILNS1_25lookback_scan_determinismE0ELb1ES3_N6thrust23THRUST_200600_302600_NS6detail15normal_iteratorINS9_10device_ptrIsEEEESE_SE_sNS9_4plusIvEENS9_8equal_toIvEEsEE10hipError_tPvRmT2_T3_T4_T5_mT6_T7_P12ihipStream_tbENKUlT_T0_E_clISt17integral_constantIbLb0EESZ_EEDaSU_SV_EUlSU_E_NS1_11comp_targetILNS1_3genE10ELNS1_11target_archE1200ELNS1_3gpuE4ELNS1_3repE0EEENS1_30default_config_static_selectorELNS0_4arch9wavefront6targetE0EEEvT1_.num_named_barrier, 0
	.set _ZN7rocprim17ROCPRIM_400000_NS6detail17trampoline_kernelINS0_14default_configENS1_27scan_by_key_config_selectorIssEEZZNS1_16scan_by_key_implILNS1_25lookback_scan_determinismE0ELb1ES3_N6thrust23THRUST_200600_302600_NS6detail15normal_iteratorINS9_10device_ptrIsEEEESE_SE_sNS9_4plusIvEENS9_8equal_toIvEEsEE10hipError_tPvRmT2_T3_T4_T5_mT6_T7_P12ihipStream_tbENKUlT_T0_E_clISt17integral_constantIbLb0EESZ_EEDaSU_SV_EUlSU_E_NS1_11comp_targetILNS1_3genE10ELNS1_11target_archE1200ELNS1_3gpuE4ELNS1_3repE0EEENS1_30default_config_static_selectorELNS0_4arch9wavefront6targetE0EEEvT1_.private_seg_size, 0
	.set _ZN7rocprim17ROCPRIM_400000_NS6detail17trampoline_kernelINS0_14default_configENS1_27scan_by_key_config_selectorIssEEZZNS1_16scan_by_key_implILNS1_25lookback_scan_determinismE0ELb1ES3_N6thrust23THRUST_200600_302600_NS6detail15normal_iteratorINS9_10device_ptrIsEEEESE_SE_sNS9_4plusIvEENS9_8equal_toIvEEsEE10hipError_tPvRmT2_T3_T4_T5_mT6_T7_P12ihipStream_tbENKUlT_T0_E_clISt17integral_constantIbLb0EESZ_EEDaSU_SV_EUlSU_E_NS1_11comp_targetILNS1_3genE10ELNS1_11target_archE1200ELNS1_3gpuE4ELNS1_3repE0EEENS1_30default_config_static_selectorELNS0_4arch9wavefront6targetE0EEEvT1_.uses_vcc, 0
	.set _ZN7rocprim17ROCPRIM_400000_NS6detail17trampoline_kernelINS0_14default_configENS1_27scan_by_key_config_selectorIssEEZZNS1_16scan_by_key_implILNS1_25lookback_scan_determinismE0ELb1ES3_N6thrust23THRUST_200600_302600_NS6detail15normal_iteratorINS9_10device_ptrIsEEEESE_SE_sNS9_4plusIvEENS9_8equal_toIvEEsEE10hipError_tPvRmT2_T3_T4_T5_mT6_T7_P12ihipStream_tbENKUlT_T0_E_clISt17integral_constantIbLb0EESZ_EEDaSU_SV_EUlSU_E_NS1_11comp_targetILNS1_3genE10ELNS1_11target_archE1200ELNS1_3gpuE4ELNS1_3repE0EEENS1_30default_config_static_selectorELNS0_4arch9wavefront6targetE0EEEvT1_.uses_flat_scratch, 0
	.set _ZN7rocprim17ROCPRIM_400000_NS6detail17trampoline_kernelINS0_14default_configENS1_27scan_by_key_config_selectorIssEEZZNS1_16scan_by_key_implILNS1_25lookback_scan_determinismE0ELb1ES3_N6thrust23THRUST_200600_302600_NS6detail15normal_iteratorINS9_10device_ptrIsEEEESE_SE_sNS9_4plusIvEENS9_8equal_toIvEEsEE10hipError_tPvRmT2_T3_T4_T5_mT6_T7_P12ihipStream_tbENKUlT_T0_E_clISt17integral_constantIbLb0EESZ_EEDaSU_SV_EUlSU_E_NS1_11comp_targetILNS1_3genE10ELNS1_11target_archE1200ELNS1_3gpuE4ELNS1_3repE0EEENS1_30default_config_static_selectorELNS0_4arch9wavefront6targetE0EEEvT1_.has_dyn_sized_stack, 0
	.set _ZN7rocprim17ROCPRIM_400000_NS6detail17trampoline_kernelINS0_14default_configENS1_27scan_by_key_config_selectorIssEEZZNS1_16scan_by_key_implILNS1_25lookback_scan_determinismE0ELb1ES3_N6thrust23THRUST_200600_302600_NS6detail15normal_iteratorINS9_10device_ptrIsEEEESE_SE_sNS9_4plusIvEENS9_8equal_toIvEEsEE10hipError_tPvRmT2_T3_T4_T5_mT6_T7_P12ihipStream_tbENKUlT_T0_E_clISt17integral_constantIbLb0EESZ_EEDaSU_SV_EUlSU_E_NS1_11comp_targetILNS1_3genE10ELNS1_11target_archE1200ELNS1_3gpuE4ELNS1_3repE0EEENS1_30default_config_static_selectorELNS0_4arch9wavefront6targetE0EEEvT1_.has_recursion, 0
	.set _ZN7rocprim17ROCPRIM_400000_NS6detail17trampoline_kernelINS0_14default_configENS1_27scan_by_key_config_selectorIssEEZZNS1_16scan_by_key_implILNS1_25lookback_scan_determinismE0ELb1ES3_N6thrust23THRUST_200600_302600_NS6detail15normal_iteratorINS9_10device_ptrIsEEEESE_SE_sNS9_4plusIvEENS9_8equal_toIvEEsEE10hipError_tPvRmT2_T3_T4_T5_mT6_T7_P12ihipStream_tbENKUlT_T0_E_clISt17integral_constantIbLb0EESZ_EEDaSU_SV_EUlSU_E_NS1_11comp_targetILNS1_3genE10ELNS1_11target_archE1200ELNS1_3gpuE4ELNS1_3repE0EEENS1_30default_config_static_selectorELNS0_4arch9wavefront6targetE0EEEvT1_.has_indirect_call, 0
	.section	.AMDGPU.csdata,"",@progbits
; Kernel info:
; codeLenInByte = 0
; TotalNumSgprs: 0
; NumVgprs: 0
; ScratchSize: 0
; MemoryBound: 0
; FloatMode: 240
; IeeeMode: 1
; LDSByteSize: 0 bytes/workgroup (compile time only)
; SGPRBlocks: 0
; VGPRBlocks: 0
; NumSGPRsForWavesPerEU: 1
; NumVGPRsForWavesPerEU: 1
; Occupancy: 16
; WaveLimiterHint : 0
; COMPUTE_PGM_RSRC2:SCRATCH_EN: 0
; COMPUTE_PGM_RSRC2:USER_SGPR: 6
; COMPUTE_PGM_RSRC2:TRAP_HANDLER: 0
; COMPUTE_PGM_RSRC2:TGID_X_EN: 1
; COMPUTE_PGM_RSRC2:TGID_Y_EN: 0
; COMPUTE_PGM_RSRC2:TGID_Z_EN: 0
; COMPUTE_PGM_RSRC2:TIDIG_COMP_CNT: 0
	.section	.text._ZN7rocprim17ROCPRIM_400000_NS6detail17trampoline_kernelINS0_14default_configENS1_27scan_by_key_config_selectorIssEEZZNS1_16scan_by_key_implILNS1_25lookback_scan_determinismE0ELb1ES3_N6thrust23THRUST_200600_302600_NS6detail15normal_iteratorINS9_10device_ptrIsEEEESE_SE_sNS9_4plusIvEENS9_8equal_toIvEEsEE10hipError_tPvRmT2_T3_T4_T5_mT6_T7_P12ihipStream_tbENKUlT_T0_E_clISt17integral_constantIbLb0EESZ_EEDaSU_SV_EUlSU_E_NS1_11comp_targetILNS1_3genE9ELNS1_11target_archE1100ELNS1_3gpuE3ELNS1_3repE0EEENS1_30default_config_static_selectorELNS0_4arch9wavefront6targetE0EEEvT1_,"axG",@progbits,_ZN7rocprim17ROCPRIM_400000_NS6detail17trampoline_kernelINS0_14default_configENS1_27scan_by_key_config_selectorIssEEZZNS1_16scan_by_key_implILNS1_25lookback_scan_determinismE0ELb1ES3_N6thrust23THRUST_200600_302600_NS6detail15normal_iteratorINS9_10device_ptrIsEEEESE_SE_sNS9_4plusIvEENS9_8equal_toIvEEsEE10hipError_tPvRmT2_T3_T4_T5_mT6_T7_P12ihipStream_tbENKUlT_T0_E_clISt17integral_constantIbLb0EESZ_EEDaSU_SV_EUlSU_E_NS1_11comp_targetILNS1_3genE9ELNS1_11target_archE1100ELNS1_3gpuE3ELNS1_3repE0EEENS1_30default_config_static_selectorELNS0_4arch9wavefront6targetE0EEEvT1_,comdat
	.protected	_ZN7rocprim17ROCPRIM_400000_NS6detail17trampoline_kernelINS0_14default_configENS1_27scan_by_key_config_selectorIssEEZZNS1_16scan_by_key_implILNS1_25lookback_scan_determinismE0ELb1ES3_N6thrust23THRUST_200600_302600_NS6detail15normal_iteratorINS9_10device_ptrIsEEEESE_SE_sNS9_4plusIvEENS9_8equal_toIvEEsEE10hipError_tPvRmT2_T3_T4_T5_mT6_T7_P12ihipStream_tbENKUlT_T0_E_clISt17integral_constantIbLb0EESZ_EEDaSU_SV_EUlSU_E_NS1_11comp_targetILNS1_3genE9ELNS1_11target_archE1100ELNS1_3gpuE3ELNS1_3repE0EEENS1_30default_config_static_selectorELNS0_4arch9wavefront6targetE0EEEvT1_ ; -- Begin function _ZN7rocprim17ROCPRIM_400000_NS6detail17trampoline_kernelINS0_14default_configENS1_27scan_by_key_config_selectorIssEEZZNS1_16scan_by_key_implILNS1_25lookback_scan_determinismE0ELb1ES3_N6thrust23THRUST_200600_302600_NS6detail15normal_iteratorINS9_10device_ptrIsEEEESE_SE_sNS9_4plusIvEENS9_8equal_toIvEEsEE10hipError_tPvRmT2_T3_T4_T5_mT6_T7_P12ihipStream_tbENKUlT_T0_E_clISt17integral_constantIbLb0EESZ_EEDaSU_SV_EUlSU_E_NS1_11comp_targetILNS1_3genE9ELNS1_11target_archE1100ELNS1_3gpuE3ELNS1_3repE0EEENS1_30default_config_static_selectorELNS0_4arch9wavefront6targetE0EEEvT1_
	.globl	_ZN7rocprim17ROCPRIM_400000_NS6detail17trampoline_kernelINS0_14default_configENS1_27scan_by_key_config_selectorIssEEZZNS1_16scan_by_key_implILNS1_25lookback_scan_determinismE0ELb1ES3_N6thrust23THRUST_200600_302600_NS6detail15normal_iteratorINS9_10device_ptrIsEEEESE_SE_sNS9_4plusIvEENS9_8equal_toIvEEsEE10hipError_tPvRmT2_T3_T4_T5_mT6_T7_P12ihipStream_tbENKUlT_T0_E_clISt17integral_constantIbLb0EESZ_EEDaSU_SV_EUlSU_E_NS1_11comp_targetILNS1_3genE9ELNS1_11target_archE1100ELNS1_3gpuE3ELNS1_3repE0EEENS1_30default_config_static_selectorELNS0_4arch9wavefront6targetE0EEEvT1_
	.p2align	8
	.type	_ZN7rocprim17ROCPRIM_400000_NS6detail17trampoline_kernelINS0_14default_configENS1_27scan_by_key_config_selectorIssEEZZNS1_16scan_by_key_implILNS1_25lookback_scan_determinismE0ELb1ES3_N6thrust23THRUST_200600_302600_NS6detail15normal_iteratorINS9_10device_ptrIsEEEESE_SE_sNS9_4plusIvEENS9_8equal_toIvEEsEE10hipError_tPvRmT2_T3_T4_T5_mT6_T7_P12ihipStream_tbENKUlT_T0_E_clISt17integral_constantIbLb0EESZ_EEDaSU_SV_EUlSU_E_NS1_11comp_targetILNS1_3genE9ELNS1_11target_archE1100ELNS1_3gpuE3ELNS1_3repE0EEENS1_30default_config_static_selectorELNS0_4arch9wavefront6targetE0EEEvT1_,@function
_ZN7rocprim17ROCPRIM_400000_NS6detail17trampoline_kernelINS0_14default_configENS1_27scan_by_key_config_selectorIssEEZZNS1_16scan_by_key_implILNS1_25lookback_scan_determinismE0ELb1ES3_N6thrust23THRUST_200600_302600_NS6detail15normal_iteratorINS9_10device_ptrIsEEEESE_SE_sNS9_4plusIvEENS9_8equal_toIvEEsEE10hipError_tPvRmT2_T3_T4_T5_mT6_T7_P12ihipStream_tbENKUlT_T0_E_clISt17integral_constantIbLb0EESZ_EEDaSU_SV_EUlSU_E_NS1_11comp_targetILNS1_3genE9ELNS1_11target_archE1100ELNS1_3gpuE3ELNS1_3repE0EEENS1_30default_config_static_selectorELNS0_4arch9wavefront6targetE0EEEvT1_: ; @_ZN7rocprim17ROCPRIM_400000_NS6detail17trampoline_kernelINS0_14default_configENS1_27scan_by_key_config_selectorIssEEZZNS1_16scan_by_key_implILNS1_25lookback_scan_determinismE0ELb1ES3_N6thrust23THRUST_200600_302600_NS6detail15normal_iteratorINS9_10device_ptrIsEEEESE_SE_sNS9_4plusIvEENS9_8equal_toIvEEsEE10hipError_tPvRmT2_T3_T4_T5_mT6_T7_P12ihipStream_tbENKUlT_T0_E_clISt17integral_constantIbLb0EESZ_EEDaSU_SV_EUlSU_E_NS1_11comp_targetILNS1_3genE9ELNS1_11target_archE1100ELNS1_3gpuE3ELNS1_3repE0EEENS1_30default_config_static_selectorELNS0_4arch9wavefront6targetE0EEEvT1_
; %bb.0:
	.section	.rodata,"a",@progbits
	.p2align	6, 0x0
	.amdhsa_kernel _ZN7rocprim17ROCPRIM_400000_NS6detail17trampoline_kernelINS0_14default_configENS1_27scan_by_key_config_selectorIssEEZZNS1_16scan_by_key_implILNS1_25lookback_scan_determinismE0ELb1ES3_N6thrust23THRUST_200600_302600_NS6detail15normal_iteratorINS9_10device_ptrIsEEEESE_SE_sNS9_4plusIvEENS9_8equal_toIvEEsEE10hipError_tPvRmT2_T3_T4_T5_mT6_T7_P12ihipStream_tbENKUlT_T0_E_clISt17integral_constantIbLb0EESZ_EEDaSU_SV_EUlSU_E_NS1_11comp_targetILNS1_3genE9ELNS1_11target_archE1100ELNS1_3gpuE3ELNS1_3repE0EEENS1_30default_config_static_selectorELNS0_4arch9wavefront6targetE0EEEvT1_
		.amdhsa_group_segment_fixed_size 0
		.amdhsa_private_segment_fixed_size 0
		.amdhsa_kernarg_size 112
		.amdhsa_user_sgpr_count 6
		.amdhsa_user_sgpr_private_segment_buffer 1
		.amdhsa_user_sgpr_dispatch_ptr 0
		.amdhsa_user_sgpr_queue_ptr 0
		.amdhsa_user_sgpr_kernarg_segment_ptr 1
		.amdhsa_user_sgpr_dispatch_id 0
		.amdhsa_user_sgpr_flat_scratch_init 0
		.amdhsa_user_sgpr_private_segment_size 0
		.amdhsa_wavefront_size32 1
		.amdhsa_uses_dynamic_stack 0
		.amdhsa_system_sgpr_private_segment_wavefront_offset 0
		.amdhsa_system_sgpr_workgroup_id_x 1
		.amdhsa_system_sgpr_workgroup_id_y 0
		.amdhsa_system_sgpr_workgroup_id_z 0
		.amdhsa_system_sgpr_workgroup_info 0
		.amdhsa_system_vgpr_workitem_id 0
		.amdhsa_next_free_vgpr 1
		.amdhsa_next_free_sgpr 1
		.amdhsa_reserve_vcc 0
		.amdhsa_reserve_flat_scratch 0
		.amdhsa_float_round_mode_32 0
		.amdhsa_float_round_mode_16_64 0
		.amdhsa_float_denorm_mode_32 3
		.amdhsa_float_denorm_mode_16_64 3
		.amdhsa_dx10_clamp 1
		.amdhsa_ieee_mode 1
		.amdhsa_fp16_overflow 0
		.amdhsa_workgroup_processor_mode 1
		.amdhsa_memory_ordered 1
		.amdhsa_forward_progress 1
		.amdhsa_shared_vgpr_count 0
		.amdhsa_exception_fp_ieee_invalid_op 0
		.amdhsa_exception_fp_denorm_src 0
		.amdhsa_exception_fp_ieee_div_zero 0
		.amdhsa_exception_fp_ieee_overflow 0
		.amdhsa_exception_fp_ieee_underflow 0
		.amdhsa_exception_fp_ieee_inexact 0
		.amdhsa_exception_int_div_zero 0
	.end_amdhsa_kernel
	.section	.text._ZN7rocprim17ROCPRIM_400000_NS6detail17trampoline_kernelINS0_14default_configENS1_27scan_by_key_config_selectorIssEEZZNS1_16scan_by_key_implILNS1_25lookback_scan_determinismE0ELb1ES3_N6thrust23THRUST_200600_302600_NS6detail15normal_iteratorINS9_10device_ptrIsEEEESE_SE_sNS9_4plusIvEENS9_8equal_toIvEEsEE10hipError_tPvRmT2_T3_T4_T5_mT6_T7_P12ihipStream_tbENKUlT_T0_E_clISt17integral_constantIbLb0EESZ_EEDaSU_SV_EUlSU_E_NS1_11comp_targetILNS1_3genE9ELNS1_11target_archE1100ELNS1_3gpuE3ELNS1_3repE0EEENS1_30default_config_static_selectorELNS0_4arch9wavefront6targetE0EEEvT1_,"axG",@progbits,_ZN7rocprim17ROCPRIM_400000_NS6detail17trampoline_kernelINS0_14default_configENS1_27scan_by_key_config_selectorIssEEZZNS1_16scan_by_key_implILNS1_25lookback_scan_determinismE0ELb1ES3_N6thrust23THRUST_200600_302600_NS6detail15normal_iteratorINS9_10device_ptrIsEEEESE_SE_sNS9_4plusIvEENS9_8equal_toIvEEsEE10hipError_tPvRmT2_T3_T4_T5_mT6_T7_P12ihipStream_tbENKUlT_T0_E_clISt17integral_constantIbLb0EESZ_EEDaSU_SV_EUlSU_E_NS1_11comp_targetILNS1_3genE9ELNS1_11target_archE1100ELNS1_3gpuE3ELNS1_3repE0EEENS1_30default_config_static_selectorELNS0_4arch9wavefront6targetE0EEEvT1_,comdat
.Lfunc_end576:
	.size	_ZN7rocprim17ROCPRIM_400000_NS6detail17trampoline_kernelINS0_14default_configENS1_27scan_by_key_config_selectorIssEEZZNS1_16scan_by_key_implILNS1_25lookback_scan_determinismE0ELb1ES3_N6thrust23THRUST_200600_302600_NS6detail15normal_iteratorINS9_10device_ptrIsEEEESE_SE_sNS9_4plusIvEENS9_8equal_toIvEEsEE10hipError_tPvRmT2_T3_T4_T5_mT6_T7_P12ihipStream_tbENKUlT_T0_E_clISt17integral_constantIbLb0EESZ_EEDaSU_SV_EUlSU_E_NS1_11comp_targetILNS1_3genE9ELNS1_11target_archE1100ELNS1_3gpuE3ELNS1_3repE0EEENS1_30default_config_static_selectorELNS0_4arch9wavefront6targetE0EEEvT1_, .Lfunc_end576-_ZN7rocprim17ROCPRIM_400000_NS6detail17trampoline_kernelINS0_14default_configENS1_27scan_by_key_config_selectorIssEEZZNS1_16scan_by_key_implILNS1_25lookback_scan_determinismE0ELb1ES3_N6thrust23THRUST_200600_302600_NS6detail15normal_iteratorINS9_10device_ptrIsEEEESE_SE_sNS9_4plusIvEENS9_8equal_toIvEEsEE10hipError_tPvRmT2_T3_T4_T5_mT6_T7_P12ihipStream_tbENKUlT_T0_E_clISt17integral_constantIbLb0EESZ_EEDaSU_SV_EUlSU_E_NS1_11comp_targetILNS1_3genE9ELNS1_11target_archE1100ELNS1_3gpuE3ELNS1_3repE0EEENS1_30default_config_static_selectorELNS0_4arch9wavefront6targetE0EEEvT1_
                                        ; -- End function
	.set _ZN7rocprim17ROCPRIM_400000_NS6detail17trampoline_kernelINS0_14default_configENS1_27scan_by_key_config_selectorIssEEZZNS1_16scan_by_key_implILNS1_25lookback_scan_determinismE0ELb1ES3_N6thrust23THRUST_200600_302600_NS6detail15normal_iteratorINS9_10device_ptrIsEEEESE_SE_sNS9_4plusIvEENS9_8equal_toIvEEsEE10hipError_tPvRmT2_T3_T4_T5_mT6_T7_P12ihipStream_tbENKUlT_T0_E_clISt17integral_constantIbLb0EESZ_EEDaSU_SV_EUlSU_E_NS1_11comp_targetILNS1_3genE9ELNS1_11target_archE1100ELNS1_3gpuE3ELNS1_3repE0EEENS1_30default_config_static_selectorELNS0_4arch9wavefront6targetE0EEEvT1_.num_vgpr, 0
	.set _ZN7rocprim17ROCPRIM_400000_NS6detail17trampoline_kernelINS0_14default_configENS1_27scan_by_key_config_selectorIssEEZZNS1_16scan_by_key_implILNS1_25lookback_scan_determinismE0ELb1ES3_N6thrust23THRUST_200600_302600_NS6detail15normal_iteratorINS9_10device_ptrIsEEEESE_SE_sNS9_4plusIvEENS9_8equal_toIvEEsEE10hipError_tPvRmT2_T3_T4_T5_mT6_T7_P12ihipStream_tbENKUlT_T0_E_clISt17integral_constantIbLb0EESZ_EEDaSU_SV_EUlSU_E_NS1_11comp_targetILNS1_3genE9ELNS1_11target_archE1100ELNS1_3gpuE3ELNS1_3repE0EEENS1_30default_config_static_selectorELNS0_4arch9wavefront6targetE0EEEvT1_.num_agpr, 0
	.set _ZN7rocprim17ROCPRIM_400000_NS6detail17trampoline_kernelINS0_14default_configENS1_27scan_by_key_config_selectorIssEEZZNS1_16scan_by_key_implILNS1_25lookback_scan_determinismE0ELb1ES3_N6thrust23THRUST_200600_302600_NS6detail15normal_iteratorINS9_10device_ptrIsEEEESE_SE_sNS9_4plusIvEENS9_8equal_toIvEEsEE10hipError_tPvRmT2_T3_T4_T5_mT6_T7_P12ihipStream_tbENKUlT_T0_E_clISt17integral_constantIbLb0EESZ_EEDaSU_SV_EUlSU_E_NS1_11comp_targetILNS1_3genE9ELNS1_11target_archE1100ELNS1_3gpuE3ELNS1_3repE0EEENS1_30default_config_static_selectorELNS0_4arch9wavefront6targetE0EEEvT1_.numbered_sgpr, 0
	.set _ZN7rocprim17ROCPRIM_400000_NS6detail17trampoline_kernelINS0_14default_configENS1_27scan_by_key_config_selectorIssEEZZNS1_16scan_by_key_implILNS1_25lookback_scan_determinismE0ELb1ES3_N6thrust23THRUST_200600_302600_NS6detail15normal_iteratorINS9_10device_ptrIsEEEESE_SE_sNS9_4plusIvEENS9_8equal_toIvEEsEE10hipError_tPvRmT2_T3_T4_T5_mT6_T7_P12ihipStream_tbENKUlT_T0_E_clISt17integral_constantIbLb0EESZ_EEDaSU_SV_EUlSU_E_NS1_11comp_targetILNS1_3genE9ELNS1_11target_archE1100ELNS1_3gpuE3ELNS1_3repE0EEENS1_30default_config_static_selectorELNS0_4arch9wavefront6targetE0EEEvT1_.num_named_barrier, 0
	.set _ZN7rocprim17ROCPRIM_400000_NS6detail17trampoline_kernelINS0_14default_configENS1_27scan_by_key_config_selectorIssEEZZNS1_16scan_by_key_implILNS1_25lookback_scan_determinismE0ELb1ES3_N6thrust23THRUST_200600_302600_NS6detail15normal_iteratorINS9_10device_ptrIsEEEESE_SE_sNS9_4plusIvEENS9_8equal_toIvEEsEE10hipError_tPvRmT2_T3_T4_T5_mT6_T7_P12ihipStream_tbENKUlT_T0_E_clISt17integral_constantIbLb0EESZ_EEDaSU_SV_EUlSU_E_NS1_11comp_targetILNS1_3genE9ELNS1_11target_archE1100ELNS1_3gpuE3ELNS1_3repE0EEENS1_30default_config_static_selectorELNS0_4arch9wavefront6targetE0EEEvT1_.private_seg_size, 0
	.set _ZN7rocprim17ROCPRIM_400000_NS6detail17trampoline_kernelINS0_14default_configENS1_27scan_by_key_config_selectorIssEEZZNS1_16scan_by_key_implILNS1_25lookback_scan_determinismE0ELb1ES3_N6thrust23THRUST_200600_302600_NS6detail15normal_iteratorINS9_10device_ptrIsEEEESE_SE_sNS9_4plusIvEENS9_8equal_toIvEEsEE10hipError_tPvRmT2_T3_T4_T5_mT6_T7_P12ihipStream_tbENKUlT_T0_E_clISt17integral_constantIbLb0EESZ_EEDaSU_SV_EUlSU_E_NS1_11comp_targetILNS1_3genE9ELNS1_11target_archE1100ELNS1_3gpuE3ELNS1_3repE0EEENS1_30default_config_static_selectorELNS0_4arch9wavefront6targetE0EEEvT1_.uses_vcc, 0
	.set _ZN7rocprim17ROCPRIM_400000_NS6detail17trampoline_kernelINS0_14default_configENS1_27scan_by_key_config_selectorIssEEZZNS1_16scan_by_key_implILNS1_25lookback_scan_determinismE0ELb1ES3_N6thrust23THRUST_200600_302600_NS6detail15normal_iteratorINS9_10device_ptrIsEEEESE_SE_sNS9_4plusIvEENS9_8equal_toIvEEsEE10hipError_tPvRmT2_T3_T4_T5_mT6_T7_P12ihipStream_tbENKUlT_T0_E_clISt17integral_constantIbLb0EESZ_EEDaSU_SV_EUlSU_E_NS1_11comp_targetILNS1_3genE9ELNS1_11target_archE1100ELNS1_3gpuE3ELNS1_3repE0EEENS1_30default_config_static_selectorELNS0_4arch9wavefront6targetE0EEEvT1_.uses_flat_scratch, 0
	.set _ZN7rocprim17ROCPRIM_400000_NS6detail17trampoline_kernelINS0_14default_configENS1_27scan_by_key_config_selectorIssEEZZNS1_16scan_by_key_implILNS1_25lookback_scan_determinismE0ELb1ES3_N6thrust23THRUST_200600_302600_NS6detail15normal_iteratorINS9_10device_ptrIsEEEESE_SE_sNS9_4plusIvEENS9_8equal_toIvEEsEE10hipError_tPvRmT2_T3_T4_T5_mT6_T7_P12ihipStream_tbENKUlT_T0_E_clISt17integral_constantIbLb0EESZ_EEDaSU_SV_EUlSU_E_NS1_11comp_targetILNS1_3genE9ELNS1_11target_archE1100ELNS1_3gpuE3ELNS1_3repE0EEENS1_30default_config_static_selectorELNS0_4arch9wavefront6targetE0EEEvT1_.has_dyn_sized_stack, 0
	.set _ZN7rocprim17ROCPRIM_400000_NS6detail17trampoline_kernelINS0_14default_configENS1_27scan_by_key_config_selectorIssEEZZNS1_16scan_by_key_implILNS1_25lookback_scan_determinismE0ELb1ES3_N6thrust23THRUST_200600_302600_NS6detail15normal_iteratorINS9_10device_ptrIsEEEESE_SE_sNS9_4plusIvEENS9_8equal_toIvEEsEE10hipError_tPvRmT2_T3_T4_T5_mT6_T7_P12ihipStream_tbENKUlT_T0_E_clISt17integral_constantIbLb0EESZ_EEDaSU_SV_EUlSU_E_NS1_11comp_targetILNS1_3genE9ELNS1_11target_archE1100ELNS1_3gpuE3ELNS1_3repE0EEENS1_30default_config_static_selectorELNS0_4arch9wavefront6targetE0EEEvT1_.has_recursion, 0
	.set _ZN7rocprim17ROCPRIM_400000_NS6detail17trampoline_kernelINS0_14default_configENS1_27scan_by_key_config_selectorIssEEZZNS1_16scan_by_key_implILNS1_25lookback_scan_determinismE0ELb1ES3_N6thrust23THRUST_200600_302600_NS6detail15normal_iteratorINS9_10device_ptrIsEEEESE_SE_sNS9_4plusIvEENS9_8equal_toIvEEsEE10hipError_tPvRmT2_T3_T4_T5_mT6_T7_P12ihipStream_tbENKUlT_T0_E_clISt17integral_constantIbLb0EESZ_EEDaSU_SV_EUlSU_E_NS1_11comp_targetILNS1_3genE9ELNS1_11target_archE1100ELNS1_3gpuE3ELNS1_3repE0EEENS1_30default_config_static_selectorELNS0_4arch9wavefront6targetE0EEEvT1_.has_indirect_call, 0
	.section	.AMDGPU.csdata,"",@progbits
; Kernel info:
; codeLenInByte = 0
; TotalNumSgprs: 0
; NumVgprs: 0
; ScratchSize: 0
; MemoryBound: 0
; FloatMode: 240
; IeeeMode: 1
; LDSByteSize: 0 bytes/workgroup (compile time only)
; SGPRBlocks: 0
; VGPRBlocks: 0
; NumSGPRsForWavesPerEU: 1
; NumVGPRsForWavesPerEU: 1
; Occupancy: 16
; WaveLimiterHint : 0
; COMPUTE_PGM_RSRC2:SCRATCH_EN: 0
; COMPUTE_PGM_RSRC2:USER_SGPR: 6
; COMPUTE_PGM_RSRC2:TRAP_HANDLER: 0
; COMPUTE_PGM_RSRC2:TGID_X_EN: 1
; COMPUTE_PGM_RSRC2:TGID_Y_EN: 0
; COMPUTE_PGM_RSRC2:TGID_Z_EN: 0
; COMPUTE_PGM_RSRC2:TIDIG_COMP_CNT: 0
	.section	.text._ZN7rocprim17ROCPRIM_400000_NS6detail17trampoline_kernelINS0_14default_configENS1_27scan_by_key_config_selectorIssEEZZNS1_16scan_by_key_implILNS1_25lookback_scan_determinismE0ELb1ES3_N6thrust23THRUST_200600_302600_NS6detail15normal_iteratorINS9_10device_ptrIsEEEESE_SE_sNS9_4plusIvEENS9_8equal_toIvEEsEE10hipError_tPvRmT2_T3_T4_T5_mT6_T7_P12ihipStream_tbENKUlT_T0_E_clISt17integral_constantIbLb0EESZ_EEDaSU_SV_EUlSU_E_NS1_11comp_targetILNS1_3genE8ELNS1_11target_archE1030ELNS1_3gpuE2ELNS1_3repE0EEENS1_30default_config_static_selectorELNS0_4arch9wavefront6targetE0EEEvT1_,"axG",@progbits,_ZN7rocprim17ROCPRIM_400000_NS6detail17trampoline_kernelINS0_14default_configENS1_27scan_by_key_config_selectorIssEEZZNS1_16scan_by_key_implILNS1_25lookback_scan_determinismE0ELb1ES3_N6thrust23THRUST_200600_302600_NS6detail15normal_iteratorINS9_10device_ptrIsEEEESE_SE_sNS9_4plusIvEENS9_8equal_toIvEEsEE10hipError_tPvRmT2_T3_T4_T5_mT6_T7_P12ihipStream_tbENKUlT_T0_E_clISt17integral_constantIbLb0EESZ_EEDaSU_SV_EUlSU_E_NS1_11comp_targetILNS1_3genE8ELNS1_11target_archE1030ELNS1_3gpuE2ELNS1_3repE0EEENS1_30default_config_static_selectorELNS0_4arch9wavefront6targetE0EEEvT1_,comdat
	.protected	_ZN7rocprim17ROCPRIM_400000_NS6detail17trampoline_kernelINS0_14default_configENS1_27scan_by_key_config_selectorIssEEZZNS1_16scan_by_key_implILNS1_25lookback_scan_determinismE0ELb1ES3_N6thrust23THRUST_200600_302600_NS6detail15normal_iteratorINS9_10device_ptrIsEEEESE_SE_sNS9_4plusIvEENS9_8equal_toIvEEsEE10hipError_tPvRmT2_T3_T4_T5_mT6_T7_P12ihipStream_tbENKUlT_T0_E_clISt17integral_constantIbLb0EESZ_EEDaSU_SV_EUlSU_E_NS1_11comp_targetILNS1_3genE8ELNS1_11target_archE1030ELNS1_3gpuE2ELNS1_3repE0EEENS1_30default_config_static_selectorELNS0_4arch9wavefront6targetE0EEEvT1_ ; -- Begin function _ZN7rocprim17ROCPRIM_400000_NS6detail17trampoline_kernelINS0_14default_configENS1_27scan_by_key_config_selectorIssEEZZNS1_16scan_by_key_implILNS1_25lookback_scan_determinismE0ELb1ES3_N6thrust23THRUST_200600_302600_NS6detail15normal_iteratorINS9_10device_ptrIsEEEESE_SE_sNS9_4plusIvEENS9_8equal_toIvEEsEE10hipError_tPvRmT2_T3_T4_T5_mT6_T7_P12ihipStream_tbENKUlT_T0_E_clISt17integral_constantIbLb0EESZ_EEDaSU_SV_EUlSU_E_NS1_11comp_targetILNS1_3genE8ELNS1_11target_archE1030ELNS1_3gpuE2ELNS1_3repE0EEENS1_30default_config_static_selectorELNS0_4arch9wavefront6targetE0EEEvT1_
	.globl	_ZN7rocprim17ROCPRIM_400000_NS6detail17trampoline_kernelINS0_14default_configENS1_27scan_by_key_config_selectorIssEEZZNS1_16scan_by_key_implILNS1_25lookback_scan_determinismE0ELb1ES3_N6thrust23THRUST_200600_302600_NS6detail15normal_iteratorINS9_10device_ptrIsEEEESE_SE_sNS9_4plusIvEENS9_8equal_toIvEEsEE10hipError_tPvRmT2_T3_T4_T5_mT6_T7_P12ihipStream_tbENKUlT_T0_E_clISt17integral_constantIbLb0EESZ_EEDaSU_SV_EUlSU_E_NS1_11comp_targetILNS1_3genE8ELNS1_11target_archE1030ELNS1_3gpuE2ELNS1_3repE0EEENS1_30default_config_static_selectorELNS0_4arch9wavefront6targetE0EEEvT1_
	.p2align	8
	.type	_ZN7rocprim17ROCPRIM_400000_NS6detail17trampoline_kernelINS0_14default_configENS1_27scan_by_key_config_selectorIssEEZZNS1_16scan_by_key_implILNS1_25lookback_scan_determinismE0ELb1ES3_N6thrust23THRUST_200600_302600_NS6detail15normal_iteratorINS9_10device_ptrIsEEEESE_SE_sNS9_4plusIvEENS9_8equal_toIvEEsEE10hipError_tPvRmT2_T3_T4_T5_mT6_T7_P12ihipStream_tbENKUlT_T0_E_clISt17integral_constantIbLb0EESZ_EEDaSU_SV_EUlSU_E_NS1_11comp_targetILNS1_3genE8ELNS1_11target_archE1030ELNS1_3gpuE2ELNS1_3repE0EEENS1_30default_config_static_selectorELNS0_4arch9wavefront6targetE0EEEvT1_,@function
_ZN7rocprim17ROCPRIM_400000_NS6detail17trampoline_kernelINS0_14default_configENS1_27scan_by_key_config_selectorIssEEZZNS1_16scan_by_key_implILNS1_25lookback_scan_determinismE0ELb1ES3_N6thrust23THRUST_200600_302600_NS6detail15normal_iteratorINS9_10device_ptrIsEEEESE_SE_sNS9_4plusIvEENS9_8equal_toIvEEsEE10hipError_tPvRmT2_T3_T4_T5_mT6_T7_P12ihipStream_tbENKUlT_T0_E_clISt17integral_constantIbLb0EESZ_EEDaSU_SV_EUlSU_E_NS1_11comp_targetILNS1_3genE8ELNS1_11target_archE1030ELNS1_3gpuE2ELNS1_3repE0EEENS1_30default_config_static_selectorELNS0_4arch9wavefront6targetE0EEEvT1_: ; @_ZN7rocprim17ROCPRIM_400000_NS6detail17trampoline_kernelINS0_14default_configENS1_27scan_by_key_config_selectorIssEEZZNS1_16scan_by_key_implILNS1_25lookback_scan_determinismE0ELb1ES3_N6thrust23THRUST_200600_302600_NS6detail15normal_iteratorINS9_10device_ptrIsEEEESE_SE_sNS9_4plusIvEENS9_8equal_toIvEEsEE10hipError_tPvRmT2_T3_T4_T5_mT6_T7_P12ihipStream_tbENKUlT_T0_E_clISt17integral_constantIbLb0EESZ_EEDaSU_SV_EUlSU_E_NS1_11comp_targetILNS1_3genE8ELNS1_11target_archE1030ELNS1_3gpuE2ELNS1_3repE0EEENS1_30default_config_static_selectorELNS0_4arch9wavefront6targetE0EEEvT1_
; %bb.0:
	s_clause 0x5
	s_load_dwordx8 s[8:15], s[4:5], 0x0
	s_load_dwordx2 s[26:27], s[4:5], 0x38
	s_load_dword s2, s[4:5], 0x40
	s_load_dwordx4 s[20:23], s[4:5], 0x48
	s_load_dword s30, s[4:5], 0x20
	s_load_dwordx4 s[16:19], s[4:5], 0x28
	s_mov_b32 s1, 0
	s_mul_i32 s0, s6, 0x280
	s_waitcnt lgkmcnt(0)
	s_barrier
	buffer_gl0_inv
	s_lshl_b64 s[24:25], s[10:11], 1
	s_add_u32 s5, s8, s24
	s_addc_u32 s7, s9, s25
	s_mul_i32 s3, s27, s2
	s_mul_hi_u32 s4, s26, s2
	s_add_u32 s8, s12, s24
	s_addc_u32 s9, s13, s25
	s_lshl_b64 s[12:13], s[0:1], 1
	s_add_i32 s4, s4, s3
	s_add_u32 s28, s5, s12
	s_addc_u32 s29, s7, s13
	s_mul_i32 s0, s26, s2
	s_add_u32 s31, s8, s12
	s_addc_u32 s33, s9, s13
	s_add_u32 s2, s0, s6
	s_addc_u32 s3, s4, 0
	s_add_u32 s4, s20, -1
	s_addc_u32 s5, s21, -1
	s_mul_i32 s19, s4, 0xfffffd80
	v_cmp_ge_u64_e64 s11, s[2:3], s[4:5]
	s_and_b32 vcc_lo, exec_lo, s11
	s_cbranch_vccz .LBB577_55
; %bb.1:
	v_mov_b32_e32 v1, s28
	v_mov_b32_e32 v2, s29
	s_add_i32 s20, s19, s18
	v_cmp_gt_u32_e64 s9, s20, v0
	flat_load_ushort v1, v[1:2]
	s_waitcnt vmcnt(0) lgkmcnt(0)
	v_mov_b32_e32 v2, v1
	s_and_saveexec_b32 s0, s9
	s_cbranch_execz .LBB577_3
; %bb.2:
	v_lshlrev_b32_e32 v2, 1, v0
	v_add_co_u32 v2, s1, s28, v2
	v_add_co_ci_u32_e64 v3, null, s29, 0, s1
	flat_load_ushort v2, v[2:3]
.LBB577_3:
	s_or_b32 exec_lo, exec_lo, s0
	v_or_b32_e32 v3, 64, v0
	v_cmp_gt_u32_e64 s8, s20, v3
	v_mov_b32_e32 v3, v1
	s_and_saveexec_b32 s0, s8
	s_cbranch_execz .LBB577_5
; %bb.4:
	v_lshlrev_b32_e32 v3, 1, v0
	v_add_co_u32 v3, s1, s28, v3
	v_add_co_ci_u32_e64 v4, null, s29, 0, s1
	flat_load_ushort v3, v[3:4] offset:128
.LBB577_5:
	s_or_b32 exec_lo, exec_lo, s0
	v_or_b32_e32 v4, 0x80, v0
	v_cmp_gt_u32_e64 s7, s20, v4
	v_mov_b32_e32 v4, v1
	s_and_saveexec_b32 s0, s7
	s_cbranch_execz .LBB577_7
; %bb.6:
	v_lshlrev_b32_e32 v4, 1, v0
	v_add_co_u32 v4, s1, s28, v4
	v_add_co_ci_u32_e64 v5, null, s29, 0, s1
	flat_load_ushort v4, v[4:5] offset:256
.LBB577_7:
	;; [unrolled: 12-line block ×8, first 2 shown]
	s_or_b32 exec_lo, exec_lo, s10
	v_or_b32_e32 v11, 0x240, v0
	v_cmp_le_u32_e64 s10, s20, v11
	v_cmp_gt_u32_e32 vcc_lo, s20, v11
	s_and_saveexec_b32 s21, s10
	s_xor_b32 s10, exec_lo, s21
	s_andn2_saveexec_b32 s10, s10
	s_cbranch_execz .LBB577_21
; %bb.20:
	v_lshlrev_b32_e32 v1, 1, v0
	v_add_co_u32 v11, s21, s28, v1
	v_add_co_ci_u32_e64 v12, null, s29, 0, s21
	flat_load_ushort v1, v[11:12] offset:1152
.LBB577_21:
	s_or_b32 exec_lo, exec_lo, s10
	v_lshlrev_b32_e32 v13, 1, v0
	s_mov_b32 s21, exec_lo
	s_waitcnt vmcnt(0) lgkmcnt(0)
	ds_write_b16 v13, v2
	ds_write_b16 v13, v3 offset:128
	ds_write_b16 v13, v4 offset:256
	;; [unrolled: 1-line block ×8, first 2 shown]
	v_mov_b32_e32 v2, s28
	v_mov_b32_e32 v3, s29
	ds_write_b16 v13, v1 offset:1152
	s_waitcnt lgkmcnt(0)
	s_barrier
	buffer_gl0_inv
	flat_load_ushort v23, v[2:3]
	v_mad_u32_u24 v22, v0, 18, v13
	ds_read2_b32 v[11:12], v22 offset1:1
	ds_read2_b32 v[9:10], v22 offset0:2 offset1:3
	ds_read_b32 v24, v22 offset:16
	v_mad_i32_i24 v1, 0xffffffee, v0, v22
	s_waitcnt lgkmcnt(2)
	ds_write_b16 v1, v11 offset:1408
	s_waitcnt vmcnt(0) lgkmcnt(0)
	s_barrier
	buffer_gl0_inv
	v_cmpx_ne_u32_e32 63, v0
; %bb.22:
	v_mul_i32_i24_e32 v1, 0xffffffee, v0
	v_add_nc_u32_e32 v1, v22, v1
	ds_read_u16 v23, v1 offset:1410
; %bb.23:
	s_or_b32 exec_lo, exec_lo, s21
	v_mov_b32_e32 v1, 0
	v_lshlrev_b32_e32 v14, 1, v0
	s_waitcnt lgkmcnt(0)
	s_barrier
	buffer_gl0_inv
	v_mov_b32_e32 v2, v1
	v_mov_b32_e32 v3, v1
	;; [unrolled: 1-line block ×4, first 2 shown]
	s_and_saveexec_b32 s10, s9
	s_cbranch_execnz .LBB577_181
; %bb.24:
	s_or_b32 exec_lo, exec_lo, s10
	s_and_saveexec_b32 s9, s8
	s_cbranch_execnz .LBB577_182
.LBB577_25:
	s_or_b32 exec_lo, exec_lo, s9
	s_and_saveexec_b32 s8, s7
	s_cbranch_execnz .LBB577_183
.LBB577_26:
	s_or_b32 exec_lo, exec_lo, s8
	s_and_saveexec_b32 s7, s5
	s_cbranch_execnz .LBB577_184
.LBB577_27:
	s_or_b32 exec_lo, exec_lo, s7
	s_and_saveexec_b32 s5, s4
	s_cbranch_execnz .LBB577_185
.LBB577_28:
	s_or_b32 exec_lo, exec_lo, s5
	s_and_saveexec_b32 s4, s3
	s_cbranch_execnz .LBB577_186
.LBB577_29:
	s_or_b32 exec_lo, exec_lo, s4
	s_and_saveexec_b32 s3, s2
	s_cbranch_execnz .LBB577_187
.LBB577_30:
	s_or_b32 exec_lo, exec_lo, s3
	s_and_saveexec_b32 s2, s1
	s_cbranch_execnz .LBB577_188
.LBB577_31:
	s_or_b32 exec_lo, exec_lo, s2
	s_and_saveexec_b32 s1, s0
	s_cbranch_execnz .LBB577_189
.LBB577_32:
	s_or_b32 exec_lo, exec_lo, s1
	v_mul_u32_u24_e32 v29, 10, v0
	s_and_saveexec_b32 s0, vcc_lo
	s_cbranch_execz .LBB577_34
.LBB577_33:
	v_add_co_u32 v6, s1, s31, v14
	v_add_co_ci_u32_e64 v7, null, s33, 0, s1
	s_waitcnt vmcnt(0) lgkmcnt(0)
	flat_load_short_d16_hi v5, v[6:7] offset:1152
.LBB577_34:
	s_or_b32 exec_lo, exec_lo, s0
	s_waitcnt vmcnt(0) lgkmcnt(0)
	ds_write_b16 v13, v1
	ds_write_b16_d16_hi v13, v1 offset:128
	ds_write_b16 v13, v2 offset:256
	ds_write_b16_d16_hi v13, v2 offset:384
	ds_write_b16 v13, v3 offset:512
	;; [unrolled: 2-line block ×4, first 2 shown]
	ds_write_b16_d16_hi v13, v5 offset:1152
	v_cmp_gt_u32_e32 vcc_lo, s20, v29
	v_mov_b32_e32 v19, 0
	v_mov_b32_e32 v1, 0
	;; [unrolled: 1-line block ×17, first 2 shown]
	s_mov_b32 s2, 0
	s_mov_b32 s1, 0
	s_waitcnt lgkmcnt(0)
	s_barrier
	buffer_gl0_inv
                                        ; implicit-def: $sgpr4
                                        ; implicit-def: $vgpr8
	s_and_saveexec_b32 s3, vcc_lo
	s_cbranch_execz .LBB577_54
; %bb.35:
	ds_read_u16 v2, v22
	v_cmp_eq_u16_sdwa vcc_lo, v11, v11 src0_sel:DWORD src1_sel:WORD_1
	v_mov_b32_e32 v1, 0
	v_or_b32_e32 v3, 1, v29
	v_mov_b32_e32 v28, 0
	v_mov_b32_e32 v27, 0
	;; [unrolled: 1-line block ×13, first 2 shown]
	v_cndmask_b32_e64 v21, 0x10000, 0, vcc_lo
	v_mov_b32_e32 v13, 0
	s_mov_b32 s5, 0
	s_waitcnt lgkmcnt(0)
	v_cndmask_b32_e32 v19, s30, v2, vcc_lo
	s_mov_b32 s1, exec_lo
                                        ; implicit-def: $sgpr4
                                        ; implicit-def: $vgpr8
	v_cmpx_gt_u32_e64 s20, v3
	s_cbranch_execz .LBB577_53
; %bb.36:
	ds_read_b128 v[1:4], v22 offset:2
	v_cmp_eq_u16_sdwa vcc_lo, v11, v12 src0_sel:WORD_1 src1_sel:DWORD
	v_add_nc_u32_e32 v8, 2, v29
	v_mov_b32_e32 v28, 0
	v_mov_b32_e32 v27, 0
	;; [unrolled: 1-line block ×12, first 2 shown]
	v_cmp_gt_u32_e64 s0, s20, v8
	v_cndmask_b32_e64 v20, 0x10000, 0, vcc_lo
	v_mov_b32_e32 v13, 0
	s_mov_b32 s7, 0
                                        ; implicit-def: $sgpr4
                                        ; implicit-def: $vgpr8
	s_waitcnt lgkmcnt(0)
	v_cndmask_b32_e32 v11, s30, v1, vcc_lo
	s_and_saveexec_b32 s5, s0
	s_cbranch_execz .LBB577_52
; %bb.37:
	v_add_nc_u32_e32 v5, 3, v29
	v_cmp_eq_u16_sdwa vcc_lo, v12, v12 src0_sel:DWORD src1_sel:WORD_1
	v_mov_b32_e32 v27, 0
	v_mov_b32_e32 v26, 0
	;; [unrolled: 1-line block ×3, first 2 shown]
	v_cmp_gt_u32_e64 s0, s20, v5
	v_cndmask_b32_e64 v18, 0x10000, 0, vcc_lo
	v_cndmask_b32_sdwa v1, s30, v1, vcc_lo dst_sel:DWORD dst_unused:UNUSED_PAD src0_sel:DWORD src1_sel:WORD_1
	v_mov_b32_e32 v7, 0
	v_mov_b32_e32 v6, 0
	;; [unrolled: 1-line block ×8, first 2 shown]
	s_mov_b32 s8, 0
                                        ; implicit-def: $sgpr4
                                        ; implicit-def: $vgpr8
	s_and_saveexec_b32 s7, s0
	s_cbranch_execz .LBB577_51
; %bb.38:
	v_cmp_eq_u16_sdwa vcc_lo, v12, v9 src0_sel:WORD_1 src1_sel:DWORD
	v_add_nc_u32_e32 v5, 4, v29
	v_mov_b32_e32 v26, 0
	v_mov_b32_e32 v25, 0
	;; [unrolled: 1-line block ×3, first 2 shown]
	v_cndmask_b32_e32 v12, s30, v2, vcc_lo
	v_cndmask_b32_e64 v17, 0x10000, 0, vcc_lo
	v_cmp_gt_u32_e32 vcc_lo, s20, v5
	v_mov_b32_e32 v6, 0
	v_mov_b32_e32 v5, 0
	;; [unrolled: 1-line block ×6, first 2 shown]
	s_mov_b32 s0, 0
                                        ; implicit-def: $sgpr4
                                        ; implicit-def: $vgpr8
	s_and_saveexec_b32 s8, vcc_lo
	s_cbranch_execz .LBB577_50
; %bb.39:
	v_add_nc_u32_e32 v5, 5, v29
	v_cmp_eq_u16_sdwa vcc_lo, v9, v9 src0_sel:DWORD src1_sel:WORD_1
	v_mov_b32_e32 v25, 0
	v_mov_b32_e32 v7, 0
	;; [unrolled: 1-line block ×3, first 2 shown]
	v_cmp_gt_u32_e64 s0, s20, v5
	v_cndmask_b32_e64 v16, 0x10000, 0, vcc_lo
	v_cndmask_b32_sdwa v2, s30, v2, vcc_lo dst_sel:DWORD dst_unused:UNUSED_PAD src0_sel:DWORD src1_sel:WORD_1
	v_mov_b32_e32 v5, 0
	v_mov_b32_e32 v15, 0
	;; [unrolled: 1-line block ×4, first 2 shown]
	s_mov_b32 s10, 0
                                        ; implicit-def: $sgpr4
                                        ; implicit-def: $vgpr8
	s_and_saveexec_b32 s9, s0
	s_cbranch_execz .LBB577_49
; %bb.40:
	v_cmp_eq_u16_sdwa vcc_lo, v9, v10 src0_sel:WORD_1 src1_sel:DWORD
	v_add_nc_u32_e32 v5, 6, v29
	v_mov_b32_e32 v7, 0
	v_mov_b32_e32 v6, 0
	;; [unrolled: 1-line block ×3, first 2 shown]
	v_cndmask_b32_e32 v9, s30, v3, vcc_lo
	v_cndmask_b32_e64 v15, 0x10000, 0, vcc_lo
	v_cmp_gt_u32_e32 vcc_lo, s20, v5
	v_mov_b32_e32 v5, 0
	v_mov_b32_e32 v13, 0
	s_mov_b32 s0, 0
                                        ; implicit-def: $sgpr4
                                        ; implicit-def: $vgpr8
	s_and_saveexec_b32 s10, vcc_lo
	s_cbranch_execz .LBB577_48
; %bb.41:
	v_add_nc_u32_e32 v8, 7, v29
	v_cmp_eq_u16_sdwa vcc_lo, v10, v10 src0_sel:DWORD src1_sel:WORD_1
	v_mov_b32_e32 v6, 0
	v_mov_b32_e32 v5, 0
	;; [unrolled: 1-line block ×3, first 2 shown]
	v_cmp_gt_u32_e64 s0, s20, v8
	v_cndmask_b32_e64 v7, 0x10000, 0, vcc_lo
	v_cndmask_b32_sdwa v3, s30, v3, vcc_lo dst_sel:DWORD dst_unused:UNUSED_PAD src0_sel:DWORD src1_sel:WORD_1
	s_mov_b32 s34, 0
                                        ; implicit-def: $sgpr4
                                        ; implicit-def: $vgpr8
	s_and_saveexec_b32 s21, s0
	s_cbranch_execz .LBB577_47
; %bb.42:
	v_cmp_eq_u16_sdwa vcc_lo, v10, v24 src0_sel:WORD_1 src1_sel:DWORD
	v_add_nc_u32_e32 v8, 8, v29
	v_mov_b32_e32 v5, 0
                                        ; implicit-def: $sgpr4
	v_cndmask_b32_e32 v6, s30, v4, vcc_lo
	v_cndmask_b32_e64 v10, 0x10000, 0, vcc_lo
	v_cmp_gt_u32_e32 vcc_lo, s20, v8
                                        ; implicit-def: $vgpr8
	s_and_saveexec_b32 s0, vcc_lo
	s_cbranch_execz .LBB577_46
; %bb.43:
	v_cmp_eq_u16_sdwa vcc_lo, v24, v24 src0_sel:DWORD src1_sel:WORD_1
	v_add_nc_u32_e32 v8, 9, v29
                                        ; implicit-def: $sgpr4
	v_cndmask_b32_e64 v5, 0x10000, 0, vcc_lo
	v_cndmask_b32_sdwa v4, s30, v4, vcc_lo dst_sel:DWORD dst_unused:UNUSED_PAD src0_sel:DWORD src1_sel:WORD_1
	v_cmp_gt_u32_e32 vcc_lo, s20, v8
	s_mov_b32 s20, 0
                                        ; implicit-def: $vgpr8
	s_and_saveexec_b32 s34, vcc_lo
	s_xor_b32 s34, exec_lo, s34
	s_cbranch_execz .LBB577_45
; %bb.44:
	ds_read_u16 v8, v22 offset:18
	v_cmp_ne_u16_sdwa s4, v24, v23 src0_sel:WORD_1 src1_sel:DWORD
	s_mov_b32 s20, exec_lo
	s_waitcnt lgkmcnt(0)
	v_cndmask_b32_e64 v8, v8, s30, s4
.LBB577_45:
	s_or_b32 exec_lo, exec_lo, s34
	v_or_b32_sdwa v5, v5, v4 dst_sel:DWORD dst_unused:UNUSED_PAD src0_sel:DWORD src1_sel:WORD_0
	s_and_b32 s34, s20, exec_lo
.LBB577_46:
	s_or_b32 exec_lo, exec_lo, s0
	v_or_b32_sdwa v6, v10, v6 dst_sel:DWORD dst_unused:UNUSED_PAD src0_sel:DWORD src1_sel:WORD_0
	v_mov_b32_e32 v13, v5
	s_and_b32 s34, s34, exec_lo
.LBB577_47:
	s_or_b32 exec_lo, exec_lo, s21
	v_or_b32_sdwa v7, v7, v3 dst_sel:DWORD dst_unused:UNUSED_PAD src0_sel:DWORD src1_sel:WORD_0
	v_mov_b32_e32 v14, v6
	s_and_b32 s0, s34, exec_lo
.LBB577_48:
	s_or_b32 exec_lo, exec_lo, s10
	v_or_b32_sdwa v25, v15, v9 dst_sel:DWORD dst_unused:UNUSED_PAD src0_sel:DWORD src1_sel:WORD_0
	v_mov_b32_e32 v15, v7
	s_and_b32 s10, s0, exec_lo
.LBB577_49:
	s_or_b32 exec_lo, exec_lo, s9
	v_or_b32_sdwa v26, v16, v2 dst_sel:DWORD dst_unused:UNUSED_PAD src0_sel:DWORD src1_sel:WORD_0
	v_mov_b32_e32 v16, v25
	s_and_b32 s0, s10, exec_lo
.LBB577_50:
	s_or_b32 exec_lo, exec_lo, s8
	v_or_b32_sdwa v27, v17, v12 dst_sel:DWORD dst_unused:UNUSED_PAD src0_sel:DWORD src1_sel:WORD_0
	v_mov_b32_e32 v17, v26
	s_and_b32 s8, s0, exec_lo
.LBB577_51:
	s_or_b32 exec_lo, exec_lo, s7
	v_or_b32_sdwa v28, v18, v1 dst_sel:DWORD dst_unused:UNUSED_PAD src0_sel:DWORD src1_sel:WORD_0
	v_mov_b32_e32 v18, v27
	s_and_b32 s7, s8, exec_lo
.LBB577_52:
	s_or_b32 exec_lo, exec_lo, s5
	v_or_b32_sdwa v1, v20, v11 dst_sel:DWORD dst_unused:UNUSED_PAD src0_sel:DWORD src1_sel:WORD_0
	v_mov_b32_e32 v20, v28
	s_and_b32 s5, s7, exec_lo
.LBB577_53:
	s_or_b32 exec_lo, exec_lo, s1
	v_or_b32_sdwa v19, v21, v19 dst_sel:DWORD dst_unused:UNUSED_PAD src0_sel:DWORD src1_sel:WORD_0
	v_mov_b32_e32 v21, v1
	s_and_b32 s1, s5, exec_lo
.LBB577_54:
	s_or_b32 exec_lo, exec_lo, s3
	v_lshlrev_b32_e32 v9, 1, v0
	s_and_b32 vcc_lo, exec_lo, s2
	s_cbranch_vccnz .LBB577_56
	s_branch .LBB577_59
.LBB577_55:
                                        ; implicit-def: $sgpr4
                                        ; implicit-def: $vgpr8
                                        ; implicit-def: $vgpr19
                                        ; implicit-def: $vgpr1
                                        ; implicit-def: $vgpr28
                                        ; implicit-def: $vgpr27
                                        ; implicit-def: $vgpr26
                                        ; implicit-def: $vgpr25
                                        ; implicit-def: $vgpr7
                                        ; implicit-def: $vgpr6
                                        ; implicit-def: $vgpr5
                                        ; implicit-def: $vgpr21
                                        ; implicit-def: $vgpr20
                                        ; implicit-def: $vgpr18
                                        ; implicit-def: $vgpr17
                                        ; implicit-def: $vgpr16
                                        ; implicit-def: $vgpr15
                                        ; implicit-def: $vgpr14
                                        ; implicit-def: $vgpr13
	v_lshlrev_b32_e32 v9, 1, v0
	s_cbranch_execz .LBB577_59
.LBB577_56:
	v_add_co_u32 v1, s0, s28, v9
	v_add_co_ci_u32_e64 v2, null, s29, 0, s0
	s_mov_b32 s0, exec_lo
	s_clause 0x9
	flat_load_ushort v3, v[1:2]
	flat_load_ushort v4, v[1:2] offset:128
	flat_load_ushort v5, v[1:2] offset:256
	;; [unrolled: 1-line block ×9, first 2 shown]
	v_mov_b32_e32 v1, s28
	v_mov_b32_e32 v2, s29
	s_waitcnt vmcnt(9) lgkmcnt(9)
	ds_write_b16 v9, v3
	s_waitcnt vmcnt(8) lgkmcnt(9)
	ds_write_b16 v9, v4 offset:128
	s_waitcnt vmcnt(7) lgkmcnt(9)
	ds_write_b16 v9, v5 offset:256
	s_waitcnt vmcnt(6) lgkmcnt(9)
	ds_write_b16 v9, v6 offset:384
	s_waitcnt vmcnt(5) lgkmcnt(9)
	ds_write_b16 v9, v7 offset:512
	s_waitcnt vmcnt(4) lgkmcnt(9)
	ds_write_b16 v9, v8 offset:640
	s_waitcnt vmcnt(3) lgkmcnt(9)
	ds_write_b16 v9, v10 offset:768
	s_waitcnt vmcnt(2) lgkmcnt(9)
	ds_write_b16 v9, v11 offset:896
	s_waitcnt vmcnt(1) lgkmcnt(9)
	ds_write_b16 v9, v12 offset:1024
	s_waitcnt vmcnt(0) lgkmcnt(9)
	ds_write_b16 v9, v13 offset:1152
	s_waitcnt lgkmcnt(0)
	s_barrier
	buffer_gl0_inv
	flat_load_ushort v6, v[1:2] offset:1280
	v_mad_u32_u24 v5, v0, 18, v9
	ds_read2_b32 v[3:4], v5 offset1:1
	ds_read2_b32 v[1:2], v5 offset0:2 offset1:3
	ds_read_b32 v8, v5 offset:16
	v_mad_i32_i24 v7, 0xffffffee, v0, v5
	s_waitcnt lgkmcnt(2)
	ds_write_b16 v7, v3 offset:1408
	s_waitcnt vmcnt(0) lgkmcnt(0)
	s_barrier
	buffer_gl0_inv
	v_cmpx_ne_u32_e32 63, v0
; %bb.57:
	v_mul_i32_i24_e32 v6, 0xffffffee, v0
	v_add_nc_u32_e32 v6, v5, v6
	ds_read_u16 v6, v6 offset:1410
; %bb.58:
	s_or_b32 exec_lo, exec_lo, s0
	v_add_co_u32 v10, s0, s31, v9
	v_add_co_ci_u32_e64 v11, null, s33, 0, s0
	s_waitcnt lgkmcnt(0)
	s_barrier
	buffer_gl0_inv
	s_clause 0x9
	flat_load_ushort v7, v[10:11]
	flat_load_ushort v12, v[10:11] offset:128
	flat_load_ushort v13, v[10:11] offset:256
	;; [unrolled: 1-line block ×9, first 2 shown]
	v_cmp_eq_u16_sdwa vcc_lo, v3, v3 src0_sel:DWORD src1_sel:WORD_1
	v_cmp_eq_u16_sdwa s0, v4, v4 src0_sel:DWORD src1_sel:WORD_1
	v_cmp_eq_u16_sdwa s1, v1, v1 src0_sel:DWORD src1_sel:WORD_1
	;; [unrolled: 1-line block ×4, first 2 shown]
	v_cmp_eq_u16_sdwa s4, v3, v4 src0_sel:WORD_1 src1_sel:DWORD
	v_cmp_eq_u16_sdwa s5, v4, v1 src0_sel:WORD_1 src1_sel:DWORD
	;; [unrolled: 1-line block ×4, first 2 shown]
	s_waitcnt vmcnt(9) lgkmcnt(9)
	ds_write_b16 v9, v7
	s_waitcnt vmcnt(8) lgkmcnt(9)
	ds_write_b16 v9, v12 offset:128
	s_waitcnt vmcnt(7) lgkmcnt(9)
	ds_write_b16 v9, v13 offset:256
	;; [unrolled: 2-line block ×9, first 2 shown]
	s_waitcnt lgkmcnt(0)
	s_barrier
	buffer_gl0_inv
	ds_read2_b32 v[10:11], v5 offset1:1
	ds_read2_b32 v[12:13], v5 offset0:2 offset1:3
	ds_read_b32 v5, v5 offset:16
	v_cndmask_b32_e64 v14, 0x10000, 0, vcc_lo
	v_cndmask_b32_e64 v15, 0x10000, 0, s0
	v_cndmask_b32_e64 v16, 0x10000, 0, s1
	;; [unrolled: 1-line block ×4, first 2 shown]
	s_waitcnt lgkmcnt(2)
	v_lshrrev_b32_e32 v7, 16, v10
	v_lshrrev_b32_e32 v3, 16, v11
	s_waitcnt lgkmcnt(1)
	v_lshrrev_b32_e32 v4, 16, v12
	v_lshrrev_b32_e32 v1, 16, v13
	v_cndmask_b32_e32 v10, s30, v10, vcc_lo
	v_cndmask_b32_e64 v11, s30, v11, s0
	v_cndmask_b32_e64 v12, s30, v12, s1
	;; [unrolled: 1-line block ×3, first 2 shown]
	s_waitcnt lgkmcnt(0)
	v_lshrrev_b32_e32 v2, 16, v5
	v_cndmask_b32_e64 v5, s30, v5, s3
	v_or_b32_sdwa v19, v14, v10 dst_sel:DWORD dst_unused:UNUSED_PAD src0_sel:DWORD src1_sel:WORD_0
	v_cndmask_b32_e64 v10, s30, v7, s4
	v_cndmask_b32_e64 v14, 0x10000, 0, s4
	v_or_b32_sdwa v28, v15, v11 dst_sel:DWORD dst_unused:UNUSED_PAD src0_sel:DWORD src1_sel:WORD_0
	v_cndmask_b32_e64 v3, s30, v3, s5
	;; [unrolled: 3-line block ×4, first 2 shown]
	v_cndmask_b32_e64 v15, 0x10000, 0, s8
	v_or_b32_sdwa v5, v18, v5 dst_sel:DWORD dst_unused:UNUSED_PAD src0_sel:DWORD src1_sel:WORD_0
	v_cmp_ne_u16_sdwa s4, v8, v6 src0_sel:WORD_1 src1_sel:DWORD
	v_or_b32_sdwa v1, v14, v10 dst_sel:DWORD dst_unused:UNUSED_PAD src0_sel:DWORD src1_sel:WORD_0
	v_or_b32_sdwa v27, v11, v3 dst_sel:DWORD dst_unused:UNUSED_PAD src0_sel:DWORD src1_sel:WORD_0
	v_or_b32_sdwa v25, v12, v4 dst_sel:DWORD dst_unused:UNUSED_PAD src0_sel:DWORD src1_sel:WORD_0
	v_or_b32_sdwa v6, v15, v13 dst_sel:DWORD dst_unused:UNUSED_PAD src0_sel:DWORD src1_sel:WORD_0
	v_cndmask_b32_e64 v8, v2, s30, s4
	v_mov_b32_e32 v20, v28
	v_mov_b32_e32 v17, v26
	;; [unrolled: 1-line block ×8, first 2 shown]
	s_mov_b32 s1, -1
.LBB577_59:
	v_mov_b32_e32 v10, 0
	s_and_saveexec_b32 s0, s1
	s_cbranch_execz .LBB577_61
; %bb.60:
	v_cndmask_b32_e64 v2, 0, 0x10000, s4
	v_mov_b32_e32 v13, v5
	v_mov_b32_e32 v14, v6
	;; [unrolled: 1-line block ×4, first 2 shown]
	v_or_b32_sdwa v10, v2, v8 dst_sel:DWORD dst_unused:UNUSED_PAD src0_sel:DWORD src1_sel:WORD_0
	v_mov_b32_e32 v17, v26
	v_mov_b32_e32 v18, v27
	;; [unrolled: 1-line block ×4, first 2 shown]
.LBB577_61:
	s_or_b32 exec_lo, exec_lo, s0
	v_or3_b32 v1, v14, v13, v15
	v_cmp_gt_u32_e64 s8, 0x10000, v21
	v_cmp_gt_u32_e64 s7, 0x10000, v20
	;; [unrolled: 1-line block ×8, first 2 shown]
	v_or3_b32 v22, v1, v16, v17
	v_cmp_gt_u32_e64 s9, 0x10000, v10
	v_lshrrev_b32_e32 v11, 16, v19
	v_lshrrev_b32_e32 v12, 3, v0
	s_cmp_lg_u32 s6, 0
	v_cmp_gt_u32_e32 vcc_lo, 32, v0
	s_barrier
	buffer_gl0_inv
	s_cbranch_scc0 .LBB577_111
; %bb.62:
	v_cndmask_b32_e64 v1, 0, v19, s8
	v_or3_b32 v2, v22, v18, v20
	v_and_b32_e32 v3, 4, v12
	v_add_nc_u16 v1, v1, v21
	v_or3_b32 v2, v2, v21, v10
	v_lshl_add_u32 v3, v0, 2, v3
	v_cndmask_b32_e64 v1, 0, v1, s7
	v_and_b32_e32 v2, 0xff0000, v2
	v_add_nc_u16 v1, v1, v20
	v_cndmask_b32_e64 v1, 0, v1, s5
	v_add_nc_u16 v1, v1, v18
	v_cndmask_b32_e64 v1, 0, v1, s4
	v_add_nc_u16 v1, v1, v17
	v_cndmask_b32_e64 v1, 0, v1, s3
	v_add_nc_u16 v1, v1, v16
	v_cndmask_b32_e64 v1, 0, v1, s2
	v_add_nc_u16 v1, v1, v15
	v_cndmask_b32_e64 v1, 0, v1, s1
	v_add_nc_u16 v1, v1, v14
	v_cndmask_b32_e64 v1, 0, v1, s0
	v_add_nc_u16 v1, v1, v13
	v_cndmask_b32_e64 v1, 0, v1, s9
	v_cmp_eq_u32_e64 s9, 0, v2
	v_add_nc_u16 v23, v1, v10
	v_cndmask_b32_e64 v24, 1, v11, s9
	ds_write_b8 v3, v24 offset:2
	ds_write_b16 v3, v23
	s_waitcnt lgkmcnt(0)
	s_barrier
	buffer_gl0_inv
	s_and_saveexec_b32 s10, vcc_lo
	s_cbranch_execz .LBB577_74
; %bb.63:
	v_lshrrev_b32_e32 v1, 2, v0
	v_lshlrev_b32_e32 v2, 3, v0
	s_mov_b32 s20, exec_lo
	v_and_b32_e32 v1, 12, v1
	v_add_nc_u32_e32 v1, v1, v2
	ds_read_u8 v3, v1 offset:6
	ds_read_b32 v2, v1
	ds_read_u16 v4, v1 offset:4
	s_waitcnt lgkmcnt(2)
	v_cmp_eq_u16_e64 s9, 0, v3
	v_and_b32_e32 v6, 1, v3
	s_waitcnt lgkmcnt(1)
	v_and_b32_e32 v3, 0x10000, v2
	v_cndmask_b32_e64 v5, 0, v2, s9
	v_cmp_eq_u32_e64 s9, 1, v6
	v_mbcnt_lo_u32_b32 v6, -1, 0
	s_waitcnt lgkmcnt(0)
	v_add_nc_u16 v5, v5, v4
	v_and_b32_e32 v4, 0xff000000, v2
	v_cndmask_b32_e64 v7, v3, 0x10000, s9
	v_and_b32_e32 v8, 0xffff, v5
	v_or_b32_e32 v25, v7, v4
	v_or3_b32 v26, v4, v8, v7
	v_and_b32_e32 v7, 15, v6
	v_lshrrev_b32_e32 v8, 16, v25
	v_mov_b32_dpp v27, v26 row_shr:1 row_mask:0xf bank_mask:0xf
	v_cmpx_ne_u32_e32 0, v7
	s_cbranch_execz .LBB577_65
; %bb.64:
	v_mov_b32_e32 v8, 0xff
	v_mov_b32_e32 v26, 1
	v_and_b32_sdwa v8, v25, v8 dst_sel:DWORD dst_unused:UNUSED_PAD src0_sel:WORD_1 src1_sel:DWORD
	v_and_b32_e32 v25, 0x10000, v25
	v_and_b32_sdwa v26, v27, v26 dst_sel:DWORD dst_unused:UNUSED_PAD src0_sel:WORD_1 src1_sel:DWORD
	v_cmp_eq_u16_e64 s9, 0, v8
	v_cndmask_b32_e64 v27, 0, v27, s9
	v_cmp_ne_u32_e64 s9, 0, v25
	v_add_nc_u16 v5, v27, v5
	v_cndmask_b32_e64 v8, v26, 1, s9
	v_and_b32_e32 v26, 0xffff, v5
	v_lshlrev_b32_e32 v25, 16, v8
	v_or3_b32 v26, v25, v26, v4
.LBB577_65:
	s_or_b32 exec_lo, exec_lo, s20
	v_lshrrev_b32_e32 v25, 16, v26
	v_mov_b32_dpp v27, v26 row_shr:2 row_mask:0xf bank_mask:0xf
	s_mov_b32 s20, exec_lo
	v_cmpx_lt_u32_e32 1, v7
	s_cbranch_execz .LBB577_67
; %bb.66:
	v_mov_b32_e32 v28, 0
	v_mov_b32_e32 v8, 1
	v_and_b32_e32 v26, 0x10000, v26
	v_cmp_eq_u16_sdwa s9, v25, v28 src0_sel:BYTE_0 src1_sel:DWORD
	v_and_b32_sdwa v8, v27, v8 dst_sel:DWORD dst_unused:UNUSED_PAD src0_sel:WORD_1 src1_sel:DWORD
	v_cndmask_b32_e64 v25, 0, v27, s9
	v_cmp_ne_u32_e64 s9, 0, v26
	v_add_nc_u16 v5, v25, v5
	v_cndmask_b32_e64 v8, v8, 1, s9
	v_and_b32_e32 v26, 0xffff, v5
	v_lshlrev_b32_e32 v25, 16, v8
	v_or3_b32 v26, v25, v26, v4
	v_mov_b32_e32 v25, v8
.LBB577_67:
	s_or_b32 exec_lo, exec_lo, s20
	v_mov_b32_dpp v27, v26 row_shr:4 row_mask:0xf bank_mask:0xf
	s_mov_b32 s20, exec_lo
	v_cmpx_lt_u32_e32 3, v7
	s_cbranch_execz .LBB577_69
; %bb.68:
	v_mov_b32_e32 v26, 0
	v_mov_b32_e32 v8, 1
	v_and_b32_e32 v28, 1, v25
	v_cmp_eq_u16_sdwa s9, v25, v26 src0_sel:BYTE_0 src1_sel:DWORD
	v_and_b32_sdwa v8, v27, v8 dst_sel:DWORD dst_unused:UNUSED_PAD src0_sel:WORD_1 src1_sel:DWORD
	v_cndmask_b32_e64 v25, 0, v27, s9
	v_cmp_eq_u32_e64 s9, 1, v28
	v_add_nc_u16 v5, v25, v5
	v_cndmask_b32_e64 v8, v8, 1, s9
	v_and_b32_e32 v26, 0xffff, v5
	v_lshlrev_b32_e32 v25, 16, v8
	v_or3_b32 v26, v25, v26, v4
	v_mov_b32_e32 v25, v8
.LBB577_69:
	s_or_b32 exec_lo, exec_lo, s20
	v_mov_b32_dpp v27, v26 row_shr:8 row_mask:0xf bank_mask:0xf
	s_mov_b32 s20, exec_lo
	v_cmpx_lt_u32_e32 7, v7
	s_cbranch_execz .LBB577_71
; %bb.70:
	v_mov_b32_e32 v8, 0
	v_mov_b32_e32 v7, 1
	v_and_b32_e32 v26, 1, v25
	v_cmp_eq_u16_sdwa s9, v25, v8 src0_sel:BYTE_0 src1_sel:DWORD
	v_and_b32_sdwa v7, v27, v7 dst_sel:DWORD dst_unused:UNUSED_PAD src0_sel:WORD_1 src1_sel:DWORD
	v_cndmask_b32_e64 v25, 0, v27, s9
	v_cmp_eq_u32_e64 s9, 1, v26
	v_add_nc_u16 v5, v25, v5
	v_cndmask_b32_e64 v8, v7, 1, s9
	v_and_b32_e32 v25, 0xffff, v5
	v_lshlrev_b32_e32 v7, 16, v8
	v_or3_b32 v26, v7, v25, v4
	v_mov_b32_e32 v25, v8
.LBB577_71:
	s_or_b32 exec_lo, exec_lo, s20
	ds_swizzle_b32 v7, v26 offset:swizzle(BROADCAST,32,15)
	v_and_b32_e32 v26, 16, v6
	s_mov_b32 s20, exec_lo
	v_cmpx_ne_u32_e32 0, v26
	s_cbranch_execz .LBB577_73
; %bb.72:
	v_mov_b32_e32 v8, 0
	v_mov_b32_e32 v26, 1
	v_cmp_eq_u16_sdwa s9, v25, v8 src0_sel:BYTE_0 src1_sel:DWORD
	v_and_b32_e32 v25, 1, v25
	s_waitcnt lgkmcnt(0)
	v_cndmask_b32_e64 v8, 0, v7, s9
	v_and_b32_sdwa v7, v7, v26 dst_sel:DWORD dst_unused:UNUSED_PAD src0_sel:WORD_1 src1_sel:DWORD
	v_cmp_eq_u32_e64 s9, 1, v25
	v_add_nc_u16 v5, v8, v5
	v_cndmask_b32_e64 v8, v7, 1, s9
.LBB577_73:
	s_or_b32 exec_lo, exec_lo, s20
	s_waitcnt lgkmcnt(0)
	v_and_b32_e32 v7, 0xff, v8
	v_add_nc_u32_e32 v8, -1, v6
	v_and_b32_e32 v5, 0xffff, v5
	; wave barrier
	v_lshlrev_b32_e32 v7, 16, v7
	v_cmp_gt_i32_e64 s9, 0, v8
	v_or3_b32 v4, v7, v5, v4
	v_cndmask_b32_e64 v6, v8, v6, s9
	v_lshlrev_b32_e32 v5, 2, v6
	v_mov_b32_e32 v6, 1
	ds_bpermute_b32 v4, v5, v4
	v_and_b32_e32 v5, 0xff0000, v2
	v_cmp_eq_u32_e64 s9, 0, v5
	s_waitcnt lgkmcnt(0)
	v_cndmask_b32_e64 v5, 0, v4, s9
	v_and_b32_sdwa v4, v4, v6 dst_sel:DWORD dst_unused:UNUSED_PAD src0_sel:WORD_1 src1_sel:DWORD
	v_cmp_eq_u32_e64 s9, 0, v3
	v_add_nc_u16 v2, v5, v2
	v_cndmask_b32_e64 v3, 1, v4, s9
	v_cmp_eq_u32_e64 s9, 0, v0
	v_cndmask_b32_e64 v2, v2, v23, s9
	v_cndmask_b32_e64 v3, v3, v24, s9
	ds_write_b16 v1, v2
	ds_write_b8 v1, v3 offset:2
	; wave barrier
	ds_read_u8 v4, v1 offset:6
	ds_read_u16 v5, v1 offset:4
	s_waitcnt lgkmcnt(1)
	v_cmp_eq_u16_e64 s9, 0, v4
	v_and_b32_e32 v4, 1, v4
	v_cndmask_b32_e64 v2, 0, v2, s9
	v_cmp_eq_u32_e64 s9, 1, v4
	s_waitcnt lgkmcnt(0)
	v_add_nc_u16 v2, v2, v5
	v_cndmask_b32_e64 v3, v3, 1, s9
	ds_write_b16 v1, v2 offset:4
	ds_write_b8 v1, v3 offset:6
.LBB577_74:
	s_or_b32 exec_lo, exec_lo, s10
	v_cmp_eq_u32_e64 s9, 0, v0
	s_mov_b32 s20, exec_lo
	s_waitcnt lgkmcnt(0)
	s_barrier
	buffer_gl0_inv
	v_cmpx_ne_u32_e32 0, v0
	s_cbranch_execz .LBB577_76
; %bb.75:
	v_add_nc_u32_e32 v1, -1, v0
	v_lshrrev_b32_e32 v2, 3, v1
	v_and_b32_e32 v2, 0x1ffffffc, v2
	v_lshl_add_u32 v1, v1, 2, v2
	ds_read_u16 v23, v1
	ds_read_u8 v24, v1 offset:2
.LBB577_76:
	s_or_b32 exec_lo, exec_lo, s20
	s_and_saveexec_b32 s28, vcc_lo
	s_cbranch_execz .LBB577_116
; %bb.77:
	v_mov_b32_e32 v6, 0
	v_mbcnt_lo_u32_b32 v25, -1, 0
	s_mov_b32 s21, 0
	ds_read_b32 v1, v6 offset:256
	v_cmp_eq_u32_e64 s10, 0, v25
	s_and_saveexec_b32 s29, s10
	s_cbranch_execz .LBB577_79
; %bb.78:
	s_add_i32 s20, s6, 32
	v_mov_b32_e32 v2, 1
	s_lshl_b64 s[20:21], s[20:21], 3
	s_add_u32 s20, s16, s20
	s_addc_u32 s21, s17, s21
	s_waitcnt lgkmcnt(0)
	global_store_dwordx2 v6, v[1:2], s[20:21]
.LBB577_79:
	s_or_b32 exec_lo, exec_lo, s29
	v_xad_u32 v2, v25, -1, s6
	v_add_nc_u32_e32 v5, 32, v2
	v_lshlrev_b64 v[3:4], 3, v[5:6]
	v_add_co_u32 v7, vcc_lo, s16, v3
	v_add_co_ci_u32_e64 v8, null, s17, v4, vcc_lo
	global_load_dwordx2 v[4:5], v[7:8], off glc dlc
	s_waitcnt vmcnt(0)
	v_cmp_eq_u16_sdwa s21, v5, v6 src0_sel:BYTE_0 src1_sel:DWORD
	s_and_saveexec_b32 s20, s21
	s_cbranch_execz .LBB577_83
; %bb.80:
	v_mov_b32_e32 v3, 0
	s_mov_b32 s21, 0
.LBB577_81:                             ; =>This Inner Loop Header: Depth=1
	global_load_dwordx2 v[4:5], v[7:8], off glc dlc
	s_waitcnt vmcnt(0)
	v_cmp_ne_u16_sdwa s29, v5, v3 src0_sel:BYTE_0 src1_sel:DWORD
	s_or_b32 s21, s29, s21
	s_andn2_b32 exec_lo, exec_lo, s21
	s_cbranch_execnz .LBB577_81
; %bb.82:
	s_or_b32 exec_lo, exec_lo, s21
.LBB577_83:
	s_or_b32 exec_lo, exec_lo, s20
	v_cmp_ne_u32_e32 vcc_lo, 31, v25
	v_and_b32_e32 v33, 0xffffff, v4
	v_mov_b32_e32 v6, 2
	v_lshlrev_b32_e64 v26, v25, -1
	v_bfe_u32 v7, v4, 16, 8
	v_add_co_ci_u32_e64 v3, null, 0, v25, vcc_lo
	v_cmp_eq_u16_sdwa s20, v5, v6 src0_sel:BYTE_0 src1_sel:DWORD
	v_lshrrev_b32_e32 v6, 16, v4
	v_lshlrev_b32_e32 v8, 2, v3
	v_and_or_b32 v3, s20, v26, 0x80000000
	s_mov_b32 s20, exec_lo
	ds_bpermute_b32 v27, v8, v33
	v_ffbl_b32_e32 v3, v3
	v_cmpx_lt_u32_e64 v25, v3
	s_cbranch_execz .LBB577_85
; %bb.84:
	v_and_b32_e32 v6, 0xff0000, v4
	v_mov_b32_e32 v7, 1
	v_and_b32_e32 v28, 0x10000, v6
	v_cmp_eq_u32_e32 vcc_lo, 0, v6
	s_waitcnt lgkmcnt(0)
	v_and_b32_sdwa v7, v27, v7 dst_sel:DWORD dst_unused:UNUSED_PAD src0_sel:WORD_1 src1_sel:DWORD
	v_cndmask_b32_e32 v27, 0, v27, vcc_lo
	v_cmp_ne_u32_e32 vcc_lo, 0, v28
	v_add_nc_u16 v4, v27, v4
	v_cndmask_b32_e64 v6, v7, 1, vcc_lo
	v_lshlrev_b32_e32 v7, 16, v6
	v_or_b32_sdwa v33, v7, v4 dst_sel:DWORD dst_unused:UNUSED_PAD src0_sel:DWORD src1_sel:WORD_0
	v_mov_b32_e32 v7, v6
.LBB577_85:
	s_or_b32 exec_lo, exec_lo, s20
	v_cmp_gt_u32_e32 vcc_lo, 30, v25
	v_add_nc_u32_e32 v28, 2, v25
	s_mov_b32 s20, exec_lo
	s_waitcnt lgkmcnt(0)
	v_cndmask_b32_e64 v27, 0, 2, vcc_lo
	v_add_lshl_u32 v27, v27, v25, 2
	ds_bpermute_b32 v29, v27, v33
	v_cmpx_le_u32_e64 v28, v3
	s_cbranch_execz .LBB577_87
; %bb.86:
	v_mov_b32_e32 v6, 1
	v_and_b32_e32 v30, 1, v7
	v_cmp_eq_u16_e32 vcc_lo, 0, v7
	s_waitcnt lgkmcnt(0)
	v_and_b32_sdwa v6, v29, v6 dst_sel:DWORD dst_unused:UNUSED_PAD src0_sel:WORD_1 src1_sel:DWORD
	v_cndmask_b32_e32 v7, 0, v29, vcc_lo
	v_cmp_eq_u32_e32 vcc_lo, 1, v30
	v_add_nc_u16 v4, v7, v4
	v_cndmask_b32_e64 v6, v6, 1, vcc_lo
	v_lshlrev_b32_e32 v7, 16, v6
	v_or_b32_sdwa v33, v7, v4 dst_sel:DWORD dst_unused:UNUSED_PAD src0_sel:DWORD src1_sel:WORD_0
	v_mov_b32_e32 v7, v6
.LBB577_87:
	s_or_b32 exec_lo, exec_lo, s20
	v_cmp_gt_u32_e32 vcc_lo, 28, v25
	v_add_nc_u32_e32 v30, 4, v25
	s_mov_b32 s20, exec_lo
	s_waitcnt lgkmcnt(0)
	v_cndmask_b32_e64 v29, 0, 4, vcc_lo
	v_add_lshl_u32 v29, v29, v25, 2
	ds_bpermute_b32 v31, v29, v33
	v_cmpx_le_u32_e64 v30, v3
	s_cbranch_execz .LBB577_89
; %bb.88:
	v_mov_b32_e32 v6, 1
	v_and_b32_e32 v32, 1, v7
	v_cmp_eq_u16_e32 vcc_lo, 0, v7
	s_waitcnt lgkmcnt(0)
	v_and_b32_sdwa v6, v31, v6 dst_sel:DWORD dst_unused:UNUSED_PAD src0_sel:WORD_1 src1_sel:DWORD
	v_cndmask_b32_e32 v7, 0, v31, vcc_lo
	v_cmp_eq_u32_e32 vcc_lo, 1, v32
	v_add_nc_u16 v4, v7, v4
	v_cndmask_b32_e64 v6, v6, 1, vcc_lo
	v_lshlrev_b32_e32 v7, 16, v6
	v_or_b32_sdwa v33, v7, v4 dst_sel:DWORD dst_unused:UNUSED_PAD src0_sel:DWORD src1_sel:WORD_0
	v_mov_b32_e32 v7, v6
.LBB577_89:
	;; [unrolled: 24-line block ×3, first 2 shown]
	s_or_b32 exec_lo, exec_lo, s20
	v_lshl_or_b32 v35, v25, 2, 64
	v_add_nc_u32_e32 v36, 16, v25
	s_mov_b32 s20, exec_lo
	ds_bpermute_b32 v33, v35, v33
	v_cmpx_le_u32_e64 v36, v3
	s_cbranch_execz .LBB577_93
; %bb.92:
	v_mov_b32_e32 v3, 1
	v_cmp_eq_u16_e32 vcc_lo, 0, v7
	v_and_b32_e32 v7, 1, v7
	s_waitcnt lgkmcnt(0)
	v_and_b32_sdwa v3, v33, v3 dst_sel:DWORD dst_unused:UNUSED_PAD src0_sel:WORD_1 src1_sel:DWORD
	v_cndmask_b32_e32 v6, 0, v33, vcc_lo
	v_cmp_eq_u32_e32 vcc_lo, 1, v7
	v_add_nc_u16 v4, v6, v4
	v_cndmask_b32_e64 v6, v3, 1, vcc_lo
.LBB577_93:
	s_or_b32 exec_lo, exec_lo, s20
	v_mov_b32_e32 v3, 0
	v_mov_b32_e32 v37, 2
	v_mov_b32_e32 v38, 1
	s_branch .LBB577_96
.LBB577_94:                             ;   in Loop: Header=BB577_96 Depth=1
	s_or_b32 exec_lo, exec_lo, s20
	v_cmp_eq_u16_sdwa vcc_lo, v33, v3 src0_sel:BYTE_0 src1_sel:DWORD
	v_and_b32_e32 v6, 1, v33
	v_and_b32_e32 v7, 1, v7
	v_subrev_nc_u32_e32 v2, 32, v2
	s_mov_b32 s20, 0
	v_cndmask_b32_e32 v4, 0, v4, vcc_lo
	v_cmp_eq_u32_e32 vcc_lo, 1, v6
	v_add_nc_u16 v4, v4, v34
	v_cndmask_b32_e64 v6, v7, 1, vcc_lo
.LBB577_95:                             ;   in Loop: Header=BB577_96 Depth=1
	s_and_b32 vcc_lo, exec_lo, s20
	s_cbranch_vccnz .LBB577_112
.LBB577_96:                             ; =>This Loop Header: Depth=1
                                        ;     Child Loop BB577_99 Depth 2
	v_cmp_ne_u16_sdwa s20, v5, v37 src0_sel:BYTE_0 src1_sel:DWORD
	s_waitcnt lgkmcnt(0)
	v_mov_b32_e32 v33, v6
	v_mov_b32_e32 v34, v4
                                        ; implicit-def: $vgpr6
                                        ; implicit-def: $vgpr4
	s_cmp_lg_u32 s20, exec_lo
	s_mov_b32 s20, -1
	s_cbranch_scc1 .LBB577_95
; %bb.97:                               ;   in Loop: Header=BB577_96 Depth=1
	v_lshlrev_b64 v[4:5], 3, v[2:3]
	v_add_co_u32 v6, vcc_lo, s16, v4
	v_add_co_ci_u32_e64 v7, null, s17, v5, vcc_lo
	global_load_dwordx2 v[4:5], v[6:7], off glc dlc
	s_waitcnt vmcnt(0)
	v_cmp_eq_u16_sdwa s21, v5, v3 src0_sel:BYTE_0 src1_sel:DWORD
	s_and_saveexec_b32 s20, s21
	s_cbranch_execz .LBB577_101
; %bb.98:                               ;   in Loop: Header=BB577_96 Depth=1
	s_mov_b32 s21, 0
.LBB577_99:                             ;   Parent Loop BB577_96 Depth=1
                                        ; =>  This Inner Loop Header: Depth=2
	global_load_dwordx2 v[4:5], v[6:7], off glc dlc
	s_waitcnt vmcnt(0)
	v_cmp_ne_u16_sdwa s29, v5, v3 src0_sel:BYTE_0 src1_sel:DWORD
	s_or_b32 s21, s29, s21
	s_andn2_b32 exec_lo, exec_lo, s21
	s_cbranch_execnz .LBB577_99
; %bb.100:                              ;   in Loop: Header=BB577_96 Depth=1
	s_or_b32 exec_lo, exec_lo, s21
.LBB577_101:                            ;   in Loop: Header=BB577_96 Depth=1
	s_or_b32 exec_lo, exec_lo, s20
	v_and_b32_e32 v40, 0xffffff, v4
	v_cmp_eq_u16_sdwa s20, v5, v37 src0_sel:BYTE_0 src1_sel:DWORD
	v_lshrrev_b32_e32 v7, 16, v4
	v_bfe_u32 v39, v4, 16, 8
	ds_bpermute_b32 v41, v8, v40
	v_and_or_b32 v6, s20, v26, 0x80000000
	s_mov_b32 s20, exec_lo
	v_ffbl_b32_e32 v6, v6
	v_cmpx_lt_u32_e64 v25, v6
	s_cbranch_execz .LBB577_103
; %bb.102:                              ;   in Loop: Header=BB577_96 Depth=1
	v_and_b32_e32 v7, 0xff0000, v4
	s_waitcnt lgkmcnt(0)
	v_and_b32_sdwa v40, v41, v38 dst_sel:DWORD dst_unused:UNUSED_PAD src0_sel:WORD_1 src1_sel:DWORD
	v_and_b32_e32 v39, 0x10000, v7
	v_cmp_eq_u32_e32 vcc_lo, 0, v7
	v_cndmask_b32_e32 v41, 0, v41, vcc_lo
	v_cmp_ne_u32_e32 vcc_lo, 0, v39
	v_add_nc_u16 v4, v41, v4
	v_cndmask_b32_e64 v7, v40, 1, vcc_lo
	v_lshlrev_b32_e32 v39, 16, v7
	v_or_b32_sdwa v40, v39, v4 dst_sel:DWORD dst_unused:UNUSED_PAD src0_sel:DWORD src1_sel:WORD_0
	v_mov_b32_e32 v39, v7
.LBB577_103:                            ;   in Loop: Header=BB577_96 Depth=1
	s_or_b32 exec_lo, exec_lo, s20
	s_waitcnt lgkmcnt(0)
	ds_bpermute_b32 v41, v27, v40
	s_mov_b32 s20, exec_lo
	v_cmpx_le_u32_e64 v28, v6
	s_cbranch_execz .LBB577_105
; %bb.104:                              ;   in Loop: Header=BB577_96 Depth=1
	v_and_b32_e32 v7, 1, v39
	v_cmp_eq_u16_e32 vcc_lo, 0, v39
	s_waitcnt lgkmcnt(0)
	v_and_b32_sdwa v40, v41, v38 dst_sel:DWORD dst_unused:UNUSED_PAD src0_sel:WORD_1 src1_sel:DWORD
	v_cndmask_b32_e32 v39, 0, v41, vcc_lo
	v_cmp_eq_u32_e32 vcc_lo, 1, v7
	v_add_nc_u16 v4, v39, v4
	v_cndmask_b32_e64 v7, v40, 1, vcc_lo
	v_lshlrev_b32_e32 v39, 16, v7
	v_or_b32_sdwa v40, v39, v4 dst_sel:DWORD dst_unused:UNUSED_PAD src0_sel:DWORD src1_sel:WORD_0
	v_mov_b32_e32 v39, v7
.LBB577_105:                            ;   in Loop: Header=BB577_96 Depth=1
	s_or_b32 exec_lo, exec_lo, s20
	s_waitcnt lgkmcnt(0)
	ds_bpermute_b32 v41, v29, v40
	s_mov_b32 s20, exec_lo
	v_cmpx_le_u32_e64 v30, v6
	s_cbranch_execz .LBB577_107
; %bb.106:                              ;   in Loop: Header=BB577_96 Depth=1
	v_and_b32_e32 v7, 1, v39
	v_cmp_eq_u16_e32 vcc_lo, 0, v39
	s_waitcnt lgkmcnt(0)
	v_and_b32_sdwa v40, v41, v38 dst_sel:DWORD dst_unused:UNUSED_PAD src0_sel:WORD_1 src1_sel:DWORD
	v_cndmask_b32_e32 v39, 0, v41, vcc_lo
	v_cmp_eq_u32_e32 vcc_lo, 1, v7
	v_add_nc_u16 v4, v39, v4
	v_cndmask_b32_e64 v7, v40, 1, vcc_lo
	v_lshlrev_b32_e32 v39, 16, v7
	v_or_b32_sdwa v40, v39, v4 dst_sel:DWORD dst_unused:UNUSED_PAD src0_sel:DWORD src1_sel:WORD_0
	v_mov_b32_e32 v39, v7
.LBB577_107:                            ;   in Loop: Header=BB577_96 Depth=1
	;; [unrolled: 19-line block ×3, first 2 shown]
	s_or_b32 exec_lo, exec_lo, s20
	ds_bpermute_b32 v40, v35, v40
	s_mov_b32 s20, exec_lo
	v_cmpx_le_u32_e64 v36, v6
	s_cbranch_execz .LBB577_94
; %bb.110:                              ;   in Loop: Header=BB577_96 Depth=1
	v_cmp_eq_u16_e32 vcc_lo, 0, v39
	v_and_b32_e32 v7, 1, v39
	s_waitcnt lgkmcnt(0)
	v_lshrrev_b32_e32 v39, 16, v40
	v_cndmask_b32_e32 v6, 0, v40, vcc_lo
	v_cmp_eq_u32_e32 vcc_lo, 1, v7
	v_add_nc_u16 v4, v6, v4
	v_cndmask_b32_e64 v7, v39, 1, vcc_lo
	s_branch .LBB577_94
.LBB577_111:
                                        ; implicit-def: $vgpr3
                                        ; implicit-def: $vgpr4
                                        ; implicit-def: $vgpr5
                                        ; implicit-def: $vgpr6
                                        ; implicit-def: $vgpr7
                                        ; implicit-def: $vgpr8
                                        ; implicit-def: $vgpr23
                                        ; implicit-def: $vgpr25
                                        ; implicit-def: $vgpr24
                                        ; implicit-def: $vgpr26
	s_cbranch_execnz .LBB577_117
	s_branch .LBB577_136
.LBB577_112:
	s_and_saveexec_b32 s20, s10
	s_cbranch_execz .LBB577_114
; %bb.113:
	v_and_b32_e32 v2, 0xff0000, v1
	v_mov_b32_e32 v3, 1
	v_and_b32_e32 v4, 0x10000, v1
	s_mov_b32 s35, 0
	s_add_i32 s34, s6, 32
	v_cmp_eq_u32_e32 vcc_lo, 0, v2
	v_and_b32_sdwa v3, v33, v3 dst_sel:WORD_1 dst_unused:UNUSED_PAD src0_sel:DWORD src1_sel:DWORD
	s_lshl_b64 s[34:35], s[34:35], 3
	s_add_u32 s34, s16, s34
	v_cndmask_b32_e32 v2, 0, v34, vcc_lo
	v_cmp_eq_u32_e32 vcc_lo, 0, v4
	s_addc_u32 s35, s17, s35
	v_add_nc_u16 v1, v2, v1
	v_cndmask_b32_e32 v2, 0x10000, v3, vcc_lo
	v_mov_b32_e32 v3, 0
	v_or_b32_sdwa v1, v2, v1 dst_sel:DWORD dst_unused:UNUSED_PAD src0_sel:DWORD src1_sel:WORD_0
	v_mov_b32_e32 v2, 2
	global_store_dwordx2 v3, v[1:2], s[34:35]
.LBB577_114:
	s_or_b32 exec_lo, exec_lo, s20
	s_and_b32 exec_lo, exec_lo, s9
	s_cbranch_execz .LBB577_116
; %bb.115:
	v_mov_b32_e32 v1, 0
	ds_write_b16 v1, v34
	ds_write_b8 v1, v33 offset:2
.LBB577_116:
	s_or_b32 exec_lo, exec_lo, s28
	v_mov_b32_e32 v1, 0
	s_waitcnt lgkmcnt(0)
	s_waitcnt_vscnt null, 0x0
	s_barrier
	buffer_gl0_inv
	v_and_b32_e32 v4, 0xff0000, v19
	ds_read_b32 v2, v1
	v_cmp_eq_u16_sdwa vcc_lo, v24, v1 src0_sel:BYTE_0 src1_sel:DWORD
	s_waitcnt lgkmcnt(0)
	v_cndmask_b32_e32 v1, 0, v2, vcc_lo
	v_cmp_eq_u32_e32 vcc_lo, 0, v4
	v_add_nc_u16 v1, v1, v23
	v_cndmask_b32_e64 v3, v1, v2, s9
	v_cndmask_b32_e32 v1, 0, v3, vcc_lo
	v_add_nc_u16 v4, v1, v19
	v_cndmask_b32_e64 v1, 0, v4, s8
	v_add_nc_u16 v5, v1, v21
	v_cndmask_b32_e64 v1, 0, v5, s7
	v_add_nc_u16 v6, v1, v20
	v_cndmask_b32_e64 v1, 0, v6, s5
	v_add_nc_u16 v7, v1, v18
	v_cndmask_b32_e64 v1, 0, v7, s4
	v_add_nc_u16 v8, v1, v17
	v_cndmask_b32_e64 v1, 0, v8, s3
	v_add_nc_u16 v23, v1, v16
	v_cndmask_b32_e64 v1, 0, v23, s2
	v_add_nc_u16 v25, v1, v15
	v_cndmask_b32_e64 v1, 0, v25, s1
	v_add_nc_u16 v24, v1, v14
	v_cndmask_b32_e64 v1, 0, v24, s0
	v_add_nc_u16 v26, v1, v13
	s_branch .LBB577_136
.LBB577_117:
	s_cmp_eq_u64 s[26:27], 0
	v_mov_b32_e32 v1, s30
	s_cselect_b32 s0, -1, 0
	s_cmp_eq_u64 s[22:23], 0
	s_cselect_b32 s1, -1, 0
	s_or_b32 s0, s0, s1
	s_and_b32 vcc_lo, exec_lo, s0
	s_cbranch_vccnz .LBB577_119
; %bb.118:
	v_mov_b32_e32 v1, 0
	global_load_ushort v1, v1, s[22:23]
.LBB577_119:
	v_cmp_gt_u32_e32 vcc_lo, 0x10000, v21
	v_cmp_gt_u32_e64 s0, 0x10000, v20
	v_cmp_gt_u32_e64 s1, 0x10000, v18
	;; [unrolled: 1-line block ×4, first 2 shown]
	v_cndmask_b32_e32 v2, 0, v19, vcc_lo
	v_cmp_gt_u32_e64 s4, 0x10000, v15
	v_cmp_gt_u32_e64 s5, 0x10000, v14
	v_or3_b32 v3, v22, v18, v20
	v_cmp_gt_u32_e64 s6, 0x10000, v13
	v_add_nc_u16 v2, v2, v21
	v_cmp_gt_u32_e64 s7, 0x10000, v10
	v_and_b32_e32 v4, 4, v12
	v_or3_b32 v3, v3, v21, v10
	s_mov_b32 s8, exec_lo
	v_cndmask_b32_e64 v2, 0, v2, s0
	v_lshl_add_u32 v4, v0, 2, v4
	v_and_b32_e32 v3, 0xff0000, v3
	v_add_nc_u16 v2, v2, v20
	v_cndmask_b32_e64 v2, 0, v2, s1
	v_add_nc_u16 v2, v2, v18
	v_cndmask_b32_e64 v2, 0, v2, s2
	;; [unrolled: 2-line block ×7, first 2 shown]
	v_cmp_eq_u32_e64 s7, 0, v3
	v_add_nc_u16 v3, v5, v10
	v_cndmask_b32_e64 v2, 1, v11, s7
	ds_write_b8 v4, v2 offset:2
	ds_write_b16 v4, v3
	s_waitcnt vmcnt(0) lgkmcnt(0)
	s_barrier
	buffer_gl0_inv
	v_cmpx_gt_u32_e32 32, v0
	s_cbranch_execz .LBB577_131
; %bb.120:
	v_lshrrev_b32_e32 v4, 2, v0
	v_lshlrev_b32_e32 v5, 3, v0
	s_mov_b32 s9, exec_lo
	v_and_b32_e32 v4, 12, v4
	v_add_nc_u32_e32 v4, v4, v5
	ds_read_u8 v6, v4 offset:6
	ds_read_b32 v5, v4
	ds_read_u16 v7, v4 offset:4
	s_waitcnt lgkmcnt(2)
	v_cmp_eq_u16_e64 s7, 0, v6
	v_and_b32_e32 v10, 1, v6
	s_waitcnt lgkmcnt(1)
	v_and_b32_e32 v6, 0x10000, v5
	v_cndmask_b32_e64 v8, 0, v5, s7
	v_cmp_eq_u32_e64 s7, 1, v10
	v_mbcnt_lo_u32_b32 v10, -1, 0
	s_waitcnt lgkmcnt(0)
	v_add_nc_u16 v8, v8, v7
	v_and_b32_e32 v7, 0xff000000, v5
	v_cndmask_b32_e64 v11, v6, 0x10000, s7
	v_and_b32_e32 v12, 0xffff, v8
	v_or_b32_e32 v22, v11, v7
	v_or3_b32 v23, v7, v12, v11
	v_and_b32_e32 v11, 15, v10
	v_lshrrev_b32_e32 v12, 16, v22
	v_mov_b32_dpp v24, v23 row_shr:1 row_mask:0xf bank_mask:0xf
	v_cmpx_ne_u32_e32 0, v11
	s_cbranch_execz .LBB577_122
; %bb.121:
	v_mov_b32_e32 v12, 0xff
	v_mov_b32_e32 v23, 1
	v_and_b32_sdwa v12, v22, v12 dst_sel:DWORD dst_unused:UNUSED_PAD src0_sel:WORD_1 src1_sel:DWORD
	v_and_b32_e32 v22, 0x10000, v22
	v_and_b32_sdwa v23, v24, v23 dst_sel:DWORD dst_unused:UNUSED_PAD src0_sel:WORD_1 src1_sel:DWORD
	v_cmp_eq_u16_e64 s7, 0, v12
	v_cndmask_b32_e64 v24, 0, v24, s7
	v_cmp_ne_u32_e64 s7, 0, v22
	v_add_nc_u16 v8, v24, v8
	v_cndmask_b32_e64 v12, v23, 1, s7
	v_and_b32_e32 v23, 0xffff, v8
	v_lshlrev_b32_e32 v22, 16, v12
	v_or3_b32 v23, v22, v23, v7
.LBB577_122:
	s_or_b32 exec_lo, exec_lo, s9
	v_lshrrev_b32_e32 v22, 16, v23
	v_mov_b32_dpp v24, v23 row_shr:2 row_mask:0xf bank_mask:0xf
	s_mov_b32 s9, exec_lo
	v_cmpx_lt_u32_e32 1, v11
	s_cbranch_execz .LBB577_124
; %bb.123:
	v_mov_b32_e32 v25, 0
	v_mov_b32_e32 v12, 1
	v_and_b32_e32 v23, 0x10000, v23
	v_cmp_eq_u16_sdwa s7, v22, v25 src0_sel:BYTE_0 src1_sel:DWORD
	v_and_b32_sdwa v12, v24, v12 dst_sel:DWORD dst_unused:UNUSED_PAD src0_sel:WORD_1 src1_sel:DWORD
	v_cndmask_b32_e64 v22, 0, v24, s7
	v_cmp_ne_u32_e64 s7, 0, v23
	v_add_nc_u16 v8, v22, v8
	v_cndmask_b32_e64 v12, v12, 1, s7
	v_and_b32_e32 v23, 0xffff, v8
	v_lshlrev_b32_e32 v22, 16, v12
	v_or3_b32 v23, v22, v23, v7
	v_mov_b32_e32 v22, v12
.LBB577_124:
	s_or_b32 exec_lo, exec_lo, s9
	v_mov_b32_dpp v24, v23 row_shr:4 row_mask:0xf bank_mask:0xf
	s_mov_b32 s9, exec_lo
	v_cmpx_lt_u32_e32 3, v11
	s_cbranch_execz .LBB577_126
; %bb.125:
	v_mov_b32_e32 v23, 0
	v_mov_b32_e32 v12, 1
	v_and_b32_e32 v25, 1, v22
	v_cmp_eq_u16_sdwa s7, v22, v23 src0_sel:BYTE_0 src1_sel:DWORD
	v_and_b32_sdwa v12, v24, v12 dst_sel:DWORD dst_unused:UNUSED_PAD src0_sel:WORD_1 src1_sel:DWORD
	v_cndmask_b32_e64 v22, 0, v24, s7
	v_cmp_eq_u32_e64 s7, 1, v25
	v_add_nc_u16 v8, v22, v8
	v_cndmask_b32_e64 v12, v12, 1, s7
	v_and_b32_e32 v23, 0xffff, v8
	v_lshlrev_b32_e32 v22, 16, v12
	v_or3_b32 v23, v22, v23, v7
	v_mov_b32_e32 v22, v12
.LBB577_126:
	s_or_b32 exec_lo, exec_lo, s9
	v_mov_b32_dpp v24, v23 row_shr:8 row_mask:0xf bank_mask:0xf
	s_mov_b32 s9, exec_lo
	v_cmpx_lt_u32_e32 7, v11
	s_cbranch_execz .LBB577_128
; %bb.127:
	v_mov_b32_e32 v12, 0
	v_mov_b32_e32 v11, 1
	v_and_b32_e32 v23, 1, v22
	v_cmp_eq_u16_sdwa s7, v22, v12 src0_sel:BYTE_0 src1_sel:DWORD
	v_and_b32_sdwa v11, v24, v11 dst_sel:DWORD dst_unused:UNUSED_PAD src0_sel:WORD_1 src1_sel:DWORD
	v_cndmask_b32_e64 v22, 0, v24, s7
	v_cmp_eq_u32_e64 s7, 1, v23
	v_add_nc_u16 v8, v22, v8
	v_cndmask_b32_e64 v12, v11, 1, s7
	v_and_b32_e32 v22, 0xffff, v8
	v_lshlrev_b32_e32 v11, 16, v12
	v_or3_b32 v23, v11, v22, v7
	v_mov_b32_e32 v22, v12
.LBB577_128:
	s_or_b32 exec_lo, exec_lo, s9
	ds_swizzle_b32 v11, v23 offset:swizzle(BROADCAST,32,15)
	v_and_b32_e32 v23, 16, v10
	s_mov_b32 s9, exec_lo
	v_cmpx_ne_u32_e32 0, v23
	s_cbranch_execz .LBB577_130
; %bb.129:
	v_mov_b32_e32 v12, 0
	v_mov_b32_e32 v23, 1
	v_cmp_eq_u16_sdwa s7, v22, v12 src0_sel:BYTE_0 src1_sel:DWORD
	v_and_b32_e32 v22, 1, v22
	s_waitcnt lgkmcnt(0)
	v_cndmask_b32_e64 v12, 0, v11, s7
	v_and_b32_sdwa v11, v11, v23 dst_sel:DWORD dst_unused:UNUSED_PAD src0_sel:WORD_1 src1_sel:DWORD
	v_cmp_eq_u32_e64 s7, 1, v22
	v_add_nc_u16 v8, v12, v8
	v_cndmask_b32_e64 v12, v11, 1, s7
.LBB577_130:
	s_or_b32 exec_lo, exec_lo, s9
	s_waitcnt lgkmcnt(0)
	v_and_b32_e32 v11, 0xff, v12
	v_add_nc_u32_e32 v12, -1, v10
	v_and_b32_e32 v8, 0xffff, v8
	; wave barrier
	v_lshlrev_b32_e32 v11, 16, v11
	v_cmp_gt_i32_e64 s7, 0, v12
	v_or3_b32 v7, v11, v8, v7
	v_cndmask_b32_e64 v10, v12, v10, s7
	v_lshlrev_b32_e32 v8, 2, v10
	v_mov_b32_e32 v10, 1
	ds_bpermute_b32 v7, v8, v7
	v_and_b32_e32 v8, 0xff0000, v5
	v_cmp_eq_u32_e64 s7, 0, v8
	s_waitcnt lgkmcnt(0)
	v_cndmask_b32_e64 v8, 0, v7, s7
	v_and_b32_sdwa v7, v7, v10 dst_sel:DWORD dst_unused:UNUSED_PAD src0_sel:WORD_1 src1_sel:DWORD
	v_cmp_eq_u32_e64 s7, 0, v6
	v_add_nc_u16 v5, v8, v5
	v_cndmask_b32_e64 v6, 1, v7, s7
	v_cmp_eq_u32_e64 s7, 0, v0
	v_cndmask_b32_e64 v3, v5, v3, s7
	v_cndmask_b32_e64 v2, v6, v2, s7
	ds_write_b16 v4, v3
	ds_write_b8 v4, v2 offset:2
	; wave barrier
	ds_read_u8 v5, v4 offset:6
	ds_read_u16 v6, v4 offset:4
	s_waitcnt lgkmcnt(1)
	v_cmp_eq_u16_e64 s7, 0, v5
	v_and_b32_e32 v5, 1, v5
	v_cndmask_b32_e64 v3, 0, v3, s7
	v_cmp_eq_u32_e64 s7, 1, v5
	s_waitcnt lgkmcnt(0)
	v_add_nc_u16 v3, v3, v6
	v_cndmask_b32_e64 v2, v2, 1, s7
	ds_write_b16 v4, v3 offset:4
	ds_write_b8 v4, v2 offset:6
.LBB577_131:
	s_or_b32 exec_lo, exec_lo, s8
	v_cmp_eq_u32_e64 s7, 0, v0
	v_mov_b32_e32 v3, v1
	s_mov_b32 s9, exec_lo
	s_waitcnt lgkmcnt(0)
	s_barrier
	buffer_gl0_inv
	v_cmpx_ne_u32_e32 0, v0
	s_cbranch_execz .LBB577_133
; %bb.132:
	v_add_nc_u32_e32 v2, -1, v0
	v_lshrrev_b32_e32 v3, 3, v2
	v_and_b32_e32 v3, 0x1ffffffc, v3
	v_lshl_add_u32 v2, v2, 2, v3
	ds_read_u8 v3, v2 offset:2
	ds_read_u16 v2, v2
	s_waitcnt lgkmcnt(1)
	v_cmp_eq_u16_e64 s8, 0, v3
	v_cndmask_b32_e64 v3, 0, v1, s8
	s_waitcnt lgkmcnt(0)
	v_add_nc_u16 v3, v3, v2
.LBB577_133:
	s_or_b32 exec_lo, exec_lo, s9
	v_and_b32_e32 v2, 0xff0000, v19
	v_cmp_eq_u32_e64 s8, 0, v2
	v_cndmask_b32_e64 v2, 0, v3, s8
	v_add_nc_u16 v4, v2, v19
	v_cndmask_b32_e32 v2, 0, v4, vcc_lo
	v_add_nc_u16 v5, v2, v21
	v_cndmask_b32_e64 v2, 0, v5, s0
	v_add_nc_u16 v6, v2, v20
	v_cndmask_b32_e64 v2, 0, v6, s1
	;; [unrolled: 2-line block ×7, first 2 shown]
	s_and_saveexec_b32 s0, s7
	s_cbranch_execz .LBB577_135
; %bb.134:
	v_mov_b32_e32 v12, 0
	ds_read_u8 v10, v12 offset:258
	ds_read_u16 v11, v12 offset:256
	s_waitcnt lgkmcnt(1)
	v_cmp_eq_u32_e32 vcc_lo, 0, v10
	v_lshlrev_b32_e32 v10, 16, v10
	v_cndmask_b32_e32 v1, 0, v1, vcc_lo
	s_waitcnt lgkmcnt(0)
	v_add_nc_u32_e32 v1, v1, v11
	v_mov_b32_e32 v11, 2
	v_or_b32_sdwa v10, v10, v1 dst_sel:DWORD dst_unused:UNUSED_PAD src0_sel:DWORD src1_sel:WORD_0
	global_store_dwordx2 v12, v[10:11], s[16:17] offset:256
.LBB577_135:
	s_or_b32 exec_lo, exec_lo, s0
	v_add_nc_u16 v26, v2, v13
.LBB577_136:
	s_add_u32 s0, s14, s24
	v_mov_b32_e32 v1, 0
	s_addc_u32 s1, s15, s25
	s_add_u32 s0, s0, s12
	s_addc_u32 s1, s1, s13
	s_and_b32 vcc_lo, exec_lo, s11
	s_cbranch_vccz .LBB577_176
; %bb.137:
	v_mul_u32_u24_e32 v2, 10, v0
	v_mov_b32_e32 v10, 0
	v_mov_b32_e32 v11, 0
	;; [unrolled: 1-line block ×4, first 2 shown]
	s_add_i32 s19, s19, s18
	s_mov_b32 s2, exec_lo
	v_cmpx_gt_u32_e64 s19, v2
	s_cbranch_execz .LBB577_157
; %bb.138:
	v_or_b32_e32 v13, 1, v2
	v_and_b32_e32 v1, 0xffff, v3
	v_mov_b32_e32 v10, 0
	v_mov_b32_e32 v11, 0
	;; [unrolled: 1-line block ×3, first 2 shown]
	v_cmp_gt_u32_e32 vcc_lo, s19, v13
	v_mov_b32_e32 v13, 0
	s_and_saveexec_b32 s3, vcc_lo
	s_cbranch_execz .LBB577_156
; %bb.139:
	v_perm_b32 v1, v4, v1, 0x5040100
	v_add_nc_u32_e32 v14, 2, v2
	v_mov_b32_e32 v13, 0
	v_mov_b32_e32 v12, 0
	;; [unrolled: 1-line block ×4, first 2 shown]
	s_mov_b32 s4, exec_lo
	v_cmpx_gt_u32_e64 s19, v14
	s_cbranch_execz .LBB577_155
; %bb.140:
	v_add_nc_u32_e32 v14, 3, v2
	v_bfi_b32 v10, 0xffff, v5, 0
	v_mov_b32_e32 v13, 0
	v_mov_b32_e32 v12, 0
	v_mov_b32_e32 v11, 0
	s_mov_b32 s5, exec_lo
	v_cmpx_gt_u32_e64 s19, v14
	s_cbranch_execz .LBB577_154
; %bb.141:
	v_add_nc_u32_e32 v14, 4, v2
	v_perm_b32 v10, v6, v10, 0x5040100
	v_mov_b32_e32 v13, 0
	v_mov_b32_e32 v12, 0
	;; [unrolled: 1-line block ×3, first 2 shown]
	s_mov_b32 s6, exec_lo
	v_cmpx_gt_u32_e64 s19, v14
	s_cbranch_execz .LBB577_153
; %bb.142:
	v_add_nc_u32_e32 v14, 5, v2
	v_bfi_b32 v11, 0xffff, v7, 0
	v_mov_b32_e32 v13, 0
	v_mov_b32_e32 v12, 0
	s_mov_b32 s7, exec_lo
	v_cmpx_gt_u32_e64 s19, v14
	s_cbranch_execz .LBB577_152
; %bb.143:
	v_add_nc_u32_e32 v14, 6, v2
	v_perm_b32 v11, v8, v11, 0x5040100
	v_mov_b32_e32 v13, 0
	v_mov_b32_e32 v12, 0
	s_mov_b32 s8, exec_lo
	v_cmpx_gt_u32_e64 s19, v14
	s_cbranch_execz .LBB577_151
; %bb.144:
	v_add_nc_u32_e32 v14, 7, v2
	v_bfi_b32 v12, 0xffff, v23, 0
	v_mov_b32_e32 v13, 0
	s_mov_b32 s9, exec_lo
	v_cmpx_gt_u32_e64 s19, v14
	s_cbranch_execz .LBB577_150
; %bb.145:
	v_add_nc_u32_e32 v14, 8, v2
	v_perm_b32 v12, v25, v12, 0x5040100
	v_mov_b32_e32 v13, 0
	s_mov_b32 s10, exec_lo
	v_cmpx_gt_u32_e64 s19, v14
	s_cbranch_execz .LBB577_149
; %bb.146:
	v_add_nc_u32_e32 v14, 9, v2
	v_bfi_b32 v13, 0xffff, v24, 0
	s_mov_b32 s11, exec_lo
	v_cmpx_gt_u32_e64 s19, v14
; %bb.147:
	v_perm_b32 v13, v26, v13, 0x5040100
; %bb.148:
	s_or_b32 exec_lo, exec_lo, s11
.LBB577_149:
	s_or_b32 exec_lo, exec_lo, s10
.LBB577_150:
	s_or_b32 exec_lo, exec_lo, s9
.LBB577_151:
	s_or_b32 exec_lo, exec_lo, s8
.LBB577_152:
	s_or_b32 exec_lo, exec_lo, s7
.LBB577_153:
	s_or_b32 exec_lo, exec_lo, s6
.LBB577_154:
	s_or_b32 exec_lo, exec_lo, s5
.LBB577_155:
	s_or_b32 exec_lo, exec_lo, s4
.LBB577_156:
	s_or_b32 exec_lo, exec_lo, s3
.LBB577_157:
	s_or_b32 exec_lo, exec_lo, s2
	v_lshlrev_b32_e32 v18, 1, v2
	s_waitcnt_vscnt null, 0x0
	s_barrier
	buffer_gl0_inv
	ds_write2_b32 v18, v1, v10 offset1:1
	ds_write2_b32 v18, v11, v12 offset0:2 offset1:3
	v_mad_i32_i24 v1, 0xffffffee, v0, v18
	ds_write_b32 v18, v13 offset:16
	s_waitcnt lgkmcnt(0)
	s_barrier
	buffer_gl0_inv
	ds_read_u16 v19, v1 offset:128
	ds_read_u16 v17, v1 offset:256
	;; [unrolled: 1-line block ×9, first 2 shown]
	v_add_co_u32 v1, s2, s0, v9
	v_add_co_ci_u32_e64 v2, null, s1, 0, s2
	s_mov_b32 s2, exec_lo
	v_cmpx_gt_u32_e64 s19, v0
	s_cbranch_execz .LBB577_159
; %bb.158:
	v_mul_i32_i24_e32 v20, 0xffffffee, v0
	v_add_nc_u32_e32 v18, v18, v20
	ds_read_u16 v18, v18
	s_waitcnt lgkmcnt(0)
	flat_store_short v[1:2], v18
.LBB577_159:
	s_or_b32 exec_lo, exec_lo, s2
	v_or_b32_e32 v18, 64, v0
	s_mov_b32 s2, exec_lo
	v_cmpx_gt_u32_e64 s19, v18
	s_cbranch_execz .LBB577_161
; %bb.160:
	s_waitcnt lgkmcnt(8)
	flat_store_short v[1:2], v19 offset:128
.LBB577_161:
	s_or_b32 exec_lo, exec_lo, s2
	v_or_b32_e32 v18, 0x80, v0
	s_mov_b32 s2, exec_lo
	v_cmpx_gt_u32_e64 s19, v18
	s_cbranch_execz .LBB577_163
; %bb.162:
	s_waitcnt lgkmcnt(7)
	flat_store_short v[1:2], v17 offset:256
.LBB577_163:
	s_or_b32 exec_lo, exec_lo, s2
	s_waitcnt lgkmcnt(7)
	v_or_b32_e32 v17, 0xc0, v0
	s_mov_b32 s2, exec_lo
	v_cmpx_gt_u32_e64 s19, v17
	s_cbranch_execz .LBB577_165
; %bb.164:
	s_waitcnt lgkmcnt(6)
	flat_store_short v[1:2], v16 offset:384
.LBB577_165:
	s_or_b32 exec_lo, exec_lo, s2
	s_waitcnt lgkmcnt(6)
	;; [unrolled: 10-line block ×6, first 2 shown]
	v_or_b32_e32 v12, 0x200, v0
	s_mov_b32 s2, exec_lo
	v_cmpx_gt_u32_e64 s19, v12
	s_cbranch_execz .LBB577_175
; %bb.174:
	s_waitcnt lgkmcnt(1)
	flat_store_short v[1:2], v11 offset:1024
.LBB577_175:
	s_or_b32 exec_lo, exec_lo, s2
	v_or_b32_e32 v1, 0x240, v0
	v_cmp_gt_u32_e64 s2, s19, v1
	s_branch .LBB577_178
.LBB577_176:
	s_mov_b32 s2, 0
                                        ; implicit-def: $vgpr10
	s_cbranch_execz .LBB577_178
; %bb.177:
	v_mul_u32_u24_e32 v1, 20, v0
	v_perm_b32 v2, v6, v5, 0x5040100
	v_perm_b32 v3, v4, v3, 0x5040100
	v_mul_i32_i24_e32 v6, 0xffffffee, v0
	v_perm_b32 v4, v25, v23, 0x5040100
	v_perm_b32 v5, v8, v7, 0x5040100
	s_waitcnt lgkmcnt(0)
	s_waitcnt_vscnt null, 0x0
	s_barrier
	v_perm_b32 v7, v26, v24, 0x5040100
	buffer_gl0_inv
	ds_write2_b32 v1, v3, v2 offset1:1
	ds_write2_b32 v1, v5, v4 offset0:2 offset1:3
	v_mad_u32_u24 v2, v0, 20, v6
	s_or_b32 s2, s2, exec_lo
	ds_write_b32 v1, v7 offset:16
	s_waitcnt lgkmcnt(0)
	s_barrier
	buffer_gl0_inv
	ds_read_u16 v3, v2
	ds_read_u16 v4, v2 offset:128
	ds_read_u16 v5, v2 offset:256
	;; [unrolled: 1-line block ×9, first 2 shown]
	v_add_co_u32 v1, s3, s0, v9
	v_add_co_ci_u32_e64 v2, null, s1, 0, s3
	s_waitcnt lgkmcnt(9)
	flat_store_short v[1:2], v3
	s_waitcnt lgkmcnt(9)
	flat_store_short v[1:2], v4 offset:128
	s_waitcnt lgkmcnt(9)
	flat_store_short v[1:2], v5 offset:256
	;; [unrolled: 2-line block ×8, first 2 shown]
.LBB577_178:
	s_and_saveexec_b32 s3, s2
	s_cbranch_execnz .LBB577_180
; %bb.179:
	s_endpgm
.LBB577_180:
	v_lshlrev_b32_e32 v0, 1, v0
	v_add_co_u32 v0, s0, s0, v0
	v_add_co_ci_u32_e64 v1, null, s1, 0, s0
	s_waitcnt lgkmcnt(0)
	flat_store_short v[0:1], v10 offset:1152
	s_endpgm
.LBB577_181:
	v_add_co_u32 v3, s9, s31, v14
	v_add_co_ci_u32_e64 v4, null, s33, 0, s9
	v_mov_b32_e32 v2, v1
	v_mov_b32_e32 v5, v1
	;; [unrolled: 1-line block ×3, first 2 shown]
	flat_load_short_d16 v2, v[3:4]
	v_mov_b32_e32 v3, v1
	v_mov_b32_e32 v4, v1
	s_waitcnt vmcnt(0) lgkmcnt(0)
	v_mov_b32_e32 v1, v2
	v_mov_b32_e32 v2, v3
	;; [unrolled: 1-line block ×8, first 2 shown]
	s_or_b32 exec_lo, exec_lo, s10
	s_and_saveexec_b32 s9, s8
	s_cbranch_execz .LBB577_25
.LBB577_182:
	v_add_co_u32 v6, s8, s31, v14
	v_add_co_ci_u32_e64 v7, null, s33, 0, s8
	flat_load_short_d16_hi v1, v[6:7] offset:128
	s_or_b32 exec_lo, exec_lo, s9
	s_and_saveexec_b32 s8, s7
	s_cbranch_execz .LBB577_26
.LBB577_183:
	v_add_co_u32 v6, s7, s31, v14
	v_add_co_ci_u32_e64 v7, null, s33, 0, s7
	flat_load_short_d16 v2, v[6:7] offset:256
	s_or_b32 exec_lo, exec_lo, s8
	s_and_saveexec_b32 s7, s5
	s_cbranch_execz .LBB577_27
.LBB577_184:
	v_add_co_u32 v6, s5, s31, v14
	v_add_co_ci_u32_e64 v7, null, s33, 0, s5
	s_waitcnt vmcnt(0) lgkmcnt(0)
	flat_load_short_d16_hi v2, v[6:7] offset:384
	s_or_b32 exec_lo, exec_lo, s7
	s_and_saveexec_b32 s5, s4
	s_cbranch_execz .LBB577_28
.LBB577_185:
	v_add_co_u32 v6, s4, s31, v14
	v_add_co_ci_u32_e64 v7, null, s33, 0, s4
	flat_load_short_d16 v3, v[6:7] offset:512
	s_or_b32 exec_lo, exec_lo, s5
	s_and_saveexec_b32 s4, s3
	s_cbranch_execz .LBB577_29
.LBB577_186:
	v_add_co_u32 v6, s3, s31, v14
	v_add_co_ci_u32_e64 v7, null, s33, 0, s3
	s_waitcnt vmcnt(0) lgkmcnt(0)
	flat_load_short_d16_hi v3, v[6:7] offset:640
	s_or_b32 exec_lo, exec_lo, s4
	s_and_saveexec_b32 s3, s2
	s_cbranch_execz .LBB577_30
.LBB577_187:
	v_add_co_u32 v6, s2, s31, v14
	v_add_co_ci_u32_e64 v7, null, s33, 0, s2
	flat_load_short_d16 v4, v[6:7] offset:768
	s_or_b32 exec_lo, exec_lo, s3
	s_and_saveexec_b32 s2, s1
	s_cbranch_execz .LBB577_31
.LBB577_188:
	v_add_co_u32 v6, s1, s31, v14
	v_add_co_ci_u32_e64 v7, null, s33, 0, s1
	s_waitcnt vmcnt(0) lgkmcnt(0)
	flat_load_short_d16_hi v4, v[6:7] offset:896
	s_or_b32 exec_lo, exec_lo, s2
	s_and_saveexec_b32 s1, s0
	s_cbranch_execz .LBB577_32
.LBB577_189:
	v_add_co_u32 v6, s0, s31, v14
	v_add_co_ci_u32_e64 v7, null, s33, 0, s0
	flat_load_short_d16 v5, v[6:7] offset:1024
	s_or_b32 exec_lo, exec_lo, s1
	v_mul_u32_u24_e32 v29, 10, v0
	s_and_saveexec_b32 s0, vcc_lo
	s_cbranch_execnz .LBB577_33
	s_branch .LBB577_34
	.section	.rodata,"a",@progbits
	.p2align	6, 0x0
	.amdhsa_kernel _ZN7rocprim17ROCPRIM_400000_NS6detail17trampoline_kernelINS0_14default_configENS1_27scan_by_key_config_selectorIssEEZZNS1_16scan_by_key_implILNS1_25lookback_scan_determinismE0ELb1ES3_N6thrust23THRUST_200600_302600_NS6detail15normal_iteratorINS9_10device_ptrIsEEEESE_SE_sNS9_4plusIvEENS9_8equal_toIvEEsEE10hipError_tPvRmT2_T3_T4_T5_mT6_T7_P12ihipStream_tbENKUlT_T0_E_clISt17integral_constantIbLb0EESZ_EEDaSU_SV_EUlSU_E_NS1_11comp_targetILNS1_3genE8ELNS1_11target_archE1030ELNS1_3gpuE2ELNS1_3repE0EEENS1_30default_config_static_selectorELNS0_4arch9wavefront6targetE0EEEvT1_
		.amdhsa_group_segment_fixed_size 1536
		.amdhsa_private_segment_fixed_size 0
		.amdhsa_kernarg_size 112
		.amdhsa_user_sgpr_count 6
		.amdhsa_user_sgpr_private_segment_buffer 1
		.amdhsa_user_sgpr_dispatch_ptr 0
		.amdhsa_user_sgpr_queue_ptr 0
		.amdhsa_user_sgpr_kernarg_segment_ptr 1
		.amdhsa_user_sgpr_dispatch_id 0
		.amdhsa_user_sgpr_flat_scratch_init 0
		.amdhsa_user_sgpr_private_segment_size 0
		.amdhsa_wavefront_size32 1
		.amdhsa_uses_dynamic_stack 0
		.amdhsa_system_sgpr_private_segment_wavefront_offset 0
		.amdhsa_system_sgpr_workgroup_id_x 1
		.amdhsa_system_sgpr_workgroup_id_y 0
		.amdhsa_system_sgpr_workgroup_id_z 0
		.amdhsa_system_sgpr_workgroup_info 0
		.amdhsa_system_vgpr_workitem_id 0
		.amdhsa_next_free_vgpr 42
		.amdhsa_next_free_sgpr 36
		.amdhsa_reserve_vcc 1
		.amdhsa_reserve_flat_scratch 1
		.amdhsa_float_round_mode_32 0
		.amdhsa_float_round_mode_16_64 0
		.amdhsa_float_denorm_mode_32 3
		.amdhsa_float_denorm_mode_16_64 3
		.amdhsa_dx10_clamp 1
		.amdhsa_ieee_mode 1
		.amdhsa_fp16_overflow 0
		.amdhsa_workgroup_processor_mode 1
		.amdhsa_memory_ordered 1
		.amdhsa_forward_progress 1
		.amdhsa_shared_vgpr_count 0
		.amdhsa_exception_fp_ieee_invalid_op 0
		.amdhsa_exception_fp_denorm_src 0
		.amdhsa_exception_fp_ieee_div_zero 0
		.amdhsa_exception_fp_ieee_overflow 0
		.amdhsa_exception_fp_ieee_underflow 0
		.amdhsa_exception_fp_ieee_inexact 0
		.amdhsa_exception_int_div_zero 0
	.end_amdhsa_kernel
	.section	.text._ZN7rocprim17ROCPRIM_400000_NS6detail17trampoline_kernelINS0_14default_configENS1_27scan_by_key_config_selectorIssEEZZNS1_16scan_by_key_implILNS1_25lookback_scan_determinismE0ELb1ES3_N6thrust23THRUST_200600_302600_NS6detail15normal_iteratorINS9_10device_ptrIsEEEESE_SE_sNS9_4plusIvEENS9_8equal_toIvEEsEE10hipError_tPvRmT2_T3_T4_T5_mT6_T7_P12ihipStream_tbENKUlT_T0_E_clISt17integral_constantIbLb0EESZ_EEDaSU_SV_EUlSU_E_NS1_11comp_targetILNS1_3genE8ELNS1_11target_archE1030ELNS1_3gpuE2ELNS1_3repE0EEENS1_30default_config_static_selectorELNS0_4arch9wavefront6targetE0EEEvT1_,"axG",@progbits,_ZN7rocprim17ROCPRIM_400000_NS6detail17trampoline_kernelINS0_14default_configENS1_27scan_by_key_config_selectorIssEEZZNS1_16scan_by_key_implILNS1_25lookback_scan_determinismE0ELb1ES3_N6thrust23THRUST_200600_302600_NS6detail15normal_iteratorINS9_10device_ptrIsEEEESE_SE_sNS9_4plusIvEENS9_8equal_toIvEEsEE10hipError_tPvRmT2_T3_T4_T5_mT6_T7_P12ihipStream_tbENKUlT_T0_E_clISt17integral_constantIbLb0EESZ_EEDaSU_SV_EUlSU_E_NS1_11comp_targetILNS1_3genE8ELNS1_11target_archE1030ELNS1_3gpuE2ELNS1_3repE0EEENS1_30default_config_static_selectorELNS0_4arch9wavefront6targetE0EEEvT1_,comdat
.Lfunc_end577:
	.size	_ZN7rocprim17ROCPRIM_400000_NS6detail17trampoline_kernelINS0_14default_configENS1_27scan_by_key_config_selectorIssEEZZNS1_16scan_by_key_implILNS1_25lookback_scan_determinismE0ELb1ES3_N6thrust23THRUST_200600_302600_NS6detail15normal_iteratorINS9_10device_ptrIsEEEESE_SE_sNS9_4plusIvEENS9_8equal_toIvEEsEE10hipError_tPvRmT2_T3_T4_T5_mT6_T7_P12ihipStream_tbENKUlT_T0_E_clISt17integral_constantIbLb0EESZ_EEDaSU_SV_EUlSU_E_NS1_11comp_targetILNS1_3genE8ELNS1_11target_archE1030ELNS1_3gpuE2ELNS1_3repE0EEENS1_30default_config_static_selectorELNS0_4arch9wavefront6targetE0EEEvT1_, .Lfunc_end577-_ZN7rocprim17ROCPRIM_400000_NS6detail17trampoline_kernelINS0_14default_configENS1_27scan_by_key_config_selectorIssEEZZNS1_16scan_by_key_implILNS1_25lookback_scan_determinismE0ELb1ES3_N6thrust23THRUST_200600_302600_NS6detail15normal_iteratorINS9_10device_ptrIsEEEESE_SE_sNS9_4plusIvEENS9_8equal_toIvEEsEE10hipError_tPvRmT2_T3_T4_T5_mT6_T7_P12ihipStream_tbENKUlT_T0_E_clISt17integral_constantIbLb0EESZ_EEDaSU_SV_EUlSU_E_NS1_11comp_targetILNS1_3genE8ELNS1_11target_archE1030ELNS1_3gpuE2ELNS1_3repE0EEENS1_30default_config_static_selectorELNS0_4arch9wavefront6targetE0EEEvT1_
                                        ; -- End function
	.set _ZN7rocprim17ROCPRIM_400000_NS6detail17trampoline_kernelINS0_14default_configENS1_27scan_by_key_config_selectorIssEEZZNS1_16scan_by_key_implILNS1_25lookback_scan_determinismE0ELb1ES3_N6thrust23THRUST_200600_302600_NS6detail15normal_iteratorINS9_10device_ptrIsEEEESE_SE_sNS9_4plusIvEENS9_8equal_toIvEEsEE10hipError_tPvRmT2_T3_T4_T5_mT6_T7_P12ihipStream_tbENKUlT_T0_E_clISt17integral_constantIbLb0EESZ_EEDaSU_SV_EUlSU_E_NS1_11comp_targetILNS1_3genE8ELNS1_11target_archE1030ELNS1_3gpuE2ELNS1_3repE0EEENS1_30default_config_static_selectorELNS0_4arch9wavefront6targetE0EEEvT1_.num_vgpr, 42
	.set _ZN7rocprim17ROCPRIM_400000_NS6detail17trampoline_kernelINS0_14default_configENS1_27scan_by_key_config_selectorIssEEZZNS1_16scan_by_key_implILNS1_25lookback_scan_determinismE0ELb1ES3_N6thrust23THRUST_200600_302600_NS6detail15normal_iteratorINS9_10device_ptrIsEEEESE_SE_sNS9_4plusIvEENS9_8equal_toIvEEsEE10hipError_tPvRmT2_T3_T4_T5_mT6_T7_P12ihipStream_tbENKUlT_T0_E_clISt17integral_constantIbLb0EESZ_EEDaSU_SV_EUlSU_E_NS1_11comp_targetILNS1_3genE8ELNS1_11target_archE1030ELNS1_3gpuE2ELNS1_3repE0EEENS1_30default_config_static_selectorELNS0_4arch9wavefront6targetE0EEEvT1_.num_agpr, 0
	.set _ZN7rocprim17ROCPRIM_400000_NS6detail17trampoline_kernelINS0_14default_configENS1_27scan_by_key_config_selectorIssEEZZNS1_16scan_by_key_implILNS1_25lookback_scan_determinismE0ELb1ES3_N6thrust23THRUST_200600_302600_NS6detail15normal_iteratorINS9_10device_ptrIsEEEESE_SE_sNS9_4plusIvEENS9_8equal_toIvEEsEE10hipError_tPvRmT2_T3_T4_T5_mT6_T7_P12ihipStream_tbENKUlT_T0_E_clISt17integral_constantIbLb0EESZ_EEDaSU_SV_EUlSU_E_NS1_11comp_targetILNS1_3genE8ELNS1_11target_archE1030ELNS1_3gpuE2ELNS1_3repE0EEENS1_30default_config_static_selectorELNS0_4arch9wavefront6targetE0EEEvT1_.numbered_sgpr, 36
	.set _ZN7rocprim17ROCPRIM_400000_NS6detail17trampoline_kernelINS0_14default_configENS1_27scan_by_key_config_selectorIssEEZZNS1_16scan_by_key_implILNS1_25lookback_scan_determinismE0ELb1ES3_N6thrust23THRUST_200600_302600_NS6detail15normal_iteratorINS9_10device_ptrIsEEEESE_SE_sNS9_4plusIvEENS9_8equal_toIvEEsEE10hipError_tPvRmT2_T3_T4_T5_mT6_T7_P12ihipStream_tbENKUlT_T0_E_clISt17integral_constantIbLb0EESZ_EEDaSU_SV_EUlSU_E_NS1_11comp_targetILNS1_3genE8ELNS1_11target_archE1030ELNS1_3gpuE2ELNS1_3repE0EEENS1_30default_config_static_selectorELNS0_4arch9wavefront6targetE0EEEvT1_.num_named_barrier, 0
	.set _ZN7rocprim17ROCPRIM_400000_NS6detail17trampoline_kernelINS0_14default_configENS1_27scan_by_key_config_selectorIssEEZZNS1_16scan_by_key_implILNS1_25lookback_scan_determinismE0ELb1ES3_N6thrust23THRUST_200600_302600_NS6detail15normal_iteratorINS9_10device_ptrIsEEEESE_SE_sNS9_4plusIvEENS9_8equal_toIvEEsEE10hipError_tPvRmT2_T3_T4_T5_mT6_T7_P12ihipStream_tbENKUlT_T0_E_clISt17integral_constantIbLb0EESZ_EEDaSU_SV_EUlSU_E_NS1_11comp_targetILNS1_3genE8ELNS1_11target_archE1030ELNS1_3gpuE2ELNS1_3repE0EEENS1_30default_config_static_selectorELNS0_4arch9wavefront6targetE0EEEvT1_.private_seg_size, 0
	.set _ZN7rocprim17ROCPRIM_400000_NS6detail17trampoline_kernelINS0_14default_configENS1_27scan_by_key_config_selectorIssEEZZNS1_16scan_by_key_implILNS1_25lookback_scan_determinismE0ELb1ES3_N6thrust23THRUST_200600_302600_NS6detail15normal_iteratorINS9_10device_ptrIsEEEESE_SE_sNS9_4plusIvEENS9_8equal_toIvEEsEE10hipError_tPvRmT2_T3_T4_T5_mT6_T7_P12ihipStream_tbENKUlT_T0_E_clISt17integral_constantIbLb0EESZ_EEDaSU_SV_EUlSU_E_NS1_11comp_targetILNS1_3genE8ELNS1_11target_archE1030ELNS1_3gpuE2ELNS1_3repE0EEENS1_30default_config_static_selectorELNS0_4arch9wavefront6targetE0EEEvT1_.uses_vcc, 1
	.set _ZN7rocprim17ROCPRIM_400000_NS6detail17trampoline_kernelINS0_14default_configENS1_27scan_by_key_config_selectorIssEEZZNS1_16scan_by_key_implILNS1_25lookback_scan_determinismE0ELb1ES3_N6thrust23THRUST_200600_302600_NS6detail15normal_iteratorINS9_10device_ptrIsEEEESE_SE_sNS9_4plusIvEENS9_8equal_toIvEEsEE10hipError_tPvRmT2_T3_T4_T5_mT6_T7_P12ihipStream_tbENKUlT_T0_E_clISt17integral_constantIbLb0EESZ_EEDaSU_SV_EUlSU_E_NS1_11comp_targetILNS1_3genE8ELNS1_11target_archE1030ELNS1_3gpuE2ELNS1_3repE0EEENS1_30default_config_static_selectorELNS0_4arch9wavefront6targetE0EEEvT1_.uses_flat_scratch, 1
	.set _ZN7rocprim17ROCPRIM_400000_NS6detail17trampoline_kernelINS0_14default_configENS1_27scan_by_key_config_selectorIssEEZZNS1_16scan_by_key_implILNS1_25lookback_scan_determinismE0ELb1ES3_N6thrust23THRUST_200600_302600_NS6detail15normal_iteratorINS9_10device_ptrIsEEEESE_SE_sNS9_4plusIvEENS9_8equal_toIvEEsEE10hipError_tPvRmT2_T3_T4_T5_mT6_T7_P12ihipStream_tbENKUlT_T0_E_clISt17integral_constantIbLb0EESZ_EEDaSU_SV_EUlSU_E_NS1_11comp_targetILNS1_3genE8ELNS1_11target_archE1030ELNS1_3gpuE2ELNS1_3repE0EEENS1_30default_config_static_selectorELNS0_4arch9wavefront6targetE0EEEvT1_.has_dyn_sized_stack, 0
	.set _ZN7rocprim17ROCPRIM_400000_NS6detail17trampoline_kernelINS0_14default_configENS1_27scan_by_key_config_selectorIssEEZZNS1_16scan_by_key_implILNS1_25lookback_scan_determinismE0ELb1ES3_N6thrust23THRUST_200600_302600_NS6detail15normal_iteratorINS9_10device_ptrIsEEEESE_SE_sNS9_4plusIvEENS9_8equal_toIvEEsEE10hipError_tPvRmT2_T3_T4_T5_mT6_T7_P12ihipStream_tbENKUlT_T0_E_clISt17integral_constantIbLb0EESZ_EEDaSU_SV_EUlSU_E_NS1_11comp_targetILNS1_3genE8ELNS1_11target_archE1030ELNS1_3gpuE2ELNS1_3repE0EEENS1_30default_config_static_selectorELNS0_4arch9wavefront6targetE0EEEvT1_.has_recursion, 0
	.set _ZN7rocprim17ROCPRIM_400000_NS6detail17trampoline_kernelINS0_14default_configENS1_27scan_by_key_config_selectorIssEEZZNS1_16scan_by_key_implILNS1_25lookback_scan_determinismE0ELb1ES3_N6thrust23THRUST_200600_302600_NS6detail15normal_iteratorINS9_10device_ptrIsEEEESE_SE_sNS9_4plusIvEENS9_8equal_toIvEEsEE10hipError_tPvRmT2_T3_T4_T5_mT6_T7_P12ihipStream_tbENKUlT_T0_E_clISt17integral_constantIbLb0EESZ_EEDaSU_SV_EUlSU_E_NS1_11comp_targetILNS1_3genE8ELNS1_11target_archE1030ELNS1_3gpuE2ELNS1_3repE0EEENS1_30default_config_static_selectorELNS0_4arch9wavefront6targetE0EEEvT1_.has_indirect_call, 0
	.section	.AMDGPU.csdata,"",@progbits
; Kernel info:
; codeLenInByte = 10296
; TotalNumSgprs: 38
; NumVgprs: 42
; ScratchSize: 0
; MemoryBound: 0
; FloatMode: 240
; IeeeMode: 1
; LDSByteSize: 1536 bytes/workgroup (compile time only)
; SGPRBlocks: 0
; VGPRBlocks: 5
; NumSGPRsForWavesPerEU: 38
; NumVGPRsForWavesPerEU: 42
; Occupancy: 16
; WaveLimiterHint : 1
; COMPUTE_PGM_RSRC2:SCRATCH_EN: 0
; COMPUTE_PGM_RSRC2:USER_SGPR: 6
; COMPUTE_PGM_RSRC2:TRAP_HANDLER: 0
; COMPUTE_PGM_RSRC2:TGID_X_EN: 1
; COMPUTE_PGM_RSRC2:TGID_Y_EN: 0
; COMPUTE_PGM_RSRC2:TGID_Z_EN: 0
; COMPUTE_PGM_RSRC2:TIDIG_COMP_CNT: 0
	.section	.text._ZN7rocprim17ROCPRIM_400000_NS6detail17trampoline_kernelINS0_14default_configENS1_27scan_by_key_config_selectorIssEEZZNS1_16scan_by_key_implILNS1_25lookback_scan_determinismE0ELb1ES3_N6thrust23THRUST_200600_302600_NS6detail15normal_iteratorINS9_10device_ptrIsEEEESE_SE_sNS9_4plusIvEENS9_8equal_toIvEEsEE10hipError_tPvRmT2_T3_T4_T5_mT6_T7_P12ihipStream_tbENKUlT_T0_E_clISt17integral_constantIbLb1EESZ_EEDaSU_SV_EUlSU_E_NS1_11comp_targetILNS1_3genE0ELNS1_11target_archE4294967295ELNS1_3gpuE0ELNS1_3repE0EEENS1_30default_config_static_selectorELNS0_4arch9wavefront6targetE0EEEvT1_,"axG",@progbits,_ZN7rocprim17ROCPRIM_400000_NS6detail17trampoline_kernelINS0_14default_configENS1_27scan_by_key_config_selectorIssEEZZNS1_16scan_by_key_implILNS1_25lookback_scan_determinismE0ELb1ES3_N6thrust23THRUST_200600_302600_NS6detail15normal_iteratorINS9_10device_ptrIsEEEESE_SE_sNS9_4plusIvEENS9_8equal_toIvEEsEE10hipError_tPvRmT2_T3_T4_T5_mT6_T7_P12ihipStream_tbENKUlT_T0_E_clISt17integral_constantIbLb1EESZ_EEDaSU_SV_EUlSU_E_NS1_11comp_targetILNS1_3genE0ELNS1_11target_archE4294967295ELNS1_3gpuE0ELNS1_3repE0EEENS1_30default_config_static_selectorELNS0_4arch9wavefront6targetE0EEEvT1_,comdat
	.protected	_ZN7rocprim17ROCPRIM_400000_NS6detail17trampoline_kernelINS0_14default_configENS1_27scan_by_key_config_selectorIssEEZZNS1_16scan_by_key_implILNS1_25lookback_scan_determinismE0ELb1ES3_N6thrust23THRUST_200600_302600_NS6detail15normal_iteratorINS9_10device_ptrIsEEEESE_SE_sNS9_4plusIvEENS9_8equal_toIvEEsEE10hipError_tPvRmT2_T3_T4_T5_mT6_T7_P12ihipStream_tbENKUlT_T0_E_clISt17integral_constantIbLb1EESZ_EEDaSU_SV_EUlSU_E_NS1_11comp_targetILNS1_3genE0ELNS1_11target_archE4294967295ELNS1_3gpuE0ELNS1_3repE0EEENS1_30default_config_static_selectorELNS0_4arch9wavefront6targetE0EEEvT1_ ; -- Begin function _ZN7rocprim17ROCPRIM_400000_NS6detail17trampoline_kernelINS0_14default_configENS1_27scan_by_key_config_selectorIssEEZZNS1_16scan_by_key_implILNS1_25lookback_scan_determinismE0ELb1ES3_N6thrust23THRUST_200600_302600_NS6detail15normal_iteratorINS9_10device_ptrIsEEEESE_SE_sNS9_4plusIvEENS9_8equal_toIvEEsEE10hipError_tPvRmT2_T3_T4_T5_mT6_T7_P12ihipStream_tbENKUlT_T0_E_clISt17integral_constantIbLb1EESZ_EEDaSU_SV_EUlSU_E_NS1_11comp_targetILNS1_3genE0ELNS1_11target_archE4294967295ELNS1_3gpuE0ELNS1_3repE0EEENS1_30default_config_static_selectorELNS0_4arch9wavefront6targetE0EEEvT1_
	.globl	_ZN7rocprim17ROCPRIM_400000_NS6detail17trampoline_kernelINS0_14default_configENS1_27scan_by_key_config_selectorIssEEZZNS1_16scan_by_key_implILNS1_25lookback_scan_determinismE0ELb1ES3_N6thrust23THRUST_200600_302600_NS6detail15normal_iteratorINS9_10device_ptrIsEEEESE_SE_sNS9_4plusIvEENS9_8equal_toIvEEsEE10hipError_tPvRmT2_T3_T4_T5_mT6_T7_P12ihipStream_tbENKUlT_T0_E_clISt17integral_constantIbLb1EESZ_EEDaSU_SV_EUlSU_E_NS1_11comp_targetILNS1_3genE0ELNS1_11target_archE4294967295ELNS1_3gpuE0ELNS1_3repE0EEENS1_30default_config_static_selectorELNS0_4arch9wavefront6targetE0EEEvT1_
	.p2align	8
	.type	_ZN7rocprim17ROCPRIM_400000_NS6detail17trampoline_kernelINS0_14default_configENS1_27scan_by_key_config_selectorIssEEZZNS1_16scan_by_key_implILNS1_25lookback_scan_determinismE0ELb1ES3_N6thrust23THRUST_200600_302600_NS6detail15normal_iteratorINS9_10device_ptrIsEEEESE_SE_sNS9_4plusIvEENS9_8equal_toIvEEsEE10hipError_tPvRmT2_T3_T4_T5_mT6_T7_P12ihipStream_tbENKUlT_T0_E_clISt17integral_constantIbLb1EESZ_EEDaSU_SV_EUlSU_E_NS1_11comp_targetILNS1_3genE0ELNS1_11target_archE4294967295ELNS1_3gpuE0ELNS1_3repE0EEENS1_30default_config_static_selectorELNS0_4arch9wavefront6targetE0EEEvT1_,@function
_ZN7rocprim17ROCPRIM_400000_NS6detail17trampoline_kernelINS0_14default_configENS1_27scan_by_key_config_selectorIssEEZZNS1_16scan_by_key_implILNS1_25lookback_scan_determinismE0ELb1ES3_N6thrust23THRUST_200600_302600_NS6detail15normal_iteratorINS9_10device_ptrIsEEEESE_SE_sNS9_4plusIvEENS9_8equal_toIvEEsEE10hipError_tPvRmT2_T3_T4_T5_mT6_T7_P12ihipStream_tbENKUlT_T0_E_clISt17integral_constantIbLb1EESZ_EEDaSU_SV_EUlSU_E_NS1_11comp_targetILNS1_3genE0ELNS1_11target_archE4294967295ELNS1_3gpuE0ELNS1_3repE0EEENS1_30default_config_static_selectorELNS0_4arch9wavefront6targetE0EEEvT1_: ; @_ZN7rocprim17ROCPRIM_400000_NS6detail17trampoline_kernelINS0_14default_configENS1_27scan_by_key_config_selectorIssEEZZNS1_16scan_by_key_implILNS1_25lookback_scan_determinismE0ELb1ES3_N6thrust23THRUST_200600_302600_NS6detail15normal_iteratorINS9_10device_ptrIsEEEESE_SE_sNS9_4plusIvEENS9_8equal_toIvEEsEE10hipError_tPvRmT2_T3_T4_T5_mT6_T7_P12ihipStream_tbENKUlT_T0_E_clISt17integral_constantIbLb1EESZ_EEDaSU_SV_EUlSU_E_NS1_11comp_targetILNS1_3genE0ELNS1_11target_archE4294967295ELNS1_3gpuE0ELNS1_3repE0EEENS1_30default_config_static_selectorELNS0_4arch9wavefront6targetE0EEEvT1_
; %bb.0:
	.section	.rodata,"a",@progbits
	.p2align	6, 0x0
	.amdhsa_kernel _ZN7rocprim17ROCPRIM_400000_NS6detail17trampoline_kernelINS0_14default_configENS1_27scan_by_key_config_selectorIssEEZZNS1_16scan_by_key_implILNS1_25lookback_scan_determinismE0ELb1ES3_N6thrust23THRUST_200600_302600_NS6detail15normal_iteratorINS9_10device_ptrIsEEEESE_SE_sNS9_4plusIvEENS9_8equal_toIvEEsEE10hipError_tPvRmT2_T3_T4_T5_mT6_T7_P12ihipStream_tbENKUlT_T0_E_clISt17integral_constantIbLb1EESZ_EEDaSU_SV_EUlSU_E_NS1_11comp_targetILNS1_3genE0ELNS1_11target_archE4294967295ELNS1_3gpuE0ELNS1_3repE0EEENS1_30default_config_static_selectorELNS0_4arch9wavefront6targetE0EEEvT1_
		.amdhsa_group_segment_fixed_size 0
		.amdhsa_private_segment_fixed_size 0
		.amdhsa_kernarg_size 112
		.amdhsa_user_sgpr_count 6
		.amdhsa_user_sgpr_private_segment_buffer 1
		.amdhsa_user_sgpr_dispatch_ptr 0
		.amdhsa_user_sgpr_queue_ptr 0
		.amdhsa_user_sgpr_kernarg_segment_ptr 1
		.amdhsa_user_sgpr_dispatch_id 0
		.amdhsa_user_sgpr_flat_scratch_init 0
		.amdhsa_user_sgpr_private_segment_size 0
		.amdhsa_wavefront_size32 1
		.amdhsa_uses_dynamic_stack 0
		.amdhsa_system_sgpr_private_segment_wavefront_offset 0
		.amdhsa_system_sgpr_workgroup_id_x 1
		.amdhsa_system_sgpr_workgroup_id_y 0
		.amdhsa_system_sgpr_workgroup_id_z 0
		.amdhsa_system_sgpr_workgroup_info 0
		.amdhsa_system_vgpr_workitem_id 0
		.amdhsa_next_free_vgpr 1
		.amdhsa_next_free_sgpr 1
		.amdhsa_reserve_vcc 0
		.amdhsa_reserve_flat_scratch 0
		.amdhsa_float_round_mode_32 0
		.amdhsa_float_round_mode_16_64 0
		.amdhsa_float_denorm_mode_32 3
		.amdhsa_float_denorm_mode_16_64 3
		.amdhsa_dx10_clamp 1
		.amdhsa_ieee_mode 1
		.amdhsa_fp16_overflow 0
		.amdhsa_workgroup_processor_mode 1
		.amdhsa_memory_ordered 1
		.amdhsa_forward_progress 1
		.amdhsa_shared_vgpr_count 0
		.amdhsa_exception_fp_ieee_invalid_op 0
		.amdhsa_exception_fp_denorm_src 0
		.amdhsa_exception_fp_ieee_div_zero 0
		.amdhsa_exception_fp_ieee_overflow 0
		.amdhsa_exception_fp_ieee_underflow 0
		.amdhsa_exception_fp_ieee_inexact 0
		.amdhsa_exception_int_div_zero 0
	.end_amdhsa_kernel
	.section	.text._ZN7rocprim17ROCPRIM_400000_NS6detail17trampoline_kernelINS0_14default_configENS1_27scan_by_key_config_selectorIssEEZZNS1_16scan_by_key_implILNS1_25lookback_scan_determinismE0ELb1ES3_N6thrust23THRUST_200600_302600_NS6detail15normal_iteratorINS9_10device_ptrIsEEEESE_SE_sNS9_4plusIvEENS9_8equal_toIvEEsEE10hipError_tPvRmT2_T3_T4_T5_mT6_T7_P12ihipStream_tbENKUlT_T0_E_clISt17integral_constantIbLb1EESZ_EEDaSU_SV_EUlSU_E_NS1_11comp_targetILNS1_3genE0ELNS1_11target_archE4294967295ELNS1_3gpuE0ELNS1_3repE0EEENS1_30default_config_static_selectorELNS0_4arch9wavefront6targetE0EEEvT1_,"axG",@progbits,_ZN7rocprim17ROCPRIM_400000_NS6detail17trampoline_kernelINS0_14default_configENS1_27scan_by_key_config_selectorIssEEZZNS1_16scan_by_key_implILNS1_25lookback_scan_determinismE0ELb1ES3_N6thrust23THRUST_200600_302600_NS6detail15normal_iteratorINS9_10device_ptrIsEEEESE_SE_sNS9_4plusIvEENS9_8equal_toIvEEsEE10hipError_tPvRmT2_T3_T4_T5_mT6_T7_P12ihipStream_tbENKUlT_T0_E_clISt17integral_constantIbLb1EESZ_EEDaSU_SV_EUlSU_E_NS1_11comp_targetILNS1_3genE0ELNS1_11target_archE4294967295ELNS1_3gpuE0ELNS1_3repE0EEENS1_30default_config_static_selectorELNS0_4arch9wavefront6targetE0EEEvT1_,comdat
.Lfunc_end578:
	.size	_ZN7rocprim17ROCPRIM_400000_NS6detail17trampoline_kernelINS0_14default_configENS1_27scan_by_key_config_selectorIssEEZZNS1_16scan_by_key_implILNS1_25lookback_scan_determinismE0ELb1ES3_N6thrust23THRUST_200600_302600_NS6detail15normal_iteratorINS9_10device_ptrIsEEEESE_SE_sNS9_4plusIvEENS9_8equal_toIvEEsEE10hipError_tPvRmT2_T3_T4_T5_mT6_T7_P12ihipStream_tbENKUlT_T0_E_clISt17integral_constantIbLb1EESZ_EEDaSU_SV_EUlSU_E_NS1_11comp_targetILNS1_3genE0ELNS1_11target_archE4294967295ELNS1_3gpuE0ELNS1_3repE0EEENS1_30default_config_static_selectorELNS0_4arch9wavefront6targetE0EEEvT1_, .Lfunc_end578-_ZN7rocprim17ROCPRIM_400000_NS6detail17trampoline_kernelINS0_14default_configENS1_27scan_by_key_config_selectorIssEEZZNS1_16scan_by_key_implILNS1_25lookback_scan_determinismE0ELb1ES3_N6thrust23THRUST_200600_302600_NS6detail15normal_iteratorINS9_10device_ptrIsEEEESE_SE_sNS9_4plusIvEENS9_8equal_toIvEEsEE10hipError_tPvRmT2_T3_T4_T5_mT6_T7_P12ihipStream_tbENKUlT_T0_E_clISt17integral_constantIbLb1EESZ_EEDaSU_SV_EUlSU_E_NS1_11comp_targetILNS1_3genE0ELNS1_11target_archE4294967295ELNS1_3gpuE0ELNS1_3repE0EEENS1_30default_config_static_selectorELNS0_4arch9wavefront6targetE0EEEvT1_
                                        ; -- End function
	.set _ZN7rocprim17ROCPRIM_400000_NS6detail17trampoline_kernelINS0_14default_configENS1_27scan_by_key_config_selectorIssEEZZNS1_16scan_by_key_implILNS1_25lookback_scan_determinismE0ELb1ES3_N6thrust23THRUST_200600_302600_NS6detail15normal_iteratorINS9_10device_ptrIsEEEESE_SE_sNS9_4plusIvEENS9_8equal_toIvEEsEE10hipError_tPvRmT2_T3_T4_T5_mT6_T7_P12ihipStream_tbENKUlT_T0_E_clISt17integral_constantIbLb1EESZ_EEDaSU_SV_EUlSU_E_NS1_11comp_targetILNS1_3genE0ELNS1_11target_archE4294967295ELNS1_3gpuE0ELNS1_3repE0EEENS1_30default_config_static_selectorELNS0_4arch9wavefront6targetE0EEEvT1_.num_vgpr, 0
	.set _ZN7rocprim17ROCPRIM_400000_NS6detail17trampoline_kernelINS0_14default_configENS1_27scan_by_key_config_selectorIssEEZZNS1_16scan_by_key_implILNS1_25lookback_scan_determinismE0ELb1ES3_N6thrust23THRUST_200600_302600_NS6detail15normal_iteratorINS9_10device_ptrIsEEEESE_SE_sNS9_4plusIvEENS9_8equal_toIvEEsEE10hipError_tPvRmT2_T3_T4_T5_mT6_T7_P12ihipStream_tbENKUlT_T0_E_clISt17integral_constantIbLb1EESZ_EEDaSU_SV_EUlSU_E_NS1_11comp_targetILNS1_3genE0ELNS1_11target_archE4294967295ELNS1_3gpuE0ELNS1_3repE0EEENS1_30default_config_static_selectorELNS0_4arch9wavefront6targetE0EEEvT1_.num_agpr, 0
	.set _ZN7rocprim17ROCPRIM_400000_NS6detail17trampoline_kernelINS0_14default_configENS1_27scan_by_key_config_selectorIssEEZZNS1_16scan_by_key_implILNS1_25lookback_scan_determinismE0ELb1ES3_N6thrust23THRUST_200600_302600_NS6detail15normal_iteratorINS9_10device_ptrIsEEEESE_SE_sNS9_4plusIvEENS9_8equal_toIvEEsEE10hipError_tPvRmT2_T3_T4_T5_mT6_T7_P12ihipStream_tbENKUlT_T0_E_clISt17integral_constantIbLb1EESZ_EEDaSU_SV_EUlSU_E_NS1_11comp_targetILNS1_3genE0ELNS1_11target_archE4294967295ELNS1_3gpuE0ELNS1_3repE0EEENS1_30default_config_static_selectorELNS0_4arch9wavefront6targetE0EEEvT1_.numbered_sgpr, 0
	.set _ZN7rocprim17ROCPRIM_400000_NS6detail17trampoline_kernelINS0_14default_configENS1_27scan_by_key_config_selectorIssEEZZNS1_16scan_by_key_implILNS1_25lookback_scan_determinismE0ELb1ES3_N6thrust23THRUST_200600_302600_NS6detail15normal_iteratorINS9_10device_ptrIsEEEESE_SE_sNS9_4plusIvEENS9_8equal_toIvEEsEE10hipError_tPvRmT2_T3_T4_T5_mT6_T7_P12ihipStream_tbENKUlT_T0_E_clISt17integral_constantIbLb1EESZ_EEDaSU_SV_EUlSU_E_NS1_11comp_targetILNS1_3genE0ELNS1_11target_archE4294967295ELNS1_3gpuE0ELNS1_3repE0EEENS1_30default_config_static_selectorELNS0_4arch9wavefront6targetE0EEEvT1_.num_named_barrier, 0
	.set _ZN7rocprim17ROCPRIM_400000_NS6detail17trampoline_kernelINS0_14default_configENS1_27scan_by_key_config_selectorIssEEZZNS1_16scan_by_key_implILNS1_25lookback_scan_determinismE0ELb1ES3_N6thrust23THRUST_200600_302600_NS6detail15normal_iteratorINS9_10device_ptrIsEEEESE_SE_sNS9_4plusIvEENS9_8equal_toIvEEsEE10hipError_tPvRmT2_T3_T4_T5_mT6_T7_P12ihipStream_tbENKUlT_T0_E_clISt17integral_constantIbLb1EESZ_EEDaSU_SV_EUlSU_E_NS1_11comp_targetILNS1_3genE0ELNS1_11target_archE4294967295ELNS1_3gpuE0ELNS1_3repE0EEENS1_30default_config_static_selectorELNS0_4arch9wavefront6targetE0EEEvT1_.private_seg_size, 0
	.set _ZN7rocprim17ROCPRIM_400000_NS6detail17trampoline_kernelINS0_14default_configENS1_27scan_by_key_config_selectorIssEEZZNS1_16scan_by_key_implILNS1_25lookback_scan_determinismE0ELb1ES3_N6thrust23THRUST_200600_302600_NS6detail15normal_iteratorINS9_10device_ptrIsEEEESE_SE_sNS9_4plusIvEENS9_8equal_toIvEEsEE10hipError_tPvRmT2_T3_T4_T5_mT6_T7_P12ihipStream_tbENKUlT_T0_E_clISt17integral_constantIbLb1EESZ_EEDaSU_SV_EUlSU_E_NS1_11comp_targetILNS1_3genE0ELNS1_11target_archE4294967295ELNS1_3gpuE0ELNS1_3repE0EEENS1_30default_config_static_selectorELNS0_4arch9wavefront6targetE0EEEvT1_.uses_vcc, 0
	.set _ZN7rocprim17ROCPRIM_400000_NS6detail17trampoline_kernelINS0_14default_configENS1_27scan_by_key_config_selectorIssEEZZNS1_16scan_by_key_implILNS1_25lookback_scan_determinismE0ELb1ES3_N6thrust23THRUST_200600_302600_NS6detail15normal_iteratorINS9_10device_ptrIsEEEESE_SE_sNS9_4plusIvEENS9_8equal_toIvEEsEE10hipError_tPvRmT2_T3_T4_T5_mT6_T7_P12ihipStream_tbENKUlT_T0_E_clISt17integral_constantIbLb1EESZ_EEDaSU_SV_EUlSU_E_NS1_11comp_targetILNS1_3genE0ELNS1_11target_archE4294967295ELNS1_3gpuE0ELNS1_3repE0EEENS1_30default_config_static_selectorELNS0_4arch9wavefront6targetE0EEEvT1_.uses_flat_scratch, 0
	.set _ZN7rocprim17ROCPRIM_400000_NS6detail17trampoline_kernelINS0_14default_configENS1_27scan_by_key_config_selectorIssEEZZNS1_16scan_by_key_implILNS1_25lookback_scan_determinismE0ELb1ES3_N6thrust23THRUST_200600_302600_NS6detail15normal_iteratorINS9_10device_ptrIsEEEESE_SE_sNS9_4plusIvEENS9_8equal_toIvEEsEE10hipError_tPvRmT2_T3_T4_T5_mT6_T7_P12ihipStream_tbENKUlT_T0_E_clISt17integral_constantIbLb1EESZ_EEDaSU_SV_EUlSU_E_NS1_11comp_targetILNS1_3genE0ELNS1_11target_archE4294967295ELNS1_3gpuE0ELNS1_3repE0EEENS1_30default_config_static_selectorELNS0_4arch9wavefront6targetE0EEEvT1_.has_dyn_sized_stack, 0
	.set _ZN7rocprim17ROCPRIM_400000_NS6detail17trampoline_kernelINS0_14default_configENS1_27scan_by_key_config_selectorIssEEZZNS1_16scan_by_key_implILNS1_25lookback_scan_determinismE0ELb1ES3_N6thrust23THRUST_200600_302600_NS6detail15normal_iteratorINS9_10device_ptrIsEEEESE_SE_sNS9_4plusIvEENS9_8equal_toIvEEsEE10hipError_tPvRmT2_T3_T4_T5_mT6_T7_P12ihipStream_tbENKUlT_T0_E_clISt17integral_constantIbLb1EESZ_EEDaSU_SV_EUlSU_E_NS1_11comp_targetILNS1_3genE0ELNS1_11target_archE4294967295ELNS1_3gpuE0ELNS1_3repE0EEENS1_30default_config_static_selectorELNS0_4arch9wavefront6targetE0EEEvT1_.has_recursion, 0
	.set _ZN7rocprim17ROCPRIM_400000_NS6detail17trampoline_kernelINS0_14default_configENS1_27scan_by_key_config_selectorIssEEZZNS1_16scan_by_key_implILNS1_25lookback_scan_determinismE0ELb1ES3_N6thrust23THRUST_200600_302600_NS6detail15normal_iteratorINS9_10device_ptrIsEEEESE_SE_sNS9_4plusIvEENS9_8equal_toIvEEsEE10hipError_tPvRmT2_T3_T4_T5_mT6_T7_P12ihipStream_tbENKUlT_T0_E_clISt17integral_constantIbLb1EESZ_EEDaSU_SV_EUlSU_E_NS1_11comp_targetILNS1_3genE0ELNS1_11target_archE4294967295ELNS1_3gpuE0ELNS1_3repE0EEENS1_30default_config_static_selectorELNS0_4arch9wavefront6targetE0EEEvT1_.has_indirect_call, 0
	.section	.AMDGPU.csdata,"",@progbits
; Kernel info:
; codeLenInByte = 0
; TotalNumSgprs: 0
; NumVgprs: 0
; ScratchSize: 0
; MemoryBound: 0
; FloatMode: 240
; IeeeMode: 1
; LDSByteSize: 0 bytes/workgroup (compile time only)
; SGPRBlocks: 0
; VGPRBlocks: 0
; NumSGPRsForWavesPerEU: 1
; NumVGPRsForWavesPerEU: 1
; Occupancy: 16
; WaveLimiterHint : 0
; COMPUTE_PGM_RSRC2:SCRATCH_EN: 0
; COMPUTE_PGM_RSRC2:USER_SGPR: 6
; COMPUTE_PGM_RSRC2:TRAP_HANDLER: 0
; COMPUTE_PGM_RSRC2:TGID_X_EN: 1
; COMPUTE_PGM_RSRC2:TGID_Y_EN: 0
; COMPUTE_PGM_RSRC2:TGID_Z_EN: 0
; COMPUTE_PGM_RSRC2:TIDIG_COMP_CNT: 0
	.section	.text._ZN7rocprim17ROCPRIM_400000_NS6detail17trampoline_kernelINS0_14default_configENS1_27scan_by_key_config_selectorIssEEZZNS1_16scan_by_key_implILNS1_25lookback_scan_determinismE0ELb1ES3_N6thrust23THRUST_200600_302600_NS6detail15normal_iteratorINS9_10device_ptrIsEEEESE_SE_sNS9_4plusIvEENS9_8equal_toIvEEsEE10hipError_tPvRmT2_T3_T4_T5_mT6_T7_P12ihipStream_tbENKUlT_T0_E_clISt17integral_constantIbLb1EESZ_EEDaSU_SV_EUlSU_E_NS1_11comp_targetILNS1_3genE10ELNS1_11target_archE1201ELNS1_3gpuE5ELNS1_3repE0EEENS1_30default_config_static_selectorELNS0_4arch9wavefront6targetE0EEEvT1_,"axG",@progbits,_ZN7rocprim17ROCPRIM_400000_NS6detail17trampoline_kernelINS0_14default_configENS1_27scan_by_key_config_selectorIssEEZZNS1_16scan_by_key_implILNS1_25lookback_scan_determinismE0ELb1ES3_N6thrust23THRUST_200600_302600_NS6detail15normal_iteratorINS9_10device_ptrIsEEEESE_SE_sNS9_4plusIvEENS9_8equal_toIvEEsEE10hipError_tPvRmT2_T3_T4_T5_mT6_T7_P12ihipStream_tbENKUlT_T0_E_clISt17integral_constantIbLb1EESZ_EEDaSU_SV_EUlSU_E_NS1_11comp_targetILNS1_3genE10ELNS1_11target_archE1201ELNS1_3gpuE5ELNS1_3repE0EEENS1_30default_config_static_selectorELNS0_4arch9wavefront6targetE0EEEvT1_,comdat
	.protected	_ZN7rocprim17ROCPRIM_400000_NS6detail17trampoline_kernelINS0_14default_configENS1_27scan_by_key_config_selectorIssEEZZNS1_16scan_by_key_implILNS1_25lookback_scan_determinismE0ELb1ES3_N6thrust23THRUST_200600_302600_NS6detail15normal_iteratorINS9_10device_ptrIsEEEESE_SE_sNS9_4plusIvEENS9_8equal_toIvEEsEE10hipError_tPvRmT2_T3_T4_T5_mT6_T7_P12ihipStream_tbENKUlT_T0_E_clISt17integral_constantIbLb1EESZ_EEDaSU_SV_EUlSU_E_NS1_11comp_targetILNS1_3genE10ELNS1_11target_archE1201ELNS1_3gpuE5ELNS1_3repE0EEENS1_30default_config_static_selectorELNS0_4arch9wavefront6targetE0EEEvT1_ ; -- Begin function _ZN7rocprim17ROCPRIM_400000_NS6detail17trampoline_kernelINS0_14default_configENS1_27scan_by_key_config_selectorIssEEZZNS1_16scan_by_key_implILNS1_25lookback_scan_determinismE0ELb1ES3_N6thrust23THRUST_200600_302600_NS6detail15normal_iteratorINS9_10device_ptrIsEEEESE_SE_sNS9_4plusIvEENS9_8equal_toIvEEsEE10hipError_tPvRmT2_T3_T4_T5_mT6_T7_P12ihipStream_tbENKUlT_T0_E_clISt17integral_constantIbLb1EESZ_EEDaSU_SV_EUlSU_E_NS1_11comp_targetILNS1_3genE10ELNS1_11target_archE1201ELNS1_3gpuE5ELNS1_3repE0EEENS1_30default_config_static_selectorELNS0_4arch9wavefront6targetE0EEEvT1_
	.globl	_ZN7rocprim17ROCPRIM_400000_NS6detail17trampoline_kernelINS0_14default_configENS1_27scan_by_key_config_selectorIssEEZZNS1_16scan_by_key_implILNS1_25lookback_scan_determinismE0ELb1ES3_N6thrust23THRUST_200600_302600_NS6detail15normal_iteratorINS9_10device_ptrIsEEEESE_SE_sNS9_4plusIvEENS9_8equal_toIvEEsEE10hipError_tPvRmT2_T3_T4_T5_mT6_T7_P12ihipStream_tbENKUlT_T0_E_clISt17integral_constantIbLb1EESZ_EEDaSU_SV_EUlSU_E_NS1_11comp_targetILNS1_3genE10ELNS1_11target_archE1201ELNS1_3gpuE5ELNS1_3repE0EEENS1_30default_config_static_selectorELNS0_4arch9wavefront6targetE0EEEvT1_
	.p2align	8
	.type	_ZN7rocprim17ROCPRIM_400000_NS6detail17trampoline_kernelINS0_14default_configENS1_27scan_by_key_config_selectorIssEEZZNS1_16scan_by_key_implILNS1_25lookback_scan_determinismE0ELb1ES3_N6thrust23THRUST_200600_302600_NS6detail15normal_iteratorINS9_10device_ptrIsEEEESE_SE_sNS9_4plusIvEENS9_8equal_toIvEEsEE10hipError_tPvRmT2_T3_T4_T5_mT6_T7_P12ihipStream_tbENKUlT_T0_E_clISt17integral_constantIbLb1EESZ_EEDaSU_SV_EUlSU_E_NS1_11comp_targetILNS1_3genE10ELNS1_11target_archE1201ELNS1_3gpuE5ELNS1_3repE0EEENS1_30default_config_static_selectorELNS0_4arch9wavefront6targetE0EEEvT1_,@function
_ZN7rocprim17ROCPRIM_400000_NS6detail17trampoline_kernelINS0_14default_configENS1_27scan_by_key_config_selectorIssEEZZNS1_16scan_by_key_implILNS1_25lookback_scan_determinismE0ELb1ES3_N6thrust23THRUST_200600_302600_NS6detail15normal_iteratorINS9_10device_ptrIsEEEESE_SE_sNS9_4plusIvEENS9_8equal_toIvEEsEE10hipError_tPvRmT2_T3_T4_T5_mT6_T7_P12ihipStream_tbENKUlT_T0_E_clISt17integral_constantIbLb1EESZ_EEDaSU_SV_EUlSU_E_NS1_11comp_targetILNS1_3genE10ELNS1_11target_archE1201ELNS1_3gpuE5ELNS1_3repE0EEENS1_30default_config_static_selectorELNS0_4arch9wavefront6targetE0EEEvT1_: ; @_ZN7rocprim17ROCPRIM_400000_NS6detail17trampoline_kernelINS0_14default_configENS1_27scan_by_key_config_selectorIssEEZZNS1_16scan_by_key_implILNS1_25lookback_scan_determinismE0ELb1ES3_N6thrust23THRUST_200600_302600_NS6detail15normal_iteratorINS9_10device_ptrIsEEEESE_SE_sNS9_4plusIvEENS9_8equal_toIvEEsEE10hipError_tPvRmT2_T3_T4_T5_mT6_T7_P12ihipStream_tbENKUlT_T0_E_clISt17integral_constantIbLb1EESZ_EEDaSU_SV_EUlSU_E_NS1_11comp_targetILNS1_3genE10ELNS1_11target_archE1201ELNS1_3gpuE5ELNS1_3repE0EEENS1_30default_config_static_selectorELNS0_4arch9wavefront6targetE0EEEvT1_
; %bb.0:
	.section	.rodata,"a",@progbits
	.p2align	6, 0x0
	.amdhsa_kernel _ZN7rocprim17ROCPRIM_400000_NS6detail17trampoline_kernelINS0_14default_configENS1_27scan_by_key_config_selectorIssEEZZNS1_16scan_by_key_implILNS1_25lookback_scan_determinismE0ELb1ES3_N6thrust23THRUST_200600_302600_NS6detail15normal_iteratorINS9_10device_ptrIsEEEESE_SE_sNS9_4plusIvEENS9_8equal_toIvEEsEE10hipError_tPvRmT2_T3_T4_T5_mT6_T7_P12ihipStream_tbENKUlT_T0_E_clISt17integral_constantIbLb1EESZ_EEDaSU_SV_EUlSU_E_NS1_11comp_targetILNS1_3genE10ELNS1_11target_archE1201ELNS1_3gpuE5ELNS1_3repE0EEENS1_30default_config_static_selectorELNS0_4arch9wavefront6targetE0EEEvT1_
		.amdhsa_group_segment_fixed_size 0
		.amdhsa_private_segment_fixed_size 0
		.amdhsa_kernarg_size 112
		.amdhsa_user_sgpr_count 6
		.amdhsa_user_sgpr_private_segment_buffer 1
		.amdhsa_user_sgpr_dispatch_ptr 0
		.amdhsa_user_sgpr_queue_ptr 0
		.amdhsa_user_sgpr_kernarg_segment_ptr 1
		.amdhsa_user_sgpr_dispatch_id 0
		.amdhsa_user_sgpr_flat_scratch_init 0
		.amdhsa_user_sgpr_private_segment_size 0
		.amdhsa_wavefront_size32 1
		.amdhsa_uses_dynamic_stack 0
		.amdhsa_system_sgpr_private_segment_wavefront_offset 0
		.amdhsa_system_sgpr_workgroup_id_x 1
		.amdhsa_system_sgpr_workgroup_id_y 0
		.amdhsa_system_sgpr_workgroup_id_z 0
		.amdhsa_system_sgpr_workgroup_info 0
		.amdhsa_system_vgpr_workitem_id 0
		.amdhsa_next_free_vgpr 1
		.amdhsa_next_free_sgpr 1
		.amdhsa_reserve_vcc 0
		.amdhsa_reserve_flat_scratch 0
		.amdhsa_float_round_mode_32 0
		.amdhsa_float_round_mode_16_64 0
		.amdhsa_float_denorm_mode_32 3
		.amdhsa_float_denorm_mode_16_64 3
		.amdhsa_dx10_clamp 1
		.amdhsa_ieee_mode 1
		.amdhsa_fp16_overflow 0
		.amdhsa_workgroup_processor_mode 1
		.amdhsa_memory_ordered 1
		.amdhsa_forward_progress 1
		.amdhsa_shared_vgpr_count 0
		.amdhsa_exception_fp_ieee_invalid_op 0
		.amdhsa_exception_fp_denorm_src 0
		.amdhsa_exception_fp_ieee_div_zero 0
		.amdhsa_exception_fp_ieee_overflow 0
		.amdhsa_exception_fp_ieee_underflow 0
		.amdhsa_exception_fp_ieee_inexact 0
		.amdhsa_exception_int_div_zero 0
	.end_amdhsa_kernel
	.section	.text._ZN7rocprim17ROCPRIM_400000_NS6detail17trampoline_kernelINS0_14default_configENS1_27scan_by_key_config_selectorIssEEZZNS1_16scan_by_key_implILNS1_25lookback_scan_determinismE0ELb1ES3_N6thrust23THRUST_200600_302600_NS6detail15normal_iteratorINS9_10device_ptrIsEEEESE_SE_sNS9_4plusIvEENS9_8equal_toIvEEsEE10hipError_tPvRmT2_T3_T4_T5_mT6_T7_P12ihipStream_tbENKUlT_T0_E_clISt17integral_constantIbLb1EESZ_EEDaSU_SV_EUlSU_E_NS1_11comp_targetILNS1_3genE10ELNS1_11target_archE1201ELNS1_3gpuE5ELNS1_3repE0EEENS1_30default_config_static_selectorELNS0_4arch9wavefront6targetE0EEEvT1_,"axG",@progbits,_ZN7rocprim17ROCPRIM_400000_NS6detail17trampoline_kernelINS0_14default_configENS1_27scan_by_key_config_selectorIssEEZZNS1_16scan_by_key_implILNS1_25lookback_scan_determinismE0ELb1ES3_N6thrust23THRUST_200600_302600_NS6detail15normal_iteratorINS9_10device_ptrIsEEEESE_SE_sNS9_4plusIvEENS9_8equal_toIvEEsEE10hipError_tPvRmT2_T3_T4_T5_mT6_T7_P12ihipStream_tbENKUlT_T0_E_clISt17integral_constantIbLb1EESZ_EEDaSU_SV_EUlSU_E_NS1_11comp_targetILNS1_3genE10ELNS1_11target_archE1201ELNS1_3gpuE5ELNS1_3repE0EEENS1_30default_config_static_selectorELNS0_4arch9wavefront6targetE0EEEvT1_,comdat
.Lfunc_end579:
	.size	_ZN7rocprim17ROCPRIM_400000_NS6detail17trampoline_kernelINS0_14default_configENS1_27scan_by_key_config_selectorIssEEZZNS1_16scan_by_key_implILNS1_25lookback_scan_determinismE0ELb1ES3_N6thrust23THRUST_200600_302600_NS6detail15normal_iteratorINS9_10device_ptrIsEEEESE_SE_sNS9_4plusIvEENS9_8equal_toIvEEsEE10hipError_tPvRmT2_T3_T4_T5_mT6_T7_P12ihipStream_tbENKUlT_T0_E_clISt17integral_constantIbLb1EESZ_EEDaSU_SV_EUlSU_E_NS1_11comp_targetILNS1_3genE10ELNS1_11target_archE1201ELNS1_3gpuE5ELNS1_3repE0EEENS1_30default_config_static_selectorELNS0_4arch9wavefront6targetE0EEEvT1_, .Lfunc_end579-_ZN7rocprim17ROCPRIM_400000_NS6detail17trampoline_kernelINS0_14default_configENS1_27scan_by_key_config_selectorIssEEZZNS1_16scan_by_key_implILNS1_25lookback_scan_determinismE0ELb1ES3_N6thrust23THRUST_200600_302600_NS6detail15normal_iteratorINS9_10device_ptrIsEEEESE_SE_sNS9_4plusIvEENS9_8equal_toIvEEsEE10hipError_tPvRmT2_T3_T4_T5_mT6_T7_P12ihipStream_tbENKUlT_T0_E_clISt17integral_constantIbLb1EESZ_EEDaSU_SV_EUlSU_E_NS1_11comp_targetILNS1_3genE10ELNS1_11target_archE1201ELNS1_3gpuE5ELNS1_3repE0EEENS1_30default_config_static_selectorELNS0_4arch9wavefront6targetE0EEEvT1_
                                        ; -- End function
	.set _ZN7rocprim17ROCPRIM_400000_NS6detail17trampoline_kernelINS0_14default_configENS1_27scan_by_key_config_selectorIssEEZZNS1_16scan_by_key_implILNS1_25lookback_scan_determinismE0ELb1ES3_N6thrust23THRUST_200600_302600_NS6detail15normal_iteratorINS9_10device_ptrIsEEEESE_SE_sNS9_4plusIvEENS9_8equal_toIvEEsEE10hipError_tPvRmT2_T3_T4_T5_mT6_T7_P12ihipStream_tbENKUlT_T0_E_clISt17integral_constantIbLb1EESZ_EEDaSU_SV_EUlSU_E_NS1_11comp_targetILNS1_3genE10ELNS1_11target_archE1201ELNS1_3gpuE5ELNS1_3repE0EEENS1_30default_config_static_selectorELNS0_4arch9wavefront6targetE0EEEvT1_.num_vgpr, 0
	.set _ZN7rocprim17ROCPRIM_400000_NS6detail17trampoline_kernelINS0_14default_configENS1_27scan_by_key_config_selectorIssEEZZNS1_16scan_by_key_implILNS1_25lookback_scan_determinismE0ELb1ES3_N6thrust23THRUST_200600_302600_NS6detail15normal_iteratorINS9_10device_ptrIsEEEESE_SE_sNS9_4plusIvEENS9_8equal_toIvEEsEE10hipError_tPvRmT2_T3_T4_T5_mT6_T7_P12ihipStream_tbENKUlT_T0_E_clISt17integral_constantIbLb1EESZ_EEDaSU_SV_EUlSU_E_NS1_11comp_targetILNS1_3genE10ELNS1_11target_archE1201ELNS1_3gpuE5ELNS1_3repE0EEENS1_30default_config_static_selectorELNS0_4arch9wavefront6targetE0EEEvT1_.num_agpr, 0
	.set _ZN7rocprim17ROCPRIM_400000_NS6detail17trampoline_kernelINS0_14default_configENS1_27scan_by_key_config_selectorIssEEZZNS1_16scan_by_key_implILNS1_25lookback_scan_determinismE0ELb1ES3_N6thrust23THRUST_200600_302600_NS6detail15normal_iteratorINS9_10device_ptrIsEEEESE_SE_sNS9_4plusIvEENS9_8equal_toIvEEsEE10hipError_tPvRmT2_T3_T4_T5_mT6_T7_P12ihipStream_tbENKUlT_T0_E_clISt17integral_constantIbLb1EESZ_EEDaSU_SV_EUlSU_E_NS1_11comp_targetILNS1_3genE10ELNS1_11target_archE1201ELNS1_3gpuE5ELNS1_3repE0EEENS1_30default_config_static_selectorELNS0_4arch9wavefront6targetE0EEEvT1_.numbered_sgpr, 0
	.set _ZN7rocprim17ROCPRIM_400000_NS6detail17trampoline_kernelINS0_14default_configENS1_27scan_by_key_config_selectorIssEEZZNS1_16scan_by_key_implILNS1_25lookback_scan_determinismE0ELb1ES3_N6thrust23THRUST_200600_302600_NS6detail15normal_iteratorINS9_10device_ptrIsEEEESE_SE_sNS9_4plusIvEENS9_8equal_toIvEEsEE10hipError_tPvRmT2_T3_T4_T5_mT6_T7_P12ihipStream_tbENKUlT_T0_E_clISt17integral_constantIbLb1EESZ_EEDaSU_SV_EUlSU_E_NS1_11comp_targetILNS1_3genE10ELNS1_11target_archE1201ELNS1_3gpuE5ELNS1_3repE0EEENS1_30default_config_static_selectorELNS0_4arch9wavefront6targetE0EEEvT1_.num_named_barrier, 0
	.set _ZN7rocprim17ROCPRIM_400000_NS6detail17trampoline_kernelINS0_14default_configENS1_27scan_by_key_config_selectorIssEEZZNS1_16scan_by_key_implILNS1_25lookback_scan_determinismE0ELb1ES3_N6thrust23THRUST_200600_302600_NS6detail15normal_iteratorINS9_10device_ptrIsEEEESE_SE_sNS9_4plusIvEENS9_8equal_toIvEEsEE10hipError_tPvRmT2_T3_T4_T5_mT6_T7_P12ihipStream_tbENKUlT_T0_E_clISt17integral_constantIbLb1EESZ_EEDaSU_SV_EUlSU_E_NS1_11comp_targetILNS1_3genE10ELNS1_11target_archE1201ELNS1_3gpuE5ELNS1_3repE0EEENS1_30default_config_static_selectorELNS0_4arch9wavefront6targetE0EEEvT1_.private_seg_size, 0
	.set _ZN7rocprim17ROCPRIM_400000_NS6detail17trampoline_kernelINS0_14default_configENS1_27scan_by_key_config_selectorIssEEZZNS1_16scan_by_key_implILNS1_25lookback_scan_determinismE0ELb1ES3_N6thrust23THRUST_200600_302600_NS6detail15normal_iteratorINS9_10device_ptrIsEEEESE_SE_sNS9_4plusIvEENS9_8equal_toIvEEsEE10hipError_tPvRmT2_T3_T4_T5_mT6_T7_P12ihipStream_tbENKUlT_T0_E_clISt17integral_constantIbLb1EESZ_EEDaSU_SV_EUlSU_E_NS1_11comp_targetILNS1_3genE10ELNS1_11target_archE1201ELNS1_3gpuE5ELNS1_3repE0EEENS1_30default_config_static_selectorELNS0_4arch9wavefront6targetE0EEEvT1_.uses_vcc, 0
	.set _ZN7rocprim17ROCPRIM_400000_NS6detail17trampoline_kernelINS0_14default_configENS1_27scan_by_key_config_selectorIssEEZZNS1_16scan_by_key_implILNS1_25lookback_scan_determinismE0ELb1ES3_N6thrust23THRUST_200600_302600_NS6detail15normal_iteratorINS9_10device_ptrIsEEEESE_SE_sNS9_4plusIvEENS9_8equal_toIvEEsEE10hipError_tPvRmT2_T3_T4_T5_mT6_T7_P12ihipStream_tbENKUlT_T0_E_clISt17integral_constantIbLb1EESZ_EEDaSU_SV_EUlSU_E_NS1_11comp_targetILNS1_3genE10ELNS1_11target_archE1201ELNS1_3gpuE5ELNS1_3repE0EEENS1_30default_config_static_selectorELNS0_4arch9wavefront6targetE0EEEvT1_.uses_flat_scratch, 0
	.set _ZN7rocprim17ROCPRIM_400000_NS6detail17trampoline_kernelINS0_14default_configENS1_27scan_by_key_config_selectorIssEEZZNS1_16scan_by_key_implILNS1_25lookback_scan_determinismE0ELb1ES3_N6thrust23THRUST_200600_302600_NS6detail15normal_iteratorINS9_10device_ptrIsEEEESE_SE_sNS9_4plusIvEENS9_8equal_toIvEEsEE10hipError_tPvRmT2_T3_T4_T5_mT6_T7_P12ihipStream_tbENKUlT_T0_E_clISt17integral_constantIbLb1EESZ_EEDaSU_SV_EUlSU_E_NS1_11comp_targetILNS1_3genE10ELNS1_11target_archE1201ELNS1_3gpuE5ELNS1_3repE0EEENS1_30default_config_static_selectorELNS0_4arch9wavefront6targetE0EEEvT1_.has_dyn_sized_stack, 0
	.set _ZN7rocprim17ROCPRIM_400000_NS6detail17trampoline_kernelINS0_14default_configENS1_27scan_by_key_config_selectorIssEEZZNS1_16scan_by_key_implILNS1_25lookback_scan_determinismE0ELb1ES3_N6thrust23THRUST_200600_302600_NS6detail15normal_iteratorINS9_10device_ptrIsEEEESE_SE_sNS9_4plusIvEENS9_8equal_toIvEEsEE10hipError_tPvRmT2_T3_T4_T5_mT6_T7_P12ihipStream_tbENKUlT_T0_E_clISt17integral_constantIbLb1EESZ_EEDaSU_SV_EUlSU_E_NS1_11comp_targetILNS1_3genE10ELNS1_11target_archE1201ELNS1_3gpuE5ELNS1_3repE0EEENS1_30default_config_static_selectorELNS0_4arch9wavefront6targetE0EEEvT1_.has_recursion, 0
	.set _ZN7rocprim17ROCPRIM_400000_NS6detail17trampoline_kernelINS0_14default_configENS1_27scan_by_key_config_selectorIssEEZZNS1_16scan_by_key_implILNS1_25lookback_scan_determinismE0ELb1ES3_N6thrust23THRUST_200600_302600_NS6detail15normal_iteratorINS9_10device_ptrIsEEEESE_SE_sNS9_4plusIvEENS9_8equal_toIvEEsEE10hipError_tPvRmT2_T3_T4_T5_mT6_T7_P12ihipStream_tbENKUlT_T0_E_clISt17integral_constantIbLb1EESZ_EEDaSU_SV_EUlSU_E_NS1_11comp_targetILNS1_3genE10ELNS1_11target_archE1201ELNS1_3gpuE5ELNS1_3repE0EEENS1_30default_config_static_selectorELNS0_4arch9wavefront6targetE0EEEvT1_.has_indirect_call, 0
	.section	.AMDGPU.csdata,"",@progbits
; Kernel info:
; codeLenInByte = 0
; TotalNumSgprs: 0
; NumVgprs: 0
; ScratchSize: 0
; MemoryBound: 0
; FloatMode: 240
; IeeeMode: 1
; LDSByteSize: 0 bytes/workgroup (compile time only)
; SGPRBlocks: 0
; VGPRBlocks: 0
; NumSGPRsForWavesPerEU: 1
; NumVGPRsForWavesPerEU: 1
; Occupancy: 16
; WaveLimiterHint : 0
; COMPUTE_PGM_RSRC2:SCRATCH_EN: 0
; COMPUTE_PGM_RSRC2:USER_SGPR: 6
; COMPUTE_PGM_RSRC2:TRAP_HANDLER: 0
; COMPUTE_PGM_RSRC2:TGID_X_EN: 1
; COMPUTE_PGM_RSRC2:TGID_Y_EN: 0
; COMPUTE_PGM_RSRC2:TGID_Z_EN: 0
; COMPUTE_PGM_RSRC2:TIDIG_COMP_CNT: 0
	.section	.text._ZN7rocprim17ROCPRIM_400000_NS6detail17trampoline_kernelINS0_14default_configENS1_27scan_by_key_config_selectorIssEEZZNS1_16scan_by_key_implILNS1_25lookback_scan_determinismE0ELb1ES3_N6thrust23THRUST_200600_302600_NS6detail15normal_iteratorINS9_10device_ptrIsEEEESE_SE_sNS9_4plusIvEENS9_8equal_toIvEEsEE10hipError_tPvRmT2_T3_T4_T5_mT6_T7_P12ihipStream_tbENKUlT_T0_E_clISt17integral_constantIbLb1EESZ_EEDaSU_SV_EUlSU_E_NS1_11comp_targetILNS1_3genE5ELNS1_11target_archE942ELNS1_3gpuE9ELNS1_3repE0EEENS1_30default_config_static_selectorELNS0_4arch9wavefront6targetE0EEEvT1_,"axG",@progbits,_ZN7rocprim17ROCPRIM_400000_NS6detail17trampoline_kernelINS0_14default_configENS1_27scan_by_key_config_selectorIssEEZZNS1_16scan_by_key_implILNS1_25lookback_scan_determinismE0ELb1ES3_N6thrust23THRUST_200600_302600_NS6detail15normal_iteratorINS9_10device_ptrIsEEEESE_SE_sNS9_4plusIvEENS9_8equal_toIvEEsEE10hipError_tPvRmT2_T3_T4_T5_mT6_T7_P12ihipStream_tbENKUlT_T0_E_clISt17integral_constantIbLb1EESZ_EEDaSU_SV_EUlSU_E_NS1_11comp_targetILNS1_3genE5ELNS1_11target_archE942ELNS1_3gpuE9ELNS1_3repE0EEENS1_30default_config_static_selectorELNS0_4arch9wavefront6targetE0EEEvT1_,comdat
	.protected	_ZN7rocprim17ROCPRIM_400000_NS6detail17trampoline_kernelINS0_14default_configENS1_27scan_by_key_config_selectorIssEEZZNS1_16scan_by_key_implILNS1_25lookback_scan_determinismE0ELb1ES3_N6thrust23THRUST_200600_302600_NS6detail15normal_iteratorINS9_10device_ptrIsEEEESE_SE_sNS9_4plusIvEENS9_8equal_toIvEEsEE10hipError_tPvRmT2_T3_T4_T5_mT6_T7_P12ihipStream_tbENKUlT_T0_E_clISt17integral_constantIbLb1EESZ_EEDaSU_SV_EUlSU_E_NS1_11comp_targetILNS1_3genE5ELNS1_11target_archE942ELNS1_3gpuE9ELNS1_3repE0EEENS1_30default_config_static_selectorELNS0_4arch9wavefront6targetE0EEEvT1_ ; -- Begin function _ZN7rocprim17ROCPRIM_400000_NS6detail17trampoline_kernelINS0_14default_configENS1_27scan_by_key_config_selectorIssEEZZNS1_16scan_by_key_implILNS1_25lookback_scan_determinismE0ELb1ES3_N6thrust23THRUST_200600_302600_NS6detail15normal_iteratorINS9_10device_ptrIsEEEESE_SE_sNS9_4plusIvEENS9_8equal_toIvEEsEE10hipError_tPvRmT2_T3_T4_T5_mT6_T7_P12ihipStream_tbENKUlT_T0_E_clISt17integral_constantIbLb1EESZ_EEDaSU_SV_EUlSU_E_NS1_11comp_targetILNS1_3genE5ELNS1_11target_archE942ELNS1_3gpuE9ELNS1_3repE0EEENS1_30default_config_static_selectorELNS0_4arch9wavefront6targetE0EEEvT1_
	.globl	_ZN7rocprim17ROCPRIM_400000_NS6detail17trampoline_kernelINS0_14default_configENS1_27scan_by_key_config_selectorIssEEZZNS1_16scan_by_key_implILNS1_25lookback_scan_determinismE0ELb1ES3_N6thrust23THRUST_200600_302600_NS6detail15normal_iteratorINS9_10device_ptrIsEEEESE_SE_sNS9_4plusIvEENS9_8equal_toIvEEsEE10hipError_tPvRmT2_T3_T4_T5_mT6_T7_P12ihipStream_tbENKUlT_T0_E_clISt17integral_constantIbLb1EESZ_EEDaSU_SV_EUlSU_E_NS1_11comp_targetILNS1_3genE5ELNS1_11target_archE942ELNS1_3gpuE9ELNS1_3repE0EEENS1_30default_config_static_selectorELNS0_4arch9wavefront6targetE0EEEvT1_
	.p2align	8
	.type	_ZN7rocprim17ROCPRIM_400000_NS6detail17trampoline_kernelINS0_14default_configENS1_27scan_by_key_config_selectorIssEEZZNS1_16scan_by_key_implILNS1_25lookback_scan_determinismE0ELb1ES3_N6thrust23THRUST_200600_302600_NS6detail15normal_iteratorINS9_10device_ptrIsEEEESE_SE_sNS9_4plusIvEENS9_8equal_toIvEEsEE10hipError_tPvRmT2_T3_T4_T5_mT6_T7_P12ihipStream_tbENKUlT_T0_E_clISt17integral_constantIbLb1EESZ_EEDaSU_SV_EUlSU_E_NS1_11comp_targetILNS1_3genE5ELNS1_11target_archE942ELNS1_3gpuE9ELNS1_3repE0EEENS1_30default_config_static_selectorELNS0_4arch9wavefront6targetE0EEEvT1_,@function
_ZN7rocprim17ROCPRIM_400000_NS6detail17trampoline_kernelINS0_14default_configENS1_27scan_by_key_config_selectorIssEEZZNS1_16scan_by_key_implILNS1_25lookback_scan_determinismE0ELb1ES3_N6thrust23THRUST_200600_302600_NS6detail15normal_iteratorINS9_10device_ptrIsEEEESE_SE_sNS9_4plusIvEENS9_8equal_toIvEEsEE10hipError_tPvRmT2_T3_T4_T5_mT6_T7_P12ihipStream_tbENKUlT_T0_E_clISt17integral_constantIbLb1EESZ_EEDaSU_SV_EUlSU_E_NS1_11comp_targetILNS1_3genE5ELNS1_11target_archE942ELNS1_3gpuE9ELNS1_3repE0EEENS1_30default_config_static_selectorELNS0_4arch9wavefront6targetE0EEEvT1_: ; @_ZN7rocprim17ROCPRIM_400000_NS6detail17trampoline_kernelINS0_14default_configENS1_27scan_by_key_config_selectorIssEEZZNS1_16scan_by_key_implILNS1_25lookback_scan_determinismE0ELb1ES3_N6thrust23THRUST_200600_302600_NS6detail15normal_iteratorINS9_10device_ptrIsEEEESE_SE_sNS9_4plusIvEENS9_8equal_toIvEEsEE10hipError_tPvRmT2_T3_T4_T5_mT6_T7_P12ihipStream_tbENKUlT_T0_E_clISt17integral_constantIbLb1EESZ_EEDaSU_SV_EUlSU_E_NS1_11comp_targetILNS1_3genE5ELNS1_11target_archE942ELNS1_3gpuE9ELNS1_3repE0EEENS1_30default_config_static_selectorELNS0_4arch9wavefront6targetE0EEEvT1_
; %bb.0:
	.section	.rodata,"a",@progbits
	.p2align	6, 0x0
	.amdhsa_kernel _ZN7rocprim17ROCPRIM_400000_NS6detail17trampoline_kernelINS0_14default_configENS1_27scan_by_key_config_selectorIssEEZZNS1_16scan_by_key_implILNS1_25lookback_scan_determinismE0ELb1ES3_N6thrust23THRUST_200600_302600_NS6detail15normal_iteratorINS9_10device_ptrIsEEEESE_SE_sNS9_4plusIvEENS9_8equal_toIvEEsEE10hipError_tPvRmT2_T3_T4_T5_mT6_T7_P12ihipStream_tbENKUlT_T0_E_clISt17integral_constantIbLb1EESZ_EEDaSU_SV_EUlSU_E_NS1_11comp_targetILNS1_3genE5ELNS1_11target_archE942ELNS1_3gpuE9ELNS1_3repE0EEENS1_30default_config_static_selectorELNS0_4arch9wavefront6targetE0EEEvT1_
		.amdhsa_group_segment_fixed_size 0
		.amdhsa_private_segment_fixed_size 0
		.amdhsa_kernarg_size 112
		.amdhsa_user_sgpr_count 6
		.amdhsa_user_sgpr_private_segment_buffer 1
		.amdhsa_user_sgpr_dispatch_ptr 0
		.amdhsa_user_sgpr_queue_ptr 0
		.amdhsa_user_sgpr_kernarg_segment_ptr 1
		.amdhsa_user_sgpr_dispatch_id 0
		.amdhsa_user_sgpr_flat_scratch_init 0
		.amdhsa_user_sgpr_private_segment_size 0
		.amdhsa_wavefront_size32 1
		.amdhsa_uses_dynamic_stack 0
		.amdhsa_system_sgpr_private_segment_wavefront_offset 0
		.amdhsa_system_sgpr_workgroup_id_x 1
		.amdhsa_system_sgpr_workgroup_id_y 0
		.amdhsa_system_sgpr_workgroup_id_z 0
		.amdhsa_system_sgpr_workgroup_info 0
		.amdhsa_system_vgpr_workitem_id 0
		.amdhsa_next_free_vgpr 1
		.amdhsa_next_free_sgpr 1
		.amdhsa_reserve_vcc 0
		.amdhsa_reserve_flat_scratch 0
		.amdhsa_float_round_mode_32 0
		.amdhsa_float_round_mode_16_64 0
		.amdhsa_float_denorm_mode_32 3
		.amdhsa_float_denorm_mode_16_64 3
		.amdhsa_dx10_clamp 1
		.amdhsa_ieee_mode 1
		.amdhsa_fp16_overflow 0
		.amdhsa_workgroup_processor_mode 1
		.amdhsa_memory_ordered 1
		.amdhsa_forward_progress 1
		.amdhsa_shared_vgpr_count 0
		.amdhsa_exception_fp_ieee_invalid_op 0
		.amdhsa_exception_fp_denorm_src 0
		.amdhsa_exception_fp_ieee_div_zero 0
		.amdhsa_exception_fp_ieee_overflow 0
		.amdhsa_exception_fp_ieee_underflow 0
		.amdhsa_exception_fp_ieee_inexact 0
		.amdhsa_exception_int_div_zero 0
	.end_amdhsa_kernel
	.section	.text._ZN7rocprim17ROCPRIM_400000_NS6detail17trampoline_kernelINS0_14default_configENS1_27scan_by_key_config_selectorIssEEZZNS1_16scan_by_key_implILNS1_25lookback_scan_determinismE0ELb1ES3_N6thrust23THRUST_200600_302600_NS6detail15normal_iteratorINS9_10device_ptrIsEEEESE_SE_sNS9_4plusIvEENS9_8equal_toIvEEsEE10hipError_tPvRmT2_T3_T4_T5_mT6_T7_P12ihipStream_tbENKUlT_T0_E_clISt17integral_constantIbLb1EESZ_EEDaSU_SV_EUlSU_E_NS1_11comp_targetILNS1_3genE5ELNS1_11target_archE942ELNS1_3gpuE9ELNS1_3repE0EEENS1_30default_config_static_selectorELNS0_4arch9wavefront6targetE0EEEvT1_,"axG",@progbits,_ZN7rocprim17ROCPRIM_400000_NS6detail17trampoline_kernelINS0_14default_configENS1_27scan_by_key_config_selectorIssEEZZNS1_16scan_by_key_implILNS1_25lookback_scan_determinismE0ELb1ES3_N6thrust23THRUST_200600_302600_NS6detail15normal_iteratorINS9_10device_ptrIsEEEESE_SE_sNS9_4plusIvEENS9_8equal_toIvEEsEE10hipError_tPvRmT2_T3_T4_T5_mT6_T7_P12ihipStream_tbENKUlT_T0_E_clISt17integral_constantIbLb1EESZ_EEDaSU_SV_EUlSU_E_NS1_11comp_targetILNS1_3genE5ELNS1_11target_archE942ELNS1_3gpuE9ELNS1_3repE0EEENS1_30default_config_static_selectorELNS0_4arch9wavefront6targetE0EEEvT1_,comdat
.Lfunc_end580:
	.size	_ZN7rocprim17ROCPRIM_400000_NS6detail17trampoline_kernelINS0_14default_configENS1_27scan_by_key_config_selectorIssEEZZNS1_16scan_by_key_implILNS1_25lookback_scan_determinismE0ELb1ES3_N6thrust23THRUST_200600_302600_NS6detail15normal_iteratorINS9_10device_ptrIsEEEESE_SE_sNS9_4plusIvEENS9_8equal_toIvEEsEE10hipError_tPvRmT2_T3_T4_T5_mT6_T7_P12ihipStream_tbENKUlT_T0_E_clISt17integral_constantIbLb1EESZ_EEDaSU_SV_EUlSU_E_NS1_11comp_targetILNS1_3genE5ELNS1_11target_archE942ELNS1_3gpuE9ELNS1_3repE0EEENS1_30default_config_static_selectorELNS0_4arch9wavefront6targetE0EEEvT1_, .Lfunc_end580-_ZN7rocprim17ROCPRIM_400000_NS6detail17trampoline_kernelINS0_14default_configENS1_27scan_by_key_config_selectorIssEEZZNS1_16scan_by_key_implILNS1_25lookback_scan_determinismE0ELb1ES3_N6thrust23THRUST_200600_302600_NS6detail15normal_iteratorINS9_10device_ptrIsEEEESE_SE_sNS9_4plusIvEENS9_8equal_toIvEEsEE10hipError_tPvRmT2_T3_T4_T5_mT6_T7_P12ihipStream_tbENKUlT_T0_E_clISt17integral_constantIbLb1EESZ_EEDaSU_SV_EUlSU_E_NS1_11comp_targetILNS1_3genE5ELNS1_11target_archE942ELNS1_3gpuE9ELNS1_3repE0EEENS1_30default_config_static_selectorELNS0_4arch9wavefront6targetE0EEEvT1_
                                        ; -- End function
	.set _ZN7rocprim17ROCPRIM_400000_NS6detail17trampoline_kernelINS0_14default_configENS1_27scan_by_key_config_selectorIssEEZZNS1_16scan_by_key_implILNS1_25lookback_scan_determinismE0ELb1ES3_N6thrust23THRUST_200600_302600_NS6detail15normal_iteratorINS9_10device_ptrIsEEEESE_SE_sNS9_4plusIvEENS9_8equal_toIvEEsEE10hipError_tPvRmT2_T3_T4_T5_mT6_T7_P12ihipStream_tbENKUlT_T0_E_clISt17integral_constantIbLb1EESZ_EEDaSU_SV_EUlSU_E_NS1_11comp_targetILNS1_3genE5ELNS1_11target_archE942ELNS1_3gpuE9ELNS1_3repE0EEENS1_30default_config_static_selectorELNS0_4arch9wavefront6targetE0EEEvT1_.num_vgpr, 0
	.set _ZN7rocprim17ROCPRIM_400000_NS6detail17trampoline_kernelINS0_14default_configENS1_27scan_by_key_config_selectorIssEEZZNS1_16scan_by_key_implILNS1_25lookback_scan_determinismE0ELb1ES3_N6thrust23THRUST_200600_302600_NS6detail15normal_iteratorINS9_10device_ptrIsEEEESE_SE_sNS9_4plusIvEENS9_8equal_toIvEEsEE10hipError_tPvRmT2_T3_T4_T5_mT6_T7_P12ihipStream_tbENKUlT_T0_E_clISt17integral_constantIbLb1EESZ_EEDaSU_SV_EUlSU_E_NS1_11comp_targetILNS1_3genE5ELNS1_11target_archE942ELNS1_3gpuE9ELNS1_3repE0EEENS1_30default_config_static_selectorELNS0_4arch9wavefront6targetE0EEEvT1_.num_agpr, 0
	.set _ZN7rocprim17ROCPRIM_400000_NS6detail17trampoline_kernelINS0_14default_configENS1_27scan_by_key_config_selectorIssEEZZNS1_16scan_by_key_implILNS1_25lookback_scan_determinismE0ELb1ES3_N6thrust23THRUST_200600_302600_NS6detail15normal_iteratorINS9_10device_ptrIsEEEESE_SE_sNS9_4plusIvEENS9_8equal_toIvEEsEE10hipError_tPvRmT2_T3_T4_T5_mT6_T7_P12ihipStream_tbENKUlT_T0_E_clISt17integral_constantIbLb1EESZ_EEDaSU_SV_EUlSU_E_NS1_11comp_targetILNS1_3genE5ELNS1_11target_archE942ELNS1_3gpuE9ELNS1_3repE0EEENS1_30default_config_static_selectorELNS0_4arch9wavefront6targetE0EEEvT1_.numbered_sgpr, 0
	.set _ZN7rocprim17ROCPRIM_400000_NS6detail17trampoline_kernelINS0_14default_configENS1_27scan_by_key_config_selectorIssEEZZNS1_16scan_by_key_implILNS1_25lookback_scan_determinismE0ELb1ES3_N6thrust23THRUST_200600_302600_NS6detail15normal_iteratorINS9_10device_ptrIsEEEESE_SE_sNS9_4plusIvEENS9_8equal_toIvEEsEE10hipError_tPvRmT2_T3_T4_T5_mT6_T7_P12ihipStream_tbENKUlT_T0_E_clISt17integral_constantIbLb1EESZ_EEDaSU_SV_EUlSU_E_NS1_11comp_targetILNS1_3genE5ELNS1_11target_archE942ELNS1_3gpuE9ELNS1_3repE0EEENS1_30default_config_static_selectorELNS0_4arch9wavefront6targetE0EEEvT1_.num_named_barrier, 0
	.set _ZN7rocprim17ROCPRIM_400000_NS6detail17trampoline_kernelINS0_14default_configENS1_27scan_by_key_config_selectorIssEEZZNS1_16scan_by_key_implILNS1_25lookback_scan_determinismE0ELb1ES3_N6thrust23THRUST_200600_302600_NS6detail15normal_iteratorINS9_10device_ptrIsEEEESE_SE_sNS9_4plusIvEENS9_8equal_toIvEEsEE10hipError_tPvRmT2_T3_T4_T5_mT6_T7_P12ihipStream_tbENKUlT_T0_E_clISt17integral_constantIbLb1EESZ_EEDaSU_SV_EUlSU_E_NS1_11comp_targetILNS1_3genE5ELNS1_11target_archE942ELNS1_3gpuE9ELNS1_3repE0EEENS1_30default_config_static_selectorELNS0_4arch9wavefront6targetE0EEEvT1_.private_seg_size, 0
	.set _ZN7rocprim17ROCPRIM_400000_NS6detail17trampoline_kernelINS0_14default_configENS1_27scan_by_key_config_selectorIssEEZZNS1_16scan_by_key_implILNS1_25lookback_scan_determinismE0ELb1ES3_N6thrust23THRUST_200600_302600_NS6detail15normal_iteratorINS9_10device_ptrIsEEEESE_SE_sNS9_4plusIvEENS9_8equal_toIvEEsEE10hipError_tPvRmT2_T3_T4_T5_mT6_T7_P12ihipStream_tbENKUlT_T0_E_clISt17integral_constantIbLb1EESZ_EEDaSU_SV_EUlSU_E_NS1_11comp_targetILNS1_3genE5ELNS1_11target_archE942ELNS1_3gpuE9ELNS1_3repE0EEENS1_30default_config_static_selectorELNS0_4arch9wavefront6targetE0EEEvT1_.uses_vcc, 0
	.set _ZN7rocprim17ROCPRIM_400000_NS6detail17trampoline_kernelINS0_14default_configENS1_27scan_by_key_config_selectorIssEEZZNS1_16scan_by_key_implILNS1_25lookback_scan_determinismE0ELb1ES3_N6thrust23THRUST_200600_302600_NS6detail15normal_iteratorINS9_10device_ptrIsEEEESE_SE_sNS9_4plusIvEENS9_8equal_toIvEEsEE10hipError_tPvRmT2_T3_T4_T5_mT6_T7_P12ihipStream_tbENKUlT_T0_E_clISt17integral_constantIbLb1EESZ_EEDaSU_SV_EUlSU_E_NS1_11comp_targetILNS1_3genE5ELNS1_11target_archE942ELNS1_3gpuE9ELNS1_3repE0EEENS1_30default_config_static_selectorELNS0_4arch9wavefront6targetE0EEEvT1_.uses_flat_scratch, 0
	.set _ZN7rocprim17ROCPRIM_400000_NS6detail17trampoline_kernelINS0_14default_configENS1_27scan_by_key_config_selectorIssEEZZNS1_16scan_by_key_implILNS1_25lookback_scan_determinismE0ELb1ES3_N6thrust23THRUST_200600_302600_NS6detail15normal_iteratorINS9_10device_ptrIsEEEESE_SE_sNS9_4plusIvEENS9_8equal_toIvEEsEE10hipError_tPvRmT2_T3_T4_T5_mT6_T7_P12ihipStream_tbENKUlT_T0_E_clISt17integral_constantIbLb1EESZ_EEDaSU_SV_EUlSU_E_NS1_11comp_targetILNS1_3genE5ELNS1_11target_archE942ELNS1_3gpuE9ELNS1_3repE0EEENS1_30default_config_static_selectorELNS0_4arch9wavefront6targetE0EEEvT1_.has_dyn_sized_stack, 0
	.set _ZN7rocprim17ROCPRIM_400000_NS6detail17trampoline_kernelINS0_14default_configENS1_27scan_by_key_config_selectorIssEEZZNS1_16scan_by_key_implILNS1_25lookback_scan_determinismE0ELb1ES3_N6thrust23THRUST_200600_302600_NS6detail15normal_iteratorINS9_10device_ptrIsEEEESE_SE_sNS9_4plusIvEENS9_8equal_toIvEEsEE10hipError_tPvRmT2_T3_T4_T5_mT6_T7_P12ihipStream_tbENKUlT_T0_E_clISt17integral_constantIbLb1EESZ_EEDaSU_SV_EUlSU_E_NS1_11comp_targetILNS1_3genE5ELNS1_11target_archE942ELNS1_3gpuE9ELNS1_3repE0EEENS1_30default_config_static_selectorELNS0_4arch9wavefront6targetE0EEEvT1_.has_recursion, 0
	.set _ZN7rocprim17ROCPRIM_400000_NS6detail17trampoline_kernelINS0_14default_configENS1_27scan_by_key_config_selectorIssEEZZNS1_16scan_by_key_implILNS1_25lookback_scan_determinismE0ELb1ES3_N6thrust23THRUST_200600_302600_NS6detail15normal_iteratorINS9_10device_ptrIsEEEESE_SE_sNS9_4plusIvEENS9_8equal_toIvEEsEE10hipError_tPvRmT2_T3_T4_T5_mT6_T7_P12ihipStream_tbENKUlT_T0_E_clISt17integral_constantIbLb1EESZ_EEDaSU_SV_EUlSU_E_NS1_11comp_targetILNS1_3genE5ELNS1_11target_archE942ELNS1_3gpuE9ELNS1_3repE0EEENS1_30default_config_static_selectorELNS0_4arch9wavefront6targetE0EEEvT1_.has_indirect_call, 0
	.section	.AMDGPU.csdata,"",@progbits
; Kernel info:
; codeLenInByte = 0
; TotalNumSgprs: 0
; NumVgprs: 0
; ScratchSize: 0
; MemoryBound: 0
; FloatMode: 240
; IeeeMode: 1
; LDSByteSize: 0 bytes/workgroup (compile time only)
; SGPRBlocks: 0
; VGPRBlocks: 0
; NumSGPRsForWavesPerEU: 1
; NumVGPRsForWavesPerEU: 1
; Occupancy: 16
; WaveLimiterHint : 0
; COMPUTE_PGM_RSRC2:SCRATCH_EN: 0
; COMPUTE_PGM_RSRC2:USER_SGPR: 6
; COMPUTE_PGM_RSRC2:TRAP_HANDLER: 0
; COMPUTE_PGM_RSRC2:TGID_X_EN: 1
; COMPUTE_PGM_RSRC2:TGID_Y_EN: 0
; COMPUTE_PGM_RSRC2:TGID_Z_EN: 0
; COMPUTE_PGM_RSRC2:TIDIG_COMP_CNT: 0
	.section	.text._ZN7rocprim17ROCPRIM_400000_NS6detail17trampoline_kernelINS0_14default_configENS1_27scan_by_key_config_selectorIssEEZZNS1_16scan_by_key_implILNS1_25lookback_scan_determinismE0ELb1ES3_N6thrust23THRUST_200600_302600_NS6detail15normal_iteratorINS9_10device_ptrIsEEEESE_SE_sNS9_4plusIvEENS9_8equal_toIvEEsEE10hipError_tPvRmT2_T3_T4_T5_mT6_T7_P12ihipStream_tbENKUlT_T0_E_clISt17integral_constantIbLb1EESZ_EEDaSU_SV_EUlSU_E_NS1_11comp_targetILNS1_3genE4ELNS1_11target_archE910ELNS1_3gpuE8ELNS1_3repE0EEENS1_30default_config_static_selectorELNS0_4arch9wavefront6targetE0EEEvT1_,"axG",@progbits,_ZN7rocprim17ROCPRIM_400000_NS6detail17trampoline_kernelINS0_14default_configENS1_27scan_by_key_config_selectorIssEEZZNS1_16scan_by_key_implILNS1_25lookback_scan_determinismE0ELb1ES3_N6thrust23THRUST_200600_302600_NS6detail15normal_iteratorINS9_10device_ptrIsEEEESE_SE_sNS9_4plusIvEENS9_8equal_toIvEEsEE10hipError_tPvRmT2_T3_T4_T5_mT6_T7_P12ihipStream_tbENKUlT_T0_E_clISt17integral_constantIbLb1EESZ_EEDaSU_SV_EUlSU_E_NS1_11comp_targetILNS1_3genE4ELNS1_11target_archE910ELNS1_3gpuE8ELNS1_3repE0EEENS1_30default_config_static_selectorELNS0_4arch9wavefront6targetE0EEEvT1_,comdat
	.protected	_ZN7rocprim17ROCPRIM_400000_NS6detail17trampoline_kernelINS0_14default_configENS1_27scan_by_key_config_selectorIssEEZZNS1_16scan_by_key_implILNS1_25lookback_scan_determinismE0ELb1ES3_N6thrust23THRUST_200600_302600_NS6detail15normal_iteratorINS9_10device_ptrIsEEEESE_SE_sNS9_4plusIvEENS9_8equal_toIvEEsEE10hipError_tPvRmT2_T3_T4_T5_mT6_T7_P12ihipStream_tbENKUlT_T0_E_clISt17integral_constantIbLb1EESZ_EEDaSU_SV_EUlSU_E_NS1_11comp_targetILNS1_3genE4ELNS1_11target_archE910ELNS1_3gpuE8ELNS1_3repE0EEENS1_30default_config_static_selectorELNS0_4arch9wavefront6targetE0EEEvT1_ ; -- Begin function _ZN7rocprim17ROCPRIM_400000_NS6detail17trampoline_kernelINS0_14default_configENS1_27scan_by_key_config_selectorIssEEZZNS1_16scan_by_key_implILNS1_25lookback_scan_determinismE0ELb1ES3_N6thrust23THRUST_200600_302600_NS6detail15normal_iteratorINS9_10device_ptrIsEEEESE_SE_sNS9_4plusIvEENS9_8equal_toIvEEsEE10hipError_tPvRmT2_T3_T4_T5_mT6_T7_P12ihipStream_tbENKUlT_T0_E_clISt17integral_constantIbLb1EESZ_EEDaSU_SV_EUlSU_E_NS1_11comp_targetILNS1_3genE4ELNS1_11target_archE910ELNS1_3gpuE8ELNS1_3repE0EEENS1_30default_config_static_selectorELNS0_4arch9wavefront6targetE0EEEvT1_
	.globl	_ZN7rocprim17ROCPRIM_400000_NS6detail17trampoline_kernelINS0_14default_configENS1_27scan_by_key_config_selectorIssEEZZNS1_16scan_by_key_implILNS1_25lookback_scan_determinismE0ELb1ES3_N6thrust23THRUST_200600_302600_NS6detail15normal_iteratorINS9_10device_ptrIsEEEESE_SE_sNS9_4plusIvEENS9_8equal_toIvEEsEE10hipError_tPvRmT2_T3_T4_T5_mT6_T7_P12ihipStream_tbENKUlT_T0_E_clISt17integral_constantIbLb1EESZ_EEDaSU_SV_EUlSU_E_NS1_11comp_targetILNS1_3genE4ELNS1_11target_archE910ELNS1_3gpuE8ELNS1_3repE0EEENS1_30default_config_static_selectorELNS0_4arch9wavefront6targetE0EEEvT1_
	.p2align	8
	.type	_ZN7rocprim17ROCPRIM_400000_NS6detail17trampoline_kernelINS0_14default_configENS1_27scan_by_key_config_selectorIssEEZZNS1_16scan_by_key_implILNS1_25lookback_scan_determinismE0ELb1ES3_N6thrust23THRUST_200600_302600_NS6detail15normal_iteratorINS9_10device_ptrIsEEEESE_SE_sNS9_4plusIvEENS9_8equal_toIvEEsEE10hipError_tPvRmT2_T3_T4_T5_mT6_T7_P12ihipStream_tbENKUlT_T0_E_clISt17integral_constantIbLb1EESZ_EEDaSU_SV_EUlSU_E_NS1_11comp_targetILNS1_3genE4ELNS1_11target_archE910ELNS1_3gpuE8ELNS1_3repE0EEENS1_30default_config_static_selectorELNS0_4arch9wavefront6targetE0EEEvT1_,@function
_ZN7rocprim17ROCPRIM_400000_NS6detail17trampoline_kernelINS0_14default_configENS1_27scan_by_key_config_selectorIssEEZZNS1_16scan_by_key_implILNS1_25lookback_scan_determinismE0ELb1ES3_N6thrust23THRUST_200600_302600_NS6detail15normal_iteratorINS9_10device_ptrIsEEEESE_SE_sNS9_4plusIvEENS9_8equal_toIvEEsEE10hipError_tPvRmT2_T3_T4_T5_mT6_T7_P12ihipStream_tbENKUlT_T0_E_clISt17integral_constantIbLb1EESZ_EEDaSU_SV_EUlSU_E_NS1_11comp_targetILNS1_3genE4ELNS1_11target_archE910ELNS1_3gpuE8ELNS1_3repE0EEENS1_30default_config_static_selectorELNS0_4arch9wavefront6targetE0EEEvT1_: ; @_ZN7rocprim17ROCPRIM_400000_NS6detail17trampoline_kernelINS0_14default_configENS1_27scan_by_key_config_selectorIssEEZZNS1_16scan_by_key_implILNS1_25lookback_scan_determinismE0ELb1ES3_N6thrust23THRUST_200600_302600_NS6detail15normal_iteratorINS9_10device_ptrIsEEEESE_SE_sNS9_4plusIvEENS9_8equal_toIvEEsEE10hipError_tPvRmT2_T3_T4_T5_mT6_T7_P12ihipStream_tbENKUlT_T0_E_clISt17integral_constantIbLb1EESZ_EEDaSU_SV_EUlSU_E_NS1_11comp_targetILNS1_3genE4ELNS1_11target_archE910ELNS1_3gpuE8ELNS1_3repE0EEENS1_30default_config_static_selectorELNS0_4arch9wavefront6targetE0EEEvT1_
; %bb.0:
	.section	.rodata,"a",@progbits
	.p2align	6, 0x0
	.amdhsa_kernel _ZN7rocprim17ROCPRIM_400000_NS6detail17trampoline_kernelINS0_14default_configENS1_27scan_by_key_config_selectorIssEEZZNS1_16scan_by_key_implILNS1_25lookback_scan_determinismE0ELb1ES3_N6thrust23THRUST_200600_302600_NS6detail15normal_iteratorINS9_10device_ptrIsEEEESE_SE_sNS9_4plusIvEENS9_8equal_toIvEEsEE10hipError_tPvRmT2_T3_T4_T5_mT6_T7_P12ihipStream_tbENKUlT_T0_E_clISt17integral_constantIbLb1EESZ_EEDaSU_SV_EUlSU_E_NS1_11comp_targetILNS1_3genE4ELNS1_11target_archE910ELNS1_3gpuE8ELNS1_3repE0EEENS1_30default_config_static_selectorELNS0_4arch9wavefront6targetE0EEEvT1_
		.amdhsa_group_segment_fixed_size 0
		.amdhsa_private_segment_fixed_size 0
		.amdhsa_kernarg_size 112
		.amdhsa_user_sgpr_count 6
		.amdhsa_user_sgpr_private_segment_buffer 1
		.amdhsa_user_sgpr_dispatch_ptr 0
		.amdhsa_user_sgpr_queue_ptr 0
		.amdhsa_user_sgpr_kernarg_segment_ptr 1
		.amdhsa_user_sgpr_dispatch_id 0
		.amdhsa_user_sgpr_flat_scratch_init 0
		.amdhsa_user_sgpr_private_segment_size 0
		.amdhsa_wavefront_size32 1
		.amdhsa_uses_dynamic_stack 0
		.amdhsa_system_sgpr_private_segment_wavefront_offset 0
		.amdhsa_system_sgpr_workgroup_id_x 1
		.amdhsa_system_sgpr_workgroup_id_y 0
		.amdhsa_system_sgpr_workgroup_id_z 0
		.amdhsa_system_sgpr_workgroup_info 0
		.amdhsa_system_vgpr_workitem_id 0
		.amdhsa_next_free_vgpr 1
		.amdhsa_next_free_sgpr 1
		.amdhsa_reserve_vcc 0
		.amdhsa_reserve_flat_scratch 0
		.amdhsa_float_round_mode_32 0
		.amdhsa_float_round_mode_16_64 0
		.amdhsa_float_denorm_mode_32 3
		.amdhsa_float_denorm_mode_16_64 3
		.amdhsa_dx10_clamp 1
		.amdhsa_ieee_mode 1
		.amdhsa_fp16_overflow 0
		.amdhsa_workgroup_processor_mode 1
		.amdhsa_memory_ordered 1
		.amdhsa_forward_progress 1
		.amdhsa_shared_vgpr_count 0
		.amdhsa_exception_fp_ieee_invalid_op 0
		.amdhsa_exception_fp_denorm_src 0
		.amdhsa_exception_fp_ieee_div_zero 0
		.amdhsa_exception_fp_ieee_overflow 0
		.amdhsa_exception_fp_ieee_underflow 0
		.amdhsa_exception_fp_ieee_inexact 0
		.amdhsa_exception_int_div_zero 0
	.end_amdhsa_kernel
	.section	.text._ZN7rocprim17ROCPRIM_400000_NS6detail17trampoline_kernelINS0_14default_configENS1_27scan_by_key_config_selectorIssEEZZNS1_16scan_by_key_implILNS1_25lookback_scan_determinismE0ELb1ES3_N6thrust23THRUST_200600_302600_NS6detail15normal_iteratorINS9_10device_ptrIsEEEESE_SE_sNS9_4plusIvEENS9_8equal_toIvEEsEE10hipError_tPvRmT2_T3_T4_T5_mT6_T7_P12ihipStream_tbENKUlT_T0_E_clISt17integral_constantIbLb1EESZ_EEDaSU_SV_EUlSU_E_NS1_11comp_targetILNS1_3genE4ELNS1_11target_archE910ELNS1_3gpuE8ELNS1_3repE0EEENS1_30default_config_static_selectorELNS0_4arch9wavefront6targetE0EEEvT1_,"axG",@progbits,_ZN7rocprim17ROCPRIM_400000_NS6detail17trampoline_kernelINS0_14default_configENS1_27scan_by_key_config_selectorIssEEZZNS1_16scan_by_key_implILNS1_25lookback_scan_determinismE0ELb1ES3_N6thrust23THRUST_200600_302600_NS6detail15normal_iteratorINS9_10device_ptrIsEEEESE_SE_sNS9_4plusIvEENS9_8equal_toIvEEsEE10hipError_tPvRmT2_T3_T4_T5_mT6_T7_P12ihipStream_tbENKUlT_T0_E_clISt17integral_constantIbLb1EESZ_EEDaSU_SV_EUlSU_E_NS1_11comp_targetILNS1_3genE4ELNS1_11target_archE910ELNS1_3gpuE8ELNS1_3repE0EEENS1_30default_config_static_selectorELNS0_4arch9wavefront6targetE0EEEvT1_,comdat
.Lfunc_end581:
	.size	_ZN7rocprim17ROCPRIM_400000_NS6detail17trampoline_kernelINS0_14default_configENS1_27scan_by_key_config_selectorIssEEZZNS1_16scan_by_key_implILNS1_25lookback_scan_determinismE0ELb1ES3_N6thrust23THRUST_200600_302600_NS6detail15normal_iteratorINS9_10device_ptrIsEEEESE_SE_sNS9_4plusIvEENS9_8equal_toIvEEsEE10hipError_tPvRmT2_T3_T4_T5_mT6_T7_P12ihipStream_tbENKUlT_T0_E_clISt17integral_constantIbLb1EESZ_EEDaSU_SV_EUlSU_E_NS1_11comp_targetILNS1_3genE4ELNS1_11target_archE910ELNS1_3gpuE8ELNS1_3repE0EEENS1_30default_config_static_selectorELNS0_4arch9wavefront6targetE0EEEvT1_, .Lfunc_end581-_ZN7rocprim17ROCPRIM_400000_NS6detail17trampoline_kernelINS0_14default_configENS1_27scan_by_key_config_selectorIssEEZZNS1_16scan_by_key_implILNS1_25lookback_scan_determinismE0ELb1ES3_N6thrust23THRUST_200600_302600_NS6detail15normal_iteratorINS9_10device_ptrIsEEEESE_SE_sNS9_4plusIvEENS9_8equal_toIvEEsEE10hipError_tPvRmT2_T3_T4_T5_mT6_T7_P12ihipStream_tbENKUlT_T0_E_clISt17integral_constantIbLb1EESZ_EEDaSU_SV_EUlSU_E_NS1_11comp_targetILNS1_3genE4ELNS1_11target_archE910ELNS1_3gpuE8ELNS1_3repE0EEENS1_30default_config_static_selectorELNS0_4arch9wavefront6targetE0EEEvT1_
                                        ; -- End function
	.set _ZN7rocprim17ROCPRIM_400000_NS6detail17trampoline_kernelINS0_14default_configENS1_27scan_by_key_config_selectorIssEEZZNS1_16scan_by_key_implILNS1_25lookback_scan_determinismE0ELb1ES3_N6thrust23THRUST_200600_302600_NS6detail15normal_iteratorINS9_10device_ptrIsEEEESE_SE_sNS9_4plusIvEENS9_8equal_toIvEEsEE10hipError_tPvRmT2_T3_T4_T5_mT6_T7_P12ihipStream_tbENKUlT_T0_E_clISt17integral_constantIbLb1EESZ_EEDaSU_SV_EUlSU_E_NS1_11comp_targetILNS1_3genE4ELNS1_11target_archE910ELNS1_3gpuE8ELNS1_3repE0EEENS1_30default_config_static_selectorELNS0_4arch9wavefront6targetE0EEEvT1_.num_vgpr, 0
	.set _ZN7rocprim17ROCPRIM_400000_NS6detail17trampoline_kernelINS0_14default_configENS1_27scan_by_key_config_selectorIssEEZZNS1_16scan_by_key_implILNS1_25lookback_scan_determinismE0ELb1ES3_N6thrust23THRUST_200600_302600_NS6detail15normal_iteratorINS9_10device_ptrIsEEEESE_SE_sNS9_4plusIvEENS9_8equal_toIvEEsEE10hipError_tPvRmT2_T3_T4_T5_mT6_T7_P12ihipStream_tbENKUlT_T0_E_clISt17integral_constantIbLb1EESZ_EEDaSU_SV_EUlSU_E_NS1_11comp_targetILNS1_3genE4ELNS1_11target_archE910ELNS1_3gpuE8ELNS1_3repE0EEENS1_30default_config_static_selectorELNS0_4arch9wavefront6targetE0EEEvT1_.num_agpr, 0
	.set _ZN7rocprim17ROCPRIM_400000_NS6detail17trampoline_kernelINS0_14default_configENS1_27scan_by_key_config_selectorIssEEZZNS1_16scan_by_key_implILNS1_25lookback_scan_determinismE0ELb1ES3_N6thrust23THRUST_200600_302600_NS6detail15normal_iteratorINS9_10device_ptrIsEEEESE_SE_sNS9_4plusIvEENS9_8equal_toIvEEsEE10hipError_tPvRmT2_T3_T4_T5_mT6_T7_P12ihipStream_tbENKUlT_T0_E_clISt17integral_constantIbLb1EESZ_EEDaSU_SV_EUlSU_E_NS1_11comp_targetILNS1_3genE4ELNS1_11target_archE910ELNS1_3gpuE8ELNS1_3repE0EEENS1_30default_config_static_selectorELNS0_4arch9wavefront6targetE0EEEvT1_.numbered_sgpr, 0
	.set _ZN7rocprim17ROCPRIM_400000_NS6detail17trampoline_kernelINS0_14default_configENS1_27scan_by_key_config_selectorIssEEZZNS1_16scan_by_key_implILNS1_25lookback_scan_determinismE0ELb1ES3_N6thrust23THRUST_200600_302600_NS6detail15normal_iteratorINS9_10device_ptrIsEEEESE_SE_sNS9_4plusIvEENS9_8equal_toIvEEsEE10hipError_tPvRmT2_T3_T4_T5_mT6_T7_P12ihipStream_tbENKUlT_T0_E_clISt17integral_constantIbLb1EESZ_EEDaSU_SV_EUlSU_E_NS1_11comp_targetILNS1_3genE4ELNS1_11target_archE910ELNS1_3gpuE8ELNS1_3repE0EEENS1_30default_config_static_selectorELNS0_4arch9wavefront6targetE0EEEvT1_.num_named_barrier, 0
	.set _ZN7rocprim17ROCPRIM_400000_NS6detail17trampoline_kernelINS0_14default_configENS1_27scan_by_key_config_selectorIssEEZZNS1_16scan_by_key_implILNS1_25lookback_scan_determinismE0ELb1ES3_N6thrust23THRUST_200600_302600_NS6detail15normal_iteratorINS9_10device_ptrIsEEEESE_SE_sNS9_4plusIvEENS9_8equal_toIvEEsEE10hipError_tPvRmT2_T3_T4_T5_mT6_T7_P12ihipStream_tbENKUlT_T0_E_clISt17integral_constantIbLb1EESZ_EEDaSU_SV_EUlSU_E_NS1_11comp_targetILNS1_3genE4ELNS1_11target_archE910ELNS1_3gpuE8ELNS1_3repE0EEENS1_30default_config_static_selectorELNS0_4arch9wavefront6targetE0EEEvT1_.private_seg_size, 0
	.set _ZN7rocprim17ROCPRIM_400000_NS6detail17trampoline_kernelINS0_14default_configENS1_27scan_by_key_config_selectorIssEEZZNS1_16scan_by_key_implILNS1_25lookback_scan_determinismE0ELb1ES3_N6thrust23THRUST_200600_302600_NS6detail15normal_iteratorINS9_10device_ptrIsEEEESE_SE_sNS9_4plusIvEENS9_8equal_toIvEEsEE10hipError_tPvRmT2_T3_T4_T5_mT6_T7_P12ihipStream_tbENKUlT_T0_E_clISt17integral_constantIbLb1EESZ_EEDaSU_SV_EUlSU_E_NS1_11comp_targetILNS1_3genE4ELNS1_11target_archE910ELNS1_3gpuE8ELNS1_3repE0EEENS1_30default_config_static_selectorELNS0_4arch9wavefront6targetE0EEEvT1_.uses_vcc, 0
	.set _ZN7rocprim17ROCPRIM_400000_NS6detail17trampoline_kernelINS0_14default_configENS1_27scan_by_key_config_selectorIssEEZZNS1_16scan_by_key_implILNS1_25lookback_scan_determinismE0ELb1ES3_N6thrust23THRUST_200600_302600_NS6detail15normal_iteratorINS9_10device_ptrIsEEEESE_SE_sNS9_4plusIvEENS9_8equal_toIvEEsEE10hipError_tPvRmT2_T3_T4_T5_mT6_T7_P12ihipStream_tbENKUlT_T0_E_clISt17integral_constantIbLb1EESZ_EEDaSU_SV_EUlSU_E_NS1_11comp_targetILNS1_3genE4ELNS1_11target_archE910ELNS1_3gpuE8ELNS1_3repE0EEENS1_30default_config_static_selectorELNS0_4arch9wavefront6targetE0EEEvT1_.uses_flat_scratch, 0
	.set _ZN7rocprim17ROCPRIM_400000_NS6detail17trampoline_kernelINS0_14default_configENS1_27scan_by_key_config_selectorIssEEZZNS1_16scan_by_key_implILNS1_25lookback_scan_determinismE0ELb1ES3_N6thrust23THRUST_200600_302600_NS6detail15normal_iteratorINS9_10device_ptrIsEEEESE_SE_sNS9_4plusIvEENS9_8equal_toIvEEsEE10hipError_tPvRmT2_T3_T4_T5_mT6_T7_P12ihipStream_tbENKUlT_T0_E_clISt17integral_constantIbLb1EESZ_EEDaSU_SV_EUlSU_E_NS1_11comp_targetILNS1_3genE4ELNS1_11target_archE910ELNS1_3gpuE8ELNS1_3repE0EEENS1_30default_config_static_selectorELNS0_4arch9wavefront6targetE0EEEvT1_.has_dyn_sized_stack, 0
	.set _ZN7rocprim17ROCPRIM_400000_NS6detail17trampoline_kernelINS0_14default_configENS1_27scan_by_key_config_selectorIssEEZZNS1_16scan_by_key_implILNS1_25lookback_scan_determinismE0ELb1ES3_N6thrust23THRUST_200600_302600_NS6detail15normal_iteratorINS9_10device_ptrIsEEEESE_SE_sNS9_4plusIvEENS9_8equal_toIvEEsEE10hipError_tPvRmT2_T3_T4_T5_mT6_T7_P12ihipStream_tbENKUlT_T0_E_clISt17integral_constantIbLb1EESZ_EEDaSU_SV_EUlSU_E_NS1_11comp_targetILNS1_3genE4ELNS1_11target_archE910ELNS1_3gpuE8ELNS1_3repE0EEENS1_30default_config_static_selectorELNS0_4arch9wavefront6targetE0EEEvT1_.has_recursion, 0
	.set _ZN7rocprim17ROCPRIM_400000_NS6detail17trampoline_kernelINS0_14default_configENS1_27scan_by_key_config_selectorIssEEZZNS1_16scan_by_key_implILNS1_25lookback_scan_determinismE0ELb1ES3_N6thrust23THRUST_200600_302600_NS6detail15normal_iteratorINS9_10device_ptrIsEEEESE_SE_sNS9_4plusIvEENS9_8equal_toIvEEsEE10hipError_tPvRmT2_T3_T4_T5_mT6_T7_P12ihipStream_tbENKUlT_T0_E_clISt17integral_constantIbLb1EESZ_EEDaSU_SV_EUlSU_E_NS1_11comp_targetILNS1_3genE4ELNS1_11target_archE910ELNS1_3gpuE8ELNS1_3repE0EEENS1_30default_config_static_selectorELNS0_4arch9wavefront6targetE0EEEvT1_.has_indirect_call, 0
	.section	.AMDGPU.csdata,"",@progbits
; Kernel info:
; codeLenInByte = 0
; TotalNumSgprs: 0
; NumVgprs: 0
; ScratchSize: 0
; MemoryBound: 0
; FloatMode: 240
; IeeeMode: 1
; LDSByteSize: 0 bytes/workgroup (compile time only)
; SGPRBlocks: 0
; VGPRBlocks: 0
; NumSGPRsForWavesPerEU: 1
; NumVGPRsForWavesPerEU: 1
; Occupancy: 16
; WaveLimiterHint : 0
; COMPUTE_PGM_RSRC2:SCRATCH_EN: 0
; COMPUTE_PGM_RSRC2:USER_SGPR: 6
; COMPUTE_PGM_RSRC2:TRAP_HANDLER: 0
; COMPUTE_PGM_RSRC2:TGID_X_EN: 1
; COMPUTE_PGM_RSRC2:TGID_Y_EN: 0
; COMPUTE_PGM_RSRC2:TGID_Z_EN: 0
; COMPUTE_PGM_RSRC2:TIDIG_COMP_CNT: 0
	.section	.text._ZN7rocprim17ROCPRIM_400000_NS6detail17trampoline_kernelINS0_14default_configENS1_27scan_by_key_config_selectorIssEEZZNS1_16scan_by_key_implILNS1_25lookback_scan_determinismE0ELb1ES3_N6thrust23THRUST_200600_302600_NS6detail15normal_iteratorINS9_10device_ptrIsEEEESE_SE_sNS9_4plusIvEENS9_8equal_toIvEEsEE10hipError_tPvRmT2_T3_T4_T5_mT6_T7_P12ihipStream_tbENKUlT_T0_E_clISt17integral_constantIbLb1EESZ_EEDaSU_SV_EUlSU_E_NS1_11comp_targetILNS1_3genE3ELNS1_11target_archE908ELNS1_3gpuE7ELNS1_3repE0EEENS1_30default_config_static_selectorELNS0_4arch9wavefront6targetE0EEEvT1_,"axG",@progbits,_ZN7rocprim17ROCPRIM_400000_NS6detail17trampoline_kernelINS0_14default_configENS1_27scan_by_key_config_selectorIssEEZZNS1_16scan_by_key_implILNS1_25lookback_scan_determinismE0ELb1ES3_N6thrust23THRUST_200600_302600_NS6detail15normal_iteratorINS9_10device_ptrIsEEEESE_SE_sNS9_4plusIvEENS9_8equal_toIvEEsEE10hipError_tPvRmT2_T3_T4_T5_mT6_T7_P12ihipStream_tbENKUlT_T0_E_clISt17integral_constantIbLb1EESZ_EEDaSU_SV_EUlSU_E_NS1_11comp_targetILNS1_3genE3ELNS1_11target_archE908ELNS1_3gpuE7ELNS1_3repE0EEENS1_30default_config_static_selectorELNS0_4arch9wavefront6targetE0EEEvT1_,comdat
	.protected	_ZN7rocprim17ROCPRIM_400000_NS6detail17trampoline_kernelINS0_14default_configENS1_27scan_by_key_config_selectorIssEEZZNS1_16scan_by_key_implILNS1_25lookback_scan_determinismE0ELb1ES3_N6thrust23THRUST_200600_302600_NS6detail15normal_iteratorINS9_10device_ptrIsEEEESE_SE_sNS9_4plusIvEENS9_8equal_toIvEEsEE10hipError_tPvRmT2_T3_T4_T5_mT6_T7_P12ihipStream_tbENKUlT_T0_E_clISt17integral_constantIbLb1EESZ_EEDaSU_SV_EUlSU_E_NS1_11comp_targetILNS1_3genE3ELNS1_11target_archE908ELNS1_3gpuE7ELNS1_3repE0EEENS1_30default_config_static_selectorELNS0_4arch9wavefront6targetE0EEEvT1_ ; -- Begin function _ZN7rocprim17ROCPRIM_400000_NS6detail17trampoline_kernelINS0_14default_configENS1_27scan_by_key_config_selectorIssEEZZNS1_16scan_by_key_implILNS1_25lookback_scan_determinismE0ELb1ES3_N6thrust23THRUST_200600_302600_NS6detail15normal_iteratorINS9_10device_ptrIsEEEESE_SE_sNS9_4plusIvEENS9_8equal_toIvEEsEE10hipError_tPvRmT2_T3_T4_T5_mT6_T7_P12ihipStream_tbENKUlT_T0_E_clISt17integral_constantIbLb1EESZ_EEDaSU_SV_EUlSU_E_NS1_11comp_targetILNS1_3genE3ELNS1_11target_archE908ELNS1_3gpuE7ELNS1_3repE0EEENS1_30default_config_static_selectorELNS0_4arch9wavefront6targetE0EEEvT1_
	.globl	_ZN7rocprim17ROCPRIM_400000_NS6detail17trampoline_kernelINS0_14default_configENS1_27scan_by_key_config_selectorIssEEZZNS1_16scan_by_key_implILNS1_25lookback_scan_determinismE0ELb1ES3_N6thrust23THRUST_200600_302600_NS6detail15normal_iteratorINS9_10device_ptrIsEEEESE_SE_sNS9_4plusIvEENS9_8equal_toIvEEsEE10hipError_tPvRmT2_T3_T4_T5_mT6_T7_P12ihipStream_tbENKUlT_T0_E_clISt17integral_constantIbLb1EESZ_EEDaSU_SV_EUlSU_E_NS1_11comp_targetILNS1_3genE3ELNS1_11target_archE908ELNS1_3gpuE7ELNS1_3repE0EEENS1_30default_config_static_selectorELNS0_4arch9wavefront6targetE0EEEvT1_
	.p2align	8
	.type	_ZN7rocprim17ROCPRIM_400000_NS6detail17trampoline_kernelINS0_14default_configENS1_27scan_by_key_config_selectorIssEEZZNS1_16scan_by_key_implILNS1_25lookback_scan_determinismE0ELb1ES3_N6thrust23THRUST_200600_302600_NS6detail15normal_iteratorINS9_10device_ptrIsEEEESE_SE_sNS9_4plusIvEENS9_8equal_toIvEEsEE10hipError_tPvRmT2_T3_T4_T5_mT6_T7_P12ihipStream_tbENKUlT_T0_E_clISt17integral_constantIbLb1EESZ_EEDaSU_SV_EUlSU_E_NS1_11comp_targetILNS1_3genE3ELNS1_11target_archE908ELNS1_3gpuE7ELNS1_3repE0EEENS1_30default_config_static_selectorELNS0_4arch9wavefront6targetE0EEEvT1_,@function
_ZN7rocprim17ROCPRIM_400000_NS6detail17trampoline_kernelINS0_14default_configENS1_27scan_by_key_config_selectorIssEEZZNS1_16scan_by_key_implILNS1_25lookback_scan_determinismE0ELb1ES3_N6thrust23THRUST_200600_302600_NS6detail15normal_iteratorINS9_10device_ptrIsEEEESE_SE_sNS9_4plusIvEENS9_8equal_toIvEEsEE10hipError_tPvRmT2_T3_T4_T5_mT6_T7_P12ihipStream_tbENKUlT_T0_E_clISt17integral_constantIbLb1EESZ_EEDaSU_SV_EUlSU_E_NS1_11comp_targetILNS1_3genE3ELNS1_11target_archE908ELNS1_3gpuE7ELNS1_3repE0EEENS1_30default_config_static_selectorELNS0_4arch9wavefront6targetE0EEEvT1_: ; @_ZN7rocprim17ROCPRIM_400000_NS6detail17trampoline_kernelINS0_14default_configENS1_27scan_by_key_config_selectorIssEEZZNS1_16scan_by_key_implILNS1_25lookback_scan_determinismE0ELb1ES3_N6thrust23THRUST_200600_302600_NS6detail15normal_iteratorINS9_10device_ptrIsEEEESE_SE_sNS9_4plusIvEENS9_8equal_toIvEEsEE10hipError_tPvRmT2_T3_T4_T5_mT6_T7_P12ihipStream_tbENKUlT_T0_E_clISt17integral_constantIbLb1EESZ_EEDaSU_SV_EUlSU_E_NS1_11comp_targetILNS1_3genE3ELNS1_11target_archE908ELNS1_3gpuE7ELNS1_3repE0EEENS1_30default_config_static_selectorELNS0_4arch9wavefront6targetE0EEEvT1_
; %bb.0:
	.section	.rodata,"a",@progbits
	.p2align	6, 0x0
	.amdhsa_kernel _ZN7rocprim17ROCPRIM_400000_NS6detail17trampoline_kernelINS0_14default_configENS1_27scan_by_key_config_selectorIssEEZZNS1_16scan_by_key_implILNS1_25lookback_scan_determinismE0ELb1ES3_N6thrust23THRUST_200600_302600_NS6detail15normal_iteratorINS9_10device_ptrIsEEEESE_SE_sNS9_4plusIvEENS9_8equal_toIvEEsEE10hipError_tPvRmT2_T3_T4_T5_mT6_T7_P12ihipStream_tbENKUlT_T0_E_clISt17integral_constantIbLb1EESZ_EEDaSU_SV_EUlSU_E_NS1_11comp_targetILNS1_3genE3ELNS1_11target_archE908ELNS1_3gpuE7ELNS1_3repE0EEENS1_30default_config_static_selectorELNS0_4arch9wavefront6targetE0EEEvT1_
		.amdhsa_group_segment_fixed_size 0
		.amdhsa_private_segment_fixed_size 0
		.amdhsa_kernarg_size 112
		.amdhsa_user_sgpr_count 6
		.amdhsa_user_sgpr_private_segment_buffer 1
		.amdhsa_user_sgpr_dispatch_ptr 0
		.amdhsa_user_sgpr_queue_ptr 0
		.amdhsa_user_sgpr_kernarg_segment_ptr 1
		.amdhsa_user_sgpr_dispatch_id 0
		.amdhsa_user_sgpr_flat_scratch_init 0
		.amdhsa_user_sgpr_private_segment_size 0
		.amdhsa_wavefront_size32 1
		.amdhsa_uses_dynamic_stack 0
		.amdhsa_system_sgpr_private_segment_wavefront_offset 0
		.amdhsa_system_sgpr_workgroup_id_x 1
		.amdhsa_system_sgpr_workgroup_id_y 0
		.amdhsa_system_sgpr_workgroup_id_z 0
		.amdhsa_system_sgpr_workgroup_info 0
		.amdhsa_system_vgpr_workitem_id 0
		.amdhsa_next_free_vgpr 1
		.amdhsa_next_free_sgpr 1
		.amdhsa_reserve_vcc 0
		.amdhsa_reserve_flat_scratch 0
		.amdhsa_float_round_mode_32 0
		.amdhsa_float_round_mode_16_64 0
		.amdhsa_float_denorm_mode_32 3
		.amdhsa_float_denorm_mode_16_64 3
		.amdhsa_dx10_clamp 1
		.amdhsa_ieee_mode 1
		.amdhsa_fp16_overflow 0
		.amdhsa_workgroup_processor_mode 1
		.amdhsa_memory_ordered 1
		.amdhsa_forward_progress 1
		.amdhsa_shared_vgpr_count 0
		.amdhsa_exception_fp_ieee_invalid_op 0
		.amdhsa_exception_fp_denorm_src 0
		.amdhsa_exception_fp_ieee_div_zero 0
		.amdhsa_exception_fp_ieee_overflow 0
		.amdhsa_exception_fp_ieee_underflow 0
		.amdhsa_exception_fp_ieee_inexact 0
		.amdhsa_exception_int_div_zero 0
	.end_amdhsa_kernel
	.section	.text._ZN7rocprim17ROCPRIM_400000_NS6detail17trampoline_kernelINS0_14default_configENS1_27scan_by_key_config_selectorIssEEZZNS1_16scan_by_key_implILNS1_25lookback_scan_determinismE0ELb1ES3_N6thrust23THRUST_200600_302600_NS6detail15normal_iteratorINS9_10device_ptrIsEEEESE_SE_sNS9_4plusIvEENS9_8equal_toIvEEsEE10hipError_tPvRmT2_T3_T4_T5_mT6_T7_P12ihipStream_tbENKUlT_T0_E_clISt17integral_constantIbLb1EESZ_EEDaSU_SV_EUlSU_E_NS1_11comp_targetILNS1_3genE3ELNS1_11target_archE908ELNS1_3gpuE7ELNS1_3repE0EEENS1_30default_config_static_selectorELNS0_4arch9wavefront6targetE0EEEvT1_,"axG",@progbits,_ZN7rocprim17ROCPRIM_400000_NS6detail17trampoline_kernelINS0_14default_configENS1_27scan_by_key_config_selectorIssEEZZNS1_16scan_by_key_implILNS1_25lookback_scan_determinismE0ELb1ES3_N6thrust23THRUST_200600_302600_NS6detail15normal_iteratorINS9_10device_ptrIsEEEESE_SE_sNS9_4plusIvEENS9_8equal_toIvEEsEE10hipError_tPvRmT2_T3_T4_T5_mT6_T7_P12ihipStream_tbENKUlT_T0_E_clISt17integral_constantIbLb1EESZ_EEDaSU_SV_EUlSU_E_NS1_11comp_targetILNS1_3genE3ELNS1_11target_archE908ELNS1_3gpuE7ELNS1_3repE0EEENS1_30default_config_static_selectorELNS0_4arch9wavefront6targetE0EEEvT1_,comdat
.Lfunc_end582:
	.size	_ZN7rocprim17ROCPRIM_400000_NS6detail17trampoline_kernelINS0_14default_configENS1_27scan_by_key_config_selectorIssEEZZNS1_16scan_by_key_implILNS1_25lookback_scan_determinismE0ELb1ES3_N6thrust23THRUST_200600_302600_NS6detail15normal_iteratorINS9_10device_ptrIsEEEESE_SE_sNS9_4plusIvEENS9_8equal_toIvEEsEE10hipError_tPvRmT2_T3_T4_T5_mT6_T7_P12ihipStream_tbENKUlT_T0_E_clISt17integral_constantIbLb1EESZ_EEDaSU_SV_EUlSU_E_NS1_11comp_targetILNS1_3genE3ELNS1_11target_archE908ELNS1_3gpuE7ELNS1_3repE0EEENS1_30default_config_static_selectorELNS0_4arch9wavefront6targetE0EEEvT1_, .Lfunc_end582-_ZN7rocprim17ROCPRIM_400000_NS6detail17trampoline_kernelINS0_14default_configENS1_27scan_by_key_config_selectorIssEEZZNS1_16scan_by_key_implILNS1_25lookback_scan_determinismE0ELb1ES3_N6thrust23THRUST_200600_302600_NS6detail15normal_iteratorINS9_10device_ptrIsEEEESE_SE_sNS9_4plusIvEENS9_8equal_toIvEEsEE10hipError_tPvRmT2_T3_T4_T5_mT6_T7_P12ihipStream_tbENKUlT_T0_E_clISt17integral_constantIbLb1EESZ_EEDaSU_SV_EUlSU_E_NS1_11comp_targetILNS1_3genE3ELNS1_11target_archE908ELNS1_3gpuE7ELNS1_3repE0EEENS1_30default_config_static_selectorELNS0_4arch9wavefront6targetE0EEEvT1_
                                        ; -- End function
	.set _ZN7rocprim17ROCPRIM_400000_NS6detail17trampoline_kernelINS0_14default_configENS1_27scan_by_key_config_selectorIssEEZZNS1_16scan_by_key_implILNS1_25lookback_scan_determinismE0ELb1ES3_N6thrust23THRUST_200600_302600_NS6detail15normal_iteratorINS9_10device_ptrIsEEEESE_SE_sNS9_4plusIvEENS9_8equal_toIvEEsEE10hipError_tPvRmT2_T3_T4_T5_mT6_T7_P12ihipStream_tbENKUlT_T0_E_clISt17integral_constantIbLb1EESZ_EEDaSU_SV_EUlSU_E_NS1_11comp_targetILNS1_3genE3ELNS1_11target_archE908ELNS1_3gpuE7ELNS1_3repE0EEENS1_30default_config_static_selectorELNS0_4arch9wavefront6targetE0EEEvT1_.num_vgpr, 0
	.set _ZN7rocprim17ROCPRIM_400000_NS6detail17trampoline_kernelINS0_14default_configENS1_27scan_by_key_config_selectorIssEEZZNS1_16scan_by_key_implILNS1_25lookback_scan_determinismE0ELb1ES3_N6thrust23THRUST_200600_302600_NS6detail15normal_iteratorINS9_10device_ptrIsEEEESE_SE_sNS9_4plusIvEENS9_8equal_toIvEEsEE10hipError_tPvRmT2_T3_T4_T5_mT6_T7_P12ihipStream_tbENKUlT_T0_E_clISt17integral_constantIbLb1EESZ_EEDaSU_SV_EUlSU_E_NS1_11comp_targetILNS1_3genE3ELNS1_11target_archE908ELNS1_3gpuE7ELNS1_3repE0EEENS1_30default_config_static_selectorELNS0_4arch9wavefront6targetE0EEEvT1_.num_agpr, 0
	.set _ZN7rocprim17ROCPRIM_400000_NS6detail17trampoline_kernelINS0_14default_configENS1_27scan_by_key_config_selectorIssEEZZNS1_16scan_by_key_implILNS1_25lookback_scan_determinismE0ELb1ES3_N6thrust23THRUST_200600_302600_NS6detail15normal_iteratorINS9_10device_ptrIsEEEESE_SE_sNS9_4plusIvEENS9_8equal_toIvEEsEE10hipError_tPvRmT2_T3_T4_T5_mT6_T7_P12ihipStream_tbENKUlT_T0_E_clISt17integral_constantIbLb1EESZ_EEDaSU_SV_EUlSU_E_NS1_11comp_targetILNS1_3genE3ELNS1_11target_archE908ELNS1_3gpuE7ELNS1_3repE0EEENS1_30default_config_static_selectorELNS0_4arch9wavefront6targetE0EEEvT1_.numbered_sgpr, 0
	.set _ZN7rocprim17ROCPRIM_400000_NS6detail17trampoline_kernelINS0_14default_configENS1_27scan_by_key_config_selectorIssEEZZNS1_16scan_by_key_implILNS1_25lookback_scan_determinismE0ELb1ES3_N6thrust23THRUST_200600_302600_NS6detail15normal_iteratorINS9_10device_ptrIsEEEESE_SE_sNS9_4plusIvEENS9_8equal_toIvEEsEE10hipError_tPvRmT2_T3_T4_T5_mT6_T7_P12ihipStream_tbENKUlT_T0_E_clISt17integral_constantIbLb1EESZ_EEDaSU_SV_EUlSU_E_NS1_11comp_targetILNS1_3genE3ELNS1_11target_archE908ELNS1_3gpuE7ELNS1_3repE0EEENS1_30default_config_static_selectorELNS0_4arch9wavefront6targetE0EEEvT1_.num_named_barrier, 0
	.set _ZN7rocprim17ROCPRIM_400000_NS6detail17trampoline_kernelINS0_14default_configENS1_27scan_by_key_config_selectorIssEEZZNS1_16scan_by_key_implILNS1_25lookback_scan_determinismE0ELb1ES3_N6thrust23THRUST_200600_302600_NS6detail15normal_iteratorINS9_10device_ptrIsEEEESE_SE_sNS9_4plusIvEENS9_8equal_toIvEEsEE10hipError_tPvRmT2_T3_T4_T5_mT6_T7_P12ihipStream_tbENKUlT_T0_E_clISt17integral_constantIbLb1EESZ_EEDaSU_SV_EUlSU_E_NS1_11comp_targetILNS1_3genE3ELNS1_11target_archE908ELNS1_3gpuE7ELNS1_3repE0EEENS1_30default_config_static_selectorELNS0_4arch9wavefront6targetE0EEEvT1_.private_seg_size, 0
	.set _ZN7rocprim17ROCPRIM_400000_NS6detail17trampoline_kernelINS0_14default_configENS1_27scan_by_key_config_selectorIssEEZZNS1_16scan_by_key_implILNS1_25lookback_scan_determinismE0ELb1ES3_N6thrust23THRUST_200600_302600_NS6detail15normal_iteratorINS9_10device_ptrIsEEEESE_SE_sNS9_4plusIvEENS9_8equal_toIvEEsEE10hipError_tPvRmT2_T3_T4_T5_mT6_T7_P12ihipStream_tbENKUlT_T0_E_clISt17integral_constantIbLb1EESZ_EEDaSU_SV_EUlSU_E_NS1_11comp_targetILNS1_3genE3ELNS1_11target_archE908ELNS1_3gpuE7ELNS1_3repE0EEENS1_30default_config_static_selectorELNS0_4arch9wavefront6targetE0EEEvT1_.uses_vcc, 0
	.set _ZN7rocprim17ROCPRIM_400000_NS6detail17trampoline_kernelINS0_14default_configENS1_27scan_by_key_config_selectorIssEEZZNS1_16scan_by_key_implILNS1_25lookback_scan_determinismE0ELb1ES3_N6thrust23THRUST_200600_302600_NS6detail15normal_iteratorINS9_10device_ptrIsEEEESE_SE_sNS9_4plusIvEENS9_8equal_toIvEEsEE10hipError_tPvRmT2_T3_T4_T5_mT6_T7_P12ihipStream_tbENKUlT_T0_E_clISt17integral_constantIbLb1EESZ_EEDaSU_SV_EUlSU_E_NS1_11comp_targetILNS1_3genE3ELNS1_11target_archE908ELNS1_3gpuE7ELNS1_3repE0EEENS1_30default_config_static_selectorELNS0_4arch9wavefront6targetE0EEEvT1_.uses_flat_scratch, 0
	.set _ZN7rocprim17ROCPRIM_400000_NS6detail17trampoline_kernelINS0_14default_configENS1_27scan_by_key_config_selectorIssEEZZNS1_16scan_by_key_implILNS1_25lookback_scan_determinismE0ELb1ES3_N6thrust23THRUST_200600_302600_NS6detail15normal_iteratorINS9_10device_ptrIsEEEESE_SE_sNS9_4plusIvEENS9_8equal_toIvEEsEE10hipError_tPvRmT2_T3_T4_T5_mT6_T7_P12ihipStream_tbENKUlT_T0_E_clISt17integral_constantIbLb1EESZ_EEDaSU_SV_EUlSU_E_NS1_11comp_targetILNS1_3genE3ELNS1_11target_archE908ELNS1_3gpuE7ELNS1_3repE0EEENS1_30default_config_static_selectorELNS0_4arch9wavefront6targetE0EEEvT1_.has_dyn_sized_stack, 0
	.set _ZN7rocprim17ROCPRIM_400000_NS6detail17trampoline_kernelINS0_14default_configENS1_27scan_by_key_config_selectorIssEEZZNS1_16scan_by_key_implILNS1_25lookback_scan_determinismE0ELb1ES3_N6thrust23THRUST_200600_302600_NS6detail15normal_iteratorINS9_10device_ptrIsEEEESE_SE_sNS9_4plusIvEENS9_8equal_toIvEEsEE10hipError_tPvRmT2_T3_T4_T5_mT6_T7_P12ihipStream_tbENKUlT_T0_E_clISt17integral_constantIbLb1EESZ_EEDaSU_SV_EUlSU_E_NS1_11comp_targetILNS1_3genE3ELNS1_11target_archE908ELNS1_3gpuE7ELNS1_3repE0EEENS1_30default_config_static_selectorELNS0_4arch9wavefront6targetE0EEEvT1_.has_recursion, 0
	.set _ZN7rocprim17ROCPRIM_400000_NS6detail17trampoline_kernelINS0_14default_configENS1_27scan_by_key_config_selectorIssEEZZNS1_16scan_by_key_implILNS1_25lookback_scan_determinismE0ELb1ES3_N6thrust23THRUST_200600_302600_NS6detail15normal_iteratorINS9_10device_ptrIsEEEESE_SE_sNS9_4plusIvEENS9_8equal_toIvEEsEE10hipError_tPvRmT2_T3_T4_T5_mT6_T7_P12ihipStream_tbENKUlT_T0_E_clISt17integral_constantIbLb1EESZ_EEDaSU_SV_EUlSU_E_NS1_11comp_targetILNS1_3genE3ELNS1_11target_archE908ELNS1_3gpuE7ELNS1_3repE0EEENS1_30default_config_static_selectorELNS0_4arch9wavefront6targetE0EEEvT1_.has_indirect_call, 0
	.section	.AMDGPU.csdata,"",@progbits
; Kernel info:
; codeLenInByte = 0
; TotalNumSgprs: 0
; NumVgprs: 0
; ScratchSize: 0
; MemoryBound: 0
; FloatMode: 240
; IeeeMode: 1
; LDSByteSize: 0 bytes/workgroup (compile time only)
; SGPRBlocks: 0
; VGPRBlocks: 0
; NumSGPRsForWavesPerEU: 1
; NumVGPRsForWavesPerEU: 1
; Occupancy: 16
; WaveLimiterHint : 0
; COMPUTE_PGM_RSRC2:SCRATCH_EN: 0
; COMPUTE_PGM_RSRC2:USER_SGPR: 6
; COMPUTE_PGM_RSRC2:TRAP_HANDLER: 0
; COMPUTE_PGM_RSRC2:TGID_X_EN: 1
; COMPUTE_PGM_RSRC2:TGID_Y_EN: 0
; COMPUTE_PGM_RSRC2:TGID_Z_EN: 0
; COMPUTE_PGM_RSRC2:TIDIG_COMP_CNT: 0
	.section	.text._ZN7rocprim17ROCPRIM_400000_NS6detail17trampoline_kernelINS0_14default_configENS1_27scan_by_key_config_selectorIssEEZZNS1_16scan_by_key_implILNS1_25lookback_scan_determinismE0ELb1ES3_N6thrust23THRUST_200600_302600_NS6detail15normal_iteratorINS9_10device_ptrIsEEEESE_SE_sNS9_4plusIvEENS9_8equal_toIvEEsEE10hipError_tPvRmT2_T3_T4_T5_mT6_T7_P12ihipStream_tbENKUlT_T0_E_clISt17integral_constantIbLb1EESZ_EEDaSU_SV_EUlSU_E_NS1_11comp_targetILNS1_3genE2ELNS1_11target_archE906ELNS1_3gpuE6ELNS1_3repE0EEENS1_30default_config_static_selectorELNS0_4arch9wavefront6targetE0EEEvT1_,"axG",@progbits,_ZN7rocprim17ROCPRIM_400000_NS6detail17trampoline_kernelINS0_14default_configENS1_27scan_by_key_config_selectorIssEEZZNS1_16scan_by_key_implILNS1_25lookback_scan_determinismE0ELb1ES3_N6thrust23THRUST_200600_302600_NS6detail15normal_iteratorINS9_10device_ptrIsEEEESE_SE_sNS9_4plusIvEENS9_8equal_toIvEEsEE10hipError_tPvRmT2_T3_T4_T5_mT6_T7_P12ihipStream_tbENKUlT_T0_E_clISt17integral_constantIbLb1EESZ_EEDaSU_SV_EUlSU_E_NS1_11comp_targetILNS1_3genE2ELNS1_11target_archE906ELNS1_3gpuE6ELNS1_3repE0EEENS1_30default_config_static_selectorELNS0_4arch9wavefront6targetE0EEEvT1_,comdat
	.protected	_ZN7rocprim17ROCPRIM_400000_NS6detail17trampoline_kernelINS0_14default_configENS1_27scan_by_key_config_selectorIssEEZZNS1_16scan_by_key_implILNS1_25lookback_scan_determinismE0ELb1ES3_N6thrust23THRUST_200600_302600_NS6detail15normal_iteratorINS9_10device_ptrIsEEEESE_SE_sNS9_4plusIvEENS9_8equal_toIvEEsEE10hipError_tPvRmT2_T3_T4_T5_mT6_T7_P12ihipStream_tbENKUlT_T0_E_clISt17integral_constantIbLb1EESZ_EEDaSU_SV_EUlSU_E_NS1_11comp_targetILNS1_3genE2ELNS1_11target_archE906ELNS1_3gpuE6ELNS1_3repE0EEENS1_30default_config_static_selectorELNS0_4arch9wavefront6targetE0EEEvT1_ ; -- Begin function _ZN7rocprim17ROCPRIM_400000_NS6detail17trampoline_kernelINS0_14default_configENS1_27scan_by_key_config_selectorIssEEZZNS1_16scan_by_key_implILNS1_25lookback_scan_determinismE0ELb1ES3_N6thrust23THRUST_200600_302600_NS6detail15normal_iteratorINS9_10device_ptrIsEEEESE_SE_sNS9_4plusIvEENS9_8equal_toIvEEsEE10hipError_tPvRmT2_T3_T4_T5_mT6_T7_P12ihipStream_tbENKUlT_T0_E_clISt17integral_constantIbLb1EESZ_EEDaSU_SV_EUlSU_E_NS1_11comp_targetILNS1_3genE2ELNS1_11target_archE906ELNS1_3gpuE6ELNS1_3repE0EEENS1_30default_config_static_selectorELNS0_4arch9wavefront6targetE0EEEvT1_
	.globl	_ZN7rocprim17ROCPRIM_400000_NS6detail17trampoline_kernelINS0_14default_configENS1_27scan_by_key_config_selectorIssEEZZNS1_16scan_by_key_implILNS1_25lookback_scan_determinismE0ELb1ES3_N6thrust23THRUST_200600_302600_NS6detail15normal_iteratorINS9_10device_ptrIsEEEESE_SE_sNS9_4plusIvEENS9_8equal_toIvEEsEE10hipError_tPvRmT2_T3_T4_T5_mT6_T7_P12ihipStream_tbENKUlT_T0_E_clISt17integral_constantIbLb1EESZ_EEDaSU_SV_EUlSU_E_NS1_11comp_targetILNS1_3genE2ELNS1_11target_archE906ELNS1_3gpuE6ELNS1_3repE0EEENS1_30default_config_static_selectorELNS0_4arch9wavefront6targetE0EEEvT1_
	.p2align	8
	.type	_ZN7rocprim17ROCPRIM_400000_NS6detail17trampoline_kernelINS0_14default_configENS1_27scan_by_key_config_selectorIssEEZZNS1_16scan_by_key_implILNS1_25lookback_scan_determinismE0ELb1ES3_N6thrust23THRUST_200600_302600_NS6detail15normal_iteratorINS9_10device_ptrIsEEEESE_SE_sNS9_4plusIvEENS9_8equal_toIvEEsEE10hipError_tPvRmT2_T3_T4_T5_mT6_T7_P12ihipStream_tbENKUlT_T0_E_clISt17integral_constantIbLb1EESZ_EEDaSU_SV_EUlSU_E_NS1_11comp_targetILNS1_3genE2ELNS1_11target_archE906ELNS1_3gpuE6ELNS1_3repE0EEENS1_30default_config_static_selectorELNS0_4arch9wavefront6targetE0EEEvT1_,@function
_ZN7rocprim17ROCPRIM_400000_NS6detail17trampoline_kernelINS0_14default_configENS1_27scan_by_key_config_selectorIssEEZZNS1_16scan_by_key_implILNS1_25lookback_scan_determinismE0ELb1ES3_N6thrust23THRUST_200600_302600_NS6detail15normal_iteratorINS9_10device_ptrIsEEEESE_SE_sNS9_4plusIvEENS9_8equal_toIvEEsEE10hipError_tPvRmT2_T3_T4_T5_mT6_T7_P12ihipStream_tbENKUlT_T0_E_clISt17integral_constantIbLb1EESZ_EEDaSU_SV_EUlSU_E_NS1_11comp_targetILNS1_3genE2ELNS1_11target_archE906ELNS1_3gpuE6ELNS1_3repE0EEENS1_30default_config_static_selectorELNS0_4arch9wavefront6targetE0EEEvT1_: ; @_ZN7rocprim17ROCPRIM_400000_NS6detail17trampoline_kernelINS0_14default_configENS1_27scan_by_key_config_selectorIssEEZZNS1_16scan_by_key_implILNS1_25lookback_scan_determinismE0ELb1ES3_N6thrust23THRUST_200600_302600_NS6detail15normal_iteratorINS9_10device_ptrIsEEEESE_SE_sNS9_4plusIvEENS9_8equal_toIvEEsEE10hipError_tPvRmT2_T3_T4_T5_mT6_T7_P12ihipStream_tbENKUlT_T0_E_clISt17integral_constantIbLb1EESZ_EEDaSU_SV_EUlSU_E_NS1_11comp_targetILNS1_3genE2ELNS1_11target_archE906ELNS1_3gpuE6ELNS1_3repE0EEENS1_30default_config_static_selectorELNS0_4arch9wavefront6targetE0EEEvT1_
; %bb.0:
	.section	.rodata,"a",@progbits
	.p2align	6, 0x0
	.amdhsa_kernel _ZN7rocprim17ROCPRIM_400000_NS6detail17trampoline_kernelINS0_14default_configENS1_27scan_by_key_config_selectorIssEEZZNS1_16scan_by_key_implILNS1_25lookback_scan_determinismE0ELb1ES3_N6thrust23THRUST_200600_302600_NS6detail15normal_iteratorINS9_10device_ptrIsEEEESE_SE_sNS9_4plusIvEENS9_8equal_toIvEEsEE10hipError_tPvRmT2_T3_T4_T5_mT6_T7_P12ihipStream_tbENKUlT_T0_E_clISt17integral_constantIbLb1EESZ_EEDaSU_SV_EUlSU_E_NS1_11comp_targetILNS1_3genE2ELNS1_11target_archE906ELNS1_3gpuE6ELNS1_3repE0EEENS1_30default_config_static_selectorELNS0_4arch9wavefront6targetE0EEEvT1_
		.amdhsa_group_segment_fixed_size 0
		.amdhsa_private_segment_fixed_size 0
		.amdhsa_kernarg_size 112
		.amdhsa_user_sgpr_count 6
		.amdhsa_user_sgpr_private_segment_buffer 1
		.amdhsa_user_sgpr_dispatch_ptr 0
		.amdhsa_user_sgpr_queue_ptr 0
		.amdhsa_user_sgpr_kernarg_segment_ptr 1
		.amdhsa_user_sgpr_dispatch_id 0
		.amdhsa_user_sgpr_flat_scratch_init 0
		.amdhsa_user_sgpr_private_segment_size 0
		.amdhsa_wavefront_size32 1
		.amdhsa_uses_dynamic_stack 0
		.amdhsa_system_sgpr_private_segment_wavefront_offset 0
		.amdhsa_system_sgpr_workgroup_id_x 1
		.amdhsa_system_sgpr_workgroup_id_y 0
		.amdhsa_system_sgpr_workgroup_id_z 0
		.amdhsa_system_sgpr_workgroup_info 0
		.amdhsa_system_vgpr_workitem_id 0
		.amdhsa_next_free_vgpr 1
		.amdhsa_next_free_sgpr 1
		.amdhsa_reserve_vcc 0
		.amdhsa_reserve_flat_scratch 0
		.amdhsa_float_round_mode_32 0
		.amdhsa_float_round_mode_16_64 0
		.amdhsa_float_denorm_mode_32 3
		.amdhsa_float_denorm_mode_16_64 3
		.amdhsa_dx10_clamp 1
		.amdhsa_ieee_mode 1
		.amdhsa_fp16_overflow 0
		.amdhsa_workgroup_processor_mode 1
		.amdhsa_memory_ordered 1
		.amdhsa_forward_progress 1
		.amdhsa_shared_vgpr_count 0
		.amdhsa_exception_fp_ieee_invalid_op 0
		.amdhsa_exception_fp_denorm_src 0
		.amdhsa_exception_fp_ieee_div_zero 0
		.amdhsa_exception_fp_ieee_overflow 0
		.amdhsa_exception_fp_ieee_underflow 0
		.amdhsa_exception_fp_ieee_inexact 0
		.amdhsa_exception_int_div_zero 0
	.end_amdhsa_kernel
	.section	.text._ZN7rocprim17ROCPRIM_400000_NS6detail17trampoline_kernelINS0_14default_configENS1_27scan_by_key_config_selectorIssEEZZNS1_16scan_by_key_implILNS1_25lookback_scan_determinismE0ELb1ES3_N6thrust23THRUST_200600_302600_NS6detail15normal_iteratorINS9_10device_ptrIsEEEESE_SE_sNS9_4plusIvEENS9_8equal_toIvEEsEE10hipError_tPvRmT2_T3_T4_T5_mT6_T7_P12ihipStream_tbENKUlT_T0_E_clISt17integral_constantIbLb1EESZ_EEDaSU_SV_EUlSU_E_NS1_11comp_targetILNS1_3genE2ELNS1_11target_archE906ELNS1_3gpuE6ELNS1_3repE0EEENS1_30default_config_static_selectorELNS0_4arch9wavefront6targetE0EEEvT1_,"axG",@progbits,_ZN7rocprim17ROCPRIM_400000_NS6detail17trampoline_kernelINS0_14default_configENS1_27scan_by_key_config_selectorIssEEZZNS1_16scan_by_key_implILNS1_25lookback_scan_determinismE0ELb1ES3_N6thrust23THRUST_200600_302600_NS6detail15normal_iteratorINS9_10device_ptrIsEEEESE_SE_sNS9_4plusIvEENS9_8equal_toIvEEsEE10hipError_tPvRmT2_T3_T4_T5_mT6_T7_P12ihipStream_tbENKUlT_T0_E_clISt17integral_constantIbLb1EESZ_EEDaSU_SV_EUlSU_E_NS1_11comp_targetILNS1_3genE2ELNS1_11target_archE906ELNS1_3gpuE6ELNS1_3repE0EEENS1_30default_config_static_selectorELNS0_4arch9wavefront6targetE0EEEvT1_,comdat
.Lfunc_end583:
	.size	_ZN7rocprim17ROCPRIM_400000_NS6detail17trampoline_kernelINS0_14default_configENS1_27scan_by_key_config_selectorIssEEZZNS1_16scan_by_key_implILNS1_25lookback_scan_determinismE0ELb1ES3_N6thrust23THRUST_200600_302600_NS6detail15normal_iteratorINS9_10device_ptrIsEEEESE_SE_sNS9_4plusIvEENS9_8equal_toIvEEsEE10hipError_tPvRmT2_T3_T4_T5_mT6_T7_P12ihipStream_tbENKUlT_T0_E_clISt17integral_constantIbLb1EESZ_EEDaSU_SV_EUlSU_E_NS1_11comp_targetILNS1_3genE2ELNS1_11target_archE906ELNS1_3gpuE6ELNS1_3repE0EEENS1_30default_config_static_selectorELNS0_4arch9wavefront6targetE0EEEvT1_, .Lfunc_end583-_ZN7rocprim17ROCPRIM_400000_NS6detail17trampoline_kernelINS0_14default_configENS1_27scan_by_key_config_selectorIssEEZZNS1_16scan_by_key_implILNS1_25lookback_scan_determinismE0ELb1ES3_N6thrust23THRUST_200600_302600_NS6detail15normal_iteratorINS9_10device_ptrIsEEEESE_SE_sNS9_4plusIvEENS9_8equal_toIvEEsEE10hipError_tPvRmT2_T3_T4_T5_mT6_T7_P12ihipStream_tbENKUlT_T0_E_clISt17integral_constantIbLb1EESZ_EEDaSU_SV_EUlSU_E_NS1_11comp_targetILNS1_3genE2ELNS1_11target_archE906ELNS1_3gpuE6ELNS1_3repE0EEENS1_30default_config_static_selectorELNS0_4arch9wavefront6targetE0EEEvT1_
                                        ; -- End function
	.set _ZN7rocprim17ROCPRIM_400000_NS6detail17trampoline_kernelINS0_14default_configENS1_27scan_by_key_config_selectorIssEEZZNS1_16scan_by_key_implILNS1_25lookback_scan_determinismE0ELb1ES3_N6thrust23THRUST_200600_302600_NS6detail15normal_iteratorINS9_10device_ptrIsEEEESE_SE_sNS9_4plusIvEENS9_8equal_toIvEEsEE10hipError_tPvRmT2_T3_T4_T5_mT6_T7_P12ihipStream_tbENKUlT_T0_E_clISt17integral_constantIbLb1EESZ_EEDaSU_SV_EUlSU_E_NS1_11comp_targetILNS1_3genE2ELNS1_11target_archE906ELNS1_3gpuE6ELNS1_3repE0EEENS1_30default_config_static_selectorELNS0_4arch9wavefront6targetE0EEEvT1_.num_vgpr, 0
	.set _ZN7rocprim17ROCPRIM_400000_NS6detail17trampoline_kernelINS0_14default_configENS1_27scan_by_key_config_selectorIssEEZZNS1_16scan_by_key_implILNS1_25lookback_scan_determinismE0ELb1ES3_N6thrust23THRUST_200600_302600_NS6detail15normal_iteratorINS9_10device_ptrIsEEEESE_SE_sNS9_4plusIvEENS9_8equal_toIvEEsEE10hipError_tPvRmT2_T3_T4_T5_mT6_T7_P12ihipStream_tbENKUlT_T0_E_clISt17integral_constantIbLb1EESZ_EEDaSU_SV_EUlSU_E_NS1_11comp_targetILNS1_3genE2ELNS1_11target_archE906ELNS1_3gpuE6ELNS1_3repE0EEENS1_30default_config_static_selectorELNS0_4arch9wavefront6targetE0EEEvT1_.num_agpr, 0
	.set _ZN7rocprim17ROCPRIM_400000_NS6detail17trampoline_kernelINS0_14default_configENS1_27scan_by_key_config_selectorIssEEZZNS1_16scan_by_key_implILNS1_25lookback_scan_determinismE0ELb1ES3_N6thrust23THRUST_200600_302600_NS6detail15normal_iteratorINS9_10device_ptrIsEEEESE_SE_sNS9_4plusIvEENS9_8equal_toIvEEsEE10hipError_tPvRmT2_T3_T4_T5_mT6_T7_P12ihipStream_tbENKUlT_T0_E_clISt17integral_constantIbLb1EESZ_EEDaSU_SV_EUlSU_E_NS1_11comp_targetILNS1_3genE2ELNS1_11target_archE906ELNS1_3gpuE6ELNS1_3repE0EEENS1_30default_config_static_selectorELNS0_4arch9wavefront6targetE0EEEvT1_.numbered_sgpr, 0
	.set _ZN7rocprim17ROCPRIM_400000_NS6detail17trampoline_kernelINS0_14default_configENS1_27scan_by_key_config_selectorIssEEZZNS1_16scan_by_key_implILNS1_25lookback_scan_determinismE0ELb1ES3_N6thrust23THRUST_200600_302600_NS6detail15normal_iteratorINS9_10device_ptrIsEEEESE_SE_sNS9_4plusIvEENS9_8equal_toIvEEsEE10hipError_tPvRmT2_T3_T4_T5_mT6_T7_P12ihipStream_tbENKUlT_T0_E_clISt17integral_constantIbLb1EESZ_EEDaSU_SV_EUlSU_E_NS1_11comp_targetILNS1_3genE2ELNS1_11target_archE906ELNS1_3gpuE6ELNS1_3repE0EEENS1_30default_config_static_selectorELNS0_4arch9wavefront6targetE0EEEvT1_.num_named_barrier, 0
	.set _ZN7rocprim17ROCPRIM_400000_NS6detail17trampoline_kernelINS0_14default_configENS1_27scan_by_key_config_selectorIssEEZZNS1_16scan_by_key_implILNS1_25lookback_scan_determinismE0ELb1ES3_N6thrust23THRUST_200600_302600_NS6detail15normal_iteratorINS9_10device_ptrIsEEEESE_SE_sNS9_4plusIvEENS9_8equal_toIvEEsEE10hipError_tPvRmT2_T3_T4_T5_mT6_T7_P12ihipStream_tbENKUlT_T0_E_clISt17integral_constantIbLb1EESZ_EEDaSU_SV_EUlSU_E_NS1_11comp_targetILNS1_3genE2ELNS1_11target_archE906ELNS1_3gpuE6ELNS1_3repE0EEENS1_30default_config_static_selectorELNS0_4arch9wavefront6targetE0EEEvT1_.private_seg_size, 0
	.set _ZN7rocprim17ROCPRIM_400000_NS6detail17trampoline_kernelINS0_14default_configENS1_27scan_by_key_config_selectorIssEEZZNS1_16scan_by_key_implILNS1_25lookback_scan_determinismE0ELb1ES3_N6thrust23THRUST_200600_302600_NS6detail15normal_iteratorINS9_10device_ptrIsEEEESE_SE_sNS9_4plusIvEENS9_8equal_toIvEEsEE10hipError_tPvRmT2_T3_T4_T5_mT6_T7_P12ihipStream_tbENKUlT_T0_E_clISt17integral_constantIbLb1EESZ_EEDaSU_SV_EUlSU_E_NS1_11comp_targetILNS1_3genE2ELNS1_11target_archE906ELNS1_3gpuE6ELNS1_3repE0EEENS1_30default_config_static_selectorELNS0_4arch9wavefront6targetE0EEEvT1_.uses_vcc, 0
	.set _ZN7rocprim17ROCPRIM_400000_NS6detail17trampoline_kernelINS0_14default_configENS1_27scan_by_key_config_selectorIssEEZZNS1_16scan_by_key_implILNS1_25lookback_scan_determinismE0ELb1ES3_N6thrust23THRUST_200600_302600_NS6detail15normal_iteratorINS9_10device_ptrIsEEEESE_SE_sNS9_4plusIvEENS9_8equal_toIvEEsEE10hipError_tPvRmT2_T3_T4_T5_mT6_T7_P12ihipStream_tbENKUlT_T0_E_clISt17integral_constantIbLb1EESZ_EEDaSU_SV_EUlSU_E_NS1_11comp_targetILNS1_3genE2ELNS1_11target_archE906ELNS1_3gpuE6ELNS1_3repE0EEENS1_30default_config_static_selectorELNS0_4arch9wavefront6targetE0EEEvT1_.uses_flat_scratch, 0
	.set _ZN7rocprim17ROCPRIM_400000_NS6detail17trampoline_kernelINS0_14default_configENS1_27scan_by_key_config_selectorIssEEZZNS1_16scan_by_key_implILNS1_25lookback_scan_determinismE0ELb1ES3_N6thrust23THRUST_200600_302600_NS6detail15normal_iteratorINS9_10device_ptrIsEEEESE_SE_sNS9_4plusIvEENS9_8equal_toIvEEsEE10hipError_tPvRmT2_T3_T4_T5_mT6_T7_P12ihipStream_tbENKUlT_T0_E_clISt17integral_constantIbLb1EESZ_EEDaSU_SV_EUlSU_E_NS1_11comp_targetILNS1_3genE2ELNS1_11target_archE906ELNS1_3gpuE6ELNS1_3repE0EEENS1_30default_config_static_selectorELNS0_4arch9wavefront6targetE0EEEvT1_.has_dyn_sized_stack, 0
	.set _ZN7rocprim17ROCPRIM_400000_NS6detail17trampoline_kernelINS0_14default_configENS1_27scan_by_key_config_selectorIssEEZZNS1_16scan_by_key_implILNS1_25lookback_scan_determinismE0ELb1ES3_N6thrust23THRUST_200600_302600_NS6detail15normal_iteratorINS9_10device_ptrIsEEEESE_SE_sNS9_4plusIvEENS9_8equal_toIvEEsEE10hipError_tPvRmT2_T3_T4_T5_mT6_T7_P12ihipStream_tbENKUlT_T0_E_clISt17integral_constantIbLb1EESZ_EEDaSU_SV_EUlSU_E_NS1_11comp_targetILNS1_3genE2ELNS1_11target_archE906ELNS1_3gpuE6ELNS1_3repE0EEENS1_30default_config_static_selectorELNS0_4arch9wavefront6targetE0EEEvT1_.has_recursion, 0
	.set _ZN7rocprim17ROCPRIM_400000_NS6detail17trampoline_kernelINS0_14default_configENS1_27scan_by_key_config_selectorIssEEZZNS1_16scan_by_key_implILNS1_25lookback_scan_determinismE0ELb1ES3_N6thrust23THRUST_200600_302600_NS6detail15normal_iteratorINS9_10device_ptrIsEEEESE_SE_sNS9_4plusIvEENS9_8equal_toIvEEsEE10hipError_tPvRmT2_T3_T4_T5_mT6_T7_P12ihipStream_tbENKUlT_T0_E_clISt17integral_constantIbLb1EESZ_EEDaSU_SV_EUlSU_E_NS1_11comp_targetILNS1_3genE2ELNS1_11target_archE906ELNS1_3gpuE6ELNS1_3repE0EEENS1_30default_config_static_selectorELNS0_4arch9wavefront6targetE0EEEvT1_.has_indirect_call, 0
	.section	.AMDGPU.csdata,"",@progbits
; Kernel info:
; codeLenInByte = 0
; TotalNumSgprs: 0
; NumVgprs: 0
; ScratchSize: 0
; MemoryBound: 0
; FloatMode: 240
; IeeeMode: 1
; LDSByteSize: 0 bytes/workgroup (compile time only)
; SGPRBlocks: 0
; VGPRBlocks: 0
; NumSGPRsForWavesPerEU: 1
; NumVGPRsForWavesPerEU: 1
; Occupancy: 16
; WaveLimiterHint : 0
; COMPUTE_PGM_RSRC2:SCRATCH_EN: 0
; COMPUTE_PGM_RSRC2:USER_SGPR: 6
; COMPUTE_PGM_RSRC2:TRAP_HANDLER: 0
; COMPUTE_PGM_RSRC2:TGID_X_EN: 1
; COMPUTE_PGM_RSRC2:TGID_Y_EN: 0
; COMPUTE_PGM_RSRC2:TGID_Z_EN: 0
; COMPUTE_PGM_RSRC2:TIDIG_COMP_CNT: 0
	.section	.text._ZN7rocprim17ROCPRIM_400000_NS6detail17trampoline_kernelINS0_14default_configENS1_27scan_by_key_config_selectorIssEEZZNS1_16scan_by_key_implILNS1_25lookback_scan_determinismE0ELb1ES3_N6thrust23THRUST_200600_302600_NS6detail15normal_iteratorINS9_10device_ptrIsEEEESE_SE_sNS9_4plusIvEENS9_8equal_toIvEEsEE10hipError_tPvRmT2_T3_T4_T5_mT6_T7_P12ihipStream_tbENKUlT_T0_E_clISt17integral_constantIbLb1EESZ_EEDaSU_SV_EUlSU_E_NS1_11comp_targetILNS1_3genE10ELNS1_11target_archE1200ELNS1_3gpuE4ELNS1_3repE0EEENS1_30default_config_static_selectorELNS0_4arch9wavefront6targetE0EEEvT1_,"axG",@progbits,_ZN7rocprim17ROCPRIM_400000_NS6detail17trampoline_kernelINS0_14default_configENS1_27scan_by_key_config_selectorIssEEZZNS1_16scan_by_key_implILNS1_25lookback_scan_determinismE0ELb1ES3_N6thrust23THRUST_200600_302600_NS6detail15normal_iteratorINS9_10device_ptrIsEEEESE_SE_sNS9_4plusIvEENS9_8equal_toIvEEsEE10hipError_tPvRmT2_T3_T4_T5_mT6_T7_P12ihipStream_tbENKUlT_T0_E_clISt17integral_constantIbLb1EESZ_EEDaSU_SV_EUlSU_E_NS1_11comp_targetILNS1_3genE10ELNS1_11target_archE1200ELNS1_3gpuE4ELNS1_3repE0EEENS1_30default_config_static_selectorELNS0_4arch9wavefront6targetE0EEEvT1_,comdat
	.protected	_ZN7rocprim17ROCPRIM_400000_NS6detail17trampoline_kernelINS0_14default_configENS1_27scan_by_key_config_selectorIssEEZZNS1_16scan_by_key_implILNS1_25lookback_scan_determinismE0ELb1ES3_N6thrust23THRUST_200600_302600_NS6detail15normal_iteratorINS9_10device_ptrIsEEEESE_SE_sNS9_4plusIvEENS9_8equal_toIvEEsEE10hipError_tPvRmT2_T3_T4_T5_mT6_T7_P12ihipStream_tbENKUlT_T0_E_clISt17integral_constantIbLb1EESZ_EEDaSU_SV_EUlSU_E_NS1_11comp_targetILNS1_3genE10ELNS1_11target_archE1200ELNS1_3gpuE4ELNS1_3repE0EEENS1_30default_config_static_selectorELNS0_4arch9wavefront6targetE0EEEvT1_ ; -- Begin function _ZN7rocprim17ROCPRIM_400000_NS6detail17trampoline_kernelINS0_14default_configENS1_27scan_by_key_config_selectorIssEEZZNS1_16scan_by_key_implILNS1_25lookback_scan_determinismE0ELb1ES3_N6thrust23THRUST_200600_302600_NS6detail15normal_iteratorINS9_10device_ptrIsEEEESE_SE_sNS9_4plusIvEENS9_8equal_toIvEEsEE10hipError_tPvRmT2_T3_T4_T5_mT6_T7_P12ihipStream_tbENKUlT_T0_E_clISt17integral_constantIbLb1EESZ_EEDaSU_SV_EUlSU_E_NS1_11comp_targetILNS1_3genE10ELNS1_11target_archE1200ELNS1_3gpuE4ELNS1_3repE0EEENS1_30default_config_static_selectorELNS0_4arch9wavefront6targetE0EEEvT1_
	.globl	_ZN7rocprim17ROCPRIM_400000_NS6detail17trampoline_kernelINS0_14default_configENS1_27scan_by_key_config_selectorIssEEZZNS1_16scan_by_key_implILNS1_25lookback_scan_determinismE0ELb1ES3_N6thrust23THRUST_200600_302600_NS6detail15normal_iteratorINS9_10device_ptrIsEEEESE_SE_sNS9_4plusIvEENS9_8equal_toIvEEsEE10hipError_tPvRmT2_T3_T4_T5_mT6_T7_P12ihipStream_tbENKUlT_T0_E_clISt17integral_constantIbLb1EESZ_EEDaSU_SV_EUlSU_E_NS1_11comp_targetILNS1_3genE10ELNS1_11target_archE1200ELNS1_3gpuE4ELNS1_3repE0EEENS1_30default_config_static_selectorELNS0_4arch9wavefront6targetE0EEEvT1_
	.p2align	8
	.type	_ZN7rocprim17ROCPRIM_400000_NS6detail17trampoline_kernelINS0_14default_configENS1_27scan_by_key_config_selectorIssEEZZNS1_16scan_by_key_implILNS1_25lookback_scan_determinismE0ELb1ES3_N6thrust23THRUST_200600_302600_NS6detail15normal_iteratorINS9_10device_ptrIsEEEESE_SE_sNS9_4plusIvEENS9_8equal_toIvEEsEE10hipError_tPvRmT2_T3_T4_T5_mT6_T7_P12ihipStream_tbENKUlT_T0_E_clISt17integral_constantIbLb1EESZ_EEDaSU_SV_EUlSU_E_NS1_11comp_targetILNS1_3genE10ELNS1_11target_archE1200ELNS1_3gpuE4ELNS1_3repE0EEENS1_30default_config_static_selectorELNS0_4arch9wavefront6targetE0EEEvT1_,@function
_ZN7rocprim17ROCPRIM_400000_NS6detail17trampoline_kernelINS0_14default_configENS1_27scan_by_key_config_selectorIssEEZZNS1_16scan_by_key_implILNS1_25lookback_scan_determinismE0ELb1ES3_N6thrust23THRUST_200600_302600_NS6detail15normal_iteratorINS9_10device_ptrIsEEEESE_SE_sNS9_4plusIvEENS9_8equal_toIvEEsEE10hipError_tPvRmT2_T3_T4_T5_mT6_T7_P12ihipStream_tbENKUlT_T0_E_clISt17integral_constantIbLb1EESZ_EEDaSU_SV_EUlSU_E_NS1_11comp_targetILNS1_3genE10ELNS1_11target_archE1200ELNS1_3gpuE4ELNS1_3repE0EEENS1_30default_config_static_selectorELNS0_4arch9wavefront6targetE0EEEvT1_: ; @_ZN7rocprim17ROCPRIM_400000_NS6detail17trampoline_kernelINS0_14default_configENS1_27scan_by_key_config_selectorIssEEZZNS1_16scan_by_key_implILNS1_25lookback_scan_determinismE0ELb1ES3_N6thrust23THRUST_200600_302600_NS6detail15normal_iteratorINS9_10device_ptrIsEEEESE_SE_sNS9_4plusIvEENS9_8equal_toIvEEsEE10hipError_tPvRmT2_T3_T4_T5_mT6_T7_P12ihipStream_tbENKUlT_T0_E_clISt17integral_constantIbLb1EESZ_EEDaSU_SV_EUlSU_E_NS1_11comp_targetILNS1_3genE10ELNS1_11target_archE1200ELNS1_3gpuE4ELNS1_3repE0EEENS1_30default_config_static_selectorELNS0_4arch9wavefront6targetE0EEEvT1_
; %bb.0:
	.section	.rodata,"a",@progbits
	.p2align	6, 0x0
	.amdhsa_kernel _ZN7rocprim17ROCPRIM_400000_NS6detail17trampoline_kernelINS0_14default_configENS1_27scan_by_key_config_selectorIssEEZZNS1_16scan_by_key_implILNS1_25lookback_scan_determinismE0ELb1ES3_N6thrust23THRUST_200600_302600_NS6detail15normal_iteratorINS9_10device_ptrIsEEEESE_SE_sNS9_4plusIvEENS9_8equal_toIvEEsEE10hipError_tPvRmT2_T3_T4_T5_mT6_T7_P12ihipStream_tbENKUlT_T0_E_clISt17integral_constantIbLb1EESZ_EEDaSU_SV_EUlSU_E_NS1_11comp_targetILNS1_3genE10ELNS1_11target_archE1200ELNS1_3gpuE4ELNS1_3repE0EEENS1_30default_config_static_selectorELNS0_4arch9wavefront6targetE0EEEvT1_
		.amdhsa_group_segment_fixed_size 0
		.amdhsa_private_segment_fixed_size 0
		.amdhsa_kernarg_size 112
		.amdhsa_user_sgpr_count 6
		.amdhsa_user_sgpr_private_segment_buffer 1
		.amdhsa_user_sgpr_dispatch_ptr 0
		.amdhsa_user_sgpr_queue_ptr 0
		.amdhsa_user_sgpr_kernarg_segment_ptr 1
		.amdhsa_user_sgpr_dispatch_id 0
		.amdhsa_user_sgpr_flat_scratch_init 0
		.amdhsa_user_sgpr_private_segment_size 0
		.amdhsa_wavefront_size32 1
		.amdhsa_uses_dynamic_stack 0
		.amdhsa_system_sgpr_private_segment_wavefront_offset 0
		.amdhsa_system_sgpr_workgroup_id_x 1
		.amdhsa_system_sgpr_workgroup_id_y 0
		.amdhsa_system_sgpr_workgroup_id_z 0
		.amdhsa_system_sgpr_workgroup_info 0
		.amdhsa_system_vgpr_workitem_id 0
		.amdhsa_next_free_vgpr 1
		.amdhsa_next_free_sgpr 1
		.amdhsa_reserve_vcc 0
		.amdhsa_reserve_flat_scratch 0
		.amdhsa_float_round_mode_32 0
		.amdhsa_float_round_mode_16_64 0
		.amdhsa_float_denorm_mode_32 3
		.amdhsa_float_denorm_mode_16_64 3
		.amdhsa_dx10_clamp 1
		.amdhsa_ieee_mode 1
		.amdhsa_fp16_overflow 0
		.amdhsa_workgroup_processor_mode 1
		.amdhsa_memory_ordered 1
		.amdhsa_forward_progress 1
		.amdhsa_shared_vgpr_count 0
		.amdhsa_exception_fp_ieee_invalid_op 0
		.amdhsa_exception_fp_denorm_src 0
		.amdhsa_exception_fp_ieee_div_zero 0
		.amdhsa_exception_fp_ieee_overflow 0
		.amdhsa_exception_fp_ieee_underflow 0
		.amdhsa_exception_fp_ieee_inexact 0
		.amdhsa_exception_int_div_zero 0
	.end_amdhsa_kernel
	.section	.text._ZN7rocprim17ROCPRIM_400000_NS6detail17trampoline_kernelINS0_14default_configENS1_27scan_by_key_config_selectorIssEEZZNS1_16scan_by_key_implILNS1_25lookback_scan_determinismE0ELb1ES3_N6thrust23THRUST_200600_302600_NS6detail15normal_iteratorINS9_10device_ptrIsEEEESE_SE_sNS9_4plusIvEENS9_8equal_toIvEEsEE10hipError_tPvRmT2_T3_T4_T5_mT6_T7_P12ihipStream_tbENKUlT_T0_E_clISt17integral_constantIbLb1EESZ_EEDaSU_SV_EUlSU_E_NS1_11comp_targetILNS1_3genE10ELNS1_11target_archE1200ELNS1_3gpuE4ELNS1_3repE0EEENS1_30default_config_static_selectorELNS0_4arch9wavefront6targetE0EEEvT1_,"axG",@progbits,_ZN7rocprim17ROCPRIM_400000_NS6detail17trampoline_kernelINS0_14default_configENS1_27scan_by_key_config_selectorIssEEZZNS1_16scan_by_key_implILNS1_25lookback_scan_determinismE0ELb1ES3_N6thrust23THRUST_200600_302600_NS6detail15normal_iteratorINS9_10device_ptrIsEEEESE_SE_sNS9_4plusIvEENS9_8equal_toIvEEsEE10hipError_tPvRmT2_T3_T4_T5_mT6_T7_P12ihipStream_tbENKUlT_T0_E_clISt17integral_constantIbLb1EESZ_EEDaSU_SV_EUlSU_E_NS1_11comp_targetILNS1_3genE10ELNS1_11target_archE1200ELNS1_3gpuE4ELNS1_3repE0EEENS1_30default_config_static_selectorELNS0_4arch9wavefront6targetE0EEEvT1_,comdat
.Lfunc_end584:
	.size	_ZN7rocprim17ROCPRIM_400000_NS6detail17trampoline_kernelINS0_14default_configENS1_27scan_by_key_config_selectorIssEEZZNS1_16scan_by_key_implILNS1_25lookback_scan_determinismE0ELb1ES3_N6thrust23THRUST_200600_302600_NS6detail15normal_iteratorINS9_10device_ptrIsEEEESE_SE_sNS9_4plusIvEENS9_8equal_toIvEEsEE10hipError_tPvRmT2_T3_T4_T5_mT6_T7_P12ihipStream_tbENKUlT_T0_E_clISt17integral_constantIbLb1EESZ_EEDaSU_SV_EUlSU_E_NS1_11comp_targetILNS1_3genE10ELNS1_11target_archE1200ELNS1_3gpuE4ELNS1_3repE0EEENS1_30default_config_static_selectorELNS0_4arch9wavefront6targetE0EEEvT1_, .Lfunc_end584-_ZN7rocprim17ROCPRIM_400000_NS6detail17trampoline_kernelINS0_14default_configENS1_27scan_by_key_config_selectorIssEEZZNS1_16scan_by_key_implILNS1_25lookback_scan_determinismE0ELb1ES3_N6thrust23THRUST_200600_302600_NS6detail15normal_iteratorINS9_10device_ptrIsEEEESE_SE_sNS9_4plusIvEENS9_8equal_toIvEEsEE10hipError_tPvRmT2_T3_T4_T5_mT6_T7_P12ihipStream_tbENKUlT_T0_E_clISt17integral_constantIbLb1EESZ_EEDaSU_SV_EUlSU_E_NS1_11comp_targetILNS1_3genE10ELNS1_11target_archE1200ELNS1_3gpuE4ELNS1_3repE0EEENS1_30default_config_static_selectorELNS0_4arch9wavefront6targetE0EEEvT1_
                                        ; -- End function
	.set _ZN7rocprim17ROCPRIM_400000_NS6detail17trampoline_kernelINS0_14default_configENS1_27scan_by_key_config_selectorIssEEZZNS1_16scan_by_key_implILNS1_25lookback_scan_determinismE0ELb1ES3_N6thrust23THRUST_200600_302600_NS6detail15normal_iteratorINS9_10device_ptrIsEEEESE_SE_sNS9_4plusIvEENS9_8equal_toIvEEsEE10hipError_tPvRmT2_T3_T4_T5_mT6_T7_P12ihipStream_tbENKUlT_T0_E_clISt17integral_constantIbLb1EESZ_EEDaSU_SV_EUlSU_E_NS1_11comp_targetILNS1_3genE10ELNS1_11target_archE1200ELNS1_3gpuE4ELNS1_3repE0EEENS1_30default_config_static_selectorELNS0_4arch9wavefront6targetE0EEEvT1_.num_vgpr, 0
	.set _ZN7rocprim17ROCPRIM_400000_NS6detail17trampoline_kernelINS0_14default_configENS1_27scan_by_key_config_selectorIssEEZZNS1_16scan_by_key_implILNS1_25lookback_scan_determinismE0ELb1ES3_N6thrust23THRUST_200600_302600_NS6detail15normal_iteratorINS9_10device_ptrIsEEEESE_SE_sNS9_4plusIvEENS9_8equal_toIvEEsEE10hipError_tPvRmT2_T3_T4_T5_mT6_T7_P12ihipStream_tbENKUlT_T0_E_clISt17integral_constantIbLb1EESZ_EEDaSU_SV_EUlSU_E_NS1_11comp_targetILNS1_3genE10ELNS1_11target_archE1200ELNS1_3gpuE4ELNS1_3repE0EEENS1_30default_config_static_selectorELNS0_4arch9wavefront6targetE0EEEvT1_.num_agpr, 0
	.set _ZN7rocprim17ROCPRIM_400000_NS6detail17trampoline_kernelINS0_14default_configENS1_27scan_by_key_config_selectorIssEEZZNS1_16scan_by_key_implILNS1_25lookback_scan_determinismE0ELb1ES3_N6thrust23THRUST_200600_302600_NS6detail15normal_iteratorINS9_10device_ptrIsEEEESE_SE_sNS9_4plusIvEENS9_8equal_toIvEEsEE10hipError_tPvRmT2_T3_T4_T5_mT6_T7_P12ihipStream_tbENKUlT_T0_E_clISt17integral_constantIbLb1EESZ_EEDaSU_SV_EUlSU_E_NS1_11comp_targetILNS1_3genE10ELNS1_11target_archE1200ELNS1_3gpuE4ELNS1_3repE0EEENS1_30default_config_static_selectorELNS0_4arch9wavefront6targetE0EEEvT1_.numbered_sgpr, 0
	.set _ZN7rocprim17ROCPRIM_400000_NS6detail17trampoline_kernelINS0_14default_configENS1_27scan_by_key_config_selectorIssEEZZNS1_16scan_by_key_implILNS1_25lookback_scan_determinismE0ELb1ES3_N6thrust23THRUST_200600_302600_NS6detail15normal_iteratorINS9_10device_ptrIsEEEESE_SE_sNS9_4plusIvEENS9_8equal_toIvEEsEE10hipError_tPvRmT2_T3_T4_T5_mT6_T7_P12ihipStream_tbENKUlT_T0_E_clISt17integral_constantIbLb1EESZ_EEDaSU_SV_EUlSU_E_NS1_11comp_targetILNS1_3genE10ELNS1_11target_archE1200ELNS1_3gpuE4ELNS1_3repE0EEENS1_30default_config_static_selectorELNS0_4arch9wavefront6targetE0EEEvT1_.num_named_barrier, 0
	.set _ZN7rocprim17ROCPRIM_400000_NS6detail17trampoline_kernelINS0_14default_configENS1_27scan_by_key_config_selectorIssEEZZNS1_16scan_by_key_implILNS1_25lookback_scan_determinismE0ELb1ES3_N6thrust23THRUST_200600_302600_NS6detail15normal_iteratorINS9_10device_ptrIsEEEESE_SE_sNS9_4plusIvEENS9_8equal_toIvEEsEE10hipError_tPvRmT2_T3_T4_T5_mT6_T7_P12ihipStream_tbENKUlT_T0_E_clISt17integral_constantIbLb1EESZ_EEDaSU_SV_EUlSU_E_NS1_11comp_targetILNS1_3genE10ELNS1_11target_archE1200ELNS1_3gpuE4ELNS1_3repE0EEENS1_30default_config_static_selectorELNS0_4arch9wavefront6targetE0EEEvT1_.private_seg_size, 0
	.set _ZN7rocprim17ROCPRIM_400000_NS6detail17trampoline_kernelINS0_14default_configENS1_27scan_by_key_config_selectorIssEEZZNS1_16scan_by_key_implILNS1_25lookback_scan_determinismE0ELb1ES3_N6thrust23THRUST_200600_302600_NS6detail15normal_iteratorINS9_10device_ptrIsEEEESE_SE_sNS9_4plusIvEENS9_8equal_toIvEEsEE10hipError_tPvRmT2_T3_T4_T5_mT6_T7_P12ihipStream_tbENKUlT_T0_E_clISt17integral_constantIbLb1EESZ_EEDaSU_SV_EUlSU_E_NS1_11comp_targetILNS1_3genE10ELNS1_11target_archE1200ELNS1_3gpuE4ELNS1_3repE0EEENS1_30default_config_static_selectorELNS0_4arch9wavefront6targetE0EEEvT1_.uses_vcc, 0
	.set _ZN7rocprim17ROCPRIM_400000_NS6detail17trampoline_kernelINS0_14default_configENS1_27scan_by_key_config_selectorIssEEZZNS1_16scan_by_key_implILNS1_25lookback_scan_determinismE0ELb1ES3_N6thrust23THRUST_200600_302600_NS6detail15normal_iteratorINS9_10device_ptrIsEEEESE_SE_sNS9_4plusIvEENS9_8equal_toIvEEsEE10hipError_tPvRmT2_T3_T4_T5_mT6_T7_P12ihipStream_tbENKUlT_T0_E_clISt17integral_constantIbLb1EESZ_EEDaSU_SV_EUlSU_E_NS1_11comp_targetILNS1_3genE10ELNS1_11target_archE1200ELNS1_3gpuE4ELNS1_3repE0EEENS1_30default_config_static_selectorELNS0_4arch9wavefront6targetE0EEEvT1_.uses_flat_scratch, 0
	.set _ZN7rocprim17ROCPRIM_400000_NS6detail17trampoline_kernelINS0_14default_configENS1_27scan_by_key_config_selectorIssEEZZNS1_16scan_by_key_implILNS1_25lookback_scan_determinismE0ELb1ES3_N6thrust23THRUST_200600_302600_NS6detail15normal_iteratorINS9_10device_ptrIsEEEESE_SE_sNS9_4plusIvEENS9_8equal_toIvEEsEE10hipError_tPvRmT2_T3_T4_T5_mT6_T7_P12ihipStream_tbENKUlT_T0_E_clISt17integral_constantIbLb1EESZ_EEDaSU_SV_EUlSU_E_NS1_11comp_targetILNS1_3genE10ELNS1_11target_archE1200ELNS1_3gpuE4ELNS1_3repE0EEENS1_30default_config_static_selectorELNS0_4arch9wavefront6targetE0EEEvT1_.has_dyn_sized_stack, 0
	.set _ZN7rocprim17ROCPRIM_400000_NS6detail17trampoline_kernelINS0_14default_configENS1_27scan_by_key_config_selectorIssEEZZNS1_16scan_by_key_implILNS1_25lookback_scan_determinismE0ELb1ES3_N6thrust23THRUST_200600_302600_NS6detail15normal_iteratorINS9_10device_ptrIsEEEESE_SE_sNS9_4plusIvEENS9_8equal_toIvEEsEE10hipError_tPvRmT2_T3_T4_T5_mT6_T7_P12ihipStream_tbENKUlT_T0_E_clISt17integral_constantIbLb1EESZ_EEDaSU_SV_EUlSU_E_NS1_11comp_targetILNS1_3genE10ELNS1_11target_archE1200ELNS1_3gpuE4ELNS1_3repE0EEENS1_30default_config_static_selectorELNS0_4arch9wavefront6targetE0EEEvT1_.has_recursion, 0
	.set _ZN7rocprim17ROCPRIM_400000_NS6detail17trampoline_kernelINS0_14default_configENS1_27scan_by_key_config_selectorIssEEZZNS1_16scan_by_key_implILNS1_25lookback_scan_determinismE0ELb1ES3_N6thrust23THRUST_200600_302600_NS6detail15normal_iteratorINS9_10device_ptrIsEEEESE_SE_sNS9_4plusIvEENS9_8equal_toIvEEsEE10hipError_tPvRmT2_T3_T4_T5_mT6_T7_P12ihipStream_tbENKUlT_T0_E_clISt17integral_constantIbLb1EESZ_EEDaSU_SV_EUlSU_E_NS1_11comp_targetILNS1_3genE10ELNS1_11target_archE1200ELNS1_3gpuE4ELNS1_3repE0EEENS1_30default_config_static_selectorELNS0_4arch9wavefront6targetE0EEEvT1_.has_indirect_call, 0
	.section	.AMDGPU.csdata,"",@progbits
; Kernel info:
; codeLenInByte = 0
; TotalNumSgprs: 0
; NumVgprs: 0
; ScratchSize: 0
; MemoryBound: 0
; FloatMode: 240
; IeeeMode: 1
; LDSByteSize: 0 bytes/workgroup (compile time only)
; SGPRBlocks: 0
; VGPRBlocks: 0
; NumSGPRsForWavesPerEU: 1
; NumVGPRsForWavesPerEU: 1
; Occupancy: 16
; WaveLimiterHint : 0
; COMPUTE_PGM_RSRC2:SCRATCH_EN: 0
; COMPUTE_PGM_RSRC2:USER_SGPR: 6
; COMPUTE_PGM_RSRC2:TRAP_HANDLER: 0
; COMPUTE_PGM_RSRC2:TGID_X_EN: 1
; COMPUTE_PGM_RSRC2:TGID_Y_EN: 0
; COMPUTE_PGM_RSRC2:TGID_Z_EN: 0
; COMPUTE_PGM_RSRC2:TIDIG_COMP_CNT: 0
	.section	.text._ZN7rocprim17ROCPRIM_400000_NS6detail17trampoline_kernelINS0_14default_configENS1_27scan_by_key_config_selectorIssEEZZNS1_16scan_by_key_implILNS1_25lookback_scan_determinismE0ELb1ES3_N6thrust23THRUST_200600_302600_NS6detail15normal_iteratorINS9_10device_ptrIsEEEESE_SE_sNS9_4plusIvEENS9_8equal_toIvEEsEE10hipError_tPvRmT2_T3_T4_T5_mT6_T7_P12ihipStream_tbENKUlT_T0_E_clISt17integral_constantIbLb1EESZ_EEDaSU_SV_EUlSU_E_NS1_11comp_targetILNS1_3genE9ELNS1_11target_archE1100ELNS1_3gpuE3ELNS1_3repE0EEENS1_30default_config_static_selectorELNS0_4arch9wavefront6targetE0EEEvT1_,"axG",@progbits,_ZN7rocprim17ROCPRIM_400000_NS6detail17trampoline_kernelINS0_14default_configENS1_27scan_by_key_config_selectorIssEEZZNS1_16scan_by_key_implILNS1_25lookback_scan_determinismE0ELb1ES3_N6thrust23THRUST_200600_302600_NS6detail15normal_iteratorINS9_10device_ptrIsEEEESE_SE_sNS9_4plusIvEENS9_8equal_toIvEEsEE10hipError_tPvRmT2_T3_T4_T5_mT6_T7_P12ihipStream_tbENKUlT_T0_E_clISt17integral_constantIbLb1EESZ_EEDaSU_SV_EUlSU_E_NS1_11comp_targetILNS1_3genE9ELNS1_11target_archE1100ELNS1_3gpuE3ELNS1_3repE0EEENS1_30default_config_static_selectorELNS0_4arch9wavefront6targetE0EEEvT1_,comdat
	.protected	_ZN7rocprim17ROCPRIM_400000_NS6detail17trampoline_kernelINS0_14default_configENS1_27scan_by_key_config_selectorIssEEZZNS1_16scan_by_key_implILNS1_25lookback_scan_determinismE0ELb1ES3_N6thrust23THRUST_200600_302600_NS6detail15normal_iteratorINS9_10device_ptrIsEEEESE_SE_sNS9_4plusIvEENS9_8equal_toIvEEsEE10hipError_tPvRmT2_T3_T4_T5_mT6_T7_P12ihipStream_tbENKUlT_T0_E_clISt17integral_constantIbLb1EESZ_EEDaSU_SV_EUlSU_E_NS1_11comp_targetILNS1_3genE9ELNS1_11target_archE1100ELNS1_3gpuE3ELNS1_3repE0EEENS1_30default_config_static_selectorELNS0_4arch9wavefront6targetE0EEEvT1_ ; -- Begin function _ZN7rocprim17ROCPRIM_400000_NS6detail17trampoline_kernelINS0_14default_configENS1_27scan_by_key_config_selectorIssEEZZNS1_16scan_by_key_implILNS1_25lookback_scan_determinismE0ELb1ES3_N6thrust23THRUST_200600_302600_NS6detail15normal_iteratorINS9_10device_ptrIsEEEESE_SE_sNS9_4plusIvEENS9_8equal_toIvEEsEE10hipError_tPvRmT2_T3_T4_T5_mT6_T7_P12ihipStream_tbENKUlT_T0_E_clISt17integral_constantIbLb1EESZ_EEDaSU_SV_EUlSU_E_NS1_11comp_targetILNS1_3genE9ELNS1_11target_archE1100ELNS1_3gpuE3ELNS1_3repE0EEENS1_30default_config_static_selectorELNS0_4arch9wavefront6targetE0EEEvT1_
	.globl	_ZN7rocprim17ROCPRIM_400000_NS6detail17trampoline_kernelINS0_14default_configENS1_27scan_by_key_config_selectorIssEEZZNS1_16scan_by_key_implILNS1_25lookback_scan_determinismE0ELb1ES3_N6thrust23THRUST_200600_302600_NS6detail15normal_iteratorINS9_10device_ptrIsEEEESE_SE_sNS9_4plusIvEENS9_8equal_toIvEEsEE10hipError_tPvRmT2_T3_T4_T5_mT6_T7_P12ihipStream_tbENKUlT_T0_E_clISt17integral_constantIbLb1EESZ_EEDaSU_SV_EUlSU_E_NS1_11comp_targetILNS1_3genE9ELNS1_11target_archE1100ELNS1_3gpuE3ELNS1_3repE0EEENS1_30default_config_static_selectorELNS0_4arch9wavefront6targetE0EEEvT1_
	.p2align	8
	.type	_ZN7rocprim17ROCPRIM_400000_NS6detail17trampoline_kernelINS0_14default_configENS1_27scan_by_key_config_selectorIssEEZZNS1_16scan_by_key_implILNS1_25lookback_scan_determinismE0ELb1ES3_N6thrust23THRUST_200600_302600_NS6detail15normal_iteratorINS9_10device_ptrIsEEEESE_SE_sNS9_4plusIvEENS9_8equal_toIvEEsEE10hipError_tPvRmT2_T3_T4_T5_mT6_T7_P12ihipStream_tbENKUlT_T0_E_clISt17integral_constantIbLb1EESZ_EEDaSU_SV_EUlSU_E_NS1_11comp_targetILNS1_3genE9ELNS1_11target_archE1100ELNS1_3gpuE3ELNS1_3repE0EEENS1_30default_config_static_selectorELNS0_4arch9wavefront6targetE0EEEvT1_,@function
_ZN7rocprim17ROCPRIM_400000_NS6detail17trampoline_kernelINS0_14default_configENS1_27scan_by_key_config_selectorIssEEZZNS1_16scan_by_key_implILNS1_25lookback_scan_determinismE0ELb1ES3_N6thrust23THRUST_200600_302600_NS6detail15normal_iteratorINS9_10device_ptrIsEEEESE_SE_sNS9_4plusIvEENS9_8equal_toIvEEsEE10hipError_tPvRmT2_T3_T4_T5_mT6_T7_P12ihipStream_tbENKUlT_T0_E_clISt17integral_constantIbLb1EESZ_EEDaSU_SV_EUlSU_E_NS1_11comp_targetILNS1_3genE9ELNS1_11target_archE1100ELNS1_3gpuE3ELNS1_3repE0EEENS1_30default_config_static_selectorELNS0_4arch9wavefront6targetE0EEEvT1_: ; @_ZN7rocprim17ROCPRIM_400000_NS6detail17trampoline_kernelINS0_14default_configENS1_27scan_by_key_config_selectorIssEEZZNS1_16scan_by_key_implILNS1_25lookback_scan_determinismE0ELb1ES3_N6thrust23THRUST_200600_302600_NS6detail15normal_iteratorINS9_10device_ptrIsEEEESE_SE_sNS9_4plusIvEENS9_8equal_toIvEEsEE10hipError_tPvRmT2_T3_T4_T5_mT6_T7_P12ihipStream_tbENKUlT_T0_E_clISt17integral_constantIbLb1EESZ_EEDaSU_SV_EUlSU_E_NS1_11comp_targetILNS1_3genE9ELNS1_11target_archE1100ELNS1_3gpuE3ELNS1_3repE0EEENS1_30default_config_static_selectorELNS0_4arch9wavefront6targetE0EEEvT1_
; %bb.0:
	.section	.rodata,"a",@progbits
	.p2align	6, 0x0
	.amdhsa_kernel _ZN7rocprim17ROCPRIM_400000_NS6detail17trampoline_kernelINS0_14default_configENS1_27scan_by_key_config_selectorIssEEZZNS1_16scan_by_key_implILNS1_25lookback_scan_determinismE0ELb1ES3_N6thrust23THRUST_200600_302600_NS6detail15normal_iteratorINS9_10device_ptrIsEEEESE_SE_sNS9_4plusIvEENS9_8equal_toIvEEsEE10hipError_tPvRmT2_T3_T4_T5_mT6_T7_P12ihipStream_tbENKUlT_T0_E_clISt17integral_constantIbLb1EESZ_EEDaSU_SV_EUlSU_E_NS1_11comp_targetILNS1_3genE9ELNS1_11target_archE1100ELNS1_3gpuE3ELNS1_3repE0EEENS1_30default_config_static_selectorELNS0_4arch9wavefront6targetE0EEEvT1_
		.amdhsa_group_segment_fixed_size 0
		.amdhsa_private_segment_fixed_size 0
		.amdhsa_kernarg_size 112
		.amdhsa_user_sgpr_count 6
		.amdhsa_user_sgpr_private_segment_buffer 1
		.amdhsa_user_sgpr_dispatch_ptr 0
		.amdhsa_user_sgpr_queue_ptr 0
		.amdhsa_user_sgpr_kernarg_segment_ptr 1
		.amdhsa_user_sgpr_dispatch_id 0
		.amdhsa_user_sgpr_flat_scratch_init 0
		.amdhsa_user_sgpr_private_segment_size 0
		.amdhsa_wavefront_size32 1
		.amdhsa_uses_dynamic_stack 0
		.amdhsa_system_sgpr_private_segment_wavefront_offset 0
		.amdhsa_system_sgpr_workgroup_id_x 1
		.amdhsa_system_sgpr_workgroup_id_y 0
		.amdhsa_system_sgpr_workgroup_id_z 0
		.amdhsa_system_sgpr_workgroup_info 0
		.amdhsa_system_vgpr_workitem_id 0
		.amdhsa_next_free_vgpr 1
		.amdhsa_next_free_sgpr 1
		.amdhsa_reserve_vcc 0
		.amdhsa_reserve_flat_scratch 0
		.amdhsa_float_round_mode_32 0
		.amdhsa_float_round_mode_16_64 0
		.amdhsa_float_denorm_mode_32 3
		.amdhsa_float_denorm_mode_16_64 3
		.amdhsa_dx10_clamp 1
		.amdhsa_ieee_mode 1
		.amdhsa_fp16_overflow 0
		.amdhsa_workgroup_processor_mode 1
		.amdhsa_memory_ordered 1
		.amdhsa_forward_progress 1
		.amdhsa_shared_vgpr_count 0
		.amdhsa_exception_fp_ieee_invalid_op 0
		.amdhsa_exception_fp_denorm_src 0
		.amdhsa_exception_fp_ieee_div_zero 0
		.amdhsa_exception_fp_ieee_overflow 0
		.amdhsa_exception_fp_ieee_underflow 0
		.amdhsa_exception_fp_ieee_inexact 0
		.amdhsa_exception_int_div_zero 0
	.end_amdhsa_kernel
	.section	.text._ZN7rocprim17ROCPRIM_400000_NS6detail17trampoline_kernelINS0_14default_configENS1_27scan_by_key_config_selectorIssEEZZNS1_16scan_by_key_implILNS1_25lookback_scan_determinismE0ELb1ES3_N6thrust23THRUST_200600_302600_NS6detail15normal_iteratorINS9_10device_ptrIsEEEESE_SE_sNS9_4plusIvEENS9_8equal_toIvEEsEE10hipError_tPvRmT2_T3_T4_T5_mT6_T7_P12ihipStream_tbENKUlT_T0_E_clISt17integral_constantIbLb1EESZ_EEDaSU_SV_EUlSU_E_NS1_11comp_targetILNS1_3genE9ELNS1_11target_archE1100ELNS1_3gpuE3ELNS1_3repE0EEENS1_30default_config_static_selectorELNS0_4arch9wavefront6targetE0EEEvT1_,"axG",@progbits,_ZN7rocprim17ROCPRIM_400000_NS6detail17trampoline_kernelINS0_14default_configENS1_27scan_by_key_config_selectorIssEEZZNS1_16scan_by_key_implILNS1_25lookback_scan_determinismE0ELb1ES3_N6thrust23THRUST_200600_302600_NS6detail15normal_iteratorINS9_10device_ptrIsEEEESE_SE_sNS9_4plusIvEENS9_8equal_toIvEEsEE10hipError_tPvRmT2_T3_T4_T5_mT6_T7_P12ihipStream_tbENKUlT_T0_E_clISt17integral_constantIbLb1EESZ_EEDaSU_SV_EUlSU_E_NS1_11comp_targetILNS1_3genE9ELNS1_11target_archE1100ELNS1_3gpuE3ELNS1_3repE0EEENS1_30default_config_static_selectorELNS0_4arch9wavefront6targetE0EEEvT1_,comdat
.Lfunc_end585:
	.size	_ZN7rocprim17ROCPRIM_400000_NS6detail17trampoline_kernelINS0_14default_configENS1_27scan_by_key_config_selectorIssEEZZNS1_16scan_by_key_implILNS1_25lookback_scan_determinismE0ELb1ES3_N6thrust23THRUST_200600_302600_NS6detail15normal_iteratorINS9_10device_ptrIsEEEESE_SE_sNS9_4plusIvEENS9_8equal_toIvEEsEE10hipError_tPvRmT2_T3_T4_T5_mT6_T7_P12ihipStream_tbENKUlT_T0_E_clISt17integral_constantIbLb1EESZ_EEDaSU_SV_EUlSU_E_NS1_11comp_targetILNS1_3genE9ELNS1_11target_archE1100ELNS1_3gpuE3ELNS1_3repE0EEENS1_30default_config_static_selectorELNS0_4arch9wavefront6targetE0EEEvT1_, .Lfunc_end585-_ZN7rocprim17ROCPRIM_400000_NS6detail17trampoline_kernelINS0_14default_configENS1_27scan_by_key_config_selectorIssEEZZNS1_16scan_by_key_implILNS1_25lookback_scan_determinismE0ELb1ES3_N6thrust23THRUST_200600_302600_NS6detail15normal_iteratorINS9_10device_ptrIsEEEESE_SE_sNS9_4plusIvEENS9_8equal_toIvEEsEE10hipError_tPvRmT2_T3_T4_T5_mT6_T7_P12ihipStream_tbENKUlT_T0_E_clISt17integral_constantIbLb1EESZ_EEDaSU_SV_EUlSU_E_NS1_11comp_targetILNS1_3genE9ELNS1_11target_archE1100ELNS1_3gpuE3ELNS1_3repE0EEENS1_30default_config_static_selectorELNS0_4arch9wavefront6targetE0EEEvT1_
                                        ; -- End function
	.set _ZN7rocprim17ROCPRIM_400000_NS6detail17trampoline_kernelINS0_14default_configENS1_27scan_by_key_config_selectorIssEEZZNS1_16scan_by_key_implILNS1_25lookback_scan_determinismE0ELb1ES3_N6thrust23THRUST_200600_302600_NS6detail15normal_iteratorINS9_10device_ptrIsEEEESE_SE_sNS9_4plusIvEENS9_8equal_toIvEEsEE10hipError_tPvRmT2_T3_T4_T5_mT6_T7_P12ihipStream_tbENKUlT_T0_E_clISt17integral_constantIbLb1EESZ_EEDaSU_SV_EUlSU_E_NS1_11comp_targetILNS1_3genE9ELNS1_11target_archE1100ELNS1_3gpuE3ELNS1_3repE0EEENS1_30default_config_static_selectorELNS0_4arch9wavefront6targetE0EEEvT1_.num_vgpr, 0
	.set _ZN7rocprim17ROCPRIM_400000_NS6detail17trampoline_kernelINS0_14default_configENS1_27scan_by_key_config_selectorIssEEZZNS1_16scan_by_key_implILNS1_25lookback_scan_determinismE0ELb1ES3_N6thrust23THRUST_200600_302600_NS6detail15normal_iteratorINS9_10device_ptrIsEEEESE_SE_sNS9_4plusIvEENS9_8equal_toIvEEsEE10hipError_tPvRmT2_T3_T4_T5_mT6_T7_P12ihipStream_tbENKUlT_T0_E_clISt17integral_constantIbLb1EESZ_EEDaSU_SV_EUlSU_E_NS1_11comp_targetILNS1_3genE9ELNS1_11target_archE1100ELNS1_3gpuE3ELNS1_3repE0EEENS1_30default_config_static_selectorELNS0_4arch9wavefront6targetE0EEEvT1_.num_agpr, 0
	.set _ZN7rocprim17ROCPRIM_400000_NS6detail17trampoline_kernelINS0_14default_configENS1_27scan_by_key_config_selectorIssEEZZNS1_16scan_by_key_implILNS1_25lookback_scan_determinismE0ELb1ES3_N6thrust23THRUST_200600_302600_NS6detail15normal_iteratorINS9_10device_ptrIsEEEESE_SE_sNS9_4plusIvEENS9_8equal_toIvEEsEE10hipError_tPvRmT2_T3_T4_T5_mT6_T7_P12ihipStream_tbENKUlT_T0_E_clISt17integral_constantIbLb1EESZ_EEDaSU_SV_EUlSU_E_NS1_11comp_targetILNS1_3genE9ELNS1_11target_archE1100ELNS1_3gpuE3ELNS1_3repE0EEENS1_30default_config_static_selectorELNS0_4arch9wavefront6targetE0EEEvT1_.numbered_sgpr, 0
	.set _ZN7rocprim17ROCPRIM_400000_NS6detail17trampoline_kernelINS0_14default_configENS1_27scan_by_key_config_selectorIssEEZZNS1_16scan_by_key_implILNS1_25lookback_scan_determinismE0ELb1ES3_N6thrust23THRUST_200600_302600_NS6detail15normal_iteratorINS9_10device_ptrIsEEEESE_SE_sNS9_4plusIvEENS9_8equal_toIvEEsEE10hipError_tPvRmT2_T3_T4_T5_mT6_T7_P12ihipStream_tbENKUlT_T0_E_clISt17integral_constantIbLb1EESZ_EEDaSU_SV_EUlSU_E_NS1_11comp_targetILNS1_3genE9ELNS1_11target_archE1100ELNS1_3gpuE3ELNS1_3repE0EEENS1_30default_config_static_selectorELNS0_4arch9wavefront6targetE0EEEvT1_.num_named_barrier, 0
	.set _ZN7rocprim17ROCPRIM_400000_NS6detail17trampoline_kernelINS0_14default_configENS1_27scan_by_key_config_selectorIssEEZZNS1_16scan_by_key_implILNS1_25lookback_scan_determinismE0ELb1ES3_N6thrust23THRUST_200600_302600_NS6detail15normal_iteratorINS9_10device_ptrIsEEEESE_SE_sNS9_4plusIvEENS9_8equal_toIvEEsEE10hipError_tPvRmT2_T3_T4_T5_mT6_T7_P12ihipStream_tbENKUlT_T0_E_clISt17integral_constantIbLb1EESZ_EEDaSU_SV_EUlSU_E_NS1_11comp_targetILNS1_3genE9ELNS1_11target_archE1100ELNS1_3gpuE3ELNS1_3repE0EEENS1_30default_config_static_selectorELNS0_4arch9wavefront6targetE0EEEvT1_.private_seg_size, 0
	.set _ZN7rocprim17ROCPRIM_400000_NS6detail17trampoline_kernelINS0_14default_configENS1_27scan_by_key_config_selectorIssEEZZNS1_16scan_by_key_implILNS1_25lookback_scan_determinismE0ELb1ES3_N6thrust23THRUST_200600_302600_NS6detail15normal_iteratorINS9_10device_ptrIsEEEESE_SE_sNS9_4plusIvEENS9_8equal_toIvEEsEE10hipError_tPvRmT2_T3_T4_T5_mT6_T7_P12ihipStream_tbENKUlT_T0_E_clISt17integral_constantIbLb1EESZ_EEDaSU_SV_EUlSU_E_NS1_11comp_targetILNS1_3genE9ELNS1_11target_archE1100ELNS1_3gpuE3ELNS1_3repE0EEENS1_30default_config_static_selectorELNS0_4arch9wavefront6targetE0EEEvT1_.uses_vcc, 0
	.set _ZN7rocprim17ROCPRIM_400000_NS6detail17trampoline_kernelINS0_14default_configENS1_27scan_by_key_config_selectorIssEEZZNS1_16scan_by_key_implILNS1_25lookback_scan_determinismE0ELb1ES3_N6thrust23THRUST_200600_302600_NS6detail15normal_iteratorINS9_10device_ptrIsEEEESE_SE_sNS9_4plusIvEENS9_8equal_toIvEEsEE10hipError_tPvRmT2_T3_T4_T5_mT6_T7_P12ihipStream_tbENKUlT_T0_E_clISt17integral_constantIbLb1EESZ_EEDaSU_SV_EUlSU_E_NS1_11comp_targetILNS1_3genE9ELNS1_11target_archE1100ELNS1_3gpuE3ELNS1_3repE0EEENS1_30default_config_static_selectorELNS0_4arch9wavefront6targetE0EEEvT1_.uses_flat_scratch, 0
	.set _ZN7rocprim17ROCPRIM_400000_NS6detail17trampoline_kernelINS0_14default_configENS1_27scan_by_key_config_selectorIssEEZZNS1_16scan_by_key_implILNS1_25lookback_scan_determinismE0ELb1ES3_N6thrust23THRUST_200600_302600_NS6detail15normal_iteratorINS9_10device_ptrIsEEEESE_SE_sNS9_4plusIvEENS9_8equal_toIvEEsEE10hipError_tPvRmT2_T3_T4_T5_mT6_T7_P12ihipStream_tbENKUlT_T0_E_clISt17integral_constantIbLb1EESZ_EEDaSU_SV_EUlSU_E_NS1_11comp_targetILNS1_3genE9ELNS1_11target_archE1100ELNS1_3gpuE3ELNS1_3repE0EEENS1_30default_config_static_selectorELNS0_4arch9wavefront6targetE0EEEvT1_.has_dyn_sized_stack, 0
	.set _ZN7rocprim17ROCPRIM_400000_NS6detail17trampoline_kernelINS0_14default_configENS1_27scan_by_key_config_selectorIssEEZZNS1_16scan_by_key_implILNS1_25lookback_scan_determinismE0ELb1ES3_N6thrust23THRUST_200600_302600_NS6detail15normal_iteratorINS9_10device_ptrIsEEEESE_SE_sNS9_4plusIvEENS9_8equal_toIvEEsEE10hipError_tPvRmT2_T3_T4_T5_mT6_T7_P12ihipStream_tbENKUlT_T0_E_clISt17integral_constantIbLb1EESZ_EEDaSU_SV_EUlSU_E_NS1_11comp_targetILNS1_3genE9ELNS1_11target_archE1100ELNS1_3gpuE3ELNS1_3repE0EEENS1_30default_config_static_selectorELNS0_4arch9wavefront6targetE0EEEvT1_.has_recursion, 0
	.set _ZN7rocprim17ROCPRIM_400000_NS6detail17trampoline_kernelINS0_14default_configENS1_27scan_by_key_config_selectorIssEEZZNS1_16scan_by_key_implILNS1_25lookback_scan_determinismE0ELb1ES3_N6thrust23THRUST_200600_302600_NS6detail15normal_iteratorINS9_10device_ptrIsEEEESE_SE_sNS9_4plusIvEENS9_8equal_toIvEEsEE10hipError_tPvRmT2_T3_T4_T5_mT6_T7_P12ihipStream_tbENKUlT_T0_E_clISt17integral_constantIbLb1EESZ_EEDaSU_SV_EUlSU_E_NS1_11comp_targetILNS1_3genE9ELNS1_11target_archE1100ELNS1_3gpuE3ELNS1_3repE0EEENS1_30default_config_static_selectorELNS0_4arch9wavefront6targetE0EEEvT1_.has_indirect_call, 0
	.section	.AMDGPU.csdata,"",@progbits
; Kernel info:
; codeLenInByte = 0
; TotalNumSgprs: 0
; NumVgprs: 0
; ScratchSize: 0
; MemoryBound: 0
; FloatMode: 240
; IeeeMode: 1
; LDSByteSize: 0 bytes/workgroup (compile time only)
; SGPRBlocks: 0
; VGPRBlocks: 0
; NumSGPRsForWavesPerEU: 1
; NumVGPRsForWavesPerEU: 1
; Occupancy: 16
; WaveLimiterHint : 0
; COMPUTE_PGM_RSRC2:SCRATCH_EN: 0
; COMPUTE_PGM_RSRC2:USER_SGPR: 6
; COMPUTE_PGM_RSRC2:TRAP_HANDLER: 0
; COMPUTE_PGM_RSRC2:TGID_X_EN: 1
; COMPUTE_PGM_RSRC2:TGID_Y_EN: 0
; COMPUTE_PGM_RSRC2:TGID_Z_EN: 0
; COMPUTE_PGM_RSRC2:TIDIG_COMP_CNT: 0
	.section	.text._ZN7rocprim17ROCPRIM_400000_NS6detail17trampoline_kernelINS0_14default_configENS1_27scan_by_key_config_selectorIssEEZZNS1_16scan_by_key_implILNS1_25lookback_scan_determinismE0ELb1ES3_N6thrust23THRUST_200600_302600_NS6detail15normal_iteratorINS9_10device_ptrIsEEEESE_SE_sNS9_4plusIvEENS9_8equal_toIvEEsEE10hipError_tPvRmT2_T3_T4_T5_mT6_T7_P12ihipStream_tbENKUlT_T0_E_clISt17integral_constantIbLb1EESZ_EEDaSU_SV_EUlSU_E_NS1_11comp_targetILNS1_3genE8ELNS1_11target_archE1030ELNS1_3gpuE2ELNS1_3repE0EEENS1_30default_config_static_selectorELNS0_4arch9wavefront6targetE0EEEvT1_,"axG",@progbits,_ZN7rocprim17ROCPRIM_400000_NS6detail17trampoline_kernelINS0_14default_configENS1_27scan_by_key_config_selectorIssEEZZNS1_16scan_by_key_implILNS1_25lookback_scan_determinismE0ELb1ES3_N6thrust23THRUST_200600_302600_NS6detail15normal_iteratorINS9_10device_ptrIsEEEESE_SE_sNS9_4plusIvEENS9_8equal_toIvEEsEE10hipError_tPvRmT2_T3_T4_T5_mT6_T7_P12ihipStream_tbENKUlT_T0_E_clISt17integral_constantIbLb1EESZ_EEDaSU_SV_EUlSU_E_NS1_11comp_targetILNS1_3genE8ELNS1_11target_archE1030ELNS1_3gpuE2ELNS1_3repE0EEENS1_30default_config_static_selectorELNS0_4arch9wavefront6targetE0EEEvT1_,comdat
	.protected	_ZN7rocprim17ROCPRIM_400000_NS6detail17trampoline_kernelINS0_14default_configENS1_27scan_by_key_config_selectorIssEEZZNS1_16scan_by_key_implILNS1_25lookback_scan_determinismE0ELb1ES3_N6thrust23THRUST_200600_302600_NS6detail15normal_iteratorINS9_10device_ptrIsEEEESE_SE_sNS9_4plusIvEENS9_8equal_toIvEEsEE10hipError_tPvRmT2_T3_T4_T5_mT6_T7_P12ihipStream_tbENKUlT_T0_E_clISt17integral_constantIbLb1EESZ_EEDaSU_SV_EUlSU_E_NS1_11comp_targetILNS1_3genE8ELNS1_11target_archE1030ELNS1_3gpuE2ELNS1_3repE0EEENS1_30default_config_static_selectorELNS0_4arch9wavefront6targetE0EEEvT1_ ; -- Begin function _ZN7rocprim17ROCPRIM_400000_NS6detail17trampoline_kernelINS0_14default_configENS1_27scan_by_key_config_selectorIssEEZZNS1_16scan_by_key_implILNS1_25lookback_scan_determinismE0ELb1ES3_N6thrust23THRUST_200600_302600_NS6detail15normal_iteratorINS9_10device_ptrIsEEEESE_SE_sNS9_4plusIvEENS9_8equal_toIvEEsEE10hipError_tPvRmT2_T3_T4_T5_mT6_T7_P12ihipStream_tbENKUlT_T0_E_clISt17integral_constantIbLb1EESZ_EEDaSU_SV_EUlSU_E_NS1_11comp_targetILNS1_3genE8ELNS1_11target_archE1030ELNS1_3gpuE2ELNS1_3repE0EEENS1_30default_config_static_selectorELNS0_4arch9wavefront6targetE0EEEvT1_
	.globl	_ZN7rocprim17ROCPRIM_400000_NS6detail17trampoline_kernelINS0_14default_configENS1_27scan_by_key_config_selectorIssEEZZNS1_16scan_by_key_implILNS1_25lookback_scan_determinismE0ELb1ES3_N6thrust23THRUST_200600_302600_NS6detail15normal_iteratorINS9_10device_ptrIsEEEESE_SE_sNS9_4plusIvEENS9_8equal_toIvEEsEE10hipError_tPvRmT2_T3_T4_T5_mT6_T7_P12ihipStream_tbENKUlT_T0_E_clISt17integral_constantIbLb1EESZ_EEDaSU_SV_EUlSU_E_NS1_11comp_targetILNS1_3genE8ELNS1_11target_archE1030ELNS1_3gpuE2ELNS1_3repE0EEENS1_30default_config_static_selectorELNS0_4arch9wavefront6targetE0EEEvT1_
	.p2align	8
	.type	_ZN7rocprim17ROCPRIM_400000_NS6detail17trampoline_kernelINS0_14default_configENS1_27scan_by_key_config_selectorIssEEZZNS1_16scan_by_key_implILNS1_25lookback_scan_determinismE0ELb1ES3_N6thrust23THRUST_200600_302600_NS6detail15normal_iteratorINS9_10device_ptrIsEEEESE_SE_sNS9_4plusIvEENS9_8equal_toIvEEsEE10hipError_tPvRmT2_T3_T4_T5_mT6_T7_P12ihipStream_tbENKUlT_T0_E_clISt17integral_constantIbLb1EESZ_EEDaSU_SV_EUlSU_E_NS1_11comp_targetILNS1_3genE8ELNS1_11target_archE1030ELNS1_3gpuE2ELNS1_3repE0EEENS1_30default_config_static_selectorELNS0_4arch9wavefront6targetE0EEEvT1_,@function
_ZN7rocprim17ROCPRIM_400000_NS6detail17trampoline_kernelINS0_14default_configENS1_27scan_by_key_config_selectorIssEEZZNS1_16scan_by_key_implILNS1_25lookback_scan_determinismE0ELb1ES3_N6thrust23THRUST_200600_302600_NS6detail15normal_iteratorINS9_10device_ptrIsEEEESE_SE_sNS9_4plusIvEENS9_8equal_toIvEEsEE10hipError_tPvRmT2_T3_T4_T5_mT6_T7_P12ihipStream_tbENKUlT_T0_E_clISt17integral_constantIbLb1EESZ_EEDaSU_SV_EUlSU_E_NS1_11comp_targetILNS1_3genE8ELNS1_11target_archE1030ELNS1_3gpuE2ELNS1_3repE0EEENS1_30default_config_static_selectorELNS0_4arch9wavefront6targetE0EEEvT1_: ; @_ZN7rocprim17ROCPRIM_400000_NS6detail17trampoline_kernelINS0_14default_configENS1_27scan_by_key_config_selectorIssEEZZNS1_16scan_by_key_implILNS1_25lookback_scan_determinismE0ELb1ES3_N6thrust23THRUST_200600_302600_NS6detail15normal_iteratorINS9_10device_ptrIsEEEESE_SE_sNS9_4plusIvEENS9_8equal_toIvEEsEE10hipError_tPvRmT2_T3_T4_T5_mT6_T7_P12ihipStream_tbENKUlT_T0_E_clISt17integral_constantIbLb1EESZ_EEDaSU_SV_EUlSU_E_NS1_11comp_targetILNS1_3genE8ELNS1_11target_archE1030ELNS1_3gpuE2ELNS1_3repE0EEENS1_30default_config_static_selectorELNS0_4arch9wavefront6targetE0EEEvT1_
; %bb.0:
	s_endpgm
	.section	.rodata,"a",@progbits
	.p2align	6, 0x0
	.amdhsa_kernel _ZN7rocprim17ROCPRIM_400000_NS6detail17trampoline_kernelINS0_14default_configENS1_27scan_by_key_config_selectorIssEEZZNS1_16scan_by_key_implILNS1_25lookback_scan_determinismE0ELb1ES3_N6thrust23THRUST_200600_302600_NS6detail15normal_iteratorINS9_10device_ptrIsEEEESE_SE_sNS9_4plusIvEENS9_8equal_toIvEEsEE10hipError_tPvRmT2_T3_T4_T5_mT6_T7_P12ihipStream_tbENKUlT_T0_E_clISt17integral_constantIbLb1EESZ_EEDaSU_SV_EUlSU_E_NS1_11comp_targetILNS1_3genE8ELNS1_11target_archE1030ELNS1_3gpuE2ELNS1_3repE0EEENS1_30default_config_static_selectorELNS0_4arch9wavefront6targetE0EEEvT1_
		.amdhsa_group_segment_fixed_size 0
		.amdhsa_private_segment_fixed_size 0
		.amdhsa_kernarg_size 112
		.amdhsa_user_sgpr_count 6
		.amdhsa_user_sgpr_private_segment_buffer 1
		.amdhsa_user_sgpr_dispatch_ptr 0
		.amdhsa_user_sgpr_queue_ptr 0
		.amdhsa_user_sgpr_kernarg_segment_ptr 1
		.amdhsa_user_sgpr_dispatch_id 0
		.amdhsa_user_sgpr_flat_scratch_init 0
		.amdhsa_user_sgpr_private_segment_size 0
		.amdhsa_wavefront_size32 1
		.amdhsa_uses_dynamic_stack 0
		.amdhsa_system_sgpr_private_segment_wavefront_offset 0
		.amdhsa_system_sgpr_workgroup_id_x 1
		.amdhsa_system_sgpr_workgroup_id_y 0
		.amdhsa_system_sgpr_workgroup_id_z 0
		.amdhsa_system_sgpr_workgroup_info 0
		.amdhsa_system_vgpr_workitem_id 0
		.amdhsa_next_free_vgpr 1
		.amdhsa_next_free_sgpr 1
		.amdhsa_reserve_vcc 0
		.amdhsa_reserve_flat_scratch 0
		.amdhsa_float_round_mode_32 0
		.amdhsa_float_round_mode_16_64 0
		.amdhsa_float_denorm_mode_32 3
		.amdhsa_float_denorm_mode_16_64 3
		.amdhsa_dx10_clamp 1
		.amdhsa_ieee_mode 1
		.amdhsa_fp16_overflow 0
		.amdhsa_workgroup_processor_mode 1
		.amdhsa_memory_ordered 1
		.amdhsa_forward_progress 1
		.amdhsa_shared_vgpr_count 0
		.amdhsa_exception_fp_ieee_invalid_op 0
		.amdhsa_exception_fp_denorm_src 0
		.amdhsa_exception_fp_ieee_div_zero 0
		.amdhsa_exception_fp_ieee_overflow 0
		.amdhsa_exception_fp_ieee_underflow 0
		.amdhsa_exception_fp_ieee_inexact 0
		.amdhsa_exception_int_div_zero 0
	.end_amdhsa_kernel
	.section	.text._ZN7rocprim17ROCPRIM_400000_NS6detail17trampoline_kernelINS0_14default_configENS1_27scan_by_key_config_selectorIssEEZZNS1_16scan_by_key_implILNS1_25lookback_scan_determinismE0ELb1ES3_N6thrust23THRUST_200600_302600_NS6detail15normal_iteratorINS9_10device_ptrIsEEEESE_SE_sNS9_4plusIvEENS9_8equal_toIvEEsEE10hipError_tPvRmT2_T3_T4_T5_mT6_T7_P12ihipStream_tbENKUlT_T0_E_clISt17integral_constantIbLb1EESZ_EEDaSU_SV_EUlSU_E_NS1_11comp_targetILNS1_3genE8ELNS1_11target_archE1030ELNS1_3gpuE2ELNS1_3repE0EEENS1_30default_config_static_selectorELNS0_4arch9wavefront6targetE0EEEvT1_,"axG",@progbits,_ZN7rocprim17ROCPRIM_400000_NS6detail17trampoline_kernelINS0_14default_configENS1_27scan_by_key_config_selectorIssEEZZNS1_16scan_by_key_implILNS1_25lookback_scan_determinismE0ELb1ES3_N6thrust23THRUST_200600_302600_NS6detail15normal_iteratorINS9_10device_ptrIsEEEESE_SE_sNS9_4plusIvEENS9_8equal_toIvEEsEE10hipError_tPvRmT2_T3_T4_T5_mT6_T7_P12ihipStream_tbENKUlT_T0_E_clISt17integral_constantIbLb1EESZ_EEDaSU_SV_EUlSU_E_NS1_11comp_targetILNS1_3genE8ELNS1_11target_archE1030ELNS1_3gpuE2ELNS1_3repE0EEENS1_30default_config_static_selectorELNS0_4arch9wavefront6targetE0EEEvT1_,comdat
.Lfunc_end586:
	.size	_ZN7rocprim17ROCPRIM_400000_NS6detail17trampoline_kernelINS0_14default_configENS1_27scan_by_key_config_selectorIssEEZZNS1_16scan_by_key_implILNS1_25lookback_scan_determinismE0ELb1ES3_N6thrust23THRUST_200600_302600_NS6detail15normal_iteratorINS9_10device_ptrIsEEEESE_SE_sNS9_4plusIvEENS9_8equal_toIvEEsEE10hipError_tPvRmT2_T3_T4_T5_mT6_T7_P12ihipStream_tbENKUlT_T0_E_clISt17integral_constantIbLb1EESZ_EEDaSU_SV_EUlSU_E_NS1_11comp_targetILNS1_3genE8ELNS1_11target_archE1030ELNS1_3gpuE2ELNS1_3repE0EEENS1_30default_config_static_selectorELNS0_4arch9wavefront6targetE0EEEvT1_, .Lfunc_end586-_ZN7rocprim17ROCPRIM_400000_NS6detail17trampoline_kernelINS0_14default_configENS1_27scan_by_key_config_selectorIssEEZZNS1_16scan_by_key_implILNS1_25lookback_scan_determinismE0ELb1ES3_N6thrust23THRUST_200600_302600_NS6detail15normal_iteratorINS9_10device_ptrIsEEEESE_SE_sNS9_4plusIvEENS9_8equal_toIvEEsEE10hipError_tPvRmT2_T3_T4_T5_mT6_T7_P12ihipStream_tbENKUlT_T0_E_clISt17integral_constantIbLb1EESZ_EEDaSU_SV_EUlSU_E_NS1_11comp_targetILNS1_3genE8ELNS1_11target_archE1030ELNS1_3gpuE2ELNS1_3repE0EEENS1_30default_config_static_selectorELNS0_4arch9wavefront6targetE0EEEvT1_
                                        ; -- End function
	.set _ZN7rocprim17ROCPRIM_400000_NS6detail17trampoline_kernelINS0_14default_configENS1_27scan_by_key_config_selectorIssEEZZNS1_16scan_by_key_implILNS1_25lookback_scan_determinismE0ELb1ES3_N6thrust23THRUST_200600_302600_NS6detail15normal_iteratorINS9_10device_ptrIsEEEESE_SE_sNS9_4plusIvEENS9_8equal_toIvEEsEE10hipError_tPvRmT2_T3_T4_T5_mT6_T7_P12ihipStream_tbENKUlT_T0_E_clISt17integral_constantIbLb1EESZ_EEDaSU_SV_EUlSU_E_NS1_11comp_targetILNS1_3genE8ELNS1_11target_archE1030ELNS1_3gpuE2ELNS1_3repE0EEENS1_30default_config_static_selectorELNS0_4arch9wavefront6targetE0EEEvT1_.num_vgpr, 0
	.set _ZN7rocprim17ROCPRIM_400000_NS6detail17trampoline_kernelINS0_14default_configENS1_27scan_by_key_config_selectorIssEEZZNS1_16scan_by_key_implILNS1_25lookback_scan_determinismE0ELb1ES3_N6thrust23THRUST_200600_302600_NS6detail15normal_iteratorINS9_10device_ptrIsEEEESE_SE_sNS9_4plusIvEENS9_8equal_toIvEEsEE10hipError_tPvRmT2_T3_T4_T5_mT6_T7_P12ihipStream_tbENKUlT_T0_E_clISt17integral_constantIbLb1EESZ_EEDaSU_SV_EUlSU_E_NS1_11comp_targetILNS1_3genE8ELNS1_11target_archE1030ELNS1_3gpuE2ELNS1_3repE0EEENS1_30default_config_static_selectorELNS0_4arch9wavefront6targetE0EEEvT1_.num_agpr, 0
	.set _ZN7rocprim17ROCPRIM_400000_NS6detail17trampoline_kernelINS0_14default_configENS1_27scan_by_key_config_selectorIssEEZZNS1_16scan_by_key_implILNS1_25lookback_scan_determinismE0ELb1ES3_N6thrust23THRUST_200600_302600_NS6detail15normal_iteratorINS9_10device_ptrIsEEEESE_SE_sNS9_4plusIvEENS9_8equal_toIvEEsEE10hipError_tPvRmT2_T3_T4_T5_mT6_T7_P12ihipStream_tbENKUlT_T0_E_clISt17integral_constantIbLb1EESZ_EEDaSU_SV_EUlSU_E_NS1_11comp_targetILNS1_3genE8ELNS1_11target_archE1030ELNS1_3gpuE2ELNS1_3repE0EEENS1_30default_config_static_selectorELNS0_4arch9wavefront6targetE0EEEvT1_.numbered_sgpr, 0
	.set _ZN7rocprim17ROCPRIM_400000_NS6detail17trampoline_kernelINS0_14default_configENS1_27scan_by_key_config_selectorIssEEZZNS1_16scan_by_key_implILNS1_25lookback_scan_determinismE0ELb1ES3_N6thrust23THRUST_200600_302600_NS6detail15normal_iteratorINS9_10device_ptrIsEEEESE_SE_sNS9_4plusIvEENS9_8equal_toIvEEsEE10hipError_tPvRmT2_T3_T4_T5_mT6_T7_P12ihipStream_tbENKUlT_T0_E_clISt17integral_constantIbLb1EESZ_EEDaSU_SV_EUlSU_E_NS1_11comp_targetILNS1_3genE8ELNS1_11target_archE1030ELNS1_3gpuE2ELNS1_3repE0EEENS1_30default_config_static_selectorELNS0_4arch9wavefront6targetE0EEEvT1_.num_named_barrier, 0
	.set _ZN7rocprim17ROCPRIM_400000_NS6detail17trampoline_kernelINS0_14default_configENS1_27scan_by_key_config_selectorIssEEZZNS1_16scan_by_key_implILNS1_25lookback_scan_determinismE0ELb1ES3_N6thrust23THRUST_200600_302600_NS6detail15normal_iteratorINS9_10device_ptrIsEEEESE_SE_sNS9_4plusIvEENS9_8equal_toIvEEsEE10hipError_tPvRmT2_T3_T4_T5_mT6_T7_P12ihipStream_tbENKUlT_T0_E_clISt17integral_constantIbLb1EESZ_EEDaSU_SV_EUlSU_E_NS1_11comp_targetILNS1_3genE8ELNS1_11target_archE1030ELNS1_3gpuE2ELNS1_3repE0EEENS1_30default_config_static_selectorELNS0_4arch9wavefront6targetE0EEEvT1_.private_seg_size, 0
	.set _ZN7rocprim17ROCPRIM_400000_NS6detail17trampoline_kernelINS0_14default_configENS1_27scan_by_key_config_selectorIssEEZZNS1_16scan_by_key_implILNS1_25lookback_scan_determinismE0ELb1ES3_N6thrust23THRUST_200600_302600_NS6detail15normal_iteratorINS9_10device_ptrIsEEEESE_SE_sNS9_4plusIvEENS9_8equal_toIvEEsEE10hipError_tPvRmT2_T3_T4_T5_mT6_T7_P12ihipStream_tbENKUlT_T0_E_clISt17integral_constantIbLb1EESZ_EEDaSU_SV_EUlSU_E_NS1_11comp_targetILNS1_3genE8ELNS1_11target_archE1030ELNS1_3gpuE2ELNS1_3repE0EEENS1_30default_config_static_selectorELNS0_4arch9wavefront6targetE0EEEvT1_.uses_vcc, 0
	.set _ZN7rocprim17ROCPRIM_400000_NS6detail17trampoline_kernelINS0_14default_configENS1_27scan_by_key_config_selectorIssEEZZNS1_16scan_by_key_implILNS1_25lookback_scan_determinismE0ELb1ES3_N6thrust23THRUST_200600_302600_NS6detail15normal_iteratorINS9_10device_ptrIsEEEESE_SE_sNS9_4plusIvEENS9_8equal_toIvEEsEE10hipError_tPvRmT2_T3_T4_T5_mT6_T7_P12ihipStream_tbENKUlT_T0_E_clISt17integral_constantIbLb1EESZ_EEDaSU_SV_EUlSU_E_NS1_11comp_targetILNS1_3genE8ELNS1_11target_archE1030ELNS1_3gpuE2ELNS1_3repE0EEENS1_30default_config_static_selectorELNS0_4arch9wavefront6targetE0EEEvT1_.uses_flat_scratch, 0
	.set _ZN7rocprim17ROCPRIM_400000_NS6detail17trampoline_kernelINS0_14default_configENS1_27scan_by_key_config_selectorIssEEZZNS1_16scan_by_key_implILNS1_25lookback_scan_determinismE0ELb1ES3_N6thrust23THRUST_200600_302600_NS6detail15normal_iteratorINS9_10device_ptrIsEEEESE_SE_sNS9_4plusIvEENS9_8equal_toIvEEsEE10hipError_tPvRmT2_T3_T4_T5_mT6_T7_P12ihipStream_tbENKUlT_T0_E_clISt17integral_constantIbLb1EESZ_EEDaSU_SV_EUlSU_E_NS1_11comp_targetILNS1_3genE8ELNS1_11target_archE1030ELNS1_3gpuE2ELNS1_3repE0EEENS1_30default_config_static_selectorELNS0_4arch9wavefront6targetE0EEEvT1_.has_dyn_sized_stack, 0
	.set _ZN7rocprim17ROCPRIM_400000_NS6detail17trampoline_kernelINS0_14default_configENS1_27scan_by_key_config_selectorIssEEZZNS1_16scan_by_key_implILNS1_25lookback_scan_determinismE0ELb1ES3_N6thrust23THRUST_200600_302600_NS6detail15normal_iteratorINS9_10device_ptrIsEEEESE_SE_sNS9_4plusIvEENS9_8equal_toIvEEsEE10hipError_tPvRmT2_T3_T4_T5_mT6_T7_P12ihipStream_tbENKUlT_T0_E_clISt17integral_constantIbLb1EESZ_EEDaSU_SV_EUlSU_E_NS1_11comp_targetILNS1_3genE8ELNS1_11target_archE1030ELNS1_3gpuE2ELNS1_3repE0EEENS1_30default_config_static_selectorELNS0_4arch9wavefront6targetE0EEEvT1_.has_recursion, 0
	.set _ZN7rocprim17ROCPRIM_400000_NS6detail17trampoline_kernelINS0_14default_configENS1_27scan_by_key_config_selectorIssEEZZNS1_16scan_by_key_implILNS1_25lookback_scan_determinismE0ELb1ES3_N6thrust23THRUST_200600_302600_NS6detail15normal_iteratorINS9_10device_ptrIsEEEESE_SE_sNS9_4plusIvEENS9_8equal_toIvEEsEE10hipError_tPvRmT2_T3_T4_T5_mT6_T7_P12ihipStream_tbENKUlT_T0_E_clISt17integral_constantIbLb1EESZ_EEDaSU_SV_EUlSU_E_NS1_11comp_targetILNS1_3genE8ELNS1_11target_archE1030ELNS1_3gpuE2ELNS1_3repE0EEENS1_30default_config_static_selectorELNS0_4arch9wavefront6targetE0EEEvT1_.has_indirect_call, 0
	.section	.AMDGPU.csdata,"",@progbits
; Kernel info:
; codeLenInByte = 4
; TotalNumSgprs: 0
; NumVgprs: 0
; ScratchSize: 0
; MemoryBound: 0
; FloatMode: 240
; IeeeMode: 1
; LDSByteSize: 0 bytes/workgroup (compile time only)
; SGPRBlocks: 0
; VGPRBlocks: 0
; NumSGPRsForWavesPerEU: 1
; NumVGPRsForWavesPerEU: 1
; Occupancy: 16
; WaveLimiterHint : 0
; COMPUTE_PGM_RSRC2:SCRATCH_EN: 0
; COMPUTE_PGM_RSRC2:USER_SGPR: 6
; COMPUTE_PGM_RSRC2:TRAP_HANDLER: 0
; COMPUTE_PGM_RSRC2:TGID_X_EN: 1
; COMPUTE_PGM_RSRC2:TGID_Y_EN: 0
; COMPUTE_PGM_RSRC2:TGID_Z_EN: 0
; COMPUTE_PGM_RSRC2:TIDIG_COMP_CNT: 0
	.section	.text._ZN7rocprim17ROCPRIM_400000_NS6detail17trampoline_kernelINS0_14default_configENS1_27scan_by_key_config_selectorIssEEZZNS1_16scan_by_key_implILNS1_25lookback_scan_determinismE0ELb1ES3_N6thrust23THRUST_200600_302600_NS6detail15normal_iteratorINS9_10device_ptrIsEEEESE_SE_sNS9_4plusIvEENS9_8equal_toIvEEsEE10hipError_tPvRmT2_T3_T4_T5_mT6_T7_P12ihipStream_tbENKUlT_T0_E_clISt17integral_constantIbLb1EESY_IbLb0EEEEDaSU_SV_EUlSU_E_NS1_11comp_targetILNS1_3genE0ELNS1_11target_archE4294967295ELNS1_3gpuE0ELNS1_3repE0EEENS1_30default_config_static_selectorELNS0_4arch9wavefront6targetE0EEEvT1_,"axG",@progbits,_ZN7rocprim17ROCPRIM_400000_NS6detail17trampoline_kernelINS0_14default_configENS1_27scan_by_key_config_selectorIssEEZZNS1_16scan_by_key_implILNS1_25lookback_scan_determinismE0ELb1ES3_N6thrust23THRUST_200600_302600_NS6detail15normal_iteratorINS9_10device_ptrIsEEEESE_SE_sNS9_4plusIvEENS9_8equal_toIvEEsEE10hipError_tPvRmT2_T3_T4_T5_mT6_T7_P12ihipStream_tbENKUlT_T0_E_clISt17integral_constantIbLb1EESY_IbLb0EEEEDaSU_SV_EUlSU_E_NS1_11comp_targetILNS1_3genE0ELNS1_11target_archE4294967295ELNS1_3gpuE0ELNS1_3repE0EEENS1_30default_config_static_selectorELNS0_4arch9wavefront6targetE0EEEvT1_,comdat
	.protected	_ZN7rocprim17ROCPRIM_400000_NS6detail17trampoline_kernelINS0_14default_configENS1_27scan_by_key_config_selectorIssEEZZNS1_16scan_by_key_implILNS1_25lookback_scan_determinismE0ELb1ES3_N6thrust23THRUST_200600_302600_NS6detail15normal_iteratorINS9_10device_ptrIsEEEESE_SE_sNS9_4plusIvEENS9_8equal_toIvEEsEE10hipError_tPvRmT2_T3_T4_T5_mT6_T7_P12ihipStream_tbENKUlT_T0_E_clISt17integral_constantIbLb1EESY_IbLb0EEEEDaSU_SV_EUlSU_E_NS1_11comp_targetILNS1_3genE0ELNS1_11target_archE4294967295ELNS1_3gpuE0ELNS1_3repE0EEENS1_30default_config_static_selectorELNS0_4arch9wavefront6targetE0EEEvT1_ ; -- Begin function _ZN7rocprim17ROCPRIM_400000_NS6detail17trampoline_kernelINS0_14default_configENS1_27scan_by_key_config_selectorIssEEZZNS1_16scan_by_key_implILNS1_25lookback_scan_determinismE0ELb1ES3_N6thrust23THRUST_200600_302600_NS6detail15normal_iteratorINS9_10device_ptrIsEEEESE_SE_sNS9_4plusIvEENS9_8equal_toIvEEsEE10hipError_tPvRmT2_T3_T4_T5_mT6_T7_P12ihipStream_tbENKUlT_T0_E_clISt17integral_constantIbLb1EESY_IbLb0EEEEDaSU_SV_EUlSU_E_NS1_11comp_targetILNS1_3genE0ELNS1_11target_archE4294967295ELNS1_3gpuE0ELNS1_3repE0EEENS1_30default_config_static_selectorELNS0_4arch9wavefront6targetE0EEEvT1_
	.globl	_ZN7rocprim17ROCPRIM_400000_NS6detail17trampoline_kernelINS0_14default_configENS1_27scan_by_key_config_selectorIssEEZZNS1_16scan_by_key_implILNS1_25lookback_scan_determinismE0ELb1ES3_N6thrust23THRUST_200600_302600_NS6detail15normal_iteratorINS9_10device_ptrIsEEEESE_SE_sNS9_4plusIvEENS9_8equal_toIvEEsEE10hipError_tPvRmT2_T3_T4_T5_mT6_T7_P12ihipStream_tbENKUlT_T0_E_clISt17integral_constantIbLb1EESY_IbLb0EEEEDaSU_SV_EUlSU_E_NS1_11comp_targetILNS1_3genE0ELNS1_11target_archE4294967295ELNS1_3gpuE0ELNS1_3repE0EEENS1_30default_config_static_selectorELNS0_4arch9wavefront6targetE0EEEvT1_
	.p2align	8
	.type	_ZN7rocprim17ROCPRIM_400000_NS6detail17trampoline_kernelINS0_14default_configENS1_27scan_by_key_config_selectorIssEEZZNS1_16scan_by_key_implILNS1_25lookback_scan_determinismE0ELb1ES3_N6thrust23THRUST_200600_302600_NS6detail15normal_iteratorINS9_10device_ptrIsEEEESE_SE_sNS9_4plusIvEENS9_8equal_toIvEEsEE10hipError_tPvRmT2_T3_T4_T5_mT6_T7_P12ihipStream_tbENKUlT_T0_E_clISt17integral_constantIbLb1EESY_IbLb0EEEEDaSU_SV_EUlSU_E_NS1_11comp_targetILNS1_3genE0ELNS1_11target_archE4294967295ELNS1_3gpuE0ELNS1_3repE0EEENS1_30default_config_static_selectorELNS0_4arch9wavefront6targetE0EEEvT1_,@function
_ZN7rocprim17ROCPRIM_400000_NS6detail17trampoline_kernelINS0_14default_configENS1_27scan_by_key_config_selectorIssEEZZNS1_16scan_by_key_implILNS1_25lookback_scan_determinismE0ELb1ES3_N6thrust23THRUST_200600_302600_NS6detail15normal_iteratorINS9_10device_ptrIsEEEESE_SE_sNS9_4plusIvEENS9_8equal_toIvEEsEE10hipError_tPvRmT2_T3_T4_T5_mT6_T7_P12ihipStream_tbENKUlT_T0_E_clISt17integral_constantIbLb1EESY_IbLb0EEEEDaSU_SV_EUlSU_E_NS1_11comp_targetILNS1_3genE0ELNS1_11target_archE4294967295ELNS1_3gpuE0ELNS1_3repE0EEENS1_30default_config_static_selectorELNS0_4arch9wavefront6targetE0EEEvT1_: ; @_ZN7rocprim17ROCPRIM_400000_NS6detail17trampoline_kernelINS0_14default_configENS1_27scan_by_key_config_selectorIssEEZZNS1_16scan_by_key_implILNS1_25lookback_scan_determinismE0ELb1ES3_N6thrust23THRUST_200600_302600_NS6detail15normal_iteratorINS9_10device_ptrIsEEEESE_SE_sNS9_4plusIvEENS9_8equal_toIvEEsEE10hipError_tPvRmT2_T3_T4_T5_mT6_T7_P12ihipStream_tbENKUlT_T0_E_clISt17integral_constantIbLb1EESY_IbLb0EEEEDaSU_SV_EUlSU_E_NS1_11comp_targetILNS1_3genE0ELNS1_11target_archE4294967295ELNS1_3gpuE0ELNS1_3repE0EEENS1_30default_config_static_selectorELNS0_4arch9wavefront6targetE0EEEvT1_
; %bb.0:
	.section	.rodata,"a",@progbits
	.p2align	6, 0x0
	.amdhsa_kernel _ZN7rocprim17ROCPRIM_400000_NS6detail17trampoline_kernelINS0_14default_configENS1_27scan_by_key_config_selectorIssEEZZNS1_16scan_by_key_implILNS1_25lookback_scan_determinismE0ELb1ES3_N6thrust23THRUST_200600_302600_NS6detail15normal_iteratorINS9_10device_ptrIsEEEESE_SE_sNS9_4plusIvEENS9_8equal_toIvEEsEE10hipError_tPvRmT2_T3_T4_T5_mT6_T7_P12ihipStream_tbENKUlT_T0_E_clISt17integral_constantIbLb1EESY_IbLb0EEEEDaSU_SV_EUlSU_E_NS1_11comp_targetILNS1_3genE0ELNS1_11target_archE4294967295ELNS1_3gpuE0ELNS1_3repE0EEENS1_30default_config_static_selectorELNS0_4arch9wavefront6targetE0EEEvT1_
		.amdhsa_group_segment_fixed_size 0
		.amdhsa_private_segment_fixed_size 0
		.amdhsa_kernarg_size 112
		.amdhsa_user_sgpr_count 6
		.amdhsa_user_sgpr_private_segment_buffer 1
		.amdhsa_user_sgpr_dispatch_ptr 0
		.amdhsa_user_sgpr_queue_ptr 0
		.amdhsa_user_sgpr_kernarg_segment_ptr 1
		.amdhsa_user_sgpr_dispatch_id 0
		.amdhsa_user_sgpr_flat_scratch_init 0
		.amdhsa_user_sgpr_private_segment_size 0
		.amdhsa_wavefront_size32 1
		.amdhsa_uses_dynamic_stack 0
		.amdhsa_system_sgpr_private_segment_wavefront_offset 0
		.amdhsa_system_sgpr_workgroup_id_x 1
		.amdhsa_system_sgpr_workgroup_id_y 0
		.amdhsa_system_sgpr_workgroup_id_z 0
		.amdhsa_system_sgpr_workgroup_info 0
		.amdhsa_system_vgpr_workitem_id 0
		.amdhsa_next_free_vgpr 1
		.amdhsa_next_free_sgpr 1
		.amdhsa_reserve_vcc 0
		.amdhsa_reserve_flat_scratch 0
		.amdhsa_float_round_mode_32 0
		.amdhsa_float_round_mode_16_64 0
		.amdhsa_float_denorm_mode_32 3
		.amdhsa_float_denorm_mode_16_64 3
		.amdhsa_dx10_clamp 1
		.amdhsa_ieee_mode 1
		.amdhsa_fp16_overflow 0
		.amdhsa_workgroup_processor_mode 1
		.amdhsa_memory_ordered 1
		.amdhsa_forward_progress 1
		.amdhsa_shared_vgpr_count 0
		.amdhsa_exception_fp_ieee_invalid_op 0
		.amdhsa_exception_fp_denorm_src 0
		.amdhsa_exception_fp_ieee_div_zero 0
		.amdhsa_exception_fp_ieee_overflow 0
		.amdhsa_exception_fp_ieee_underflow 0
		.amdhsa_exception_fp_ieee_inexact 0
		.amdhsa_exception_int_div_zero 0
	.end_amdhsa_kernel
	.section	.text._ZN7rocprim17ROCPRIM_400000_NS6detail17trampoline_kernelINS0_14default_configENS1_27scan_by_key_config_selectorIssEEZZNS1_16scan_by_key_implILNS1_25lookback_scan_determinismE0ELb1ES3_N6thrust23THRUST_200600_302600_NS6detail15normal_iteratorINS9_10device_ptrIsEEEESE_SE_sNS9_4plusIvEENS9_8equal_toIvEEsEE10hipError_tPvRmT2_T3_T4_T5_mT6_T7_P12ihipStream_tbENKUlT_T0_E_clISt17integral_constantIbLb1EESY_IbLb0EEEEDaSU_SV_EUlSU_E_NS1_11comp_targetILNS1_3genE0ELNS1_11target_archE4294967295ELNS1_3gpuE0ELNS1_3repE0EEENS1_30default_config_static_selectorELNS0_4arch9wavefront6targetE0EEEvT1_,"axG",@progbits,_ZN7rocprim17ROCPRIM_400000_NS6detail17trampoline_kernelINS0_14default_configENS1_27scan_by_key_config_selectorIssEEZZNS1_16scan_by_key_implILNS1_25lookback_scan_determinismE0ELb1ES3_N6thrust23THRUST_200600_302600_NS6detail15normal_iteratorINS9_10device_ptrIsEEEESE_SE_sNS9_4plusIvEENS9_8equal_toIvEEsEE10hipError_tPvRmT2_T3_T4_T5_mT6_T7_P12ihipStream_tbENKUlT_T0_E_clISt17integral_constantIbLb1EESY_IbLb0EEEEDaSU_SV_EUlSU_E_NS1_11comp_targetILNS1_3genE0ELNS1_11target_archE4294967295ELNS1_3gpuE0ELNS1_3repE0EEENS1_30default_config_static_selectorELNS0_4arch9wavefront6targetE0EEEvT1_,comdat
.Lfunc_end587:
	.size	_ZN7rocprim17ROCPRIM_400000_NS6detail17trampoline_kernelINS0_14default_configENS1_27scan_by_key_config_selectorIssEEZZNS1_16scan_by_key_implILNS1_25lookback_scan_determinismE0ELb1ES3_N6thrust23THRUST_200600_302600_NS6detail15normal_iteratorINS9_10device_ptrIsEEEESE_SE_sNS9_4plusIvEENS9_8equal_toIvEEsEE10hipError_tPvRmT2_T3_T4_T5_mT6_T7_P12ihipStream_tbENKUlT_T0_E_clISt17integral_constantIbLb1EESY_IbLb0EEEEDaSU_SV_EUlSU_E_NS1_11comp_targetILNS1_3genE0ELNS1_11target_archE4294967295ELNS1_3gpuE0ELNS1_3repE0EEENS1_30default_config_static_selectorELNS0_4arch9wavefront6targetE0EEEvT1_, .Lfunc_end587-_ZN7rocprim17ROCPRIM_400000_NS6detail17trampoline_kernelINS0_14default_configENS1_27scan_by_key_config_selectorIssEEZZNS1_16scan_by_key_implILNS1_25lookback_scan_determinismE0ELb1ES3_N6thrust23THRUST_200600_302600_NS6detail15normal_iteratorINS9_10device_ptrIsEEEESE_SE_sNS9_4plusIvEENS9_8equal_toIvEEsEE10hipError_tPvRmT2_T3_T4_T5_mT6_T7_P12ihipStream_tbENKUlT_T0_E_clISt17integral_constantIbLb1EESY_IbLb0EEEEDaSU_SV_EUlSU_E_NS1_11comp_targetILNS1_3genE0ELNS1_11target_archE4294967295ELNS1_3gpuE0ELNS1_3repE0EEENS1_30default_config_static_selectorELNS0_4arch9wavefront6targetE0EEEvT1_
                                        ; -- End function
	.set _ZN7rocprim17ROCPRIM_400000_NS6detail17trampoline_kernelINS0_14default_configENS1_27scan_by_key_config_selectorIssEEZZNS1_16scan_by_key_implILNS1_25lookback_scan_determinismE0ELb1ES3_N6thrust23THRUST_200600_302600_NS6detail15normal_iteratorINS9_10device_ptrIsEEEESE_SE_sNS9_4plusIvEENS9_8equal_toIvEEsEE10hipError_tPvRmT2_T3_T4_T5_mT6_T7_P12ihipStream_tbENKUlT_T0_E_clISt17integral_constantIbLb1EESY_IbLb0EEEEDaSU_SV_EUlSU_E_NS1_11comp_targetILNS1_3genE0ELNS1_11target_archE4294967295ELNS1_3gpuE0ELNS1_3repE0EEENS1_30default_config_static_selectorELNS0_4arch9wavefront6targetE0EEEvT1_.num_vgpr, 0
	.set _ZN7rocprim17ROCPRIM_400000_NS6detail17trampoline_kernelINS0_14default_configENS1_27scan_by_key_config_selectorIssEEZZNS1_16scan_by_key_implILNS1_25lookback_scan_determinismE0ELb1ES3_N6thrust23THRUST_200600_302600_NS6detail15normal_iteratorINS9_10device_ptrIsEEEESE_SE_sNS9_4plusIvEENS9_8equal_toIvEEsEE10hipError_tPvRmT2_T3_T4_T5_mT6_T7_P12ihipStream_tbENKUlT_T0_E_clISt17integral_constantIbLb1EESY_IbLb0EEEEDaSU_SV_EUlSU_E_NS1_11comp_targetILNS1_3genE0ELNS1_11target_archE4294967295ELNS1_3gpuE0ELNS1_3repE0EEENS1_30default_config_static_selectorELNS0_4arch9wavefront6targetE0EEEvT1_.num_agpr, 0
	.set _ZN7rocprim17ROCPRIM_400000_NS6detail17trampoline_kernelINS0_14default_configENS1_27scan_by_key_config_selectorIssEEZZNS1_16scan_by_key_implILNS1_25lookback_scan_determinismE0ELb1ES3_N6thrust23THRUST_200600_302600_NS6detail15normal_iteratorINS9_10device_ptrIsEEEESE_SE_sNS9_4plusIvEENS9_8equal_toIvEEsEE10hipError_tPvRmT2_T3_T4_T5_mT6_T7_P12ihipStream_tbENKUlT_T0_E_clISt17integral_constantIbLb1EESY_IbLb0EEEEDaSU_SV_EUlSU_E_NS1_11comp_targetILNS1_3genE0ELNS1_11target_archE4294967295ELNS1_3gpuE0ELNS1_3repE0EEENS1_30default_config_static_selectorELNS0_4arch9wavefront6targetE0EEEvT1_.numbered_sgpr, 0
	.set _ZN7rocprim17ROCPRIM_400000_NS6detail17trampoline_kernelINS0_14default_configENS1_27scan_by_key_config_selectorIssEEZZNS1_16scan_by_key_implILNS1_25lookback_scan_determinismE0ELb1ES3_N6thrust23THRUST_200600_302600_NS6detail15normal_iteratorINS9_10device_ptrIsEEEESE_SE_sNS9_4plusIvEENS9_8equal_toIvEEsEE10hipError_tPvRmT2_T3_T4_T5_mT6_T7_P12ihipStream_tbENKUlT_T0_E_clISt17integral_constantIbLb1EESY_IbLb0EEEEDaSU_SV_EUlSU_E_NS1_11comp_targetILNS1_3genE0ELNS1_11target_archE4294967295ELNS1_3gpuE0ELNS1_3repE0EEENS1_30default_config_static_selectorELNS0_4arch9wavefront6targetE0EEEvT1_.num_named_barrier, 0
	.set _ZN7rocprim17ROCPRIM_400000_NS6detail17trampoline_kernelINS0_14default_configENS1_27scan_by_key_config_selectorIssEEZZNS1_16scan_by_key_implILNS1_25lookback_scan_determinismE0ELb1ES3_N6thrust23THRUST_200600_302600_NS6detail15normal_iteratorINS9_10device_ptrIsEEEESE_SE_sNS9_4plusIvEENS9_8equal_toIvEEsEE10hipError_tPvRmT2_T3_T4_T5_mT6_T7_P12ihipStream_tbENKUlT_T0_E_clISt17integral_constantIbLb1EESY_IbLb0EEEEDaSU_SV_EUlSU_E_NS1_11comp_targetILNS1_3genE0ELNS1_11target_archE4294967295ELNS1_3gpuE0ELNS1_3repE0EEENS1_30default_config_static_selectorELNS0_4arch9wavefront6targetE0EEEvT1_.private_seg_size, 0
	.set _ZN7rocprim17ROCPRIM_400000_NS6detail17trampoline_kernelINS0_14default_configENS1_27scan_by_key_config_selectorIssEEZZNS1_16scan_by_key_implILNS1_25lookback_scan_determinismE0ELb1ES3_N6thrust23THRUST_200600_302600_NS6detail15normal_iteratorINS9_10device_ptrIsEEEESE_SE_sNS9_4plusIvEENS9_8equal_toIvEEsEE10hipError_tPvRmT2_T3_T4_T5_mT6_T7_P12ihipStream_tbENKUlT_T0_E_clISt17integral_constantIbLb1EESY_IbLb0EEEEDaSU_SV_EUlSU_E_NS1_11comp_targetILNS1_3genE0ELNS1_11target_archE4294967295ELNS1_3gpuE0ELNS1_3repE0EEENS1_30default_config_static_selectorELNS0_4arch9wavefront6targetE0EEEvT1_.uses_vcc, 0
	.set _ZN7rocprim17ROCPRIM_400000_NS6detail17trampoline_kernelINS0_14default_configENS1_27scan_by_key_config_selectorIssEEZZNS1_16scan_by_key_implILNS1_25lookback_scan_determinismE0ELb1ES3_N6thrust23THRUST_200600_302600_NS6detail15normal_iteratorINS9_10device_ptrIsEEEESE_SE_sNS9_4plusIvEENS9_8equal_toIvEEsEE10hipError_tPvRmT2_T3_T4_T5_mT6_T7_P12ihipStream_tbENKUlT_T0_E_clISt17integral_constantIbLb1EESY_IbLb0EEEEDaSU_SV_EUlSU_E_NS1_11comp_targetILNS1_3genE0ELNS1_11target_archE4294967295ELNS1_3gpuE0ELNS1_3repE0EEENS1_30default_config_static_selectorELNS0_4arch9wavefront6targetE0EEEvT1_.uses_flat_scratch, 0
	.set _ZN7rocprim17ROCPRIM_400000_NS6detail17trampoline_kernelINS0_14default_configENS1_27scan_by_key_config_selectorIssEEZZNS1_16scan_by_key_implILNS1_25lookback_scan_determinismE0ELb1ES3_N6thrust23THRUST_200600_302600_NS6detail15normal_iteratorINS9_10device_ptrIsEEEESE_SE_sNS9_4plusIvEENS9_8equal_toIvEEsEE10hipError_tPvRmT2_T3_T4_T5_mT6_T7_P12ihipStream_tbENKUlT_T0_E_clISt17integral_constantIbLb1EESY_IbLb0EEEEDaSU_SV_EUlSU_E_NS1_11comp_targetILNS1_3genE0ELNS1_11target_archE4294967295ELNS1_3gpuE0ELNS1_3repE0EEENS1_30default_config_static_selectorELNS0_4arch9wavefront6targetE0EEEvT1_.has_dyn_sized_stack, 0
	.set _ZN7rocprim17ROCPRIM_400000_NS6detail17trampoline_kernelINS0_14default_configENS1_27scan_by_key_config_selectorIssEEZZNS1_16scan_by_key_implILNS1_25lookback_scan_determinismE0ELb1ES3_N6thrust23THRUST_200600_302600_NS6detail15normal_iteratorINS9_10device_ptrIsEEEESE_SE_sNS9_4plusIvEENS9_8equal_toIvEEsEE10hipError_tPvRmT2_T3_T4_T5_mT6_T7_P12ihipStream_tbENKUlT_T0_E_clISt17integral_constantIbLb1EESY_IbLb0EEEEDaSU_SV_EUlSU_E_NS1_11comp_targetILNS1_3genE0ELNS1_11target_archE4294967295ELNS1_3gpuE0ELNS1_3repE0EEENS1_30default_config_static_selectorELNS0_4arch9wavefront6targetE0EEEvT1_.has_recursion, 0
	.set _ZN7rocprim17ROCPRIM_400000_NS6detail17trampoline_kernelINS0_14default_configENS1_27scan_by_key_config_selectorIssEEZZNS1_16scan_by_key_implILNS1_25lookback_scan_determinismE0ELb1ES3_N6thrust23THRUST_200600_302600_NS6detail15normal_iteratorINS9_10device_ptrIsEEEESE_SE_sNS9_4plusIvEENS9_8equal_toIvEEsEE10hipError_tPvRmT2_T3_T4_T5_mT6_T7_P12ihipStream_tbENKUlT_T0_E_clISt17integral_constantIbLb1EESY_IbLb0EEEEDaSU_SV_EUlSU_E_NS1_11comp_targetILNS1_3genE0ELNS1_11target_archE4294967295ELNS1_3gpuE0ELNS1_3repE0EEENS1_30default_config_static_selectorELNS0_4arch9wavefront6targetE0EEEvT1_.has_indirect_call, 0
	.section	.AMDGPU.csdata,"",@progbits
; Kernel info:
; codeLenInByte = 0
; TotalNumSgprs: 0
; NumVgprs: 0
; ScratchSize: 0
; MemoryBound: 0
; FloatMode: 240
; IeeeMode: 1
; LDSByteSize: 0 bytes/workgroup (compile time only)
; SGPRBlocks: 0
; VGPRBlocks: 0
; NumSGPRsForWavesPerEU: 1
; NumVGPRsForWavesPerEU: 1
; Occupancy: 16
; WaveLimiterHint : 0
; COMPUTE_PGM_RSRC2:SCRATCH_EN: 0
; COMPUTE_PGM_RSRC2:USER_SGPR: 6
; COMPUTE_PGM_RSRC2:TRAP_HANDLER: 0
; COMPUTE_PGM_RSRC2:TGID_X_EN: 1
; COMPUTE_PGM_RSRC2:TGID_Y_EN: 0
; COMPUTE_PGM_RSRC2:TGID_Z_EN: 0
; COMPUTE_PGM_RSRC2:TIDIG_COMP_CNT: 0
	.section	.text._ZN7rocprim17ROCPRIM_400000_NS6detail17trampoline_kernelINS0_14default_configENS1_27scan_by_key_config_selectorIssEEZZNS1_16scan_by_key_implILNS1_25lookback_scan_determinismE0ELb1ES3_N6thrust23THRUST_200600_302600_NS6detail15normal_iteratorINS9_10device_ptrIsEEEESE_SE_sNS9_4plusIvEENS9_8equal_toIvEEsEE10hipError_tPvRmT2_T3_T4_T5_mT6_T7_P12ihipStream_tbENKUlT_T0_E_clISt17integral_constantIbLb1EESY_IbLb0EEEEDaSU_SV_EUlSU_E_NS1_11comp_targetILNS1_3genE10ELNS1_11target_archE1201ELNS1_3gpuE5ELNS1_3repE0EEENS1_30default_config_static_selectorELNS0_4arch9wavefront6targetE0EEEvT1_,"axG",@progbits,_ZN7rocprim17ROCPRIM_400000_NS6detail17trampoline_kernelINS0_14default_configENS1_27scan_by_key_config_selectorIssEEZZNS1_16scan_by_key_implILNS1_25lookback_scan_determinismE0ELb1ES3_N6thrust23THRUST_200600_302600_NS6detail15normal_iteratorINS9_10device_ptrIsEEEESE_SE_sNS9_4plusIvEENS9_8equal_toIvEEsEE10hipError_tPvRmT2_T3_T4_T5_mT6_T7_P12ihipStream_tbENKUlT_T0_E_clISt17integral_constantIbLb1EESY_IbLb0EEEEDaSU_SV_EUlSU_E_NS1_11comp_targetILNS1_3genE10ELNS1_11target_archE1201ELNS1_3gpuE5ELNS1_3repE0EEENS1_30default_config_static_selectorELNS0_4arch9wavefront6targetE0EEEvT1_,comdat
	.protected	_ZN7rocprim17ROCPRIM_400000_NS6detail17trampoline_kernelINS0_14default_configENS1_27scan_by_key_config_selectorIssEEZZNS1_16scan_by_key_implILNS1_25lookback_scan_determinismE0ELb1ES3_N6thrust23THRUST_200600_302600_NS6detail15normal_iteratorINS9_10device_ptrIsEEEESE_SE_sNS9_4plusIvEENS9_8equal_toIvEEsEE10hipError_tPvRmT2_T3_T4_T5_mT6_T7_P12ihipStream_tbENKUlT_T0_E_clISt17integral_constantIbLb1EESY_IbLb0EEEEDaSU_SV_EUlSU_E_NS1_11comp_targetILNS1_3genE10ELNS1_11target_archE1201ELNS1_3gpuE5ELNS1_3repE0EEENS1_30default_config_static_selectorELNS0_4arch9wavefront6targetE0EEEvT1_ ; -- Begin function _ZN7rocprim17ROCPRIM_400000_NS6detail17trampoline_kernelINS0_14default_configENS1_27scan_by_key_config_selectorIssEEZZNS1_16scan_by_key_implILNS1_25lookback_scan_determinismE0ELb1ES3_N6thrust23THRUST_200600_302600_NS6detail15normal_iteratorINS9_10device_ptrIsEEEESE_SE_sNS9_4plusIvEENS9_8equal_toIvEEsEE10hipError_tPvRmT2_T3_T4_T5_mT6_T7_P12ihipStream_tbENKUlT_T0_E_clISt17integral_constantIbLb1EESY_IbLb0EEEEDaSU_SV_EUlSU_E_NS1_11comp_targetILNS1_3genE10ELNS1_11target_archE1201ELNS1_3gpuE5ELNS1_3repE0EEENS1_30default_config_static_selectorELNS0_4arch9wavefront6targetE0EEEvT1_
	.globl	_ZN7rocprim17ROCPRIM_400000_NS6detail17trampoline_kernelINS0_14default_configENS1_27scan_by_key_config_selectorIssEEZZNS1_16scan_by_key_implILNS1_25lookback_scan_determinismE0ELb1ES3_N6thrust23THRUST_200600_302600_NS6detail15normal_iteratorINS9_10device_ptrIsEEEESE_SE_sNS9_4plusIvEENS9_8equal_toIvEEsEE10hipError_tPvRmT2_T3_T4_T5_mT6_T7_P12ihipStream_tbENKUlT_T0_E_clISt17integral_constantIbLb1EESY_IbLb0EEEEDaSU_SV_EUlSU_E_NS1_11comp_targetILNS1_3genE10ELNS1_11target_archE1201ELNS1_3gpuE5ELNS1_3repE0EEENS1_30default_config_static_selectorELNS0_4arch9wavefront6targetE0EEEvT1_
	.p2align	8
	.type	_ZN7rocprim17ROCPRIM_400000_NS6detail17trampoline_kernelINS0_14default_configENS1_27scan_by_key_config_selectorIssEEZZNS1_16scan_by_key_implILNS1_25lookback_scan_determinismE0ELb1ES3_N6thrust23THRUST_200600_302600_NS6detail15normal_iteratorINS9_10device_ptrIsEEEESE_SE_sNS9_4plusIvEENS9_8equal_toIvEEsEE10hipError_tPvRmT2_T3_T4_T5_mT6_T7_P12ihipStream_tbENKUlT_T0_E_clISt17integral_constantIbLb1EESY_IbLb0EEEEDaSU_SV_EUlSU_E_NS1_11comp_targetILNS1_3genE10ELNS1_11target_archE1201ELNS1_3gpuE5ELNS1_3repE0EEENS1_30default_config_static_selectorELNS0_4arch9wavefront6targetE0EEEvT1_,@function
_ZN7rocprim17ROCPRIM_400000_NS6detail17trampoline_kernelINS0_14default_configENS1_27scan_by_key_config_selectorIssEEZZNS1_16scan_by_key_implILNS1_25lookback_scan_determinismE0ELb1ES3_N6thrust23THRUST_200600_302600_NS6detail15normal_iteratorINS9_10device_ptrIsEEEESE_SE_sNS9_4plusIvEENS9_8equal_toIvEEsEE10hipError_tPvRmT2_T3_T4_T5_mT6_T7_P12ihipStream_tbENKUlT_T0_E_clISt17integral_constantIbLb1EESY_IbLb0EEEEDaSU_SV_EUlSU_E_NS1_11comp_targetILNS1_3genE10ELNS1_11target_archE1201ELNS1_3gpuE5ELNS1_3repE0EEENS1_30default_config_static_selectorELNS0_4arch9wavefront6targetE0EEEvT1_: ; @_ZN7rocprim17ROCPRIM_400000_NS6detail17trampoline_kernelINS0_14default_configENS1_27scan_by_key_config_selectorIssEEZZNS1_16scan_by_key_implILNS1_25lookback_scan_determinismE0ELb1ES3_N6thrust23THRUST_200600_302600_NS6detail15normal_iteratorINS9_10device_ptrIsEEEESE_SE_sNS9_4plusIvEENS9_8equal_toIvEEsEE10hipError_tPvRmT2_T3_T4_T5_mT6_T7_P12ihipStream_tbENKUlT_T0_E_clISt17integral_constantIbLb1EESY_IbLb0EEEEDaSU_SV_EUlSU_E_NS1_11comp_targetILNS1_3genE10ELNS1_11target_archE1201ELNS1_3gpuE5ELNS1_3repE0EEENS1_30default_config_static_selectorELNS0_4arch9wavefront6targetE0EEEvT1_
; %bb.0:
	.section	.rodata,"a",@progbits
	.p2align	6, 0x0
	.amdhsa_kernel _ZN7rocprim17ROCPRIM_400000_NS6detail17trampoline_kernelINS0_14default_configENS1_27scan_by_key_config_selectorIssEEZZNS1_16scan_by_key_implILNS1_25lookback_scan_determinismE0ELb1ES3_N6thrust23THRUST_200600_302600_NS6detail15normal_iteratorINS9_10device_ptrIsEEEESE_SE_sNS9_4plusIvEENS9_8equal_toIvEEsEE10hipError_tPvRmT2_T3_T4_T5_mT6_T7_P12ihipStream_tbENKUlT_T0_E_clISt17integral_constantIbLb1EESY_IbLb0EEEEDaSU_SV_EUlSU_E_NS1_11comp_targetILNS1_3genE10ELNS1_11target_archE1201ELNS1_3gpuE5ELNS1_3repE0EEENS1_30default_config_static_selectorELNS0_4arch9wavefront6targetE0EEEvT1_
		.amdhsa_group_segment_fixed_size 0
		.amdhsa_private_segment_fixed_size 0
		.amdhsa_kernarg_size 112
		.amdhsa_user_sgpr_count 6
		.amdhsa_user_sgpr_private_segment_buffer 1
		.amdhsa_user_sgpr_dispatch_ptr 0
		.amdhsa_user_sgpr_queue_ptr 0
		.amdhsa_user_sgpr_kernarg_segment_ptr 1
		.amdhsa_user_sgpr_dispatch_id 0
		.amdhsa_user_sgpr_flat_scratch_init 0
		.amdhsa_user_sgpr_private_segment_size 0
		.amdhsa_wavefront_size32 1
		.amdhsa_uses_dynamic_stack 0
		.amdhsa_system_sgpr_private_segment_wavefront_offset 0
		.amdhsa_system_sgpr_workgroup_id_x 1
		.amdhsa_system_sgpr_workgroup_id_y 0
		.amdhsa_system_sgpr_workgroup_id_z 0
		.amdhsa_system_sgpr_workgroup_info 0
		.amdhsa_system_vgpr_workitem_id 0
		.amdhsa_next_free_vgpr 1
		.amdhsa_next_free_sgpr 1
		.amdhsa_reserve_vcc 0
		.amdhsa_reserve_flat_scratch 0
		.amdhsa_float_round_mode_32 0
		.amdhsa_float_round_mode_16_64 0
		.amdhsa_float_denorm_mode_32 3
		.amdhsa_float_denorm_mode_16_64 3
		.amdhsa_dx10_clamp 1
		.amdhsa_ieee_mode 1
		.amdhsa_fp16_overflow 0
		.amdhsa_workgroup_processor_mode 1
		.amdhsa_memory_ordered 1
		.amdhsa_forward_progress 1
		.amdhsa_shared_vgpr_count 0
		.amdhsa_exception_fp_ieee_invalid_op 0
		.amdhsa_exception_fp_denorm_src 0
		.amdhsa_exception_fp_ieee_div_zero 0
		.amdhsa_exception_fp_ieee_overflow 0
		.amdhsa_exception_fp_ieee_underflow 0
		.amdhsa_exception_fp_ieee_inexact 0
		.amdhsa_exception_int_div_zero 0
	.end_amdhsa_kernel
	.section	.text._ZN7rocprim17ROCPRIM_400000_NS6detail17trampoline_kernelINS0_14default_configENS1_27scan_by_key_config_selectorIssEEZZNS1_16scan_by_key_implILNS1_25lookback_scan_determinismE0ELb1ES3_N6thrust23THRUST_200600_302600_NS6detail15normal_iteratorINS9_10device_ptrIsEEEESE_SE_sNS9_4plusIvEENS9_8equal_toIvEEsEE10hipError_tPvRmT2_T3_T4_T5_mT6_T7_P12ihipStream_tbENKUlT_T0_E_clISt17integral_constantIbLb1EESY_IbLb0EEEEDaSU_SV_EUlSU_E_NS1_11comp_targetILNS1_3genE10ELNS1_11target_archE1201ELNS1_3gpuE5ELNS1_3repE0EEENS1_30default_config_static_selectorELNS0_4arch9wavefront6targetE0EEEvT1_,"axG",@progbits,_ZN7rocprim17ROCPRIM_400000_NS6detail17trampoline_kernelINS0_14default_configENS1_27scan_by_key_config_selectorIssEEZZNS1_16scan_by_key_implILNS1_25lookback_scan_determinismE0ELb1ES3_N6thrust23THRUST_200600_302600_NS6detail15normal_iteratorINS9_10device_ptrIsEEEESE_SE_sNS9_4plusIvEENS9_8equal_toIvEEsEE10hipError_tPvRmT2_T3_T4_T5_mT6_T7_P12ihipStream_tbENKUlT_T0_E_clISt17integral_constantIbLb1EESY_IbLb0EEEEDaSU_SV_EUlSU_E_NS1_11comp_targetILNS1_3genE10ELNS1_11target_archE1201ELNS1_3gpuE5ELNS1_3repE0EEENS1_30default_config_static_selectorELNS0_4arch9wavefront6targetE0EEEvT1_,comdat
.Lfunc_end588:
	.size	_ZN7rocprim17ROCPRIM_400000_NS6detail17trampoline_kernelINS0_14default_configENS1_27scan_by_key_config_selectorIssEEZZNS1_16scan_by_key_implILNS1_25lookback_scan_determinismE0ELb1ES3_N6thrust23THRUST_200600_302600_NS6detail15normal_iteratorINS9_10device_ptrIsEEEESE_SE_sNS9_4plusIvEENS9_8equal_toIvEEsEE10hipError_tPvRmT2_T3_T4_T5_mT6_T7_P12ihipStream_tbENKUlT_T0_E_clISt17integral_constantIbLb1EESY_IbLb0EEEEDaSU_SV_EUlSU_E_NS1_11comp_targetILNS1_3genE10ELNS1_11target_archE1201ELNS1_3gpuE5ELNS1_3repE0EEENS1_30default_config_static_selectorELNS0_4arch9wavefront6targetE0EEEvT1_, .Lfunc_end588-_ZN7rocprim17ROCPRIM_400000_NS6detail17trampoline_kernelINS0_14default_configENS1_27scan_by_key_config_selectorIssEEZZNS1_16scan_by_key_implILNS1_25lookback_scan_determinismE0ELb1ES3_N6thrust23THRUST_200600_302600_NS6detail15normal_iteratorINS9_10device_ptrIsEEEESE_SE_sNS9_4plusIvEENS9_8equal_toIvEEsEE10hipError_tPvRmT2_T3_T4_T5_mT6_T7_P12ihipStream_tbENKUlT_T0_E_clISt17integral_constantIbLb1EESY_IbLb0EEEEDaSU_SV_EUlSU_E_NS1_11comp_targetILNS1_3genE10ELNS1_11target_archE1201ELNS1_3gpuE5ELNS1_3repE0EEENS1_30default_config_static_selectorELNS0_4arch9wavefront6targetE0EEEvT1_
                                        ; -- End function
	.set _ZN7rocprim17ROCPRIM_400000_NS6detail17trampoline_kernelINS0_14default_configENS1_27scan_by_key_config_selectorIssEEZZNS1_16scan_by_key_implILNS1_25lookback_scan_determinismE0ELb1ES3_N6thrust23THRUST_200600_302600_NS6detail15normal_iteratorINS9_10device_ptrIsEEEESE_SE_sNS9_4plusIvEENS9_8equal_toIvEEsEE10hipError_tPvRmT2_T3_T4_T5_mT6_T7_P12ihipStream_tbENKUlT_T0_E_clISt17integral_constantIbLb1EESY_IbLb0EEEEDaSU_SV_EUlSU_E_NS1_11comp_targetILNS1_3genE10ELNS1_11target_archE1201ELNS1_3gpuE5ELNS1_3repE0EEENS1_30default_config_static_selectorELNS0_4arch9wavefront6targetE0EEEvT1_.num_vgpr, 0
	.set _ZN7rocprim17ROCPRIM_400000_NS6detail17trampoline_kernelINS0_14default_configENS1_27scan_by_key_config_selectorIssEEZZNS1_16scan_by_key_implILNS1_25lookback_scan_determinismE0ELb1ES3_N6thrust23THRUST_200600_302600_NS6detail15normal_iteratorINS9_10device_ptrIsEEEESE_SE_sNS9_4plusIvEENS9_8equal_toIvEEsEE10hipError_tPvRmT2_T3_T4_T5_mT6_T7_P12ihipStream_tbENKUlT_T0_E_clISt17integral_constantIbLb1EESY_IbLb0EEEEDaSU_SV_EUlSU_E_NS1_11comp_targetILNS1_3genE10ELNS1_11target_archE1201ELNS1_3gpuE5ELNS1_3repE0EEENS1_30default_config_static_selectorELNS0_4arch9wavefront6targetE0EEEvT1_.num_agpr, 0
	.set _ZN7rocprim17ROCPRIM_400000_NS6detail17trampoline_kernelINS0_14default_configENS1_27scan_by_key_config_selectorIssEEZZNS1_16scan_by_key_implILNS1_25lookback_scan_determinismE0ELb1ES3_N6thrust23THRUST_200600_302600_NS6detail15normal_iteratorINS9_10device_ptrIsEEEESE_SE_sNS9_4plusIvEENS9_8equal_toIvEEsEE10hipError_tPvRmT2_T3_T4_T5_mT6_T7_P12ihipStream_tbENKUlT_T0_E_clISt17integral_constantIbLb1EESY_IbLb0EEEEDaSU_SV_EUlSU_E_NS1_11comp_targetILNS1_3genE10ELNS1_11target_archE1201ELNS1_3gpuE5ELNS1_3repE0EEENS1_30default_config_static_selectorELNS0_4arch9wavefront6targetE0EEEvT1_.numbered_sgpr, 0
	.set _ZN7rocprim17ROCPRIM_400000_NS6detail17trampoline_kernelINS0_14default_configENS1_27scan_by_key_config_selectorIssEEZZNS1_16scan_by_key_implILNS1_25lookback_scan_determinismE0ELb1ES3_N6thrust23THRUST_200600_302600_NS6detail15normal_iteratorINS9_10device_ptrIsEEEESE_SE_sNS9_4plusIvEENS9_8equal_toIvEEsEE10hipError_tPvRmT2_T3_T4_T5_mT6_T7_P12ihipStream_tbENKUlT_T0_E_clISt17integral_constantIbLb1EESY_IbLb0EEEEDaSU_SV_EUlSU_E_NS1_11comp_targetILNS1_3genE10ELNS1_11target_archE1201ELNS1_3gpuE5ELNS1_3repE0EEENS1_30default_config_static_selectorELNS0_4arch9wavefront6targetE0EEEvT1_.num_named_barrier, 0
	.set _ZN7rocprim17ROCPRIM_400000_NS6detail17trampoline_kernelINS0_14default_configENS1_27scan_by_key_config_selectorIssEEZZNS1_16scan_by_key_implILNS1_25lookback_scan_determinismE0ELb1ES3_N6thrust23THRUST_200600_302600_NS6detail15normal_iteratorINS9_10device_ptrIsEEEESE_SE_sNS9_4plusIvEENS9_8equal_toIvEEsEE10hipError_tPvRmT2_T3_T4_T5_mT6_T7_P12ihipStream_tbENKUlT_T0_E_clISt17integral_constantIbLb1EESY_IbLb0EEEEDaSU_SV_EUlSU_E_NS1_11comp_targetILNS1_3genE10ELNS1_11target_archE1201ELNS1_3gpuE5ELNS1_3repE0EEENS1_30default_config_static_selectorELNS0_4arch9wavefront6targetE0EEEvT1_.private_seg_size, 0
	.set _ZN7rocprim17ROCPRIM_400000_NS6detail17trampoline_kernelINS0_14default_configENS1_27scan_by_key_config_selectorIssEEZZNS1_16scan_by_key_implILNS1_25lookback_scan_determinismE0ELb1ES3_N6thrust23THRUST_200600_302600_NS6detail15normal_iteratorINS9_10device_ptrIsEEEESE_SE_sNS9_4plusIvEENS9_8equal_toIvEEsEE10hipError_tPvRmT2_T3_T4_T5_mT6_T7_P12ihipStream_tbENKUlT_T0_E_clISt17integral_constantIbLb1EESY_IbLb0EEEEDaSU_SV_EUlSU_E_NS1_11comp_targetILNS1_3genE10ELNS1_11target_archE1201ELNS1_3gpuE5ELNS1_3repE0EEENS1_30default_config_static_selectorELNS0_4arch9wavefront6targetE0EEEvT1_.uses_vcc, 0
	.set _ZN7rocprim17ROCPRIM_400000_NS6detail17trampoline_kernelINS0_14default_configENS1_27scan_by_key_config_selectorIssEEZZNS1_16scan_by_key_implILNS1_25lookback_scan_determinismE0ELb1ES3_N6thrust23THRUST_200600_302600_NS6detail15normal_iteratorINS9_10device_ptrIsEEEESE_SE_sNS9_4plusIvEENS9_8equal_toIvEEsEE10hipError_tPvRmT2_T3_T4_T5_mT6_T7_P12ihipStream_tbENKUlT_T0_E_clISt17integral_constantIbLb1EESY_IbLb0EEEEDaSU_SV_EUlSU_E_NS1_11comp_targetILNS1_3genE10ELNS1_11target_archE1201ELNS1_3gpuE5ELNS1_3repE0EEENS1_30default_config_static_selectorELNS0_4arch9wavefront6targetE0EEEvT1_.uses_flat_scratch, 0
	.set _ZN7rocprim17ROCPRIM_400000_NS6detail17trampoline_kernelINS0_14default_configENS1_27scan_by_key_config_selectorIssEEZZNS1_16scan_by_key_implILNS1_25lookback_scan_determinismE0ELb1ES3_N6thrust23THRUST_200600_302600_NS6detail15normal_iteratorINS9_10device_ptrIsEEEESE_SE_sNS9_4plusIvEENS9_8equal_toIvEEsEE10hipError_tPvRmT2_T3_T4_T5_mT6_T7_P12ihipStream_tbENKUlT_T0_E_clISt17integral_constantIbLb1EESY_IbLb0EEEEDaSU_SV_EUlSU_E_NS1_11comp_targetILNS1_3genE10ELNS1_11target_archE1201ELNS1_3gpuE5ELNS1_3repE0EEENS1_30default_config_static_selectorELNS0_4arch9wavefront6targetE0EEEvT1_.has_dyn_sized_stack, 0
	.set _ZN7rocprim17ROCPRIM_400000_NS6detail17trampoline_kernelINS0_14default_configENS1_27scan_by_key_config_selectorIssEEZZNS1_16scan_by_key_implILNS1_25lookback_scan_determinismE0ELb1ES3_N6thrust23THRUST_200600_302600_NS6detail15normal_iteratorINS9_10device_ptrIsEEEESE_SE_sNS9_4plusIvEENS9_8equal_toIvEEsEE10hipError_tPvRmT2_T3_T4_T5_mT6_T7_P12ihipStream_tbENKUlT_T0_E_clISt17integral_constantIbLb1EESY_IbLb0EEEEDaSU_SV_EUlSU_E_NS1_11comp_targetILNS1_3genE10ELNS1_11target_archE1201ELNS1_3gpuE5ELNS1_3repE0EEENS1_30default_config_static_selectorELNS0_4arch9wavefront6targetE0EEEvT1_.has_recursion, 0
	.set _ZN7rocprim17ROCPRIM_400000_NS6detail17trampoline_kernelINS0_14default_configENS1_27scan_by_key_config_selectorIssEEZZNS1_16scan_by_key_implILNS1_25lookback_scan_determinismE0ELb1ES3_N6thrust23THRUST_200600_302600_NS6detail15normal_iteratorINS9_10device_ptrIsEEEESE_SE_sNS9_4plusIvEENS9_8equal_toIvEEsEE10hipError_tPvRmT2_T3_T4_T5_mT6_T7_P12ihipStream_tbENKUlT_T0_E_clISt17integral_constantIbLb1EESY_IbLb0EEEEDaSU_SV_EUlSU_E_NS1_11comp_targetILNS1_3genE10ELNS1_11target_archE1201ELNS1_3gpuE5ELNS1_3repE0EEENS1_30default_config_static_selectorELNS0_4arch9wavefront6targetE0EEEvT1_.has_indirect_call, 0
	.section	.AMDGPU.csdata,"",@progbits
; Kernel info:
; codeLenInByte = 0
; TotalNumSgprs: 0
; NumVgprs: 0
; ScratchSize: 0
; MemoryBound: 0
; FloatMode: 240
; IeeeMode: 1
; LDSByteSize: 0 bytes/workgroup (compile time only)
; SGPRBlocks: 0
; VGPRBlocks: 0
; NumSGPRsForWavesPerEU: 1
; NumVGPRsForWavesPerEU: 1
; Occupancy: 16
; WaveLimiterHint : 0
; COMPUTE_PGM_RSRC2:SCRATCH_EN: 0
; COMPUTE_PGM_RSRC2:USER_SGPR: 6
; COMPUTE_PGM_RSRC2:TRAP_HANDLER: 0
; COMPUTE_PGM_RSRC2:TGID_X_EN: 1
; COMPUTE_PGM_RSRC2:TGID_Y_EN: 0
; COMPUTE_PGM_RSRC2:TGID_Z_EN: 0
; COMPUTE_PGM_RSRC2:TIDIG_COMP_CNT: 0
	.section	.text._ZN7rocprim17ROCPRIM_400000_NS6detail17trampoline_kernelINS0_14default_configENS1_27scan_by_key_config_selectorIssEEZZNS1_16scan_by_key_implILNS1_25lookback_scan_determinismE0ELb1ES3_N6thrust23THRUST_200600_302600_NS6detail15normal_iteratorINS9_10device_ptrIsEEEESE_SE_sNS9_4plusIvEENS9_8equal_toIvEEsEE10hipError_tPvRmT2_T3_T4_T5_mT6_T7_P12ihipStream_tbENKUlT_T0_E_clISt17integral_constantIbLb1EESY_IbLb0EEEEDaSU_SV_EUlSU_E_NS1_11comp_targetILNS1_3genE5ELNS1_11target_archE942ELNS1_3gpuE9ELNS1_3repE0EEENS1_30default_config_static_selectorELNS0_4arch9wavefront6targetE0EEEvT1_,"axG",@progbits,_ZN7rocprim17ROCPRIM_400000_NS6detail17trampoline_kernelINS0_14default_configENS1_27scan_by_key_config_selectorIssEEZZNS1_16scan_by_key_implILNS1_25lookback_scan_determinismE0ELb1ES3_N6thrust23THRUST_200600_302600_NS6detail15normal_iteratorINS9_10device_ptrIsEEEESE_SE_sNS9_4plusIvEENS9_8equal_toIvEEsEE10hipError_tPvRmT2_T3_T4_T5_mT6_T7_P12ihipStream_tbENKUlT_T0_E_clISt17integral_constantIbLb1EESY_IbLb0EEEEDaSU_SV_EUlSU_E_NS1_11comp_targetILNS1_3genE5ELNS1_11target_archE942ELNS1_3gpuE9ELNS1_3repE0EEENS1_30default_config_static_selectorELNS0_4arch9wavefront6targetE0EEEvT1_,comdat
	.protected	_ZN7rocprim17ROCPRIM_400000_NS6detail17trampoline_kernelINS0_14default_configENS1_27scan_by_key_config_selectorIssEEZZNS1_16scan_by_key_implILNS1_25lookback_scan_determinismE0ELb1ES3_N6thrust23THRUST_200600_302600_NS6detail15normal_iteratorINS9_10device_ptrIsEEEESE_SE_sNS9_4plusIvEENS9_8equal_toIvEEsEE10hipError_tPvRmT2_T3_T4_T5_mT6_T7_P12ihipStream_tbENKUlT_T0_E_clISt17integral_constantIbLb1EESY_IbLb0EEEEDaSU_SV_EUlSU_E_NS1_11comp_targetILNS1_3genE5ELNS1_11target_archE942ELNS1_3gpuE9ELNS1_3repE0EEENS1_30default_config_static_selectorELNS0_4arch9wavefront6targetE0EEEvT1_ ; -- Begin function _ZN7rocprim17ROCPRIM_400000_NS6detail17trampoline_kernelINS0_14default_configENS1_27scan_by_key_config_selectorIssEEZZNS1_16scan_by_key_implILNS1_25lookback_scan_determinismE0ELb1ES3_N6thrust23THRUST_200600_302600_NS6detail15normal_iteratorINS9_10device_ptrIsEEEESE_SE_sNS9_4plusIvEENS9_8equal_toIvEEsEE10hipError_tPvRmT2_T3_T4_T5_mT6_T7_P12ihipStream_tbENKUlT_T0_E_clISt17integral_constantIbLb1EESY_IbLb0EEEEDaSU_SV_EUlSU_E_NS1_11comp_targetILNS1_3genE5ELNS1_11target_archE942ELNS1_3gpuE9ELNS1_3repE0EEENS1_30default_config_static_selectorELNS0_4arch9wavefront6targetE0EEEvT1_
	.globl	_ZN7rocprim17ROCPRIM_400000_NS6detail17trampoline_kernelINS0_14default_configENS1_27scan_by_key_config_selectorIssEEZZNS1_16scan_by_key_implILNS1_25lookback_scan_determinismE0ELb1ES3_N6thrust23THRUST_200600_302600_NS6detail15normal_iteratorINS9_10device_ptrIsEEEESE_SE_sNS9_4plusIvEENS9_8equal_toIvEEsEE10hipError_tPvRmT2_T3_T4_T5_mT6_T7_P12ihipStream_tbENKUlT_T0_E_clISt17integral_constantIbLb1EESY_IbLb0EEEEDaSU_SV_EUlSU_E_NS1_11comp_targetILNS1_3genE5ELNS1_11target_archE942ELNS1_3gpuE9ELNS1_3repE0EEENS1_30default_config_static_selectorELNS0_4arch9wavefront6targetE0EEEvT1_
	.p2align	8
	.type	_ZN7rocprim17ROCPRIM_400000_NS6detail17trampoline_kernelINS0_14default_configENS1_27scan_by_key_config_selectorIssEEZZNS1_16scan_by_key_implILNS1_25lookback_scan_determinismE0ELb1ES3_N6thrust23THRUST_200600_302600_NS6detail15normal_iteratorINS9_10device_ptrIsEEEESE_SE_sNS9_4plusIvEENS9_8equal_toIvEEsEE10hipError_tPvRmT2_T3_T4_T5_mT6_T7_P12ihipStream_tbENKUlT_T0_E_clISt17integral_constantIbLb1EESY_IbLb0EEEEDaSU_SV_EUlSU_E_NS1_11comp_targetILNS1_3genE5ELNS1_11target_archE942ELNS1_3gpuE9ELNS1_3repE0EEENS1_30default_config_static_selectorELNS0_4arch9wavefront6targetE0EEEvT1_,@function
_ZN7rocprim17ROCPRIM_400000_NS6detail17trampoline_kernelINS0_14default_configENS1_27scan_by_key_config_selectorIssEEZZNS1_16scan_by_key_implILNS1_25lookback_scan_determinismE0ELb1ES3_N6thrust23THRUST_200600_302600_NS6detail15normal_iteratorINS9_10device_ptrIsEEEESE_SE_sNS9_4plusIvEENS9_8equal_toIvEEsEE10hipError_tPvRmT2_T3_T4_T5_mT6_T7_P12ihipStream_tbENKUlT_T0_E_clISt17integral_constantIbLb1EESY_IbLb0EEEEDaSU_SV_EUlSU_E_NS1_11comp_targetILNS1_3genE5ELNS1_11target_archE942ELNS1_3gpuE9ELNS1_3repE0EEENS1_30default_config_static_selectorELNS0_4arch9wavefront6targetE0EEEvT1_: ; @_ZN7rocprim17ROCPRIM_400000_NS6detail17trampoline_kernelINS0_14default_configENS1_27scan_by_key_config_selectorIssEEZZNS1_16scan_by_key_implILNS1_25lookback_scan_determinismE0ELb1ES3_N6thrust23THRUST_200600_302600_NS6detail15normal_iteratorINS9_10device_ptrIsEEEESE_SE_sNS9_4plusIvEENS9_8equal_toIvEEsEE10hipError_tPvRmT2_T3_T4_T5_mT6_T7_P12ihipStream_tbENKUlT_T0_E_clISt17integral_constantIbLb1EESY_IbLb0EEEEDaSU_SV_EUlSU_E_NS1_11comp_targetILNS1_3genE5ELNS1_11target_archE942ELNS1_3gpuE9ELNS1_3repE0EEENS1_30default_config_static_selectorELNS0_4arch9wavefront6targetE0EEEvT1_
; %bb.0:
	.section	.rodata,"a",@progbits
	.p2align	6, 0x0
	.amdhsa_kernel _ZN7rocprim17ROCPRIM_400000_NS6detail17trampoline_kernelINS0_14default_configENS1_27scan_by_key_config_selectorIssEEZZNS1_16scan_by_key_implILNS1_25lookback_scan_determinismE0ELb1ES3_N6thrust23THRUST_200600_302600_NS6detail15normal_iteratorINS9_10device_ptrIsEEEESE_SE_sNS9_4plusIvEENS9_8equal_toIvEEsEE10hipError_tPvRmT2_T3_T4_T5_mT6_T7_P12ihipStream_tbENKUlT_T0_E_clISt17integral_constantIbLb1EESY_IbLb0EEEEDaSU_SV_EUlSU_E_NS1_11comp_targetILNS1_3genE5ELNS1_11target_archE942ELNS1_3gpuE9ELNS1_3repE0EEENS1_30default_config_static_selectorELNS0_4arch9wavefront6targetE0EEEvT1_
		.amdhsa_group_segment_fixed_size 0
		.amdhsa_private_segment_fixed_size 0
		.amdhsa_kernarg_size 112
		.amdhsa_user_sgpr_count 6
		.amdhsa_user_sgpr_private_segment_buffer 1
		.amdhsa_user_sgpr_dispatch_ptr 0
		.amdhsa_user_sgpr_queue_ptr 0
		.amdhsa_user_sgpr_kernarg_segment_ptr 1
		.amdhsa_user_sgpr_dispatch_id 0
		.amdhsa_user_sgpr_flat_scratch_init 0
		.amdhsa_user_sgpr_private_segment_size 0
		.amdhsa_wavefront_size32 1
		.amdhsa_uses_dynamic_stack 0
		.amdhsa_system_sgpr_private_segment_wavefront_offset 0
		.amdhsa_system_sgpr_workgroup_id_x 1
		.amdhsa_system_sgpr_workgroup_id_y 0
		.amdhsa_system_sgpr_workgroup_id_z 0
		.amdhsa_system_sgpr_workgroup_info 0
		.amdhsa_system_vgpr_workitem_id 0
		.amdhsa_next_free_vgpr 1
		.amdhsa_next_free_sgpr 1
		.amdhsa_reserve_vcc 0
		.amdhsa_reserve_flat_scratch 0
		.amdhsa_float_round_mode_32 0
		.amdhsa_float_round_mode_16_64 0
		.amdhsa_float_denorm_mode_32 3
		.amdhsa_float_denorm_mode_16_64 3
		.amdhsa_dx10_clamp 1
		.amdhsa_ieee_mode 1
		.amdhsa_fp16_overflow 0
		.amdhsa_workgroup_processor_mode 1
		.amdhsa_memory_ordered 1
		.amdhsa_forward_progress 1
		.amdhsa_shared_vgpr_count 0
		.amdhsa_exception_fp_ieee_invalid_op 0
		.amdhsa_exception_fp_denorm_src 0
		.amdhsa_exception_fp_ieee_div_zero 0
		.amdhsa_exception_fp_ieee_overflow 0
		.amdhsa_exception_fp_ieee_underflow 0
		.amdhsa_exception_fp_ieee_inexact 0
		.amdhsa_exception_int_div_zero 0
	.end_amdhsa_kernel
	.section	.text._ZN7rocprim17ROCPRIM_400000_NS6detail17trampoline_kernelINS0_14default_configENS1_27scan_by_key_config_selectorIssEEZZNS1_16scan_by_key_implILNS1_25lookback_scan_determinismE0ELb1ES3_N6thrust23THRUST_200600_302600_NS6detail15normal_iteratorINS9_10device_ptrIsEEEESE_SE_sNS9_4plusIvEENS9_8equal_toIvEEsEE10hipError_tPvRmT2_T3_T4_T5_mT6_T7_P12ihipStream_tbENKUlT_T0_E_clISt17integral_constantIbLb1EESY_IbLb0EEEEDaSU_SV_EUlSU_E_NS1_11comp_targetILNS1_3genE5ELNS1_11target_archE942ELNS1_3gpuE9ELNS1_3repE0EEENS1_30default_config_static_selectorELNS0_4arch9wavefront6targetE0EEEvT1_,"axG",@progbits,_ZN7rocprim17ROCPRIM_400000_NS6detail17trampoline_kernelINS0_14default_configENS1_27scan_by_key_config_selectorIssEEZZNS1_16scan_by_key_implILNS1_25lookback_scan_determinismE0ELb1ES3_N6thrust23THRUST_200600_302600_NS6detail15normal_iteratorINS9_10device_ptrIsEEEESE_SE_sNS9_4plusIvEENS9_8equal_toIvEEsEE10hipError_tPvRmT2_T3_T4_T5_mT6_T7_P12ihipStream_tbENKUlT_T0_E_clISt17integral_constantIbLb1EESY_IbLb0EEEEDaSU_SV_EUlSU_E_NS1_11comp_targetILNS1_3genE5ELNS1_11target_archE942ELNS1_3gpuE9ELNS1_3repE0EEENS1_30default_config_static_selectorELNS0_4arch9wavefront6targetE0EEEvT1_,comdat
.Lfunc_end589:
	.size	_ZN7rocprim17ROCPRIM_400000_NS6detail17trampoline_kernelINS0_14default_configENS1_27scan_by_key_config_selectorIssEEZZNS1_16scan_by_key_implILNS1_25lookback_scan_determinismE0ELb1ES3_N6thrust23THRUST_200600_302600_NS6detail15normal_iteratorINS9_10device_ptrIsEEEESE_SE_sNS9_4plusIvEENS9_8equal_toIvEEsEE10hipError_tPvRmT2_T3_T4_T5_mT6_T7_P12ihipStream_tbENKUlT_T0_E_clISt17integral_constantIbLb1EESY_IbLb0EEEEDaSU_SV_EUlSU_E_NS1_11comp_targetILNS1_3genE5ELNS1_11target_archE942ELNS1_3gpuE9ELNS1_3repE0EEENS1_30default_config_static_selectorELNS0_4arch9wavefront6targetE0EEEvT1_, .Lfunc_end589-_ZN7rocprim17ROCPRIM_400000_NS6detail17trampoline_kernelINS0_14default_configENS1_27scan_by_key_config_selectorIssEEZZNS1_16scan_by_key_implILNS1_25lookback_scan_determinismE0ELb1ES3_N6thrust23THRUST_200600_302600_NS6detail15normal_iteratorINS9_10device_ptrIsEEEESE_SE_sNS9_4plusIvEENS9_8equal_toIvEEsEE10hipError_tPvRmT2_T3_T4_T5_mT6_T7_P12ihipStream_tbENKUlT_T0_E_clISt17integral_constantIbLb1EESY_IbLb0EEEEDaSU_SV_EUlSU_E_NS1_11comp_targetILNS1_3genE5ELNS1_11target_archE942ELNS1_3gpuE9ELNS1_3repE0EEENS1_30default_config_static_selectorELNS0_4arch9wavefront6targetE0EEEvT1_
                                        ; -- End function
	.set _ZN7rocprim17ROCPRIM_400000_NS6detail17trampoline_kernelINS0_14default_configENS1_27scan_by_key_config_selectorIssEEZZNS1_16scan_by_key_implILNS1_25lookback_scan_determinismE0ELb1ES3_N6thrust23THRUST_200600_302600_NS6detail15normal_iteratorINS9_10device_ptrIsEEEESE_SE_sNS9_4plusIvEENS9_8equal_toIvEEsEE10hipError_tPvRmT2_T3_T4_T5_mT6_T7_P12ihipStream_tbENKUlT_T0_E_clISt17integral_constantIbLb1EESY_IbLb0EEEEDaSU_SV_EUlSU_E_NS1_11comp_targetILNS1_3genE5ELNS1_11target_archE942ELNS1_3gpuE9ELNS1_3repE0EEENS1_30default_config_static_selectorELNS0_4arch9wavefront6targetE0EEEvT1_.num_vgpr, 0
	.set _ZN7rocprim17ROCPRIM_400000_NS6detail17trampoline_kernelINS0_14default_configENS1_27scan_by_key_config_selectorIssEEZZNS1_16scan_by_key_implILNS1_25lookback_scan_determinismE0ELb1ES3_N6thrust23THRUST_200600_302600_NS6detail15normal_iteratorINS9_10device_ptrIsEEEESE_SE_sNS9_4plusIvEENS9_8equal_toIvEEsEE10hipError_tPvRmT2_T3_T4_T5_mT6_T7_P12ihipStream_tbENKUlT_T0_E_clISt17integral_constantIbLb1EESY_IbLb0EEEEDaSU_SV_EUlSU_E_NS1_11comp_targetILNS1_3genE5ELNS1_11target_archE942ELNS1_3gpuE9ELNS1_3repE0EEENS1_30default_config_static_selectorELNS0_4arch9wavefront6targetE0EEEvT1_.num_agpr, 0
	.set _ZN7rocprim17ROCPRIM_400000_NS6detail17trampoline_kernelINS0_14default_configENS1_27scan_by_key_config_selectorIssEEZZNS1_16scan_by_key_implILNS1_25lookback_scan_determinismE0ELb1ES3_N6thrust23THRUST_200600_302600_NS6detail15normal_iteratorINS9_10device_ptrIsEEEESE_SE_sNS9_4plusIvEENS9_8equal_toIvEEsEE10hipError_tPvRmT2_T3_T4_T5_mT6_T7_P12ihipStream_tbENKUlT_T0_E_clISt17integral_constantIbLb1EESY_IbLb0EEEEDaSU_SV_EUlSU_E_NS1_11comp_targetILNS1_3genE5ELNS1_11target_archE942ELNS1_3gpuE9ELNS1_3repE0EEENS1_30default_config_static_selectorELNS0_4arch9wavefront6targetE0EEEvT1_.numbered_sgpr, 0
	.set _ZN7rocprim17ROCPRIM_400000_NS6detail17trampoline_kernelINS0_14default_configENS1_27scan_by_key_config_selectorIssEEZZNS1_16scan_by_key_implILNS1_25lookback_scan_determinismE0ELb1ES3_N6thrust23THRUST_200600_302600_NS6detail15normal_iteratorINS9_10device_ptrIsEEEESE_SE_sNS9_4plusIvEENS9_8equal_toIvEEsEE10hipError_tPvRmT2_T3_T4_T5_mT6_T7_P12ihipStream_tbENKUlT_T0_E_clISt17integral_constantIbLb1EESY_IbLb0EEEEDaSU_SV_EUlSU_E_NS1_11comp_targetILNS1_3genE5ELNS1_11target_archE942ELNS1_3gpuE9ELNS1_3repE0EEENS1_30default_config_static_selectorELNS0_4arch9wavefront6targetE0EEEvT1_.num_named_barrier, 0
	.set _ZN7rocprim17ROCPRIM_400000_NS6detail17trampoline_kernelINS0_14default_configENS1_27scan_by_key_config_selectorIssEEZZNS1_16scan_by_key_implILNS1_25lookback_scan_determinismE0ELb1ES3_N6thrust23THRUST_200600_302600_NS6detail15normal_iteratorINS9_10device_ptrIsEEEESE_SE_sNS9_4plusIvEENS9_8equal_toIvEEsEE10hipError_tPvRmT2_T3_T4_T5_mT6_T7_P12ihipStream_tbENKUlT_T0_E_clISt17integral_constantIbLb1EESY_IbLb0EEEEDaSU_SV_EUlSU_E_NS1_11comp_targetILNS1_3genE5ELNS1_11target_archE942ELNS1_3gpuE9ELNS1_3repE0EEENS1_30default_config_static_selectorELNS0_4arch9wavefront6targetE0EEEvT1_.private_seg_size, 0
	.set _ZN7rocprim17ROCPRIM_400000_NS6detail17trampoline_kernelINS0_14default_configENS1_27scan_by_key_config_selectorIssEEZZNS1_16scan_by_key_implILNS1_25lookback_scan_determinismE0ELb1ES3_N6thrust23THRUST_200600_302600_NS6detail15normal_iteratorINS9_10device_ptrIsEEEESE_SE_sNS9_4plusIvEENS9_8equal_toIvEEsEE10hipError_tPvRmT2_T3_T4_T5_mT6_T7_P12ihipStream_tbENKUlT_T0_E_clISt17integral_constantIbLb1EESY_IbLb0EEEEDaSU_SV_EUlSU_E_NS1_11comp_targetILNS1_3genE5ELNS1_11target_archE942ELNS1_3gpuE9ELNS1_3repE0EEENS1_30default_config_static_selectorELNS0_4arch9wavefront6targetE0EEEvT1_.uses_vcc, 0
	.set _ZN7rocprim17ROCPRIM_400000_NS6detail17trampoline_kernelINS0_14default_configENS1_27scan_by_key_config_selectorIssEEZZNS1_16scan_by_key_implILNS1_25lookback_scan_determinismE0ELb1ES3_N6thrust23THRUST_200600_302600_NS6detail15normal_iteratorINS9_10device_ptrIsEEEESE_SE_sNS9_4plusIvEENS9_8equal_toIvEEsEE10hipError_tPvRmT2_T3_T4_T5_mT6_T7_P12ihipStream_tbENKUlT_T0_E_clISt17integral_constantIbLb1EESY_IbLb0EEEEDaSU_SV_EUlSU_E_NS1_11comp_targetILNS1_3genE5ELNS1_11target_archE942ELNS1_3gpuE9ELNS1_3repE0EEENS1_30default_config_static_selectorELNS0_4arch9wavefront6targetE0EEEvT1_.uses_flat_scratch, 0
	.set _ZN7rocprim17ROCPRIM_400000_NS6detail17trampoline_kernelINS0_14default_configENS1_27scan_by_key_config_selectorIssEEZZNS1_16scan_by_key_implILNS1_25lookback_scan_determinismE0ELb1ES3_N6thrust23THRUST_200600_302600_NS6detail15normal_iteratorINS9_10device_ptrIsEEEESE_SE_sNS9_4plusIvEENS9_8equal_toIvEEsEE10hipError_tPvRmT2_T3_T4_T5_mT6_T7_P12ihipStream_tbENKUlT_T0_E_clISt17integral_constantIbLb1EESY_IbLb0EEEEDaSU_SV_EUlSU_E_NS1_11comp_targetILNS1_3genE5ELNS1_11target_archE942ELNS1_3gpuE9ELNS1_3repE0EEENS1_30default_config_static_selectorELNS0_4arch9wavefront6targetE0EEEvT1_.has_dyn_sized_stack, 0
	.set _ZN7rocprim17ROCPRIM_400000_NS6detail17trampoline_kernelINS0_14default_configENS1_27scan_by_key_config_selectorIssEEZZNS1_16scan_by_key_implILNS1_25lookback_scan_determinismE0ELb1ES3_N6thrust23THRUST_200600_302600_NS6detail15normal_iteratorINS9_10device_ptrIsEEEESE_SE_sNS9_4plusIvEENS9_8equal_toIvEEsEE10hipError_tPvRmT2_T3_T4_T5_mT6_T7_P12ihipStream_tbENKUlT_T0_E_clISt17integral_constantIbLb1EESY_IbLb0EEEEDaSU_SV_EUlSU_E_NS1_11comp_targetILNS1_3genE5ELNS1_11target_archE942ELNS1_3gpuE9ELNS1_3repE0EEENS1_30default_config_static_selectorELNS0_4arch9wavefront6targetE0EEEvT1_.has_recursion, 0
	.set _ZN7rocprim17ROCPRIM_400000_NS6detail17trampoline_kernelINS0_14default_configENS1_27scan_by_key_config_selectorIssEEZZNS1_16scan_by_key_implILNS1_25lookback_scan_determinismE0ELb1ES3_N6thrust23THRUST_200600_302600_NS6detail15normal_iteratorINS9_10device_ptrIsEEEESE_SE_sNS9_4plusIvEENS9_8equal_toIvEEsEE10hipError_tPvRmT2_T3_T4_T5_mT6_T7_P12ihipStream_tbENKUlT_T0_E_clISt17integral_constantIbLb1EESY_IbLb0EEEEDaSU_SV_EUlSU_E_NS1_11comp_targetILNS1_3genE5ELNS1_11target_archE942ELNS1_3gpuE9ELNS1_3repE0EEENS1_30default_config_static_selectorELNS0_4arch9wavefront6targetE0EEEvT1_.has_indirect_call, 0
	.section	.AMDGPU.csdata,"",@progbits
; Kernel info:
; codeLenInByte = 0
; TotalNumSgprs: 0
; NumVgprs: 0
; ScratchSize: 0
; MemoryBound: 0
; FloatMode: 240
; IeeeMode: 1
; LDSByteSize: 0 bytes/workgroup (compile time only)
; SGPRBlocks: 0
; VGPRBlocks: 0
; NumSGPRsForWavesPerEU: 1
; NumVGPRsForWavesPerEU: 1
; Occupancy: 16
; WaveLimiterHint : 0
; COMPUTE_PGM_RSRC2:SCRATCH_EN: 0
; COMPUTE_PGM_RSRC2:USER_SGPR: 6
; COMPUTE_PGM_RSRC2:TRAP_HANDLER: 0
; COMPUTE_PGM_RSRC2:TGID_X_EN: 1
; COMPUTE_PGM_RSRC2:TGID_Y_EN: 0
; COMPUTE_PGM_RSRC2:TGID_Z_EN: 0
; COMPUTE_PGM_RSRC2:TIDIG_COMP_CNT: 0
	.section	.text._ZN7rocprim17ROCPRIM_400000_NS6detail17trampoline_kernelINS0_14default_configENS1_27scan_by_key_config_selectorIssEEZZNS1_16scan_by_key_implILNS1_25lookback_scan_determinismE0ELb1ES3_N6thrust23THRUST_200600_302600_NS6detail15normal_iteratorINS9_10device_ptrIsEEEESE_SE_sNS9_4plusIvEENS9_8equal_toIvEEsEE10hipError_tPvRmT2_T3_T4_T5_mT6_T7_P12ihipStream_tbENKUlT_T0_E_clISt17integral_constantIbLb1EESY_IbLb0EEEEDaSU_SV_EUlSU_E_NS1_11comp_targetILNS1_3genE4ELNS1_11target_archE910ELNS1_3gpuE8ELNS1_3repE0EEENS1_30default_config_static_selectorELNS0_4arch9wavefront6targetE0EEEvT1_,"axG",@progbits,_ZN7rocprim17ROCPRIM_400000_NS6detail17trampoline_kernelINS0_14default_configENS1_27scan_by_key_config_selectorIssEEZZNS1_16scan_by_key_implILNS1_25lookback_scan_determinismE0ELb1ES3_N6thrust23THRUST_200600_302600_NS6detail15normal_iteratorINS9_10device_ptrIsEEEESE_SE_sNS9_4plusIvEENS9_8equal_toIvEEsEE10hipError_tPvRmT2_T3_T4_T5_mT6_T7_P12ihipStream_tbENKUlT_T0_E_clISt17integral_constantIbLb1EESY_IbLb0EEEEDaSU_SV_EUlSU_E_NS1_11comp_targetILNS1_3genE4ELNS1_11target_archE910ELNS1_3gpuE8ELNS1_3repE0EEENS1_30default_config_static_selectorELNS0_4arch9wavefront6targetE0EEEvT1_,comdat
	.protected	_ZN7rocprim17ROCPRIM_400000_NS6detail17trampoline_kernelINS0_14default_configENS1_27scan_by_key_config_selectorIssEEZZNS1_16scan_by_key_implILNS1_25lookback_scan_determinismE0ELb1ES3_N6thrust23THRUST_200600_302600_NS6detail15normal_iteratorINS9_10device_ptrIsEEEESE_SE_sNS9_4plusIvEENS9_8equal_toIvEEsEE10hipError_tPvRmT2_T3_T4_T5_mT6_T7_P12ihipStream_tbENKUlT_T0_E_clISt17integral_constantIbLb1EESY_IbLb0EEEEDaSU_SV_EUlSU_E_NS1_11comp_targetILNS1_3genE4ELNS1_11target_archE910ELNS1_3gpuE8ELNS1_3repE0EEENS1_30default_config_static_selectorELNS0_4arch9wavefront6targetE0EEEvT1_ ; -- Begin function _ZN7rocprim17ROCPRIM_400000_NS6detail17trampoline_kernelINS0_14default_configENS1_27scan_by_key_config_selectorIssEEZZNS1_16scan_by_key_implILNS1_25lookback_scan_determinismE0ELb1ES3_N6thrust23THRUST_200600_302600_NS6detail15normal_iteratorINS9_10device_ptrIsEEEESE_SE_sNS9_4plusIvEENS9_8equal_toIvEEsEE10hipError_tPvRmT2_T3_T4_T5_mT6_T7_P12ihipStream_tbENKUlT_T0_E_clISt17integral_constantIbLb1EESY_IbLb0EEEEDaSU_SV_EUlSU_E_NS1_11comp_targetILNS1_3genE4ELNS1_11target_archE910ELNS1_3gpuE8ELNS1_3repE0EEENS1_30default_config_static_selectorELNS0_4arch9wavefront6targetE0EEEvT1_
	.globl	_ZN7rocprim17ROCPRIM_400000_NS6detail17trampoline_kernelINS0_14default_configENS1_27scan_by_key_config_selectorIssEEZZNS1_16scan_by_key_implILNS1_25lookback_scan_determinismE0ELb1ES3_N6thrust23THRUST_200600_302600_NS6detail15normal_iteratorINS9_10device_ptrIsEEEESE_SE_sNS9_4plusIvEENS9_8equal_toIvEEsEE10hipError_tPvRmT2_T3_T4_T5_mT6_T7_P12ihipStream_tbENKUlT_T0_E_clISt17integral_constantIbLb1EESY_IbLb0EEEEDaSU_SV_EUlSU_E_NS1_11comp_targetILNS1_3genE4ELNS1_11target_archE910ELNS1_3gpuE8ELNS1_3repE0EEENS1_30default_config_static_selectorELNS0_4arch9wavefront6targetE0EEEvT1_
	.p2align	8
	.type	_ZN7rocprim17ROCPRIM_400000_NS6detail17trampoline_kernelINS0_14default_configENS1_27scan_by_key_config_selectorIssEEZZNS1_16scan_by_key_implILNS1_25lookback_scan_determinismE0ELb1ES3_N6thrust23THRUST_200600_302600_NS6detail15normal_iteratorINS9_10device_ptrIsEEEESE_SE_sNS9_4plusIvEENS9_8equal_toIvEEsEE10hipError_tPvRmT2_T3_T4_T5_mT6_T7_P12ihipStream_tbENKUlT_T0_E_clISt17integral_constantIbLb1EESY_IbLb0EEEEDaSU_SV_EUlSU_E_NS1_11comp_targetILNS1_3genE4ELNS1_11target_archE910ELNS1_3gpuE8ELNS1_3repE0EEENS1_30default_config_static_selectorELNS0_4arch9wavefront6targetE0EEEvT1_,@function
_ZN7rocprim17ROCPRIM_400000_NS6detail17trampoline_kernelINS0_14default_configENS1_27scan_by_key_config_selectorIssEEZZNS1_16scan_by_key_implILNS1_25lookback_scan_determinismE0ELb1ES3_N6thrust23THRUST_200600_302600_NS6detail15normal_iteratorINS9_10device_ptrIsEEEESE_SE_sNS9_4plusIvEENS9_8equal_toIvEEsEE10hipError_tPvRmT2_T3_T4_T5_mT6_T7_P12ihipStream_tbENKUlT_T0_E_clISt17integral_constantIbLb1EESY_IbLb0EEEEDaSU_SV_EUlSU_E_NS1_11comp_targetILNS1_3genE4ELNS1_11target_archE910ELNS1_3gpuE8ELNS1_3repE0EEENS1_30default_config_static_selectorELNS0_4arch9wavefront6targetE0EEEvT1_: ; @_ZN7rocprim17ROCPRIM_400000_NS6detail17trampoline_kernelINS0_14default_configENS1_27scan_by_key_config_selectorIssEEZZNS1_16scan_by_key_implILNS1_25lookback_scan_determinismE0ELb1ES3_N6thrust23THRUST_200600_302600_NS6detail15normal_iteratorINS9_10device_ptrIsEEEESE_SE_sNS9_4plusIvEENS9_8equal_toIvEEsEE10hipError_tPvRmT2_T3_T4_T5_mT6_T7_P12ihipStream_tbENKUlT_T0_E_clISt17integral_constantIbLb1EESY_IbLb0EEEEDaSU_SV_EUlSU_E_NS1_11comp_targetILNS1_3genE4ELNS1_11target_archE910ELNS1_3gpuE8ELNS1_3repE0EEENS1_30default_config_static_selectorELNS0_4arch9wavefront6targetE0EEEvT1_
; %bb.0:
	.section	.rodata,"a",@progbits
	.p2align	6, 0x0
	.amdhsa_kernel _ZN7rocprim17ROCPRIM_400000_NS6detail17trampoline_kernelINS0_14default_configENS1_27scan_by_key_config_selectorIssEEZZNS1_16scan_by_key_implILNS1_25lookback_scan_determinismE0ELb1ES3_N6thrust23THRUST_200600_302600_NS6detail15normal_iteratorINS9_10device_ptrIsEEEESE_SE_sNS9_4plusIvEENS9_8equal_toIvEEsEE10hipError_tPvRmT2_T3_T4_T5_mT6_T7_P12ihipStream_tbENKUlT_T0_E_clISt17integral_constantIbLb1EESY_IbLb0EEEEDaSU_SV_EUlSU_E_NS1_11comp_targetILNS1_3genE4ELNS1_11target_archE910ELNS1_3gpuE8ELNS1_3repE0EEENS1_30default_config_static_selectorELNS0_4arch9wavefront6targetE0EEEvT1_
		.amdhsa_group_segment_fixed_size 0
		.amdhsa_private_segment_fixed_size 0
		.amdhsa_kernarg_size 112
		.amdhsa_user_sgpr_count 6
		.amdhsa_user_sgpr_private_segment_buffer 1
		.amdhsa_user_sgpr_dispatch_ptr 0
		.amdhsa_user_sgpr_queue_ptr 0
		.amdhsa_user_sgpr_kernarg_segment_ptr 1
		.amdhsa_user_sgpr_dispatch_id 0
		.amdhsa_user_sgpr_flat_scratch_init 0
		.amdhsa_user_sgpr_private_segment_size 0
		.amdhsa_wavefront_size32 1
		.amdhsa_uses_dynamic_stack 0
		.amdhsa_system_sgpr_private_segment_wavefront_offset 0
		.amdhsa_system_sgpr_workgroup_id_x 1
		.amdhsa_system_sgpr_workgroup_id_y 0
		.amdhsa_system_sgpr_workgroup_id_z 0
		.amdhsa_system_sgpr_workgroup_info 0
		.amdhsa_system_vgpr_workitem_id 0
		.amdhsa_next_free_vgpr 1
		.amdhsa_next_free_sgpr 1
		.amdhsa_reserve_vcc 0
		.amdhsa_reserve_flat_scratch 0
		.amdhsa_float_round_mode_32 0
		.amdhsa_float_round_mode_16_64 0
		.amdhsa_float_denorm_mode_32 3
		.amdhsa_float_denorm_mode_16_64 3
		.amdhsa_dx10_clamp 1
		.amdhsa_ieee_mode 1
		.amdhsa_fp16_overflow 0
		.amdhsa_workgroup_processor_mode 1
		.amdhsa_memory_ordered 1
		.amdhsa_forward_progress 1
		.amdhsa_shared_vgpr_count 0
		.amdhsa_exception_fp_ieee_invalid_op 0
		.amdhsa_exception_fp_denorm_src 0
		.amdhsa_exception_fp_ieee_div_zero 0
		.amdhsa_exception_fp_ieee_overflow 0
		.amdhsa_exception_fp_ieee_underflow 0
		.amdhsa_exception_fp_ieee_inexact 0
		.amdhsa_exception_int_div_zero 0
	.end_amdhsa_kernel
	.section	.text._ZN7rocprim17ROCPRIM_400000_NS6detail17trampoline_kernelINS0_14default_configENS1_27scan_by_key_config_selectorIssEEZZNS1_16scan_by_key_implILNS1_25lookback_scan_determinismE0ELb1ES3_N6thrust23THRUST_200600_302600_NS6detail15normal_iteratorINS9_10device_ptrIsEEEESE_SE_sNS9_4plusIvEENS9_8equal_toIvEEsEE10hipError_tPvRmT2_T3_T4_T5_mT6_T7_P12ihipStream_tbENKUlT_T0_E_clISt17integral_constantIbLb1EESY_IbLb0EEEEDaSU_SV_EUlSU_E_NS1_11comp_targetILNS1_3genE4ELNS1_11target_archE910ELNS1_3gpuE8ELNS1_3repE0EEENS1_30default_config_static_selectorELNS0_4arch9wavefront6targetE0EEEvT1_,"axG",@progbits,_ZN7rocprim17ROCPRIM_400000_NS6detail17trampoline_kernelINS0_14default_configENS1_27scan_by_key_config_selectorIssEEZZNS1_16scan_by_key_implILNS1_25lookback_scan_determinismE0ELb1ES3_N6thrust23THRUST_200600_302600_NS6detail15normal_iteratorINS9_10device_ptrIsEEEESE_SE_sNS9_4plusIvEENS9_8equal_toIvEEsEE10hipError_tPvRmT2_T3_T4_T5_mT6_T7_P12ihipStream_tbENKUlT_T0_E_clISt17integral_constantIbLb1EESY_IbLb0EEEEDaSU_SV_EUlSU_E_NS1_11comp_targetILNS1_3genE4ELNS1_11target_archE910ELNS1_3gpuE8ELNS1_3repE0EEENS1_30default_config_static_selectorELNS0_4arch9wavefront6targetE0EEEvT1_,comdat
.Lfunc_end590:
	.size	_ZN7rocprim17ROCPRIM_400000_NS6detail17trampoline_kernelINS0_14default_configENS1_27scan_by_key_config_selectorIssEEZZNS1_16scan_by_key_implILNS1_25lookback_scan_determinismE0ELb1ES3_N6thrust23THRUST_200600_302600_NS6detail15normal_iteratorINS9_10device_ptrIsEEEESE_SE_sNS9_4plusIvEENS9_8equal_toIvEEsEE10hipError_tPvRmT2_T3_T4_T5_mT6_T7_P12ihipStream_tbENKUlT_T0_E_clISt17integral_constantIbLb1EESY_IbLb0EEEEDaSU_SV_EUlSU_E_NS1_11comp_targetILNS1_3genE4ELNS1_11target_archE910ELNS1_3gpuE8ELNS1_3repE0EEENS1_30default_config_static_selectorELNS0_4arch9wavefront6targetE0EEEvT1_, .Lfunc_end590-_ZN7rocprim17ROCPRIM_400000_NS6detail17trampoline_kernelINS0_14default_configENS1_27scan_by_key_config_selectorIssEEZZNS1_16scan_by_key_implILNS1_25lookback_scan_determinismE0ELb1ES3_N6thrust23THRUST_200600_302600_NS6detail15normal_iteratorINS9_10device_ptrIsEEEESE_SE_sNS9_4plusIvEENS9_8equal_toIvEEsEE10hipError_tPvRmT2_T3_T4_T5_mT6_T7_P12ihipStream_tbENKUlT_T0_E_clISt17integral_constantIbLb1EESY_IbLb0EEEEDaSU_SV_EUlSU_E_NS1_11comp_targetILNS1_3genE4ELNS1_11target_archE910ELNS1_3gpuE8ELNS1_3repE0EEENS1_30default_config_static_selectorELNS0_4arch9wavefront6targetE0EEEvT1_
                                        ; -- End function
	.set _ZN7rocprim17ROCPRIM_400000_NS6detail17trampoline_kernelINS0_14default_configENS1_27scan_by_key_config_selectorIssEEZZNS1_16scan_by_key_implILNS1_25lookback_scan_determinismE0ELb1ES3_N6thrust23THRUST_200600_302600_NS6detail15normal_iteratorINS9_10device_ptrIsEEEESE_SE_sNS9_4plusIvEENS9_8equal_toIvEEsEE10hipError_tPvRmT2_T3_T4_T5_mT6_T7_P12ihipStream_tbENKUlT_T0_E_clISt17integral_constantIbLb1EESY_IbLb0EEEEDaSU_SV_EUlSU_E_NS1_11comp_targetILNS1_3genE4ELNS1_11target_archE910ELNS1_3gpuE8ELNS1_3repE0EEENS1_30default_config_static_selectorELNS0_4arch9wavefront6targetE0EEEvT1_.num_vgpr, 0
	.set _ZN7rocprim17ROCPRIM_400000_NS6detail17trampoline_kernelINS0_14default_configENS1_27scan_by_key_config_selectorIssEEZZNS1_16scan_by_key_implILNS1_25lookback_scan_determinismE0ELb1ES3_N6thrust23THRUST_200600_302600_NS6detail15normal_iteratorINS9_10device_ptrIsEEEESE_SE_sNS9_4plusIvEENS9_8equal_toIvEEsEE10hipError_tPvRmT2_T3_T4_T5_mT6_T7_P12ihipStream_tbENKUlT_T0_E_clISt17integral_constantIbLb1EESY_IbLb0EEEEDaSU_SV_EUlSU_E_NS1_11comp_targetILNS1_3genE4ELNS1_11target_archE910ELNS1_3gpuE8ELNS1_3repE0EEENS1_30default_config_static_selectorELNS0_4arch9wavefront6targetE0EEEvT1_.num_agpr, 0
	.set _ZN7rocprim17ROCPRIM_400000_NS6detail17trampoline_kernelINS0_14default_configENS1_27scan_by_key_config_selectorIssEEZZNS1_16scan_by_key_implILNS1_25lookback_scan_determinismE0ELb1ES3_N6thrust23THRUST_200600_302600_NS6detail15normal_iteratorINS9_10device_ptrIsEEEESE_SE_sNS9_4plusIvEENS9_8equal_toIvEEsEE10hipError_tPvRmT2_T3_T4_T5_mT6_T7_P12ihipStream_tbENKUlT_T0_E_clISt17integral_constantIbLb1EESY_IbLb0EEEEDaSU_SV_EUlSU_E_NS1_11comp_targetILNS1_3genE4ELNS1_11target_archE910ELNS1_3gpuE8ELNS1_3repE0EEENS1_30default_config_static_selectorELNS0_4arch9wavefront6targetE0EEEvT1_.numbered_sgpr, 0
	.set _ZN7rocprim17ROCPRIM_400000_NS6detail17trampoline_kernelINS0_14default_configENS1_27scan_by_key_config_selectorIssEEZZNS1_16scan_by_key_implILNS1_25lookback_scan_determinismE0ELb1ES3_N6thrust23THRUST_200600_302600_NS6detail15normal_iteratorINS9_10device_ptrIsEEEESE_SE_sNS9_4plusIvEENS9_8equal_toIvEEsEE10hipError_tPvRmT2_T3_T4_T5_mT6_T7_P12ihipStream_tbENKUlT_T0_E_clISt17integral_constantIbLb1EESY_IbLb0EEEEDaSU_SV_EUlSU_E_NS1_11comp_targetILNS1_3genE4ELNS1_11target_archE910ELNS1_3gpuE8ELNS1_3repE0EEENS1_30default_config_static_selectorELNS0_4arch9wavefront6targetE0EEEvT1_.num_named_barrier, 0
	.set _ZN7rocprim17ROCPRIM_400000_NS6detail17trampoline_kernelINS0_14default_configENS1_27scan_by_key_config_selectorIssEEZZNS1_16scan_by_key_implILNS1_25lookback_scan_determinismE0ELb1ES3_N6thrust23THRUST_200600_302600_NS6detail15normal_iteratorINS9_10device_ptrIsEEEESE_SE_sNS9_4plusIvEENS9_8equal_toIvEEsEE10hipError_tPvRmT2_T3_T4_T5_mT6_T7_P12ihipStream_tbENKUlT_T0_E_clISt17integral_constantIbLb1EESY_IbLb0EEEEDaSU_SV_EUlSU_E_NS1_11comp_targetILNS1_3genE4ELNS1_11target_archE910ELNS1_3gpuE8ELNS1_3repE0EEENS1_30default_config_static_selectorELNS0_4arch9wavefront6targetE0EEEvT1_.private_seg_size, 0
	.set _ZN7rocprim17ROCPRIM_400000_NS6detail17trampoline_kernelINS0_14default_configENS1_27scan_by_key_config_selectorIssEEZZNS1_16scan_by_key_implILNS1_25lookback_scan_determinismE0ELb1ES3_N6thrust23THRUST_200600_302600_NS6detail15normal_iteratorINS9_10device_ptrIsEEEESE_SE_sNS9_4plusIvEENS9_8equal_toIvEEsEE10hipError_tPvRmT2_T3_T4_T5_mT6_T7_P12ihipStream_tbENKUlT_T0_E_clISt17integral_constantIbLb1EESY_IbLb0EEEEDaSU_SV_EUlSU_E_NS1_11comp_targetILNS1_3genE4ELNS1_11target_archE910ELNS1_3gpuE8ELNS1_3repE0EEENS1_30default_config_static_selectorELNS0_4arch9wavefront6targetE0EEEvT1_.uses_vcc, 0
	.set _ZN7rocprim17ROCPRIM_400000_NS6detail17trampoline_kernelINS0_14default_configENS1_27scan_by_key_config_selectorIssEEZZNS1_16scan_by_key_implILNS1_25lookback_scan_determinismE0ELb1ES3_N6thrust23THRUST_200600_302600_NS6detail15normal_iteratorINS9_10device_ptrIsEEEESE_SE_sNS9_4plusIvEENS9_8equal_toIvEEsEE10hipError_tPvRmT2_T3_T4_T5_mT6_T7_P12ihipStream_tbENKUlT_T0_E_clISt17integral_constantIbLb1EESY_IbLb0EEEEDaSU_SV_EUlSU_E_NS1_11comp_targetILNS1_3genE4ELNS1_11target_archE910ELNS1_3gpuE8ELNS1_3repE0EEENS1_30default_config_static_selectorELNS0_4arch9wavefront6targetE0EEEvT1_.uses_flat_scratch, 0
	.set _ZN7rocprim17ROCPRIM_400000_NS6detail17trampoline_kernelINS0_14default_configENS1_27scan_by_key_config_selectorIssEEZZNS1_16scan_by_key_implILNS1_25lookback_scan_determinismE0ELb1ES3_N6thrust23THRUST_200600_302600_NS6detail15normal_iteratorINS9_10device_ptrIsEEEESE_SE_sNS9_4plusIvEENS9_8equal_toIvEEsEE10hipError_tPvRmT2_T3_T4_T5_mT6_T7_P12ihipStream_tbENKUlT_T0_E_clISt17integral_constantIbLb1EESY_IbLb0EEEEDaSU_SV_EUlSU_E_NS1_11comp_targetILNS1_3genE4ELNS1_11target_archE910ELNS1_3gpuE8ELNS1_3repE0EEENS1_30default_config_static_selectorELNS0_4arch9wavefront6targetE0EEEvT1_.has_dyn_sized_stack, 0
	.set _ZN7rocprim17ROCPRIM_400000_NS6detail17trampoline_kernelINS0_14default_configENS1_27scan_by_key_config_selectorIssEEZZNS1_16scan_by_key_implILNS1_25lookback_scan_determinismE0ELb1ES3_N6thrust23THRUST_200600_302600_NS6detail15normal_iteratorINS9_10device_ptrIsEEEESE_SE_sNS9_4plusIvEENS9_8equal_toIvEEsEE10hipError_tPvRmT2_T3_T4_T5_mT6_T7_P12ihipStream_tbENKUlT_T0_E_clISt17integral_constantIbLb1EESY_IbLb0EEEEDaSU_SV_EUlSU_E_NS1_11comp_targetILNS1_3genE4ELNS1_11target_archE910ELNS1_3gpuE8ELNS1_3repE0EEENS1_30default_config_static_selectorELNS0_4arch9wavefront6targetE0EEEvT1_.has_recursion, 0
	.set _ZN7rocprim17ROCPRIM_400000_NS6detail17trampoline_kernelINS0_14default_configENS1_27scan_by_key_config_selectorIssEEZZNS1_16scan_by_key_implILNS1_25lookback_scan_determinismE0ELb1ES3_N6thrust23THRUST_200600_302600_NS6detail15normal_iteratorINS9_10device_ptrIsEEEESE_SE_sNS9_4plusIvEENS9_8equal_toIvEEsEE10hipError_tPvRmT2_T3_T4_T5_mT6_T7_P12ihipStream_tbENKUlT_T0_E_clISt17integral_constantIbLb1EESY_IbLb0EEEEDaSU_SV_EUlSU_E_NS1_11comp_targetILNS1_3genE4ELNS1_11target_archE910ELNS1_3gpuE8ELNS1_3repE0EEENS1_30default_config_static_selectorELNS0_4arch9wavefront6targetE0EEEvT1_.has_indirect_call, 0
	.section	.AMDGPU.csdata,"",@progbits
; Kernel info:
; codeLenInByte = 0
; TotalNumSgprs: 0
; NumVgprs: 0
; ScratchSize: 0
; MemoryBound: 0
; FloatMode: 240
; IeeeMode: 1
; LDSByteSize: 0 bytes/workgroup (compile time only)
; SGPRBlocks: 0
; VGPRBlocks: 0
; NumSGPRsForWavesPerEU: 1
; NumVGPRsForWavesPerEU: 1
; Occupancy: 16
; WaveLimiterHint : 0
; COMPUTE_PGM_RSRC2:SCRATCH_EN: 0
; COMPUTE_PGM_RSRC2:USER_SGPR: 6
; COMPUTE_PGM_RSRC2:TRAP_HANDLER: 0
; COMPUTE_PGM_RSRC2:TGID_X_EN: 1
; COMPUTE_PGM_RSRC2:TGID_Y_EN: 0
; COMPUTE_PGM_RSRC2:TGID_Z_EN: 0
; COMPUTE_PGM_RSRC2:TIDIG_COMP_CNT: 0
	.section	.text._ZN7rocprim17ROCPRIM_400000_NS6detail17trampoline_kernelINS0_14default_configENS1_27scan_by_key_config_selectorIssEEZZNS1_16scan_by_key_implILNS1_25lookback_scan_determinismE0ELb1ES3_N6thrust23THRUST_200600_302600_NS6detail15normal_iteratorINS9_10device_ptrIsEEEESE_SE_sNS9_4plusIvEENS9_8equal_toIvEEsEE10hipError_tPvRmT2_T3_T4_T5_mT6_T7_P12ihipStream_tbENKUlT_T0_E_clISt17integral_constantIbLb1EESY_IbLb0EEEEDaSU_SV_EUlSU_E_NS1_11comp_targetILNS1_3genE3ELNS1_11target_archE908ELNS1_3gpuE7ELNS1_3repE0EEENS1_30default_config_static_selectorELNS0_4arch9wavefront6targetE0EEEvT1_,"axG",@progbits,_ZN7rocprim17ROCPRIM_400000_NS6detail17trampoline_kernelINS0_14default_configENS1_27scan_by_key_config_selectorIssEEZZNS1_16scan_by_key_implILNS1_25lookback_scan_determinismE0ELb1ES3_N6thrust23THRUST_200600_302600_NS6detail15normal_iteratorINS9_10device_ptrIsEEEESE_SE_sNS9_4plusIvEENS9_8equal_toIvEEsEE10hipError_tPvRmT2_T3_T4_T5_mT6_T7_P12ihipStream_tbENKUlT_T0_E_clISt17integral_constantIbLb1EESY_IbLb0EEEEDaSU_SV_EUlSU_E_NS1_11comp_targetILNS1_3genE3ELNS1_11target_archE908ELNS1_3gpuE7ELNS1_3repE0EEENS1_30default_config_static_selectorELNS0_4arch9wavefront6targetE0EEEvT1_,comdat
	.protected	_ZN7rocprim17ROCPRIM_400000_NS6detail17trampoline_kernelINS0_14default_configENS1_27scan_by_key_config_selectorIssEEZZNS1_16scan_by_key_implILNS1_25lookback_scan_determinismE0ELb1ES3_N6thrust23THRUST_200600_302600_NS6detail15normal_iteratorINS9_10device_ptrIsEEEESE_SE_sNS9_4plusIvEENS9_8equal_toIvEEsEE10hipError_tPvRmT2_T3_T4_T5_mT6_T7_P12ihipStream_tbENKUlT_T0_E_clISt17integral_constantIbLb1EESY_IbLb0EEEEDaSU_SV_EUlSU_E_NS1_11comp_targetILNS1_3genE3ELNS1_11target_archE908ELNS1_3gpuE7ELNS1_3repE0EEENS1_30default_config_static_selectorELNS0_4arch9wavefront6targetE0EEEvT1_ ; -- Begin function _ZN7rocprim17ROCPRIM_400000_NS6detail17trampoline_kernelINS0_14default_configENS1_27scan_by_key_config_selectorIssEEZZNS1_16scan_by_key_implILNS1_25lookback_scan_determinismE0ELb1ES3_N6thrust23THRUST_200600_302600_NS6detail15normal_iteratorINS9_10device_ptrIsEEEESE_SE_sNS9_4plusIvEENS9_8equal_toIvEEsEE10hipError_tPvRmT2_T3_T4_T5_mT6_T7_P12ihipStream_tbENKUlT_T0_E_clISt17integral_constantIbLb1EESY_IbLb0EEEEDaSU_SV_EUlSU_E_NS1_11comp_targetILNS1_3genE3ELNS1_11target_archE908ELNS1_3gpuE7ELNS1_3repE0EEENS1_30default_config_static_selectorELNS0_4arch9wavefront6targetE0EEEvT1_
	.globl	_ZN7rocprim17ROCPRIM_400000_NS6detail17trampoline_kernelINS0_14default_configENS1_27scan_by_key_config_selectorIssEEZZNS1_16scan_by_key_implILNS1_25lookback_scan_determinismE0ELb1ES3_N6thrust23THRUST_200600_302600_NS6detail15normal_iteratorINS9_10device_ptrIsEEEESE_SE_sNS9_4plusIvEENS9_8equal_toIvEEsEE10hipError_tPvRmT2_T3_T4_T5_mT6_T7_P12ihipStream_tbENKUlT_T0_E_clISt17integral_constantIbLb1EESY_IbLb0EEEEDaSU_SV_EUlSU_E_NS1_11comp_targetILNS1_3genE3ELNS1_11target_archE908ELNS1_3gpuE7ELNS1_3repE0EEENS1_30default_config_static_selectorELNS0_4arch9wavefront6targetE0EEEvT1_
	.p2align	8
	.type	_ZN7rocprim17ROCPRIM_400000_NS6detail17trampoline_kernelINS0_14default_configENS1_27scan_by_key_config_selectorIssEEZZNS1_16scan_by_key_implILNS1_25lookback_scan_determinismE0ELb1ES3_N6thrust23THRUST_200600_302600_NS6detail15normal_iteratorINS9_10device_ptrIsEEEESE_SE_sNS9_4plusIvEENS9_8equal_toIvEEsEE10hipError_tPvRmT2_T3_T4_T5_mT6_T7_P12ihipStream_tbENKUlT_T0_E_clISt17integral_constantIbLb1EESY_IbLb0EEEEDaSU_SV_EUlSU_E_NS1_11comp_targetILNS1_3genE3ELNS1_11target_archE908ELNS1_3gpuE7ELNS1_3repE0EEENS1_30default_config_static_selectorELNS0_4arch9wavefront6targetE0EEEvT1_,@function
_ZN7rocprim17ROCPRIM_400000_NS6detail17trampoline_kernelINS0_14default_configENS1_27scan_by_key_config_selectorIssEEZZNS1_16scan_by_key_implILNS1_25lookback_scan_determinismE0ELb1ES3_N6thrust23THRUST_200600_302600_NS6detail15normal_iteratorINS9_10device_ptrIsEEEESE_SE_sNS9_4plusIvEENS9_8equal_toIvEEsEE10hipError_tPvRmT2_T3_T4_T5_mT6_T7_P12ihipStream_tbENKUlT_T0_E_clISt17integral_constantIbLb1EESY_IbLb0EEEEDaSU_SV_EUlSU_E_NS1_11comp_targetILNS1_3genE3ELNS1_11target_archE908ELNS1_3gpuE7ELNS1_3repE0EEENS1_30default_config_static_selectorELNS0_4arch9wavefront6targetE0EEEvT1_: ; @_ZN7rocprim17ROCPRIM_400000_NS6detail17trampoline_kernelINS0_14default_configENS1_27scan_by_key_config_selectorIssEEZZNS1_16scan_by_key_implILNS1_25lookback_scan_determinismE0ELb1ES3_N6thrust23THRUST_200600_302600_NS6detail15normal_iteratorINS9_10device_ptrIsEEEESE_SE_sNS9_4plusIvEENS9_8equal_toIvEEsEE10hipError_tPvRmT2_T3_T4_T5_mT6_T7_P12ihipStream_tbENKUlT_T0_E_clISt17integral_constantIbLb1EESY_IbLb0EEEEDaSU_SV_EUlSU_E_NS1_11comp_targetILNS1_3genE3ELNS1_11target_archE908ELNS1_3gpuE7ELNS1_3repE0EEENS1_30default_config_static_selectorELNS0_4arch9wavefront6targetE0EEEvT1_
; %bb.0:
	.section	.rodata,"a",@progbits
	.p2align	6, 0x0
	.amdhsa_kernel _ZN7rocprim17ROCPRIM_400000_NS6detail17trampoline_kernelINS0_14default_configENS1_27scan_by_key_config_selectorIssEEZZNS1_16scan_by_key_implILNS1_25lookback_scan_determinismE0ELb1ES3_N6thrust23THRUST_200600_302600_NS6detail15normal_iteratorINS9_10device_ptrIsEEEESE_SE_sNS9_4plusIvEENS9_8equal_toIvEEsEE10hipError_tPvRmT2_T3_T4_T5_mT6_T7_P12ihipStream_tbENKUlT_T0_E_clISt17integral_constantIbLb1EESY_IbLb0EEEEDaSU_SV_EUlSU_E_NS1_11comp_targetILNS1_3genE3ELNS1_11target_archE908ELNS1_3gpuE7ELNS1_3repE0EEENS1_30default_config_static_selectorELNS0_4arch9wavefront6targetE0EEEvT1_
		.amdhsa_group_segment_fixed_size 0
		.amdhsa_private_segment_fixed_size 0
		.amdhsa_kernarg_size 112
		.amdhsa_user_sgpr_count 6
		.amdhsa_user_sgpr_private_segment_buffer 1
		.amdhsa_user_sgpr_dispatch_ptr 0
		.amdhsa_user_sgpr_queue_ptr 0
		.amdhsa_user_sgpr_kernarg_segment_ptr 1
		.amdhsa_user_sgpr_dispatch_id 0
		.amdhsa_user_sgpr_flat_scratch_init 0
		.amdhsa_user_sgpr_private_segment_size 0
		.amdhsa_wavefront_size32 1
		.amdhsa_uses_dynamic_stack 0
		.amdhsa_system_sgpr_private_segment_wavefront_offset 0
		.amdhsa_system_sgpr_workgroup_id_x 1
		.amdhsa_system_sgpr_workgroup_id_y 0
		.amdhsa_system_sgpr_workgroup_id_z 0
		.amdhsa_system_sgpr_workgroup_info 0
		.amdhsa_system_vgpr_workitem_id 0
		.amdhsa_next_free_vgpr 1
		.amdhsa_next_free_sgpr 1
		.amdhsa_reserve_vcc 0
		.amdhsa_reserve_flat_scratch 0
		.amdhsa_float_round_mode_32 0
		.amdhsa_float_round_mode_16_64 0
		.amdhsa_float_denorm_mode_32 3
		.amdhsa_float_denorm_mode_16_64 3
		.amdhsa_dx10_clamp 1
		.amdhsa_ieee_mode 1
		.amdhsa_fp16_overflow 0
		.amdhsa_workgroup_processor_mode 1
		.amdhsa_memory_ordered 1
		.amdhsa_forward_progress 1
		.amdhsa_shared_vgpr_count 0
		.amdhsa_exception_fp_ieee_invalid_op 0
		.amdhsa_exception_fp_denorm_src 0
		.amdhsa_exception_fp_ieee_div_zero 0
		.amdhsa_exception_fp_ieee_overflow 0
		.amdhsa_exception_fp_ieee_underflow 0
		.amdhsa_exception_fp_ieee_inexact 0
		.amdhsa_exception_int_div_zero 0
	.end_amdhsa_kernel
	.section	.text._ZN7rocprim17ROCPRIM_400000_NS6detail17trampoline_kernelINS0_14default_configENS1_27scan_by_key_config_selectorIssEEZZNS1_16scan_by_key_implILNS1_25lookback_scan_determinismE0ELb1ES3_N6thrust23THRUST_200600_302600_NS6detail15normal_iteratorINS9_10device_ptrIsEEEESE_SE_sNS9_4plusIvEENS9_8equal_toIvEEsEE10hipError_tPvRmT2_T3_T4_T5_mT6_T7_P12ihipStream_tbENKUlT_T0_E_clISt17integral_constantIbLb1EESY_IbLb0EEEEDaSU_SV_EUlSU_E_NS1_11comp_targetILNS1_3genE3ELNS1_11target_archE908ELNS1_3gpuE7ELNS1_3repE0EEENS1_30default_config_static_selectorELNS0_4arch9wavefront6targetE0EEEvT1_,"axG",@progbits,_ZN7rocprim17ROCPRIM_400000_NS6detail17trampoline_kernelINS0_14default_configENS1_27scan_by_key_config_selectorIssEEZZNS1_16scan_by_key_implILNS1_25lookback_scan_determinismE0ELb1ES3_N6thrust23THRUST_200600_302600_NS6detail15normal_iteratorINS9_10device_ptrIsEEEESE_SE_sNS9_4plusIvEENS9_8equal_toIvEEsEE10hipError_tPvRmT2_T3_T4_T5_mT6_T7_P12ihipStream_tbENKUlT_T0_E_clISt17integral_constantIbLb1EESY_IbLb0EEEEDaSU_SV_EUlSU_E_NS1_11comp_targetILNS1_3genE3ELNS1_11target_archE908ELNS1_3gpuE7ELNS1_3repE0EEENS1_30default_config_static_selectorELNS0_4arch9wavefront6targetE0EEEvT1_,comdat
.Lfunc_end591:
	.size	_ZN7rocprim17ROCPRIM_400000_NS6detail17trampoline_kernelINS0_14default_configENS1_27scan_by_key_config_selectorIssEEZZNS1_16scan_by_key_implILNS1_25lookback_scan_determinismE0ELb1ES3_N6thrust23THRUST_200600_302600_NS6detail15normal_iteratorINS9_10device_ptrIsEEEESE_SE_sNS9_4plusIvEENS9_8equal_toIvEEsEE10hipError_tPvRmT2_T3_T4_T5_mT6_T7_P12ihipStream_tbENKUlT_T0_E_clISt17integral_constantIbLb1EESY_IbLb0EEEEDaSU_SV_EUlSU_E_NS1_11comp_targetILNS1_3genE3ELNS1_11target_archE908ELNS1_3gpuE7ELNS1_3repE0EEENS1_30default_config_static_selectorELNS0_4arch9wavefront6targetE0EEEvT1_, .Lfunc_end591-_ZN7rocprim17ROCPRIM_400000_NS6detail17trampoline_kernelINS0_14default_configENS1_27scan_by_key_config_selectorIssEEZZNS1_16scan_by_key_implILNS1_25lookback_scan_determinismE0ELb1ES3_N6thrust23THRUST_200600_302600_NS6detail15normal_iteratorINS9_10device_ptrIsEEEESE_SE_sNS9_4plusIvEENS9_8equal_toIvEEsEE10hipError_tPvRmT2_T3_T4_T5_mT6_T7_P12ihipStream_tbENKUlT_T0_E_clISt17integral_constantIbLb1EESY_IbLb0EEEEDaSU_SV_EUlSU_E_NS1_11comp_targetILNS1_3genE3ELNS1_11target_archE908ELNS1_3gpuE7ELNS1_3repE0EEENS1_30default_config_static_selectorELNS0_4arch9wavefront6targetE0EEEvT1_
                                        ; -- End function
	.set _ZN7rocprim17ROCPRIM_400000_NS6detail17trampoline_kernelINS0_14default_configENS1_27scan_by_key_config_selectorIssEEZZNS1_16scan_by_key_implILNS1_25lookback_scan_determinismE0ELb1ES3_N6thrust23THRUST_200600_302600_NS6detail15normal_iteratorINS9_10device_ptrIsEEEESE_SE_sNS9_4plusIvEENS9_8equal_toIvEEsEE10hipError_tPvRmT2_T3_T4_T5_mT6_T7_P12ihipStream_tbENKUlT_T0_E_clISt17integral_constantIbLb1EESY_IbLb0EEEEDaSU_SV_EUlSU_E_NS1_11comp_targetILNS1_3genE3ELNS1_11target_archE908ELNS1_3gpuE7ELNS1_3repE0EEENS1_30default_config_static_selectorELNS0_4arch9wavefront6targetE0EEEvT1_.num_vgpr, 0
	.set _ZN7rocprim17ROCPRIM_400000_NS6detail17trampoline_kernelINS0_14default_configENS1_27scan_by_key_config_selectorIssEEZZNS1_16scan_by_key_implILNS1_25lookback_scan_determinismE0ELb1ES3_N6thrust23THRUST_200600_302600_NS6detail15normal_iteratorINS9_10device_ptrIsEEEESE_SE_sNS9_4plusIvEENS9_8equal_toIvEEsEE10hipError_tPvRmT2_T3_T4_T5_mT6_T7_P12ihipStream_tbENKUlT_T0_E_clISt17integral_constantIbLb1EESY_IbLb0EEEEDaSU_SV_EUlSU_E_NS1_11comp_targetILNS1_3genE3ELNS1_11target_archE908ELNS1_3gpuE7ELNS1_3repE0EEENS1_30default_config_static_selectorELNS0_4arch9wavefront6targetE0EEEvT1_.num_agpr, 0
	.set _ZN7rocprim17ROCPRIM_400000_NS6detail17trampoline_kernelINS0_14default_configENS1_27scan_by_key_config_selectorIssEEZZNS1_16scan_by_key_implILNS1_25lookback_scan_determinismE0ELb1ES3_N6thrust23THRUST_200600_302600_NS6detail15normal_iteratorINS9_10device_ptrIsEEEESE_SE_sNS9_4plusIvEENS9_8equal_toIvEEsEE10hipError_tPvRmT2_T3_T4_T5_mT6_T7_P12ihipStream_tbENKUlT_T0_E_clISt17integral_constantIbLb1EESY_IbLb0EEEEDaSU_SV_EUlSU_E_NS1_11comp_targetILNS1_3genE3ELNS1_11target_archE908ELNS1_3gpuE7ELNS1_3repE0EEENS1_30default_config_static_selectorELNS0_4arch9wavefront6targetE0EEEvT1_.numbered_sgpr, 0
	.set _ZN7rocprim17ROCPRIM_400000_NS6detail17trampoline_kernelINS0_14default_configENS1_27scan_by_key_config_selectorIssEEZZNS1_16scan_by_key_implILNS1_25lookback_scan_determinismE0ELb1ES3_N6thrust23THRUST_200600_302600_NS6detail15normal_iteratorINS9_10device_ptrIsEEEESE_SE_sNS9_4plusIvEENS9_8equal_toIvEEsEE10hipError_tPvRmT2_T3_T4_T5_mT6_T7_P12ihipStream_tbENKUlT_T0_E_clISt17integral_constantIbLb1EESY_IbLb0EEEEDaSU_SV_EUlSU_E_NS1_11comp_targetILNS1_3genE3ELNS1_11target_archE908ELNS1_3gpuE7ELNS1_3repE0EEENS1_30default_config_static_selectorELNS0_4arch9wavefront6targetE0EEEvT1_.num_named_barrier, 0
	.set _ZN7rocprim17ROCPRIM_400000_NS6detail17trampoline_kernelINS0_14default_configENS1_27scan_by_key_config_selectorIssEEZZNS1_16scan_by_key_implILNS1_25lookback_scan_determinismE0ELb1ES3_N6thrust23THRUST_200600_302600_NS6detail15normal_iteratorINS9_10device_ptrIsEEEESE_SE_sNS9_4plusIvEENS9_8equal_toIvEEsEE10hipError_tPvRmT2_T3_T4_T5_mT6_T7_P12ihipStream_tbENKUlT_T0_E_clISt17integral_constantIbLb1EESY_IbLb0EEEEDaSU_SV_EUlSU_E_NS1_11comp_targetILNS1_3genE3ELNS1_11target_archE908ELNS1_3gpuE7ELNS1_3repE0EEENS1_30default_config_static_selectorELNS0_4arch9wavefront6targetE0EEEvT1_.private_seg_size, 0
	.set _ZN7rocprim17ROCPRIM_400000_NS6detail17trampoline_kernelINS0_14default_configENS1_27scan_by_key_config_selectorIssEEZZNS1_16scan_by_key_implILNS1_25lookback_scan_determinismE0ELb1ES3_N6thrust23THRUST_200600_302600_NS6detail15normal_iteratorINS9_10device_ptrIsEEEESE_SE_sNS9_4plusIvEENS9_8equal_toIvEEsEE10hipError_tPvRmT2_T3_T4_T5_mT6_T7_P12ihipStream_tbENKUlT_T0_E_clISt17integral_constantIbLb1EESY_IbLb0EEEEDaSU_SV_EUlSU_E_NS1_11comp_targetILNS1_3genE3ELNS1_11target_archE908ELNS1_3gpuE7ELNS1_3repE0EEENS1_30default_config_static_selectorELNS0_4arch9wavefront6targetE0EEEvT1_.uses_vcc, 0
	.set _ZN7rocprim17ROCPRIM_400000_NS6detail17trampoline_kernelINS0_14default_configENS1_27scan_by_key_config_selectorIssEEZZNS1_16scan_by_key_implILNS1_25lookback_scan_determinismE0ELb1ES3_N6thrust23THRUST_200600_302600_NS6detail15normal_iteratorINS9_10device_ptrIsEEEESE_SE_sNS9_4plusIvEENS9_8equal_toIvEEsEE10hipError_tPvRmT2_T3_T4_T5_mT6_T7_P12ihipStream_tbENKUlT_T0_E_clISt17integral_constantIbLb1EESY_IbLb0EEEEDaSU_SV_EUlSU_E_NS1_11comp_targetILNS1_3genE3ELNS1_11target_archE908ELNS1_3gpuE7ELNS1_3repE0EEENS1_30default_config_static_selectorELNS0_4arch9wavefront6targetE0EEEvT1_.uses_flat_scratch, 0
	.set _ZN7rocprim17ROCPRIM_400000_NS6detail17trampoline_kernelINS0_14default_configENS1_27scan_by_key_config_selectorIssEEZZNS1_16scan_by_key_implILNS1_25lookback_scan_determinismE0ELb1ES3_N6thrust23THRUST_200600_302600_NS6detail15normal_iteratorINS9_10device_ptrIsEEEESE_SE_sNS9_4plusIvEENS9_8equal_toIvEEsEE10hipError_tPvRmT2_T3_T4_T5_mT6_T7_P12ihipStream_tbENKUlT_T0_E_clISt17integral_constantIbLb1EESY_IbLb0EEEEDaSU_SV_EUlSU_E_NS1_11comp_targetILNS1_3genE3ELNS1_11target_archE908ELNS1_3gpuE7ELNS1_3repE0EEENS1_30default_config_static_selectorELNS0_4arch9wavefront6targetE0EEEvT1_.has_dyn_sized_stack, 0
	.set _ZN7rocprim17ROCPRIM_400000_NS6detail17trampoline_kernelINS0_14default_configENS1_27scan_by_key_config_selectorIssEEZZNS1_16scan_by_key_implILNS1_25lookback_scan_determinismE0ELb1ES3_N6thrust23THRUST_200600_302600_NS6detail15normal_iteratorINS9_10device_ptrIsEEEESE_SE_sNS9_4plusIvEENS9_8equal_toIvEEsEE10hipError_tPvRmT2_T3_T4_T5_mT6_T7_P12ihipStream_tbENKUlT_T0_E_clISt17integral_constantIbLb1EESY_IbLb0EEEEDaSU_SV_EUlSU_E_NS1_11comp_targetILNS1_3genE3ELNS1_11target_archE908ELNS1_3gpuE7ELNS1_3repE0EEENS1_30default_config_static_selectorELNS0_4arch9wavefront6targetE0EEEvT1_.has_recursion, 0
	.set _ZN7rocprim17ROCPRIM_400000_NS6detail17trampoline_kernelINS0_14default_configENS1_27scan_by_key_config_selectorIssEEZZNS1_16scan_by_key_implILNS1_25lookback_scan_determinismE0ELb1ES3_N6thrust23THRUST_200600_302600_NS6detail15normal_iteratorINS9_10device_ptrIsEEEESE_SE_sNS9_4plusIvEENS9_8equal_toIvEEsEE10hipError_tPvRmT2_T3_T4_T5_mT6_T7_P12ihipStream_tbENKUlT_T0_E_clISt17integral_constantIbLb1EESY_IbLb0EEEEDaSU_SV_EUlSU_E_NS1_11comp_targetILNS1_3genE3ELNS1_11target_archE908ELNS1_3gpuE7ELNS1_3repE0EEENS1_30default_config_static_selectorELNS0_4arch9wavefront6targetE0EEEvT1_.has_indirect_call, 0
	.section	.AMDGPU.csdata,"",@progbits
; Kernel info:
; codeLenInByte = 0
; TotalNumSgprs: 0
; NumVgprs: 0
; ScratchSize: 0
; MemoryBound: 0
; FloatMode: 240
; IeeeMode: 1
; LDSByteSize: 0 bytes/workgroup (compile time only)
; SGPRBlocks: 0
; VGPRBlocks: 0
; NumSGPRsForWavesPerEU: 1
; NumVGPRsForWavesPerEU: 1
; Occupancy: 16
; WaveLimiterHint : 0
; COMPUTE_PGM_RSRC2:SCRATCH_EN: 0
; COMPUTE_PGM_RSRC2:USER_SGPR: 6
; COMPUTE_PGM_RSRC2:TRAP_HANDLER: 0
; COMPUTE_PGM_RSRC2:TGID_X_EN: 1
; COMPUTE_PGM_RSRC2:TGID_Y_EN: 0
; COMPUTE_PGM_RSRC2:TGID_Z_EN: 0
; COMPUTE_PGM_RSRC2:TIDIG_COMP_CNT: 0
	.section	.text._ZN7rocprim17ROCPRIM_400000_NS6detail17trampoline_kernelINS0_14default_configENS1_27scan_by_key_config_selectorIssEEZZNS1_16scan_by_key_implILNS1_25lookback_scan_determinismE0ELb1ES3_N6thrust23THRUST_200600_302600_NS6detail15normal_iteratorINS9_10device_ptrIsEEEESE_SE_sNS9_4plusIvEENS9_8equal_toIvEEsEE10hipError_tPvRmT2_T3_T4_T5_mT6_T7_P12ihipStream_tbENKUlT_T0_E_clISt17integral_constantIbLb1EESY_IbLb0EEEEDaSU_SV_EUlSU_E_NS1_11comp_targetILNS1_3genE2ELNS1_11target_archE906ELNS1_3gpuE6ELNS1_3repE0EEENS1_30default_config_static_selectorELNS0_4arch9wavefront6targetE0EEEvT1_,"axG",@progbits,_ZN7rocprim17ROCPRIM_400000_NS6detail17trampoline_kernelINS0_14default_configENS1_27scan_by_key_config_selectorIssEEZZNS1_16scan_by_key_implILNS1_25lookback_scan_determinismE0ELb1ES3_N6thrust23THRUST_200600_302600_NS6detail15normal_iteratorINS9_10device_ptrIsEEEESE_SE_sNS9_4plusIvEENS9_8equal_toIvEEsEE10hipError_tPvRmT2_T3_T4_T5_mT6_T7_P12ihipStream_tbENKUlT_T0_E_clISt17integral_constantIbLb1EESY_IbLb0EEEEDaSU_SV_EUlSU_E_NS1_11comp_targetILNS1_3genE2ELNS1_11target_archE906ELNS1_3gpuE6ELNS1_3repE0EEENS1_30default_config_static_selectorELNS0_4arch9wavefront6targetE0EEEvT1_,comdat
	.protected	_ZN7rocprim17ROCPRIM_400000_NS6detail17trampoline_kernelINS0_14default_configENS1_27scan_by_key_config_selectorIssEEZZNS1_16scan_by_key_implILNS1_25lookback_scan_determinismE0ELb1ES3_N6thrust23THRUST_200600_302600_NS6detail15normal_iteratorINS9_10device_ptrIsEEEESE_SE_sNS9_4plusIvEENS9_8equal_toIvEEsEE10hipError_tPvRmT2_T3_T4_T5_mT6_T7_P12ihipStream_tbENKUlT_T0_E_clISt17integral_constantIbLb1EESY_IbLb0EEEEDaSU_SV_EUlSU_E_NS1_11comp_targetILNS1_3genE2ELNS1_11target_archE906ELNS1_3gpuE6ELNS1_3repE0EEENS1_30default_config_static_selectorELNS0_4arch9wavefront6targetE0EEEvT1_ ; -- Begin function _ZN7rocprim17ROCPRIM_400000_NS6detail17trampoline_kernelINS0_14default_configENS1_27scan_by_key_config_selectorIssEEZZNS1_16scan_by_key_implILNS1_25lookback_scan_determinismE0ELb1ES3_N6thrust23THRUST_200600_302600_NS6detail15normal_iteratorINS9_10device_ptrIsEEEESE_SE_sNS9_4plusIvEENS9_8equal_toIvEEsEE10hipError_tPvRmT2_T3_T4_T5_mT6_T7_P12ihipStream_tbENKUlT_T0_E_clISt17integral_constantIbLb1EESY_IbLb0EEEEDaSU_SV_EUlSU_E_NS1_11comp_targetILNS1_3genE2ELNS1_11target_archE906ELNS1_3gpuE6ELNS1_3repE0EEENS1_30default_config_static_selectorELNS0_4arch9wavefront6targetE0EEEvT1_
	.globl	_ZN7rocprim17ROCPRIM_400000_NS6detail17trampoline_kernelINS0_14default_configENS1_27scan_by_key_config_selectorIssEEZZNS1_16scan_by_key_implILNS1_25lookback_scan_determinismE0ELb1ES3_N6thrust23THRUST_200600_302600_NS6detail15normal_iteratorINS9_10device_ptrIsEEEESE_SE_sNS9_4plusIvEENS9_8equal_toIvEEsEE10hipError_tPvRmT2_T3_T4_T5_mT6_T7_P12ihipStream_tbENKUlT_T0_E_clISt17integral_constantIbLb1EESY_IbLb0EEEEDaSU_SV_EUlSU_E_NS1_11comp_targetILNS1_3genE2ELNS1_11target_archE906ELNS1_3gpuE6ELNS1_3repE0EEENS1_30default_config_static_selectorELNS0_4arch9wavefront6targetE0EEEvT1_
	.p2align	8
	.type	_ZN7rocprim17ROCPRIM_400000_NS6detail17trampoline_kernelINS0_14default_configENS1_27scan_by_key_config_selectorIssEEZZNS1_16scan_by_key_implILNS1_25lookback_scan_determinismE0ELb1ES3_N6thrust23THRUST_200600_302600_NS6detail15normal_iteratorINS9_10device_ptrIsEEEESE_SE_sNS9_4plusIvEENS9_8equal_toIvEEsEE10hipError_tPvRmT2_T3_T4_T5_mT6_T7_P12ihipStream_tbENKUlT_T0_E_clISt17integral_constantIbLb1EESY_IbLb0EEEEDaSU_SV_EUlSU_E_NS1_11comp_targetILNS1_3genE2ELNS1_11target_archE906ELNS1_3gpuE6ELNS1_3repE0EEENS1_30default_config_static_selectorELNS0_4arch9wavefront6targetE0EEEvT1_,@function
_ZN7rocprim17ROCPRIM_400000_NS6detail17trampoline_kernelINS0_14default_configENS1_27scan_by_key_config_selectorIssEEZZNS1_16scan_by_key_implILNS1_25lookback_scan_determinismE0ELb1ES3_N6thrust23THRUST_200600_302600_NS6detail15normal_iteratorINS9_10device_ptrIsEEEESE_SE_sNS9_4plusIvEENS9_8equal_toIvEEsEE10hipError_tPvRmT2_T3_T4_T5_mT6_T7_P12ihipStream_tbENKUlT_T0_E_clISt17integral_constantIbLb1EESY_IbLb0EEEEDaSU_SV_EUlSU_E_NS1_11comp_targetILNS1_3genE2ELNS1_11target_archE906ELNS1_3gpuE6ELNS1_3repE0EEENS1_30default_config_static_selectorELNS0_4arch9wavefront6targetE0EEEvT1_: ; @_ZN7rocprim17ROCPRIM_400000_NS6detail17trampoline_kernelINS0_14default_configENS1_27scan_by_key_config_selectorIssEEZZNS1_16scan_by_key_implILNS1_25lookback_scan_determinismE0ELb1ES3_N6thrust23THRUST_200600_302600_NS6detail15normal_iteratorINS9_10device_ptrIsEEEESE_SE_sNS9_4plusIvEENS9_8equal_toIvEEsEE10hipError_tPvRmT2_T3_T4_T5_mT6_T7_P12ihipStream_tbENKUlT_T0_E_clISt17integral_constantIbLb1EESY_IbLb0EEEEDaSU_SV_EUlSU_E_NS1_11comp_targetILNS1_3genE2ELNS1_11target_archE906ELNS1_3gpuE6ELNS1_3repE0EEENS1_30default_config_static_selectorELNS0_4arch9wavefront6targetE0EEEvT1_
; %bb.0:
	.section	.rodata,"a",@progbits
	.p2align	6, 0x0
	.amdhsa_kernel _ZN7rocprim17ROCPRIM_400000_NS6detail17trampoline_kernelINS0_14default_configENS1_27scan_by_key_config_selectorIssEEZZNS1_16scan_by_key_implILNS1_25lookback_scan_determinismE0ELb1ES3_N6thrust23THRUST_200600_302600_NS6detail15normal_iteratorINS9_10device_ptrIsEEEESE_SE_sNS9_4plusIvEENS9_8equal_toIvEEsEE10hipError_tPvRmT2_T3_T4_T5_mT6_T7_P12ihipStream_tbENKUlT_T0_E_clISt17integral_constantIbLb1EESY_IbLb0EEEEDaSU_SV_EUlSU_E_NS1_11comp_targetILNS1_3genE2ELNS1_11target_archE906ELNS1_3gpuE6ELNS1_3repE0EEENS1_30default_config_static_selectorELNS0_4arch9wavefront6targetE0EEEvT1_
		.amdhsa_group_segment_fixed_size 0
		.amdhsa_private_segment_fixed_size 0
		.amdhsa_kernarg_size 112
		.amdhsa_user_sgpr_count 6
		.amdhsa_user_sgpr_private_segment_buffer 1
		.amdhsa_user_sgpr_dispatch_ptr 0
		.amdhsa_user_sgpr_queue_ptr 0
		.amdhsa_user_sgpr_kernarg_segment_ptr 1
		.amdhsa_user_sgpr_dispatch_id 0
		.amdhsa_user_sgpr_flat_scratch_init 0
		.amdhsa_user_sgpr_private_segment_size 0
		.amdhsa_wavefront_size32 1
		.amdhsa_uses_dynamic_stack 0
		.amdhsa_system_sgpr_private_segment_wavefront_offset 0
		.amdhsa_system_sgpr_workgroup_id_x 1
		.amdhsa_system_sgpr_workgroup_id_y 0
		.amdhsa_system_sgpr_workgroup_id_z 0
		.amdhsa_system_sgpr_workgroup_info 0
		.amdhsa_system_vgpr_workitem_id 0
		.amdhsa_next_free_vgpr 1
		.amdhsa_next_free_sgpr 1
		.amdhsa_reserve_vcc 0
		.amdhsa_reserve_flat_scratch 0
		.amdhsa_float_round_mode_32 0
		.amdhsa_float_round_mode_16_64 0
		.amdhsa_float_denorm_mode_32 3
		.amdhsa_float_denorm_mode_16_64 3
		.amdhsa_dx10_clamp 1
		.amdhsa_ieee_mode 1
		.amdhsa_fp16_overflow 0
		.amdhsa_workgroup_processor_mode 1
		.amdhsa_memory_ordered 1
		.amdhsa_forward_progress 1
		.amdhsa_shared_vgpr_count 0
		.amdhsa_exception_fp_ieee_invalid_op 0
		.amdhsa_exception_fp_denorm_src 0
		.amdhsa_exception_fp_ieee_div_zero 0
		.amdhsa_exception_fp_ieee_overflow 0
		.amdhsa_exception_fp_ieee_underflow 0
		.amdhsa_exception_fp_ieee_inexact 0
		.amdhsa_exception_int_div_zero 0
	.end_amdhsa_kernel
	.section	.text._ZN7rocprim17ROCPRIM_400000_NS6detail17trampoline_kernelINS0_14default_configENS1_27scan_by_key_config_selectorIssEEZZNS1_16scan_by_key_implILNS1_25lookback_scan_determinismE0ELb1ES3_N6thrust23THRUST_200600_302600_NS6detail15normal_iteratorINS9_10device_ptrIsEEEESE_SE_sNS9_4plusIvEENS9_8equal_toIvEEsEE10hipError_tPvRmT2_T3_T4_T5_mT6_T7_P12ihipStream_tbENKUlT_T0_E_clISt17integral_constantIbLb1EESY_IbLb0EEEEDaSU_SV_EUlSU_E_NS1_11comp_targetILNS1_3genE2ELNS1_11target_archE906ELNS1_3gpuE6ELNS1_3repE0EEENS1_30default_config_static_selectorELNS0_4arch9wavefront6targetE0EEEvT1_,"axG",@progbits,_ZN7rocprim17ROCPRIM_400000_NS6detail17trampoline_kernelINS0_14default_configENS1_27scan_by_key_config_selectorIssEEZZNS1_16scan_by_key_implILNS1_25lookback_scan_determinismE0ELb1ES3_N6thrust23THRUST_200600_302600_NS6detail15normal_iteratorINS9_10device_ptrIsEEEESE_SE_sNS9_4plusIvEENS9_8equal_toIvEEsEE10hipError_tPvRmT2_T3_T4_T5_mT6_T7_P12ihipStream_tbENKUlT_T0_E_clISt17integral_constantIbLb1EESY_IbLb0EEEEDaSU_SV_EUlSU_E_NS1_11comp_targetILNS1_3genE2ELNS1_11target_archE906ELNS1_3gpuE6ELNS1_3repE0EEENS1_30default_config_static_selectorELNS0_4arch9wavefront6targetE0EEEvT1_,comdat
.Lfunc_end592:
	.size	_ZN7rocprim17ROCPRIM_400000_NS6detail17trampoline_kernelINS0_14default_configENS1_27scan_by_key_config_selectorIssEEZZNS1_16scan_by_key_implILNS1_25lookback_scan_determinismE0ELb1ES3_N6thrust23THRUST_200600_302600_NS6detail15normal_iteratorINS9_10device_ptrIsEEEESE_SE_sNS9_4plusIvEENS9_8equal_toIvEEsEE10hipError_tPvRmT2_T3_T4_T5_mT6_T7_P12ihipStream_tbENKUlT_T0_E_clISt17integral_constantIbLb1EESY_IbLb0EEEEDaSU_SV_EUlSU_E_NS1_11comp_targetILNS1_3genE2ELNS1_11target_archE906ELNS1_3gpuE6ELNS1_3repE0EEENS1_30default_config_static_selectorELNS0_4arch9wavefront6targetE0EEEvT1_, .Lfunc_end592-_ZN7rocprim17ROCPRIM_400000_NS6detail17trampoline_kernelINS0_14default_configENS1_27scan_by_key_config_selectorIssEEZZNS1_16scan_by_key_implILNS1_25lookback_scan_determinismE0ELb1ES3_N6thrust23THRUST_200600_302600_NS6detail15normal_iteratorINS9_10device_ptrIsEEEESE_SE_sNS9_4plusIvEENS9_8equal_toIvEEsEE10hipError_tPvRmT2_T3_T4_T5_mT6_T7_P12ihipStream_tbENKUlT_T0_E_clISt17integral_constantIbLb1EESY_IbLb0EEEEDaSU_SV_EUlSU_E_NS1_11comp_targetILNS1_3genE2ELNS1_11target_archE906ELNS1_3gpuE6ELNS1_3repE0EEENS1_30default_config_static_selectorELNS0_4arch9wavefront6targetE0EEEvT1_
                                        ; -- End function
	.set _ZN7rocprim17ROCPRIM_400000_NS6detail17trampoline_kernelINS0_14default_configENS1_27scan_by_key_config_selectorIssEEZZNS1_16scan_by_key_implILNS1_25lookback_scan_determinismE0ELb1ES3_N6thrust23THRUST_200600_302600_NS6detail15normal_iteratorINS9_10device_ptrIsEEEESE_SE_sNS9_4plusIvEENS9_8equal_toIvEEsEE10hipError_tPvRmT2_T3_T4_T5_mT6_T7_P12ihipStream_tbENKUlT_T0_E_clISt17integral_constantIbLb1EESY_IbLb0EEEEDaSU_SV_EUlSU_E_NS1_11comp_targetILNS1_3genE2ELNS1_11target_archE906ELNS1_3gpuE6ELNS1_3repE0EEENS1_30default_config_static_selectorELNS0_4arch9wavefront6targetE0EEEvT1_.num_vgpr, 0
	.set _ZN7rocprim17ROCPRIM_400000_NS6detail17trampoline_kernelINS0_14default_configENS1_27scan_by_key_config_selectorIssEEZZNS1_16scan_by_key_implILNS1_25lookback_scan_determinismE0ELb1ES3_N6thrust23THRUST_200600_302600_NS6detail15normal_iteratorINS9_10device_ptrIsEEEESE_SE_sNS9_4plusIvEENS9_8equal_toIvEEsEE10hipError_tPvRmT2_T3_T4_T5_mT6_T7_P12ihipStream_tbENKUlT_T0_E_clISt17integral_constantIbLb1EESY_IbLb0EEEEDaSU_SV_EUlSU_E_NS1_11comp_targetILNS1_3genE2ELNS1_11target_archE906ELNS1_3gpuE6ELNS1_3repE0EEENS1_30default_config_static_selectorELNS0_4arch9wavefront6targetE0EEEvT1_.num_agpr, 0
	.set _ZN7rocprim17ROCPRIM_400000_NS6detail17trampoline_kernelINS0_14default_configENS1_27scan_by_key_config_selectorIssEEZZNS1_16scan_by_key_implILNS1_25lookback_scan_determinismE0ELb1ES3_N6thrust23THRUST_200600_302600_NS6detail15normal_iteratorINS9_10device_ptrIsEEEESE_SE_sNS9_4plusIvEENS9_8equal_toIvEEsEE10hipError_tPvRmT2_T3_T4_T5_mT6_T7_P12ihipStream_tbENKUlT_T0_E_clISt17integral_constantIbLb1EESY_IbLb0EEEEDaSU_SV_EUlSU_E_NS1_11comp_targetILNS1_3genE2ELNS1_11target_archE906ELNS1_3gpuE6ELNS1_3repE0EEENS1_30default_config_static_selectorELNS0_4arch9wavefront6targetE0EEEvT1_.numbered_sgpr, 0
	.set _ZN7rocprim17ROCPRIM_400000_NS6detail17trampoline_kernelINS0_14default_configENS1_27scan_by_key_config_selectorIssEEZZNS1_16scan_by_key_implILNS1_25lookback_scan_determinismE0ELb1ES3_N6thrust23THRUST_200600_302600_NS6detail15normal_iteratorINS9_10device_ptrIsEEEESE_SE_sNS9_4plusIvEENS9_8equal_toIvEEsEE10hipError_tPvRmT2_T3_T4_T5_mT6_T7_P12ihipStream_tbENKUlT_T0_E_clISt17integral_constantIbLb1EESY_IbLb0EEEEDaSU_SV_EUlSU_E_NS1_11comp_targetILNS1_3genE2ELNS1_11target_archE906ELNS1_3gpuE6ELNS1_3repE0EEENS1_30default_config_static_selectorELNS0_4arch9wavefront6targetE0EEEvT1_.num_named_barrier, 0
	.set _ZN7rocprim17ROCPRIM_400000_NS6detail17trampoline_kernelINS0_14default_configENS1_27scan_by_key_config_selectorIssEEZZNS1_16scan_by_key_implILNS1_25lookback_scan_determinismE0ELb1ES3_N6thrust23THRUST_200600_302600_NS6detail15normal_iteratorINS9_10device_ptrIsEEEESE_SE_sNS9_4plusIvEENS9_8equal_toIvEEsEE10hipError_tPvRmT2_T3_T4_T5_mT6_T7_P12ihipStream_tbENKUlT_T0_E_clISt17integral_constantIbLb1EESY_IbLb0EEEEDaSU_SV_EUlSU_E_NS1_11comp_targetILNS1_3genE2ELNS1_11target_archE906ELNS1_3gpuE6ELNS1_3repE0EEENS1_30default_config_static_selectorELNS0_4arch9wavefront6targetE0EEEvT1_.private_seg_size, 0
	.set _ZN7rocprim17ROCPRIM_400000_NS6detail17trampoline_kernelINS0_14default_configENS1_27scan_by_key_config_selectorIssEEZZNS1_16scan_by_key_implILNS1_25lookback_scan_determinismE0ELb1ES3_N6thrust23THRUST_200600_302600_NS6detail15normal_iteratorINS9_10device_ptrIsEEEESE_SE_sNS9_4plusIvEENS9_8equal_toIvEEsEE10hipError_tPvRmT2_T3_T4_T5_mT6_T7_P12ihipStream_tbENKUlT_T0_E_clISt17integral_constantIbLb1EESY_IbLb0EEEEDaSU_SV_EUlSU_E_NS1_11comp_targetILNS1_3genE2ELNS1_11target_archE906ELNS1_3gpuE6ELNS1_3repE0EEENS1_30default_config_static_selectorELNS0_4arch9wavefront6targetE0EEEvT1_.uses_vcc, 0
	.set _ZN7rocprim17ROCPRIM_400000_NS6detail17trampoline_kernelINS0_14default_configENS1_27scan_by_key_config_selectorIssEEZZNS1_16scan_by_key_implILNS1_25lookback_scan_determinismE0ELb1ES3_N6thrust23THRUST_200600_302600_NS6detail15normal_iteratorINS9_10device_ptrIsEEEESE_SE_sNS9_4plusIvEENS9_8equal_toIvEEsEE10hipError_tPvRmT2_T3_T4_T5_mT6_T7_P12ihipStream_tbENKUlT_T0_E_clISt17integral_constantIbLb1EESY_IbLb0EEEEDaSU_SV_EUlSU_E_NS1_11comp_targetILNS1_3genE2ELNS1_11target_archE906ELNS1_3gpuE6ELNS1_3repE0EEENS1_30default_config_static_selectorELNS0_4arch9wavefront6targetE0EEEvT1_.uses_flat_scratch, 0
	.set _ZN7rocprim17ROCPRIM_400000_NS6detail17trampoline_kernelINS0_14default_configENS1_27scan_by_key_config_selectorIssEEZZNS1_16scan_by_key_implILNS1_25lookback_scan_determinismE0ELb1ES3_N6thrust23THRUST_200600_302600_NS6detail15normal_iteratorINS9_10device_ptrIsEEEESE_SE_sNS9_4plusIvEENS9_8equal_toIvEEsEE10hipError_tPvRmT2_T3_T4_T5_mT6_T7_P12ihipStream_tbENKUlT_T0_E_clISt17integral_constantIbLb1EESY_IbLb0EEEEDaSU_SV_EUlSU_E_NS1_11comp_targetILNS1_3genE2ELNS1_11target_archE906ELNS1_3gpuE6ELNS1_3repE0EEENS1_30default_config_static_selectorELNS0_4arch9wavefront6targetE0EEEvT1_.has_dyn_sized_stack, 0
	.set _ZN7rocprim17ROCPRIM_400000_NS6detail17trampoline_kernelINS0_14default_configENS1_27scan_by_key_config_selectorIssEEZZNS1_16scan_by_key_implILNS1_25lookback_scan_determinismE0ELb1ES3_N6thrust23THRUST_200600_302600_NS6detail15normal_iteratorINS9_10device_ptrIsEEEESE_SE_sNS9_4plusIvEENS9_8equal_toIvEEsEE10hipError_tPvRmT2_T3_T4_T5_mT6_T7_P12ihipStream_tbENKUlT_T0_E_clISt17integral_constantIbLb1EESY_IbLb0EEEEDaSU_SV_EUlSU_E_NS1_11comp_targetILNS1_3genE2ELNS1_11target_archE906ELNS1_3gpuE6ELNS1_3repE0EEENS1_30default_config_static_selectorELNS0_4arch9wavefront6targetE0EEEvT1_.has_recursion, 0
	.set _ZN7rocprim17ROCPRIM_400000_NS6detail17trampoline_kernelINS0_14default_configENS1_27scan_by_key_config_selectorIssEEZZNS1_16scan_by_key_implILNS1_25lookback_scan_determinismE0ELb1ES3_N6thrust23THRUST_200600_302600_NS6detail15normal_iteratorINS9_10device_ptrIsEEEESE_SE_sNS9_4plusIvEENS9_8equal_toIvEEsEE10hipError_tPvRmT2_T3_T4_T5_mT6_T7_P12ihipStream_tbENKUlT_T0_E_clISt17integral_constantIbLb1EESY_IbLb0EEEEDaSU_SV_EUlSU_E_NS1_11comp_targetILNS1_3genE2ELNS1_11target_archE906ELNS1_3gpuE6ELNS1_3repE0EEENS1_30default_config_static_selectorELNS0_4arch9wavefront6targetE0EEEvT1_.has_indirect_call, 0
	.section	.AMDGPU.csdata,"",@progbits
; Kernel info:
; codeLenInByte = 0
; TotalNumSgprs: 0
; NumVgprs: 0
; ScratchSize: 0
; MemoryBound: 0
; FloatMode: 240
; IeeeMode: 1
; LDSByteSize: 0 bytes/workgroup (compile time only)
; SGPRBlocks: 0
; VGPRBlocks: 0
; NumSGPRsForWavesPerEU: 1
; NumVGPRsForWavesPerEU: 1
; Occupancy: 16
; WaveLimiterHint : 0
; COMPUTE_PGM_RSRC2:SCRATCH_EN: 0
; COMPUTE_PGM_RSRC2:USER_SGPR: 6
; COMPUTE_PGM_RSRC2:TRAP_HANDLER: 0
; COMPUTE_PGM_RSRC2:TGID_X_EN: 1
; COMPUTE_PGM_RSRC2:TGID_Y_EN: 0
; COMPUTE_PGM_RSRC2:TGID_Z_EN: 0
; COMPUTE_PGM_RSRC2:TIDIG_COMP_CNT: 0
	.section	.text._ZN7rocprim17ROCPRIM_400000_NS6detail17trampoline_kernelINS0_14default_configENS1_27scan_by_key_config_selectorIssEEZZNS1_16scan_by_key_implILNS1_25lookback_scan_determinismE0ELb1ES3_N6thrust23THRUST_200600_302600_NS6detail15normal_iteratorINS9_10device_ptrIsEEEESE_SE_sNS9_4plusIvEENS9_8equal_toIvEEsEE10hipError_tPvRmT2_T3_T4_T5_mT6_T7_P12ihipStream_tbENKUlT_T0_E_clISt17integral_constantIbLb1EESY_IbLb0EEEEDaSU_SV_EUlSU_E_NS1_11comp_targetILNS1_3genE10ELNS1_11target_archE1200ELNS1_3gpuE4ELNS1_3repE0EEENS1_30default_config_static_selectorELNS0_4arch9wavefront6targetE0EEEvT1_,"axG",@progbits,_ZN7rocprim17ROCPRIM_400000_NS6detail17trampoline_kernelINS0_14default_configENS1_27scan_by_key_config_selectorIssEEZZNS1_16scan_by_key_implILNS1_25lookback_scan_determinismE0ELb1ES3_N6thrust23THRUST_200600_302600_NS6detail15normal_iteratorINS9_10device_ptrIsEEEESE_SE_sNS9_4plusIvEENS9_8equal_toIvEEsEE10hipError_tPvRmT2_T3_T4_T5_mT6_T7_P12ihipStream_tbENKUlT_T0_E_clISt17integral_constantIbLb1EESY_IbLb0EEEEDaSU_SV_EUlSU_E_NS1_11comp_targetILNS1_3genE10ELNS1_11target_archE1200ELNS1_3gpuE4ELNS1_3repE0EEENS1_30default_config_static_selectorELNS0_4arch9wavefront6targetE0EEEvT1_,comdat
	.protected	_ZN7rocprim17ROCPRIM_400000_NS6detail17trampoline_kernelINS0_14default_configENS1_27scan_by_key_config_selectorIssEEZZNS1_16scan_by_key_implILNS1_25lookback_scan_determinismE0ELb1ES3_N6thrust23THRUST_200600_302600_NS6detail15normal_iteratorINS9_10device_ptrIsEEEESE_SE_sNS9_4plusIvEENS9_8equal_toIvEEsEE10hipError_tPvRmT2_T3_T4_T5_mT6_T7_P12ihipStream_tbENKUlT_T0_E_clISt17integral_constantIbLb1EESY_IbLb0EEEEDaSU_SV_EUlSU_E_NS1_11comp_targetILNS1_3genE10ELNS1_11target_archE1200ELNS1_3gpuE4ELNS1_3repE0EEENS1_30default_config_static_selectorELNS0_4arch9wavefront6targetE0EEEvT1_ ; -- Begin function _ZN7rocprim17ROCPRIM_400000_NS6detail17trampoline_kernelINS0_14default_configENS1_27scan_by_key_config_selectorIssEEZZNS1_16scan_by_key_implILNS1_25lookback_scan_determinismE0ELb1ES3_N6thrust23THRUST_200600_302600_NS6detail15normal_iteratorINS9_10device_ptrIsEEEESE_SE_sNS9_4plusIvEENS9_8equal_toIvEEsEE10hipError_tPvRmT2_T3_T4_T5_mT6_T7_P12ihipStream_tbENKUlT_T0_E_clISt17integral_constantIbLb1EESY_IbLb0EEEEDaSU_SV_EUlSU_E_NS1_11comp_targetILNS1_3genE10ELNS1_11target_archE1200ELNS1_3gpuE4ELNS1_3repE0EEENS1_30default_config_static_selectorELNS0_4arch9wavefront6targetE0EEEvT1_
	.globl	_ZN7rocprim17ROCPRIM_400000_NS6detail17trampoline_kernelINS0_14default_configENS1_27scan_by_key_config_selectorIssEEZZNS1_16scan_by_key_implILNS1_25lookback_scan_determinismE0ELb1ES3_N6thrust23THRUST_200600_302600_NS6detail15normal_iteratorINS9_10device_ptrIsEEEESE_SE_sNS9_4plusIvEENS9_8equal_toIvEEsEE10hipError_tPvRmT2_T3_T4_T5_mT6_T7_P12ihipStream_tbENKUlT_T0_E_clISt17integral_constantIbLb1EESY_IbLb0EEEEDaSU_SV_EUlSU_E_NS1_11comp_targetILNS1_3genE10ELNS1_11target_archE1200ELNS1_3gpuE4ELNS1_3repE0EEENS1_30default_config_static_selectorELNS0_4arch9wavefront6targetE0EEEvT1_
	.p2align	8
	.type	_ZN7rocprim17ROCPRIM_400000_NS6detail17trampoline_kernelINS0_14default_configENS1_27scan_by_key_config_selectorIssEEZZNS1_16scan_by_key_implILNS1_25lookback_scan_determinismE0ELb1ES3_N6thrust23THRUST_200600_302600_NS6detail15normal_iteratorINS9_10device_ptrIsEEEESE_SE_sNS9_4plusIvEENS9_8equal_toIvEEsEE10hipError_tPvRmT2_T3_T4_T5_mT6_T7_P12ihipStream_tbENKUlT_T0_E_clISt17integral_constantIbLb1EESY_IbLb0EEEEDaSU_SV_EUlSU_E_NS1_11comp_targetILNS1_3genE10ELNS1_11target_archE1200ELNS1_3gpuE4ELNS1_3repE0EEENS1_30default_config_static_selectorELNS0_4arch9wavefront6targetE0EEEvT1_,@function
_ZN7rocprim17ROCPRIM_400000_NS6detail17trampoline_kernelINS0_14default_configENS1_27scan_by_key_config_selectorIssEEZZNS1_16scan_by_key_implILNS1_25lookback_scan_determinismE0ELb1ES3_N6thrust23THRUST_200600_302600_NS6detail15normal_iteratorINS9_10device_ptrIsEEEESE_SE_sNS9_4plusIvEENS9_8equal_toIvEEsEE10hipError_tPvRmT2_T3_T4_T5_mT6_T7_P12ihipStream_tbENKUlT_T0_E_clISt17integral_constantIbLb1EESY_IbLb0EEEEDaSU_SV_EUlSU_E_NS1_11comp_targetILNS1_3genE10ELNS1_11target_archE1200ELNS1_3gpuE4ELNS1_3repE0EEENS1_30default_config_static_selectorELNS0_4arch9wavefront6targetE0EEEvT1_: ; @_ZN7rocprim17ROCPRIM_400000_NS6detail17trampoline_kernelINS0_14default_configENS1_27scan_by_key_config_selectorIssEEZZNS1_16scan_by_key_implILNS1_25lookback_scan_determinismE0ELb1ES3_N6thrust23THRUST_200600_302600_NS6detail15normal_iteratorINS9_10device_ptrIsEEEESE_SE_sNS9_4plusIvEENS9_8equal_toIvEEsEE10hipError_tPvRmT2_T3_T4_T5_mT6_T7_P12ihipStream_tbENKUlT_T0_E_clISt17integral_constantIbLb1EESY_IbLb0EEEEDaSU_SV_EUlSU_E_NS1_11comp_targetILNS1_3genE10ELNS1_11target_archE1200ELNS1_3gpuE4ELNS1_3repE0EEENS1_30default_config_static_selectorELNS0_4arch9wavefront6targetE0EEEvT1_
; %bb.0:
	.section	.rodata,"a",@progbits
	.p2align	6, 0x0
	.amdhsa_kernel _ZN7rocprim17ROCPRIM_400000_NS6detail17trampoline_kernelINS0_14default_configENS1_27scan_by_key_config_selectorIssEEZZNS1_16scan_by_key_implILNS1_25lookback_scan_determinismE0ELb1ES3_N6thrust23THRUST_200600_302600_NS6detail15normal_iteratorINS9_10device_ptrIsEEEESE_SE_sNS9_4plusIvEENS9_8equal_toIvEEsEE10hipError_tPvRmT2_T3_T4_T5_mT6_T7_P12ihipStream_tbENKUlT_T0_E_clISt17integral_constantIbLb1EESY_IbLb0EEEEDaSU_SV_EUlSU_E_NS1_11comp_targetILNS1_3genE10ELNS1_11target_archE1200ELNS1_3gpuE4ELNS1_3repE0EEENS1_30default_config_static_selectorELNS0_4arch9wavefront6targetE0EEEvT1_
		.amdhsa_group_segment_fixed_size 0
		.amdhsa_private_segment_fixed_size 0
		.amdhsa_kernarg_size 112
		.amdhsa_user_sgpr_count 6
		.amdhsa_user_sgpr_private_segment_buffer 1
		.amdhsa_user_sgpr_dispatch_ptr 0
		.amdhsa_user_sgpr_queue_ptr 0
		.amdhsa_user_sgpr_kernarg_segment_ptr 1
		.amdhsa_user_sgpr_dispatch_id 0
		.amdhsa_user_sgpr_flat_scratch_init 0
		.amdhsa_user_sgpr_private_segment_size 0
		.amdhsa_wavefront_size32 1
		.amdhsa_uses_dynamic_stack 0
		.amdhsa_system_sgpr_private_segment_wavefront_offset 0
		.amdhsa_system_sgpr_workgroup_id_x 1
		.amdhsa_system_sgpr_workgroup_id_y 0
		.amdhsa_system_sgpr_workgroup_id_z 0
		.amdhsa_system_sgpr_workgroup_info 0
		.amdhsa_system_vgpr_workitem_id 0
		.amdhsa_next_free_vgpr 1
		.amdhsa_next_free_sgpr 1
		.amdhsa_reserve_vcc 0
		.amdhsa_reserve_flat_scratch 0
		.amdhsa_float_round_mode_32 0
		.amdhsa_float_round_mode_16_64 0
		.amdhsa_float_denorm_mode_32 3
		.amdhsa_float_denorm_mode_16_64 3
		.amdhsa_dx10_clamp 1
		.amdhsa_ieee_mode 1
		.amdhsa_fp16_overflow 0
		.amdhsa_workgroup_processor_mode 1
		.amdhsa_memory_ordered 1
		.amdhsa_forward_progress 1
		.amdhsa_shared_vgpr_count 0
		.amdhsa_exception_fp_ieee_invalid_op 0
		.amdhsa_exception_fp_denorm_src 0
		.amdhsa_exception_fp_ieee_div_zero 0
		.amdhsa_exception_fp_ieee_overflow 0
		.amdhsa_exception_fp_ieee_underflow 0
		.amdhsa_exception_fp_ieee_inexact 0
		.amdhsa_exception_int_div_zero 0
	.end_amdhsa_kernel
	.section	.text._ZN7rocprim17ROCPRIM_400000_NS6detail17trampoline_kernelINS0_14default_configENS1_27scan_by_key_config_selectorIssEEZZNS1_16scan_by_key_implILNS1_25lookback_scan_determinismE0ELb1ES3_N6thrust23THRUST_200600_302600_NS6detail15normal_iteratorINS9_10device_ptrIsEEEESE_SE_sNS9_4plusIvEENS9_8equal_toIvEEsEE10hipError_tPvRmT2_T3_T4_T5_mT6_T7_P12ihipStream_tbENKUlT_T0_E_clISt17integral_constantIbLb1EESY_IbLb0EEEEDaSU_SV_EUlSU_E_NS1_11comp_targetILNS1_3genE10ELNS1_11target_archE1200ELNS1_3gpuE4ELNS1_3repE0EEENS1_30default_config_static_selectorELNS0_4arch9wavefront6targetE0EEEvT1_,"axG",@progbits,_ZN7rocprim17ROCPRIM_400000_NS6detail17trampoline_kernelINS0_14default_configENS1_27scan_by_key_config_selectorIssEEZZNS1_16scan_by_key_implILNS1_25lookback_scan_determinismE0ELb1ES3_N6thrust23THRUST_200600_302600_NS6detail15normal_iteratorINS9_10device_ptrIsEEEESE_SE_sNS9_4plusIvEENS9_8equal_toIvEEsEE10hipError_tPvRmT2_T3_T4_T5_mT6_T7_P12ihipStream_tbENKUlT_T0_E_clISt17integral_constantIbLb1EESY_IbLb0EEEEDaSU_SV_EUlSU_E_NS1_11comp_targetILNS1_3genE10ELNS1_11target_archE1200ELNS1_3gpuE4ELNS1_3repE0EEENS1_30default_config_static_selectorELNS0_4arch9wavefront6targetE0EEEvT1_,comdat
.Lfunc_end593:
	.size	_ZN7rocprim17ROCPRIM_400000_NS6detail17trampoline_kernelINS0_14default_configENS1_27scan_by_key_config_selectorIssEEZZNS1_16scan_by_key_implILNS1_25lookback_scan_determinismE0ELb1ES3_N6thrust23THRUST_200600_302600_NS6detail15normal_iteratorINS9_10device_ptrIsEEEESE_SE_sNS9_4plusIvEENS9_8equal_toIvEEsEE10hipError_tPvRmT2_T3_T4_T5_mT6_T7_P12ihipStream_tbENKUlT_T0_E_clISt17integral_constantIbLb1EESY_IbLb0EEEEDaSU_SV_EUlSU_E_NS1_11comp_targetILNS1_3genE10ELNS1_11target_archE1200ELNS1_3gpuE4ELNS1_3repE0EEENS1_30default_config_static_selectorELNS0_4arch9wavefront6targetE0EEEvT1_, .Lfunc_end593-_ZN7rocprim17ROCPRIM_400000_NS6detail17trampoline_kernelINS0_14default_configENS1_27scan_by_key_config_selectorIssEEZZNS1_16scan_by_key_implILNS1_25lookback_scan_determinismE0ELb1ES3_N6thrust23THRUST_200600_302600_NS6detail15normal_iteratorINS9_10device_ptrIsEEEESE_SE_sNS9_4plusIvEENS9_8equal_toIvEEsEE10hipError_tPvRmT2_T3_T4_T5_mT6_T7_P12ihipStream_tbENKUlT_T0_E_clISt17integral_constantIbLb1EESY_IbLb0EEEEDaSU_SV_EUlSU_E_NS1_11comp_targetILNS1_3genE10ELNS1_11target_archE1200ELNS1_3gpuE4ELNS1_3repE0EEENS1_30default_config_static_selectorELNS0_4arch9wavefront6targetE0EEEvT1_
                                        ; -- End function
	.set _ZN7rocprim17ROCPRIM_400000_NS6detail17trampoline_kernelINS0_14default_configENS1_27scan_by_key_config_selectorIssEEZZNS1_16scan_by_key_implILNS1_25lookback_scan_determinismE0ELb1ES3_N6thrust23THRUST_200600_302600_NS6detail15normal_iteratorINS9_10device_ptrIsEEEESE_SE_sNS9_4plusIvEENS9_8equal_toIvEEsEE10hipError_tPvRmT2_T3_T4_T5_mT6_T7_P12ihipStream_tbENKUlT_T0_E_clISt17integral_constantIbLb1EESY_IbLb0EEEEDaSU_SV_EUlSU_E_NS1_11comp_targetILNS1_3genE10ELNS1_11target_archE1200ELNS1_3gpuE4ELNS1_3repE0EEENS1_30default_config_static_selectorELNS0_4arch9wavefront6targetE0EEEvT1_.num_vgpr, 0
	.set _ZN7rocprim17ROCPRIM_400000_NS6detail17trampoline_kernelINS0_14default_configENS1_27scan_by_key_config_selectorIssEEZZNS1_16scan_by_key_implILNS1_25lookback_scan_determinismE0ELb1ES3_N6thrust23THRUST_200600_302600_NS6detail15normal_iteratorINS9_10device_ptrIsEEEESE_SE_sNS9_4plusIvEENS9_8equal_toIvEEsEE10hipError_tPvRmT2_T3_T4_T5_mT6_T7_P12ihipStream_tbENKUlT_T0_E_clISt17integral_constantIbLb1EESY_IbLb0EEEEDaSU_SV_EUlSU_E_NS1_11comp_targetILNS1_3genE10ELNS1_11target_archE1200ELNS1_3gpuE4ELNS1_3repE0EEENS1_30default_config_static_selectorELNS0_4arch9wavefront6targetE0EEEvT1_.num_agpr, 0
	.set _ZN7rocprim17ROCPRIM_400000_NS6detail17trampoline_kernelINS0_14default_configENS1_27scan_by_key_config_selectorIssEEZZNS1_16scan_by_key_implILNS1_25lookback_scan_determinismE0ELb1ES3_N6thrust23THRUST_200600_302600_NS6detail15normal_iteratorINS9_10device_ptrIsEEEESE_SE_sNS9_4plusIvEENS9_8equal_toIvEEsEE10hipError_tPvRmT2_T3_T4_T5_mT6_T7_P12ihipStream_tbENKUlT_T0_E_clISt17integral_constantIbLb1EESY_IbLb0EEEEDaSU_SV_EUlSU_E_NS1_11comp_targetILNS1_3genE10ELNS1_11target_archE1200ELNS1_3gpuE4ELNS1_3repE0EEENS1_30default_config_static_selectorELNS0_4arch9wavefront6targetE0EEEvT1_.numbered_sgpr, 0
	.set _ZN7rocprim17ROCPRIM_400000_NS6detail17trampoline_kernelINS0_14default_configENS1_27scan_by_key_config_selectorIssEEZZNS1_16scan_by_key_implILNS1_25lookback_scan_determinismE0ELb1ES3_N6thrust23THRUST_200600_302600_NS6detail15normal_iteratorINS9_10device_ptrIsEEEESE_SE_sNS9_4plusIvEENS9_8equal_toIvEEsEE10hipError_tPvRmT2_T3_T4_T5_mT6_T7_P12ihipStream_tbENKUlT_T0_E_clISt17integral_constantIbLb1EESY_IbLb0EEEEDaSU_SV_EUlSU_E_NS1_11comp_targetILNS1_3genE10ELNS1_11target_archE1200ELNS1_3gpuE4ELNS1_3repE0EEENS1_30default_config_static_selectorELNS0_4arch9wavefront6targetE0EEEvT1_.num_named_barrier, 0
	.set _ZN7rocprim17ROCPRIM_400000_NS6detail17trampoline_kernelINS0_14default_configENS1_27scan_by_key_config_selectorIssEEZZNS1_16scan_by_key_implILNS1_25lookback_scan_determinismE0ELb1ES3_N6thrust23THRUST_200600_302600_NS6detail15normal_iteratorINS9_10device_ptrIsEEEESE_SE_sNS9_4plusIvEENS9_8equal_toIvEEsEE10hipError_tPvRmT2_T3_T4_T5_mT6_T7_P12ihipStream_tbENKUlT_T0_E_clISt17integral_constantIbLb1EESY_IbLb0EEEEDaSU_SV_EUlSU_E_NS1_11comp_targetILNS1_3genE10ELNS1_11target_archE1200ELNS1_3gpuE4ELNS1_3repE0EEENS1_30default_config_static_selectorELNS0_4arch9wavefront6targetE0EEEvT1_.private_seg_size, 0
	.set _ZN7rocprim17ROCPRIM_400000_NS6detail17trampoline_kernelINS0_14default_configENS1_27scan_by_key_config_selectorIssEEZZNS1_16scan_by_key_implILNS1_25lookback_scan_determinismE0ELb1ES3_N6thrust23THRUST_200600_302600_NS6detail15normal_iteratorINS9_10device_ptrIsEEEESE_SE_sNS9_4plusIvEENS9_8equal_toIvEEsEE10hipError_tPvRmT2_T3_T4_T5_mT6_T7_P12ihipStream_tbENKUlT_T0_E_clISt17integral_constantIbLb1EESY_IbLb0EEEEDaSU_SV_EUlSU_E_NS1_11comp_targetILNS1_3genE10ELNS1_11target_archE1200ELNS1_3gpuE4ELNS1_3repE0EEENS1_30default_config_static_selectorELNS0_4arch9wavefront6targetE0EEEvT1_.uses_vcc, 0
	.set _ZN7rocprim17ROCPRIM_400000_NS6detail17trampoline_kernelINS0_14default_configENS1_27scan_by_key_config_selectorIssEEZZNS1_16scan_by_key_implILNS1_25lookback_scan_determinismE0ELb1ES3_N6thrust23THRUST_200600_302600_NS6detail15normal_iteratorINS9_10device_ptrIsEEEESE_SE_sNS9_4plusIvEENS9_8equal_toIvEEsEE10hipError_tPvRmT2_T3_T4_T5_mT6_T7_P12ihipStream_tbENKUlT_T0_E_clISt17integral_constantIbLb1EESY_IbLb0EEEEDaSU_SV_EUlSU_E_NS1_11comp_targetILNS1_3genE10ELNS1_11target_archE1200ELNS1_3gpuE4ELNS1_3repE0EEENS1_30default_config_static_selectorELNS0_4arch9wavefront6targetE0EEEvT1_.uses_flat_scratch, 0
	.set _ZN7rocprim17ROCPRIM_400000_NS6detail17trampoline_kernelINS0_14default_configENS1_27scan_by_key_config_selectorIssEEZZNS1_16scan_by_key_implILNS1_25lookback_scan_determinismE0ELb1ES3_N6thrust23THRUST_200600_302600_NS6detail15normal_iteratorINS9_10device_ptrIsEEEESE_SE_sNS9_4plusIvEENS9_8equal_toIvEEsEE10hipError_tPvRmT2_T3_T4_T5_mT6_T7_P12ihipStream_tbENKUlT_T0_E_clISt17integral_constantIbLb1EESY_IbLb0EEEEDaSU_SV_EUlSU_E_NS1_11comp_targetILNS1_3genE10ELNS1_11target_archE1200ELNS1_3gpuE4ELNS1_3repE0EEENS1_30default_config_static_selectorELNS0_4arch9wavefront6targetE0EEEvT1_.has_dyn_sized_stack, 0
	.set _ZN7rocprim17ROCPRIM_400000_NS6detail17trampoline_kernelINS0_14default_configENS1_27scan_by_key_config_selectorIssEEZZNS1_16scan_by_key_implILNS1_25lookback_scan_determinismE0ELb1ES3_N6thrust23THRUST_200600_302600_NS6detail15normal_iteratorINS9_10device_ptrIsEEEESE_SE_sNS9_4plusIvEENS9_8equal_toIvEEsEE10hipError_tPvRmT2_T3_T4_T5_mT6_T7_P12ihipStream_tbENKUlT_T0_E_clISt17integral_constantIbLb1EESY_IbLb0EEEEDaSU_SV_EUlSU_E_NS1_11comp_targetILNS1_3genE10ELNS1_11target_archE1200ELNS1_3gpuE4ELNS1_3repE0EEENS1_30default_config_static_selectorELNS0_4arch9wavefront6targetE0EEEvT1_.has_recursion, 0
	.set _ZN7rocprim17ROCPRIM_400000_NS6detail17trampoline_kernelINS0_14default_configENS1_27scan_by_key_config_selectorIssEEZZNS1_16scan_by_key_implILNS1_25lookback_scan_determinismE0ELb1ES3_N6thrust23THRUST_200600_302600_NS6detail15normal_iteratorINS9_10device_ptrIsEEEESE_SE_sNS9_4plusIvEENS9_8equal_toIvEEsEE10hipError_tPvRmT2_T3_T4_T5_mT6_T7_P12ihipStream_tbENKUlT_T0_E_clISt17integral_constantIbLb1EESY_IbLb0EEEEDaSU_SV_EUlSU_E_NS1_11comp_targetILNS1_3genE10ELNS1_11target_archE1200ELNS1_3gpuE4ELNS1_3repE0EEENS1_30default_config_static_selectorELNS0_4arch9wavefront6targetE0EEEvT1_.has_indirect_call, 0
	.section	.AMDGPU.csdata,"",@progbits
; Kernel info:
; codeLenInByte = 0
; TotalNumSgprs: 0
; NumVgprs: 0
; ScratchSize: 0
; MemoryBound: 0
; FloatMode: 240
; IeeeMode: 1
; LDSByteSize: 0 bytes/workgroup (compile time only)
; SGPRBlocks: 0
; VGPRBlocks: 0
; NumSGPRsForWavesPerEU: 1
; NumVGPRsForWavesPerEU: 1
; Occupancy: 16
; WaveLimiterHint : 0
; COMPUTE_PGM_RSRC2:SCRATCH_EN: 0
; COMPUTE_PGM_RSRC2:USER_SGPR: 6
; COMPUTE_PGM_RSRC2:TRAP_HANDLER: 0
; COMPUTE_PGM_RSRC2:TGID_X_EN: 1
; COMPUTE_PGM_RSRC2:TGID_Y_EN: 0
; COMPUTE_PGM_RSRC2:TGID_Z_EN: 0
; COMPUTE_PGM_RSRC2:TIDIG_COMP_CNT: 0
	.section	.text._ZN7rocprim17ROCPRIM_400000_NS6detail17trampoline_kernelINS0_14default_configENS1_27scan_by_key_config_selectorIssEEZZNS1_16scan_by_key_implILNS1_25lookback_scan_determinismE0ELb1ES3_N6thrust23THRUST_200600_302600_NS6detail15normal_iteratorINS9_10device_ptrIsEEEESE_SE_sNS9_4plusIvEENS9_8equal_toIvEEsEE10hipError_tPvRmT2_T3_T4_T5_mT6_T7_P12ihipStream_tbENKUlT_T0_E_clISt17integral_constantIbLb1EESY_IbLb0EEEEDaSU_SV_EUlSU_E_NS1_11comp_targetILNS1_3genE9ELNS1_11target_archE1100ELNS1_3gpuE3ELNS1_3repE0EEENS1_30default_config_static_selectorELNS0_4arch9wavefront6targetE0EEEvT1_,"axG",@progbits,_ZN7rocprim17ROCPRIM_400000_NS6detail17trampoline_kernelINS0_14default_configENS1_27scan_by_key_config_selectorIssEEZZNS1_16scan_by_key_implILNS1_25lookback_scan_determinismE0ELb1ES3_N6thrust23THRUST_200600_302600_NS6detail15normal_iteratorINS9_10device_ptrIsEEEESE_SE_sNS9_4plusIvEENS9_8equal_toIvEEsEE10hipError_tPvRmT2_T3_T4_T5_mT6_T7_P12ihipStream_tbENKUlT_T0_E_clISt17integral_constantIbLb1EESY_IbLb0EEEEDaSU_SV_EUlSU_E_NS1_11comp_targetILNS1_3genE9ELNS1_11target_archE1100ELNS1_3gpuE3ELNS1_3repE0EEENS1_30default_config_static_selectorELNS0_4arch9wavefront6targetE0EEEvT1_,comdat
	.protected	_ZN7rocprim17ROCPRIM_400000_NS6detail17trampoline_kernelINS0_14default_configENS1_27scan_by_key_config_selectorIssEEZZNS1_16scan_by_key_implILNS1_25lookback_scan_determinismE0ELb1ES3_N6thrust23THRUST_200600_302600_NS6detail15normal_iteratorINS9_10device_ptrIsEEEESE_SE_sNS9_4plusIvEENS9_8equal_toIvEEsEE10hipError_tPvRmT2_T3_T4_T5_mT6_T7_P12ihipStream_tbENKUlT_T0_E_clISt17integral_constantIbLb1EESY_IbLb0EEEEDaSU_SV_EUlSU_E_NS1_11comp_targetILNS1_3genE9ELNS1_11target_archE1100ELNS1_3gpuE3ELNS1_3repE0EEENS1_30default_config_static_selectorELNS0_4arch9wavefront6targetE0EEEvT1_ ; -- Begin function _ZN7rocprim17ROCPRIM_400000_NS6detail17trampoline_kernelINS0_14default_configENS1_27scan_by_key_config_selectorIssEEZZNS1_16scan_by_key_implILNS1_25lookback_scan_determinismE0ELb1ES3_N6thrust23THRUST_200600_302600_NS6detail15normal_iteratorINS9_10device_ptrIsEEEESE_SE_sNS9_4plusIvEENS9_8equal_toIvEEsEE10hipError_tPvRmT2_T3_T4_T5_mT6_T7_P12ihipStream_tbENKUlT_T0_E_clISt17integral_constantIbLb1EESY_IbLb0EEEEDaSU_SV_EUlSU_E_NS1_11comp_targetILNS1_3genE9ELNS1_11target_archE1100ELNS1_3gpuE3ELNS1_3repE0EEENS1_30default_config_static_selectorELNS0_4arch9wavefront6targetE0EEEvT1_
	.globl	_ZN7rocprim17ROCPRIM_400000_NS6detail17trampoline_kernelINS0_14default_configENS1_27scan_by_key_config_selectorIssEEZZNS1_16scan_by_key_implILNS1_25lookback_scan_determinismE0ELb1ES3_N6thrust23THRUST_200600_302600_NS6detail15normal_iteratorINS9_10device_ptrIsEEEESE_SE_sNS9_4plusIvEENS9_8equal_toIvEEsEE10hipError_tPvRmT2_T3_T4_T5_mT6_T7_P12ihipStream_tbENKUlT_T0_E_clISt17integral_constantIbLb1EESY_IbLb0EEEEDaSU_SV_EUlSU_E_NS1_11comp_targetILNS1_3genE9ELNS1_11target_archE1100ELNS1_3gpuE3ELNS1_3repE0EEENS1_30default_config_static_selectorELNS0_4arch9wavefront6targetE0EEEvT1_
	.p2align	8
	.type	_ZN7rocprim17ROCPRIM_400000_NS6detail17trampoline_kernelINS0_14default_configENS1_27scan_by_key_config_selectorIssEEZZNS1_16scan_by_key_implILNS1_25lookback_scan_determinismE0ELb1ES3_N6thrust23THRUST_200600_302600_NS6detail15normal_iteratorINS9_10device_ptrIsEEEESE_SE_sNS9_4plusIvEENS9_8equal_toIvEEsEE10hipError_tPvRmT2_T3_T4_T5_mT6_T7_P12ihipStream_tbENKUlT_T0_E_clISt17integral_constantIbLb1EESY_IbLb0EEEEDaSU_SV_EUlSU_E_NS1_11comp_targetILNS1_3genE9ELNS1_11target_archE1100ELNS1_3gpuE3ELNS1_3repE0EEENS1_30default_config_static_selectorELNS0_4arch9wavefront6targetE0EEEvT1_,@function
_ZN7rocprim17ROCPRIM_400000_NS6detail17trampoline_kernelINS0_14default_configENS1_27scan_by_key_config_selectorIssEEZZNS1_16scan_by_key_implILNS1_25lookback_scan_determinismE0ELb1ES3_N6thrust23THRUST_200600_302600_NS6detail15normal_iteratorINS9_10device_ptrIsEEEESE_SE_sNS9_4plusIvEENS9_8equal_toIvEEsEE10hipError_tPvRmT2_T3_T4_T5_mT6_T7_P12ihipStream_tbENKUlT_T0_E_clISt17integral_constantIbLb1EESY_IbLb0EEEEDaSU_SV_EUlSU_E_NS1_11comp_targetILNS1_3genE9ELNS1_11target_archE1100ELNS1_3gpuE3ELNS1_3repE0EEENS1_30default_config_static_selectorELNS0_4arch9wavefront6targetE0EEEvT1_: ; @_ZN7rocprim17ROCPRIM_400000_NS6detail17trampoline_kernelINS0_14default_configENS1_27scan_by_key_config_selectorIssEEZZNS1_16scan_by_key_implILNS1_25lookback_scan_determinismE0ELb1ES3_N6thrust23THRUST_200600_302600_NS6detail15normal_iteratorINS9_10device_ptrIsEEEESE_SE_sNS9_4plusIvEENS9_8equal_toIvEEsEE10hipError_tPvRmT2_T3_T4_T5_mT6_T7_P12ihipStream_tbENKUlT_T0_E_clISt17integral_constantIbLb1EESY_IbLb0EEEEDaSU_SV_EUlSU_E_NS1_11comp_targetILNS1_3genE9ELNS1_11target_archE1100ELNS1_3gpuE3ELNS1_3repE0EEENS1_30default_config_static_selectorELNS0_4arch9wavefront6targetE0EEEvT1_
; %bb.0:
	.section	.rodata,"a",@progbits
	.p2align	6, 0x0
	.amdhsa_kernel _ZN7rocprim17ROCPRIM_400000_NS6detail17trampoline_kernelINS0_14default_configENS1_27scan_by_key_config_selectorIssEEZZNS1_16scan_by_key_implILNS1_25lookback_scan_determinismE0ELb1ES3_N6thrust23THRUST_200600_302600_NS6detail15normal_iteratorINS9_10device_ptrIsEEEESE_SE_sNS9_4plusIvEENS9_8equal_toIvEEsEE10hipError_tPvRmT2_T3_T4_T5_mT6_T7_P12ihipStream_tbENKUlT_T0_E_clISt17integral_constantIbLb1EESY_IbLb0EEEEDaSU_SV_EUlSU_E_NS1_11comp_targetILNS1_3genE9ELNS1_11target_archE1100ELNS1_3gpuE3ELNS1_3repE0EEENS1_30default_config_static_selectorELNS0_4arch9wavefront6targetE0EEEvT1_
		.amdhsa_group_segment_fixed_size 0
		.amdhsa_private_segment_fixed_size 0
		.amdhsa_kernarg_size 112
		.amdhsa_user_sgpr_count 6
		.amdhsa_user_sgpr_private_segment_buffer 1
		.amdhsa_user_sgpr_dispatch_ptr 0
		.amdhsa_user_sgpr_queue_ptr 0
		.amdhsa_user_sgpr_kernarg_segment_ptr 1
		.amdhsa_user_sgpr_dispatch_id 0
		.amdhsa_user_sgpr_flat_scratch_init 0
		.amdhsa_user_sgpr_private_segment_size 0
		.amdhsa_wavefront_size32 1
		.amdhsa_uses_dynamic_stack 0
		.amdhsa_system_sgpr_private_segment_wavefront_offset 0
		.amdhsa_system_sgpr_workgroup_id_x 1
		.amdhsa_system_sgpr_workgroup_id_y 0
		.amdhsa_system_sgpr_workgroup_id_z 0
		.amdhsa_system_sgpr_workgroup_info 0
		.amdhsa_system_vgpr_workitem_id 0
		.amdhsa_next_free_vgpr 1
		.amdhsa_next_free_sgpr 1
		.amdhsa_reserve_vcc 0
		.amdhsa_reserve_flat_scratch 0
		.amdhsa_float_round_mode_32 0
		.amdhsa_float_round_mode_16_64 0
		.amdhsa_float_denorm_mode_32 3
		.amdhsa_float_denorm_mode_16_64 3
		.amdhsa_dx10_clamp 1
		.amdhsa_ieee_mode 1
		.amdhsa_fp16_overflow 0
		.amdhsa_workgroup_processor_mode 1
		.amdhsa_memory_ordered 1
		.amdhsa_forward_progress 1
		.amdhsa_shared_vgpr_count 0
		.amdhsa_exception_fp_ieee_invalid_op 0
		.amdhsa_exception_fp_denorm_src 0
		.amdhsa_exception_fp_ieee_div_zero 0
		.amdhsa_exception_fp_ieee_overflow 0
		.amdhsa_exception_fp_ieee_underflow 0
		.amdhsa_exception_fp_ieee_inexact 0
		.amdhsa_exception_int_div_zero 0
	.end_amdhsa_kernel
	.section	.text._ZN7rocprim17ROCPRIM_400000_NS6detail17trampoline_kernelINS0_14default_configENS1_27scan_by_key_config_selectorIssEEZZNS1_16scan_by_key_implILNS1_25lookback_scan_determinismE0ELb1ES3_N6thrust23THRUST_200600_302600_NS6detail15normal_iteratorINS9_10device_ptrIsEEEESE_SE_sNS9_4plusIvEENS9_8equal_toIvEEsEE10hipError_tPvRmT2_T3_T4_T5_mT6_T7_P12ihipStream_tbENKUlT_T0_E_clISt17integral_constantIbLb1EESY_IbLb0EEEEDaSU_SV_EUlSU_E_NS1_11comp_targetILNS1_3genE9ELNS1_11target_archE1100ELNS1_3gpuE3ELNS1_3repE0EEENS1_30default_config_static_selectorELNS0_4arch9wavefront6targetE0EEEvT1_,"axG",@progbits,_ZN7rocprim17ROCPRIM_400000_NS6detail17trampoline_kernelINS0_14default_configENS1_27scan_by_key_config_selectorIssEEZZNS1_16scan_by_key_implILNS1_25lookback_scan_determinismE0ELb1ES3_N6thrust23THRUST_200600_302600_NS6detail15normal_iteratorINS9_10device_ptrIsEEEESE_SE_sNS9_4plusIvEENS9_8equal_toIvEEsEE10hipError_tPvRmT2_T3_T4_T5_mT6_T7_P12ihipStream_tbENKUlT_T0_E_clISt17integral_constantIbLb1EESY_IbLb0EEEEDaSU_SV_EUlSU_E_NS1_11comp_targetILNS1_3genE9ELNS1_11target_archE1100ELNS1_3gpuE3ELNS1_3repE0EEENS1_30default_config_static_selectorELNS0_4arch9wavefront6targetE0EEEvT1_,comdat
.Lfunc_end594:
	.size	_ZN7rocprim17ROCPRIM_400000_NS6detail17trampoline_kernelINS0_14default_configENS1_27scan_by_key_config_selectorIssEEZZNS1_16scan_by_key_implILNS1_25lookback_scan_determinismE0ELb1ES3_N6thrust23THRUST_200600_302600_NS6detail15normal_iteratorINS9_10device_ptrIsEEEESE_SE_sNS9_4plusIvEENS9_8equal_toIvEEsEE10hipError_tPvRmT2_T3_T4_T5_mT6_T7_P12ihipStream_tbENKUlT_T0_E_clISt17integral_constantIbLb1EESY_IbLb0EEEEDaSU_SV_EUlSU_E_NS1_11comp_targetILNS1_3genE9ELNS1_11target_archE1100ELNS1_3gpuE3ELNS1_3repE0EEENS1_30default_config_static_selectorELNS0_4arch9wavefront6targetE0EEEvT1_, .Lfunc_end594-_ZN7rocprim17ROCPRIM_400000_NS6detail17trampoline_kernelINS0_14default_configENS1_27scan_by_key_config_selectorIssEEZZNS1_16scan_by_key_implILNS1_25lookback_scan_determinismE0ELb1ES3_N6thrust23THRUST_200600_302600_NS6detail15normal_iteratorINS9_10device_ptrIsEEEESE_SE_sNS9_4plusIvEENS9_8equal_toIvEEsEE10hipError_tPvRmT2_T3_T4_T5_mT6_T7_P12ihipStream_tbENKUlT_T0_E_clISt17integral_constantIbLb1EESY_IbLb0EEEEDaSU_SV_EUlSU_E_NS1_11comp_targetILNS1_3genE9ELNS1_11target_archE1100ELNS1_3gpuE3ELNS1_3repE0EEENS1_30default_config_static_selectorELNS0_4arch9wavefront6targetE0EEEvT1_
                                        ; -- End function
	.set _ZN7rocprim17ROCPRIM_400000_NS6detail17trampoline_kernelINS0_14default_configENS1_27scan_by_key_config_selectorIssEEZZNS1_16scan_by_key_implILNS1_25lookback_scan_determinismE0ELb1ES3_N6thrust23THRUST_200600_302600_NS6detail15normal_iteratorINS9_10device_ptrIsEEEESE_SE_sNS9_4plusIvEENS9_8equal_toIvEEsEE10hipError_tPvRmT2_T3_T4_T5_mT6_T7_P12ihipStream_tbENKUlT_T0_E_clISt17integral_constantIbLb1EESY_IbLb0EEEEDaSU_SV_EUlSU_E_NS1_11comp_targetILNS1_3genE9ELNS1_11target_archE1100ELNS1_3gpuE3ELNS1_3repE0EEENS1_30default_config_static_selectorELNS0_4arch9wavefront6targetE0EEEvT1_.num_vgpr, 0
	.set _ZN7rocprim17ROCPRIM_400000_NS6detail17trampoline_kernelINS0_14default_configENS1_27scan_by_key_config_selectorIssEEZZNS1_16scan_by_key_implILNS1_25lookback_scan_determinismE0ELb1ES3_N6thrust23THRUST_200600_302600_NS6detail15normal_iteratorINS9_10device_ptrIsEEEESE_SE_sNS9_4plusIvEENS9_8equal_toIvEEsEE10hipError_tPvRmT2_T3_T4_T5_mT6_T7_P12ihipStream_tbENKUlT_T0_E_clISt17integral_constantIbLb1EESY_IbLb0EEEEDaSU_SV_EUlSU_E_NS1_11comp_targetILNS1_3genE9ELNS1_11target_archE1100ELNS1_3gpuE3ELNS1_3repE0EEENS1_30default_config_static_selectorELNS0_4arch9wavefront6targetE0EEEvT1_.num_agpr, 0
	.set _ZN7rocprim17ROCPRIM_400000_NS6detail17trampoline_kernelINS0_14default_configENS1_27scan_by_key_config_selectorIssEEZZNS1_16scan_by_key_implILNS1_25lookback_scan_determinismE0ELb1ES3_N6thrust23THRUST_200600_302600_NS6detail15normal_iteratorINS9_10device_ptrIsEEEESE_SE_sNS9_4plusIvEENS9_8equal_toIvEEsEE10hipError_tPvRmT2_T3_T4_T5_mT6_T7_P12ihipStream_tbENKUlT_T0_E_clISt17integral_constantIbLb1EESY_IbLb0EEEEDaSU_SV_EUlSU_E_NS1_11comp_targetILNS1_3genE9ELNS1_11target_archE1100ELNS1_3gpuE3ELNS1_3repE0EEENS1_30default_config_static_selectorELNS0_4arch9wavefront6targetE0EEEvT1_.numbered_sgpr, 0
	.set _ZN7rocprim17ROCPRIM_400000_NS6detail17trampoline_kernelINS0_14default_configENS1_27scan_by_key_config_selectorIssEEZZNS1_16scan_by_key_implILNS1_25lookback_scan_determinismE0ELb1ES3_N6thrust23THRUST_200600_302600_NS6detail15normal_iteratorINS9_10device_ptrIsEEEESE_SE_sNS9_4plusIvEENS9_8equal_toIvEEsEE10hipError_tPvRmT2_T3_T4_T5_mT6_T7_P12ihipStream_tbENKUlT_T0_E_clISt17integral_constantIbLb1EESY_IbLb0EEEEDaSU_SV_EUlSU_E_NS1_11comp_targetILNS1_3genE9ELNS1_11target_archE1100ELNS1_3gpuE3ELNS1_3repE0EEENS1_30default_config_static_selectorELNS0_4arch9wavefront6targetE0EEEvT1_.num_named_barrier, 0
	.set _ZN7rocprim17ROCPRIM_400000_NS6detail17trampoline_kernelINS0_14default_configENS1_27scan_by_key_config_selectorIssEEZZNS1_16scan_by_key_implILNS1_25lookback_scan_determinismE0ELb1ES3_N6thrust23THRUST_200600_302600_NS6detail15normal_iteratorINS9_10device_ptrIsEEEESE_SE_sNS9_4plusIvEENS9_8equal_toIvEEsEE10hipError_tPvRmT2_T3_T4_T5_mT6_T7_P12ihipStream_tbENKUlT_T0_E_clISt17integral_constantIbLb1EESY_IbLb0EEEEDaSU_SV_EUlSU_E_NS1_11comp_targetILNS1_3genE9ELNS1_11target_archE1100ELNS1_3gpuE3ELNS1_3repE0EEENS1_30default_config_static_selectorELNS0_4arch9wavefront6targetE0EEEvT1_.private_seg_size, 0
	.set _ZN7rocprim17ROCPRIM_400000_NS6detail17trampoline_kernelINS0_14default_configENS1_27scan_by_key_config_selectorIssEEZZNS1_16scan_by_key_implILNS1_25lookback_scan_determinismE0ELb1ES3_N6thrust23THRUST_200600_302600_NS6detail15normal_iteratorINS9_10device_ptrIsEEEESE_SE_sNS9_4plusIvEENS9_8equal_toIvEEsEE10hipError_tPvRmT2_T3_T4_T5_mT6_T7_P12ihipStream_tbENKUlT_T0_E_clISt17integral_constantIbLb1EESY_IbLb0EEEEDaSU_SV_EUlSU_E_NS1_11comp_targetILNS1_3genE9ELNS1_11target_archE1100ELNS1_3gpuE3ELNS1_3repE0EEENS1_30default_config_static_selectorELNS0_4arch9wavefront6targetE0EEEvT1_.uses_vcc, 0
	.set _ZN7rocprim17ROCPRIM_400000_NS6detail17trampoline_kernelINS0_14default_configENS1_27scan_by_key_config_selectorIssEEZZNS1_16scan_by_key_implILNS1_25lookback_scan_determinismE0ELb1ES3_N6thrust23THRUST_200600_302600_NS6detail15normal_iteratorINS9_10device_ptrIsEEEESE_SE_sNS9_4plusIvEENS9_8equal_toIvEEsEE10hipError_tPvRmT2_T3_T4_T5_mT6_T7_P12ihipStream_tbENKUlT_T0_E_clISt17integral_constantIbLb1EESY_IbLb0EEEEDaSU_SV_EUlSU_E_NS1_11comp_targetILNS1_3genE9ELNS1_11target_archE1100ELNS1_3gpuE3ELNS1_3repE0EEENS1_30default_config_static_selectorELNS0_4arch9wavefront6targetE0EEEvT1_.uses_flat_scratch, 0
	.set _ZN7rocprim17ROCPRIM_400000_NS6detail17trampoline_kernelINS0_14default_configENS1_27scan_by_key_config_selectorIssEEZZNS1_16scan_by_key_implILNS1_25lookback_scan_determinismE0ELb1ES3_N6thrust23THRUST_200600_302600_NS6detail15normal_iteratorINS9_10device_ptrIsEEEESE_SE_sNS9_4plusIvEENS9_8equal_toIvEEsEE10hipError_tPvRmT2_T3_T4_T5_mT6_T7_P12ihipStream_tbENKUlT_T0_E_clISt17integral_constantIbLb1EESY_IbLb0EEEEDaSU_SV_EUlSU_E_NS1_11comp_targetILNS1_3genE9ELNS1_11target_archE1100ELNS1_3gpuE3ELNS1_3repE0EEENS1_30default_config_static_selectorELNS0_4arch9wavefront6targetE0EEEvT1_.has_dyn_sized_stack, 0
	.set _ZN7rocprim17ROCPRIM_400000_NS6detail17trampoline_kernelINS0_14default_configENS1_27scan_by_key_config_selectorIssEEZZNS1_16scan_by_key_implILNS1_25lookback_scan_determinismE0ELb1ES3_N6thrust23THRUST_200600_302600_NS6detail15normal_iteratorINS9_10device_ptrIsEEEESE_SE_sNS9_4plusIvEENS9_8equal_toIvEEsEE10hipError_tPvRmT2_T3_T4_T5_mT6_T7_P12ihipStream_tbENKUlT_T0_E_clISt17integral_constantIbLb1EESY_IbLb0EEEEDaSU_SV_EUlSU_E_NS1_11comp_targetILNS1_3genE9ELNS1_11target_archE1100ELNS1_3gpuE3ELNS1_3repE0EEENS1_30default_config_static_selectorELNS0_4arch9wavefront6targetE0EEEvT1_.has_recursion, 0
	.set _ZN7rocprim17ROCPRIM_400000_NS6detail17trampoline_kernelINS0_14default_configENS1_27scan_by_key_config_selectorIssEEZZNS1_16scan_by_key_implILNS1_25lookback_scan_determinismE0ELb1ES3_N6thrust23THRUST_200600_302600_NS6detail15normal_iteratorINS9_10device_ptrIsEEEESE_SE_sNS9_4plusIvEENS9_8equal_toIvEEsEE10hipError_tPvRmT2_T3_T4_T5_mT6_T7_P12ihipStream_tbENKUlT_T0_E_clISt17integral_constantIbLb1EESY_IbLb0EEEEDaSU_SV_EUlSU_E_NS1_11comp_targetILNS1_3genE9ELNS1_11target_archE1100ELNS1_3gpuE3ELNS1_3repE0EEENS1_30default_config_static_selectorELNS0_4arch9wavefront6targetE0EEEvT1_.has_indirect_call, 0
	.section	.AMDGPU.csdata,"",@progbits
; Kernel info:
; codeLenInByte = 0
; TotalNumSgprs: 0
; NumVgprs: 0
; ScratchSize: 0
; MemoryBound: 0
; FloatMode: 240
; IeeeMode: 1
; LDSByteSize: 0 bytes/workgroup (compile time only)
; SGPRBlocks: 0
; VGPRBlocks: 0
; NumSGPRsForWavesPerEU: 1
; NumVGPRsForWavesPerEU: 1
; Occupancy: 16
; WaveLimiterHint : 0
; COMPUTE_PGM_RSRC2:SCRATCH_EN: 0
; COMPUTE_PGM_RSRC2:USER_SGPR: 6
; COMPUTE_PGM_RSRC2:TRAP_HANDLER: 0
; COMPUTE_PGM_RSRC2:TGID_X_EN: 1
; COMPUTE_PGM_RSRC2:TGID_Y_EN: 0
; COMPUTE_PGM_RSRC2:TGID_Z_EN: 0
; COMPUTE_PGM_RSRC2:TIDIG_COMP_CNT: 0
	.section	.text._ZN7rocprim17ROCPRIM_400000_NS6detail17trampoline_kernelINS0_14default_configENS1_27scan_by_key_config_selectorIssEEZZNS1_16scan_by_key_implILNS1_25lookback_scan_determinismE0ELb1ES3_N6thrust23THRUST_200600_302600_NS6detail15normal_iteratorINS9_10device_ptrIsEEEESE_SE_sNS9_4plusIvEENS9_8equal_toIvEEsEE10hipError_tPvRmT2_T3_T4_T5_mT6_T7_P12ihipStream_tbENKUlT_T0_E_clISt17integral_constantIbLb1EESY_IbLb0EEEEDaSU_SV_EUlSU_E_NS1_11comp_targetILNS1_3genE8ELNS1_11target_archE1030ELNS1_3gpuE2ELNS1_3repE0EEENS1_30default_config_static_selectorELNS0_4arch9wavefront6targetE0EEEvT1_,"axG",@progbits,_ZN7rocprim17ROCPRIM_400000_NS6detail17trampoline_kernelINS0_14default_configENS1_27scan_by_key_config_selectorIssEEZZNS1_16scan_by_key_implILNS1_25lookback_scan_determinismE0ELb1ES3_N6thrust23THRUST_200600_302600_NS6detail15normal_iteratorINS9_10device_ptrIsEEEESE_SE_sNS9_4plusIvEENS9_8equal_toIvEEsEE10hipError_tPvRmT2_T3_T4_T5_mT6_T7_P12ihipStream_tbENKUlT_T0_E_clISt17integral_constantIbLb1EESY_IbLb0EEEEDaSU_SV_EUlSU_E_NS1_11comp_targetILNS1_3genE8ELNS1_11target_archE1030ELNS1_3gpuE2ELNS1_3repE0EEENS1_30default_config_static_selectorELNS0_4arch9wavefront6targetE0EEEvT1_,comdat
	.protected	_ZN7rocprim17ROCPRIM_400000_NS6detail17trampoline_kernelINS0_14default_configENS1_27scan_by_key_config_selectorIssEEZZNS1_16scan_by_key_implILNS1_25lookback_scan_determinismE0ELb1ES3_N6thrust23THRUST_200600_302600_NS6detail15normal_iteratorINS9_10device_ptrIsEEEESE_SE_sNS9_4plusIvEENS9_8equal_toIvEEsEE10hipError_tPvRmT2_T3_T4_T5_mT6_T7_P12ihipStream_tbENKUlT_T0_E_clISt17integral_constantIbLb1EESY_IbLb0EEEEDaSU_SV_EUlSU_E_NS1_11comp_targetILNS1_3genE8ELNS1_11target_archE1030ELNS1_3gpuE2ELNS1_3repE0EEENS1_30default_config_static_selectorELNS0_4arch9wavefront6targetE0EEEvT1_ ; -- Begin function _ZN7rocprim17ROCPRIM_400000_NS6detail17trampoline_kernelINS0_14default_configENS1_27scan_by_key_config_selectorIssEEZZNS1_16scan_by_key_implILNS1_25lookback_scan_determinismE0ELb1ES3_N6thrust23THRUST_200600_302600_NS6detail15normal_iteratorINS9_10device_ptrIsEEEESE_SE_sNS9_4plusIvEENS9_8equal_toIvEEsEE10hipError_tPvRmT2_T3_T4_T5_mT6_T7_P12ihipStream_tbENKUlT_T0_E_clISt17integral_constantIbLb1EESY_IbLb0EEEEDaSU_SV_EUlSU_E_NS1_11comp_targetILNS1_3genE8ELNS1_11target_archE1030ELNS1_3gpuE2ELNS1_3repE0EEENS1_30default_config_static_selectorELNS0_4arch9wavefront6targetE0EEEvT1_
	.globl	_ZN7rocprim17ROCPRIM_400000_NS6detail17trampoline_kernelINS0_14default_configENS1_27scan_by_key_config_selectorIssEEZZNS1_16scan_by_key_implILNS1_25lookback_scan_determinismE0ELb1ES3_N6thrust23THRUST_200600_302600_NS6detail15normal_iteratorINS9_10device_ptrIsEEEESE_SE_sNS9_4plusIvEENS9_8equal_toIvEEsEE10hipError_tPvRmT2_T3_T4_T5_mT6_T7_P12ihipStream_tbENKUlT_T0_E_clISt17integral_constantIbLb1EESY_IbLb0EEEEDaSU_SV_EUlSU_E_NS1_11comp_targetILNS1_3genE8ELNS1_11target_archE1030ELNS1_3gpuE2ELNS1_3repE0EEENS1_30default_config_static_selectorELNS0_4arch9wavefront6targetE0EEEvT1_
	.p2align	8
	.type	_ZN7rocprim17ROCPRIM_400000_NS6detail17trampoline_kernelINS0_14default_configENS1_27scan_by_key_config_selectorIssEEZZNS1_16scan_by_key_implILNS1_25lookback_scan_determinismE0ELb1ES3_N6thrust23THRUST_200600_302600_NS6detail15normal_iteratorINS9_10device_ptrIsEEEESE_SE_sNS9_4plusIvEENS9_8equal_toIvEEsEE10hipError_tPvRmT2_T3_T4_T5_mT6_T7_P12ihipStream_tbENKUlT_T0_E_clISt17integral_constantIbLb1EESY_IbLb0EEEEDaSU_SV_EUlSU_E_NS1_11comp_targetILNS1_3genE8ELNS1_11target_archE1030ELNS1_3gpuE2ELNS1_3repE0EEENS1_30default_config_static_selectorELNS0_4arch9wavefront6targetE0EEEvT1_,@function
_ZN7rocprim17ROCPRIM_400000_NS6detail17trampoline_kernelINS0_14default_configENS1_27scan_by_key_config_selectorIssEEZZNS1_16scan_by_key_implILNS1_25lookback_scan_determinismE0ELb1ES3_N6thrust23THRUST_200600_302600_NS6detail15normal_iteratorINS9_10device_ptrIsEEEESE_SE_sNS9_4plusIvEENS9_8equal_toIvEEsEE10hipError_tPvRmT2_T3_T4_T5_mT6_T7_P12ihipStream_tbENKUlT_T0_E_clISt17integral_constantIbLb1EESY_IbLb0EEEEDaSU_SV_EUlSU_E_NS1_11comp_targetILNS1_3genE8ELNS1_11target_archE1030ELNS1_3gpuE2ELNS1_3repE0EEENS1_30default_config_static_selectorELNS0_4arch9wavefront6targetE0EEEvT1_: ; @_ZN7rocprim17ROCPRIM_400000_NS6detail17trampoline_kernelINS0_14default_configENS1_27scan_by_key_config_selectorIssEEZZNS1_16scan_by_key_implILNS1_25lookback_scan_determinismE0ELb1ES3_N6thrust23THRUST_200600_302600_NS6detail15normal_iteratorINS9_10device_ptrIsEEEESE_SE_sNS9_4plusIvEENS9_8equal_toIvEEsEE10hipError_tPvRmT2_T3_T4_T5_mT6_T7_P12ihipStream_tbENKUlT_T0_E_clISt17integral_constantIbLb1EESY_IbLb0EEEEDaSU_SV_EUlSU_E_NS1_11comp_targetILNS1_3genE8ELNS1_11target_archE1030ELNS1_3gpuE2ELNS1_3repE0EEENS1_30default_config_static_selectorELNS0_4arch9wavefront6targetE0EEEvT1_
; %bb.0:
	s_endpgm
	.section	.rodata,"a",@progbits
	.p2align	6, 0x0
	.amdhsa_kernel _ZN7rocprim17ROCPRIM_400000_NS6detail17trampoline_kernelINS0_14default_configENS1_27scan_by_key_config_selectorIssEEZZNS1_16scan_by_key_implILNS1_25lookback_scan_determinismE0ELb1ES3_N6thrust23THRUST_200600_302600_NS6detail15normal_iteratorINS9_10device_ptrIsEEEESE_SE_sNS9_4plusIvEENS9_8equal_toIvEEsEE10hipError_tPvRmT2_T3_T4_T5_mT6_T7_P12ihipStream_tbENKUlT_T0_E_clISt17integral_constantIbLb1EESY_IbLb0EEEEDaSU_SV_EUlSU_E_NS1_11comp_targetILNS1_3genE8ELNS1_11target_archE1030ELNS1_3gpuE2ELNS1_3repE0EEENS1_30default_config_static_selectorELNS0_4arch9wavefront6targetE0EEEvT1_
		.amdhsa_group_segment_fixed_size 0
		.amdhsa_private_segment_fixed_size 0
		.amdhsa_kernarg_size 112
		.amdhsa_user_sgpr_count 6
		.amdhsa_user_sgpr_private_segment_buffer 1
		.amdhsa_user_sgpr_dispatch_ptr 0
		.amdhsa_user_sgpr_queue_ptr 0
		.amdhsa_user_sgpr_kernarg_segment_ptr 1
		.amdhsa_user_sgpr_dispatch_id 0
		.amdhsa_user_sgpr_flat_scratch_init 0
		.amdhsa_user_sgpr_private_segment_size 0
		.amdhsa_wavefront_size32 1
		.amdhsa_uses_dynamic_stack 0
		.amdhsa_system_sgpr_private_segment_wavefront_offset 0
		.amdhsa_system_sgpr_workgroup_id_x 1
		.amdhsa_system_sgpr_workgroup_id_y 0
		.amdhsa_system_sgpr_workgroup_id_z 0
		.amdhsa_system_sgpr_workgroup_info 0
		.amdhsa_system_vgpr_workitem_id 0
		.amdhsa_next_free_vgpr 1
		.amdhsa_next_free_sgpr 1
		.amdhsa_reserve_vcc 0
		.amdhsa_reserve_flat_scratch 0
		.amdhsa_float_round_mode_32 0
		.amdhsa_float_round_mode_16_64 0
		.amdhsa_float_denorm_mode_32 3
		.amdhsa_float_denorm_mode_16_64 3
		.amdhsa_dx10_clamp 1
		.amdhsa_ieee_mode 1
		.amdhsa_fp16_overflow 0
		.amdhsa_workgroup_processor_mode 1
		.amdhsa_memory_ordered 1
		.amdhsa_forward_progress 1
		.amdhsa_shared_vgpr_count 0
		.amdhsa_exception_fp_ieee_invalid_op 0
		.amdhsa_exception_fp_denorm_src 0
		.amdhsa_exception_fp_ieee_div_zero 0
		.amdhsa_exception_fp_ieee_overflow 0
		.amdhsa_exception_fp_ieee_underflow 0
		.amdhsa_exception_fp_ieee_inexact 0
		.amdhsa_exception_int_div_zero 0
	.end_amdhsa_kernel
	.section	.text._ZN7rocprim17ROCPRIM_400000_NS6detail17trampoline_kernelINS0_14default_configENS1_27scan_by_key_config_selectorIssEEZZNS1_16scan_by_key_implILNS1_25lookback_scan_determinismE0ELb1ES3_N6thrust23THRUST_200600_302600_NS6detail15normal_iteratorINS9_10device_ptrIsEEEESE_SE_sNS9_4plusIvEENS9_8equal_toIvEEsEE10hipError_tPvRmT2_T3_T4_T5_mT6_T7_P12ihipStream_tbENKUlT_T0_E_clISt17integral_constantIbLb1EESY_IbLb0EEEEDaSU_SV_EUlSU_E_NS1_11comp_targetILNS1_3genE8ELNS1_11target_archE1030ELNS1_3gpuE2ELNS1_3repE0EEENS1_30default_config_static_selectorELNS0_4arch9wavefront6targetE0EEEvT1_,"axG",@progbits,_ZN7rocprim17ROCPRIM_400000_NS6detail17trampoline_kernelINS0_14default_configENS1_27scan_by_key_config_selectorIssEEZZNS1_16scan_by_key_implILNS1_25lookback_scan_determinismE0ELb1ES3_N6thrust23THRUST_200600_302600_NS6detail15normal_iteratorINS9_10device_ptrIsEEEESE_SE_sNS9_4plusIvEENS9_8equal_toIvEEsEE10hipError_tPvRmT2_T3_T4_T5_mT6_T7_P12ihipStream_tbENKUlT_T0_E_clISt17integral_constantIbLb1EESY_IbLb0EEEEDaSU_SV_EUlSU_E_NS1_11comp_targetILNS1_3genE8ELNS1_11target_archE1030ELNS1_3gpuE2ELNS1_3repE0EEENS1_30default_config_static_selectorELNS0_4arch9wavefront6targetE0EEEvT1_,comdat
.Lfunc_end595:
	.size	_ZN7rocprim17ROCPRIM_400000_NS6detail17trampoline_kernelINS0_14default_configENS1_27scan_by_key_config_selectorIssEEZZNS1_16scan_by_key_implILNS1_25lookback_scan_determinismE0ELb1ES3_N6thrust23THRUST_200600_302600_NS6detail15normal_iteratorINS9_10device_ptrIsEEEESE_SE_sNS9_4plusIvEENS9_8equal_toIvEEsEE10hipError_tPvRmT2_T3_T4_T5_mT6_T7_P12ihipStream_tbENKUlT_T0_E_clISt17integral_constantIbLb1EESY_IbLb0EEEEDaSU_SV_EUlSU_E_NS1_11comp_targetILNS1_3genE8ELNS1_11target_archE1030ELNS1_3gpuE2ELNS1_3repE0EEENS1_30default_config_static_selectorELNS0_4arch9wavefront6targetE0EEEvT1_, .Lfunc_end595-_ZN7rocprim17ROCPRIM_400000_NS6detail17trampoline_kernelINS0_14default_configENS1_27scan_by_key_config_selectorIssEEZZNS1_16scan_by_key_implILNS1_25lookback_scan_determinismE0ELb1ES3_N6thrust23THRUST_200600_302600_NS6detail15normal_iteratorINS9_10device_ptrIsEEEESE_SE_sNS9_4plusIvEENS9_8equal_toIvEEsEE10hipError_tPvRmT2_T3_T4_T5_mT6_T7_P12ihipStream_tbENKUlT_T0_E_clISt17integral_constantIbLb1EESY_IbLb0EEEEDaSU_SV_EUlSU_E_NS1_11comp_targetILNS1_3genE8ELNS1_11target_archE1030ELNS1_3gpuE2ELNS1_3repE0EEENS1_30default_config_static_selectorELNS0_4arch9wavefront6targetE0EEEvT1_
                                        ; -- End function
	.set _ZN7rocprim17ROCPRIM_400000_NS6detail17trampoline_kernelINS0_14default_configENS1_27scan_by_key_config_selectorIssEEZZNS1_16scan_by_key_implILNS1_25lookback_scan_determinismE0ELb1ES3_N6thrust23THRUST_200600_302600_NS6detail15normal_iteratorINS9_10device_ptrIsEEEESE_SE_sNS9_4plusIvEENS9_8equal_toIvEEsEE10hipError_tPvRmT2_T3_T4_T5_mT6_T7_P12ihipStream_tbENKUlT_T0_E_clISt17integral_constantIbLb1EESY_IbLb0EEEEDaSU_SV_EUlSU_E_NS1_11comp_targetILNS1_3genE8ELNS1_11target_archE1030ELNS1_3gpuE2ELNS1_3repE0EEENS1_30default_config_static_selectorELNS0_4arch9wavefront6targetE0EEEvT1_.num_vgpr, 0
	.set _ZN7rocprim17ROCPRIM_400000_NS6detail17trampoline_kernelINS0_14default_configENS1_27scan_by_key_config_selectorIssEEZZNS1_16scan_by_key_implILNS1_25lookback_scan_determinismE0ELb1ES3_N6thrust23THRUST_200600_302600_NS6detail15normal_iteratorINS9_10device_ptrIsEEEESE_SE_sNS9_4plusIvEENS9_8equal_toIvEEsEE10hipError_tPvRmT2_T3_T4_T5_mT6_T7_P12ihipStream_tbENKUlT_T0_E_clISt17integral_constantIbLb1EESY_IbLb0EEEEDaSU_SV_EUlSU_E_NS1_11comp_targetILNS1_3genE8ELNS1_11target_archE1030ELNS1_3gpuE2ELNS1_3repE0EEENS1_30default_config_static_selectorELNS0_4arch9wavefront6targetE0EEEvT1_.num_agpr, 0
	.set _ZN7rocprim17ROCPRIM_400000_NS6detail17trampoline_kernelINS0_14default_configENS1_27scan_by_key_config_selectorIssEEZZNS1_16scan_by_key_implILNS1_25lookback_scan_determinismE0ELb1ES3_N6thrust23THRUST_200600_302600_NS6detail15normal_iteratorINS9_10device_ptrIsEEEESE_SE_sNS9_4plusIvEENS9_8equal_toIvEEsEE10hipError_tPvRmT2_T3_T4_T5_mT6_T7_P12ihipStream_tbENKUlT_T0_E_clISt17integral_constantIbLb1EESY_IbLb0EEEEDaSU_SV_EUlSU_E_NS1_11comp_targetILNS1_3genE8ELNS1_11target_archE1030ELNS1_3gpuE2ELNS1_3repE0EEENS1_30default_config_static_selectorELNS0_4arch9wavefront6targetE0EEEvT1_.numbered_sgpr, 0
	.set _ZN7rocprim17ROCPRIM_400000_NS6detail17trampoline_kernelINS0_14default_configENS1_27scan_by_key_config_selectorIssEEZZNS1_16scan_by_key_implILNS1_25lookback_scan_determinismE0ELb1ES3_N6thrust23THRUST_200600_302600_NS6detail15normal_iteratorINS9_10device_ptrIsEEEESE_SE_sNS9_4plusIvEENS9_8equal_toIvEEsEE10hipError_tPvRmT2_T3_T4_T5_mT6_T7_P12ihipStream_tbENKUlT_T0_E_clISt17integral_constantIbLb1EESY_IbLb0EEEEDaSU_SV_EUlSU_E_NS1_11comp_targetILNS1_3genE8ELNS1_11target_archE1030ELNS1_3gpuE2ELNS1_3repE0EEENS1_30default_config_static_selectorELNS0_4arch9wavefront6targetE0EEEvT1_.num_named_barrier, 0
	.set _ZN7rocprim17ROCPRIM_400000_NS6detail17trampoline_kernelINS0_14default_configENS1_27scan_by_key_config_selectorIssEEZZNS1_16scan_by_key_implILNS1_25lookback_scan_determinismE0ELb1ES3_N6thrust23THRUST_200600_302600_NS6detail15normal_iteratorINS9_10device_ptrIsEEEESE_SE_sNS9_4plusIvEENS9_8equal_toIvEEsEE10hipError_tPvRmT2_T3_T4_T5_mT6_T7_P12ihipStream_tbENKUlT_T0_E_clISt17integral_constantIbLb1EESY_IbLb0EEEEDaSU_SV_EUlSU_E_NS1_11comp_targetILNS1_3genE8ELNS1_11target_archE1030ELNS1_3gpuE2ELNS1_3repE0EEENS1_30default_config_static_selectorELNS0_4arch9wavefront6targetE0EEEvT1_.private_seg_size, 0
	.set _ZN7rocprim17ROCPRIM_400000_NS6detail17trampoline_kernelINS0_14default_configENS1_27scan_by_key_config_selectorIssEEZZNS1_16scan_by_key_implILNS1_25lookback_scan_determinismE0ELb1ES3_N6thrust23THRUST_200600_302600_NS6detail15normal_iteratorINS9_10device_ptrIsEEEESE_SE_sNS9_4plusIvEENS9_8equal_toIvEEsEE10hipError_tPvRmT2_T3_T4_T5_mT6_T7_P12ihipStream_tbENKUlT_T0_E_clISt17integral_constantIbLb1EESY_IbLb0EEEEDaSU_SV_EUlSU_E_NS1_11comp_targetILNS1_3genE8ELNS1_11target_archE1030ELNS1_3gpuE2ELNS1_3repE0EEENS1_30default_config_static_selectorELNS0_4arch9wavefront6targetE0EEEvT1_.uses_vcc, 0
	.set _ZN7rocprim17ROCPRIM_400000_NS6detail17trampoline_kernelINS0_14default_configENS1_27scan_by_key_config_selectorIssEEZZNS1_16scan_by_key_implILNS1_25lookback_scan_determinismE0ELb1ES3_N6thrust23THRUST_200600_302600_NS6detail15normal_iteratorINS9_10device_ptrIsEEEESE_SE_sNS9_4plusIvEENS9_8equal_toIvEEsEE10hipError_tPvRmT2_T3_T4_T5_mT6_T7_P12ihipStream_tbENKUlT_T0_E_clISt17integral_constantIbLb1EESY_IbLb0EEEEDaSU_SV_EUlSU_E_NS1_11comp_targetILNS1_3genE8ELNS1_11target_archE1030ELNS1_3gpuE2ELNS1_3repE0EEENS1_30default_config_static_selectorELNS0_4arch9wavefront6targetE0EEEvT1_.uses_flat_scratch, 0
	.set _ZN7rocprim17ROCPRIM_400000_NS6detail17trampoline_kernelINS0_14default_configENS1_27scan_by_key_config_selectorIssEEZZNS1_16scan_by_key_implILNS1_25lookback_scan_determinismE0ELb1ES3_N6thrust23THRUST_200600_302600_NS6detail15normal_iteratorINS9_10device_ptrIsEEEESE_SE_sNS9_4plusIvEENS9_8equal_toIvEEsEE10hipError_tPvRmT2_T3_T4_T5_mT6_T7_P12ihipStream_tbENKUlT_T0_E_clISt17integral_constantIbLb1EESY_IbLb0EEEEDaSU_SV_EUlSU_E_NS1_11comp_targetILNS1_3genE8ELNS1_11target_archE1030ELNS1_3gpuE2ELNS1_3repE0EEENS1_30default_config_static_selectorELNS0_4arch9wavefront6targetE0EEEvT1_.has_dyn_sized_stack, 0
	.set _ZN7rocprim17ROCPRIM_400000_NS6detail17trampoline_kernelINS0_14default_configENS1_27scan_by_key_config_selectorIssEEZZNS1_16scan_by_key_implILNS1_25lookback_scan_determinismE0ELb1ES3_N6thrust23THRUST_200600_302600_NS6detail15normal_iteratorINS9_10device_ptrIsEEEESE_SE_sNS9_4plusIvEENS9_8equal_toIvEEsEE10hipError_tPvRmT2_T3_T4_T5_mT6_T7_P12ihipStream_tbENKUlT_T0_E_clISt17integral_constantIbLb1EESY_IbLb0EEEEDaSU_SV_EUlSU_E_NS1_11comp_targetILNS1_3genE8ELNS1_11target_archE1030ELNS1_3gpuE2ELNS1_3repE0EEENS1_30default_config_static_selectorELNS0_4arch9wavefront6targetE0EEEvT1_.has_recursion, 0
	.set _ZN7rocprim17ROCPRIM_400000_NS6detail17trampoline_kernelINS0_14default_configENS1_27scan_by_key_config_selectorIssEEZZNS1_16scan_by_key_implILNS1_25lookback_scan_determinismE0ELb1ES3_N6thrust23THRUST_200600_302600_NS6detail15normal_iteratorINS9_10device_ptrIsEEEESE_SE_sNS9_4plusIvEENS9_8equal_toIvEEsEE10hipError_tPvRmT2_T3_T4_T5_mT6_T7_P12ihipStream_tbENKUlT_T0_E_clISt17integral_constantIbLb1EESY_IbLb0EEEEDaSU_SV_EUlSU_E_NS1_11comp_targetILNS1_3genE8ELNS1_11target_archE1030ELNS1_3gpuE2ELNS1_3repE0EEENS1_30default_config_static_selectorELNS0_4arch9wavefront6targetE0EEEvT1_.has_indirect_call, 0
	.section	.AMDGPU.csdata,"",@progbits
; Kernel info:
; codeLenInByte = 4
; TotalNumSgprs: 0
; NumVgprs: 0
; ScratchSize: 0
; MemoryBound: 0
; FloatMode: 240
; IeeeMode: 1
; LDSByteSize: 0 bytes/workgroup (compile time only)
; SGPRBlocks: 0
; VGPRBlocks: 0
; NumSGPRsForWavesPerEU: 1
; NumVGPRsForWavesPerEU: 1
; Occupancy: 16
; WaveLimiterHint : 0
; COMPUTE_PGM_RSRC2:SCRATCH_EN: 0
; COMPUTE_PGM_RSRC2:USER_SGPR: 6
; COMPUTE_PGM_RSRC2:TRAP_HANDLER: 0
; COMPUTE_PGM_RSRC2:TGID_X_EN: 1
; COMPUTE_PGM_RSRC2:TGID_Y_EN: 0
; COMPUTE_PGM_RSRC2:TGID_Z_EN: 0
; COMPUTE_PGM_RSRC2:TIDIG_COMP_CNT: 0
	.section	.text._ZN7rocprim17ROCPRIM_400000_NS6detail17trampoline_kernelINS0_14default_configENS1_27scan_by_key_config_selectorIssEEZZNS1_16scan_by_key_implILNS1_25lookback_scan_determinismE0ELb1ES3_N6thrust23THRUST_200600_302600_NS6detail15normal_iteratorINS9_10device_ptrIsEEEESE_SE_sNS9_4plusIvEENS9_8equal_toIvEEsEE10hipError_tPvRmT2_T3_T4_T5_mT6_T7_P12ihipStream_tbENKUlT_T0_E_clISt17integral_constantIbLb0EESY_IbLb1EEEEDaSU_SV_EUlSU_E_NS1_11comp_targetILNS1_3genE0ELNS1_11target_archE4294967295ELNS1_3gpuE0ELNS1_3repE0EEENS1_30default_config_static_selectorELNS0_4arch9wavefront6targetE0EEEvT1_,"axG",@progbits,_ZN7rocprim17ROCPRIM_400000_NS6detail17trampoline_kernelINS0_14default_configENS1_27scan_by_key_config_selectorIssEEZZNS1_16scan_by_key_implILNS1_25lookback_scan_determinismE0ELb1ES3_N6thrust23THRUST_200600_302600_NS6detail15normal_iteratorINS9_10device_ptrIsEEEESE_SE_sNS9_4plusIvEENS9_8equal_toIvEEsEE10hipError_tPvRmT2_T3_T4_T5_mT6_T7_P12ihipStream_tbENKUlT_T0_E_clISt17integral_constantIbLb0EESY_IbLb1EEEEDaSU_SV_EUlSU_E_NS1_11comp_targetILNS1_3genE0ELNS1_11target_archE4294967295ELNS1_3gpuE0ELNS1_3repE0EEENS1_30default_config_static_selectorELNS0_4arch9wavefront6targetE0EEEvT1_,comdat
	.protected	_ZN7rocprim17ROCPRIM_400000_NS6detail17trampoline_kernelINS0_14default_configENS1_27scan_by_key_config_selectorIssEEZZNS1_16scan_by_key_implILNS1_25lookback_scan_determinismE0ELb1ES3_N6thrust23THRUST_200600_302600_NS6detail15normal_iteratorINS9_10device_ptrIsEEEESE_SE_sNS9_4plusIvEENS9_8equal_toIvEEsEE10hipError_tPvRmT2_T3_T4_T5_mT6_T7_P12ihipStream_tbENKUlT_T0_E_clISt17integral_constantIbLb0EESY_IbLb1EEEEDaSU_SV_EUlSU_E_NS1_11comp_targetILNS1_3genE0ELNS1_11target_archE4294967295ELNS1_3gpuE0ELNS1_3repE0EEENS1_30default_config_static_selectorELNS0_4arch9wavefront6targetE0EEEvT1_ ; -- Begin function _ZN7rocprim17ROCPRIM_400000_NS6detail17trampoline_kernelINS0_14default_configENS1_27scan_by_key_config_selectorIssEEZZNS1_16scan_by_key_implILNS1_25lookback_scan_determinismE0ELb1ES3_N6thrust23THRUST_200600_302600_NS6detail15normal_iteratorINS9_10device_ptrIsEEEESE_SE_sNS9_4plusIvEENS9_8equal_toIvEEsEE10hipError_tPvRmT2_T3_T4_T5_mT6_T7_P12ihipStream_tbENKUlT_T0_E_clISt17integral_constantIbLb0EESY_IbLb1EEEEDaSU_SV_EUlSU_E_NS1_11comp_targetILNS1_3genE0ELNS1_11target_archE4294967295ELNS1_3gpuE0ELNS1_3repE0EEENS1_30default_config_static_selectorELNS0_4arch9wavefront6targetE0EEEvT1_
	.globl	_ZN7rocprim17ROCPRIM_400000_NS6detail17trampoline_kernelINS0_14default_configENS1_27scan_by_key_config_selectorIssEEZZNS1_16scan_by_key_implILNS1_25lookback_scan_determinismE0ELb1ES3_N6thrust23THRUST_200600_302600_NS6detail15normal_iteratorINS9_10device_ptrIsEEEESE_SE_sNS9_4plusIvEENS9_8equal_toIvEEsEE10hipError_tPvRmT2_T3_T4_T5_mT6_T7_P12ihipStream_tbENKUlT_T0_E_clISt17integral_constantIbLb0EESY_IbLb1EEEEDaSU_SV_EUlSU_E_NS1_11comp_targetILNS1_3genE0ELNS1_11target_archE4294967295ELNS1_3gpuE0ELNS1_3repE0EEENS1_30default_config_static_selectorELNS0_4arch9wavefront6targetE0EEEvT1_
	.p2align	8
	.type	_ZN7rocprim17ROCPRIM_400000_NS6detail17trampoline_kernelINS0_14default_configENS1_27scan_by_key_config_selectorIssEEZZNS1_16scan_by_key_implILNS1_25lookback_scan_determinismE0ELb1ES3_N6thrust23THRUST_200600_302600_NS6detail15normal_iteratorINS9_10device_ptrIsEEEESE_SE_sNS9_4plusIvEENS9_8equal_toIvEEsEE10hipError_tPvRmT2_T3_T4_T5_mT6_T7_P12ihipStream_tbENKUlT_T0_E_clISt17integral_constantIbLb0EESY_IbLb1EEEEDaSU_SV_EUlSU_E_NS1_11comp_targetILNS1_3genE0ELNS1_11target_archE4294967295ELNS1_3gpuE0ELNS1_3repE0EEENS1_30default_config_static_selectorELNS0_4arch9wavefront6targetE0EEEvT1_,@function
_ZN7rocprim17ROCPRIM_400000_NS6detail17trampoline_kernelINS0_14default_configENS1_27scan_by_key_config_selectorIssEEZZNS1_16scan_by_key_implILNS1_25lookback_scan_determinismE0ELb1ES3_N6thrust23THRUST_200600_302600_NS6detail15normal_iteratorINS9_10device_ptrIsEEEESE_SE_sNS9_4plusIvEENS9_8equal_toIvEEsEE10hipError_tPvRmT2_T3_T4_T5_mT6_T7_P12ihipStream_tbENKUlT_T0_E_clISt17integral_constantIbLb0EESY_IbLb1EEEEDaSU_SV_EUlSU_E_NS1_11comp_targetILNS1_3genE0ELNS1_11target_archE4294967295ELNS1_3gpuE0ELNS1_3repE0EEENS1_30default_config_static_selectorELNS0_4arch9wavefront6targetE0EEEvT1_: ; @_ZN7rocprim17ROCPRIM_400000_NS6detail17trampoline_kernelINS0_14default_configENS1_27scan_by_key_config_selectorIssEEZZNS1_16scan_by_key_implILNS1_25lookback_scan_determinismE0ELb1ES3_N6thrust23THRUST_200600_302600_NS6detail15normal_iteratorINS9_10device_ptrIsEEEESE_SE_sNS9_4plusIvEENS9_8equal_toIvEEsEE10hipError_tPvRmT2_T3_T4_T5_mT6_T7_P12ihipStream_tbENKUlT_T0_E_clISt17integral_constantIbLb0EESY_IbLb1EEEEDaSU_SV_EUlSU_E_NS1_11comp_targetILNS1_3genE0ELNS1_11target_archE4294967295ELNS1_3gpuE0ELNS1_3repE0EEENS1_30default_config_static_selectorELNS0_4arch9wavefront6targetE0EEEvT1_
; %bb.0:
	.section	.rodata,"a",@progbits
	.p2align	6, 0x0
	.amdhsa_kernel _ZN7rocprim17ROCPRIM_400000_NS6detail17trampoline_kernelINS0_14default_configENS1_27scan_by_key_config_selectorIssEEZZNS1_16scan_by_key_implILNS1_25lookback_scan_determinismE0ELb1ES3_N6thrust23THRUST_200600_302600_NS6detail15normal_iteratorINS9_10device_ptrIsEEEESE_SE_sNS9_4plusIvEENS9_8equal_toIvEEsEE10hipError_tPvRmT2_T3_T4_T5_mT6_T7_P12ihipStream_tbENKUlT_T0_E_clISt17integral_constantIbLb0EESY_IbLb1EEEEDaSU_SV_EUlSU_E_NS1_11comp_targetILNS1_3genE0ELNS1_11target_archE4294967295ELNS1_3gpuE0ELNS1_3repE0EEENS1_30default_config_static_selectorELNS0_4arch9wavefront6targetE0EEEvT1_
		.amdhsa_group_segment_fixed_size 0
		.amdhsa_private_segment_fixed_size 0
		.amdhsa_kernarg_size 112
		.amdhsa_user_sgpr_count 6
		.amdhsa_user_sgpr_private_segment_buffer 1
		.amdhsa_user_sgpr_dispatch_ptr 0
		.amdhsa_user_sgpr_queue_ptr 0
		.amdhsa_user_sgpr_kernarg_segment_ptr 1
		.amdhsa_user_sgpr_dispatch_id 0
		.amdhsa_user_sgpr_flat_scratch_init 0
		.amdhsa_user_sgpr_private_segment_size 0
		.amdhsa_wavefront_size32 1
		.amdhsa_uses_dynamic_stack 0
		.amdhsa_system_sgpr_private_segment_wavefront_offset 0
		.amdhsa_system_sgpr_workgroup_id_x 1
		.amdhsa_system_sgpr_workgroup_id_y 0
		.amdhsa_system_sgpr_workgroup_id_z 0
		.amdhsa_system_sgpr_workgroup_info 0
		.amdhsa_system_vgpr_workitem_id 0
		.amdhsa_next_free_vgpr 1
		.amdhsa_next_free_sgpr 1
		.amdhsa_reserve_vcc 0
		.amdhsa_reserve_flat_scratch 0
		.amdhsa_float_round_mode_32 0
		.amdhsa_float_round_mode_16_64 0
		.amdhsa_float_denorm_mode_32 3
		.amdhsa_float_denorm_mode_16_64 3
		.amdhsa_dx10_clamp 1
		.amdhsa_ieee_mode 1
		.amdhsa_fp16_overflow 0
		.amdhsa_workgroup_processor_mode 1
		.amdhsa_memory_ordered 1
		.amdhsa_forward_progress 1
		.amdhsa_shared_vgpr_count 0
		.amdhsa_exception_fp_ieee_invalid_op 0
		.amdhsa_exception_fp_denorm_src 0
		.amdhsa_exception_fp_ieee_div_zero 0
		.amdhsa_exception_fp_ieee_overflow 0
		.amdhsa_exception_fp_ieee_underflow 0
		.amdhsa_exception_fp_ieee_inexact 0
		.amdhsa_exception_int_div_zero 0
	.end_amdhsa_kernel
	.section	.text._ZN7rocprim17ROCPRIM_400000_NS6detail17trampoline_kernelINS0_14default_configENS1_27scan_by_key_config_selectorIssEEZZNS1_16scan_by_key_implILNS1_25lookback_scan_determinismE0ELb1ES3_N6thrust23THRUST_200600_302600_NS6detail15normal_iteratorINS9_10device_ptrIsEEEESE_SE_sNS9_4plusIvEENS9_8equal_toIvEEsEE10hipError_tPvRmT2_T3_T4_T5_mT6_T7_P12ihipStream_tbENKUlT_T0_E_clISt17integral_constantIbLb0EESY_IbLb1EEEEDaSU_SV_EUlSU_E_NS1_11comp_targetILNS1_3genE0ELNS1_11target_archE4294967295ELNS1_3gpuE0ELNS1_3repE0EEENS1_30default_config_static_selectorELNS0_4arch9wavefront6targetE0EEEvT1_,"axG",@progbits,_ZN7rocprim17ROCPRIM_400000_NS6detail17trampoline_kernelINS0_14default_configENS1_27scan_by_key_config_selectorIssEEZZNS1_16scan_by_key_implILNS1_25lookback_scan_determinismE0ELb1ES3_N6thrust23THRUST_200600_302600_NS6detail15normal_iteratorINS9_10device_ptrIsEEEESE_SE_sNS9_4plusIvEENS9_8equal_toIvEEsEE10hipError_tPvRmT2_T3_T4_T5_mT6_T7_P12ihipStream_tbENKUlT_T0_E_clISt17integral_constantIbLb0EESY_IbLb1EEEEDaSU_SV_EUlSU_E_NS1_11comp_targetILNS1_3genE0ELNS1_11target_archE4294967295ELNS1_3gpuE0ELNS1_3repE0EEENS1_30default_config_static_selectorELNS0_4arch9wavefront6targetE0EEEvT1_,comdat
.Lfunc_end596:
	.size	_ZN7rocprim17ROCPRIM_400000_NS6detail17trampoline_kernelINS0_14default_configENS1_27scan_by_key_config_selectorIssEEZZNS1_16scan_by_key_implILNS1_25lookback_scan_determinismE0ELb1ES3_N6thrust23THRUST_200600_302600_NS6detail15normal_iteratorINS9_10device_ptrIsEEEESE_SE_sNS9_4plusIvEENS9_8equal_toIvEEsEE10hipError_tPvRmT2_T3_T4_T5_mT6_T7_P12ihipStream_tbENKUlT_T0_E_clISt17integral_constantIbLb0EESY_IbLb1EEEEDaSU_SV_EUlSU_E_NS1_11comp_targetILNS1_3genE0ELNS1_11target_archE4294967295ELNS1_3gpuE0ELNS1_3repE0EEENS1_30default_config_static_selectorELNS0_4arch9wavefront6targetE0EEEvT1_, .Lfunc_end596-_ZN7rocprim17ROCPRIM_400000_NS6detail17trampoline_kernelINS0_14default_configENS1_27scan_by_key_config_selectorIssEEZZNS1_16scan_by_key_implILNS1_25lookback_scan_determinismE0ELb1ES3_N6thrust23THRUST_200600_302600_NS6detail15normal_iteratorINS9_10device_ptrIsEEEESE_SE_sNS9_4plusIvEENS9_8equal_toIvEEsEE10hipError_tPvRmT2_T3_T4_T5_mT6_T7_P12ihipStream_tbENKUlT_T0_E_clISt17integral_constantIbLb0EESY_IbLb1EEEEDaSU_SV_EUlSU_E_NS1_11comp_targetILNS1_3genE0ELNS1_11target_archE4294967295ELNS1_3gpuE0ELNS1_3repE0EEENS1_30default_config_static_selectorELNS0_4arch9wavefront6targetE0EEEvT1_
                                        ; -- End function
	.set _ZN7rocprim17ROCPRIM_400000_NS6detail17trampoline_kernelINS0_14default_configENS1_27scan_by_key_config_selectorIssEEZZNS1_16scan_by_key_implILNS1_25lookback_scan_determinismE0ELb1ES3_N6thrust23THRUST_200600_302600_NS6detail15normal_iteratorINS9_10device_ptrIsEEEESE_SE_sNS9_4plusIvEENS9_8equal_toIvEEsEE10hipError_tPvRmT2_T3_T4_T5_mT6_T7_P12ihipStream_tbENKUlT_T0_E_clISt17integral_constantIbLb0EESY_IbLb1EEEEDaSU_SV_EUlSU_E_NS1_11comp_targetILNS1_3genE0ELNS1_11target_archE4294967295ELNS1_3gpuE0ELNS1_3repE0EEENS1_30default_config_static_selectorELNS0_4arch9wavefront6targetE0EEEvT1_.num_vgpr, 0
	.set _ZN7rocprim17ROCPRIM_400000_NS6detail17trampoline_kernelINS0_14default_configENS1_27scan_by_key_config_selectorIssEEZZNS1_16scan_by_key_implILNS1_25lookback_scan_determinismE0ELb1ES3_N6thrust23THRUST_200600_302600_NS6detail15normal_iteratorINS9_10device_ptrIsEEEESE_SE_sNS9_4plusIvEENS9_8equal_toIvEEsEE10hipError_tPvRmT2_T3_T4_T5_mT6_T7_P12ihipStream_tbENKUlT_T0_E_clISt17integral_constantIbLb0EESY_IbLb1EEEEDaSU_SV_EUlSU_E_NS1_11comp_targetILNS1_3genE0ELNS1_11target_archE4294967295ELNS1_3gpuE0ELNS1_3repE0EEENS1_30default_config_static_selectorELNS0_4arch9wavefront6targetE0EEEvT1_.num_agpr, 0
	.set _ZN7rocprim17ROCPRIM_400000_NS6detail17trampoline_kernelINS0_14default_configENS1_27scan_by_key_config_selectorIssEEZZNS1_16scan_by_key_implILNS1_25lookback_scan_determinismE0ELb1ES3_N6thrust23THRUST_200600_302600_NS6detail15normal_iteratorINS9_10device_ptrIsEEEESE_SE_sNS9_4plusIvEENS9_8equal_toIvEEsEE10hipError_tPvRmT2_T3_T4_T5_mT6_T7_P12ihipStream_tbENKUlT_T0_E_clISt17integral_constantIbLb0EESY_IbLb1EEEEDaSU_SV_EUlSU_E_NS1_11comp_targetILNS1_3genE0ELNS1_11target_archE4294967295ELNS1_3gpuE0ELNS1_3repE0EEENS1_30default_config_static_selectorELNS0_4arch9wavefront6targetE0EEEvT1_.numbered_sgpr, 0
	.set _ZN7rocprim17ROCPRIM_400000_NS6detail17trampoline_kernelINS0_14default_configENS1_27scan_by_key_config_selectorIssEEZZNS1_16scan_by_key_implILNS1_25lookback_scan_determinismE0ELb1ES3_N6thrust23THRUST_200600_302600_NS6detail15normal_iteratorINS9_10device_ptrIsEEEESE_SE_sNS9_4plusIvEENS9_8equal_toIvEEsEE10hipError_tPvRmT2_T3_T4_T5_mT6_T7_P12ihipStream_tbENKUlT_T0_E_clISt17integral_constantIbLb0EESY_IbLb1EEEEDaSU_SV_EUlSU_E_NS1_11comp_targetILNS1_3genE0ELNS1_11target_archE4294967295ELNS1_3gpuE0ELNS1_3repE0EEENS1_30default_config_static_selectorELNS0_4arch9wavefront6targetE0EEEvT1_.num_named_barrier, 0
	.set _ZN7rocprim17ROCPRIM_400000_NS6detail17trampoline_kernelINS0_14default_configENS1_27scan_by_key_config_selectorIssEEZZNS1_16scan_by_key_implILNS1_25lookback_scan_determinismE0ELb1ES3_N6thrust23THRUST_200600_302600_NS6detail15normal_iteratorINS9_10device_ptrIsEEEESE_SE_sNS9_4plusIvEENS9_8equal_toIvEEsEE10hipError_tPvRmT2_T3_T4_T5_mT6_T7_P12ihipStream_tbENKUlT_T0_E_clISt17integral_constantIbLb0EESY_IbLb1EEEEDaSU_SV_EUlSU_E_NS1_11comp_targetILNS1_3genE0ELNS1_11target_archE4294967295ELNS1_3gpuE0ELNS1_3repE0EEENS1_30default_config_static_selectorELNS0_4arch9wavefront6targetE0EEEvT1_.private_seg_size, 0
	.set _ZN7rocprim17ROCPRIM_400000_NS6detail17trampoline_kernelINS0_14default_configENS1_27scan_by_key_config_selectorIssEEZZNS1_16scan_by_key_implILNS1_25lookback_scan_determinismE0ELb1ES3_N6thrust23THRUST_200600_302600_NS6detail15normal_iteratorINS9_10device_ptrIsEEEESE_SE_sNS9_4plusIvEENS9_8equal_toIvEEsEE10hipError_tPvRmT2_T3_T4_T5_mT6_T7_P12ihipStream_tbENKUlT_T0_E_clISt17integral_constantIbLb0EESY_IbLb1EEEEDaSU_SV_EUlSU_E_NS1_11comp_targetILNS1_3genE0ELNS1_11target_archE4294967295ELNS1_3gpuE0ELNS1_3repE0EEENS1_30default_config_static_selectorELNS0_4arch9wavefront6targetE0EEEvT1_.uses_vcc, 0
	.set _ZN7rocprim17ROCPRIM_400000_NS6detail17trampoline_kernelINS0_14default_configENS1_27scan_by_key_config_selectorIssEEZZNS1_16scan_by_key_implILNS1_25lookback_scan_determinismE0ELb1ES3_N6thrust23THRUST_200600_302600_NS6detail15normal_iteratorINS9_10device_ptrIsEEEESE_SE_sNS9_4plusIvEENS9_8equal_toIvEEsEE10hipError_tPvRmT2_T3_T4_T5_mT6_T7_P12ihipStream_tbENKUlT_T0_E_clISt17integral_constantIbLb0EESY_IbLb1EEEEDaSU_SV_EUlSU_E_NS1_11comp_targetILNS1_3genE0ELNS1_11target_archE4294967295ELNS1_3gpuE0ELNS1_3repE0EEENS1_30default_config_static_selectorELNS0_4arch9wavefront6targetE0EEEvT1_.uses_flat_scratch, 0
	.set _ZN7rocprim17ROCPRIM_400000_NS6detail17trampoline_kernelINS0_14default_configENS1_27scan_by_key_config_selectorIssEEZZNS1_16scan_by_key_implILNS1_25lookback_scan_determinismE0ELb1ES3_N6thrust23THRUST_200600_302600_NS6detail15normal_iteratorINS9_10device_ptrIsEEEESE_SE_sNS9_4plusIvEENS9_8equal_toIvEEsEE10hipError_tPvRmT2_T3_T4_T5_mT6_T7_P12ihipStream_tbENKUlT_T0_E_clISt17integral_constantIbLb0EESY_IbLb1EEEEDaSU_SV_EUlSU_E_NS1_11comp_targetILNS1_3genE0ELNS1_11target_archE4294967295ELNS1_3gpuE0ELNS1_3repE0EEENS1_30default_config_static_selectorELNS0_4arch9wavefront6targetE0EEEvT1_.has_dyn_sized_stack, 0
	.set _ZN7rocprim17ROCPRIM_400000_NS6detail17trampoline_kernelINS0_14default_configENS1_27scan_by_key_config_selectorIssEEZZNS1_16scan_by_key_implILNS1_25lookback_scan_determinismE0ELb1ES3_N6thrust23THRUST_200600_302600_NS6detail15normal_iteratorINS9_10device_ptrIsEEEESE_SE_sNS9_4plusIvEENS9_8equal_toIvEEsEE10hipError_tPvRmT2_T3_T4_T5_mT6_T7_P12ihipStream_tbENKUlT_T0_E_clISt17integral_constantIbLb0EESY_IbLb1EEEEDaSU_SV_EUlSU_E_NS1_11comp_targetILNS1_3genE0ELNS1_11target_archE4294967295ELNS1_3gpuE0ELNS1_3repE0EEENS1_30default_config_static_selectorELNS0_4arch9wavefront6targetE0EEEvT1_.has_recursion, 0
	.set _ZN7rocprim17ROCPRIM_400000_NS6detail17trampoline_kernelINS0_14default_configENS1_27scan_by_key_config_selectorIssEEZZNS1_16scan_by_key_implILNS1_25lookback_scan_determinismE0ELb1ES3_N6thrust23THRUST_200600_302600_NS6detail15normal_iteratorINS9_10device_ptrIsEEEESE_SE_sNS9_4plusIvEENS9_8equal_toIvEEsEE10hipError_tPvRmT2_T3_T4_T5_mT6_T7_P12ihipStream_tbENKUlT_T0_E_clISt17integral_constantIbLb0EESY_IbLb1EEEEDaSU_SV_EUlSU_E_NS1_11comp_targetILNS1_3genE0ELNS1_11target_archE4294967295ELNS1_3gpuE0ELNS1_3repE0EEENS1_30default_config_static_selectorELNS0_4arch9wavefront6targetE0EEEvT1_.has_indirect_call, 0
	.section	.AMDGPU.csdata,"",@progbits
; Kernel info:
; codeLenInByte = 0
; TotalNumSgprs: 0
; NumVgprs: 0
; ScratchSize: 0
; MemoryBound: 0
; FloatMode: 240
; IeeeMode: 1
; LDSByteSize: 0 bytes/workgroup (compile time only)
; SGPRBlocks: 0
; VGPRBlocks: 0
; NumSGPRsForWavesPerEU: 1
; NumVGPRsForWavesPerEU: 1
; Occupancy: 16
; WaveLimiterHint : 0
; COMPUTE_PGM_RSRC2:SCRATCH_EN: 0
; COMPUTE_PGM_RSRC2:USER_SGPR: 6
; COMPUTE_PGM_RSRC2:TRAP_HANDLER: 0
; COMPUTE_PGM_RSRC2:TGID_X_EN: 1
; COMPUTE_PGM_RSRC2:TGID_Y_EN: 0
; COMPUTE_PGM_RSRC2:TGID_Z_EN: 0
; COMPUTE_PGM_RSRC2:TIDIG_COMP_CNT: 0
	.section	.text._ZN7rocprim17ROCPRIM_400000_NS6detail17trampoline_kernelINS0_14default_configENS1_27scan_by_key_config_selectorIssEEZZNS1_16scan_by_key_implILNS1_25lookback_scan_determinismE0ELb1ES3_N6thrust23THRUST_200600_302600_NS6detail15normal_iteratorINS9_10device_ptrIsEEEESE_SE_sNS9_4plusIvEENS9_8equal_toIvEEsEE10hipError_tPvRmT2_T3_T4_T5_mT6_T7_P12ihipStream_tbENKUlT_T0_E_clISt17integral_constantIbLb0EESY_IbLb1EEEEDaSU_SV_EUlSU_E_NS1_11comp_targetILNS1_3genE10ELNS1_11target_archE1201ELNS1_3gpuE5ELNS1_3repE0EEENS1_30default_config_static_selectorELNS0_4arch9wavefront6targetE0EEEvT1_,"axG",@progbits,_ZN7rocprim17ROCPRIM_400000_NS6detail17trampoline_kernelINS0_14default_configENS1_27scan_by_key_config_selectorIssEEZZNS1_16scan_by_key_implILNS1_25lookback_scan_determinismE0ELb1ES3_N6thrust23THRUST_200600_302600_NS6detail15normal_iteratorINS9_10device_ptrIsEEEESE_SE_sNS9_4plusIvEENS9_8equal_toIvEEsEE10hipError_tPvRmT2_T3_T4_T5_mT6_T7_P12ihipStream_tbENKUlT_T0_E_clISt17integral_constantIbLb0EESY_IbLb1EEEEDaSU_SV_EUlSU_E_NS1_11comp_targetILNS1_3genE10ELNS1_11target_archE1201ELNS1_3gpuE5ELNS1_3repE0EEENS1_30default_config_static_selectorELNS0_4arch9wavefront6targetE0EEEvT1_,comdat
	.protected	_ZN7rocprim17ROCPRIM_400000_NS6detail17trampoline_kernelINS0_14default_configENS1_27scan_by_key_config_selectorIssEEZZNS1_16scan_by_key_implILNS1_25lookback_scan_determinismE0ELb1ES3_N6thrust23THRUST_200600_302600_NS6detail15normal_iteratorINS9_10device_ptrIsEEEESE_SE_sNS9_4plusIvEENS9_8equal_toIvEEsEE10hipError_tPvRmT2_T3_T4_T5_mT6_T7_P12ihipStream_tbENKUlT_T0_E_clISt17integral_constantIbLb0EESY_IbLb1EEEEDaSU_SV_EUlSU_E_NS1_11comp_targetILNS1_3genE10ELNS1_11target_archE1201ELNS1_3gpuE5ELNS1_3repE0EEENS1_30default_config_static_selectorELNS0_4arch9wavefront6targetE0EEEvT1_ ; -- Begin function _ZN7rocprim17ROCPRIM_400000_NS6detail17trampoline_kernelINS0_14default_configENS1_27scan_by_key_config_selectorIssEEZZNS1_16scan_by_key_implILNS1_25lookback_scan_determinismE0ELb1ES3_N6thrust23THRUST_200600_302600_NS6detail15normal_iteratorINS9_10device_ptrIsEEEESE_SE_sNS9_4plusIvEENS9_8equal_toIvEEsEE10hipError_tPvRmT2_T3_T4_T5_mT6_T7_P12ihipStream_tbENKUlT_T0_E_clISt17integral_constantIbLb0EESY_IbLb1EEEEDaSU_SV_EUlSU_E_NS1_11comp_targetILNS1_3genE10ELNS1_11target_archE1201ELNS1_3gpuE5ELNS1_3repE0EEENS1_30default_config_static_selectorELNS0_4arch9wavefront6targetE0EEEvT1_
	.globl	_ZN7rocprim17ROCPRIM_400000_NS6detail17trampoline_kernelINS0_14default_configENS1_27scan_by_key_config_selectorIssEEZZNS1_16scan_by_key_implILNS1_25lookback_scan_determinismE0ELb1ES3_N6thrust23THRUST_200600_302600_NS6detail15normal_iteratorINS9_10device_ptrIsEEEESE_SE_sNS9_4plusIvEENS9_8equal_toIvEEsEE10hipError_tPvRmT2_T3_T4_T5_mT6_T7_P12ihipStream_tbENKUlT_T0_E_clISt17integral_constantIbLb0EESY_IbLb1EEEEDaSU_SV_EUlSU_E_NS1_11comp_targetILNS1_3genE10ELNS1_11target_archE1201ELNS1_3gpuE5ELNS1_3repE0EEENS1_30default_config_static_selectorELNS0_4arch9wavefront6targetE0EEEvT1_
	.p2align	8
	.type	_ZN7rocprim17ROCPRIM_400000_NS6detail17trampoline_kernelINS0_14default_configENS1_27scan_by_key_config_selectorIssEEZZNS1_16scan_by_key_implILNS1_25lookback_scan_determinismE0ELb1ES3_N6thrust23THRUST_200600_302600_NS6detail15normal_iteratorINS9_10device_ptrIsEEEESE_SE_sNS9_4plusIvEENS9_8equal_toIvEEsEE10hipError_tPvRmT2_T3_T4_T5_mT6_T7_P12ihipStream_tbENKUlT_T0_E_clISt17integral_constantIbLb0EESY_IbLb1EEEEDaSU_SV_EUlSU_E_NS1_11comp_targetILNS1_3genE10ELNS1_11target_archE1201ELNS1_3gpuE5ELNS1_3repE0EEENS1_30default_config_static_selectorELNS0_4arch9wavefront6targetE0EEEvT1_,@function
_ZN7rocprim17ROCPRIM_400000_NS6detail17trampoline_kernelINS0_14default_configENS1_27scan_by_key_config_selectorIssEEZZNS1_16scan_by_key_implILNS1_25lookback_scan_determinismE0ELb1ES3_N6thrust23THRUST_200600_302600_NS6detail15normal_iteratorINS9_10device_ptrIsEEEESE_SE_sNS9_4plusIvEENS9_8equal_toIvEEsEE10hipError_tPvRmT2_T3_T4_T5_mT6_T7_P12ihipStream_tbENKUlT_T0_E_clISt17integral_constantIbLb0EESY_IbLb1EEEEDaSU_SV_EUlSU_E_NS1_11comp_targetILNS1_3genE10ELNS1_11target_archE1201ELNS1_3gpuE5ELNS1_3repE0EEENS1_30default_config_static_selectorELNS0_4arch9wavefront6targetE0EEEvT1_: ; @_ZN7rocprim17ROCPRIM_400000_NS6detail17trampoline_kernelINS0_14default_configENS1_27scan_by_key_config_selectorIssEEZZNS1_16scan_by_key_implILNS1_25lookback_scan_determinismE0ELb1ES3_N6thrust23THRUST_200600_302600_NS6detail15normal_iteratorINS9_10device_ptrIsEEEESE_SE_sNS9_4plusIvEENS9_8equal_toIvEEsEE10hipError_tPvRmT2_T3_T4_T5_mT6_T7_P12ihipStream_tbENKUlT_T0_E_clISt17integral_constantIbLb0EESY_IbLb1EEEEDaSU_SV_EUlSU_E_NS1_11comp_targetILNS1_3genE10ELNS1_11target_archE1201ELNS1_3gpuE5ELNS1_3repE0EEENS1_30default_config_static_selectorELNS0_4arch9wavefront6targetE0EEEvT1_
; %bb.0:
	.section	.rodata,"a",@progbits
	.p2align	6, 0x0
	.amdhsa_kernel _ZN7rocprim17ROCPRIM_400000_NS6detail17trampoline_kernelINS0_14default_configENS1_27scan_by_key_config_selectorIssEEZZNS1_16scan_by_key_implILNS1_25lookback_scan_determinismE0ELb1ES3_N6thrust23THRUST_200600_302600_NS6detail15normal_iteratorINS9_10device_ptrIsEEEESE_SE_sNS9_4plusIvEENS9_8equal_toIvEEsEE10hipError_tPvRmT2_T3_T4_T5_mT6_T7_P12ihipStream_tbENKUlT_T0_E_clISt17integral_constantIbLb0EESY_IbLb1EEEEDaSU_SV_EUlSU_E_NS1_11comp_targetILNS1_3genE10ELNS1_11target_archE1201ELNS1_3gpuE5ELNS1_3repE0EEENS1_30default_config_static_selectorELNS0_4arch9wavefront6targetE0EEEvT1_
		.amdhsa_group_segment_fixed_size 0
		.amdhsa_private_segment_fixed_size 0
		.amdhsa_kernarg_size 112
		.amdhsa_user_sgpr_count 6
		.amdhsa_user_sgpr_private_segment_buffer 1
		.amdhsa_user_sgpr_dispatch_ptr 0
		.amdhsa_user_sgpr_queue_ptr 0
		.amdhsa_user_sgpr_kernarg_segment_ptr 1
		.amdhsa_user_sgpr_dispatch_id 0
		.amdhsa_user_sgpr_flat_scratch_init 0
		.amdhsa_user_sgpr_private_segment_size 0
		.amdhsa_wavefront_size32 1
		.amdhsa_uses_dynamic_stack 0
		.amdhsa_system_sgpr_private_segment_wavefront_offset 0
		.amdhsa_system_sgpr_workgroup_id_x 1
		.amdhsa_system_sgpr_workgroup_id_y 0
		.amdhsa_system_sgpr_workgroup_id_z 0
		.amdhsa_system_sgpr_workgroup_info 0
		.amdhsa_system_vgpr_workitem_id 0
		.amdhsa_next_free_vgpr 1
		.amdhsa_next_free_sgpr 1
		.amdhsa_reserve_vcc 0
		.amdhsa_reserve_flat_scratch 0
		.amdhsa_float_round_mode_32 0
		.amdhsa_float_round_mode_16_64 0
		.amdhsa_float_denorm_mode_32 3
		.amdhsa_float_denorm_mode_16_64 3
		.amdhsa_dx10_clamp 1
		.amdhsa_ieee_mode 1
		.amdhsa_fp16_overflow 0
		.amdhsa_workgroup_processor_mode 1
		.amdhsa_memory_ordered 1
		.amdhsa_forward_progress 1
		.amdhsa_shared_vgpr_count 0
		.amdhsa_exception_fp_ieee_invalid_op 0
		.amdhsa_exception_fp_denorm_src 0
		.amdhsa_exception_fp_ieee_div_zero 0
		.amdhsa_exception_fp_ieee_overflow 0
		.amdhsa_exception_fp_ieee_underflow 0
		.amdhsa_exception_fp_ieee_inexact 0
		.amdhsa_exception_int_div_zero 0
	.end_amdhsa_kernel
	.section	.text._ZN7rocprim17ROCPRIM_400000_NS6detail17trampoline_kernelINS0_14default_configENS1_27scan_by_key_config_selectorIssEEZZNS1_16scan_by_key_implILNS1_25lookback_scan_determinismE0ELb1ES3_N6thrust23THRUST_200600_302600_NS6detail15normal_iteratorINS9_10device_ptrIsEEEESE_SE_sNS9_4plusIvEENS9_8equal_toIvEEsEE10hipError_tPvRmT2_T3_T4_T5_mT6_T7_P12ihipStream_tbENKUlT_T0_E_clISt17integral_constantIbLb0EESY_IbLb1EEEEDaSU_SV_EUlSU_E_NS1_11comp_targetILNS1_3genE10ELNS1_11target_archE1201ELNS1_3gpuE5ELNS1_3repE0EEENS1_30default_config_static_selectorELNS0_4arch9wavefront6targetE0EEEvT1_,"axG",@progbits,_ZN7rocprim17ROCPRIM_400000_NS6detail17trampoline_kernelINS0_14default_configENS1_27scan_by_key_config_selectorIssEEZZNS1_16scan_by_key_implILNS1_25lookback_scan_determinismE0ELb1ES3_N6thrust23THRUST_200600_302600_NS6detail15normal_iteratorINS9_10device_ptrIsEEEESE_SE_sNS9_4plusIvEENS9_8equal_toIvEEsEE10hipError_tPvRmT2_T3_T4_T5_mT6_T7_P12ihipStream_tbENKUlT_T0_E_clISt17integral_constantIbLb0EESY_IbLb1EEEEDaSU_SV_EUlSU_E_NS1_11comp_targetILNS1_3genE10ELNS1_11target_archE1201ELNS1_3gpuE5ELNS1_3repE0EEENS1_30default_config_static_selectorELNS0_4arch9wavefront6targetE0EEEvT1_,comdat
.Lfunc_end597:
	.size	_ZN7rocprim17ROCPRIM_400000_NS6detail17trampoline_kernelINS0_14default_configENS1_27scan_by_key_config_selectorIssEEZZNS1_16scan_by_key_implILNS1_25lookback_scan_determinismE0ELb1ES3_N6thrust23THRUST_200600_302600_NS6detail15normal_iteratorINS9_10device_ptrIsEEEESE_SE_sNS9_4plusIvEENS9_8equal_toIvEEsEE10hipError_tPvRmT2_T3_T4_T5_mT6_T7_P12ihipStream_tbENKUlT_T0_E_clISt17integral_constantIbLb0EESY_IbLb1EEEEDaSU_SV_EUlSU_E_NS1_11comp_targetILNS1_3genE10ELNS1_11target_archE1201ELNS1_3gpuE5ELNS1_3repE0EEENS1_30default_config_static_selectorELNS0_4arch9wavefront6targetE0EEEvT1_, .Lfunc_end597-_ZN7rocprim17ROCPRIM_400000_NS6detail17trampoline_kernelINS0_14default_configENS1_27scan_by_key_config_selectorIssEEZZNS1_16scan_by_key_implILNS1_25lookback_scan_determinismE0ELb1ES3_N6thrust23THRUST_200600_302600_NS6detail15normal_iteratorINS9_10device_ptrIsEEEESE_SE_sNS9_4plusIvEENS9_8equal_toIvEEsEE10hipError_tPvRmT2_T3_T4_T5_mT6_T7_P12ihipStream_tbENKUlT_T0_E_clISt17integral_constantIbLb0EESY_IbLb1EEEEDaSU_SV_EUlSU_E_NS1_11comp_targetILNS1_3genE10ELNS1_11target_archE1201ELNS1_3gpuE5ELNS1_3repE0EEENS1_30default_config_static_selectorELNS0_4arch9wavefront6targetE0EEEvT1_
                                        ; -- End function
	.set _ZN7rocprim17ROCPRIM_400000_NS6detail17trampoline_kernelINS0_14default_configENS1_27scan_by_key_config_selectorIssEEZZNS1_16scan_by_key_implILNS1_25lookback_scan_determinismE0ELb1ES3_N6thrust23THRUST_200600_302600_NS6detail15normal_iteratorINS9_10device_ptrIsEEEESE_SE_sNS9_4plusIvEENS9_8equal_toIvEEsEE10hipError_tPvRmT2_T3_T4_T5_mT6_T7_P12ihipStream_tbENKUlT_T0_E_clISt17integral_constantIbLb0EESY_IbLb1EEEEDaSU_SV_EUlSU_E_NS1_11comp_targetILNS1_3genE10ELNS1_11target_archE1201ELNS1_3gpuE5ELNS1_3repE0EEENS1_30default_config_static_selectorELNS0_4arch9wavefront6targetE0EEEvT1_.num_vgpr, 0
	.set _ZN7rocprim17ROCPRIM_400000_NS6detail17trampoline_kernelINS0_14default_configENS1_27scan_by_key_config_selectorIssEEZZNS1_16scan_by_key_implILNS1_25lookback_scan_determinismE0ELb1ES3_N6thrust23THRUST_200600_302600_NS6detail15normal_iteratorINS9_10device_ptrIsEEEESE_SE_sNS9_4plusIvEENS9_8equal_toIvEEsEE10hipError_tPvRmT2_T3_T4_T5_mT6_T7_P12ihipStream_tbENKUlT_T0_E_clISt17integral_constantIbLb0EESY_IbLb1EEEEDaSU_SV_EUlSU_E_NS1_11comp_targetILNS1_3genE10ELNS1_11target_archE1201ELNS1_3gpuE5ELNS1_3repE0EEENS1_30default_config_static_selectorELNS0_4arch9wavefront6targetE0EEEvT1_.num_agpr, 0
	.set _ZN7rocprim17ROCPRIM_400000_NS6detail17trampoline_kernelINS0_14default_configENS1_27scan_by_key_config_selectorIssEEZZNS1_16scan_by_key_implILNS1_25lookback_scan_determinismE0ELb1ES3_N6thrust23THRUST_200600_302600_NS6detail15normal_iteratorINS9_10device_ptrIsEEEESE_SE_sNS9_4plusIvEENS9_8equal_toIvEEsEE10hipError_tPvRmT2_T3_T4_T5_mT6_T7_P12ihipStream_tbENKUlT_T0_E_clISt17integral_constantIbLb0EESY_IbLb1EEEEDaSU_SV_EUlSU_E_NS1_11comp_targetILNS1_3genE10ELNS1_11target_archE1201ELNS1_3gpuE5ELNS1_3repE0EEENS1_30default_config_static_selectorELNS0_4arch9wavefront6targetE0EEEvT1_.numbered_sgpr, 0
	.set _ZN7rocprim17ROCPRIM_400000_NS6detail17trampoline_kernelINS0_14default_configENS1_27scan_by_key_config_selectorIssEEZZNS1_16scan_by_key_implILNS1_25lookback_scan_determinismE0ELb1ES3_N6thrust23THRUST_200600_302600_NS6detail15normal_iteratorINS9_10device_ptrIsEEEESE_SE_sNS9_4plusIvEENS9_8equal_toIvEEsEE10hipError_tPvRmT2_T3_T4_T5_mT6_T7_P12ihipStream_tbENKUlT_T0_E_clISt17integral_constantIbLb0EESY_IbLb1EEEEDaSU_SV_EUlSU_E_NS1_11comp_targetILNS1_3genE10ELNS1_11target_archE1201ELNS1_3gpuE5ELNS1_3repE0EEENS1_30default_config_static_selectorELNS0_4arch9wavefront6targetE0EEEvT1_.num_named_barrier, 0
	.set _ZN7rocprim17ROCPRIM_400000_NS6detail17trampoline_kernelINS0_14default_configENS1_27scan_by_key_config_selectorIssEEZZNS1_16scan_by_key_implILNS1_25lookback_scan_determinismE0ELb1ES3_N6thrust23THRUST_200600_302600_NS6detail15normal_iteratorINS9_10device_ptrIsEEEESE_SE_sNS9_4plusIvEENS9_8equal_toIvEEsEE10hipError_tPvRmT2_T3_T4_T5_mT6_T7_P12ihipStream_tbENKUlT_T0_E_clISt17integral_constantIbLb0EESY_IbLb1EEEEDaSU_SV_EUlSU_E_NS1_11comp_targetILNS1_3genE10ELNS1_11target_archE1201ELNS1_3gpuE5ELNS1_3repE0EEENS1_30default_config_static_selectorELNS0_4arch9wavefront6targetE0EEEvT1_.private_seg_size, 0
	.set _ZN7rocprim17ROCPRIM_400000_NS6detail17trampoline_kernelINS0_14default_configENS1_27scan_by_key_config_selectorIssEEZZNS1_16scan_by_key_implILNS1_25lookback_scan_determinismE0ELb1ES3_N6thrust23THRUST_200600_302600_NS6detail15normal_iteratorINS9_10device_ptrIsEEEESE_SE_sNS9_4plusIvEENS9_8equal_toIvEEsEE10hipError_tPvRmT2_T3_T4_T5_mT6_T7_P12ihipStream_tbENKUlT_T0_E_clISt17integral_constantIbLb0EESY_IbLb1EEEEDaSU_SV_EUlSU_E_NS1_11comp_targetILNS1_3genE10ELNS1_11target_archE1201ELNS1_3gpuE5ELNS1_3repE0EEENS1_30default_config_static_selectorELNS0_4arch9wavefront6targetE0EEEvT1_.uses_vcc, 0
	.set _ZN7rocprim17ROCPRIM_400000_NS6detail17trampoline_kernelINS0_14default_configENS1_27scan_by_key_config_selectorIssEEZZNS1_16scan_by_key_implILNS1_25lookback_scan_determinismE0ELb1ES3_N6thrust23THRUST_200600_302600_NS6detail15normal_iteratorINS9_10device_ptrIsEEEESE_SE_sNS9_4plusIvEENS9_8equal_toIvEEsEE10hipError_tPvRmT2_T3_T4_T5_mT6_T7_P12ihipStream_tbENKUlT_T0_E_clISt17integral_constantIbLb0EESY_IbLb1EEEEDaSU_SV_EUlSU_E_NS1_11comp_targetILNS1_3genE10ELNS1_11target_archE1201ELNS1_3gpuE5ELNS1_3repE0EEENS1_30default_config_static_selectorELNS0_4arch9wavefront6targetE0EEEvT1_.uses_flat_scratch, 0
	.set _ZN7rocprim17ROCPRIM_400000_NS6detail17trampoline_kernelINS0_14default_configENS1_27scan_by_key_config_selectorIssEEZZNS1_16scan_by_key_implILNS1_25lookback_scan_determinismE0ELb1ES3_N6thrust23THRUST_200600_302600_NS6detail15normal_iteratorINS9_10device_ptrIsEEEESE_SE_sNS9_4plusIvEENS9_8equal_toIvEEsEE10hipError_tPvRmT2_T3_T4_T5_mT6_T7_P12ihipStream_tbENKUlT_T0_E_clISt17integral_constantIbLb0EESY_IbLb1EEEEDaSU_SV_EUlSU_E_NS1_11comp_targetILNS1_3genE10ELNS1_11target_archE1201ELNS1_3gpuE5ELNS1_3repE0EEENS1_30default_config_static_selectorELNS0_4arch9wavefront6targetE0EEEvT1_.has_dyn_sized_stack, 0
	.set _ZN7rocprim17ROCPRIM_400000_NS6detail17trampoline_kernelINS0_14default_configENS1_27scan_by_key_config_selectorIssEEZZNS1_16scan_by_key_implILNS1_25lookback_scan_determinismE0ELb1ES3_N6thrust23THRUST_200600_302600_NS6detail15normal_iteratorINS9_10device_ptrIsEEEESE_SE_sNS9_4plusIvEENS9_8equal_toIvEEsEE10hipError_tPvRmT2_T3_T4_T5_mT6_T7_P12ihipStream_tbENKUlT_T0_E_clISt17integral_constantIbLb0EESY_IbLb1EEEEDaSU_SV_EUlSU_E_NS1_11comp_targetILNS1_3genE10ELNS1_11target_archE1201ELNS1_3gpuE5ELNS1_3repE0EEENS1_30default_config_static_selectorELNS0_4arch9wavefront6targetE0EEEvT1_.has_recursion, 0
	.set _ZN7rocprim17ROCPRIM_400000_NS6detail17trampoline_kernelINS0_14default_configENS1_27scan_by_key_config_selectorIssEEZZNS1_16scan_by_key_implILNS1_25lookback_scan_determinismE0ELb1ES3_N6thrust23THRUST_200600_302600_NS6detail15normal_iteratorINS9_10device_ptrIsEEEESE_SE_sNS9_4plusIvEENS9_8equal_toIvEEsEE10hipError_tPvRmT2_T3_T4_T5_mT6_T7_P12ihipStream_tbENKUlT_T0_E_clISt17integral_constantIbLb0EESY_IbLb1EEEEDaSU_SV_EUlSU_E_NS1_11comp_targetILNS1_3genE10ELNS1_11target_archE1201ELNS1_3gpuE5ELNS1_3repE0EEENS1_30default_config_static_selectorELNS0_4arch9wavefront6targetE0EEEvT1_.has_indirect_call, 0
	.section	.AMDGPU.csdata,"",@progbits
; Kernel info:
; codeLenInByte = 0
; TotalNumSgprs: 0
; NumVgprs: 0
; ScratchSize: 0
; MemoryBound: 0
; FloatMode: 240
; IeeeMode: 1
; LDSByteSize: 0 bytes/workgroup (compile time only)
; SGPRBlocks: 0
; VGPRBlocks: 0
; NumSGPRsForWavesPerEU: 1
; NumVGPRsForWavesPerEU: 1
; Occupancy: 16
; WaveLimiterHint : 0
; COMPUTE_PGM_RSRC2:SCRATCH_EN: 0
; COMPUTE_PGM_RSRC2:USER_SGPR: 6
; COMPUTE_PGM_RSRC2:TRAP_HANDLER: 0
; COMPUTE_PGM_RSRC2:TGID_X_EN: 1
; COMPUTE_PGM_RSRC2:TGID_Y_EN: 0
; COMPUTE_PGM_RSRC2:TGID_Z_EN: 0
; COMPUTE_PGM_RSRC2:TIDIG_COMP_CNT: 0
	.section	.text._ZN7rocprim17ROCPRIM_400000_NS6detail17trampoline_kernelINS0_14default_configENS1_27scan_by_key_config_selectorIssEEZZNS1_16scan_by_key_implILNS1_25lookback_scan_determinismE0ELb1ES3_N6thrust23THRUST_200600_302600_NS6detail15normal_iteratorINS9_10device_ptrIsEEEESE_SE_sNS9_4plusIvEENS9_8equal_toIvEEsEE10hipError_tPvRmT2_T3_T4_T5_mT6_T7_P12ihipStream_tbENKUlT_T0_E_clISt17integral_constantIbLb0EESY_IbLb1EEEEDaSU_SV_EUlSU_E_NS1_11comp_targetILNS1_3genE5ELNS1_11target_archE942ELNS1_3gpuE9ELNS1_3repE0EEENS1_30default_config_static_selectorELNS0_4arch9wavefront6targetE0EEEvT1_,"axG",@progbits,_ZN7rocprim17ROCPRIM_400000_NS6detail17trampoline_kernelINS0_14default_configENS1_27scan_by_key_config_selectorIssEEZZNS1_16scan_by_key_implILNS1_25lookback_scan_determinismE0ELb1ES3_N6thrust23THRUST_200600_302600_NS6detail15normal_iteratorINS9_10device_ptrIsEEEESE_SE_sNS9_4plusIvEENS9_8equal_toIvEEsEE10hipError_tPvRmT2_T3_T4_T5_mT6_T7_P12ihipStream_tbENKUlT_T0_E_clISt17integral_constantIbLb0EESY_IbLb1EEEEDaSU_SV_EUlSU_E_NS1_11comp_targetILNS1_3genE5ELNS1_11target_archE942ELNS1_3gpuE9ELNS1_3repE0EEENS1_30default_config_static_selectorELNS0_4arch9wavefront6targetE0EEEvT1_,comdat
	.protected	_ZN7rocprim17ROCPRIM_400000_NS6detail17trampoline_kernelINS0_14default_configENS1_27scan_by_key_config_selectorIssEEZZNS1_16scan_by_key_implILNS1_25lookback_scan_determinismE0ELb1ES3_N6thrust23THRUST_200600_302600_NS6detail15normal_iteratorINS9_10device_ptrIsEEEESE_SE_sNS9_4plusIvEENS9_8equal_toIvEEsEE10hipError_tPvRmT2_T3_T4_T5_mT6_T7_P12ihipStream_tbENKUlT_T0_E_clISt17integral_constantIbLb0EESY_IbLb1EEEEDaSU_SV_EUlSU_E_NS1_11comp_targetILNS1_3genE5ELNS1_11target_archE942ELNS1_3gpuE9ELNS1_3repE0EEENS1_30default_config_static_selectorELNS0_4arch9wavefront6targetE0EEEvT1_ ; -- Begin function _ZN7rocprim17ROCPRIM_400000_NS6detail17trampoline_kernelINS0_14default_configENS1_27scan_by_key_config_selectorIssEEZZNS1_16scan_by_key_implILNS1_25lookback_scan_determinismE0ELb1ES3_N6thrust23THRUST_200600_302600_NS6detail15normal_iteratorINS9_10device_ptrIsEEEESE_SE_sNS9_4plusIvEENS9_8equal_toIvEEsEE10hipError_tPvRmT2_T3_T4_T5_mT6_T7_P12ihipStream_tbENKUlT_T0_E_clISt17integral_constantIbLb0EESY_IbLb1EEEEDaSU_SV_EUlSU_E_NS1_11comp_targetILNS1_3genE5ELNS1_11target_archE942ELNS1_3gpuE9ELNS1_3repE0EEENS1_30default_config_static_selectorELNS0_4arch9wavefront6targetE0EEEvT1_
	.globl	_ZN7rocprim17ROCPRIM_400000_NS6detail17trampoline_kernelINS0_14default_configENS1_27scan_by_key_config_selectorIssEEZZNS1_16scan_by_key_implILNS1_25lookback_scan_determinismE0ELb1ES3_N6thrust23THRUST_200600_302600_NS6detail15normal_iteratorINS9_10device_ptrIsEEEESE_SE_sNS9_4plusIvEENS9_8equal_toIvEEsEE10hipError_tPvRmT2_T3_T4_T5_mT6_T7_P12ihipStream_tbENKUlT_T0_E_clISt17integral_constantIbLb0EESY_IbLb1EEEEDaSU_SV_EUlSU_E_NS1_11comp_targetILNS1_3genE5ELNS1_11target_archE942ELNS1_3gpuE9ELNS1_3repE0EEENS1_30default_config_static_selectorELNS0_4arch9wavefront6targetE0EEEvT1_
	.p2align	8
	.type	_ZN7rocprim17ROCPRIM_400000_NS6detail17trampoline_kernelINS0_14default_configENS1_27scan_by_key_config_selectorIssEEZZNS1_16scan_by_key_implILNS1_25lookback_scan_determinismE0ELb1ES3_N6thrust23THRUST_200600_302600_NS6detail15normal_iteratorINS9_10device_ptrIsEEEESE_SE_sNS9_4plusIvEENS9_8equal_toIvEEsEE10hipError_tPvRmT2_T3_T4_T5_mT6_T7_P12ihipStream_tbENKUlT_T0_E_clISt17integral_constantIbLb0EESY_IbLb1EEEEDaSU_SV_EUlSU_E_NS1_11comp_targetILNS1_3genE5ELNS1_11target_archE942ELNS1_3gpuE9ELNS1_3repE0EEENS1_30default_config_static_selectorELNS0_4arch9wavefront6targetE0EEEvT1_,@function
_ZN7rocprim17ROCPRIM_400000_NS6detail17trampoline_kernelINS0_14default_configENS1_27scan_by_key_config_selectorIssEEZZNS1_16scan_by_key_implILNS1_25lookback_scan_determinismE0ELb1ES3_N6thrust23THRUST_200600_302600_NS6detail15normal_iteratorINS9_10device_ptrIsEEEESE_SE_sNS9_4plusIvEENS9_8equal_toIvEEsEE10hipError_tPvRmT2_T3_T4_T5_mT6_T7_P12ihipStream_tbENKUlT_T0_E_clISt17integral_constantIbLb0EESY_IbLb1EEEEDaSU_SV_EUlSU_E_NS1_11comp_targetILNS1_3genE5ELNS1_11target_archE942ELNS1_3gpuE9ELNS1_3repE0EEENS1_30default_config_static_selectorELNS0_4arch9wavefront6targetE0EEEvT1_: ; @_ZN7rocprim17ROCPRIM_400000_NS6detail17trampoline_kernelINS0_14default_configENS1_27scan_by_key_config_selectorIssEEZZNS1_16scan_by_key_implILNS1_25lookback_scan_determinismE0ELb1ES3_N6thrust23THRUST_200600_302600_NS6detail15normal_iteratorINS9_10device_ptrIsEEEESE_SE_sNS9_4plusIvEENS9_8equal_toIvEEsEE10hipError_tPvRmT2_T3_T4_T5_mT6_T7_P12ihipStream_tbENKUlT_T0_E_clISt17integral_constantIbLb0EESY_IbLb1EEEEDaSU_SV_EUlSU_E_NS1_11comp_targetILNS1_3genE5ELNS1_11target_archE942ELNS1_3gpuE9ELNS1_3repE0EEENS1_30default_config_static_selectorELNS0_4arch9wavefront6targetE0EEEvT1_
; %bb.0:
	.section	.rodata,"a",@progbits
	.p2align	6, 0x0
	.amdhsa_kernel _ZN7rocprim17ROCPRIM_400000_NS6detail17trampoline_kernelINS0_14default_configENS1_27scan_by_key_config_selectorIssEEZZNS1_16scan_by_key_implILNS1_25lookback_scan_determinismE0ELb1ES3_N6thrust23THRUST_200600_302600_NS6detail15normal_iteratorINS9_10device_ptrIsEEEESE_SE_sNS9_4plusIvEENS9_8equal_toIvEEsEE10hipError_tPvRmT2_T3_T4_T5_mT6_T7_P12ihipStream_tbENKUlT_T0_E_clISt17integral_constantIbLb0EESY_IbLb1EEEEDaSU_SV_EUlSU_E_NS1_11comp_targetILNS1_3genE5ELNS1_11target_archE942ELNS1_3gpuE9ELNS1_3repE0EEENS1_30default_config_static_selectorELNS0_4arch9wavefront6targetE0EEEvT1_
		.amdhsa_group_segment_fixed_size 0
		.amdhsa_private_segment_fixed_size 0
		.amdhsa_kernarg_size 112
		.amdhsa_user_sgpr_count 6
		.amdhsa_user_sgpr_private_segment_buffer 1
		.amdhsa_user_sgpr_dispatch_ptr 0
		.amdhsa_user_sgpr_queue_ptr 0
		.amdhsa_user_sgpr_kernarg_segment_ptr 1
		.amdhsa_user_sgpr_dispatch_id 0
		.amdhsa_user_sgpr_flat_scratch_init 0
		.amdhsa_user_sgpr_private_segment_size 0
		.amdhsa_wavefront_size32 1
		.amdhsa_uses_dynamic_stack 0
		.amdhsa_system_sgpr_private_segment_wavefront_offset 0
		.amdhsa_system_sgpr_workgroup_id_x 1
		.amdhsa_system_sgpr_workgroup_id_y 0
		.amdhsa_system_sgpr_workgroup_id_z 0
		.amdhsa_system_sgpr_workgroup_info 0
		.amdhsa_system_vgpr_workitem_id 0
		.amdhsa_next_free_vgpr 1
		.amdhsa_next_free_sgpr 1
		.amdhsa_reserve_vcc 0
		.amdhsa_reserve_flat_scratch 0
		.amdhsa_float_round_mode_32 0
		.amdhsa_float_round_mode_16_64 0
		.amdhsa_float_denorm_mode_32 3
		.amdhsa_float_denorm_mode_16_64 3
		.amdhsa_dx10_clamp 1
		.amdhsa_ieee_mode 1
		.amdhsa_fp16_overflow 0
		.amdhsa_workgroup_processor_mode 1
		.amdhsa_memory_ordered 1
		.amdhsa_forward_progress 1
		.amdhsa_shared_vgpr_count 0
		.amdhsa_exception_fp_ieee_invalid_op 0
		.amdhsa_exception_fp_denorm_src 0
		.amdhsa_exception_fp_ieee_div_zero 0
		.amdhsa_exception_fp_ieee_overflow 0
		.amdhsa_exception_fp_ieee_underflow 0
		.amdhsa_exception_fp_ieee_inexact 0
		.amdhsa_exception_int_div_zero 0
	.end_amdhsa_kernel
	.section	.text._ZN7rocprim17ROCPRIM_400000_NS6detail17trampoline_kernelINS0_14default_configENS1_27scan_by_key_config_selectorIssEEZZNS1_16scan_by_key_implILNS1_25lookback_scan_determinismE0ELb1ES3_N6thrust23THRUST_200600_302600_NS6detail15normal_iteratorINS9_10device_ptrIsEEEESE_SE_sNS9_4plusIvEENS9_8equal_toIvEEsEE10hipError_tPvRmT2_T3_T4_T5_mT6_T7_P12ihipStream_tbENKUlT_T0_E_clISt17integral_constantIbLb0EESY_IbLb1EEEEDaSU_SV_EUlSU_E_NS1_11comp_targetILNS1_3genE5ELNS1_11target_archE942ELNS1_3gpuE9ELNS1_3repE0EEENS1_30default_config_static_selectorELNS0_4arch9wavefront6targetE0EEEvT1_,"axG",@progbits,_ZN7rocprim17ROCPRIM_400000_NS6detail17trampoline_kernelINS0_14default_configENS1_27scan_by_key_config_selectorIssEEZZNS1_16scan_by_key_implILNS1_25lookback_scan_determinismE0ELb1ES3_N6thrust23THRUST_200600_302600_NS6detail15normal_iteratorINS9_10device_ptrIsEEEESE_SE_sNS9_4plusIvEENS9_8equal_toIvEEsEE10hipError_tPvRmT2_T3_T4_T5_mT6_T7_P12ihipStream_tbENKUlT_T0_E_clISt17integral_constantIbLb0EESY_IbLb1EEEEDaSU_SV_EUlSU_E_NS1_11comp_targetILNS1_3genE5ELNS1_11target_archE942ELNS1_3gpuE9ELNS1_3repE0EEENS1_30default_config_static_selectorELNS0_4arch9wavefront6targetE0EEEvT1_,comdat
.Lfunc_end598:
	.size	_ZN7rocprim17ROCPRIM_400000_NS6detail17trampoline_kernelINS0_14default_configENS1_27scan_by_key_config_selectorIssEEZZNS1_16scan_by_key_implILNS1_25lookback_scan_determinismE0ELb1ES3_N6thrust23THRUST_200600_302600_NS6detail15normal_iteratorINS9_10device_ptrIsEEEESE_SE_sNS9_4plusIvEENS9_8equal_toIvEEsEE10hipError_tPvRmT2_T3_T4_T5_mT6_T7_P12ihipStream_tbENKUlT_T0_E_clISt17integral_constantIbLb0EESY_IbLb1EEEEDaSU_SV_EUlSU_E_NS1_11comp_targetILNS1_3genE5ELNS1_11target_archE942ELNS1_3gpuE9ELNS1_3repE0EEENS1_30default_config_static_selectorELNS0_4arch9wavefront6targetE0EEEvT1_, .Lfunc_end598-_ZN7rocprim17ROCPRIM_400000_NS6detail17trampoline_kernelINS0_14default_configENS1_27scan_by_key_config_selectorIssEEZZNS1_16scan_by_key_implILNS1_25lookback_scan_determinismE0ELb1ES3_N6thrust23THRUST_200600_302600_NS6detail15normal_iteratorINS9_10device_ptrIsEEEESE_SE_sNS9_4plusIvEENS9_8equal_toIvEEsEE10hipError_tPvRmT2_T3_T4_T5_mT6_T7_P12ihipStream_tbENKUlT_T0_E_clISt17integral_constantIbLb0EESY_IbLb1EEEEDaSU_SV_EUlSU_E_NS1_11comp_targetILNS1_3genE5ELNS1_11target_archE942ELNS1_3gpuE9ELNS1_3repE0EEENS1_30default_config_static_selectorELNS0_4arch9wavefront6targetE0EEEvT1_
                                        ; -- End function
	.set _ZN7rocprim17ROCPRIM_400000_NS6detail17trampoline_kernelINS0_14default_configENS1_27scan_by_key_config_selectorIssEEZZNS1_16scan_by_key_implILNS1_25lookback_scan_determinismE0ELb1ES3_N6thrust23THRUST_200600_302600_NS6detail15normal_iteratorINS9_10device_ptrIsEEEESE_SE_sNS9_4plusIvEENS9_8equal_toIvEEsEE10hipError_tPvRmT2_T3_T4_T5_mT6_T7_P12ihipStream_tbENKUlT_T0_E_clISt17integral_constantIbLb0EESY_IbLb1EEEEDaSU_SV_EUlSU_E_NS1_11comp_targetILNS1_3genE5ELNS1_11target_archE942ELNS1_3gpuE9ELNS1_3repE0EEENS1_30default_config_static_selectorELNS0_4arch9wavefront6targetE0EEEvT1_.num_vgpr, 0
	.set _ZN7rocprim17ROCPRIM_400000_NS6detail17trampoline_kernelINS0_14default_configENS1_27scan_by_key_config_selectorIssEEZZNS1_16scan_by_key_implILNS1_25lookback_scan_determinismE0ELb1ES3_N6thrust23THRUST_200600_302600_NS6detail15normal_iteratorINS9_10device_ptrIsEEEESE_SE_sNS9_4plusIvEENS9_8equal_toIvEEsEE10hipError_tPvRmT2_T3_T4_T5_mT6_T7_P12ihipStream_tbENKUlT_T0_E_clISt17integral_constantIbLb0EESY_IbLb1EEEEDaSU_SV_EUlSU_E_NS1_11comp_targetILNS1_3genE5ELNS1_11target_archE942ELNS1_3gpuE9ELNS1_3repE0EEENS1_30default_config_static_selectorELNS0_4arch9wavefront6targetE0EEEvT1_.num_agpr, 0
	.set _ZN7rocprim17ROCPRIM_400000_NS6detail17trampoline_kernelINS0_14default_configENS1_27scan_by_key_config_selectorIssEEZZNS1_16scan_by_key_implILNS1_25lookback_scan_determinismE0ELb1ES3_N6thrust23THRUST_200600_302600_NS6detail15normal_iteratorINS9_10device_ptrIsEEEESE_SE_sNS9_4plusIvEENS9_8equal_toIvEEsEE10hipError_tPvRmT2_T3_T4_T5_mT6_T7_P12ihipStream_tbENKUlT_T0_E_clISt17integral_constantIbLb0EESY_IbLb1EEEEDaSU_SV_EUlSU_E_NS1_11comp_targetILNS1_3genE5ELNS1_11target_archE942ELNS1_3gpuE9ELNS1_3repE0EEENS1_30default_config_static_selectorELNS0_4arch9wavefront6targetE0EEEvT1_.numbered_sgpr, 0
	.set _ZN7rocprim17ROCPRIM_400000_NS6detail17trampoline_kernelINS0_14default_configENS1_27scan_by_key_config_selectorIssEEZZNS1_16scan_by_key_implILNS1_25lookback_scan_determinismE0ELb1ES3_N6thrust23THRUST_200600_302600_NS6detail15normal_iteratorINS9_10device_ptrIsEEEESE_SE_sNS9_4plusIvEENS9_8equal_toIvEEsEE10hipError_tPvRmT2_T3_T4_T5_mT6_T7_P12ihipStream_tbENKUlT_T0_E_clISt17integral_constantIbLb0EESY_IbLb1EEEEDaSU_SV_EUlSU_E_NS1_11comp_targetILNS1_3genE5ELNS1_11target_archE942ELNS1_3gpuE9ELNS1_3repE0EEENS1_30default_config_static_selectorELNS0_4arch9wavefront6targetE0EEEvT1_.num_named_barrier, 0
	.set _ZN7rocprim17ROCPRIM_400000_NS6detail17trampoline_kernelINS0_14default_configENS1_27scan_by_key_config_selectorIssEEZZNS1_16scan_by_key_implILNS1_25lookback_scan_determinismE0ELb1ES3_N6thrust23THRUST_200600_302600_NS6detail15normal_iteratorINS9_10device_ptrIsEEEESE_SE_sNS9_4plusIvEENS9_8equal_toIvEEsEE10hipError_tPvRmT2_T3_T4_T5_mT6_T7_P12ihipStream_tbENKUlT_T0_E_clISt17integral_constantIbLb0EESY_IbLb1EEEEDaSU_SV_EUlSU_E_NS1_11comp_targetILNS1_3genE5ELNS1_11target_archE942ELNS1_3gpuE9ELNS1_3repE0EEENS1_30default_config_static_selectorELNS0_4arch9wavefront6targetE0EEEvT1_.private_seg_size, 0
	.set _ZN7rocprim17ROCPRIM_400000_NS6detail17trampoline_kernelINS0_14default_configENS1_27scan_by_key_config_selectorIssEEZZNS1_16scan_by_key_implILNS1_25lookback_scan_determinismE0ELb1ES3_N6thrust23THRUST_200600_302600_NS6detail15normal_iteratorINS9_10device_ptrIsEEEESE_SE_sNS9_4plusIvEENS9_8equal_toIvEEsEE10hipError_tPvRmT2_T3_T4_T5_mT6_T7_P12ihipStream_tbENKUlT_T0_E_clISt17integral_constantIbLb0EESY_IbLb1EEEEDaSU_SV_EUlSU_E_NS1_11comp_targetILNS1_3genE5ELNS1_11target_archE942ELNS1_3gpuE9ELNS1_3repE0EEENS1_30default_config_static_selectorELNS0_4arch9wavefront6targetE0EEEvT1_.uses_vcc, 0
	.set _ZN7rocprim17ROCPRIM_400000_NS6detail17trampoline_kernelINS0_14default_configENS1_27scan_by_key_config_selectorIssEEZZNS1_16scan_by_key_implILNS1_25lookback_scan_determinismE0ELb1ES3_N6thrust23THRUST_200600_302600_NS6detail15normal_iteratorINS9_10device_ptrIsEEEESE_SE_sNS9_4plusIvEENS9_8equal_toIvEEsEE10hipError_tPvRmT2_T3_T4_T5_mT6_T7_P12ihipStream_tbENKUlT_T0_E_clISt17integral_constantIbLb0EESY_IbLb1EEEEDaSU_SV_EUlSU_E_NS1_11comp_targetILNS1_3genE5ELNS1_11target_archE942ELNS1_3gpuE9ELNS1_3repE0EEENS1_30default_config_static_selectorELNS0_4arch9wavefront6targetE0EEEvT1_.uses_flat_scratch, 0
	.set _ZN7rocprim17ROCPRIM_400000_NS6detail17trampoline_kernelINS0_14default_configENS1_27scan_by_key_config_selectorIssEEZZNS1_16scan_by_key_implILNS1_25lookback_scan_determinismE0ELb1ES3_N6thrust23THRUST_200600_302600_NS6detail15normal_iteratorINS9_10device_ptrIsEEEESE_SE_sNS9_4plusIvEENS9_8equal_toIvEEsEE10hipError_tPvRmT2_T3_T4_T5_mT6_T7_P12ihipStream_tbENKUlT_T0_E_clISt17integral_constantIbLb0EESY_IbLb1EEEEDaSU_SV_EUlSU_E_NS1_11comp_targetILNS1_3genE5ELNS1_11target_archE942ELNS1_3gpuE9ELNS1_3repE0EEENS1_30default_config_static_selectorELNS0_4arch9wavefront6targetE0EEEvT1_.has_dyn_sized_stack, 0
	.set _ZN7rocprim17ROCPRIM_400000_NS6detail17trampoline_kernelINS0_14default_configENS1_27scan_by_key_config_selectorIssEEZZNS1_16scan_by_key_implILNS1_25lookback_scan_determinismE0ELb1ES3_N6thrust23THRUST_200600_302600_NS6detail15normal_iteratorINS9_10device_ptrIsEEEESE_SE_sNS9_4plusIvEENS9_8equal_toIvEEsEE10hipError_tPvRmT2_T3_T4_T5_mT6_T7_P12ihipStream_tbENKUlT_T0_E_clISt17integral_constantIbLb0EESY_IbLb1EEEEDaSU_SV_EUlSU_E_NS1_11comp_targetILNS1_3genE5ELNS1_11target_archE942ELNS1_3gpuE9ELNS1_3repE0EEENS1_30default_config_static_selectorELNS0_4arch9wavefront6targetE0EEEvT1_.has_recursion, 0
	.set _ZN7rocprim17ROCPRIM_400000_NS6detail17trampoline_kernelINS0_14default_configENS1_27scan_by_key_config_selectorIssEEZZNS1_16scan_by_key_implILNS1_25lookback_scan_determinismE0ELb1ES3_N6thrust23THRUST_200600_302600_NS6detail15normal_iteratorINS9_10device_ptrIsEEEESE_SE_sNS9_4plusIvEENS9_8equal_toIvEEsEE10hipError_tPvRmT2_T3_T4_T5_mT6_T7_P12ihipStream_tbENKUlT_T0_E_clISt17integral_constantIbLb0EESY_IbLb1EEEEDaSU_SV_EUlSU_E_NS1_11comp_targetILNS1_3genE5ELNS1_11target_archE942ELNS1_3gpuE9ELNS1_3repE0EEENS1_30default_config_static_selectorELNS0_4arch9wavefront6targetE0EEEvT1_.has_indirect_call, 0
	.section	.AMDGPU.csdata,"",@progbits
; Kernel info:
; codeLenInByte = 0
; TotalNumSgprs: 0
; NumVgprs: 0
; ScratchSize: 0
; MemoryBound: 0
; FloatMode: 240
; IeeeMode: 1
; LDSByteSize: 0 bytes/workgroup (compile time only)
; SGPRBlocks: 0
; VGPRBlocks: 0
; NumSGPRsForWavesPerEU: 1
; NumVGPRsForWavesPerEU: 1
; Occupancy: 16
; WaveLimiterHint : 0
; COMPUTE_PGM_RSRC2:SCRATCH_EN: 0
; COMPUTE_PGM_RSRC2:USER_SGPR: 6
; COMPUTE_PGM_RSRC2:TRAP_HANDLER: 0
; COMPUTE_PGM_RSRC2:TGID_X_EN: 1
; COMPUTE_PGM_RSRC2:TGID_Y_EN: 0
; COMPUTE_PGM_RSRC2:TGID_Z_EN: 0
; COMPUTE_PGM_RSRC2:TIDIG_COMP_CNT: 0
	.section	.text._ZN7rocprim17ROCPRIM_400000_NS6detail17trampoline_kernelINS0_14default_configENS1_27scan_by_key_config_selectorIssEEZZNS1_16scan_by_key_implILNS1_25lookback_scan_determinismE0ELb1ES3_N6thrust23THRUST_200600_302600_NS6detail15normal_iteratorINS9_10device_ptrIsEEEESE_SE_sNS9_4plusIvEENS9_8equal_toIvEEsEE10hipError_tPvRmT2_T3_T4_T5_mT6_T7_P12ihipStream_tbENKUlT_T0_E_clISt17integral_constantIbLb0EESY_IbLb1EEEEDaSU_SV_EUlSU_E_NS1_11comp_targetILNS1_3genE4ELNS1_11target_archE910ELNS1_3gpuE8ELNS1_3repE0EEENS1_30default_config_static_selectorELNS0_4arch9wavefront6targetE0EEEvT1_,"axG",@progbits,_ZN7rocprim17ROCPRIM_400000_NS6detail17trampoline_kernelINS0_14default_configENS1_27scan_by_key_config_selectorIssEEZZNS1_16scan_by_key_implILNS1_25lookback_scan_determinismE0ELb1ES3_N6thrust23THRUST_200600_302600_NS6detail15normal_iteratorINS9_10device_ptrIsEEEESE_SE_sNS9_4plusIvEENS9_8equal_toIvEEsEE10hipError_tPvRmT2_T3_T4_T5_mT6_T7_P12ihipStream_tbENKUlT_T0_E_clISt17integral_constantIbLb0EESY_IbLb1EEEEDaSU_SV_EUlSU_E_NS1_11comp_targetILNS1_3genE4ELNS1_11target_archE910ELNS1_3gpuE8ELNS1_3repE0EEENS1_30default_config_static_selectorELNS0_4arch9wavefront6targetE0EEEvT1_,comdat
	.protected	_ZN7rocprim17ROCPRIM_400000_NS6detail17trampoline_kernelINS0_14default_configENS1_27scan_by_key_config_selectorIssEEZZNS1_16scan_by_key_implILNS1_25lookback_scan_determinismE0ELb1ES3_N6thrust23THRUST_200600_302600_NS6detail15normal_iteratorINS9_10device_ptrIsEEEESE_SE_sNS9_4plusIvEENS9_8equal_toIvEEsEE10hipError_tPvRmT2_T3_T4_T5_mT6_T7_P12ihipStream_tbENKUlT_T0_E_clISt17integral_constantIbLb0EESY_IbLb1EEEEDaSU_SV_EUlSU_E_NS1_11comp_targetILNS1_3genE4ELNS1_11target_archE910ELNS1_3gpuE8ELNS1_3repE0EEENS1_30default_config_static_selectorELNS0_4arch9wavefront6targetE0EEEvT1_ ; -- Begin function _ZN7rocprim17ROCPRIM_400000_NS6detail17trampoline_kernelINS0_14default_configENS1_27scan_by_key_config_selectorIssEEZZNS1_16scan_by_key_implILNS1_25lookback_scan_determinismE0ELb1ES3_N6thrust23THRUST_200600_302600_NS6detail15normal_iteratorINS9_10device_ptrIsEEEESE_SE_sNS9_4plusIvEENS9_8equal_toIvEEsEE10hipError_tPvRmT2_T3_T4_T5_mT6_T7_P12ihipStream_tbENKUlT_T0_E_clISt17integral_constantIbLb0EESY_IbLb1EEEEDaSU_SV_EUlSU_E_NS1_11comp_targetILNS1_3genE4ELNS1_11target_archE910ELNS1_3gpuE8ELNS1_3repE0EEENS1_30default_config_static_selectorELNS0_4arch9wavefront6targetE0EEEvT1_
	.globl	_ZN7rocprim17ROCPRIM_400000_NS6detail17trampoline_kernelINS0_14default_configENS1_27scan_by_key_config_selectorIssEEZZNS1_16scan_by_key_implILNS1_25lookback_scan_determinismE0ELb1ES3_N6thrust23THRUST_200600_302600_NS6detail15normal_iteratorINS9_10device_ptrIsEEEESE_SE_sNS9_4plusIvEENS9_8equal_toIvEEsEE10hipError_tPvRmT2_T3_T4_T5_mT6_T7_P12ihipStream_tbENKUlT_T0_E_clISt17integral_constantIbLb0EESY_IbLb1EEEEDaSU_SV_EUlSU_E_NS1_11comp_targetILNS1_3genE4ELNS1_11target_archE910ELNS1_3gpuE8ELNS1_3repE0EEENS1_30default_config_static_selectorELNS0_4arch9wavefront6targetE0EEEvT1_
	.p2align	8
	.type	_ZN7rocprim17ROCPRIM_400000_NS6detail17trampoline_kernelINS0_14default_configENS1_27scan_by_key_config_selectorIssEEZZNS1_16scan_by_key_implILNS1_25lookback_scan_determinismE0ELb1ES3_N6thrust23THRUST_200600_302600_NS6detail15normal_iteratorINS9_10device_ptrIsEEEESE_SE_sNS9_4plusIvEENS9_8equal_toIvEEsEE10hipError_tPvRmT2_T3_T4_T5_mT6_T7_P12ihipStream_tbENKUlT_T0_E_clISt17integral_constantIbLb0EESY_IbLb1EEEEDaSU_SV_EUlSU_E_NS1_11comp_targetILNS1_3genE4ELNS1_11target_archE910ELNS1_3gpuE8ELNS1_3repE0EEENS1_30default_config_static_selectorELNS0_4arch9wavefront6targetE0EEEvT1_,@function
_ZN7rocprim17ROCPRIM_400000_NS6detail17trampoline_kernelINS0_14default_configENS1_27scan_by_key_config_selectorIssEEZZNS1_16scan_by_key_implILNS1_25lookback_scan_determinismE0ELb1ES3_N6thrust23THRUST_200600_302600_NS6detail15normal_iteratorINS9_10device_ptrIsEEEESE_SE_sNS9_4plusIvEENS9_8equal_toIvEEsEE10hipError_tPvRmT2_T3_T4_T5_mT6_T7_P12ihipStream_tbENKUlT_T0_E_clISt17integral_constantIbLb0EESY_IbLb1EEEEDaSU_SV_EUlSU_E_NS1_11comp_targetILNS1_3genE4ELNS1_11target_archE910ELNS1_3gpuE8ELNS1_3repE0EEENS1_30default_config_static_selectorELNS0_4arch9wavefront6targetE0EEEvT1_: ; @_ZN7rocprim17ROCPRIM_400000_NS6detail17trampoline_kernelINS0_14default_configENS1_27scan_by_key_config_selectorIssEEZZNS1_16scan_by_key_implILNS1_25lookback_scan_determinismE0ELb1ES3_N6thrust23THRUST_200600_302600_NS6detail15normal_iteratorINS9_10device_ptrIsEEEESE_SE_sNS9_4plusIvEENS9_8equal_toIvEEsEE10hipError_tPvRmT2_T3_T4_T5_mT6_T7_P12ihipStream_tbENKUlT_T0_E_clISt17integral_constantIbLb0EESY_IbLb1EEEEDaSU_SV_EUlSU_E_NS1_11comp_targetILNS1_3genE4ELNS1_11target_archE910ELNS1_3gpuE8ELNS1_3repE0EEENS1_30default_config_static_selectorELNS0_4arch9wavefront6targetE0EEEvT1_
; %bb.0:
	.section	.rodata,"a",@progbits
	.p2align	6, 0x0
	.amdhsa_kernel _ZN7rocprim17ROCPRIM_400000_NS6detail17trampoline_kernelINS0_14default_configENS1_27scan_by_key_config_selectorIssEEZZNS1_16scan_by_key_implILNS1_25lookback_scan_determinismE0ELb1ES3_N6thrust23THRUST_200600_302600_NS6detail15normal_iteratorINS9_10device_ptrIsEEEESE_SE_sNS9_4plusIvEENS9_8equal_toIvEEsEE10hipError_tPvRmT2_T3_T4_T5_mT6_T7_P12ihipStream_tbENKUlT_T0_E_clISt17integral_constantIbLb0EESY_IbLb1EEEEDaSU_SV_EUlSU_E_NS1_11comp_targetILNS1_3genE4ELNS1_11target_archE910ELNS1_3gpuE8ELNS1_3repE0EEENS1_30default_config_static_selectorELNS0_4arch9wavefront6targetE0EEEvT1_
		.amdhsa_group_segment_fixed_size 0
		.amdhsa_private_segment_fixed_size 0
		.amdhsa_kernarg_size 112
		.amdhsa_user_sgpr_count 6
		.amdhsa_user_sgpr_private_segment_buffer 1
		.amdhsa_user_sgpr_dispatch_ptr 0
		.amdhsa_user_sgpr_queue_ptr 0
		.amdhsa_user_sgpr_kernarg_segment_ptr 1
		.amdhsa_user_sgpr_dispatch_id 0
		.amdhsa_user_sgpr_flat_scratch_init 0
		.amdhsa_user_sgpr_private_segment_size 0
		.amdhsa_wavefront_size32 1
		.amdhsa_uses_dynamic_stack 0
		.amdhsa_system_sgpr_private_segment_wavefront_offset 0
		.amdhsa_system_sgpr_workgroup_id_x 1
		.amdhsa_system_sgpr_workgroup_id_y 0
		.amdhsa_system_sgpr_workgroup_id_z 0
		.amdhsa_system_sgpr_workgroup_info 0
		.amdhsa_system_vgpr_workitem_id 0
		.amdhsa_next_free_vgpr 1
		.amdhsa_next_free_sgpr 1
		.amdhsa_reserve_vcc 0
		.amdhsa_reserve_flat_scratch 0
		.amdhsa_float_round_mode_32 0
		.amdhsa_float_round_mode_16_64 0
		.amdhsa_float_denorm_mode_32 3
		.amdhsa_float_denorm_mode_16_64 3
		.amdhsa_dx10_clamp 1
		.amdhsa_ieee_mode 1
		.amdhsa_fp16_overflow 0
		.amdhsa_workgroup_processor_mode 1
		.amdhsa_memory_ordered 1
		.amdhsa_forward_progress 1
		.amdhsa_shared_vgpr_count 0
		.amdhsa_exception_fp_ieee_invalid_op 0
		.amdhsa_exception_fp_denorm_src 0
		.amdhsa_exception_fp_ieee_div_zero 0
		.amdhsa_exception_fp_ieee_overflow 0
		.amdhsa_exception_fp_ieee_underflow 0
		.amdhsa_exception_fp_ieee_inexact 0
		.amdhsa_exception_int_div_zero 0
	.end_amdhsa_kernel
	.section	.text._ZN7rocprim17ROCPRIM_400000_NS6detail17trampoline_kernelINS0_14default_configENS1_27scan_by_key_config_selectorIssEEZZNS1_16scan_by_key_implILNS1_25lookback_scan_determinismE0ELb1ES3_N6thrust23THRUST_200600_302600_NS6detail15normal_iteratorINS9_10device_ptrIsEEEESE_SE_sNS9_4plusIvEENS9_8equal_toIvEEsEE10hipError_tPvRmT2_T3_T4_T5_mT6_T7_P12ihipStream_tbENKUlT_T0_E_clISt17integral_constantIbLb0EESY_IbLb1EEEEDaSU_SV_EUlSU_E_NS1_11comp_targetILNS1_3genE4ELNS1_11target_archE910ELNS1_3gpuE8ELNS1_3repE0EEENS1_30default_config_static_selectorELNS0_4arch9wavefront6targetE0EEEvT1_,"axG",@progbits,_ZN7rocprim17ROCPRIM_400000_NS6detail17trampoline_kernelINS0_14default_configENS1_27scan_by_key_config_selectorIssEEZZNS1_16scan_by_key_implILNS1_25lookback_scan_determinismE0ELb1ES3_N6thrust23THRUST_200600_302600_NS6detail15normal_iteratorINS9_10device_ptrIsEEEESE_SE_sNS9_4plusIvEENS9_8equal_toIvEEsEE10hipError_tPvRmT2_T3_T4_T5_mT6_T7_P12ihipStream_tbENKUlT_T0_E_clISt17integral_constantIbLb0EESY_IbLb1EEEEDaSU_SV_EUlSU_E_NS1_11comp_targetILNS1_3genE4ELNS1_11target_archE910ELNS1_3gpuE8ELNS1_3repE0EEENS1_30default_config_static_selectorELNS0_4arch9wavefront6targetE0EEEvT1_,comdat
.Lfunc_end599:
	.size	_ZN7rocprim17ROCPRIM_400000_NS6detail17trampoline_kernelINS0_14default_configENS1_27scan_by_key_config_selectorIssEEZZNS1_16scan_by_key_implILNS1_25lookback_scan_determinismE0ELb1ES3_N6thrust23THRUST_200600_302600_NS6detail15normal_iteratorINS9_10device_ptrIsEEEESE_SE_sNS9_4plusIvEENS9_8equal_toIvEEsEE10hipError_tPvRmT2_T3_T4_T5_mT6_T7_P12ihipStream_tbENKUlT_T0_E_clISt17integral_constantIbLb0EESY_IbLb1EEEEDaSU_SV_EUlSU_E_NS1_11comp_targetILNS1_3genE4ELNS1_11target_archE910ELNS1_3gpuE8ELNS1_3repE0EEENS1_30default_config_static_selectorELNS0_4arch9wavefront6targetE0EEEvT1_, .Lfunc_end599-_ZN7rocprim17ROCPRIM_400000_NS6detail17trampoline_kernelINS0_14default_configENS1_27scan_by_key_config_selectorIssEEZZNS1_16scan_by_key_implILNS1_25lookback_scan_determinismE0ELb1ES3_N6thrust23THRUST_200600_302600_NS6detail15normal_iteratorINS9_10device_ptrIsEEEESE_SE_sNS9_4plusIvEENS9_8equal_toIvEEsEE10hipError_tPvRmT2_T3_T4_T5_mT6_T7_P12ihipStream_tbENKUlT_T0_E_clISt17integral_constantIbLb0EESY_IbLb1EEEEDaSU_SV_EUlSU_E_NS1_11comp_targetILNS1_3genE4ELNS1_11target_archE910ELNS1_3gpuE8ELNS1_3repE0EEENS1_30default_config_static_selectorELNS0_4arch9wavefront6targetE0EEEvT1_
                                        ; -- End function
	.set _ZN7rocprim17ROCPRIM_400000_NS6detail17trampoline_kernelINS0_14default_configENS1_27scan_by_key_config_selectorIssEEZZNS1_16scan_by_key_implILNS1_25lookback_scan_determinismE0ELb1ES3_N6thrust23THRUST_200600_302600_NS6detail15normal_iteratorINS9_10device_ptrIsEEEESE_SE_sNS9_4plusIvEENS9_8equal_toIvEEsEE10hipError_tPvRmT2_T3_T4_T5_mT6_T7_P12ihipStream_tbENKUlT_T0_E_clISt17integral_constantIbLb0EESY_IbLb1EEEEDaSU_SV_EUlSU_E_NS1_11comp_targetILNS1_3genE4ELNS1_11target_archE910ELNS1_3gpuE8ELNS1_3repE0EEENS1_30default_config_static_selectorELNS0_4arch9wavefront6targetE0EEEvT1_.num_vgpr, 0
	.set _ZN7rocprim17ROCPRIM_400000_NS6detail17trampoline_kernelINS0_14default_configENS1_27scan_by_key_config_selectorIssEEZZNS1_16scan_by_key_implILNS1_25lookback_scan_determinismE0ELb1ES3_N6thrust23THRUST_200600_302600_NS6detail15normal_iteratorINS9_10device_ptrIsEEEESE_SE_sNS9_4plusIvEENS9_8equal_toIvEEsEE10hipError_tPvRmT2_T3_T4_T5_mT6_T7_P12ihipStream_tbENKUlT_T0_E_clISt17integral_constantIbLb0EESY_IbLb1EEEEDaSU_SV_EUlSU_E_NS1_11comp_targetILNS1_3genE4ELNS1_11target_archE910ELNS1_3gpuE8ELNS1_3repE0EEENS1_30default_config_static_selectorELNS0_4arch9wavefront6targetE0EEEvT1_.num_agpr, 0
	.set _ZN7rocprim17ROCPRIM_400000_NS6detail17trampoline_kernelINS0_14default_configENS1_27scan_by_key_config_selectorIssEEZZNS1_16scan_by_key_implILNS1_25lookback_scan_determinismE0ELb1ES3_N6thrust23THRUST_200600_302600_NS6detail15normal_iteratorINS9_10device_ptrIsEEEESE_SE_sNS9_4plusIvEENS9_8equal_toIvEEsEE10hipError_tPvRmT2_T3_T4_T5_mT6_T7_P12ihipStream_tbENKUlT_T0_E_clISt17integral_constantIbLb0EESY_IbLb1EEEEDaSU_SV_EUlSU_E_NS1_11comp_targetILNS1_3genE4ELNS1_11target_archE910ELNS1_3gpuE8ELNS1_3repE0EEENS1_30default_config_static_selectorELNS0_4arch9wavefront6targetE0EEEvT1_.numbered_sgpr, 0
	.set _ZN7rocprim17ROCPRIM_400000_NS6detail17trampoline_kernelINS0_14default_configENS1_27scan_by_key_config_selectorIssEEZZNS1_16scan_by_key_implILNS1_25lookback_scan_determinismE0ELb1ES3_N6thrust23THRUST_200600_302600_NS6detail15normal_iteratorINS9_10device_ptrIsEEEESE_SE_sNS9_4plusIvEENS9_8equal_toIvEEsEE10hipError_tPvRmT2_T3_T4_T5_mT6_T7_P12ihipStream_tbENKUlT_T0_E_clISt17integral_constantIbLb0EESY_IbLb1EEEEDaSU_SV_EUlSU_E_NS1_11comp_targetILNS1_3genE4ELNS1_11target_archE910ELNS1_3gpuE8ELNS1_3repE0EEENS1_30default_config_static_selectorELNS0_4arch9wavefront6targetE0EEEvT1_.num_named_barrier, 0
	.set _ZN7rocprim17ROCPRIM_400000_NS6detail17trampoline_kernelINS0_14default_configENS1_27scan_by_key_config_selectorIssEEZZNS1_16scan_by_key_implILNS1_25lookback_scan_determinismE0ELb1ES3_N6thrust23THRUST_200600_302600_NS6detail15normal_iteratorINS9_10device_ptrIsEEEESE_SE_sNS9_4plusIvEENS9_8equal_toIvEEsEE10hipError_tPvRmT2_T3_T4_T5_mT6_T7_P12ihipStream_tbENKUlT_T0_E_clISt17integral_constantIbLb0EESY_IbLb1EEEEDaSU_SV_EUlSU_E_NS1_11comp_targetILNS1_3genE4ELNS1_11target_archE910ELNS1_3gpuE8ELNS1_3repE0EEENS1_30default_config_static_selectorELNS0_4arch9wavefront6targetE0EEEvT1_.private_seg_size, 0
	.set _ZN7rocprim17ROCPRIM_400000_NS6detail17trampoline_kernelINS0_14default_configENS1_27scan_by_key_config_selectorIssEEZZNS1_16scan_by_key_implILNS1_25lookback_scan_determinismE0ELb1ES3_N6thrust23THRUST_200600_302600_NS6detail15normal_iteratorINS9_10device_ptrIsEEEESE_SE_sNS9_4plusIvEENS9_8equal_toIvEEsEE10hipError_tPvRmT2_T3_T4_T5_mT6_T7_P12ihipStream_tbENKUlT_T0_E_clISt17integral_constantIbLb0EESY_IbLb1EEEEDaSU_SV_EUlSU_E_NS1_11comp_targetILNS1_3genE4ELNS1_11target_archE910ELNS1_3gpuE8ELNS1_3repE0EEENS1_30default_config_static_selectorELNS0_4arch9wavefront6targetE0EEEvT1_.uses_vcc, 0
	.set _ZN7rocprim17ROCPRIM_400000_NS6detail17trampoline_kernelINS0_14default_configENS1_27scan_by_key_config_selectorIssEEZZNS1_16scan_by_key_implILNS1_25lookback_scan_determinismE0ELb1ES3_N6thrust23THRUST_200600_302600_NS6detail15normal_iteratorINS9_10device_ptrIsEEEESE_SE_sNS9_4plusIvEENS9_8equal_toIvEEsEE10hipError_tPvRmT2_T3_T4_T5_mT6_T7_P12ihipStream_tbENKUlT_T0_E_clISt17integral_constantIbLb0EESY_IbLb1EEEEDaSU_SV_EUlSU_E_NS1_11comp_targetILNS1_3genE4ELNS1_11target_archE910ELNS1_3gpuE8ELNS1_3repE0EEENS1_30default_config_static_selectorELNS0_4arch9wavefront6targetE0EEEvT1_.uses_flat_scratch, 0
	.set _ZN7rocprim17ROCPRIM_400000_NS6detail17trampoline_kernelINS0_14default_configENS1_27scan_by_key_config_selectorIssEEZZNS1_16scan_by_key_implILNS1_25lookback_scan_determinismE0ELb1ES3_N6thrust23THRUST_200600_302600_NS6detail15normal_iteratorINS9_10device_ptrIsEEEESE_SE_sNS9_4plusIvEENS9_8equal_toIvEEsEE10hipError_tPvRmT2_T3_T4_T5_mT6_T7_P12ihipStream_tbENKUlT_T0_E_clISt17integral_constantIbLb0EESY_IbLb1EEEEDaSU_SV_EUlSU_E_NS1_11comp_targetILNS1_3genE4ELNS1_11target_archE910ELNS1_3gpuE8ELNS1_3repE0EEENS1_30default_config_static_selectorELNS0_4arch9wavefront6targetE0EEEvT1_.has_dyn_sized_stack, 0
	.set _ZN7rocprim17ROCPRIM_400000_NS6detail17trampoline_kernelINS0_14default_configENS1_27scan_by_key_config_selectorIssEEZZNS1_16scan_by_key_implILNS1_25lookback_scan_determinismE0ELb1ES3_N6thrust23THRUST_200600_302600_NS6detail15normal_iteratorINS9_10device_ptrIsEEEESE_SE_sNS9_4plusIvEENS9_8equal_toIvEEsEE10hipError_tPvRmT2_T3_T4_T5_mT6_T7_P12ihipStream_tbENKUlT_T0_E_clISt17integral_constantIbLb0EESY_IbLb1EEEEDaSU_SV_EUlSU_E_NS1_11comp_targetILNS1_3genE4ELNS1_11target_archE910ELNS1_3gpuE8ELNS1_3repE0EEENS1_30default_config_static_selectorELNS0_4arch9wavefront6targetE0EEEvT1_.has_recursion, 0
	.set _ZN7rocprim17ROCPRIM_400000_NS6detail17trampoline_kernelINS0_14default_configENS1_27scan_by_key_config_selectorIssEEZZNS1_16scan_by_key_implILNS1_25lookback_scan_determinismE0ELb1ES3_N6thrust23THRUST_200600_302600_NS6detail15normal_iteratorINS9_10device_ptrIsEEEESE_SE_sNS9_4plusIvEENS9_8equal_toIvEEsEE10hipError_tPvRmT2_T3_T4_T5_mT6_T7_P12ihipStream_tbENKUlT_T0_E_clISt17integral_constantIbLb0EESY_IbLb1EEEEDaSU_SV_EUlSU_E_NS1_11comp_targetILNS1_3genE4ELNS1_11target_archE910ELNS1_3gpuE8ELNS1_3repE0EEENS1_30default_config_static_selectorELNS0_4arch9wavefront6targetE0EEEvT1_.has_indirect_call, 0
	.section	.AMDGPU.csdata,"",@progbits
; Kernel info:
; codeLenInByte = 0
; TotalNumSgprs: 0
; NumVgprs: 0
; ScratchSize: 0
; MemoryBound: 0
; FloatMode: 240
; IeeeMode: 1
; LDSByteSize: 0 bytes/workgroup (compile time only)
; SGPRBlocks: 0
; VGPRBlocks: 0
; NumSGPRsForWavesPerEU: 1
; NumVGPRsForWavesPerEU: 1
; Occupancy: 16
; WaveLimiterHint : 0
; COMPUTE_PGM_RSRC2:SCRATCH_EN: 0
; COMPUTE_PGM_RSRC2:USER_SGPR: 6
; COMPUTE_PGM_RSRC2:TRAP_HANDLER: 0
; COMPUTE_PGM_RSRC2:TGID_X_EN: 1
; COMPUTE_PGM_RSRC2:TGID_Y_EN: 0
; COMPUTE_PGM_RSRC2:TGID_Z_EN: 0
; COMPUTE_PGM_RSRC2:TIDIG_COMP_CNT: 0
	.section	.text._ZN7rocprim17ROCPRIM_400000_NS6detail17trampoline_kernelINS0_14default_configENS1_27scan_by_key_config_selectorIssEEZZNS1_16scan_by_key_implILNS1_25lookback_scan_determinismE0ELb1ES3_N6thrust23THRUST_200600_302600_NS6detail15normal_iteratorINS9_10device_ptrIsEEEESE_SE_sNS9_4plusIvEENS9_8equal_toIvEEsEE10hipError_tPvRmT2_T3_T4_T5_mT6_T7_P12ihipStream_tbENKUlT_T0_E_clISt17integral_constantIbLb0EESY_IbLb1EEEEDaSU_SV_EUlSU_E_NS1_11comp_targetILNS1_3genE3ELNS1_11target_archE908ELNS1_3gpuE7ELNS1_3repE0EEENS1_30default_config_static_selectorELNS0_4arch9wavefront6targetE0EEEvT1_,"axG",@progbits,_ZN7rocprim17ROCPRIM_400000_NS6detail17trampoline_kernelINS0_14default_configENS1_27scan_by_key_config_selectorIssEEZZNS1_16scan_by_key_implILNS1_25lookback_scan_determinismE0ELb1ES3_N6thrust23THRUST_200600_302600_NS6detail15normal_iteratorINS9_10device_ptrIsEEEESE_SE_sNS9_4plusIvEENS9_8equal_toIvEEsEE10hipError_tPvRmT2_T3_T4_T5_mT6_T7_P12ihipStream_tbENKUlT_T0_E_clISt17integral_constantIbLb0EESY_IbLb1EEEEDaSU_SV_EUlSU_E_NS1_11comp_targetILNS1_3genE3ELNS1_11target_archE908ELNS1_3gpuE7ELNS1_3repE0EEENS1_30default_config_static_selectorELNS0_4arch9wavefront6targetE0EEEvT1_,comdat
	.protected	_ZN7rocprim17ROCPRIM_400000_NS6detail17trampoline_kernelINS0_14default_configENS1_27scan_by_key_config_selectorIssEEZZNS1_16scan_by_key_implILNS1_25lookback_scan_determinismE0ELb1ES3_N6thrust23THRUST_200600_302600_NS6detail15normal_iteratorINS9_10device_ptrIsEEEESE_SE_sNS9_4plusIvEENS9_8equal_toIvEEsEE10hipError_tPvRmT2_T3_T4_T5_mT6_T7_P12ihipStream_tbENKUlT_T0_E_clISt17integral_constantIbLb0EESY_IbLb1EEEEDaSU_SV_EUlSU_E_NS1_11comp_targetILNS1_3genE3ELNS1_11target_archE908ELNS1_3gpuE7ELNS1_3repE0EEENS1_30default_config_static_selectorELNS0_4arch9wavefront6targetE0EEEvT1_ ; -- Begin function _ZN7rocprim17ROCPRIM_400000_NS6detail17trampoline_kernelINS0_14default_configENS1_27scan_by_key_config_selectorIssEEZZNS1_16scan_by_key_implILNS1_25lookback_scan_determinismE0ELb1ES3_N6thrust23THRUST_200600_302600_NS6detail15normal_iteratorINS9_10device_ptrIsEEEESE_SE_sNS9_4plusIvEENS9_8equal_toIvEEsEE10hipError_tPvRmT2_T3_T4_T5_mT6_T7_P12ihipStream_tbENKUlT_T0_E_clISt17integral_constantIbLb0EESY_IbLb1EEEEDaSU_SV_EUlSU_E_NS1_11comp_targetILNS1_3genE3ELNS1_11target_archE908ELNS1_3gpuE7ELNS1_3repE0EEENS1_30default_config_static_selectorELNS0_4arch9wavefront6targetE0EEEvT1_
	.globl	_ZN7rocprim17ROCPRIM_400000_NS6detail17trampoline_kernelINS0_14default_configENS1_27scan_by_key_config_selectorIssEEZZNS1_16scan_by_key_implILNS1_25lookback_scan_determinismE0ELb1ES3_N6thrust23THRUST_200600_302600_NS6detail15normal_iteratorINS9_10device_ptrIsEEEESE_SE_sNS9_4plusIvEENS9_8equal_toIvEEsEE10hipError_tPvRmT2_T3_T4_T5_mT6_T7_P12ihipStream_tbENKUlT_T0_E_clISt17integral_constantIbLb0EESY_IbLb1EEEEDaSU_SV_EUlSU_E_NS1_11comp_targetILNS1_3genE3ELNS1_11target_archE908ELNS1_3gpuE7ELNS1_3repE0EEENS1_30default_config_static_selectorELNS0_4arch9wavefront6targetE0EEEvT1_
	.p2align	8
	.type	_ZN7rocprim17ROCPRIM_400000_NS6detail17trampoline_kernelINS0_14default_configENS1_27scan_by_key_config_selectorIssEEZZNS1_16scan_by_key_implILNS1_25lookback_scan_determinismE0ELb1ES3_N6thrust23THRUST_200600_302600_NS6detail15normal_iteratorINS9_10device_ptrIsEEEESE_SE_sNS9_4plusIvEENS9_8equal_toIvEEsEE10hipError_tPvRmT2_T3_T4_T5_mT6_T7_P12ihipStream_tbENKUlT_T0_E_clISt17integral_constantIbLb0EESY_IbLb1EEEEDaSU_SV_EUlSU_E_NS1_11comp_targetILNS1_3genE3ELNS1_11target_archE908ELNS1_3gpuE7ELNS1_3repE0EEENS1_30default_config_static_selectorELNS0_4arch9wavefront6targetE0EEEvT1_,@function
_ZN7rocprim17ROCPRIM_400000_NS6detail17trampoline_kernelINS0_14default_configENS1_27scan_by_key_config_selectorIssEEZZNS1_16scan_by_key_implILNS1_25lookback_scan_determinismE0ELb1ES3_N6thrust23THRUST_200600_302600_NS6detail15normal_iteratorINS9_10device_ptrIsEEEESE_SE_sNS9_4plusIvEENS9_8equal_toIvEEsEE10hipError_tPvRmT2_T3_T4_T5_mT6_T7_P12ihipStream_tbENKUlT_T0_E_clISt17integral_constantIbLb0EESY_IbLb1EEEEDaSU_SV_EUlSU_E_NS1_11comp_targetILNS1_3genE3ELNS1_11target_archE908ELNS1_3gpuE7ELNS1_3repE0EEENS1_30default_config_static_selectorELNS0_4arch9wavefront6targetE0EEEvT1_: ; @_ZN7rocprim17ROCPRIM_400000_NS6detail17trampoline_kernelINS0_14default_configENS1_27scan_by_key_config_selectorIssEEZZNS1_16scan_by_key_implILNS1_25lookback_scan_determinismE0ELb1ES3_N6thrust23THRUST_200600_302600_NS6detail15normal_iteratorINS9_10device_ptrIsEEEESE_SE_sNS9_4plusIvEENS9_8equal_toIvEEsEE10hipError_tPvRmT2_T3_T4_T5_mT6_T7_P12ihipStream_tbENKUlT_T0_E_clISt17integral_constantIbLb0EESY_IbLb1EEEEDaSU_SV_EUlSU_E_NS1_11comp_targetILNS1_3genE3ELNS1_11target_archE908ELNS1_3gpuE7ELNS1_3repE0EEENS1_30default_config_static_selectorELNS0_4arch9wavefront6targetE0EEEvT1_
; %bb.0:
	.section	.rodata,"a",@progbits
	.p2align	6, 0x0
	.amdhsa_kernel _ZN7rocprim17ROCPRIM_400000_NS6detail17trampoline_kernelINS0_14default_configENS1_27scan_by_key_config_selectorIssEEZZNS1_16scan_by_key_implILNS1_25lookback_scan_determinismE0ELb1ES3_N6thrust23THRUST_200600_302600_NS6detail15normal_iteratorINS9_10device_ptrIsEEEESE_SE_sNS9_4plusIvEENS9_8equal_toIvEEsEE10hipError_tPvRmT2_T3_T4_T5_mT6_T7_P12ihipStream_tbENKUlT_T0_E_clISt17integral_constantIbLb0EESY_IbLb1EEEEDaSU_SV_EUlSU_E_NS1_11comp_targetILNS1_3genE3ELNS1_11target_archE908ELNS1_3gpuE7ELNS1_3repE0EEENS1_30default_config_static_selectorELNS0_4arch9wavefront6targetE0EEEvT1_
		.amdhsa_group_segment_fixed_size 0
		.amdhsa_private_segment_fixed_size 0
		.amdhsa_kernarg_size 112
		.amdhsa_user_sgpr_count 6
		.amdhsa_user_sgpr_private_segment_buffer 1
		.amdhsa_user_sgpr_dispatch_ptr 0
		.amdhsa_user_sgpr_queue_ptr 0
		.amdhsa_user_sgpr_kernarg_segment_ptr 1
		.amdhsa_user_sgpr_dispatch_id 0
		.amdhsa_user_sgpr_flat_scratch_init 0
		.amdhsa_user_sgpr_private_segment_size 0
		.amdhsa_wavefront_size32 1
		.amdhsa_uses_dynamic_stack 0
		.amdhsa_system_sgpr_private_segment_wavefront_offset 0
		.amdhsa_system_sgpr_workgroup_id_x 1
		.amdhsa_system_sgpr_workgroup_id_y 0
		.amdhsa_system_sgpr_workgroup_id_z 0
		.amdhsa_system_sgpr_workgroup_info 0
		.amdhsa_system_vgpr_workitem_id 0
		.amdhsa_next_free_vgpr 1
		.amdhsa_next_free_sgpr 1
		.amdhsa_reserve_vcc 0
		.amdhsa_reserve_flat_scratch 0
		.amdhsa_float_round_mode_32 0
		.amdhsa_float_round_mode_16_64 0
		.amdhsa_float_denorm_mode_32 3
		.amdhsa_float_denorm_mode_16_64 3
		.amdhsa_dx10_clamp 1
		.amdhsa_ieee_mode 1
		.amdhsa_fp16_overflow 0
		.amdhsa_workgroup_processor_mode 1
		.amdhsa_memory_ordered 1
		.amdhsa_forward_progress 1
		.amdhsa_shared_vgpr_count 0
		.amdhsa_exception_fp_ieee_invalid_op 0
		.amdhsa_exception_fp_denorm_src 0
		.amdhsa_exception_fp_ieee_div_zero 0
		.amdhsa_exception_fp_ieee_overflow 0
		.amdhsa_exception_fp_ieee_underflow 0
		.amdhsa_exception_fp_ieee_inexact 0
		.amdhsa_exception_int_div_zero 0
	.end_amdhsa_kernel
	.section	.text._ZN7rocprim17ROCPRIM_400000_NS6detail17trampoline_kernelINS0_14default_configENS1_27scan_by_key_config_selectorIssEEZZNS1_16scan_by_key_implILNS1_25lookback_scan_determinismE0ELb1ES3_N6thrust23THRUST_200600_302600_NS6detail15normal_iteratorINS9_10device_ptrIsEEEESE_SE_sNS9_4plusIvEENS9_8equal_toIvEEsEE10hipError_tPvRmT2_T3_T4_T5_mT6_T7_P12ihipStream_tbENKUlT_T0_E_clISt17integral_constantIbLb0EESY_IbLb1EEEEDaSU_SV_EUlSU_E_NS1_11comp_targetILNS1_3genE3ELNS1_11target_archE908ELNS1_3gpuE7ELNS1_3repE0EEENS1_30default_config_static_selectorELNS0_4arch9wavefront6targetE0EEEvT1_,"axG",@progbits,_ZN7rocprim17ROCPRIM_400000_NS6detail17trampoline_kernelINS0_14default_configENS1_27scan_by_key_config_selectorIssEEZZNS1_16scan_by_key_implILNS1_25lookback_scan_determinismE0ELb1ES3_N6thrust23THRUST_200600_302600_NS6detail15normal_iteratorINS9_10device_ptrIsEEEESE_SE_sNS9_4plusIvEENS9_8equal_toIvEEsEE10hipError_tPvRmT2_T3_T4_T5_mT6_T7_P12ihipStream_tbENKUlT_T0_E_clISt17integral_constantIbLb0EESY_IbLb1EEEEDaSU_SV_EUlSU_E_NS1_11comp_targetILNS1_3genE3ELNS1_11target_archE908ELNS1_3gpuE7ELNS1_3repE0EEENS1_30default_config_static_selectorELNS0_4arch9wavefront6targetE0EEEvT1_,comdat
.Lfunc_end600:
	.size	_ZN7rocprim17ROCPRIM_400000_NS6detail17trampoline_kernelINS0_14default_configENS1_27scan_by_key_config_selectorIssEEZZNS1_16scan_by_key_implILNS1_25lookback_scan_determinismE0ELb1ES3_N6thrust23THRUST_200600_302600_NS6detail15normal_iteratorINS9_10device_ptrIsEEEESE_SE_sNS9_4plusIvEENS9_8equal_toIvEEsEE10hipError_tPvRmT2_T3_T4_T5_mT6_T7_P12ihipStream_tbENKUlT_T0_E_clISt17integral_constantIbLb0EESY_IbLb1EEEEDaSU_SV_EUlSU_E_NS1_11comp_targetILNS1_3genE3ELNS1_11target_archE908ELNS1_3gpuE7ELNS1_3repE0EEENS1_30default_config_static_selectorELNS0_4arch9wavefront6targetE0EEEvT1_, .Lfunc_end600-_ZN7rocprim17ROCPRIM_400000_NS6detail17trampoline_kernelINS0_14default_configENS1_27scan_by_key_config_selectorIssEEZZNS1_16scan_by_key_implILNS1_25lookback_scan_determinismE0ELb1ES3_N6thrust23THRUST_200600_302600_NS6detail15normal_iteratorINS9_10device_ptrIsEEEESE_SE_sNS9_4plusIvEENS9_8equal_toIvEEsEE10hipError_tPvRmT2_T3_T4_T5_mT6_T7_P12ihipStream_tbENKUlT_T0_E_clISt17integral_constantIbLb0EESY_IbLb1EEEEDaSU_SV_EUlSU_E_NS1_11comp_targetILNS1_3genE3ELNS1_11target_archE908ELNS1_3gpuE7ELNS1_3repE0EEENS1_30default_config_static_selectorELNS0_4arch9wavefront6targetE0EEEvT1_
                                        ; -- End function
	.set _ZN7rocprim17ROCPRIM_400000_NS6detail17trampoline_kernelINS0_14default_configENS1_27scan_by_key_config_selectorIssEEZZNS1_16scan_by_key_implILNS1_25lookback_scan_determinismE0ELb1ES3_N6thrust23THRUST_200600_302600_NS6detail15normal_iteratorINS9_10device_ptrIsEEEESE_SE_sNS9_4plusIvEENS9_8equal_toIvEEsEE10hipError_tPvRmT2_T3_T4_T5_mT6_T7_P12ihipStream_tbENKUlT_T0_E_clISt17integral_constantIbLb0EESY_IbLb1EEEEDaSU_SV_EUlSU_E_NS1_11comp_targetILNS1_3genE3ELNS1_11target_archE908ELNS1_3gpuE7ELNS1_3repE0EEENS1_30default_config_static_selectorELNS0_4arch9wavefront6targetE0EEEvT1_.num_vgpr, 0
	.set _ZN7rocprim17ROCPRIM_400000_NS6detail17trampoline_kernelINS0_14default_configENS1_27scan_by_key_config_selectorIssEEZZNS1_16scan_by_key_implILNS1_25lookback_scan_determinismE0ELb1ES3_N6thrust23THRUST_200600_302600_NS6detail15normal_iteratorINS9_10device_ptrIsEEEESE_SE_sNS9_4plusIvEENS9_8equal_toIvEEsEE10hipError_tPvRmT2_T3_T4_T5_mT6_T7_P12ihipStream_tbENKUlT_T0_E_clISt17integral_constantIbLb0EESY_IbLb1EEEEDaSU_SV_EUlSU_E_NS1_11comp_targetILNS1_3genE3ELNS1_11target_archE908ELNS1_3gpuE7ELNS1_3repE0EEENS1_30default_config_static_selectorELNS0_4arch9wavefront6targetE0EEEvT1_.num_agpr, 0
	.set _ZN7rocprim17ROCPRIM_400000_NS6detail17trampoline_kernelINS0_14default_configENS1_27scan_by_key_config_selectorIssEEZZNS1_16scan_by_key_implILNS1_25lookback_scan_determinismE0ELb1ES3_N6thrust23THRUST_200600_302600_NS6detail15normal_iteratorINS9_10device_ptrIsEEEESE_SE_sNS9_4plusIvEENS9_8equal_toIvEEsEE10hipError_tPvRmT2_T3_T4_T5_mT6_T7_P12ihipStream_tbENKUlT_T0_E_clISt17integral_constantIbLb0EESY_IbLb1EEEEDaSU_SV_EUlSU_E_NS1_11comp_targetILNS1_3genE3ELNS1_11target_archE908ELNS1_3gpuE7ELNS1_3repE0EEENS1_30default_config_static_selectorELNS0_4arch9wavefront6targetE0EEEvT1_.numbered_sgpr, 0
	.set _ZN7rocprim17ROCPRIM_400000_NS6detail17trampoline_kernelINS0_14default_configENS1_27scan_by_key_config_selectorIssEEZZNS1_16scan_by_key_implILNS1_25lookback_scan_determinismE0ELb1ES3_N6thrust23THRUST_200600_302600_NS6detail15normal_iteratorINS9_10device_ptrIsEEEESE_SE_sNS9_4plusIvEENS9_8equal_toIvEEsEE10hipError_tPvRmT2_T3_T4_T5_mT6_T7_P12ihipStream_tbENKUlT_T0_E_clISt17integral_constantIbLb0EESY_IbLb1EEEEDaSU_SV_EUlSU_E_NS1_11comp_targetILNS1_3genE3ELNS1_11target_archE908ELNS1_3gpuE7ELNS1_3repE0EEENS1_30default_config_static_selectorELNS0_4arch9wavefront6targetE0EEEvT1_.num_named_barrier, 0
	.set _ZN7rocprim17ROCPRIM_400000_NS6detail17trampoline_kernelINS0_14default_configENS1_27scan_by_key_config_selectorIssEEZZNS1_16scan_by_key_implILNS1_25lookback_scan_determinismE0ELb1ES3_N6thrust23THRUST_200600_302600_NS6detail15normal_iteratorINS9_10device_ptrIsEEEESE_SE_sNS9_4plusIvEENS9_8equal_toIvEEsEE10hipError_tPvRmT2_T3_T4_T5_mT6_T7_P12ihipStream_tbENKUlT_T0_E_clISt17integral_constantIbLb0EESY_IbLb1EEEEDaSU_SV_EUlSU_E_NS1_11comp_targetILNS1_3genE3ELNS1_11target_archE908ELNS1_3gpuE7ELNS1_3repE0EEENS1_30default_config_static_selectorELNS0_4arch9wavefront6targetE0EEEvT1_.private_seg_size, 0
	.set _ZN7rocprim17ROCPRIM_400000_NS6detail17trampoline_kernelINS0_14default_configENS1_27scan_by_key_config_selectorIssEEZZNS1_16scan_by_key_implILNS1_25lookback_scan_determinismE0ELb1ES3_N6thrust23THRUST_200600_302600_NS6detail15normal_iteratorINS9_10device_ptrIsEEEESE_SE_sNS9_4plusIvEENS9_8equal_toIvEEsEE10hipError_tPvRmT2_T3_T4_T5_mT6_T7_P12ihipStream_tbENKUlT_T0_E_clISt17integral_constantIbLb0EESY_IbLb1EEEEDaSU_SV_EUlSU_E_NS1_11comp_targetILNS1_3genE3ELNS1_11target_archE908ELNS1_3gpuE7ELNS1_3repE0EEENS1_30default_config_static_selectorELNS0_4arch9wavefront6targetE0EEEvT1_.uses_vcc, 0
	.set _ZN7rocprim17ROCPRIM_400000_NS6detail17trampoline_kernelINS0_14default_configENS1_27scan_by_key_config_selectorIssEEZZNS1_16scan_by_key_implILNS1_25lookback_scan_determinismE0ELb1ES3_N6thrust23THRUST_200600_302600_NS6detail15normal_iteratorINS9_10device_ptrIsEEEESE_SE_sNS9_4plusIvEENS9_8equal_toIvEEsEE10hipError_tPvRmT2_T3_T4_T5_mT6_T7_P12ihipStream_tbENKUlT_T0_E_clISt17integral_constantIbLb0EESY_IbLb1EEEEDaSU_SV_EUlSU_E_NS1_11comp_targetILNS1_3genE3ELNS1_11target_archE908ELNS1_3gpuE7ELNS1_3repE0EEENS1_30default_config_static_selectorELNS0_4arch9wavefront6targetE0EEEvT1_.uses_flat_scratch, 0
	.set _ZN7rocprim17ROCPRIM_400000_NS6detail17trampoline_kernelINS0_14default_configENS1_27scan_by_key_config_selectorIssEEZZNS1_16scan_by_key_implILNS1_25lookback_scan_determinismE0ELb1ES3_N6thrust23THRUST_200600_302600_NS6detail15normal_iteratorINS9_10device_ptrIsEEEESE_SE_sNS9_4plusIvEENS9_8equal_toIvEEsEE10hipError_tPvRmT2_T3_T4_T5_mT6_T7_P12ihipStream_tbENKUlT_T0_E_clISt17integral_constantIbLb0EESY_IbLb1EEEEDaSU_SV_EUlSU_E_NS1_11comp_targetILNS1_3genE3ELNS1_11target_archE908ELNS1_3gpuE7ELNS1_3repE0EEENS1_30default_config_static_selectorELNS0_4arch9wavefront6targetE0EEEvT1_.has_dyn_sized_stack, 0
	.set _ZN7rocprim17ROCPRIM_400000_NS6detail17trampoline_kernelINS0_14default_configENS1_27scan_by_key_config_selectorIssEEZZNS1_16scan_by_key_implILNS1_25lookback_scan_determinismE0ELb1ES3_N6thrust23THRUST_200600_302600_NS6detail15normal_iteratorINS9_10device_ptrIsEEEESE_SE_sNS9_4plusIvEENS9_8equal_toIvEEsEE10hipError_tPvRmT2_T3_T4_T5_mT6_T7_P12ihipStream_tbENKUlT_T0_E_clISt17integral_constantIbLb0EESY_IbLb1EEEEDaSU_SV_EUlSU_E_NS1_11comp_targetILNS1_3genE3ELNS1_11target_archE908ELNS1_3gpuE7ELNS1_3repE0EEENS1_30default_config_static_selectorELNS0_4arch9wavefront6targetE0EEEvT1_.has_recursion, 0
	.set _ZN7rocprim17ROCPRIM_400000_NS6detail17trampoline_kernelINS0_14default_configENS1_27scan_by_key_config_selectorIssEEZZNS1_16scan_by_key_implILNS1_25lookback_scan_determinismE0ELb1ES3_N6thrust23THRUST_200600_302600_NS6detail15normal_iteratorINS9_10device_ptrIsEEEESE_SE_sNS9_4plusIvEENS9_8equal_toIvEEsEE10hipError_tPvRmT2_T3_T4_T5_mT6_T7_P12ihipStream_tbENKUlT_T0_E_clISt17integral_constantIbLb0EESY_IbLb1EEEEDaSU_SV_EUlSU_E_NS1_11comp_targetILNS1_3genE3ELNS1_11target_archE908ELNS1_3gpuE7ELNS1_3repE0EEENS1_30default_config_static_selectorELNS0_4arch9wavefront6targetE0EEEvT1_.has_indirect_call, 0
	.section	.AMDGPU.csdata,"",@progbits
; Kernel info:
; codeLenInByte = 0
; TotalNumSgprs: 0
; NumVgprs: 0
; ScratchSize: 0
; MemoryBound: 0
; FloatMode: 240
; IeeeMode: 1
; LDSByteSize: 0 bytes/workgroup (compile time only)
; SGPRBlocks: 0
; VGPRBlocks: 0
; NumSGPRsForWavesPerEU: 1
; NumVGPRsForWavesPerEU: 1
; Occupancy: 16
; WaveLimiterHint : 0
; COMPUTE_PGM_RSRC2:SCRATCH_EN: 0
; COMPUTE_PGM_RSRC2:USER_SGPR: 6
; COMPUTE_PGM_RSRC2:TRAP_HANDLER: 0
; COMPUTE_PGM_RSRC2:TGID_X_EN: 1
; COMPUTE_PGM_RSRC2:TGID_Y_EN: 0
; COMPUTE_PGM_RSRC2:TGID_Z_EN: 0
; COMPUTE_PGM_RSRC2:TIDIG_COMP_CNT: 0
	.section	.text._ZN7rocprim17ROCPRIM_400000_NS6detail17trampoline_kernelINS0_14default_configENS1_27scan_by_key_config_selectorIssEEZZNS1_16scan_by_key_implILNS1_25lookback_scan_determinismE0ELb1ES3_N6thrust23THRUST_200600_302600_NS6detail15normal_iteratorINS9_10device_ptrIsEEEESE_SE_sNS9_4plusIvEENS9_8equal_toIvEEsEE10hipError_tPvRmT2_T3_T4_T5_mT6_T7_P12ihipStream_tbENKUlT_T0_E_clISt17integral_constantIbLb0EESY_IbLb1EEEEDaSU_SV_EUlSU_E_NS1_11comp_targetILNS1_3genE2ELNS1_11target_archE906ELNS1_3gpuE6ELNS1_3repE0EEENS1_30default_config_static_selectorELNS0_4arch9wavefront6targetE0EEEvT1_,"axG",@progbits,_ZN7rocprim17ROCPRIM_400000_NS6detail17trampoline_kernelINS0_14default_configENS1_27scan_by_key_config_selectorIssEEZZNS1_16scan_by_key_implILNS1_25lookback_scan_determinismE0ELb1ES3_N6thrust23THRUST_200600_302600_NS6detail15normal_iteratorINS9_10device_ptrIsEEEESE_SE_sNS9_4plusIvEENS9_8equal_toIvEEsEE10hipError_tPvRmT2_T3_T4_T5_mT6_T7_P12ihipStream_tbENKUlT_T0_E_clISt17integral_constantIbLb0EESY_IbLb1EEEEDaSU_SV_EUlSU_E_NS1_11comp_targetILNS1_3genE2ELNS1_11target_archE906ELNS1_3gpuE6ELNS1_3repE0EEENS1_30default_config_static_selectorELNS0_4arch9wavefront6targetE0EEEvT1_,comdat
	.protected	_ZN7rocprim17ROCPRIM_400000_NS6detail17trampoline_kernelINS0_14default_configENS1_27scan_by_key_config_selectorIssEEZZNS1_16scan_by_key_implILNS1_25lookback_scan_determinismE0ELb1ES3_N6thrust23THRUST_200600_302600_NS6detail15normal_iteratorINS9_10device_ptrIsEEEESE_SE_sNS9_4plusIvEENS9_8equal_toIvEEsEE10hipError_tPvRmT2_T3_T4_T5_mT6_T7_P12ihipStream_tbENKUlT_T0_E_clISt17integral_constantIbLb0EESY_IbLb1EEEEDaSU_SV_EUlSU_E_NS1_11comp_targetILNS1_3genE2ELNS1_11target_archE906ELNS1_3gpuE6ELNS1_3repE0EEENS1_30default_config_static_selectorELNS0_4arch9wavefront6targetE0EEEvT1_ ; -- Begin function _ZN7rocprim17ROCPRIM_400000_NS6detail17trampoline_kernelINS0_14default_configENS1_27scan_by_key_config_selectorIssEEZZNS1_16scan_by_key_implILNS1_25lookback_scan_determinismE0ELb1ES3_N6thrust23THRUST_200600_302600_NS6detail15normal_iteratorINS9_10device_ptrIsEEEESE_SE_sNS9_4plusIvEENS9_8equal_toIvEEsEE10hipError_tPvRmT2_T3_T4_T5_mT6_T7_P12ihipStream_tbENKUlT_T0_E_clISt17integral_constantIbLb0EESY_IbLb1EEEEDaSU_SV_EUlSU_E_NS1_11comp_targetILNS1_3genE2ELNS1_11target_archE906ELNS1_3gpuE6ELNS1_3repE0EEENS1_30default_config_static_selectorELNS0_4arch9wavefront6targetE0EEEvT1_
	.globl	_ZN7rocprim17ROCPRIM_400000_NS6detail17trampoline_kernelINS0_14default_configENS1_27scan_by_key_config_selectorIssEEZZNS1_16scan_by_key_implILNS1_25lookback_scan_determinismE0ELb1ES3_N6thrust23THRUST_200600_302600_NS6detail15normal_iteratorINS9_10device_ptrIsEEEESE_SE_sNS9_4plusIvEENS9_8equal_toIvEEsEE10hipError_tPvRmT2_T3_T4_T5_mT6_T7_P12ihipStream_tbENKUlT_T0_E_clISt17integral_constantIbLb0EESY_IbLb1EEEEDaSU_SV_EUlSU_E_NS1_11comp_targetILNS1_3genE2ELNS1_11target_archE906ELNS1_3gpuE6ELNS1_3repE0EEENS1_30default_config_static_selectorELNS0_4arch9wavefront6targetE0EEEvT1_
	.p2align	8
	.type	_ZN7rocprim17ROCPRIM_400000_NS6detail17trampoline_kernelINS0_14default_configENS1_27scan_by_key_config_selectorIssEEZZNS1_16scan_by_key_implILNS1_25lookback_scan_determinismE0ELb1ES3_N6thrust23THRUST_200600_302600_NS6detail15normal_iteratorINS9_10device_ptrIsEEEESE_SE_sNS9_4plusIvEENS9_8equal_toIvEEsEE10hipError_tPvRmT2_T3_T4_T5_mT6_T7_P12ihipStream_tbENKUlT_T0_E_clISt17integral_constantIbLb0EESY_IbLb1EEEEDaSU_SV_EUlSU_E_NS1_11comp_targetILNS1_3genE2ELNS1_11target_archE906ELNS1_3gpuE6ELNS1_3repE0EEENS1_30default_config_static_selectorELNS0_4arch9wavefront6targetE0EEEvT1_,@function
_ZN7rocprim17ROCPRIM_400000_NS6detail17trampoline_kernelINS0_14default_configENS1_27scan_by_key_config_selectorIssEEZZNS1_16scan_by_key_implILNS1_25lookback_scan_determinismE0ELb1ES3_N6thrust23THRUST_200600_302600_NS6detail15normal_iteratorINS9_10device_ptrIsEEEESE_SE_sNS9_4plusIvEENS9_8equal_toIvEEsEE10hipError_tPvRmT2_T3_T4_T5_mT6_T7_P12ihipStream_tbENKUlT_T0_E_clISt17integral_constantIbLb0EESY_IbLb1EEEEDaSU_SV_EUlSU_E_NS1_11comp_targetILNS1_3genE2ELNS1_11target_archE906ELNS1_3gpuE6ELNS1_3repE0EEENS1_30default_config_static_selectorELNS0_4arch9wavefront6targetE0EEEvT1_: ; @_ZN7rocprim17ROCPRIM_400000_NS6detail17trampoline_kernelINS0_14default_configENS1_27scan_by_key_config_selectorIssEEZZNS1_16scan_by_key_implILNS1_25lookback_scan_determinismE0ELb1ES3_N6thrust23THRUST_200600_302600_NS6detail15normal_iteratorINS9_10device_ptrIsEEEESE_SE_sNS9_4plusIvEENS9_8equal_toIvEEsEE10hipError_tPvRmT2_T3_T4_T5_mT6_T7_P12ihipStream_tbENKUlT_T0_E_clISt17integral_constantIbLb0EESY_IbLb1EEEEDaSU_SV_EUlSU_E_NS1_11comp_targetILNS1_3genE2ELNS1_11target_archE906ELNS1_3gpuE6ELNS1_3repE0EEENS1_30default_config_static_selectorELNS0_4arch9wavefront6targetE0EEEvT1_
; %bb.0:
	.section	.rodata,"a",@progbits
	.p2align	6, 0x0
	.amdhsa_kernel _ZN7rocprim17ROCPRIM_400000_NS6detail17trampoline_kernelINS0_14default_configENS1_27scan_by_key_config_selectorIssEEZZNS1_16scan_by_key_implILNS1_25lookback_scan_determinismE0ELb1ES3_N6thrust23THRUST_200600_302600_NS6detail15normal_iteratorINS9_10device_ptrIsEEEESE_SE_sNS9_4plusIvEENS9_8equal_toIvEEsEE10hipError_tPvRmT2_T3_T4_T5_mT6_T7_P12ihipStream_tbENKUlT_T0_E_clISt17integral_constantIbLb0EESY_IbLb1EEEEDaSU_SV_EUlSU_E_NS1_11comp_targetILNS1_3genE2ELNS1_11target_archE906ELNS1_3gpuE6ELNS1_3repE0EEENS1_30default_config_static_selectorELNS0_4arch9wavefront6targetE0EEEvT1_
		.amdhsa_group_segment_fixed_size 0
		.amdhsa_private_segment_fixed_size 0
		.amdhsa_kernarg_size 112
		.amdhsa_user_sgpr_count 6
		.amdhsa_user_sgpr_private_segment_buffer 1
		.amdhsa_user_sgpr_dispatch_ptr 0
		.amdhsa_user_sgpr_queue_ptr 0
		.amdhsa_user_sgpr_kernarg_segment_ptr 1
		.amdhsa_user_sgpr_dispatch_id 0
		.amdhsa_user_sgpr_flat_scratch_init 0
		.amdhsa_user_sgpr_private_segment_size 0
		.amdhsa_wavefront_size32 1
		.amdhsa_uses_dynamic_stack 0
		.amdhsa_system_sgpr_private_segment_wavefront_offset 0
		.amdhsa_system_sgpr_workgroup_id_x 1
		.amdhsa_system_sgpr_workgroup_id_y 0
		.amdhsa_system_sgpr_workgroup_id_z 0
		.amdhsa_system_sgpr_workgroup_info 0
		.amdhsa_system_vgpr_workitem_id 0
		.amdhsa_next_free_vgpr 1
		.amdhsa_next_free_sgpr 1
		.amdhsa_reserve_vcc 0
		.amdhsa_reserve_flat_scratch 0
		.amdhsa_float_round_mode_32 0
		.amdhsa_float_round_mode_16_64 0
		.amdhsa_float_denorm_mode_32 3
		.amdhsa_float_denorm_mode_16_64 3
		.amdhsa_dx10_clamp 1
		.amdhsa_ieee_mode 1
		.amdhsa_fp16_overflow 0
		.amdhsa_workgroup_processor_mode 1
		.amdhsa_memory_ordered 1
		.amdhsa_forward_progress 1
		.amdhsa_shared_vgpr_count 0
		.amdhsa_exception_fp_ieee_invalid_op 0
		.amdhsa_exception_fp_denorm_src 0
		.amdhsa_exception_fp_ieee_div_zero 0
		.amdhsa_exception_fp_ieee_overflow 0
		.amdhsa_exception_fp_ieee_underflow 0
		.amdhsa_exception_fp_ieee_inexact 0
		.amdhsa_exception_int_div_zero 0
	.end_amdhsa_kernel
	.section	.text._ZN7rocprim17ROCPRIM_400000_NS6detail17trampoline_kernelINS0_14default_configENS1_27scan_by_key_config_selectorIssEEZZNS1_16scan_by_key_implILNS1_25lookback_scan_determinismE0ELb1ES3_N6thrust23THRUST_200600_302600_NS6detail15normal_iteratorINS9_10device_ptrIsEEEESE_SE_sNS9_4plusIvEENS9_8equal_toIvEEsEE10hipError_tPvRmT2_T3_T4_T5_mT6_T7_P12ihipStream_tbENKUlT_T0_E_clISt17integral_constantIbLb0EESY_IbLb1EEEEDaSU_SV_EUlSU_E_NS1_11comp_targetILNS1_3genE2ELNS1_11target_archE906ELNS1_3gpuE6ELNS1_3repE0EEENS1_30default_config_static_selectorELNS0_4arch9wavefront6targetE0EEEvT1_,"axG",@progbits,_ZN7rocprim17ROCPRIM_400000_NS6detail17trampoline_kernelINS0_14default_configENS1_27scan_by_key_config_selectorIssEEZZNS1_16scan_by_key_implILNS1_25lookback_scan_determinismE0ELb1ES3_N6thrust23THRUST_200600_302600_NS6detail15normal_iteratorINS9_10device_ptrIsEEEESE_SE_sNS9_4plusIvEENS9_8equal_toIvEEsEE10hipError_tPvRmT2_T3_T4_T5_mT6_T7_P12ihipStream_tbENKUlT_T0_E_clISt17integral_constantIbLb0EESY_IbLb1EEEEDaSU_SV_EUlSU_E_NS1_11comp_targetILNS1_3genE2ELNS1_11target_archE906ELNS1_3gpuE6ELNS1_3repE0EEENS1_30default_config_static_selectorELNS0_4arch9wavefront6targetE0EEEvT1_,comdat
.Lfunc_end601:
	.size	_ZN7rocprim17ROCPRIM_400000_NS6detail17trampoline_kernelINS0_14default_configENS1_27scan_by_key_config_selectorIssEEZZNS1_16scan_by_key_implILNS1_25lookback_scan_determinismE0ELb1ES3_N6thrust23THRUST_200600_302600_NS6detail15normal_iteratorINS9_10device_ptrIsEEEESE_SE_sNS9_4plusIvEENS9_8equal_toIvEEsEE10hipError_tPvRmT2_T3_T4_T5_mT6_T7_P12ihipStream_tbENKUlT_T0_E_clISt17integral_constantIbLb0EESY_IbLb1EEEEDaSU_SV_EUlSU_E_NS1_11comp_targetILNS1_3genE2ELNS1_11target_archE906ELNS1_3gpuE6ELNS1_3repE0EEENS1_30default_config_static_selectorELNS0_4arch9wavefront6targetE0EEEvT1_, .Lfunc_end601-_ZN7rocprim17ROCPRIM_400000_NS6detail17trampoline_kernelINS0_14default_configENS1_27scan_by_key_config_selectorIssEEZZNS1_16scan_by_key_implILNS1_25lookback_scan_determinismE0ELb1ES3_N6thrust23THRUST_200600_302600_NS6detail15normal_iteratorINS9_10device_ptrIsEEEESE_SE_sNS9_4plusIvEENS9_8equal_toIvEEsEE10hipError_tPvRmT2_T3_T4_T5_mT6_T7_P12ihipStream_tbENKUlT_T0_E_clISt17integral_constantIbLb0EESY_IbLb1EEEEDaSU_SV_EUlSU_E_NS1_11comp_targetILNS1_3genE2ELNS1_11target_archE906ELNS1_3gpuE6ELNS1_3repE0EEENS1_30default_config_static_selectorELNS0_4arch9wavefront6targetE0EEEvT1_
                                        ; -- End function
	.set _ZN7rocprim17ROCPRIM_400000_NS6detail17trampoline_kernelINS0_14default_configENS1_27scan_by_key_config_selectorIssEEZZNS1_16scan_by_key_implILNS1_25lookback_scan_determinismE0ELb1ES3_N6thrust23THRUST_200600_302600_NS6detail15normal_iteratorINS9_10device_ptrIsEEEESE_SE_sNS9_4plusIvEENS9_8equal_toIvEEsEE10hipError_tPvRmT2_T3_T4_T5_mT6_T7_P12ihipStream_tbENKUlT_T0_E_clISt17integral_constantIbLb0EESY_IbLb1EEEEDaSU_SV_EUlSU_E_NS1_11comp_targetILNS1_3genE2ELNS1_11target_archE906ELNS1_3gpuE6ELNS1_3repE0EEENS1_30default_config_static_selectorELNS0_4arch9wavefront6targetE0EEEvT1_.num_vgpr, 0
	.set _ZN7rocprim17ROCPRIM_400000_NS6detail17trampoline_kernelINS0_14default_configENS1_27scan_by_key_config_selectorIssEEZZNS1_16scan_by_key_implILNS1_25lookback_scan_determinismE0ELb1ES3_N6thrust23THRUST_200600_302600_NS6detail15normal_iteratorINS9_10device_ptrIsEEEESE_SE_sNS9_4plusIvEENS9_8equal_toIvEEsEE10hipError_tPvRmT2_T3_T4_T5_mT6_T7_P12ihipStream_tbENKUlT_T0_E_clISt17integral_constantIbLb0EESY_IbLb1EEEEDaSU_SV_EUlSU_E_NS1_11comp_targetILNS1_3genE2ELNS1_11target_archE906ELNS1_3gpuE6ELNS1_3repE0EEENS1_30default_config_static_selectorELNS0_4arch9wavefront6targetE0EEEvT1_.num_agpr, 0
	.set _ZN7rocprim17ROCPRIM_400000_NS6detail17trampoline_kernelINS0_14default_configENS1_27scan_by_key_config_selectorIssEEZZNS1_16scan_by_key_implILNS1_25lookback_scan_determinismE0ELb1ES3_N6thrust23THRUST_200600_302600_NS6detail15normal_iteratorINS9_10device_ptrIsEEEESE_SE_sNS9_4plusIvEENS9_8equal_toIvEEsEE10hipError_tPvRmT2_T3_T4_T5_mT6_T7_P12ihipStream_tbENKUlT_T0_E_clISt17integral_constantIbLb0EESY_IbLb1EEEEDaSU_SV_EUlSU_E_NS1_11comp_targetILNS1_3genE2ELNS1_11target_archE906ELNS1_3gpuE6ELNS1_3repE0EEENS1_30default_config_static_selectorELNS0_4arch9wavefront6targetE0EEEvT1_.numbered_sgpr, 0
	.set _ZN7rocprim17ROCPRIM_400000_NS6detail17trampoline_kernelINS0_14default_configENS1_27scan_by_key_config_selectorIssEEZZNS1_16scan_by_key_implILNS1_25lookback_scan_determinismE0ELb1ES3_N6thrust23THRUST_200600_302600_NS6detail15normal_iteratorINS9_10device_ptrIsEEEESE_SE_sNS9_4plusIvEENS9_8equal_toIvEEsEE10hipError_tPvRmT2_T3_T4_T5_mT6_T7_P12ihipStream_tbENKUlT_T0_E_clISt17integral_constantIbLb0EESY_IbLb1EEEEDaSU_SV_EUlSU_E_NS1_11comp_targetILNS1_3genE2ELNS1_11target_archE906ELNS1_3gpuE6ELNS1_3repE0EEENS1_30default_config_static_selectorELNS0_4arch9wavefront6targetE0EEEvT1_.num_named_barrier, 0
	.set _ZN7rocprim17ROCPRIM_400000_NS6detail17trampoline_kernelINS0_14default_configENS1_27scan_by_key_config_selectorIssEEZZNS1_16scan_by_key_implILNS1_25lookback_scan_determinismE0ELb1ES3_N6thrust23THRUST_200600_302600_NS6detail15normal_iteratorINS9_10device_ptrIsEEEESE_SE_sNS9_4plusIvEENS9_8equal_toIvEEsEE10hipError_tPvRmT2_T3_T4_T5_mT6_T7_P12ihipStream_tbENKUlT_T0_E_clISt17integral_constantIbLb0EESY_IbLb1EEEEDaSU_SV_EUlSU_E_NS1_11comp_targetILNS1_3genE2ELNS1_11target_archE906ELNS1_3gpuE6ELNS1_3repE0EEENS1_30default_config_static_selectorELNS0_4arch9wavefront6targetE0EEEvT1_.private_seg_size, 0
	.set _ZN7rocprim17ROCPRIM_400000_NS6detail17trampoline_kernelINS0_14default_configENS1_27scan_by_key_config_selectorIssEEZZNS1_16scan_by_key_implILNS1_25lookback_scan_determinismE0ELb1ES3_N6thrust23THRUST_200600_302600_NS6detail15normal_iteratorINS9_10device_ptrIsEEEESE_SE_sNS9_4plusIvEENS9_8equal_toIvEEsEE10hipError_tPvRmT2_T3_T4_T5_mT6_T7_P12ihipStream_tbENKUlT_T0_E_clISt17integral_constantIbLb0EESY_IbLb1EEEEDaSU_SV_EUlSU_E_NS1_11comp_targetILNS1_3genE2ELNS1_11target_archE906ELNS1_3gpuE6ELNS1_3repE0EEENS1_30default_config_static_selectorELNS0_4arch9wavefront6targetE0EEEvT1_.uses_vcc, 0
	.set _ZN7rocprim17ROCPRIM_400000_NS6detail17trampoline_kernelINS0_14default_configENS1_27scan_by_key_config_selectorIssEEZZNS1_16scan_by_key_implILNS1_25lookback_scan_determinismE0ELb1ES3_N6thrust23THRUST_200600_302600_NS6detail15normal_iteratorINS9_10device_ptrIsEEEESE_SE_sNS9_4plusIvEENS9_8equal_toIvEEsEE10hipError_tPvRmT2_T3_T4_T5_mT6_T7_P12ihipStream_tbENKUlT_T0_E_clISt17integral_constantIbLb0EESY_IbLb1EEEEDaSU_SV_EUlSU_E_NS1_11comp_targetILNS1_3genE2ELNS1_11target_archE906ELNS1_3gpuE6ELNS1_3repE0EEENS1_30default_config_static_selectorELNS0_4arch9wavefront6targetE0EEEvT1_.uses_flat_scratch, 0
	.set _ZN7rocprim17ROCPRIM_400000_NS6detail17trampoline_kernelINS0_14default_configENS1_27scan_by_key_config_selectorIssEEZZNS1_16scan_by_key_implILNS1_25lookback_scan_determinismE0ELb1ES3_N6thrust23THRUST_200600_302600_NS6detail15normal_iteratorINS9_10device_ptrIsEEEESE_SE_sNS9_4plusIvEENS9_8equal_toIvEEsEE10hipError_tPvRmT2_T3_T4_T5_mT6_T7_P12ihipStream_tbENKUlT_T0_E_clISt17integral_constantIbLb0EESY_IbLb1EEEEDaSU_SV_EUlSU_E_NS1_11comp_targetILNS1_3genE2ELNS1_11target_archE906ELNS1_3gpuE6ELNS1_3repE0EEENS1_30default_config_static_selectorELNS0_4arch9wavefront6targetE0EEEvT1_.has_dyn_sized_stack, 0
	.set _ZN7rocprim17ROCPRIM_400000_NS6detail17trampoline_kernelINS0_14default_configENS1_27scan_by_key_config_selectorIssEEZZNS1_16scan_by_key_implILNS1_25lookback_scan_determinismE0ELb1ES3_N6thrust23THRUST_200600_302600_NS6detail15normal_iteratorINS9_10device_ptrIsEEEESE_SE_sNS9_4plusIvEENS9_8equal_toIvEEsEE10hipError_tPvRmT2_T3_T4_T5_mT6_T7_P12ihipStream_tbENKUlT_T0_E_clISt17integral_constantIbLb0EESY_IbLb1EEEEDaSU_SV_EUlSU_E_NS1_11comp_targetILNS1_3genE2ELNS1_11target_archE906ELNS1_3gpuE6ELNS1_3repE0EEENS1_30default_config_static_selectorELNS0_4arch9wavefront6targetE0EEEvT1_.has_recursion, 0
	.set _ZN7rocprim17ROCPRIM_400000_NS6detail17trampoline_kernelINS0_14default_configENS1_27scan_by_key_config_selectorIssEEZZNS1_16scan_by_key_implILNS1_25lookback_scan_determinismE0ELb1ES3_N6thrust23THRUST_200600_302600_NS6detail15normal_iteratorINS9_10device_ptrIsEEEESE_SE_sNS9_4plusIvEENS9_8equal_toIvEEsEE10hipError_tPvRmT2_T3_T4_T5_mT6_T7_P12ihipStream_tbENKUlT_T0_E_clISt17integral_constantIbLb0EESY_IbLb1EEEEDaSU_SV_EUlSU_E_NS1_11comp_targetILNS1_3genE2ELNS1_11target_archE906ELNS1_3gpuE6ELNS1_3repE0EEENS1_30default_config_static_selectorELNS0_4arch9wavefront6targetE0EEEvT1_.has_indirect_call, 0
	.section	.AMDGPU.csdata,"",@progbits
; Kernel info:
; codeLenInByte = 0
; TotalNumSgprs: 0
; NumVgprs: 0
; ScratchSize: 0
; MemoryBound: 0
; FloatMode: 240
; IeeeMode: 1
; LDSByteSize: 0 bytes/workgroup (compile time only)
; SGPRBlocks: 0
; VGPRBlocks: 0
; NumSGPRsForWavesPerEU: 1
; NumVGPRsForWavesPerEU: 1
; Occupancy: 16
; WaveLimiterHint : 0
; COMPUTE_PGM_RSRC2:SCRATCH_EN: 0
; COMPUTE_PGM_RSRC2:USER_SGPR: 6
; COMPUTE_PGM_RSRC2:TRAP_HANDLER: 0
; COMPUTE_PGM_RSRC2:TGID_X_EN: 1
; COMPUTE_PGM_RSRC2:TGID_Y_EN: 0
; COMPUTE_PGM_RSRC2:TGID_Z_EN: 0
; COMPUTE_PGM_RSRC2:TIDIG_COMP_CNT: 0
	.section	.text._ZN7rocprim17ROCPRIM_400000_NS6detail17trampoline_kernelINS0_14default_configENS1_27scan_by_key_config_selectorIssEEZZNS1_16scan_by_key_implILNS1_25lookback_scan_determinismE0ELb1ES3_N6thrust23THRUST_200600_302600_NS6detail15normal_iteratorINS9_10device_ptrIsEEEESE_SE_sNS9_4plusIvEENS9_8equal_toIvEEsEE10hipError_tPvRmT2_T3_T4_T5_mT6_T7_P12ihipStream_tbENKUlT_T0_E_clISt17integral_constantIbLb0EESY_IbLb1EEEEDaSU_SV_EUlSU_E_NS1_11comp_targetILNS1_3genE10ELNS1_11target_archE1200ELNS1_3gpuE4ELNS1_3repE0EEENS1_30default_config_static_selectorELNS0_4arch9wavefront6targetE0EEEvT1_,"axG",@progbits,_ZN7rocprim17ROCPRIM_400000_NS6detail17trampoline_kernelINS0_14default_configENS1_27scan_by_key_config_selectorIssEEZZNS1_16scan_by_key_implILNS1_25lookback_scan_determinismE0ELb1ES3_N6thrust23THRUST_200600_302600_NS6detail15normal_iteratorINS9_10device_ptrIsEEEESE_SE_sNS9_4plusIvEENS9_8equal_toIvEEsEE10hipError_tPvRmT2_T3_T4_T5_mT6_T7_P12ihipStream_tbENKUlT_T0_E_clISt17integral_constantIbLb0EESY_IbLb1EEEEDaSU_SV_EUlSU_E_NS1_11comp_targetILNS1_3genE10ELNS1_11target_archE1200ELNS1_3gpuE4ELNS1_3repE0EEENS1_30default_config_static_selectorELNS0_4arch9wavefront6targetE0EEEvT1_,comdat
	.protected	_ZN7rocprim17ROCPRIM_400000_NS6detail17trampoline_kernelINS0_14default_configENS1_27scan_by_key_config_selectorIssEEZZNS1_16scan_by_key_implILNS1_25lookback_scan_determinismE0ELb1ES3_N6thrust23THRUST_200600_302600_NS6detail15normal_iteratorINS9_10device_ptrIsEEEESE_SE_sNS9_4plusIvEENS9_8equal_toIvEEsEE10hipError_tPvRmT2_T3_T4_T5_mT6_T7_P12ihipStream_tbENKUlT_T0_E_clISt17integral_constantIbLb0EESY_IbLb1EEEEDaSU_SV_EUlSU_E_NS1_11comp_targetILNS1_3genE10ELNS1_11target_archE1200ELNS1_3gpuE4ELNS1_3repE0EEENS1_30default_config_static_selectorELNS0_4arch9wavefront6targetE0EEEvT1_ ; -- Begin function _ZN7rocprim17ROCPRIM_400000_NS6detail17trampoline_kernelINS0_14default_configENS1_27scan_by_key_config_selectorIssEEZZNS1_16scan_by_key_implILNS1_25lookback_scan_determinismE0ELb1ES3_N6thrust23THRUST_200600_302600_NS6detail15normal_iteratorINS9_10device_ptrIsEEEESE_SE_sNS9_4plusIvEENS9_8equal_toIvEEsEE10hipError_tPvRmT2_T3_T4_T5_mT6_T7_P12ihipStream_tbENKUlT_T0_E_clISt17integral_constantIbLb0EESY_IbLb1EEEEDaSU_SV_EUlSU_E_NS1_11comp_targetILNS1_3genE10ELNS1_11target_archE1200ELNS1_3gpuE4ELNS1_3repE0EEENS1_30default_config_static_selectorELNS0_4arch9wavefront6targetE0EEEvT1_
	.globl	_ZN7rocprim17ROCPRIM_400000_NS6detail17trampoline_kernelINS0_14default_configENS1_27scan_by_key_config_selectorIssEEZZNS1_16scan_by_key_implILNS1_25lookback_scan_determinismE0ELb1ES3_N6thrust23THRUST_200600_302600_NS6detail15normal_iteratorINS9_10device_ptrIsEEEESE_SE_sNS9_4plusIvEENS9_8equal_toIvEEsEE10hipError_tPvRmT2_T3_T4_T5_mT6_T7_P12ihipStream_tbENKUlT_T0_E_clISt17integral_constantIbLb0EESY_IbLb1EEEEDaSU_SV_EUlSU_E_NS1_11comp_targetILNS1_3genE10ELNS1_11target_archE1200ELNS1_3gpuE4ELNS1_3repE0EEENS1_30default_config_static_selectorELNS0_4arch9wavefront6targetE0EEEvT1_
	.p2align	8
	.type	_ZN7rocprim17ROCPRIM_400000_NS6detail17trampoline_kernelINS0_14default_configENS1_27scan_by_key_config_selectorIssEEZZNS1_16scan_by_key_implILNS1_25lookback_scan_determinismE0ELb1ES3_N6thrust23THRUST_200600_302600_NS6detail15normal_iteratorINS9_10device_ptrIsEEEESE_SE_sNS9_4plusIvEENS9_8equal_toIvEEsEE10hipError_tPvRmT2_T3_T4_T5_mT6_T7_P12ihipStream_tbENKUlT_T0_E_clISt17integral_constantIbLb0EESY_IbLb1EEEEDaSU_SV_EUlSU_E_NS1_11comp_targetILNS1_3genE10ELNS1_11target_archE1200ELNS1_3gpuE4ELNS1_3repE0EEENS1_30default_config_static_selectorELNS0_4arch9wavefront6targetE0EEEvT1_,@function
_ZN7rocprim17ROCPRIM_400000_NS6detail17trampoline_kernelINS0_14default_configENS1_27scan_by_key_config_selectorIssEEZZNS1_16scan_by_key_implILNS1_25lookback_scan_determinismE0ELb1ES3_N6thrust23THRUST_200600_302600_NS6detail15normal_iteratorINS9_10device_ptrIsEEEESE_SE_sNS9_4plusIvEENS9_8equal_toIvEEsEE10hipError_tPvRmT2_T3_T4_T5_mT6_T7_P12ihipStream_tbENKUlT_T0_E_clISt17integral_constantIbLb0EESY_IbLb1EEEEDaSU_SV_EUlSU_E_NS1_11comp_targetILNS1_3genE10ELNS1_11target_archE1200ELNS1_3gpuE4ELNS1_3repE0EEENS1_30default_config_static_selectorELNS0_4arch9wavefront6targetE0EEEvT1_: ; @_ZN7rocprim17ROCPRIM_400000_NS6detail17trampoline_kernelINS0_14default_configENS1_27scan_by_key_config_selectorIssEEZZNS1_16scan_by_key_implILNS1_25lookback_scan_determinismE0ELb1ES3_N6thrust23THRUST_200600_302600_NS6detail15normal_iteratorINS9_10device_ptrIsEEEESE_SE_sNS9_4plusIvEENS9_8equal_toIvEEsEE10hipError_tPvRmT2_T3_T4_T5_mT6_T7_P12ihipStream_tbENKUlT_T0_E_clISt17integral_constantIbLb0EESY_IbLb1EEEEDaSU_SV_EUlSU_E_NS1_11comp_targetILNS1_3genE10ELNS1_11target_archE1200ELNS1_3gpuE4ELNS1_3repE0EEENS1_30default_config_static_selectorELNS0_4arch9wavefront6targetE0EEEvT1_
; %bb.0:
	.section	.rodata,"a",@progbits
	.p2align	6, 0x0
	.amdhsa_kernel _ZN7rocprim17ROCPRIM_400000_NS6detail17trampoline_kernelINS0_14default_configENS1_27scan_by_key_config_selectorIssEEZZNS1_16scan_by_key_implILNS1_25lookback_scan_determinismE0ELb1ES3_N6thrust23THRUST_200600_302600_NS6detail15normal_iteratorINS9_10device_ptrIsEEEESE_SE_sNS9_4plusIvEENS9_8equal_toIvEEsEE10hipError_tPvRmT2_T3_T4_T5_mT6_T7_P12ihipStream_tbENKUlT_T0_E_clISt17integral_constantIbLb0EESY_IbLb1EEEEDaSU_SV_EUlSU_E_NS1_11comp_targetILNS1_3genE10ELNS1_11target_archE1200ELNS1_3gpuE4ELNS1_3repE0EEENS1_30default_config_static_selectorELNS0_4arch9wavefront6targetE0EEEvT1_
		.amdhsa_group_segment_fixed_size 0
		.amdhsa_private_segment_fixed_size 0
		.amdhsa_kernarg_size 112
		.amdhsa_user_sgpr_count 6
		.amdhsa_user_sgpr_private_segment_buffer 1
		.amdhsa_user_sgpr_dispatch_ptr 0
		.amdhsa_user_sgpr_queue_ptr 0
		.amdhsa_user_sgpr_kernarg_segment_ptr 1
		.amdhsa_user_sgpr_dispatch_id 0
		.amdhsa_user_sgpr_flat_scratch_init 0
		.amdhsa_user_sgpr_private_segment_size 0
		.amdhsa_wavefront_size32 1
		.amdhsa_uses_dynamic_stack 0
		.amdhsa_system_sgpr_private_segment_wavefront_offset 0
		.amdhsa_system_sgpr_workgroup_id_x 1
		.amdhsa_system_sgpr_workgroup_id_y 0
		.amdhsa_system_sgpr_workgroup_id_z 0
		.amdhsa_system_sgpr_workgroup_info 0
		.amdhsa_system_vgpr_workitem_id 0
		.amdhsa_next_free_vgpr 1
		.amdhsa_next_free_sgpr 1
		.amdhsa_reserve_vcc 0
		.amdhsa_reserve_flat_scratch 0
		.amdhsa_float_round_mode_32 0
		.amdhsa_float_round_mode_16_64 0
		.amdhsa_float_denorm_mode_32 3
		.amdhsa_float_denorm_mode_16_64 3
		.amdhsa_dx10_clamp 1
		.amdhsa_ieee_mode 1
		.amdhsa_fp16_overflow 0
		.amdhsa_workgroup_processor_mode 1
		.amdhsa_memory_ordered 1
		.amdhsa_forward_progress 1
		.amdhsa_shared_vgpr_count 0
		.amdhsa_exception_fp_ieee_invalid_op 0
		.amdhsa_exception_fp_denorm_src 0
		.amdhsa_exception_fp_ieee_div_zero 0
		.amdhsa_exception_fp_ieee_overflow 0
		.amdhsa_exception_fp_ieee_underflow 0
		.amdhsa_exception_fp_ieee_inexact 0
		.amdhsa_exception_int_div_zero 0
	.end_amdhsa_kernel
	.section	.text._ZN7rocprim17ROCPRIM_400000_NS6detail17trampoline_kernelINS0_14default_configENS1_27scan_by_key_config_selectorIssEEZZNS1_16scan_by_key_implILNS1_25lookback_scan_determinismE0ELb1ES3_N6thrust23THRUST_200600_302600_NS6detail15normal_iteratorINS9_10device_ptrIsEEEESE_SE_sNS9_4plusIvEENS9_8equal_toIvEEsEE10hipError_tPvRmT2_T3_T4_T5_mT6_T7_P12ihipStream_tbENKUlT_T0_E_clISt17integral_constantIbLb0EESY_IbLb1EEEEDaSU_SV_EUlSU_E_NS1_11comp_targetILNS1_3genE10ELNS1_11target_archE1200ELNS1_3gpuE4ELNS1_3repE0EEENS1_30default_config_static_selectorELNS0_4arch9wavefront6targetE0EEEvT1_,"axG",@progbits,_ZN7rocprim17ROCPRIM_400000_NS6detail17trampoline_kernelINS0_14default_configENS1_27scan_by_key_config_selectorIssEEZZNS1_16scan_by_key_implILNS1_25lookback_scan_determinismE0ELb1ES3_N6thrust23THRUST_200600_302600_NS6detail15normal_iteratorINS9_10device_ptrIsEEEESE_SE_sNS9_4plusIvEENS9_8equal_toIvEEsEE10hipError_tPvRmT2_T3_T4_T5_mT6_T7_P12ihipStream_tbENKUlT_T0_E_clISt17integral_constantIbLb0EESY_IbLb1EEEEDaSU_SV_EUlSU_E_NS1_11comp_targetILNS1_3genE10ELNS1_11target_archE1200ELNS1_3gpuE4ELNS1_3repE0EEENS1_30default_config_static_selectorELNS0_4arch9wavefront6targetE0EEEvT1_,comdat
.Lfunc_end602:
	.size	_ZN7rocprim17ROCPRIM_400000_NS6detail17trampoline_kernelINS0_14default_configENS1_27scan_by_key_config_selectorIssEEZZNS1_16scan_by_key_implILNS1_25lookback_scan_determinismE0ELb1ES3_N6thrust23THRUST_200600_302600_NS6detail15normal_iteratorINS9_10device_ptrIsEEEESE_SE_sNS9_4plusIvEENS9_8equal_toIvEEsEE10hipError_tPvRmT2_T3_T4_T5_mT6_T7_P12ihipStream_tbENKUlT_T0_E_clISt17integral_constantIbLb0EESY_IbLb1EEEEDaSU_SV_EUlSU_E_NS1_11comp_targetILNS1_3genE10ELNS1_11target_archE1200ELNS1_3gpuE4ELNS1_3repE0EEENS1_30default_config_static_selectorELNS0_4arch9wavefront6targetE0EEEvT1_, .Lfunc_end602-_ZN7rocprim17ROCPRIM_400000_NS6detail17trampoline_kernelINS0_14default_configENS1_27scan_by_key_config_selectorIssEEZZNS1_16scan_by_key_implILNS1_25lookback_scan_determinismE0ELb1ES3_N6thrust23THRUST_200600_302600_NS6detail15normal_iteratorINS9_10device_ptrIsEEEESE_SE_sNS9_4plusIvEENS9_8equal_toIvEEsEE10hipError_tPvRmT2_T3_T4_T5_mT6_T7_P12ihipStream_tbENKUlT_T0_E_clISt17integral_constantIbLb0EESY_IbLb1EEEEDaSU_SV_EUlSU_E_NS1_11comp_targetILNS1_3genE10ELNS1_11target_archE1200ELNS1_3gpuE4ELNS1_3repE0EEENS1_30default_config_static_selectorELNS0_4arch9wavefront6targetE0EEEvT1_
                                        ; -- End function
	.set _ZN7rocprim17ROCPRIM_400000_NS6detail17trampoline_kernelINS0_14default_configENS1_27scan_by_key_config_selectorIssEEZZNS1_16scan_by_key_implILNS1_25lookback_scan_determinismE0ELb1ES3_N6thrust23THRUST_200600_302600_NS6detail15normal_iteratorINS9_10device_ptrIsEEEESE_SE_sNS9_4plusIvEENS9_8equal_toIvEEsEE10hipError_tPvRmT2_T3_T4_T5_mT6_T7_P12ihipStream_tbENKUlT_T0_E_clISt17integral_constantIbLb0EESY_IbLb1EEEEDaSU_SV_EUlSU_E_NS1_11comp_targetILNS1_3genE10ELNS1_11target_archE1200ELNS1_3gpuE4ELNS1_3repE0EEENS1_30default_config_static_selectorELNS0_4arch9wavefront6targetE0EEEvT1_.num_vgpr, 0
	.set _ZN7rocprim17ROCPRIM_400000_NS6detail17trampoline_kernelINS0_14default_configENS1_27scan_by_key_config_selectorIssEEZZNS1_16scan_by_key_implILNS1_25lookback_scan_determinismE0ELb1ES3_N6thrust23THRUST_200600_302600_NS6detail15normal_iteratorINS9_10device_ptrIsEEEESE_SE_sNS9_4plusIvEENS9_8equal_toIvEEsEE10hipError_tPvRmT2_T3_T4_T5_mT6_T7_P12ihipStream_tbENKUlT_T0_E_clISt17integral_constantIbLb0EESY_IbLb1EEEEDaSU_SV_EUlSU_E_NS1_11comp_targetILNS1_3genE10ELNS1_11target_archE1200ELNS1_3gpuE4ELNS1_3repE0EEENS1_30default_config_static_selectorELNS0_4arch9wavefront6targetE0EEEvT1_.num_agpr, 0
	.set _ZN7rocprim17ROCPRIM_400000_NS6detail17trampoline_kernelINS0_14default_configENS1_27scan_by_key_config_selectorIssEEZZNS1_16scan_by_key_implILNS1_25lookback_scan_determinismE0ELb1ES3_N6thrust23THRUST_200600_302600_NS6detail15normal_iteratorINS9_10device_ptrIsEEEESE_SE_sNS9_4plusIvEENS9_8equal_toIvEEsEE10hipError_tPvRmT2_T3_T4_T5_mT6_T7_P12ihipStream_tbENKUlT_T0_E_clISt17integral_constantIbLb0EESY_IbLb1EEEEDaSU_SV_EUlSU_E_NS1_11comp_targetILNS1_3genE10ELNS1_11target_archE1200ELNS1_3gpuE4ELNS1_3repE0EEENS1_30default_config_static_selectorELNS0_4arch9wavefront6targetE0EEEvT1_.numbered_sgpr, 0
	.set _ZN7rocprim17ROCPRIM_400000_NS6detail17trampoline_kernelINS0_14default_configENS1_27scan_by_key_config_selectorIssEEZZNS1_16scan_by_key_implILNS1_25lookback_scan_determinismE0ELb1ES3_N6thrust23THRUST_200600_302600_NS6detail15normal_iteratorINS9_10device_ptrIsEEEESE_SE_sNS9_4plusIvEENS9_8equal_toIvEEsEE10hipError_tPvRmT2_T3_T4_T5_mT6_T7_P12ihipStream_tbENKUlT_T0_E_clISt17integral_constantIbLb0EESY_IbLb1EEEEDaSU_SV_EUlSU_E_NS1_11comp_targetILNS1_3genE10ELNS1_11target_archE1200ELNS1_3gpuE4ELNS1_3repE0EEENS1_30default_config_static_selectorELNS0_4arch9wavefront6targetE0EEEvT1_.num_named_barrier, 0
	.set _ZN7rocprim17ROCPRIM_400000_NS6detail17trampoline_kernelINS0_14default_configENS1_27scan_by_key_config_selectorIssEEZZNS1_16scan_by_key_implILNS1_25lookback_scan_determinismE0ELb1ES3_N6thrust23THRUST_200600_302600_NS6detail15normal_iteratorINS9_10device_ptrIsEEEESE_SE_sNS9_4plusIvEENS9_8equal_toIvEEsEE10hipError_tPvRmT2_T3_T4_T5_mT6_T7_P12ihipStream_tbENKUlT_T0_E_clISt17integral_constantIbLb0EESY_IbLb1EEEEDaSU_SV_EUlSU_E_NS1_11comp_targetILNS1_3genE10ELNS1_11target_archE1200ELNS1_3gpuE4ELNS1_3repE0EEENS1_30default_config_static_selectorELNS0_4arch9wavefront6targetE0EEEvT1_.private_seg_size, 0
	.set _ZN7rocprim17ROCPRIM_400000_NS6detail17trampoline_kernelINS0_14default_configENS1_27scan_by_key_config_selectorIssEEZZNS1_16scan_by_key_implILNS1_25lookback_scan_determinismE0ELb1ES3_N6thrust23THRUST_200600_302600_NS6detail15normal_iteratorINS9_10device_ptrIsEEEESE_SE_sNS9_4plusIvEENS9_8equal_toIvEEsEE10hipError_tPvRmT2_T3_T4_T5_mT6_T7_P12ihipStream_tbENKUlT_T0_E_clISt17integral_constantIbLb0EESY_IbLb1EEEEDaSU_SV_EUlSU_E_NS1_11comp_targetILNS1_3genE10ELNS1_11target_archE1200ELNS1_3gpuE4ELNS1_3repE0EEENS1_30default_config_static_selectorELNS0_4arch9wavefront6targetE0EEEvT1_.uses_vcc, 0
	.set _ZN7rocprim17ROCPRIM_400000_NS6detail17trampoline_kernelINS0_14default_configENS1_27scan_by_key_config_selectorIssEEZZNS1_16scan_by_key_implILNS1_25lookback_scan_determinismE0ELb1ES3_N6thrust23THRUST_200600_302600_NS6detail15normal_iteratorINS9_10device_ptrIsEEEESE_SE_sNS9_4plusIvEENS9_8equal_toIvEEsEE10hipError_tPvRmT2_T3_T4_T5_mT6_T7_P12ihipStream_tbENKUlT_T0_E_clISt17integral_constantIbLb0EESY_IbLb1EEEEDaSU_SV_EUlSU_E_NS1_11comp_targetILNS1_3genE10ELNS1_11target_archE1200ELNS1_3gpuE4ELNS1_3repE0EEENS1_30default_config_static_selectorELNS0_4arch9wavefront6targetE0EEEvT1_.uses_flat_scratch, 0
	.set _ZN7rocprim17ROCPRIM_400000_NS6detail17trampoline_kernelINS0_14default_configENS1_27scan_by_key_config_selectorIssEEZZNS1_16scan_by_key_implILNS1_25lookback_scan_determinismE0ELb1ES3_N6thrust23THRUST_200600_302600_NS6detail15normal_iteratorINS9_10device_ptrIsEEEESE_SE_sNS9_4plusIvEENS9_8equal_toIvEEsEE10hipError_tPvRmT2_T3_T4_T5_mT6_T7_P12ihipStream_tbENKUlT_T0_E_clISt17integral_constantIbLb0EESY_IbLb1EEEEDaSU_SV_EUlSU_E_NS1_11comp_targetILNS1_3genE10ELNS1_11target_archE1200ELNS1_3gpuE4ELNS1_3repE0EEENS1_30default_config_static_selectorELNS0_4arch9wavefront6targetE0EEEvT1_.has_dyn_sized_stack, 0
	.set _ZN7rocprim17ROCPRIM_400000_NS6detail17trampoline_kernelINS0_14default_configENS1_27scan_by_key_config_selectorIssEEZZNS1_16scan_by_key_implILNS1_25lookback_scan_determinismE0ELb1ES3_N6thrust23THRUST_200600_302600_NS6detail15normal_iteratorINS9_10device_ptrIsEEEESE_SE_sNS9_4plusIvEENS9_8equal_toIvEEsEE10hipError_tPvRmT2_T3_T4_T5_mT6_T7_P12ihipStream_tbENKUlT_T0_E_clISt17integral_constantIbLb0EESY_IbLb1EEEEDaSU_SV_EUlSU_E_NS1_11comp_targetILNS1_3genE10ELNS1_11target_archE1200ELNS1_3gpuE4ELNS1_3repE0EEENS1_30default_config_static_selectorELNS0_4arch9wavefront6targetE0EEEvT1_.has_recursion, 0
	.set _ZN7rocprim17ROCPRIM_400000_NS6detail17trampoline_kernelINS0_14default_configENS1_27scan_by_key_config_selectorIssEEZZNS1_16scan_by_key_implILNS1_25lookback_scan_determinismE0ELb1ES3_N6thrust23THRUST_200600_302600_NS6detail15normal_iteratorINS9_10device_ptrIsEEEESE_SE_sNS9_4plusIvEENS9_8equal_toIvEEsEE10hipError_tPvRmT2_T3_T4_T5_mT6_T7_P12ihipStream_tbENKUlT_T0_E_clISt17integral_constantIbLb0EESY_IbLb1EEEEDaSU_SV_EUlSU_E_NS1_11comp_targetILNS1_3genE10ELNS1_11target_archE1200ELNS1_3gpuE4ELNS1_3repE0EEENS1_30default_config_static_selectorELNS0_4arch9wavefront6targetE0EEEvT1_.has_indirect_call, 0
	.section	.AMDGPU.csdata,"",@progbits
; Kernel info:
; codeLenInByte = 0
; TotalNumSgprs: 0
; NumVgprs: 0
; ScratchSize: 0
; MemoryBound: 0
; FloatMode: 240
; IeeeMode: 1
; LDSByteSize: 0 bytes/workgroup (compile time only)
; SGPRBlocks: 0
; VGPRBlocks: 0
; NumSGPRsForWavesPerEU: 1
; NumVGPRsForWavesPerEU: 1
; Occupancy: 16
; WaveLimiterHint : 0
; COMPUTE_PGM_RSRC2:SCRATCH_EN: 0
; COMPUTE_PGM_RSRC2:USER_SGPR: 6
; COMPUTE_PGM_RSRC2:TRAP_HANDLER: 0
; COMPUTE_PGM_RSRC2:TGID_X_EN: 1
; COMPUTE_PGM_RSRC2:TGID_Y_EN: 0
; COMPUTE_PGM_RSRC2:TGID_Z_EN: 0
; COMPUTE_PGM_RSRC2:TIDIG_COMP_CNT: 0
	.section	.text._ZN7rocprim17ROCPRIM_400000_NS6detail17trampoline_kernelINS0_14default_configENS1_27scan_by_key_config_selectorIssEEZZNS1_16scan_by_key_implILNS1_25lookback_scan_determinismE0ELb1ES3_N6thrust23THRUST_200600_302600_NS6detail15normal_iteratorINS9_10device_ptrIsEEEESE_SE_sNS9_4plusIvEENS9_8equal_toIvEEsEE10hipError_tPvRmT2_T3_T4_T5_mT6_T7_P12ihipStream_tbENKUlT_T0_E_clISt17integral_constantIbLb0EESY_IbLb1EEEEDaSU_SV_EUlSU_E_NS1_11comp_targetILNS1_3genE9ELNS1_11target_archE1100ELNS1_3gpuE3ELNS1_3repE0EEENS1_30default_config_static_selectorELNS0_4arch9wavefront6targetE0EEEvT1_,"axG",@progbits,_ZN7rocprim17ROCPRIM_400000_NS6detail17trampoline_kernelINS0_14default_configENS1_27scan_by_key_config_selectorIssEEZZNS1_16scan_by_key_implILNS1_25lookback_scan_determinismE0ELb1ES3_N6thrust23THRUST_200600_302600_NS6detail15normal_iteratorINS9_10device_ptrIsEEEESE_SE_sNS9_4plusIvEENS9_8equal_toIvEEsEE10hipError_tPvRmT2_T3_T4_T5_mT6_T7_P12ihipStream_tbENKUlT_T0_E_clISt17integral_constantIbLb0EESY_IbLb1EEEEDaSU_SV_EUlSU_E_NS1_11comp_targetILNS1_3genE9ELNS1_11target_archE1100ELNS1_3gpuE3ELNS1_3repE0EEENS1_30default_config_static_selectorELNS0_4arch9wavefront6targetE0EEEvT1_,comdat
	.protected	_ZN7rocprim17ROCPRIM_400000_NS6detail17trampoline_kernelINS0_14default_configENS1_27scan_by_key_config_selectorIssEEZZNS1_16scan_by_key_implILNS1_25lookback_scan_determinismE0ELb1ES3_N6thrust23THRUST_200600_302600_NS6detail15normal_iteratorINS9_10device_ptrIsEEEESE_SE_sNS9_4plusIvEENS9_8equal_toIvEEsEE10hipError_tPvRmT2_T3_T4_T5_mT6_T7_P12ihipStream_tbENKUlT_T0_E_clISt17integral_constantIbLb0EESY_IbLb1EEEEDaSU_SV_EUlSU_E_NS1_11comp_targetILNS1_3genE9ELNS1_11target_archE1100ELNS1_3gpuE3ELNS1_3repE0EEENS1_30default_config_static_selectorELNS0_4arch9wavefront6targetE0EEEvT1_ ; -- Begin function _ZN7rocprim17ROCPRIM_400000_NS6detail17trampoline_kernelINS0_14default_configENS1_27scan_by_key_config_selectorIssEEZZNS1_16scan_by_key_implILNS1_25lookback_scan_determinismE0ELb1ES3_N6thrust23THRUST_200600_302600_NS6detail15normal_iteratorINS9_10device_ptrIsEEEESE_SE_sNS9_4plusIvEENS9_8equal_toIvEEsEE10hipError_tPvRmT2_T3_T4_T5_mT6_T7_P12ihipStream_tbENKUlT_T0_E_clISt17integral_constantIbLb0EESY_IbLb1EEEEDaSU_SV_EUlSU_E_NS1_11comp_targetILNS1_3genE9ELNS1_11target_archE1100ELNS1_3gpuE3ELNS1_3repE0EEENS1_30default_config_static_selectorELNS0_4arch9wavefront6targetE0EEEvT1_
	.globl	_ZN7rocprim17ROCPRIM_400000_NS6detail17trampoline_kernelINS0_14default_configENS1_27scan_by_key_config_selectorIssEEZZNS1_16scan_by_key_implILNS1_25lookback_scan_determinismE0ELb1ES3_N6thrust23THRUST_200600_302600_NS6detail15normal_iteratorINS9_10device_ptrIsEEEESE_SE_sNS9_4plusIvEENS9_8equal_toIvEEsEE10hipError_tPvRmT2_T3_T4_T5_mT6_T7_P12ihipStream_tbENKUlT_T0_E_clISt17integral_constantIbLb0EESY_IbLb1EEEEDaSU_SV_EUlSU_E_NS1_11comp_targetILNS1_3genE9ELNS1_11target_archE1100ELNS1_3gpuE3ELNS1_3repE0EEENS1_30default_config_static_selectorELNS0_4arch9wavefront6targetE0EEEvT1_
	.p2align	8
	.type	_ZN7rocprim17ROCPRIM_400000_NS6detail17trampoline_kernelINS0_14default_configENS1_27scan_by_key_config_selectorIssEEZZNS1_16scan_by_key_implILNS1_25lookback_scan_determinismE0ELb1ES3_N6thrust23THRUST_200600_302600_NS6detail15normal_iteratorINS9_10device_ptrIsEEEESE_SE_sNS9_4plusIvEENS9_8equal_toIvEEsEE10hipError_tPvRmT2_T3_T4_T5_mT6_T7_P12ihipStream_tbENKUlT_T0_E_clISt17integral_constantIbLb0EESY_IbLb1EEEEDaSU_SV_EUlSU_E_NS1_11comp_targetILNS1_3genE9ELNS1_11target_archE1100ELNS1_3gpuE3ELNS1_3repE0EEENS1_30default_config_static_selectorELNS0_4arch9wavefront6targetE0EEEvT1_,@function
_ZN7rocprim17ROCPRIM_400000_NS6detail17trampoline_kernelINS0_14default_configENS1_27scan_by_key_config_selectorIssEEZZNS1_16scan_by_key_implILNS1_25lookback_scan_determinismE0ELb1ES3_N6thrust23THRUST_200600_302600_NS6detail15normal_iteratorINS9_10device_ptrIsEEEESE_SE_sNS9_4plusIvEENS9_8equal_toIvEEsEE10hipError_tPvRmT2_T3_T4_T5_mT6_T7_P12ihipStream_tbENKUlT_T0_E_clISt17integral_constantIbLb0EESY_IbLb1EEEEDaSU_SV_EUlSU_E_NS1_11comp_targetILNS1_3genE9ELNS1_11target_archE1100ELNS1_3gpuE3ELNS1_3repE0EEENS1_30default_config_static_selectorELNS0_4arch9wavefront6targetE0EEEvT1_: ; @_ZN7rocprim17ROCPRIM_400000_NS6detail17trampoline_kernelINS0_14default_configENS1_27scan_by_key_config_selectorIssEEZZNS1_16scan_by_key_implILNS1_25lookback_scan_determinismE0ELb1ES3_N6thrust23THRUST_200600_302600_NS6detail15normal_iteratorINS9_10device_ptrIsEEEESE_SE_sNS9_4plusIvEENS9_8equal_toIvEEsEE10hipError_tPvRmT2_T3_T4_T5_mT6_T7_P12ihipStream_tbENKUlT_T0_E_clISt17integral_constantIbLb0EESY_IbLb1EEEEDaSU_SV_EUlSU_E_NS1_11comp_targetILNS1_3genE9ELNS1_11target_archE1100ELNS1_3gpuE3ELNS1_3repE0EEENS1_30default_config_static_selectorELNS0_4arch9wavefront6targetE0EEEvT1_
; %bb.0:
	.section	.rodata,"a",@progbits
	.p2align	6, 0x0
	.amdhsa_kernel _ZN7rocprim17ROCPRIM_400000_NS6detail17trampoline_kernelINS0_14default_configENS1_27scan_by_key_config_selectorIssEEZZNS1_16scan_by_key_implILNS1_25lookback_scan_determinismE0ELb1ES3_N6thrust23THRUST_200600_302600_NS6detail15normal_iteratorINS9_10device_ptrIsEEEESE_SE_sNS9_4plusIvEENS9_8equal_toIvEEsEE10hipError_tPvRmT2_T3_T4_T5_mT6_T7_P12ihipStream_tbENKUlT_T0_E_clISt17integral_constantIbLb0EESY_IbLb1EEEEDaSU_SV_EUlSU_E_NS1_11comp_targetILNS1_3genE9ELNS1_11target_archE1100ELNS1_3gpuE3ELNS1_3repE0EEENS1_30default_config_static_selectorELNS0_4arch9wavefront6targetE0EEEvT1_
		.amdhsa_group_segment_fixed_size 0
		.amdhsa_private_segment_fixed_size 0
		.amdhsa_kernarg_size 112
		.amdhsa_user_sgpr_count 6
		.amdhsa_user_sgpr_private_segment_buffer 1
		.amdhsa_user_sgpr_dispatch_ptr 0
		.amdhsa_user_sgpr_queue_ptr 0
		.amdhsa_user_sgpr_kernarg_segment_ptr 1
		.amdhsa_user_sgpr_dispatch_id 0
		.amdhsa_user_sgpr_flat_scratch_init 0
		.amdhsa_user_sgpr_private_segment_size 0
		.amdhsa_wavefront_size32 1
		.amdhsa_uses_dynamic_stack 0
		.amdhsa_system_sgpr_private_segment_wavefront_offset 0
		.amdhsa_system_sgpr_workgroup_id_x 1
		.amdhsa_system_sgpr_workgroup_id_y 0
		.amdhsa_system_sgpr_workgroup_id_z 0
		.amdhsa_system_sgpr_workgroup_info 0
		.amdhsa_system_vgpr_workitem_id 0
		.amdhsa_next_free_vgpr 1
		.amdhsa_next_free_sgpr 1
		.amdhsa_reserve_vcc 0
		.amdhsa_reserve_flat_scratch 0
		.amdhsa_float_round_mode_32 0
		.amdhsa_float_round_mode_16_64 0
		.amdhsa_float_denorm_mode_32 3
		.amdhsa_float_denorm_mode_16_64 3
		.amdhsa_dx10_clamp 1
		.amdhsa_ieee_mode 1
		.amdhsa_fp16_overflow 0
		.amdhsa_workgroup_processor_mode 1
		.amdhsa_memory_ordered 1
		.amdhsa_forward_progress 1
		.amdhsa_shared_vgpr_count 0
		.amdhsa_exception_fp_ieee_invalid_op 0
		.amdhsa_exception_fp_denorm_src 0
		.amdhsa_exception_fp_ieee_div_zero 0
		.amdhsa_exception_fp_ieee_overflow 0
		.amdhsa_exception_fp_ieee_underflow 0
		.amdhsa_exception_fp_ieee_inexact 0
		.amdhsa_exception_int_div_zero 0
	.end_amdhsa_kernel
	.section	.text._ZN7rocprim17ROCPRIM_400000_NS6detail17trampoline_kernelINS0_14default_configENS1_27scan_by_key_config_selectorIssEEZZNS1_16scan_by_key_implILNS1_25lookback_scan_determinismE0ELb1ES3_N6thrust23THRUST_200600_302600_NS6detail15normal_iteratorINS9_10device_ptrIsEEEESE_SE_sNS9_4plusIvEENS9_8equal_toIvEEsEE10hipError_tPvRmT2_T3_T4_T5_mT6_T7_P12ihipStream_tbENKUlT_T0_E_clISt17integral_constantIbLb0EESY_IbLb1EEEEDaSU_SV_EUlSU_E_NS1_11comp_targetILNS1_3genE9ELNS1_11target_archE1100ELNS1_3gpuE3ELNS1_3repE0EEENS1_30default_config_static_selectorELNS0_4arch9wavefront6targetE0EEEvT1_,"axG",@progbits,_ZN7rocprim17ROCPRIM_400000_NS6detail17trampoline_kernelINS0_14default_configENS1_27scan_by_key_config_selectorIssEEZZNS1_16scan_by_key_implILNS1_25lookback_scan_determinismE0ELb1ES3_N6thrust23THRUST_200600_302600_NS6detail15normal_iteratorINS9_10device_ptrIsEEEESE_SE_sNS9_4plusIvEENS9_8equal_toIvEEsEE10hipError_tPvRmT2_T3_T4_T5_mT6_T7_P12ihipStream_tbENKUlT_T0_E_clISt17integral_constantIbLb0EESY_IbLb1EEEEDaSU_SV_EUlSU_E_NS1_11comp_targetILNS1_3genE9ELNS1_11target_archE1100ELNS1_3gpuE3ELNS1_3repE0EEENS1_30default_config_static_selectorELNS0_4arch9wavefront6targetE0EEEvT1_,comdat
.Lfunc_end603:
	.size	_ZN7rocprim17ROCPRIM_400000_NS6detail17trampoline_kernelINS0_14default_configENS1_27scan_by_key_config_selectorIssEEZZNS1_16scan_by_key_implILNS1_25lookback_scan_determinismE0ELb1ES3_N6thrust23THRUST_200600_302600_NS6detail15normal_iteratorINS9_10device_ptrIsEEEESE_SE_sNS9_4plusIvEENS9_8equal_toIvEEsEE10hipError_tPvRmT2_T3_T4_T5_mT6_T7_P12ihipStream_tbENKUlT_T0_E_clISt17integral_constantIbLb0EESY_IbLb1EEEEDaSU_SV_EUlSU_E_NS1_11comp_targetILNS1_3genE9ELNS1_11target_archE1100ELNS1_3gpuE3ELNS1_3repE0EEENS1_30default_config_static_selectorELNS0_4arch9wavefront6targetE0EEEvT1_, .Lfunc_end603-_ZN7rocprim17ROCPRIM_400000_NS6detail17trampoline_kernelINS0_14default_configENS1_27scan_by_key_config_selectorIssEEZZNS1_16scan_by_key_implILNS1_25lookback_scan_determinismE0ELb1ES3_N6thrust23THRUST_200600_302600_NS6detail15normal_iteratorINS9_10device_ptrIsEEEESE_SE_sNS9_4plusIvEENS9_8equal_toIvEEsEE10hipError_tPvRmT2_T3_T4_T5_mT6_T7_P12ihipStream_tbENKUlT_T0_E_clISt17integral_constantIbLb0EESY_IbLb1EEEEDaSU_SV_EUlSU_E_NS1_11comp_targetILNS1_3genE9ELNS1_11target_archE1100ELNS1_3gpuE3ELNS1_3repE0EEENS1_30default_config_static_selectorELNS0_4arch9wavefront6targetE0EEEvT1_
                                        ; -- End function
	.set _ZN7rocprim17ROCPRIM_400000_NS6detail17trampoline_kernelINS0_14default_configENS1_27scan_by_key_config_selectorIssEEZZNS1_16scan_by_key_implILNS1_25lookback_scan_determinismE0ELb1ES3_N6thrust23THRUST_200600_302600_NS6detail15normal_iteratorINS9_10device_ptrIsEEEESE_SE_sNS9_4plusIvEENS9_8equal_toIvEEsEE10hipError_tPvRmT2_T3_T4_T5_mT6_T7_P12ihipStream_tbENKUlT_T0_E_clISt17integral_constantIbLb0EESY_IbLb1EEEEDaSU_SV_EUlSU_E_NS1_11comp_targetILNS1_3genE9ELNS1_11target_archE1100ELNS1_3gpuE3ELNS1_3repE0EEENS1_30default_config_static_selectorELNS0_4arch9wavefront6targetE0EEEvT1_.num_vgpr, 0
	.set _ZN7rocprim17ROCPRIM_400000_NS6detail17trampoline_kernelINS0_14default_configENS1_27scan_by_key_config_selectorIssEEZZNS1_16scan_by_key_implILNS1_25lookback_scan_determinismE0ELb1ES3_N6thrust23THRUST_200600_302600_NS6detail15normal_iteratorINS9_10device_ptrIsEEEESE_SE_sNS9_4plusIvEENS9_8equal_toIvEEsEE10hipError_tPvRmT2_T3_T4_T5_mT6_T7_P12ihipStream_tbENKUlT_T0_E_clISt17integral_constantIbLb0EESY_IbLb1EEEEDaSU_SV_EUlSU_E_NS1_11comp_targetILNS1_3genE9ELNS1_11target_archE1100ELNS1_3gpuE3ELNS1_3repE0EEENS1_30default_config_static_selectorELNS0_4arch9wavefront6targetE0EEEvT1_.num_agpr, 0
	.set _ZN7rocprim17ROCPRIM_400000_NS6detail17trampoline_kernelINS0_14default_configENS1_27scan_by_key_config_selectorIssEEZZNS1_16scan_by_key_implILNS1_25lookback_scan_determinismE0ELb1ES3_N6thrust23THRUST_200600_302600_NS6detail15normal_iteratorINS9_10device_ptrIsEEEESE_SE_sNS9_4plusIvEENS9_8equal_toIvEEsEE10hipError_tPvRmT2_T3_T4_T5_mT6_T7_P12ihipStream_tbENKUlT_T0_E_clISt17integral_constantIbLb0EESY_IbLb1EEEEDaSU_SV_EUlSU_E_NS1_11comp_targetILNS1_3genE9ELNS1_11target_archE1100ELNS1_3gpuE3ELNS1_3repE0EEENS1_30default_config_static_selectorELNS0_4arch9wavefront6targetE0EEEvT1_.numbered_sgpr, 0
	.set _ZN7rocprim17ROCPRIM_400000_NS6detail17trampoline_kernelINS0_14default_configENS1_27scan_by_key_config_selectorIssEEZZNS1_16scan_by_key_implILNS1_25lookback_scan_determinismE0ELb1ES3_N6thrust23THRUST_200600_302600_NS6detail15normal_iteratorINS9_10device_ptrIsEEEESE_SE_sNS9_4plusIvEENS9_8equal_toIvEEsEE10hipError_tPvRmT2_T3_T4_T5_mT6_T7_P12ihipStream_tbENKUlT_T0_E_clISt17integral_constantIbLb0EESY_IbLb1EEEEDaSU_SV_EUlSU_E_NS1_11comp_targetILNS1_3genE9ELNS1_11target_archE1100ELNS1_3gpuE3ELNS1_3repE0EEENS1_30default_config_static_selectorELNS0_4arch9wavefront6targetE0EEEvT1_.num_named_barrier, 0
	.set _ZN7rocprim17ROCPRIM_400000_NS6detail17trampoline_kernelINS0_14default_configENS1_27scan_by_key_config_selectorIssEEZZNS1_16scan_by_key_implILNS1_25lookback_scan_determinismE0ELb1ES3_N6thrust23THRUST_200600_302600_NS6detail15normal_iteratorINS9_10device_ptrIsEEEESE_SE_sNS9_4plusIvEENS9_8equal_toIvEEsEE10hipError_tPvRmT2_T3_T4_T5_mT6_T7_P12ihipStream_tbENKUlT_T0_E_clISt17integral_constantIbLb0EESY_IbLb1EEEEDaSU_SV_EUlSU_E_NS1_11comp_targetILNS1_3genE9ELNS1_11target_archE1100ELNS1_3gpuE3ELNS1_3repE0EEENS1_30default_config_static_selectorELNS0_4arch9wavefront6targetE0EEEvT1_.private_seg_size, 0
	.set _ZN7rocprim17ROCPRIM_400000_NS6detail17trampoline_kernelINS0_14default_configENS1_27scan_by_key_config_selectorIssEEZZNS1_16scan_by_key_implILNS1_25lookback_scan_determinismE0ELb1ES3_N6thrust23THRUST_200600_302600_NS6detail15normal_iteratorINS9_10device_ptrIsEEEESE_SE_sNS9_4plusIvEENS9_8equal_toIvEEsEE10hipError_tPvRmT2_T3_T4_T5_mT6_T7_P12ihipStream_tbENKUlT_T0_E_clISt17integral_constantIbLb0EESY_IbLb1EEEEDaSU_SV_EUlSU_E_NS1_11comp_targetILNS1_3genE9ELNS1_11target_archE1100ELNS1_3gpuE3ELNS1_3repE0EEENS1_30default_config_static_selectorELNS0_4arch9wavefront6targetE0EEEvT1_.uses_vcc, 0
	.set _ZN7rocprim17ROCPRIM_400000_NS6detail17trampoline_kernelINS0_14default_configENS1_27scan_by_key_config_selectorIssEEZZNS1_16scan_by_key_implILNS1_25lookback_scan_determinismE0ELb1ES3_N6thrust23THRUST_200600_302600_NS6detail15normal_iteratorINS9_10device_ptrIsEEEESE_SE_sNS9_4plusIvEENS9_8equal_toIvEEsEE10hipError_tPvRmT2_T3_T4_T5_mT6_T7_P12ihipStream_tbENKUlT_T0_E_clISt17integral_constantIbLb0EESY_IbLb1EEEEDaSU_SV_EUlSU_E_NS1_11comp_targetILNS1_3genE9ELNS1_11target_archE1100ELNS1_3gpuE3ELNS1_3repE0EEENS1_30default_config_static_selectorELNS0_4arch9wavefront6targetE0EEEvT1_.uses_flat_scratch, 0
	.set _ZN7rocprim17ROCPRIM_400000_NS6detail17trampoline_kernelINS0_14default_configENS1_27scan_by_key_config_selectorIssEEZZNS1_16scan_by_key_implILNS1_25lookback_scan_determinismE0ELb1ES3_N6thrust23THRUST_200600_302600_NS6detail15normal_iteratorINS9_10device_ptrIsEEEESE_SE_sNS9_4plusIvEENS9_8equal_toIvEEsEE10hipError_tPvRmT2_T3_T4_T5_mT6_T7_P12ihipStream_tbENKUlT_T0_E_clISt17integral_constantIbLb0EESY_IbLb1EEEEDaSU_SV_EUlSU_E_NS1_11comp_targetILNS1_3genE9ELNS1_11target_archE1100ELNS1_3gpuE3ELNS1_3repE0EEENS1_30default_config_static_selectorELNS0_4arch9wavefront6targetE0EEEvT1_.has_dyn_sized_stack, 0
	.set _ZN7rocprim17ROCPRIM_400000_NS6detail17trampoline_kernelINS0_14default_configENS1_27scan_by_key_config_selectorIssEEZZNS1_16scan_by_key_implILNS1_25lookback_scan_determinismE0ELb1ES3_N6thrust23THRUST_200600_302600_NS6detail15normal_iteratorINS9_10device_ptrIsEEEESE_SE_sNS9_4plusIvEENS9_8equal_toIvEEsEE10hipError_tPvRmT2_T3_T4_T5_mT6_T7_P12ihipStream_tbENKUlT_T0_E_clISt17integral_constantIbLb0EESY_IbLb1EEEEDaSU_SV_EUlSU_E_NS1_11comp_targetILNS1_3genE9ELNS1_11target_archE1100ELNS1_3gpuE3ELNS1_3repE0EEENS1_30default_config_static_selectorELNS0_4arch9wavefront6targetE0EEEvT1_.has_recursion, 0
	.set _ZN7rocprim17ROCPRIM_400000_NS6detail17trampoline_kernelINS0_14default_configENS1_27scan_by_key_config_selectorIssEEZZNS1_16scan_by_key_implILNS1_25lookback_scan_determinismE0ELb1ES3_N6thrust23THRUST_200600_302600_NS6detail15normal_iteratorINS9_10device_ptrIsEEEESE_SE_sNS9_4plusIvEENS9_8equal_toIvEEsEE10hipError_tPvRmT2_T3_T4_T5_mT6_T7_P12ihipStream_tbENKUlT_T0_E_clISt17integral_constantIbLb0EESY_IbLb1EEEEDaSU_SV_EUlSU_E_NS1_11comp_targetILNS1_3genE9ELNS1_11target_archE1100ELNS1_3gpuE3ELNS1_3repE0EEENS1_30default_config_static_selectorELNS0_4arch9wavefront6targetE0EEEvT1_.has_indirect_call, 0
	.section	.AMDGPU.csdata,"",@progbits
; Kernel info:
; codeLenInByte = 0
; TotalNumSgprs: 0
; NumVgprs: 0
; ScratchSize: 0
; MemoryBound: 0
; FloatMode: 240
; IeeeMode: 1
; LDSByteSize: 0 bytes/workgroup (compile time only)
; SGPRBlocks: 0
; VGPRBlocks: 0
; NumSGPRsForWavesPerEU: 1
; NumVGPRsForWavesPerEU: 1
; Occupancy: 16
; WaveLimiterHint : 0
; COMPUTE_PGM_RSRC2:SCRATCH_EN: 0
; COMPUTE_PGM_RSRC2:USER_SGPR: 6
; COMPUTE_PGM_RSRC2:TRAP_HANDLER: 0
; COMPUTE_PGM_RSRC2:TGID_X_EN: 1
; COMPUTE_PGM_RSRC2:TGID_Y_EN: 0
; COMPUTE_PGM_RSRC2:TGID_Z_EN: 0
; COMPUTE_PGM_RSRC2:TIDIG_COMP_CNT: 0
	.section	.text._ZN7rocprim17ROCPRIM_400000_NS6detail17trampoline_kernelINS0_14default_configENS1_27scan_by_key_config_selectorIssEEZZNS1_16scan_by_key_implILNS1_25lookback_scan_determinismE0ELb1ES3_N6thrust23THRUST_200600_302600_NS6detail15normal_iteratorINS9_10device_ptrIsEEEESE_SE_sNS9_4plusIvEENS9_8equal_toIvEEsEE10hipError_tPvRmT2_T3_T4_T5_mT6_T7_P12ihipStream_tbENKUlT_T0_E_clISt17integral_constantIbLb0EESY_IbLb1EEEEDaSU_SV_EUlSU_E_NS1_11comp_targetILNS1_3genE8ELNS1_11target_archE1030ELNS1_3gpuE2ELNS1_3repE0EEENS1_30default_config_static_selectorELNS0_4arch9wavefront6targetE0EEEvT1_,"axG",@progbits,_ZN7rocprim17ROCPRIM_400000_NS6detail17trampoline_kernelINS0_14default_configENS1_27scan_by_key_config_selectorIssEEZZNS1_16scan_by_key_implILNS1_25lookback_scan_determinismE0ELb1ES3_N6thrust23THRUST_200600_302600_NS6detail15normal_iteratorINS9_10device_ptrIsEEEESE_SE_sNS9_4plusIvEENS9_8equal_toIvEEsEE10hipError_tPvRmT2_T3_T4_T5_mT6_T7_P12ihipStream_tbENKUlT_T0_E_clISt17integral_constantIbLb0EESY_IbLb1EEEEDaSU_SV_EUlSU_E_NS1_11comp_targetILNS1_3genE8ELNS1_11target_archE1030ELNS1_3gpuE2ELNS1_3repE0EEENS1_30default_config_static_selectorELNS0_4arch9wavefront6targetE0EEEvT1_,comdat
	.protected	_ZN7rocprim17ROCPRIM_400000_NS6detail17trampoline_kernelINS0_14default_configENS1_27scan_by_key_config_selectorIssEEZZNS1_16scan_by_key_implILNS1_25lookback_scan_determinismE0ELb1ES3_N6thrust23THRUST_200600_302600_NS6detail15normal_iteratorINS9_10device_ptrIsEEEESE_SE_sNS9_4plusIvEENS9_8equal_toIvEEsEE10hipError_tPvRmT2_T3_T4_T5_mT6_T7_P12ihipStream_tbENKUlT_T0_E_clISt17integral_constantIbLb0EESY_IbLb1EEEEDaSU_SV_EUlSU_E_NS1_11comp_targetILNS1_3genE8ELNS1_11target_archE1030ELNS1_3gpuE2ELNS1_3repE0EEENS1_30default_config_static_selectorELNS0_4arch9wavefront6targetE0EEEvT1_ ; -- Begin function _ZN7rocprim17ROCPRIM_400000_NS6detail17trampoline_kernelINS0_14default_configENS1_27scan_by_key_config_selectorIssEEZZNS1_16scan_by_key_implILNS1_25lookback_scan_determinismE0ELb1ES3_N6thrust23THRUST_200600_302600_NS6detail15normal_iteratorINS9_10device_ptrIsEEEESE_SE_sNS9_4plusIvEENS9_8equal_toIvEEsEE10hipError_tPvRmT2_T3_T4_T5_mT6_T7_P12ihipStream_tbENKUlT_T0_E_clISt17integral_constantIbLb0EESY_IbLb1EEEEDaSU_SV_EUlSU_E_NS1_11comp_targetILNS1_3genE8ELNS1_11target_archE1030ELNS1_3gpuE2ELNS1_3repE0EEENS1_30default_config_static_selectorELNS0_4arch9wavefront6targetE0EEEvT1_
	.globl	_ZN7rocprim17ROCPRIM_400000_NS6detail17trampoline_kernelINS0_14default_configENS1_27scan_by_key_config_selectorIssEEZZNS1_16scan_by_key_implILNS1_25lookback_scan_determinismE0ELb1ES3_N6thrust23THRUST_200600_302600_NS6detail15normal_iteratorINS9_10device_ptrIsEEEESE_SE_sNS9_4plusIvEENS9_8equal_toIvEEsEE10hipError_tPvRmT2_T3_T4_T5_mT6_T7_P12ihipStream_tbENKUlT_T0_E_clISt17integral_constantIbLb0EESY_IbLb1EEEEDaSU_SV_EUlSU_E_NS1_11comp_targetILNS1_3genE8ELNS1_11target_archE1030ELNS1_3gpuE2ELNS1_3repE0EEENS1_30default_config_static_selectorELNS0_4arch9wavefront6targetE0EEEvT1_
	.p2align	8
	.type	_ZN7rocprim17ROCPRIM_400000_NS6detail17trampoline_kernelINS0_14default_configENS1_27scan_by_key_config_selectorIssEEZZNS1_16scan_by_key_implILNS1_25lookback_scan_determinismE0ELb1ES3_N6thrust23THRUST_200600_302600_NS6detail15normal_iteratorINS9_10device_ptrIsEEEESE_SE_sNS9_4plusIvEENS9_8equal_toIvEEsEE10hipError_tPvRmT2_T3_T4_T5_mT6_T7_P12ihipStream_tbENKUlT_T0_E_clISt17integral_constantIbLb0EESY_IbLb1EEEEDaSU_SV_EUlSU_E_NS1_11comp_targetILNS1_3genE8ELNS1_11target_archE1030ELNS1_3gpuE2ELNS1_3repE0EEENS1_30default_config_static_selectorELNS0_4arch9wavefront6targetE0EEEvT1_,@function
_ZN7rocprim17ROCPRIM_400000_NS6detail17trampoline_kernelINS0_14default_configENS1_27scan_by_key_config_selectorIssEEZZNS1_16scan_by_key_implILNS1_25lookback_scan_determinismE0ELb1ES3_N6thrust23THRUST_200600_302600_NS6detail15normal_iteratorINS9_10device_ptrIsEEEESE_SE_sNS9_4plusIvEENS9_8equal_toIvEEsEE10hipError_tPvRmT2_T3_T4_T5_mT6_T7_P12ihipStream_tbENKUlT_T0_E_clISt17integral_constantIbLb0EESY_IbLb1EEEEDaSU_SV_EUlSU_E_NS1_11comp_targetILNS1_3genE8ELNS1_11target_archE1030ELNS1_3gpuE2ELNS1_3repE0EEENS1_30default_config_static_selectorELNS0_4arch9wavefront6targetE0EEEvT1_: ; @_ZN7rocprim17ROCPRIM_400000_NS6detail17trampoline_kernelINS0_14default_configENS1_27scan_by_key_config_selectorIssEEZZNS1_16scan_by_key_implILNS1_25lookback_scan_determinismE0ELb1ES3_N6thrust23THRUST_200600_302600_NS6detail15normal_iteratorINS9_10device_ptrIsEEEESE_SE_sNS9_4plusIvEENS9_8equal_toIvEEsEE10hipError_tPvRmT2_T3_T4_T5_mT6_T7_P12ihipStream_tbENKUlT_T0_E_clISt17integral_constantIbLb0EESY_IbLb1EEEEDaSU_SV_EUlSU_E_NS1_11comp_targetILNS1_3genE8ELNS1_11target_archE1030ELNS1_3gpuE2ELNS1_3repE0EEENS1_30default_config_static_selectorELNS0_4arch9wavefront6targetE0EEEvT1_
; %bb.0:
	s_clause 0x2
	s_load_dword s28, s[4:5], 0x20
	s_load_dwordx4 s[16:19], s[4:5], 0x28
	s_load_dwordx2 s[26:27], s[4:5], 0x38
	v_cmp_ne_u32_e64 s1, 0, v0
	v_cmp_eq_u32_e64 s0, 0, v0
	s_and_saveexec_b32 s2, s0
	s_cbranch_execz .LBB604_4
; %bb.1:
	s_mov_b32 s6, exec_lo
	s_mov_b32 s3, exec_lo
	v_mbcnt_lo_u32_b32 v1, s6, 0
                                        ; implicit-def: $vgpr2
	v_cmpx_eq_u32_e32 0, v1
	s_cbranch_execz .LBB604_3
; %bb.2:
	s_load_dwordx2 s[8:9], s[4:5], 0x68
	s_bcnt1_i32_b32 s6, s6
	v_mov_b32_e32 v2, 0
	v_mov_b32_e32 v3, s6
	s_waitcnt lgkmcnt(0)
	global_atomic_add v2, v2, v3, s[8:9] glc
.LBB604_3:
	s_or_b32 exec_lo, exec_lo, s3
	s_waitcnt vmcnt(0)
	v_readfirstlane_b32 s3, v2
	v_mov_b32_e32 v2, 0
	v_add_nc_u32_e32 v1, s3, v1
	ds_write_b32 v2, v1
.LBB604_4:
	s_or_b32 exec_lo, exec_lo, s2
	v_mov_b32_e32 v2, 0
	s_clause 0x2
	s_load_dwordx8 s[8:15], s[4:5], 0x0
	s_load_dword s2, s[4:5], 0x40
	s_load_dwordx4 s[20:23], s[4:5], 0x48
	s_waitcnt lgkmcnt(0)
	s_barrier
	buffer_gl0_inv
	ds_read_b32 v5, v2
	s_waitcnt lgkmcnt(0)
	s_barrier
	buffer_gl0_inv
	s_barrier
	buffer_gl0_inv
	s_lshl_b64 s[24:25], s[10:11], 1
	s_mul_i32 s3, s27, s2
	s_add_u32 s6, s8, s24
	s_mul_hi_u32 s4, s26, s2
	s_mul_i32 s2, s26, s2
	s_addc_u32 s7, s9, s25
	v_mul_lo_u32 v1, 0x280, v5
	s_add_u32 s8, s12, s24
	s_addc_u32 s9, s13, s25
	s_add_i32 s4, s4, s3
	v_add_co_u32 v3, s2, s2, v5
	v_add_co_ci_u32_e64 v4, null, s4, 0, s2
	v_lshlrev_b64 v[9:10], 1, v[1:2]
	s_add_u32 s4, s20, -1
	s_addc_u32 s5, s21, -1
	v_readfirstlane_b32 s20, v5
	v_cmp_le_u64_e64 s2, s[4:5], v[3:4]
	s_mul_i32 s19, s4, 0xfffffd80
	v_add_co_u32 v11, vcc_lo, s6, v9
	v_add_co_ci_u32_e64 v12, null, s7, v10, vcc_lo
	v_add_co_u32 v26, vcc_lo, s8, v9
	v_add_co_ci_u32_e64 v27, null, s9, v10, vcc_lo
	s_and_b32 vcc_lo, exec_lo, s2
	s_cbranch_vccz .LBB604_59
; %bb.5:
	flat_load_ushort v1, v[11:12]
	s_add_i32 s13, s19, s18
	v_cmp_gt_u32_e64 s11, s13, v0
	s_waitcnt vmcnt(0) lgkmcnt(0)
	v_mov_b32_e32 v2, v1
	s_and_saveexec_b32 s3, s11
	s_cbranch_execz .LBB604_7
; %bb.6:
	v_lshlrev_b32_e32 v2, 1, v0
	v_add_co_u32 v2, vcc_lo, v11, v2
	v_add_co_ci_u32_e64 v3, null, 0, v12, vcc_lo
	flat_load_ushort v2, v[2:3]
.LBB604_7:
	s_or_b32 exec_lo, exec_lo, s3
	v_or_b32_e32 v3, 64, v0
	v_cmp_gt_u32_e64 s10, s13, v3
	v_mov_b32_e32 v3, v1
	s_and_saveexec_b32 s3, s10
	s_cbranch_execz .LBB604_9
; %bb.8:
	v_lshlrev_b32_e32 v3, 1, v0
	v_add_co_u32 v3, vcc_lo, v11, v3
	v_add_co_ci_u32_e64 v4, null, 0, v12, vcc_lo
	flat_load_ushort v3, v[3:4] offset:128
.LBB604_9:
	s_or_b32 exec_lo, exec_lo, s3
	v_or_b32_e32 v4, 0x80, v0
	v_cmp_gt_u32_e64 s9, s13, v4
	v_mov_b32_e32 v4, v1
	s_and_saveexec_b32 s3, s9
	s_cbranch_execz .LBB604_11
; %bb.10:
	v_lshlrev_b32_e32 v4, 1, v0
	v_add_co_u32 v4, vcc_lo, v11, v4
	v_add_co_ci_u32_e64 v5, null, 0, v12, vcc_lo
	flat_load_ushort v4, v[4:5] offset:256
.LBB604_11:
	;; [unrolled: 12-line block ×8, first 2 shown]
	s_or_b32 exec_lo, exec_lo, s12
	v_or_b32_e32 v15, 0x240, v0
	v_cmp_le_u32_e64 s12, s13, v15
	v_cmp_gt_u32_e32 vcc_lo, s13, v15
	s_and_saveexec_b32 s21, s12
	s_xor_b32 s12, exec_lo, s21
	s_andn2_saveexec_b32 s21, s12
	s_cbranch_execz .LBB604_25
; %bb.24:
	v_lshlrev_b32_e32 v1, 1, v0
	v_add_co_u32 v15, s12, v11, v1
	v_add_co_ci_u32_e64 v16, null, 0, v12, s12
	flat_load_ushort v1, v[15:16] offset:1152
.LBB604_25:
	s_or_b32 exec_lo, exec_lo, s21
	v_lshlrev_b32_e32 v17, 1, v0
	s_mov_b32 s21, exec_lo
	s_waitcnt vmcnt(0) lgkmcnt(0)
	ds_write_b16 v17, v2
	ds_write_b16 v17, v3 offset:128
	ds_write_b16 v17, v4 offset:256
	;; [unrolled: 1-line block ×9, first 2 shown]
	s_waitcnt lgkmcnt(0)
	s_barrier
	buffer_gl0_inv
	flat_load_ushort v29, v[11:12]
	v_mad_u32_u24 v28, v0, 18, v17
	ds_read2_b32 v[15:16], v28 offset1:1
	ds_read2_b32 v[13:14], v28 offset0:2 offset1:3
	ds_read_b32 v30, v28 offset:16
	v_mad_i32_i24 v1, 0xffffffee, v0, v28
	s_waitcnt lgkmcnt(2)
	ds_write_b16 v1, v15 offset:1408
	s_waitcnt vmcnt(0) lgkmcnt(0)
	s_barrier
	buffer_gl0_inv
	v_cmpx_ne_u32_e32 63, v0
; %bb.26:
	v_mul_i32_i24_e32 v1, 0xffffffee, v0
	v_add_nc_u32_e32 v1, v28, v1
	ds_read_u16 v29, v1 offset:1410
; %bb.27:
	s_or_b32 exec_lo, exec_lo, s21
	v_mov_b32_e32 v1, 0
	v_lshlrev_b32_e32 v18, 1, v0
	s_waitcnt lgkmcnt(0)
	s_barrier
	buffer_gl0_inv
	v_mov_b32_e32 v2, v1
	v_mov_b32_e32 v3, v1
	;; [unrolled: 1-line block ×4, first 2 shown]
	s_and_saveexec_b32 s12, s11
	s_cbranch_execnz .LBB604_185
; %bb.28:
	s_or_b32 exec_lo, exec_lo, s12
	s_and_saveexec_b32 s11, s10
	s_cbranch_execnz .LBB604_186
.LBB604_29:
	s_or_b32 exec_lo, exec_lo, s11
	s_and_saveexec_b32 s10, s9
	s_cbranch_execnz .LBB604_187
.LBB604_30:
	s_or_b32 exec_lo, exec_lo, s10
	s_and_saveexec_b32 s9, s8
	s_cbranch_execnz .LBB604_188
.LBB604_31:
	s_or_b32 exec_lo, exec_lo, s9
	s_and_saveexec_b32 s8, s7
	s_cbranch_execnz .LBB604_189
.LBB604_32:
	s_or_b32 exec_lo, exec_lo, s8
	s_and_saveexec_b32 s7, s6
	s_cbranch_execnz .LBB604_190
.LBB604_33:
	s_or_b32 exec_lo, exec_lo, s7
	s_and_saveexec_b32 s6, s5
	s_cbranch_execnz .LBB604_191
.LBB604_34:
	s_or_b32 exec_lo, exec_lo, s6
	s_and_saveexec_b32 s5, s4
	s_cbranch_execnz .LBB604_192
.LBB604_35:
	s_or_b32 exec_lo, exec_lo, s5
	s_and_saveexec_b32 s4, s3
	s_cbranch_execnz .LBB604_193
.LBB604_36:
	s_or_b32 exec_lo, exec_lo, s4
	v_mul_u32_u24_e32 v35, 10, v0
	s_and_saveexec_b32 s3, vcc_lo
	s_cbranch_execz .LBB604_38
.LBB604_37:
	v_add_co_u32 v6, vcc_lo, v26, v18
	v_add_co_ci_u32_e64 v7, null, 0, v27, vcc_lo
	s_waitcnt vmcnt(0) lgkmcnt(0)
	flat_load_short_d16_hi v5, v[6:7] offset:1152
.LBB604_38:
	s_or_b32 exec_lo, exec_lo, s3
	s_waitcnt vmcnt(0) lgkmcnt(0)
	ds_write_b16 v17, v1
	ds_write_b16_d16_hi v17, v1 offset:128
	ds_write_b16 v17, v2 offset:256
	ds_write_b16_d16_hi v17, v2 offset:384
	ds_write_b16 v17, v3 offset:512
	;; [unrolled: 2-line block ×4, first 2 shown]
	ds_write_b16_d16_hi v17, v5 offset:1152
	v_cmp_gt_u32_e32 vcc_lo, s13, v35
	v_mov_b32_e32 v23, 0
	v_mov_b32_e32 v1, 0
	;; [unrolled: 1-line block ×17, first 2 shown]
	s_mov_b32 s4, 0
	s_mov_b32 s3, 0
	s_waitcnt lgkmcnt(0)
	s_barrier
	buffer_gl0_inv
                                        ; implicit-def: $sgpr6
                                        ; implicit-def: $vgpr8
	s_and_saveexec_b32 s5, vcc_lo
	s_cbranch_execz .LBB604_58
; %bb.39:
	ds_read_u16 v2, v28
	v_cmp_eq_u16_sdwa vcc_lo, v15, v15 src0_sel:DWORD src1_sel:WORD_1
	v_mov_b32_e32 v1, 0
	v_or_b32_e32 v3, 1, v35
	v_mov_b32_e32 v34, 0
	v_mov_b32_e32 v33, 0
	;; [unrolled: 1-line block ×13, first 2 shown]
	v_cndmask_b32_e64 v25, 0x10000, 0, vcc_lo
	v_mov_b32_e32 v17, 0
	s_mov_b32 s8, 0
	s_waitcnt lgkmcnt(0)
	v_cndmask_b32_e32 v23, s28, v2, vcc_lo
	s_mov_b32 s7, exec_lo
                                        ; implicit-def: $sgpr6
                                        ; implicit-def: $vgpr8
	v_cmpx_gt_u32_e64 s13, v3
	s_cbranch_execz .LBB604_57
; %bb.40:
	ds_read_b128 v[1:4], v28 offset:2
	v_cmp_eq_u16_sdwa vcc_lo, v15, v16 src0_sel:WORD_1 src1_sel:DWORD
	v_add_nc_u32_e32 v8, 2, v35
	v_mov_b32_e32 v34, 0
	v_mov_b32_e32 v33, 0
	;; [unrolled: 1-line block ×12, first 2 shown]
	v_cmp_gt_u32_e64 s3, s13, v8
	v_cndmask_b32_e64 v24, 0x10000, 0, vcc_lo
	v_mov_b32_e32 v17, 0
	s_mov_b32 s9, 0
                                        ; implicit-def: $sgpr6
                                        ; implicit-def: $vgpr8
	s_waitcnt lgkmcnt(0)
	v_cndmask_b32_e32 v15, s28, v1, vcc_lo
	s_and_saveexec_b32 s8, s3
	s_cbranch_execz .LBB604_56
; %bb.41:
	v_add_nc_u32_e32 v5, 3, v35
	v_cmp_eq_u16_sdwa vcc_lo, v16, v16 src0_sel:DWORD src1_sel:WORD_1
	v_mov_b32_e32 v33, 0
	v_mov_b32_e32 v32, 0
	;; [unrolled: 1-line block ×3, first 2 shown]
	v_cmp_gt_u32_e64 s3, s13, v5
	v_cndmask_b32_e64 v22, 0x10000, 0, vcc_lo
	v_cndmask_b32_sdwa v1, s28, v1, vcc_lo dst_sel:DWORD dst_unused:UNUSED_PAD src0_sel:DWORD src1_sel:WORD_1
	v_mov_b32_e32 v7, 0
	v_mov_b32_e32 v6, 0
	v_mov_b32_e32 v5, 0
	v_mov_b32_e32 v21, 0
	v_mov_b32_e32 v20, 0
	v_mov_b32_e32 v19, 0
	v_mov_b32_e32 v18, 0
	v_mov_b32_e32 v17, 0
	s_mov_b32 s10, 0
                                        ; implicit-def: $sgpr6
                                        ; implicit-def: $vgpr8
	s_and_saveexec_b32 s9, s3
	s_cbranch_execz .LBB604_55
; %bb.42:
	v_cmp_eq_u16_sdwa vcc_lo, v16, v13 src0_sel:WORD_1 src1_sel:DWORD
	v_add_nc_u32_e32 v5, 4, v35
	v_mov_b32_e32 v32, 0
	v_mov_b32_e32 v31, 0
	;; [unrolled: 1-line block ×3, first 2 shown]
	v_cndmask_b32_e32 v16, s28, v2, vcc_lo
	v_cndmask_b32_e64 v21, 0x10000, 0, vcc_lo
	v_cmp_gt_u32_e32 vcc_lo, s13, v5
	v_mov_b32_e32 v6, 0
	v_mov_b32_e32 v5, 0
	;; [unrolled: 1-line block ×6, first 2 shown]
	s_mov_b32 s3, 0
                                        ; implicit-def: $sgpr6
                                        ; implicit-def: $vgpr8
	s_and_saveexec_b32 s10, vcc_lo
	s_cbranch_execz .LBB604_54
; %bb.43:
	v_add_nc_u32_e32 v5, 5, v35
	v_cmp_eq_u16_sdwa vcc_lo, v13, v13 src0_sel:DWORD src1_sel:WORD_1
	v_mov_b32_e32 v31, 0
	v_mov_b32_e32 v7, 0
	;; [unrolled: 1-line block ×3, first 2 shown]
	v_cmp_gt_u32_e64 s3, s13, v5
	v_cndmask_b32_e64 v20, 0x10000, 0, vcc_lo
	v_cndmask_b32_sdwa v2, s28, v2, vcc_lo dst_sel:DWORD dst_unused:UNUSED_PAD src0_sel:DWORD src1_sel:WORD_1
	v_mov_b32_e32 v5, 0
	v_mov_b32_e32 v19, 0
	;; [unrolled: 1-line block ×4, first 2 shown]
	s_mov_b32 s12, 0
                                        ; implicit-def: $sgpr6
                                        ; implicit-def: $vgpr8
	s_and_saveexec_b32 s11, s3
	s_cbranch_execz .LBB604_53
; %bb.44:
	v_cmp_eq_u16_sdwa vcc_lo, v13, v14 src0_sel:WORD_1 src1_sel:DWORD
	v_add_nc_u32_e32 v5, 6, v35
	v_mov_b32_e32 v7, 0
	v_mov_b32_e32 v6, 0
	v_mov_b32_e32 v18, 0
	v_cndmask_b32_e32 v13, s28, v3, vcc_lo
	v_cndmask_b32_e64 v19, 0x10000, 0, vcc_lo
	v_cmp_gt_u32_e32 vcc_lo, s13, v5
	v_mov_b32_e32 v5, 0
	v_mov_b32_e32 v17, 0
	s_mov_b32 s3, 0
                                        ; implicit-def: $sgpr6
                                        ; implicit-def: $vgpr8
	s_and_saveexec_b32 s12, vcc_lo
	s_cbranch_execz .LBB604_52
; %bb.45:
	v_add_nc_u32_e32 v8, 7, v35
	v_cmp_eq_u16_sdwa vcc_lo, v14, v14 src0_sel:DWORD src1_sel:WORD_1
	v_mov_b32_e32 v6, 0
	v_mov_b32_e32 v5, 0
	;; [unrolled: 1-line block ×3, first 2 shown]
	v_cmp_gt_u32_e64 s3, s13, v8
	v_cndmask_b32_e64 v7, 0x10000, 0, vcc_lo
	v_cndmask_b32_sdwa v3, s28, v3, vcc_lo dst_sel:DWORD dst_unused:UNUSED_PAD src0_sel:DWORD src1_sel:WORD_1
	s_mov_b32 s29, 0
                                        ; implicit-def: $sgpr6
                                        ; implicit-def: $vgpr8
	s_and_saveexec_b32 s21, s3
	s_cbranch_execz .LBB604_51
; %bb.46:
	v_cmp_eq_u16_sdwa vcc_lo, v14, v30 src0_sel:WORD_1 src1_sel:DWORD
	v_add_nc_u32_e32 v8, 8, v35
	v_mov_b32_e32 v5, 0
                                        ; implicit-def: $sgpr6
	v_cndmask_b32_e32 v6, s28, v4, vcc_lo
	v_cndmask_b32_e64 v14, 0x10000, 0, vcc_lo
	v_cmp_gt_u32_e32 vcc_lo, s13, v8
                                        ; implicit-def: $vgpr8
	s_and_saveexec_b32 s3, vcc_lo
	s_cbranch_execz .LBB604_50
; %bb.47:
	v_cmp_eq_u16_sdwa vcc_lo, v30, v30 src0_sel:DWORD src1_sel:WORD_1
	v_add_nc_u32_e32 v8, 9, v35
                                        ; implicit-def: $sgpr6
	v_cndmask_b32_e64 v5, 0x10000, 0, vcc_lo
	v_cndmask_b32_sdwa v4, s28, v4, vcc_lo dst_sel:DWORD dst_unused:UNUSED_PAD src0_sel:DWORD src1_sel:WORD_1
	v_cmp_gt_u32_e32 vcc_lo, s13, v8
	s_mov_b32 s13, 0
                                        ; implicit-def: $vgpr8
	s_and_saveexec_b32 s29, vcc_lo
	s_xor_b32 s29, exec_lo, s29
	s_cbranch_execz .LBB604_49
; %bb.48:
	ds_read_u16 v8, v28 offset:18
	v_cmp_ne_u16_sdwa s6, v30, v29 src0_sel:WORD_1 src1_sel:DWORD
	s_mov_b32 s13, exec_lo
	s_waitcnt lgkmcnt(0)
	v_cndmask_b32_e64 v8, v8, s28, s6
.LBB604_49:
	s_or_b32 exec_lo, exec_lo, s29
	v_or_b32_sdwa v5, v5, v4 dst_sel:DWORD dst_unused:UNUSED_PAD src0_sel:DWORD src1_sel:WORD_0
	s_and_b32 s29, s13, exec_lo
.LBB604_50:
	s_or_b32 exec_lo, exec_lo, s3
	v_or_b32_sdwa v6, v14, v6 dst_sel:DWORD dst_unused:UNUSED_PAD src0_sel:DWORD src1_sel:WORD_0
	v_mov_b32_e32 v17, v5
	s_and_b32 s29, s29, exec_lo
.LBB604_51:
	s_or_b32 exec_lo, exec_lo, s21
	v_or_b32_sdwa v7, v7, v3 dst_sel:DWORD dst_unused:UNUSED_PAD src0_sel:DWORD src1_sel:WORD_0
	v_mov_b32_e32 v18, v6
	s_and_b32 s3, s29, exec_lo
.LBB604_52:
	s_or_b32 exec_lo, exec_lo, s12
	v_or_b32_sdwa v31, v19, v13 dst_sel:DWORD dst_unused:UNUSED_PAD src0_sel:DWORD src1_sel:WORD_0
	v_mov_b32_e32 v19, v7
	s_and_b32 s12, s3, exec_lo
.LBB604_53:
	s_or_b32 exec_lo, exec_lo, s11
	v_or_b32_sdwa v32, v20, v2 dst_sel:DWORD dst_unused:UNUSED_PAD src0_sel:DWORD src1_sel:WORD_0
	v_mov_b32_e32 v20, v31
	s_and_b32 s3, s12, exec_lo
.LBB604_54:
	s_or_b32 exec_lo, exec_lo, s10
	v_or_b32_sdwa v33, v21, v16 dst_sel:DWORD dst_unused:UNUSED_PAD src0_sel:DWORD src1_sel:WORD_0
	v_mov_b32_e32 v21, v32
	s_and_b32 s10, s3, exec_lo
.LBB604_55:
	s_or_b32 exec_lo, exec_lo, s9
	v_or_b32_sdwa v34, v22, v1 dst_sel:DWORD dst_unused:UNUSED_PAD src0_sel:DWORD src1_sel:WORD_0
	v_mov_b32_e32 v22, v33
	s_and_b32 s9, s10, exec_lo
.LBB604_56:
	s_or_b32 exec_lo, exec_lo, s8
	v_or_b32_sdwa v1, v24, v15 dst_sel:DWORD dst_unused:UNUSED_PAD src0_sel:DWORD src1_sel:WORD_0
	v_mov_b32_e32 v24, v34
	s_and_b32 s8, s9, exec_lo
.LBB604_57:
	s_or_b32 exec_lo, exec_lo, s7
	v_or_b32_sdwa v23, v25, v23 dst_sel:DWORD dst_unused:UNUSED_PAD src0_sel:DWORD src1_sel:WORD_0
	v_mov_b32_e32 v25, v1
	s_and_b32 s3, s8, exec_lo
.LBB604_58:
	s_or_b32 exec_lo, exec_lo, s5
	v_lshlrev_b32_e32 v13, 1, v0
	s_and_b32 vcc_lo, exec_lo, s4
	s_cbranch_vccnz .LBB604_60
	s_branch .LBB604_63
.LBB604_59:
	s_mov_b32 s3, 0
                                        ; implicit-def: $sgpr6
                                        ; implicit-def: $vgpr8
                                        ; implicit-def: $vgpr23
                                        ; implicit-def: $vgpr1
                                        ; implicit-def: $vgpr34
                                        ; implicit-def: $vgpr33
                                        ; implicit-def: $vgpr32
                                        ; implicit-def: $vgpr31
                                        ; implicit-def: $vgpr7
                                        ; implicit-def: $vgpr6
                                        ; implicit-def: $vgpr5
                                        ; implicit-def: $vgpr25
                                        ; implicit-def: $vgpr24
                                        ; implicit-def: $vgpr22
                                        ; implicit-def: $vgpr21
                                        ; implicit-def: $vgpr20
                                        ; implicit-def: $vgpr19
                                        ; implicit-def: $vgpr18
                                        ; implicit-def: $vgpr17
	v_lshlrev_b32_e32 v13, 1, v0
	s_cbranch_execz .LBB604_63
.LBB604_60:
	v_add_co_u32 v1, vcc_lo, v11, v13
	v_add_co_ci_u32_e64 v2, null, 0, v12, vcc_lo
	s_mov_b32 s3, exec_lo
	s_clause 0x9
	flat_load_ushort v3, v[1:2]
	flat_load_ushort v4, v[1:2] offset:128
	flat_load_ushort v5, v[1:2] offset:256
	;; [unrolled: 1-line block ×9, first 2 shown]
	s_waitcnt vmcnt(9) lgkmcnt(9)
	ds_write_b16 v13, v3
	s_waitcnt vmcnt(8) lgkmcnt(9)
	ds_write_b16 v13, v4 offset:128
	s_waitcnt vmcnt(7) lgkmcnt(9)
	ds_write_b16 v13, v5 offset:256
	;; [unrolled: 2-line block ×9, first 2 shown]
	s_waitcnt lgkmcnt(0)
	s_barrier
	buffer_gl0_inv
	flat_load_ushort v6, v[11:12] offset:1280
	v_mad_u32_u24 v5, v0, 18, v13
	ds_read2_b32 v[3:4], v5 offset1:1
	ds_read2_b32 v[1:2], v5 offset0:2 offset1:3
	ds_read_b32 v8, v5 offset:16
	v_mad_i32_i24 v7, 0xffffffee, v0, v5
	s_waitcnt lgkmcnt(2)
	ds_write_b16 v7, v3 offset:1408
	s_waitcnt vmcnt(0) lgkmcnt(0)
	s_barrier
	buffer_gl0_inv
	v_cmpx_ne_u32_e32 63, v0
; %bb.61:
	v_mul_i32_i24_e32 v6, 0xffffffee, v0
	v_add_nc_u32_e32 v6, v5, v6
	ds_read_u16 v6, v6 offset:1410
; %bb.62:
	s_or_b32 exec_lo, exec_lo, s3
	v_add_co_u32 v11, vcc_lo, v26, v13
	v_add_co_ci_u32_e64 v12, null, 0, v27, vcc_lo
	s_waitcnt lgkmcnt(0)
	s_barrier
	buffer_gl0_inv
	s_clause 0x9
	flat_load_ushort v7, v[11:12]
	flat_load_ushort v14, v[11:12] offset:128
	flat_load_ushort v15, v[11:12] offset:256
	;; [unrolled: 1-line block ×9, first 2 shown]
	v_cmp_eq_u16_sdwa vcc_lo, v3, v3 src0_sel:DWORD src1_sel:WORD_1
	v_cmp_eq_u16_sdwa s3, v4, v4 src0_sel:DWORD src1_sel:WORD_1
	v_cmp_eq_u16_sdwa s4, v1, v1 src0_sel:DWORD src1_sel:WORD_1
	;; [unrolled: 1-line block ×4, first 2 shown]
	v_cmp_eq_u16_sdwa s7, v3, v4 src0_sel:WORD_1 src1_sel:DWORD
	v_cmp_eq_u16_sdwa s8, v4, v1 src0_sel:WORD_1 src1_sel:DWORD
	;; [unrolled: 1-line block ×4, first 2 shown]
	s_waitcnt vmcnt(9) lgkmcnt(9)
	ds_write_b16 v13, v7
	s_waitcnt vmcnt(8) lgkmcnt(9)
	ds_write_b16 v13, v14 offset:128
	s_waitcnt vmcnt(7) lgkmcnt(9)
	ds_write_b16 v13, v15 offset:256
	s_waitcnt vmcnt(6) lgkmcnt(9)
	ds_write_b16 v13, v16 offset:384
	s_waitcnt vmcnt(5) lgkmcnt(9)
	ds_write_b16 v13, v17 offset:512
	s_waitcnt vmcnt(4) lgkmcnt(9)
	ds_write_b16 v13, v18 offset:640
	s_waitcnt vmcnt(3) lgkmcnt(9)
	ds_write_b16 v13, v19 offset:768
	s_waitcnt vmcnt(2) lgkmcnt(9)
	ds_write_b16 v13, v20 offset:896
	s_waitcnt vmcnt(1) lgkmcnt(9)
	ds_write_b16 v13, v21 offset:1024
	s_waitcnt vmcnt(0) lgkmcnt(9)
	ds_write_b16 v13, v11 offset:1152
	s_waitcnt lgkmcnt(0)
	s_barrier
	buffer_gl0_inv
	ds_read2_b32 v[11:12], v5 offset1:1
	ds_read2_b32 v[14:15], v5 offset0:2 offset1:3
	ds_read_b32 v5, v5 offset:16
	v_cndmask_b32_e64 v16, 0x10000, 0, vcc_lo
	v_cndmask_b32_e64 v17, 0x10000, 0, s3
	v_cndmask_b32_e64 v18, 0x10000, 0, s4
	;; [unrolled: 1-line block ×4, first 2 shown]
	s_waitcnt lgkmcnt(2)
	v_lshrrev_b32_e32 v7, 16, v11
	v_lshrrev_b32_e32 v3, 16, v12
	s_waitcnt lgkmcnt(1)
	v_lshrrev_b32_e32 v4, 16, v14
	v_lshrrev_b32_e32 v1, 16, v15
	v_cndmask_b32_e32 v11, s28, v11, vcc_lo
	v_cndmask_b32_e64 v12, s28, v12, s3
	v_cndmask_b32_e64 v14, s28, v14, s4
	v_cndmask_b32_e64 v15, s28, v15, s5
	s_waitcnt lgkmcnt(0)
	v_lshrrev_b32_e32 v2, 16, v5
	v_cndmask_b32_e64 v5, s28, v5, s6
	v_or_b32_sdwa v23, v16, v11 dst_sel:DWORD dst_unused:UNUSED_PAD src0_sel:DWORD src1_sel:WORD_0
	v_cndmask_b32_e64 v11, s28, v7, s7
	v_cndmask_b32_e64 v16, 0x10000, 0, s7
	v_or_b32_sdwa v34, v17, v12 dst_sel:DWORD dst_unused:UNUSED_PAD src0_sel:DWORD src1_sel:WORD_0
	v_cndmask_b32_e64 v3, s28, v3, s8
	;; [unrolled: 3-line block ×4, first 2 shown]
	v_cndmask_b32_e64 v17, 0x10000, 0, s10
	v_or_b32_sdwa v5, v20, v5 dst_sel:DWORD dst_unused:UNUSED_PAD src0_sel:DWORD src1_sel:WORD_0
	v_cmp_ne_u16_sdwa s6, v8, v6 src0_sel:WORD_1 src1_sel:DWORD
	v_or_b32_sdwa v1, v16, v11 dst_sel:DWORD dst_unused:UNUSED_PAD src0_sel:DWORD src1_sel:WORD_0
	v_or_b32_sdwa v33, v12, v3 dst_sel:DWORD dst_unused:UNUSED_PAD src0_sel:DWORD src1_sel:WORD_0
	;; [unrolled: 1-line block ×4, first 2 shown]
	v_cndmask_b32_e64 v8, v2, s28, s6
	v_mov_b32_e32 v24, v34
	v_mov_b32_e32 v21, v32
	;; [unrolled: 1-line block ×8, first 2 shown]
	s_mov_b32 s3, -1
.LBB604_63:
	v_mov_b32_e32 v11, 0
	s_and_saveexec_b32 s4, s3
	s_cbranch_execz .LBB604_65
; %bb.64:
	v_cndmask_b32_e64 v2, 0, 0x10000, s6
	v_mov_b32_e32 v17, v5
	v_mov_b32_e32 v18, v6
	;; [unrolled: 1-line block ×4, first 2 shown]
	v_or_b32_sdwa v11, v2, v8 dst_sel:DWORD dst_unused:UNUSED_PAD src0_sel:DWORD src1_sel:WORD_0
	v_mov_b32_e32 v21, v32
	v_mov_b32_e32 v22, v33
	;; [unrolled: 1-line block ×4, first 2 shown]
.LBB604_65:
	s_or_b32 exec_lo, exec_lo, s4
	v_or3_b32 v1, v18, v17, v19
	v_cmp_gt_u32_e64 s10, 0x10000, v25
	v_cmp_gt_u32_e64 s9, 0x10000, v24
	;; [unrolled: 1-line block ×8, first 2 shown]
	v_or3_b32 v15, v1, v20, v21
	v_cmp_gt_u32_e64 s11, 0x10000, v11
	v_lshrrev_b32_e32 v12, 16, v23
	v_lshrrev_b32_e32 v14, 3, v0
	s_cmp_lg_u32 s20, 0
	v_cmp_gt_u32_e32 vcc_lo, 32, v0
	s_barrier
	buffer_gl0_inv
	s_cbranch_scc0 .LBB604_115
; %bb.66:
	v_cndmask_b32_e64 v1, 0, v23, s10
	v_or3_b32 v2, v15, v22, v24
	v_and_b32_e32 v3, 4, v14
	v_add_nc_u16 v1, v1, v25
	v_or3_b32 v2, v2, v25, v11
	v_lshl_add_u32 v3, v0, 2, v3
	v_cndmask_b32_e64 v1, 0, v1, s9
	v_and_b32_e32 v2, 0xff0000, v2
	v_add_nc_u16 v1, v1, v24
	v_cndmask_b32_e64 v1, 0, v1, s8
	v_add_nc_u16 v1, v1, v22
	v_cndmask_b32_e64 v1, 0, v1, s7
	;; [unrolled: 2-line block ×7, first 2 shown]
	v_cmp_eq_u32_e64 s11, 0, v2
	v_add_nc_u16 v16, v1, v11
	v_cndmask_b32_e64 v26, 1, v12, s11
	ds_write_b8 v3, v26 offset:2
	ds_write_b16 v3, v16
	s_waitcnt lgkmcnt(0)
	s_barrier
	buffer_gl0_inv
	s_and_saveexec_b32 s12, vcc_lo
	s_cbranch_execz .LBB604_78
; %bb.67:
	v_lshrrev_b32_e32 v1, 2, v0
	v_lshlrev_b32_e32 v2, 3, v0
	s_mov_b32 s13, exec_lo
	v_and_b32_e32 v1, 12, v1
	v_add_nc_u32_e32 v1, v1, v2
	ds_read_u8 v3, v1 offset:6
	ds_read_b32 v2, v1
	ds_read_u16 v4, v1 offset:4
	s_waitcnt lgkmcnt(2)
	v_cmp_eq_u16_e64 s11, 0, v3
	v_and_b32_e32 v6, 1, v3
	s_waitcnt lgkmcnt(1)
	v_and_b32_e32 v3, 0x10000, v2
	v_cndmask_b32_e64 v5, 0, v2, s11
	v_cmp_eq_u32_e64 s11, 1, v6
	v_mbcnt_lo_u32_b32 v6, -1, 0
	s_waitcnt lgkmcnt(0)
	v_add_nc_u16 v5, v5, v4
	v_and_b32_e32 v4, 0xff000000, v2
	v_cndmask_b32_e64 v7, v3, 0x10000, s11
	v_and_b32_e32 v8, 0xffff, v5
	v_or_b32_e32 v27, v7, v4
	v_or3_b32 v28, v4, v8, v7
	v_and_b32_e32 v7, 15, v6
	v_lshrrev_b32_e32 v8, 16, v27
	v_mov_b32_dpp v29, v28 row_shr:1 row_mask:0xf bank_mask:0xf
	v_cmpx_ne_u32_e32 0, v7
	s_cbranch_execz .LBB604_69
; %bb.68:
	v_mov_b32_e32 v8, 0xff
	v_mov_b32_e32 v28, 1
	v_and_b32_sdwa v8, v27, v8 dst_sel:DWORD dst_unused:UNUSED_PAD src0_sel:WORD_1 src1_sel:DWORD
	v_and_b32_e32 v27, 0x10000, v27
	v_and_b32_sdwa v28, v29, v28 dst_sel:DWORD dst_unused:UNUSED_PAD src0_sel:WORD_1 src1_sel:DWORD
	v_cmp_eq_u16_e64 s11, 0, v8
	v_cndmask_b32_e64 v29, 0, v29, s11
	v_cmp_ne_u32_e64 s11, 0, v27
	v_add_nc_u16 v5, v29, v5
	v_cndmask_b32_e64 v8, v28, 1, s11
	v_and_b32_e32 v28, 0xffff, v5
	v_lshlrev_b32_e32 v27, 16, v8
	v_or3_b32 v28, v27, v28, v4
.LBB604_69:
	s_or_b32 exec_lo, exec_lo, s13
	v_lshrrev_b32_e32 v27, 16, v28
	v_mov_b32_dpp v29, v28 row_shr:2 row_mask:0xf bank_mask:0xf
	s_mov_b32 s13, exec_lo
	v_cmpx_lt_u32_e32 1, v7
	s_cbranch_execz .LBB604_71
; %bb.70:
	v_mov_b32_e32 v30, 0
	v_mov_b32_e32 v8, 1
	v_and_b32_e32 v28, 0x10000, v28
	v_cmp_eq_u16_sdwa s11, v27, v30 src0_sel:BYTE_0 src1_sel:DWORD
	v_and_b32_sdwa v8, v29, v8 dst_sel:DWORD dst_unused:UNUSED_PAD src0_sel:WORD_1 src1_sel:DWORD
	v_cndmask_b32_e64 v27, 0, v29, s11
	v_cmp_ne_u32_e64 s11, 0, v28
	v_add_nc_u16 v5, v27, v5
	v_cndmask_b32_e64 v8, v8, 1, s11
	v_and_b32_e32 v28, 0xffff, v5
	v_lshlrev_b32_e32 v27, 16, v8
	v_or3_b32 v28, v27, v28, v4
	v_mov_b32_e32 v27, v8
.LBB604_71:
	s_or_b32 exec_lo, exec_lo, s13
	v_mov_b32_dpp v29, v28 row_shr:4 row_mask:0xf bank_mask:0xf
	s_mov_b32 s13, exec_lo
	v_cmpx_lt_u32_e32 3, v7
	s_cbranch_execz .LBB604_73
; %bb.72:
	v_mov_b32_e32 v28, 0
	v_mov_b32_e32 v8, 1
	v_and_b32_e32 v30, 1, v27
	v_cmp_eq_u16_sdwa s11, v27, v28 src0_sel:BYTE_0 src1_sel:DWORD
	v_and_b32_sdwa v8, v29, v8 dst_sel:DWORD dst_unused:UNUSED_PAD src0_sel:WORD_1 src1_sel:DWORD
	v_cndmask_b32_e64 v27, 0, v29, s11
	v_cmp_eq_u32_e64 s11, 1, v30
	v_add_nc_u16 v5, v27, v5
	v_cndmask_b32_e64 v8, v8, 1, s11
	v_and_b32_e32 v28, 0xffff, v5
	v_lshlrev_b32_e32 v27, 16, v8
	v_or3_b32 v28, v27, v28, v4
	v_mov_b32_e32 v27, v8
.LBB604_73:
	s_or_b32 exec_lo, exec_lo, s13
	v_mov_b32_dpp v29, v28 row_shr:8 row_mask:0xf bank_mask:0xf
	s_mov_b32 s13, exec_lo
	v_cmpx_lt_u32_e32 7, v7
	s_cbranch_execz .LBB604_75
; %bb.74:
	v_mov_b32_e32 v8, 0
	v_mov_b32_e32 v7, 1
	v_and_b32_e32 v28, 1, v27
	v_cmp_eq_u16_sdwa s11, v27, v8 src0_sel:BYTE_0 src1_sel:DWORD
	v_and_b32_sdwa v7, v29, v7 dst_sel:DWORD dst_unused:UNUSED_PAD src0_sel:WORD_1 src1_sel:DWORD
	v_cndmask_b32_e64 v27, 0, v29, s11
	v_cmp_eq_u32_e64 s11, 1, v28
	v_add_nc_u16 v5, v27, v5
	v_cndmask_b32_e64 v8, v7, 1, s11
	v_and_b32_e32 v27, 0xffff, v5
	v_lshlrev_b32_e32 v7, 16, v8
	v_or3_b32 v28, v7, v27, v4
	v_mov_b32_e32 v27, v8
.LBB604_75:
	s_or_b32 exec_lo, exec_lo, s13
	ds_swizzle_b32 v7, v28 offset:swizzle(BROADCAST,32,15)
	v_and_b32_e32 v28, 16, v6
	s_mov_b32 s13, exec_lo
	v_cmpx_ne_u32_e32 0, v28
	s_cbranch_execz .LBB604_77
; %bb.76:
	v_mov_b32_e32 v8, 0
	v_mov_b32_e32 v28, 1
	v_cmp_eq_u16_sdwa s11, v27, v8 src0_sel:BYTE_0 src1_sel:DWORD
	v_and_b32_e32 v27, 1, v27
	s_waitcnt lgkmcnt(0)
	v_cndmask_b32_e64 v8, 0, v7, s11
	v_and_b32_sdwa v7, v7, v28 dst_sel:DWORD dst_unused:UNUSED_PAD src0_sel:WORD_1 src1_sel:DWORD
	v_cmp_eq_u32_e64 s11, 1, v27
	v_add_nc_u16 v5, v8, v5
	v_cndmask_b32_e64 v8, v7, 1, s11
.LBB604_77:
	s_or_b32 exec_lo, exec_lo, s13
	s_waitcnt lgkmcnt(0)
	v_and_b32_e32 v7, 0xff, v8
	v_add_nc_u32_e32 v8, -1, v6
	v_and_b32_e32 v5, 0xffff, v5
	; wave barrier
	v_lshlrev_b32_e32 v7, 16, v7
	v_cmp_gt_i32_e64 s11, 0, v8
	v_or3_b32 v4, v7, v5, v4
	v_cndmask_b32_e64 v6, v8, v6, s11
	v_lshlrev_b32_e32 v5, 2, v6
	v_mov_b32_e32 v6, 1
	ds_bpermute_b32 v4, v5, v4
	v_and_b32_e32 v5, 0xff0000, v2
	v_cmp_eq_u32_e64 s11, 0, v5
	s_waitcnt lgkmcnt(0)
	v_cndmask_b32_e64 v5, 0, v4, s11
	v_and_b32_sdwa v4, v4, v6 dst_sel:DWORD dst_unused:UNUSED_PAD src0_sel:WORD_1 src1_sel:DWORD
	v_cmp_eq_u32_e64 s11, 0, v3
	v_add_nc_u16 v2, v5, v2
	v_cndmask_b32_e64 v3, 1, v4, s11
	v_cndmask_b32_e64 v2, v2, v16, s0
	;; [unrolled: 1-line block ×3, first 2 shown]
	ds_write_b16 v1, v2
	ds_write_b8 v1, v3 offset:2
	; wave barrier
	ds_read_u8 v4, v1 offset:6
	ds_read_u16 v5, v1 offset:4
	s_waitcnt lgkmcnt(1)
	v_cmp_eq_u16_e64 s11, 0, v4
	v_and_b32_e32 v4, 1, v4
	v_cndmask_b32_e64 v2, 0, v2, s11
	v_cmp_eq_u32_e64 s11, 1, v4
	s_waitcnt lgkmcnt(0)
	v_add_nc_u16 v2, v2, v5
	v_cndmask_b32_e64 v3, v3, 1, s11
	ds_write_b16 v1, v2 offset:4
	ds_write_b8 v1, v3 offset:6
.LBB604_78:
	s_or_b32 exec_lo, exec_lo, s12
	s_waitcnt lgkmcnt(0)
	s_barrier
	buffer_gl0_inv
	s_and_saveexec_b32 s11, s1
	s_cbranch_execz .LBB604_80
; %bb.79:
	v_add_nc_u32_e32 v1, -1, v0
	v_lshrrev_b32_e32 v2, 3, v1
	v_and_b32_e32 v2, 0x1ffffffc, v2
	v_lshl_add_u32 v1, v1, 2, v2
	ds_read_u16 v16, v1
	ds_read_u8 v26, v1 offset:2
.LBB604_80:
	s_or_b32 exec_lo, exec_lo, s11
	s_and_saveexec_b32 s21, vcc_lo
	s_cbranch_execz .LBB604_120
; %bb.81:
	v_mov_b32_e32 v6, 0
	v_mbcnt_lo_u32_b32 v27, -1, 0
	s_mov_b32 s13, 0
	ds_read_b32 v1, v6 offset:256
	v_cmp_eq_u32_e64 s11, 0, v27
	s_and_saveexec_b32 s29, s11
	s_cbranch_execz .LBB604_83
; %bb.82:
	s_add_i32 s12, s20, 32
	v_mov_b32_e32 v2, 1
	s_lshl_b64 s[12:13], s[12:13], 3
	s_add_u32 s12, s16, s12
	s_addc_u32 s13, s17, s13
	s_waitcnt lgkmcnt(0)
	global_store_dwordx2 v6, v[1:2], s[12:13]
.LBB604_83:
	s_or_b32 exec_lo, exec_lo, s29
	v_xad_u32 v2, v27, -1, s20
	v_add_nc_u32_e32 v5, 32, v2
	v_lshlrev_b64 v[3:4], 3, v[5:6]
	v_add_co_u32 v7, vcc_lo, s16, v3
	v_add_co_ci_u32_e64 v8, null, s17, v4, vcc_lo
	global_load_dwordx2 v[4:5], v[7:8], off glc dlc
	s_waitcnt vmcnt(0)
	v_cmp_eq_u16_sdwa s13, v5, v6 src0_sel:BYTE_0 src1_sel:DWORD
	s_and_saveexec_b32 s12, s13
	s_cbranch_execz .LBB604_87
; %bb.84:
	v_mov_b32_e32 v3, 0
	s_mov_b32 s13, 0
.LBB604_85:                             ; =>This Inner Loop Header: Depth=1
	global_load_dwordx2 v[4:5], v[7:8], off glc dlc
	s_waitcnt vmcnt(0)
	v_cmp_ne_u16_sdwa s29, v5, v3 src0_sel:BYTE_0 src1_sel:DWORD
	s_or_b32 s13, s29, s13
	s_andn2_b32 exec_lo, exec_lo, s13
	s_cbranch_execnz .LBB604_85
; %bb.86:
	s_or_b32 exec_lo, exec_lo, s13
.LBB604_87:
	s_or_b32 exec_lo, exec_lo, s12
	v_cmp_ne_u32_e32 vcc_lo, 31, v27
	v_and_b32_e32 v35, 0xffffff, v4
	v_mov_b32_e32 v6, 2
	v_lshlrev_b32_e64 v28, v27, -1
	v_bfe_u32 v7, v4, 16, 8
	v_add_co_ci_u32_e64 v3, null, 0, v27, vcc_lo
	v_cmp_eq_u16_sdwa s12, v5, v6 src0_sel:BYTE_0 src1_sel:DWORD
	v_lshrrev_b32_e32 v6, 16, v4
	v_lshlrev_b32_e32 v8, 2, v3
	v_and_or_b32 v3, s12, v28, 0x80000000
	s_mov_b32 s12, exec_lo
	ds_bpermute_b32 v29, v8, v35
	v_ffbl_b32_e32 v3, v3
	v_cmpx_lt_u32_e64 v27, v3
	s_cbranch_execz .LBB604_89
; %bb.88:
	v_and_b32_e32 v6, 0xff0000, v4
	v_mov_b32_e32 v7, 1
	v_and_b32_e32 v30, 0x10000, v6
	v_cmp_eq_u32_e32 vcc_lo, 0, v6
	s_waitcnt lgkmcnt(0)
	v_and_b32_sdwa v7, v29, v7 dst_sel:DWORD dst_unused:UNUSED_PAD src0_sel:WORD_1 src1_sel:DWORD
	v_cndmask_b32_e32 v29, 0, v29, vcc_lo
	v_cmp_ne_u32_e32 vcc_lo, 0, v30
	v_add_nc_u16 v4, v29, v4
	v_cndmask_b32_e64 v6, v7, 1, vcc_lo
	v_lshlrev_b32_e32 v7, 16, v6
	v_or_b32_sdwa v35, v7, v4 dst_sel:DWORD dst_unused:UNUSED_PAD src0_sel:DWORD src1_sel:WORD_0
	v_mov_b32_e32 v7, v6
.LBB604_89:
	s_or_b32 exec_lo, exec_lo, s12
	v_cmp_gt_u32_e32 vcc_lo, 30, v27
	v_add_nc_u32_e32 v30, 2, v27
	s_mov_b32 s12, exec_lo
	s_waitcnt lgkmcnt(0)
	v_cndmask_b32_e64 v29, 0, 2, vcc_lo
	v_add_lshl_u32 v29, v29, v27, 2
	ds_bpermute_b32 v31, v29, v35
	v_cmpx_le_u32_e64 v30, v3
	s_cbranch_execz .LBB604_91
; %bb.90:
	v_mov_b32_e32 v6, 1
	v_and_b32_e32 v32, 1, v7
	v_cmp_eq_u16_e32 vcc_lo, 0, v7
	s_waitcnt lgkmcnt(0)
	v_and_b32_sdwa v6, v31, v6 dst_sel:DWORD dst_unused:UNUSED_PAD src0_sel:WORD_1 src1_sel:DWORD
	v_cndmask_b32_e32 v7, 0, v31, vcc_lo
	v_cmp_eq_u32_e32 vcc_lo, 1, v32
	v_add_nc_u16 v4, v7, v4
	v_cndmask_b32_e64 v6, v6, 1, vcc_lo
	v_lshlrev_b32_e32 v7, 16, v6
	v_or_b32_sdwa v35, v7, v4 dst_sel:DWORD dst_unused:UNUSED_PAD src0_sel:DWORD src1_sel:WORD_0
	v_mov_b32_e32 v7, v6
.LBB604_91:
	s_or_b32 exec_lo, exec_lo, s12
	v_cmp_gt_u32_e32 vcc_lo, 28, v27
	v_add_nc_u32_e32 v32, 4, v27
	s_mov_b32 s12, exec_lo
	s_waitcnt lgkmcnt(0)
	v_cndmask_b32_e64 v31, 0, 4, vcc_lo
	v_add_lshl_u32 v31, v31, v27, 2
	ds_bpermute_b32 v33, v31, v35
	v_cmpx_le_u32_e64 v32, v3
	s_cbranch_execz .LBB604_93
; %bb.92:
	v_mov_b32_e32 v6, 1
	v_and_b32_e32 v34, 1, v7
	v_cmp_eq_u16_e32 vcc_lo, 0, v7
	s_waitcnt lgkmcnt(0)
	v_and_b32_sdwa v6, v33, v6 dst_sel:DWORD dst_unused:UNUSED_PAD src0_sel:WORD_1 src1_sel:DWORD
	v_cndmask_b32_e32 v7, 0, v33, vcc_lo
	v_cmp_eq_u32_e32 vcc_lo, 1, v34
	v_add_nc_u16 v4, v7, v4
	v_cndmask_b32_e64 v6, v6, 1, vcc_lo
	v_lshlrev_b32_e32 v7, 16, v6
	v_or_b32_sdwa v35, v7, v4 dst_sel:DWORD dst_unused:UNUSED_PAD src0_sel:DWORD src1_sel:WORD_0
	v_mov_b32_e32 v7, v6
.LBB604_93:
	;; [unrolled: 24-line block ×3, first 2 shown]
	s_or_b32 exec_lo, exec_lo, s12
	v_lshl_or_b32 v37, v27, 2, 64
	v_add_nc_u32_e32 v38, 16, v27
	s_mov_b32 s12, exec_lo
	ds_bpermute_b32 v35, v37, v35
	v_cmpx_le_u32_e64 v38, v3
	s_cbranch_execz .LBB604_97
; %bb.96:
	v_mov_b32_e32 v3, 1
	v_cmp_eq_u16_e32 vcc_lo, 0, v7
	v_and_b32_e32 v7, 1, v7
	s_waitcnt lgkmcnt(0)
	v_and_b32_sdwa v3, v35, v3 dst_sel:DWORD dst_unused:UNUSED_PAD src0_sel:WORD_1 src1_sel:DWORD
	v_cndmask_b32_e32 v6, 0, v35, vcc_lo
	v_cmp_eq_u32_e32 vcc_lo, 1, v7
	v_add_nc_u16 v4, v6, v4
	v_cndmask_b32_e64 v6, v3, 1, vcc_lo
.LBB604_97:
	s_or_b32 exec_lo, exec_lo, s12
	v_mov_b32_e32 v3, 0
	v_mov_b32_e32 v39, 2
	;; [unrolled: 1-line block ×3, first 2 shown]
	s_branch .LBB604_100
.LBB604_98:                             ;   in Loop: Header=BB604_100 Depth=1
	s_or_b32 exec_lo, exec_lo, s12
	v_cmp_eq_u16_sdwa vcc_lo, v35, v3 src0_sel:BYTE_0 src1_sel:DWORD
	v_and_b32_e32 v6, 1, v35
	v_and_b32_e32 v7, 1, v7
	v_subrev_nc_u32_e32 v2, 32, v2
	s_mov_b32 s12, 0
	v_cndmask_b32_e32 v4, 0, v4, vcc_lo
	v_cmp_eq_u32_e32 vcc_lo, 1, v6
	v_add_nc_u16 v4, v4, v36
	v_cndmask_b32_e64 v6, v7, 1, vcc_lo
.LBB604_99:                             ;   in Loop: Header=BB604_100 Depth=1
	s_and_b32 vcc_lo, exec_lo, s12
	s_cbranch_vccnz .LBB604_116
.LBB604_100:                            ; =>This Loop Header: Depth=1
                                        ;     Child Loop BB604_103 Depth 2
	v_cmp_ne_u16_sdwa s12, v5, v39 src0_sel:BYTE_0 src1_sel:DWORD
	s_waitcnt lgkmcnt(0)
	v_mov_b32_e32 v35, v6
	v_mov_b32_e32 v36, v4
                                        ; implicit-def: $vgpr6
                                        ; implicit-def: $vgpr4
	s_cmp_lg_u32 s12, exec_lo
	s_mov_b32 s12, -1
	s_cbranch_scc1 .LBB604_99
; %bb.101:                              ;   in Loop: Header=BB604_100 Depth=1
	v_lshlrev_b64 v[4:5], 3, v[2:3]
	v_add_co_u32 v6, vcc_lo, s16, v4
	v_add_co_ci_u32_e64 v7, null, s17, v5, vcc_lo
	global_load_dwordx2 v[4:5], v[6:7], off glc dlc
	s_waitcnt vmcnt(0)
	v_cmp_eq_u16_sdwa s13, v5, v3 src0_sel:BYTE_0 src1_sel:DWORD
	s_and_saveexec_b32 s12, s13
	s_cbranch_execz .LBB604_105
; %bb.102:                              ;   in Loop: Header=BB604_100 Depth=1
	s_mov_b32 s13, 0
.LBB604_103:                            ;   Parent Loop BB604_100 Depth=1
                                        ; =>  This Inner Loop Header: Depth=2
	global_load_dwordx2 v[4:5], v[6:7], off glc dlc
	s_waitcnt vmcnt(0)
	v_cmp_ne_u16_sdwa s29, v5, v3 src0_sel:BYTE_0 src1_sel:DWORD
	s_or_b32 s13, s29, s13
	s_andn2_b32 exec_lo, exec_lo, s13
	s_cbranch_execnz .LBB604_103
; %bb.104:                              ;   in Loop: Header=BB604_100 Depth=1
	s_or_b32 exec_lo, exec_lo, s13
.LBB604_105:                            ;   in Loop: Header=BB604_100 Depth=1
	s_or_b32 exec_lo, exec_lo, s12
	v_and_b32_e32 v42, 0xffffff, v4
	v_cmp_eq_u16_sdwa s12, v5, v39 src0_sel:BYTE_0 src1_sel:DWORD
	v_lshrrev_b32_e32 v7, 16, v4
	v_bfe_u32 v41, v4, 16, 8
	ds_bpermute_b32 v43, v8, v42
	v_and_or_b32 v6, s12, v28, 0x80000000
	s_mov_b32 s12, exec_lo
	v_ffbl_b32_e32 v6, v6
	v_cmpx_lt_u32_e64 v27, v6
	s_cbranch_execz .LBB604_107
; %bb.106:                              ;   in Loop: Header=BB604_100 Depth=1
	v_and_b32_e32 v7, 0xff0000, v4
	s_waitcnt lgkmcnt(0)
	v_and_b32_sdwa v42, v43, v40 dst_sel:DWORD dst_unused:UNUSED_PAD src0_sel:WORD_1 src1_sel:DWORD
	v_and_b32_e32 v41, 0x10000, v7
	v_cmp_eq_u32_e32 vcc_lo, 0, v7
	v_cndmask_b32_e32 v43, 0, v43, vcc_lo
	v_cmp_ne_u32_e32 vcc_lo, 0, v41
	v_add_nc_u16 v4, v43, v4
	v_cndmask_b32_e64 v7, v42, 1, vcc_lo
	v_lshlrev_b32_e32 v41, 16, v7
	v_or_b32_sdwa v42, v41, v4 dst_sel:DWORD dst_unused:UNUSED_PAD src0_sel:DWORD src1_sel:WORD_0
	v_mov_b32_e32 v41, v7
.LBB604_107:                            ;   in Loop: Header=BB604_100 Depth=1
	s_or_b32 exec_lo, exec_lo, s12
	s_waitcnt lgkmcnt(0)
	ds_bpermute_b32 v43, v29, v42
	s_mov_b32 s12, exec_lo
	v_cmpx_le_u32_e64 v30, v6
	s_cbranch_execz .LBB604_109
; %bb.108:                              ;   in Loop: Header=BB604_100 Depth=1
	v_and_b32_e32 v7, 1, v41
	v_cmp_eq_u16_e32 vcc_lo, 0, v41
	s_waitcnt lgkmcnt(0)
	v_and_b32_sdwa v42, v43, v40 dst_sel:DWORD dst_unused:UNUSED_PAD src0_sel:WORD_1 src1_sel:DWORD
	v_cndmask_b32_e32 v41, 0, v43, vcc_lo
	v_cmp_eq_u32_e32 vcc_lo, 1, v7
	v_add_nc_u16 v4, v41, v4
	v_cndmask_b32_e64 v7, v42, 1, vcc_lo
	v_lshlrev_b32_e32 v41, 16, v7
	v_or_b32_sdwa v42, v41, v4 dst_sel:DWORD dst_unused:UNUSED_PAD src0_sel:DWORD src1_sel:WORD_0
	v_mov_b32_e32 v41, v7
.LBB604_109:                            ;   in Loop: Header=BB604_100 Depth=1
	s_or_b32 exec_lo, exec_lo, s12
	s_waitcnt lgkmcnt(0)
	ds_bpermute_b32 v43, v31, v42
	s_mov_b32 s12, exec_lo
	v_cmpx_le_u32_e64 v32, v6
	s_cbranch_execz .LBB604_111
; %bb.110:                              ;   in Loop: Header=BB604_100 Depth=1
	v_and_b32_e32 v7, 1, v41
	v_cmp_eq_u16_e32 vcc_lo, 0, v41
	s_waitcnt lgkmcnt(0)
	v_and_b32_sdwa v42, v43, v40 dst_sel:DWORD dst_unused:UNUSED_PAD src0_sel:WORD_1 src1_sel:DWORD
	v_cndmask_b32_e32 v41, 0, v43, vcc_lo
	v_cmp_eq_u32_e32 vcc_lo, 1, v7
	v_add_nc_u16 v4, v41, v4
	v_cndmask_b32_e64 v7, v42, 1, vcc_lo
	v_lshlrev_b32_e32 v41, 16, v7
	v_or_b32_sdwa v42, v41, v4 dst_sel:DWORD dst_unused:UNUSED_PAD src0_sel:DWORD src1_sel:WORD_0
	v_mov_b32_e32 v41, v7
.LBB604_111:                            ;   in Loop: Header=BB604_100 Depth=1
	;; [unrolled: 19-line block ×3, first 2 shown]
	s_or_b32 exec_lo, exec_lo, s12
	ds_bpermute_b32 v42, v37, v42
	s_mov_b32 s12, exec_lo
	v_cmpx_le_u32_e64 v38, v6
	s_cbranch_execz .LBB604_98
; %bb.114:                              ;   in Loop: Header=BB604_100 Depth=1
	v_cmp_eq_u16_e32 vcc_lo, 0, v41
	v_and_b32_e32 v7, 1, v41
	s_waitcnt lgkmcnt(0)
	v_lshrrev_b32_e32 v41, 16, v42
	v_cndmask_b32_e32 v6, 0, v42, vcc_lo
	v_cmp_eq_u32_e32 vcc_lo, 1, v7
	v_add_nc_u16 v4, v6, v4
	v_cndmask_b32_e64 v7, v41, 1, vcc_lo
	s_branch .LBB604_98
.LBB604_115:
                                        ; implicit-def: $vgpr3
                                        ; implicit-def: $vgpr4
                                        ; implicit-def: $vgpr5
                                        ; implicit-def: $vgpr6
                                        ; implicit-def: $vgpr7
                                        ; implicit-def: $vgpr8
                                        ; implicit-def: $vgpr16
                                        ; implicit-def: $vgpr27
                                        ; implicit-def: $vgpr26
                                        ; implicit-def: $vgpr28
	s_cbranch_execnz .LBB604_121
	s_branch .LBB604_140
.LBB604_116:
	s_and_saveexec_b32 s12, s11
	s_cbranch_execz .LBB604_118
; %bb.117:
	v_and_b32_e32 v2, 0xff0000, v1
	v_mov_b32_e32 v3, 1
	v_and_b32_e32 v4, 0x10000, v1
	s_mov_b32 s31, 0
	s_add_i32 s30, s20, 32
	v_cmp_eq_u32_e32 vcc_lo, 0, v2
	v_and_b32_sdwa v3, v35, v3 dst_sel:WORD_1 dst_unused:UNUSED_PAD src0_sel:DWORD src1_sel:DWORD
	s_lshl_b64 s[30:31], s[30:31], 3
	s_add_u32 s30, s16, s30
	v_cndmask_b32_e32 v2, 0, v36, vcc_lo
	v_cmp_eq_u32_e32 vcc_lo, 0, v4
	s_addc_u32 s31, s17, s31
	v_add_nc_u16 v1, v2, v1
	v_cndmask_b32_e32 v2, 0x10000, v3, vcc_lo
	v_mov_b32_e32 v3, 0
	v_or_b32_sdwa v1, v2, v1 dst_sel:DWORD dst_unused:UNUSED_PAD src0_sel:DWORD src1_sel:WORD_0
	v_mov_b32_e32 v2, 2
	global_store_dwordx2 v3, v[1:2], s[30:31]
.LBB604_118:
	s_or_b32 exec_lo, exec_lo, s12
	s_and_b32 exec_lo, exec_lo, s0
	s_cbranch_execz .LBB604_120
; %bb.119:
	v_mov_b32_e32 v1, 0
	ds_write_b16 v1, v36
	ds_write_b8 v1, v35 offset:2
.LBB604_120:
	s_or_b32 exec_lo, exec_lo, s21
	v_mov_b32_e32 v1, 0
	s_waitcnt lgkmcnt(0)
	s_waitcnt_vscnt null, 0x0
	s_barrier
	buffer_gl0_inv
	v_and_b32_e32 v4, 0xff0000, v23
	ds_read_b32 v2, v1
	v_cmp_eq_u16_sdwa vcc_lo, v26, v1 src0_sel:BYTE_0 src1_sel:DWORD
	s_waitcnt lgkmcnt(0)
	v_cndmask_b32_e32 v1, 0, v2, vcc_lo
	v_cmp_eq_u32_e32 vcc_lo, 0, v4
	v_add_nc_u16 v1, v1, v16
	v_cndmask_b32_e64 v3, v1, v2, s0
	v_cndmask_b32_e32 v1, 0, v3, vcc_lo
	v_add_nc_u16 v4, v1, v23
	v_cndmask_b32_e64 v1, 0, v4, s10
	v_add_nc_u16 v5, v1, v25
	v_cndmask_b32_e64 v1, 0, v5, s9
	;; [unrolled: 2-line block ×8, first 2 shown]
	v_add_nc_u16 v28, v1, v17
	s_branch .LBB604_140
.LBB604_121:
	s_cmp_eq_u64 s[26:27], 0
	v_mov_b32_e32 v1, s28
	s_cselect_b32 s3, -1, 0
	s_cmp_eq_u64 s[22:23], 0
	s_cselect_b32 s4, -1, 0
	s_or_b32 s3, s3, s4
	s_and_b32 vcc_lo, exec_lo, s3
	s_cbranch_vccnz .LBB604_123
; %bb.122:
	v_mov_b32_e32 v1, 0
	global_load_ushort v1, v1, s[22:23]
.LBB604_123:
	v_cmp_gt_u32_e32 vcc_lo, 0x10000, v25
	v_cmp_gt_u32_e64 s3, 0x10000, v24
	v_cmp_gt_u32_e64 s4, 0x10000, v22
	;; [unrolled: 1-line block ×4, first 2 shown]
	v_cndmask_b32_e32 v2, 0, v23, vcc_lo
	v_cmp_gt_u32_e64 s7, 0x10000, v19
	v_cmp_gt_u32_e64 s8, 0x10000, v18
	v_or3_b32 v3, v15, v22, v24
	v_cmp_gt_u32_e64 s9, 0x10000, v17
	v_add_nc_u16 v2, v2, v25
	v_cmp_gt_u32_e64 s10, 0x10000, v11
	v_and_b32_e32 v4, 4, v14
	v_or3_b32 v3, v3, v25, v11
	s_mov_b32 s11, exec_lo
	v_cndmask_b32_e64 v2, 0, v2, s3
	v_lshl_add_u32 v4, v0, 2, v4
	v_and_b32_e32 v3, 0xff0000, v3
	v_add_nc_u16 v2, v2, v24
	v_cndmask_b32_e64 v2, 0, v2, s4
	v_add_nc_u16 v2, v2, v22
	v_cndmask_b32_e64 v2, 0, v2, s5
	;; [unrolled: 2-line block ×7, first 2 shown]
	v_cmp_eq_u32_e64 s10, 0, v3
	v_add_nc_u16 v3, v5, v11
	v_cndmask_b32_e64 v2, 1, v12, s10
	ds_write_b8 v4, v2 offset:2
	ds_write_b16 v4, v3
	s_waitcnt vmcnt(0) lgkmcnt(0)
	s_barrier
	buffer_gl0_inv
	v_cmpx_gt_u32_e32 32, v0
	s_cbranch_execz .LBB604_135
; %bb.124:
	v_lshrrev_b32_e32 v4, 2, v0
	v_lshlrev_b32_e32 v5, 3, v0
	s_mov_b32 s12, exec_lo
	v_and_b32_e32 v4, 12, v4
	v_add_nc_u32_e32 v4, v4, v5
	ds_read_u8 v6, v4 offset:6
	ds_read_b32 v5, v4
	ds_read_u16 v7, v4 offset:4
	s_waitcnt lgkmcnt(2)
	v_cmp_eq_u16_e64 s10, 0, v6
	v_and_b32_e32 v11, 1, v6
	s_waitcnt lgkmcnt(1)
	v_and_b32_e32 v6, 0x10000, v5
	v_cndmask_b32_e64 v8, 0, v5, s10
	v_cmp_eq_u32_e64 s10, 1, v11
	v_mbcnt_lo_u32_b32 v11, -1, 0
	s_waitcnt lgkmcnt(0)
	v_add_nc_u16 v8, v8, v7
	v_and_b32_e32 v7, 0xff000000, v5
	v_cndmask_b32_e64 v12, v6, 0x10000, s10
	v_and_b32_e32 v14, 0xffff, v8
	v_or_b32_e32 v15, v12, v7
	v_or3_b32 v16, v7, v14, v12
	v_and_b32_e32 v12, 15, v11
	v_lshrrev_b32_e32 v14, 16, v15
	v_mov_b32_dpp v26, v16 row_shr:1 row_mask:0xf bank_mask:0xf
	v_cmpx_ne_u32_e32 0, v12
	s_cbranch_execz .LBB604_126
; %bb.125:
	v_mov_b32_e32 v14, 0xff
	v_mov_b32_e32 v16, 1
	v_and_b32_sdwa v14, v15, v14 dst_sel:DWORD dst_unused:UNUSED_PAD src0_sel:WORD_1 src1_sel:DWORD
	v_and_b32_e32 v15, 0x10000, v15
	v_and_b32_sdwa v16, v26, v16 dst_sel:DWORD dst_unused:UNUSED_PAD src0_sel:WORD_1 src1_sel:DWORD
	v_cmp_eq_u16_e64 s10, 0, v14
	v_cndmask_b32_e64 v26, 0, v26, s10
	v_cmp_ne_u32_e64 s10, 0, v15
	v_add_nc_u16 v8, v26, v8
	v_cndmask_b32_e64 v14, v16, 1, s10
	v_and_b32_e32 v16, 0xffff, v8
	v_lshlrev_b32_e32 v15, 16, v14
	v_or3_b32 v16, v15, v16, v7
.LBB604_126:
	s_or_b32 exec_lo, exec_lo, s12
	v_lshrrev_b32_e32 v15, 16, v16
	v_mov_b32_dpp v26, v16 row_shr:2 row_mask:0xf bank_mask:0xf
	s_mov_b32 s12, exec_lo
	v_cmpx_lt_u32_e32 1, v12
	s_cbranch_execz .LBB604_128
; %bb.127:
	v_mov_b32_e32 v27, 0
	v_mov_b32_e32 v14, 1
	v_and_b32_e32 v16, 0x10000, v16
	v_cmp_eq_u16_sdwa s10, v15, v27 src0_sel:BYTE_0 src1_sel:DWORD
	v_and_b32_sdwa v14, v26, v14 dst_sel:DWORD dst_unused:UNUSED_PAD src0_sel:WORD_1 src1_sel:DWORD
	v_cndmask_b32_e64 v15, 0, v26, s10
	v_cmp_ne_u32_e64 s10, 0, v16
	v_add_nc_u16 v8, v15, v8
	v_cndmask_b32_e64 v14, v14, 1, s10
	v_and_b32_e32 v16, 0xffff, v8
	v_lshlrev_b32_e32 v15, 16, v14
	v_or3_b32 v16, v15, v16, v7
	v_mov_b32_e32 v15, v14
.LBB604_128:
	s_or_b32 exec_lo, exec_lo, s12
	v_mov_b32_dpp v26, v16 row_shr:4 row_mask:0xf bank_mask:0xf
	s_mov_b32 s12, exec_lo
	v_cmpx_lt_u32_e32 3, v12
	s_cbranch_execz .LBB604_130
; %bb.129:
	v_mov_b32_e32 v16, 0
	v_mov_b32_e32 v14, 1
	v_and_b32_e32 v27, 1, v15
	v_cmp_eq_u16_sdwa s10, v15, v16 src0_sel:BYTE_0 src1_sel:DWORD
	v_and_b32_sdwa v14, v26, v14 dst_sel:DWORD dst_unused:UNUSED_PAD src0_sel:WORD_1 src1_sel:DWORD
	v_cndmask_b32_e64 v15, 0, v26, s10
	v_cmp_eq_u32_e64 s10, 1, v27
	v_add_nc_u16 v8, v15, v8
	v_cndmask_b32_e64 v14, v14, 1, s10
	v_and_b32_e32 v16, 0xffff, v8
	v_lshlrev_b32_e32 v15, 16, v14
	v_or3_b32 v16, v15, v16, v7
	v_mov_b32_e32 v15, v14
.LBB604_130:
	s_or_b32 exec_lo, exec_lo, s12
	v_mov_b32_dpp v26, v16 row_shr:8 row_mask:0xf bank_mask:0xf
	s_mov_b32 s12, exec_lo
	v_cmpx_lt_u32_e32 7, v12
	s_cbranch_execz .LBB604_132
; %bb.131:
	v_mov_b32_e32 v14, 0
	v_mov_b32_e32 v12, 1
	v_and_b32_e32 v16, 1, v15
	v_cmp_eq_u16_sdwa s10, v15, v14 src0_sel:BYTE_0 src1_sel:DWORD
	v_and_b32_sdwa v12, v26, v12 dst_sel:DWORD dst_unused:UNUSED_PAD src0_sel:WORD_1 src1_sel:DWORD
	v_cndmask_b32_e64 v15, 0, v26, s10
	v_cmp_eq_u32_e64 s10, 1, v16
	v_add_nc_u16 v8, v15, v8
	v_cndmask_b32_e64 v14, v12, 1, s10
	v_and_b32_e32 v15, 0xffff, v8
	v_lshlrev_b32_e32 v12, 16, v14
	v_or3_b32 v16, v12, v15, v7
	v_mov_b32_e32 v15, v14
.LBB604_132:
	s_or_b32 exec_lo, exec_lo, s12
	ds_swizzle_b32 v12, v16 offset:swizzle(BROADCAST,32,15)
	v_and_b32_e32 v16, 16, v11
	s_mov_b32 s12, exec_lo
	v_cmpx_ne_u32_e32 0, v16
	s_cbranch_execz .LBB604_134
; %bb.133:
	v_mov_b32_e32 v14, 0
	v_mov_b32_e32 v16, 1
	v_cmp_eq_u16_sdwa s10, v15, v14 src0_sel:BYTE_0 src1_sel:DWORD
	v_and_b32_e32 v15, 1, v15
	s_waitcnt lgkmcnt(0)
	v_cndmask_b32_e64 v14, 0, v12, s10
	v_and_b32_sdwa v12, v12, v16 dst_sel:DWORD dst_unused:UNUSED_PAD src0_sel:WORD_1 src1_sel:DWORD
	v_cmp_eq_u32_e64 s10, 1, v15
	v_add_nc_u16 v8, v14, v8
	v_cndmask_b32_e64 v14, v12, 1, s10
.LBB604_134:
	s_or_b32 exec_lo, exec_lo, s12
	s_waitcnt lgkmcnt(0)
	v_and_b32_e32 v12, 0xff, v14
	v_add_nc_u32_e32 v14, -1, v11
	v_and_b32_e32 v8, 0xffff, v8
	; wave barrier
	v_lshlrev_b32_e32 v12, 16, v12
	v_cmp_gt_i32_e64 s10, 0, v14
	v_or3_b32 v7, v12, v8, v7
	v_cndmask_b32_e64 v11, v14, v11, s10
	v_lshlrev_b32_e32 v8, 2, v11
	v_mov_b32_e32 v11, 1
	ds_bpermute_b32 v7, v8, v7
	v_and_b32_e32 v8, 0xff0000, v5
	v_cmp_eq_u32_e64 s10, 0, v8
	s_waitcnt lgkmcnt(0)
	v_cndmask_b32_e64 v8, 0, v7, s10
	v_and_b32_sdwa v7, v7, v11 dst_sel:DWORD dst_unused:UNUSED_PAD src0_sel:WORD_1 src1_sel:DWORD
	v_cmp_eq_u32_e64 s10, 0, v6
	v_add_nc_u16 v5, v8, v5
	v_cndmask_b32_e64 v6, 1, v7, s10
	v_cndmask_b32_e64 v3, v5, v3, s0
	;; [unrolled: 1-line block ×3, first 2 shown]
	ds_write_b16 v4, v3
	ds_write_b8 v4, v2 offset:2
	; wave barrier
	ds_read_u8 v5, v4 offset:6
	ds_read_u16 v6, v4 offset:4
	s_waitcnt lgkmcnt(1)
	v_cmp_eq_u16_e64 s10, 0, v5
	v_and_b32_e32 v5, 1, v5
	v_cndmask_b32_e64 v3, 0, v3, s10
	v_cmp_eq_u32_e64 s10, 1, v5
	s_waitcnt lgkmcnt(0)
	v_add_nc_u16 v3, v3, v6
	v_cndmask_b32_e64 v2, v2, 1, s10
	ds_write_b16 v4, v3 offset:4
	ds_write_b8 v4, v2 offset:6
.LBB604_135:
	s_or_b32 exec_lo, exec_lo, s11
	v_mov_b32_e32 v3, v1
	s_waitcnt lgkmcnt(0)
	s_barrier
	buffer_gl0_inv
	s_and_saveexec_b32 s10, s1
	s_cbranch_execz .LBB604_137
; %bb.136:
	v_add_nc_u32_e32 v2, -1, v0
	v_lshrrev_b32_e32 v3, 3, v2
	v_and_b32_e32 v3, 0x1ffffffc, v3
	v_lshl_add_u32 v2, v2, 2, v3
	ds_read_u8 v3, v2 offset:2
	ds_read_u16 v2, v2
	s_waitcnt lgkmcnt(1)
	v_cmp_eq_u16_e64 s1, 0, v3
	v_cndmask_b32_e64 v3, 0, v1, s1
	s_waitcnt lgkmcnt(0)
	v_add_nc_u16 v3, v3, v2
.LBB604_137:
	s_or_b32 exec_lo, exec_lo, s10
	v_and_b32_e32 v2, 0xff0000, v23
	v_cmp_eq_u32_e64 s1, 0, v2
	v_cndmask_b32_e64 v2, 0, v3, s1
	v_add_nc_u16 v4, v2, v23
	v_cndmask_b32_e32 v2, 0, v4, vcc_lo
	v_add_nc_u16 v5, v2, v25
	v_cndmask_b32_e64 v2, 0, v5, s3
	v_add_nc_u16 v6, v2, v24
	v_cndmask_b32_e64 v2, 0, v6, s4
	;; [unrolled: 2-line block ×7, first 2 shown]
	s_and_saveexec_b32 s1, s0
	s_cbranch_execz .LBB604_139
; %bb.138:
	v_mov_b32_e32 v14, 0
	ds_read_u8 v11, v14 offset:258
	ds_read_u16 v12, v14 offset:256
	s_waitcnt lgkmcnt(1)
	v_cmp_eq_u32_e32 vcc_lo, 0, v11
	v_lshlrev_b32_e32 v11, 16, v11
	v_cndmask_b32_e32 v1, 0, v1, vcc_lo
	s_waitcnt lgkmcnt(0)
	v_add_nc_u32_e32 v1, v1, v12
	v_mov_b32_e32 v12, 2
	v_or_b32_sdwa v11, v11, v1 dst_sel:DWORD dst_unused:UNUSED_PAD src0_sel:DWORD src1_sel:WORD_0
	global_store_dwordx2 v14, v[11:12], s[16:17] offset:256
.LBB604_139:
	s_or_b32 exec_lo, exec_lo, s1
	v_add_nc_u16 v28, v2, v17
.LBB604_140:
	s_add_u32 s0, s14, s24
	s_addc_u32 s1, s15, s25
	v_add_co_u32 v9, vcc_lo, s0, v9
	v_add_co_ci_u32_e64 v10, null, s1, v10, vcc_lo
	v_mov_b32_e32 v1, 0
	s_and_b32 vcc_lo, exec_lo, s2
	s_cbranch_vccz .LBB604_180
; %bb.141:
	v_mul_u32_u24_e32 v2, 10, v0
	v_mov_b32_e32 v11, 0
	v_mov_b32_e32 v12, 0
	;; [unrolled: 1-line block ×4, first 2 shown]
	s_add_i32 s19, s19, s18
	s_mov_b32 s0, exec_lo
	v_cmpx_gt_u32_e64 s19, v2
	s_cbranch_execz .LBB604_161
; %bb.142:
	v_or_b32_e32 v15, 1, v2
	v_and_b32_e32 v1, 0xffff, v3
	v_mov_b32_e32 v11, 0
	v_mov_b32_e32 v12, 0
	;; [unrolled: 1-line block ×3, first 2 shown]
	v_cmp_gt_u32_e32 vcc_lo, s19, v15
	v_mov_b32_e32 v15, 0
	s_and_saveexec_b32 s1, vcc_lo
	s_cbranch_execz .LBB604_160
; %bb.143:
	v_perm_b32 v1, v4, v1, 0x5040100
	v_add_nc_u32_e32 v17, 2, v2
	v_mov_b32_e32 v15, 0
	v_mov_b32_e32 v14, 0
	v_mov_b32_e32 v12, 0
	v_mov_b32_e32 v11, 0
	s_mov_b32 s2, exec_lo
	v_cmpx_gt_u32_e64 s19, v17
	s_cbranch_execz .LBB604_159
; %bb.144:
	v_add_nc_u32_e32 v17, 3, v2
	v_bfi_b32 v11, 0xffff, v5, 0
	v_mov_b32_e32 v15, 0
	v_mov_b32_e32 v14, 0
	v_mov_b32_e32 v12, 0
	s_mov_b32 s3, exec_lo
	v_cmpx_gt_u32_e64 s19, v17
	s_cbranch_execz .LBB604_158
; %bb.145:
	v_add_nc_u32_e32 v17, 4, v2
	v_perm_b32 v11, v6, v11, 0x5040100
	v_mov_b32_e32 v15, 0
	v_mov_b32_e32 v14, 0
	;; [unrolled: 1-line block ×3, first 2 shown]
	s_mov_b32 s4, exec_lo
	v_cmpx_gt_u32_e64 s19, v17
	s_cbranch_execz .LBB604_157
; %bb.146:
	v_add_nc_u32_e32 v17, 5, v2
	v_bfi_b32 v12, 0xffff, v7, 0
	v_mov_b32_e32 v15, 0
	v_mov_b32_e32 v14, 0
	s_mov_b32 s5, exec_lo
	v_cmpx_gt_u32_e64 s19, v17
	s_cbranch_execz .LBB604_156
; %bb.147:
	v_add_nc_u32_e32 v17, 6, v2
	v_perm_b32 v12, v8, v12, 0x5040100
	v_mov_b32_e32 v15, 0
	v_mov_b32_e32 v14, 0
	s_mov_b32 s6, exec_lo
	v_cmpx_gt_u32_e64 s19, v17
	s_cbranch_execz .LBB604_155
; %bb.148:
	v_add_nc_u32_e32 v17, 7, v2
	v_bfi_b32 v14, 0xffff, v16, 0
	v_mov_b32_e32 v15, 0
	s_mov_b32 s7, exec_lo
	v_cmpx_gt_u32_e64 s19, v17
	s_cbranch_execz .LBB604_154
; %bb.149:
	v_add_nc_u32_e32 v17, 8, v2
	v_perm_b32 v14, v27, v14, 0x5040100
	v_mov_b32_e32 v15, 0
	s_mov_b32 s8, exec_lo
	v_cmpx_gt_u32_e64 s19, v17
	s_cbranch_execz .LBB604_153
; %bb.150:
	v_add_nc_u32_e32 v17, 9, v2
	v_bfi_b32 v15, 0xffff, v26, 0
	s_mov_b32 s9, exec_lo
	v_cmpx_gt_u32_e64 s19, v17
; %bb.151:
	v_perm_b32 v15, v28, v15, 0x5040100
; %bb.152:
	s_or_b32 exec_lo, exec_lo, s9
.LBB604_153:
	s_or_b32 exec_lo, exec_lo, s8
.LBB604_154:
	s_or_b32 exec_lo, exec_lo, s7
.LBB604_155:
	s_or_b32 exec_lo, exec_lo, s6
.LBB604_156:
	s_or_b32 exec_lo, exec_lo, s5
.LBB604_157:
	s_or_b32 exec_lo, exec_lo, s4
.LBB604_158:
	s_or_b32 exec_lo, exec_lo, s3
.LBB604_159:
	s_or_b32 exec_lo, exec_lo, s2
.LBB604_160:
	s_or_b32 exec_lo, exec_lo, s1
.LBB604_161:
	s_or_b32 exec_lo, exec_lo, s0
	v_lshlrev_b32_e32 v21, 1, v2
	s_waitcnt_vscnt null, 0x0
	s_barrier
	buffer_gl0_inv
	s_mov_b32 s0, exec_lo
	ds_write2_b32 v21, v1, v11 offset1:1
	ds_write2_b32 v21, v12, v14 offset0:2 offset1:3
	v_mad_i32_i24 v1, 0xffffffee, v0, v21
	ds_write_b32 v21, v15 offset:16
	s_waitcnt lgkmcnt(0)
	s_barrier
	buffer_gl0_inv
	ds_read_u16 v22, v1 offset:128
	ds_read_u16 v20, v1 offset:256
	;; [unrolled: 1-line block ×9, first 2 shown]
	v_add_co_u32 v1, vcc_lo, v9, v13
	v_add_co_ci_u32_e64 v2, null, 0, v10, vcc_lo
	v_cmpx_gt_u32_e64 s19, v0
	s_cbranch_execz .LBB604_163
; %bb.162:
	v_mul_i32_i24_e32 v23, 0xffffffee, v0
	v_add_nc_u32_e32 v21, v21, v23
	ds_read_u16 v21, v21
	s_waitcnt lgkmcnt(0)
	flat_store_short v[1:2], v21
.LBB604_163:
	s_or_b32 exec_lo, exec_lo, s0
	v_or_b32_e32 v21, 64, v0
	s_mov_b32 s0, exec_lo
	v_cmpx_gt_u32_e64 s19, v21
	s_cbranch_execz .LBB604_165
; %bb.164:
	s_waitcnt lgkmcnt(8)
	flat_store_short v[1:2], v22 offset:128
.LBB604_165:
	s_or_b32 exec_lo, exec_lo, s0
	v_or_b32_e32 v21, 0x80, v0
	s_mov_b32 s0, exec_lo
	v_cmpx_gt_u32_e64 s19, v21
	s_cbranch_execz .LBB604_167
; %bb.166:
	s_waitcnt lgkmcnt(7)
	flat_store_short v[1:2], v20 offset:256
.LBB604_167:
	s_or_b32 exec_lo, exec_lo, s0
	s_waitcnt lgkmcnt(7)
	v_or_b32_e32 v20, 0xc0, v0
	s_mov_b32 s0, exec_lo
	v_cmpx_gt_u32_e64 s19, v20
	s_cbranch_execz .LBB604_169
; %bb.168:
	s_waitcnt lgkmcnt(6)
	flat_store_short v[1:2], v19 offset:384
.LBB604_169:
	s_or_b32 exec_lo, exec_lo, s0
	s_waitcnt lgkmcnt(6)
	;; [unrolled: 10-line block ×6, first 2 shown]
	v_or_b32_e32 v14, 0x200, v0
	s_mov_b32 s0, exec_lo
	v_cmpx_gt_u32_e64 s19, v14
	s_cbranch_execz .LBB604_179
; %bb.178:
	s_waitcnt lgkmcnt(1)
	flat_store_short v[1:2], v12 offset:1024
.LBB604_179:
	s_or_b32 exec_lo, exec_lo, s0
	v_or_b32_e32 v1, 0x240, v0
	v_cmp_gt_u32_e64 s0, s19, v1
	s_branch .LBB604_182
.LBB604_180:
	s_mov_b32 s0, 0
                                        ; implicit-def: $vgpr11
	s_cbranch_execz .LBB604_182
; %bb.181:
	v_mul_u32_u24_e32 v1, 20, v0
	v_perm_b32 v2, v6, v5, 0x5040100
	v_perm_b32 v3, v4, v3, 0x5040100
	v_mul_i32_i24_e32 v6, 0xffffffee, v0
	v_perm_b32 v4, v27, v16, 0x5040100
	v_perm_b32 v5, v8, v7, 0x5040100
	s_waitcnt lgkmcnt(0)
	s_waitcnt_vscnt null, 0x0
	s_barrier
	v_perm_b32 v7, v28, v26, 0x5040100
	buffer_gl0_inv
	ds_write2_b32 v1, v3, v2 offset1:1
	ds_write2_b32 v1, v5, v4 offset0:2 offset1:3
	v_mad_u32_u24 v2, v0, 20, v6
	s_or_b32 s0, s0, exec_lo
	ds_write_b32 v1, v7 offset:16
	s_waitcnt lgkmcnt(0)
	s_barrier
	buffer_gl0_inv
	ds_read_u16 v3, v2
	ds_read_u16 v4, v2 offset:128
	ds_read_u16 v5, v2 offset:256
	;; [unrolled: 1-line block ×9, first 2 shown]
	v_add_co_u32 v1, vcc_lo, v9, v13
	v_add_co_ci_u32_e64 v2, null, 0, v10, vcc_lo
	s_waitcnt lgkmcnt(9)
	flat_store_short v[1:2], v3
	s_waitcnt lgkmcnt(9)
	flat_store_short v[1:2], v4 offset:128
	s_waitcnt lgkmcnt(9)
	flat_store_short v[1:2], v5 offset:256
	;; [unrolled: 2-line block ×8, first 2 shown]
.LBB604_182:
	s_and_saveexec_b32 s1, s0
	s_cbranch_execnz .LBB604_184
; %bb.183:
	s_endpgm
.LBB604_184:
	v_lshlrev_b32_e32 v0, 1, v0
	v_add_co_u32 v0, vcc_lo, v9, v0
	v_add_co_ci_u32_e64 v1, null, 0, v10, vcc_lo
	s_waitcnt lgkmcnt(0)
	flat_store_short v[0:1], v11 offset:1152
	s_endpgm
.LBB604_185:
	v_add_co_u32 v3, s11, v26, v18
	v_add_co_ci_u32_e64 v4, null, 0, v27, s11
	v_mov_b32_e32 v2, v1
	v_mov_b32_e32 v5, v1
	;; [unrolled: 1-line block ×3, first 2 shown]
	flat_load_short_d16 v2, v[3:4]
	v_mov_b32_e32 v3, v1
	v_mov_b32_e32 v4, v1
	s_waitcnt vmcnt(0) lgkmcnt(0)
	v_mov_b32_e32 v1, v2
	v_mov_b32_e32 v2, v3
	;; [unrolled: 1-line block ×8, first 2 shown]
	s_or_b32 exec_lo, exec_lo, s12
	s_and_saveexec_b32 s11, s10
	s_cbranch_execz .LBB604_29
.LBB604_186:
	v_add_co_u32 v6, s10, v26, v18
	v_add_co_ci_u32_e64 v7, null, 0, v27, s10
	flat_load_short_d16_hi v1, v[6:7] offset:128
	s_or_b32 exec_lo, exec_lo, s11
	s_and_saveexec_b32 s10, s9
	s_cbranch_execz .LBB604_30
.LBB604_187:
	v_add_co_u32 v6, s9, v26, v18
	v_add_co_ci_u32_e64 v7, null, 0, v27, s9
	flat_load_short_d16 v2, v[6:7] offset:256
	s_or_b32 exec_lo, exec_lo, s10
	s_and_saveexec_b32 s9, s8
	s_cbranch_execz .LBB604_31
.LBB604_188:
	v_add_co_u32 v6, s8, v26, v18
	v_add_co_ci_u32_e64 v7, null, 0, v27, s8
	s_waitcnt vmcnt(0) lgkmcnt(0)
	flat_load_short_d16_hi v2, v[6:7] offset:384
	s_or_b32 exec_lo, exec_lo, s9
	s_and_saveexec_b32 s8, s7
	s_cbranch_execz .LBB604_32
.LBB604_189:
	v_add_co_u32 v6, s7, v26, v18
	v_add_co_ci_u32_e64 v7, null, 0, v27, s7
	flat_load_short_d16 v3, v[6:7] offset:512
	s_or_b32 exec_lo, exec_lo, s8
	s_and_saveexec_b32 s7, s6
	s_cbranch_execz .LBB604_33
.LBB604_190:
	v_add_co_u32 v6, s6, v26, v18
	v_add_co_ci_u32_e64 v7, null, 0, v27, s6
	s_waitcnt vmcnt(0) lgkmcnt(0)
	flat_load_short_d16_hi v3, v[6:7] offset:640
	s_or_b32 exec_lo, exec_lo, s7
	s_and_saveexec_b32 s6, s5
	s_cbranch_execz .LBB604_34
.LBB604_191:
	v_add_co_u32 v6, s5, v26, v18
	v_add_co_ci_u32_e64 v7, null, 0, v27, s5
	flat_load_short_d16 v4, v[6:7] offset:768
	s_or_b32 exec_lo, exec_lo, s6
	s_and_saveexec_b32 s5, s4
	s_cbranch_execz .LBB604_35
.LBB604_192:
	v_add_co_u32 v6, s4, v26, v18
	v_add_co_ci_u32_e64 v7, null, 0, v27, s4
	s_waitcnt vmcnt(0) lgkmcnt(0)
	flat_load_short_d16_hi v4, v[6:7] offset:896
	s_or_b32 exec_lo, exec_lo, s5
	s_and_saveexec_b32 s4, s3
	s_cbranch_execz .LBB604_36
.LBB604_193:
	v_add_co_u32 v6, s3, v26, v18
	v_add_co_ci_u32_e64 v7, null, 0, v27, s3
	flat_load_short_d16 v5, v[6:7] offset:1024
	s_or_b32 exec_lo, exec_lo, s4
	v_mul_u32_u24_e32 v35, 10, v0
	s_and_saveexec_b32 s3, vcc_lo
	s_cbranch_execnz .LBB604_37
	s_branch .LBB604_38
	.section	.rodata,"a",@progbits
	.p2align	6, 0x0
	.amdhsa_kernel _ZN7rocprim17ROCPRIM_400000_NS6detail17trampoline_kernelINS0_14default_configENS1_27scan_by_key_config_selectorIssEEZZNS1_16scan_by_key_implILNS1_25lookback_scan_determinismE0ELb1ES3_N6thrust23THRUST_200600_302600_NS6detail15normal_iteratorINS9_10device_ptrIsEEEESE_SE_sNS9_4plusIvEENS9_8equal_toIvEEsEE10hipError_tPvRmT2_T3_T4_T5_mT6_T7_P12ihipStream_tbENKUlT_T0_E_clISt17integral_constantIbLb0EESY_IbLb1EEEEDaSU_SV_EUlSU_E_NS1_11comp_targetILNS1_3genE8ELNS1_11target_archE1030ELNS1_3gpuE2ELNS1_3repE0EEENS1_30default_config_static_selectorELNS0_4arch9wavefront6targetE0EEEvT1_
		.amdhsa_group_segment_fixed_size 1536
		.amdhsa_private_segment_fixed_size 0
		.amdhsa_kernarg_size 112
		.amdhsa_user_sgpr_count 6
		.amdhsa_user_sgpr_private_segment_buffer 1
		.amdhsa_user_sgpr_dispatch_ptr 0
		.amdhsa_user_sgpr_queue_ptr 0
		.amdhsa_user_sgpr_kernarg_segment_ptr 1
		.amdhsa_user_sgpr_dispatch_id 0
		.amdhsa_user_sgpr_flat_scratch_init 0
		.amdhsa_user_sgpr_private_segment_size 0
		.amdhsa_wavefront_size32 1
		.amdhsa_uses_dynamic_stack 0
		.amdhsa_system_sgpr_private_segment_wavefront_offset 0
		.amdhsa_system_sgpr_workgroup_id_x 1
		.amdhsa_system_sgpr_workgroup_id_y 0
		.amdhsa_system_sgpr_workgroup_id_z 0
		.amdhsa_system_sgpr_workgroup_info 0
		.amdhsa_system_vgpr_workitem_id 0
		.amdhsa_next_free_vgpr 44
		.amdhsa_next_free_sgpr 32
		.amdhsa_reserve_vcc 1
		.amdhsa_reserve_flat_scratch 1
		.amdhsa_float_round_mode_32 0
		.amdhsa_float_round_mode_16_64 0
		.amdhsa_float_denorm_mode_32 3
		.amdhsa_float_denorm_mode_16_64 3
		.amdhsa_dx10_clamp 1
		.amdhsa_ieee_mode 1
		.amdhsa_fp16_overflow 0
		.amdhsa_workgroup_processor_mode 1
		.amdhsa_memory_ordered 1
		.amdhsa_forward_progress 1
		.amdhsa_shared_vgpr_count 0
		.amdhsa_exception_fp_ieee_invalid_op 0
		.amdhsa_exception_fp_denorm_src 0
		.amdhsa_exception_fp_ieee_div_zero 0
		.amdhsa_exception_fp_ieee_overflow 0
		.amdhsa_exception_fp_ieee_underflow 0
		.amdhsa_exception_fp_ieee_inexact 0
		.amdhsa_exception_int_div_zero 0
	.end_amdhsa_kernel
	.section	.text._ZN7rocprim17ROCPRIM_400000_NS6detail17trampoline_kernelINS0_14default_configENS1_27scan_by_key_config_selectorIssEEZZNS1_16scan_by_key_implILNS1_25lookback_scan_determinismE0ELb1ES3_N6thrust23THRUST_200600_302600_NS6detail15normal_iteratorINS9_10device_ptrIsEEEESE_SE_sNS9_4plusIvEENS9_8equal_toIvEEsEE10hipError_tPvRmT2_T3_T4_T5_mT6_T7_P12ihipStream_tbENKUlT_T0_E_clISt17integral_constantIbLb0EESY_IbLb1EEEEDaSU_SV_EUlSU_E_NS1_11comp_targetILNS1_3genE8ELNS1_11target_archE1030ELNS1_3gpuE2ELNS1_3repE0EEENS1_30default_config_static_selectorELNS0_4arch9wavefront6targetE0EEEvT1_,"axG",@progbits,_ZN7rocprim17ROCPRIM_400000_NS6detail17trampoline_kernelINS0_14default_configENS1_27scan_by_key_config_selectorIssEEZZNS1_16scan_by_key_implILNS1_25lookback_scan_determinismE0ELb1ES3_N6thrust23THRUST_200600_302600_NS6detail15normal_iteratorINS9_10device_ptrIsEEEESE_SE_sNS9_4plusIvEENS9_8equal_toIvEEsEE10hipError_tPvRmT2_T3_T4_T5_mT6_T7_P12ihipStream_tbENKUlT_T0_E_clISt17integral_constantIbLb0EESY_IbLb1EEEEDaSU_SV_EUlSU_E_NS1_11comp_targetILNS1_3genE8ELNS1_11target_archE1030ELNS1_3gpuE2ELNS1_3repE0EEENS1_30default_config_static_selectorELNS0_4arch9wavefront6targetE0EEEvT1_,comdat
.Lfunc_end604:
	.size	_ZN7rocprim17ROCPRIM_400000_NS6detail17trampoline_kernelINS0_14default_configENS1_27scan_by_key_config_selectorIssEEZZNS1_16scan_by_key_implILNS1_25lookback_scan_determinismE0ELb1ES3_N6thrust23THRUST_200600_302600_NS6detail15normal_iteratorINS9_10device_ptrIsEEEESE_SE_sNS9_4plusIvEENS9_8equal_toIvEEsEE10hipError_tPvRmT2_T3_T4_T5_mT6_T7_P12ihipStream_tbENKUlT_T0_E_clISt17integral_constantIbLb0EESY_IbLb1EEEEDaSU_SV_EUlSU_E_NS1_11comp_targetILNS1_3genE8ELNS1_11target_archE1030ELNS1_3gpuE2ELNS1_3repE0EEENS1_30default_config_static_selectorELNS0_4arch9wavefront6targetE0EEEvT1_, .Lfunc_end604-_ZN7rocprim17ROCPRIM_400000_NS6detail17trampoline_kernelINS0_14default_configENS1_27scan_by_key_config_selectorIssEEZZNS1_16scan_by_key_implILNS1_25lookback_scan_determinismE0ELb1ES3_N6thrust23THRUST_200600_302600_NS6detail15normal_iteratorINS9_10device_ptrIsEEEESE_SE_sNS9_4plusIvEENS9_8equal_toIvEEsEE10hipError_tPvRmT2_T3_T4_T5_mT6_T7_P12ihipStream_tbENKUlT_T0_E_clISt17integral_constantIbLb0EESY_IbLb1EEEEDaSU_SV_EUlSU_E_NS1_11comp_targetILNS1_3genE8ELNS1_11target_archE1030ELNS1_3gpuE2ELNS1_3repE0EEENS1_30default_config_static_selectorELNS0_4arch9wavefront6targetE0EEEvT1_
                                        ; -- End function
	.set _ZN7rocprim17ROCPRIM_400000_NS6detail17trampoline_kernelINS0_14default_configENS1_27scan_by_key_config_selectorIssEEZZNS1_16scan_by_key_implILNS1_25lookback_scan_determinismE0ELb1ES3_N6thrust23THRUST_200600_302600_NS6detail15normal_iteratorINS9_10device_ptrIsEEEESE_SE_sNS9_4plusIvEENS9_8equal_toIvEEsEE10hipError_tPvRmT2_T3_T4_T5_mT6_T7_P12ihipStream_tbENKUlT_T0_E_clISt17integral_constantIbLb0EESY_IbLb1EEEEDaSU_SV_EUlSU_E_NS1_11comp_targetILNS1_3genE8ELNS1_11target_archE1030ELNS1_3gpuE2ELNS1_3repE0EEENS1_30default_config_static_selectorELNS0_4arch9wavefront6targetE0EEEvT1_.num_vgpr, 44
	.set _ZN7rocprim17ROCPRIM_400000_NS6detail17trampoline_kernelINS0_14default_configENS1_27scan_by_key_config_selectorIssEEZZNS1_16scan_by_key_implILNS1_25lookback_scan_determinismE0ELb1ES3_N6thrust23THRUST_200600_302600_NS6detail15normal_iteratorINS9_10device_ptrIsEEEESE_SE_sNS9_4plusIvEENS9_8equal_toIvEEsEE10hipError_tPvRmT2_T3_T4_T5_mT6_T7_P12ihipStream_tbENKUlT_T0_E_clISt17integral_constantIbLb0EESY_IbLb1EEEEDaSU_SV_EUlSU_E_NS1_11comp_targetILNS1_3genE8ELNS1_11target_archE1030ELNS1_3gpuE2ELNS1_3repE0EEENS1_30default_config_static_selectorELNS0_4arch9wavefront6targetE0EEEvT1_.num_agpr, 0
	.set _ZN7rocprim17ROCPRIM_400000_NS6detail17trampoline_kernelINS0_14default_configENS1_27scan_by_key_config_selectorIssEEZZNS1_16scan_by_key_implILNS1_25lookback_scan_determinismE0ELb1ES3_N6thrust23THRUST_200600_302600_NS6detail15normal_iteratorINS9_10device_ptrIsEEEESE_SE_sNS9_4plusIvEENS9_8equal_toIvEEsEE10hipError_tPvRmT2_T3_T4_T5_mT6_T7_P12ihipStream_tbENKUlT_T0_E_clISt17integral_constantIbLb0EESY_IbLb1EEEEDaSU_SV_EUlSU_E_NS1_11comp_targetILNS1_3genE8ELNS1_11target_archE1030ELNS1_3gpuE2ELNS1_3repE0EEENS1_30default_config_static_selectorELNS0_4arch9wavefront6targetE0EEEvT1_.numbered_sgpr, 32
	.set _ZN7rocprim17ROCPRIM_400000_NS6detail17trampoline_kernelINS0_14default_configENS1_27scan_by_key_config_selectorIssEEZZNS1_16scan_by_key_implILNS1_25lookback_scan_determinismE0ELb1ES3_N6thrust23THRUST_200600_302600_NS6detail15normal_iteratorINS9_10device_ptrIsEEEESE_SE_sNS9_4plusIvEENS9_8equal_toIvEEsEE10hipError_tPvRmT2_T3_T4_T5_mT6_T7_P12ihipStream_tbENKUlT_T0_E_clISt17integral_constantIbLb0EESY_IbLb1EEEEDaSU_SV_EUlSU_E_NS1_11comp_targetILNS1_3genE8ELNS1_11target_archE1030ELNS1_3gpuE2ELNS1_3repE0EEENS1_30default_config_static_selectorELNS0_4arch9wavefront6targetE0EEEvT1_.num_named_barrier, 0
	.set _ZN7rocprim17ROCPRIM_400000_NS6detail17trampoline_kernelINS0_14default_configENS1_27scan_by_key_config_selectorIssEEZZNS1_16scan_by_key_implILNS1_25lookback_scan_determinismE0ELb1ES3_N6thrust23THRUST_200600_302600_NS6detail15normal_iteratorINS9_10device_ptrIsEEEESE_SE_sNS9_4plusIvEENS9_8equal_toIvEEsEE10hipError_tPvRmT2_T3_T4_T5_mT6_T7_P12ihipStream_tbENKUlT_T0_E_clISt17integral_constantIbLb0EESY_IbLb1EEEEDaSU_SV_EUlSU_E_NS1_11comp_targetILNS1_3genE8ELNS1_11target_archE1030ELNS1_3gpuE2ELNS1_3repE0EEENS1_30default_config_static_selectorELNS0_4arch9wavefront6targetE0EEEvT1_.private_seg_size, 0
	.set _ZN7rocprim17ROCPRIM_400000_NS6detail17trampoline_kernelINS0_14default_configENS1_27scan_by_key_config_selectorIssEEZZNS1_16scan_by_key_implILNS1_25lookback_scan_determinismE0ELb1ES3_N6thrust23THRUST_200600_302600_NS6detail15normal_iteratorINS9_10device_ptrIsEEEESE_SE_sNS9_4plusIvEENS9_8equal_toIvEEsEE10hipError_tPvRmT2_T3_T4_T5_mT6_T7_P12ihipStream_tbENKUlT_T0_E_clISt17integral_constantIbLb0EESY_IbLb1EEEEDaSU_SV_EUlSU_E_NS1_11comp_targetILNS1_3genE8ELNS1_11target_archE1030ELNS1_3gpuE2ELNS1_3repE0EEENS1_30default_config_static_selectorELNS0_4arch9wavefront6targetE0EEEvT1_.uses_vcc, 1
	.set _ZN7rocprim17ROCPRIM_400000_NS6detail17trampoline_kernelINS0_14default_configENS1_27scan_by_key_config_selectorIssEEZZNS1_16scan_by_key_implILNS1_25lookback_scan_determinismE0ELb1ES3_N6thrust23THRUST_200600_302600_NS6detail15normal_iteratorINS9_10device_ptrIsEEEESE_SE_sNS9_4plusIvEENS9_8equal_toIvEEsEE10hipError_tPvRmT2_T3_T4_T5_mT6_T7_P12ihipStream_tbENKUlT_T0_E_clISt17integral_constantIbLb0EESY_IbLb1EEEEDaSU_SV_EUlSU_E_NS1_11comp_targetILNS1_3genE8ELNS1_11target_archE1030ELNS1_3gpuE2ELNS1_3repE0EEENS1_30default_config_static_selectorELNS0_4arch9wavefront6targetE0EEEvT1_.uses_flat_scratch, 1
	.set _ZN7rocprim17ROCPRIM_400000_NS6detail17trampoline_kernelINS0_14default_configENS1_27scan_by_key_config_selectorIssEEZZNS1_16scan_by_key_implILNS1_25lookback_scan_determinismE0ELb1ES3_N6thrust23THRUST_200600_302600_NS6detail15normal_iteratorINS9_10device_ptrIsEEEESE_SE_sNS9_4plusIvEENS9_8equal_toIvEEsEE10hipError_tPvRmT2_T3_T4_T5_mT6_T7_P12ihipStream_tbENKUlT_T0_E_clISt17integral_constantIbLb0EESY_IbLb1EEEEDaSU_SV_EUlSU_E_NS1_11comp_targetILNS1_3genE8ELNS1_11target_archE1030ELNS1_3gpuE2ELNS1_3repE0EEENS1_30default_config_static_selectorELNS0_4arch9wavefront6targetE0EEEvT1_.has_dyn_sized_stack, 0
	.set _ZN7rocprim17ROCPRIM_400000_NS6detail17trampoline_kernelINS0_14default_configENS1_27scan_by_key_config_selectorIssEEZZNS1_16scan_by_key_implILNS1_25lookback_scan_determinismE0ELb1ES3_N6thrust23THRUST_200600_302600_NS6detail15normal_iteratorINS9_10device_ptrIsEEEESE_SE_sNS9_4plusIvEENS9_8equal_toIvEEsEE10hipError_tPvRmT2_T3_T4_T5_mT6_T7_P12ihipStream_tbENKUlT_T0_E_clISt17integral_constantIbLb0EESY_IbLb1EEEEDaSU_SV_EUlSU_E_NS1_11comp_targetILNS1_3genE8ELNS1_11target_archE1030ELNS1_3gpuE2ELNS1_3repE0EEENS1_30default_config_static_selectorELNS0_4arch9wavefront6targetE0EEEvT1_.has_recursion, 0
	.set _ZN7rocprim17ROCPRIM_400000_NS6detail17trampoline_kernelINS0_14default_configENS1_27scan_by_key_config_selectorIssEEZZNS1_16scan_by_key_implILNS1_25lookback_scan_determinismE0ELb1ES3_N6thrust23THRUST_200600_302600_NS6detail15normal_iteratorINS9_10device_ptrIsEEEESE_SE_sNS9_4plusIvEENS9_8equal_toIvEEsEE10hipError_tPvRmT2_T3_T4_T5_mT6_T7_P12ihipStream_tbENKUlT_T0_E_clISt17integral_constantIbLb0EESY_IbLb1EEEEDaSU_SV_EUlSU_E_NS1_11comp_targetILNS1_3genE8ELNS1_11target_archE1030ELNS1_3gpuE2ELNS1_3repE0EEENS1_30default_config_static_selectorELNS0_4arch9wavefront6targetE0EEEvT1_.has_indirect_call, 0
	.section	.AMDGPU.csdata,"",@progbits
; Kernel info:
; codeLenInByte = 10432
; TotalNumSgprs: 34
; NumVgprs: 44
; ScratchSize: 0
; MemoryBound: 0
; FloatMode: 240
; IeeeMode: 1
; LDSByteSize: 1536 bytes/workgroup (compile time only)
; SGPRBlocks: 0
; VGPRBlocks: 5
; NumSGPRsForWavesPerEU: 34
; NumVGPRsForWavesPerEU: 44
; Occupancy: 16
; WaveLimiterHint : 1
; COMPUTE_PGM_RSRC2:SCRATCH_EN: 0
; COMPUTE_PGM_RSRC2:USER_SGPR: 6
; COMPUTE_PGM_RSRC2:TRAP_HANDLER: 0
; COMPUTE_PGM_RSRC2:TGID_X_EN: 1
; COMPUTE_PGM_RSRC2:TGID_Y_EN: 0
; COMPUTE_PGM_RSRC2:TGID_Z_EN: 0
; COMPUTE_PGM_RSRC2:TIDIG_COMP_CNT: 0
	.section	.text._ZN7rocprim17ROCPRIM_400000_NS6detail17trampoline_kernelINS0_14default_configENS1_27scan_by_key_config_selectorIssEEZZNS1_16scan_by_key_implILNS1_25lookback_scan_determinismE0ELb1ES3_N6thrust23THRUST_200600_302600_NS6detail15normal_iteratorINS9_10device_ptrIsEEEESE_SE_sNS9_10multipliesIsEENS9_8equal_toIsEEsEE10hipError_tPvRmT2_T3_T4_T5_mT6_T7_P12ihipStream_tbENKUlT_T0_E_clISt17integral_constantIbLb0EESZ_EEDaSU_SV_EUlSU_E_NS1_11comp_targetILNS1_3genE0ELNS1_11target_archE4294967295ELNS1_3gpuE0ELNS1_3repE0EEENS1_30default_config_static_selectorELNS0_4arch9wavefront6targetE0EEEvT1_,"axG",@progbits,_ZN7rocprim17ROCPRIM_400000_NS6detail17trampoline_kernelINS0_14default_configENS1_27scan_by_key_config_selectorIssEEZZNS1_16scan_by_key_implILNS1_25lookback_scan_determinismE0ELb1ES3_N6thrust23THRUST_200600_302600_NS6detail15normal_iteratorINS9_10device_ptrIsEEEESE_SE_sNS9_10multipliesIsEENS9_8equal_toIsEEsEE10hipError_tPvRmT2_T3_T4_T5_mT6_T7_P12ihipStream_tbENKUlT_T0_E_clISt17integral_constantIbLb0EESZ_EEDaSU_SV_EUlSU_E_NS1_11comp_targetILNS1_3genE0ELNS1_11target_archE4294967295ELNS1_3gpuE0ELNS1_3repE0EEENS1_30default_config_static_selectorELNS0_4arch9wavefront6targetE0EEEvT1_,comdat
	.protected	_ZN7rocprim17ROCPRIM_400000_NS6detail17trampoline_kernelINS0_14default_configENS1_27scan_by_key_config_selectorIssEEZZNS1_16scan_by_key_implILNS1_25lookback_scan_determinismE0ELb1ES3_N6thrust23THRUST_200600_302600_NS6detail15normal_iteratorINS9_10device_ptrIsEEEESE_SE_sNS9_10multipliesIsEENS9_8equal_toIsEEsEE10hipError_tPvRmT2_T3_T4_T5_mT6_T7_P12ihipStream_tbENKUlT_T0_E_clISt17integral_constantIbLb0EESZ_EEDaSU_SV_EUlSU_E_NS1_11comp_targetILNS1_3genE0ELNS1_11target_archE4294967295ELNS1_3gpuE0ELNS1_3repE0EEENS1_30default_config_static_selectorELNS0_4arch9wavefront6targetE0EEEvT1_ ; -- Begin function _ZN7rocprim17ROCPRIM_400000_NS6detail17trampoline_kernelINS0_14default_configENS1_27scan_by_key_config_selectorIssEEZZNS1_16scan_by_key_implILNS1_25lookback_scan_determinismE0ELb1ES3_N6thrust23THRUST_200600_302600_NS6detail15normal_iteratorINS9_10device_ptrIsEEEESE_SE_sNS9_10multipliesIsEENS9_8equal_toIsEEsEE10hipError_tPvRmT2_T3_T4_T5_mT6_T7_P12ihipStream_tbENKUlT_T0_E_clISt17integral_constantIbLb0EESZ_EEDaSU_SV_EUlSU_E_NS1_11comp_targetILNS1_3genE0ELNS1_11target_archE4294967295ELNS1_3gpuE0ELNS1_3repE0EEENS1_30default_config_static_selectorELNS0_4arch9wavefront6targetE0EEEvT1_
	.globl	_ZN7rocprim17ROCPRIM_400000_NS6detail17trampoline_kernelINS0_14default_configENS1_27scan_by_key_config_selectorIssEEZZNS1_16scan_by_key_implILNS1_25lookback_scan_determinismE0ELb1ES3_N6thrust23THRUST_200600_302600_NS6detail15normal_iteratorINS9_10device_ptrIsEEEESE_SE_sNS9_10multipliesIsEENS9_8equal_toIsEEsEE10hipError_tPvRmT2_T3_T4_T5_mT6_T7_P12ihipStream_tbENKUlT_T0_E_clISt17integral_constantIbLb0EESZ_EEDaSU_SV_EUlSU_E_NS1_11comp_targetILNS1_3genE0ELNS1_11target_archE4294967295ELNS1_3gpuE0ELNS1_3repE0EEENS1_30default_config_static_selectorELNS0_4arch9wavefront6targetE0EEEvT1_
	.p2align	8
	.type	_ZN7rocprim17ROCPRIM_400000_NS6detail17trampoline_kernelINS0_14default_configENS1_27scan_by_key_config_selectorIssEEZZNS1_16scan_by_key_implILNS1_25lookback_scan_determinismE0ELb1ES3_N6thrust23THRUST_200600_302600_NS6detail15normal_iteratorINS9_10device_ptrIsEEEESE_SE_sNS9_10multipliesIsEENS9_8equal_toIsEEsEE10hipError_tPvRmT2_T3_T4_T5_mT6_T7_P12ihipStream_tbENKUlT_T0_E_clISt17integral_constantIbLb0EESZ_EEDaSU_SV_EUlSU_E_NS1_11comp_targetILNS1_3genE0ELNS1_11target_archE4294967295ELNS1_3gpuE0ELNS1_3repE0EEENS1_30default_config_static_selectorELNS0_4arch9wavefront6targetE0EEEvT1_,@function
_ZN7rocprim17ROCPRIM_400000_NS6detail17trampoline_kernelINS0_14default_configENS1_27scan_by_key_config_selectorIssEEZZNS1_16scan_by_key_implILNS1_25lookback_scan_determinismE0ELb1ES3_N6thrust23THRUST_200600_302600_NS6detail15normal_iteratorINS9_10device_ptrIsEEEESE_SE_sNS9_10multipliesIsEENS9_8equal_toIsEEsEE10hipError_tPvRmT2_T3_T4_T5_mT6_T7_P12ihipStream_tbENKUlT_T0_E_clISt17integral_constantIbLb0EESZ_EEDaSU_SV_EUlSU_E_NS1_11comp_targetILNS1_3genE0ELNS1_11target_archE4294967295ELNS1_3gpuE0ELNS1_3repE0EEENS1_30default_config_static_selectorELNS0_4arch9wavefront6targetE0EEEvT1_: ; @_ZN7rocprim17ROCPRIM_400000_NS6detail17trampoline_kernelINS0_14default_configENS1_27scan_by_key_config_selectorIssEEZZNS1_16scan_by_key_implILNS1_25lookback_scan_determinismE0ELb1ES3_N6thrust23THRUST_200600_302600_NS6detail15normal_iteratorINS9_10device_ptrIsEEEESE_SE_sNS9_10multipliesIsEENS9_8equal_toIsEEsEE10hipError_tPvRmT2_T3_T4_T5_mT6_T7_P12ihipStream_tbENKUlT_T0_E_clISt17integral_constantIbLb0EESZ_EEDaSU_SV_EUlSU_E_NS1_11comp_targetILNS1_3genE0ELNS1_11target_archE4294967295ELNS1_3gpuE0ELNS1_3repE0EEENS1_30default_config_static_selectorELNS0_4arch9wavefront6targetE0EEEvT1_
; %bb.0:
	.section	.rodata,"a",@progbits
	.p2align	6, 0x0
	.amdhsa_kernel _ZN7rocprim17ROCPRIM_400000_NS6detail17trampoline_kernelINS0_14default_configENS1_27scan_by_key_config_selectorIssEEZZNS1_16scan_by_key_implILNS1_25lookback_scan_determinismE0ELb1ES3_N6thrust23THRUST_200600_302600_NS6detail15normal_iteratorINS9_10device_ptrIsEEEESE_SE_sNS9_10multipliesIsEENS9_8equal_toIsEEsEE10hipError_tPvRmT2_T3_T4_T5_mT6_T7_P12ihipStream_tbENKUlT_T0_E_clISt17integral_constantIbLb0EESZ_EEDaSU_SV_EUlSU_E_NS1_11comp_targetILNS1_3genE0ELNS1_11target_archE4294967295ELNS1_3gpuE0ELNS1_3repE0EEENS1_30default_config_static_selectorELNS0_4arch9wavefront6targetE0EEEvT1_
		.amdhsa_group_segment_fixed_size 0
		.amdhsa_private_segment_fixed_size 0
		.amdhsa_kernarg_size 112
		.amdhsa_user_sgpr_count 6
		.amdhsa_user_sgpr_private_segment_buffer 1
		.amdhsa_user_sgpr_dispatch_ptr 0
		.amdhsa_user_sgpr_queue_ptr 0
		.amdhsa_user_sgpr_kernarg_segment_ptr 1
		.amdhsa_user_sgpr_dispatch_id 0
		.amdhsa_user_sgpr_flat_scratch_init 0
		.amdhsa_user_sgpr_private_segment_size 0
		.amdhsa_wavefront_size32 1
		.amdhsa_uses_dynamic_stack 0
		.amdhsa_system_sgpr_private_segment_wavefront_offset 0
		.amdhsa_system_sgpr_workgroup_id_x 1
		.amdhsa_system_sgpr_workgroup_id_y 0
		.amdhsa_system_sgpr_workgroup_id_z 0
		.amdhsa_system_sgpr_workgroup_info 0
		.amdhsa_system_vgpr_workitem_id 0
		.amdhsa_next_free_vgpr 1
		.amdhsa_next_free_sgpr 1
		.amdhsa_reserve_vcc 0
		.amdhsa_reserve_flat_scratch 0
		.amdhsa_float_round_mode_32 0
		.amdhsa_float_round_mode_16_64 0
		.amdhsa_float_denorm_mode_32 3
		.amdhsa_float_denorm_mode_16_64 3
		.amdhsa_dx10_clamp 1
		.amdhsa_ieee_mode 1
		.amdhsa_fp16_overflow 0
		.amdhsa_workgroup_processor_mode 1
		.amdhsa_memory_ordered 1
		.amdhsa_forward_progress 1
		.amdhsa_shared_vgpr_count 0
		.amdhsa_exception_fp_ieee_invalid_op 0
		.amdhsa_exception_fp_denorm_src 0
		.amdhsa_exception_fp_ieee_div_zero 0
		.amdhsa_exception_fp_ieee_overflow 0
		.amdhsa_exception_fp_ieee_underflow 0
		.amdhsa_exception_fp_ieee_inexact 0
		.amdhsa_exception_int_div_zero 0
	.end_amdhsa_kernel
	.section	.text._ZN7rocprim17ROCPRIM_400000_NS6detail17trampoline_kernelINS0_14default_configENS1_27scan_by_key_config_selectorIssEEZZNS1_16scan_by_key_implILNS1_25lookback_scan_determinismE0ELb1ES3_N6thrust23THRUST_200600_302600_NS6detail15normal_iteratorINS9_10device_ptrIsEEEESE_SE_sNS9_10multipliesIsEENS9_8equal_toIsEEsEE10hipError_tPvRmT2_T3_T4_T5_mT6_T7_P12ihipStream_tbENKUlT_T0_E_clISt17integral_constantIbLb0EESZ_EEDaSU_SV_EUlSU_E_NS1_11comp_targetILNS1_3genE0ELNS1_11target_archE4294967295ELNS1_3gpuE0ELNS1_3repE0EEENS1_30default_config_static_selectorELNS0_4arch9wavefront6targetE0EEEvT1_,"axG",@progbits,_ZN7rocprim17ROCPRIM_400000_NS6detail17trampoline_kernelINS0_14default_configENS1_27scan_by_key_config_selectorIssEEZZNS1_16scan_by_key_implILNS1_25lookback_scan_determinismE0ELb1ES3_N6thrust23THRUST_200600_302600_NS6detail15normal_iteratorINS9_10device_ptrIsEEEESE_SE_sNS9_10multipliesIsEENS9_8equal_toIsEEsEE10hipError_tPvRmT2_T3_T4_T5_mT6_T7_P12ihipStream_tbENKUlT_T0_E_clISt17integral_constantIbLb0EESZ_EEDaSU_SV_EUlSU_E_NS1_11comp_targetILNS1_3genE0ELNS1_11target_archE4294967295ELNS1_3gpuE0ELNS1_3repE0EEENS1_30default_config_static_selectorELNS0_4arch9wavefront6targetE0EEEvT1_,comdat
.Lfunc_end605:
	.size	_ZN7rocprim17ROCPRIM_400000_NS6detail17trampoline_kernelINS0_14default_configENS1_27scan_by_key_config_selectorIssEEZZNS1_16scan_by_key_implILNS1_25lookback_scan_determinismE0ELb1ES3_N6thrust23THRUST_200600_302600_NS6detail15normal_iteratorINS9_10device_ptrIsEEEESE_SE_sNS9_10multipliesIsEENS9_8equal_toIsEEsEE10hipError_tPvRmT2_T3_T4_T5_mT6_T7_P12ihipStream_tbENKUlT_T0_E_clISt17integral_constantIbLb0EESZ_EEDaSU_SV_EUlSU_E_NS1_11comp_targetILNS1_3genE0ELNS1_11target_archE4294967295ELNS1_3gpuE0ELNS1_3repE0EEENS1_30default_config_static_selectorELNS0_4arch9wavefront6targetE0EEEvT1_, .Lfunc_end605-_ZN7rocprim17ROCPRIM_400000_NS6detail17trampoline_kernelINS0_14default_configENS1_27scan_by_key_config_selectorIssEEZZNS1_16scan_by_key_implILNS1_25lookback_scan_determinismE0ELb1ES3_N6thrust23THRUST_200600_302600_NS6detail15normal_iteratorINS9_10device_ptrIsEEEESE_SE_sNS9_10multipliesIsEENS9_8equal_toIsEEsEE10hipError_tPvRmT2_T3_T4_T5_mT6_T7_P12ihipStream_tbENKUlT_T0_E_clISt17integral_constantIbLb0EESZ_EEDaSU_SV_EUlSU_E_NS1_11comp_targetILNS1_3genE0ELNS1_11target_archE4294967295ELNS1_3gpuE0ELNS1_3repE0EEENS1_30default_config_static_selectorELNS0_4arch9wavefront6targetE0EEEvT1_
                                        ; -- End function
	.set _ZN7rocprim17ROCPRIM_400000_NS6detail17trampoline_kernelINS0_14default_configENS1_27scan_by_key_config_selectorIssEEZZNS1_16scan_by_key_implILNS1_25lookback_scan_determinismE0ELb1ES3_N6thrust23THRUST_200600_302600_NS6detail15normal_iteratorINS9_10device_ptrIsEEEESE_SE_sNS9_10multipliesIsEENS9_8equal_toIsEEsEE10hipError_tPvRmT2_T3_T4_T5_mT6_T7_P12ihipStream_tbENKUlT_T0_E_clISt17integral_constantIbLb0EESZ_EEDaSU_SV_EUlSU_E_NS1_11comp_targetILNS1_3genE0ELNS1_11target_archE4294967295ELNS1_3gpuE0ELNS1_3repE0EEENS1_30default_config_static_selectorELNS0_4arch9wavefront6targetE0EEEvT1_.num_vgpr, 0
	.set _ZN7rocprim17ROCPRIM_400000_NS6detail17trampoline_kernelINS0_14default_configENS1_27scan_by_key_config_selectorIssEEZZNS1_16scan_by_key_implILNS1_25lookback_scan_determinismE0ELb1ES3_N6thrust23THRUST_200600_302600_NS6detail15normal_iteratorINS9_10device_ptrIsEEEESE_SE_sNS9_10multipliesIsEENS9_8equal_toIsEEsEE10hipError_tPvRmT2_T3_T4_T5_mT6_T7_P12ihipStream_tbENKUlT_T0_E_clISt17integral_constantIbLb0EESZ_EEDaSU_SV_EUlSU_E_NS1_11comp_targetILNS1_3genE0ELNS1_11target_archE4294967295ELNS1_3gpuE0ELNS1_3repE0EEENS1_30default_config_static_selectorELNS0_4arch9wavefront6targetE0EEEvT1_.num_agpr, 0
	.set _ZN7rocprim17ROCPRIM_400000_NS6detail17trampoline_kernelINS0_14default_configENS1_27scan_by_key_config_selectorIssEEZZNS1_16scan_by_key_implILNS1_25lookback_scan_determinismE0ELb1ES3_N6thrust23THRUST_200600_302600_NS6detail15normal_iteratorINS9_10device_ptrIsEEEESE_SE_sNS9_10multipliesIsEENS9_8equal_toIsEEsEE10hipError_tPvRmT2_T3_T4_T5_mT6_T7_P12ihipStream_tbENKUlT_T0_E_clISt17integral_constantIbLb0EESZ_EEDaSU_SV_EUlSU_E_NS1_11comp_targetILNS1_3genE0ELNS1_11target_archE4294967295ELNS1_3gpuE0ELNS1_3repE0EEENS1_30default_config_static_selectorELNS0_4arch9wavefront6targetE0EEEvT1_.numbered_sgpr, 0
	.set _ZN7rocprim17ROCPRIM_400000_NS6detail17trampoline_kernelINS0_14default_configENS1_27scan_by_key_config_selectorIssEEZZNS1_16scan_by_key_implILNS1_25lookback_scan_determinismE0ELb1ES3_N6thrust23THRUST_200600_302600_NS6detail15normal_iteratorINS9_10device_ptrIsEEEESE_SE_sNS9_10multipliesIsEENS9_8equal_toIsEEsEE10hipError_tPvRmT2_T3_T4_T5_mT6_T7_P12ihipStream_tbENKUlT_T0_E_clISt17integral_constantIbLb0EESZ_EEDaSU_SV_EUlSU_E_NS1_11comp_targetILNS1_3genE0ELNS1_11target_archE4294967295ELNS1_3gpuE0ELNS1_3repE0EEENS1_30default_config_static_selectorELNS0_4arch9wavefront6targetE0EEEvT1_.num_named_barrier, 0
	.set _ZN7rocprim17ROCPRIM_400000_NS6detail17trampoline_kernelINS0_14default_configENS1_27scan_by_key_config_selectorIssEEZZNS1_16scan_by_key_implILNS1_25lookback_scan_determinismE0ELb1ES3_N6thrust23THRUST_200600_302600_NS6detail15normal_iteratorINS9_10device_ptrIsEEEESE_SE_sNS9_10multipliesIsEENS9_8equal_toIsEEsEE10hipError_tPvRmT2_T3_T4_T5_mT6_T7_P12ihipStream_tbENKUlT_T0_E_clISt17integral_constantIbLb0EESZ_EEDaSU_SV_EUlSU_E_NS1_11comp_targetILNS1_3genE0ELNS1_11target_archE4294967295ELNS1_3gpuE0ELNS1_3repE0EEENS1_30default_config_static_selectorELNS0_4arch9wavefront6targetE0EEEvT1_.private_seg_size, 0
	.set _ZN7rocprim17ROCPRIM_400000_NS6detail17trampoline_kernelINS0_14default_configENS1_27scan_by_key_config_selectorIssEEZZNS1_16scan_by_key_implILNS1_25lookback_scan_determinismE0ELb1ES3_N6thrust23THRUST_200600_302600_NS6detail15normal_iteratorINS9_10device_ptrIsEEEESE_SE_sNS9_10multipliesIsEENS9_8equal_toIsEEsEE10hipError_tPvRmT2_T3_T4_T5_mT6_T7_P12ihipStream_tbENKUlT_T0_E_clISt17integral_constantIbLb0EESZ_EEDaSU_SV_EUlSU_E_NS1_11comp_targetILNS1_3genE0ELNS1_11target_archE4294967295ELNS1_3gpuE0ELNS1_3repE0EEENS1_30default_config_static_selectorELNS0_4arch9wavefront6targetE0EEEvT1_.uses_vcc, 0
	.set _ZN7rocprim17ROCPRIM_400000_NS6detail17trampoline_kernelINS0_14default_configENS1_27scan_by_key_config_selectorIssEEZZNS1_16scan_by_key_implILNS1_25lookback_scan_determinismE0ELb1ES3_N6thrust23THRUST_200600_302600_NS6detail15normal_iteratorINS9_10device_ptrIsEEEESE_SE_sNS9_10multipliesIsEENS9_8equal_toIsEEsEE10hipError_tPvRmT2_T3_T4_T5_mT6_T7_P12ihipStream_tbENKUlT_T0_E_clISt17integral_constantIbLb0EESZ_EEDaSU_SV_EUlSU_E_NS1_11comp_targetILNS1_3genE0ELNS1_11target_archE4294967295ELNS1_3gpuE0ELNS1_3repE0EEENS1_30default_config_static_selectorELNS0_4arch9wavefront6targetE0EEEvT1_.uses_flat_scratch, 0
	.set _ZN7rocprim17ROCPRIM_400000_NS6detail17trampoline_kernelINS0_14default_configENS1_27scan_by_key_config_selectorIssEEZZNS1_16scan_by_key_implILNS1_25lookback_scan_determinismE0ELb1ES3_N6thrust23THRUST_200600_302600_NS6detail15normal_iteratorINS9_10device_ptrIsEEEESE_SE_sNS9_10multipliesIsEENS9_8equal_toIsEEsEE10hipError_tPvRmT2_T3_T4_T5_mT6_T7_P12ihipStream_tbENKUlT_T0_E_clISt17integral_constantIbLb0EESZ_EEDaSU_SV_EUlSU_E_NS1_11comp_targetILNS1_3genE0ELNS1_11target_archE4294967295ELNS1_3gpuE0ELNS1_3repE0EEENS1_30default_config_static_selectorELNS0_4arch9wavefront6targetE0EEEvT1_.has_dyn_sized_stack, 0
	.set _ZN7rocprim17ROCPRIM_400000_NS6detail17trampoline_kernelINS0_14default_configENS1_27scan_by_key_config_selectorIssEEZZNS1_16scan_by_key_implILNS1_25lookback_scan_determinismE0ELb1ES3_N6thrust23THRUST_200600_302600_NS6detail15normal_iteratorINS9_10device_ptrIsEEEESE_SE_sNS9_10multipliesIsEENS9_8equal_toIsEEsEE10hipError_tPvRmT2_T3_T4_T5_mT6_T7_P12ihipStream_tbENKUlT_T0_E_clISt17integral_constantIbLb0EESZ_EEDaSU_SV_EUlSU_E_NS1_11comp_targetILNS1_3genE0ELNS1_11target_archE4294967295ELNS1_3gpuE0ELNS1_3repE0EEENS1_30default_config_static_selectorELNS0_4arch9wavefront6targetE0EEEvT1_.has_recursion, 0
	.set _ZN7rocprim17ROCPRIM_400000_NS6detail17trampoline_kernelINS0_14default_configENS1_27scan_by_key_config_selectorIssEEZZNS1_16scan_by_key_implILNS1_25lookback_scan_determinismE0ELb1ES3_N6thrust23THRUST_200600_302600_NS6detail15normal_iteratorINS9_10device_ptrIsEEEESE_SE_sNS9_10multipliesIsEENS9_8equal_toIsEEsEE10hipError_tPvRmT2_T3_T4_T5_mT6_T7_P12ihipStream_tbENKUlT_T0_E_clISt17integral_constantIbLb0EESZ_EEDaSU_SV_EUlSU_E_NS1_11comp_targetILNS1_3genE0ELNS1_11target_archE4294967295ELNS1_3gpuE0ELNS1_3repE0EEENS1_30default_config_static_selectorELNS0_4arch9wavefront6targetE0EEEvT1_.has_indirect_call, 0
	.section	.AMDGPU.csdata,"",@progbits
; Kernel info:
; codeLenInByte = 0
; TotalNumSgprs: 0
; NumVgprs: 0
; ScratchSize: 0
; MemoryBound: 0
; FloatMode: 240
; IeeeMode: 1
; LDSByteSize: 0 bytes/workgroup (compile time only)
; SGPRBlocks: 0
; VGPRBlocks: 0
; NumSGPRsForWavesPerEU: 1
; NumVGPRsForWavesPerEU: 1
; Occupancy: 16
; WaveLimiterHint : 0
; COMPUTE_PGM_RSRC2:SCRATCH_EN: 0
; COMPUTE_PGM_RSRC2:USER_SGPR: 6
; COMPUTE_PGM_RSRC2:TRAP_HANDLER: 0
; COMPUTE_PGM_RSRC2:TGID_X_EN: 1
; COMPUTE_PGM_RSRC2:TGID_Y_EN: 0
; COMPUTE_PGM_RSRC2:TGID_Z_EN: 0
; COMPUTE_PGM_RSRC2:TIDIG_COMP_CNT: 0
	.section	.text._ZN7rocprim17ROCPRIM_400000_NS6detail17trampoline_kernelINS0_14default_configENS1_27scan_by_key_config_selectorIssEEZZNS1_16scan_by_key_implILNS1_25lookback_scan_determinismE0ELb1ES3_N6thrust23THRUST_200600_302600_NS6detail15normal_iteratorINS9_10device_ptrIsEEEESE_SE_sNS9_10multipliesIsEENS9_8equal_toIsEEsEE10hipError_tPvRmT2_T3_T4_T5_mT6_T7_P12ihipStream_tbENKUlT_T0_E_clISt17integral_constantIbLb0EESZ_EEDaSU_SV_EUlSU_E_NS1_11comp_targetILNS1_3genE10ELNS1_11target_archE1201ELNS1_3gpuE5ELNS1_3repE0EEENS1_30default_config_static_selectorELNS0_4arch9wavefront6targetE0EEEvT1_,"axG",@progbits,_ZN7rocprim17ROCPRIM_400000_NS6detail17trampoline_kernelINS0_14default_configENS1_27scan_by_key_config_selectorIssEEZZNS1_16scan_by_key_implILNS1_25lookback_scan_determinismE0ELb1ES3_N6thrust23THRUST_200600_302600_NS6detail15normal_iteratorINS9_10device_ptrIsEEEESE_SE_sNS9_10multipliesIsEENS9_8equal_toIsEEsEE10hipError_tPvRmT2_T3_T4_T5_mT6_T7_P12ihipStream_tbENKUlT_T0_E_clISt17integral_constantIbLb0EESZ_EEDaSU_SV_EUlSU_E_NS1_11comp_targetILNS1_3genE10ELNS1_11target_archE1201ELNS1_3gpuE5ELNS1_3repE0EEENS1_30default_config_static_selectorELNS0_4arch9wavefront6targetE0EEEvT1_,comdat
	.protected	_ZN7rocprim17ROCPRIM_400000_NS6detail17trampoline_kernelINS0_14default_configENS1_27scan_by_key_config_selectorIssEEZZNS1_16scan_by_key_implILNS1_25lookback_scan_determinismE0ELb1ES3_N6thrust23THRUST_200600_302600_NS6detail15normal_iteratorINS9_10device_ptrIsEEEESE_SE_sNS9_10multipliesIsEENS9_8equal_toIsEEsEE10hipError_tPvRmT2_T3_T4_T5_mT6_T7_P12ihipStream_tbENKUlT_T0_E_clISt17integral_constantIbLb0EESZ_EEDaSU_SV_EUlSU_E_NS1_11comp_targetILNS1_3genE10ELNS1_11target_archE1201ELNS1_3gpuE5ELNS1_3repE0EEENS1_30default_config_static_selectorELNS0_4arch9wavefront6targetE0EEEvT1_ ; -- Begin function _ZN7rocprim17ROCPRIM_400000_NS6detail17trampoline_kernelINS0_14default_configENS1_27scan_by_key_config_selectorIssEEZZNS1_16scan_by_key_implILNS1_25lookback_scan_determinismE0ELb1ES3_N6thrust23THRUST_200600_302600_NS6detail15normal_iteratorINS9_10device_ptrIsEEEESE_SE_sNS9_10multipliesIsEENS9_8equal_toIsEEsEE10hipError_tPvRmT2_T3_T4_T5_mT6_T7_P12ihipStream_tbENKUlT_T0_E_clISt17integral_constantIbLb0EESZ_EEDaSU_SV_EUlSU_E_NS1_11comp_targetILNS1_3genE10ELNS1_11target_archE1201ELNS1_3gpuE5ELNS1_3repE0EEENS1_30default_config_static_selectorELNS0_4arch9wavefront6targetE0EEEvT1_
	.globl	_ZN7rocprim17ROCPRIM_400000_NS6detail17trampoline_kernelINS0_14default_configENS1_27scan_by_key_config_selectorIssEEZZNS1_16scan_by_key_implILNS1_25lookback_scan_determinismE0ELb1ES3_N6thrust23THRUST_200600_302600_NS6detail15normal_iteratorINS9_10device_ptrIsEEEESE_SE_sNS9_10multipliesIsEENS9_8equal_toIsEEsEE10hipError_tPvRmT2_T3_T4_T5_mT6_T7_P12ihipStream_tbENKUlT_T0_E_clISt17integral_constantIbLb0EESZ_EEDaSU_SV_EUlSU_E_NS1_11comp_targetILNS1_3genE10ELNS1_11target_archE1201ELNS1_3gpuE5ELNS1_3repE0EEENS1_30default_config_static_selectorELNS0_4arch9wavefront6targetE0EEEvT1_
	.p2align	8
	.type	_ZN7rocprim17ROCPRIM_400000_NS6detail17trampoline_kernelINS0_14default_configENS1_27scan_by_key_config_selectorIssEEZZNS1_16scan_by_key_implILNS1_25lookback_scan_determinismE0ELb1ES3_N6thrust23THRUST_200600_302600_NS6detail15normal_iteratorINS9_10device_ptrIsEEEESE_SE_sNS9_10multipliesIsEENS9_8equal_toIsEEsEE10hipError_tPvRmT2_T3_T4_T5_mT6_T7_P12ihipStream_tbENKUlT_T0_E_clISt17integral_constantIbLb0EESZ_EEDaSU_SV_EUlSU_E_NS1_11comp_targetILNS1_3genE10ELNS1_11target_archE1201ELNS1_3gpuE5ELNS1_3repE0EEENS1_30default_config_static_selectorELNS0_4arch9wavefront6targetE0EEEvT1_,@function
_ZN7rocprim17ROCPRIM_400000_NS6detail17trampoline_kernelINS0_14default_configENS1_27scan_by_key_config_selectorIssEEZZNS1_16scan_by_key_implILNS1_25lookback_scan_determinismE0ELb1ES3_N6thrust23THRUST_200600_302600_NS6detail15normal_iteratorINS9_10device_ptrIsEEEESE_SE_sNS9_10multipliesIsEENS9_8equal_toIsEEsEE10hipError_tPvRmT2_T3_T4_T5_mT6_T7_P12ihipStream_tbENKUlT_T0_E_clISt17integral_constantIbLb0EESZ_EEDaSU_SV_EUlSU_E_NS1_11comp_targetILNS1_3genE10ELNS1_11target_archE1201ELNS1_3gpuE5ELNS1_3repE0EEENS1_30default_config_static_selectorELNS0_4arch9wavefront6targetE0EEEvT1_: ; @_ZN7rocprim17ROCPRIM_400000_NS6detail17trampoline_kernelINS0_14default_configENS1_27scan_by_key_config_selectorIssEEZZNS1_16scan_by_key_implILNS1_25lookback_scan_determinismE0ELb1ES3_N6thrust23THRUST_200600_302600_NS6detail15normal_iteratorINS9_10device_ptrIsEEEESE_SE_sNS9_10multipliesIsEENS9_8equal_toIsEEsEE10hipError_tPvRmT2_T3_T4_T5_mT6_T7_P12ihipStream_tbENKUlT_T0_E_clISt17integral_constantIbLb0EESZ_EEDaSU_SV_EUlSU_E_NS1_11comp_targetILNS1_3genE10ELNS1_11target_archE1201ELNS1_3gpuE5ELNS1_3repE0EEENS1_30default_config_static_selectorELNS0_4arch9wavefront6targetE0EEEvT1_
; %bb.0:
	.section	.rodata,"a",@progbits
	.p2align	6, 0x0
	.amdhsa_kernel _ZN7rocprim17ROCPRIM_400000_NS6detail17trampoline_kernelINS0_14default_configENS1_27scan_by_key_config_selectorIssEEZZNS1_16scan_by_key_implILNS1_25lookback_scan_determinismE0ELb1ES3_N6thrust23THRUST_200600_302600_NS6detail15normal_iteratorINS9_10device_ptrIsEEEESE_SE_sNS9_10multipliesIsEENS9_8equal_toIsEEsEE10hipError_tPvRmT2_T3_T4_T5_mT6_T7_P12ihipStream_tbENKUlT_T0_E_clISt17integral_constantIbLb0EESZ_EEDaSU_SV_EUlSU_E_NS1_11comp_targetILNS1_3genE10ELNS1_11target_archE1201ELNS1_3gpuE5ELNS1_3repE0EEENS1_30default_config_static_selectorELNS0_4arch9wavefront6targetE0EEEvT1_
		.amdhsa_group_segment_fixed_size 0
		.amdhsa_private_segment_fixed_size 0
		.amdhsa_kernarg_size 112
		.amdhsa_user_sgpr_count 6
		.amdhsa_user_sgpr_private_segment_buffer 1
		.amdhsa_user_sgpr_dispatch_ptr 0
		.amdhsa_user_sgpr_queue_ptr 0
		.amdhsa_user_sgpr_kernarg_segment_ptr 1
		.amdhsa_user_sgpr_dispatch_id 0
		.amdhsa_user_sgpr_flat_scratch_init 0
		.amdhsa_user_sgpr_private_segment_size 0
		.amdhsa_wavefront_size32 1
		.amdhsa_uses_dynamic_stack 0
		.amdhsa_system_sgpr_private_segment_wavefront_offset 0
		.amdhsa_system_sgpr_workgroup_id_x 1
		.amdhsa_system_sgpr_workgroup_id_y 0
		.amdhsa_system_sgpr_workgroup_id_z 0
		.amdhsa_system_sgpr_workgroup_info 0
		.amdhsa_system_vgpr_workitem_id 0
		.amdhsa_next_free_vgpr 1
		.amdhsa_next_free_sgpr 1
		.amdhsa_reserve_vcc 0
		.amdhsa_reserve_flat_scratch 0
		.amdhsa_float_round_mode_32 0
		.amdhsa_float_round_mode_16_64 0
		.amdhsa_float_denorm_mode_32 3
		.amdhsa_float_denorm_mode_16_64 3
		.amdhsa_dx10_clamp 1
		.amdhsa_ieee_mode 1
		.amdhsa_fp16_overflow 0
		.amdhsa_workgroup_processor_mode 1
		.amdhsa_memory_ordered 1
		.amdhsa_forward_progress 1
		.amdhsa_shared_vgpr_count 0
		.amdhsa_exception_fp_ieee_invalid_op 0
		.amdhsa_exception_fp_denorm_src 0
		.amdhsa_exception_fp_ieee_div_zero 0
		.amdhsa_exception_fp_ieee_overflow 0
		.amdhsa_exception_fp_ieee_underflow 0
		.amdhsa_exception_fp_ieee_inexact 0
		.amdhsa_exception_int_div_zero 0
	.end_amdhsa_kernel
	.section	.text._ZN7rocprim17ROCPRIM_400000_NS6detail17trampoline_kernelINS0_14default_configENS1_27scan_by_key_config_selectorIssEEZZNS1_16scan_by_key_implILNS1_25lookback_scan_determinismE0ELb1ES3_N6thrust23THRUST_200600_302600_NS6detail15normal_iteratorINS9_10device_ptrIsEEEESE_SE_sNS9_10multipliesIsEENS9_8equal_toIsEEsEE10hipError_tPvRmT2_T3_T4_T5_mT6_T7_P12ihipStream_tbENKUlT_T0_E_clISt17integral_constantIbLb0EESZ_EEDaSU_SV_EUlSU_E_NS1_11comp_targetILNS1_3genE10ELNS1_11target_archE1201ELNS1_3gpuE5ELNS1_3repE0EEENS1_30default_config_static_selectorELNS0_4arch9wavefront6targetE0EEEvT1_,"axG",@progbits,_ZN7rocprim17ROCPRIM_400000_NS6detail17trampoline_kernelINS0_14default_configENS1_27scan_by_key_config_selectorIssEEZZNS1_16scan_by_key_implILNS1_25lookback_scan_determinismE0ELb1ES3_N6thrust23THRUST_200600_302600_NS6detail15normal_iteratorINS9_10device_ptrIsEEEESE_SE_sNS9_10multipliesIsEENS9_8equal_toIsEEsEE10hipError_tPvRmT2_T3_T4_T5_mT6_T7_P12ihipStream_tbENKUlT_T0_E_clISt17integral_constantIbLb0EESZ_EEDaSU_SV_EUlSU_E_NS1_11comp_targetILNS1_3genE10ELNS1_11target_archE1201ELNS1_3gpuE5ELNS1_3repE0EEENS1_30default_config_static_selectorELNS0_4arch9wavefront6targetE0EEEvT1_,comdat
.Lfunc_end606:
	.size	_ZN7rocprim17ROCPRIM_400000_NS6detail17trampoline_kernelINS0_14default_configENS1_27scan_by_key_config_selectorIssEEZZNS1_16scan_by_key_implILNS1_25lookback_scan_determinismE0ELb1ES3_N6thrust23THRUST_200600_302600_NS6detail15normal_iteratorINS9_10device_ptrIsEEEESE_SE_sNS9_10multipliesIsEENS9_8equal_toIsEEsEE10hipError_tPvRmT2_T3_T4_T5_mT6_T7_P12ihipStream_tbENKUlT_T0_E_clISt17integral_constantIbLb0EESZ_EEDaSU_SV_EUlSU_E_NS1_11comp_targetILNS1_3genE10ELNS1_11target_archE1201ELNS1_3gpuE5ELNS1_3repE0EEENS1_30default_config_static_selectorELNS0_4arch9wavefront6targetE0EEEvT1_, .Lfunc_end606-_ZN7rocprim17ROCPRIM_400000_NS6detail17trampoline_kernelINS0_14default_configENS1_27scan_by_key_config_selectorIssEEZZNS1_16scan_by_key_implILNS1_25lookback_scan_determinismE0ELb1ES3_N6thrust23THRUST_200600_302600_NS6detail15normal_iteratorINS9_10device_ptrIsEEEESE_SE_sNS9_10multipliesIsEENS9_8equal_toIsEEsEE10hipError_tPvRmT2_T3_T4_T5_mT6_T7_P12ihipStream_tbENKUlT_T0_E_clISt17integral_constantIbLb0EESZ_EEDaSU_SV_EUlSU_E_NS1_11comp_targetILNS1_3genE10ELNS1_11target_archE1201ELNS1_3gpuE5ELNS1_3repE0EEENS1_30default_config_static_selectorELNS0_4arch9wavefront6targetE0EEEvT1_
                                        ; -- End function
	.set _ZN7rocprim17ROCPRIM_400000_NS6detail17trampoline_kernelINS0_14default_configENS1_27scan_by_key_config_selectorIssEEZZNS1_16scan_by_key_implILNS1_25lookback_scan_determinismE0ELb1ES3_N6thrust23THRUST_200600_302600_NS6detail15normal_iteratorINS9_10device_ptrIsEEEESE_SE_sNS9_10multipliesIsEENS9_8equal_toIsEEsEE10hipError_tPvRmT2_T3_T4_T5_mT6_T7_P12ihipStream_tbENKUlT_T0_E_clISt17integral_constantIbLb0EESZ_EEDaSU_SV_EUlSU_E_NS1_11comp_targetILNS1_3genE10ELNS1_11target_archE1201ELNS1_3gpuE5ELNS1_3repE0EEENS1_30default_config_static_selectorELNS0_4arch9wavefront6targetE0EEEvT1_.num_vgpr, 0
	.set _ZN7rocprim17ROCPRIM_400000_NS6detail17trampoline_kernelINS0_14default_configENS1_27scan_by_key_config_selectorIssEEZZNS1_16scan_by_key_implILNS1_25lookback_scan_determinismE0ELb1ES3_N6thrust23THRUST_200600_302600_NS6detail15normal_iteratorINS9_10device_ptrIsEEEESE_SE_sNS9_10multipliesIsEENS9_8equal_toIsEEsEE10hipError_tPvRmT2_T3_T4_T5_mT6_T7_P12ihipStream_tbENKUlT_T0_E_clISt17integral_constantIbLb0EESZ_EEDaSU_SV_EUlSU_E_NS1_11comp_targetILNS1_3genE10ELNS1_11target_archE1201ELNS1_3gpuE5ELNS1_3repE0EEENS1_30default_config_static_selectorELNS0_4arch9wavefront6targetE0EEEvT1_.num_agpr, 0
	.set _ZN7rocprim17ROCPRIM_400000_NS6detail17trampoline_kernelINS0_14default_configENS1_27scan_by_key_config_selectorIssEEZZNS1_16scan_by_key_implILNS1_25lookback_scan_determinismE0ELb1ES3_N6thrust23THRUST_200600_302600_NS6detail15normal_iteratorINS9_10device_ptrIsEEEESE_SE_sNS9_10multipliesIsEENS9_8equal_toIsEEsEE10hipError_tPvRmT2_T3_T4_T5_mT6_T7_P12ihipStream_tbENKUlT_T0_E_clISt17integral_constantIbLb0EESZ_EEDaSU_SV_EUlSU_E_NS1_11comp_targetILNS1_3genE10ELNS1_11target_archE1201ELNS1_3gpuE5ELNS1_3repE0EEENS1_30default_config_static_selectorELNS0_4arch9wavefront6targetE0EEEvT1_.numbered_sgpr, 0
	.set _ZN7rocprim17ROCPRIM_400000_NS6detail17trampoline_kernelINS0_14default_configENS1_27scan_by_key_config_selectorIssEEZZNS1_16scan_by_key_implILNS1_25lookback_scan_determinismE0ELb1ES3_N6thrust23THRUST_200600_302600_NS6detail15normal_iteratorINS9_10device_ptrIsEEEESE_SE_sNS9_10multipliesIsEENS9_8equal_toIsEEsEE10hipError_tPvRmT2_T3_T4_T5_mT6_T7_P12ihipStream_tbENKUlT_T0_E_clISt17integral_constantIbLb0EESZ_EEDaSU_SV_EUlSU_E_NS1_11comp_targetILNS1_3genE10ELNS1_11target_archE1201ELNS1_3gpuE5ELNS1_3repE0EEENS1_30default_config_static_selectorELNS0_4arch9wavefront6targetE0EEEvT1_.num_named_barrier, 0
	.set _ZN7rocprim17ROCPRIM_400000_NS6detail17trampoline_kernelINS0_14default_configENS1_27scan_by_key_config_selectorIssEEZZNS1_16scan_by_key_implILNS1_25lookback_scan_determinismE0ELb1ES3_N6thrust23THRUST_200600_302600_NS6detail15normal_iteratorINS9_10device_ptrIsEEEESE_SE_sNS9_10multipliesIsEENS9_8equal_toIsEEsEE10hipError_tPvRmT2_T3_T4_T5_mT6_T7_P12ihipStream_tbENKUlT_T0_E_clISt17integral_constantIbLb0EESZ_EEDaSU_SV_EUlSU_E_NS1_11comp_targetILNS1_3genE10ELNS1_11target_archE1201ELNS1_3gpuE5ELNS1_3repE0EEENS1_30default_config_static_selectorELNS0_4arch9wavefront6targetE0EEEvT1_.private_seg_size, 0
	.set _ZN7rocprim17ROCPRIM_400000_NS6detail17trampoline_kernelINS0_14default_configENS1_27scan_by_key_config_selectorIssEEZZNS1_16scan_by_key_implILNS1_25lookback_scan_determinismE0ELb1ES3_N6thrust23THRUST_200600_302600_NS6detail15normal_iteratorINS9_10device_ptrIsEEEESE_SE_sNS9_10multipliesIsEENS9_8equal_toIsEEsEE10hipError_tPvRmT2_T3_T4_T5_mT6_T7_P12ihipStream_tbENKUlT_T0_E_clISt17integral_constantIbLb0EESZ_EEDaSU_SV_EUlSU_E_NS1_11comp_targetILNS1_3genE10ELNS1_11target_archE1201ELNS1_3gpuE5ELNS1_3repE0EEENS1_30default_config_static_selectorELNS0_4arch9wavefront6targetE0EEEvT1_.uses_vcc, 0
	.set _ZN7rocprim17ROCPRIM_400000_NS6detail17trampoline_kernelINS0_14default_configENS1_27scan_by_key_config_selectorIssEEZZNS1_16scan_by_key_implILNS1_25lookback_scan_determinismE0ELb1ES3_N6thrust23THRUST_200600_302600_NS6detail15normal_iteratorINS9_10device_ptrIsEEEESE_SE_sNS9_10multipliesIsEENS9_8equal_toIsEEsEE10hipError_tPvRmT2_T3_T4_T5_mT6_T7_P12ihipStream_tbENKUlT_T0_E_clISt17integral_constantIbLb0EESZ_EEDaSU_SV_EUlSU_E_NS1_11comp_targetILNS1_3genE10ELNS1_11target_archE1201ELNS1_3gpuE5ELNS1_3repE0EEENS1_30default_config_static_selectorELNS0_4arch9wavefront6targetE0EEEvT1_.uses_flat_scratch, 0
	.set _ZN7rocprim17ROCPRIM_400000_NS6detail17trampoline_kernelINS0_14default_configENS1_27scan_by_key_config_selectorIssEEZZNS1_16scan_by_key_implILNS1_25lookback_scan_determinismE0ELb1ES3_N6thrust23THRUST_200600_302600_NS6detail15normal_iteratorINS9_10device_ptrIsEEEESE_SE_sNS9_10multipliesIsEENS9_8equal_toIsEEsEE10hipError_tPvRmT2_T3_T4_T5_mT6_T7_P12ihipStream_tbENKUlT_T0_E_clISt17integral_constantIbLb0EESZ_EEDaSU_SV_EUlSU_E_NS1_11comp_targetILNS1_3genE10ELNS1_11target_archE1201ELNS1_3gpuE5ELNS1_3repE0EEENS1_30default_config_static_selectorELNS0_4arch9wavefront6targetE0EEEvT1_.has_dyn_sized_stack, 0
	.set _ZN7rocprim17ROCPRIM_400000_NS6detail17trampoline_kernelINS0_14default_configENS1_27scan_by_key_config_selectorIssEEZZNS1_16scan_by_key_implILNS1_25lookback_scan_determinismE0ELb1ES3_N6thrust23THRUST_200600_302600_NS6detail15normal_iteratorINS9_10device_ptrIsEEEESE_SE_sNS9_10multipliesIsEENS9_8equal_toIsEEsEE10hipError_tPvRmT2_T3_T4_T5_mT6_T7_P12ihipStream_tbENKUlT_T0_E_clISt17integral_constantIbLb0EESZ_EEDaSU_SV_EUlSU_E_NS1_11comp_targetILNS1_3genE10ELNS1_11target_archE1201ELNS1_3gpuE5ELNS1_3repE0EEENS1_30default_config_static_selectorELNS0_4arch9wavefront6targetE0EEEvT1_.has_recursion, 0
	.set _ZN7rocprim17ROCPRIM_400000_NS6detail17trampoline_kernelINS0_14default_configENS1_27scan_by_key_config_selectorIssEEZZNS1_16scan_by_key_implILNS1_25lookback_scan_determinismE0ELb1ES3_N6thrust23THRUST_200600_302600_NS6detail15normal_iteratorINS9_10device_ptrIsEEEESE_SE_sNS9_10multipliesIsEENS9_8equal_toIsEEsEE10hipError_tPvRmT2_T3_T4_T5_mT6_T7_P12ihipStream_tbENKUlT_T0_E_clISt17integral_constantIbLb0EESZ_EEDaSU_SV_EUlSU_E_NS1_11comp_targetILNS1_3genE10ELNS1_11target_archE1201ELNS1_3gpuE5ELNS1_3repE0EEENS1_30default_config_static_selectorELNS0_4arch9wavefront6targetE0EEEvT1_.has_indirect_call, 0
	.section	.AMDGPU.csdata,"",@progbits
; Kernel info:
; codeLenInByte = 0
; TotalNumSgprs: 0
; NumVgprs: 0
; ScratchSize: 0
; MemoryBound: 0
; FloatMode: 240
; IeeeMode: 1
; LDSByteSize: 0 bytes/workgroup (compile time only)
; SGPRBlocks: 0
; VGPRBlocks: 0
; NumSGPRsForWavesPerEU: 1
; NumVGPRsForWavesPerEU: 1
; Occupancy: 16
; WaveLimiterHint : 0
; COMPUTE_PGM_RSRC2:SCRATCH_EN: 0
; COMPUTE_PGM_RSRC2:USER_SGPR: 6
; COMPUTE_PGM_RSRC2:TRAP_HANDLER: 0
; COMPUTE_PGM_RSRC2:TGID_X_EN: 1
; COMPUTE_PGM_RSRC2:TGID_Y_EN: 0
; COMPUTE_PGM_RSRC2:TGID_Z_EN: 0
; COMPUTE_PGM_RSRC2:TIDIG_COMP_CNT: 0
	.section	.text._ZN7rocprim17ROCPRIM_400000_NS6detail17trampoline_kernelINS0_14default_configENS1_27scan_by_key_config_selectorIssEEZZNS1_16scan_by_key_implILNS1_25lookback_scan_determinismE0ELb1ES3_N6thrust23THRUST_200600_302600_NS6detail15normal_iteratorINS9_10device_ptrIsEEEESE_SE_sNS9_10multipliesIsEENS9_8equal_toIsEEsEE10hipError_tPvRmT2_T3_T4_T5_mT6_T7_P12ihipStream_tbENKUlT_T0_E_clISt17integral_constantIbLb0EESZ_EEDaSU_SV_EUlSU_E_NS1_11comp_targetILNS1_3genE5ELNS1_11target_archE942ELNS1_3gpuE9ELNS1_3repE0EEENS1_30default_config_static_selectorELNS0_4arch9wavefront6targetE0EEEvT1_,"axG",@progbits,_ZN7rocprim17ROCPRIM_400000_NS6detail17trampoline_kernelINS0_14default_configENS1_27scan_by_key_config_selectorIssEEZZNS1_16scan_by_key_implILNS1_25lookback_scan_determinismE0ELb1ES3_N6thrust23THRUST_200600_302600_NS6detail15normal_iteratorINS9_10device_ptrIsEEEESE_SE_sNS9_10multipliesIsEENS9_8equal_toIsEEsEE10hipError_tPvRmT2_T3_T4_T5_mT6_T7_P12ihipStream_tbENKUlT_T0_E_clISt17integral_constantIbLb0EESZ_EEDaSU_SV_EUlSU_E_NS1_11comp_targetILNS1_3genE5ELNS1_11target_archE942ELNS1_3gpuE9ELNS1_3repE0EEENS1_30default_config_static_selectorELNS0_4arch9wavefront6targetE0EEEvT1_,comdat
	.protected	_ZN7rocprim17ROCPRIM_400000_NS6detail17trampoline_kernelINS0_14default_configENS1_27scan_by_key_config_selectorIssEEZZNS1_16scan_by_key_implILNS1_25lookback_scan_determinismE0ELb1ES3_N6thrust23THRUST_200600_302600_NS6detail15normal_iteratorINS9_10device_ptrIsEEEESE_SE_sNS9_10multipliesIsEENS9_8equal_toIsEEsEE10hipError_tPvRmT2_T3_T4_T5_mT6_T7_P12ihipStream_tbENKUlT_T0_E_clISt17integral_constantIbLb0EESZ_EEDaSU_SV_EUlSU_E_NS1_11comp_targetILNS1_3genE5ELNS1_11target_archE942ELNS1_3gpuE9ELNS1_3repE0EEENS1_30default_config_static_selectorELNS0_4arch9wavefront6targetE0EEEvT1_ ; -- Begin function _ZN7rocprim17ROCPRIM_400000_NS6detail17trampoline_kernelINS0_14default_configENS1_27scan_by_key_config_selectorIssEEZZNS1_16scan_by_key_implILNS1_25lookback_scan_determinismE0ELb1ES3_N6thrust23THRUST_200600_302600_NS6detail15normal_iteratorINS9_10device_ptrIsEEEESE_SE_sNS9_10multipliesIsEENS9_8equal_toIsEEsEE10hipError_tPvRmT2_T3_T4_T5_mT6_T7_P12ihipStream_tbENKUlT_T0_E_clISt17integral_constantIbLb0EESZ_EEDaSU_SV_EUlSU_E_NS1_11comp_targetILNS1_3genE5ELNS1_11target_archE942ELNS1_3gpuE9ELNS1_3repE0EEENS1_30default_config_static_selectorELNS0_4arch9wavefront6targetE0EEEvT1_
	.globl	_ZN7rocprim17ROCPRIM_400000_NS6detail17trampoline_kernelINS0_14default_configENS1_27scan_by_key_config_selectorIssEEZZNS1_16scan_by_key_implILNS1_25lookback_scan_determinismE0ELb1ES3_N6thrust23THRUST_200600_302600_NS6detail15normal_iteratorINS9_10device_ptrIsEEEESE_SE_sNS9_10multipliesIsEENS9_8equal_toIsEEsEE10hipError_tPvRmT2_T3_T4_T5_mT6_T7_P12ihipStream_tbENKUlT_T0_E_clISt17integral_constantIbLb0EESZ_EEDaSU_SV_EUlSU_E_NS1_11comp_targetILNS1_3genE5ELNS1_11target_archE942ELNS1_3gpuE9ELNS1_3repE0EEENS1_30default_config_static_selectorELNS0_4arch9wavefront6targetE0EEEvT1_
	.p2align	8
	.type	_ZN7rocprim17ROCPRIM_400000_NS6detail17trampoline_kernelINS0_14default_configENS1_27scan_by_key_config_selectorIssEEZZNS1_16scan_by_key_implILNS1_25lookback_scan_determinismE0ELb1ES3_N6thrust23THRUST_200600_302600_NS6detail15normal_iteratorINS9_10device_ptrIsEEEESE_SE_sNS9_10multipliesIsEENS9_8equal_toIsEEsEE10hipError_tPvRmT2_T3_T4_T5_mT6_T7_P12ihipStream_tbENKUlT_T0_E_clISt17integral_constantIbLb0EESZ_EEDaSU_SV_EUlSU_E_NS1_11comp_targetILNS1_3genE5ELNS1_11target_archE942ELNS1_3gpuE9ELNS1_3repE0EEENS1_30default_config_static_selectorELNS0_4arch9wavefront6targetE0EEEvT1_,@function
_ZN7rocprim17ROCPRIM_400000_NS6detail17trampoline_kernelINS0_14default_configENS1_27scan_by_key_config_selectorIssEEZZNS1_16scan_by_key_implILNS1_25lookback_scan_determinismE0ELb1ES3_N6thrust23THRUST_200600_302600_NS6detail15normal_iteratorINS9_10device_ptrIsEEEESE_SE_sNS9_10multipliesIsEENS9_8equal_toIsEEsEE10hipError_tPvRmT2_T3_T4_T5_mT6_T7_P12ihipStream_tbENKUlT_T0_E_clISt17integral_constantIbLb0EESZ_EEDaSU_SV_EUlSU_E_NS1_11comp_targetILNS1_3genE5ELNS1_11target_archE942ELNS1_3gpuE9ELNS1_3repE0EEENS1_30default_config_static_selectorELNS0_4arch9wavefront6targetE0EEEvT1_: ; @_ZN7rocprim17ROCPRIM_400000_NS6detail17trampoline_kernelINS0_14default_configENS1_27scan_by_key_config_selectorIssEEZZNS1_16scan_by_key_implILNS1_25lookback_scan_determinismE0ELb1ES3_N6thrust23THRUST_200600_302600_NS6detail15normal_iteratorINS9_10device_ptrIsEEEESE_SE_sNS9_10multipliesIsEENS9_8equal_toIsEEsEE10hipError_tPvRmT2_T3_T4_T5_mT6_T7_P12ihipStream_tbENKUlT_T0_E_clISt17integral_constantIbLb0EESZ_EEDaSU_SV_EUlSU_E_NS1_11comp_targetILNS1_3genE5ELNS1_11target_archE942ELNS1_3gpuE9ELNS1_3repE0EEENS1_30default_config_static_selectorELNS0_4arch9wavefront6targetE0EEEvT1_
; %bb.0:
	.section	.rodata,"a",@progbits
	.p2align	6, 0x0
	.amdhsa_kernel _ZN7rocprim17ROCPRIM_400000_NS6detail17trampoline_kernelINS0_14default_configENS1_27scan_by_key_config_selectorIssEEZZNS1_16scan_by_key_implILNS1_25lookback_scan_determinismE0ELb1ES3_N6thrust23THRUST_200600_302600_NS6detail15normal_iteratorINS9_10device_ptrIsEEEESE_SE_sNS9_10multipliesIsEENS9_8equal_toIsEEsEE10hipError_tPvRmT2_T3_T4_T5_mT6_T7_P12ihipStream_tbENKUlT_T0_E_clISt17integral_constantIbLb0EESZ_EEDaSU_SV_EUlSU_E_NS1_11comp_targetILNS1_3genE5ELNS1_11target_archE942ELNS1_3gpuE9ELNS1_3repE0EEENS1_30default_config_static_selectorELNS0_4arch9wavefront6targetE0EEEvT1_
		.amdhsa_group_segment_fixed_size 0
		.amdhsa_private_segment_fixed_size 0
		.amdhsa_kernarg_size 112
		.amdhsa_user_sgpr_count 6
		.amdhsa_user_sgpr_private_segment_buffer 1
		.amdhsa_user_sgpr_dispatch_ptr 0
		.amdhsa_user_sgpr_queue_ptr 0
		.amdhsa_user_sgpr_kernarg_segment_ptr 1
		.amdhsa_user_sgpr_dispatch_id 0
		.amdhsa_user_sgpr_flat_scratch_init 0
		.amdhsa_user_sgpr_private_segment_size 0
		.amdhsa_wavefront_size32 1
		.amdhsa_uses_dynamic_stack 0
		.amdhsa_system_sgpr_private_segment_wavefront_offset 0
		.amdhsa_system_sgpr_workgroup_id_x 1
		.amdhsa_system_sgpr_workgroup_id_y 0
		.amdhsa_system_sgpr_workgroup_id_z 0
		.amdhsa_system_sgpr_workgroup_info 0
		.amdhsa_system_vgpr_workitem_id 0
		.amdhsa_next_free_vgpr 1
		.amdhsa_next_free_sgpr 1
		.amdhsa_reserve_vcc 0
		.amdhsa_reserve_flat_scratch 0
		.amdhsa_float_round_mode_32 0
		.amdhsa_float_round_mode_16_64 0
		.amdhsa_float_denorm_mode_32 3
		.amdhsa_float_denorm_mode_16_64 3
		.amdhsa_dx10_clamp 1
		.amdhsa_ieee_mode 1
		.amdhsa_fp16_overflow 0
		.amdhsa_workgroup_processor_mode 1
		.amdhsa_memory_ordered 1
		.amdhsa_forward_progress 1
		.amdhsa_shared_vgpr_count 0
		.amdhsa_exception_fp_ieee_invalid_op 0
		.amdhsa_exception_fp_denorm_src 0
		.amdhsa_exception_fp_ieee_div_zero 0
		.amdhsa_exception_fp_ieee_overflow 0
		.amdhsa_exception_fp_ieee_underflow 0
		.amdhsa_exception_fp_ieee_inexact 0
		.amdhsa_exception_int_div_zero 0
	.end_amdhsa_kernel
	.section	.text._ZN7rocprim17ROCPRIM_400000_NS6detail17trampoline_kernelINS0_14default_configENS1_27scan_by_key_config_selectorIssEEZZNS1_16scan_by_key_implILNS1_25lookback_scan_determinismE0ELb1ES3_N6thrust23THRUST_200600_302600_NS6detail15normal_iteratorINS9_10device_ptrIsEEEESE_SE_sNS9_10multipliesIsEENS9_8equal_toIsEEsEE10hipError_tPvRmT2_T3_T4_T5_mT6_T7_P12ihipStream_tbENKUlT_T0_E_clISt17integral_constantIbLb0EESZ_EEDaSU_SV_EUlSU_E_NS1_11comp_targetILNS1_3genE5ELNS1_11target_archE942ELNS1_3gpuE9ELNS1_3repE0EEENS1_30default_config_static_selectorELNS0_4arch9wavefront6targetE0EEEvT1_,"axG",@progbits,_ZN7rocprim17ROCPRIM_400000_NS6detail17trampoline_kernelINS0_14default_configENS1_27scan_by_key_config_selectorIssEEZZNS1_16scan_by_key_implILNS1_25lookback_scan_determinismE0ELb1ES3_N6thrust23THRUST_200600_302600_NS6detail15normal_iteratorINS9_10device_ptrIsEEEESE_SE_sNS9_10multipliesIsEENS9_8equal_toIsEEsEE10hipError_tPvRmT2_T3_T4_T5_mT6_T7_P12ihipStream_tbENKUlT_T0_E_clISt17integral_constantIbLb0EESZ_EEDaSU_SV_EUlSU_E_NS1_11comp_targetILNS1_3genE5ELNS1_11target_archE942ELNS1_3gpuE9ELNS1_3repE0EEENS1_30default_config_static_selectorELNS0_4arch9wavefront6targetE0EEEvT1_,comdat
.Lfunc_end607:
	.size	_ZN7rocprim17ROCPRIM_400000_NS6detail17trampoline_kernelINS0_14default_configENS1_27scan_by_key_config_selectorIssEEZZNS1_16scan_by_key_implILNS1_25lookback_scan_determinismE0ELb1ES3_N6thrust23THRUST_200600_302600_NS6detail15normal_iteratorINS9_10device_ptrIsEEEESE_SE_sNS9_10multipliesIsEENS9_8equal_toIsEEsEE10hipError_tPvRmT2_T3_T4_T5_mT6_T7_P12ihipStream_tbENKUlT_T0_E_clISt17integral_constantIbLb0EESZ_EEDaSU_SV_EUlSU_E_NS1_11comp_targetILNS1_3genE5ELNS1_11target_archE942ELNS1_3gpuE9ELNS1_3repE0EEENS1_30default_config_static_selectorELNS0_4arch9wavefront6targetE0EEEvT1_, .Lfunc_end607-_ZN7rocprim17ROCPRIM_400000_NS6detail17trampoline_kernelINS0_14default_configENS1_27scan_by_key_config_selectorIssEEZZNS1_16scan_by_key_implILNS1_25lookback_scan_determinismE0ELb1ES3_N6thrust23THRUST_200600_302600_NS6detail15normal_iteratorINS9_10device_ptrIsEEEESE_SE_sNS9_10multipliesIsEENS9_8equal_toIsEEsEE10hipError_tPvRmT2_T3_T4_T5_mT6_T7_P12ihipStream_tbENKUlT_T0_E_clISt17integral_constantIbLb0EESZ_EEDaSU_SV_EUlSU_E_NS1_11comp_targetILNS1_3genE5ELNS1_11target_archE942ELNS1_3gpuE9ELNS1_3repE0EEENS1_30default_config_static_selectorELNS0_4arch9wavefront6targetE0EEEvT1_
                                        ; -- End function
	.set _ZN7rocprim17ROCPRIM_400000_NS6detail17trampoline_kernelINS0_14default_configENS1_27scan_by_key_config_selectorIssEEZZNS1_16scan_by_key_implILNS1_25lookback_scan_determinismE0ELb1ES3_N6thrust23THRUST_200600_302600_NS6detail15normal_iteratorINS9_10device_ptrIsEEEESE_SE_sNS9_10multipliesIsEENS9_8equal_toIsEEsEE10hipError_tPvRmT2_T3_T4_T5_mT6_T7_P12ihipStream_tbENKUlT_T0_E_clISt17integral_constantIbLb0EESZ_EEDaSU_SV_EUlSU_E_NS1_11comp_targetILNS1_3genE5ELNS1_11target_archE942ELNS1_3gpuE9ELNS1_3repE0EEENS1_30default_config_static_selectorELNS0_4arch9wavefront6targetE0EEEvT1_.num_vgpr, 0
	.set _ZN7rocprim17ROCPRIM_400000_NS6detail17trampoline_kernelINS0_14default_configENS1_27scan_by_key_config_selectorIssEEZZNS1_16scan_by_key_implILNS1_25lookback_scan_determinismE0ELb1ES3_N6thrust23THRUST_200600_302600_NS6detail15normal_iteratorINS9_10device_ptrIsEEEESE_SE_sNS9_10multipliesIsEENS9_8equal_toIsEEsEE10hipError_tPvRmT2_T3_T4_T5_mT6_T7_P12ihipStream_tbENKUlT_T0_E_clISt17integral_constantIbLb0EESZ_EEDaSU_SV_EUlSU_E_NS1_11comp_targetILNS1_3genE5ELNS1_11target_archE942ELNS1_3gpuE9ELNS1_3repE0EEENS1_30default_config_static_selectorELNS0_4arch9wavefront6targetE0EEEvT1_.num_agpr, 0
	.set _ZN7rocprim17ROCPRIM_400000_NS6detail17trampoline_kernelINS0_14default_configENS1_27scan_by_key_config_selectorIssEEZZNS1_16scan_by_key_implILNS1_25lookback_scan_determinismE0ELb1ES3_N6thrust23THRUST_200600_302600_NS6detail15normal_iteratorINS9_10device_ptrIsEEEESE_SE_sNS9_10multipliesIsEENS9_8equal_toIsEEsEE10hipError_tPvRmT2_T3_T4_T5_mT6_T7_P12ihipStream_tbENKUlT_T0_E_clISt17integral_constantIbLb0EESZ_EEDaSU_SV_EUlSU_E_NS1_11comp_targetILNS1_3genE5ELNS1_11target_archE942ELNS1_3gpuE9ELNS1_3repE0EEENS1_30default_config_static_selectorELNS0_4arch9wavefront6targetE0EEEvT1_.numbered_sgpr, 0
	.set _ZN7rocprim17ROCPRIM_400000_NS6detail17trampoline_kernelINS0_14default_configENS1_27scan_by_key_config_selectorIssEEZZNS1_16scan_by_key_implILNS1_25lookback_scan_determinismE0ELb1ES3_N6thrust23THRUST_200600_302600_NS6detail15normal_iteratorINS9_10device_ptrIsEEEESE_SE_sNS9_10multipliesIsEENS9_8equal_toIsEEsEE10hipError_tPvRmT2_T3_T4_T5_mT6_T7_P12ihipStream_tbENKUlT_T0_E_clISt17integral_constantIbLb0EESZ_EEDaSU_SV_EUlSU_E_NS1_11comp_targetILNS1_3genE5ELNS1_11target_archE942ELNS1_3gpuE9ELNS1_3repE0EEENS1_30default_config_static_selectorELNS0_4arch9wavefront6targetE0EEEvT1_.num_named_barrier, 0
	.set _ZN7rocprim17ROCPRIM_400000_NS6detail17trampoline_kernelINS0_14default_configENS1_27scan_by_key_config_selectorIssEEZZNS1_16scan_by_key_implILNS1_25lookback_scan_determinismE0ELb1ES3_N6thrust23THRUST_200600_302600_NS6detail15normal_iteratorINS9_10device_ptrIsEEEESE_SE_sNS9_10multipliesIsEENS9_8equal_toIsEEsEE10hipError_tPvRmT2_T3_T4_T5_mT6_T7_P12ihipStream_tbENKUlT_T0_E_clISt17integral_constantIbLb0EESZ_EEDaSU_SV_EUlSU_E_NS1_11comp_targetILNS1_3genE5ELNS1_11target_archE942ELNS1_3gpuE9ELNS1_3repE0EEENS1_30default_config_static_selectorELNS0_4arch9wavefront6targetE0EEEvT1_.private_seg_size, 0
	.set _ZN7rocprim17ROCPRIM_400000_NS6detail17trampoline_kernelINS0_14default_configENS1_27scan_by_key_config_selectorIssEEZZNS1_16scan_by_key_implILNS1_25lookback_scan_determinismE0ELb1ES3_N6thrust23THRUST_200600_302600_NS6detail15normal_iteratorINS9_10device_ptrIsEEEESE_SE_sNS9_10multipliesIsEENS9_8equal_toIsEEsEE10hipError_tPvRmT2_T3_T4_T5_mT6_T7_P12ihipStream_tbENKUlT_T0_E_clISt17integral_constantIbLb0EESZ_EEDaSU_SV_EUlSU_E_NS1_11comp_targetILNS1_3genE5ELNS1_11target_archE942ELNS1_3gpuE9ELNS1_3repE0EEENS1_30default_config_static_selectorELNS0_4arch9wavefront6targetE0EEEvT1_.uses_vcc, 0
	.set _ZN7rocprim17ROCPRIM_400000_NS6detail17trampoline_kernelINS0_14default_configENS1_27scan_by_key_config_selectorIssEEZZNS1_16scan_by_key_implILNS1_25lookback_scan_determinismE0ELb1ES3_N6thrust23THRUST_200600_302600_NS6detail15normal_iteratorINS9_10device_ptrIsEEEESE_SE_sNS9_10multipliesIsEENS9_8equal_toIsEEsEE10hipError_tPvRmT2_T3_T4_T5_mT6_T7_P12ihipStream_tbENKUlT_T0_E_clISt17integral_constantIbLb0EESZ_EEDaSU_SV_EUlSU_E_NS1_11comp_targetILNS1_3genE5ELNS1_11target_archE942ELNS1_3gpuE9ELNS1_3repE0EEENS1_30default_config_static_selectorELNS0_4arch9wavefront6targetE0EEEvT1_.uses_flat_scratch, 0
	.set _ZN7rocprim17ROCPRIM_400000_NS6detail17trampoline_kernelINS0_14default_configENS1_27scan_by_key_config_selectorIssEEZZNS1_16scan_by_key_implILNS1_25lookback_scan_determinismE0ELb1ES3_N6thrust23THRUST_200600_302600_NS6detail15normal_iteratorINS9_10device_ptrIsEEEESE_SE_sNS9_10multipliesIsEENS9_8equal_toIsEEsEE10hipError_tPvRmT2_T3_T4_T5_mT6_T7_P12ihipStream_tbENKUlT_T0_E_clISt17integral_constantIbLb0EESZ_EEDaSU_SV_EUlSU_E_NS1_11comp_targetILNS1_3genE5ELNS1_11target_archE942ELNS1_3gpuE9ELNS1_3repE0EEENS1_30default_config_static_selectorELNS0_4arch9wavefront6targetE0EEEvT1_.has_dyn_sized_stack, 0
	.set _ZN7rocprim17ROCPRIM_400000_NS6detail17trampoline_kernelINS0_14default_configENS1_27scan_by_key_config_selectorIssEEZZNS1_16scan_by_key_implILNS1_25lookback_scan_determinismE0ELb1ES3_N6thrust23THRUST_200600_302600_NS6detail15normal_iteratorINS9_10device_ptrIsEEEESE_SE_sNS9_10multipliesIsEENS9_8equal_toIsEEsEE10hipError_tPvRmT2_T3_T4_T5_mT6_T7_P12ihipStream_tbENKUlT_T0_E_clISt17integral_constantIbLb0EESZ_EEDaSU_SV_EUlSU_E_NS1_11comp_targetILNS1_3genE5ELNS1_11target_archE942ELNS1_3gpuE9ELNS1_3repE0EEENS1_30default_config_static_selectorELNS0_4arch9wavefront6targetE0EEEvT1_.has_recursion, 0
	.set _ZN7rocprim17ROCPRIM_400000_NS6detail17trampoline_kernelINS0_14default_configENS1_27scan_by_key_config_selectorIssEEZZNS1_16scan_by_key_implILNS1_25lookback_scan_determinismE0ELb1ES3_N6thrust23THRUST_200600_302600_NS6detail15normal_iteratorINS9_10device_ptrIsEEEESE_SE_sNS9_10multipliesIsEENS9_8equal_toIsEEsEE10hipError_tPvRmT2_T3_T4_T5_mT6_T7_P12ihipStream_tbENKUlT_T0_E_clISt17integral_constantIbLb0EESZ_EEDaSU_SV_EUlSU_E_NS1_11comp_targetILNS1_3genE5ELNS1_11target_archE942ELNS1_3gpuE9ELNS1_3repE0EEENS1_30default_config_static_selectorELNS0_4arch9wavefront6targetE0EEEvT1_.has_indirect_call, 0
	.section	.AMDGPU.csdata,"",@progbits
; Kernel info:
; codeLenInByte = 0
; TotalNumSgprs: 0
; NumVgprs: 0
; ScratchSize: 0
; MemoryBound: 0
; FloatMode: 240
; IeeeMode: 1
; LDSByteSize: 0 bytes/workgroup (compile time only)
; SGPRBlocks: 0
; VGPRBlocks: 0
; NumSGPRsForWavesPerEU: 1
; NumVGPRsForWavesPerEU: 1
; Occupancy: 16
; WaveLimiterHint : 0
; COMPUTE_PGM_RSRC2:SCRATCH_EN: 0
; COMPUTE_PGM_RSRC2:USER_SGPR: 6
; COMPUTE_PGM_RSRC2:TRAP_HANDLER: 0
; COMPUTE_PGM_RSRC2:TGID_X_EN: 1
; COMPUTE_PGM_RSRC2:TGID_Y_EN: 0
; COMPUTE_PGM_RSRC2:TGID_Z_EN: 0
; COMPUTE_PGM_RSRC2:TIDIG_COMP_CNT: 0
	.section	.text._ZN7rocprim17ROCPRIM_400000_NS6detail17trampoline_kernelINS0_14default_configENS1_27scan_by_key_config_selectorIssEEZZNS1_16scan_by_key_implILNS1_25lookback_scan_determinismE0ELb1ES3_N6thrust23THRUST_200600_302600_NS6detail15normal_iteratorINS9_10device_ptrIsEEEESE_SE_sNS9_10multipliesIsEENS9_8equal_toIsEEsEE10hipError_tPvRmT2_T3_T4_T5_mT6_T7_P12ihipStream_tbENKUlT_T0_E_clISt17integral_constantIbLb0EESZ_EEDaSU_SV_EUlSU_E_NS1_11comp_targetILNS1_3genE4ELNS1_11target_archE910ELNS1_3gpuE8ELNS1_3repE0EEENS1_30default_config_static_selectorELNS0_4arch9wavefront6targetE0EEEvT1_,"axG",@progbits,_ZN7rocprim17ROCPRIM_400000_NS6detail17trampoline_kernelINS0_14default_configENS1_27scan_by_key_config_selectorIssEEZZNS1_16scan_by_key_implILNS1_25lookback_scan_determinismE0ELb1ES3_N6thrust23THRUST_200600_302600_NS6detail15normal_iteratorINS9_10device_ptrIsEEEESE_SE_sNS9_10multipliesIsEENS9_8equal_toIsEEsEE10hipError_tPvRmT2_T3_T4_T5_mT6_T7_P12ihipStream_tbENKUlT_T0_E_clISt17integral_constantIbLb0EESZ_EEDaSU_SV_EUlSU_E_NS1_11comp_targetILNS1_3genE4ELNS1_11target_archE910ELNS1_3gpuE8ELNS1_3repE0EEENS1_30default_config_static_selectorELNS0_4arch9wavefront6targetE0EEEvT1_,comdat
	.protected	_ZN7rocprim17ROCPRIM_400000_NS6detail17trampoline_kernelINS0_14default_configENS1_27scan_by_key_config_selectorIssEEZZNS1_16scan_by_key_implILNS1_25lookback_scan_determinismE0ELb1ES3_N6thrust23THRUST_200600_302600_NS6detail15normal_iteratorINS9_10device_ptrIsEEEESE_SE_sNS9_10multipliesIsEENS9_8equal_toIsEEsEE10hipError_tPvRmT2_T3_T4_T5_mT6_T7_P12ihipStream_tbENKUlT_T0_E_clISt17integral_constantIbLb0EESZ_EEDaSU_SV_EUlSU_E_NS1_11comp_targetILNS1_3genE4ELNS1_11target_archE910ELNS1_3gpuE8ELNS1_3repE0EEENS1_30default_config_static_selectorELNS0_4arch9wavefront6targetE0EEEvT1_ ; -- Begin function _ZN7rocprim17ROCPRIM_400000_NS6detail17trampoline_kernelINS0_14default_configENS1_27scan_by_key_config_selectorIssEEZZNS1_16scan_by_key_implILNS1_25lookback_scan_determinismE0ELb1ES3_N6thrust23THRUST_200600_302600_NS6detail15normal_iteratorINS9_10device_ptrIsEEEESE_SE_sNS9_10multipliesIsEENS9_8equal_toIsEEsEE10hipError_tPvRmT2_T3_T4_T5_mT6_T7_P12ihipStream_tbENKUlT_T0_E_clISt17integral_constantIbLb0EESZ_EEDaSU_SV_EUlSU_E_NS1_11comp_targetILNS1_3genE4ELNS1_11target_archE910ELNS1_3gpuE8ELNS1_3repE0EEENS1_30default_config_static_selectorELNS0_4arch9wavefront6targetE0EEEvT1_
	.globl	_ZN7rocprim17ROCPRIM_400000_NS6detail17trampoline_kernelINS0_14default_configENS1_27scan_by_key_config_selectorIssEEZZNS1_16scan_by_key_implILNS1_25lookback_scan_determinismE0ELb1ES3_N6thrust23THRUST_200600_302600_NS6detail15normal_iteratorINS9_10device_ptrIsEEEESE_SE_sNS9_10multipliesIsEENS9_8equal_toIsEEsEE10hipError_tPvRmT2_T3_T4_T5_mT6_T7_P12ihipStream_tbENKUlT_T0_E_clISt17integral_constantIbLb0EESZ_EEDaSU_SV_EUlSU_E_NS1_11comp_targetILNS1_3genE4ELNS1_11target_archE910ELNS1_3gpuE8ELNS1_3repE0EEENS1_30default_config_static_selectorELNS0_4arch9wavefront6targetE0EEEvT1_
	.p2align	8
	.type	_ZN7rocprim17ROCPRIM_400000_NS6detail17trampoline_kernelINS0_14default_configENS1_27scan_by_key_config_selectorIssEEZZNS1_16scan_by_key_implILNS1_25lookback_scan_determinismE0ELb1ES3_N6thrust23THRUST_200600_302600_NS6detail15normal_iteratorINS9_10device_ptrIsEEEESE_SE_sNS9_10multipliesIsEENS9_8equal_toIsEEsEE10hipError_tPvRmT2_T3_T4_T5_mT6_T7_P12ihipStream_tbENKUlT_T0_E_clISt17integral_constantIbLb0EESZ_EEDaSU_SV_EUlSU_E_NS1_11comp_targetILNS1_3genE4ELNS1_11target_archE910ELNS1_3gpuE8ELNS1_3repE0EEENS1_30default_config_static_selectorELNS0_4arch9wavefront6targetE0EEEvT1_,@function
_ZN7rocprim17ROCPRIM_400000_NS6detail17trampoline_kernelINS0_14default_configENS1_27scan_by_key_config_selectorIssEEZZNS1_16scan_by_key_implILNS1_25lookback_scan_determinismE0ELb1ES3_N6thrust23THRUST_200600_302600_NS6detail15normal_iteratorINS9_10device_ptrIsEEEESE_SE_sNS9_10multipliesIsEENS9_8equal_toIsEEsEE10hipError_tPvRmT2_T3_T4_T5_mT6_T7_P12ihipStream_tbENKUlT_T0_E_clISt17integral_constantIbLb0EESZ_EEDaSU_SV_EUlSU_E_NS1_11comp_targetILNS1_3genE4ELNS1_11target_archE910ELNS1_3gpuE8ELNS1_3repE0EEENS1_30default_config_static_selectorELNS0_4arch9wavefront6targetE0EEEvT1_: ; @_ZN7rocprim17ROCPRIM_400000_NS6detail17trampoline_kernelINS0_14default_configENS1_27scan_by_key_config_selectorIssEEZZNS1_16scan_by_key_implILNS1_25lookback_scan_determinismE0ELb1ES3_N6thrust23THRUST_200600_302600_NS6detail15normal_iteratorINS9_10device_ptrIsEEEESE_SE_sNS9_10multipliesIsEENS9_8equal_toIsEEsEE10hipError_tPvRmT2_T3_T4_T5_mT6_T7_P12ihipStream_tbENKUlT_T0_E_clISt17integral_constantIbLb0EESZ_EEDaSU_SV_EUlSU_E_NS1_11comp_targetILNS1_3genE4ELNS1_11target_archE910ELNS1_3gpuE8ELNS1_3repE0EEENS1_30default_config_static_selectorELNS0_4arch9wavefront6targetE0EEEvT1_
; %bb.0:
	.section	.rodata,"a",@progbits
	.p2align	6, 0x0
	.amdhsa_kernel _ZN7rocprim17ROCPRIM_400000_NS6detail17trampoline_kernelINS0_14default_configENS1_27scan_by_key_config_selectorIssEEZZNS1_16scan_by_key_implILNS1_25lookback_scan_determinismE0ELb1ES3_N6thrust23THRUST_200600_302600_NS6detail15normal_iteratorINS9_10device_ptrIsEEEESE_SE_sNS9_10multipliesIsEENS9_8equal_toIsEEsEE10hipError_tPvRmT2_T3_T4_T5_mT6_T7_P12ihipStream_tbENKUlT_T0_E_clISt17integral_constantIbLb0EESZ_EEDaSU_SV_EUlSU_E_NS1_11comp_targetILNS1_3genE4ELNS1_11target_archE910ELNS1_3gpuE8ELNS1_3repE0EEENS1_30default_config_static_selectorELNS0_4arch9wavefront6targetE0EEEvT1_
		.amdhsa_group_segment_fixed_size 0
		.amdhsa_private_segment_fixed_size 0
		.amdhsa_kernarg_size 112
		.amdhsa_user_sgpr_count 6
		.amdhsa_user_sgpr_private_segment_buffer 1
		.amdhsa_user_sgpr_dispatch_ptr 0
		.amdhsa_user_sgpr_queue_ptr 0
		.amdhsa_user_sgpr_kernarg_segment_ptr 1
		.amdhsa_user_sgpr_dispatch_id 0
		.amdhsa_user_sgpr_flat_scratch_init 0
		.amdhsa_user_sgpr_private_segment_size 0
		.amdhsa_wavefront_size32 1
		.amdhsa_uses_dynamic_stack 0
		.amdhsa_system_sgpr_private_segment_wavefront_offset 0
		.amdhsa_system_sgpr_workgroup_id_x 1
		.amdhsa_system_sgpr_workgroup_id_y 0
		.amdhsa_system_sgpr_workgroup_id_z 0
		.amdhsa_system_sgpr_workgroup_info 0
		.amdhsa_system_vgpr_workitem_id 0
		.amdhsa_next_free_vgpr 1
		.amdhsa_next_free_sgpr 1
		.amdhsa_reserve_vcc 0
		.amdhsa_reserve_flat_scratch 0
		.amdhsa_float_round_mode_32 0
		.amdhsa_float_round_mode_16_64 0
		.amdhsa_float_denorm_mode_32 3
		.amdhsa_float_denorm_mode_16_64 3
		.amdhsa_dx10_clamp 1
		.amdhsa_ieee_mode 1
		.amdhsa_fp16_overflow 0
		.amdhsa_workgroup_processor_mode 1
		.amdhsa_memory_ordered 1
		.amdhsa_forward_progress 1
		.amdhsa_shared_vgpr_count 0
		.amdhsa_exception_fp_ieee_invalid_op 0
		.amdhsa_exception_fp_denorm_src 0
		.amdhsa_exception_fp_ieee_div_zero 0
		.amdhsa_exception_fp_ieee_overflow 0
		.amdhsa_exception_fp_ieee_underflow 0
		.amdhsa_exception_fp_ieee_inexact 0
		.amdhsa_exception_int_div_zero 0
	.end_amdhsa_kernel
	.section	.text._ZN7rocprim17ROCPRIM_400000_NS6detail17trampoline_kernelINS0_14default_configENS1_27scan_by_key_config_selectorIssEEZZNS1_16scan_by_key_implILNS1_25lookback_scan_determinismE0ELb1ES3_N6thrust23THRUST_200600_302600_NS6detail15normal_iteratorINS9_10device_ptrIsEEEESE_SE_sNS9_10multipliesIsEENS9_8equal_toIsEEsEE10hipError_tPvRmT2_T3_T4_T5_mT6_T7_P12ihipStream_tbENKUlT_T0_E_clISt17integral_constantIbLb0EESZ_EEDaSU_SV_EUlSU_E_NS1_11comp_targetILNS1_3genE4ELNS1_11target_archE910ELNS1_3gpuE8ELNS1_3repE0EEENS1_30default_config_static_selectorELNS0_4arch9wavefront6targetE0EEEvT1_,"axG",@progbits,_ZN7rocprim17ROCPRIM_400000_NS6detail17trampoline_kernelINS0_14default_configENS1_27scan_by_key_config_selectorIssEEZZNS1_16scan_by_key_implILNS1_25lookback_scan_determinismE0ELb1ES3_N6thrust23THRUST_200600_302600_NS6detail15normal_iteratorINS9_10device_ptrIsEEEESE_SE_sNS9_10multipliesIsEENS9_8equal_toIsEEsEE10hipError_tPvRmT2_T3_T4_T5_mT6_T7_P12ihipStream_tbENKUlT_T0_E_clISt17integral_constantIbLb0EESZ_EEDaSU_SV_EUlSU_E_NS1_11comp_targetILNS1_3genE4ELNS1_11target_archE910ELNS1_3gpuE8ELNS1_3repE0EEENS1_30default_config_static_selectorELNS0_4arch9wavefront6targetE0EEEvT1_,comdat
.Lfunc_end608:
	.size	_ZN7rocprim17ROCPRIM_400000_NS6detail17trampoline_kernelINS0_14default_configENS1_27scan_by_key_config_selectorIssEEZZNS1_16scan_by_key_implILNS1_25lookback_scan_determinismE0ELb1ES3_N6thrust23THRUST_200600_302600_NS6detail15normal_iteratorINS9_10device_ptrIsEEEESE_SE_sNS9_10multipliesIsEENS9_8equal_toIsEEsEE10hipError_tPvRmT2_T3_T4_T5_mT6_T7_P12ihipStream_tbENKUlT_T0_E_clISt17integral_constantIbLb0EESZ_EEDaSU_SV_EUlSU_E_NS1_11comp_targetILNS1_3genE4ELNS1_11target_archE910ELNS1_3gpuE8ELNS1_3repE0EEENS1_30default_config_static_selectorELNS0_4arch9wavefront6targetE0EEEvT1_, .Lfunc_end608-_ZN7rocprim17ROCPRIM_400000_NS6detail17trampoline_kernelINS0_14default_configENS1_27scan_by_key_config_selectorIssEEZZNS1_16scan_by_key_implILNS1_25lookback_scan_determinismE0ELb1ES3_N6thrust23THRUST_200600_302600_NS6detail15normal_iteratorINS9_10device_ptrIsEEEESE_SE_sNS9_10multipliesIsEENS9_8equal_toIsEEsEE10hipError_tPvRmT2_T3_T4_T5_mT6_T7_P12ihipStream_tbENKUlT_T0_E_clISt17integral_constantIbLb0EESZ_EEDaSU_SV_EUlSU_E_NS1_11comp_targetILNS1_3genE4ELNS1_11target_archE910ELNS1_3gpuE8ELNS1_3repE0EEENS1_30default_config_static_selectorELNS0_4arch9wavefront6targetE0EEEvT1_
                                        ; -- End function
	.set _ZN7rocprim17ROCPRIM_400000_NS6detail17trampoline_kernelINS0_14default_configENS1_27scan_by_key_config_selectorIssEEZZNS1_16scan_by_key_implILNS1_25lookback_scan_determinismE0ELb1ES3_N6thrust23THRUST_200600_302600_NS6detail15normal_iteratorINS9_10device_ptrIsEEEESE_SE_sNS9_10multipliesIsEENS9_8equal_toIsEEsEE10hipError_tPvRmT2_T3_T4_T5_mT6_T7_P12ihipStream_tbENKUlT_T0_E_clISt17integral_constantIbLb0EESZ_EEDaSU_SV_EUlSU_E_NS1_11comp_targetILNS1_3genE4ELNS1_11target_archE910ELNS1_3gpuE8ELNS1_3repE0EEENS1_30default_config_static_selectorELNS0_4arch9wavefront6targetE0EEEvT1_.num_vgpr, 0
	.set _ZN7rocprim17ROCPRIM_400000_NS6detail17trampoline_kernelINS0_14default_configENS1_27scan_by_key_config_selectorIssEEZZNS1_16scan_by_key_implILNS1_25lookback_scan_determinismE0ELb1ES3_N6thrust23THRUST_200600_302600_NS6detail15normal_iteratorINS9_10device_ptrIsEEEESE_SE_sNS9_10multipliesIsEENS9_8equal_toIsEEsEE10hipError_tPvRmT2_T3_T4_T5_mT6_T7_P12ihipStream_tbENKUlT_T0_E_clISt17integral_constantIbLb0EESZ_EEDaSU_SV_EUlSU_E_NS1_11comp_targetILNS1_3genE4ELNS1_11target_archE910ELNS1_3gpuE8ELNS1_3repE0EEENS1_30default_config_static_selectorELNS0_4arch9wavefront6targetE0EEEvT1_.num_agpr, 0
	.set _ZN7rocprim17ROCPRIM_400000_NS6detail17trampoline_kernelINS0_14default_configENS1_27scan_by_key_config_selectorIssEEZZNS1_16scan_by_key_implILNS1_25lookback_scan_determinismE0ELb1ES3_N6thrust23THRUST_200600_302600_NS6detail15normal_iteratorINS9_10device_ptrIsEEEESE_SE_sNS9_10multipliesIsEENS9_8equal_toIsEEsEE10hipError_tPvRmT2_T3_T4_T5_mT6_T7_P12ihipStream_tbENKUlT_T0_E_clISt17integral_constantIbLb0EESZ_EEDaSU_SV_EUlSU_E_NS1_11comp_targetILNS1_3genE4ELNS1_11target_archE910ELNS1_3gpuE8ELNS1_3repE0EEENS1_30default_config_static_selectorELNS0_4arch9wavefront6targetE0EEEvT1_.numbered_sgpr, 0
	.set _ZN7rocprim17ROCPRIM_400000_NS6detail17trampoline_kernelINS0_14default_configENS1_27scan_by_key_config_selectorIssEEZZNS1_16scan_by_key_implILNS1_25lookback_scan_determinismE0ELb1ES3_N6thrust23THRUST_200600_302600_NS6detail15normal_iteratorINS9_10device_ptrIsEEEESE_SE_sNS9_10multipliesIsEENS9_8equal_toIsEEsEE10hipError_tPvRmT2_T3_T4_T5_mT6_T7_P12ihipStream_tbENKUlT_T0_E_clISt17integral_constantIbLb0EESZ_EEDaSU_SV_EUlSU_E_NS1_11comp_targetILNS1_3genE4ELNS1_11target_archE910ELNS1_3gpuE8ELNS1_3repE0EEENS1_30default_config_static_selectorELNS0_4arch9wavefront6targetE0EEEvT1_.num_named_barrier, 0
	.set _ZN7rocprim17ROCPRIM_400000_NS6detail17trampoline_kernelINS0_14default_configENS1_27scan_by_key_config_selectorIssEEZZNS1_16scan_by_key_implILNS1_25lookback_scan_determinismE0ELb1ES3_N6thrust23THRUST_200600_302600_NS6detail15normal_iteratorINS9_10device_ptrIsEEEESE_SE_sNS9_10multipliesIsEENS9_8equal_toIsEEsEE10hipError_tPvRmT2_T3_T4_T5_mT6_T7_P12ihipStream_tbENKUlT_T0_E_clISt17integral_constantIbLb0EESZ_EEDaSU_SV_EUlSU_E_NS1_11comp_targetILNS1_3genE4ELNS1_11target_archE910ELNS1_3gpuE8ELNS1_3repE0EEENS1_30default_config_static_selectorELNS0_4arch9wavefront6targetE0EEEvT1_.private_seg_size, 0
	.set _ZN7rocprim17ROCPRIM_400000_NS6detail17trampoline_kernelINS0_14default_configENS1_27scan_by_key_config_selectorIssEEZZNS1_16scan_by_key_implILNS1_25lookback_scan_determinismE0ELb1ES3_N6thrust23THRUST_200600_302600_NS6detail15normal_iteratorINS9_10device_ptrIsEEEESE_SE_sNS9_10multipliesIsEENS9_8equal_toIsEEsEE10hipError_tPvRmT2_T3_T4_T5_mT6_T7_P12ihipStream_tbENKUlT_T0_E_clISt17integral_constantIbLb0EESZ_EEDaSU_SV_EUlSU_E_NS1_11comp_targetILNS1_3genE4ELNS1_11target_archE910ELNS1_3gpuE8ELNS1_3repE0EEENS1_30default_config_static_selectorELNS0_4arch9wavefront6targetE0EEEvT1_.uses_vcc, 0
	.set _ZN7rocprim17ROCPRIM_400000_NS6detail17trampoline_kernelINS0_14default_configENS1_27scan_by_key_config_selectorIssEEZZNS1_16scan_by_key_implILNS1_25lookback_scan_determinismE0ELb1ES3_N6thrust23THRUST_200600_302600_NS6detail15normal_iteratorINS9_10device_ptrIsEEEESE_SE_sNS9_10multipliesIsEENS9_8equal_toIsEEsEE10hipError_tPvRmT2_T3_T4_T5_mT6_T7_P12ihipStream_tbENKUlT_T0_E_clISt17integral_constantIbLb0EESZ_EEDaSU_SV_EUlSU_E_NS1_11comp_targetILNS1_3genE4ELNS1_11target_archE910ELNS1_3gpuE8ELNS1_3repE0EEENS1_30default_config_static_selectorELNS0_4arch9wavefront6targetE0EEEvT1_.uses_flat_scratch, 0
	.set _ZN7rocprim17ROCPRIM_400000_NS6detail17trampoline_kernelINS0_14default_configENS1_27scan_by_key_config_selectorIssEEZZNS1_16scan_by_key_implILNS1_25lookback_scan_determinismE0ELb1ES3_N6thrust23THRUST_200600_302600_NS6detail15normal_iteratorINS9_10device_ptrIsEEEESE_SE_sNS9_10multipliesIsEENS9_8equal_toIsEEsEE10hipError_tPvRmT2_T3_T4_T5_mT6_T7_P12ihipStream_tbENKUlT_T0_E_clISt17integral_constantIbLb0EESZ_EEDaSU_SV_EUlSU_E_NS1_11comp_targetILNS1_3genE4ELNS1_11target_archE910ELNS1_3gpuE8ELNS1_3repE0EEENS1_30default_config_static_selectorELNS0_4arch9wavefront6targetE0EEEvT1_.has_dyn_sized_stack, 0
	.set _ZN7rocprim17ROCPRIM_400000_NS6detail17trampoline_kernelINS0_14default_configENS1_27scan_by_key_config_selectorIssEEZZNS1_16scan_by_key_implILNS1_25lookback_scan_determinismE0ELb1ES3_N6thrust23THRUST_200600_302600_NS6detail15normal_iteratorINS9_10device_ptrIsEEEESE_SE_sNS9_10multipliesIsEENS9_8equal_toIsEEsEE10hipError_tPvRmT2_T3_T4_T5_mT6_T7_P12ihipStream_tbENKUlT_T0_E_clISt17integral_constantIbLb0EESZ_EEDaSU_SV_EUlSU_E_NS1_11comp_targetILNS1_3genE4ELNS1_11target_archE910ELNS1_3gpuE8ELNS1_3repE0EEENS1_30default_config_static_selectorELNS0_4arch9wavefront6targetE0EEEvT1_.has_recursion, 0
	.set _ZN7rocprim17ROCPRIM_400000_NS6detail17trampoline_kernelINS0_14default_configENS1_27scan_by_key_config_selectorIssEEZZNS1_16scan_by_key_implILNS1_25lookback_scan_determinismE0ELb1ES3_N6thrust23THRUST_200600_302600_NS6detail15normal_iteratorINS9_10device_ptrIsEEEESE_SE_sNS9_10multipliesIsEENS9_8equal_toIsEEsEE10hipError_tPvRmT2_T3_T4_T5_mT6_T7_P12ihipStream_tbENKUlT_T0_E_clISt17integral_constantIbLb0EESZ_EEDaSU_SV_EUlSU_E_NS1_11comp_targetILNS1_3genE4ELNS1_11target_archE910ELNS1_3gpuE8ELNS1_3repE0EEENS1_30default_config_static_selectorELNS0_4arch9wavefront6targetE0EEEvT1_.has_indirect_call, 0
	.section	.AMDGPU.csdata,"",@progbits
; Kernel info:
; codeLenInByte = 0
; TotalNumSgprs: 0
; NumVgprs: 0
; ScratchSize: 0
; MemoryBound: 0
; FloatMode: 240
; IeeeMode: 1
; LDSByteSize: 0 bytes/workgroup (compile time only)
; SGPRBlocks: 0
; VGPRBlocks: 0
; NumSGPRsForWavesPerEU: 1
; NumVGPRsForWavesPerEU: 1
; Occupancy: 16
; WaveLimiterHint : 0
; COMPUTE_PGM_RSRC2:SCRATCH_EN: 0
; COMPUTE_PGM_RSRC2:USER_SGPR: 6
; COMPUTE_PGM_RSRC2:TRAP_HANDLER: 0
; COMPUTE_PGM_RSRC2:TGID_X_EN: 1
; COMPUTE_PGM_RSRC2:TGID_Y_EN: 0
; COMPUTE_PGM_RSRC2:TGID_Z_EN: 0
; COMPUTE_PGM_RSRC2:TIDIG_COMP_CNT: 0
	.section	.text._ZN7rocprim17ROCPRIM_400000_NS6detail17trampoline_kernelINS0_14default_configENS1_27scan_by_key_config_selectorIssEEZZNS1_16scan_by_key_implILNS1_25lookback_scan_determinismE0ELb1ES3_N6thrust23THRUST_200600_302600_NS6detail15normal_iteratorINS9_10device_ptrIsEEEESE_SE_sNS9_10multipliesIsEENS9_8equal_toIsEEsEE10hipError_tPvRmT2_T3_T4_T5_mT6_T7_P12ihipStream_tbENKUlT_T0_E_clISt17integral_constantIbLb0EESZ_EEDaSU_SV_EUlSU_E_NS1_11comp_targetILNS1_3genE3ELNS1_11target_archE908ELNS1_3gpuE7ELNS1_3repE0EEENS1_30default_config_static_selectorELNS0_4arch9wavefront6targetE0EEEvT1_,"axG",@progbits,_ZN7rocprim17ROCPRIM_400000_NS6detail17trampoline_kernelINS0_14default_configENS1_27scan_by_key_config_selectorIssEEZZNS1_16scan_by_key_implILNS1_25lookback_scan_determinismE0ELb1ES3_N6thrust23THRUST_200600_302600_NS6detail15normal_iteratorINS9_10device_ptrIsEEEESE_SE_sNS9_10multipliesIsEENS9_8equal_toIsEEsEE10hipError_tPvRmT2_T3_T4_T5_mT6_T7_P12ihipStream_tbENKUlT_T0_E_clISt17integral_constantIbLb0EESZ_EEDaSU_SV_EUlSU_E_NS1_11comp_targetILNS1_3genE3ELNS1_11target_archE908ELNS1_3gpuE7ELNS1_3repE0EEENS1_30default_config_static_selectorELNS0_4arch9wavefront6targetE0EEEvT1_,comdat
	.protected	_ZN7rocprim17ROCPRIM_400000_NS6detail17trampoline_kernelINS0_14default_configENS1_27scan_by_key_config_selectorIssEEZZNS1_16scan_by_key_implILNS1_25lookback_scan_determinismE0ELb1ES3_N6thrust23THRUST_200600_302600_NS6detail15normal_iteratorINS9_10device_ptrIsEEEESE_SE_sNS9_10multipliesIsEENS9_8equal_toIsEEsEE10hipError_tPvRmT2_T3_T4_T5_mT6_T7_P12ihipStream_tbENKUlT_T0_E_clISt17integral_constantIbLb0EESZ_EEDaSU_SV_EUlSU_E_NS1_11comp_targetILNS1_3genE3ELNS1_11target_archE908ELNS1_3gpuE7ELNS1_3repE0EEENS1_30default_config_static_selectorELNS0_4arch9wavefront6targetE0EEEvT1_ ; -- Begin function _ZN7rocprim17ROCPRIM_400000_NS6detail17trampoline_kernelINS0_14default_configENS1_27scan_by_key_config_selectorIssEEZZNS1_16scan_by_key_implILNS1_25lookback_scan_determinismE0ELb1ES3_N6thrust23THRUST_200600_302600_NS6detail15normal_iteratorINS9_10device_ptrIsEEEESE_SE_sNS9_10multipliesIsEENS9_8equal_toIsEEsEE10hipError_tPvRmT2_T3_T4_T5_mT6_T7_P12ihipStream_tbENKUlT_T0_E_clISt17integral_constantIbLb0EESZ_EEDaSU_SV_EUlSU_E_NS1_11comp_targetILNS1_3genE3ELNS1_11target_archE908ELNS1_3gpuE7ELNS1_3repE0EEENS1_30default_config_static_selectorELNS0_4arch9wavefront6targetE0EEEvT1_
	.globl	_ZN7rocprim17ROCPRIM_400000_NS6detail17trampoline_kernelINS0_14default_configENS1_27scan_by_key_config_selectorIssEEZZNS1_16scan_by_key_implILNS1_25lookback_scan_determinismE0ELb1ES3_N6thrust23THRUST_200600_302600_NS6detail15normal_iteratorINS9_10device_ptrIsEEEESE_SE_sNS9_10multipliesIsEENS9_8equal_toIsEEsEE10hipError_tPvRmT2_T3_T4_T5_mT6_T7_P12ihipStream_tbENKUlT_T0_E_clISt17integral_constantIbLb0EESZ_EEDaSU_SV_EUlSU_E_NS1_11comp_targetILNS1_3genE3ELNS1_11target_archE908ELNS1_3gpuE7ELNS1_3repE0EEENS1_30default_config_static_selectorELNS0_4arch9wavefront6targetE0EEEvT1_
	.p2align	8
	.type	_ZN7rocprim17ROCPRIM_400000_NS6detail17trampoline_kernelINS0_14default_configENS1_27scan_by_key_config_selectorIssEEZZNS1_16scan_by_key_implILNS1_25lookback_scan_determinismE0ELb1ES3_N6thrust23THRUST_200600_302600_NS6detail15normal_iteratorINS9_10device_ptrIsEEEESE_SE_sNS9_10multipliesIsEENS9_8equal_toIsEEsEE10hipError_tPvRmT2_T3_T4_T5_mT6_T7_P12ihipStream_tbENKUlT_T0_E_clISt17integral_constantIbLb0EESZ_EEDaSU_SV_EUlSU_E_NS1_11comp_targetILNS1_3genE3ELNS1_11target_archE908ELNS1_3gpuE7ELNS1_3repE0EEENS1_30default_config_static_selectorELNS0_4arch9wavefront6targetE0EEEvT1_,@function
_ZN7rocprim17ROCPRIM_400000_NS6detail17trampoline_kernelINS0_14default_configENS1_27scan_by_key_config_selectorIssEEZZNS1_16scan_by_key_implILNS1_25lookback_scan_determinismE0ELb1ES3_N6thrust23THRUST_200600_302600_NS6detail15normal_iteratorINS9_10device_ptrIsEEEESE_SE_sNS9_10multipliesIsEENS9_8equal_toIsEEsEE10hipError_tPvRmT2_T3_T4_T5_mT6_T7_P12ihipStream_tbENKUlT_T0_E_clISt17integral_constantIbLb0EESZ_EEDaSU_SV_EUlSU_E_NS1_11comp_targetILNS1_3genE3ELNS1_11target_archE908ELNS1_3gpuE7ELNS1_3repE0EEENS1_30default_config_static_selectorELNS0_4arch9wavefront6targetE0EEEvT1_: ; @_ZN7rocprim17ROCPRIM_400000_NS6detail17trampoline_kernelINS0_14default_configENS1_27scan_by_key_config_selectorIssEEZZNS1_16scan_by_key_implILNS1_25lookback_scan_determinismE0ELb1ES3_N6thrust23THRUST_200600_302600_NS6detail15normal_iteratorINS9_10device_ptrIsEEEESE_SE_sNS9_10multipliesIsEENS9_8equal_toIsEEsEE10hipError_tPvRmT2_T3_T4_T5_mT6_T7_P12ihipStream_tbENKUlT_T0_E_clISt17integral_constantIbLb0EESZ_EEDaSU_SV_EUlSU_E_NS1_11comp_targetILNS1_3genE3ELNS1_11target_archE908ELNS1_3gpuE7ELNS1_3repE0EEENS1_30default_config_static_selectorELNS0_4arch9wavefront6targetE0EEEvT1_
; %bb.0:
	.section	.rodata,"a",@progbits
	.p2align	6, 0x0
	.amdhsa_kernel _ZN7rocprim17ROCPRIM_400000_NS6detail17trampoline_kernelINS0_14default_configENS1_27scan_by_key_config_selectorIssEEZZNS1_16scan_by_key_implILNS1_25lookback_scan_determinismE0ELb1ES3_N6thrust23THRUST_200600_302600_NS6detail15normal_iteratorINS9_10device_ptrIsEEEESE_SE_sNS9_10multipliesIsEENS9_8equal_toIsEEsEE10hipError_tPvRmT2_T3_T4_T5_mT6_T7_P12ihipStream_tbENKUlT_T0_E_clISt17integral_constantIbLb0EESZ_EEDaSU_SV_EUlSU_E_NS1_11comp_targetILNS1_3genE3ELNS1_11target_archE908ELNS1_3gpuE7ELNS1_3repE0EEENS1_30default_config_static_selectorELNS0_4arch9wavefront6targetE0EEEvT1_
		.amdhsa_group_segment_fixed_size 0
		.amdhsa_private_segment_fixed_size 0
		.amdhsa_kernarg_size 112
		.amdhsa_user_sgpr_count 6
		.amdhsa_user_sgpr_private_segment_buffer 1
		.amdhsa_user_sgpr_dispatch_ptr 0
		.amdhsa_user_sgpr_queue_ptr 0
		.amdhsa_user_sgpr_kernarg_segment_ptr 1
		.amdhsa_user_sgpr_dispatch_id 0
		.amdhsa_user_sgpr_flat_scratch_init 0
		.amdhsa_user_sgpr_private_segment_size 0
		.amdhsa_wavefront_size32 1
		.amdhsa_uses_dynamic_stack 0
		.amdhsa_system_sgpr_private_segment_wavefront_offset 0
		.amdhsa_system_sgpr_workgroup_id_x 1
		.amdhsa_system_sgpr_workgroup_id_y 0
		.amdhsa_system_sgpr_workgroup_id_z 0
		.amdhsa_system_sgpr_workgroup_info 0
		.amdhsa_system_vgpr_workitem_id 0
		.amdhsa_next_free_vgpr 1
		.amdhsa_next_free_sgpr 1
		.amdhsa_reserve_vcc 0
		.amdhsa_reserve_flat_scratch 0
		.amdhsa_float_round_mode_32 0
		.amdhsa_float_round_mode_16_64 0
		.amdhsa_float_denorm_mode_32 3
		.amdhsa_float_denorm_mode_16_64 3
		.amdhsa_dx10_clamp 1
		.amdhsa_ieee_mode 1
		.amdhsa_fp16_overflow 0
		.amdhsa_workgroup_processor_mode 1
		.amdhsa_memory_ordered 1
		.amdhsa_forward_progress 1
		.amdhsa_shared_vgpr_count 0
		.amdhsa_exception_fp_ieee_invalid_op 0
		.amdhsa_exception_fp_denorm_src 0
		.amdhsa_exception_fp_ieee_div_zero 0
		.amdhsa_exception_fp_ieee_overflow 0
		.amdhsa_exception_fp_ieee_underflow 0
		.amdhsa_exception_fp_ieee_inexact 0
		.amdhsa_exception_int_div_zero 0
	.end_amdhsa_kernel
	.section	.text._ZN7rocprim17ROCPRIM_400000_NS6detail17trampoline_kernelINS0_14default_configENS1_27scan_by_key_config_selectorIssEEZZNS1_16scan_by_key_implILNS1_25lookback_scan_determinismE0ELb1ES3_N6thrust23THRUST_200600_302600_NS6detail15normal_iteratorINS9_10device_ptrIsEEEESE_SE_sNS9_10multipliesIsEENS9_8equal_toIsEEsEE10hipError_tPvRmT2_T3_T4_T5_mT6_T7_P12ihipStream_tbENKUlT_T0_E_clISt17integral_constantIbLb0EESZ_EEDaSU_SV_EUlSU_E_NS1_11comp_targetILNS1_3genE3ELNS1_11target_archE908ELNS1_3gpuE7ELNS1_3repE0EEENS1_30default_config_static_selectorELNS0_4arch9wavefront6targetE0EEEvT1_,"axG",@progbits,_ZN7rocprim17ROCPRIM_400000_NS6detail17trampoline_kernelINS0_14default_configENS1_27scan_by_key_config_selectorIssEEZZNS1_16scan_by_key_implILNS1_25lookback_scan_determinismE0ELb1ES3_N6thrust23THRUST_200600_302600_NS6detail15normal_iteratorINS9_10device_ptrIsEEEESE_SE_sNS9_10multipliesIsEENS9_8equal_toIsEEsEE10hipError_tPvRmT2_T3_T4_T5_mT6_T7_P12ihipStream_tbENKUlT_T0_E_clISt17integral_constantIbLb0EESZ_EEDaSU_SV_EUlSU_E_NS1_11comp_targetILNS1_3genE3ELNS1_11target_archE908ELNS1_3gpuE7ELNS1_3repE0EEENS1_30default_config_static_selectorELNS0_4arch9wavefront6targetE0EEEvT1_,comdat
.Lfunc_end609:
	.size	_ZN7rocprim17ROCPRIM_400000_NS6detail17trampoline_kernelINS0_14default_configENS1_27scan_by_key_config_selectorIssEEZZNS1_16scan_by_key_implILNS1_25lookback_scan_determinismE0ELb1ES3_N6thrust23THRUST_200600_302600_NS6detail15normal_iteratorINS9_10device_ptrIsEEEESE_SE_sNS9_10multipliesIsEENS9_8equal_toIsEEsEE10hipError_tPvRmT2_T3_T4_T5_mT6_T7_P12ihipStream_tbENKUlT_T0_E_clISt17integral_constantIbLb0EESZ_EEDaSU_SV_EUlSU_E_NS1_11comp_targetILNS1_3genE3ELNS1_11target_archE908ELNS1_3gpuE7ELNS1_3repE0EEENS1_30default_config_static_selectorELNS0_4arch9wavefront6targetE0EEEvT1_, .Lfunc_end609-_ZN7rocprim17ROCPRIM_400000_NS6detail17trampoline_kernelINS0_14default_configENS1_27scan_by_key_config_selectorIssEEZZNS1_16scan_by_key_implILNS1_25lookback_scan_determinismE0ELb1ES3_N6thrust23THRUST_200600_302600_NS6detail15normal_iteratorINS9_10device_ptrIsEEEESE_SE_sNS9_10multipliesIsEENS9_8equal_toIsEEsEE10hipError_tPvRmT2_T3_T4_T5_mT6_T7_P12ihipStream_tbENKUlT_T0_E_clISt17integral_constantIbLb0EESZ_EEDaSU_SV_EUlSU_E_NS1_11comp_targetILNS1_3genE3ELNS1_11target_archE908ELNS1_3gpuE7ELNS1_3repE0EEENS1_30default_config_static_selectorELNS0_4arch9wavefront6targetE0EEEvT1_
                                        ; -- End function
	.set _ZN7rocprim17ROCPRIM_400000_NS6detail17trampoline_kernelINS0_14default_configENS1_27scan_by_key_config_selectorIssEEZZNS1_16scan_by_key_implILNS1_25lookback_scan_determinismE0ELb1ES3_N6thrust23THRUST_200600_302600_NS6detail15normal_iteratorINS9_10device_ptrIsEEEESE_SE_sNS9_10multipliesIsEENS9_8equal_toIsEEsEE10hipError_tPvRmT2_T3_T4_T5_mT6_T7_P12ihipStream_tbENKUlT_T0_E_clISt17integral_constantIbLb0EESZ_EEDaSU_SV_EUlSU_E_NS1_11comp_targetILNS1_3genE3ELNS1_11target_archE908ELNS1_3gpuE7ELNS1_3repE0EEENS1_30default_config_static_selectorELNS0_4arch9wavefront6targetE0EEEvT1_.num_vgpr, 0
	.set _ZN7rocprim17ROCPRIM_400000_NS6detail17trampoline_kernelINS0_14default_configENS1_27scan_by_key_config_selectorIssEEZZNS1_16scan_by_key_implILNS1_25lookback_scan_determinismE0ELb1ES3_N6thrust23THRUST_200600_302600_NS6detail15normal_iteratorINS9_10device_ptrIsEEEESE_SE_sNS9_10multipliesIsEENS9_8equal_toIsEEsEE10hipError_tPvRmT2_T3_T4_T5_mT6_T7_P12ihipStream_tbENKUlT_T0_E_clISt17integral_constantIbLb0EESZ_EEDaSU_SV_EUlSU_E_NS1_11comp_targetILNS1_3genE3ELNS1_11target_archE908ELNS1_3gpuE7ELNS1_3repE0EEENS1_30default_config_static_selectorELNS0_4arch9wavefront6targetE0EEEvT1_.num_agpr, 0
	.set _ZN7rocprim17ROCPRIM_400000_NS6detail17trampoline_kernelINS0_14default_configENS1_27scan_by_key_config_selectorIssEEZZNS1_16scan_by_key_implILNS1_25lookback_scan_determinismE0ELb1ES3_N6thrust23THRUST_200600_302600_NS6detail15normal_iteratorINS9_10device_ptrIsEEEESE_SE_sNS9_10multipliesIsEENS9_8equal_toIsEEsEE10hipError_tPvRmT2_T3_T4_T5_mT6_T7_P12ihipStream_tbENKUlT_T0_E_clISt17integral_constantIbLb0EESZ_EEDaSU_SV_EUlSU_E_NS1_11comp_targetILNS1_3genE3ELNS1_11target_archE908ELNS1_3gpuE7ELNS1_3repE0EEENS1_30default_config_static_selectorELNS0_4arch9wavefront6targetE0EEEvT1_.numbered_sgpr, 0
	.set _ZN7rocprim17ROCPRIM_400000_NS6detail17trampoline_kernelINS0_14default_configENS1_27scan_by_key_config_selectorIssEEZZNS1_16scan_by_key_implILNS1_25lookback_scan_determinismE0ELb1ES3_N6thrust23THRUST_200600_302600_NS6detail15normal_iteratorINS9_10device_ptrIsEEEESE_SE_sNS9_10multipliesIsEENS9_8equal_toIsEEsEE10hipError_tPvRmT2_T3_T4_T5_mT6_T7_P12ihipStream_tbENKUlT_T0_E_clISt17integral_constantIbLb0EESZ_EEDaSU_SV_EUlSU_E_NS1_11comp_targetILNS1_3genE3ELNS1_11target_archE908ELNS1_3gpuE7ELNS1_3repE0EEENS1_30default_config_static_selectorELNS0_4arch9wavefront6targetE0EEEvT1_.num_named_barrier, 0
	.set _ZN7rocprim17ROCPRIM_400000_NS6detail17trampoline_kernelINS0_14default_configENS1_27scan_by_key_config_selectorIssEEZZNS1_16scan_by_key_implILNS1_25lookback_scan_determinismE0ELb1ES3_N6thrust23THRUST_200600_302600_NS6detail15normal_iteratorINS9_10device_ptrIsEEEESE_SE_sNS9_10multipliesIsEENS9_8equal_toIsEEsEE10hipError_tPvRmT2_T3_T4_T5_mT6_T7_P12ihipStream_tbENKUlT_T0_E_clISt17integral_constantIbLb0EESZ_EEDaSU_SV_EUlSU_E_NS1_11comp_targetILNS1_3genE3ELNS1_11target_archE908ELNS1_3gpuE7ELNS1_3repE0EEENS1_30default_config_static_selectorELNS0_4arch9wavefront6targetE0EEEvT1_.private_seg_size, 0
	.set _ZN7rocprim17ROCPRIM_400000_NS6detail17trampoline_kernelINS0_14default_configENS1_27scan_by_key_config_selectorIssEEZZNS1_16scan_by_key_implILNS1_25lookback_scan_determinismE0ELb1ES3_N6thrust23THRUST_200600_302600_NS6detail15normal_iteratorINS9_10device_ptrIsEEEESE_SE_sNS9_10multipliesIsEENS9_8equal_toIsEEsEE10hipError_tPvRmT2_T3_T4_T5_mT6_T7_P12ihipStream_tbENKUlT_T0_E_clISt17integral_constantIbLb0EESZ_EEDaSU_SV_EUlSU_E_NS1_11comp_targetILNS1_3genE3ELNS1_11target_archE908ELNS1_3gpuE7ELNS1_3repE0EEENS1_30default_config_static_selectorELNS0_4arch9wavefront6targetE0EEEvT1_.uses_vcc, 0
	.set _ZN7rocprim17ROCPRIM_400000_NS6detail17trampoline_kernelINS0_14default_configENS1_27scan_by_key_config_selectorIssEEZZNS1_16scan_by_key_implILNS1_25lookback_scan_determinismE0ELb1ES3_N6thrust23THRUST_200600_302600_NS6detail15normal_iteratorINS9_10device_ptrIsEEEESE_SE_sNS9_10multipliesIsEENS9_8equal_toIsEEsEE10hipError_tPvRmT2_T3_T4_T5_mT6_T7_P12ihipStream_tbENKUlT_T0_E_clISt17integral_constantIbLb0EESZ_EEDaSU_SV_EUlSU_E_NS1_11comp_targetILNS1_3genE3ELNS1_11target_archE908ELNS1_3gpuE7ELNS1_3repE0EEENS1_30default_config_static_selectorELNS0_4arch9wavefront6targetE0EEEvT1_.uses_flat_scratch, 0
	.set _ZN7rocprim17ROCPRIM_400000_NS6detail17trampoline_kernelINS0_14default_configENS1_27scan_by_key_config_selectorIssEEZZNS1_16scan_by_key_implILNS1_25lookback_scan_determinismE0ELb1ES3_N6thrust23THRUST_200600_302600_NS6detail15normal_iteratorINS9_10device_ptrIsEEEESE_SE_sNS9_10multipliesIsEENS9_8equal_toIsEEsEE10hipError_tPvRmT2_T3_T4_T5_mT6_T7_P12ihipStream_tbENKUlT_T0_E_clISt17integral_constantIbLb0EESZ_EEDaSU_SV_EUlSU_E_NS1_11comp_targetILNS1_3genE3ELNS1_11target_archE908ELNS1_3gpuE7ELNS1_3repE0EEENS1_30default_config_static_selectorELNS0_4arch9wavefront6targetE0EEEvT1_.has_dyn_sized_stack, 0
	.set _ZN7rocprim17ROCPRIM_400000_NS6detail17trampoline_kernelINS0_14default_configENS1_27scan_by_key_config_selectorIssEEZZNS1_16scan_by_key_implILNS1_25lookback_scan_determinismE0ELb1ES3_N6thrust23THRUST_200600_302600_NS6detail15normal_iteratorINS9_10device_ptrIsEEEESE_SE_sNS9_10multipliesIsEENS9_8equal_toIsEEsEE10hipError_tPvRmT2_T3_T4_T5_mT6_T7_P12ihipStream_tbENKUlT_T0_E_clISt17integral_constantIbLb0EESZ_EEDaSU_SV_EUlSU_E_NS1_11comp_targetILNS1_3genE3ELNS1_11target_archE908ELNS1_3gpuE7ELNS1_3repE0EEENS1_30default_config_static_selectorELNS0_4arch9wavefront6targetE0EEEvT1_.has_recursion, 0
	.set _ZN7rocprim17ROCPRIM_400000_NS6detail17trampoline_kernelINS0_14default_configENS1_27scan_by_key_config_selectorIssEEZZNS1_16scan_by_key_implILNS1_25lookback_scan_determinismE0ELb1ES3_N6thrust23THRUST_200600_302600_NS6detail15normal_iteratorINS9_10device_ptrIsEEEESE_SE_sNS9_10multipliesIsEENS9_8equal_toIsEEsEE10hipError_tPvRmT2_T3_T4_T5_mT6_T7_P12ihipStream_tbENKUlT_T0_E_clISt17integral_constantIbLb0EESZ_EEDaSU_SV_EUlSU_E_NS1_11comp_targetILNS1_3genE3ELNS1_11target_archE908ELNS1_3gpuE7ELNS1_3repE0EEENS1_30default_config_static_selectorELNS0_4arch9wavefront6targetE0EEEvT1_.has_indirect_call, 0
	.section	.AMDGPU.csdata,"",@progbits
; Kernel info:
; codeLenInByte = 0
; TotalNumSgprs: 0
; NumVgprs: 0
; ScratchSize: 0
; MemoryBound: 0
; FloatMode: 240
; IeeeMode: 1
; LDSByteSize: 0 bytes/workgroup (compile time only)
; SGPRBlocks: 0
; VGPRBlocks: 0
; NumSGPRsForWavesPerEU: 1
; NumVGPRsForWavesPerEU: 1
; Occupancy: 16
; WaveLimiterHint : 0
; COMPUTE_PGM_RSRC2:SCRATCH_EN: 0
; COMPUTE_PGM_RSRC2:USER_SGPR: 6
; COMPUTE_PGM_RSRC2:TRAP_HANDLER: 0
; COMPUTE_PGM_RSRC2:TGID_X_EN: 1
; COMPUTE_PGM_RSRC2:TGID_Y_EN: 0
; COMPUTE_PGM_RSRC2:TGID_Z_EN: 0
; COMPUTE_PGM_RSRC2:TIDIG_COMP_CNT: 0
	.section	.text._ZN7rocprim17ROCPRIM_400000_NS6detail17trampoline_kernelINS0_14default_configENS1_27scan_by_key_config_selectorIssEEZZNS1_16scan_by_key_implILNS1_25lookback_scan_determinismE0ELb1ES3_N6thrust23THRUST_200600_302600_NS6detail15normal_iteratorINS9_10device_ptrIsEEEESE_SE_sNS9_10multipliesIsEENS9_8equal_toIsEEsEE10hipError_tPvRmT2_T3_T4_T5_mT6_T7_P12ihipStream_tbENKUlT_T0_E_clISt17integral_constantIbLb0EESZ_EEDaSU_SV_EUlSU_E_NS1_11comp_targetILNS1_3genE2ELNS1_11target_archE906ELNS1_3gpuE6ELNS1_3repE0EEENS1_30default_config_static_selectorELNS0_4arch9wavefront6targetE0EEEvT1_,"axG",@progbits,_ZN7rocprim17ROCPRIM_400000_NS6detail17trampoline_kernelINS0_14default_configENS1_27scan_by_key_config_selectorIssEEZZNS1_16scan_by_key_implILNS1_25lookback_scan_determinismE0ELb1ES3_N6thrust23THRUST_200600_302600_NS6detail15normal_iteratorINS9_10device_ptrIsEEEESE_SE_sNS9_10multipliesIsEENS9_8equal_toIsEEsEE10hipError_tPvRmT2_T3_T4_T5_mT6_T7_P12ihipStream_tbENKUlT_T0_E_clISt17integral_constantIbLb0EESZ_EEDaSU_SV_EUlSU_E_NS1_11comp_targetILNS1_3genE2ELNS1_11target_archE906ELNS1_3gpuE6ELNS1_3repE0EEENS1_30default_config_static_selectorELNS0_4arch9wavefront6targetE0EEEvT1_,comdat
	.protected	_ZN7rocprim17ROCPRIM_400000_NS6detail17trampoline_kernelINS0_14default_configENS1_27scan_by_key_config_selectorIssEEZZNS1_16scan_by_key_implILNS1_25lookback_scan_determinismE0ELb1ES3_N6thrust23THRUST_200600_302600_NS6detail15normal_iteratorINS9_10device_ptrIsEEEESE_SE_sNS9_10multipliesIsEENS9_8equal_toIsEEsEE10hipError_tPvRmT2_T3_T4_T5_mT6_T7_P12ihipStream_tbENKUlT_T0_E_clISt17integral_constantIbLb0EESZ_EEDaSU_SV_EUlSU_E_NS1_11comp_targetILNS1_3genE2ELNS1_11target_archE906ELNS1_3gpuE6ELNS1_3repE0EEENS1_30default_config_static_selectorELNS0_4arch9wavefront6targetE0EEEvT1_ ; -- Begin function _ZN7rocprim17ROCPRIM_400000_NS6detail17trampoline_kernelINS0_14default_configENS1_27scan_by_key_config_selectorIssEEZZNS1_16scan_by_key_implILNS1_25lookback_scan_determinismE0ELb1ES3_N6thrust23THRUST_200600_302600_NS6detail15normal_iteratorINS9_10device_ptrIsEEEESE_SE_sNS9_10multipliesIsEENS9_8equal_toIsEEsEE10hipError_tPvRmT2_T3_T4_T5_mT6_T7_P12ihipStream_tbENKUlT_T0_E_clISt17integral_constantIbLb0EESZ_EEDaSU_SV_EUlSU_E_NS1_11comp_targetILNS1_3genE2ELNS1_11target_archE906ELNS1_3gpuE6ELNS1_3repE0EEENS1_30default_config_static_selectorELNS0_4arch9wavefront6targetE0EEEvT1_
	.globl	_ZN7rocprim17ROCPRIM_400000_NS6detail17trampoline_kernelINS0_14default_configENS1_27scan_by_key_config_selectorIssEEZZNS1_16scan_by_key_implILNS1_25lookback_scan_determinismE0ELb1ES3_N6thrust23THRUST_200600_302600_NS6detail15normal_iteratorINS9_10device_ptrIsEEEESE_SE_sNS9_10multipliesIsEENS9_8equal_toIsEEsEE10hipError_tPvRmT2_T3_T4_T5_mT6_T7_P12ihipStream_tbENKUlT_T0_E_clISt17integral_constantIbLb0EESZ_EEDaSU_SV_EUlSU_E_NS1_11comp_targetILNS1_3genE2ELNS1_11target_archE906ELNS1_3gpuE6ELNS1_3repE0EEENS1_30default_config_static_selectorELNS0_4arch9wavefront6targetE0EEEvT1_
	.p2align	8
	.type	_ZN7rocprim17ROCPRIM_400000_NS6detail17trampoline_kernelINS0_14default_configENS1_27scan_by_key_config_selectorIssEEZZNS1_16scan_by_key_implILNS1_25lookback_scan_determinismE0ELb1ES3_N6thrust23THRUST_200600_302600_NS6detail15normal_iteratorINS9_10device_ptrIsEEEESE_SE_sNS9_10multipliesIsEENS9_8equal_toIsEEsEE10hipError_tPvRmT2_T3_T4_T5_mT6_T7_P12ihipStream_tbENKUlT_T0_E_clISt17integral_constantIbLb0EESZ_EEDaSU_SV_EUlSU_E_NS1_11comp_targetILNS1_3genE2ELNS1_11target_archE906ELNS1_3gpuE6ELNS1_3repE0EEENS1_30default_config_static_selectorELNS0_4arch9wavefront6targetE0EEEvT1_,@function
_ZN7rocprim17ROCPRIM_400000_NS6detail17trampoline_kernelINS0_14default_configENS1_27scan_by_key_config_selectorIssEEZZNS1_16scan_by_key_implILNS1_25lookback_scan_determinismE0ELb1ES3_N6thrust23THRUST_200600_302600_NS6detail15normal_iteratorINS9_10device_ptrIsEEEESE_SE_sNS9_10multipliesIsEENS9_8equal_toIsEEsEE10hipError_tPvRmT2_T3_T4_T5_mT6_T7_P12ihipStream_tbENKUlT_T0_E_clISt17integral_constantIbLb0EESZ_EEDaSU_SV_EUlSU_E_NS1_11comp_targetILNS1_3genE2ELNS1_11target_archE906ELNS1_3gpuE6ELNS1_3repE0EEENS1_30default_config_static_selectorELNS0_4arch9wavefront6targetE0EEEvT1_: ; @_ZN7rocprim17ROCPRIM_400000_NS6detail17trampoline_kernelINS0_14default_configENS1_27scan_by_key_config_selectorIssEEZZNS1_16scan_by_key_implILNS1_25lookback_scan_determinismE0ELb1ES3_N6thrust23THRUST_200600_302600_NS6detail15normal_iteratorINS9_10device_ptrIsEEEESE_SE_sNS9_10multipliesIsEENS9_8equal_toIsEEsEE10hipError_tPvRmT2_T3_T4_T5_mT6_T7_P12ihipStream_tbENKUlT_T0_E_clISt17integral_constantIbLb0EESZ_EEDaSU_SV_EUlSU_E_NS1_11comp_targetILNS1_3genE2ELNS1_11target_archE906ELNS1_3gpuE6ELNS1_3repE0EEENS1_30default_config_static_selectorELNS0_4arch9wavefront6targetE0EEEvT1_
; %bb.0:
	.section	.rodata,"a",@progbits
	.p2align	6, 0x0
	.amdhsa_kernel _ZN7rocprim17ROCPRIM_400000_NS6detail17trampoline_kernelINS0_14default_configENS1_27scan_by_key_config_selectorIssEEZZNS1_16scan_by_key_implILNS1_25lookback_scan_determinismE0ELb1ES3_N6thrust23THRUST_200600_302600_NS6detail15normal_iteratorINS9_10device_ptrIsEEEESE_SE_sNS9_10multipliesIsEENS9_8equal_toIsEEsEE10hipError_tPvRmT2_T3_T4_T5_mT6_T7_P12ihipStream_tbENKUlT_T0_E_clISt17integral_constantIbLb0EESZ_EEDaSU_SV_EUlSU_E_NS1_11comp_targetILNS1_3genE2ELNS1_11target_archE906ELNS1_3gpuE6ELNS1_3repE0EEENS1_30default_config_static_selectorELNS0_4arch9wavefront6targetE0EEEvT1_
		.amdhsa_group_segment_fixed_size 0
		.amdhsa_private_segment_fixed_size 0
		.amdhsa_kernarg_size 112
		.amdhsa_user_sgpr_count 6
		.amdhsa_user_sgpr_private_segment_buffer 1
		.amdhsa_user_sgpr_dispatch_ptr 0
		.amdhsa_user_sgpr_queue_ptr 0
		.amdhsa_user_sgpr_kernarg_segment_ptr 1
		.amdhsa_user_sgpr_dispatch_id 0
		.amdhsa_user_sgpr_flat_scratch_init 0
		.amdhsa_user_sgpr_private_segment_size 0
		.amdhsa_wavefront_size32 1
		.amdhsa_uses_dynamic_stack 0
		.amdhsa_system_sgpr_private_segment_wavefront_offset 0
		.amdhsa_system_sgpr_workgroup_id_x 1
		.amdhsa_system_sgpr_workgroup_id_y 0
		.amdhsa_system_sgpr_workgroup_id_z 0
		.amdhsa_system_sgpr_workgroup_info 0
		.amdhsa_system_vgpr_workitem_id 0
		.amdhsa_next_free_vgpr 1
		.amdhsa_next_free_sgpr 1
		.amdhsa_reserve_vcc 0
		.amdhsa_reserve_flat_scratch 0
		.amdhsa_float_round_mode_32 0
		.amdhsa_float_round_mode_16_64 0
		.amdhsa_float_denorm_mode_32 3
		.amdhsa_float_denorm_mode_16_64 3
		.amdhsa_dx10_clamp 1
		.amdhsa_ieee_mode 1
		.amdhsa_fp16_overflow 0
		.amdhsa_workgroup_processor_mode 1
		.amdhsa_memory_ordered 1
		.amdhsa_forward_progress 1
		.amdhsa_shared_vgpr_count 0
		.amdhsa_exception_fp_ieee_invalid_op 0
		.amdhsa_exception_fp_denorm_src 0
		.amdhsa_exception_fp_ieee_div_zero 0
		.amdhsa_exception_fp_ieee_overflow 0
		.amdhsa_exception_fp_ieee_underflow 0
		.amdhsa_exception_fp_ieee_inexact 0
		.amdhsa_exception_int_div_zero 0
	.end_amdhsa_kernel
	.section	.text._ZN7rocprim17ROCPRIM_400000_NS6detail17trampoline_kernelINS0_14default_configENS1_27scan_by_key_config_selectorIssEEZZNS1_16scan_by_key_implILNS1_25lookback_scan_determinismE0ELb1ES3_N6thrust23THRUST_200600_302600_NS6detail15normal_iteratorINS9_10device_ptrIsEEEESE_SE_sNS9_10multipliesIsEENS9_8equal_toIsEEsEE10hipError_tPvRmT2_T3_T4_T5_mT6_T7_P12ihipStream_tbENKUlT_T0_E_clISt17integral_constantIbLb0EESZ_EEDaSU_SV_EUlSU_E_NS1_11comp_targetILNS1_3genE2ELNS1_11target_archE906ELNS1_3gpuE6ELNS1_3repE0EEENS1_30default_config_static_selectorELNS0_4arch9wavefront6targetE0EEEvT1_,"axG",@progbits,_ZN7rocprim17ROCPRIM_400000_NS6detail17trampoline_kernelINS0_14default_configENS1_27scan_by_key_config_selectorIssEEZZNS1_16scan_by_key_implILNS1_25lookback_scan_determinismE0ELb1ES3_N6thrust23THRUST_200600_302600_NS6detail15normal_iteratorINS9_10device_ptrIsEEEESE_SE_sNS9_10multipliesIsEENS9_8equal_toIsEEsEE10hipError_tPvRmT2_T3_T4_T5_mT6_T7_P12ihipStream_tbENKUlT_T0_E_clISt17integral_constantIbLb0EESZ_EEDaSU_SV_EUlSU_E_NS1_11comp_targetILNS1_3genE2ELNS1_11target_archE906ELNS1_3gpuE6ELNS1_3repE0EEENS1_30default_config_static_selectorELNS0_4arch9wavefront6targetE0EEEvT1_,comdat
.Lfunc_end610:
	.size	_ZN7rocprim17ROCPRIM_400000_NS6detail17trampoline_kernelINS0_14default_configENS1_27scan_by_key_config_selectorIssEEZZNS1_16scan_by_key_implILNS1_25lookback_scan_determinismE0ELb1ES3_N6thrust23THRUST_200600_302600_NS6detail15normal_iteratorINS9_10device_ptrIsEEEESE_SE_sNS9_10multipliesIsEENS9_8equal_toIsEEsEE10hipError_tPvRmT2_T3_T4_T5_mT6_T7_P12ihipStream_tbENKUlT_T0_E_clISt17integral_constantIbLb0EESZ_EEDaSU_SV_EUlSU_E_NS1_11comp_targetILNS1_3genE2ELNS1_11target_archE906ELNS1_3gpuE6ELNS1_3repE0EEENS1_30default_config_static_selectorELNS0_4arch9wavefront6targetE0EEEvT1_, .Lfunc_end610-_ZN7rocprim17ROCPRIM_400000_NS6detail17trampoline_kernelINS0_14default_configENS1_27scan_by_key_config_selectorIssEEZZNS1_16scan_by_key_implILNS1_25lookback_scan_determinismE0ELb1ES3_N6thrust23THRUST_200600_302600_NS6detail15normal_iteratorINS9_10device_ptrIsEEEESE_SE_sNS9_10multipliesIsEENS9_8equal_toIsEEsEE10hipError_tPvRmT2_T3_T4_T5_mT6_T7_P12ihipStream_tbENKUlT_T0_E_clISt17integral_constantIbLb0EESZ_EEDaSU_SV_EUlSU_E_NS1_11comp_targetILNS1_3genE2ELNS1_11target_archE906ELNS1_3gpuE6ELNS1_3repE0EEENS1_30default_config_static_selectorELNS0_4arch9wavefront6targetE0EEEvT1_
                                        ; -- End function
	.set _ZN7rocprim17ROCPRIM_400000_NS6detail17trampoline_kernelINS0_14default_configENS1_27scan_by_key_config_selectorIssEEZZNS1_16scan_by_key_implILNS1_25lookback_scan_determinismE0ELb1ES3_N6thrust23THRUST_200600_302600_NS6detail15normal_iteratorINS9_10device_ptrIsEEEESE_SE_sNS9_10multipliesIsEENS9_8equal_toIsEEsEE10hipError_tPvRmT2_T3_T4_T5_mT6_T7_P12ihipStream_tbENKUlT_T0_E_clISt17integral_constantIbLb0EESZ_EEDaSU_SV_EUlSU_E_NS1_11comp_targetILNS1_3genE2ELNS1_11target_archE906ELNS1_3gpuE6ELNS1_3repE0EEENS1_30default_config_static_selectorELNS0_4arch9wavefront6targetE0EEEvT1_.num_vgpr, 0
	.set _ZN7rocprim17ROCPRIM_400000_NS6detail17trampoline_kernelINS0_14default_configENS1_27scan_by_key_config_selectorIssEEZZNS1_16scan_by_key_implILNS1_25lookback_scan_determinismE0ELb1ES3_N6thrust23THRUST_200600_302600_NS6detail15normal_iteratorINS9_10device_ptrIsEEEESE_SE_sNS9_10multipliesIsEENS9_8equal_toIsEEsEE10hipError_tPvRmT2_T3_T4_T5_mT6_T7_P12ihipStream_tbENKUlT_T0_E_clISt17integral_constantIbLb0EESZ_EEDaSU_SV_EUlSU_E_NS1_11comp_targetILNS1_3genE2ELNS1_11target_archE906ELNS1_3gpuE6ELNS1_3repE0EEENS1_30default_config_static_selectorELNS0_4arch9wavefront6targetE0EEEvT1_.num_agpr, 0
	.set _ZN7rocprim17ROCPRIM_400000_NS6detail17trampoline_kernelINS0_14default_configENS1_27scan_by_key_config_selectorIssEEZZNS1_16scan_by_key_implILNS1_25lookback_scan_determinismE0ELb1ES3_N6thrust23THRUST_200600_302600_NS6detail15normal_iteratorINS9_10device_ptrIsEEEESE_SE_sNS9_10multipliesIsEENS9_8equal_toIsEEsEE10hipError_tPvRmT2_T3_T4_T5_mT6_T7_P12ihipStream_tbENKUlT_T0_E_clISt17integral_constantIbLb0EESZ_EEDaSU_SV_EUlSU_E_NS1_11comp_targetILNS1_3genE2ELNS1_11target_archE906ELNS1_3gpuE6ELNS1_3repE0EEENS1_30default_config_static_selectorELNS0_4arch9wavefront6targetE0EEEvT1_.numbered_sgpr, 0
	.set _ZN7rocprim17ROCPRIM_400000_NS6detail17trampoline_kernelINS0_14default_configENS1_27scan_by_key_config_selectorIssEEZZNS1_16scan_by_key_implILNS1_25lookback_scan_determinismE0ELb1ES3_N6thrust23THRUST_200600_302600_NS6detail15normal_iteratorINS9_10device_ptrIsEEEESE_SE_sNS9_10multipliesIsEENS9_8equal_toIsEEsEE10hipError_tPvRmT2_T3_T4_T5_mT6_T7_P12ihipStream_tbENKUlT_T0_E_clISt17integral_constantIbLb0EESZ_EEDaSU_SV_EUlSU_E_NS1_11comp_targetILNS1_3genE2ELNS1_11target_archE906ELNS1_3gpuE6ELNS1_3repE0EEENS1_30default_config_static_selectorELNS0_4arch9wavefront6targetE0EEEvT1_.num_named_barrier, 0
	.set _ZN7rocprim17ROCPRIM_400000_NS6detail17trampoline_kernelINS0_14default_configENS1_27scan_by_key_config_selectorIssEEZZNS1_16scan_by_key_implILNS1_25lookback_scan_determinismE0ELb1ES3_N6thrust23THRUST_200600_302600_NS6detail15normal_iteratorINS9_10device_ptrIsEEEESE_SE_sNS9_10multipliesIsEENS9_8equal_toIsEEsEE10hipError_tPvRmT2_T3_T4_T5_mT6_T7_P12ihipStream_tbENKUlT_T0_E_clISt17integral_constantIbLb0EESZ_EEDaSU_SV_EUlSU_E_NS1_11comp_targetILNS1_3genE2ELNS1_11target_archE906ELNS1_3gpuE6ELNS1_3repE0EEENS1_30default_config_static_selectorELNS0_4arch9wavefront6targetE0EEEvT1_.private_seg_size, 0
	.set _ZN7rocprim17ROCPRIM_400000_NS6detail17trampoline_kernelINS0_14default_configENS1_27scan_by_key_config_selectorIssEEZZNS1_16scan_by_key_implILNS1_25lookback_scan_determinismE0ELb1ES3_N6thrust23THRUST_200600_302600_NS6detail15normal_iteratorINS9_10device_ptrIsEEEESE_SE_sNS9_10multipliesIsEENS9_8equal_toIsEEsEE10hipError_tPvRmT2_T3_T4_T5_mT6_T7_P12ihipStream_tbENKUlT_T0_E_clISt17integral_constantIbLb0EESZ_EEDaSU_SV_EUlSU_E_NS1_11comp_targetILNS1_3genE2ELNS1_11target_archE906ELNS1_3gpuE6ELNS1_3repE0EEENS1_30default_config_static_selectorELNS0_4arch9wavefront6targetE0EEEvT1_.uses_vcc, 0
	.set _ZN7rocprim17ROCPRIM_400000_NS6detail17trampoline_kernelINS0_14default_configENS1_27scan_by_key_config_selectorIssEEZZNS1_16scan_by_key_implILNS1_25lookback_scan_determinismE0ELb1ES3_N6thrust23THRUST_200600_302600_NS6detail15normal_iteratorINS9_10device_ptrIsEEEESE_SE_sNS9_10multipliesIsEENS9_8equal_toIsEEsEE10hipError_tPvRmT2_T3_T4_T5_mT6_T7_P12ihipStream_tbENKUlT_T0_E_clISt17integral_constantIbLb0EESZ_EEDaSU_SV_EUlSU_E_NS1_11comp_targetILNS1_3genE2ELNS1_11target_archE906ELNS1_3gpuE6ELNS1_3repE0EEENS1_30default_config_static_selectorELNS0_4arch9wavefront6targetE0EEEvT1_.uses_flat_scratch, 0
	.set _ZN7rocprim17ROCPRIM_400000_NS6detail17trampoline_kernelINS0_14default_configENS1_27scan_by_key_config_selectorIssEEZZNS1_16scan_by_key_implILNS1_25lookback_scan_determinismE0ELb1ES3_N6thrust23THRUST_200600_302600_NS6detail15normal_iteratorINS9_10device_ptrIsEEEESE_SE_sNS9_10multipliesIsEENS9_8equal_toIsEEsEE10hipError_tPvRmT2_T3_T4_T5_mT6_T7_P12ihipStream_tbENKUlT_T0_E_clISt17integral_constantIbLb0EESZ_EEDaSU_SV_EUlSU_E_NS1_11comp_targetILNS1_3genE2ELNS1_11target_archE906ELNS1_3gpuE6ELNS1_3repE0EEENS1_30default_config_static_selectorELNS0_4arch9wavefront6targetE0EEEvT1_.has_dyn_sized_stack, 0
	.set _ZN7rocprim17ROCPRIM_400000_NS6detail17trampoline_kernelINS0_14default_configENS1_27scan_by_key_config_selectorIssEEZZNS1_16scan_by_key_implILNS1_25lookback_scan_determinismE0ELb1ES3_N6thrust23THRUST_200600_302600_NS6detail15normal_iteratorINS9_10device_ptrIsEEEESE_SE_sNS9_10multipliesIsEENS9_8equal_toIsEEsEE10hipError_tPvRmT2_T3_T4_T5_mT6_T7_P12ihipStream_tbENKUlT_T0_E_clISt17integral_constantIbLb0EESZ_EEDaSU_SV_EUlSU_E_NS1_11comp_targetILNS1_3genE2ELNS1_11target_archE906ELNS1_3gpuE6ELNS1_3repE0EEENS1_30default_config_static_selectorELNS0_4arch9wavefront6targetE0EEEvT1_.has_recursion, 0
	.set _ZN7rocprim17ROCPRIM_400000_NS6detail17trampoline_kernelINS0_14default_configENS1_27scan_by_key_config_selectorIssEEZZNS1_16scan_by_key_implILNS1_25lookback_scan_determinismE0ELb1ES3_N6thrust23THRUST_200600_302600_NS6detail15normal_iteratorINS9_10device_ptrIsEEEESE_SE_sNS9_10multipliesIsEENS9_8equal_toIsEEsEE10hipError_tPvRmT2_T3_T4_T5_mT6_T7_P12ihipStream_tbENKUlT_T0_E_clISt17integral_constantIbLb0EESZ_EEDaSU_SV_EUlSU_E_NS1_11comp_targetILNS1_3genE2ELNS1_11target_archE906ELNS1_3gpuE6ELNS1_3repE0EEENS1_30default_config_static_selectorELNS0_4arch9wavefront6targetE0EEEvT1_.has_indirect_call, 0
	.section	.AMDGPU.csdata,"",@progbits
; Kernel info:
; codeLenInByte = 0
; TotalNumSgprs: 0
; NumVgprs: 0
; ScratchSize: 0
; MemoryBound: 0
; FloatMode: 240
; IeeeMode: 1
; LDSByteSize: 0 bytes/workgroup (compile time only)
; SGPRBlocks: 0
; VGPRBlocks: 0
; NumSGPRsForWavesPerEU: 1
; NumVGPRsForWavesPerEU: 1
; Occupancy: 16
; WaveLimiterHint : 0
; COMPUTE_PGM_RSRC2:SCRATCH_EN: 0
; COMPUTE_PGM_RSRC2:USER_SGPR: 6
; COMPUTE_PGM_RSRC2:TRAP_HANDLER: 0
; COMPUTE_PGM_RSRC2:TGID_X_EN: 1
; COMPUTE_PGM_RSRC2:TGID_Y_EN: 0
; COMPUTE_PGM_RSRC2:TGID_Z_EN: 0
; COMPUTE_PGM_RSRC2:TIDIG_COMP_CNT: 0
	.section	.text._ZN7rocprim17ROCPRIM_400000_NS6detail17trampoline_kernelINS0_14default_configENS1_27scan_by_key_config_selectorIssEEZZNS1_16scan_by_key_implILNS1_25lookback_scan_determinismE0ELb1ES3_N6thrust23THRUST_200600_302600_NS6detail15normal_iteratorINS9_10device_ptrIsEEEESE_SE_sNS9_10multipliesIsEENS9_8equal_toIsEEsEE10hipError_tPvRmT2_T3_T4_T5_mT6_T7_P12ihipStream_tbENKUlT_T0_E_clISt17integral_constantIbLb0EESZ_EEDaSU_SV_EUlSU_E_NS1_11comp_targetILNS1_3genE10ELNS1_11target_archE1200ELNS1_3gpuE4ELNS1_3repE0EEENS1_30default_config_static_selectorELNS0_4arch9wavefront6targetE0EEEvT1_,"axG",@progbits,_ZN7rocprim17ROCPRIM_400000_NS6detail17trampoline_kernelINS0_14default_configENS1_27scan_by_key_config_selectorIssEEZZNS1_16scan_by_key_implILNS1_25lookback_scan_determinismE0ELb1ES3_N6thrust23THRUST_200600_302600_NS6detail15normal_iteratorINS9_10device_ptrIsEEEESE_SE_sNS9_10multipliesIsEENS9_8equal_toIsEEsEE10hipError_tPvRmT2_T3_T4_T5_mT6_T7_P12ihipStream_tbENKUlT_T0_E_clISt17integral_constantIbLb0EESZ_EEDaSU_SV_EUlSU_E_NS1_11comp_targetILNS1_3genE10ELNS1_11target_archE1200ELNS1_3gpuE4ELNS1_3repE0EEENS1_30default_config_static_selectorELNS0_4arch9wavefront6targetE0EEEvT1_,comdat
	.protected	_ZN7rocprim17ROCPRIM_400000_NS6detail17trampoline_kernelINS0_14default_configENS1_27scan_by_key_config_selectorIssEEZZNS1_16scan_by_key_implILNS1_25lookback_scan_determinismE0ELb1ES3_N6thrust23THRUST_200600_302600_NS6detail15normal_iteratorINS9_10device_ptrIsEEEESE_SE_sNS9_10multipliesIsEENS9_8equal_toIsEEsEE10hipError_tPvRmT2_T3_T4_T5_mT6_T7_P12ihipStream_tbENKUlT_T0_E_clISt17integral_constantIbLb0EESZ_EEDaSU_SV_EUlSU_E_NS1_11comp_targetILNS1_3genE10ELNS1_11target_archE1200ELNS1_3gpuE4ELNS1_3repE0EEENS1_30default_config_static_selectorELNS0_4arch9wavefront6targetE0EEEvT1_ ; -- Begin function _ZN7rocprim17ROCPRIM_400000_NS6detail17trampoline_kernelINS0_14default_configENS1_27scan_by_key_config_selectorIssEEZZNS1_16scan_by_key_implILNS1_25lookback_scan_determinismE0ELb1ES3_N6thrust23THRUST_200600_302600_NS6detail15normal_iteratorINS9_10device_ptrIsEEEESE_SE_sNS9_10multipliesIsEENS9_8equal_toIsEEsEE10hipError_tPvRmT2_T3_T4_T5_mT6_T7_P12ihipStream_tbENKUlT_T0_E_clISt17integral_constantIbLb0EESZ_EEDaSU_SV_EUlSU_E_NS1_11comp_targetILNS1_3genE10ELNS1_11target_archE1200ELNS1_3gpuE4ELNS1_3repE0EEENS1_30default_config_static_selectorELNS0_4arch9wavefront6targetE0EEEvT1_
	.globl	_ZN7rocprim17ROCPRIM_400000_NS6detail17trampoline_kernelINS0_14default_configENS1_27scan_by_key_config_selectorIssEEZZNS1_16scan_by_key_implILNS1_25lookback_scan_determinismE0ELb1ES3_N6thrust23THRUST_200600_302600_NS6detail15normal_iteratorINS9_10device_ptrIsEEEESE_SE_sNS9_10multipliesIsEENS9_8equal_toIsEEsEE10hipError_tPvRmT2_T3_T4_T5_mT6_T7_P12ihipStream_tbENKUlT_T0_E_clISt17integral_constantIbLb0EESZ_EEDaSU_SV_EUlSU_E_NS1_11comp_targetILNS1_3genE10ELNS1_11target_archE1200ELNS1_3gpuE4ELNS1_3repE0EEENS1_30default_config_static_selectorELNS0_4arch9wavefront6targetE0EEEvT1_
	.p2align	8
	.type	_ZN7rocprim17ROCPRIM_400000_NS6detail17trampoline_kernelINS0_14default_configENS1_27scan_by_key_config_selectorIssEEZZNS1_16scan_by_key_implILNS1_25lookback_scan_determinismE0ELb1ES3_N6thrust23THRUST_200600_302600_NS6detail15normal_iteratorINS9_10device_ptrIsEEEESE_SE_sNS9_10multipliesIsEENS9_8equal_toIsEEsEE10hipError_tPvRmT2_T3_T4_T5_mT6_T7_P12ihipStream_tbENKUlT_T0_E_clISt17integral_constantIbLb0EESZ_EEDaSU_SV_EUlSU_E_NS1_11comp_targetILNS1_3genE10ELNS1_11target_archE1200ELNS1_3gpuE4ELNS1_3repE0EEENS1_30default_config_static_selectorELNS0_4arch9wavefront6targetE0EEEvT1_,@function
_ZN7rocprim17ROCPRIM_400000_NS6detail17trampoline_kernelINS0_14default_configENS1_27scan_by_key_config_selectorIssEEZZNS1_16scan_by_key_implILNS1_25lookback_scan_determinismE0ELb1ES3_N6thrust23THRUST_200600_302600_NS6detail15normal_iteratorINS9_10device_ptrIsEEEESE_SE_sNS9_10multipliesIsEENS9_8equal_toIsEEsEE10hipError_tPvRmT2_T3_T4_T5_mT6_T7_P12ihipStream_tbENKUlT_T0_E_clISt17integral_constantIbLb0EESZ_EEDaSU_SV_EUlSU_E_NS1_11comp_targetILNS1_3genE10ELNS1_11target_archE1200ELNS1_3gpuE4ELNS1_3repE0EEENS1_30default_config_static_selectorELNS0_4arch9wavefront6targetE0EEEvT1_: ; @_ZN7rocprim17ROCPRIM_400000_NS6detail17trampoline_kernelINS0_14default_configENS1_27scan_by_key_config_selectorIssEEZZNS1_16scan_by_key_implILNS1_25lookback_scan_determinismE0ELb1ES3_N6thrust23THRUST_200600_302600_NS6detail15normal_iteratorINS9_10device_ptrIsEEEESE_SE_sNS9_10multipliesIsEENS9_8equal_toIsEEsEE10hipError_tPvRmT2_T3_T4_T5_mT6_T7_P12ihipStream_tbENKUlT_T0_E_clISt17integral_constantIbLb0EESZ_EEDaSU_SV_EUlSU_E_NS1_11comp_targetILNS1_3genE10ELNS1_11target_archE1200ELNS1_3gpuE4ELNS1_3repE0EEENS1_30default_config_static_selectorELNS0_4arch9wavefront6targetE0EEEvT1_
; %bb.0:
	.section	.rodata,"a",@progbits
	.p2align	6, 0x0
	.amdhsa_kernel _ZN7rocprim17ROCPRIM_400000_NS6detail17trampoline_kernelINS0_14default_configENS1_27scan_by_key_config_selectorIssEEZZNS1_16scan_by_key_implILNS1_25lookback_scan_determinismE0ELb1ES3_N6thrust23THRUST_200600_302600_NS6detail15normal_iteratorINS9_10device_ptrIsEEEESE_SE_sNS9_10multipliesIsEENS9_8equal_toIsEEsEE10hipError_tPvRmT2_T3_T4_T5_mT6_T7_P12ihipStream_tbENKUlT_T0_E_clISt17integral_constantIbLb0EESZ_EEDaSU_SV_EUlSU_E_NS1_11comp_targetILNS1_3genE10ELNS1_11target_archE1200ELNS1_3gpuE4ELNS1_3repE0EEENS1_30default_config_static_selectorELNS0_4arch9wavefront6targetE0EEEvT1_
		.amdhsa_group_segment_fixed_size 0
		.amdhsa_private_segment_fixed_size 0
		.amdhsa_kernarg_size 112
		.amdhsa_user_sgpr_count 6
		.amdhsa_user_sgpr_private_segment_buffer 1
		.amdhsa_user_sgpr_dispatch_ptr 0
		.amdhsa_user_sgpr_queue_ptr 0
		.amdhsa_user_sgpr_kernarg_segment_ptr 1
		.amdhsa_user_sgpr_dispatch_id 0
		.amdhsa_user_sgpr_flat_scratch_init 0
		.amdhsa_user_sgpr_private_segment_size 0
		.amdhsa_wavefront_size32 1
		.amdhsa_uses_dynamic_stack 0
		.amdhsa_system_sgpr_private_segment_wavefront_offset 0
		.amdhsa_system_sgpr_workgroup_id_x 1
		.amdhsa_system_sgpr_workgroup_id_y 0
		.amdhsa_system_sgpr_workgroup_id_z 0
		.amdhsa_system_sgpr_workgroup_info 0
		.amdhsa_system_vgpr_workitem_id 0
		.amdhsa_next_free_vgpr 1
		.amdhsa_next_free_sgpr 1
		.amdhsa_reserve_vcc 0
		.amdhsa_reserve_flat_scratch 0
		.amdhsa_float_round_mode_32 0
		.amdhsa_float_round_mode_16_64 0
		.amdhsa_float_denorm_mode_32 3
		.amdhsa_float_denorm_mode_16_64 3
		.amdhsa_dx10_clamp 1
		.amdhsa_ieee_mode 1
		.amdhsa_fp16_overflow 0
		.amdhsa_workgroup_processor_mode 1
		.amdhsa_memory_ordered 1
		.amdhsa_forward_progress 1
		.amdhsa_shared_vgpr_count 0
		.amdhsa_exception_fp_ieee_invalid_op 0
		.amdhsa_exception_fp_denorm_src 0
		.amdhsa_exception_fp_ieee_div_zero 0
		.amdhsa_exception_fp_ieee_overflow 0
		.amdhsa_exception_fp_ieee_underflow 0
		.amdhsa_exception_fp_ieee_inexact 0
		.amdhsa_exception_int_div_zero 0
	.end_amdhsa_kernel
	.section	.text._ZN7rocprim17ROCPRIM_400000_NS6detail17trampoline_kernelINS0_14default_configENS1_27scan_by_key_config_selectorIssEEZZNS1_16scan_by_key_implILNS1_25lookback_scan_determinismE0ELb1ES3_N6thrust23THRUST_200600_302600_NS6detail15normal_iteratorINS9_10device_ptrIsEEEESE_SE_sNS9_10multipliesIsEENS9_8equal_toIsEEsEE10hipError_tPvRmT2_T3_T4_T5_mT6_T7_P12ihipStream_tbENKUlT_T0_E_clISt17integral_constantIbLb0EESZ_EEDaSU_SV_EUlSU_E_NS1_11comp_targetILNS1_3genE10ELNS1_11target_archE1200ELNS1_3gpuE4ELNS1_3repE0EEENS1_30default_config_static_selectorELNS0_4arch9wavefront6targetE0EEEvT1_,"axG",@progbits,_ZN7rocprim17ROCPRIM_400000_NS6detail17trampoline_kernelINS0_14default_configENS1_27scan_by_key_config_selectorIssEEZZNS1_16scan_by_key_implILNS1_25lookback_scan_determinismE0ELb1ES3_N6thrust23THRUST_200600_302600_NS6detail15normal_iteratorINS9_10device_ptrIsEEEESE_SE_sNS9_10multipliesIsEENS9_8equal_toIsEEsEE10hipError_tPvRmT2_T3_T4_T5_mT6_T7_P12ihipStream_tbENKUlT_T0_E_clISt17integral_constantIbLb0EESZ_EEDaSU_SV_EUlSU_E_NS1_11comp_targetILNS1_3genE10ELNS1_11target_archE1200ELNS1_3gpuE4ELNS1_3repE0EEENS1_30default_config_static_selectorELNS0_4arch9wavefront6targetE0EEEvT1_,comdat
.Lfunc_end611:
	.size	_ZN7rocprim17ROCPRIM_400000_NS6detail17trampoline_kernelINS0_14default_configENS1_27scan_by_key_config_selectorIssEEZZNS1_16scan_by_key_implILNS1_25lookback_scan_determinismE0ELb1ES3_N6thrust23THRUST_200600_302600_NS6detail15normal_iteratorINS9_10device_ptrIsEEEESE_SE_sNS9_10multipliesIsEENS9_8equal_toIsEEsEE10hipError_tPvRmT2_T3_T4_T5_mT6_T7_P12ihipStream_tbENKUlT_T0_E_clISt17integral_constantIbLb0EESZ_EEDaSU_SV_EUlSU_E_NS1_11comp_targetILNS1_3genE10ELNS1_11target_archE1200ELNS1_3gpuE4ELNS1_3repE0EEENS1_30default_config_static_selectorELNS0_4arch9wavefront6targetE0EEEvT1_, .Lfunc_end611-_ZN7rocprim17ROCPRIM_400000_NS6detail17trampoline_kernelINS0_14default_configENS1_27scan_by_key_config_selectorIssEEZZNS1_16scan_by_key_implILNS1_25lookback_scan_determinismE0ELb1ES3_N6thrust23THRUST_200600_302600_NS6detail15normal_iteratorINS9_10device_ptrIsEEEESE_SE_sNS9_10multipliesIsEENS9_8equal_toIsEEsEE10hipError_tPvRmT2_T3_T4_T5_mT6_T7_P12ihipStream_tbENKUlT_T0_E_clISt17integral_constantIbLb0EESZ_EEDaSU_SV_EUlSU_E_NS1_11comp_targetILNS1_3genE10ELNS1_11target_archE1200ELNS1_3gpuE4ELNS1_3repE0EEENS1_30default_config_static_selectorELNS0_4arch9wavefront6targetE0EEEvT1_
                                        ; -- End function
	.set _ZN7rocprim17ROCPRIM_400000_NS6detail17trampoline_kernelINS0_14default_configENS1_27scan_by_key_config_selectorIssEEZZNS1_16scan_by_key_implILNS1_25lookback_scan_determinismE0ELb1ES3_N6thrust23THRUST_200600_302600_NS6detail15normal_iteratorINS9_10device_ptrIsEEEESE_SE_sNS9_10multipliesIsEENS9_8equal_toIsEEsEE10hipError_tPvRmT2_T3_T4_T5_mT6_T7_P12ihipStream_tbENKUlT_T0_E_clISt17integral_constantIbLb0EESZ_EEDaSU_SV_EUlSU_E_NS1_11comp_targetILNS1_3genE10ELNS1_11target_archE1200ELNS1_3gpuE4ELNS1_3repE0EEENS1_30default_config_static_selectorELNS0_4arch9wavefront6targetE0EEEvT1_.num_vgpr, 0
	.set _ZN7rocprim17ROCPRIM_400000_NS6detail17trampoline_kernelINS0_14default_configENS1_27scan_by_key_config_selectorIssEEZZNS1_16scan_by_key_implILNS1_25lookback_scan_determinismE0ELb1ES3_N6thrust23THRUST_200600_302600_NS6detail15normal_iteratorINS9_10device_ptrIsEEEESE_SE_sNS9_10multipliesIsEENS9_8equal_toIsEEsEE10hipError_tPvRmT2_T3_T4_T5_mT6_T7_P12ihipStream_tbENKUlT_T0_E_clISt17integral_constantIbLb0EESZ_EEDaSU_SV_EUlSU_E_NS1_11comp_targetILNS1_3genE10ELNS1_11target_archE1200ELNS1_3gpuE4ELNS1_3repE0EEENS1_30default_config_static_selectorELNS0_4arch9wavefront6targetE0EEEvT1_.num_agpr, 0
	.set _ZN7rocprim17ROCPRIM_400000_NS6detail17trampoline_kernelINS0_14default_configENS1_27scan_by_key_config_selectorIssEEZZNS1_16scan_by_key_implILNS1_25lookback_scan_determinismE0ELb1ES3_N6thrust23THRUST_200600_302600_NS6detail15normal_iteratorINS9_10device_ptrIsEEEESE_SE_sNS9_10multipliesIsEENS9_8equal_toIsEEsEE10hipError_tPvRmT2_T3_T4_T5_mT6_T7_P12ihipStream_tbENKUlT_T0_E_clISt17integral_constantIbLb0EESZ_EEDaSU_SV_EUlSU_E_NS1_11comp_targetILNS1_3genE10ELNS1_11target_archE1200ELNS1_3gpuE4ELNS1_3repE0EEENS1_30default_config_static_selectorELNS0_4arch9wavefront6targetE0EEEvT1_.numbered_sgpr, 0
	.set _ZN7rocprim17ROCPRIM_400000_NS6detail17trampoline_kernelINS0_14default_configENS1_27scan_by_key_config_selectorIssEEZZNS1_16scan_by_key_implILNS1_25lookback_scan_determinismE0ELb1ES3_N6thrust23THRUST_200600_302600_NS6detail15normal_iteratorINS9_10device_ptrIsEEEESE_SE_sNS9_10multipliesIsEENS9_8equal_toIsEEsEE10hipError_tPvRmT2_T3_T4_T5_mT6_T7_P12ihipStream_tbENKUlT_T0_E_clISt17integral_constantIbLb0EESZ_EEDaSU_SV_EUlSU_E_NS1_11comp_targetILNS1_3genE10ELNS1_11target_archE1200ELNS1_3gpuE4ELNS1_3repE0EEENS1_30default_config_static_selectorELNS0_4arch9wavefront6targetE0EEEvT1_.num_named_barrier, 0
	.set _ZN7rocprim17ROCPRIM_400000_NS6detail17trampoline_kernelINS0_14default_configENS1_27scan_by_key_config_selectorIssEEZZNS1_16scan_by_key_implILNS1_25lookback_scan_determinismE0ELb1ES3_N6thrust23THRUST_200600_302600_NS6detail15normal_iteratorINS9_10device_ptrIsEEEESE_SE_sNS9_10multipliesIsEENS9_8equal_toIsEEsEE10hipError_tPvRmT2_T3_T4_T5_mT6_T7_P12ihipStream_tbENKUlT_T0_E_clISt17integral_constantIbLb0EESZ_EEDaSU_SV_EUlSU_E_NS1_11comp_targetILNS1_3genE10ELNS1_11target_archE1200ELNS1_3gpuE4ELNS1_3repE0EEENS1_30default_config_static_selectorELNS0_4arch9wavefront6targetE0EEEvT1_.private_seg_size, 0
	.set _ZN7rocprim17ROCPRIM_400000_NS6detail17trampoline_kernelINS0_14default_configENS1_27scan_by_key_config_selectorIssEEZZNS1_16scan_by_key_implILNS1_25lookback_scan_determinismE0ELb1ES3_N6thrust23THRUST_200600_302600_NS6detail15normal_iteratorINS9_10device_ptrIsEEEESE_SE_sNS9_10multipliesIsEENS9_8equal_toIsEEsEE10hipError_tPvRmT2_T3_T4_T5_mT6_T7_P12ihipStream_tbENKUlT_T0_E_clISt17integral_constantIbLb0EESZ_EEDaSU_SV_EUlSU_E_NS1_11comp_targetILNS1_3genE10ELNS1_11target_archE1200ELNS1_3gpuE4ELNS1_3repE0EEENS1_30default_config_static_selectorELNS0_4arch9wavefront6targetE0EEEvT1_.uses_vcc, 0
	.set _ZN7rocprim17ROCPRIM_400000_NS6detail17trampoline_kernelINS0_14default_configENS1_27scan_by_key_config_selectorIssEEZZNS1_16scan_by_key_implILNS1_25lookback_scan_determinismE0ELb1ES3_N6thrust23THRUST_200600_302600_NS6detail15normal_iteratorINS9_10device_ptrIsEEEESE_SE_sNS9_10multipliesIsEENS9_8equal_toIsEEsEE10hipError_tPvRmT2_T3_T4_T5_mT6_T7_P12ihipStream_tbENKUlT_T0_E_clISt17integral_constantIbLb0EESZ_EEDaSU_SV_EUlSU_E_NS1_11comp_targetILNS1_3genE10ELNS1_11target_archE1200ELNS1_3gpuE4ELNS1_3repE0EEENS1_30default_config_static_selectorELNS0_4arch9wavefront6targetE0EEEvT1_.uses_flat_scratch, 0
	.set _ZN7rocprim17ROCPRIM_400000_NS6detail17trampoline_kernelINS0_14default_configENS1_27scan_by_key_config_selectorIssEEZZNS1_16scan_by_key_implILNS1_25lookback_scan_determinismE0ELb1ES3_N6thrust23THRUST_200600_302600_NS6detail15normal_iteratorINS9_10device_ptrIsEEEESE_SE_sNS9_10multipliesIsEENS9_8equal_toIsEEsEE10hipError_tPvRmT2_T3_T4_T5_mT6_T7_P12ihipStream_tbENKUlT_T0_E_clISt17integral_constantIbLb0EESZ_EEDaSU_SV_EUlSU_E_NS1_11comp_targetILNS1_3genE10ELNS1_11target_archE1200ELNS1_3gpuE4ELNS1_3repE0EEENS1_30default_config_static_selectorELNS0_4arch9wavefront6targetE0EEEvT1_.has_dyn_sized_stack, 0
	.set _ZN7rocprim17ROCPRIM_400000_NS6detail17trampoline_kernelINS0_14default_configENS1_27scan_by_key_config_selectorIssEEZZNS1_16scan_by_key_implILNS1_25lookback_scan_determinismE0ELb1ES3_N6thrust23THRUST_200600_302600_NS6detail15normal_iteratorINS9_10device_ptrIsEEEESE_SE_sNS9_10multipliesIsEENS9_8equal_toIsEEsEE10hipError_tPvRmT2_T3_T4_T5_mT6_T7_P12ihipStream_tbENKUlT_T0_E_clISt17integral_constantIbLb0EESZ_EEDaSU_SV_EUlSU_E_NS1_11comp_targetILNS1_3genE10ELNS1_11target_archE1200ELNS1_3gpuE4ELNS1_3repE0EEENS1_30default_config_static_selectorELNS0_4arch9wavefront6targetE0EEEvT1_.has_recursion, 0
	.set _ZN7rocprim17ROCPRIM_400000_NS6detail17trampoline_kernelINS0_14default_configENS1_27scan_by_key_config_selectorIssEEZZNS1_16scan_by_key_implILNS1_25lookback_scan_determinismE0ELb1ES3_N6thrust23THRUST_200600_302600_NS6detail15normal_iteratorINS9_10device_ptrIsEEEESE_SE_sNS9_10multipliesIsEENS9_8equal_toIsEEsEE10hipError_tPvRmT2_T3_T4_T5_mT6_T7_P12ihipStream_tbENKUlT_T0_E_clISt17integral_constantIbLb0EESZ_EEDaSU_SV_EUlSU_E_NS1_11comp_targetILNS1_3genE10ELNS1_11target_archE1200ELNS1_3gpuE4ELNS1_3repE0EEENS1_30default_config_static_selectorELNS0_4arch9wavefront6targetE0EEEvT1_.has_indirect_call, 0
	.section	.AMDGPU.csdata,"",@progbits
; Kernel info:
; codeLenInByte = 0
; TotalNumSgprs: 0
; NumVgprs: 0
; ScratchSize: 0
; MemoryBound: 0
; FloatMode: 240
; IeeeMode: 1
; LDSByteSize: 0 bytes/workgroup (compile time only)
; SGPRBlocks: 0
; VGPRBlocks: 0
; NumSGPRsForWavesPerEU: 1
; NumVGPRsForWavesPerEU: 1
; Occupancy: 16
; WaveLimiterHint : 0
; COMPUTE_PGM_RSRC2:SCRATCH_EN: 0
; COMPUTE_PGM_RSRC2:USER_SGPR: 6
; COMPUTE_PGM_RSRC2:TRAP_HANDLER: 0
; COMPUTE_PGM_RSRC2:TGID_X_EN: 1
; COMPUTE_PGM_RSRC2:TGID_Y_EN: 0
; COMPUTE_PGM_RSRC2:TGID_Z_EN: 0
; COMPUTE_PGM_RSRC2:TIDIG_COMP_CNT: 0
	.section	.text._ZN7rocprim17ROCPRIM_400000_NS6detail17trampoline_kernelINS0_14default_configENS1_27scan_by_key_config_selectorIssEEZZNS1_16scan_by_key_implILNS1_25lookback_scan_determinismE0ELb1ES3_N6thrust23THRUST_200600_302600_NS6detail15normal_iteratorINS9_10device_ptrIsEEEESE_SE_sNS9_10multipliesIsEENS9_8equal_toIsEEsEE10hipError_tPvRmT2_T3_T4_T5_mT6_T7_P12ihipStream_tbENKUlT_T0_E_clISt17integral_constantIbLb0EESZ_EEDaSU_SV_EUlSU_E_NS1_11comp_targetILNS1_3genE9ELNS1_11target_archE1100ELNS1_3gpuE3ELNS1_3repE0EEENS1_30default_config_static_selectorELNS0_4arch9wavefront6targetE0EEEvT1_,"axG",@progbits,_ZN7rocprim17ROCPRIM_400000_NS6detail17trampoline_kernelINS0_14default_configENS1_27scan_by_key_config_selectorIssEEZZNS1_16scan_by_key_implILNS1_25lookback_scan_determinismE0ELb1ES3_N6thrust23THRUST_200600_302600_NS6detail15normal_iteratorINS9_10device_ptrIsEEEESE_SE_sNS9_10multipliesIsEENS9_8equal_toIsEEsEE10hipError_tPvRmT2_T3_T4_T5_mT6_T7_P12ihipStream_tbENKUlT_T0_E_clISt17integral_constantIbLb0EESZ_EEDaSU_SV_EUlSU_E_NS1_11comp_targetILNS1_3genE9ELNS1_11target_archE1100ELNS1_3gpuE3ELNS1_3repE0EEENS1_30default_config_static_selectorELNS0_4arch9wavefront6targetE0EEEvT1_,comdat
	.protected	_ZN7rocprim17ROCPRIM_400000_NS6detail17trampoline_kernelINS0_14default_configENS1_27scan_by_key_config_selectorIssEEZZNS1_16scan_by_key_implILNS1_25lookback_scan_determinismE0ELb1ES3_N6thrust23THRUST_200600_302600_NS6detail15normal_iteratorINS9_10device_ptrIsEEEESE_SE_sNS9_10multipliesIsEENS9_8equal_toIsEEsEE10hipError_tPvRmT2_T3_T4_T5_mT6_T7_P12ihipStream_tbENKUlT_T0_E_clISt17integral_constantIbLb0EESZ_EEDaSU_SV_EUlSU_E_NS1_11comp_targetILNS1_3genE9ELNS1_11target_archE1100ELNS1_3gpuE3ELNS1_3repE0EEENS1_30default_config_static_selectorELNS0_4arch9wavefront6targetE0EEEvT1_ ; -- Begin function _ZN7rocprim17ROCPRIM_400000_NS6detail17trampoline_kernelINS0_14default_configENS1_27scan_by_key_config_selectorIssEEZZNS1_16scan_by_key_implILNS1_25lookback_scan_determinismE0ELb1ES3_N6thrust23THRUST_200600_302600_NS6detail15normal_iteratorINS9_10device_ptrIsEEEESE_SE_sNS9_10multipliesIsEENS9_8equal_toIsEEsEE10hipError_tPvRmT2_T3_T4_T5_mT6_T7_P12ihipStream_tbENKUlT_T0_E_clISt17integral_constantIbLb0EESZ_EEDaSU_SV_EUlSU_E_NS1_11comp_targetILNS1_3genE9ELNS1_11target_archE1100ELNS1_3gpuE3ELNS1_3repE0EEENS1_30default_config_static_selectorELNS0_4arch9wavefront6targetE0EEEvT1_
	.globl	_ZN7rocprim17ROCPRIM_400000_NS6detail17trampoline_kernelINS0_14default_configENS1_27scan_by_key_config_selectorIssEEZZNS1_16scan_by_key_implILNS1_25lookback_scan_determinismE0ELb1ES3_N6thrust23THRUST_200600_302600_NS6detail15normal_iteratorINS9_10device_ptrIsEEEESE_SE_sNS9_10multipliesIsEENS9_8equal_toIsEEsEE10hipError_tPvRmT2_T3_T4_T5_mT6_T7_P12ihipStream_tbENKUlT_T0_E_clISt17integral_constantIbLb0EESZ_EEDaSU_SV_EUlSU_E_NS1_11comp_targetILNS1_3genE9ELNS1_11target_archE1100ELNS1_3gpuE3ELNS1_3repE0EEENS1_30default_config_static_selectorELNS0_4arch9wavefront6targetE0EEEvT1_
	.p2align	8
	.type	_ZN7rocprim17ROCPRIM_400000_NS6detail17trampoline_kernelINS0_14default_configENS1_27scan_by_key_config_selectorIssEEZZNS1_16scan_by_key_implILNS1_25lookback_scan_determinismE0ELb1ES3_N6thrust23THRUST_200600_302600_NS6detail15normal_iteratorINS9_10device_ptrIsEEEESE_SE_sNS9_10multipliesIsEENS9_8equal_toIsEEsEE10hipError_tPvRmT2_T3_T4_T5_mT6_T7_P12ihipStream_tbENKUlT_T0_E_clISt17integral_constantIbLb0EESZ_EEDaSU_SV_EUlSU_E_NS1_11comp_targetILNS1_3genE9ELNS1_11target_archE1100ELNS1_3gpuE3ELNS1_3repE0EEENS1_30default_config_static_selectorELNS0_4arch9wavefront6targetE0EEEvT1_,@function
_ZN7rocprim17ROCPRIM_400000_NS6detail17trampoline_kernelINS0_14default_configENS1_27scan_by_key_config_selectorIssEEZZNS1_16scan_by_key_implILNS1_25lookback_scan_determinismE0ELb1ES3_N6thrust23THRUST_200600_302600_NS6detail15normal_iteratorINS9_10device_ptrIsEEEESE_SE_sNS9_10multipliesIsEENS9_8equal_toIsEEsEE10hipError_tPvRmT2_T3_T4_T5_mT6_T7_P12ihipStream_tbENKUlT_T0_E_clISt17integral_constantIbLb0EESZ_EEDaSU_SV_EUlSU_E_NS1_11comp_targetILNS1_3genE9ELNS1_11target_archE1100ELNS1_3gpuE3ELNS1_3repE0EEENS1_30default_config_static_selectorELNS0_4arch9wavefront6targetE0EEEvT1_: ; @_ZN7rocprim17ROCPRIM_400000_NS6detail17trampoline_kernelINS0_14default_configENS1_27scan_by_key_config_selectorIssEEZZNS1_16scan_by_key_implILNS1_25lookback_scan_determinismE0ELb1ES3_N6thrust23THRUST_200600_302600_NS6detail15normal_iteratorINS9_10device_ptrIsEEEESE_SE_sNS9_10multipliesIsEENS9_8equal_toIsEEsEE10hipError_tPvRmT2_T3_T4_T5_mT6_T7_P12ihipStream_tbENKUlT_T0_E_clISt17integral_constantIbLb0EESZ_EEDaSU_SV_EUlSU_E_NS1_11comp_targetILNS1_3genE9ELNS1_11target_archE1100ELNS1_3gpuE3ELNS1_3repE0EEENS1_30default_config_static_selectorELNS0_4arch9wavefront6targetE0EEEvT1_
; %bb.0:
	.section	.rodata,"a",@progbits
	.p2align	6, 0x0
	.amdhsa_kernel _ZN7rocprim17ROCPRIM_400000_NS6detail17trampoline_kernelINS0_14default_configENS1_27scan_by_key_config_selectorIssEEZZNS1_16scan_by_key_implILNS1_25lookback_scan_determinismE0ELb1ES3_N6thrust23THRUST_200600_302600_NS6detail15normal_iteratorINS9_10device_ptrIsEEEESE_SE_sNS9_10multipliesIsEENS9_8equal_toIsEEsEE10hipError_tPvRmT2_T3_T4_T5_mT6_T7_P12ihipStream_tbENKUlT_T0_E_clISt17integral_constantIbLb0EESZ_EEDaSU_SV_EUlSU_E_NS1_11comp_targetILNS1_3genE9ELNS1_11target_archE1100ELNS1_3gpuE3ELNS1_3repE0EEENS1_30default_config_static_selectorELNS0_4arch9wavefront6targetE0EEEvT1_
		.amdhsa_group_segment_fixed_size 0
		.amdhsa_private_segment_fixed_size 0
		.amdhsa_kernarg_size 112
		.amdhsa_user_sgpr_count 6
		.amdhsa_user_sgpr_private_segment_buffer 1
		.amdhsa_user_sgpr_dispatch_ptr 0
		.amdhsa_user_sgpr_queue_ptr 0
		.amdhsa_user_sgpr_kernarg_segment_ptr 1
		.amdhsa_user_sgpr_dispatch_id 0
		.amdhsa_user_sgpr_flat_scratch_init 0
		.amdhsa_user_sgpr_private_segment_size 0
		.amdhsa_wavefront_size32 1
		.amdhsa_uses_dynamic_stack 0
		.amdhsa_system_sgpr_private_segment_wavefront_offset 0
		.amdhsa_system_sgpr_workgroup_id_x 1
		.amdhsa_system_sgpr_workgroup_id_y 0
		.amdhsa_system_sgpr_workgroup_id_z 0
		.amdhsa_system_sgpr_workgroup_info 0
		.amdhsa_system_vgpr_workitem_id 0
		.amdhsa_next_free_vgpr 1
		.amdhsa_next_free_sgpr 1
		.amdhsa_reserve_vcc 0
		.amdhsa_reserve_flat_scratch 0
		.amdhsa_float_round_mode_32 0
		.amdhsa_float_round_mode_16_64 0
		.amdhsa_float_denorm_mode_32 3
		.amdhsa_float_denorm_mode_16_64 3
		.amdhsa_dx10_clamp 1
		.amdhsa_ieee_mode 1
		.amdhsa_fp16_overflow 0
		.amdhsa_workgroup_processor_mode 1
		.amdhsa_memory_ordered 1
		.amdhsa_forward_progress 1
		.amdhsa_shared_vgpr_count 0
		.amdhsa_exception_fp_ieee_invalid_op 0
		.amdhsa_exception_fp_denorm_src 0
		.amdhsa_exception_fp_ieee_div_zero 0
		.amdhsa_exception_fp_ieee_overflow 0
		.amdhsa_exception_fp_ieee_underflow 0
		.amdhsa_exception_fp_ieee_inexact 0
		.amdhsa_exception_int_div_zero 0
	.end_amdhsa_kernel
	.section	.text._ZN7rocprim17ROCPRIM_400000_NS6detail17trampoline_kernelINS0_14default_configENS1_27scan_by_key_config_selectorIssEEZZNS1_16scan_by_key_implILNS1_25lookback_scan_determinismE0ELb1ES3_N6thrust23THRUST_200600_302600_NS6detail15normal_iteratorINS9_10device_ptrIsEEEESE_SE_sNS9_10multipliesIsEENS9_8equal_toIsEEsEE10hipError_tPvRmT2_T3_T4_T5_mT6_T7_P12ihipStream_tbENKUlT_T0_E_clISt17integral_constantIbLb0EESZ_EEDaSU_SV_EUlSU_E_NS1_11comp_targetILNS1_3genE9ELNS1_11target_archE1100ELNS1_3gpuE3ELNS1_3repE0EEENS1_30default_config_static_selectorELNS0_4arch9wavefront6targetE0EEEvT1_,"axG",@progbits,_ZN7rocprim17ROCPRIM_400000_NS6detail17trampoline_kernelINS0_14default_configENS1_27scan_by_key_config_selectorIssEEZZNS1_16scan_by_key_implILNS1_25lookback_scan_determinismE0ELb1ES3_N6thrust23THRUST_200600_302600_NS6detail15normal_iteratorINS9_10device_ptrIsEEEESE_SE_sNS9_10multipliesIsEENS9_8equal_toIsEEsEE10hipError_tPvRmT2_T3_T4_T5_mT6_T7_P12ihipStream_tbENKUlT_T0_E_clISt17integral_constantIbLb0EESZ_EEDaSU_SV_EUlSU_E_NS1_11comp_targetILNS1_3genE9ELNS1_11target_archE1100ELNS1_3gpuE3ELNS1_3repE0EEENS1_30default_config_static_selectorELNS0_4arch9wavefront6targetE0EEEvT1_,comdat
.Lfunc_end612:
	.size	_ZN7rocprim17ROCPRIM_400000_NS6detail17trampoline_kernelINS0_14default_configENS1_27scan_by_key_config_selectorIssEEZZNS1_16scan_by_key_implILNS1_25lookback_scan_determinismE0ELb1ES3_N6thrust23THRUST_200600_302600_NS6detail15normal_iteratorINS9_10device_ptrIsEEEESE_SE_sNS9_10multipliesIsEENS9_8equal_toIsEEsEE10hipError_tPvRmT2_T3_T4_T5_mT6_T7_P12ihipStream_tbENKUlT_T0_E_clISt17integral_constantIbLb0EESZ_EEDaSU_SV_EUlSU_E_NS1_11comp_targetILNS1_3genE9ELNS1_11target_archE1100ELNS1_3gpuE3ELNS1_3repE0EEENS1_30default_config_static_selectorELNS0_4arch9wavefront6targetE0EEEvT1_, .Lfunc_end612-_ZN7rocprim17ROCPRIM_400000_NS6detail17trampoline_kernelINS0_14default_configENS1_27scan_by_key_config_selectorIssEEZZNS1_16scan_by_key_implILNS1_25lookback_scan_determinismE0ELb1ES3_N6thrust23THRUST_200600_302600_NS6detail15normal_iteratorINS9_10device_ptrIsEEEESE_SE_sNS9_10multipliesIsEENS9_8equal_toIsEEsEE10hipError_tPvRmT2_T3_T4_T5_mT6_T7_P12ihipStream_tbENKUlT_T0_E_clISt17integral_constantIbLb0EESZ_EEDaSU_SV_EUlSU_E_NS1_11comp_targetILNS1_3genE9ELNS1_11target_archE1100ELNS1_3gpuE3ELNS1_3repE0EEENS1_30default_config_static_selectorELNS0_4arch9wavefront6targetE0EEEvT1_
                                        ; -- End function
	.set _ZN7rocprim17ROCPRIM_400000_NS6detail17trampoline_kernelINS0_14default_configENS1_27scan_by_key_config_selectorIssEEZZNS1_16scan_by_key_implILNS1_25lookback_scan_determinismE0ELb1ES3_N6thrust23THRUST_200600_302600_NS6detail15normal_iteratorINS9_10device_ptrIsEEEESE_SE_sNS9_10multipliesIsEENS9_8equal_toIsEEsEE10hipError_tPvRmT2_T3_T4_T5_mT6_T7_P12ihipStream_tbENKUlT_T0_E_clISt17integral_constantIbLb0EESZ_EEDaSU_SV_EUlSU_E_NS1_11comp_targetILNS1_3genE9ELNS1_11target_archE1100ELNS1_3gpuE3ELNS1_3repE0EEENS1_30default_config_static_selectorELNS0_4arch9wavefront6targetE0EEEvT1_.num_vgpr, 0
	.set _ZN7rocprim17ROCPRIM_400000_NS6detail17trampoline_kernelINS0_14default_configENS1_27scan_by_key_config_selectorIssEEZZNS1_16scan_by_key_implILNS1_25lookback_scan_determinismE0ELb1ES3_N6thrust23THRUST_200600_302600_NS6detail15normal_iteratorINS9_10device_ptrIsEEEESE_SE_sNS9_10multipliesIsEENS9_8equal_toIsEEsEE10hipError_tPvRmT2_T3_T4_T5_mT6_T7_P12ihipStream_tbENKUlT_T0_E_clISt17integral_constantIbLb0EESZ_EEDaSU_SV_EUlSU_E_NS1_11comp_targetILNS1_3genE9ELNS1_11target_archE1100ELNS1_3gpuE3ELNS1_3repE0EEENS1_30default_config_static_selectorELNS0_4arch9wavefront6targetE0EEEvT1_.num_agpr, 0
	.set _ZN7rocprim17ROCPRIM_400000_NS6detail17trampoline_kernelINS0_14default_configENS1_27scan_by_key_config_selectorIssEEZZNS1_16scan_by_key_implILNS1_25lookback_scan_determinismE0ELb1ES3_N6thrust23THRUST_200600_302600_NS6detail15normal_iteratorINS9_10device_ptrIsEEEESE_SE_sNS9_10multipliesIsEENS9_8equal_toIsEEsEE10hipError_tPvRmT2_T3_T4_T5_mT6_T7_P12ihipStream_tbENKUlT_T0_E_clISt17integral_constantIbLb0EESZ_EEDaSU_SV_EUlSU_E_NS1_11comp_targetILNS1_3genE9ELNS1_11target_archE1100ELNS1_3gpuE3ELNS1_3repE0EEENS1_30default_config_static_selectorELNS0_4arch9wavefront6targetE0EEEvT1_.numbered_sgpr, 0
	.set _ZN7rocprim17ROCPRIM_400000_NS6detail17trampoline_kernelINS0_14default_configENS1_27scan_by_key_config_selectorIssEEZZNS1_16scan_by_key_implILNS1_25lookback_scan_determinismE0ELb1ES3_N6thrust23THRUST_200600_302600_NS6detail15normal_iteratorINS9_10device_ptrIsEEEESE_SE_sNS9_10multipliesIsEENS9_8equal_toIsEEsEE10hipError_tPvRmT2_T3_T4_T5_mT6_T7_P12ihipStream_tbENKUlT_T0_E_clISt17integral_constantIbLb0EESZ_EEDaSU_SV_EUlSU_E_NS1_11comp_targetILNS1_3genE9ELNS1_11target_archE1100ELNS1_3gpuE3ELNS1_3repE0EEENS1_30default_config_static_selectorELNS0_4arch9wavefront6targetE0EEEvT1_.num_named_barrier, 0
	.set _ZN7rocprim17ROCPRIM_400000_NS6detail17trampoline_kernelINS0_14default_configENS1_27scan_by_key_config_selectorIssEEZZNS1_16scan_by_key_implILNS1_25lookback_scan_determinismE0ELb1ES3_N6thrust23THRUST_200600_302600_NS6detail15normal_iteratorINS9_10device_ptrIsEEEESE_SE_sNS9_10multipliesIsEENS9_8equal_toIsEEsEE10hipError_tPvRmT2_T3_T4_T5_mT6_T7_P12ihipStream_tbENKUlT_T0_E_clISt17integral_constantIbLb0EESZ_EEDaSU_SV_EUlSU_E_NS1_11comp_targetILNS1_3genE9ELNS1_11target_archE1100ELNS1_3gpuE3ELNS1_3repE0EEENS1_30default_config_static_selectorELNS0_4arch9wavefront6targetE0EEEvT1_.private_seg_size, 0
	.set _ZN7rocprim17ROCPRIM_400000_NS6detail17trampoline_kernelINS0_14default_configENS1_27scan_by_key_config_selectorIssEEZZNS1_16scan_by_key_implILNS1_25lookback_scan_determinismE0ELb1ES3_N6thrust23THRUST_200600_302600_NS6detail15normal_iteratorINS9_10device_ptrIsEEEESE_SE_sNS9_10multipliesIsEENS9_8equal_toIsEEsEE10hipError_tPvRmT2_T3_T4_T5_mT6_T7_P12ihipStream_tbENKUlT_T0_E_clISt17integral_constantIbLb0EESZ_EEDaSU_SV_EUlSU_E_NS1_11comp_targetILNS1_3genE9ELNS1_11target_archE1100ELNS1_3gpuE3ELNS1_3repE0EEENS1_30default_config_static_selectorELNS0_4arch9wavefront6targetE0EEEvT1_.uses_vcc, 0
	.set _ZN7rocprim17ROCPRIM_400000_NS6detail17trampoline_kernelINS0_14default_configENS1_27scan_by_key_config_selectorIssEEZZNS1_16scan_by_key_implILNS1_25lookback_scan_determinismE0ELb1ES3_N6thrust23THRUST_200600_302600_NS6detail15normal_iteratorINS9_10device_ptrIsEEEESE_SE_sNS9_10multipliesIsEENS9_8equal_toIsEEsEE10hipError_tPvRmT2_T3_T4_T5_mT6_T7_P12ihipStream_tbENKUlT_T0_E_clISt17integral_constantIbLb0EESZ_EEDaSU_SV_EUlSU_E_NS1_11comp_targetILNS1_3genE9ELNS1_11target_archE1100ELNS1_3gpuE3ELNS1_3repE0EEENS1_30default_config_static_selectorELNS0_4arch9wavefront6targetE0EEEvT1_.uses_flat_scratch, 0
	.set _ZN7rocprim17ROCPRIM_400000_NS6detail17trampoline_kernelINS0_14default_configENS1_27scan_by_key_config_selectorIssEEZZNS1_16scan_by_key_implILNS1_25lookback_scan_determinismE0ELb1ES3_N6thrust23THRUST_200600_302600_NS6detail15normal_iteratorINS9_10device_ptrIsEEEESE_SE_sNS9_10multipliesIsEENS9_8equal_toIsEEsEE10hipError_tPvRmT2_T3_T4_T5_mT6_T7_P12ihipStream_tbENKUlT_T0_E_clISt17integral_constantIbLb0EESZ_EEDaSU_SV_EUlSU_E_NS1_11comp_targetILNS1_3genE9ELNS1_11target_archE1100ELNS1_3gpuE3ELNS1_3repE0EEENS1_30default_config_static_selectorELNS0_4arch9wavefront6targetE0EEEvT1_.has_dyn_sized_stack, 0
	.set _ZN7rocprim17ROCPRIM_400000_NS6detail17trampoline_kernelINS0_14default_configENS1_27scan_by_key_config_selectorIssEEZZNS1_16scan_by_key_implILNS1_25lookback_scan_determinismE0ELb1ES3_N6thrust23THRUST_200600_302600_NS6detail15normal_iteratorINS9_10device_ptrIsEEEESE_SE_sNS9_10multipliesIsEENS9_8equal_toIsEEsEE10hipError_tPvRmT2_T3_T4_T5_mT6_T7_P12ihipStream_tbENKUlT_T0_E_clISt17integral_constantIbLb0EESZ_EEDaSU_SV_EUlSU_E_NS1_11comp_targetILNS1_3genE9ELNS1_11target_archE1100ELNS1_3gpuE3ELNS1_3repE0EEENS1_30default_config_static_selectorELNS0_4arch9wavefront6targetE0EEEvT1_.has_recursion, 0
	.set _ZN7rocprim17ROCPRIM_400000_NS6detail17trampoline_kernelINS0_14default_configENS1_27scan_by_key_config_selectorIssEEZZNS1_16scan_by_key_implILNS1_25lookback_scan_determinismE0ELb1ES3_N6thrust23THRUST_200600_302600_NS6detail15normal_iteratorINS9_10device_ptrIsEEEESE_SE_sNS9_10multipliesIsEENS9_8equal_toIsEEsEE10hipError_tPvRmT2_T3_T4_T5_mT6_T7_P12ihipStream_tbENKUlT_T0_E_clISt17integral_constantIbLb0EESZ_EEDaSU_SV_EUlSU_E_NS1_11comp_targetILNS1_3genE9ELNS1_11target_archE1100ELNS1_3gpuE3ELNS1_3repE0EEENS1_30default_config_static_selectorELNS0_4arch9wavefront6targetE0EEEvT1_.has_indirect_call, 0
	.section	.AMDGPU.csdata,"",@progbits
; Kernel info:
; codeLenInByte = 0
; TotalNumSgprs: 0
; NumVgprs: 0
; ScratchSize: 0
; MemoryBound: 0
; FloatMode: 240
; IeeeMode: 1
; LDSByteSize: 0 bytes/workgroup (compile time only)
; SGPRBlocks: 0
; VGPRBlocks: 0
; NumSGPRsForWavesPerEU: 1
; NumVGPRsForWavesPerEU: 1
; Occupancy: 16
; WaveLimiterHint : 0
; COMPUTE_PGM_RSRC2:SCRATCH_EN: 0
; COMPUTE_PGM_RSRC2:USER_SGPR: 6
; COMPUTE_PGM_RSRC2:TRAP_HANDLER: 0
; COMPUTE_PGM_RSRC2:TGID_X_EN: 1
; COMPUTE_PGM_RSRC2:TGID_Y_EN: 0
; COMPUTE_PGM_RSRC2:TGID_Z_EN: 0
; COMPUTE_PGM_RSRC2:TIDIG_COMP_CNT: 0
	.section	.text._ZN7rocprim17ROCPRIM_400000_NS6detail17trampoline_kernelINS0_14default_configENS1_27scan_by_key_config_selectorIssEEZZNS1_16scan_by_key_implILNS1_25lookback_scan_determinismE0ELb1ES3_N6thrust23THRUST_200600_302600_NS6detail15normal_iteratorINS9_10device_ptrIsEEEESE_SE_sNS9_10multipliesIsEENS9_8equal_toIsEEsEE10hipError_tPvRmT2_T3_T4_T5_mT6_T7_P12ihipStream_tbENKUlT_T0_E_clISt17integral_constantIbLb0EESZ_EEDaSU_SV_EUlSU_E_NS1_11comp_targetILNS1_3genE8ELNS1_11target_archE1030ELNS1_3gpuE2ELNS1_3repE0EEENS1_30default_config_static_selectorELNS0_4arch9wavefront6targetE0EEEvT1_,"axG",@progbits,_ZN7rocprim17ROCPRIM_400000_NS6detail17trampoline_kernelINS0_14default_configENS1_27scan_by_key_config_selectorIssEEZZNS1_16scan_by_key_implILNS1_25lookback_scan_determinismE0ELb1ES3_N6thrust23THRUST_200600_302600_NS6detail15normal_iteratorINS9_10device_ptrIsEEEESE_SE_sNS9_10multipliesIsEENS9_8equal_toIsEEsEE10hipError_tPvRmT2_T3_T4_T5_mT6_T7_P12ihipStream_tbENKUlT_T0_E_clISt17integral_constantIbLb0EESZ_EEDaSU_SV_EUlSU_E_NS1_11comp_targetILNS1_3genE8ELNS1_11target_archE1030ELNS1_3gpuE2ELNS1_3repE0EEENS1_30default_config_static_selectorELNS0_4arch9wavefront6targetE0EEEvT1_,comdat
	.protected	_ZN7rocprim17ROCPRIM_400000_NS6detail17trampoline_kernelINS0_14default_configENS1_27scan_by_key_config_selectorIssEEZZNS1_16scan_by_key_implILNS1_25lookback_scan_determinismE0ELb1ES3_N6thrust23THRUST_200600_302600_NS6detail15normal_iteratorINS9_10device_ptrIsEEEESE_SE_sNS9_10multipliesIsEENS9_8equal_toIsEEsEE10hipError_tPvRmT2_T3_T4_T5_mT6_T7_P12ihipStream_tbENKUlT_T0_E_clISt17integral_constantIbLb0EESZ_EEDaSU_SV_EUlSU_E_NS1_11comp_targetILNS1_3genE8ELNS1_11target_archE1030ELNS1_3gpuE2ELNS1_3repE0EEENS1_30default_config_static_selectorELNS0_4arch9wavefront6targetE0EEEvT1_ ; -- Begin function _ZN7rocprim17ROCPRIM_400000_NS6detail17trampoline_kernelINS0_14default_configENS1_27scan_by_key_config_selectorIssEEZZNS1_16scan_by_key_implILNS1_25lookback_scan_determinismE0ELb1ES3_N6thrust23THRUST_200600_302600_NS6detail15normal_iteratorINS9_10device_ptrIsEEEESE_SE_sNS9_10multipliesIsEENS9_8equal_toIsEEsEE10hipError_tPvRmT2_T3_T4_T5_mT6_T7_P12ihipStream_tbENKUlT_T0_E_clISt17integral_constantIbLb0EESZ_EEDaSU_SV_EUlSU_E_NS1_11comp_targetILNS1_3genE8ELNS1_11target_archE1030ELNS1_3gpuE2ELNS1_3repE0EEENS1_30default_config_static_selectorELNS0_4arch9wavefront6targetE0EEEvT1_
	.globl	_ZN7rocprim17ROCPRIM_400000_NS6detail17trampoline_kernelINS0_14default_configENS1_27scan_by_key_config_selectorIssEEZZNS1_16scan_by_key_implILNS1_25lookback_scan_determinismE0ELb1ES3_N6thrust23THRUST_200600_302600_NS6detail15normal_iteratorINS9_10device_ptrIsEEEESE_SE_sNS9_10multipliesIsEENS9_8equal_toIsEEsEE10hipError_tPvRmT2_T3_T4_T5_mT6_T7_P12ihipStream_tbENKUlT_T0_E_clISt17integral_constantIbLb0EESZ_EEDaSU_SV_EUlSU_E_NS1_11comp_targetILNS1_3genE8ELNS1_11target_archE1030ELNS1_3gpuE2ELNS1_3repE0EEENS1_30default_config_static_selectorELNS0_4arch9wavefront6targetE0EEEvT1_
	.p2align	8
	.type	_ZN7rocprim17ROCPRIM_400000_NS6detail17trampoline_kernelINS0_14default_configENS1_27scan_by_key_config_selectorIssEEZZNS1_16scan_by_key_implILNS1_25lookback_scan_determinismE0ELb1ES3_N6thrust23THRUST_200600_302600_NS6detail15normal_iteratorINS9_10device_ptrIsEEEESE_SE_sNS9_10multipliesIsEENS9_8equal_toIsEEsEE10hipError_tPvRmT2_T3_T4_T5_mT6_T7_P12ihipStream_tbENKUlT_T0_E_clISt17integral_constantIbLb0EESZ_EEDaSU_SV_EUlSU_E_NS1_11comp_targetILNS1_3genE8ELNS1_11target_archE1030ELNS1_3gpuE2ELNS1_3repE0EEENS1_30default_config_static_selectorELNS0_4arch9wavefront6targetE0EEEvT1_,@function
_ZN7rocprim17ROCPRIM_400000_NS6detail17trampoline_kernelINS0_14default_configENS1_27scan_by_key_config_selectorIssEEZZNS1_16scan_by_key_implILNS1_25lookback_scan_determinismE0ELb1ES3_N6thrust23THRUST_200600_302600_NS6detail15normal_iteratorINS9_10device_ptrIsEEEESE_SE_sNS9_10multipliesIsEENS9_8equal_toIsEEsEE10hipError_tPvRmT2_T3_T4_T5_mT6_T7_P12ihipStream_tbENKUlT_T0_E_clISt17integral_constantIbLb0EESZ_EEDaSU_SV_EUlSU_E_NS1_11comp_targetILNS1_3genE8ELNS1_11target_archE1030ELNS1_3gpuE2ELNS1_3repE0EEENS1_30default_config_static_selectorELNS0_4arch9wavefront6targetE0EEEvT1_: ; @_ZN7rocprim17ROCPRIM_400000_NS6detail17trampoline_kernelINS0_14default_configENS1_27scan_by_key_config_selectorIssEEZZNS1_16scan_by_key_implILNS1_25lookback_scan_determinismE0ELb1ES3_N6thrust23THRUST_200600_302600_NS6detail15normal_iteratorINS9_10device_ptrIsEEEESE_SE_sNS9_10multipliesIsEENS9_8equal_toIsEEsEE10hipError_tPvRmT2_T3_T4_T5_mT6_T7_P12ihipStream_tbENKUlT_T0_E_clISt17integral_constantIbLb0EESZ_EEDaSU_SV_EUlSU_E_NS1_11comp_targetILNS1_3genE8ELNS1_11target_archE1030ELNS1_3gpuE2ELNS1_3repE0EEENS1_30default_config_static_selectorELNS0_4arch9wavefront6targetE0EEEvT1_
; %bb.0:
	s_clause 0x5
	s_load_dwordx8 s[8:15], s[4:5], 0x0
	s_load_dwordx2 s[26:27], s[4:5], 0x38
	s_load_dword s2, s[4:5], 0x40
	s_load_dwordx4 s[20:23], s[4:5], 0x48
	s_load_dword s30, s[4:5], 0x20
	s_load_dwordx4 s[16:19], s[4:5], 0x28
	s_mov_b32 s1, 0
	s_mul_i32 s0, s6, 0x280
	s_waitcnt lgkmcnt(0)
	s_barrier
	buffer_gl0_inv
	s_lshl_b64 s[24:25], s[10:11], 1
	s_add_u32 s5, s8, s24
	s_addc_u32 s7, s9, s25
	s_mul_i32 s3, s27, s2
	s_mul_hi_u32 s4, s26, s2
	s_add_u32 s8, s12, s24
	s_addc_u32 s9, s13, s25
	s_lshl_b64 s[12:13], s[0:1], 1
	s_add_i32 s4, s4, s3
	s_add_u32 s28, s5, s12
	s_addc_u32 s29, s7, s13
	s_mul_i32 s0, s26, s2
	s_add_u32 s31, s8, s12
	s_addc_u32 s33, s9, s13
	s_add_u32 s2, s0, s6
	s_addc_u32 s3, s4, 0
	s_add_u32 s4, s20, -1
	s_addc_u32 s5, s21, -1
	s_mul_i32 s19, s4, 0xfffffd80
	v_cmp_ge_u64_e64 s11, s[2:3], s[4:5]
	s_and_b32 vcc_lo, exec_lo, s11
	s_cbranch_vccz .LBB613_55
; %bb.1:
	v_mov_b32_e32 v1, s28
	v_mov_b32_e32 v2, s29
	s_add_i32 s20, s19, s18
	v_cmp_gt_u32_e64 s9, s20, v0
	flat_load_ushort v1, v[1:2]
	s_waitcnt vmcnt(0) lgkmcnt(0)
	v_mov_b32_e32 v2, v1
	s_and_saveexec_b32 s0, s9
	s_cbranch_execz .LBB613_3
; %bb.2:
	v_lshlrev_b32_e32 v2, 1, v0
	v_add_co_u32 v2, s1, s28, v2
	v_add_co_ci_u32_e64 v3, null, s29, 0, s1
	flat_load_ushort v2, v[2:3]
.LBB613_3:
	s_or_b32 exec_lo, exec_lo, s0
	v_or_b32_e32 v3, 64, v0
	v_cmp_gt_u32_e64 s8, s20, v3
	v_mov_b32_e32 v3, v1
	s_and_saveexec_b32 s0, s8
	s_cbranch_execz .LBB613_5
; %bb.4:
	v_lshlrev_b32_e32 v3, 1, v0
	v_add_co_u32 v3, s1, s28, v3
	v_add_co_ci_u32_e64 v4, null, s29, 0, s1
	flat_load_ushort v3, v[3:4] offset:128
.LBB613_5:
	s_or_b32 exec_lo, exec_lo, s0
	v_or_b32_e32 v4, 0x80, v0
	v_cmp_gt_u32_e64 s7, s20, v4
	v_mov_b32_e32 v4, v1
	s_and_saveexec_b32 s0, s7
	s_cbranch_execz .LBB613_7
; %bb.6:
	v_lshlrev_b32_e32 v4, 1, v0
	v_add_co_u32 v4, s1, s28, v4
	v_add_co_ci_u32_e64 v5, null, s29, 0, s1
	flat_load_ushort v4, v[4:5] offset:256
.LBB613_7:
	;; [unrolled: 12-line block ×8, first 2 shown]
	s_or_b32 exec_lo, exec_lo, s10
	v_or_b32_e32 v11, 0x240, v0
	v_cmp_le_u32_e64 s10, s20, v11
	v_cmp_gt_u32_e32 vcc_lo, s20, v11
	s_and_saveexec_b32 s21, s10
	s_xor_b32 s10, exec_lo, s21
	s_andn2_saveexec_b32 s10, s10
	s_cbranch_execz .LBB613_21
; %bb.20:
	v_lshlrev_b32_e32 v1, 1, v0
	v_add_co_u32 v11, s21, s28, v1
	v_add_co_ci_u32_e64 v12, null, s29, 0, s21
	flat_load_ushort v1, v[11:12] offset:1152
.LBB613_21:
	s_or_b32 exec_lo, exec_lo, s10
	v_lshlrev_b32_e32 v13, 1, v0
	s_mov_b32 s21, exec_lo
	s_waitcnt vmcnt(0) lgkmcnt(0)
	ds_write_b16 v13, v2
	ds_write_b16 v13, v3 offset:128
	ds_write_b16 v13, v4 offset:256
	;; [unrolled: 1-line block ×8, first 2 shown]
	v_mov_b32_e32 v2, s28
	v_mov_b32_e32 v3, s29
	ds_write_b16 v13, v1 offset:1152
	s_waitcnt lgkmcnt(0)
	s_barrier
	buffer_gl0_inv
	flat_load_ushort v23, v[2:3]
	v_mad_u32_u24 v22, v0, 18, v13
	ds_read2_b32 v[11:12], v22 offset1:1
	ds_read2_b32 v[9:10], v22 offset0:2 offset1:3
	ds_read_b32 v24, v22 offset:16
	v_mad_i32_i24 v1, 0xffffffee, v0, v22
	s_waitcnt lgkmcnt(2)
	ds_write_b16 v1, v11 offset:1408
	s_waitcnt vmcnt(0) lgkmcnt(0)
	s_barrier
	buffer_gl0_inv
	v_cmpx_ne_u32_e32 63, v0
; %bb.22:
	v_mul_i32_i24_e32 v1, 0xffffffee, v0
	v_add_nc_u32_e32 v1, v22, v1
	ds_read_u16 v23, v1 offset:1410
; %bb.23:
	s_or_b32 exec_lo, exec_lo, s21
	v_mov_b32_e32 v1, 0
	v_lshlrev_b32_e32 v14, 1, v0
	s_waitcnt lgkmcnt(0)
	s_barrier
	buffer_gl0_inv
	v_mov_b32_e32 v2, v1
	v_mov_b32_e32 v3, v1
	;; [unrolled: 1-line block ×4, first 2 shown]
	s_and_saveexec_b32 s10, s9
	s_cbranch_execnz .LBB613_181
; %bb.24:
	s_or_b32 exec_lo, exec_lo, s10
	s_and_saveexec_b32 s9, s8
	s_cbranch_execnz .LBB613_182
.LBB613_25:
	s_or_b32 exec_lo, exec_lo, s9
	s_and_saveexec_b32 s8, s7
	s_cbranch_execnz .LBB613_183
.LBB613_26:
	s_or_b32 exec_lo, exec_lo, s8
	s_and_saveexec_b32 s7, s5
	s_cbranch_execnz .LBB613_184
.LBB613_27:
	s_or_b32 exec_lo, exec_lo, s7
	s_and_saveexec_b32 s5, s4
	s_cbranch_execnz .LBB613_185
.LBB613_28:
	s_or_b32 exec_lo, exec_lo, s5
	s_and_saveexec_b32 s4, s3
	s_cbranch_execnz .LBB613_186
.LBB613_29:
	s_or_b32 exec_lo, exec_lo, s4
	s_and_saveexec_b32 s3, s2
	s_cbranch_execnz .LBB613_187
.LBB613_30:
	s_or_b32 exec_lo, exec_lo, s3
	s_and_saveexec_b32 s2, s1
	s_cbranch_execnz .LBB613_188
.LBB613_31:
	s_or_b32 exec_lo, exec_lo, s2
	s_and_saveexec_b32 s1, s0
	s_cbranch_execnz .LBB613_189
.LBB613_32:
	s_or_b32 exec_lo, exec_lo, s1
	v_mul_u32_u24_e32 v29, 10, v0
	s_and_saveexec_b32 s0, vcc_lo
	s_cbranch_execz .LBB613_34
.LBB613_33:
	v_add_co_u32 v6, s1, s31, v14
	v_add_co_ci_u32_e64 v7, null, s33, 0, s1
	s_waitcnt vmcnt(0) lgkmcnt(0)
	flat_load_short_d16_hi v5, v[6:7] offset:1152
.LBB613_34:
	s_or_b32 exec_lo, exec_lo, s0
	s_waitcnt vmcnt(0) lgkmcnt(0)
	ds_write_b16 v13, v1
	ds_write_b16_d16_hi v13, v1 offset:128
	ds_write_b16 v13, v2 offset:256
	ds_write_b16_d16_hi v13, v2 offset:384
	ds_write_b16 v13, v3 offset:512
	ds_write_b16_d16_hi v13, v3 offset:640
	ds_write_b16 v13, v4 offset:768
	ds_write_b16_d16_hi v13, v4 offset:896
	ds_write_b16 v13, v5 offset:1024
	ds_write_b16_d16_hi v13, v5 offset:1152
	v_cmp_gt_u32_e32 vcc_lo, s20, v29
	v_mov_b32_e32 v19, 0
	v_mov_b32_e32 v1, 0
	;; [unrolled: 1-line block ×17, first 2 shown]
	s_mov_b32 s2, 0
	s_mov_b32 s1, 0
	s_waitcnt lgkmcnt(0)
	s_barrier
	buffer_gl0_inv
                                        ; implicit-def: $sgpr4
                                        ; implicit-def: $vgpr8
	s_and_saveexec_b32 s3, vcc_lo
	s_cbranch_execz .LBB613_54
; %bb.35:
	ds_read_u16 v2, v22
	v_cmp_eq_u16_sdwa vcc_lo, v11, v11 src0_sel:DWORD src1_sel:WORD_1
	v_mov_b32_e32 v1, 0
	v_or_b32_e32 v3, 1, v29
	v_mov_b32_e32 v28, 0
	v_mov_b32_e32 v27, 0
	;; [unrolled: 1-line block ×13, first 2 shown]
	v_cndmask_b32_e64 v21, 0x10000, 0, vcc_lo
	v_mov_b32_e32 v13, 0
	s_mov_b32 s5, 0
	s_waitcnt lgkmcnt(0)
	v_cndmask_b32_e32 v19, s30, v2, vcc_lo
	s_mov_b32 s1, exec_lo
                                        ; implicit-def: $sgpr4
                                        ; implicit-def: $vgpr8
	v_cmpx_gt_u32_e64 s20, v3
	s_cbranch_execz .LBB613_53
; %bb.36:
	ds_read_b128 v[1:4], v22 offset:2
	v_cmp_eq_u16_sdwa vcc_lo, v11, v12 src0_sel:WORD_1 src1_sel:DWORD
	v_add_nc_u32_e32 v8, 2, v29
	v_mov_b32_e32 v28, 0
	v_mov_b32_e32 v27, 0
	;; [unrolled: 1-line block ×12, first 2 shown]
	v_cmp_gt_u32_e64 s0, s20, v8
	v_cndmask_b32_e64 v20, 0x10000, 0, vcc_lo
	v_mov_b32_e32 v13, 0
	s_mov_b32 s7, 0
                                        ; implicit-def: $sgpr4
                                        ; implicit-def: $vgpr8
	s_waitcnt lgkmcnt(0)
	v_cndmask_b32_e32 v11, s30, v1, vcc_lo
	s_and_saveexec_b32 s5, s0
	s_cbranch_execz .LBB613_52
; %bb.37:
	v_add_nc_u32_e32 v5, 3, v29
	v_cmp_eq_u16_sdwa vcc_lo, v12, v12 src0_sel:DWORD src1_sel:WORD_1
	v_mov_b32_e32 v27, 0
	v_mov_b32_e32 v26, 0
	;; [unrolled: 1-line block ×3, first 2 shown]
	v_cmp_gt_u32_e64 s0, s20, v5
	v_cndmask_b32_e64 v18, 0x10000, 0, vcc_lo
	v_cndmask_b32_sdwa v1, s30, v1, vcc_lo dst_sel:DWORD dst_unused:UNUSED_PAD src0_sel:DWORD src1_sel:WORD_1
	v_mov_b32_e32 v7, 0
	v_mov_b32_e32 v6, 0
	v_mov_b32_e32 v5, 0
	v_mov_b32_e32 v17, 0
	v_mov_b32_e32 v16, 0
	v_mov_b32_e32 v15, 0
	v_mov_b32_e32 v14, 0
	v_mov_b32_e32 v13, 0
	s_mov_b32 s8, 0
                                        ; implicit-def: $sgpr4
                                        ; implicit-def: $vgpr8
	s_and_saveexec_b32 s7, s0
	s_cbranch_execz .LBB613_51
; %bb.38:
	v_cmp_eq_u16_sdwa vcc_lo, v12, v9 src0_sel:WORD_1 src1_sel:DWORD
	v_add_nc_u32_e32 v5, 4, v29
	v_mov_b32_e32 v26, 0
	v_mov_b32_e32 v25, 0
	;; [unrolled: 1-line block ×3, first 2 shown]
	v_cndmask_b32_e32 v12, s30, v2, vcc_lo
	v_cndmask_b32_e64 v17, 0x10000, 0, vcc_lo
	v_cmp_gt_u32_e32 vcc_lo, s20, v5
	v_mov_b32_e32 v6, 0
	v_mov_b32_e32 v5, 0
	;; [unrolled: 1-line block ×6, first 2 shown]
	s_mov_b32 s0, 0
                                        ; implicit-def: $sgpr4
                                        ; implicit-def: $vgpr8
	s_and_saveexec_b32 s8, vcc_lo
	s_cbranch_execz .LBB613_50
; %bb.39:
	v_add_nc_u32_e32 v5, 5, v29
	v_cmp_eq_u16_sdwa vcc_lo, v9, v9 src0_sel:DWORD src1_sel:WORD_1
	v_mov_b32_e32 v25, 0
	v_mov_b32_e32 v7, 0
	;; [unrolled: 1-line block ×3, first 2 shown]
	v_cmp_gt_u32_e64 s0, s20, v5
	v_cndmask_b32_e64 v16, 0x10000, 0, vcc_lo
	v_cndmask_b32_sdwa v2, s30, v2, vcc_lo dst_sel:DWORD dst_unused:UNUSED_PAD src0_sel:DWORD src1_sel:WORD_1
	v_mov_b32_e32 v5, 0
	v_mov_b32_e32 v15, 0
	;; [unrolled: 1-line block ×4, first 2 shown]
	s_mov_b32 s10, 0
                                        ; implicit-def: $sgpr4
                                        ; implicit-def: $vgpr8
	s_and_saveexec_b32 s9, s0
	s_cbranch_execz .LBB613_49
; %bb.40:
	v_cmp_eq_u16_sdwa vcc_lo, v9, v10 src0_sel:WORD_1 src1_sel:DWORD
	v_add_nc_u32_e32 v5, 6, v29
	v_mov_b32_e32 v7, 0
	v_mov_b32_e32 v6, 0
	;; [unrolled: 1-line block ×3, first 2 shown]
	v_cndmask_b32_e32 v9, s30, v3, vcc_lo
	v_cndmask_b32_e64 v15, 0x10000, 0, vcc_lo
	v_cmp_gt_u32_e32 vcc_lo, s20, v5
	v_mov_b32_e32 v5, 0
	v_mov_b32_e32 v13, 0
	s_mov_b32 s0, 0
                                        ; implicit-def: $sgpr4
                                        ; implicit-def: $vgpr8
	s_and_saveexec_b32 s10, vcc_lo
	s_cbranch_execz .LBB613_48
; %bb.41:
	v_add_nc_u32_e32 v8, 7, v29
	v_cmp_eq_u16_sdwa vcc_lo, v10, v10 src0_sel:DWORD src1_sel:WORD_1
	v_mov_b32_e32 v6, 0
	v_mov_b32_e32 v5, 0
	;; [unrolled: 1-line block ×3, first 2 shown]
	v_cmp_gt_u32_e64 s0, s20, v8
	v_cndmask_b32_e64 v7, 0x10000, 0, vcc_lo
	v_cndmask_b32_sdwa v3, s30, v3, vcc_lo dst_sel:DWORD dst_unused:UNUSED_PAD src0_sel:DWORD src1_sel:WORD_1
	s_mov_b32 s34, 0
                                        ; implicit-def: $sgpr4
                                        ; implicit-def: $vgpr8
	s_and_saveexec_b32 s21, s0
	s_cbranch_execz .LBB613_47
; %bb.42:
	v_cmp_eq_u16_sdwa vcc_lo, v10, v24 src0_sel:WORD_1 src1_sel:DWORD
	v_add_nc_u32_e32 v8, 8, v29
	v_mov_b32_e32 v5, 0
                                        ; implicit-def: $sgpr4
	v_cndmask_b32_e32 v6, s30, v4, vcc_lo
	v_cndmask_b32_e64 v10, 0x10000, 0, vcc_lo
	v_cmp_gt_u32_e32 vcc_lo, s20, v8
                                        ; implicit-def: $vgpr8
	s_and_saveexec_b32 s0, vcc_lo
	s_cbranch_execz .LBB613_46
; %bb.43:
	v_cmp_eq_u16_sdwa vcc_lo, v24, v24 src0_sel:DWORD src1_sel:WORD_1
	v_add_nc_u32_e32 v8, 9, v29
                                        ; implicit-def: $sgpr4
	v_cndmask_b32_e64 v5, 0x10000, 0, vcc_lo
	v_cndmask_b32_sdwa v4, s30, v4, vcc_lo dst_sel:DWORD dst_unused:UNUSED_PAD src0_sel:DWORD src1_sel:WORD_1
	v_cmp_gt_u32_e32 vcc_lo, s20, v8
	s_mov_b32 s20, 0
                                        ; implicit-def: $vgpr8
	s_and_saveexec_b32 s34, vcc_lo
	s_xor_b32 s34, exec_lo, s34
	s_cbranch_execz .LBB613_45
; %bb.44:
	ds_read_u16 v8, v22 offset:18
	v_cmp_ne_u16_sdwa s4, v24, v23 src0_sel:WORD_1 src1_sel:DWORD
	s_mov_b32 s20, exec_lo
	s_waitcnt lgkmcnt(0)
	v_cndmask_b32_e64 v8, v8, s30, s4
.LBB613_45:
	s_or_b32 exec_lo, exec_lo, s34
	v_or_b32_sdwa v5, v5, v4 dst_sel:DWORD dst_unused:UNUSED_PAD src0_sel:DWORD src1_sel:WORD_0
	s_and_b32 s34, s20, exec_lo
.LBB613_46:
	s_or_b32 exec_lo, exec_lo, s0
	v_or_b32_sdwa v6, v10, v6 dst_sel:DWORD dst_unused:UNUSED_PAD src0_sel:DWORD src1_sel:WORD_0
	v_mov_b32_e32 v13, v5
	s_and_b32 s34, s34, exec_lo
.LBB613_47:
	s_or_b32 exec_lo, exec_lo, s21
	v_or_b32_sdwa v7, v7, v3 dst_sel:DWORD dst_unused:UNUSED_PAD src0_sel:DWORD src1_sel:WORD_0
	v_mov_b32_e32 v14, v6
	s_and_b32 s0, s34, exec_lo
.LBB613_48:
	s_or_b32 exec_lo, exec_lo, s10
	v_or_b32_sdwa v25, v15, v9 dst_sel:DWORD dst_unused:UNUSED_PAD src0_sel:DWORD src1_sel:WORD_0
	v_mov_b32_e32 v15, v7
	s_and_b32 s10, s0, exec_lo
.LBB613_49:
	s_or_b32 exec_lo, exec_lo, s9
	v_or_b32_sdwa v26, v16, v2 dst_sel:DWORD dst_unused:UNUSED_PAD src0_sel:DWORD src1_sel:WORD_0
	v_mov_b32_e32 v16, v25
	s_and_b32 s0, s10, exec_lo
.LBB613_50:
	s_or_b32 exec_lo, exec_lo, s8
	v_or_b32_sdwa v27, v17, v12 dst_sel:DWORD dst_unused:UNUSED_PAD src0_sel:DWORD src1_sel:WORD_0
	v_mov_b32_e32 v17, v26
	s_and_b32 s8, s0, exec_lo
.LBB613_51:
	s_or_b32 exec_lo, exec_lo, s7
	v_or_b32_sdwa v28, v18, v1 dst_sel:DWORD dst_unused:UNUSED_PAD src0_sel:DWORD src1_sel:WORD_0
	v_mov_b32_e32 v18, v27
	s_and_b32 s7, s8, exec_lo
.LBB613_52:
	s_or_b32 exec_lo, exec_lo, s5
	v_or_b32_sdwa v1, v20, v11 dst_sel:DWORD dst_unused:UNUSED_PAD src0_sel:DWORD src1_sel:WORD_0
	v_mov_b32_e32 v20, v28
	s_and_b32 s5, s7, exec_lo
.LBB613_53:
	s_or_b32 exec_lo, exec_lo, s1
	v_or_b32_sdwa v19, v21, v19 dst_sel:DWORD dst_unused:UNUSED_PAD src0_sel:DWORD src1_sel:WORD_0
	v_mov_b32_e32 v21, v1
	s_and_b32 s1, s5, exec_lo
.LBB613_54:
	s_or_b32 exec_lo, exec_lo, s3
	v_lshlrev_b32_e32 v9, 1, v0
	s_and_b32 vcc_lo, exec_lo, s2
	s_cbranch_vccnz .LBB613_56
	s_branch .LBB613_59
.LBB613_55:
                                        ; implicit-def: $sgpr4
                                        ; implicit-def: $vgpr8
                                        ; implicit-def: $vgpr19
                                        ; implicit-def: $vgpr1
                                        ; implicit-def: $vgpr28
                                        ; implicit-def: $vgpr27
                                        ; implicit-def: $vgpr26
                                        ; implicit-def: $vgpr25
                                        ; implicit-def: $vgpr7
                                        ; implicit-def: $vgpr6
                                        ; implicit-def: $vgpr5
                                        ; implicit-def: $vgpr21
                                        ; implicit-def: $vgpr20
                                        ; implicit-def: $vgpr18
                                        ; implicit-def: $vgpr17
                                        ; implicit-def: $vgpr16
                                        ; implicit-def: $vgpr15
                                        ; implicit-def: $vgpr14
                                        ; implicit-def: $vgpr13
	v_lshlrev_b32_e32 v9, 1, v0
	s_cbranch_execz .LBB613_59
.LBB613_56:
	v_add_co_u32 v1, s0, s28, v9
	v_add_co_ci_u32_e64 v2, null, s29, 0, s0
	s_mov_b32 s0, exec_lo
	s_clause 0x9
	flat_load_ushort v3, v[1:2]
	flat_load_ushort v4, v[1:2] offset:128
	flat_load_ushort v5, v[1:2] offset:256
	;; [unrolled: 1-line block ×9, first 2 shown]
	v_mov_b32_e32 v1, s28
	v_mov_b32_e32 v2, s29
	s_waitcnt vmcnt(9) lgkmcnt(9)
	ds_write_b16 v9, v3
	s_waitcnt vmcnt(8) lgkmcnt(9)
	ds_write_b16 v9, v4 offset:128
	s_waitcnt vmcnt(7) lgkmcnt(9)
	ds_write_b16 v9, v5 offset:256
	s_waitcnt vmcnt(6) lgkmcnt(9)
	ds_write_b16 v9, v6 offset:384
	s_waitcnt vmcnt(5) lgkmcnt(9)
	ds_write_b16 v9, v7 offset:512
	s_waitcnt vmcnt(4) lgkmcnt(9)
	ds_write_b16 v9, v8 offset:640
	s_waitcnt vmcnt(3) lgkmcnt(9)
	ds_write_b16 v9, v10 offset:768
	s_waitcnt vmcnt(2) lgkmcnt(9)
	ds_write_b16 v9, v11 offset:896
	s_waitcnt vmcnt(1) lgkmcnt(9)
	ds_write_b16 v9, v12 offset:1024
	s_waitcnt vmcnt(0) lgkmcnt(9)
	ds_write_b16 v9, v13 offset:1152
	s_waitcnt lgkmcnt(0)
	s_barrier
	buffer_gl0_inv
	flat_load_ushort v6, v[1:2] offset:1280
	v_mad_u32_u24 v5, v0, 18, v9
	ds_read2_b32 v[3:4], v5 offset1:1
	ds_read2_b32 v[1:2], v5 offset0:2 offset1:3
	ds_read_b32 v8, v5 offset:16
	v_mad_i32_i24 v7, 0xffffffee, v0, v5
	s_waitcnt lgkmcnt(2)
	ds_write_b16 v7, v3 offset:1408
	s_waitcnt vmcnt(0) lgkmcnt(0)
	s_barrier
	buffer_gl0_inv
	v_cmpx_ne_u32_e32 63, v0
; %bb.57:
	v_mul_i32_i24_e32 v6, 0xffffffee, v0
	v_add_nc_u32_e32 v6, v5, v6
	ds_read_u16 v6, v6 offset:1410
; %bb.58:
	s_or_b32 exec_lo, exec_lo, s0
	v_add_co_u32 v10, s0, s31, v9
	v_add_co_ci_u32_e64 v11, null, s33, 0, s0
	s_waitcnt lgkmcnt(0)
	s_barrier
	buffer_gl0_inv
	s_clause 0x9
	flat_load_ushort v7, v[10:11]
	flat_load_ushort v12, v[10:11] offset:128
	flat_load_ushort v13, v[10:11] offset:256
	;; [unrolled: 1-line block ×9, first 2 shown]
	v_cmp_eq_u16_sdwa vcc_lo, v3, v3 src0_sel:DWORD src1_sel:WORD_1
	v_cmp_eq_u16_sdwa s0, v4, v4 src0_sel:DWORD src1_sel:WORD_1
	v_cmp_eq_u16_sdwa s1, v1, v1 src0_sel:DWORD src1_sel:WORD_1
	v_cmp_eq_u16_sdwa s2, v2, v2 src0_sel:DWORD src1_sel:WORD_1
	v_cmp_eq_u16_sdwa s3, v8, v8 src0_sel:DWORD src1_sel:WORD_1
	v_cmp_eq_u16_sdwa s4, v3, v4 src0_sel:WORD_1 src1_sel:DWORD
	v_cmp_eq_u16_sdwa s5, v4, v1 src0_sel:WORD_1 src1_sel:DWORD
	;; [unrolled: 1-line block ×4, first 2 shown]
	s_waitcnt vmcnt(9) lgkmcnt(9)
	ds_write_b16 v9, v7
	s_waitcnt vmcnt(8) lgkmcnt(9)
	ds_write_b16 v9, v12 offset:128
	s_waitcnt vmcnt(7) lgkmcnt(9)
	ds_write_b16 v9, v13 offset:256
	;; [unrolled: 2-line block ×9, first 2 shown]
	s_waitcnt lgkmcnt(0)
	s_barrier
	buffer_gl0_inv
	ds_read2_b32 v[10:11], v5 offset1:1
	ds_read2_b32 v[12:13], v5 offset0:2 offset1:3
	ds_read_b32 v5, v5 offset:16
	v_cndmask_b32_e64 v14, 0x10000, 0, vcc_lo
	v_cndmask_b32_e64 v15, 0x10000, 0, s0
	v_cndmask_b32_e64 v16, 0x10000, 0, s1
	;; [unrolled: 1-line block ×4, first 2 shown]
	s_waitcnt lgkmcnt(2)
	v_lshrrev_b32_e32 v7, 16, v10
	v_lshrrev_b32_e32 v3, 16, v11
	s_waitcnt lgkmcnt(1)
	v_lshrrev_b32_e32 v4, 16, v12
	v_lshrrev_b32_e32 v1, 16, v13
	v_cndmask_b32_e32 v10, s30, v10, vcc_lo
	v_cndmask_b32_e64 v11, s30, v11, s0
	v_cndmask_b32_e64 v12, s30, v12, s1
	v_cndmask_b32_e64 v13, s30, v13, s2
	s_waitcnt lgkmcnt(0)
	v_lshrrev_b32_e32 v2, 16, v5
	v_cndmask_b32_e64 v5, s30, v5, s3
	v_or_b32_sdwa v19, v14, v10 dst_sel:DWORD dst_unused:UNUSED_PAD src0_sel:DWORD src1_sel:WORD_0
	v_cndmask_b32_e64 v10, s30, v7, s4
	v_cndmask_b32_e64 v14, 0x10000, 0, s4
	v_or_b32_sdwa v28, v15, v11 dst_sel:DWORD dst_unused:UNUSED_PAD src0_sel:DWORD src1_sel:WORD_0
	v_cndmask_b32_e64 v3, s30, v3, s5
	;; [unrolled: 3-line block ×4, first 2 shown]
	v_cndmask_b32_e64 v15, 0x10000, 0, s8
	v_or_b32_sdwa v5, v18, v5 dst_sel:DWORD dst_unused:UNUSED_PAD src0_sel:DWORD src1_sel:WORD_0
	v_cmp_ne_u16_sdwa s4, v8, v6 src0_sel:WORD_1 src1_sel:DWORD
	v_or_b32_sdwa v1, v14, v10 dst_sel:DWORD dst_unused:UNUSED_PAD src0_sel:DWORD src1_sel:WORD_0
	v_or_b32_sdwa v27, v11, v3 dst_sel:DWORD dst_unused:UNUSED_PAD src0_sel:DWORD src1_sel:WORD_0
	v_or_b32_sdwa v25, v12, v4 dst_sel:DWORD dst_unused:UNUSED_PAD src0_sel:DWORD src1_sel:WORD_0
	v_or_b32_sdwa v6, v15, v13 dst_sel:DWORD dst_unused:UNUSED_PAD src0_sel:DWORD src1_sel:WORD_0
	v_cndmask_b32_e64 v8, v2, s30, s4
	v_mov_b32_e32 v20, v28
	v_mov_b32_e32 v17, v26
	;; [unrolled: 1-line block ×8, first 2 shown]
	s_mov_b32 s1, -1
.LBB613_59:
	v_mov_b32_e32 v10, 0
	s_and_saveexec_b32 s0, s1
	s_cbranch_execz .LBB613_61
; %bb.60:
	v_cndmask_b32_e64 v2, 0, 0x10000, s4
	v_mov_b32_e32 v13, v5
	v_mov_b32_e32 v14, v6
	;; [unrolled: 1-line block ×4, first 2 shown]
	v_or_b32_sdwa v10, v2, v8 dst_sel:DWORD dst_unused:UNUSED_PAD src0_sel:DWORD src1_sel:WORD_0
	v_mov_b32_e32 v17, v26
	v_mov_b32_e32 v18, v27
	;; [unrolled: 1-line block ×4, first 2 shown]
.LBB613_61:
	s_or_b32 exec_lo, exec_lo, s0
	v_or3_b32 v1, v14, v13, v15
	v_cmp_gt_u32_e64 s8, 0x10000, v21
	v_cmp_gt_u32_e64 s7, 0x10000, v20
	;; [unrolled: 1-line block ×8, first 2 shown]
	v_or3_b32 v22, v1, v16, v17
	v_cmp_gt_u32_e64 s9, 0x10000, v10
	v_lshrrev_b32_e32 v11, 16, v19
	v_lshrrev_b32_e32 v12, 3, v0
	s_cmp_lg_u32 s6, 0
	v_cmp_gt_u32_e32 vcc_lo, 32, v0
	s_barrier
	buffer_gl0_inv
	s_cbranch_scc0 .LBB613_111
; %bb.62:
	v_cndmask_b32_e64 v1, 1, v19, s8
	v_or3_b32 v2, v22, v18, v20
	v_and_b32_e32 v3, 4, v12
	v_mul_lo_u16 v1, v1, v21
	v_or3_b32 v2, v2, v21, v10
	v_lshl_add_u32 v3, v0, 2, v3
	v_cndmask_b32_e64 v1, 1, v1, s7
	v_and_b32_e32 v2, 0xff0000, v2
	v_mul_lo_u16 v1, v1, v20
	v_cndmask_b32_e64 v1, 1, v1, s5
	v_mul_lo_u16 v1, v1, v18
	v_cndmask_b32_e64 v1, 1, v1, s4
	v_mul_lo_u16 v1, v1, v17
	v_cndmask_b32_e64 v1, 1, v1, s3
	v_mul_lo_u16 v1, v1, v16
	v_cndmask_b32_e64 v1, 1, v1, s2
	v_mul_lo_u16 v1, v1, v15
	v_cndmask_b32_e64 v1, 1, v1, s1
	v_mul_lo_u16 v1, v1, v14
	v_cndmask_b32_e64 v1, 1, v1, s0
	v_mul_lo_u16 v1, v1, v13
	v_cndmask_b32_e64 v1, 1, v1, s9
	v_cmp_eq_u32_e64 s9, 0, v2
	v_mul_lo_u16 v23, v1, v10
	v_cndmask_b32_e64 v24, 1, v11, s9
	ds_write_b8 v3, v24 offset:2
	ds_write_b16 v3, v23
	s_waitcnt lgkmcnt(0)
	s_barrier
	buffer_gl0_inv
	s_and_saveexec_b32 s10, vcc_lo
	s_cbranch_execz .LBB613_74
; %bb.63:
	v_lshrrev_b32_e32 v1, 2, v0
	v_lshlrev_b32_e32 v2, 3, v0
	s_mov_b32 s20, exec_lo
	v_and_b32_e32 v1, 12, v1
	v_add_nc_u32_e32 v1, v1, v2
	ds_read_u8 v3, v1 offset:6
	ds_read_b32 v2, v1
	ds_read_u16 v4, v1 offset:4
	s_waitcnt lgkmcnt(2)
	v_cmp_eq_u16_e64 s9, 0, v3
	v_and_b32_e32 v6, 1, v3
	s_waitcnt lgkmcnt(1)
	v_and_b32_e32 v3, 0x10000, v2
	v_cndmask_b32_e64 v5, 1, v2, s9
	v_cmp_eq_u32_e64 s9, 1, v6
	v_mbcnt_lo_u32_b32 v6, -1, 0
	s_waitcnt lgkmcnt(0)
	v_mul_lo_u16 v5, v5, v4
	v_and_b32_e32 v4, 0xff000000, v2
	v_cndmask_b32_e64 v7, v3, 0x10000, s9
	v_and_b32_e32 v8, 0xffff, v5
	v_or_b32_e32 v25, v7, v4
	v_or3_b32 v26, v4, v8, v7
	v_and_b32_e32 v7, 15, v6
	v_lshrrev_b32_e32 v8, 16, v25
	v_mov_b32_dpp v27, v26 row_shr:1 row_mask:0xf bank_mask:0xf
	v_cmpx_ne_u32_e32 0, v7
	s_cbranch_execz .LBB613_65
; %bb.64:
	v_mov_b32_e32 v8, 0xff
	v_mov_b32_e32 v26, 1
	v_and_b32_sdwa v8, v25, v8 dst_sel:DWORD dst_unused:UNUSED_PAD src0_sel:WORD_1 src1_sel:DWORD
	v_and_b32_e32 v25, 0x10000, v25
	v_and_b32_sdwa v26, v27, v26 dst_sel:DWORD dst_unused:UNUSED_PAD src0_sel:WORD_1 src1_sel:DWORD
	v_cmp_eq_u16_e64 s9, 0, v8
	v_cndmask_b32_e64 v27, 1, v27, s9
	v_cmp_ne_u32_e64 s9, 0, v25
	v_mul_lo_u16 v5, v27, v5
	v_cndmask_b32_e64 v8, v26, 1, s9
	v_and_b32_e32 v26, 0xffff, v5
	v_lshlrev_b32_e32 v25, 16, v8
	v_or3_b32 v26, v25, v26, v4
.LBB613_65:
	s_or_b32 exec_lo, exec_lo, s20
	v_lshrrev_b32_e32 v25, 16, v26
	v_mov_b32_dpp v27, v26 row_shr:2 row_mask:0xf bank_mask:0xf
	s_mov_b32 s20, exec_lo
	v_cmpx_lt_u32_e32 1, v7
	s_cbranch_execz .LBB613_67
; %bb.66:
	v_mov_b32_e32 v28, 0
	v_mov_b32_e32 v8, 1
	v_and_b32_e32 v26, 0x10000, v26
	v_cmp_eq_u16_sdwa s9, v25, v28 src0_sel:BYTE_0 src1_sel:DWORD
	v_and_b32_sdwa v8, v27, v8 dst_sel:DWORD dst_unused:UNUSED_PAD src0_sel:WORD_1 src1_sel:DWORD
	v_cndmask_b32_e64 v25, 1, v27, s9
	v_cmp_ne_u32_e64 s9, 0, v26
	v_mul_lo_u16 v5, v25, v5
	v_cndmask_b32_e64 v8, v8, 1, s9
	v_and_b32_e32 v26, 0xffff, v5
	v_lshlrev_b32_e32 v25, 16, v8
	v_or3_b32 v26, v25, v26, v4
	v_mov_b32_e32 v25, v8
.LBB613_67:
	s_or_b32 exec_lo, exec_lo, s20
	v_mov_b32_dpp v27, v26 row_shr:4 row_mask:0xf bank_mask:0xf
	s_mov_b32 s20, exec_lo
	v_cmpx_lt_u32_e32 3, v7
	s_cbranch_execz .LBB613_69
; %bb.68:
	v_mov_b32_e32 v26, 0
	v_mov_b32_e32 v8, 1
	v_and_b32_e32 v28, 1, v25
	v_cmp_eq_u16_sdwa s9, v25, v26 src0_sel:BYTE_0 src1_sel:DWORD
	v_and_b32_sdwa v8, v27, v8 dst_sel:DWORD dst_unused:UNUSED_PAD src0_sel:WORD_1 src1_sel:DWORD
	v_cndmask_b32_e64 v25, 1, v27, s9
	v_cmp_eq_u32_e64 s9, 1, v28
	v_mul_lo_u16 v5, v25, v5
	v_cndmask_b32_e64 v8, v8, 1, s9
	v_and_b32_e32 v26, 0xffff, v5
	v_lshlrev_b32_e32 v25, 16, v8
	v_or3_b32 v26, v25, v26, v4
	v_mov_b32_e32 v25, v8
.LBB613_69:
	s_or_b32 exec_lo, exec_lo, s20
	v_mov_b32_dpp v27, v26 row_shr:8 row_mask:0xf bank_mask:0xf
	s_mov_b32 s20, exec_lo
	v_cmpx_lt_u32_e32 7, v7
	s_cbranch_execz .LBB613_71
; %bb.70:
	v_mov_b32_e32 v8, 0
	v_mov_b32_e32 v7, 1
	v_and_b32_e32 v26, 1, v25
	v_cmp_eq_u16_sdwa s9, v25, v8 src0_sel:BYTE_0 src1_sel:DWORD
	v_and_b32_sdwa v7, v27, v7 dst_sel:DWORD dst_unused:UNUSED_PAD src0_sel:WORD_1 src1_sel:DWORD
	v_cndmask_b32_e64 v25, 1, v27, s9
	v_cmp_eq_u32_e64 s9, 1, v26
	v_mul_lo_u16 v5, v25, v5
	v_cndmask_b32_e64 v8, v7, 1, s9
	v_and_b32_e32 v25, 0xffff, v5
	v_lshlrev_b32_e32 v7, 16, v8
	v_or3_b32 v26, v7, v25, v4
	v_mov_b32_e32 v25, v8
.LBB613_71:
	s_or_b32 exec_lo, exec_lo, s20
	ds_swizzle_b32 v7, v26 offset:swizzle(BROADCAST,32,15)
	v_and_b32_e32 v26, 16, v6
	s_mov_b32 s20, exec_lo
	v_cmpx_ne_u32_e32 0, v26
	s_cbranch_execz .LBB613_73
; %bb.72:
	v_mov_b32_e32 v8, 0
	v_mov_b32_e32 v26, 1
	v_cmp_eq_u16_sdwa s9, v25, v8 src0_sel:BYTE_0 src1_sel:DWORD
	v_and_b32_e32 v25, 1, v25
	s_waitcnt lgkmcnt(0)
	v_cndmask_b32_e64 v8, 1, v7, s9
	v_and_b32_sdwa v7, v7, v26 dst_sel:DWORD dst_unused:UNUSED_PAD src0_sel:WORD_1 src1_sel:DWORD
	v_cmp_eq_u32_e64 s9, 1, v25
	v_mul_lo_u16 v5, v8, v5
	v_cndmask_b32_e64 v8, v7, 1, s9
.LBB613_73:
	s_or_b32 exec_lo, exec_lo, s20
	s_waitcnt lgkmcnt(0)
	v_and_b32_e32 v7, 0xff, v8
	v_add_nc_u32_e32 v8, -1, v6
	v_and_b32_e32 v5, 0xffff, v5
	; wave barrier
	v_lshlrev_b32_e32 v7, 16, v7
	v_cmp_gt_i32_e64 s9, 0, v8
	v_or3_b32 v4, v7, v5, v4
	v_cndmask_b32_e64 v6, v8, v6, s9
	v_lshlrev_b32_e32 v5, 2, v6
	v_mov_b32_e32 v6, 1
	ds_bpermute_b32 v4, v5, v4
	v_and_b32_e32 v5, 0xff0000, v2
	v_cmp_eq_u32_e64 s9, 0, v5
	s_waitcnt lgkmcnt(0)
	v_cndmask_b32_e64 v5, 1, v4, s9
	v_and_b32_sdwa v4, v4, v6 dst_sel:DWORD dst_unused:UNUSED_PAD src0_sel:WORD_1 src1_sel:DWORD
	v_cmp_eq_u32_e64 s9, 0, v3
	v_mul_lo_u16 v2, v5, v2
	v_cndmask_b32_e64 v3, 1, v4, s9
	v_cmp_eq_u32_e64 s9, 0, v0
	v_cndmask_b32_e64 v2, v2, v23, s9
	v_cndmask_b32_e64 v3, v3, v24, s9
	ds_write_b16 v1, v2
	ds_write_b8 v1, v3 offset:2
	; wave barrier
	ds_read_u8 v4, v1 offset:6
	ds_read_u16 v5, v1 offset:4
	s_waitcnt lgkmcnt(1)
	v_cmp_eq_u16_e64 s9, 0, v4
	v_and_b32_e32 v4, 1, v4
	v_cndmask_b32_e64 v2, 1, v2, s9
	v_cmp_eq_u32_e64 s9, 1, v4
	s_waitcnt lgkmcnt(0)
	v_mul_lo_u16 v2, v2, v5
	v_cndmask_b32_e64 v3, v3, 1, s9
	ds_write_b16 v1, v2 offset:4
	ds_write_b8 v1, v3 offset:6
.LBB613_74:
	s_or_b32 exec_lo, exec_lo, s10
	v_cmp_eq_u32_e64 s9, 0, v0
	s_mov_b32 s20, exec_lo
	s_waitcnt lgkmcnt(0)
	s_barrier
	buffer_gl0_inv
	v_cmpx_ne_u32_e32 0, v0
	s_cbranch_execz .LBB613_76
; %bb.75:
	v_add_nc_u32_e32 v1, -1, v0
	v_lshrrev_b32_e32 v2, 3, v1
	v_and_b32_e32 v2, 0x1ffffffc, v2
	v_lshl_add_u32 v1, v1, 2, v2
	ds_read_u16 v23, v1
	ds_read_u8 v24, v1 offset:2
.LBB613_76:
	s_or_b32 exec_lo, exec_lo, s20
	s_and_saveexec_b32 s28, vcc_lo
	s_cbranch_execz .LBB613_116
; %bb.77:
	v_mov_b32_e32 v6, 0
	v_mbcnt_lo_u32_b32 v25, -1, 0
	s_mov_b32 s21, 0
	ds_read_b32 v1, v6 offset:256
	v_cmp_eq_u32_e64 s10, 0, v25
	s_and_saveexec_b32 s29, s10
	s_cbranch_execz .LBB613_79
; %bb.78:
	s_add_i32 s20, s6, 32
	v_mov_b32_e32 v2, 1
	s_lshl_b64 s[20:21], s[20:21], 3
	s_add_u32 s20, s16, s20
	s_addc_u32 s21, s17, s21
	s_waitcnt lgkmcnt(0)
	global_store_dwordx2 v6, v[1:2], s[20:21]
.LBB613_79:
	s_or_b32 exec_lo, exec_lo, s29
	v_xad_u32 v2, v25, -1, s6
	v_add_nc_u32_e32 v5, 32, v2
	v_lshlrev_b64 v[3:4], 3, v[5:6]
	v_add_co_u32 v7, vcc_lo, s16, v3
	v_add_co_ci_u32_e64 v8, null, s17, v4, vcc_lo
	global_load_dwordx2 v[4:5], v[7:8], off glc dlc
	s_waitcnt vmcnt(0)
	v_cmp_eq_u16_sdwa s21, v5, v6 src0_sel:BYTE_0 src1_sel:DWORD
	s_and_saveexec_b32 s20, s21
	s_cbranch_execz .LBB613_83
; %bb.80:
	v_mov_b32_e32 v3, 0
	s_mov_b32 s21, 0
.LBB613_81:                             ; =>This Inner Loop Header: Depth=1
	global_load_dwordx2 v[4:5], v[7:8], off glc dlc
	s_waitcnt vmcnt(0)
	v_cmp_ne_u16_sdwa s29, v5, v3 src0_sel:BYTE_0 src1_sel:DWORD
	s_or_b32 s21, s29, s21
	s_andn2_b32 exec_lo, exec_lo, s21
	s_cbranch_execnz .LBB613_81
; %bb.82:
	s_or_b32 exec_lo, exec_lo, s21
.LBB613_83:
	s_or_b32 exec_lo, exec_lo, s20
	v_cmp_ne_u32_e32 vcc_lo, 31, v25
	v_and_b32_e32 v33, 0xffffff, v4
	v_mov_b32_e32 v6, 2
	v_lshlrev_b32_e64 v26, v25, -1
	v_bfe_u32 v7, v4, 16, 8
	v_add_co_ci_u32_e64 v3, null, 0, v25, vcc_lo
	v_cmp_eq_u16_sdwa s20, v5, v6 src0_sel:BYTE_0 src1_sel:DWORD
	v_lshrrev_b32_e32 v6, 16, v4
	v_lshlrev_b32_e32 v8, 2, v3
	v_and_or_b32 v3, s20, v26, 0x80000000
	s_mov_b32 s20, exec_lo
	ds_bpermute_b32 v27, v8, v33
	v_ffbl_b32_e32 v3, v3
	v_cmpx_lt_u32_e64 v25, v3
	s_cbranch_execz .LBB613_85
; %bb.84:
	v_and_b32_e32 v6, 0xff0000, v4
	v_mov_b32_e32 v7, 1
	v_and_b32_e32 v28, 0x10000, v6
	v_cmp_eq_u32_e32 vcc_lo, 0, v6
	s_waitcnt lgkmcnt(0)
	v_and_b32_sdwa v7, v27, v7 dst_sel:DWORD dst_unused:UNUSED_PAD src0_sel:WORD_1 src1_sel:DWORD
	v_cndmask_b32_e32 v27, 1, v27, vcc_lo
	v_cmp_ne_u32_e32 vcc_lo, 0, v28
	v_mul_lo_u16 v4, v27, v4
	v_cndmask_b32_e64 v6, v7, 1, vcc_lo
	v_lshlrev_b32_e32 v7, 16, v6
	v_or_b32_sdwa v33, v7, v4 dst_sel:DWORD dst_unused:UNUSED_PAD src0_sel:DWORD src1_sel:WORD_0
	v_mov_b32_e32 v7, v6
.LBB613_85:
	s_or_b32 exec_lo, exec_lo, s20
	v_cmp_gt_u32_e32 vcc_lo, 30, v25
	v_add_nc_u32_e32 v28, 2, v25
	s_mov_b32 s20, exec_lo
	s_waitcnt lgkmcnt(0)
	v_cndmask_b32_e64 v27, 0, 2, vcc_lo
	v_add_lshl_u32 v27, v27, v25, 2
	ds_bpermute_b32 v29, v27, v33
	v_cmpx_le_u32_e64 v28, v3
	s_cbranch_execz .LBB613_87
; %bb.86:
	v_mov_b32_e32 v6, 1
	v_and_b32_e32 v30, 1, v7
	v_cmp_eq_u16_e32 vcc_lo, 0, v7
	s_waitcnt lgkmcnt(0)
	v_and_b32_sdwa v6, v29, v6 dst_sel:DWORD dst_unused:UNUSED_PAD src0_sel:WORD_1 src1_sel:DWORD
	v_cndmask_b32_e32 v7, 1, v29, vcc_lo
	v_cmp_eq_u32_e32 vcc_lo, 1, v30
	v_mul_lo_u16 v4, v7, v4
	v_cndmask_b32_e64 v6, v6, 1, vcc_lo
	v_lshlrev_b32_e32 v7, 16, v6
	v_or_b32_sdwa v33, v7, v4 dst_sel:DWORD dst_unused:UNUSED_PAD src0_sel:DWORD src1_sel:WORD_0
	v_mov_b32_e32 v7, v6
.LBB613_87:
	s_or_b32 exec_lo, exec_lo, s20
	v_cmp_gt_u32_e32 vcc_lo, 28, v25
	v_add_nc_u32_e32 v30, 4, v25
	s_mov_b32 s20, exec_lo
	s_waitcnt lgkmcnt(0)
	v_cndmask_b32_e64 v29, 0, 4, vcc_lo
	v_add_lshl_u32 v29, v29, v25, 2
	ds_bpermute_b32 v31, v29, v33
	v_cmpx_le_u32_e64 v30, v3
	s_cbranch_execz .LBB613_89
; %bb.88:
	v_mov_b32_e32 v6, 1
	v_and_b32_e32 v32, 1, v7
	v_cmp_eq_u16_e32 vcc_lo, 0, v7
	s_waitcnt lgkmcnt(0)
	v_and_b32_sdwa v6, v31, v6 dst_sel:DWORD dst_unused:UNUSED_PAD src0_sel:WORD_1 src1_sel:DWORD
	v_cndmask_b32_e32 v7, 1, v31, vcc_lo
	v_cmp_eq_u32_e32 vcc_lo, 1, v32
	v_mul_lo_u16 v4, v7, v4
	v_cndmask_b32_e64 v6, v6, 1, vcc_lo
	v_lshlrev_b32_e32 v7, 16, v6
	v_or_b32_sdwa v33, v7, v4 dst_sel:DWORD dst_unused:UNUSED_PAD src0_sel:DWORD src1_sel:WORD_0
	v_mov_b32_e32 v7, v6
.LBB613_89:
	;; [unrolled: 24-line block ×3, first 2 shown]
	s_or_b32 exec_lo, exec_lo, s20
	v_lshl_or_b32 v35, v25, 2, 64
	v_add_nc_u32_e32 v36, 16, v25
	s_mov_b32 s20, exec_lo
	ds_bpermute_b32 v33, v35, v33
	v_cmpx_le_u32_e64 v36, v3
	s_cbranch_execz .LBB613_93
; %bb.92:
	v_mov_b32_e32 v3, 1
	v_cmp_eq_u16_e32 vcc_lo, 0, v7
	v_and_b32_e32 v7, 1, v7
	s_waitcnt lgkmcnt(0)
	v_and_b32_sdwa v3, v33, v3 dst_sel:DWORD dst_unused:UNUSED_PAD src0_sel:WORD_1 src1_sel:DWORD
	v_cndmask_b32_e32 v6, 1, v33, vcc_lo
	v_cmp_eq_u32_e32 vcc_lo, 1, v7
	v_mul_lo_u16 v4, v6, v4
	v_cndmask_b32_e64 v6, v3, 1, vcc_lo
.LBB613_93:
	s_or_b32 exec_lo, exec_lo, s20
	v_mov_b32_e32 v3, 0
	v_mov_b32_e32 v37, 2
	;; [unrolled: 1-line block ×3, first 2 shown]
	s_branch .LBB613_96
.LBB613_94:                             ;   in Loop: Header=BB613_96 Depth=1
	s_or_b32 exec_lo, exec_lo, s20
	v_cmp_eq_u16_sdwa vcc_lo, v33, v3 src0_sel:BYTE_0 src1_sel:DWORD
	v_and_b32_e32 v6, 1, v33
	v_and_b32_e32 v7, 1, v7
	v_subrev_nc_u32_e32 v2, 32, v2
	s_mov_b32 s20, 0
	v_cndmask_b32_e32 v4, 1, v4, vcc_lo
	v_cmp_eq_u32_e32 vcc_lo, 1, v6
	v_mul_lo_u16 v4, v4, v34
	v_cndmask_b32_e64 v6, v7, 1, vcc_lo
.LBB613_95:                             ;   in Loop: Header=BB613_96 Depth=1
	s_and_b32 vcc_lo, exec_lo, s20
	s_cbranch_vccnz .LBB613_112
.LBB613_96:                             ; =>This Loop Header: Depth=1
                                        ;     Child Loop BB613_99 Depth 2
	v_cmp_ne_u16_sdwa s20, v5, v37 src0_sel:BYTE_0 src1_sel:DWORD
	s_waitcnt lgkmcnt(0)
	v_mov_b32_e32 v33, v6
	v_mov_b32_e32 v34, v4
                                        ; implicit-def: $vgpr6
                                        ; implicit-def: $vgpr4
	s_cmp_lg_u32 s20, exec_lo
	s_mov_b32 s20, -1
	s_cbranch_scc1 .LBB613_95
; %bb.97:                               ;   in Loop: Header=BB613_96 Depth=1
	v_lshlrev_b64 v[4:5], 3, v[2:3]
	v_add_co_u32 v6, vcc_lo, s16, v4
	v_add_co_ci_u32_e64 v7, null, s17, v5, vcc_lo
	global_load_dwordx2 v[4:5], v[6:7], off glc dlc
	s_waitcnt vmcnt(0)
	v_cmp_eq_u16_sdwa s21, v5, v3 src0_sel:BYTE_0 src1_sel:DWORD
	s_and_saveexec_b32 s20, s21
	s_cbranch_execz .LBB613_101
; %bb.98:                               ;   in Loop: Header=BB613_96 Depth=1
	s_mov_b32 s21, 0
.LBB613_99:                             ;   Parent Loop BB613_96 Depth=1
                                        ; =>  This Inner Loop Header: Depth=2
	global_load_dwordx2 v[4:5], v[6:7], off glc dlc
	s_waitcnt vmcnt(0)
	v_cmp_ne_u16_sdwa s29, v5, v3 src0_sel:BYTE_0 src1_sel:DWORD
	s_or_b32 s21, s29, s21
	s_andn2_b32 exec_lo, exec_lo, s21
	s_cbranch_execnz .LBB613_99
; %bb.100:                              ;   in Loop: Header=BB613_96 Depth=1
	s_or_b32 exec_lo, exec_lo, s21
.LBB613_101:                            ;   in Loop: Header=BB613_96 Depth=1
	s_or_b32 exec_lo, exec_lo, s20
	v_and_b32_e32 v40, 0xffffff, v4
	v_cmp_eq_u16_sdwa s20, v5, v37 src0_sel:BYTE_0 src1_sel:DWORD
	v_lshrrev_b32_e32 v7, 16, v4
	v_bfe_u32 v39, v4, 16, 8
	ds_bpermute_b32 v41, v8, v40
	v_and_or_b32 v6, s20, v26, 0x80000000
	s_mov_b32 s20, exec_lo
	v_ffbl_b32_e32 v6, v6
	v_cmpx_lt_u32_e64 v25, v6
	s_cbranch_execz .LBB613_103
; %bb.102:                              ;   in Loop: Header=BB613_96 Depth=1
	v_and_b32_e32 v7, 0xff0000, v4
	s_waitcnt lgkmcnt(0)
	v_and_b32_sdwa v40, v41, v38 dst_sel:DWORD dst_unused:UNUSED_PAD src0_sel:WORD_1 src1_sel:DWORD
	v_and_b32_e32 v39, 0x10000, v7
	v_cmp_eq_u32_e32 vcc_lo, 0, v7
	v_cndmask_b32_e32 v41, 1, v41, vcc_lo
	v_cmp_ne_u32_e32 vcc_lo, 0, v39
	v_mul_lo_u16 v4, v41, v4
	v_cndmask_b32_e64 v7, v40, 1, vcc_lo
	v_lshlrev_b32_e32 v39, 16, v7
	v_or_b32_sdwa v40, v39, v4 dst_sel:DWORD dst_unused:UNUSED_PAD src0_sel:DWORD src1_sel:WORD_0
	v_mov_b32_e32 v39, v7
.LBB613_103:                            ;   in Loop: Header=BB613_96 Depth=1
	s_or_b32 exec_lo, exec_lo, s20
	s_waitcnt lgkmcnt(0)
	ds_bpermute_b32 v41, v27, v40
	s_mov_b32 s20, exec_lo
	v_cmpx_le_u32_e64 v28, v6
	s_cbranch_execz .LBB613_105
; %bb.104:                              ;   in Loop: Header=BB613_96 Depth=1
	v_and_b32_e32 v7, 1, v39
	v_cmp_eq_u16_e32 vcc_lo, 0, v39
	s_waitcnt lgkmcnt(0)
	v_and_b32_sdwa v40, v41, v38 dst_sel:DWORD dst_unused:UNUSED_PAD src0_sel:WORD_1 src1_sel:DWORD
	v_cndmask_b32_e32 v39, 1, v41, vcc_lo
	v_cmp_eq_u32_e32 vcc_lo, 1, v7
	v_mul_lo_u16 v4, v39, v4
	v_cndmask_b32_e64 v7, v40, 1, vcc_lo
	v_lshlrev_b32_e32 v39, 16, v7
	v_or_b32_sdwa v40, v39, v4 dst_sel:DWORD dst_unused:UNUSED_PAD src0_sel:DWORD src1_sel:WORD_0
	v_mov_b32_e32 v39, v7
.LBB613_105:                            ;   in Loop: Header=BB613_96 Depth=1
	s_or_b32 exec_lo, exec_lo, s20
	s_waitcnt lgkmcnt(0)
	ds_bpermute_b32 v41, v29, v40
	s_mov_b32 s20, exec_lo
	v_cmpx_le_u32_e64 v30, v6
	s_cbranch_execz .LBB613_107
; %bb.106:                              ;   in Loop: Header=BB613_96 Depth=1
	v_and_b32_e32 v7, 1, v39
	v_cmp_eq_u16_e32 vcc_lo, 0, v39
	s_waitcnt lgkmcnt(0)
	v_and_b32_sdwa v40, v41, v38 dst_sel:DWORD dst_unused:UNUSED_PAD src0_sel:WORD_1 src1_sel:DWORD
	v_cndmask_b32_e32 v39, 1, v41, vcc_lo
	v_cmp_eq_u32_e32 vcc_lo, 1, v7
	v_mul_lo_u16 v4, v39, v4
	v_cndmask_b32_e64 v7, v40, 1, vcc_lo
	v_lshlrev_b32_e32 v39, 16, v7
	v_or_b32_sdwa v40, v39, v4 dst_sel:DWORD dst_unused:UNUSED_PAD src0_sel:DWORD src1_sel:WORD_0
	v_mov_b32_e32 v39, v7
.LBB613_107:                            ;   in Loop: Header=BB613_96 Depth=1
	;; [unrolled: 19-line block ×3, first 2 shown]
	s_or_b32 exec_lo, exec_lo, s20
	ds_bpermute_b32 v40, v35, v40
	s_mov_b32 s20, exec_lo
	v_cmpx_le_u32_e64 v36, v6
	s_cbranch_execz .LBB613_94
; %bb.110:                              ;   in Loop: Header=BB613_96 Depth=1
	v_cmp_eq_u16_e32 vcc_lo, 0, v39
	v_and_b32_e32 v7, 1, v39
	s_waitcnt lgkmcnt(0)
	v_lshrrev_b32_e32 v39, 16, v40
	v_cndmask_b32_e32 v6, 1, v40, vcc_lo
	v_cmp_eq_u32_e32 vcc_lo, 1, v7
	v_mul_lo_u16 v4, v6, v4
	v_cndmask_b32_e64 v7, v39, 1, vcc_lo
	s_branch .LBB613_94
.LBB613_111:
                                        ; implicit-def: $vgpr3
                                        ; implicit-def: $vgpr4
                                        ; implicit-def: $vgpr5
                                        ; implicit-def: $vgpr6
                                        ; implicit-def: $vgpr7
                                        ; implicit-def: $vgpr8
                                        ; implicit-def: $vgpr23
                                        ; implicit-def: $vgpr25
                                        ; implicit-def: $vgpr24
                                        ; implicit-def: $vgpr26
	s_cbranch_execnz .LBB613_117
	s_branch .LBB613_136
.LBB613_112:
	s_and_saveexec_b32 s20, s10
	s_cbranch_execz .LBB613_114
; %bb.113:
	v_and_b32_e32 v2, 0xff0000, v1
	v_mov_b32_e32 v3, 1
	v_and_b32_e32 v4, 0x10000, v1
	s_mov_b32 s35, 0
	s_add_i32 s34, s6, 32
	v_cmp_eq_u32_e32 vcc_lo, 0, v2
	v_and_b32_sdwa v3, v33, v3 dst_sel:WORD_1 dst_unused:UNUSED_PAD src0_sel:DWORD src1_sel:DWORD
	s_lshl_b64 s[34:35], s[34:35], 3
	s_add_u32 s34, s16, s34
	v_cndmask_b32_e32 v2, 1, v34, vcc_lo
	v_cmp_eq_u32_e32 vcc_lo, 0, v4
	s_addc_u32 s35, s17, s35
	v_mul_lo_u16 v1, v2, v1
	v_cndmask_b32_e32 v2, 0x10000, v3, vcc_lo
	v_mov_b32_e32 v3, 0
	v_or_b32_sdwa v1, v2, v1 dst_sel:DWORD dst_unused:UNUSED_PAD src0_sel:DWORD src1_sel:WORD_0
	v_mov_b32_e32 v2, 2
	global_store_dwordx2 v3, v[1:2], s[34:35]
.LBB613_114:
	s_or_b32 exec_lo, exec_lo, s20
	s_and_b32 exec_lo, exec_lo, s9
	s_cbranch_execz .LBB613_116
; %bb.115:
	v_mov_b32_e32 v1, 0
	ds_write_b16 v1, v34
	ds_write_b8 v1, v33 offset:2
.LBB613_116:
	s_or_b32 exec_lo, exec_lo, s28
	v_mov_b32_e32 v1, 0
	s_waitcnt lgkmcnt(0)
	s_waitcnt_vscnt null, 0x0
	s_barrier
	buffer_gl0_inv
	v_and_b32_e32 v4, 0xff0000, v19
	ds_read_b32 v2, v1
	v_cmp_eq_u16_sdwa vcc_lo, v24, v1 src0_sel:BYTE_0 src1_sel:DWORD
	s_waitcnt lgkmcnt(0)
	v_cndmask_b32_e32 v1, 1, v2, vcc_lo
	v_cmp_eq_u32_e32 vcc_lo, 0, v4
	v_mul_lo_u16 v1, v1, v23
	v_cndmask_b32_e64 v3, v1, v2, s9
	v_cndmask_b32_e32 v1, 1, v3, vcc_lo
	v_mul_lo_u16 v4, v1, v19
	v_cndmask_b32_e64 v1, 1, v4, s8
	v_mul_lo_u16 v5, v1, v21
	v_cndmask_b32_e64 v1, 1, v5, s7
	v_mul_lo_u16 v6, v1, v20
	v_cndmask_b32_e64 v1, 1, v6, s5
	v_mul_lo_u16 v7, v1, v18
	v_cndmask_b32_e64 v1, 1, v7, s4
	v_mul_lo_u16 v8, v1, v17
	v_cndmask_b32_e64 v1, 1, v8, s3
	v_mul_lo_u16 v23, v1, v16
	v_cndmask_b32_e64 v1, 1, v23, s2
	v_mul_lo_u16 v25, v1, v15
	v_cndmask_b32_e64 v1, 1, v25, s1
	v_mul_lo_u16 v24, v1, v14
	v_cndmask_b32_e64 v1, 1, v24, s0
	v_mul_lo_u16 v26, v1, v13
	s_branch .LBB613_136
.LBB613_117:
	s_cmp_eq_u64 s[26:27], 0
	v_mov_b32_e32 v1, s30
	s_cselect_b32 s0, -1, 0
	s_cmp_eq_u64 s[22:23], 0
	s_cselect_b32 s1, -1, 0
	s_or_b32 s0, s0, s1
	s_and_b32 vcc_lo, exec_lo, s0
	s_cbranch_vccnz .LBB613_119
; %bb.118:
	v_mov_b32_e32 v1, 0
	global_load_ushort v1, v1, s[22:23]
.LBB613_119:
	v_cmp_gt_u32_e32 vcc_lo, 0x10000, v21
	v_cmp_gt_u32_e64 s0, 0x10000, v20
	v_cmp_gt_u32_e64 s1, 0x10000, v18
	;; [unrolled: 1-line block ×4, first 2 shown]
	v_cndmask_b32_e32 v2, 1, v19, vcc_lo
	v_cmp_gt_u32_e64 s4, 0x10000, v15
	v_cmp_gt_u32_e64 s5, 0x10000, v14
	v_or3_b32 v3, v22, v18, v20
	v_cmp_gt_u32_e64 s6, 0x10000, v13
	v_mul_lo_u16 v2, v2, v21
	v_cmp_gt_u32_e64 s7, 0x10000, v10
	v_and_b32_e32 v4, 4, v12
	v_or3_b32 v3, v3, v21, v10
	s_mov_b32 s8, exec_lo
	v_cndmask_b32_e64 v2, 1, v2, s0
	v_lshl_add_u32 v4, v0, 2, v4
	v_and_b32_e32 v3, 0xff0000, v3
	v_mul_lo_u16 v2, v2, v20
	v_cndmask_b32_e64 v2, 1, v2, s1
	v_mul_lo_u16 v2, v2, v18
	v_cndmask_b32_e64 v2, 1, v2, s2
	;; [unrolled: 2-line block ×7, first 2 shown]
	v_cmp_eq_u32_e64 s7, 0, v3
	v_mul_lo_u16 v3, v5, v10
	v_cndmask_b32_e64 v2, 1, v11, s7
	ds_write_b8 v4, v2 offset:2
	ds_write_b16 v4, v3
	s_waitcnt vmcnt(0) lgkmcnt(0)
	s_barrier
	buffer_gl0_inv
	v_cmpx_gt_u32_e32 32, v0
	s_cbranch_execz .LBB613_131
; %bb.120:
	v_lshrrev_b32_e32 v4, 2, v0
	v_lshlrev_b32_e32 v5, 3, v0
	s_mov_b32 s9, exec_lo
	v_and_b32_e32 v4, 12, v4
	v_add_nc_u32_e32 v4, v4, v5
	ds_read_u8 v6, v4 offset:6
	ds_read_b32 v5, v4
	ds_read_u16 v7, v4 offset:4
	s_waitcnt lgkmcnt(2)
	v_cmp_eq_u16_e64 s7, 0, v6
	v_and_b32_e32 v10, 1, v6
	s_waitcnt lgkmcnt(1)
	v_and_b32_e32 v6, 0x10000, v5
	v_cndmask_b32_e64 v8, 1, v5, s7
	v_cmp_eq_u32_e64 s7, 1, v10
	v_mbcnt_lo_u32_b32 v10, -1, 0
	s_waitcnt lgkmcnt(0)
	v_mul_lo_u16 v8, v8, v7
	v_and_b32_e32 v7, 0xff000000, v5
	v_cndmask_b32_e64 v11, v6, 0x10000, s7
	v_and_b32_e32 v12, 0xffff, v8
	v_or_b32_e32 v22, v11, v7
	v_or3_b32 v23, v7, v12, v11
	v_and_b32_e32 v11, 15, v10
	v_lshrrev_b32_e32 v12, 16, v22
	v_mov_b32_dpp v24, v23 row_shr:1 row_mask:0xf bank_mask:0xf
	v_cmpx_ne_u32_e32 0, v11
	s_cbranch_execz .LBB613_122
; %bb.121:
	v_mov_b32_e32 v12, 0xff
	v_mov_b32_e32 v23, 1
	v_and_b32_sdwa v12, v22, v12 dst_sel:DWORD dst_unused:UNUSED_PAD src0_sel:WORD_1 src1_sel:DWORD
	v_and_b32_e32 v22, 0x10000, v22
	v_and_b32_sdwa v23, v24, v23 dst_sel:DWORD dst_unused:UNUSED_PAD src0_sel:WORD_1 src1_sel:DWORD
	v_cmp_eq_u16_e64 s7, 0, v12
	v_cndmask_b32_e64 v24, 1, v24, s7
	v_cmp_ne_u32_e64 s7, 0, v22
	v_mul_lo_u16 v8, v24, v8
	v_cndmask_b32_e64 v12, v23, 1, s7
	v_and_b32_e32 v23, 0xffff, v8
	v_lshlrev_b32_e32 v22, 16, v12
	v_or3_b32 v23, v22, v23, v7
.LBB613_122:
	s_or_b32 exec_lo, exec_lo, s9
	v_lshrrev_b32_e32 v22, 16, v23
	v_mov_b32_dpp v24, v23 row_shr:2 row_mask:0xf bank_mask:0xf
	s_mov_b32 s9, exec_lo
	v_cmpx_lt_u32_e32 1, v11
	s_cbranch_execz .LBB613_124
; %bb.123:
	v_mov_b32_e32 v25, 0
	v_mov_b32_e32 v12, 1
	v_and_b32_e32 v23, 0x10000, v23
	v_cmp_eq_u16_sdwa s7, v22, v25 src0_sel:BYTE_0 src1_sel:DWORD
	v_and_b32_sdwa v12, v24, v12 dst_sel:DWORD dst_unused:UNUSED_PAD src0_sel:WORD_1 src1_sel:DWORD
	v_cndmask_b32_e64 v22, 1, v24, s7
	v_cmp_ne_u32_e64 s7, 0, v23
	v_mul_lo_u16 v8, v22, v8
	v_cndmask_b32_e64 v12, v12, 1, s7
	v_and_b32_e32 v23, 0xffff, v8
	v_lshlrev_b32_e32 v22, 16, v12
	v_or3_b32 v23, v22, v23, v7
	v_mov_b32_e32 v22, v12
.LBB613_124:
	s_or_b32 exec_lo, exec_lo, s9
	v_mov_b32_dpp v24, v23 row_shr:4 row_mask:0xf bank_mask:0xf
	s_mov_b32 s9, exec_lo
	v_cmpx_lt_u32_e32 3, v11
	s_cbranch_execz .LBB613_126
; %bb.125:
	v_mov_b32_e32 v23, 0
	v_mov_b32_e32 v12, 1
	v_and_b32_e32 v25, 1, v22
	v_cmp_eq_u16_sdwa s7, v22, v23 src0_sel:BYTE_0 src1_sel:DWORD
	v_and_b32_sdwa v12, v24, v12 dst_sel:DWORD dst_unused:UNUSED_PAD src0_sel:WORD_1 src1_sel:DWORD
	v_cndmask_b32_e64 v22, 1, v24, s7
	v_cmp_eq_u32_e64 s7, 1, v25
	v_mul_lo_u16 v8, v22, v8
	v_cndmask_b32_e64 v12, v12, 1, s7
	v_and_b32_e32 v23, 0xffff, v8
	v_lshlrev_b32_e32 v22, 16, v12
	v_or3_b32 v23, v22, v23, v7
	v_mov_b32_e32 v22, v12
.LBB613_126:
	s_or_b32 exec_lo, exec_lo, s9
	v_mov_b32_dpp v24, v23 row_shr:8 row_mask:0xf bank_mask:0xf
	s_mov_b32 s9, exec_lo
	v_cmpx_lt_u32_e32 7, v11
	s_cbranch_execz .LBB613_128
; %bb.127:
	v_mov_b32_e32 v12, 0
	v_mov_b32_e32 v11, 1
	v_and_b32_e32 v23, 1, v22
	v_cmp_eq_u16_sdwa s7, v22, v12 src0_sel:BYTE_0 src1_sel:DWORD
	v_and_b32_sdwa v11, v24, v11 dst_sel:DWORD dst_unused:UNUSED_PAD src0_sel:WORD_1 src1_sel:DWORD
	v_cndmask_b32_e64 v22, 1, v24, s7
	v_cmp_eq_u32_e64 s7, 1, v23
	v_mul_lo_u16 v8, v22, v8
	v_cndmask_b32_e64 v12, v11, 1, s7
	v_and_b32_e32 v22, 0xffff, v8
	v_lshlrev_b32_e32 v11, 16, v12
	v_or3_b32 v23, v11, v22, v7
	v_mov_b32_e32 v22, v12
.LBB613_128:
	s_or_b32 exec_lo, exec_lo, s9
	ds_swizzle_b32 v11, v23 offset:swizzle(BROADCAST,32,15)
	v_and_b32_e32 v23, 16, v10
	s_mov_b32 s9, exec_lo
	v_cmpx_ne_u32_e32 0, v23
	s_cbranch_execz .LBB613_130
; %bb.129:
	v_mov_b32_e32 v12, 0
	v_mov_b32_e32 v23, 1
	v_cmp_eq_u16_sdwa s7, v22, v12 src0_sel:BYTE_0 src1_sel:DWORD
	v_and_b32_e32 v22, 1, v22
	s_waitcnt lgkmcnt(0)
	v_cndmask_b32_e64 v12, 1, v11, s7
	v_and_b32_sdwa v11, v11, v23 dst_sel:DWORD dst_unused:UNUSED_PAD src0_sel:WORD_1 src1_sel:DWORD
	v_cmp_eq_u32_e64 s7, 1, v22
	v_mul_lo_u16 v8, v12, v8
	v_cndmask_b32_e64 v12, v11, 1, s7
.LBB613_130:
	s_or_b32 exec_lo, exec_lo, s9
	s_waitcnt lgkmcnt(0)
	v_and_b32_e32 v11, 0xff, v12
	v_add_nc_u32_e32 v12, -1, v10
	v_and_b32_e32 v8, 0xffff, v8
	; wave barrier
	v_lshlrev_b32_e32 v11, 16, v11
	v_cmp_gt_i32_e64 s7, 0, v12
	v_or3_b32 v7, v11, v8, v7
	v_cndmask_b32_e64 v10, v12, v10, s7
	v_lshlrev_b32_e32 v8, 2, v10
	v_mov_b32_e32 v10, 1
	ds_bpermute_b32 v7, v8, v7
	v_and_b32_e32 v8, 0xff0000, v5
	v_cmp_eq_u32_e64 s7, 0, v8
	s_waitcnt lgkmcnt(0)
	v_cndmask_b32_e64 v8, 1, v7, s7
	v_and_b32_sdwa v7, v7, v10 dst_sel:DWORD dst_unused:UNUSED_PAD src0_sel:WORD_1 src1_sel:DWORD
	v_cmp_eq_u32_e64 s7, 0, v6
	v_mul_lo_u16 v5, v8, v5
	v_cndmask_b32_e64 v6, 1, v7, s7
	v_cmp_eq_u32_e64 s7, 0, v0
	v_cndmask_b32_e64 v3, v5, v3, s7
	v_cndmask_b32_e64 v2, v6, v2, s7
	ds_write_b16 v4, v3
	ds_write_b8 v4, v2 offset:2
	; wave barrier
	ds_read_u8 v5, v4 offset:6
	ds_read_u16 v6, v4 offset:4
	s_waitcnt lgkmcnt(1)
	v_cmp_eq_u16_e64 s7, 0, v5
	v_and_b32_e32 v5, 1, v5
	v_cndmask_b32_e64 v3, 1, v3, s7
	v_cmp_eq_u32_e64 s7, 1, v5
	s_waitcnt lgkmcnt(0)
	v_mul_lo_u16 v3, v3, v6
	v_cndmask_b32_e64 v2, v2, 1, s7
	ds_write_b16 v4, v3 offset:4
	ds_write_b8 v4, v2 offset:6
.LBB613_131:
	s_or_b32 exec_lo, exec_lo, s8
	v_cmp_eq_u32_e64 s7, 0, v0
	v_mov_b32_e32 v3, v1
	s_mov_b32 s9, exec_lo
	s_waitcnt lgkmcnt(0)
	s_barrier
	buffer_gl0_inv
	v_cmpx_ne_u32_e32 0, v0
	s_cbranch_execz .LBB613_133
; %bb.132:
	v_add_nc_u32_e32 v2, -1, v0
	v_lshrrev_b32_e32 v3, 3, v2
	v_and_b32_e32 v3, 0x1ffffffc, v3
	v_lshl_add_u32 v2, v2, 2, v3
	ds_read_u8 v3, v2 offset:2
	ds_read_u16 v2, v2
	s_waitcnt lgkmcnt(1)
	v_cmp_eq_u16_e64 s8, 0, v3
	v_cndmask_b32_e64 v3, 1, v1, s8
	s_waitcnt lgkmcnt(0)
	v_mul_lo_u16 v3, v3, v2
.LBB613_133:
	s_or_b32 exec_lo, exec_lo, s9
	v_and_b32_e32 v2, 0xff0000, v19
	v_cmp_eq_u32_e64 s8, 0, v2
	v_cndmask_b32_e64 v2, 1, v3, s8
	v_mul_lo_u16 v4, v2, v19
	v_cndmask_b32_e32 v2, 1, v4, vcc_lo
	v_mul_lo_u16 v5, v2, v21
	v_cndmask_b32_e64 v2, 1, v5, s0
	v_mul_lo_u16 v6, v2, v20
	v_cndmask_b32_e64 v2, 1, v6, s1
	;; [unrolled: 2-line block ×7, first 2 shown]
	s_and_saveexec_b32 s0, s7
	s_cbranch_execz .LBB613_135
; %bb.134:
	v_mov_b32_e32 v12, 0
	ds_read_u8 v10, v12 offset:258
	ds_read_u16 v11, v12 offset:256
	s_waitcnt lgkmcnt(1)
	v_cmp_eq_u32_e32 vcc_lo, 0, v10
	v_lshlrev_b32_e32 v10, 16, v10
	v_cndmask_b32_e32 v1, 1, v1, vcc_lo
	s_waitcnt lgkmcnt(0)
	v_mul_lo_u32 v1, v1, v11
	v_mov_b32_e32 v11, 2
	v_or_b32_sdwa v10, v10, v1 dst_sel:DWORD dst_unused:UNUSED_PAD src0_sel:DWORD src1_sel:WORD_0
	global_store_dwordx2 v12, v[10:11], s[16:17] offset:256
.LBB613_135:
	s_or_b32 exec_lo, exec_lo, s0
	v_mul_lo_u16 v26, v2, v13
.LBB613_136:
	s_add_u32 s0, s14, s24
	v_mov_b32_e32 v1, 0
	s_addc_u32 s1, s15, s25
	s_add_u32 s0, s0, s12
	s_addc_u32 s1, s1, s13
	s_and_b32 vcc_lo, exec_lo, s11
	s_cbranch_vccz .LBB613_176
; %bb.137:
	v_mul_u32_u24_e32 v2, 10, v0
	v_mov_b32_e32 v10, 0
	v_mov_b32_e32 v11, 0
	;; [unrolled: 1-line block ×4, first 2 shown]
	s_add_i32 s19, s19, s18
	s_mov_b32 s2, exec_lo
	v_cmpx_gt_u32_e64 s19, v2
	s_cbranch_execz .LBB613_157
; %bb.138:
	v_or_b32_e32 v13, 1, v2
	v_and_b32_e32 v1, 0xffff, v3
	v_mov_b32_e32 v10, 0
	v_mov_b32_e32 v11, 0
	;; [unrolled: 1-line block ×3, first 2 shown]
	v_cmp_gt_u32_e32 vcc_lo, s19, v13
	v_mov_b32_e32 v13, 0
	s_and_saveexec_b32 s3, vcc_lo
	s_cbranch_execz .LBB613_156
; %bb.139:
	v_perm_b32 v1, v4, v1, 0x5040100
	v_add_nc_u32_e32 v14, 2, v2
	v_mov_b32_e32 v13, 0
	v_mov_b32_e32 v12, 0
	;; [unrolled: 1-line block ×4, first 2 shown]
	s_mov_b32 s4, exec_lo
	v_cmpx_gt_u32_e64 s19, v14
	s_cbranch_execz .LBB613_155
; %bb.140:
	v_add_nc_u32_e32 v14, 3, v2
	v_bfi_b32 v10, 0xffff, v5, 0
	v_mov_b32_e32 v13, 0
	v_mov_b32_e32 v12, 0
	;; [unrolled: 1-line block ×3, first 2 shown]
	s_mov_b32 s5, exec_lo
	v_cmpx_gt_u32_e64 s19, v14
	s_cbranch_execz .LBB613_154
; %bb.141:
	v_add_nc_u32_e32 v14, 4, v2
	v_perm_b32 v10, v6, v10, 0x5040100
	v_mov_b32_e32 v13, 0
	v_mov_b32_e32 v12, 0
	v_mov_b32_e32 v11, 0
	s_mov_b32 s6, exec_lo
	v_cmpx_gt_u32_e64 s19, v14
	s_cbranch_execz .LBB613_153
; %bb.142:
	v_add_nc_u32_e32 v14, 5, v2
	v_bfi_b32 v11, 0xffff, v7, 0
	v_mov_b32_e32 v13, 0
	v_mov_b32_e32 v12, 0
	s_mov_b32 s7, exec_lo
	v_cmpx_gt_u32_e64 s19, v14
	s_cbranch_execz .LBB613_152
; %bb.143:
	v_add_nc_u32_e32 v14, 6, v2
	v_perm_b32 v11, v8, v11, 0x5040100
	v_mov_b32_e32 v13, 0
	v_mov_b32_e32 v12, 0
	s_mov_b32 s8, exec_lo
	v_cmpx_gt_u32_e64 s19, v14
	s_cbranch_execz .LBB613_151
; %bb.144:
	v_add_nc_u32_e32 v14, 7, v2
	v_bfi_b32 v12, 0xffff, v23, 0
	v_mov_b32_e32 v13, 0
	s_mov_b32 s9, exec_lo
	v_cmpx_gt_u32_e64 s19, v14
	s_cbranch_execz .LBB613_150
; %bb.145:
	v_add_nc_u32_e32 v14, 8, v2
	v_perm_b32 v12, v25, v12, 0x5040100
	v_mov_b32_e32 v13, 0
	s_mov_b32 s10, exec_lo
	v_cmpx_gt_u32_e64 s19, v14
	s_cbranch_execz .LBB613_149
; %bb.146:
	v_add_nc_u32_e32 v14, 9, v2
	v_bfi_b32 v13, 0xffff, v24, 0
	s_mov_b32 s11, exec_lo
	v_cmpx_gt_u32_e64 s19, v14
; %bb.147:
	v_perm_b32 v13, v26, v13, 0x5040100
; %bb.148:
	s_or_b32 exec_lo, exec_lo, s11
.LBB613_149:
	s_or_b32 exec_lo, exec_lo, s10
.LBB613_150:
	s_or_b32 exec_lo, exec_lo, s9
.LBB613_151:
	s_or_b32 exec_lo, exec_lo, s8
.LBB613_152:
	s_or_b32 exec_lo, exec_lo, s7
.LBB613_153:
	s_or_b32 exec_lo, exec_lo, s6
.LBB613_154:
	s_or_b32 exec_lo, exec_lo, s5
.LBB613_155:
	s_or_b32 exec_lo, exec_lo, s4
.LBB613_156:
	s_or_b32 exec_lo, exec_lo, s3
.LBB613_157:
	s_or_b32 exec_lo, exec_lo, s2
	v_lshlrev_b32_e32 v18, 1, v2
	s_waitcnt_vscnt null, 0x0
	s_barrier
	buffer_gl0_inv
	ds_write2_b32 v18, v1, v10 offset1:1
	ds_write2_b32 v18, v11, v12 offset0:2 offset1:3
	v_mad_i32_i24 v1, 0xffffffee, v0, v18
	ds_write_b32 v18, v13 offset:16
	s_waitcnt lgkmcnt(0)
	s_barrier
	buffer_gl0_inv
	ds_read_u16 v19, v1 offset:128
	ds_read_u16 v17, v1 offset:256
	;; [unrolled: 1-line block ×9, first 2 shown]
	v_add_co_u32 v1, s2, s0, v9
	v_add_co_ci_u32_e64 v2, null, s1, 0, s2
	s_mov_b32 s2, exec_lo
	v_cmpx_gt_u32_e64 s19, v0
	s_cbranch_execz .LBB613_159
; %bb.158:
	v_mul_i32_i24_e32 v20, 0xffffffee, v0
	v_add_nc_u32_e32 v18, v18, v20
	ds_read_u16 v18, v18
	s_waitcnt lgkmcnt(0)
	flat_store_short v[1:2], v18
.LBB613_159:
	s_or_b32 exec_lo, exec_lo, s2
	v_or_b32_e32 v18, 64, v0
	s_mov_b32 s2, exec_lo
	v_cmpx_gt_u32_e64 s19, v18
	s_cbranch_execz .LBB613_161
; %bb.160:
	s_waitcnt lgkmcnt(8)
	flat_store_short v[1:2], v19 offset:128
.LBB613_161:
	s_or_b32 exec_lo, exec_lo, s2
	v_or_b32_e32 v18, 0x80, v0
	s_mov_b32 s2, exec_lo
	v_cmpx_gt_u32_e64 s19, v18
	s_cbranch_execz .LBB613_163
; %bb.162:
	s_waitcnt lgkmcnt(7)
	flat_store_short v[1:2], v17 offset:256
.LBB613_163:
	s_or_b32 exec_lo, exec_lo, s2
	s_waitcnt lgkmcnt(7)
	v_or_b32_e32 v17, 0xc0, v0
	s_mov_b32 s2, exec_lo
	v_cmpx_gt_u32_e64 s19, v17
	s_cbranch_execz .LBB613_165
; %bb.164:
	s_waitcnt lgkmcnt(6)
	flat_store_short v[1:2], v16 offset:384
.LBB613_165:
	s_or_b32 exec_lo, exec_lo, s2
	s_waitcnt lgkmcnt(6)
	;; [unrolled: 10-line block ×6, first 2 shown]
	v_or_b32_e32 v12, 0x200, v0
	s_mov_b32 s2, exec_lo
	v_cmpx_gt_u32_e64 s19, v12
	s_cbranch_execz .LBB613_175
; %bb.174:
	s_waitcnt lgkmcnt(1)
	flat_store_short v[1:2], v11 offset:1024
.LBB613_175:
	s_or_b32 exec_lo, exec_lo, s2
	v_or_b32_e32 v1, 0x240, v0
	v_cmp_gt_u32_e64 s2, s19, v1
	s_branch .LBB613_178
.LBB613_176:
	s_mov_b32 s2, 0
                                        ; implicit-def: $vgpr10
	s_cbranch_execz .LBB613_178
; %bb.177:
	v_mul_u32_u24_e32 v1, 20, v0
	v_perm_b32 v2, v6, v5, 0x5040100
	v_perm_b32 v3, v4, v3, 0x5040100
	v_mul_i32_i24_e32 v6, 0xffffffee, v0
	v_perm_b32 v4, v25, v23, 0x5040100
	v_perm_b32 v5, v8, v7, 0x5040100
	s_waitcnt lgkmcnt(0)
	s_waitcnt_vscnt null, 0x0
	s_barrier
	v_perm_b32 v7, v26, v24, 0x5040100
	buffer_gl0_inv
	ds_write2_b32 v1, v3, v2 offset1:1
	ds_write2_b32 v1, v5, v4 offset0:2 offset1:3
	v_mad_u32_u24 v2, v0, 20, v6
	s_or_b32 s2, s2, exec_lo
	ds_write_b32 v1, v7 offset:16
	s_waitcnt lgkmcnt(0)
	s_barrier
	buffer_gl0_inv
	ds_read_u16 v3, v2
	ds_read_u16 v4, v2 offset:128
	ds_read_u16 v5, v2 offset:256
	;; [unrolled: 1-line block ×9, first 2 shown]
	v_add_co_u32 v1, s3, s0, v9
	v_add_co_ci_u32_e64 v2, null, s1, 0, s3
	s_waitcnt lgkmcnt(9)
	flat_store_short v[1:2], v3
	s_waitcnt lgkmcnt(9)
	flat_store_short v[1:2], v4 offset:128
	s_waitcnt lgkmcnt(9)
	flat_store_short v[1:2], v5 offset:256
	;; [unrolled: 2-line block ×8, first 2 shown]
.LBB613_178:
	s_and_saveexec_b32 s3, s2
	s_cbranch_execnz .LBB613_180
; %bb.179:
	s_endpgm
.LBB613_180:
	v_lshlrev_b32_e32 v0, 1, v0
	v_add_co_u32 v0, s0, s0, v0
	v_add_co_ci_u32_e64 v1, null, s1, 0, s0
	s_waitcnt lgkmcnt(0)
	flat_store_short v[0:1], v10 offset:1152
	s_endpgm
.LBB613_181:
	v_add_co_u32 v3, s9, s31, v14
	v_add_co_ci_u32_e64 v4, null, s33, 0, s9
	v_mov_b32_e32 v2, v1
	v_mov_b32_e32 v5, v1
	;; [unrolled: 1-line block ×3, first 2 shown]
	flat_load_short_d16 v2, v[3:4]
	v_mov_b32_e32 v3, v1
	v_mov_b32_e32 v4, v1
	s_waitcnt vmcnt(0) lgkmcnt(0)
	v_mov_b32_e32 v1, v2
	v_mov_b32_e32 v2, v3
	;; [unrolled: 1-line block ×8, first 2 shown]
	s_or_b32 exec_lo, exec_lo, s10
	s_and_saveexec_b32 s9, s8
	s_cbranch_execz .LBB613_25
.LBB613_182:
	v_add_co_u32 v6, s8, s31, v14
	v_add_co_ci_u32_e64 v7, null, s33, 0, s8
	flat_load_short_d16_hi v1, v[6:7] offset:128
	s_or_b32 exec_lo, exec_lo, s9
	s_and_saveexec_b32 s8, s7
	s_cbranch_execz .LBB613_26
.LBB613_183:
	v_add_co_u32 v6, s7, s31, v14
	v_add_co_ci_u32_e64 v7, null, s33, 0, s7
	flat_load_short_d16 v2, v[6:7] offset:256
	s_or_b32 exec_lo, exec_lo, s8
	s_and_saveexec_b32 s7, s5
	s_cbranch_execz .LBB613_27
.LBB613_184:
	v_add_co_u32 v6, s5, s31, v14
	v_add_co_ci_u32_e64 v7, null, s33, 0, s5
	s_waitcnt vmcnt(0) lgkmcnt(0)
	flat_load_short_d16_hi v2, v[6:7] offset:384
	s_or_b32 exec_lo, exec_lo, s7
	s_and_saveexec_b32 s5, s4
	s_cbranch_execz .LBB613_28
.LBB613_185:
	v_add_co_u32 v6, s4, s31, v14
	v_add_co_ci_u32_e64 v7, null, s33, 0, s4
	flat_load_short_d16 v3, v[6:7] offset:512
	s_or_b32 exec_lo, exec_lo, s5
	s_and_saveexec_b32 s4, s3
	s_cbranch_execz .LBB613_29
.LBB613_186:
	v_add_co_u32 v6, s3, s31, v14
	v_add_co_ci_u32_e64 v7, null, s33, 0, s3
	s_waitcnt vmcnt(0) lgkmcnt(0)
	flat_load_short_d16_hi v3, v[6:7] offset:640
	s_or_b32 exec_lo, exec_lo, s4
	s_and_saveexec_b32 s3, s2
	s_cbranch_execz .LBB613_30
.LBB613_187:
	v_add_co_u32 v6, s2, s31, v14
	v_add_co_ci_u32_e64 v7, null, s33, 0, s2
	flat_load_short_d16 v4, v[6:7] offset:768
	s_or_b32 exec_lo, exec_lo, s3
	s_and_saveexec_b32 s2, s1
	s_cbranch_execz .LBB613_31
.LBB613_188:
	v_add_co_u32 v6, s1, s31, v14
	v_add_co_ci_u32_e64 v7, null, s33, 0, s1
	s_waitcnt vmcnt(0) lgkmcnt(0)
	flat_load_short_d16_hi v4, v[6:7] offset:896
	s_or_b32 exec_lo, exec_lo, s2
	s_and_saveexec_b32 s1, s0
	s_cbranch_execz .LBB613_32
.LBB613_189:
	v_add_co_u32 v6, s0, s31, v14
	v_add_co_ci_u32_e64 v7, null, s33, 0, s0
	flat_load_short_d16 v5, v[6:7] offset:1024
	s_or_b32 exec_lo, exec_lo, s1
	v_mul_u32_u24_e32 v29, 10, v0
	s_and_saveexec_b32 s0, vcc_lo
	s_cbranch_execnz .LBB613_33
	s_branch .LBB613_34
	.section	.rodata,"a",@progbits
	.p2align	6, 0x0
	.amdhsa_kernel _ZN7rocprim17ROCPRIM_400000_NS6detail17trampoline_kernelINS0_14default_configENS1_27scan_by_key_config_selectorIssEEZZNS1_16scan_by_key_implILNS1_25lookback_scan_determinismE0ELb1ES3_N6thrust23THRUST_200600_302600_NS6detail15normal_iteratorINS9_10device_ptrIsEEEESE_SE_sNS9_10multipliesIsEENS9_8equal_toIsEEsEE10hipError_tPvRmT2_T3_T4_T5_mT6_T7_P12ihipStream_tbENKUlT_T0_E_clISt17integral_constantIbLb0EESZ_EEDaSU_SV_EUlSU_E_NS1_11comp_targetILNS1_3genE8ELNS1_11target_archE1030ELNS1_3gpuE2ELNS1_3repE0EEENS1_30default_config_static_selectorELNS0_4arch9wavefront6targetE0EEEvT1_
		.amdhsa_group_segment_fixed_size 1536
		.amdhsa_private_segment_fixed_size 0
		.amdhsa_kernarg_size 112
		.amdhsa_user_sgpr_count 6
		.amdhsa_user_sgpr_private_segment_buffer 1
		.amdhsa_user_sgpr_dispatch_ptr 0
		.amdhsa_user_sgpr_queue_ptr 0
		.amdhsa_user_sgpr_kernarg_segment_ptr 1
		.amdhsa_user_sgpr_dispatch_id 0
		.amdhsa_user_sgpr_flat_scratch_init 0
		.amdhsa_user_sgpr_private_segment_size 0
		.amdhsa_wavefront_size32 1
		.amdhsa_uses_dynamic_stack 0
		.amdhsa_system_sgpr_private_segment_wavefront_offset 0
		.amdhsa_system_sgpr_workgroup_id_x 1
		.amdhsa_system_sgpr_workgroup_id_y 0
		.amdhsa_system_sgpr_workgroup_id_z 0
		.amdhsa_system_sgpr_workgroup_info 0
		.amdhsa_system_vgpr_workitem_id 0
		.amdhsa_next_free_vgpr 42
		.amdhsa_next_free_sgpr 36
		.amdhsa_reserve_vcc 1
		.amdhsa_reserve_flat_scratch 1
		.amdhsa_float_round_mode_32 0
		.amdhsa_float_round_mode_16_64 0
		.amdhsa_float_denorm_mode_32 3
		.amdhsa_float_denorm_mode_16_64 3
		.amdhsa_dx10_clamp 1
		.amdhsa_ieee_mode 1
		.amdhsa_fp16_overflow 0
		.amdhsa_workgroup_processor_mode 1
		.amdhsa_memory_ordered 1
		.amdhsa_forward_progress 1
		.amdhsa_shared_vgpr_count 0
		.amdhsa_exception_fp_ieee_invalid_op 0
		.amdhsa_exception_fp_denorm_src 0
		.amdhsa_exception_fp_ieee_div_zero 0
		.amdhsa_exception_fp_ieee_overflow 0
		.amdhsa_exception_fp_ieee_underflow 0
		.amdhsa_exception_fp_ieee_inexact 0
		.amdhsa_exception_int_div_zero 0
	.end_amdhsa_kernel
	.section	.text._ZN7rocprim17ROCPRIM_400000_NS6detail17trampoline_kernelINS0_14default_configENS1_27scan_by_key_config_selectorIssEEZZNS1_16scan_by_key_implILNS1_25lookback_scan_determinismE0ELb1ES3_N6thrust23THRUST_200600_302600_NS6detail15normal_iteratorINS9_10device_ptrIsEEEESE_SE_sNS9_10multipliesIsEENS9_8equal_toIsEEsEE10hipError_tPvRmT2_T3_T4_T5_mT6_T7_P12ihipStream_tbENKUlT_T0_E_clISt17integral_constantIbLb0EESZ_EEDaSU_SV_EUlSU_E_NS1_11comp_targetILNS1_3genE8ELNS1_11target_archE1030ELNS1_3gpuE2ELNS1_3repE0EEENS1_30default_config_static_selectorELNS0_4arch9wavefront6targetE0EEEvT1_,"axG",@progbits,_ZN7rocprim17ROCPRIM_400000_NS6detail17trampoline_kernelINS0_14default_configENS1_27scan_by_key_config_selectorIssEEZZNS1_16scan_by_key_implILNS1_25lookback_scan_determinismE0ELb1ES3_N6thrust23THRUST_200600_302600_NS6detail15normal_iteratorINS9_10device_ptrIsEEEESE_SE_sNS9_10multipliesIsEENS9_8equal_toIsEEsEE10hipError_tPvRmT2_T3_T4_T5_mT6_T7_P12ihipStream_tbENKUlT_T0_E_clISt17integral_constantIbLb0EESZ_EEDaSU_SV_EUlSU_E_NS1_11comp_targetILNS1_3genE8ELNS1_11target_archE1030ELNS1_3gpuE2ELNS1_3repE0EEENS1_30default_config_static_selectorELNS0_4arch9wavefront6targetE0EEEvT1_,comdat
.Lfunc_end613:
	.size	_ZN7rocprim17ROCPRIM_400000_NS6detail17trampoline_kernelINS0_14default_configENS1_27scan_by_key_config_selectorIssEEZZNS1_16scan_by_key_implILNS1_25lookback_scan_determinismE0ELb1ES3_N6thrust23THRUST_200600_302600_NS6detail15normal_iteratorINS9_10device_ptrIsEEEESE_SE_sNS9_10multipliesIsEENS9_8equal_toIsEEsEE10hipError_tPvRmT2_T3_T4_T5_mT6_T7_P12ihipStream_tbENKUlT_T0_E_clISt17integral_constantIbLb0EESZ_EEDaSU_SV_EUlSU_E_NS1_11comp_targetILNS1_3genE8ELNS1_11target_archE1030ELNS1_3gpuE2ELNS1_3repE0EEENS1_30default_config_static_selectorELNS0_4arch9wavefront6targetE0EEEvT1_, .Lfunc_end613-_ZN7rocprim17ROCPRIM_400000_NS6detail17trampoline_kernelINS0_14default_configENS1_27scan_by_key_config_selectorIssEEZZNS1_16scan_by_key_implILNS1_25lookback_scan_determinismE0ELb1ES3_N6thrust23THRUST_200600_302600_NS6detail15normal_iteratorINS9_10device_ptrIsEEEESE_SE_sNS9_10multipliesIsEENS9_8equal_toIsEEsEE10hipError_tPvRmT2_T3_T4_T5_mT6_T7_P12ihipStream_tbENKUlT_T0_E_clISt17integral_constantIbLb0EESZ_EEDaSU_SV_EUlSU_E_NS1_11comp_targetILNS1_3genE8ELNS1_11target_archE1030ELNS1_3gpuE2ELNS1_3repE0EEENS1_30default_config_static_selectorELNS0_4arch9wavefront6targetE0EEEvT1_
                                        ; -- End function
	.set _ZN7rocprim17ROCPRIM_400000_NS6detail17trampoline_kernelINS0_14default_configENS1_27scan_by_key_config_selectorIssEEZZNS1_16scan_by_key_implILNS1_25lookback_scan_determinismE0ELb1ES3_N6thrust23THRUST_200600_302600_NS6detail15normal_iteratorINS9_10device_ptrIsEEEESE_SE_sNS9_10multipliesIsEENS9_8equal_toIsEEsEE10hipError_tPvRmT2_T3_T4_T5_mT6_T7_P12ihipStream_tbENKUlT_T0_E_clISt17integral_constantIbLb0EESZ_EEDaSU_SV_EUlSU_E_NS1_11comp_targetILNS1_3genE8ELNS1_11target_archE1030ELNS1_3gpuE2ELNS1_3repE0EEENS1_30default_config_static_selectorELNS0_4arch9wavefront6targetE0EEEvT1_.num_vgpr, 42
	.set _ZN7rocprim17ROCPRIM_400000_NS6detail17trampoline_kernelINS0_14default_configENS1_27scan_by_key_config_selectorIssEEZZNS1_16scan_by_key_implILNS1_25lookback_scan_determinismE0ELb1ES3_N6thrust23THRUST_200600_302600_NS6detail15normal_iteratorINS9_10device_ptrIsEEEESE_SE_sNS9_10multipliesIsEENS9_8equal_toIsEEsEE10hipError_tPvRmT2_T3_T4_T5_mT6_T7_P12ihipStream_tbENKUlT_T0_E_clISt17integral_constantIbLb0EESZ_EEDaSU_SV_EUlSU_E_NS1_11comp_targetILNS1_3genE8ELNS1_11target_archE1030ELNS1_3gpuE2ELNS1_3repE0EEENS1_30default_config_static_selectorELNS0_4arch9wavefront6targetE0EEEvT1_.num_agpr, 0
	.set _ZN7rocprim17ROCPRIM_400000_NS6detail17trampoline_kernelINS0_14default_configENS1_27scan_by_key_config_selectorIssEEZZNS1_16scan_by_key_implILNS1_25lookback_scan_determinismE0ELb1ES3_N6thrust23THRUST_200600_302600_NS6detail15normal_iteratorINS9_10device_ptrIsEEEESE_SE_sNS9_10multipliesIsEENS9_8equal_toIsEEsEE10hipError_tPvRmT2_T3_T4_T5_mT6_T7_P12ihipStream_tbENKUlT_T0_E_clISt17integral_constantIbLb0EESZ_EEDaSU_SV_EUlSU_E_NS1_11comp_targetILNS1_3genE8ELNS1_11target_archE1030ELNS1_3gpuE2ELNS1_3repE0EEENS1_30default_config_static_selectorELNS0_4arch9wavefront6targetE0EEEvT1_.numbered_sgpr, 36
	.set _ZN7rocprim17ROCPRIM_400000_NS6detail17trampoline_kernelINS0_14default_configENS1_27scan_by_key_config_selectorIssEEZZNS1_16scan_by_key_implILNS1_25lookback_scan_determinismE0ELb1ES3_N6thrust23THRUST_200600_302600_NS6detail15normal_iteratorINS9_10device_ptrIsEEEESE_SE_sNS9_10multipliesIsEENS9_8equal_toIsEEsEE10hipError_tPvRmT2_T3_T4_T5_mT6_T7_P12ihipStream_tbENKUlT_T0_E_clISt17integral_constantIbLb0EESZ_EEDaSU_SV_EUlSU_E_NS1_11comp_targetILNS1_3genE8ELNS1_11target_archE1030ELNS1_3gpuE2ELNS1_3repE0EEENS1_30default_config_static_selectorELNS0_4arch9wavefront6targetE0EEEvT1_.num_named_barrier, 0
	.set _ZN7rocprim17ROCPRIM_400000_NS6detail17trampoline_kernelINS0_14default_configENS1_27scan_by_key_config_selectorIssEEZZNS1_16scan_by_key_implILNS1_25lookback_scan_determinismE0ELb1ES3_N6thrust23THRUST_200600_302600_NS6detail15normal_iteratorINS9_10device_ptrIsEEEESE_SE_sNS9_10multipliesIsEENS9_8equal_toIsEEsEE10hipError_tPvRmT2_T3_T4_T5_mT6_T7_P12ihipStream_tbENKUlT_T0_E_clISt17integral_constantIbLb0EESZ_EEDaSU_SV_EUlSU_E_NS1_11comp_targetILNS1_3genE8ELNS1_11target_archE1030ELNS1_3gpuE2ELNS1_3repE0EEENS1_30default_config_static_selectorELNS0_4arch9wavefront6targetE0EEEvT1_.private_seg_size, 0
	.set _ZN7rocprim17ROCPRIM_400000_NS6detail17trampoline_kernelINS0_14default_configENS1_27scan_by_key_config_selectorIssEEZZNS1_16scan_by_key_implILNS1_25lookback_scan_determinismE0ELb1ES3_N6thrust23THRUST_200600_302600_NS6detail15normal_iteratorINS9_10device_ptrIsEEEESE_SE_sNS9_10multipliesIsEENS9_8equal_toIsEEsEE10hipError_tPvRmT2_T3_T4_T5_mT6_T7_P12ihipStream_tbENKUlT_T0_E_clISt17integral_constantIbLb0EESZ_EEDaSU_SV_EUlSU_E_NS1_11comp_targetILNS1_3genE8ELNS1_11target_archE1030ELNS1_3gpuE2ELNS1_3repE0EEENS1_30default_config_static_selectorELNS0_4arch9wavefront6targetE0EEEvT1_.uses_vcc, 1
	.set _ZN7rocprim17ROCPRIM_400000_NS6detail17trampoline_kernelINS0_14default_configENS1_27scan_by_key_config_selectorIssEEZZNS1_16scan_by_key_implILNS1_25lookback_scan_determinismE0ELb1ES3_N6thrust23THRUST_200600_302600_NS6detail15normal_iteratorINS9_10device_ptrIsEEEESE_SE_sNS9_10multipliesIsEENS9_8equal_toIsEEsEE10hipError_tPvRmT2_T3_T4_T5_mT6_T7_P12ihipStream_tbENKUlT_T0_E_clISt17integral_constantIbLb0EESZ_EEDaSU_SV_EUlSU_E_NS1_11comp_targetILNS1_3genE8ELNS1_11target_archE1030ELNS1_3gpuE2ELNS1_3repE0EEENS1_30default_config_static_selectorELNS0_4arch9wavefront6targetE0EEEvT1_.uses_flat_scratch, 1
	.set _ZN7rocprim17ROCPRIM_400000_NS6detail17trampoline_kernelINS0_14default_configENS1_27scan_by_key_config_selectorIssEEZZNS1_16scan_by_key_implILNS1_25lookback_scan_determinismE0ELb1ES3_N6thrust23THRUST_200600_302600_NS6detail15normal_iteratorINS9_10device_ptrIsEEEESE_SE_sNS9_10multipliesIsEENS9_8equal_toIsEEsEE10hipError_tPvRmT2_T3_T4_T5_mT6_T7_P12ihipStream_tbENKUlT_T0_E_clISt17integral_constantIbLb0EESZ_EEDaSU_SV_EUlSU_E_NS1_11comp_targetILNS1_3genE8ELNS1_11target_archE1030ELNS1_3gpuE2ELNS1_3repE0EEENS1_30default_config_static_selectorELNS0_4arch9wavefront6targetE0EEEvT1_.has_dyn_sized_stack, 0
	.set _ZN7rocprim17ROCPRIM_400000_NS6detail17trampoline_kernelINS0_14default_configENS1_27scan_by_key_config_selectorIssEEZZNS1_16scan_by_key_implILNS1_25lookback_scan_determinismE0ELb1ES3_N6thrust23THRUST_200600_302600_NS6detail15normal_iteratorINS9_10device_ptrIsEEEESE_SE_sNS9_10multipliesIsEENS9_8equal_toIsEEsEE10hipError_tPvRmT2_T3_T4_T5_mT6_T7_P12ihipStream_tbENKUlT_T0_E_clISt17integral_constantIbLb0EESZ_EEDaSU_SV_EUlSU_E_NS1_11comp_targetILNS1_3genE8ELNS1_11target_archE1030ELNS1_3gpuE2ELNS1_3repE0EEENS1_30default_config_static_selectorELNS0_4arch9wavefront6targetE0EEEvT1_.has_recursion, 0
	.set _ZN7rocprim17ROCPRIM_400000_NS6detail17trampoline_kernelINS0_14default_configENS1_27scan_by_key_config_selectorIssEEZZNS1_16scan_by_key_implILNS1_25lookback_scan_determinismE0ELb1ES3_N6thrust23THRUST_200600_302600_NS6detail15normal_iteratorINS9_10device_ptrIsEEEESE_SE_sNS9_10multipliesIsEENS9_8equal_toIsEEsEE10hipError_tPvRmT2_T3_T4_T5_mT6_T7_P12ihipStream_tbENKUlT_T0_E_clISt17integral_constantIbLb0EESZ_EEDaSU_SV_EUlSU_E_NS1_11comp_targetILNS1_3genE8ELNS1_11target_archE1030ELNS1_3gpuE2ELNS1_3repE0EEENS1_30default_config_static_selectorELNS0_4arch9wavefront6targetE0EEEvT1_.has_indirect_call, 0
	.section	.AMDGPU.csdata,"",@progbits
; Kernel info:
; codeLenInByte = 10300
; TotalNumSgprs: 38
; NumVgprs: 42
; ScratchSize: 0
; MemoryBound: 0
; FloatMode: 240
; IeeeMode: 1
; LDSByteSize: 1536 bytes/workgroup (compile time only)
; SGPRBlocks: 0
; VGPRBlocks: 5
; NumSGPRsForWavesPerEU: 38
; NumVGPRsForWavesPerEU: 42
; Occupancy: 16
; WaveLimiterHint : 1
; COMPUTE_PGM_RSRC2:SCRATCH_EN: 0
; COMPUTE_PGM_RSRC2:USER_SGPR: 6
; COMPUTE_PGM_RSRC2:TRAP_HANDLER: 0
; COMPUTE_PGM_RSRC2:TGID_X_EN: 1
; COMPUTE_PGM_RSRC2:TGID_Y_EN: 0
; COMPUTE_PGM_RSRC2:TGID_Z_EN: 0
; COMPUTE_PGM_RSRC2:TIDIG_COMP_CNT: 0
	.section	.text._ZN7rocprim17ROCPRIM_400000_NS6detail17trampoline_kernelINS0_14default_configENS1_27scan_by_key_config_selectorIssEEZZNS1_16scan_by_key_implILNS1_25lookback_scan_determinismE0ELb1ES3_N6thrust23THRUST_200600_302600_NS6detail15normal_iteratorINS9_10device_ptrIsEEEESE_SE_sNS9_10multipliesIsEENS9_8equal_toIsEEsEE10hipError_tPvRmT2_T3_T4_T5_mT6_T7_P12ihipStream_tbENKUlT_T0_E_clISt17integral_constantIbLb1EESZ_EEDaSU_SV_EUlSU_E_NS1_11comp_targetILNS1_3genE0ELNS1_11target_archE4294967295ELNS1_3gpuE0ELNS1_3repE0EEENS1_30default_config_static_selectorELNS0_4arch9wavefront6targetE0EEEvT1_,"axG",@progbits,_ZN7rocprim17ROCPRIM_400000_NS6detail17trampoline_kernelINS0_14default_configENS1_27scan_by_key_config_selectorIssEEZZNS1_16scan_by_key_implILNS1_25lookback_scan_determinismE0ELb1ES3_N6thrust23THRUST_200600_302600_NS6detail15normal_iteratorINS9_10device_ptrIsEEEESE_SE_sNS9_10multipliesIsEENS9_8equal_toIsEEsEE10hipError_tPvRmT2_T3_T4_T5_mT6_T7_P12ihipStream_tbENKUlT_T0_E_clISt17integral_constantIbLb1EESZ_EEDaSU_SV_EUlSU_E_NS1_11comp_targetILNS1_3genE0ELNS1_11target_archE4294967295ELNS1_3gpuE0ELNS1_3repE0EEENS1_30default_config_static_selectorELNS0_4arch9wavefront6targetE0EEEvT1_,comdat
	.protected	_ZN7rocprim17ROCPRIM_400000_NS6detail17trampoline_kernelINS0_14default_configENS1_27scan_by_key_config_selectorIssEEZZNS1_16scan_by_key_implILNS1_25lookback_scan_determinismE0ELb1ES3_N6thrust23THRUST_200600_302600_NS6detail15normal_iteratorINS9_10device_ptrIsEEEESE_SE_sNS9_10multipliesIsEENS9_8equal_toIsEEsEE10hipError_tPvRmT2_T3_T4_T5_mT6_T7_P12ihipStream_tbENKUlT_T0_E_clISt17integral_constantIbLb1EESZ_EEDaSU_SV_EUlSU_E_NS1_11comp_targetILNS1_3genE0ELNS1_11target_archE4294967295ELNS1_3gpuE0ELNS1_3repE0EEENS1_30default_config_static_selectorELNS0_4arch9wavefront6targetE0EEEvT1_ ; -- Begin function _ZN7rocprim17ROCPRIM_400000_NS6detail17trampoline_kernelINS0_14default_configENS1_27scan_by_key_config_selectorIssEEZZNS1_16scan_by_key_implILNS1_25lookback_scan_determinismE0ELb1ES3_N6thrust23THRUST_200600_302600_NS6detail15normal_iteratorINS9_10device_ptrIsEEEESE_SE_sNS9_10multipliesIsEENS9_8equal_toIsEEsEE10hipError_tPvRmT2_T3_T4_T5_mT6_T7_P12ihipStream_tbENKUlT_T0_E_clISt17integral_constantIbLb1EESZ_EEDaSU_SV_EUlSU_E_NS1_11comp_targetILNS1_3genE0ELNS1_11target_archE4294967295ELNS1_3gpuE0ELNS1_3repE0EEENS1_30default_config_static_selectorELNS0_4arch9wavefront6targetE0EEEvT1_
	.globl	_ZN7rocprim17ROCPRIM_400000_NS6detail17trampoline_kernelINS0_14default_configENS1_27scan_by_key_config_selectorIssEEZZNS1_16scan_by_key_implILNS1_25lookback_scan_determinismE0ELb1ES3_N6thrust23THRUST_200600_302600_NS6detail15normal_iteratorINS9_10device_ptrIsEEEESE_SE_sNS9_10multipliesIsEENS9_8equal_toIsEEsEE10hipError_tPvRmT2_T3_T4_T5_mT6_T7_P12ihipStream_tbENKUlT_T0_E_clISt17integral_constantIbLb1EESZ_EEDaSU_SV_EUlSU_E_NS1_11comp_targetILNS1_3genE0ELNS1_11target_archE4294967295ELNS1_3gpuE0ELNS1_3repE0EEENS1_30default_config_static_selectorELNS0_4arch9wavefront6targetE0EEEvT1_
	.p2align	8
	.type	_ZN7rocprim17ROCPRIM_400000_NS6detail17trampoline_kernelINS0_14default_configENS1_27scan_by_key_config_selectorIssEEZZNS1_16scan_by_key_implILNS1_25lookback_scan_determinismE0ELb1ES3_N6thrust23THRUST_200600_302600_NS6detail15normal_iteratorINS9_10device_ptrIsEEEESE_SE_sNS9_10multipliesIsEENS9_8equal_toIsEEsEE10hipError_tPvRmT2_T3_T4_T5_mT6_T7_P12ihipStream_tbENKUlT_T0_E_clISt17integral_constantIbLb1EESZ_EEDaSU_SV_EUlSU_E_NS1_11comp_targetILNS1_3genE0ELNS1_11target_archE4294967295ELNS1_3gpuE0ELNS1_3repE0EEENS1_30default_config_static_selectorELNS0_4arch9wavefront6targetE0EEEvT1_,@function
_ZN7rocprim17ROCPRIM_400000_NS6detail17trampoline_kernelINS0_14default_configENS1_27scan_by_key_config_selectorIssEEZZNS1_16scan_by_key_implILNS1_25lookback_scan_determinismE0ELb1ES3_N6thrust23THRUST_200600_302600_NS6detail15normal_iteratorINS9_10device_ptrIsEEEESE_SE_sNS9_10multipliesIsEENS9_8equal_toIsEEsEE10hipError_tPvRmT2_T3_T4_T5_mT6_T7_P12ihipStream_tbENKUlT_T0_E_clISt17integral_constantIbLb1EESZ_EEDaSU_SV_EUlSU_E_NS1_11comp_targetILNS1_3genE0ELNS1_11target_archE4294967295ELNS1_3gpuE0ELNS1_3repE0EEENS1_30default_config_static_selectorELNS0_4arch9wavefront6targetE0EEEvT1_: ; @_ZN7rocprim17ROCPRIM_400000_NS6detail17trampoline_kernelINS0_14default_configENS1_27scan_by_key_config_selectorIssEEZZNS1_16scan_by_key_implILNS1_25lookback_scan_determinismE0ELb1ES3_N6thrust23THRUST_200600_302600_NS6detail15normal_iteratorINS9_10device_ptrIsEEEESE_SE_sNS9_10multipliesIsEENS9_8equal_toIsEEsEE10hipError_tPvRmT2_T3_T4_T5_mT6_T7_P12ihipStream_tbENKUlT_T0_E_clISt17integral_constantIbLb1EESZ_EEDaSU_SV_EUlSU_E_NS1_11comp_targetILNS1_3genE0ELNS1_11target_archE4294967295ELNS1_3gpuE0ELNS1_3repE0EEENS1_30default_config_static_selectorELNS0_4arch9wavefront6targetE0EEEvT1_
; %bb.0:
	.section	.rodata,"a",@progbits
	.p2align	6, 0x0
	.amdhsa_kernel _ZN7rocprim17ROCPRIM_400000_NS6detail17trampoline_kernelINS0_14default_configENS1_27scan_by_key_config_selectorIssEEZZNS1_16scan_by_key_implILNS1_25lookback_scan_determinismE0ELb1ES3_N6thrust23THRUST_200600_302600_NS6detail15normal_iteratorINS9_10device_ptrIsEEEESE_SE_sNS9_10multipliesIsEENS9_8equal_toIsEEsEE10hipError_tPvRmT2_T3_T4_T5_mT6_T7_P12ihipStream_tbENKUlT_T0_E_clISt17integral_constantIbLb1EESZ_EEDaSU_SV_EUlSU_E_NS1_11comp_targetILNS1_3genE0ELNS1_11target_archE4294967295ELNS1_3gpuE0ELNS1_3repE0EEENS1_30default_config_static_selectorELNS0_4arch9wavefront6targetE0EEEvT1_
		.amdhsa_group_segment_fixed_size 0
		.amdhsa_private_segment_fixed_size 0
		.amdhsa_kernarg_size 112
		.amdhsa_user_sgpr_count 6
		.amdhsa_user_sgpr_private_segment_buffer 1
		.amdhsa_user_sgpr_dispatch_ptr 0
		.amdhsa_user_sgpr_queue_ptr 0
		.amdhsa_user_sgpr_kernarg_segment_ptr 1
		.amdhsa_user_sgpr_dispatch_id 0
		.amdhsa_user_sgpr_flat_scratch_init 0
		.amdhsa_user_sgpr_private_segment_size 0
		.amdhsa_wavefront_size32 1
		.amdhsa_uses_dynamic_stack 0
		.amdhsa_system_sgpr_private_segment_wavefront_offset 0
		.amdhsa_system_sgpr_workgroup_id_x 1
		.amdhsa_system_sgpr_workgroup_id_y 0
		.amdhsa_system_sgpr_workgroup_id_z 0
		.amdhsa_system_sgpr_workgroup_info 0
		.amdhsa_system_vgpr_workitem_id 0
		.amdhsa_next_free_vgpr 1
		.amdhsa_next_free_sgpr 1
		.amdhsa_reserve_vcc 0
		.amdhsa_reserve_flat_scratch 0
		.amdhsa_float_round_mode_32 0
		.amdhsa_float_round_mode_16_64 0
		.amdhsa_float_denorm_mode_32 3
		.amdhsa_float_denorm_mode_16_64 3
		.amdhsa_dx10_clamp 1
		.amdhsa_ieee_mode 1
		.amdhsa_fp16_overflow 0
		.amdhsa_workgroup_processor_mode 1
		.amdhsa_memory_ordered 1
		.amdhsa_forward_progress 1
		.amdhsa_shared_vgpr_count 0
		.amdhsa_exception_fp_ieee_invalid_op 0
		.amdhsa_exception_fp_denorm_src 0
		.amdhsa_exception_fp_ieee_div_zero 0
		.amdhsa_exception_fp_ieee_overflow 0
		.amdhsa_exception_fp_ieee_underflow 0
		.amdhsa_exception_fp_ieee_inexact 0
		.amdhsa_exception_int_div_zero 0
	.end_amdhsa_kernel
	.section	.text._ZN7rocprim17ROCPRIM_400000_NS6detail17trampoline_kernelINS0_14default_configENS1_27scan_by_key_config_selectorIssEEZZNS1_16scan_by_key_implILNS1_25lookback_scan_determinismE0ELb1ES3_N6thrust23THRUST_200600_302600_NS6detail15normal_iteratorINS9_10device_ptrIsEEEESE_SE_sNS9_10multipliesIsEENS9_8equal_toIsEEsEE10hipError_tPvRmT2_T3_T4_T5_mT6_T7_P12ihipStream_tbENKUlT_T0_E_clISt17integral_constantIbLb1EESZ_EEDaSU_SV_EUlSU_E_NS1_11comp_targetILNS1_3genE0ELNS1_11target_archE4294967295ELNS1_3gpuE0ELNS1_3repE0EEENS1_30default_config_static_selectorELNS0_4arch9wavefront6targetE0EEEvT1_,"axG",@progbits,_ZN7rocprim17ROCPRIM_400000_NS6detail17trampoline_kernelINS0_14default_configENS1_27scan_by_key_config_selectorIssEEZZNS1_16scan_by_key_implILNS1_25lookback_scan_determinismE0ELb1ES3_N6thrust23THRUST_200600_302600_NS6detail15normal_iteratorINS9_10device_ptrIsEEEESE_SE_sNS9_10multipliesIsEENS9_8equal_toIsEEsEE10hipError_tPvRmT2_T3_T4_T5_mT6_T7_P12ihipStream_tbENKUlT_T0_E_clISt17integral_constantIbLb1EESZ_EEDaSU_SV_EUlSU_E_NS1_11comp_targetILNS1_3genE0ELNS1_11target_archE4294967295ELNS1_3gpuE0ELNS1_3repE0EEENS1_30default_config_static_selectorELNS0_4arch9wavefront6targetE0EEEvT1_,comdat
.Lfunc_end614:
	.size	_ZN7rocprim17ROCPRIM_400000_NS6detail17trampoline_kernelINS0_14default_configENS1_27scan_by_key_config_selectorIssEEZZNS1_16scan_by_key_implILNS1_25lookback_scan_determinismE0ELb1ES3_N6thrust23THRUST_200600_302600_NS6detail15normal_iteratorINS9_10device_ptrIsEEEESE_SE_sNS9_10multipliesIsEENS9_8equal_toIsEEsEE10hipError_tPvRmT2_T3_T4_T5_mT6_T7_P12ihipStream_tbENKUlT_T0_E_clISt17integral_constantIbLb1EESZ_EEDaSU_SV_EUlSU_E_NS1_11comp_targetILNS1_3genE0ELNS1_11target_archE4294967295ELNS1_3gpuE0ELNS1_3repE0EEENS1_30default_config_static_selectorELNS0_4arch9wavefront6targetE0EEEvT1_, .Lfunc_end614-_ZN7rocprim17ROCPRIM_400000_NS6detail17trampoline_kernelINS0_14default_configENS1_27scan_by_key_config_selectorIssEEZZNS1_16scan_by_key_implILNS1_25lookback_scan_determinismE0ELb1ES3_N6thrust23THRUST_200600_302600_NS6detail15normal_iteratorINS9_10device_ptrIsEEEESE_SE_sNS9_10multipliesIsEENS9_8equal_toIsEEsEE10hipError_tPvRmT2_T3_T4_T5_mT6_T7_P12ihipStream_tbENKUlT_T0_E_clISt17integral_constantIbLb1EESZ_EEDaSU_SV_EUlSU_E_NS1_11comp_targetILNS1_3genE0ELNS1_11target_archE4294967295ELNS1_3gpuE0ELNS1_3repE0EEENS1_30default_config_static_selectorELNS0_4arch9wavefront6targetE0EEEvT1_
                                        ; -- End function
	.set _ZN7rocprim17ROCPRIM_400000_NS6detail17trampoline_kernelINS0_14default_configENS1_27scan_by_key_config_selectorIssEEZZNS1_16scan_by_key_implILNS1_25lookback_scan_determinismE0ELb1ES3_N6thrust23THRUST_200600_302600_NS6detail15normal_iteratorINS9_10device_ptrIsEEEESE_SE_sNS9_10multipliesIsEENS9_8equal_toIsEEsEE10hipError_tPvRmT2_T3_T4_T5_mT6_T7_P12ihipStream_tbENKUlT_T0_E_clISt17integral_constantIbLb1EESZ_EEDaSU_SV_EUlSU_E_NS1_11comp_targetILNS1_3genE0ELNS1_11target_archE4294967295ELNS1_3gpuE0ELNS1_3repE0EEENS1_30default_config_static_selectorELNS0_4arch9wavefront6targetE0EEEvT1_.num_vgpr, 0
	.set _ZN7rocprim17ROCPRIM_400000_NS6detail17trampoline_kernelINS0_14default_configENS1_27scan_by_key_config_selectorIssEEZZNS1_16scan_by_key_implILNS1_25lookback_scan_determinismE0ELb1ES3_N6thrust23THRUST_200600_302600_NS6detail15normal_iteratorINS9_10device_ptrIsEEEESE_SE_sNS9_10multipliesIsEENS9_8equal_toIsEEsEE10hipError_tPvRmT2_T3_T4_T5_mT6_T7_P12ihipStream_tbENKUlT_T0_E_clISt17integral_constantIbLb1EESZ_EEDaSU_SV_EUlSU_E_NS1_11comp_targetILNS1_3genE0ELNS1_11target_archE4294967295ELNS1_3gpuE0ELNS1_3repE0EEENS1_30default_config_static_selectorELNS0_4arch9wavefront6targetE0EEEvT1_.num_agpr, 0
	.set _ZN7rocprim17ROCPRIM_400000_NS6detail17trampoline_kernelINS0_14default_configENS1_27scan_by_key_config_selectorIssEEZZNS1_16scan_by_key_implILNS1_25lookback_scan_determinismE0ELb1ES3_N6thrust23THRUST_200600_302600_NS6detail15normal_iteratorINS9_10device_ptrIsEEEESE_SE_sNS9_10multipliesIsEENS9_8equal_toIsEEsEE10hipError_tPvRmT2_T3_T4_T5_mT6_T7_P12ihipStream_tbENKUlT_T0_E_clISt17integral_constantIbLb1EESZ_EEDaSU_SV_EUlSU_E_NS1_11comp_targetILNS1_3genE0ELNS1_11target_archE4294967295ELNS1_3gpuE0ELNS1_3repE0EEENS1_30default_config_static_selectorELNS0_4arch9wavefront6targetE0EEEvT1_.numbered_sgpr, 0
	.set _ZN7rocprim17ROCPRIM_400000_NS6detail17trampoline_kernelINS0_14default_configENS1_27scan_by_key_config_selectorIssEEZZNS1_16scan_by_key_implILNS1_25lookback_scan_determinismE0ELb1ES3_N6thrust23THRUST_200600_302600_NS6detail15normal_iteratorINS9_10device_ptrIsEEEESE_SE_sNS9_10multipliesIsEENS9_8equal_toIsEEsEE10hipError_tPvRmT2_T3_T4_T5_mT6_T7_P12ihipStream_tbENKUlT_T0_E_clISt17integral_constantIbLb1EESZ_EEDaSU_SV_EUlSU_E_NS1_11comp_targetILNS1_3genE0ELNS1_11target_archE4294967295ELNS1_3gpuE0ELNS1_3repE0EEENS1_30default_config_static_selectorELNS0_4arch9wavefront6targetE0EEEvT1_.num_named_barrier, 0
	.set _ZN7rocprim17ROCPRIM_400000_NS6detail17trampoline_kernelINS0_14default_configENS1_27scan_by_key_config_selectorIssEEZZNS1_16scan_by_key_implILNS1_25lookback_scan_determinismE0ELb1ES3_N6thrust23THRUST_200600_302600_NS6detail15normal_iteratorINS9_10device_ptrIsEEEESE_SE_sNS9_10multipliesIsEENS9_8equal_toIsEEsEE10hipError_tPvRmT2_T3_T4_T5_mT6_T7_P12ihipStream_tbENKUlT_T0_E_clISt17integral_constantIbLb1EESZ_EEDaSU_SV_EUlSU_E_NS1_11comp_targetILNS1_3genE0ELNS1_11target_archE4294967295ELNS1_3gpuE0ELNS1_3repE0EEENS1_30default_config_static_selectorELNS0_4arch9wavefront6targetE0EEEvT1_.private_seg_size, 0
	.set _ZN7rocprim17ROCPRIM_400000_NS6detail17trampoline_kernelINS0_14default_configENS1_27scan_by_key_config_selectorIssEEZZNS1_16scan_by_key_implILNS1_25lookback_scan_determinismE0ELb1ES3_N6thrust23THRUST_200600_302600_NS6detail15normal_iteratorINS9_10device_ptrIsEEEESE_SE_sNS9_10multipliesIsEENS9_8equal_toIsEEsEE10hipError_tPvRmT2_T3_T4_T5_mT6_T7_P12ihipStream_tbENKUlT_T0_E_clISt17integral_constantIbLb1EESZ_EEDaSU_SV_EUlSU_E_NS1_11comp_targetILNS1_3genE0ELNS1_11target_archE4294967295ELNS1_3gpuE0ELNS1_3repE0EEENS1_30default_config_static_selectorELNS0_4arch9wavefront6targetE0EEEvT1_.uses_vcc, 0
	.set _ZN7rocprim17ROCPRIM_400000_NS6detail17trampoline_kernelINS0_14default_configENS1_27scan_by_key_config_selectorIssEEZZNS1_16scan_by_key_implILNS1_25lookback_scan_determinismE0ELb1ES3_N6thrust23THRUST_200600_302600_NS6detail15normal_iteratorINS9_10device_ptrIsEEEESE_SE_sNS9_10multipliesIsEENS9_8equal_toIsEEsEE10hipError_tPvRmT2_T3_T4_T5_mT6_T7_P12ihipStream_tbENKUlT_T0_E_clISt17integral_constantIbLb1EESZ_EEDaSU_SV_EUlSU_E_NS1_11comp_targetILNS1_3genE0ELNS1_11target_archE4294967295ELNS1_3gpuE0ELNS1_3repE0EEENS1_30default_config_static_selectorELNS0_4arch9wavefront6targetE0EEEvT1_.uses_flat_scratch, 0
	.set _ZN7rocprim17ROCPRIM_400000_NS6detail17trampoline_kernelINS0_14default_configENS1_27scan_by_key_config_selectorIssEEZZNS1_16scan_by_key_implILNS1_25lookback_scan_determinismE0ELb1ES3_N6thrust23THRUST_200600_302600_NS6detail15normal_iteratorINS9_10device_ptrIsEEEESE_SE_sNS9_10multipliesIsEENS9_8equal_toIsEEsEE10hipError_tPvRmT2_T3_T4_T5_mT6_T7_P12ihipStream_tbENKUlT_T0_E_clISt17integral_constantIbLb1EESZ_EEDaSU_SV_EUlSU_E_NS1_11comp_targetILNS1_3genE0ELNS1_11target_archE4294967295ELNS1_3gpuE0ELNS1_3repE0EEENS1_30default_config_static_selectorELNS0_4arch9wavefront6targetE0EEEvT1_.has_dyn_sized_stack, 0
	.set _ZN7rocprim17ROCPRIM_400000_NS6detail17trampoline_kernelINS0_14default_configENS1_27scan_by_key_config_selectorIssEEZZNS1_16scan_by_key_implILNS1_25lookback_scan_determinismE0ELb1ES3_N6thrust23THRUST_200600_302600_NS6detail15normal_iteratorINS9_10device_ptrIsEEEESE_SE_sNS9_10multipliesIsEENS9_8equal_toIsEEsEE10hipError_tPvRmT2_T3_T4_T5_mT6_T7_P12ihipStream_tbENKUlT_T0_E_clISt17integral_constantIbLb1EESZ_EEDaSU_SV_EUlSU_E_NS1_11comp_targetILNS1_3genE0ELNS1_11target_archE4294967295ELNS1_3gpuE0ELNS1_3repE0EEENS1_30default_config_static_selectorELNS0_4arch9wavefront6targetE0EEEvT1_.has_recursion, 0
	.set _ZN7rocprim17ROCPRIM_400000_NS6detail17trampoline_kernelINS0_14default_configENS1_27scan_by_key_config_selectorIssEEZZNS1_16scan_by_key_implILNS1_25lookback_scan_determinismE0ELb1ES3_N6thrust23THRUST_200600_302600_NS6detail15normal_iteratorINS9_10device_ptrIsEEEESE_SE_sNS9_10multipliesIsEENS9_8equal_toIsEEsEE10hipError_tPvRmT2_T3_T4_T5_mT6_T7_P12ihipStream_tbENKUlT_T0_E_clISt17integral_constantIbLb1EESZ_EEDaSU_SV_EUlSU_E_NS1_11comp_targetILNS1_3genE0ELNS1_11target_archE4294967295ELNS1_3gpuE0ELNS1_3repE0EEENS1_30default_config_static_selectorELNS0_4arch9wavefront6targetE0EEEvT1_.has_indirect_call, 0
	.section	.AMDGPU.csdata,"",@progbits
; Kernel info:
; codeLenInByte = 0
; TotalNumSgprs: 0
; NumVgprs: 0
; ScratchSize: 0
; MemoryBound: 0
; FloatMode: 240
; IeeeMode: 1
; LDSByteSize: 0 bytes/workgroup (compile time only)
; SGPRBlocks: 0
; VGPRBlocks: 0
; NumSGPRsForWavesPerEU: 1
; NumVGPRsForWavesPerEU: 1
; Occupancy: 16
; WaveLimiterHint : 0
; COMPUTE_PGM_RSRC2:SCRATCH_EN: 0
; COMPUTE_PGM_RSRC2:USER_SGPR: 6
; COMPUTE_PGM_RSRC2:TRAP_HANDLER: 0
; COMPUTE_PGM_RSRC2:TGID_X_EN: 1
; COMPUTE_PGM_RSRC2:TGID_Y_EN: 0
; COMPUTE_PGM_RSRC2:TGID_Z_EN: 0
; COMPUTE_PGM_RSRC2:TIDIG_COMP_CNT: 0
	.section	.text._ZN7rocprim17ROCPRIM_400000_NS6detail17trampoline_kernelINS0_14default_configENS1_27scan_by_key_config_selectorIssEEZZNS1_16scan_by_key_implILNS1_25lookback_scan_determinismE0ELb1ES3_N6thrust23THRUST_200600_302600_NS6detail15normal_iteratorINS9_10device_ptrIsEEEESE_SE_sNS9_10multipliesIsEENS9_8equal_toIsEEsEE10hipError_tPvRmT2_T3_T4_T5_mT6_T7_P12ihipStream_tbENKUlT_T0_E_clISt17integral_constantIbLb1EESZ_EEDaSU_SV_EUlSU_E_NS1_11comp_targetILNS1_3genE10ELNS1_11target_archE1201ELNS1_3gpuE5ELNS1_3repE0EEENS1_30default_config_static_selectorELNS0_4arch9wavefront6targetE0EEEvT1_,"axG",@progbits,_ZN7rocprim17ROCPRIM_400000_NS6detail17trampoline_kernelINS0_14default_configENS1_27scan_by_key_config_selectorIssEEZZNS1_16scan_by_key_implILNS1_25lookback_scan_determinismE0ELb1ES3_N6thrust23THRUST_200600_302600_NS6detail15normal_iteratorINS9_10device_ptrIsEEEESE_SE_sNS9_10multipliesIsEENS9_8equal_toIsEEsEE10hipError_tPvRmT2_T3_T4_T5_mT6_T7_P12ihipStream_tbENKUlT_T0_E_clISt17integral_constantIbLb1EESZ_EEDaSU_SV_EUlSU_E_NS1_11comp_targetILNS1_3genE10ELNS1_11target_archE1201ELNS1_3gpuE5ELNS1_3repE0EEENS1_30default_config_static_selectorELNS0_4arch9wavefront6targetE0EEEvT1_,comdat
	.protected	_ZN7rocprim17ROCPRIM_400000_NS6detail17trampoline_kernelINS0_14default_configENS1_27scan_by_key_config_selectorIssEEZZNS1_16scan_by_key_implILNS1_25lookback_scan_determinismE0ELb1ES3_N6thrust23THRUST_200600_302600_NS6detail15normal_iteratorINS9_10device_ptrIsEEEESE_SE_sNS9_10multipliesIsEENS9_8equal_toIsEEsEE10hipError_tPvRmT2_T3_T4_T5_mT6_T7_P12ihipStream_tbENKUlT_T0_E_clISt17integral_constantIbLb1EESZ_EEDaSU_SV_EUlSU_E_NS1_11comp_targetILNS1_3genE10ELNS1_11target_archE1201ELNS1_3gpuE5ELNS1_3repE0EEENS1_30default_config_static_selectorELNS0_4arch9wavefront6targetE0EEEvT1_ ; -- Begin function _ZN7rocprim17ROCPRIM_400000_NS6detail17trampoline_kernelINS0_14default_configENS1_27scan_by_key_config_selectorIssEEZZNS1_16scan_by_key_implILNS1_25lookback_scan_determinismE0ELb1ES3_N6thrust23THRUST_200600_302600_NS6detail15normal_iteratorINS9_10device_ptrIsEEEESE_SE_sNS9_10multipliesIsEENS9_8equal_toIsEEsEE10hipError_tPvRmT2_T3_T4_T5_mT6_T7_P12ihipStream_tbENKUlT_T0_E_clISt17integral_constantIbLb1EESZ_EEDaSU_SV_EUlSU_E_NS1_11comp_targetILNS1_3genE10ELNS1_11target_archE1201ELNS1_3gpuE5ELNS1_3repE0EEENS1_30default_config_static_selectorELNS0_4arch9wavefront6targetE0EEEvT1_
	.globl	_ZN7rocprim17ROCPRIM_400000_NS6detail17trampoline_kernelINS0_14default_configENS1_27scan_by_key_config_selectorIssEEZZNS1_16scan_by_key_implILNS1_25lookback_scan_determinismE0ELb1ES3_N6thrust23THRUST_200600_302600_NS6detail15normal_iteratorINS9_10device_ptrIsEEEESE_SE_sNS9_10multipliesIsEENS9_8equal_toIsEEsEE10hipError_tPvRmT2_T3_T4_T5_mT6_T7_P12ihipStream_tbENKUlT_T0_E_clISt17integral_constantIbLb1EESZ_EEDaSU_SV_EUlSU_E_NS1_11comp_targetILNS1_3genE10ELNS1_11target_archE1201ELNS1_3gpuE5ELNS1_3repE0EEENS1_30default_config_static_selectorELNS0_4arch9wavefront6targetE0EEEvT1_
	.p2align	8
	.type	_ZN7rocprim17ROCPRIM_400000_NS6detail17trampoline_kernelINS0_14default_configENS1_27scan_by_key_config_selectorIssEEZZNS1_16scan_by_key_implILNS1_25lookback_scan_determinismE0ELb1ES3_N6thrust23THRUST_200600_302600_NS6detail15normal_iteratorINS9_10device_ptrIsEEEESE_SE_sNS9_10multipliesIsEENS9_8equal_toIsEEsEE10hipError_tPvRmT2_T3_T4_T5_mT6_T7_P12ihipStream_tbENKUlT_T0_E_clISt17integral_constantIbLb1EESZ_EEDaSU_SV_EUlSU_E_NS1_11comp_targetILNS1_3genE10ELNS1_11target_archE1201ELNS1_3gpuE5ELNS1_3repE0EEENS1_30default_config_static_selectorELNS0_4arch9wavefront6targetE0EEEvT1_,@function
_ZN7rocprim17ROCPRIM_400000_NS6detail17trampoline_kernelINS0_14default_configENS1_27scan_by_key_config_selectorIssEEZZNS1_16scan_by_key_implILNS1_25lookback_scan_determinismE0ELb1ES3_N6thrust23THRUST_200600_302600_NS6detail15normal_iteratorINS9_10device_ptrIsEEEESE_SE_sNS9_10multipliesIsEENS9_8equal_toIsEEsEE10hipError_tPvRmT2_T3_T4_T5_mT6_T7_P12ihipStream_tbENKUlT_T0_E_clISt17integral_constantIbLb1EESZ_EEDaSU_SV_EUlSU_E_NS1_11comp_targetILNS1_3genE10ELNS1_11target_archE1201ELNS1_3gpuE5ELNS1_3repE0EEENS1_30default_config_static_selectorELNS0_4arch9wavefront6targetE0EEEvT1_: ; @_ZN7rocprim17ROCPRIM_400000_NS6detail17trampoline_kernelINS0_14default_configENS1_27scan_by_key_config_selectorIssEEZZNS1_16scan_by_key_implILNS1_25lookback_scan_determinismE0ELb1ES3_N6thrust23THRUST_200600_302600_NS6detail15normal_iteratorINS9_10device_ptrIsEEEESE_SE_sNS9_10multipliesIsEENS9_8equal_toIsEEsEE10hipError_tPvRmT2_T3_T4_T5_mT6_T7_P12ihipStream_tbENKUlT_T0_E_clISt17integral_constantIbLb1EESZ_EEDaSU_SV_EUlSU_E_NS1_11comp_targetILNS1_3genE10ELNS1_11target_archE1201ELNS1_3gpuE5ELNS1_3repE0EEENS1_30default_config_static_selectorELNS0_4arch9wavefront6targetE0EEEvT1_
; %bb.0:
	.section	.rodata,"a",@progbits
	.p2align	6, 0x0
	.amdhsa_kernel _ZN7rocprim17ROCPRIM_400000_NS6detail17trampoline_kernelINS0_14default_configENS1_27scan_by_key_config_selectorIssEEZZNS1_16scan_by_key_implILNS1_25lookback_scan_determinismE0ELb1ES3_N6thrust23THRUST_200600_302600_NS6detail15normal_iteratorINS9_10device_ptrIsEEEESE_SE_sNS9_10multipliesIsEENS9_8equal_toIsEEsEE10hipError_tPvRmT2_T3_T4_T5_mT6_T7_P12ihipStream_tbENKUlT_T0_E_clISt17integral_constantIbLb1EESZ_EEDaSU_SV_EUlSU_E_NS1_11comp_targetILNS1_3genE10ELNS1_11target_archE1201ELNS1_3gpuE5ELNS1_3repE0EEENS1_30default_config_static_selectorELNS0_4arch9wavefront6targetE0EEEvT1_
		.amdhsa_group_segment_fixed_size 0
		.amdhsa_private_segment_fixed_size 0
		.amdhsa_kernarg_size 112
		.amdhsa_user_sgpr_count 6
		.amdhsa_user_sgpr_private_segment_buffer 1
		.amdhsa_user_sgpr_dispatch_ptr 0
		.amdhsa_user_sgpr_queue_ptr 0
		.amdhsa_user_sgpr_kernarg_segment_ptr 1
		.amdhsa_user_sgpr_dispatch_id 0
		.amdhsa_user_sgpr_flat_scratch_init 0
		.amdhsa_user_sgpr_private_segment_size 0
		.amdhsa_wavefront_size32 1
		.amdhsa_uses_dynamic_stack 0
		.amdhsa_system_sgpr_private_segment_wavefront_offset 0
		.amdhsa_system_sgpr_workgroup_id_x 1
		.amdhsa_system_sgpr_workgroup_id_y 0
		.amdhsa_system_sgpr_workgroup_id_z 0
		.amdhsa_system_sgpr_workgroup_info 0
		.amdhsa_system_vgpr_workitem_id 0
		.amdhsa_next_free_vgpr 1
		.amdhsa_next_free_sgpr 1
		.amdhsa_reserve_vcc 0
		.amdhsa_reserve_flat_scratch 0
		.amdhsa_float_round_mode_32 0
		.amdhsa_float_round_mode_16_64 0
		.amdhsa_float_denorm_mode_32 3
		.amdhsa_float_denorm_mode_16_64 3
		.amdhsa_dx10_clamp 1
		.amdhsa_ieee_mode 1
		.amdhsa_fp16_overflow 0
		.amdhsa_workgroup_processor_mode 1
		.amdhsa_memory_ordered 1
		.amdhsa_forward_progress 1
		.amdhsa_shared_vgpr_count 0
		.amdhsa_exception_fp_ieee_invalid_op 0
		.amdhsa_exception_fp_denorm_src 0
		.amdhsa_exception_fp_ieee_div_zero 0
		.amdhsa_exception_fp_ieee_overflow 0
		.amdhsa_exception_fp_ieee_underflow 0
		.amdhsa_exception_fp_ieee_inexact 0
		.amdhsa_exception_int_div_zero 0
	.end_amdhsa_kernel
	.section	.text._ZN7rocprim17ROCPRIM_400000_NS6detail17trampoline_kernelINS0_14default_configENS1_27scan_by_key_config_selectorIssEEZZNS1_16scan_by_key_implILNS1_25lookback_scan_determinismE0ELb1ES3_N6thrust23THRUST_200600_302600_NS6detail15normal_iteratorINS9_10device_ptrIsEEEESE_SE_sNS9_10multipliesIsEENS9_8equal_toIsEEsEE10hipError_tPvRmT2_T3_T4_T5_mT6_T7_P12ihipStream_tbENKUlT_T0_E_clISt17integral_constantIbLb1EESZ_EEDaSU_SV_EUlSU_E_NS1_11comp_targetILNS1_3genE10ELNS1_11target_archE1201ELNS1_3gpuE5ELNS1_3repE0EEENS1_30default_config_static_selectorELNS0_4arch9wavefront6targetE0EEEvT1_,"axG",@progbits,_ZN7rocprim17ROCPRIM_400000_NS6detail17trampoline_kernelINS0_14default_configENS1_27scan_by_key_config_selectorIssEEZZNS1_16scan_by_key_implILNS1_25lookback_scan_determinismE0ELb1ES3_N6thrust23THRUST_200600_302600_NS6detail15normal_iteratorINS9_10device_ptrIsEEEESE_SE_sNS9_10multipliesIsEENS9_8equal_toIsEEsEE10hipError_tPvRmT2_T3_T4_T5_mT6_T7_P12ihipStream_tbENKUlT_T0_E_clISt17integral_constantIbLb1EESZ_EEDaSU_SV_EUlSU_E_NS1_11comp_targetILNS1_3genE10ELNS1_11target_archE1201ELNS1_3gpuE5ELNS1_3repE0EEENS1_30default_config_static_selectorELNS0_4arch9wavefront6targetE0EEEvT1_,comdat
.Lfunc_end615:
	.size	_ZN7rocprim17ROCPRIM_400000_NS6detail17trampoline_kernelINS0_14default_configENS1_27scan_by_key_config_selectorIssEEZZNS1_16scan_by_key_implILNS1_25lookback_scan_determinismE0ELb1ES3_N6thrust23THRUST_200600_302600_NS6detail15normal_iteratorINS9_10device_ptrIsEEEESE_SE_sNS9_10multipliesIsEENS9_8equal_toIsEEsEE10hipError_tPvRmT2_T3_T4_T5_mT6_T7_P12ihipStream_tbENKUlT_T0_E_clISt17integral_constantIbLb1EESZ_EEDaSU_SV_EUlSU_E_NS1_11comp_targetILNS1_3genE10ELNS1_11target_archE1201ELNS1_3gpuE5ELNS1_3repE0EEENS1_30default_config_static_selectorELNS0_4arch9wavefront6targetE0EEEvT1_, .Lfunc_end615-_ZN7rocprim17ROCPRIM_400000_NS6detail17trampoline_kernelINS0_14default_configENS1_27scan_by_key_config_selectorIssEEZZNS1_16scan_by_key_implILNS1_25lookback_scan_determinismE0ELb1ES3_N6thrust23THRUST_200600_302600_NS6detail15normal_iteratorINS9_10device_ptrIsEEEESE_SE_sNS9_10multipliesIsEENS9_8equal_toIsEEsEE10hipError_tPvRmT2_T3_T4_T5_mT6_T7_P12ihipStream_tbENKUlT_T0_E_clISt17integral_constantIbLb1EESZ_EEDaSU_SV_EUlSU_E_NS1_11comp_targetILNS1_3genE10ELNS1_11target_archE1201ELNS1_3gpuE5ELNS1_3repE0EEENS1_30default_config_static_selectorELNS0_4arch9wavefront6targetE0EEEvT1_
                                        ; -- End function
	.set _ZN7rocprim17ROCPRIM_400000_NS6detail17trampoline_kernelINS0_14default_configENS1_27scan_by_key_config_selectorIssEEZZNS1_16scan_by_key_implILNS1_25lookback_scan_determinismE0ELb1ES3_N6thrust23THRUST_200600_302600_NS6detail15normal_iteratorINS9_10device_ptrIsEEEESE_SE_sNS9_10multipliesIsEENS9_8equal_toIsEEsEE10hipError_tPvRmT2_T3_T4_T5_mT6_T7_P12ihipStream_tbENKUlT_T0_E_clISt17integral_constantIbLb1EESZ_EEDaSU_SV_EUlSU_E_NS1_11comp_targetILNS1_3genE10ELNS1_11target_archE1201ELNS1_3gpuE5ELNS1_3repE0EEENS1_30default_config_static_selectorELNS0_4arch9wavefront6targetE0EEEvT1_.num_vgpr, 0
	.set _ZN7rocprim17ROCPRIM_400000_NS6detail17trampoline_kernelINS0_14default_configENS1_27scan_by_key_config_selectorIssEEZZNS1_16scan_by_key_implILNS1_25lookback_scan_determinismE0ELb1ES3_N6thrust23THRUST_200600_302600_NS6detail15normal_iteratorINS9_10device_ptrIsEEEESE_SE_sNS9_10multipliesIsEENS9_8equal_toIsEEsEE10hipError_tPvRmT2_T3_T4_T5_mT6_T7_P12ihipStream_tbENKUlT_T0_E_clISt17integral_constantIbLb1EESZ_EEDaSU_SV_EUlSU_E_NS1_11comp_targetILNS1_3genE10ELNS1_11target_archE1201ELNS1_3gpuE5ELNS1_3repE0EEENS1_30default_config_static_selectorELNS0_4arch9wavefront6targetE0EEEvT1_.num_agpr, 0
	.set _ZN7rocprim17ROCPRIM_400000_NS6detail17trampoline_kernelINS0_14default_configENS1_27scan_by_key_config_selectorIssEEZZNS1_16scan_by_key_implILNS1_25lookback_scan_determinismE0ELb1ES3_N6thrust23THRUST_200600_302600_NS6detail15normal_iteratorINS9_10device_ptrIsEEEESE_SE_sNS9_10multipliesIsEENS9_8equal_toIsEEsEE10hipError_tPvRmT2_T3_T4_T5_mT6_T7_P12ihipStream_tbENKUlT_T0_E_clISt17integral_constantIbLb1EESZ_EEDaSU_SV_EUlSU_E_NS1_11comp_targetILNS1_3genE10ELNS1_11target_archE1201ELNS1_3gpuE5ELNS1_3repE0EEENS1_30default_config_static_selectorELNS0_4arch9wavefront6targetE0EEEvT1_.numbered_sgpr, 0
	.set _ZN7rocprim17ROCPRIM_400000_NS6detail17trampoline_kernelINS0_14default_configENS1_27scan_by_key_config_selectorIssEEZZNS1_16scan_by_key_implILNS1_25lookback_scan_determinismE0ELb1ES3_N6thrust23THRUST_200600_302600_NS6detail15normal_iteratorINS9_10device_ptrIsEEEESE_SE_sNS9_10multipliesIsEENS9_8equal_toIsEEsEE10hipError_tPvRmT2_T3_T4_T5_mT6_T7_P12ihipStream_tbENKUlT_T0_E_clISt17integral_constantIbLb1EESZ_EEDaSU_SV_EUlSU_E_NS1_11comp_targetILNS1_3genE10ELNS1_11target_archE1201ELNS1_3gpuE5ELNS1_3repE0EEENS1_30default_config_static_selectorELNS0_4arch9wavefront6targetE0EEEvT1_.num_named_barrier, 0
	.set _ZN7rocprim17ROCPRIM_400000_NS6detail17trampoline_kernelINS0_14default_configENS1_27scan_by_key_config_selectorIssEEZZNS1_16scan_by_key_implILNS1_25lookback_scan_determinismE0ELb1ES3_N6thrust23THRUST_200600_302600_NS6detail15normal_iteratorINS9_10device_ptrIsEEEESE_SE_sNS9_10multipliesIsEENS9_8equal_toIsEEsEE10hipError_tPvRmT2_T3_T4_T5_mT6_T7_P12ihipStream_tbENKUlT_T0_E_clISt17integral_constantIbLb1EESZ_EEDaSU_SV_EUlSU_E_NS1_11comp_targetILNS1_3genE10ELNS1_11target_archE1201ELNS1_3gpuE5ELNS1_3repE0EEENS1_30default_config_static_selectorELNS0_4arch9wavefront6targetE0EEEvT1_.private_seg_size, 0
	.set _ZN7rocprim17ROCPRIM_400000_NS6detail17trampoline_kernelINS0_14default_configENS1_27scan_by_key_config_selectorIssEEZZNS1_16scan_by_key_implILNS1_25lookback_scan_determinismE0ELb1ES3_N6thrust23THRUST_200600_302600_NS6detail15normal_iteratorINS9_10device_ptrIsEEEESE_SE_sNS9_10multipliesIsEENS9_8equal_toIsEEsEE10hipError_tPvRmT2_T3_T4_T5_mT6_T7_P12ihipStream_tbENKUlT_T0_E_clISt17integral_constantIbLb1EESZ_EEDaSU_SV_EUlSU_E_NS1_11comp_targetILNS1_3genE10ELNS1_11target_archE1201ELNS1_3gpuE5ELNS1_3repE0EEENS1_30default_config_static_selectorELNS0_4arch9wavefront6targetE0EEEvT1_.uses_vcc, 0
	.set _ZN7rocprim17ROCPRIM_400000_NS6detail17trampoline_kernelINS0_14default_configENS1_27scan_by_key_config_selectorIssEEZZNS1_16scan_by_key_implILNS1_25lookback_scan_determinismE0ELb1ES3_N6thrust23THRUST_200600_302600_NS6detail15normal_iteratorINS9_10device_ptrIsEEEESE_SE_sNS9_10multipliesIsEENS9_8equal_toIsEEsEE10hipError_tPvRmT2_T3_T4_T5_mT6_T7_P12ihipStream_tbENKUlT_T0_E_clISt17integral_constantIbLb1EESZ_EEDaSU_SV_EUlSU_E_NS1_11comp_targetILNS1_3genE10ELNS1_11target_archE1201ELNS1_3gpuE5ELNS1_3repE0EEENS1_30default_config_static_selectorELNS0_4arch9wavefront6targetE0EEEvT1_.uses_flat_scratch, 0
	.set _ZN7rocprim17ROCPRIM_400000_NS6detail17trampoline_kernelINS0_14default_configENS1_27scan_by_key_config_selectorIssEEZZNS1_16scan_by_key_implILNS1_25lookback_scan_determinismE0ELb1ES3_N6thrust23THRUST_200600_302600_NS6detail15normal_iteratorINS9_10device_ptrIsEEEESE_SE_sNS9_10multipliesIsEENS9_8equal_toIsEEsEE10hipError_tPvRmT2_T3_T4_T5_mT6_T7_P12ihipStream_tbENKUlT_T0_E_clISt17integral_constantIbLb1EESZ_EEDaSU_SV_EUlSU_E_NS1_11comp_targetILNS1_3genE10ELNS1_11target_archE1201ELNS1_3gpuE5ELNS1_3repE0EEENS1_30default_config_static_selectorELNS0_4arch9wavefront6targetE0EEEvT1_.has_dyn_sized_stack, 0
	.set _ZN7rocprim17ROCPRIM_400000_NS6detail17trampoline_kernelINS0_14default_configENS1_27scan_by_key_config_selectorIssEEZZNS1_16scan_by_key_implILNS1_25lookback_scan_determinismE0ELb1ES3_N6thrust23THRUST_200600_302600_NS6detail15normal_iteratorINS9_10device_ptrIsEEEESE_SE_sNS9_10multipliesIsEENS9_8equal_toIsEEsEE10hipError_tPvRmT2_T3_T4_T5_mT6_T7_P12ihipStream_tbENKUlT_T0_E_clISt17integral_constantIbLb1EESZ_EEDaSU_SV_EUlSU_E_NS1_11comp_targetILNS1_3genE10ELNS1_11target_archE1201ELNS1_3gpuE5ELNS1_3repE0EEENS1_30default_config_static_selectorELNS0_4arch9wavefront6targetE0EEEvT1_.has_recursion, 0
	.set _ZN7rocprim17ROCPRIM_400000_NS6detail17trampoline_kernelINS0_14default_configENS1_27scan_by_key_config_selectorIssEEZZNS1_16scan_by_key_implILNS1_25lookback_scan_determinismE0ELb1ES3_N6thrust23THRUST_200600_302600_NS6detail15normal_iteratorINS9_10device_ptrIsEEEESE_SE_sNS9_10multipliesIsEENS9_8equal_toIsEEsEE10hipError_tPvRmT2_T3_T4_T5_mT6_T7_P12ihipStream_tbENKUlT_T0_E_clISt17integral_constantIbLb1EESZ_EEDaSU_SV_EUlSU_E_NS1_11comp_targetILNS1_3genE10ELNS1_11target_archE1201ELNS1_3gpuE5ELNS1_3repE0EEENS1_30default_config_static_selectorELNS0_4arch9wavefront6targetE0EEEvT1_.has_indirect_call, 0
	.section	.AMDGPU.csdata,"",@progbits
; Kernel info:
; codeLenInByte = 0
; TotalNumSgprs: 0
; NumVgprs: 0
; ScratchSize: 0
; MemoryBound: 0
; FloatMode: 240
; IeeeMode: 1
; LDSByteSize: 0 bytes/workgroup (compile time only)
; SGPRBlocks: 0
; VGPRBlocks: 0
; NumSGPRsForWavesPerEU: 1
; NumVGPRsForWavesPerEU: 1
; Occupancy: 16
; WaveLimiterHint : 0
; COMPUTE_PGM_RSRC2:SCRATCH_EN: 0
; COMPUTE_PGM_RSRC2:USER_SGPR: 6
; COMPUTE_PGM_RSRC2:TRAP_HANDLER: 0
; COMPUTE_PGM_RSRC2:TGID_X_EN: 1
; COMPUTE_PGM_RSRC2:TGID_Y_EN: 0
; COMPUTE_PGM_RSRC2:TGID_Z_EN: 0
; COMPUTE_PGM_RSRC2:TIDIG_COMP_CNT: 0
	.section	.text._ZN7rocprim17ROCPRIM_400000_NS6detail17trampoline_kernelINS0_14default_configENS1_27scan_by_key_config_selectorIssEEZZNS1_16scan_by_key_implILNS1_25lookback_scan_determinismE0ELb1ES3_N6thrust23THRUST_200600_302600_NS6detail15normal_iteratorINS9_10device_ptrIsEEEESE_SE_sNS9_10multipliesIsEENS9_8equal_toIsEEsEE10hipError_tPvRmT2_T3_T4_T5_mT6_T7_P12ihipStream_tbENKUlT_T0_E_clISt17integral_constantIbLb1EESZ_EEDaSU_SV_EUlSU_E_NS1_11comp_targetILNS1_3genE5ELNS1_11target_archE942ELNS1_3gpuE9ELNS1_3repE0EEENS1_30default_config_static_selectorELNS0_4arch9wavefront6targetE0EEEvT1_,"axG",@progbits,_ZN7rocprim17ROCPRIM_400000_NS6detail17trampoline_kernelINS0_14default_configENS1_27scan_by_key_config_selectorIssEEZZNS1_16scan_by_key_implILNS1_25lookback_scan_determinismE0ELb1ES3_N6thrust23THRUST_200600_302600_NS6detail15normal_iteratorINS9_10device_ptrIsEEEESE_SE_sNS9_10multipliesIsEENS9_8equal_toIsEEsEE10hipError_tPvRmT2_T3_T4_T5_mT6_T7_P12ihipStream_tbENKUlT_T0_E_clISt17integral_constantIbLb1EESZ_EEDaSU_SV_EUlSU_E_NS1_11comp_targetILNS1_3genE5ELNS1_11target_archE942ELNS1_3gpuE9ELNS1_3repE0EEENS1_30default_config_static_selectorELNS0_4arch9wavefront6targetE0EEEvT1_,comdat
	.protected	_ZN7rocprim17ROCPRIM_400000_NS6detail17trampoline_kernelINS0_14default_configENS1_27scan_by_key_config_selectorIssEEZZNS1_16scan_by_key_implILNS1_25lookback_scan_determinismE0ELb1ES3_N6thrust23THRUST_200600_302600_NS6detail15normal_iteratorINS9_10device_ptrIsEEEESE_SE_sNS9_10multipliesIsEENS9_8equal_toIsEEsEE10hipError_tPvRmT2_T3_T4_T5_mT6_T7_P12ihipStream_tbENKUlT_T0_E_clISt17integral_constantIbLb1EESZ_EEDaSU_SV_EUlSU_E_NS1_11comp_targetILNS1_3genE5ELNS1_11target_archE942ELNS1_3gpuE9ELNS1_3repE0EEENS1_30default_config_static_selectorELNS0_4arch9wavefront6targetE0EEEvT1_ ; -- Begin function _ZN7rocprim17ROCPRIM_400000_NS6detail17trampoline_kernelINS0_14default_configENS1_27scan_by_key_config_selectorIssEEZZNS1_16scan_by_key_implILNS1_25lookback_scan_determinismE0ELb1ES3_N6thrust23THRUST_200600_302600_NS6detail15normal_iteratorINS9_10device_ptrIsEEEESE_SE_sNS9_10multipliesIsEENS9_8equal_toIsEEsEE10hipError_tPvRmT2_T3_T4_T5_mT6_T7_P12ihipStream_tbENKUlT_T0_E_clISt17integral_constantIbLb1EESZ_EEDaSU_SV_EUlSU_E_NS1_11comp_targetILNS1_3genE5ELNS1_11target_archE942ELNS1_3gpuE9ELNS1_3repE0EEENS1_30default_config_static_selectorELNS0_4arch9wavefront6targetE0EEEvT1_
	.globl	_ZN7rocprim17ROCPRIM_400000_NS6detail17trampoline_kernelINS0_14default_configENS1_27scan_by_key_config_selectorIssEEZZNS1_16scan_by_key_implILNS1_25lookback_scan_determinismE0ELb1ES3_N6thrust23THRUST_200600_302600_NS6detail15normal_iteratorINS9_10device_ptrIsEEEESE_SE_sNS9_10multipliesIsEENS9_8equal_toIsEEsEE10hipError_tPvRmT2_T3_T4_T5_mT6_T7_P12ihipStream_tbENKUlT_T0_E_clISt17integral_constantIbLb1EESZ_EEDaSU_SV_EUlSU_E_NS1_11comp_targetILNS1_3genE5ELNS1_11target_archE942ELNS1_3gpuE9ELNS1_3repE0EEENS1_30default_config_static_selectorELNS0_4arch9wavefront6targetE0EEEvT1_
	.p2align	8
	.type	_ZN7rocprim17ROCPRIM_400000_NS6detail17trampoline_kernelINS0_14default_configENS1_27scan_by_key_config_selectorIssEEZZNS1_16scan_by_key_implILNS1_25lookback_scan_determinismE0ELb1ES3_N6thrust23THRUST_200600_302600_NS6detail15normal_iteratorINS9_10device_ptrIsEEEESE_SE_sNS9_10multipliesIsEENS9_8equal_toIsEEsEE10hipError_tPvRmT2_T3_T4_T5_mT6_T7_P12ihipStream_tbENKUlT_T0_E_clISt17integral_constantIbLb1EESZ_EEDaSU_SV_EUlSU_E_NS1_11comp_targetILNS1_3genE5ELNS1_11target_archE942ELNS1_3gpuE9ELNS1_3repE0EEENS1_30default_config_static_selectorELNS0_4arch9wavefront6targetE0EEEvT1_,@function
_ZN7rocprim17ROCPRIM_400000_NS6detail17trampoline_kernelINS0_14default_configENS1_27scan_by_key_config_selectorIssEEZZNS1_16scan_by_key_implILNS1_25lookback_scan_determinismE0ELb1ES3_N6thrust23THRUST_200600_302600_NS6detail15normal_iteratorINS9_10device_ptrIsEEEESE_SE_sNS9_10multipliesIsEENS9_8equal_toIsEEsEE10hipError_tPvRmT2_T3_T4_T5_mT6_T7_P12ihipStream_tbENKUlT_T0_E_clISt17integral_constantIbLb1EESZ_EEDaSU_SV_EUlSU_E_NS1_11comp_targetILNS1_3genE5ELNS1_11target_archE942ELNS1_3gpuE9ELNS1_3repE0EEENS1_30default_config_static_selectorELNS0_4arch9wavefront6targetE0EEEvT1_: ; @_ZN7rocprim17ROCPRIM_400000_NS6detail17trampoline_kernelINS0_14default_configENS1_27scan_by_key_config_selectorIssEEZZNS1_16scan_by_key_implILNS1_25lookback_scan_determinismE0ELb1ES3_N6thrust23THRUST_200600_302600_NS6detail15normal_iteratorINS9_10device_ptrIsEEEESE_SE_sNS9_10multipliesIsEENS9_8equal_toIsEEsEE10hipError_tPvRmT2_T3_T4_T5_mT6_T7_P12ihipStream_tbENKUlT_T0_E_clISt17integral_constantIbLb1EESZ_EEDaSU_SV_EUlSU_E_NS1_11comp_targetILNS1_3genE5ELNS1_11target_archE942ELNS1_3gpuE9ELNS1_3repE0EEENS1_30default_config_static_selectorELNS0_4arch9wavefront6targetE0EEEvT1_
; %bb.0:
	.section	.rodata,"a",@progbits
	.p2align	6, 0x0
	.amdhsa_kernel _ZN7rocprim17ROCPRIM_400000_NS6detail17trampoline_kernelINS0_14default_configENS1_27scan_by_key_config_selectorIssEEZZNS1_16scan_by_key_implILNS1_25lookback_scan_determinismE0ELb1ES3_N6thrust23THRUST_200600_302600_NS6detail15normal_iteratorINS9_10device_ptrIsEEEESE_SE_sNS9_10multipliesIsEENS9_8equal_toIsEEsEE10hipError_tPvRmT2_T3_T4_T5_mT6_T7_P12ihipStream_tbENKUlT_T0_E_clISt17integral_constantIbLb1EESZ_EEDaSU_SV_EUlSU_E_NS1_11comp_targetILNS1_3genE5ELNS1_11target_archE942ELNS1_3gpuE9ELNS1_3repE0EEENS1_30default_config_static_selectorELNS0_4arch9wavefront6targetE0EEEvT1_
		.amdhsa_group_segment_fixed_size 0
		.amdhsa_private_segment_fixed_size 0
		.amdhsa_kernarg_size 112
		.amdhsa_user_sgpr_count 6
		.amdhsa_user_sgpr_private_segment_buffer 1
		.amdhsa_user_sgpr_dispatch_ptr 0
		.amdhsa_user_sgpr_queue_ptr 0
		.amdhsa_user_sgpr_kernarg_segment_ptr 1
		.amdhsa_user_sgpr_dispatch_id 0
		.amdhsa_user_sgpr_flat_scratch_init 0
		.amdhsa_user_sgpr_private_segment_size 0
		.amdhsa_wavefront_size32 1
		.amdhsa_uses_dynamic_stack 0
		.amdhsa_system_sgpr_private_segment_wavefront_offset 0
		.amdhsa_system_sgpr_workgroup_id_x 1
		.amdhsa_system_sgpr_workgroup_id_y 0
		.amdhsa_system_sgpr_workgroup_id_z 0
		.amdhsa_system_sgpr_workgroup_info 0
		.amdhsa_system_vgpr_workitem_id 0
		.amdhsa_next_free_vgpr 1
		.amdhsa_next_free_sgpr 1
		.amdhsa_reserve_vcc 0
		.amdhsa_reserve_flat_scratch 0
		.amdhsa_float_round_mode_32 0
		.amdhsa_float_round_mode_16_64 0
		.amdhsa_float_denorm_mode_32 3
		.amdhsa_float_denorm_mode_16_64 3
		.amdhsa_dx10_clamp 1
		.amdhsa_ieee_mode 1
		.amdhsa_fp16_overflow 0
		.amdhsa_workgroup_processor_mode 1
		.amdhsa_memory_ordered 1
		.amdhsa_forward_progress 1
		.amdhsa_shared_vgpr_count 0
		.amdhsa_exception_fp_ieee_invalid_op 0
		.amdhsa_exception_fp_denorm_src 0
		.amdhsa_exception_fp_ieee_div_zero 0
		.amdhsa_exception_fp_ieee_overflow 0
		.amdhsa_exception_fp_ieee_underflow 0
		.amdhsa_exception_fp_ieee_inexact 0
		.amdhsa_exception_int_div_zero 0
	.end_amdhsa_kernel
	.section	.text._ZN7rocprim17ROCPRIM_400000_NS6detail17trampoline_kernelINS0_14default_configENS1_27scan_by_key_config_selectorIssEEZZNS1_16scan_by_key_implILNS1_25lookback_scan_determinismE0ELb1ES3_N6thrust23THRUST_200600_302600_NS6detail15normal_iteratorINS9_10device_ptrIsEEEESE_SE_sNS9_10multipliesIsEENS9_8equal_toIsEEsEE10hipError_tPvRmT2_T3_T4_T5_mT6_T7_P12ihipStream_tbENKUlT_T0_E_clISt17integral_constantIbLb1EESZ_EEDaSU_SV_EUlSU_E_NS1_11comp_targetILNS1_3genE5ELNS1_11target_archE942ELNS1_3gpuE9ELNS1_3repE0EEENS1_30default_config_static_selectorELNS0_4arch9wavefront6targetE0EEEvT1_,"axG",@progbits,_ZN7rocprim17ROCPRIM_400000_NS6detail17trampoline_kernelINS0_14default_configENS1_27scan_by_key_config_selectorIssEEZZNS1_16scan_by_key_implILNS1_25lookback_scan_determinismE0ELb1ES3_N6thrust23THRUST_200600_302600_NS6detail15normal_iteratorINS9_10device_ptrIsEEEESE_SE_sNS9_10multipliesIsEENS9_8equal_toIsEEsEE10hipError_tPvRmT2_T3_T4_T5_mT6_T7_P12ihipStream_tbENKUlT_T0_E_clISt17integral_constantIbLb1EESZ_EEDaSU_SV_EUlSU_E_NS1_11comp_targetILNS1_3genE5ELNS1_11target_archE942ELNS1_3gpuE9ELNS1_3repE0EEENS1_30default_config_static_selectorELNS0_4arch9wavefront6targetE0EEEvT1_,comdat
.Lfunc_end616:
	.size	_ZN7rocprim17ROCPRIM_400000_NS6detail17trampoline_kernelINS0_14default_configENS1_27scan_by_key_config_selectorIssEEZZNS1_16scan_by_key_implILNS1_25lookback_scan_determinismE0ELb1ES3_N6thrust23THRUST_200600_302600_NS6detail15normal_iteratorINS9_10device_ptrIsEEEESE_SE_sNS9_10multipliesIsEENS9_8equal_toIsEEsEE10hipError_tPvRmT2_T3_T4_T5_mT6_T7_P12ihipStream_tbENKUlT_T0_E_clISt17integral_constantIbLb1EESZ_EEDaSU_SV_EUlSU_E_NS1_11comp_targetILNS1_3genE5ELNS1_11target_archE942ELNS1_3gpuE9ELNS1_3repE0EEENS1_30default_config_static_selectorELNS0_4arch9wavefront6targetE0EEEvT1_, .Lfunc_end616-_ZN7rocprim17ROCPRIM_400000_NS6detail17trampoline_kernelINS0_14default_configENS1_27scan_by_key_config_selectorIssEEZZNS1_16scan_by_key_implILNS1_25lookback_scan_determinismE0ELb1ES3_N6thrust23THRUST_200600_302600_NS6detail15normal_iteratorINS9_10device_ptrIsEEEESE_SE_sNS9_10multipliesIsEENS9_8equal_toIsEEsEE10hipError_tPvRmT2_T3_T4_T5_mT6_T7_P12ihipStream_tbENKUlT_T0_E_clISt17integral_constantIbLb1EESZ_EEDaSU_SV_EUlSU_E_NS1_11comp_targetILNS1_3genE5ELNS1_11target_archE942ELNS1_3gpuE9ELNS1_3repE0EEENS1_30default_config_static_selectorELNS0_4arch9wavefront6targetE0EEEvT1_
                                        ; -- End function
	.set _ZN7rocprim17ROCPRIM_400000_NS6detail17trampoline_kernelINS0_14default_configENS1_27scan_by_key_config_selectorIssEEZZNS1_16scan_by_key_implILNS1_25lookback_scan_determinismE0ELb1ES3_N6thrust23THRUST_200600_302600_NS6detail15normal_iteratorINS9_10device_ptrIsEEEESE_SE_sNS9_10multipliesIsEENS9_8equal_toIsEEsEE10hipError_tPvRmT2_T3_T4_T5_mT6_T7_P12ihipStream_tbENKUlT_T0_E_clISt17integral_constantIbLb1EESZ_EEDaSU_SV_EUlSU_E_NS1_11comp_targetILNS1_3genE5ELNS1_11target_archE942ELNS1_3gpuE9ELNS1_3repE0EEENS1_30default_config_static_selectorELNS0_4arch9wavefront6targetE0EEEvT1_.num_vgpr, 0
	.set _ZN7rocprim17ROCPRIM_400000_NS6detail17trampoline_kernelINS0_14default_configENS1_27scan_by_key_config_selectorIssEEZZNS1_16scan_by_key_implILNS1_25lookback_scan_determinismE0ELb1ES3_N6thrust23THRUST_200600_302600_NS6detail15normal_iteratorINS9_10device_ptrIsEEEESE_SE_sNS9_10multipliesIsEENS9_8equal_toIsEEsEE10hipError_tPvRmT2_T3_T4_T5_mT6_T7_P12ihipStream_tbENKUlT_T0_E_clISt17integral_constantIbLb1EESZ_EEDaSU_SV_EUlSU_E_NS1_11comp_targetILNS1_3genE5ELNS1_11target_archE942ELNS1_3gpuE9ELNS1_3repE0EEENS1_30default_config_static_selectorELNS0_4arch9wavefront6targetE0EEEvT1_.num_agpr, 0
	.set _ZN7rocprim17ROCPRIM_400000_NS6detail17trampoline_kernelINS0_14default_configENS1_27scan_by_key_config_selectorIssEEZZNS1_16scan_by_key_implILNS1_25lookback_scan_determinismE0ELb1ES3_N6thrust23THRUST_200600_302600_NS6detail15normal_iteratorINS9_10device_ptrIsEEEESE_SE_sNS9_10multipliesIsEENS9_8equal_toIsEEsEE10hipError_tPvRmT2_T3_T4_T5_mT6_T7_P12ihipStream_tbENKUlT_T0_E_clISt17integral_constantIbLb1EESZ_EEDaSU_SV_EUlSU_E_NS1_11comp_targetILNS1_3genE5ELNS1_11target_archE942ELNS1_3gpuE9ELNS1_3repE0EEENS1_30default_config_static_selectorELNS0_4arch9wavefront6targetE0EEEvT1_.numbered_sgpr, 0
	.set _ZN7rocprim17ROCPRIM_400000_NS6detail17trampoline_kernelINS0_14default_configENS1_27scan_by_key_config_selectorIssEEZZNS1_16scan_by_key_implILNS1_25lookback_scan_determinismE0ELb1ES3_N6thrust23THRUST_200600_302600_NS6detail15normal_iteratorINS9_10device_ptrIsEEEESE_SE_sNS9_10multipliesIsEENS9_8equal_toIsEEsEE10hipError_tPvRmT2_T3_T4_T5_mT6_T7_P12ihipStream_tbENKUlT_T0_E_clISt17integral_constantIbLb1EESZ_EEDaSU_SV_EUlSU_E_NS1_11comp_targetILNS1_3genE5ELNS1_11target_archE942ELNS1_3gpuE9ELNS1_3repE0EEENS1_30default_config_static_selectorELNS0_4arch9wavefront6targetE0EEEvT1_.num_named_barrier, 0
	.set _ZN7rocprim17ROCPRIM_400000_NS6detail17trampoline_kernelINS0_14default_configENS1_27scan_by_key_config_selectorIssEEZZNS1_16scan_by_key_implILNS1_25lookback_scan_determinismE0ELb1ES3_N6thrust23THRUST_200600_302600_NS6detail15normal_iteratorINS9_10device_ptrIsEEEESE_SE_sNS9_10multipliesIsEENS9_8equal_toIsEEsEE10hipError_tPvRmT2_T3_T4_T5_mT6_T7_P12ihipStream_tbENKUlT_T0_E_clISt17integral_constantIbLb1EESZ_EEDaSU_SV_EUlSU_E_NS1_11comp_targetILNS1_3genE5ELNS1_11target_archE942ELNS1_3gpuE9ELNS1_3repE0EEENS1_30default_config_static_selectorELNS0_4arch9wavefront6targetE0EEEvT1_.private_seg_size, 0
	.set _ZN7rocprim17ROCPRIM_400000_NS6detail17trampoline_kernelINS0_14default_configENS1_27scan_by_key_config_selectorIssEEZZNS1_16scan_by_key_implILNS1_25lookback_scan_determinismE0ELb1ES3_N6thrust23THRUST_200600_302600_NS6detail15normal_iteratorINS9_10device_ptrIsEEEESE_SE_sNS9_10multipliesIsEENS9_8equal_toIsEEsEE10hipError_tPvRmT2_T3_T4_T5_mT6_T7_P12ihipStream_tbENKUlT_T0_E_clISt17integral_constantIbLb1EESZ_EEDaSU_SV_EUlSU_E_NS1_11comp_targetILNS1_3genE5ELNS1_11target_archE942ELNS1_3gpuE9ELNS1_3repE0EEENS1_30default_config_static_selectorELNS0_4arch9wavefront6targetE0EEEvT1_.uses_vcc, 0
	.set _ZN7rocprim17ROCPRIM_400000_NS6detail17trampoline_kernelINS0_14default_configENS1_27scan_by_key_config_selectorIssEEZZNS1_16scan_by_key_implILNS1_25lookback_scan_determinismE0ELb1ES3_N6thrust23THRUST_200600_302600_NS6detail15normal_iteratorINS9_10device_ptrIsEEEESE_SE_sNS9_10multipliesIsEENS9_8equal_toIsEEsEE10hipError_tPvRmT2_T3_T4_T5_mT6_T7_P12ihipStream_tbENKUlT_T0_E_clISt17integral_constantIbLb1EESZ_EEDaSU_SV_EUlSU_E_NS1_11comp_targetILNS1_3genE5ELNS1_11target_archE942ELNS1_3gpuE9ELNS1_3repE0EEENS1_30default_config_static_selectorELNS0_4arch9wavefront6targetE0EEEvT1_.uses_flat_scratch, 0
	.set _ZN7rocprim17ROCPRIM_400000_NS6detail17trampoline_kernelINS0_14default_configENS1_27scan_by_key_config_selectorIssEEZZNS1_16scan_by_key_implILNS1_25lookback_scan_determinismE0ELb1ES3_N6thrust23THRUST_200600_302600_NS6detail15normal_iteratorINS9_10device_ptrIsEEEESE_SE_sNS9_10multipliesIsEENS9_8equal_toIsEEsEE10hipError_tPvRmT2_T3_T4_T5_mT6_T7_P12ihipStream_tbENKUlT_T0_E_clISt17integral_constantIbLb1EESZ_EEDaSU_SV_EUlSU_E_NS1_11comp_targetILNS1_3genE5ELNS1_11target_archE942ELNS1_3gpuE9ELNS1_3repE0EEENS1_30default_config_static_selectorELNS0_4arch9wavefront6targetE0EEEvT1_.has_dyn_sized_stack, 0
	.set _ZN7rocprim17ROCPRIM_400000_NS6detail17trampoline_kernelINS0_14default_configENS1_27scan_by_key_config_selectorIssEEZZNS1_16scan_by_key_implILNS1_25lookback_scan_determinismE0ELb1ES3_N6thrust23THRUST_200600_302600_NS6detail15normal_iteratorINS9_10device_ptrIsEEEESE_SE_sNS9_10multipliesIsEENS9_8equal_toIsEEsEE10hipError_tPvRmT2_T3_T4_T5_mT6_T7_P12ihipStream_tbENKUlT_T0_E_clISt17integral_constantIbLb1EESZ_EEDaSU_SV_EUlSU_E_NS1_11comp_targetILNS1_3genE5ELNS1_11target_archE942ELNS1_3gpuE9ELNS1_3repE0EEENS1_30default_config_static_selectorELNS0_4arch9wavefront6targetE0EEEvT1_.has_recursion, 0
	.set _ZN7rocprim17ROCPRIM_400000_NS6detail17trampoline_kernelINS0_14default_configENS1_27scan_by_key_config_selectorIssEEZZNS1_16scan_by_key_implILNS1_25lookback_scan_determinismE0ELb1ES3_N6thrust23THRUST_200600_302600_NS6detail15normal_iteratorINS9_10device_ptrIsEEEESE_SE_sNS9_10multipliesIsEENS9_8equal_toIsEEsEE10hipError_tPvRmT2_T3_T4_T5_mT6_T7_P12ihipStream_tbENKUlT_T0_E_clISt17integral_constantIbLb1EESZ_EEDaSU_SV_EUlSU_E_NS1_11comp_targetILNS1_3genE5ELNS1_11target_archE942ELNS1_3gpuE9ELNS1_3repE0EEENS1_30default_config_static_selectorELNS0_4arch9wavefront6targetE0EEEvT1_.has_indirect_call, 0
	.section	.AMDGPU.csdata,"",@progbits
; Kernel info:
; codeLenInByte = 0
; TotalNumSgprs: 0
; NumVgprs: 0
; ScratchSize: 0
; MemoryBound: 0
; FloatMode: 240
; IeeeMode: 1
; LDSByteSize: 0 bytes/workgroup (compile time only)
; SGPRBlocks: 0
; VGPRBlocks: 0
; NumSGPRsForWavesPerEU: 1
; NumVGPRsForWavesPerEU: 1
; Occupancy: 16
; WaveLimiterHint : 0
; COMPUTE_PGM_RSRC2:SCRATCH_EN: 0
; COMPUTE_PGM_RSRC2:USER_SGPR: 6
; COMPUTE_PGM_RSRC2:TRAP_HANDLER: 0
; COMPUTE_PGM_RSRC2:TGID_X_EN: 1
; COMPUTE_PGM_RSRC2:TGID_Y_EN: 0
; COMPUTE_PGM_RSRC2:TGID_Z_EN: 0
; COMPUTE_PGM_RSRC2:TIDIG_COMP_CNT: 0
	.section	.text._ZN7rocprim17ROCPRIM_400000_NS6detail17trampoline_kernelINS0_14default_configENS1_27scan_by_key_config_selectorIssEEZZNS1_16scan_by_key_implILNS1_25lookback_scan_determinismE0ELb1ES3_N6thrust23THRUST_200600_302600_NS6detail15normal_iteratorINS9_10device_ptrIsEEEESE_SE_sNS9_10multipliesIsEENS9_8equal_toIsEEsEE10hipError_tPvRmT2_T3_T4_T5_mT6_T7_P12ihipStream_tbENKUlT_T0_E_clISt17integral_constantIbLb1EESZ_EEDaSU_SV_EUlSU_E_NS1_11comp_targetILNS1_3genE4ELNS1_11target_archE910ELNS1_3gpuE8ELNS1_3repE0EEENS1_30default_config_static_selectorELNS0_4arch9wavefront6targetE0EEEvT1_,"axG",@progbits,_ZN7rocprim17ROCPRIM_400000_NS6detail17trampoline_kernelINS0_14default_configENS1_27scan_by_key_config_selectorIssEEZZNS1_16scan_by_key_implILNS1_25lookback_scan_determinismE0ELb1ES3_N6thrust23THRUST_200600_302600_NS6detail15normal_iteratorINS9_10device_ptrIsEEEESE_SE_sNS9_10multipliesIsEENS9_8equal_toIsEEsEE10hipError_tPvRmT2_T3_T4_T5_mT6_T7_P12ihipStream_tbENKUlT_T0_E_clISt17integral_constantIbLb1EESZ_EEDaSU_SV_EUlSU_E_NS1_11comp_targetILNS1_3genE4ELNS1_11target_archE910ELNS1_3gpuE8ELNS1_3repE0EEENS1_30default_config_static_selectorELNS0_4arch9wavefront6targetE0EEEvT1_,comdat
	.protected	_ZN7rocprim17ROCPRIM_400000_NS6detail17trampoline_kernelINS0_14default_configENS1_27scan_by_key_config_selectorIssEEZZNS1_16scan_by_key_implILNS1_25lookback_scan_determinismE0ELb1ES3_N6thrust23THRUST_200600_302600_NS6detail15normal_iteratorINS9_10device_ptrIsEEEESE_SE_sNS9_10multipliesIsEENS9_8equal_toIsEEsEE10hipError_tPvRmT2_T3_T4_T5_mT6_T7_P12ihipStream_tbENKUlT_T0_E_clISt17integral_constantIbLb1EESZ_EEDaSU_SV_EUlSU_E_NS1_11comp_targetILNS1_3genE4ELNS1_11target_archE910ELNS1_3gpuE8ELNS1_3repE0EEENS1_30default_config_static_selectorELNS0_4arch9wavefront6targetE0EEEvT1_ ; -- Begin function _ZN7rocprim17ROCPRIM_400000_NS6detail17trampoline_kernelINS0_14default_configENS1_27scan_by_key_config_selectorIssEEZZNS1_16scan_by_key_implILNS1_25lookback_scan_determinismE0ELb1ES3_N6thrust23THRUST_200600_302600_NS6detail15normal_iteratorINS9_10device_ptrIsEEEESE_SE_sNS9_10multipliesIsEENS9_8equal_toIsEEsEE10hipError_tPvRmT2_T3_T4_T5_mT6_T7_P12ihipStream_tbENKUlT_T0_E_clISt17integral_constantIbLb1EESZ_EEDaSU_SV_EUlSU_E_NS1_11comp_targetILNS1_3genE4ELNS1_11target_archE910ELNS1_3gpuE8ELNS1_3repE0EEENS1_30default_config_static_selectorELNS0_4arch9wavefront6targetE0EEEvT1_
	.globl	_ZN7rocprim17ROCPRIM_400000_NS6detail17trampoline_kernelINS0_14default_configENS1_27scan_by_key_config_selectorIssEEZZNS1_16scan_by_key_implILNS1_25lookback_scan_determinismE0ELb1ES3_N6thrust23THRUST_200600_302600_NS6detail15normal_iteratorINS9_10device_ptrIsEEEESE_SE_sNS9_10multipliesIsEENS9_8equal_toIsEEsEE10hipError_tPvRmT2_T3_T4_T5_mT6_T7_P12ihipStream_tbENKUlT_T0_E_clISt17integral_constantIbLb1EESZ_EEDaSU_SV_EUlSU_E_NS1_11comp_targetILNS1_3genE4ELNS1_11target_archE910ELNS1_3gpuE8ELNS1_3repE0EEENS1_30default_config_static_selectorELNS0_4arch9wavefront6targetE0EEEvT1_
	.p2align	8
	.type	_ZN7rocprim17ROCPRIM_400000_NS6detail17trampoline_kernelINS0_14default_configENS1_27scan_by_key_config_selectorIssEEZZNS1_16scan_by_key_implILNS1_25lookback_scan_determinismE0ELb1ES3_N6thrust23THRUST_200600_302600_NS6detail15normal_iteratorINS9_10device_ptrIsEEEESE_SE_sNS9_10multipliesIsEENS9_8equal_toIsEEsEE10hipError_tPvRmT2_T3_T4_T5_mT6_T7_P12ihipStream_tbENKUlT_T0_E_clISt17integral_constantIbLb1EESZ_EEDaSU_SV_EUlSU_E_NS1_11comp_targetILNS1_3genE4ELNS1_11target_archE910ELNS1_3gpuE8ELNS1_3repE0EEENS1_30default_config_static_selectorELNS0_4arch9wavefront6targetE0EEEvT1_,@function
_ZN7rocprim17ROCPRIM_400000_NS6detail17trampoline_kernelINS0_14default_configENS1_27scan_by_key_config_selectorIssEEZZNS1_16scan_by_key_implILNS1_25lookback_scan_determinismE0ELb1ES3_N6thrust23THRUST_200600_302600_NS6detail15normal_iteratorINS9_10device_ptrIsEEEESE_SE_sNS9_10multipliesIsEENS9_8equal_toIsEEsEE10hipError_tPvRmT2_T3_T4_T5_mT6_T7_P12ihipStream_tbENKUlT_T0_E_clISt17integral_constantIbLb1EESZ_EEDaSU_SV_EUlSU_E_NS1_11comp_targetILNS1_3genE4ELNS1_11target_archE910ELNS1_3gpuE8ELNS1_3repE0EEENS1_30default_config_static_selectorELNS0_4arch9wavefront6targetE0EEEvT1_: ; @_ZN7rocprim17ROCPRIM_400000_NS6detail17trampoline_kernelINS0_14default_configENS1_27scan_by_key_config_selectorIssEEZZNS1_16scan_by_key_implILNS1_25lookback_scan_determinismE0ELb1ES3_N6thrust23THRUST_200600_302600_NS6detail15normal_iteratorINS9_10device_ptrIsEEEESE_SE_sNS9_10multipliesIsEENS9_8equal_toIsEEsEE10hipError_tPvRmT2_T3_T4_T5_mT6_T7_P12ihipStream_tbENKUlT_T0_E_clISt17integral_constantIbLb1EESZ_EEDaSU_SV_EUlSU_E_NS1_11comp_targetILNS1_3genE4ELNS1_11target_archE910ELNS1_3gpuE8ELNS1_3repE0EEENS1_30default_config_static_selectorELNS0_4arch9wavefront6targetE0EEEvT1_
; %bb.0:
	.section	.rodata,"a",@progbits
	.p2align	6, 0x0
	.amdhsa_kernel _ZN7rocprim17ROCPRIM_400000_NS6detail17trampoline_kernelINS0_14default_configENS1_27scan_by_key_config_selectorIssEEZZNS1_16scan_by_key_implILNS1_25lookback_scan_determinismE0ELb1ES3_N6thrust23THRUST_200600_302600_NS6detail15normal_iteratorINS9_10device_ptrIsEEEESE_SE_sNS9_10multipliesIsEENS9_8equal_toIsEEsEE10hipError_tPvRmT2_T3_T4_T5_mT6_T7_P12ihipStream_tbENKUlT_T0_E_clISt17integral_constantIbLb1EESZ_EEDaSU_SV_EUlSU_E_NS1_11comp_targetILNS1_3genE4ELNS1_11target_archE910ELNS1_3gpuE8ELNS1_3repE0EEENS1_30default_config_static_selectorELNS0_4arch9wavefront6targetE0EEEvT1_
		.amdhsa_group_segment_fixed_size 0
		.amdhsa_private_segment_fixed_size 0
		.amdhsa_kernarg_size 112
		.amdhsa_user_sgpr_count 6
		.amdhsa_user_sgpr_private_segment_buffer 1
		.amdhsa_user_sgpr_dispatch_ptr 0
		.amdhsa_user_sgpr_queue_ptr 0
		.amdhsa_user_sgpr_kernarg_segment_ptr 1
		.amdhsa_user_sgpr_dispatch_id 0
		.amdhsa_user_sgpr_flat_scratch_init 0
		.amdhsa_user_sgpr_private_segment_size 0
		.amdhsa_wavefront_size32 1
		.amdhsa_uses_dynamic_stack 0
		.amdhsa_system_sgpr_private_segment_wavefront_offset 0
		.amdhsa_system_sgpr_workgroup_id_x 1
		.amdhsa_system_sgpr_workgroup_id_y 0
		.amdhsa_system_sgpr_workgroup_id_z 0
		.amdhsa_system_sgpr_workgroup_info 0
		.amdhsa_system_vgpr_workitem_id 0
		.amdhsa_next_free_vgpr 1
		.amdhsa_next_free_sgpr 1
		.amdhsa_reserve_vcc 0
		.amdhsa_reserve_flat_scratch 0
		.amdhsa_float_round_mode_32 0
		.amdhsa_float_round_mode_16_64 0
		.amdhsa_float_denorm_mode_32 3
		.amdhsa_float_denorm_mode_16_64 3
		.amdhsa_dx10_clamp 1
		.amdhsa_ieee_mode 1
		.amdhsa_fp16_overflow 0
		.amdhsa_workgroup_processor_mode 1
		.amdhsa_memory_ordered 1
		.amdhsa_forward_progress 1
		.amdhsa_shared_vgpr_count 0
		.amdhsa_exception_fp_ieee_invalid_op 0
		.amdhsa_exception_fp_denorm_src 0
		.amdhsa_exception_fp_ieee_div_zero 0
		.amdhsa_exception_fp_ieee_overflow 0
		.amdhsa_exception_fp_ieee_underflow 0
		.amdhsa_exception_fp_ieee_inexact 0
		.amdhsa_exception_int_div_zero 0
	.end_amdhsa_kernel
	.section	.text._ZN7rocprim17ROCPRIM_400000_NS6detail17trampoline_kernelINS0_14default_configENS1_27scan_by_key_config_selectorIssEEZZNS1_16scan_by_key_implILNS1_25lookback_scan_determinismE0ELb1ES3_N6thrust23THRUST_200600_302600_NS6detail15normal_iteratorINS9_10device_ptrIsEEEESE_SE_sNS9_10multipliesIsEENS9_8equal_toIsEEsEE10hipError_tPvRmT2_T3_T4_T5_mT6_T7_P12ihipStream_tbENKUlT_T0_E_clISt17integral_constantIbLb1EESZ_EEDaSU_SV_EUlSU_E_NS1_11comp_targetILNS1_3genE4ELNS1_11target_archE910ELNS1_3gpuE8ELNS1_3repE0EEENS1_30default_config_static_selectorELNS0_4arch9wavefront6targetE0EEEvT1_,"axG",@progbits,_ZN7rocprim17ROCPRIM_400000_NS6detail17trampoline_kernelINS0_14default_configENS1_27scan_by_key_config_selectorIssEEZZNS1_16scan_by_key_implILNS1_25lookback_scan_determinismE0ELb1ES3_N6thrust23THRUST_200600_302600_NS6detail15normal_iteratorINS9_10device_ptrIsEEEESE_SE_sNS9_10multipliesIsEENS9_8equal_toIsEEsEE10hipError_tPvRmT2_T3_T4_T5_mT6_T7_P12ihipStream_tbENKUlT_T0_E_clISt17integral_constantIbLb1EESZ_EEDaSU_SV_EUlSU_E_NS1_11comp_targetILNS1_3genE4ELNS1_11target_archE910ELNS1_3gpuE8ELNS1_3repE0EEENS1_30default_config_static_selectorELNS0_4arch9wavefront6targetE0EEEvT1_,comdat
.Lfunc_end617:
	.size	_ZN7rocprim17ROCPRIM_400000_NS6detail17trampoline_kernelINS0_14default_configENS1_27scan_by_key_config_selectorIssEEZZNS1_16scan_by_key_implILNS1_25lookback_scan_determinismE0ELb1ES3_N6thrust23THRUST_200600_302600_NS6detail15normal_iteratorINS9_10device_ptrIsEEEESE_SE_sNS9_10multipliesIsEENS9_8equal_toIsEEsEE10hipError_tPvRmT2_T3_T4_T5_mT6_T7_P12ihipStream_tbENKUlT_T0_E_clISt17integral_constantIbLb1EESZ_EEDaSU_SV_EUlSU_E_NS1_11comp_targetILNS1_3genE4ELNS1_11target_archE910ELNS1_3gpuE8ELNS1_3repE0EEENS1_30default_config_static_selectorELNS0_4arch9wavefront6targetE0EEEvT1_, .Lfunc_end617-_ZN7rocprim17ROCPRIM_400000_NS6detail17trampoline_kernelINS0_14default_configENS1_27scan_by_key_config_selectorIssEEZZNS1_16scan_by_key_implILNS1_25lookback_scan_determinismE0ELb1ES3_N6thrust23THRUST_200600_302600_NS6detail15normal_iteratorINS9_10device_ptrIsEEEESE_SE_sNS9_10multipliesIsEENS9_8equal_toIsEEsEE10hipError_tPvRmT2_T3_T4_T5_mT6_T7_P12ihipStream_tbENKUlT_T0_E_clISt17integral_constantIbLb1EESZ_EEDaSU_SV_EUlSU_E_NS1_11comp_targetILNS1_3genE4ELNS1_11target_archE910ELNS1_3gpuE8ELNS1_3repE0EEENS1_30default_config_static_selectorELNS0_4arch9wavefront6targetE0EEEvT1_
                                        ; -- End function
	.set _ZN7rocprim17ROCPRIM_400000_NS6detail17trampoline_kernelINS0_14default_configENS1_27scan_by_key_config_selectorIssEEZZNS1_16scan_by_key_implILNS1_25lookback_scan_determinismE0ELb1ES3_N6thrust23THRUST_200600_302600_NS6detail15normal_iteratorINS9_10device_ptrIsEEEESE_SE_sNS9_10multipliesIsEENS9_8equal_toIsEEsEE10hipError_tPvRmT2_T3_T4_T5_mT6_T7_P12ihipStream_tbENKUlT_T0_E_clISt17integral_constantIbLb1EESZ_EEDaSU_SV_EUlSU_E_NS1_11comp_targetILNS1_3genE4ELNS1_11target_archE910ELNS1_3gpuE8ELNS1_3repE0EEENS1_30default_config_static_selectorELNS0_4arch9wavefront6targetE0EEEvT1_.num_vgpr, 0
	.set _ZN7rocprim17ROCPRIM_400000_NS6detail17trampoline_kernelINS0_14default_configENS1_27scan_by_key_config_selectorIssEEZZNS1_16scan_by_key_implILNS1_25lookback_scan_determinismE0ELb1ES3_N6thrust23THRUST_200600_302600_NS6detail15normal_iteratorINS9_10device_ptrIsEEEESE_SE_sNS9_10multipliesIsEENS9_8equal_toIsEEsEE10hipError_tPvRmT2_T3_T4_T5_mT6_T7_P12ihipStream_tbENKUlT_T0_E_clISt17integral_constantIbLb1EESZ_EEDaSU_SV_EUlSU_E_NS1_11comp_targetILNS1_3genE4ELNS1_11target_archE910ELNS1_3gpuE8ELNS1_3repE0EEENS1_30default_config_static_selectorELNS0_4arch9wavefront6targetE0EEEvT1_.num_agpr, 0
	.set _ZN7rocprim17ROCPRIM_400000_NS6detail17trampoline_kernelINS0_14default_configENS1_27scan_by_key_config_selectorIssEEZZNS1_16scan_by_key_implILNS1_25lookback_scan_determinismE0ELb1ES3_N6thrust23THRUST_200600_302600_NS6detail15normal_iteratorINS9_10device_ptrIsEEEESE_SE_sNS9_10multipliesIsEENS9_8equal_toIsEEsEE10hipError_tPvRmT2_T3_T4_T5_mT6_T7_P12ihipStream_tbENKUlT_T0_E_clISt17integral_constantIbLb1EESZ_EEDaSU_SV_EUlSU_E_NS1_11comp_targetILNS1_3genE4ELNS1_11target_archE910ELNS1_3gpuE8ELNS1_3repE0EEENS1_30default_config_static_selectorELNS0_4arch9wavefront6targetE0EEEvT1_.numbered_sgpr, 0
	.set _ZN7rocprim17ROCPRIM_400000_NS6detail17trampoline_kernelINS0_14default_configENS1_27scan_by_key_config_selectorIssEEZZNS1_16scan_by_key_implILNS1_25lookback_scan_determinismE0ELb1ES3_N6thrust23THRUST_200600_302600_NS6detail15normal_iteratorINS9_10device_ptrIsEEEESE_SE_sNS9_10multipliesIsEENS9_8equal_toIsEEsEE10hipError_tPvRmT2_T3_T4_T5_mT6_T7_P12ihipStream_tbENKUlT_T0_E_clISt17integral_constantIbLb1EESZ_EEDaSU_SV_EUlSU_E_NS1_11comp_targetILNS1_3genE4ELNS1_11target_archE910ELNS1_3gpuE8ELNS1_3repE0EEENS1_30default_config_static_selectorELNS0_4arch9wavefront6targetE0EEEvT1_.num_named_barrier, 0
	.set _ZN7rocprim17ROCPRIM_400000_NS6detail17trampoline_kernelINS0_14default_configENS1_27scan_by_key_config_selectorIssEEZZNS1_16scan_by_key_implILNS1_25lookback_scan_determinismE0ELb1ES3_N6thrust23THRUST_200600_302600_NS6detail15normal_iteratorINS9_10device_ptrIsEEEESE_SE_sNS9_10multipliesIsEENS9_8equal_toIsEEsEE10hipError_tPvRmT2_T3_T4_T5_mT6_T7_P12ihipStream_tbENKUlT_T0_E_clISt17integral_constantIbLb1EESZ_EEDaSU_SV_EUlSU_E_NS1_11comp_targetILNS1_3genE4ELNS1_11target_archE910ELNS1_3gpuE8ELNS1_3repE0EEENS1_30default_config_static_selectorELNS0_4arch9wavefront6targetE0EEEvT1_.private_seg_size, 0
	.set _ZN7rocprim17ROCPRIM_400000_NS6detail17trampoline_kernelINS0_14default_configENS1_27scan_by_key_config_selectorIssEEZZNS1_16scan_by_key_implILNS1_25lookback_scan_determinismE0ELb1ES3_N6thrust23THRUST_200600_302600_NS6detail15normal_iteratorINS9_10device_ptrIsEEEESE_SE_sNS9_10multipliesIsEENS9_8equal_toIsEEsEE10hipError_tPvRmT2_T3_T4_T5_mT6_T7_P12ihipStream_tbENKUlT_T0_E_clISt17integral_constantIbLb1EESZ_EEDaSU_SV_EUlSU_E_NS1_11comp_targetILNS1_3genE4ELNS1_11target_archE910ELNS1_3gpuE8ELNS1_3repE0EEENS1_30default_config_static_selectorELNS0_4arch9wavefront6targetE0EEEvT1_.uses_vcc, 0
	.set _ZN7rocprim17ROCPRIM_400000_NS6detail17trampoline_kernelINS0_14default_configENS1_27scan_by_key_config_selectorIssEEZZNS1_16scan_by_key_implILNS1_25lookback_scan_determinismE0ELb1ES3_N6thrust23THRUST_200600_302600_NS6detail15normal_iteratorINS9_10device_ptrIsEEEESE_SE_sNS9_10multipliesIsEENS9_8equal_toIsEEsEE10hipError_tPvRmT2_T3_T4_T5_mT6_T7_P12ihipStream_tbENKUlT_T0_E_clISt17integral_constantIbLb1EESZ_EEDaSU_SV_EUlSU_E_NS1_11comp_targetILNS1_3genE4ELNS1_11target_archE910ELNS1_3gpuE8ELNS1_3repE0EEENS1_30default_config_static_selectorELNS0_4arch9wavefront6targetE0EEEvT1_.uses_flat_scratch, 0
	.set _ZN7rocprim17ROCPRIM_400000_NS6detail17trampoline_kernelINS0_14default_configENS1_27scan_by_key_config_selectorIssEEZZNS1_16scan_by_key_implILNS1_25lookback_scan_determinismE0ELb1ES3_N6thrust23THRUST_200600_302600_NS6detail15normal_iteratorINS9_10device_ptrIsEEEESE_SE_sNS9_10multipliesIsEENS9_8equal_toIsEEsEE10hipError_tPvRmT2_T3_T4_T5_mT6_T7_P12ihipStream_tbENKUlT_T0_E_clISt17integral_constantIbLb1EESZ_EEDaSU_SV_EUlSU_E_NS1_11comp_targetILNS1_3genE4ELNS1_11target_archE910ELNS1_3gpuE8ELNS1_3repE0EEENS1_30default_config_static_selectorELNS0_4arch9wavefront6targetE0EEEvT1_.has_dyn_sized_stack, 0
	.set _ZN7rocprim17ROCPRIM_400000_NS6detail17trampoline_kernelINS0_14default_configENS1_27scan_by_key_config_selectorIssEEZZNS1_16scan_by_key_implILNS1_25lookback_scan_determinismE0ELb1ES3_N6thrust23THRUST_200600_302600_NS6detail15normal_iteratorINS9_10device_ptrIsEEEESE_SE_sNS9_10multipliesIsEENS9_8equal_toIsEEsEE10hipError_tPvRmT2_T3_T4_T5_mT6_T7_P12ihipStream_tbENKUlT_T0_E_clISt17integral_constantIbLb1EESZ_EEDaSU_SV_EUlSU_E_NS1_11comp_targetILNS1_3genE4ELNS1_11target_archE910ELNS1_3gpuE8ELNS1_3repE0EEENS1_30default_config_static_selectorELNS0_4arch9wavefront6targetE0EEEvT1_.has_recursion, 0
	.set _ZN7rocprim17ROCPRIM_400000_NS6detail17trampoline_kernelINS0_14default_configENS1_27scan_by_key_config_selectorIssEEZZNS1_16scan_by_key_implILNS1_25lookback_scan_determinismE0ELb1ES3_N6thrust23THRUST_200600_302600_NS6detail15normal_iteratorINS9_10device_ptrIsEEEESE_SE_sNS9_10multipliesIsEENS9_8equal_toIsEEsEE10hipError_tPvRmT2_T3_T4_T5_mT6_T7_P12ihipStream_tbENKUlT_T0_E_clISt17integral_constantIbLb1EESZ_EEDaSU_SV_EUlSU_E_NS1_11comp_targetILNS1_3genE4ELNS1_11target_archE910ELNS1_3gpuE8ELNS1_3repE0EEENS1_30default_config_static_selectorELNS0_4arch9wavefront6targetE0EEEvT1_.has_indirect_call, 0
	.section	.AMDGPU.csdata,"",@progbits
; Kernel info:
; codeLenInByte = 0
; TotalNumSgprs: 0
; NumVgprs: 0
; ScratchSize: 0
; MemoryBound: 0
; FloatMode: 240
; IeeeMode: 1
; LDSByteSize: 0 bytes/workgroup (compile time only)
; SGPRBlocks: 0
; VGPRBlocks: 0
; NumSGPRsForWavesPerEU: 1
; NumVGPRsForWavesPerEU: 1
; Occupancy: 16
; WaveLimiterHint : 0
; COMPUTE_PGM_RSRC2:SCRATCH_EN: 0
; COMPUTE_PGM_RSRC2:USER_SGPR: 6
; COMPUTE_PGM_RSRC2:TRAP_HANDLER: 0
; COMPUTE_PGM_RSRC2:TGID_X_EN: 1
; COMPUTE_PGM_RSRC2:TGID_Y_EN: 0
; COMPUTE_PGM_RSRC2:TGID_Z_EN: 0
; COMPUTE_PGM_RSRC2:TIDIG_COMP_CNT: 0
	.section	.text._ZN7rocprim17ROCPRIM_400000_NS6detail17trampoline_kernelINS0_14default_configENS1_27scan_by_key_config_selectorIssEEZZNS1_16scan_by_key_implILNS1_25lookback_scan_determinismE0ELb1ES3_N6thrust23THRUST_200600_302600_NS6detail15normal_iteratorINS9_10device_ptrIsEEEESE_SE_sNS9_10multipliesIsEENS9_8equal_toIsEEsEE10hipError_tPvRmT2_T3_T4_T5_mT6_T7_P12ihipStream_tbENKUlT_T0_E_clISt17integral_constantIbLb1EESZ_EEDaSU_SV_EUlSU_E_NS1_11comp_targetILNS1_3genE3ELNS1_11target_archE908ELNS1_3gpuE7ELNS1_3repE0EEENS1_30default_config_static_selectorELNS0_4arch9wavefront6targetE0EEEvT1_,"axG",@progbits,_ZN7rocprim17ROCPRIM_400000_NS6detail17trampoline_kernelINS0_14default_configENS1_27scan_by_key_config_selectorIssEEZZNS1_16scan_by_key_implILNS1_25lookback_scan_determinismE0ELb1ES3_N6thrust23THRUST_200600_302600_NS6detail15normal_iteratorINS9_10device_ptrIsEEEESE_SE_sNS9_10multipliesIsEENS9_8equal_toIsEEsEE10hipError_tPvRmT2_T3_T4_T5_mT6_T7_P12ihipStream_tbENKUlT_T0_E_clISt17integral_constantIbLb1EESZ_EEDaSU_SV_EUlSU_E_NS1_11comp_targetILNS1_3genE3ELNS1_11target_archE908ELNS1_3gpuE7ELNS1_3repE0EEENS1_30default_config_static_selectorELNS0_4arch9wavefront6targetE0EEEvT1_,comdat
	.protected	_ZN7rocprim17ROCPRIM_400000_NS6detail17trampoline_kernelINS0_14default_configENS1_27scan_by_key_config_selectorIssEEZZNS1_16scan_by_key_implILNS1_25lookback_scan_determinismE0ELb1ES3_N6thrust23THRUST_200600_302600_NS6detail15normal_iteratorINS9_10device_ptrIsEEEESE_SE_sNS9_10multipliesIsEENS9_8equal_toIsEEsEE10hipError_tPvRmT2_T3_T4_T5_mT6_T7_P12ihipStream_tbENKUlT_T0_E_clISt17integral_constantIbLb1EESZ_EEDaSU_SV_EUlSU_E_NS1_11comp_targetILNS1_3genE3ELNS1_11target_archE908ELNS1_3gpuE7ELNS1_3repE0EEENS1_30default_config_static_selectorELNS0_4arch9wavefront6targetE0EEEvT1_ ; -- Begin function _ZN7rocprim17ROCPRIM_400000_NS6detail17trampoline_kernelINS0_14default_configENS1_27scan_by_key_config_selectorIssEEZZNS1_16scan_by_key_implILNS1_25lookback_scan_determinismE0ELb1ES3_N6thrust23THRUST_200600_302600_NS6detail15normal_iteratorINS9_10device_ptrIsEEEESE_SE_sNS9_10multipliesIsEENS9_8equal_toIsEEsEE10hipError_tPvRmT2_T3_T4_T5_mT6_T7_P12ihipStream_tbENKUlT_T0_E_clISt17integral_constantIbLb1EESZ_EEDaSU_SV_EUlSU_E_NS1_11comp_targetILNS1_3genE3ELNS1_11target_archE908ELNS1_3gpuE7ELNS1_3repE0EEENS1_30default_config_static_selectorELNS0_4arch9wavefront6targetE0EEEvT1_
	.globl	_ZN7rocprim17ROCPRIM_400000_NS6detail17trampoline_kernelINS0_14default_configENS1_27scan_by_key_config_selectorIssEEZZNS1_16scan_by_key_implILNS1_25lookback_scan_determinismE0ELb1ES3_N6thrust23THRUST_200600_302600_NS6detail15normal_iteratorINS9_10device_ptrIsEEEESE_SE_sNS9_10multipliesIsEENS9_8equal_toIsEEsEE10hipError_tPvRmT2_T3_T4_T5_mT6_T7_P12ihipStream_tbENKUlT_T0_E_clISt17integral_constantIbLb1EESZ_EEDaSU_SV_EUlSU_E_NS1_11comp_targetILNS1_3genE3ELNS1_11target_archE908ELNS1_3gpuE7ELNS1_3repE0EEENS1_30default_config_static_selectorELNS0_4arch9wavefront6targetE0EEEvT1_
	.p2align	8
	.type	_ZN7rocprim17ROCPRIM_400000_NS6detail17trampoline_kernelINS0_14default_configENS1_27scan_by_key_config_selectorIssEEZZNS1_16scan_by_key_implILNS1_25lookback_scan_determinismE0ELb1ES3_N6thrust23THRUST_200600_302600_NS6detail15normal_iteratorINS9_10device_ptrIsEEEESE_SE_sNS9_10multipliesIsEENS9_8equal_toIsEEsEE10hipError_tPvRmT2_T3_T4_T5_mT6_T7_P12ihipStream_tbENKUlT_T0_E_clISt17integral_constantIbLb1EESZ_EEDaSU_SV_EUlSU_E_NS1_11comp_targetILNS1_3genE3ELNS1_11target_archE908ELNS1_3gpuE7ELNS1_3repE0EEENS1_30default_config_static_selectorELNS0_4arch9wavefront6targetE0EEEvT1_,@function
_ZN7rocprim17ROCPRIM_400000_NS6detail17trampoline_kernelINS0_14default_configENS1_27scan_by_key_config_selectorIssEEZZNS1_16scan_by_key_implILNS1_25lookback_scan_determinismE0ELb1ES3_N6thrust23THRUST_200600_302600_NS6detail15normal_iteratorINS9_10device_ptrIsEEEESE_SE_sNS9_10multipliesIsEENS9_8equal_toIsEEsEE10hipError_tPvRmT2_T3_T4_T5_mT6_T7_P12ihipStream_tbENKUlT_T0_E_clISt17integral_constantIbLb1EESZ_EEDaSU_SV_EUlSU_E_NS1_11comp_targetILNS1_3genE3ELNS1_11target_archE908ELNS1_3gpuE7ELNS1_3repE0EEENS1_30default_config_static_selectorELNS0_4arch9wavefront6targetE0EEEvT1_: ; @_ZN7rocprim17ROCPRIM_400000_NS6detail17trampoline_kernelINS0_14default_configENS1_27scan_by_key_config_selectorIssEEZZNS1_16scan_by_key_implILNS1_25lookback_scan_determinismE0ELb1ES3_N6thrust23THRUST_200600_302600_NS6detail15normal_iteratorINS9_10device_ptrIsEEEESE_SE_sNS9_10multipliesIsEENS9_8equal_toIsEEsEE10hipError_tPvRmT2_T3_T4_T5_mT6_T7_P12ihipStream_tbENKUlT_T0_E_clISt17integral_constantIbLb1EESZ_EEDaSU_SV_EUlSU_E_NS1_11comp_targetILNS1_3genE3ELNS1_11target_archE908ELNS1_3gpuE7ELNS1_3repE0EEENS1_30default_config_static_selectorELNS0_4arch9wavefront6targetE0EEEvT1_
; %bb.0:
	.section	.rodata,"a",@progbits
	.p2align	6, 0x0
	.amdhsa_kernel _ZN7rocprim17ROCPRIM_400000_NS6detail17trampoline_kernelINS0_14default_configENS1_27scan_by_key_config_selectorIssEEZZNS1_16scan_by_key_implILNS1_25lookback_scan_determinismE0ELb1ES3_N6thrust23THRUST_200600_302600_NS6detail15normal_iteratorINS9_10device_ptrIsEEEESE_SE_sNS9_10multipliesIsEENS9_8equal_toIsEEsEE10hipError_tPvRmT2_T3_T4_T5_mT6_T7_P12ihipStream_tbENKUlT_T0_E_clISt17integral_constantIbLb1EESZ_EEDaSU_SV_EUlSU_E_NS1_11comp_targetILNS1_3genE3ELNS1_11target_archE908ELNS1_3gpuE7ELNS1_3repE0EEENS1_30default_config_static_selectorELNS0_4arch9wavefront6targetE0EEEvT1_
		.amdhsa_group_segment_fixed_size 0
		.amdhsa_private_segment_fixed_size 0
		.amdhsa_kernarg_size 112
		.amdhsa_user_sgpr_count 6
		.amdhsa_user_sgpr_private_segment_buffer 1
		.amdhsa_user_sgpr_dispatch_ptr 0
		.amdhsa_user_sgpr_queue_ptr 0
		.amdhsa_user_sgpr_kernarg_segment_ptr 1
		.amdhsa_user_sgpr_dispatch_id 0
		.amdhsa_user_sgpr_flat_scratch_init 0
		.amdhsa_user_sgpr_private_segment_size 0
		.amdhsa_wavefront_size32 1
		.amdhsa_uses_dynamic_stack 0
		.amdhsa_system_sgpr_private_segment_wavefront_offset 0
		.amdhsa_system_sgpr_workgroup_id_x 1
		.amdhsa_system_sgpr_workgroup_id_y 0
		.amdhsa_system_sgpr_workgroup_id_z 0
		.amdhsa_system_sgpr_workgroup_info 0
		.amdhsa_system_vgpr_workitem_id 0
		.amdhsa_next_free_vgpr 1
		.amdhsa_next_free_sgpr 1
		.amdhsa_reserve_vcc 0
		.amdhsa_reserve_flat_scratch 0
		.amdhsa_float_round_mode_32 0
		.amdhsa_float_round_mode_16_64 0
		.amdhsa_float_denorm_mode_32 3
		.amdhsa_float_denorm_mode_16_64 3
		.amdhsa_dx10_clamp 1
		.amdhsa_ieee_mode 1
		.amdhsa_fp16_overflow 0
		.amdhsa_workgroup_processor_mode 1
		.amdhsa_memory_ordered 1
		.amdhsa_forward_progress 1
		.amdhsa_shared_vgpr_count 0
		.amdhsa_exception_fp_ieee_invalid_op 0
		.amdhsa_exception_fp_denorm_src 0
		.amdhsa_exception_fp_ieee_div_zero 0
		.amdhsa_exception_fp_ieee_overflow 0
		.amdhsa_exception_fp_ieee_underflow 0
		.amdhsa_exception_fp_ieee_inexact 0
		.amdhsa_exception_int_div_zero 0
	.end_amdhsa_kernel
	.section	.text._ZN7rocprim17ROCPRIM_400000_NS6detail17trampoline_kernelINS0_14default_configENS1_27scan_by_key_config_selectorIssEEZZNS1_16scan_by_key_implILNS1_25lookback_scan_determinismE0ELb1ES3_N6thrust23THRUST_200600_302600_NS6detail15normal_iteratorINS9_10device_ptrIsEEEESE_SE_sNS9_10multipliesIsEENS9_8equal_toIsEEsEE10hipError_tPvRmT2_T3_T4_T5_mT6_T7_P12ihipStream_tbENKUlT_T0_E_clISt17integral_constantIbLb1EESZ_EEDaSU_SV_EUlSU_E_NS1_11comp_targetILNS1_3genE3ELNS1_11target_archE908ELNS1_3gpuE7ELNS1_3repE0EEENS1_30default_config_static_selectorELNS0_4arch9wavefront6targetE0EEEvT1_,"axG",@progbits,_ZN7rocprim17ROCPRIM_400000_NS6detail17trampoline_kernelINS0_14default_configENS1_27scan_by_key_config_selectorIssEEZZNS1_16scan_by_key_implILNS1_25lookback_scan_determinismE0ELb1ES3_N6thrust23THRUST_200600_302600_NS6detail15normal_iteratorINS9_10device_ptrIsEEEESE_SE_sNS9_10multipliesIsEENS9_8equal_toIsEEsEE10hipError_tPvRmT2_T3_T4_T5_mT6_T7_P12ihipStream_tbENKUlT_T0_E_clISt17integral_constantIbLb1EESZ_EEDaSU_SV_EUlSU_E_NS1_11comp_targetILNS1_3genE3ELNS1_11target_archE908ELNS1_3gpuE7ELNS1_3repE0EEENS1_30default_config_static_selectorELNS0_4arch9wavefront6targetE0EEEvT1_,comdat
.Lfunc_end618:
	.size	_ZN7rocprim17ROCPRIM_400000_NS6detail17trampoline_kernelINS0_14default_configENS1_27scan_by_key_config_selectorIssEEZZNS1_16scan_by_key_implILNS1_25lookback_scan_determinismE0ELb1ES3_N6thrust23THRUST_200600_302600_NS6detail15normal_iteratorINS9_10device_ptrIsEEEESE_SE_sNS9_10multipliesIsEENS9_8equal_toIsEEsEE10hipError_tPvRmT2_T3_T4_T5_mT6_T7_P12ihipStream_tbENKUlT_T0_E_clISt17integral_constantIbLb1EESZ_EEDaSU_SV_EUlSU_E_NS1_11comp_targetILNS1_3genE3ELNS1_11target_archE908ELNS1_3gpuE7ELNS1_3repE0EEENS1_30default_config_static_selectorELNS0_4arch9wavefront6targetE0EEEvT1_, .Lfunc_end618-_ZN7rocprim17ROCPRIM_400000_NS6detail17trampoline_kernelINS0_14default_configENS1_27scan_by_key_config_selectorIssEEZZNS1_16scan_by_key_implILNS1_25lookback_scan_determinismE0ELb1ES3_N6thrust23THRUST_200600_302600_NS6detail15normal_iteratorINS9_10device_ptrIsEEEESE_SE_sNS9_10multipliesIsEENS9_8equal_toIsEEsEE10hipError_tPvRmT2_T3_T4_T5_mT6_T7_P12ihipStream_tbENKUlT_T0_E_clISt17integral_constantIbLb1EESZ_EEDaSU_SV_EUlSU_E_NS1_11comp_targetILNS1_3genE3ELNS1_11target_archE908ELNS1_3gpuE7ELNS1_3repE0EEENS1_30default_config_static_selectorELNS0_4arch9wavefront6targetE0EEEvT1_
                                        ; -- End function
	.set _ZN7rocprim17ROCPRIM_400000_NS6detail17trampoline_kernelINS0_14default_configENS1_27scan_by_key_config_selectorIssEEZZNS1_16scan_by_key_implILNS1_25lookback_scan_determinismE0ELb1ES3_N6thrust23THRUST_200600_302600_NS6detail15normal_iteratorINS9_10device_ptrIsEEEESE_SE_sNS9_10multipliesIsEENS9_8equal_toIsEEsEE10hipError_tPvRmT2_T3_T4_T5_mT6_T7_P12ihipStream_tbENKUlT_T0_E_clISt17integral_constantIbLb1EESZ_EEDaSU_SV_EUlSU_E_NS1_11comp_targetILNS1_3genE3ELNS1_11target_archE908ELNS1_3gpuE7ELNS1_3repE0EEENS1_30default_config_static_selectorELNS0_4arch9wavefront6targetE0EEEvT1_.num_vgpr, 0
	.set _ZN7rocprim17ROCPRIM_400000_NS6detail17trampoline_kernelINS0_14default_configENS1_27scan_by_key_config_selectorIssEEZZNS1_16scan_by_key_implILNS1_25lookback_scan_determinismE0ELb1ES3_N6thrust23THRUST_200600_302600_NS6detail15normal_iteratorINS9_10device_ptrIsEEEESE_SE_sNS9_10multipliesIsEENS9_8equal_toIsEEsEE10hipError_tPvRmT2_T3_T4_T5_mT6_T7_P12ihipStream_tbENKUlT_T0_E_clISt17integral_constantIbLb1EESZ_EEDaSU_SV_EUlSU_E_NS1_11comp_targetILNS1_3genE3ELNS1_11target_archE908ELNS1_3gpuE7ELNS1_3repE0EEENS1_30default_config_static_selectorELNS0_4arch9wavefront6targetE0EEEvT1_.num_agpr, 0
	.set _ZN7rocprim17ROCPRIM_400000_NS6detail17trampoline_kernelINS0_14default_configENS1_27scan_by_key_config_selectorIssEEZZNS1_16scan_by_key_implILNS1_25lookback_scan_determinismE0ELb1ES3_N6thrust23THRUST_200600_302600_NS6detail15normal_iteratorINS9_10device_ptrIsEEEESE_SE_sNS9_10multipliesIsEENS9_8equal_toIsEEsEE10hipError_tPvRmT2_T3_T4_T5_mT6_T7_P12ihipStream_tbENKUlT_T0_E_clISt17integral_constantIbLb1EESZ_EEDaSU_SV_EUlSU_E_NS1_11comp_targetILNS1_3genE3ELNS1_11target_archE908ELNS1_3gpuE7ELNS1_3repE0EEENS1_30default_config_static_selectorELNS0_4arch9wavefront6targetE0EEEvT1_.numbered_sgpr, 0
	.set _ZN7rocprim17ROCPRIM_400000_NS6detail17trampoline_kernelINS0_14default_configENS1_27scan_by_key_config_selectorIssEEZZNS1_16scan_by_key_implILNS1_25lookback_scan_determinismE0ELb1ES3_N6thrust23THRUST_200600_302600_NS6detail15normal_iteratorINS9_10device_ptrIsEEEESE_SE_sNS9_10multipliesIsEENS9_8equal_toIsEEsEE10hipError_tPvRmT2_T3_T4_T5_mT6_T7_P12ihipStream_tbENKUlT_T0_E_clISt17integral_constantIbLb1EESZ_EEDaSU_SV_EUlSU_E_NS1_11comp_targetILNS1_3genE3ELNS1_11target_archE908ELNS1_3gpuE7ELNS1_3repE0EEENS1_30default_config_static_selectorELNS0_4arch9wavefront6targetE0EEEvT1_.num_named_barrier, 0
	.set _ZN7rocprim17ROCPRIM_400000_NS6detail17trampoline_kernelINS0_14default_configENS1_27scan_by_key_config_selectorIssEEZZNS1_16scan_by_key_implILNS1_25lookback_scan_determinismE0ELb1ES3_N6thrust23THRUST_200600_302600_NS6detail15normal_iteratorINS9_10device_ptrIsEEEESE_SE_sNS9_10multipliesIsEENS9_8equal_toIsEEsEE10hipError_tPvRmT2_T3_T4_T5_mT6_T7_P12ihipStream_tbENKUlT_T0_E_clISt17integral_constantIbLb1EESZ_EEDaSU_SV_EUlSU_E_NS1_11comp_targetILNS1_3genE3ELNS1_11target_archE908ELNS1_3gpuE7ELNS1_3repE0EEENS1_30default_config_static_selectorELNS0_4arch9wavefront6targetE0EEEvT1_.private_seg_size, 0
	.set _ZN7rocprim17ROCPRIM_400000_NS6detail17trampoline_kernelINS0_14default_configENS1_27scan_by_key_config_selectorIssEEZZNS1_16scan_by_key_implILNS1_25lookback_scan_determinismE0ELb1ES3_N6thrust23THRUST_200600_302600_NS6detail15normal_iteratorINS9_10device_ptrIsEEEESE_SE_sNS9_10multipliesIsEENS9_8equal_toIsEEsEE10hipError_tPvRmT2_T3_T4_T5_mT6_T7_P12ihipStream_tbENKUlT_T0_E_clISt17integral_constantIbLb1EESZ_EEDaSU_SV_EUlSU_E_NS1_11comp_targetILNS1_3genE3ELNS1_11target_archE908ELNS1_3gpuE7ELNS1_3repE0EEENS1_30default_config_static_selectorELNS0_4arch9wavefront6targetE0EEEvT1_.uses_vcc, 0
	.set _ZN7rocprim17ROCPRIM_400000_NS6detail17trampoline_kernelINS0_14default_configENS1_27scan_by_key_config_selectorIssEEZZNS1_16scan_by_key_implILNS1_25lookback_scan_determinismE0ELb1ES3_N6thrust23THRUST_200600_302600_NS6detail15normal_iteratorINS9_10device_ptrIsEEEESE_SE_sNS9_10multipliesIsEENS9_8equal_toIsEEsEE10hipError_tPvRmT2_T3_T4_T5_mT6_T7_P12ihipStream_tbENKUlT_T0_E_clISt17integral_constantIbLb1EESZ_EEDaSU_SV_EUlSU_E_NS1_11comp_targetILNS1_3genE3ELNS1_11target_archE908ELNS1_3gpuE7ELNS1_3repE0EEENS1_30default_config_static_selectorELNS0_4arch9wavefront6targetE0EEEvT1_.uses_flat_scratch, 0
	.set _ZN7rocprim17ROCPRIM_400000_NS6detail17trampoline_kernelINS0_14default_configENS1_27scan_by_key_config_selectorIssEEZZNS1_16scan_by_key_implILNS1_25lookback_scan_determinismE0ELb1ES3_N6thrust23THRUST_200600_302600_NS6detail15normal_iteratorINS9_10device_ptrIsEEEESE_SE_sNS9_10multipliesIsEENS9_8equal_toIsEEsEE10hipError_tPvRmT2_T3_T4_T5_mT6_T7_P12ihipStream_tbENKUlT_T0_E_clISt17integral_constantIbLb1EESZ_EEDaSU_SV_EUlSU_E_NS1_11comp_targetILNS1_3genE3ELNS1_11target_archE908ELNS1_3gpuE7ELNS1_3repE0EEENS1_30default_config_static_selectorELNS0_4arch9wavefront6targetE0EEEvT1_.has_dyn_sized_stack, 0
	.set _ZN7rocprim17ROCPRIM_400000_NS6detail17trampoline_kernelINS0_14default_configENS1_27scan_by_key_config_selectorIssEEZZNS1_16scan_by_key_implILNS1_25lookback_scan_determinismE0ELb1ES3_N6thrust23THRUST_200600_302600_NS6detail15normal_iteratorINS9_10device_ptrIsEEEESE_SE_sNS9_10multipliesIsEENS9_8equal_toIsEEsEE10hipError_tPvRmT2_T3_T4_T5_mT6_T7_P12ihipStream_tbENKUlT_T0_E_clISt17integral_constantIbLb1EESZ_EEDaSU_SV_EUlSU_E_NS1_11comp_targetILNS1_3genE3ELNS1_11target_archE908ELNS1_3gpuE7ELNS1_3repE0EEENS1_30default_config_static_selectorELNS0_4arch9wavefront6targetE0EEEvT1_.has_recursion, 0
	.set _ZN7rocprim17ROCPRIM_400000_NS6detail17trampoline_kernelINS0_14default_configENS1_27scan_by_key_config_selectorIssEEZZNS1_16scan_by_key_implILNS1_25lookback_scan_determinismE0ELb1ES3_N6thrust23THRUST_200600_302600_NS6detail15normal_iteratorINS9_10device_ptrIsEEEESE_SE_sNS9_10multipliesIsEENS9_8equal_toIsEEsEE10hipError_tPvRmT2_T3_T4_T5_mT6_T7_P12ihipStream_tbENKUlT_T0_E_clISt17integral_constantIbLb1EESZ_EEDaSU_SV_EUlSU_E_NS1_11comp_targetILNS1_3genE3ELNS1_11target_archE908ELNS1_3gpuE7ELNS1_3repE0EEENS1_30default_config_static_selectorELNS0_4arch9wavefront6targetE0EEEvT1_.has_indirect_call, 0
	.section	.AMDGPU.csdata,"",@progbits
; Kernel info:
; codeLenInByte = 0
; TotalNumSgprs: 0
; NumVgprs: 0
; ScratchSize: 0
; MemoryBound: 0
; FloatMode: 240
; IeeeMode: 1
; LDSByteSize: 0 bytes/workgroup (compile time only)
; SGPRBlocks: 0
; VGPRBlocks: 0
; NumSGPRsForWavesPerEU: 1
; NumVGPRsForWavesPerEU: 1
; Occupancy: 16
; WaveLimiterHint : 0
; COMPUTE_PGM_RSRC2:SCRATCH_EN: 0
; COMPUTE_PGM_RSRC2:USER_SGPR: 6
; COMPUTE_PGM_RSRC2:TRAP_HANDLER: 0
; COMPUTE_PGM_RSRC2:TGID_X_EN: 1
; COMPUTE_PGM_RSRC2:TGID_Y_EN: 0
; COMPUTE_PGM_RSRC2:TGID_Z_EN: 0
; COMPUTE_PGM_RSRC2:TIDIG_COMP_CNT: 0
	.section	.text._ZN7rocprim17ROCPRIM_400000_NS6detail17trampoline_kernelINS0_14default_configENS1_27scan_by_key_config_selectorIssEEZZNS1_16scan_by_key_implILNS1_25lookback_scan_determinismE0ELb1ES3_N6thrust23THRUST_200600_302600_NS6detail15normal_iteratorINS9_10device_ptrIsEEEESE_SE_sNS9_10multipliesIsEENS9_8equal_toIsEEsEE10hipError_tPvRmT2_T3_T4_T5_mT6_T7_P12ihipStream_tbENKUlT_T0_E_clISt17integral_constantIbLb1EESZ_EEDaSU_SV_EUlSU_E_NS1_11comp_targetILNS1_3genE2ELNS1_11target_archE906ELNS1_3gpuE6ELNS1_3repE0EEENS1_30default_config_static_selectorELNS0_4arch9wavefront6targetE0EEEvT1_,"axG",@progbits,_ZN7rocprim17ROCPRIM_400000_NS6detail17trampoline_kernelINS0_14default_configENS1_27scan_by_key_config_selectorIssEEZZNS1_16scan_by_key_implILNS1_25lookback_scan_determinismE0ELb1ES3_N6thrust23THRUST_200600_302600_NS6detail15normal_iteratorINS9_10device_ptrIsEEEESE_SE_sNS9_10multipliesIsEENS9_8equal_toIsEEsEE10hipError_tPvRmT2_T3_T4_T5_mT6_T7_P12ihipStream_tbENKUlT_T0_E_clISt17integral_constantIbLb1EESZ_EEDaSU_SV_EUlSU_E_NS1_11comp_targetILNS1_3genE2ELNS1_11target_archE906ELNS1_3gpuE6ELNS1_3repE0EEENS1_30default_config_static_selectorELNS0_4arch9wavefront6targetE0EEEvT1_,comdat
	.protected	_ZN7rocprim17ROCPRIM_400000_NS6detail17trampoline_kernelINS0_14default_configENS1_27scan_by_key_config_selectorIssEEZZNS1_16scan_by_key_implILNS1_25lookback_scan_determinismE0ELb1ES3_N6thrust23THRUST_200600_302600_NS6detail15normal_iteratorINS9_10device_ptrIsEEEESE_SE_sNS9_10multipliesIsEENS9_8equal_toIsEEsEE10hipError_tPvRmT2_T3_T4_T5_mT6_T7_P12ihipStream_tbENKUlT_T0_E_clISt17integral_constantIbLb1EESZ_EEDaSU_SV_EUlSU_E_NS1_11comp_targetILNS1_3genE2ELNS1_11target_archE906ELNS1_3gpuE6ELNS1_3repE0EEENS1_30default_config_static_selectorELNS0_4arch9wavefront6targetE0EEEvT1_ ; -- Begin function _ZN7rocprim17ROCPRIM_400000_NS6detail17trampoline_kernelINS0_14default_configENS1_27scan_by_key_config_selectorIssEEZZNS1_16scan_by_key_implILNS1_25lookback_scan_determinismE0ELb1ES3_N6thrust23THRUST_200600_302600_NS6detail15normal_iteratorINS9_10device_ptrIsEEEESE_SE_sNS9_10multipliesIsEENS9_8equal_toIsEEsEE10hipError_tPvRmT2_T3_T4_T5_mT6_T7_P12ihipStream_tbENKUlT_T0_E_clISt17integral_constantIbLb1EESZ_EEDaSU_SV_EUlSU_E_NS1_11comp_targetILNS1_3genE2ELNS1_11target_archE906ELNS1_3gpuE6ELNS1_3repE0EEENS1_30default_config_static_selectorELNS0_4arch9wavefront6targetE0EEEvT1_
	.globl	_ZN7rocprim17ROCPRIM_400000_NS6detail17trampoline_kernelINS0_14default_configENS1_27scan_by_key_config_selectorIssEEZZNS1_16scan_by_key_implILNS1_25lookback_scan_determinismE0ELb1ES3_N6thrust23THRUST_200600_302600_NS6detail15normal_iteratorINS9_10device_ptrIsEEEESE_SE_sNS9_10multipliesIsEENS9_8equal_toIsEEsEE10hipError_tPvRmT2_T3_T4_T5_mT6_T7_P12ihipStream_tbENKUlT_T0_E_clISt17integral_constantIbLb1EESZ_EEDaSU_SV_EUlSU_E_NS1_11comp_targetILNS1_3genE2ELNS1_11target_archE906ELNS1_3gpuE6ELNS1_3repE0EEENS1_30default_config_static_selectorELNS0_4arch9wavefront6targetE0EEEvT1_
	.p2align	8
	.type	_ZN7rocprim17ROCPRIM_400000_NS6detail17trampoline_kernelINS0_14default_configENS1_27scan_by_key_config_selectorIssEEZZNS1_16scan_by_key_implILNS1_25lookback_scan_determinismE0ELb1ES3_N6thrust23THRUST_200600_302600_NS6detail15normal_iteratorINS9_10device_ptrIsEEEESE_SE_sNS9_10multipliesIsEENS9_8equal_toIsEEsEE10hipError_tPvRmT2_T3_T4_T5_mT6_T7_P12ihipStream_tbENKUlT_T0_E_clISt17integral_constantIbLb1EESZ_EEDaSU_SV_EUlSU_E_NS1_11comp_targetILNS1_3genE2ELNS1_11target_archE906ELNS1_3gpuE6ELNS1_3repE0EEENS1_30default_config_static_selectorELNS0_4arch9wavefront6targetE0EEEvT1_,@function
_ZN7rocprim17ROCPRIM_400000_NS6detail17trampoline_kernelINS0_14default_configENS1_27scan_by_key_config_selectorIssEEZZNS1_16scan_by_key_implILNS1_25lookback_scan_determinismE0ELb1ES3_N6thrust23THRUST_200600_302600_NS6detail15normal_iteratorINS9_10device_ptrIsEEEESE_SE_sNS9_10multipliesIsEENS9_8equal_toIsEEsEE10hipError_tPvRmT2_T3_T4_T5_mT6_T7_P12ihipStream_tbENKUlT_T0_E_clISt17integral_constantIbLb1EESZ_EEDaSU_SV_EUlSU_E_NS1_11comp_targetILNS1_3genE2ELNS1_11target_archE906ELNS1_3gpuE6ELNS1_3repE0EEENS1_30default_config_static_selectorELNS0_4arch9wavefront6targetE0EEEvT1_: ; @_ZN7rocprim17ROCPRIM_400000_NS6detail17trampoline_kernelINS0_14default_configENS1_27scan_by_key_config_selectorIssEEZZNS1_16scan_by_key_implILNS1_25lookback_scan_determinismE0ELb1ES3_N6thrust23THRUST_200600_302600_NS6detail15normal_iteratorINS9_10device_ptrIsEEEESE_SE_sNS9_10multipliesIsEENS9_8equal_toIsEEsEE10hipError_tPvRmT2_T3_T4_T5_mT6_T7_P12ihipStream_tbENKUlT_T0_E_clISt17integral_constantIbLb1EESZ_EEDaSU_SV_EUlSU_E_NS1_11comp_targetILNS1_3genE2ELNS1_11target_archE906ELNS1_3gpuE6ELNS1_3repE0EEENS1_30default_config_static_selectorELNS0_4arch9wavefront6targetE0EEEvT1_
; %bb.0:
	.section	.rodata,"a",@progbits
	.p2align	6, 0x0
	.amdhsa_kernel _ZN7rocprim17ROCPRIM_400000_NS6detail17trampoline_kernelINS0_14default_configENS1_27scan_by_key_config_selectorIssEEZZNS1_16scan_by_key_implILNS1_25lookback_scan_determinismE0ELb1ES3_N6thrust23THRUST_200600_302600_NS6detail15normal_iteratorINS9_10device_ptrIsEEEESE_SE_sNS9_10multipliesIsEENS9_8equal_toIsEEsEE10hipError_tPvRmT2_T3_T4_T5_mT6_T7_P12ihipStream_tbENKUlT_T0_E_clISt17integral_constantIbLb1EESZ_EEDaSU_SV_EUlSU_E_NS1_11comp_targetILNS1_3genE2ELNS1_11target_archE906ELNS1_3gpuE6ELNS1_3repE0EEENS1_30default_config_static_selectorELNS0_4arch9wavefront6targetE0EEEvT1_
		.amdhsa_group_segment_fixed_size 0
		.amdhsa_private_segment_fixed_size 0
		.amdhsa_kernarg_size 112
		.amdhsa_user_sgpr_count 6
		.amdhsa_user_sgpr_private_segment_buffer 1
		.amdhsa_user_sgpr_dispatch_ptr 0
		.amdhsa_user_sgpr_queue_ptr 0
		.amdhsa_user_sgpr_kernarg_segment_ptr 1
		.amdhsa_user_sgpr_dispatch_id 0
		.amdhsa_user_sgpr_flat_scratch_init 0
		.amdhsa_user_sgpr_private_segment_size 0
		.amdhsa_wavefront_size32 1
		.amdhsa_uses_dynamic_stack 0
		.amdhsa_system_sgpr_private_segment_wavefront_offset 0
		.amdhsa_system_sgpr_workgroup_id_x 1
		.amdhsa_system_sgpr_workgroup_id_y 0
		.amdhsa_system_sgpr_workgroup_id_z 0
		.amdhsa_system_sgpr_workgroup_info 0
		.amdhsa_system_vgpr_workitem_id 0
		.amdhsa_next_free_vgpr 1
		.amdhsa_next_free_sgpr 1
		.amdhsa_reserve_vcc 0
		.amdhsa_reserve_flat_scratch 0
		.amdhsa_float_round_mode_32 0
		.amdhsa_float_round_mode_16_64 0
		.amdhsa_float_denorm_mode_32 3
		.amdhsa_float_denorm_mode_16_64 3
		.amdhsa_dx10_clamp 1
		.amdhsa_ieee_mode 1
		.amdhsa_fp16_overflow 0
		.amdhsa_workgroup_processor_mode 1
		.amdhsa_memory_ordered 1
		.amdhsa_forward_progress 1
		.amdhsa_shared_vgpr_count 0
		.amdhsa_exception_fp_ieee_invalid_op 0
		.amdhsa_exception_fp_denorm_src 0
		.amdhsa_exception_fp_ieee_div_zero 0
		.amdhsa_exception_fp_ieee_overflow 0
		.amdhsa_exception_fp_ieee_underflow 0
		.amdhsa_exception_fp_ieee_inexact 0
		.amdhsa_exception_int_div_zero 0
	.end_amdhsa_kernel
	.section	.text._ZN7rocprim17ROCPRIM_400000_NS6detail17trampoline_kernelINS0_14default_configENS1_27scan_by_key_config_selectorIssEEZZNS1_16scan_by_key_implILNS1_25lookback_scan_determinismE0ELb1ES3_N6thrust23THRUST_200600_302600_NS6detail15normal_iteratorINS9_10device_ptrIsEEEESE_SE_sNS9_10multipliesIsEENS9_8equal_toIsEEsEE10hipError_tPvRmT2_T3_T4_T5_mT6_T7_P12ihipStream_tbENKUlT_T0_E_clISt17integral_constantIbLb1EESZ_EEDaSU_SV_EUlSU_E_NS1_11comp_targetILNS1_3genE2ELNS1_11target_archE906ELNS1_3gpuE6ELNS1_3repE0EEENS1_30default_config_static_selectorELNS0_4arch9wavefront6targetE0EEEvT1_,"axG",@progbits,_ZN7rocprim17ROCPRIM_400000_NS6detail17trampoline_kernelINS0_14default_configENS1_27scan_by_key_config_selectorIssEEZZNS1_16scan_by_key_implILNS1_25lookback_scan_determinismE0ELb1ES3_N6thrust23THRUST_200600_302600_NS6detail15normal_iteratorINS9_10device_ptrIsEEEESE_SE_sNS9_10multipliesIsEENS9_8equal_toIsEEsEE10hipError_tPvRmT2_T3_T4_T5_mT6_T7_P12ihipStream_tbENKUlT_T0_E_clISt17integral_constantIbLb1EESZ_EEDaSU_SV_EUlSU_E_NS1_11comp_targetILNS1_3genE2ELNS1_11target_archE906ELNS1_3gpuE6ELNS1_3repE0EEENS1_30default_config_static_selectorELNS0_4arch9wavefront6targetE0EEEvT1_,comdat
.Lfunc_end619:
	.size	_ZN7rocprim17ROCPRIM_400000_NS6detail17trampoline_kernelINS0_14default_configENS1_27scan_by_key_config_selectorIssEEZZNS1_16scan_by_key_implILNS1_25lookback_scan_determinismE0ELb1ES3_N6thrust23THRUST_200600_302600_NS6detail15normal_iteratorINS9_10device_ptrIsEEEESE_SE_sNS9_10multipliesIsEENS9_8equal_toIsEEsEE10hipError_tPvRmT2_T3_T4_T5_mT6_T7_P12ihipStream_tbENKUlT_T0_E_clISt17integral_constantIbLb1EESZ_EEDaSU_SV_EUlSU_E_NS1_11comp_targetILNS1_3genE2ELNS1_11target_archE906ELNS1_3gpuE6ELNS1_3repE0EEENS1_30default_config_static_selectorELNS0_4arch9wavefront6targetE0EEEvT1_, .Lfunc_end619-_ZN7rocprim17ROCPRIM_400000_NS6detail17trampoline_kernelINS0_14default_configENS1_27scan_by_key_config_selectorIssEEZZNS1_16scan_by_key_implILNS1_25lookback_scan_determinismE0ELb1ES3_N6thrust23THRUST_200600_302600_NS6detail15normal_iteratorINS9_10device_ptrIsEEEESE_SE_sNS9_10multipliesIsEENS9_8equal_toIsEEsEE10hipError_tPvRmT2_T3_T4_T5_mT6_T7_P12ihipStream_tbENKUlT_T0_E_clISt17integral_constantIbLb1EESZ_EEDaSU_SV_EUlSU_E_NS1_11comp_targetILNS1_3genE2ELNS1_11target_archE906ELNS1_3gpuE6ELNS1_3repE0EEENS1_30default_config_static_selectorELNS0_4arch9wavefront6targetE0EEEvT1_
                                        ; -- End function
	.set _ZN7rocprim17ROCPRIM_400000_NS6detail17trampoline_kernelINS0_14default_configENS1_27scan_by_key_config_selectorIssEEZZNS1_16scan_by_key_implILNS1_25lookback_scan_determinismE0ELb1ES3_N6thrust23THRUST_200600_302600_NS6detail15normal_iteratorINS9_10device_ptrIsEEEESE_SE_sNS9_10multipliesIsEENS9_8equal_toIsEEsEE10hipError_tPvRmT2_T3_T4_T5_mT6_T7_P12ihipStream_tbENKUlT_T0_E_clISt17integral_constantIbLb1EESZ_EEDaSU_SV_EUlSU_E_NS1_11comp_targetILNS1_3genE2ELNS1_11target_archE906ELNS1_3gpuE6ELNS1_3repE0EEENS1_30default_config_static_selectorELNS0_4arch9wavefront6targetE0EEEvT1_.num_vgpr, 0
	.set _ZN7rocprim17ROCPRIM_400000_NS6detail17trampoline_kernelINS0_14default_configENS1_27scan_by_key_config_selectorIssEEZZNS1_16scan_by_key_implILNS1_25lookback_scan_determinismE0ELb1ES3_N6thrust23THRUST_200600_302600_NS6detail15normal_iteratorINS9_10device_ptrIsEEEESE_SE_sNS9_10multipliesIsEENS9_8equal_toIsEEsEE10hipError_tPvRmT2_T3_T4_T5_mT6_T7_P12ihipStream_tbENKUlT_T0_E_clISt17integral_constantIbLb1EESZ_EEDaSU_SV_EUlSU_E_NS1_11comp_targetILNS1_3genE2ELNS1_11target_archE906ELNS1_3gpuE6ELNS1_3repE0EEENS1_30default_config_static_selectorELNS0_4arch9wavefront6targetE0EEEvT1_.num_agpr, 0
	.set _ZN7rocprim17ROCPRIM_400000_NS6detail17trampoline_kernelINS0_14default_configENS1_27scan_by_key_config_selectorIssEEZZNS1_16scan_by_key_implILNS1_25lookback_scan_determinismE0ELb1ES3_N6thrust23THRUST_200600_302600_NS6detail15normal_iteratorINS9_10device_ptrIsEEEESE_SE_sNS9_10multipliesIsEENS9_8equal_toIsEEsEE10hipError_tPvRmT2_T3_T4_T5_mT6_T7_P12ihipStream_tbENKUlT_T0_E_clISt17integral_constantIbLb1EESZ_EEDaSU_SV_EUlSU_E_NS1_11comp_targetILNS1_3genE2ELNS1_11target_archE906ELNS1_3gpuE6ELNS1_3repE0EEENS1_30default_config_static_selectorELNS0_4arch9wavefront6targetE0EEEvT1_.numbered_sgpr, 0
	.set _ZN7rocprim17ROCPRIM_400000_NS6detail17trampoline_kernelINS0_14default_configENS1_27scan_by_key_config_selectorIssEEZZNS1_16scan_by_key_implILNS1_25lookback_scan_determinismE0ELb1ES3_N6thrust23THRUST_200600_302600_NS6detail15normal_iteratorINS9_10device_ptrIsEEEESE_SE_sNS9_10multipliesIsEENS9_8equal_toIsEEsEE10hipError_tPvRmT2_T3_T4_T5_mT6_T7_P12ihipStream_tbENKUlT_T0_E_clISt17integral_constantIbLb1EESZ_EEDaSU_SV_EUlSU_E_NS1_11comp_targetILNS1_3genE2ELNS1_11target_archE906ELNS1_3gpuE6ELNS1_3repE0EEENS1_30default_config_static_selectorELNS0_4arch9wavefront6targetE0EEEvT1_.num_named_barrier, 0
	.set _ZN7rocprim17ROCPRIM_400000_NS6detail17trampoline_kernelINS0_14default_configENS1_27scan_by_key_config_selectorIssEEZZNS1_16scan_by_key_implILNS1_25lookback_scan_determinismE0ELb1ES3_N6thrust23THRUST_200600_302600_NS6detail15normal_iteratorINS9_10device_ptrIsEEEESE_SE_sNS9_10multipliesIsEENS9_8equal_toIsEEsEE10hipError_tPvRmT2_T3_T4_T5_mT6_T7_P12ihipStream_tbENKUlT_T0_E_clISt17integral_constantIbLb1EESZ_EEDaSU_SV_EUlSU_E_NS1_11comp_targetILNS1_3genE2ELNS1_11target_archE906ELNS1_3gpuE6ELNS1_3repE0EEENS1_30default_config_static_selectorELNS0_4arch9wavefront6targetE0EEEvT1_.private_seg_size, 0
	.set _ZN7rocprim17ROCPRIM_400000_NS6detail17trampoline_kernelINS0_14default_configENS1_27scan_by_key_config_selectorIssEEZZNS1_16scan_by_key_implILNS1_25lookback_scan_determinismE0ELb1ES3_N6thrust23THRUST_200600_302600_NS6detail15normal_iteratorINS9_10device_ptrIsEEEESE_SE_sNS9_10multipliesIsEENS9_8equal_toIsEEsEE10hipError_tPvRmT2_T3_T4_T5_mT6_T7_P12ihipStream_tbENKUlT_T0_E_clISt17integral_constantIbLb1EESZ_EEDaSU_SV_EUlSU_E_NS1_11comp_targetILNS1_3genE2ELNS1_11target_archE906ELNS1_3gpuE6ELNS1_3repE0EEENS1_30default_config_static_selectorELNS0_4arch9wavefront6targetE0EEEvT1_.uses_vcc, 0
	.set _ZN7rocprim17ROCPRIM_400000_NS6detail17trampoline_kernelINS0_14default_configENS1_27scan_by_key_config_selectorIssEEZZNS1_16scan_by_key_implILNS1_25lookback_scan_determinismE0ELb1ES3_N6thrust23THRUST_200600_302600_NS6detail15normal_iteratorINS9_10device_ptrIsEEEESE_SE_sNS9_10multipliesIsEENS9_8equal_toIsEEsEE10hipError_tPvRmT2_T3_T4_T5_mT6_T7_P12ihipStream_tbENKUlT_T0_E_clISt17integral_constantIbLb1EESZ_EEDaSU_SV_EUlSU_E_NS1_11comp_targetILNS1_3genE2ELNS1_11target_archE906ELNS1_3gpuE6ELNS1_3repE0EEENS1_30default_config_static_selectorELNS0_4arch9wavefront6targetE0EEEvT1_.uses_flat_scratch, 0
	.set _ZN7rocprim17ROCPRIM_400000_NS6detail17trampoline_kernelINS0_14default_configENS1_27scan_by_key_config_selectorIssEEZZNS1_16scan_by_key_implILNS1_25lookback_scan_determinismE0ELb1ES3_N6thrust23THRUST_200600_302600_NS6detail15normal_iteratorINS9_10device_ptrIsEEEESE_SE_sNS9_10multipliesIsEENS9_8equal_toIsEEsEE10hipError_tPvRmT2_T3_T4_T5_mT6_T7_P12ihipStream_tbENKUlT_T0_E_clISt17integral_constantIbLb1EESZ_EEDaSU_SV_EUlSU_E_NS1_11comp_targetILNS1_3genE2ELNS1_11target_archE906ELNS1_3gpuE6ELNS1_3repE0EEENS1_30default_config_static_selectorELNS0_4arch9wavefront6targetE0EEEvT1_.has_dyn_sized_stack, 0
	.set _ZN7rocprim17ROCPRIM_400000_NS6detail17trampoline_kernelINS0_14default_configENS1_27scan_by_key_config_selectorIssEEZZNS1_16scan_by_key_implILNS1_25lookback_scan_determinismE0ELb1ES3_N6thrust23THRUST_200600_302600_NS6detail15normal_iteratorINS9_10device_ptrIsEEEESE_SE_sNS9_10multipliesIsEENS9_8equal_toIsEEsEE10hipError_tPvRmT2_T3_T4_T5_mT6_T7_P12ihipStream_tbENKUlT_T0_E_clISt17integral_constantIbLb1EESZ_EEDaSU_SV_EUlSU_E_NS1_11comp_targetILNS1_3genE2ELNS1_11target_archE906ELNS1_3gpuE6ELNS1_3repE0EEENS1_30default_config_static_selectorELNS0_4arch9wavefront6targetE0EEEvT1_.has_recursion, 0
	.set _ZN7rocprim17ROCPRIM_400000_NS6detail17trampoline_kernelINS0_14default_configENS1_27scan_by_key_config_selectorIssEEZZNS1_16scan_by_key_implILNS1_25lookback_scan_determinismE0ELb1ES3_N6thrust23THRUST_200600_302600_NS6detail15normal_iteratorINS9_10device_ptrIsEEEESE_SE_sNS9_10multipliesIsEENS9_8equal_toIsEEsEE10hipError_tPvRmT2_T3_T4_T5_mT6_T7_P12ihipStream_tbENKUlT_T0_E_clISt17integral_constantIbLb1EESZ_EEDaSU_SV_EUlSU_E_NS1_11comp_targetILNS1_3genE2ELNS1_11target_archE906ELNS1_3gpuE6ELNS1_3repE0EEENS1_30default_config_static_selectorELNS0_4arch9wavefront6targetE0EEEvT1_.has_indirect_call, 0
	.section	.AMDGPU.csdata,"",@progbits
; Kernel info:
; codeLenInByte = 0
; TotalNumSgprs: 0
; NumVgprs: 0
; ScratchSize: 0
; MemoryBound: 0
; FloatMode: 240
; IeeeMode: 1
; LDSByteSize: 0 bytes/workgroup (compile time only)
; SGPRBlocks: 0
; VGPRBlocks: 0
; NumSGPRsForWavesPerEU: 1
; NumVGPRsForWavesPerEU: 1
; Occupancy: 16
; WaveLimiterHint : 0
; COMPUTE_PGM_RSRC2:SCRATCH_EN: 0
; COMPUTE_PGM_RSRC2:USER_SGPR: 6
; COMPUTE_PGM_RSRC2:TRAP_HANDLER: 0
; COMPUTE_PGM_RSRC2:TGID_X_EN: 1
; COMPUTE_PGM_RSRC2:TGID_Y_EN: 0
; COMPUTE_PGM_RSRC2:TGID_Z_EN: 0
; COMPUTE_PGM_RSRC2:TIDIG_COMP_CNT: 0
	.section	.text._ZN7rocprim17ROCPRIM_400000_NS6detail17trampoline_kernelINS0_14default_configENS1_27scan_by_key_config_selectorIssEEZZNS1_16scan_by_key_implILNS1_25lookback_scan_determinismE0ELb1ES3_N6thrust23THRUST_200600_302600_NS6detail15normal_iteratorINS9_10device_ptrIsEEEESE_SE_sNS9_10multipliesIsEENS9_8equal_toIsEEsEE10hipError_tPvRmT2_T3_T4_T5_mT6_T7_P12ihipStream_tbENKUlT_T0_E_clISt17integral_constantIbLb1EESZ_EEDaSU_SV_EUlSU_E_NS1_11comp_targetILNS1_3genE10ELNS1_11target_archE1200ELNS1_3gpuE4ELNS1_3repE0EEENS1_30default_config_static_selectorELNS0_4arch9wavefront6targetE0EEEvT1_,"axG",@progbits,_ZN7rocprim17ROCPRIM_400000_NS6detail17trampoline_kernelINS0_14default_configENS1_27scan_by_key_config_selectorIssEEZZNS1_16scan_by_key_implILNS1_25lookback_scan_determinismE0ELb1ES3_N6thrust23THRUST_200600_302600_NS6detail15normal_iteratorINS9_10device_ptrIsEEEESE_SE_sNS9_10multipliesIsEENS9_8equal_toIsEEsEE10hipError_tPvRmT2_T3_T4_T5_mT6_T7_P12ihipStream_tbENKUlT_T0_E_clISt17integral_constantIbLb1EESZ_EEDaSU_SV_EUlSU_E_NS1_11comp_targetILNS1_3genE10ELNS1_11target_archE1200ELNS1_3gpuE4ELNS1_3repE0EEENS1_30default_config_static_selectorELNS0_4arch9wavefront6targetE0EEEvT1_,comdat
	.protected	_ZN7rocprim17ROCPRIM_400000_NS6detail17trampoline_kernelINS0_14default_configENS1_27scan_by_key_config_selectorIssEEZZNS1_16scan_by_key_implILNS1_25lookback_scan_determinismE0ELb1ES3_N6thrust23THRUST_200600_302600_NS6detail15normal_iteratorINS9_10device_ptrIsEEEESE_SE_sNS9_10multipliesIsEENS9_8equal_toIsEEsEE10hipError_tPvRmT2_T3_T4_T5_mT6_T7_P12ihipStream_tbENKUlT_T0_E_clISt17integral_constantIbLb1EESZ_EEDaSU_SV_EUlSU_E_NS1_11comp_targetILNS1_3genE10ELNS1_11target_archE1200ELNS1_3gpuE4ELNS1_3repE0EEENS1_30default_config_static_selectorELNS0_4arch9wavefront6targetE0EEEvT1_ ; -- Begin function _ZN7rocprim17ROCPRIM_400000_NS6detail17trampoline_kernelINS0_14default_configENS1_27scan_by_key_config_selectorIssEEZZNS1_16scan_by_key_implILNS1_25lookback_scan_determinismE0ELb1ES3_N6thrust23THRUST_200600_302600_NS6detail15normal_iteratorINS9_10device_ptrIsEEEESE_SE_sNS9_10multipliesIsEENS9_8equal_toIsEEsEE10hipError_tPvRmT2_T3_T4_T5_mT6_T7_P12ihipStream_tbENKUlT_T0_E_clISt17integral_constantIbLb1EESZ_EEDaSU_SV_EUlSU_E_NS1_11comp_targetILNS1_3genE10ELNS1_11target_archE1200ELNS1_3gpuE4ELNS1_3repE0EEENS1_30default_config_static_selectorELNS0_4arch9wavefront6targetE0EEEvT1_
	.globl	_ZN7rocprim17ROCPRIM_400000_NS6detail17trampoline_kernelINS0_14default_configENS1_27scan_by_key_config_selectorIssEEZZNS1_16scan_by_key_implILNS1_25lookback_scan_determinismE0ELb1ES3_N6thrust23THRUST_200600_302600_NS6detail15normal_iteratorINS9_10device_ptrIsEEEESE_SE_sNS9_10multipliesIsEENS9_8equal_toIsEEsEE10hipError_tPvRmT2_T3_T4_T5_mT6_T7_P12ihipStream_tbENKUlT_T0_E_clISt17integral_constantIbLb1EESZ_EEDaSU_SV_EUlSU_E_NS1_11comp_targetILNS1_3genE10ELNS1_11target_archE1200ELNS1_3gpuE4ELNS1_3repE0EEENS1_30default_config_static_selectorELNS0_4arch9wavefront6targetE0EEEvT1_
	.p2align	8
	.type	_ZN7rocprim17ROCPRIM_400000_NS6detail17trampoline_kernelINS0_14default_configENS1_27scan_by_key_config_selectorIssEEZZNS1_16scan_by_key_implILNS1_25lookback_scan_determinismE0ELb1ES3_N6thrust23THRUST_200600_302600_NS6detail15normal_iteratorINS9_10device_ptrIsEEEESE_SE_sNS9_10multipliesIsEENS9_8equal_toIsEEsEE10hipError_tPvRmT2_T3_T4_T5_mT6_T7_P12ihipStream_tbENKUlT_T0_E_clISt17integral_constantIbLb1EESZ_EEDaSU_SV_EUlSU_E_NS1_11comp_targetILNS1_3genE10ELNS1_11target_archE1200ELNS1_3gpuE4ELNS1_3repE0EEENS1_30default_config_static_selectorELNS0_4arch9wavefront6targetE0EEEvT1_,@function
_ZN7rocprim17ROCPRIM_400000_NS6detail17trampoline_kernelINS0_14default_configENS1_27scan_by_key_config_selectorIssEEZZNS1_16scan_by_key_implILNS1_25lookback_scan_determinismE0ELb1ES3_N6thrust23THRUST_200600_302600_NS6detail15normal_iteratorINS9_10device_ptrIsEEEESE_SE_sNS9_10multipliesIsEENS9_8equal_toIsEEsEE10hipError_tPvRmT2_T3_T4_T5_mT6_T7_P12ihipStream_tbENKUlT_T0_E_clISt17integral_constantIbLb1EESZ_EEDaSU_SV_EUlSU_E_NS1_11comp_targetILNS1_3genE10ELNS1_11target_archE1200ELNS1_3gpuE4ELNS1_3repE0EEENS1_30default_config_static_selectorELNS0_4arch9wavefront6targetE0EEEvT1_: ; @_ZN7rocprim17ROCPRIM_400000_NS6detail17trampoline_kernelINS0_14default_configENS1_27scan_by_key_config_selectorIssEEZZNS1_16scan_by_key_implILNS1_25lookback_scan_determinismE0ELb1ES3_N6thrust23THRUST_200600_302600_NS6detail15normal_iteratorINS9_10device_ptrIsEEEESE_SE_sNS9_10multipliesIsEENS9_8equal_toIsEEsEE10hipError_tPvRmT2_T3_T4_T5_mT6_T7_P12ihipStream_tbENKUlT_T0_E_clISt17integral_constantIbLb1EESZ_EEDaSU_SV_EUlSU_E_NS1_11comp_targetILNS1_3genE10ELNS1_11target_archE1200ELNS1_3gpuE4ELNS1_3repE0EEENS1_30default_config_static_selectorELNS0_4arch9wavefront6targetE0EEEvT1_
; %bb.0:
	.section	.rodata,"a",@progbits
	.p2align	6, 0x0
	.amdhsa_kernel _ZN7rocprim17ROCPRIM_400000_NS6detail17trampoline_kernelINS0_14default_configENS1_27scan_by_key_config_selectorIssEEZZNS1_16scan_by_key_implILNS1_25lookback_scan_determinismE0ELb1ES3_N6thrust23THRUST_200600_302600_NS6detail15normal_iteratorINS9_10device_ptrIsEEEESE_SE_sNS9_10multipliesIsEENS9_8equal_toIsEEsEE10hipError_tPvRmT2_T3_T4_T5_mT6_T7_P12ihipStream_tbENKUlT_T0_E_clISt17integral_constantIbLb1EESZ_EEDaSU_SV_EUlSU_E_NS1_11comp_targetILNS1_3genE10ELNS1_11target_archE1200ELNS1_3gpuE4ELNS1_3repE0EEENS1_30default_config_static_selectorELNS0_4arch9wavefront6targetE0EEEvT1_
		.amdhsa_group_segment_fixed_size 0
		.amdhsa_private_segment_fixed_size 0
		.amdhsa_kernarg_size 112
		.amdhsa_user_sgpr_count 6
		.amdhsa_user_sgpr_private_segment_buffer 1
		.amdhsa_user_sgpr_dispatch_ptr 0
		.amdhsa_user_sgpr_queue_ptr 0
		.amdhsa_user_sgpr_kernarg_segment_ptr 1
		.amdhsa_user_sgpr_dispatch_id 0
		.amdhsa_user_sgpr_flat_scratch_init 0
		.amdhsa_user_sgpr_private_segment_size 0
		.amdhsa_wavefront_size32 1
		.amdhsa_uses_dynamic_stack 0
		.amdhsa_system_sgpr_private_segment_wavefront_offset 0
		.amdhsa_system_sgpr_workgroup_id_x 1
		.amdhsa_system_sgpr_workgroup_id_y 0
		.amdhsa_system_sgpr_workgroup_id_z 0
		.amdhsa_system_sgpr_workgroup_info 0
		.amdhsa_system_vgpr_workitem_id 0
		.amdhsa_next_free_vgpr 1
		.amdhsa_next_free_sgpr 1
		.amdhsa_reserve_vcc 0
		.amdhsa_reserve_flat_scratch 0
		.amdhsa_float_round_mode_32 0
		.amdhsa_float_round_mode_16_64 0
		.amdhsa_float_denorm_mode_32 3
		.amdhsa_float_denorm_mode_16_64 3
		.amdhsa_dx10_clamp 1
		.amdhsa_ieee_mode 1
		.amdhsa_fp16_overflow 0
		.amdhsa_workgroup_processor_mode 1
		.amdhsa_memory_ordered 1
		.amdhsa_forward_progress 1
		.amdhsa_shared_vgpr_count 0
		.amdhsa_exception_fp_ieee_invalid_op 0
		.amdhsa_exception_fp_denorm_src 0
		.amdhsa_exception_fp_ieee_div_zero 0
		.amdhsa_exception_fp_ieee_overflow 0
		.amdhsa_exception_fp_ieee_underflow 0
		.amdhsa_exception_fp_ieee_inexact 0
		.amdhsa_exception_int_div_zero 0
	.end_amdhsa_kernel
	.section	.text._ZN7rocprim17ROCPRIM_400000_NS6detail17trampoline_kernelINS0_14default_configENS1_27scan_by_key_config_selectorIssEEZZNS1_16scan_by_key_implILNS1_25lookback_scan_determinismE0ELb1ES3_N6thrust23THRUST_200600_302600_NS6detail15normal_iteratorINS9_10device_ptrIsEEEESE_SE_sNS9_10multipliesIsEENS9_8equal_toIsEEsEE10hipError_tPvRmT2_T3_T4_T5_mT6_T7_P12ihipStream_tbENKUlT_T0_E_clISt17integral_constantIbLb1EESZ_EEDaSU_SV_EUlSU_E_NS1_11comp_targetILNS1_3genE10ELNS1_11target_archE1200ELNS1_3gpuE4ELNS1_3repE0EEENS1_30default_config_static_selectorELNS0_4arch9wavefront6targetE0EEEvT1_,"axG",@progbits,_ZN7rocprim17ROCPRIM_400000_NS6detail17trampoline_kernelINS0_14default_configENS1_27scan_by_key_config_selectorIssEEZZNS1_16scan_by_key_implILNS1_25lookback_scan_determinismE0ELb1ES3_N6thrust23THRUST_200600_302600_NS6detail15normal_iteratorINS9_10device_ptrIsEEEESE_SE_sNS9_10multipliesIsEENS9_8equal_toIsEEsEE10hipError_tPvRmT2_T3_T4_T5_mT6_T7_P12ihipStream_tbENKUlT_T0_E_clISt17integral_constantIbLb1EESZ_EEDaSU_SV_EUlSU_E_NS1_11comp_targetILNS1_3genE10ELNS1_11target_archE1200ELNS1_3gpuE4ELNS1_3repE0EEENS1_30default_config_static_selectorELNS0_4arch9wavefront6targetE0EEEvT1_,comdat
.Lfunc_end620:
	.size	_ZN7rocprim17ROCPRIM_400000_NS6detail17trampoline_kernelINS0_14default_configENS1_27scan_by_key_config_selectorIssEEZZNS1_16scan_by_key_implILNS1_25lookback_scan_determinismE0ELb1ES3_N6thrust23THRUST_200600_302600_NS6detail15normal_iteratorINS9_10device_ptrIsEEEESE_SE_sNS9_10multipliesIsEENS9_8equal_toIsEEsEE10hipError_tPvRmT2_T3_T4_T5_mT6_T7_P12ihipStream_tbENKUlT_T0_E_clISt17integral_constantIbLb1EESZ_EEDaSU_SV_EUlSU_E_NS1_11comp_targetILNS1_3genE10ELNS1_11target_archE1200ELNS1_3gpuE4ELNS1_3repE0EEENS1_30default_config_static_selectorELNS0_4arch9wavefront6targetE0EEEvT1_, .Lfunc_end620-_ZN7rocprim17ROCPRIM_400000_NS6detail17trampoline_kernelINS0_14default_configENS1_27scan_by_key_config_selectorIssEEZZNS1_16scan_by_key_implILNS1_25lookback_scan_determinismE0ELb1ES3_N6thrust23THRUST_200600_302600_NS6detail15normal_iteratorINS9_10device_ptrIsEEEESE_SE_sNS9_10multipliesIsEENS9_8equal_toIsEEsEE10hipError_tPvRmT2_T3_T4_T5_mT6_T7_P12ihipStream_tbENKUlT_T0_E_clISt17integral_constantIbLb1EESZ_EEDaSU_SV_EUlSU_E_NS1_11comp_targetILNS1_3genE10ELNS1_11target_archE1200ELNS1_3gpuE4ELNS1_3repE0EEENS1_30default_config_static_selectorELNS0_4arch9wavefront6targetE0EEEvT1_
                                        ; -- End function
	.set _ZN7rocprim17ROCPRIM_400000_NS6detail17trampoline_kernelINS0_14default_configENS1_27scan_by_key_config_selectorIssEEZZNS1_16scan_by_key_implILNS1_25lookback_scan_determinismE0ELb1ES3_N6thrust23THRUST_200600_302600_NS6detail15normal_iteratorINS9_10device_ptrIsEEEESE_SE_sNS9_10multipliesIsEENS9_8equal_toIsEEsEE10hipError_tPvRmT2_T3_T4_T5_mT6_T7_P12ihipStream_tbENKUlT_T0_E_clISt17integral_constantIbLb1EESZ_EEDaSU_SV_EUlSU_E_NS1_11comp_targetILNS1_3genE10ELNS1_11target_archE1200ELNS1_3gpuE4ELNS1_3repE0EEENS1_30default_config_static_selectorELNS0_4arch9wavefront6targetE0EEEvT1_.num_vgpr, 0
	.set _ZN7rocprim17ROCPRIM_400000_NS6detail17trampoline_kernelINS0_14default_configENS1_27scan_by_key_config_selectorIssEEZZNS1_16scan_by_key_implILNS1_25lookback_scan_determinismE0ELb1ES3_N6thrust23THRUST_200600_302600_NS6detail15normal_iteratorINS9_10device_ptrIsEEEESE_SE_sNS9_10multipliesIsEENS9_8equal_toIsEEsEE10hipError_tPvRmT2_T3_T4_T5_mT6_T7_P12ihipStream_tbENKUlT_T0_E_clISt17integral_constantIbLb1EESZ_EEDaSU_SV_EUlSU_E_NS1_11comp_targetILNS1_3genE10ELNS1_11target_archE1200ELNS1_3gpuE4ELNS1_3repE0EEENS1_30default_config_static_selectorELNS0_4arch9wavefront6targetE0EEEvT1_.num_agpr, 0
	.set _ZN7rocprim17ROCPRIM_400000_NS6detail17trampoline_kernelINS0_14default_configENS1_27scan_by_key_config_selectorIssEEZZNS1_16scan_by_key_implILNS1_25lookback_scan_determinismE0ELb1ES3_N6thrust23THRUST_200600_302600_NS6detail15normal_iteratorINS9_10device_ptrIsEEEESE_SE_sNS9_10multipliesIsEENS9_8equal_toIsEEsEE10hipError_tPvRmT2_T3_T4_T5_mT6_T7_P12ihipStream_tbENKUlT_T0_E_clISt17integral_constantIbLb1EESZ_EEDaSU_SV_EUlSU_E_NS1_11comp_targetILNS1_3genE10ELNS1_11target_archE1200ELNS1_3gpuE4ELNS1_3repE0EEENS1_30default_config_static_selectorELNS0_4arch9wavefront6targetE0EEEvT1_.numbered_sgpr, 0
	.set _ZN7rocprim17ROCPRIM_400000_NS6detail17trampoline_kernelINS0_14default_configENS1_27scan_by_key_config_selectorIssEEZZNS1_16scan_by_key_implILNS1_25lookback_scan_determinismE0ELb1ES3_N6thrust23THRUST_200600_302600_NS6detail15normal_iteratorINS9_10device_ptrIsEEEESE_SE_sNS9_10multipliesIsEENS9_8equal_toIsEEsEE10hipError_tPvRmT2_T3_T4_T5_mT6_T7_P12ihipStream_tbENKUlT_T0_E_clISt17integral_constantIbLb1EESZ_EEDaSU_SV_EUlSU_E_NS1_11comp_targetILNS1_3genE10ELNS1_11target_archE1200ELNS1_3gpuE4ELNS1_3repE0EEENS1_30default_config_static_selectorELNS0_4arch9wavefront6targetE0EEEvT1_.num_named_barrier, 0
	.set _ZN7rocprim17ROCPRIM_400000_NS6detail17trampoline_kernelINS0_14default_configENS1_27scan_by_key_config_selectorIssEEZZNS1_16scan_by_key_implILNS1_25lookback_scan_determinismE0ELb1ES3_N6thrust23THRUST_200600_302600_NS6detail15normal_iteratorINS9_10device_ptrIsEEEESE_SE_sNS9_10multipliesIsEENS9_8equal_toIsEEsEE10hipError_tPvRmT2_T3_T4_T5_mT6_T7_P12ihipStream_tbENKUlT_T0_E_clISt17integral_constantIbLb1EESZ_EEDaSU_SV_EUlSU_E_NS1_11comp_targetILNS1_3genE10ELNS1_11target_archE1200ELNS1_3gpuE4ELNS1_3repE0EEENS1_30default_config_static_selectorELNS0_4arch9wavefront6targetE0EEEvT1_.private_seg_size, 0
	.set _ZN7rocprim17ROCPRIM_400000_NS6detail17trampoline_kernelINS0_14default_configENS1_27scan_by_key_config_selectorIssEEZZNS1_16scan_by_key_implILNS1_25lookback_scan_determinismE0ELb1ES3_N6thrust23THRUST_200600_302600_NS6detail15normal_iteratorINS9_10device_ptrIsEEEESE_SE_sNS9_10multipliesIsEENS9_8equal_toIsEEsEE10hipError_tPvRmT2_T3_T4_T5_mT6_T7_P12ihipStream_tbENKUlT_T0_E_clISt17integral_constantIbLb1EESZ_EEDaSU_SV_EUlSU_E_NS1_11comp_targetILNS1_3genE10ELNS1_11target_archE1200ELNS1_3gpuE4ELNS1_3repE0EEENS1_30default_config_static_selectorELNS0_4arch9wavefront6targetE0EEEvT1_.uses_vcc, 0
	.set _ZN7rocprim17ROCPRIM_400000_NS6detail17trampoline_kernelINS0_14default_configENS1_27scan_by_key_config_selectorIssEEZZNS1_16scan_by_key_implILNS1_25lookback_scan_determinismE0ELb1ES3_N6thrust23THRUST_200600_302600_NS6detail15normal_iteratorINS9_10device_ptrIsEEEESE_SE_sNS9_10multipliesIsEENS9_8equal_toIsEEsEE10hipError_tPvRmT2_T3_T4_T5_mT6_T7_P12ihipStream_tbENKUlT_T0_E_clISt17integral_constantIbLb1EESZ_EEDaSU_SV_EUlSU_E_NS1_11comp_targetILNS1_3genE10ELNS1_11target_archE1200ELNS1_3gpuE4ELNS1_3repE0EEENS1_30default_config_static_selectorELNS0_4arch9wavefront6targetE0EEEvT1_.uses_flat_scratch, 0
	.set _ZN7rocprim17ROCPRIM_400000_NS6detail17trampoline_kernelINS0_14default_configENS1_27scan_by_key_config_selectorIssEEZZNS1_16scan_by_key_implILNS1_25lookback_scan_determinismE0ELb1ES3_N6thrust23THRUST_200600_302600_NS6detail15normal_iteratorINS9_10device_ptrIsEEEESE_SE_sNS9_10multipliesIsEENS9_8equal_toIsEEsEE10hipError_tPvRmT2_T3_T4_T5_mT6_T7_P12ihipStream_tbENKUlT_T0_E_clISt17integral_constantIbLb1EESZ_EEDaSU_SV_EUlSU_E_NS1_11comp_targetILNS1_3genE10ELNS1_11target_archE1200ELNS1_3gpuE4ELNS1_3repE0EEENS1_30default_config_static_selectorELNS0_4arch9wavefront6targetE0EEEvT1_.has_dyn_sized_stack, 0
	.set _ZN7rocprim17ROCPRIM_400000_NS6detail17trampoline_kernelINS0_14default_configENS1_27scan_by_key_config_selectorIssEEZZNS1_16scan_by_key_implILNS1_25lookback_scan_determinismE0ELb1ES3_N6thrust23THRUST_200600_302600_NS6detail15normal_iteratorINS9_10device_ptrIsEEEESE_SE_sNS9_10multipliesIsEENS9_8equal_toIsEEsEE10hipError_tPvRmT2_T3_T4_T5_mT6_T7_P12ihipStream_tbENKUlT_T0_E_clISt17integral_constantIbLb1EESZ_EEDaSU_SV_EUlSU_E_NS1_11comp_targetILNS1_3genE10ELNS1_11target_archE1200ELNS1_3gpuE4ELNS1_3repE0EEENS1_30default_config_static_selectorELNS0_4arch9wavefront6targetE0EEEvT1_.has_recursion, 0
	.set _ZN7rocprim17ROCPRIM_400000_NS6detail17trampoline_kernelINS0_14default_configENS1_27scan_by_key_config_selectorIssEEZZNS1_16scan_by_key_implILNS1_25lookback_scan_determinismE0ELb1ES3_N6thrust23THRUST_200600_302600_NS6detail15normal_iteratorINS9_10device_ptrIsEEEESE_SE_sNS9_10multipliesIsEENS9_8equal_toIsEEsEE10hipError_tPvRmT2_T3_T4_T5_mT6_T7_P12ihipStream_tbENKUlT_T0_E_clISt17integral_constantIbLb1EESZ_EEDaSU_SV_EUlSU_E_NS1_11comp_targetILNS1_3genE10ELNS1_11target_archE1200ELNS1_3gpuE4ELNS1_3repE0EEENS1_30default_config_static_selectorELNS0_4arch9wavefront6targetE0EEEvT1_.has_indirect_call, 0
	.section	.AMDGPU.csdata,"",@progbits
; Kernel info:
; codeLenInByte = 0
; TotalNumSgprs: 0
; NumVgprs: 0
; ScratchSize: 0
; MemoryBound: 0
; FloatMode: 240
; IeeeMode: 1
; LDSByteSize: 0 bytes/workgroup (compile time only)
; SGPRBlocks: 0
; VGPRBlocks: 0
; NumSGPRsForWavesPerEU: 1
; NumVGPRsForWavesPerEU: 1
; Occupancy: 16
; WaveLimiterHint : 0
; COMPUTE_PGM_RSRC2:SCRATCH_EN: 0
; COMPUTE_PGM_RSRC2:USER_SGPR: 6
; COMPUTE_PGM_RSRC2:TRAP_HANDLER: 0
; COMPUTE_PGM_RSRC2:TGID_X_EN: 1
; COMPUTE_PGM_RSRC2:TGID_Y_EN: 0
; COMPUTE_PGM_RSRC2:TGID_Z_EN: 0
; COMPUTE_PGM_RSRC2:TIDIG_COMP_CNT: 0
	.section	.text._ZN7rocprim17ROCPRIM_400000_NS6detail17trampoline_kernelINS0_14default_configENS1_27scan_by_key_config_selectorIssEEZZNS1_16scan_by_key_implILNS1_25lookback_scan_determinismE0ELb1ES3_N6thrust23THRUST_200600_302600_NS6detail15normal_iteratorINS9_10device_ptrIsEEEESE_SE_sNS9_10multipliesIsEENS9_8equal_toIsEEsEE10hipError_tPvRmT2_T3_T4_T5_mT6_T7_P12ihipStream_tbENKUlT_T0_E_clISt17integral_constantIbLb1EESZ_EEDaSU_SV_EUlSU_E_NS1_11comp_targetILNS1_3genE9ELNS1_11target_archE1100ELNS1_3gpuE3ELNS1_3repE0EEENS1_30default_config_static_selectorELNS0_4arch9wavefront6targetE0EEEvT1_,"axG",@progbits,_ZN7rocprim17ROCPRIM_400000_NS6detail17trampoline_kernelINS0_14default_configENS1_27scan_by_key_config_selectorIssEEZZNS1_16scan_by_key_implILNS1_25lookback_scan_determinismE0ELb1ES3_N6thrust23THRUST_200600_302600_NS6detail15normal_iteratorINS9_10device_ptrIsEEEESE_SE_sNS9_10multipliesIsEENS9_8equal_toIsEEsEE10hipError_tPvRmT2_T3_T4_T5_mT6_T7_P12ihipStream_tbENKUlT_T0_E_clISt17integral_constantIbLb1EESZ_EEDaSU_SV_EUlSU_E_NS1_11comp_targetILNS1_3genE9ELNS1_11target_archE1100ELNS1_3gpuE3ELNS1_3repE0EEENS1_30default_config_static_selectorELNS0_4arch9wavefront6targetE0EEEvT1_,comdat
	.protected	_ZN7rocprim17ROCPRIM_400000_NS6detail17trampoline_kernelINS0_14default_configENS1_27scan_by_key_config_selectorIssEEZZNS1_16scan_by_key_implILNS1_25lookback_scan_determinismE0ELb1ES3_N6thrust23THRUST_200600_302600_NS6detail15normal_iteratorINS9_10device_ptrIsEEEESE_SE_sNS9_10multipliesIsEENS9_8equal_toIsEEsEE10hipError_tPvRmT2_T3_T4_T5_mT6_T7_P12ihipStream_tbENKUlT_T0_E_clISt17integral_constantIbLb1EESZ_EEDaSU_SV_EUlSU_E_NS1_11comp_targetILNS1_3genE9ELNS1_11target_archE1100ELNS1_3gpuE3ELNS1_3repE0EEENS1_30default_config_static_selectorELNS0_4arch9wavefront6targetE0EEEvT1_ ; -- Begin function _ZN7rocprim17ROCPRIM_400000_NS6detail17trampoline_kernelINS0_14default_configENS1_27scan_by_key_config_selectorIssEEZZNS1_16scan_by_key_implILNS1_25lookback_scan_determinismE0ELb1ES3_N6thrust23THRUST_200600_302600_NS6detail15normal_iteratorINS9_10device_ptrIsEEEESE_SE_sNS9_10multipliesIsEENS9_8equal_toIsEEsEE10hipError_tPvRmT2_T3_T4_T5_mT6_T7_P12ihipStream_tbENKUlT_T0_E_clISt17integral_constantIbLb1EESZ_EEDaSU_SV_EUlSU_E_NS1_11comp_targetILNS1_3genE9ELNS1_11target_archE1100ELNS1_3gpuE3ELNS1_3repE0EEENS1_30default_config_static_selectorELNS0_4arch9wavefront6targetE0EEEvT1_
	.globl	_ZN7rocprim17ROCPRIM_400000_NS6detail17trampoline_kernelINS0_14default_configENS1_27scan_by_key_config_selectorIssEEZZNS1_16scan_by_key_implILNS1_25lookback_scan_determinismE0ELb1ES3_N6thrust23THRUST_200600_302600_NS6detail15normal_iteratorINS9_10device_ptrIsEEEESE_SE_sNS9_10multipliesIsEENS9_8equal_toIsEEsEE10hipError_tPvRmT2_T3_T4_T5_mT6_T7_P12ihipStream_tbENKUlT_T0_E_clISt17integral_constantIbLb1EESZ_EEDaSU_SV_EUlSU_E_NS1_11comp_targetILNS1_3genE9ELNS1_11target_archE1100ELNS1_3gpuE3ELNS1_3repE0EEENS1_30default_config_static_selectorELNS0_4arch9wavefront6targetE0EEEvT1_
	.p2align	8
	.type	_ZN7rocprim17ROCPRIM_400000_NS6detail17trampoline_kernelINS0_14default_configENS1_27scan_by_key_config_selectorIssEEZZNS1_16scan_by_key_implILNS1_25lookback_scan_determinismE0ELb1ES3_N6thrust23THRUST_200600_302600_NS6detail15normal_iteratorINS9_10device_ptrIsEEEESE_SE_sNS9_10multipliesIsEENS9_8equal_toIsEEsEE10hipError_tPvRmT2_T3_T4_T5_mT6_T7_P12ihipStream_tbENKUlT_T0_E_clISt17integral_constantIbLb1EESZ_EEDaSU_SV_EUlSU_E_NS1_11comp_targetILNS1_3genE9ELNS1_11target_archE1100ELNS1_3gpuE3ELNS1_3repE0EEENS1_30default_config_static_selectorELNS0_4arch9wavefront6targetE0EEEvT1_,@function
_ZN7rocprim17ROCPRIM_400000_NS6detail17trampoline_kernelINS0_14default_configENS1_27scan_by_key_config_selectorIssEEZZNS1_16scan_by_key_implILNS1_25lookback_scan_determinismE0ELb1ES3_N6thrust23THRUST_200600_302600_NS6detail15normal_iteratorINS9_10device_ptrIsEEEESE_SE_sNS9_10multipliesIsEENS9_8equal_toIsEEsEE10hipError_tPvRmT2_T3_T4_T5_mT6_T7_P12ihipStream_tbENKUlT_T0_E_clISt17integral_constantIbLb1EESZ_EEDaSU_SV_EUlSU_E_NS1_11comp_targetILNS1_3genE9ELNS1_11target_archE1100ELNS1_3gpuE3ELNS1_3repE0EEENS1_30default_config_static_selectorELNS0_4arch9wavefront6targetE0EEEvT1_: ; @_ZN7rocprim17ROCPRIM_400000_NS6detail17trampoline_kernelINS0_14default_configENS1_27scan_by_key_config_selectorIssEEZZNS1_16scan_by_key_implILNS1_25lookback_scan_determinismE0ELb1ES3_N6thrust23THRUST_200600_302600_NS6detail15normal_iteratorINS9_10device_ptrIsEEEESE_SE_sNS9_10multipliesIsEENS9_8equal_toIsEEsEE10hipError_tPvRmT2_T3_T4_T5_mT6_T7_P12ihipStream_tbENKUlT_T0_E_clISt17integral_constantIbLb1EESZ_EEDaSU_SV_EUlSU_E_NS1_11comp_targetILNS1_3genE9ELNS1_11target_archE1100ELNS1_3gpuE3ELNS1_3repE0EEENS1_30default_config_static_selectorELNS0_4arch9wavefront6targetE0EEEvT1_
; %bb.0:
	.section	.rodata,"a",@progbits
	.p2align	6, 0x0
	.amdhsa_kernel _ZN7rocprim17ROCPRIM_400000_NS6detail17trampoline_kernelINS0_14default_configENS1_27scan_by_key_config_selectorIssEEZZNS1_16scan_by_key_implILNS1_25lookback_scan_determinismE0ELb1ES3_N6thrust23THRUST_200600_302600_NS6detail15normal_iteratorINS9_10device_ptrIsEEEESE_SE_sNS9_10multipliesIsEENS9_8equal_toIsEEsEE10hipError_tPvRmT2_T3_T4_T5_mT6_T7_P12ihipStream_tbENKUlT_T0_E_clISt17integral_constantIbLb1EESZ_EEDaSU_SV_EUlSU_E_NS1_11comp_targetILNS1_3genE9ELNS1_11target_archE1100ELNS1_3gpuE3ELNS1_3repE0EEENS1_30default_config_static_selectorELNS0_4arch9wavefront6targetE0EEEvT1_
		.amdhsa_group_segment_fixed_size 0
		.amdhsa_private_segment_fixed_size 0
		.amdhsa_kernarg_size 112
		.amdhsa_user_sgpr_count 6
		.amdhsa_user_sgpr_private_segment_buffer 1
		.amdhsa_user_sgpr_dispatch_ptr 0
		.amdhsa_user_sgpr_queue_ptr 0
		.amdhsa_user_sgpr_kernarg_segment_ptr 1
		.amdhsa_user_sgpr_dispatch_id 0
		.amdhsa_user_sgpr_flat_scratch_init 0
		.amdhsa_user_sgpr_private_segment_size 0
		.amdhsa_wavefront_size32 1
		.amdhsa_uses_dynamic_stack 0
		.amdhsa_system_sgpr_private_segment_wavefront_offset 0
		.amdhsa_system_sgpr_workgroup_id_x 1
		.amdhsa_system_sgpr_workgroup_id_y 0
		.amdhsa_system_sgpr_workgroup_id_z 0
		.amdhsa_system_sgpr_workgroup_info 0
		.amdhsa_system_vgpr_workitem_id 0
		.amdhsa_next_free_vgpr 1
		.amdhsa_next_free_sgpr 1
		.amdhsa_reserve_vcc 0
		.amdhsa_reserve_flat_scratch 0
		.amdhsa_float_round_mode_32 0
		.amdhsa_float_round_mode_16_64 0
		.amdhsa_float_denorm_mode_32 3
		.amdhsa_float_denorm_mode_16_64 3
		.amdhsa_dx10_clamp 1
		.amdhsa_ieee_mode 1
		.amdhsa_fp16_overflow 0
		.amdhsa_workgroup_processor_mode 1
		.amdhsa_memory_ordered 1
		.amdhsa_forward_progress 1
		.amdhsa_shared_vgpr_count 0
		.amdhsa_exception_fp_ieee_invalid_op 0
		.amdhsa_exception_fp_denorm_src 0
		.amdhsa_exception_fp_ieee_div_zero 0
		.amdhsa_exception_fp_ieee_overflow 0
		.amdhsa_exception_fp_ieee_underflow 0
		.amdhsa_exception_fp_ieee_inexact 0
		.amdhsa_exception_int_div_zero 0
	.end_amdhsa_kernel
	.section	.text._ZN7rocprim17ROCPRIM_400000_NS6detail17trampoline_kernelINS0_14default_configENS1_27scan_by_key_config_selectorIssEEZZNS1_16scan_by_key_implILNS1_25lookback_scan_determinismE0ELb1ES3_N6thrust23THRUST_200600_302600_NS6detail15normal_iteratorINS9_10device_ptrIsEEEESE_SE_sNS9_10multipliesIsEENS9_8equal_toIsEEsEE10hipError_tPvRmT2_T3_T4_T5_mT6_T7_P12ihipStream_tbENKUlT_T0_E_clISt17integral_constantIbLb1EESZ_EEDaSU_SV_EUlSU_E_NS1_11comp_targetILNS1_3genE9ELNS1_11target_archE1100ELNS1_3gpuE3ELNS1_3repE0EEENS1_30default_config_static_selectorELNS0_4arch9wavefront6targetE0EEEvT1_,"axG",@progbits,_ZN7rocprim17ROCPRIM_400000_NS6detail17trampoline_kernelINS0_14default_configENS1_27scan_by_key_config_selectorIssEEZZNS1_16scan_by_key_implILNS1_25lookback_scan_determinismE0ELb1ES3_N6thrust23THRUST_200600_302600_NS6detail15normal_iteratorINS9_10device_ptrIsEEEESE_SE_sNS9_10multipliesIsEENS9_8equal_toIsEEsEE10hipError_tPvRmT2_T3_T4_T5_mT6_T7_P12ihipStream_tbENKUlT_T0_E_clISt17integral_constantIbLb1EESZ_EEDaSU_SV_EUlSU_E_NS1_11comp_targetILNS1_3genE9ELNS1_11target_archE1100ELNS1_3gpuE3ELNS1_3repE0EEENS1_30default_config_static_selectorELNS0_4arch9wavefront6targetE0EEEvT1_,comdat
.Lfunc_end621:
	.size	_ZN7rocprim17ROCPRIM_400000_NS6detail17trampoline_kernelINS0_14default_configENS1_27scan_by_key_config_selectorIssEEZZNS1_16scan_by_key_implILNS1_25lookback_scan_determinismE0ELb1ES3_N6thrust23THRUST_200600_302600_NS6detail15normal_iteratorINS9_10device_ptrIsEEEESE_SE_sNS9_10multipliesIsEENS9_8equal_toIsEEsEE10hipError_tPvRmT2_T3_T4_T5_mT6_T7_P12ihipStream_tbENKUlT_T0_E_clISt17integral_constantIbLb1EESZ_EEDaSU_SV_EUlSU_E_NS1_11comp_targetILNS1_3genE9ELNS1_11target_archE1100ELNS1_3gpuE3ELNS1_3repE0EEENS1_30default_config_static_selectorELNS0_4arch9wavefront6targetE0EEEvT1_, .Lfunc_end621-_ZN7rocprim17ROCPRIM_400000_NS6detail17trampoline_kernelINS0_14default_configENS1_27scan_by_key_config_selectorIssEEZZNS1_16scan_by_key_implILNS1_25lookback_scan_determinismE0ELb1ES3_N6thrust23THRUST_200600_302600_NS6detail15normal_iteratorINS9_10device_ptrIsEEEESE_SE_sNS9_10multipliesIsEENS9_8equal_toIsEEsEE10hipError_tPvRmT2_T3_T4_T5_mT6_T7_P12ihipStream_tbENKUlT_T0_E_clISt17integral_constantIbLb1EESZ_EEDaSU_SV_EUlSU_E_NS1_11comp_targetILNS1_3genE9ELNS1_11target_archE1100ELNS1_3gpuE3ELNS1_3repE0EEENS1_30default_config_static_selectorELNS0_4arch9wavefront6targetE0EEEvT1_
                                        ; -- End function
	.set _ZN7rocprim17ROCPRIM_400000_NS6detail17trampoline_kernelINS0_14default_configENS1_27scan_by_key_config_selectorIssEEZZNS1_16scan_by_key_implILNS1_25lookback_scan_determinismE0ELb1ES3_N6thrust23THRUST_200600_302600_NS6detail15normal_iteratorINS9_10device_ptrIsEEEESE_SE_sNS9_10multipliesIsEENS9_8equal_toIsEEsEE10hipError_tPvRmT2_T3_T4_T5_mT6_T7_P12ihipStream_tbENKUlT_T0_E_clISt17integral_constantIbLb1EESZ_EEDaSU_SV_EUlSU_E_NS1_11comp_targetILNS1_3genE9ELNS1_11target_archE1100ELNS1_3gpuE3ELNS1_3repE0EEENS1_30default_config_static_selectorELNS0_4arch9wavefront6targetE0EEEvT1_.num_vgpr, 0
	.set _ZN7rocprim17ROCPRIM_400000_NS6detail17trampoline_kernelINS0_14default_configENS1_27scan_by_key_config_selectorIssEEZZNS1_16scan_by_key_implILNS1_25lookback_scan_determinismE0ELb1ES3_N6thrust23THRUST_200600_302600_NS6detail15normal_iteratorINS9_10device_ptrIsEEEESE_SE_sNS9_10multipliesIsEENS9_8equal_toIsEEsEE10hipError_tPvRmT2_T3_T4_T5_mT6_T7_P12ihipStream_tbENKUlT_T0_E_clISt17integral_constantIbLb1EESZ_EEDaSU_SV_EUlSU_E_NS1_11comp_targetILNS1_3genE9ELNS1_11target_archE1100ELNS1_3gpuE3ELNS1_3repE0EEENS1_30default_config_static_selectorELNS0_4arch9wavefront6targetE0EEEvT1_.num_agpr, 0
	.set _ZN7rocprim17ROCPRIM_400000_NS6detail17trampoline_kernelINS0_14default_configENS1_27scan_by_key_config_selectorIssEEZZNS1_16scan_by_key_implILNS1_25lookback_scan_determinismE0ELb1ES3_N6thrust23THRUST_200600_302600_NS6detail15normal_iteratorINS9_10device_ptrIsEEEESE_SE_sNS9_10multipliesIsEENS9_8equal_toIsEEsEE10hipError_tPvRmT2_T3_T4_T5_mT6_T7_P12ihipStream_tbENKUlT_T0_E_clISt17integral_constantIbLb1EESZ_EEDaSU_SV_EUlSU_E_NS1_11comp_targetILNS1_3genE9ELNS1_11target_archE1100ELNS1_3gpuE3ELNS1_3repE0EEENS1_30default_config_static_selectorELNS0_4arch9wavefront6targetE0EEEvT1_.numbered_sgpr, 0
	.set _ZN7rocprim17ROCPRIM_400000_NS6detail17trampoline_kernelINS0_14default_configENS1_27scan_by_key_config_selectorIssEEZZNS1_16scan_by_key_implILNS1_25lookback_scan_determinismE0ELb1ES3_N6thrust23THRUST_200600_302600_NS6detail15normal_iteratorINS9_10device_ptrIsEEEESE_SE_sNS9_10multipliesIsEENS9_8equal_toIsEEsEE10hipError_tPvRmT2_T3_T4_T5_mT6_T7_P12ihipStream_tbENKUlT_T0_E_clISt17integral_constantIbLb1EESZ_EEDaSU_SV_EUlSU_E_NS1_11comp_targetILNS1_3genE9ELNS1_11target_archE1100ELNS1_3gpuE3ELNS1_3repE0EEENS1_30default_config_static_selectorELNS0_4arch9wavefront6targetE0EEEvT1_.num_named_barrier, 0
	.set _ZN7rocprim17ROCPRIM_400000_NS6detail17trampoline_kernelINS0_14default_configENS1_27scan_by_key_config_selectorIssEEZZNS1_16scan_by_key_implILNS1_25lookback_scan_determinismE0ELb1ES3_N6thrust23THRUST_200600_302600_NS6detail15normal_iteratorINS9_10device_ptrIsEEEESE_SE_sNS9_10multipliesIsEENS9_8equal_toIsEEsEE10hipError_tPvRmT2_T3_T4_T5_mT6_T7_P12ihipStream_tbENKUlT_T0_E_clISt17integral_constantIbLb1EESZ_EEDaSU_SV_EUlSU_E_NS1_11comp_targetILNS1_3genE9ELNS1_11target_archE1100ELNS1_3gpuE3ELNS1_3repE0EEENS1_30default_config_static_selectorELNS0_4arch9wavefront6targetE0EEEvT1_.private_seg_size, 0
	.set _ZN7rocprim17ROCPRIM_400000_NS6detail17trampoline_kernelINS0_14default_configENS1_27scan_by_key_config_selectorIssEEZZNS1_16scan_by_key_implILNS1_25lookback_scan_determinismE0ELb1ES3_N6thrust23THRUST_200600_302600_NS6detail15normal_iteratorINS9_10device_ptrIsEEEESE_SE_sNS9_10multipliesIsEENS9_8equal_toIsEEsEE10hipError_tPvRmT2_T3_T4_T5_mT6_T7_P12ihipStream_tbENKUlT_T0_E_clISt17integral_constantIbLb1EESZ_EEDaSU_SV_EUlSU_E_NS1_11comp_targetILNS1_3genE9ELNS1_11target_archE1100ELNS1_3gpuE3ELNS1_3repE0EEENS1_30default_config_static_selectorELNS0_4arch9wavefront6targetE0EEEvT1_.uses_vcc, 0
	.set _ZN7rocprim17ROCPRIM_400000_NS6detail17trampoline_kernelINS0_14default_configENS1_27scan_by_key_config_selectorIssEEZZNS1_16scan_by_key_implILNS1_25lookback_scan_determinismE0ELb1ES3_N6thrust23THRUST_200600_302600_NS6detail15normal_iteratorINS9_10device_ptrIsEEEESE_SE_sNS9_10multipliesIsEENS9_8equal_toIsEEsEE10hipError_tPvRmT2_T3_T4_T5_mT6_T7_P12ihipStream_tbENKUlT_T0_E_clISt17integral_constantIbLb1EESZ_EEDaSU_SV_EUlSU_E_NS1_11comp_targetILNS1_3genE9ELNS1_11target_archE1100ELNS1_3gpuE3ELNS1_3repE0EEENS1_30default_config_static_selectorELNS0_4arch9wavefront6targetE0EEEvT1_.uses_flat_scratch, 0
	.set _ZN7rocprim17ROCPRIM_400000_NS6detail17trampoline_kernelINS0_14default_configENS1_27scan_by_key_config_selectorIssEEZZNS1_16scan_by_key_implILNS1_25lookback_scan_determinismE0ELb1ES3_N6thrust23THRUST_200600_302600_NS6detail15normal_iteratorINS9_10device_ptrIsEEEESE_SE_sNS9_10multipliesIsEENS9_8equal_toIsEEsEE10hipError_tPvRmT2_T3_T4_T5_mT6_T7_P12ihipStream_tbENKUlT_T0_E_clISt17integral_constantIbLb1EESZ_EEDaSU_SV_EUlSU_E_NS1_11comp_targetILNS1_3genE9ELNS1_11target_archE1100ELNS1_3gpuE3ELNS1_3repE0EEENS1_30default_config_static_selectorELNS0_4arch9wavefront6targetE0EEEvT1_.has_dyn_sized_stack, 0
	.set _ZN7rocprim17ROCPRIM_400000_NS6detail17trampoline_kernelINS0_14default_configENS1_27scan_by_key_config_selectorIssEEZZNS1_16scan_by_key_implILNS1_25lookback_scan_determinismE0ELb1ES3_N6thrust23THRUST_200600_302600_NS6detail15normal_iteratorINS9_10device_ptrIsEEEESE_SE_sNS9_10multipliesIsEENS9_8equal_toIsEEsEE10hipError_tPvRmT2_T3_T4_T5_mT6_T7_P12ihipStream_tbENKUlT_T0_E_clISt17integral_constantIbLb1EESZ_EEDaSU_SV_EUlSU_E_NS1_11comp_targetILNS1_3genE9ELNS1_11target_archE1100ELNS1_3gpuE3ELNS1_3repE0EEENS1_30default_config_static_selectorELNS0_4arch9wavefront6targetE0EEEvT1_.has_recursion, 0
	.set _ZN7rocprim17ROCPRIM_400000_NS6detail17trampoline_kernelINS0_14default_configENS1_27scan_by_key_config_selectorIssEEZZNS1_16scan_by_key_implILNS1_25lookback_scan_determinismE0ELb1ES3_N6thrust23THRUST_200600_302600_NS6detail15normal_iteratorINS9_10device_ptrIsEEEESE_SE_sNS9_10multipliesIsEENS9_8equal_toIsEEsEE10hipError_tPvRmT2_T3_T4_T5_mT6_T7_P12ihipStream_tbENKUlT_T0_E_clISt17integral_constantIbLb1EESZ_EEDaSU_SV_EUlSU_E_NS1_11comp_targetILNS1_3genE9ELNS1_11target_archE1100ELNS1_3gpuE3ELNS1_3repE0EEENS1_30default_config_static_selectorELNS0_4arch9wavefront6targetE0EEEvT1_.has_indirect_call, 0
	.section	.AMDGPU.csdata,"",@progbits
; Kernel info:
; codeLenInByte = 0
; TotalNumSgprs: 0
; NumVgprs: 0
; ScratchSize: 0
; MemoryBound: 0
; FloatMode: 240
; IeeeMode: 1
; LDSByteSize: 0 bytes/workgroup (compile time only)
; SGPRBlocks: 0
; VGPRBlocks: 0
; NumSGPRsForWavesPerEU: 1
; NumVGPRsForWavesPerEU: 1
; Occupancy: 16
; WaveLimiterHint : 0
; COMPUTE_PGM_RSRC2:SCRATCH_EN: 0
; COMPUTE_PGM_RSRC2:USER_SGPR: 6
; COMPUTE_PGM_RSRC2:TRAP_HANDLER: 0
; COMPUTE_PGM_RSRC2:TGID_X_EN: 1
; COMPUTE_PGM_RSRC2:TGID_Y_EN: 0
; COMPUTE_PGM_RSRC2:TGID_Z_EN: 0
; COMPUTE_PGM_RSRC2:TIDIG_COMP_CNT: 0
	.section	.text._ZN7rocprim17ROCPRIM_400000_NS6detail17trampoline_kernelINS0_14default_configENS1_27scan_by_key_config_selectorIssEEZZNS1_16scan_by_key_implILNS1_25lookback_scan_determinismE0ELb1ES3_N6thrust23THRUST_200600_302600_NS6detail15normal_iteratorINS9_10device_ptrIsEEEESE_SE_sNS9_10multipliesIsEENS9_8equal_toIsEEsEE10hipError_tPvRmT2_T3_T4_T5_mT6_T7_P12ihipStream_tbENKUlT_T0_E_clISt17integral_constantIbLb1EESZ_EEDaSU_SV_EUlSU_E_NS1_11comp_targetILNS1_3genE8ELNS1_11target_archE1030ELNS1_3gpuE2ELNS1_3repE0EEENS1_30default_config_static_selectorELNS0_4arch9wavefront6targetE0EEEvT1_,"axG",@progbits,_ZN7rocprim17ROCPRIM_400000_NS6detail17trampoline_kernelINS0_14default_configENS1_27scan_by_key_config_selectorIssEEZZNS1_16scan_by_key_implILNS1_25lookback_scan_determinismE0ELb1ES3_N6thrust23THRUST_200600_302600_NS6detail15normal_iteratorINS9_10device_ptrIsEEEESE_SE_sNS9_10multipliesIsEENS9_8equal_toIsEEsEE10hipError_tPvRmT2_T3_T4_T5_mT6_T7_P12ihipStream_tbENKUlT_T0_E_clISt17integral_constantIbLb1EESZ_EEDaSU_SV_EUlSU_E_NS1_11comp_targetILNS1_3genE8ELNS1_11target_archE1030ELNS1_3gpuE2ELNS1_3repE0EEENS1_30default_config_static_selectorELNS0_4arch9wavefront6targetE0EEEvT1_,comdat
	.protected	_ZN7rocprim17ROCPRIM_400000_NS6detail17trampoline_kernelINS0_14default_configENS1_27scan_by_key_config_selectorIssEEZZNS1_16scan_by_key_implILNS1_25lookback_scan_determinismE0ELb1ES3_N6thrust23THRUST_200600_302600_NS6detail15normal_iteratorINS9_10device_ptrIsEEEESE_SE_sNS9_10multipliesIsEENS9_8equal_toIsEEsEE10hipError_tPvRmT2_T3_T4_T5_mT6_T7_P12ihipStream_tbENKUlT_T0_E_clISt17integral_constantIbLb1EESZ_EEDaSU_SV_EUlSU_E_NS1_11comp_targetILNS1_3genE8ELNS1_11target_archE1030ELNS1_3gpuE2ELNS1_3repE0EEENS1_30default_config_static_selectorELNS0_4arch9wavefront6targetE0EEEvT1_ ; -- Begin function _ZN7rocprim17ROCPRIM_400000_NS6detail17trampoline_kernelINS0_14default_configENS1_27scan_by_key_config_selectorIssEEZZNS1_16scan_by_key_implILNS1_25lookback_scan_determinismE0ELb1ES3_N6thrust23THRUST_200600_302600_NS6detail15normal_iteratorINS9_10device_ptrIsEEEESE_SE_sNS9_10multipliesIsEENS9_8equal_toIsEEsEE10hipError_tPvRmT2_T3_T4_T5_mT6_T7_P12ihipStream_tbENKUlT_T0_E_clISt17integral_constantIbLb1EESZ_EEDaSU_SV_EUlSU_E_NS1_11comp_targetILNS1_3genE8ELNS1_11target_archE1030ELNS1_3gpuE2ELNS1_3repE0EEENS1_30default_config_static_selectorELNS0_4arch9wavefront6targetE0EEEvT1_
	.globl	_ZN7rocprim17ROCPRIM_400000_NS6detail17trampoline_kernelINS0_14default_configENS1_27scan_by_key_config_selectorIssEEZZNS1_16scan_by_key_implILNS1_25lookback_scan_determinismE0ELb1ES3_N6thrust23THRUST_200600_302600_NS6detail15normal_iteratorINS9_10device_ptrIsEEEESE_SE_sNS9_10multipliesIsEENS9_8equal_toIsEEsEE10hipError_tPvRmT2_T3_T4_T5_mT6_T7_P12ihipStream_tbENKUlT_T0_E_clISt17integral_constantIbLb1EESZ_EEDaSU_SV_EUlSU_E_NS1_11comp_targetILNS1_3genE8ELNS1_11target_archE1030ELNS1_3gpuE2ELNS1_3repE0EEENS1_30default_config_static_selectorELNS0_4arch9wavefront6targetE0EEEvT1_
	.p2align	8
	.type	_ZN7rocprim17ROCPRIM_400000_NS6detail17trampoline_kernelINS0_14default_configENS1_27scan_by_key_config_selectorIssEEZZNS1_16scan_by_key_implILNS1_25lookback_scan_determinismE0ELb1ES3_N6thrust23THRUST_200600_302600_NS6detail15normal_iteratorINS9_10device_ptrIsEEEESE_SE_sNS9_10multipliesIsEENS9_8equal_toIsEEsEE10hipError_tPvRmT2_T3_T4_T5_mT6_T7_P12ihipStream_tbENKUlT_T0_E_clISt17integral_constantIbLb1EESZ_EEDaSU_SV_EUlSU_E_NS1_11comp_targetILNS1_3genE8ELNS1_11target_archE1030ELNS1_3gpuE2ELNS1_3repE0EEENS1_30default_config_static_selectorELNS0_4arch9wavefront6targetE0EEEvT1_,@function
_ZN7rocprim17ROCPRIM_400000_NS6detail17trampoline_kernelINS0_14default_configENS1_27scan_by_key_config_selectorIssEEZZNS1_16scan_by_key_implILNS1_25lookback_scan_determinismE0ELb1ES3_N6thrust23THRUST_200600_302600_NS6detail15normal_iteratorINS9_10device_ptrIsEEEESE_SE_sNS9_10multipliesIsEENS9_8equal_toIsEEsEE10hipError_tPvRmT2_T3_T4_T5_mT6_T7_P12ihipStream_tbENKUlT_T0_E_clISt17integral_constantIbLb1EESZ_EEDaSU_SV_EUlSU_E_NS1_11comp_targetILNS1_3genE8ELNS1_11target_archE1030ELNS1_3gpuE2ELNS1_3repE0EEENS1_30default_config_static_selectorELNS0_4arch9wavefront6targetE0EEEvT1_: ; @_ZN7rocprim17ROCPRIM_400000_NS6detail17trampoline_kernelINS0_14default_configENS1_27scan_by_key_config_selectorIssEEZZNS1_16scan_by_key_implILNS1_25lookback_scan_determinismE0ELb1ES3_N6thrust23THRUST_200600_302600_NS6detail15normal_iteratorINS9_10device_ptrIsEEEESE_SE_sNS9_10multipliesIsEENS9_8equal_toIsEEsEE10hipError_tPvRmT2_T3_T4_T5_mT6_T7_P12ihipStream_tbENKUlT_T0_E_clISt17integral_constantIbLb1EESZ_EEDaSU_SV_EUlSU_E_NS1_11comp_targetILNS1_3genE8ELNS1_11target_archE1030ELNS1_3gpuE2ELNS1_3repE0EEENS1_30default_config_static_selectorELNS0_4arch9wavefront6targetE0EEEvT1_
; %bb.0:
	s_endpgm
	.section	.rodata,"a",@progbits
	.p2align	6, 0x0
	.amdhsa_kernel _ZN7rocprim17ROCPRIM_400000_NS6detail17trampoline_kernelINS0_14default_configENS1_27scan_by_key_config_selectorIssEEZZNS1_16scan_by_key_implILNS1_25lookback_scan_determinismE0ELb1ES3_N6thrust23THRUST_200600_302600_NS6detail15normal_iteratorINS9_10device_ptrIsEEEESE_SE_sNS9_10multipliesIsEENS9_8equal_toIsEEsEE10hipError_tPvRmT2_T3_T4_T5_mT6_T7_P12ihipStream_tbENKUlT_T0_E_clISt17integral_constantIbLb1EESZ_EEDaSU_SV_EUlSU_E_NS1_11comp_targetILNS1_3genE8ELNS1_11target_archE1030ELNS1_3gpuE2ELNS1_3repE0EEENS1_30default_config_static_selectorELNS0_4arch9wavefront6targetE0EEEvT1_
		.amdhsa_group_segment_fixed_size 0
		.amdhsa_private_segment_fixed_size 0
		.amdhsa_kernarg_size 112
		.amdhsa_user_sgpr_count 6
		.amdhsa_user_sgpr_private_segment_buffer 1
		.amdhsa_user_sgpr_dispatch_ptr 0
		.amdhsa_user_sgpr_queue_ptr 0
		.amdhsa_user_sgpr_kernarg_segment_ptr 1
		.amdhsa_user_sgpr_dispatch_id 0
		.amdhsa_user_sgpr_flat_scratch_init 0
		.amdhsa_user_sgpr_private_segment_size 0
		.amdhsa_wavefront_size32 1
		.amdhsa_uses_dynamic_stack 0
		.amdhsa_system_sgpr_private_segment_wavefront_offset 0
		.amdhsa_system_sgpr_workgroup_id_x 1
		.amdhsa_system_sgpr_workgroup_id_y 0
		.amdhsa_system_sgpr_workgroup_id_z 0
		.amdhsa_system_sgpr_workgroup_info 0
		.amdhsa_system_vgpr_workitem_id 0
		.amdhsa_next_free_vgpr 1
		.amdhsa_next_free_sgpr 1
		.amdhsa_reserve_vcc 0
		.amdhsa_reserve_flat_scratch 0
		.amdhsa_float_round_mode_32 0
		.amdhsa_float_round_mode_16_64 0
		.amdhsa_float_denorm_mode_32 3
		.amdhsa_float_denorm_mode_16_64 3
		.amdhsa_dx10_clamp 1
		.amdhsa_ieee_mode 1
		.amdhsa_fp16_overflow 0
		.amdhsa_workgroup_processor_mode 1
		.amdhsa_memory_ordered 1
		.amdhsa_forward_progress 1
		.amdhsa_shared_vgpr_count 0
		.amdhsa_exception_fp_ieee_invalid_op 0
		.amdhsa_exception_fp_denorm_src 0
		.amdhsa_exception_fp_ieee_div_zero 0
		.amdhsa_exception_fp_ieee_overflow 0
		.amdhsa_exception_fp_ieee_underflow 0
		.amdhsa_exception_fp_ieee_inexact 0
		.amdhsa_exception_int_div_zero 0
	.end_amdhsa_kernel
	.section	.text._ZN7rocprim17ROCPRIM_400000_NS6detail17trampoline_kernelINS0_14default_configENS1_27scan_by_key_config_selectorIssEEZZNS1_16scan_by_key_implILNS1_25lookback_scan_determinismE0ELb1ES3_N6thrust23THRUST_200600_302600_NS6detail15normal_iteratorINS9_10device_ptrIsEEEESE_SE_sNS9_10multipliesIsEENS9_8equal_toIsEEsEE10hipError_tPvRmT2_T3_T4_T5_mT6_T7_P12ihipStream_tbENKUlT_T0_E_clISt17integral_constantIbLb1EESZ_EEDaSU_SV_EUlSU_E_NS1_11comp_targetILNS1_3genE8ELNS1_11target_archE1030ELNS1_3gpuE2ELNS1_3repE0EEENS1_30default_config_static_selectorELNS0_4arch9wavefront6targetE0EEEvT1_,"axG",@progbits,_ZN7rocprim17ROCPRIM_400000_NS6detail17trampoline_kernelINS0_14default_configENS1_27scan_by_key_config_selectorIssEEZZNS1_16scan_by_key_implILNS1_25lookback_scan_determinismE0ELb1ES3_N6thrust23THRUST_200600_302600_NS6detail15normal_iteratorINS9_10device_ptrIsEEEESE_SE_sNS9_10multipliesIsEENS9_8equal_toIsEEsEE10hipError_tPvRmT2_T3_T4_T5_mT6_T7_P12ihipStream_tbENKUlT_T0_E_clISt17integral_constantIbLb1EESZ_EEDaSU_SV_EUlSU_E_NS1_11comp_targetILNS1_3genE8ELNS1_11target_archE1030ELNS1_3gpuE2ELNS1_3repE0EEENS1_30default_config_static_selectorELNS0_4arch9wavefront6targetE0EEEvT1_,comdat
.Lfunc_end622:
	.size	_ZN7rocprim17ROCPRIM_400000_NS6detail17trampoline_kernelINS0_14default_configENS1_27scan_by_key_config_selectorIssEEZZNS1_16scan_by_key_implILNS1_25lookback_scan_determinismE0ELb1ES3_N6thrust23THRUST_200600_302600_NS6detail15normal_iteratorINS9_10device_ptrIsEEEESE_SE_sNS9_10multipliesIsEENS9_8equal_toIsEEsEE10hipError_tPvRmT2_T3_T4_T5_mT6_T7_P12ihipStream_tbENKUlT_T0_E_clISt17integral_constantIbLb1EESZ_EEDaSU_SV_EUlSU_E_NS1_11comp_targetILNS1_3genE8ELNS1_11target_archE1030ELNS1_3gpuE2ELNS1_3repE0EEENS1_30default_config_static_selectorELNS0_4arch9wavefront6targetE0EEEvT1_, .Lfunc_end622-_ZN7rocprim17ROCPRIM_400000_NS6detail17trampoline_kernelINS0_14default_configENS1_27scan_by_key_config_selectorIssEEZZNS1_16scan_by_key_implILNS1_25lookback_scan_determinismE0ELb1ES3_N6thrust23THRUST_200600_302600_NS6detail15normal_iteratorINS9_10device_ptrIsEEEESE_SE_sNS9_10multipliesIsEENS9_8equal_toIsEEsEE10hipError_tPvRmT2_T3_T4_T5_mT6_T7_P12ihipStream_tbENKUlT_T0_E_clISt17integral_constantIbLb1EESZ_EEDaSU_SV_EUlSU_E_NS1_11comp_targetILNS1_3genE8ELNS1_11target_archE1030ELNS1_3gpuE2ELNS1_3repE0EEENS1_30default_config_static_selectorELNS0_4arch9wavefront6targetE0EEEvT1_
                                        ; -- End function
	.set _ZN7rocprim17ROCPRIM_400000_NS6detail17trampoline_kernelINS0_14default_configENS1_27scan_by_key_config_selectorIssEEZZNS1_16scan_by_key_implILNS1_25lookback_scan_determinismE0ELb1ES3_N6thrust23THRUST_200600_302600_NS6detail15normal_iteratorINS9_10device_ptrIsEEEESE_SE_sNS9_10multipliesIsEENS9_8equal_toIsEEsEE10hipError_tPvRmT2_T3_T4_T5_mT6_T7_P12ihipStream_tbENKUlT_T0_E_clISt17integral_constantIbLb1EESZ_EEDaSU_SV_EUlSU_E_NS1_11comp_targetILNS1_3genE8ELNS1_11target_archE1030ELNS1_3gpuE2ELNS1_3repE0EEENS1_30default_config_static_selectorELNS0_4arch9wavefront6targetE0EEEvT1_.num_vgpr, 0
	.set _ZN7rocprim17ROCPRIM_400000_NS6detail17trampoline_kernelINS0_14default_configENS1_27scan_by_key_config_selectorIssEEZZNS1_16scan_by_key_implILNS1_25lookback_scan_determinismE0ELb1ES3_N6thrust23THRUST_200600_302600_NS6detail15normal_iteratorINS9_10device_ptrIsEEEESE_SE_sNS9_10multipliesIsEENS9_8equal_toIsEEsEE10hipError_tPvRmT2_T3_T4_T5_mT6_T7_P12ihipStream_tbENKUlT_T0_E_clISt17integral_constantIbLb1EESZ_EEDaSU_SV_EUlSU_E_NS1_11comp_targetILNS1_3genE8ELNS1_11target_archE1030ELNS1_3gpuE2ELNS1_3repE0EEENS1_30default_config_static_selectorELNS0_4arch9wavefront6targetE0EEEvT1_.num_agpr, 0
	.set _ZN7rocprim17ROCPRIM_400000_NS6detail17trampoline_kernelINS0_14default_configENS1_27scan_by_key_config_selectorIssEEZZNS1_16scan_by_key_implILNS1_25lookback_scan_determinismE0ELb1ES3_N6thrust23THRUST_200600_302600_NS6detail15normal_iteratorINS9_10device_ptrIsEEEESE_SE_sNS9_10multipliesIsEENS9_8equal_toIsEEsEE10hipError_tPvRmT2_T3_T4_T5_mT6_T7_P12ihipStream_tbENKUlT_T0_E_clISt17integral_constantIbLb1EESZ_EEDaSU_SV_EUlSU_E_NS1_11comp_targetILNS1_3genE8ELNS1_11target_archE1030ELNS1_3gpuE2ELNS1_3repE0EEENS1_30default_config_static_selectorELNS0_4arch9wavefront6targetE0EEEvT1_.numbered_sgpr, 0
	.set _ZN7rocprim17ROCPRIM_400000_NS6detail17trampoline_kernelINS0_14default_configENS1_27scan_by_key_config_selectorIssEEZZNS1_16scan_by_key_implILNS1_25lookback_scan_determinismE0ELb1ES3_N6thrust23THRUST_200600_302600_NS6detail15normal_iteratorINS9_10device_ptrIsEEEESE_SE_sNS9_10multipliesIsEENS9_8equal_toIsEEsEE10hipError_tPvRmT2_T3_T4_T5_mT6_T7_P12ihipStream_tbENKUlT_T0_E_clISt17integral_constantIbLb1EESZ_EEDaSU_SV_EUlSU_E_NS1_11comp_targetILNS1_3genE8ELNS1_11target_archE1030ELNS1_3gpuE2ELNS1_3repE0EEENS1_30default_config_static_selectorELNS0_4arch9wavefront6targetE0EEEvT1_.num_named_barrier, 0
	.set _ZN7rocprim17ROCPRIM_400000_NS6detail17trampoline_kernelINS0_14default_configENS1_27scan_by_key_config_selectorIssEEZZNS1_16scan_by_key_implILNS1_25lookback_scan_determinismE0ELb1ES3_N6thrust23THRUST_200600_302600_NS6detail15normal_iteratorINS9_10device_ptrIsEEEESE_SE_sNS9_10multipliesIsEENS9_8equal_toIsEEsEE10hipError_tPvRmT2_T3_T4_T5_mT6_T7_P12ihipStream_tbENKUlT_T0_E_clISt17integral_constantIbLb1EESZ_EEDaSU_SV_EUlSU_E_NS1_11comp_targetILNS1_3genE8ELNS1_11target_archE1030ELNS1_3gpuE2ELNS1_3repE0EEENS1_30default_config_static_selectorELNS0_4arch9wavefront6targetE0EEEvT1_.private_seg_size, 0
	.set _ZN7rocprim17ROCPRIM_400000_NS6detail17trampoline_kernelINS0_14default_configENS1_27scan_by_key_config_selectorIssEEZZNS1_16scan_by_key_implILNS1_25lookback_scan_determinismE0ELb1ES3_N6thrust23THRUST_200600_302600_NS6detail15normal_iteratorINS9_10device_ptrIsEEEESE_SE_sNS9_10multipliesIsEENS9_8equal_toIsEEsEE10hipError_tPvRmT2_T3_T4_T5_mT6_T7_P12ihipStream_tbENKUlT_T0_E_clISt17integral_constantIbLb1EESZ_EEDaSU_SV_EUlSU_E_NS1_11comp_targetILNS1_3genE8ELNS1_11target_archE1030ELNS1_3gpuE2ELNS1_3repE0EEENS1_30default_config_static_selectorELNS0_4arch9wavefront6targetE0EEEvT1_.uses_vcc, 0
	.set _ZN7rocprim17ROCPRIM_400000_NS6detail17trampoline_kernelINS0_14default_configENS1_27scan_by_key_config_selectorIssEEZZNS1_16scan_by_key_implILNS1_25lookback_scan_determinismE0ELb1ES3_N6thrust23THRUST_200600_302600_NS6detail15normal_iteratorINS9_10device_ptrIsEEEESE_SE_sNS9_10multipliesIsEENS9_8equal_toIsEEsEE10hipError_tPvRmT2_T3_T4_T5_mT6_T7_P12ihipStream_tbENKUlT_T0_E_clISt17integral_constantIbLb1EESZ_EEDaSU_SV_EUlSU_E_NS1_11comp_targetILNS1_3genE8ELNS1_11target_archE1030ELNS1_3gpuE2ELNS1_3repE0EEENS1_30default_config_static_selectorELNS0_4arch9wavefront6targetE0EEEvT1_.uses_flat_scratch, 0
	.set _ZN7rocprim17ROCPRIM_400000_NS6detail17trampoline_kernelINS0_14default_configENS1_27scan_by_key_config_selectorIssEEZZNS1_16scan_by_key_implILNS1_25lookback_scan_determinismE0ELb1ES3_N6thrust23THRUST_200600_302600_NS6detail15normal_iteratorINS9_10device_ptrIsEEEESE_SE_sNS9_10multipliesIsEENS9_8equal_toIsEEsEE10hipError_tPvRmT2_T3_T4_T5_mT6_T7_P12ihipStream_tbENKUlT_T0_E_clISt17integral_constantIbLb1EESZ_EEDaSU_SV_EUlSU_E_NS1_11comp_targetILNS1_3genE8ELNS1_11target_archE1030ELNS1_3gpuE2ELNS1_3repE0EEENS1_30default_config_static_selectorELNS0_4arch9wavefront6targetE0EEEvT1_.has_dyn_sized_stack, 0
	.set _ZN7rocprim17ROCPRIM_400000_NS6detail17trampoline_kernelINS0_14default_configENS1_27scan_by_key_config_selectorIssEEZZNS1_16scan_by_key_implILNS1_25lookback_scan_determinismE0ELb1ES3_N6thrust23THRUST_200600_302600_NS6detail15normal_iteratorINS9_10device_ptrIsEEEESE_SE_sNS9_10multipliesIsEENS9_8equal_toIsEEsEE10hipError_tPvRmT2_T3_T4_T5_mT6_T7_P12ihipStream_tbENKUlT_T0_E_clISt17integral_constantIbLb1EESZ_EEDaSU_SV_EUlSU_E_NS1_11comp_targetILNS1_3genE8ELNS1_11target_archE1030ELNS1_3gpuE2ELNS1_3repE0EEENS1_30default_config_static_selectorELNS0_4arch9wavefront6targetE0EEEvT1_.has_recursion, 0
	.set _ZN7rocprim17ROCPRIM_400000_NS6detail17trampoline_kernelINS0_14default_configENS1_27scan_by_key_config_selectorIssEEZZNS1_16scan_by_key_implILNS1_25lookback_scan_determinismE0ELb1ES3_N6thrust23THRUST_200600_302600_NS6detail15normal_iteratorINS9_10device_ptrIsEEEESE_SE_sNS9_10multipliesIsEENS9_8equal_toIsEEsEE10hipError_tPvRmT2_T3_T4_T5_mT6_T7_P12ihipStream_tbENKUlT_T0_E_clISt17integral_constantIbLb1EESZ_EEDaSU_SV_EUlSU_E_NS1_11comp_targetILNS1_3genE8ELNS1_11target_archE1030ELNS1_3gpuE2ELNS1_3repE0EEENS1_30default_config_static_selectorELNS0_4arch9wavefront6targetE0EEEvT1_.has_indirect_call, 0
	.section	.AMDGPU.csdata,"",@progbits
; Kernel info:
; codeLenInByte = 4
; TotalNumSgprs: 0
; NumVgprs: 0
; ScratchSize: 0
; MemoryBound: 0
; FloatMode: 240
; IeeeMode: 1
; LDSByteSize: 0 bytes/workgroup (compile time only)
; SGPRBlocks: 0
; VGPRBlocks: 0
; NumSGPRsForWavesPerEU: 1
; NumVGPRsForWavesPerEU: 1
; Occupancy: 16
; WaveLimiterHint : 0
; COMPUTE_PGM_RSRC2:SCRATCH_EN: 0
; COMPUTE_PGM_RSRC2:USER_SGPR: 6
; COMPUTE_PGM_RSRC2:TRAP_HANDLER: 0
; COMPUTE_PGM_RSRC2:TGID_X_EN: 1
; COMPUTE_PGM_RSRC2:TGID_Y_EN: 0
; COMPUTE_PGM_RSRC2:TGID_Z_EN: 0
; COMPUTE_PGM_RSRC2:TIDIG_COMP_CNT: 0
	.section	.text._ZN7rocprim17ROCPRIM_400000_NS6detail17trampoline_kernelINS0_14default_configENS1_27scan_by_key_config_selectorIssEEZZNS1_16scan_by_key_implILNS1_25lookback_scan_determinismE0ELb1ES3_N6thrust23THRUST_200600_302600_NS6detail15normal_iteratorINS9_10device_ptrIsEEEESE_SE_sNS9_10multipliesIsEENS9_8equal_toIsEEsEE10hipError_tPvRmT2_T3_T4_T5_mT6_T7_P12ihipStream_tbENKUlT_T0_E_clISt17integral_constantIbLb1EESY_IbLb0EEEEDaSU_SV_EUlSU_E_NS1_11comp_targetILNS1_3genE0ELNS1_11target_archE4294967295ELNS1_3gpuE0ELNS1_3repE0EEENS1_30default_config_static_selectorELNS0_4arch9wavefront6targetE0EEEvT1_,"axG",@progbits,_ZN7rocprim17ROCPRIM_400000_NS6detail17trampoline_kernelINS0_14default_configENS1_27scan_by_key_config_selectorIssEEZZNS1_16scan_by_key_implILNS1_25lookback_scan_determinismE0ELb1ES3_N6thrust23THRUST_200600_302600_NS6detail15normal_iteratorINS9_10device_ptrIsEEEESE_SE_sNS9_10multipliesIsEENS9_8equal_toIsEEsEE10hipError_tPvRmT2_T3_T4_T5_mT6_T7_P12ihipStream_tbENKUlT_T0_E_clISt17integral_constantIbLb1EESY_IbLb0EEEEDaSU_SV_EUlSU_E_NS1_11comp_targetILNS1_3genE0ELNS1_11target_archE4294967295ELNS1_3gpuE0ELNS1_3repE0EEENS1_30default_config_static_selectorELNS0_4arch9wavefront6targetE0EEEvT1_,comdat
	.protected	_ZN7rocprim17ROCPRIM_400000_NS6detail17trampoline_kernelINS0_14default_configENS1_27scan_by_key_config_selectorIssEEZZNS1_16scan_by_key_implILNS1_25lookback_scan_determinismE0ELb1ES3_N6thrust23THRUST_200600_302600_NS6detail15normal_iteratorINS9_10device_ptrIsEEEESE_SE_sNS9_10multipliesIsEENS9_8equal_toIsEEsEE10hipError_tPvRmT2_T3_T4_T5_mT6_T7_P12ihipStream_tbENKUlT_T0_E_clISt17integral_constantIbLb1EESY_IbLb0EEEEDaSU_SV_EUlSU_E_NS1_11comp_targetILNS1_3genE0ELNS1_11target_archE4294967295ELNS1_3gpuE0ELNS1_3repE0EEENS1_30default_config_static_selectorELNS0_4arch9wavefront6targetE0EEEvT1_ ; -- Begin function _ZN7rocprim17ROCPRIM_400000_NS6detail17trampoline_kernelINS0_14default_configENS1_27scan_by_key_config_selectorIssEEZZNS1_16scan_by_key_implILNS1_25lookback_scan_determinismE0ELb1ES3_N6thrust23THRUST_200600_302600_NS6detail15normal_iteratorINS9_10device_ptrIsEEEESE_SE_sNS9_10multipliesIsEENS9_8equal_toIsEEsEE10hipError_tPvRmT2_T3_T4_T5_mT6_T7_P12ihipStream_tbENKUlT_T0_E_clISt17integral_constantIbLb1EESY_IbLb0EEEEDaSU_SV_EUlSU_E_NS1_11comp_targetILNS1_3genE0ELNS1_11target_archE4294967295ELNS1_3gpuE0ELNS1_3repE0EEENS1_30default_config_static_selectorELNS0_4arch9wavefront6targetE0EEEvT1_
	.globl	_ZN7rocprim17ROCPRIM_400000_NS6detail17trampoline_kernelINS0_14default_configENS1_27scan_by_key_config_selectorIssEEZZNS1_16scan_by_key_implILNS1_25lookback_scan_determinismE0ELb1ES3_N6thrust23THRUST_200600_302600_NS6detail15normal_iteratorINS9_10device_ptrIsEEEESE_SE_sNS9_10multipliesIsEENS9_8equal_toIsEEsEE10hipError_tPvRmT2_T3_T4_T5_mT6_T7_P12ihipStream_tbENKUlT_T0_E_clISt17integral_constantIbLb1EESY_IbLb0EEEEDaSU_SV_EUlSU_E_NS1_11comp_targetILNS1_3genE0ELNS1_11target_archE4294967295ELNS1_3gpuE0ELNS1_3repE0EEENS1_30default_config_static_selectorELNS0_4arch9wavefront6targetE0EEEvT1_
	.p2align	8
	.type	_ZN7rocprim17ROCPRIM_400000_NS6detail17trampoline_kernelINS0_14default_configENS1_27scan_by_key_config_selectorIssEEZZNS1_16scan_by_key_implILNS1_25lookback_scan_determinismE0ELb1ES3_N6thrust23THRUST_200600_302600_NS6detail15normal_iteratorINS9_10device_ptrIsEEEESE_SE_sNS9_10multipliesIsEENS9_8equal_toIsEEsEE10hipError_tPvRmT2_T3_T4_T5_mT6_T7_P12ihipStream_tbENKUlT_T0_E_clISt17integral_constantIbLb1EESY_IbLb0EEEEDaSU_SV_EUlSU_E_NS1_11comp_targetILNS1_3genE0ELNS1_11target_archE4294967295ELNS1_3gpuE0ELNS1_3repE0EEENS1_30default_config_static_selectorELNS0_4arch9wavefront6targetE0EEEvT1_,@function
_ZN7rocprim17ROCPRIM_400000_NS6detail17trampoline_kernelINS0_14default_configENS1_27scan_by_key_config_selectorIssEEZZNS1_16scan_by_key_implILNS1_25lookback_scan_determinismE0ELb1ES3_N6thrust23THRUST_200600_302600_NS6detail15normal_iteratorINS9_10device_ptrIsEEEESE_SE_sNS9_10multipliesIsEENS9_8equal_toIsEEsEE10hipError_tPvRmT2_T3_T4_T5_mT6_T7_P12ihipStream_tbENKUlT_T0_E_clISt17integral_constantIbLb1EESY_IbLb0EEEEDaSU_SV_EUlSU_E_NS1_11comp_targetILNS1_3genE0ELNS1_11target_archE4294967295ELNS1_3gpuE0ELNS1_3repE0EEENS1_30default_config_static_selectorELNS0_4arch9wavefront6targetE0EEEvT1_: ; @_ZN7rocprim17ROCPRIM_400000_NS6detail17trampoline_kernelINS0_14default_configENS1_27scan_by_key_config_selectorIssEEZZNS1_16scan_by_key_implILNS1_25lookback_scan_determinismE0ELb1ES3_N6thrust23THRUST_200600_302600_NS6detail15normal_iteratorINS9_10device_ptrIsEEEESE_SE_sNS9_10multipliesIsEENS9_8equal_toIsEEsEE10hipError_tPvRmT2_T3_T4_T5_mT6_T7_P12ihipStream_tbENKUlT_T0_E_clISt17integral_constantIbLb1EESY_IbLb0EEEEDaSU_SV_EUlSU_E_NS1_11comp_targetILNS1_3genE0ELNS1_11target_archE4294967295ELNS1_3gpuE0ELNS1_3repE0EEENS1_30default_config_static_selectorELNS0_4arch9wavefront6targetE0EEEvT1_
; %bb.0:
	.section	.rodata,"a",@progbits
	.p2align	6, 0x0
	.amdhsa_kernel _ZN7rocprim17ROCPRIM_400000_NS6detail17trampoline_kernelINS0_14default_configENS1_27scan_by_key_config_selectorIssEEZZNS1_16scan_by_key_implILNS1_25lookback_scan_determinismE0ELb1ES3_N6thrust23THRUST_200600_302600_NS6detail15normal_iteratorINS9_10device_ptrIsEEEESE_SE_sNS9_10multipliesIsEENS9_8equal_toIsEEsEE10hipError_tPvRmT2_T3_T4_T5_mT6_T7_P12ihipStream_tbENKUlT_T0_E_clISt17integral_constantIbLb1EESY_IbLb0EEEEDaSU_SV_EUlSU_E_NS1_11comp_targetILNS1_3genE0ELNS1_11target_archE4294967295ELNS1_3gpuE0ELNS1_3repE0EEENS1_30default_config_static_selectorELNS0_4arch9wavefront6targetE0EEEvT1_
		.amdhsa_group_segment_fixed_size 0
		.amdhsa_private_segment_fixed_size 0
		.amdhsa_kernarg_size 112
		.amdhsa_user_sgpr_count 6
		.amdhsa_user_sgpr_private_segment_buffer 1
		.amdhsa_user_sgpr_dispatch_ptr 0
		.amdhsa_user_sgpr_queue_ptr 0
		.amdhsa_user_sgpr_kernarg_segment_ptr 1
		.amdhsa_user_sgpr_dispatch_id 0
		.amdhsa_user_sgpr_flat_scratch_init 0
		.amdhsa_user_sgpr_private_segment_size 0
		.amdhsa_wavefront_size32 1
		.amdhsa_uses_dynamic_stack 0
		.amdhsa_system_sgpr_private_segment_wavefront_offset 0
		.amdhsa_system_sgpr_workgroup_id_x 1
		.amdhsa_system_sgpr_workgroup_id_y 0
		.amdhsa_system_sgpr_workgroup_id_z 0
		.amdhsa_system_sgpr_workgroup_info 0
		.amdhsa_system_vgpr_workitem_id 0
		.amdhsa_next_free_vgpr 1
		.amdhsa_next_free_sgpr 1
		.amdhsa_reserve_vcc 0
		.amdhsa_reserve_flat_scratch 0
		.amdhsa_float_round_mode_32 0
		.amdhsa_float_round_mode_16_64 0
		.amdhsa_float_denorm_mode_32 3
		.amdhsa_float_denorm_mode_16_64 3
		.amdhsa_dx10_clamp 1
		.amdhsa_ieee_mode 1
		.amdhsa_fp16_overflow 0
		.amdhsa_workgroup_processor_mode 1
		.amdhsa_memory_ordered 1
		.amdhsa_forward_progress 1
		.amdhsa_shared_vgpr_count 0
		.amdhsa_exception_fp_ieee_invalid_op 0
		.amdhsa_exception_fp_denorm_src 0
		.amdhsa_exception_fp_ieee_div_zero 0
		.amdhsa_exception_fp_ieee_overflow 0
		.amdhsa_exception_fp_ieee_underflow 0
		.amdhsa_exception_fp_ieee_inexact 0
		.amdhsa_exception_int_div_zero 0
	.end_amdhsa_kernel
	.section	.text._ZN7rocprim17ROCPRIM_400000_NS6detail17trampoline_kernelINS0_14default_configENS1_27scan_by_key_config_selectorIssEEZZNS1_16scan_by_key_implILNS1_25lookback_scan_determinismE0ELb1ES3_N6thrust23THRUST_200600_302600_NS6detail15normal_iteratorINS9_10device_ptrIsEEEESE_SE_sNS9_10multipliesIsEENS9_8equal_toIsEEsEE10hipError_tPvRmT2_T3_T4_T5_mT6_T7_P12ihipStream_tbENKUlT_T0_E_clISt17integral_constantIbLb1EESY_IbLb0EEEEDaSU_SV_EUlSU_E_NS1_11comp_targetILNS1_3genE0ELNS1_11target_archE4294967295ELNS1_3gpuE0ELNS1_3repE0EEENS1_30default_config_static_selectorELNS0_4arch9wavefront6targetE0EEEvT1_,"axG",@progbits,_ZN7rocprim17ROCPRIM_400000_NS6detail17trampoline_kernelINS0_14default_configENS1_27scan_by_key_config_selectorIssEEZZNS1_16scan_by_key_implILNS1_25lookback_scan_determinismE0ELb1ES3_N6thrust23THRUST_200600_302600_NS6detail15normal_iteratorINS9_10device_ptrIsEEEESE_SE_sNS9_10multipliesIsEENS9_8equal_toIsEEsEE10hipError_tPvRmT2_T3_T4_T5_mT6_T7_P12ihipStream_tbENKUlT_T0_E_clISt17integral_constantIbLb1EESY_IbLb0EEEEDaSU_SV_EUlSU_E_NS1_11comp_targetILNS1_3genE0ELNS1_11target_archE4294967295ELNS1_3gpuE0ELNS1_3repE0EEENS1_30default_config_static_selectorELNS0_4arch9wavefront6targetE0EEEvT1_,comdat
.Lfunc_end623:
	.size	_ZN7rocprim17ROCPRIM_400000_NS6detail17trampoline_kernelINS0_14default_configENS1_27scan_by_key_config_selectorIssEEZZNS1_16scan_by_key_implILNS1_25lookback_scan_determinismE0ELb1ES3_N6thrust23THRUST_200600_302600_NS6detail15normal_iteratorINS9_10device_ptrIsEEEESE_SE_sNS9_10multipliesIsEENS9_8equal_toIsEEsEE10hipError_tPvRmT2_T3_T4_T5_mT6_T7_P12ihipStream_tbENKUlT_T0_E_clISt17integral_constantIbLb1EESY_IbLb0EEEEDaSU_SV_EUlSU_E_NS1_11comp_targetILNS1_3genE0ELNS1_11target_archE4294967295ELNS1_3gpuE0ELNS1_3repE0EEENS1_30default_config_static_selectorELNS0_4arch9wavefront6targetE0EEEvT1_, .Lfunc_end623-_ZN7rocprim17ROCPRIM_400000_NS6detail17trampoline_kernelINS0_14default_configENS1_27scan_by_key_config_selectorIssEEZZNS1_16scan_by_key_implILNS1_25lookback_scan_determinismE0ELb1ES3_N6thrust23THRUST_200600_302600_NS6detail15normal_iteratorINS9_10device_ptrIsEEEESE_SE_sNS9_10multipliesIsEENS9_8equal_toIsEEsEE10hipError_tPvRmT2_T3_T4_T5_mT6_T7_P12ihipStream_tbENKUlT_T0_E_clISt17integral_constantIbLb1EESY_IbLb0EEEEDaSU_SV_EUlSU_E_NS1_11comp_targetILNS1_3genE0ELNS1_11target_archE4294967295ELNS1_3gpuE0ELNS1_3repE0EEENS1_30default_config_static_selectorELNS0_4arch9wavefront6targetE0EEEvT1_
                                        ; -- End function
	.set _ZN7rocprim17ROCPRIM_400000_NS6detail17trampoline_kernelINS0_14default_configENS1_27scan_by_key_config_selectorIssEEZZNS1_16scan_by_key_implILNS1_25lookback_scan_determinismE0ELb1ES3_N6thrust23THRUST_200600_302600_NS6detail15normal_iteratorINS9_10device_ptrIsEEEESE_SE_sNS9_10multipliesIsEENS9_8equal_toIsEEsEE10hipError_tPvRmT2_T3_T4_T5_mT6_T7_P12ihipStream_tbENKUlT_T0_E_clISt17integral_constantIbLb1EESY_IbLb0EEEEDaSU_SV_EUlSU_E_NS1_11comp_targetILNS1_3genE0ELNS1_11target_archE4294967295ELNS1_3gpuE0ELNS1_3repE0EEENS1_30default_config_static_selectorELNS0_4arch9wavefront6targetE0EEEvT1_.num_vgpr, 0
	.set _ZN7rocprim17ROCPRIM_400000_NS6detail17trampoline_kernelINS0_14default_configENS1_27scan_by_key_config_selectorIssEEZZNS1_16scan_by_key_implILNS1_25lookback_scan_determinismE0ELb1ES3_N6thrust23THRUST_200600_302600_NS6detail15normal_iteratorINS9_10device_ptrIsEEEESE_SE_sNS9_10multipliesIsEENS9_8equal_toIsEEsEE10hipError_tPvRmT2_T3_T4_T5_mT6_T7_P12ihipStream_tbENKUlT_T0_E_clISt17integral_constantIbLb1EESY_IbLb0EEEEDaSU_SV_EUlSU_E_NS1_11comp_targetILNS1_3genE0ELNS1_11target_archE4294967295ELNS1_3gpuE0ELNS1_3repE0EEENS1_30default_config_static_selectorELNS0_4arch9wavefront6targetE0EEEvT1_.num_agpr, 0
	.set _ZN7rocprim17ROCPRIM_400000_NS6detail17trampoline_kernelINS0_14default_configENS1_27scan_by_key_config_selectorIssEEZZNS1_16scan_by_key_implILNS1_25lookback_scan_determinismE0ELb1ES3_N6thrust23THRUST_200600_302600_NS6detail15normal_iteratorINS9_10device_ptrIsEEEESE_SE_sNS9_10multipliesIsEENS9_8equal_toIsEEsEE10hipError_tPvRmT2_T3_T4_T5_mT6_T7_P12ihipStream_tbENKUlT_T0_E_clISt17integral_constantIbLb1EESY_IbLb0EEEEDaSU_SV_EUlSU_E_NS1_11comp_targetILNS1_3genE0ELNS1_11target_archE4294967295ELNS1_3gpuE0ELNS1_3repE0EEENS1_30default_config_static_selectorELNS0_4arch9wavefront6targetE0EEEvT1_.numbered_sgpr, 0
	.set _ZN7rocprim17ROCPRIM_400000_NS6detail17trampoline_kernelINS0_14default_configENS1_27scan_by_key_config_selectorIssEEZZNS1_16scan_by_key_implILNS1_25lookback_scan_determinismE0ELb1ES3_N6thrust23THRUST_200600_302600_NS6detail15normal_iteratorINS9_10device_ptrIsEEEESE_SE_sNS9_10multipliesIsEENS9_8equal_toIsEEsEE10hipError_tPvRmT2_T3_T4_T5_mT6_T7_P12ihipStream_tbENKUlT_T0_E_clISt17integral_constantIbLb1EESY_IbLb0EEEEDaSU_SV_EUlSU_E_NS1_11comp_targetILNS1_3genE0ELNS1_11target_archE4294967295ELNS1_3gpuE0ELNS1_3repE0EEENS1_30default_config_static_selectorELNS0_4arch9wavefront6targetE0EEEvT1_.num_named_barrier, 0
	.set _ZN7rocprim17ROCPRIM_400000_NS6detail17trampoline_kernelINS0_14default_configENS1_27scan_by_key_config_selectorIssEEZZNS1_16scan_by_key_implILNS1_25lookback_scan_determinismE0ELb1ES3_N6thrust23THRUST_200600_302600_NS6detail15normal_iteratorINS9_10device_ptrIsEEEESE_SE_sNS9_10multipliesIsEENS9_8equal_toIsEEsEE10hipError_tPvRmT2_T3_T4_T5_mT6_T7_P12ihipStream_tbENKUlT_T0_E_clISt17integral_constantIbLb1EESY_IbLb0EEEEDaSU_SV_EUlSU_E_NS1_11comp_targetILNS1_3genE0ELNS1_11target_archE4294967295ELNS1_3gpuE0ELNS1_3repE0EEENS1_30default_config_static_selectorELNS0_4arch9wavefront6targetE0EEEvT1_.private_seg_size, 0
	.set _ZN7rocprim17ROCPRIM_400000_NS6detail17trampoline_kernelINS0_14default_configENS1_27scan_by_key_config_selectorIssEEZZNS1_16scan_by_key_implILNS1_25lookback_scan_determinismE0ELb1ES3_N6thrust23THRUST_200600_302600_NS6detail15normal_iteratorINS9_10device_ptrIsEEEESE_SE_sNS9_10multipliesIsEENS9_8equal_toIsEEsEE10hipError_tPvRmT2_T3_T4_T5_mT6_T7_P12ihipStream_tbENKUlT_T0_E_clISt17integral_constantIbLb1EESY_IbLb0EEEEDaSU_SV_EUlSU_E_NS1_11comp_targetILNS1_3genE0ELNS1_11target_archE4294967295ELNS1_3gpuE0ELNS1_3repE0EEENS1_30default_config_static_selectorELNS0_4arch9wavefront6targetE0EEEvT1_.uses_vcc, 0
	.set _ZN7rocprim17ROCPRIM_400000_NS6detail17trampoline_kernelINS0_14default_configENS1_27scan_by_key_config_selectorIssEEZZNS1_16scan_by_key_implILNS1_25lookback_scan_determinismE0ELb1ES3_N6thrust23THRUST_200600_302600_NS6detail15normal_iteratorINS9_10device_ptrIsEEEESE_SE_sNS9_10multipliesIsEENS9_8equal_toIsEEsEE10hipError_tPvRmT2_T3_T4_T5_mT6_T7_P12ihipStream_tbENKUlT_T0_E_clISt17integral_constantIbLb1EESY_IbLb0EEEEDaSU_SV_EUlSU_E_NS1_11comp_targetILNS1_3genE0ELNS1_11target_archE4294967295ELNS1_3gpuE0ELNS1_3repE0EEENS1_30default_config_static_selectorELNS0_4arch9wavefront6targetE0EEEvT1_.uses_flat_scratch, 0
	.set _ZN7rocprim17ROCPRIM_400000_NS6detail17trampoline_kernelINS0_14default_configENS1_27scan_by_key_config_selectorIssEEZZNS1_16scan_by_key_implILNS1_25lookback_scan_determinismE0ELb1ES3_N6thrust23THRUST_200600_302600_NS6detail15normal_iteratorINS9_10device_ptrIsEEEESE_SE_sNS9_10multipliesIsEENS9_8equal_toIsEEsEE10hipError_tPvRmT2_T3_T4_T5_mT6_T7_P12ihipStream_tbENKUlT_T0_E_clISt17integral_constantIbLb1EESY_IbLb0EEEEDaSU_SV_EUlSU_E_NS1_11comp_targetILNS1_3genE0ELNS1_11target_archE4294967295ELNS1_3gpuE0ELNS1_3repE0EEENS1_30default_config_static_selectorELNS0_4arch9wavefront6targetE0EEEvT1_.has_dyn_sized_stack, 0
	.set _ZN7rocprim17ROCPRIM_400000_NS6detail17trampoline_kernelINS0_14default_configENS1_27scan_by_key_config_selectorIssEEZZNS1_16scan_by_key_implILNS1_25lookback_scan_determinismE0ELb1ES3_N6thrust23THRUST_200600_302600_NS6detail15normal_iteratorINS9_10device_ptrIsEEEESE_SE_sNS9_10multipliesIsEENS9_8equal_toIsEEsEE10hipError_tPvRmT2_T3_T4_T5_mT6_T7_P12ihipStream_tbENKUlT_T0_E_clISt17integral_constantIbLb1EESY_IbLb0EEEEDaSU_SV_EUlSU_E_NS1_11comp_targetILNS1_3genE0ELNS1_11target_archE4294967295ELNS1_3gpuE0ELNS1_3repE0EEENS1_30default_config_static_selectorELNS0_4arch9wavefront6targetE0EEEvT1_.has_recursion, 0
	.set _ZN7rocprim17ROCPRIM_400000_NS6detail17trampoline_kernelINS0_14default_configENS1_27scan_by_key_config_selectorIssEEZZNS1_16scan_by_key_implILNS1_25lookback_scan_determinismE0ELb1ES3_N6thrust23THRUST_200600_302600_NS6detail15normal_iteratorINS9_10device_ptrIsEEEESE_SE_sNS9_10multipliesIsEENS9_8equal_toIsEEsEE10hipError_tPvRmT2_T3_T4_T5_mT6_T7_P12ihipStream_tbENKUlT_T0_E_clISt17integral_constantIbLb1EESY_IbLb0EEEEDaSU_SV_EUlSU_E_NS1_11comp_targetILNS1_3genE0ELNS1_11target_archE4294967295ELNS1_3gpuE0ELNS1_3repE0EEENS1_30default_config_static_selectorELNS0_4arch9wavefront6targetE0EEEvT1_.has_indirect_call, 0
	.section	.AMDGPU.csdata,"",@progbits
; Kernel info:
; codeLenInByte = 0
; TotalNumSgprs: 0
; NumVgprs: 0
; ScratchSize: 0
; MemoryBound: 0
; FloatMode: 240
; IeeeMode: 1
; LDSByteSize: 0 bytes/workgroup (compile time only)
; SGPRBlocks: 0
; VGPRBlocks: 0
; NumSGPRsForWavesPerEU: 1
; NumVGPRsForWavesPerEU: 1
; Occupancy: 16
; WaveLimiterHint : 0
; COMPUTE_PGM_RSRC2:SCRATCH_EN: 0
; COMPUTE_PGM_RSRC2:USER_SGPR: 6
; COMPUTE_PGM_RSRC2:TRAP_HANDLER: 0
; COMPUTE_PGM_RSRC2:TGID_X_EN: 1
; COMPUTE_PGM_RSRC2:TGID_Y_EN: 0
; COMPUTE_PGM_RSRC2:TGID_Z_EN: 0
; COMPUTE_PGM_RSRC2:TIDIG_COMP_CNT: 0
	.section	.text._ZN7rocprim17ROCPRIM_400000_NS6detail17trampoline_kernelINS0_14default_configENS1_27scan_by_key_config_selectorIssEEZZNS1_16scan_by_key_implILNS1_25lookback_scan_determinismE0ELb1ES3_N6thrust23THRUST_200600_302600_NS6detail15normal_iteratorINS9_10device_ptrIsEEEESE_SE_sNS9_10multipliesIsEENS9_8equal_toIsEEsEE10hipError_tPvRmT2_T3_T4_T5_mT6_T7_P12ihipStream_tbENKUlT_T0_E_clISt17integral_constantIbLb1EESY_IbLb0EEEEDaSU_SV_EUlSU_E_NS1_11comp_targetILNS1_3genE10ELNS1_11target_archE1201ELNS1_3gpuE5ELNS1_3repE0EEENS1_30default_config_static_selectorELNS0_4arch9wavefront6targetE0EEEvT1_,"axG",@progbits,_ZN7rocprim17ROCPRIM_400000_NS6detail17trampoline_kernelINS0_14default_configENS1_27scan_by_key_config_selectorIssEEZZNS1_16scan_by_key_implILNS1_25lookback_scan_determinismE0ELb1ES3_N6thrust23THRUST_200600_302600_NS6detail15normal_iteratorINS9_10device_ptrIsEEEESE_SE_sNS9_10multipliesIsEENS9_8equal_toIsEEsEE10hipError_tPvRmT2_T3_T4_T5_mT6_T7_P12ihipStream_tbENKUlT_T0_E_clISt17integral_constantIbLb1EESY_IbLb0EEEEDaSU_SV_EUlSU_E_NS1_11comp_targetILNS1_3genE10ELNS1_11target_archE1201ELNS1_3gpuE5ELNS1_3repE0EEENS1_30default_config_static_selectorELNS0_4arch9wavefront6targetE0EEEvT1_,comdat
	.protected	_ZN7rocprim17ROCPRIM_400000_NS6detail17trampoline_kernelINS0_14default_configENS1_27scan_by_key_config_selectorIssEEZZNS1_16scan_by_key_implILNS1_25lookback_scan_determinismE0ELb1ES3_N6thrust23THRUST_200600_302600_NS6detail15normal_iteratorINS9_10device_ptrIsEEEESE_SE_sNS9_10multipliesIsEENS9_8equal_toIsEEsEE10hipError_tPvRmT2_T3_T4_T5_mT6_T7_P12ihipStream_tbENKUlT_T0_E_clISt17integral_constantIbLb1EESY_IbLb0EEEEDaSU_SV_EUlSU_E_NS1_11comp_targetILNS1_3genE10ELNS1_11target_archE1201ELNS1_3gpuE5ELNS1_3repE0EEENS1_30default_config_static_selectorELNS0_4arch9wavefront6targetE0EEEvT1_ ; -- Begin function _ZN7rocprim17ROCPRIM_400000_NS6detail17trampoline_kernelINS0_14default_configENS1_27scan_by_key_config_selectorIssEEZZNS1_16scan_by_key_implILNS1_25lookback_scan_determinismE0ELb1ES3_N6thrust23THRUST_200600_302600_NS6detail15normal_iteratorINS9_10device_ptrIsEEEESE_SE_sNS9_10multipliesIsEENS9_8equal_toIsEEsEE10hipError_tPvRmT2_T3_T4_T5_mT6_T7_P12ihipStream_tbENKUlT_T0_E_clISt17integral_constantIbLb1EESY_IbLb0EEEEDaSU_SV_EUlSU_E_NS1_11comp_targetILNS1_3genE10ELNS1_11target_archE1201ELNS1_3gpuE5ELNS1_3repE0EEENS1_30default_config_static_selectorELNS0_4arch9wavefront6targetE0EEEvT1_
	.globl	_ZN7rocprim17ROCPRIM_400000_NS6detail17trampoline_kernelINS0_14default_configENS1_27scan_by_key_config_selectorIssEEZZNS1_16scan_by_key_implILNS1_25lookback_scan_determinismE0ELb1ES3_N6thrust23THRUST_200600_302600_NS6detail15normal_iteratorINS9_10device_ptrIsEEEESE_SE_sNS9_10multipliesIsEENS9_8equal_toIsEEsEE10hipError_tPvRmT2_T3_T4_T5_mT6_T7_P12ihipStream_tbENKUlT_T0_E_clISt17integral_constantIbLb1EESY_IbLb0EEEEDaSU_SV_EUlSU_E_NS1_11comp_targetILNS1_3genE10ELNS1_11target_archE1201ELNS1_3gpuE5ELNS1_3repE0EEENS1_30default_config_static_selectorELNS0_4arch9wavefront6targetE0EEEvT1_
	.p2align	8
	.type	_ZN7rocprim17ROCPRIM_400000_NS6detail17trampoline_kernelINS0_14default_configENS1_27scan_by_key_config_selectorIssEEZZNS1_16scan_by_key_implILNS1_25lookback_scan_determinismE0ELb1ES3_N6thrust23THRUST_200600_302600_NS6detail15normal_iteratorINS9_10device_ptrIsEEEESE_SE_sNS9_10multipliesIsEENS9_8equal_toIsEEsEE10hipError_tPvRmT2_T3_T4_T5_mT6_T7_P12ihipStream_tbENKUlT_T0_E_clISt17integral_constantIbLb1EESY_IbLb0EEEEDaSU_SV_EUlSU_E_NS1_11comp_targetILNS1_3genE10ELNS1_11target_archE1201ELNS1_3gpuE5ELNS1_3repE0EEENS1_30default_config_static_selectorELNS0_4arch9wavefront6targetE0EEEvT1_,@function
_ZN7rocprim17ROCPRIM_400000_NS6detail17trampoline_kernelINS0_14default_configENS1_27scan_by_key_config_selectorIssEEZZNS1_16scan_by_key_implILNS1_25lookback_scan_determinismE0ELb1ES3_N6thrust23THRUST_200600_302600_NS6detail15normal_iteratorINS9_10device_ptrIsEEEESE_SE_sNS9_10multipliesIsEENS9_8equal_toIsEEsEE10hipError_tPvRmT2_T3_T4_T5_mT6_T7_P12ihipStream_tbENKUlT_T0_E_clISt17integral_constantIbLb1EESY_IbLb0EEEEDaSU_SV_EUlSU_E_NS1_11comp_targetILNS1_3genE10ELNS1_11target_archE1201ELNS1_3gpuE5ELNS1_3repE0EEENS1_30default_config_static_selectorELNS0_4arch9wavefront6targetE0EEEvT1_: ; @_ZN7rocprim17ROCPRIM_400000_NS6detail17trampoline_kernelINS0_14default_configENS1_27scan_by_key_config_selectorIssEEZZNS1_16scan_by_key_implILNS1_25lookback_scan_determinismE0ELb1ES3_N6thrust23THRUST_200600_302600_NS6detail15normal_iteratorINS9_10device_ptrIsEEEESE_SE_sNS9_10multipliesIsEENS9_8equal_toIsEEsEE10hipError_tPvRmT2_T3_T4_T5_mT6_T7_P12ihipStream_tbENKUlT_T0_E_clISt17integral_constantIbLb1EESY_IbLb0EEEEDaSU_SV_EUlSU_E_NS1_11comp_targetILNS1_3genE10ELNS1_11target_archE1201ELNS1_3gpuE5ELNS1_3repE0EEENS1_30default_config_static_selectorELNS0_4arch9wavefront6targetE0EEEvT1_
; %bb.0:
	.section	.rodata,"a",@progbits
	.p2align	6, 0x0
	.amdhsa_kernel _ZN7rocprim17ROCPRIM_400000_NS6detail17trampoline_kernelINS0_14default_configENS1_27scan_by_key_config_selectorIssEEZZNS1_16scan_by_key_implILNS1_25lookback_scan_determinismE0ELb1ES3_N6thrust23THRUST_200600_302600_NS6detail15normal_iteratorINS9_10device_ptrIsEEEESE_SE_sNS9_10multipliesIsEENS9_8equal_toIsEEsEE10hipError_tPvRmT2_T3_T4_T5_mT6_T7_P12ihipStream_tbENKUlT_T0_E_clISt17integral_constantIbLb1EESY_IbLb0EEEEDaSU_SV_EUlSU_E_NS1_11comp_targetILNS1_3genE10ELNS1_11target_archE1201ELNS1_3gpuE5ELNS1_3repE0EEENS1_30default_config_static_selectorELNS0_4arch9wavefront6targetE0EEEvT1_
		.amdhsa_group_segment_fixed_size 0
		.amdhsa_private_segment_fixed_size 0
		.amdhsa_kernarg_size 112
		.amdhsa_user_sgpr_count 6
		.amdhsa_user_sgpr_private_segment_buffer 1
		.amdhsa_user_sgpr_dispatch_ptr 0
		.amdhsa_user_sgpr_queue_ptr 0
		.amdhsa_user_sgpr_kernarg_segment_ptr 1
		.amdhsa_user_sgpr_dispatch_id 0
		.amdhsa_user_sgpr_flat_scratch_init 0
		.amdhsa_user_sgpr_private_segment_size 0
		.amdhsa_wavefront_size32 1
		.amdhsa_uses_dynamic_stack 0
		.amdhsa_system_sgpr_private_segment_wavefront_offset 0
		.amdhsa_system_sgpr_workgroup_id_x 1
		.amdhsa_system_sgpr_workgroup_id_y 0
		.amdhsa_system_sgpr_workgroup_id_z 0
		.amdhsa_system_sgpr_workgroup_info 0
		.amdhsa_system_vgpr_workitem_id 0
		.amdhsa_next_free_vgpr 1
		.amdhsa_next_free_sgpr 1
		.amdhsa_reserve_vcc 0
		.amdhsa_reserve_flat_scratch 0
		.amdhsa_float_round_mode_32 0
		.amdhsa_float_round_mode_16_64 0
		.amdhsa_float_denorm_mode_32 3
		.amdhsa_float_denorm_mode_16_64 3
		.amdhsa_dx10_clamp 1
		.amdhsa_ieee_mode 1
		.amdhsa_fp16_overflow 0
		.amdhsa_workgroup_processor_mode 1
		.amdhsa_memory_ordered 1
		.amdhsa_forward_progress 1
		.amdhsa_shared_vgpr_count 0
		.amdhsa_exception_fp_ieee_invalid_op 0
		.amdhsa_exception_fp_denorm_src 0
		.amdhsa_exception_fp_ieee_div_zero 0
		.amdhsa_exception_fp_ieee_overflow 0
		.amdhsa_exception_fp_ieee_underflow 0
		.amdhsa_exception_fp_ieee_inexact 0
		.amdhsa_exception_int_div_zero 0
	.end_amdhsa_kernel
	.section	.text._ZN7rocprim17ROCPRIM_400000_NS6detail17trampoline_kernelINS0_14default_configENS1_27scan_by_key_config_selectorIssEEZZNS1_16scan_by_key_implILNS1_25lookback_scan_determinismE0ELb1ES3_N6thrust23THRUST_200600_302600_NS6detail15normal_iteratorINS9_10device_ptrIsEEEESE_SE_sNS9_10multipliesIsEENS9_8equal_toIsEEsEE10hipError_tPvRmT2_T3_T4_T5_mT6_T7_P12ihipStream_tbENKUlT_T0_E_clISt17integral_constantIbLb1EESY_IbLb0EEEEDaSU_SV_EUlSU_E_NS1_11comp_targetILNS1_3genE10ELNS1_11target_archE1201ELNS1_3gpuE5ELNS1_3repE0EEENS1_30default_config_static_selectorELNS0_4arch9wavefront6targetE0EEEvT1_,"axG",@progbits,_ZN7rocprim17ROCPRIM_400000_NS6detail17trampoline_kernelINS0_14default_configENS1_27scan_by_key_config_selectorIssEEZZNS1_16scan_by_key_implILNS1_25lookback_scan_determinismE0ELb1ES3_N6thrust23THRUST_200600_302600_NS6detail15normal_iteratorINS9_10device_ptrIsEEEESE_SE_sNS9_10multipliesIsEENS9_8equal_toIsEEsEE10hipError_tPvRmT2_T3_T4_T5_mT6_T7_P12ihipStream_tbENKUlT_T0_E_clISt17integral_constantIbLb1EESY_IbLb0EEEEDaSU_SV_EUlSU_E_NS1_11comp_targetILNS1_3genE10ELNS1_11target_archE1201ELNS1_3gpuE5ELNS1_3repE0EEENS1_30default_config_static_selectorELNS0_4arch9wavefront6targetE0EEEvT1_,comdat
.Lfunc_end624:
	.size	_ZN7rocprim17ROCPRIM_400000_NS6detail17trampoline_kernelINS0_14default_configENS1_27scan_by_key_config_selectorIssEEZZNS1_16scan_by_key_implILNS1_25lookback_scan_determinismE0ELb1ES3_N6thrust23THRUST_200600_302600_NS6detail15normal_iteratorINS9_10device_ptrIsEEEESE_SE_sNS9_10multipliesIsEENS9_8equal_toIsEEsEE10hipError_tPvRmT2_T3_T4_T5_mT6_T7_P12ihipStream_tbENKUlT_T0_E_clISt17integral_constantIbLb1EESY_IbLb0EEEEDaSU_SV_EUlSU_E_NS1_11comp_targetILNS1_3genE10ELNS1_11target_archE1201ELNS1_3gpuE5ELNS1_3repE0EEENS1_30default_config_static_selectorELNS0_4arch9wavefront6targetE0EEEvT1_, .Lfunc_end624-_ZN7rocprim17ROCPRIM_400000_NS6detail17trampoline_kernelINS0_14default_configENS1_27scan_by_key_config_selectorIssEEZZNS1_16scan_by_key_implILNS1_25lookback_scan_determinismE0ELb1ES3_N6thrust23THRUST_200600_302600_NS6detail15normal_iteratorINS9_10device_ptrIsEEEESE_SE_sNS9_10multipliesIsEENS9_8equal_toIsEEsEE10hipError_tPvRmT2_T3_T4_T5_mT6_T7_P12ihipStream_tbENKUlT_T0_E_clISt17integral_constantIbLb1EESY_IbLb0EEEEDaSU_SV_EUlSU_E_NS1_11comp_targetILNS1_3genE10ELNS1_11target_archE1201ELNS1_3gpuE5ELNS1_3repE0EEENS1_30default_config_static_selectorELNS0_4arch9wavefront6targetE0EEEvT1_
                                        ; -- End function
	.set _ZN7rocprim17ROCPRIM_400000_NS6detail17trampoline_kernelINS0_14default_configENS1_27scan_by_key_config_selectorIssEEZZNS1_16scan_by_key_implILNS1_25lookback_scan_determinismE0ELb1ES3_N6thrust23THRUST_200600_302600_NS6detail15normal_iteratorINS9_10device_ptrIsEEEESE_SE_sNS9_10multipliesIsEENS9_8equal_toIsEEsEE10hipError_tPvRmT2_T3_T4_T5_mT6_T7_P12ihipStream_tbENKUlT_T0_E_clISt17integral_constantIbLb1EESY_IbLb0EEEEDaSU_SV_EUlSU_E_NS1_11comp_targetILNS1_3genE10ELNS1_11target_archE1201ELNS1_3gpuE5ELNS1_3repE0EEENS1_30default_config_static_selectorELNS0_4arch9wavefront6targetE0EEEvT1_.num_vgpr, 0
	.set _ZN7rocprim17ROCPRIM_400000_NS6detail17trampoline_kernelINS0_14default_configENS1_27scan_by_key_config_selectorIssEEZZNS1_16scan_by_key_implILNS1_25lookback_scan_determinismE0ELb1ES3_N6thrust23THRUST_200600_302600_NS6detail15normal_iteratorINS9_10device_ptrIsEEEESE_SE_sNS9_10multipliesIsEENS9_8equal_toIsEEsEE10hipError_tPvRmT2_T3_T4_T5_mT6_T7_P12ihipStream_tbENKUlT_T0_E_clISt17integral_constantIbLb1EESY_IbLb0EEEEDaSU_SV_EUlSU_E_NS1_11comp_targetILNS1_3genE10ELNS1_11target_archE1201ELNS1_3gpuE5ELNS1_3repE0EEENS1_30default_config_static_selectorELNS0_4arch9wavefront6targetE0EEEvT1_.num_agpr, 0
	.set _ZN7rocprim17ROCPRIM_400000_NS6detail17trampoline_kernelINS0_14default_configENS1_27scan_by_key_config_selectorIssEEZZNS1_16scan_by_key_implILNS1_25lookback_scan_determinismE0ELb1ES3_N6thrust23THRUST_200600_302600_NS6detail15normal_iteratorINS9_10device_ptrIsEEEESE_SE_sNS9_10multipliesIsEENS9_8equal_toIsEEsEE10hipError_tPvRmT2_T3_T4_T5_mT6_T7_P12ihipStream_tbENKUlT_T0_E_clISt17integral_constantIbLb1EESY_IbLb0EEEEDaSU_SV_EUlSU_E_NS1_11comp_targetILNS1_3genE10ELNS1_11target_archE1201ELNS1_3gpuE5ELNS1_3repE0EEENS1_30default_config_static_selectorELNS0_4arch9wavefront6targetE0EEEvT1_.numbered_sgpr, 0
	.set _ZN7rocprim17ROCPRIM_400000_NS6detail17trampoline_kernelINS0_14default_configENS1_27scan_by_key_config_selectorIssEEZZNS1_16scan_by_key_implILNS1_25lookback_scan_determinismE0ELb1ES3_N6thrust23THRUST_200600_302600_NS6detail15normal_iteratorINS9_10device_ptrIsEEEESE_SE_sNS9_10multipliesIsEENS9_8equal_toIsEEsEE10hipError_tPvRmT2_T3_T4_T5_mT6_T7_P12ihipStream_tbENKUlT_T0_E_clISt17integral_constantIbLb1EESY_IbLb0EEEEDaSU_SV_EUlSU_E_NS1_11comp_targetILNS1_3genE10ELNS1_11target_archE1201ELNS1_3gpuE5ELNS1_3repE0EEENS1_30default_config_static_selectorELNS0_4arch9wavefront6targetE0EEEvT1_.num_named_barrier, 0
	.set _ZN7rocprim17ROCPRIM_400000_NS6detail17trampoline_kernelINS0_14default_configENS1_27scan_by_key_config_selectorIssEEZZNS1_16scan_by_key_implILNS1_25lookback_scan_determinismE0ELb1ES3_N6thrust23THRUST_200600_302600_NS6detail15normal_iteratorINS9_10device_ptrIsEEEESE_SE_sNS9_10multipliesIsEENS9_8equal_toIsEEsEE10hipError_tPvRmT2_T3_T4_T5_mT6_T7_P12ihipStream_tbENKUlT_T0_E_clISt17integral_constantIbLb1EESY_IbLb0EEEEDaSU_SV_EUlSU_E_NS1_11comp_targetILNS1_3genE10ELNS1_11target_archE1201ELNS1_3gpuE5ELNS1_3repE0EEENS1_30default_config_static_selectorELNS0_4arch9wavefront6targetE0EEEvT1_.private_seg_size, 0
	.set _ZN7rocprim17ROCPRIM_400000_NS6detail17trampoline_kernelINS0_14default_configENS1_27scan_by_key_config_selectorIssEEZZNS1_16scan_by_key_implILNS1_25lookback_scan_determinismE0ELb1ES3_N6thrust23THRUST_200600_302600_NS6detail15normal_iteratorINS9_10device_ptrIsEEEESE_SE_sNS9_10multipliesIsEENS9_8equal_toIsEEsEE10hipError_tPvRmT2_T3_T4_T5_mT6_T7_P12ihipStream_tbENKUlT_T0_E_clISt17integral_constantIbLb1EESY_IbLb0EEEEDaSU_SV_EUlSU_E_NS1_11comp_targetILNS1_3genE10ELNS1_11target_archE1201ELNS1_3gpuE5ELNS1_3repE0EEENS1_30default_config_static_selectorELNS0_4arch9wavefront6targetE0EEEvT1_.uses_vcc, 0
	.set _ZN7rocprim17ROCPRIM_400000_NS6detail17trampoline_kernelINS0_14default_configENS1_27scan_by_key_config_selectorIssEEZZNS1_16scan_by_key_implILNS1_25lookback_scan_determinismE0ELb1ES3_N6thrust23THRUST_200600_302600_NS6detail15normal_iteratorINS9_10device_ptrIsEEEESE_SE_sNS9_10multipliesIsEENS9_8equal_toIsEEsEE10hipError_tPvRmT2_T3_T4_T5_mT6_T7_P12ihipStream_tbENKUlT_T0_E_clISt17integral_constantIbLb1EESY_IbLb0EEEEDaSU_SV_EUlSU_E_NS1_11comp_targetILNS1_3genE10ELNS1_11target_archE1201ELNS1_3gpuE5ELNS1_3repE0EEENS1_30default_config_static_selectorELNS0_4arch9wavefront6targetE0EEEvT1_.uses_flat_scratch, 0
	.set _ZN7rocprim17ROCPRIM_400000_NS6detail17trampoline_kernelINS0_14default_configENS1_27scan_by_key_config_selectorIssEEZZNS1_16scan_by_key_implILNS1_25lookback_scan_determinismE0ELb1ES3_N6thrust23THRUST_200600_302600_NS6detail15normal_iteratorINS9_10device_ptrIsEEEESE_SE_sNS9_10multipliesIsEENS9_8equal_toIsEEsEE10hipError_tPvRmT2_T3_T4_T5_mT6_T7_P12ihipStream_tbENKUlT_T0_E_clISt17integral_constantIbLb1EESY_IbLb0EEEEDaSU_SV_EUlSU_E_NS1_11comp_targetILNS1_3genE10ELNS1_11target_archE1201ELNS1_3gpuE5ELNS1_3repE0EEENS1_30default_config_static_selectorELNS0_4arch9wavefront6targetE0EEEvT1_.has_dyn_sized_stack, 0
	.set _ZN7rocprim17ROCPRIM_400000_NS6detail17trampoline_kernelINS0_14default_configENS1_27scan_by_key_config_selectorIssEEZZNS1_16scan_by_key_implILNS1_25lookback_scan_determinismE0ELb1ES3_N6thrust23THRUST_200600_302600_NS6detail15normal_iteratorINS9_10device_ptrIsEEEESE_SE_sNS9_10multipliesIsEENS9_8equal_toIsEEsEE10hipError_tPvRmT2_T3_T4_T5_mT6_T7_P12ihipStream_tbENKUlT_T0_E_clISt17integral_constantIbLb1EESY_IbLb0EEEEDaSU_SV_EUlSU_E_NS1_11comp_targetILNS1_3genE10ELNS1_11target_archE1201ELNS1_3gpuE5ELNS1_3repE0EEENS1_30default_config_static_selectorELNS0_4arch9wavefront6targetE0EEEvT1_.has_recursion, 0
	.set _ZN7rocprim17ROCPRIM_400000_NS6detail17trampoline_kernelINS0_14default_configENS1_27scan_by_key_config_selectorIssEEZZNS1_16scan_by_key_implILNS1_25lookback_scan_determinismE0ELb1ES3_N6thrust23THRUST_200600_302600_NS6detail15normal_iteratorINS9_10device_ptrIsEEEESE_SE_sNS9_10multipliesIsEENS9_8equal_toIsEEsEE10hipError_tPvRmT2_T3_T4_T5_mT6_T7_P12ihipStream_tbENKUlT_T0_E_clISt17integral_constantIbLb1EESY_IbLb0EEEEDaSU_SV_EUlSU_E_NS1_11comp_targetILNS1_3genE10ELNS1_11target_archE1201ELNS1_3gpuE5ELNS1_3repE0EEENS1_30default_config_static_selectorELNS0_4arch9wavefront6targetE0EEEvT1_.has_indirect_call, 0
	.section	.AMDGPU.csdata,"",@progbits
; Kernel info:
; codeLenInByte = 0
; TotalNumSgprs: 0
; NumVgprs: 0
; ScratchSize: 0
; MemoryBound: 0
; FloatMode: 240
; IeeeMode: 1
; LDSByteSize: 0 bytes/workgroup (compile time only)
; SGPRBlocks: 0
; VGPRBlocks: 0
; NumSGPRsForWavesPerEU: 1
; NumVGPRsForWavesPerEU: 1
; Occupancy: 16
; WaveLimiterHint : 0
; COMPUTE_PGM_RSRC2:SCRATCH_EN: 0
; COMPUTE_PGM_RSRC2:USER_SGPR: 6
; COMPUTE_PGM_RSRC2:TRAP_HANDLER: 0
; COMPUTE_PGM_RSRC2:TGID_X_EN: 1
; COMPUTE_PGM_RSRC2:TGID_Y_EN: 0
; COMPUTE_PGM_RSRC2:TGID_Z_EN: 0
; COMPUTE_PGM_RSRC2:TIDIG_COMP_CNT: 0
	.section	.text._ZN7rocprim17ROCPRIM_400000_NS6detail17trampoline_kernelINS0_14default_configENS1_27scan_by_key_config_selectorIssEEZZNS1_16scan_by_key_implILNS1_25lookback_scan_determinismE0ELb1ES3_N6thrust23THRUST_200600_302600_NS6detail15normal_iteratorINS9_10device_ptrIsEEEESE_SE_sNS9_10multipliesIsEENS9_8equal_toIsEEsEE10hipError_tPvRmT2_T3_T4_T5_mT6_T7_P12ihipStream_tbENKUlT_T0_E_clISt17integral_constantIbLb1EESY_IbLb0EEEEDaSU_SV_EUlSU_E_NS1_11comp_targetILNS1_3genE5ELNS1_11target_archE942ELNS1_3gpuE9ELNS1_3repE0EEENS1_30default_config_static_selectorELNS0_4arch9wavefront6targetE0EEEvT1_,"axG",@progbits,_ZN7rocprim17ROCPRIM_400000_NS6detail17trampoline_kernelINS0_14default_configENS1_27scan_by_key_config_selectorIssEEZZNS1_16scan_by_key_implILNS1_25lookback_scan_determinismE0ELb1ES3_N6thrust23THRUST_200600_302600_NS6detail15normal_iteratorINS9_10device_ptrIsEEEESE_SE_sNS9_10multipliesIsEENS9_8equal_toIsEEsEE10hipError_tPvRmT2_T3_T4_T5_mT6_T7_P12ihipStream_tbENKUlT_T0_E_clISt17integral_constantIbLb1EESY_IbLb0EEEEDaSU_SV_EUlSU_E_NS1_11comp_targetILNS1_3genE5ELNS1_11target_archE942ELNS1_3gpuE9ELNS1_3repE0EEENS1_30default_config_static_selectorELNS0_4arch9wavefront6targetE0EEEvT1_,comdat
	.protected	_ZN7rocprim17ROCPRIM_400000_NS6detail17trampoline_kernelINS0_14default_configENS1_27scan_by_key_config_selectorIssEEZZNS1_16scan_by_key_implILNS1_25lookback_scan_determinismE0ELb1ES3_N6thrust23THRUST_200600_302600_NS6detail15normal_iteratorINS9_10device_ptrIsEEEESE_SE_sNS9_10multipliesIsEENS9_8equal_toIsEEsEE10hipError_tPvRmT2_T3_T4_T5_mT6_T7_P12ihipStream_tbENKUlT_T0_E_clISt17integral_constantIbLb1EESY_IbLb0EEEEDaSU_SV_EUlSU_E_NS1_11comp_targetILNS1_3genE5ELNS1_11target_archE942ELNS1_3gpuE9ELNS1_3repE0EEENS1_30default_config_static_selectorELNS0_4arch9wavefront6targetE0EEEvT1_ ; -- Begin function _ZN7rocprim17ROCPRIM_400000_NS6detail17trampoline_kernelINS0_14default_configENS1_27scan_by_key_config_selectorIssEEZZNS1_16scan_by_key_implILNS1_25lookback_scan_determinismE0ELb1ES3_N6thrust23THRUST_200600_302600_NS6detail15normal_iteratorINS9_10device_ptrIsEEEESE_SE_sNS9_10multipliesIsEENS9_8equal_toIsEEsEE10hipError_tPvRmT2_T3_T4_T5_mT6_T7_P12ihipStream_tbENKUlT_T0_E_clISt17integral_constantIbLb1EESY_IbLb0EEEEDaSU_SV_EUlSU_E_NS1_11comp_targetILNS1_3genE5ELNS1_11target_archE942ELNS1_3gpuE9ELNS1_3repE0EEENS1_30default_config_static_selectorELNS0_4arch9wavefront6targetE0EEEvT1_
	.globl	_ZN7rocprim17ROCPRIM_400000_NS6detail17trampoline_kernelINS0_14default_configENS1_27scan_by_key_config_selectorIssEEZZNS1_16scan_by_key_implILNS1_25lookback_scan_determinismE0ELb1ES3_N6thrust23THRUST_200600_302600_NS6detail15normal_iteratorINS9_10device_ptrIsEEEESE_SE_sNS9_10multipliesIsEENS9_8equal_toIsEEsEE10hipError_tPvRmT2_T3_T4_T5_mT6_T7_P12ihipStream_tbENKUlT_T0_E_clISt17integral_constantIbLb1EESY_IbLb0EEEEDaSU_SV_EUlSU_E_NS1_11comp_targetILNS1_3genE5ELNS1_11target_archE942ELNS1_3gpuE9ELNS1_3repE0EEENS1_30default_config_static_selectorELNS0_4arch9wavefront6targetE0EEEvT1_
	.p2align	8
	.type	_ZN7rocprim17ROCPRIM_400000_NS6detail17trampoline_kernelINS0_14default_configENS1_27scan_by_key_config_selectorIssEEZZNS1_16scan_by_key_implILNS1_25lookback_scan_determinismE0ELb1ES3_N6thrust23THRUST_200600_302600_NS6detail15normal_iteratorINS9_10device_ptrIsEEEESE_SE_sNS9_10multipliesIsEENS9_8equal_toIsEEsEE10hipError_tPvRmT2_T3_T4_T5_mT6_T7_P12ihipStream_tbENKUlT_T0_E_clISt17integral_constantIbLb1EESY_IbLb0EEEEDaSU_SV_EUlSU_E_NS1_11comp_targetILNS1_3genE5ELNS1_11target_archE942ELNS1_3gpuE9ELNS1_3repE0EEENS1_30default_config_static_selectorELNS0_4arch9wavefront6targetE0EEEvT1_,@function
_ZN7rocprim17ROCPRIM_400000_NS6detail17trampoline_kernelINS0_14default_configENS1_27scan_by_key_config_selectorIssEEZZNS1_16scan_by_key_implILNS1_25lookback_scan_determinismE0ELb1ES3_N6thrust23THRUST_200600_302600_NS6detail15normal_iteratorINS9_10device_ptrIsEEEESE_SE_sNS9_10multipliesIsEENS9_8equal_toIsEEsEE10hipError_tPvRmT2_T3_T4_T5_mT6_T7_P12ihipStream_tbENKUlT_T0_E_clISt17integral_constantIbLb1EESY_IbLb0EEEEDaSU_SV_EUlSU_E_NS1_11comp_targetILNS1_3genE5ELNS1_11target_archE942ELNS1_3gpuE9ELNS1_3repE0EEENS1_30default_config_static_selectorELNS0_4arch9wavefront6targetE0EEEvT1_: ; @_ZN7rocprim17ROCPRIM_400000_NS6detail17trampoline_kernelINS0_14default_configENS1_27scan_by_key_config_selectorIssEEZZNS1_16scan_by_key_implILNS1_25lookback_scan_determinismE0ELb1ES3_N6thrust23THRUST_200600_302600_NS6detail15normal_iteratorINS9_10device_ptrIsEEEESE_SE_sNS9_10multipliesIsEENS9_8equal_toIsEEsEE10hipError_tPvRmT2_T3_T4_T5_mT6_T7_P12ihipStream_tbENKUlT_T0_E_clISt17integral_constantIbLb1EESY_IbLb0EEEEDaSU_SV_EUlSU_E_NS1_11comp_targetILNS1_3genE5ELNS1_11target_archE942ELNS1_3gpuE9ELNS1_3repE0EEENS1_30default_config_static_selectorELNS0_4arch9wavefront6targetE0EEEvT1_
; %bb.0:
	.section	.rodata,"a",@progbits
	.p2align	6, 0x0
	.amdhsa_kernel _ZN7rocprim17ROCPRIM_400000_NS6detail17trampoline_kernelINS0_14default_configENS1_27scan_by_key_config_selectorIssEEZZNS1_16scan_by_key_implILNS1_25lookback_scan_determinismE0ELb1ES3_N6thrust23THRUST_200600_302600_NS6detail15normal_iteratorINS9_10device_ptrIsEEEESE_SE_sNS9_10multipliesIsEENS9_8equal_toIsEEsEE10hipError_tPvRmT2_T3_T4_T5_mT6_T7_P12ihipStream_tbENKUlT_T0_E_clISt17integral_constantIbLb1EESY_IbLb0EEEEDaSU_SV_EUlSU_E_NS1_11comp_targetILNS1_3genE5ELNS1_11target_archE942ELNS1_3gpuE9ELNS1_3repE0EEENS1_30default_config_static_selectorELNS0_4arch9wavefront6targetE0EEEvT1_
		.amdhsa_group_segment_fixed_size 0
		.amdhsa_private_segment_fixed_size 0
		.amdhsa_kernarg_size 112
		.amdhsa_user_sgpr_count 6
		.amdhsa_user_sgpr_private_segment_buffer 1
		.amdhsa_user_sgpr_dispatch_ptr 0
		.amdhsa_user_sgpr_queue_ptr 0
		.amdhsa_user_sgpr_kernarg_segment_ptr 1
		.amdhsa_user_sgpr_dispatch_id 0
		.amdhsa_user_sgpr_flat_scratch_init 0
		.amdhsa_user_sgpr_private_segment_size 0
		.amdhsa_wavefront_size32 1
		.amdhsa_uses_dynamic_stack 0
		.amdhsa_system_sgpr_private_segment_wavefront_offset 0
		.amdhsa_system_sgpr_workgroup_id_x 1
		.amdhsa_system_sgpr_workgroup_id_y 0
		.amdhsa_system_sgpr_workgroup_id_z 0
		.amdhsa_system_sgpr_workgroup_info 0
		.amdhsa_system_vgpr_workitem_id 0
		.amdhsa_next_free_vgpr 1
		.amdhsa_next_free_sgpr 1
		.amdhsa_reserve_vcc 0
		.amdhsa_reserve_flat_scratch 0
		.amdhsa_float_round_mode_32 0
		.amdhsa_float_round_mode_16_64 0
		.amdhsa_float_denorm_mode_32 3
		.amdhsa_float_denorm_mode_16_64 3
		.amdhsa_dx10_clamp 1
		.amdhsa_ieee_mode 1
		.amdhsa_fp16_overflow 0
		.amdhsa_workgroup_processor_mode 1
		.amdhsa_memory_ordered 1
		.amdhsa_forward_progress 1
		.amdhsa_shared_vgpr_count 0
		.amdhsa_exception_fp_ieee_invalid_op 0
		.amdhsa_exception_fp_denorm_src 0
		.amdhsa_exception_fp_ieee_div_zero 0
		.amdhsa_exception_fp_ieee_overflow 0
		.amdhsa_exception_fp_ieee_underflow 0
		.amdhsa_exception_fp_ieee_inexact 0
		.amdhsa_exception_int_div_zero 0
	.end_amdhsa_kernel
	.section	.text._ZN7rocprim17ROCPRIM_400000_NS6detail17trampoline_kernelINS0_14default_configENS1_27scan_by_key_config_selectorIssEEZZNS1_16scan_by_key_implILNS1_25lookback_scan_determinismE0ELb1ES3_N6thrust23THRUST_200600_302600_NS6detail15normal_iteratorINS9_10device_ptrIsEEEESE_SE_sNS9_10multipliesIsEENS9_8equal_toIsEEsEE10hipError_tPvRmT2_T3_T4_T5_mT6_T7_P12ihipStream_tbENKUlT_T0_E_clISt17integral_constantIbLb1EESY_IbLb0EEEEDaSU_SV_EUlSU_E_NS1_11comp_targetILNS1_3genE5ELNS1_11target_archE942ELNS1_3gpuE9ELNS1_3repE0EEENS1_30default_config_static_selectorELNS0_4arch9wavefront6targetE0EEEvT1_,"axG",@progbits,_ZN7rocprim17ROCPRIM_400000_NS6detail17trampoline_kernelINS0_14default_configENS1_27scan_by_key_config_selectorIssEEZZNS1_16scan_by_key_implILNS1_25lookback_scan_determinismE0ELb1ES3_N6thrust23THRUST_200600_302600_NS6detail15normal_iteratorINS9_10device_ptrIsEEEESE_SE_sNS9_10multipliesIsEENS9_8equal_toIsEEsEE10hipError_tPvRmT2_T3_T4_T5_mT6_T7_P12ihipStream_tbENKUlT_T0_E_clISt17integral_constantIbLb1EESY_IbLb0EEEEDaSU_SV_EUlSU_E_NS1_11comp_targetILNS1_3genE5ELNS1_11target_archE942ELNS1_3gpuE9ELNS1_3repE0EEENS1_30default_config_static_selectorELNS0_4arch9wavefront6targetE0EEEvT1_,comdat
.Lfunc_end625:
	.size	_ZN7rocprim17ROCPRIM_400000_NS6detail17trampoline_kernelINS0_14default_configENS1_27scan_by_key_config_selectorIssEEZZNS1_16scan_by_key_implILNS1_25lookback_scan_determinismE0ELb1ES3_N6thrust23THRUST_200600_302600_NS6detail15normal_iteratorINS9_10device_ptrIsEEEESE_SE_sNS9_10multipliesIsEENS9_8equal_toIsEEsEE10hipError_tPvRmT2_T3_T4_T5_mT6_T7_P12ihipStream_tbENKUlT_T0_E_clISt17integral_constantIbLb1EESY_IbLb0EEEEDaSU_SV_EUlSU_E_NS1_11comp_targetILNS1_3genE5ELNS1_11target_archE942ELNS1_3gpuE9ELNS1_3repE0EEENS1_30default_config_static_selectorELNS0_4arch9wavefront6targetE0EEEvT1_, .Lfunc_end625-_ZN7rocprim17ROCPRIM_400000_NS6detail17trampoline_kernelINS0_14default_configENS1_27scan_by_key_config_selectorIssEEZZNS1_16scan_by_key_implILNS1_25lookback_scan_determinismE0ELb1ES3_N6thrust23THRUST_200600_302600_NS6detail15normal_iteratorINS9_10device_ptrIsEEEESE_SE_sNS9_10multipliesIsEENS9_8equal_toIsEEsEE10hipError_tPvRmT2_T3_T4_T5_mT6_T7_P12ihipStream_tbENKUlT_T0_E_clISt17integral_constantIbLb1EESY_IbLb0EEEEDaSU_SV_EUlSU_E_NS1_11comp_targetILNS1_3genE5ELNS1_11target_archE942ELNS1_3gpuE9ELNS1_3repE0EEENS1_30default_config_static_selectorELNS0_4arch9wavefront6targetE0EEEvT1_
                                        ; -- End function
	.set _ZN7rocprim17ROCPRIM_400000_NS6detail17trampoline_kernelINS0_14default_configENS1_27scan_by_key_config_selectorIssEEZZNS1_16scan_by_key_implILNS1_25lookback_scan_determinismE0ELb1ES3_N6thrust23THRUST_200600_302600_NS6detail15normal_iteratorINS9_10device_ptrIsEEEESE_SE_sNS9_10multipliesIsEENS9_8equal_toIsEEsEE10hipError_tPvRmT2_T3_T4_T5_mT6_T7_P12ihipStream_tbENKUlT_T0_E_clISt17integral_constantIbLb1EESY_IbLb0EEEEDaSU_SV_EUlSU_E_NS1_11comp_targetILNS1_3genE5ELNS1_11target_archE942ELNS1_3gpuE9ELNS1_3repE0EEENS1_30default_config_static_selectorELNS0_4arch9wavefront6targetE0EEEvT1_.num_vgpr, 0
	.set _ZN7rocprim17ROCPRIM_400000_NS6detail17trampoline_kernelINS0_14default_configENS1_27scan_by_key_config_selectorIssEEZZNS1_16scan_by_key_implILNS1_25lookback_scan_determinismE0ELb1ES3_N6thrust23THRUST_200600_302600_NS6detail15normal_iteratorINS9_10device_ptrIsEEEESE_SE_sNS9_10multipliesIsEENS9_8equal_toIsEEsEE10hipError_tPvRmT2_T3_T4_T5_mT6_T7_P12ihipStream_tbENKUlT_T0_E_clISt17integral_constantIbLb1EESY_IbLb0EEEEDaSU_SV_EUlSU_E_NS1_11comp_targetILNS1_3genE5ELNS1_11target_archE942ELNS1_3gpuE9ELNS1_3repE0EEENS1_30default_config_static_selectorELNS0_4arch9wavefront6targetE0EEEvT1_.num_agpr, 0
	.set _ZN7rocprim17ROCPRIM_400000_NS6detail17trampoline_kernelINS0_14default_configENS1_27scan_by_key_config_selectorIssEEZZNS1_16scan_by_key_implILNS1_25lookback_scan_determinismE0ELb1ES3_N6thrust23THRUST_200600_302600_NS6detail15normal_iteratorINS9_10device_ptrIsEEEESE_SE_sNS9_10multipliesIsEENS9_8equal_toIsEEsEE10hipError_tPvRmT2_T3_T4_T5_mT6_T7_P12ihipStream_tbENKUlT_T0_E_clISt17integral_constantIbLb1EESY_IbLb0EEEEDaSU_SV_EUlSU_E_NS1_11comp_targetILNS1_3genE5ELNS1_11target_archE942ELNS1_3gpuE9ELNS1_3repE0EEENS1_30default_config_static_selectorELNS0_4arch9wavefront6targetE0EEEvT1_.numbered_sgpr, 0
	.set _ZN7rocprim17ROCPRIM_400000_NS6detail17trampoline_kernelINS0_14default_configENS1_27scan_by_key_config_selectorIssEEZZNS1_16scan_by_key_implILNS1_25lookback_scan_determinismE0ELb1ES3_N6thrust23THRUST_200600_302600_NS6detail15normal_iteratorINS9_10device_ptrIsEEEESE_SE_sNS9_10multipliesIsEENS9_8equal_toIsEEsEE10hipError_tPvRmT2_T3_T4_T5_mT6_T7_P12ihipStream_tbENKUlT_T0_E_clISt17integral_constantIbLb1EESY_IbLb0EEEEDaSU_SV_EUlSU_E_NS1_11comp_targetILNS1_3genE5ELNS1_11target_archE942ELNS1_3gpuE9ELNS1_3repE0EEENS1_30default_config_static_selectorELNS0_4arch9wavefront6targetE0EEEvT1_.num_named_barrier, 0
	.set _ZN7rocprim17ROCPRIM_400000_NS6detail17trampoline_kernelINS0_14default_configENS1_27scan_by_key_config_selectorIssEEZZNS1_16scan_by_key_implILNS1_25lookback_scan_determinismE0ELb1ES3_N6thrust23THRUST_200600_302600_NS6detail15normal_iteratorINS9_10device_ptrIsEEEESE_SE_sNS9_10multipliesIsEENS9_8equal_toIsEEsEE10hipError_tPvRmT2_T3_T4_T5_mT6_T7_P12ihipStream_tbENKUlT_T0_E_clISt17integral_constantIbLb1EESY_IbLb0EEEEDaSU_SV_EUlSU_E_NS1_11comp_targetILNS1_3genE5ELNS1_11target_archE942ELNS1_3gpuE9ELNS1_3repE0EEENS1_30default_config_static_selectorELNS0_4arch9wavefront6targetE0EEEvT1_.private_seg_size, 0
	.set _ZN7rocprim17ROCPRIM_400000_NS6detail17trampoline_kernelINS0_14default_configENS1_27scan_by_key_config_selectorIssEEZZNS1_16scan_by_key_implILNS1_25lookback_scan_determinismE0ELb1ES3_N6thrust23THRUST_200600_302600_NS6detail15normal_iteratorINS9_10device_ptrIsEEEESE_SE_sNS9_10multipliesIsEENS9_8equal_toIsEEsEE10hipError_tPvRmT2_T3_T4_T5_mT6_T7_P12ihipStream_tbENKUlT_T0_E_clISt17integral_constantIbLb1EESY_IbLb0EEEEDaSU_SV_EUlSU_E_NS1_11comp_targetILNS1_3genE5ELNS1_11target_archE942ELNS1_3gpuE9ELNS1_3repE0EEENS1_30default_config_static_selectorELNS0_4arch9wavefront6targetE0EEEvT1_.uses_vcc, 0
	.set _ZN7rocprim17ROCPRIM_400000_NS6detail17trampoline_kernelINS0_14default_configENS1_27scan_by_key_config_selectorIssEEZZNS1_16scan_by_key_implILNS1_25lookback_scan_determinismE0ELb1ES3_N6thrust23THRUST_200600_302600_NS6detail15normal_iteratorINS9_10device_ptrIsEEEESE_SE_sNS9_10multipliesIsEENS9_8equal_toIsEEsEE10hipError_tPvRmT2_T3_T4_T5_mT6_T7_P12ihipStream_tbENKUlT_T0_E_clISt17integral_constantIbLb1EESY_IbLb0EEEEDaSU_SV_EUlSU_E_NS1_11comp_targetILNS1_3genE5ELNS1_11target_archE942ELNS1_3gpuE9ELNS1_3repE0EEENS1_30default_config_static_selectorELNS0_4arch9wavefront6targetE0EEEvT1_.uses_flat_scratch, 0
	.set _ZN7rocprim17ROCPRIM_400000_NS6detail17trampoline_kernelINS0_14default_configENS1_27scan_by_key_config_selectorIssEEZZNS1_16scan_by_key_implILNS1_25lookback_scan_determinismE0ELb1ES3_N6thrust23THRUST_200600_302600_NS6detail15normal_iteratorINS9_10device_ptrIsEEEESE_SE_sNS9_10multipliesIsEENS9_8equal_toIsEEsEE10hipError_tPvRmT2_T3_T4_T5_mT6_T7_P12ihipStream_tbENKUlT_T0_E_clISt17integral_constantIbLb1EESY_IbLb0EEEEDaSU_SV_EUlSU_E_NS1_11comp_targetILNS1_3genE5ELNS1_11target_archE942ELNS1_3gpuE9ELNS1_3repE0EEENS1_30default_config_static_selectorELNS0_4arch9wavefront6targetE0EEEvT1_.has_dyn_sized_stack, 0
	.set _ZN7rocprim17ROCPRIM_400000_NS6detail17trampoline_kernelINS0_14default_configENS1_27scan_by_key_config_selectorIssEEZZNS1_16scan_by_key_implILNS1_25lookback_scan_determinismE0ELb1ES3_N6thrust23THRUST_200600_302600_NS6detail15normal_iteratorINS9_10device_ptrIsEEEESE_SE_sNS9_10multipliesIsEENS9_8equal_toIsEEsEE10hipError_tPvRmT2_T3_T4_T5_mT6_T7_P12ihipStream_tbENKUlT_T0_E_clISt17integral_constantIbLb1EESY_IbLb0EEEEDaSU_SV_EUlSU_E_NS1_11comp_targetILNS1_3genE5ELNS1_11target_archE942ELNS1_3gpuE9ELNS1_3repE0EEENS1_30default_config_static_selectorELNS0_4arch9wavefront6targetE0EEEvT1_.has_recursion, 0
	.set _ZN7rocprim17ROCPRIM_400000_NS6detail17trampoline_kernelINS0_14default_configENS1_27scan_by_key_config_selectorIssEEZZNS1_16scan_by_key_implILNS1_25lookback_scan_determinismE0ELb1ES3_N6thrust23THRUST_200600_302600_NS6detail15normal_iteratorINS9_10device_ptrIsEEEESE_SE_sNS9_10multipliesIsEENS9_8equal_toIsEEsEE10hipError_tPvRmT2_T3_T4_T5_mT6_T7_P12ihipStream_tbENKUlT_T0_E_clISt17integral_constantIbLb1EESY_IbLb0EEEEDaSU_SV_EUlSU_E_NS1_11comp_targetILNS1_3genE5ELNS1_11target_archE942ELNS1_3gpuE9ELNS1_3repE0EEENS1_30default_config_static_selectorELNS0_4arch9wavefront6targetE0EEEvT1_.has_indirect_call, 0
	.section	.AMDGPU.csdata,"",@progbits
; Kernel info:
; codeLenInByte = 0
; TotalNumSgprs: 0
; NumVgprs: 0
; ScratchSize: 0
; MemoryBound: 0
; FloatMode: 240
; IeeeMode: 1
; LDSByteSize: 0 bytes/workgroup (compile time only)
; SGPRBlocks: 0
; VGPRBlocks: 0
; NumSGPRsForWavesPerEU: 1
; NumVGPRsForWavesPerEU: 1
; Occupancy: 16
; WaveLimiterHint : 0
; COMPUTE_PGM_RSRC2:SCRATCH_EN: 0
; COMPUTE_PGM_RSRC2:USER_SGPR: 6
; COMPUTE_PGM_RSRC2:TRAP_HANDLER: 0
; COMPUTE_PGM_RSRC2:TGID_X_EN: 1
; COMPUTE_PGM_RSRC2:TGID_Y_EN: 0
; COMPUTE_PGM_RSRC2:TGID_Z_EN: 0
; COMPUTE_PGM_RSRC2:TIDIG_COMP_CNT: 0
	.section	.text._ZN7rocprim17ROCPRIM_400000_NS6detail17trampoline_kernelINS0_14default_configENS1_27scan_by_key_config_selectorIssEEZZNS1_16scan_by_key_implILNS1_25lookback_scan_determinismE0ELb1ES3_N6thrust23THRUST_200600_302600_NS6detail15normal_iteratorINS9_10device_ptrIsEEEESE_SE_sNS9_10multipliesIsEENS9_8equal_toIsEEsEE10hipError_tPvRmT2_T3_T4_T5_mT6_T7_P12ihipStream_tbENKUlT_T0_E_clISt17integral_constantIbLb1EESY_IbLb0EEEEDaSU_SV_EUlSU_E_NS1_11comp_targetILNS1_3genE4ELNS1_11target_archE910ELNS1_3gpuE8ELNS1_3repE0EEENS1_30default_config_static_selectorELNS0_4arch9wavefront6targetE0EEEvT1_,"axG",@progbits,_ZN7rocprim17ROCPRIM_400000_NS6detail17trampoline_kernelINS0_14default_configENS1_27scan_by_key_config_selectorIssEEZZNS1_16scan_by_key_implILNS1_25lookback_scan_determinismE0ELb1ES3_N6thrust23THRUST_200600_302600_NS6detail15normal_iteratorINS9_10device_ptrIsEEEESE_SE_sNS9_10multipliesIsEENS9_8equal_toIsEEsEE10hipError_tPvRmT2_T3_T4_T5_mT6_T7_P12ihipStream_tbENKUlT_T0_E_clISt17integral_constantIbLb1EESY_IbLb0EEEEDaSU_SV_EUlSU_E_NS1_11comp_targetILNS1_3genE4ELNS1_11target_archE910ELNS1_3gpuE8ELNS1_3repE0EEENS1_30default_config_static_selectorELNS0_4arch9wavefront6targetE0EEEvT1_,comdat
	.protected	_ZN7rocprim17ROCPRIM_400000_NS6detail17trampoline_kernelINS0_14default_configENS1_27scan_by_key_config_selectorIssEEZZNS1_16scan_by_key_implILNS1_25lookback_scan_determinismE0ELb1ES3_N6thrust23THRUST_200600_302600_NS6detail15normal_iteratorINS9_10device_ptrIsEEEESE_SE_sNS9_10multipliesIsEENS9_8equal_toIsEEsEE10hipError_tPvRmT2_T3_T4_T5_mT6_T7_P12ihipStream_tbENKUlT_T0_E_clISt17integral_constantIbLb1EESY_IbLb0EEEEDaSU_SV_EUlSU_E_NS1_11comp_targetILNS1_3genE4ELNS1_11target_archE910ELNS1_3gpuE8ELNS1_3repE0EEENS1_30default_config_static_selectorELNS0_4arch9wavefront6targetE0EEEvT1_ ; -- Begin function _ZN7rocprim17ROCPRIM_400000_NS6detail17trampoline_kernelINS0_14default_configENS1_27scan_by_key_config_selectorIssEEZZNS1_16scan_by_key_implILNS1_25lookback_scan_determinismE0ELb1ES3_N6thrust23THRUST_200600_302600_NS6detail15normal_iteratorINS9_10device_ptrIsEEEESE_SE_sNS9_10multipliesIsEENS9_8equal_toIsEEsEE10hipError_tPvRmT2_T3_T4_T5_mT6_T7_P12ihipStream_tbENKUlT_T0_E_clISt17integral_constantIbLb1EESY_IbLb0EEEEDaSU_SV_EUlSU_E_NS1_11comp_targetILNS1_3genE4ELNS1_11target_archE910ELNS1_3gpuE8ELNS1_3repE0EEENS1_30default_config_static_selectorELNS0_4arch9wavefront6targetE0EEEvT1_
	.globl	_ZN7rocprim17ROCPRIM_400000_NS6detail17trampoline_kernelINS0_14default_configENS1_27scan_by_key_config_selectorIssEEZZNS1_16scan_by_key_implILNS1_25lookback_scan_determinismE0ELb1ES3_N6thrust23THRUST_200600_302600_NS6detail15normal_iteratorINS9_10device_ptrIsEEEESE_SE_sNS9_10multipliesIsEENS9_8equal_toIsEEsEE10hipError_tPvRmT2_T3_T4_T5_mT6_T7_P12ihipStream_tbENKUlT_T0_E_clISt17integral_constantIbLb1EESY_IbLb0EEEEDaSU_SV_EUlSU_E_NS1_11comp_targetILNS1_3genE4ELNS1_11target_archE910ELNS1_3gpuE8ELNS1_3repE0EEENS1_30default_config_static_selectorELNS0_4arch9wavefront6targetE0EEEvT1_
	.p2align	8
	.type	_ZN7rocprim17ROCPRIM_400000_NS6detail17trampoline_kernelINS0_14default_configENS1_27scan_by_key_config_selectorIssEEZZNS1_16scan_by_key_implILNS1_25lookback_scan_determinismE0ELb1ES3_N6thrust23THRUST_200600_302600_NS6detail15normal_iteratorINS9_10device_ptrIsEEEESE_SE_sNS9_10multipliesIsEENS9_8equal_toIsEEsEE10hipError_tPvRmT2_T3_T4_T5_mT6_T7_P12ihipStream_tbENKUlT_T0_E_clISt17integral_constantIbLb1EESY_IbLb0EEEEDaSU_SV_EUlSU_E_NS1_11comp_targetILNS1_3genE4ELNS1_11target_archE910ELNS1_3gpuE8ELNS1_3repE0EEENS1_30default_config_static_selectorELNS0_4arch9wavefront6targetE0EEEvT1_,@function
_ZN7rocprim17ROCPRIM_400000_NS6detail17trampoline_kernelINS0_14default_configENS1_27scan_by_key_config_selectorIssEEZZNS1_16scan_by_key_implILNS1_25lookback_scan_determinismE0ELb1ES3_N6thrust23THRUST_200600_302600_NS6detail15normal_iteratorINS9_10device_ptrIsEEEESE_SE_sNS9_10multipliesIsEENS9_8equal_toIsEEsEE10hipError_tPvRmT2_T3_T4_T5_mT6_T7_P12ihipStream_tbENKUlT_T0_E_clISt17integral_constantIbLb1EESY_IbLb0EEEEDaSU_SV_EUlSU_E_NS1_11comp_targetILNS1_3genE4ELNS1_11target_archE910ELNS1_3gpuE8ELNS1_3repE0EEENS1_30default_config_static_selectorELNS0_4arch9wavefront6targetE0EEEvT1_: ; @_ZN7rocprim17ROCPRIM_400000_NS6detail17trampoline_kernelINS0_14default_configENS1_27scan_by_key_config_selectorIssEEZZNS1_16scan_by_key_implILNS1_25lookback_scan_determinismE0ELb1ES3_N6thrust23THRUST_200600_302600_NS6detail15normal_iteratorINS9_10device_ptrIsEEEESE_SE_sNS9_10multipliesIsEENS9_8equal_toIsEEsEE10hipError_tPvRmT2_T3_T4_T5_mT6_T7_P12ihipStream_tbENKUlT_T0_E_clISt17integral_constantIbLb1EESY_IbLb0EEEEDaSU_SV_EUlSU_E_NS1_11comp_targetILNS1_3genE4ELNS1_11target_archE910ELNS1_3gpuE8ELNS1_3repE0EEENS1_30default_config_static_selectorELNS0_4arch9wavefront6targetE0EEEvT1_
; %bb.0:
	.section	.rodata,"a",@progbits
	.p2align	6, 0x0
	.amdhsa_kernel _ZN7rocprim17ROCPRIM_400000_NS6detail17trampoline_kernelINS0_14default_configENS1_27scan_by_key_config_selectorIssEEZZNS1_16scan_by_key_implILNS1_25lookback_scan_determinismE0ELb1ES3_N6thrust23THRUST_200600_302600_NS6detail15normal_iteratorINS9_10device_ptrIsEEEESE_SE_sNS9_10multipliesIsEENS9_8equal_toIsEEsEE10hipError_tPvRmT2_T3_T4_T5_mT6_T7_P12ihipStream_tbENKUlT_T0_E_clISt17integral_constantIbLb1EESY_IbLb0EEEEDaSU_SV_EUlSU_E_NS1_11comp_targetILNS1_3genE4ELNS1_11target_archE910ELNS1_3gpuE8ELNS1_3repE0EEENS1_30default_config_static_selectorELNS0_4arch9wavefront6targetE0EEEvT1_
		.amdhsa_group_segment_fixed_size 0
		.amdhsa_private_segment_fixed_size 0
		.amdhsa_kernarg_size 112
		.amdhsa_user_sgpr_count 6
		.amdhsa_user_sgpr_private_segment_buffer 1
		.amdhsa_user_sgpr_dispatch_ptr 0
		.amdhsa_user_sgpr_queue_ptr 0
		.amdhsa_user_sgpr_kernarg_segment_ptr 1
		.amdhsa_user_sgpr_dispatch_id 0
		.amdhsa_user_sgpr_flat_scratch_init 0
		.amdhsa_user_sgpr_private_segment_size 0
		.amdhsa_wavefront_size32 1
		.amdhsa_uses_dynamic_stack 0
		.amdhsa_system_sgpr_private_segment_wavefront_offset 0
		.amdhsa_system_sgpr_workgroup_id_x 1
		.amdhsa_system_sgpr_workgroup_id_y 0
		.amdhsa_system_sgpr_workgroup_id_z 0
		.amdhsa_system_sgpr_workgroup_info 0
		.amdhsa_system_vgpr_workitem_id 0
		.amdhsa_next_free_vgpr 1
		.amdhsa_next_free_sgpr 1
		.amdhsa_reserve_vcc 0
		.amdhsa_reserve_flat_scratch 0
		.amdhsa_float_round_mode_32 0
		.amdhsa_float_round_mode_16_64 0
		.amdhsa_float_denorm_mode_32 3
		.amdhsa_float_denorm_mode_16_64 3
		.amdhsa_dx10_clamp 1
		.amdhsa_ieee_mode 1
		.amdhsa_fp16_overflow 0
		.amdhsa_workgroup_processor_mode 1
		.amdhsa_memory_ordered 1
		.amdhsa_forward_progress 1
		.amdhsa_shared_vgpr_count 0
		.amdhsa_exception_fp_ieee_invalid_op 0
		.amdhsa_exception_fp_denorm_src 0
		.amdhsa_exception_fp_ieee_div_zero 0
		.amdhsa_exception_fp_ieee_overflow 0
		.amdhsa_exception_fp_ieee_underflow 0
		.amdhsa_exception_fp_ieee_inexact 0
		.amdhsa_exception_int_div_zero 0
	.end_amdhsa_kernel
	.section	.text._ZN7rocprim17ROCPRIM_400000_NS6detail17trampoline_kernelINS0_14default_configENS1_27scan_by_key_config_selectorIssEEZZNS1_16scan_by_key_implILNS1_25lookback_scan_determinismE0ELb1ES3_N6thrust23THRUST_200600_302600_NS6detail15normal_iteratorINS9_10device_ptrIsEEEESE_SE_sNS9_10multipliesIsEENS9_8equal_toIsEEsEE10hipError_tPvRmT2_T3_T4_T5_mT6_T7_P12ihipStream_tbENKUlT_T0_E_clISt17integral_constantIbLb1EESY_IbLb0EEEEDaSU_SV_EUlSU_E_NS1_11comp_targetILNS1_3genE4ELNS1_11target_archE910ELNS1_3gpuE8ELNS1_3repE0EEENS1_30default_config_static_selectorELNS0_4arch9wavefront6targetE0EEEvT1_,"axG",@progbits,_ZN7rocprim17ROCPRIM_400000_NS6detail17trampoline_kernelINS0_14default_configENS1_27scan_by_key_config_selectorIssEEZZNS1_16scan_by_key_implILNS1_25lookback_scan_determinismE0ELb1ES3_N6thrust23THRUST_200600_302600_NS6detail15normal_iteratorINS9_10device_ptrIsEEEESE_SE_sNS9_10multipliesIsEENS9_8equal_toIsEEsEE10hipError_tPvRmT2_T3_T4_T5_mT6_T7_P12ihipStream_tbENKUlT_T0_E_clISt17integral_constantIbLb1EESY_IbLb0EEEEDaSU_SV_EUlSU_E_NS1_11comp_targetILNS1_3genE4ELNS1_11target_archE910ELNS1_3gpuE8ELNS1_3repE0EEENS1_30default_config_static_selectorELNS0_4arch9wavefront6targetE0EEEvT1_,comdat
.Lfunc_end626:
	.size	_ZN7rocprim17ROCPRIM_400000_NS6detail17trampoline_kernelINS0_14default_configENS1_27scan_by_key_config_selectorIssEEZZNS1_16scan_by_key_implILNS1_25lookback_scan_determinismE0ELb1ES3_N6thrust23THRUST_200600_302600_NS6detail15normal_iteratorINS9_10device_ptrIsEEEESE_SE_sNS9_10multipliesIsEENS9_8equal_toIsEEsEE10hipError_tPvRmT2_T3_T4_T5_mT6_T7_P12ihipStream_tbENKUlT_T0_E_clISt17integral_constantIbLb1EESY_IbLb0EEEEDaSU_SV_EUlSU_E_NS1_11comp_targetILNS1_3genE4ELNS1_11target_archE910ELNS1_3gpuE8ELNS1_3repE0EEENS1_30default_config_static_selectorELNS0_4arch9wavefront6targetE0EEEvT1_, .Lfunc_end626-_ZN7rocprim17ROCPRIM_400000_NS6detail17trampoline_kernelINS0_14default_configENS1_27scan_by_key_config_selectorIssEEZZNS1_16scan_by_key_implILNS1_25lookback_scan_determinismE0ELb1ES3_N6thrust23THRUST_200600_302600_NS6detail15normal_iteratorINS9_10device_ptrIsEEEESE_SE_sNS9_10multipliesIsEENS9_8equal_toIsEEsEE10hipError_tPvRmT2_T3_T4_T5_mT6_T7_P12ihipStream_tbENKUlT_T0_E_clISt17integral_constantIbLb1EESY_IbLb0EEEEDaSU_SV_EUlSU_E_NS1_11comp_targetILNS1_3genE4ELNS1_11target_archE910ELNS1_3gpuE8ELNS1_3repE0EEENS1_30default_config_static_selectorELNS0_4arch9wavefront6targetE0EEEvT1_
                                        ; -- End function
	.set _ZN7rocprim17ROCPRIM_400000_NS6detail17trampoline_kernelINS0_14default_configENS1_27scan_by_key_config_selectorIssEEZZNS1_16scan_by_key_implILNS1_25lookback_scan_determinismE0ELb1ES3_N6thrust23THRUST_200600_302600_NS6detail15normal_iteratorINS9_10device_ptrIsEEEESE_SE_sNS9_10multipliesIsEENS9_8equal_toIsEEsEE10hipError_tPvRmT2_T3_T4_T5_mT6_T7_P12ihipStream_tbENKUlT_T0_E_clISt17integral_constantIbLb1EESY_IbLb0EEEEDaSU_SV_EUlSU_E_NS1_11comp_targetILNS1_3genE4ELNS1_11target_archE910ELNS1_3gpuE8ELNS1_3repE0EEENS1_30default_config_static_selectorELNS0_4arch9wavefront6targetE0EEEvT1_.num_vgpr, 0
	.set _ZN7rocprim17ROCPRIM_400000_NS6detail17trampoline_kernelINS0_14default_configENS1_27scan_by_key_config_selectorIssEEZZNS1_16scan_by_key_implILNS1_25lookback_scan_determinismE0ELb1ES3_N6thrust23THRUST_200600_302600_NS6detail15normal_iteratorINS9_10device_ptrIsEEEESE_SE_sNS9_10multipliesIsEENS9_8equal_toIsEEsEE10hipError_tPvRmT2_T3_T4_T5_mT6_T7_P12ihipStream_tbENKUlT_T0_E_clISt17integral_constantIbLb1EESY_IbLb0EEEEDaSU_SV_EUlSU_E_NS1_11comp_targetILNS1_3genE4ELNS1_11target_archE910ELNS1_3gpuE8ELNS1_3repE0EEENS1_30default_config_static_selectorELNS0_4arch9wavefront6targetE0EEEvT1_.num_agpr, 0
	.set _ZN7rocprim17ROCPRIM_400000_NS6detail17trampoline_kernelINS0_14default_configENS1_27scan_by_key_config_selectorIssEEZZNS1_16scan_by_key_implILNS1_25lookback_scan_determinismE0ELb1ES3_N6thrust23THRUST_200600_302600_NS6detail15normal_iteratorINS9_10device_ptrIsEEEESE_SE_sNS9_10multipliesIsEENS9_8equal_toIsEEsEE10hipError_tPvRmT2_T3_T4_T5_mT6_T7_P12ihipStream_tbENKUlT_T0_E_clISt17integral_constantIbLb1EESY_IbLb0EEEEDaSU_SV_EUlSU_E_NS1_11comp_targetILNS1_3genE4ELNS1_11target_archE910ELNS1_3gpuE8ELNS1_3repE0EEENS1_30default_config_static_selectorELNS0_4arch9wavefront6targetE0EEEvT1_.numbered_sgpr, 0
	.set _ZN7rocprim17ROCPRIM_400000_NS6detail17trampoline_kernelINS0_14default_configENS1_27scan_by_key_config_selectorIssEEZZNS1_16scan_by_key_implILNS1_25lookback_scan_determinismE0ELb1ES3_N6thrust23THRUST_200600_302600_NS6detail15normal_iteratorINS9_10device_ptrIsEEEESE_SE_sNS9_10multipliesIsEENS9_8equal_toIsEEsEE10hipError_tPvRmT2_T3_T4_T5_mT6_T7_P12ihipStream_tbENKUlT_T0_E_clISt17integral_constantIbLb1EESY_IbLb0EEEEDaSU_SV_EUlSU_E_NS1_11comp_targetILNS1_3genE4ELNS1_11target_archE910ELNS1_3gpuE8ELNS1_3repE0EEENS1_30default_config_static_selectorELNS0_4arch9wavefront6targetE0EEEvT1_.num_named_barrier, 0
	.set _ZN7rocprim17ROCPRIM_400000_NS6detail17trampoline_kernelINS0_14default_configENS1_27scan_by_key_config_selectorIssEEZZNS1_16scan_by_key_implILNS1_25lookback_scan_determinismE0ELb1ES3_N6thrust23THRUST_200600_302600_NS6detail15normal_iteratorINS9_10device_ptrIsEEEESE_SE_sNS9_10multipliesIsEENS9_8equal_toIsEEsEE10hipError_tPvRmT2_T3_T4_T5_mT6_T7_P12ihipStream_tbENKUlT_T0_E_clISt17integral_constantIbLb1EESY_IbLb0EEEEDaSU_SV_EUlSU_E_NS1_11comp_targetILNS1_3genE4ELNS1_11target_archE910ELNS1_3gpuE8ELNS1_3repE0EEENS1_30default_config_static_selectorELNS0_4arch9wavefront6targetE0EEEvT1_.private_seg_size, 0
	.set _ZN7rocprim17ROCPRIM_400000_NS6detail17trampoline_kernelINS0_14default_configENS1_27scan_by_key_config_selectorIssEEZZNS1_16scan_by_key_implILNS1_25lookback_scan_determinismE0ELb1ES3_N6thrust23THRUST_200600_302600_NS6detail15normal_iteratorINS9_10device_ptrIsEEEESE_SE_sNS9_10multipliesIsEENS9_8equal_toIsEEsEE10hipError_tPvRmT2_T3_T4_T5_mT6_T7_P12ihipStream_tbENKUlT_T0_E_clISt17integral_constantIbLb1EESY_IbLb0EEEEDaSU_SV_EUlSU_E_NS1_11comp_targetILNS1_3genE4ELNS1_11target_archE910ELNS1_3gpuE8ELNS1_3repE0EEENS1_30default_config_static_selectorELNS0_4arch9wavefront6targetE0EEEvT1_.uses_vcc, 0
	.set _ZN7rocprim17ROCPRIM_400000_NS6detail17trampoline_kernelINS0_14default_configENS1_27scan_by_key_config_selectorIssEEZZNS1_16scan_by_key_implILNS1_25lookback_scan_determinismE0ELb1ES3_N6thrust23THRUST_200600_302600_NS6detail15normal_iteratorINS9_10device_ptrIsEEEESE_SE_sNS9_10multipliesIsEENS9_8equal_toIsEEsEE10hipError_tPvRmT2_T3_T4_T5_mT6_T7_P12ihipStream_tbENKUlT_T0_E_clISt17integral_constantIbLb1EESY_IbLb0EEEEDaSU_SV_EUlSU_E_NS1_11comp_targetILNS1_3genE4ELNS1_11target_archE910ELNS1_3gpuE8ELNS1_3repE0EEENS1_30default_config_static_selectorELNS0_4arch9wavefront6targetE0EEEvT1_.uses_flat_scratch, 0
	.set _ZN7rocprim17ROCPRIM_400000_NS6detail17trampoline_kernelINS0_14default_configENS1_27scan_by_key_config_selectorIssEEZZNS1_16scan_by_key_implILNS1_25lookback_scan_determinismE0ELb1ES3_N6thrust23THRUST_200600_302600_NS6detail15normal_iteratorINS9_10device_ptrIsEEEESE_SE_sNS9_10multipliesIsEENS9_8equal_toIsEEsEE10hipError_tPvRmT2_T3_T4_T5_mT6_T7_P12ihipStream_tbENKUlT_T0_E_clISt17integral_constantIbLb1EESY_IbLb0EEEEDaSU_SV_EUlSU_E_NS1_11comp_targetILNS1_3genE4ELNS1_11target_archE910ELNS1_3gpuE8ELNS1_3repE0EEENS1_30default_config_static_selectorELNS0_4arch9wavefront6targetE0EEEvT1_.has_dyn_sized_stack, 0
	.set _ZN7rocprim17ROCPRIM_400000_NS6detail17trampoline_kernelINS0_14default_configENS1_27scan_by_key_config_selectorIssEEZZNS1_16scan_by_key_implILNS1_25lookback_scan_determinismE0ELb1ES3_N6thrust23THRUST_200600_302600_NS6detail15normal_iteratorINS9_10device_ptrIsEEEESE_SE_sNS9_10multipliesIsEENS9_8equal_toIsEEsEE10hipError_tPvRmT2_T3_T4_T5_mT6_T7_P12ihipStream_tbENKUlT_T0_E_clISt17integral_constantIbLb1EESY_IbLb0EEEEDaSU_SV_EUlSU_E_NS1_11comp_targetILNS1_3genE4ELNS1_11target_archE910ELNS1_3gpuE8ELNS1_3repE0EEENS1_30default_config_static_selectorELNS0_4arch9wavefront6targetE0EEEvT1_.has_recursion, 0
	.set _ZN7rocprim17ROCPRIM_400000_NS6detail17trampoline_kernelINS0_14default_configENS1_27scan_by_key_config_selectorIssEEZZNS1_16scan_by_key_implILNS1_25lookback_scan_determinismE0ELb1ES3_N6thrust23THRUST_200600_302600_NS6detail15normal_iteratorINS9_10device_ptrIsEEEESE_SE_sNS9_10multipliesIsEENS9_8equal_toIsEEsEE10hipError_tPvRmT2_T3_T4_T5_mT6_T7_P12ihipStream_tbENKUlT_T0_E_clISt17integral_constantIbLb1EESY_IbLb0EEEEDaSU_SV_EUlSU_E_NS1_11comp_targetILNS1_3genE4ELNS1_11target_archE910ELNS1_3gpuE8ELNS1_3repE0EEENS1_30default_config_static_selectorELNS0_4arch9wavefront6targetE0EEEvT1_.has_indirect_call, 0
	.section	.AMDGPU.csdata,"",@progbits
; Kernel info:
; codeLenInByte = 0
; TotalNumSgprs: 0
; NumVgprs: 0
; ScratchSize: 0
; MemoryBound: 0
; FloatMode: 240
; IeeeMode: 1
; LDSByteSize: 0 bytes/workgroup (compile time only)
; SGPRBlocks: 0
; VGPRBlocks: 0
; NumSGPRsForWavesPerEU: 1
; NumVGPRsForWavesPerEU: 1
; Occupancy: 16
; WaveLimiterHint : 0
; COMPUTE_PGM_RSRC2:SCRATCH_EN: 0
; COMPUTE_PGM_RSRC2:USER_SGPR: 6
; COMPUTE_PGM_RSRC2:TRAP_HANDLER: 0
; COMPUTE_PGM_RSRC2:TGID_X_EN: 1
; COMPUTE_PGM_RSRC2:TGID_Y_EN: 0
; COMPUTE_PGM_RSRC2:TGID_Z_EN: 0
; COMPUTE_PGM_RSRC2:TIDIG_COMP_CNT: 0
	.section	.text._ZN7rocprim17ROCPRIM_400000_NS6detail17trampoline_kernelINS0_14default_configENS1_27scan_by_key_config_selectorIssEEZZNS1_16scan_by_key_implILNS1_25lookback_scan_determinismE0ELb1ES3_N6thrust23THRUST_200600_302600_NS6detail15normal_iteratorINS9_10device_ptrIsEEEESE_SE_sNS9_10multipliesIsEENS9_8equal_toIsEEsEE10hipError_tPvRmT2_T3_T4_T5_mT6_T7_P12ihipStream_tbENKUlT_T0_E_clISt17integral_constantIbLb1EESY_IbLb0EEEEDaSU_SV_EUlSU_E_NS1_11comp_targetILNS1_3genE3ELNS1_11target_archE908ELNS1_3gpuE7ELNS1_3repE0EEENS1_30default_config_static_selectorELNS0_4arch9wavefront6targetE0EEEvT1_,"axG",@progbits,_ZN7rocprim17ROCPRIM_400000_NS6detail17trampoline_kernelINS0_14default_configENS1_27scan_by_key_config_selectorIssEEZZNS1_16scan_by_key_implILNS1_25lookback_scan_determinismE0ELb1ES3_N6thrust23THRUST_200600_302600_NS6detail15normal_iteratorINS9_10device_ptrIsEEEESE_SE_sNS9_10multipliesIsEENS9_8equal_toIsEEsEE10hipError_tPvRmT2_T3_T4_T5_mT6_T7_P12ihipStream_tbENKUlT_T0_E_clISt17integral_constantIbLb1EESY_IbLb0EEEEDaSU_SV_EUlSU_E_NS1_11comp_targetILNS1_3genE3ELNS1_11target_archE908ELNS1_3gpuE7ELNS1_3repE0EEENS1_30default_config_static_selectorELNS0_4arch9wavefront6targetE0EEEvT1_,comdat
	.protected	_ZN7rocprim17ROCPRIM_400000_NS6detail17trampoline_kernelINS0_14default_configENS1_27scan_by_key_config_selectorIssEEZZNS1_16scan_by_key_implILNS1_25lookback_scan_determinismE0ELb1ES3_N6thrust23THRUST_200600_302600_NS6detail15normal_iteratorINS9_10device_ptrIsEEEESE_SE_sNS9_10multipliesIsEENS9_8equal_toIsEEsEE10hipError_tPvRmT2_T3_T4_T5_mT6_T7_P12ihipStream_tbENKUlT_T0_E_clISt17integral_constantIbLb1EESY_IbLb0EEEEDaSU_SV_EUlSU_E_NS1_11comp_targetILNS1_3genE3ELNS1_11target_archE908ELNS1_3gpuE7ELNS1_3repE0EEENS1_30default_config_static_selectorELNS0_4arch9wavefront6targetE0EEEvT1_ ; -- Begin function _ZN7rocprim17ROCPRIM_400000_NS6detail17trampoline_kernelINS0_14default_configENS1_27scan_by_key_config_selectorIssEEZZNS1_16scan_by_key_implILNS1_25lookback_scan_determinismE0ELb1ES3_N6thrust23THRUST_200600_302600_NS6detail15normal_iteratorINS9_10device_ptrIsEEEESE_SE_sNS9_10multipliesIsEENS9_8equal_toIsEEsEE10hipError_tPvRmT2_T3_T4_T5_mT6_T7_P12ihipStream_tbENKUlT_T0_E_clISt17integral_constantIbLb1EESY_IbLb0EEEEDaSU_SV_EUlSU_E_NS1_11comp_targetILNS1_3genE3ELNS1_11target_archE908ELNS1_3gpuE7ELNS1_3repE0EEENS1_30default_config_static_selectorELNS0_4arch9wavefront6targetE0EEEvT1_
	.globl	_ZN7rocprim17ROCPRIM_400000_NS6detail17trampoline_kernelINS0_14default_configENS1_27scan_by_key_config_selectorIssEEZZNS1_16scan_by_key_implILNS1_25lookback_scan_determinismE0ELb1ES3_N6thrust23THRUST_200600_302600_NS6detail15normal_iteratorINS9_10device_ptrIsEEEESE_SE_sNS9_10multipliesIsEENS9_8equal_toIsEEsEE10hipError_tPvRmT2_T3_T4_T5_mT6_T7_P12ihipStream_tbENKUlT_T0_E_clISt17integral_constantIbLb1EESY_IbLb0EEEEDaSU_SV_EUlSU_E_NS1_11comp_targetILNS1_3genE3ELNS1_11target_archE908ELNS1_3gpuE7ELNS1_3repE0EEENS1_30default_config_static_selectorELNS0_4arch9wavefront6targetE0EEEvT1_
	.p2align	8
	.type	_ZN7rocprim17ROCPRIM_400000_NS6detail17trampoline_kernelINS0_14default_configENS1_27scan_by_key_config_selectorIssEEZZNS1_16scan_by_key_implILNS1_25lookback_scan_determinismE0ELb1ES3_N6thrust23THRUST_200600_302600_NS6detail15normal_iteratorINS9_10device_ptrIsEEEESE_SE_sNS9_10multipliesIsEENS9_8equal_toIsEEsEE10hipError_tPvRmT2_T3_T4_T5_mT6_T7_P12ihipStream_tbENKUlT_T0_E_clISt17integral_constantIbLb1EESY_IbLb0EEEEDaSU_SV_EUlSU_E_NS1_11comp_targetILNS1_3genE3ELNS1_11target_archE908ELNS1_3gpuE7ELNS1_3repE0EEENS1_30default_config_static_selectorELNS0_4arch9wavefront6targetE0EEEvT1_,@function
_ZN7rocprim17ROCPRIM_400000_NS6detail17trampoline_kernelINS0_14default_configENS1_27scan_by_key_config_selectorIssEEZZNS1_16scan_by_key_implILNS1_25lookback_scan_determinismE0ELb1ES3_N6thrust23THRUST_200600_302600_NS6detail15normal_iteratorINS9_10device_ptrIsEEEESE_SE_sNS9_10multipliesIsEENS9_8equal_toIsEEsEE10hipError_tPvRmT2_T3_T4_T5_mT6_T7_P12ihipStream_tbENKUlT_T0_E_clISt17integral_constantIbLb1EESY_IbLb0EEEEDaSU_SV_EUlSU_E_NS1_11comp_targetILNS1_3genE3ELNS1_11target_archE908ELNS1_3gpuE7ELNS1_3repE0EEENS1_30default_config_static_selectorELNS0_4arch9wavefront6targetE0EEEvT1_: ; @_ZN7rocprim17ROCPRIM_400000_NS6detail17trampoline_kernelINS0_14default_configENS1_27scan_by_key_config_selectorIssEEZZNS1_16scan_by_key_implILNS1_25lookback_scan_determinismE0ELb1ES3_N6thrust23THRUST_200600_302600_NS6detail15normal_iteratorINS9_10device_ptrIsEEEESE_SE_sNS9_10multipliesIsEENS9_8equal_toIsEEsEE10hipError_tPvRmT2_T3_T4_T5_mT6_T7_P12ihipStream_tbENKUlT_T0_E_clISt17integral_constantIbLb1EESY_IbLb0EEEEDaSU_SV_EUlSU_E_NS1_11comp_targetILNS1_3genE3ELNS1_11target_archE908ELNS1_3gpuE7ELNS1_3repE0EEENS1_30default_config_static_selectorELNS0_4arch9wavefront6targetE0EEEvT1_
; %bb.0:
	.section	.rodata,"a",@progbits
	.p2align	6, 0x0
	.amdhsa_kernel _ZN7rocprim17ROCPRIM_400000_NS6detail17trampoline_kernelINS0_14default_configENS1_27scan_by_key_config_selectorIssEEZZNS1_16scan_by_key_implILNS1_25lookback_scan_determinismE0ELb1ES3_N6thrust23THRUST_200600_302600_NS6detail15normal_iteratorINS9_10device_ptrIsEEEESE_SE_sNS9_10multipliesIsEENS9_8equal_toIsEEsEE10hipError_tPvRmT2_T3_T4_T5_mT6_T7_P12ihipStream_tbENKUlT_T0_E_clISt17integral_constantIbLb1EESY_IbLb0EEEEDaSU_SV_EUlSU_E_NS1_11comp_targetILNS1_3genE3ELNS1_11target_archE908ELNS1_3gpuE7ELNS1_3repE0EEENS1_30default_config_static_selectorELNS0_4arch9wavefront6targetE0EEEvT1_
		.amdhsa_group_segment_fixed_size 0
		.amdhsa_private_segment_fixed_size 0
		.amdhsa_kernarg_size 112
		.amdhsa_user_sgpr_count 6
		.amdhsa_user_sgpr_private_segment_buffer 1
		.amdhsa_user_sgpr_dispatch_ptr 0
		.amdhsa_user_sgpr_queue_ptr 0
		.amdhsa_user_sgpr_kernarg_segment_ptr 1
		.amdhsa_user_sgpr_dispatch_id 0
		.amdhsa_user_sgpr_flat_scratch_init 0
		.amdhsa_user_sgpr_private_segment_size 0
		.amdhsa_wavefront_size32 1
		.amdhsa_uses_dynamic_stack 0
		.amdhsa_system_sgpr_private_segment_wavefront_offset 0
		.amdhsa_system_sgpr_workgroup_id_x 1
		.amdhsa_system_sgpr_workgroup_id_y 0
		.amdhsa_system_sgpr_workgroup_id_z 0
		.amdhsa_system_sgpr_workgroup_info 0
		.amdhsa_system_vgpr_workitem_id 0
		.amdhsa_next_free_vgpr 1
		.amdhsa_next_free_sgpr 1
		.amdhsa_reserve_vcc 0
		.amdhsa_reserve_flat_scratch 0
		.amdhsa_float_round_mode_32 0
		.amdhsa_float_round_mode_16_64 0
		.amdhsa_float_denorm_mode_32 3
		.amdhsa_float_denorm_mode_16_64 3
		.amdhsa_dx10_clamp 1
		.amdhsa_ieee_mode 1
		.amdhsa_fp16_overflow 0
		.amdhsa_workgroup_processor_mode 1
		.amdhsa_memory_ordered 1
		.amdhsa_forward_progress 1
		.amdhsa_shared_vgpr_count 0
		.amdhsa_exception_fp_ieee_invalid_op 0
		.amdhsa_exception_fp_denorm_src 0
		.amdhsa_exception_fp_ieee_div_zero 0
		.amdhsa_exception_fp_ieee_overflow 0
		.amdhsa_exception_fp_ieee_underflow 0
		.amdhsa_exception_fp_ieee_inexact 0
		.amdhsa_exception_int_div_zero 0
	.end_amdhsa_kernel
	.section	.text._ZN7rocprim17ROCPRIM_400000_NS6detail17trampoline_kernelINS0_14default_configENS1_27scan_by_key_config_selectorIssEEZZNS1_16scan_by_key_implILNS1_25lookback_scan_determinismE0ELb1ES3_N6thrust23THRUST_200600_302600_NS6detail15normal_iteratorINS9_10device_ptrIsEEEESE_SE_sNS9_10multipliesIsEENS9_8equal_toIsEEsEE10hipError_tPvRmT2_T3_T4_T5_mT6_T7_P12ihipStream_tbENKUlT_T0_E_clISt17integral_constantIbLb1EESY_IbLb0EEEEDaSU_SV_EUlSU_E_NS1_11comp_targetILNS1_3genE3ELNS1_11target_archE908ELNS1_3gpuE7ELNS1_3repE0EEENS1_30default_config_static_selectorELNS0_4arch9wavefront6targetE0EEEvT1_,"axG",@progbits,_ZN7rocprim17ROCPRIM_400000_NS6detail17trampoline_kernelINS0_14default_configENS1_27scan_by_key_config_selectorIssEEZZNS1_16scan_by_key_implILNS1_25lookback_scan_determinismE0ELb1ES3_N6thrust23THRUST_200600_302600_NS6detail15normal_iteratorINS9_10device_ptrIsEEEESE_SE_sNS9_10multipliesIsEENS9_8equal_toIsEEsEE10hipError_tPvRmT2_T3_T4_T5_mT6_T7_P12ihipStream_tbENKUlT_T0_E_clISt17integral_constantIbLb1EESY_IbLb0EEEEDaSU_SV_EUlSU_E_NS1_11comp_targetILNS1_3genE3ELNS1_11target_archE908ELNS1_3gpuE7ELNS1_3repE0EEENS1_30default_config_static_selectorELNS0_4arch9wavefront6targetE0EEEvT1_,comdat
.Lfunc_end627:
	.size	_ZN7rocprim17ROCPRIM_400000_NS6detail17trampoline_kernelINS0_14default_configENS1_27scan_by_key_config_selectorIssEEZZNS1_16scan_by_key_implILNS1_25lookback_scan_determinismE0ELb1ES3_N6thrust23THRUST_200600_302600_NS6detail15normal_iteratorINS9_10device_ptrIsEEEESE_SE_sNS9_10multipliesIsEENS9_8equal_toIsEEsEE10hipError_tPvRmT2_T3_T4_T5_mT6_T7_P12ihipStream_tbENKUlT_T0_E_clISt17integral_constantIbLb1EESY_IbLb0EEEEDaSU_SV_EUlSU_E_NS1_11comp_targetILNS1_3genE3ELNS1_11target_archE908ELNS1_3gpuE7ELNS1_3repE0EEENS1_30default_config_static_selectorELNS0_4arch9wavefront6targetE0EEEvT1_, .Lfunc_end627-_ZN7rocprim17ROCPRIM_400000_NS6detail17trampoline_kernelINS0_14default_configENS1_27scan_by_key_config_selectorIssEEZZNS1_16scan_by_key_implILNS1_25lookback_scan_determinismE0ELb1ES3_N6thrust23THRUST_200600_302600_NS6detail15normal_iteratorINS9_10device_ptrIsEEEESE_SE_sNS9_10multipliesIsEENS9_8equal_toIsEEsEE10hipError_tPvRmT2_T3_T4_T5_mT6_T7_P12ihipStream_tbENKUlT_T0_E_clISt17integral_constantIbLb1EESY_IbLb0EEEEDaSU_SV_EUlSU_E_NS1_11comp_targetILNS1_3genE3ELNS1_11target_archE908ELNS1_3gpuE7ELNS1_3repE0EEENS1_30default_config_static_selectorELNS0_4arch9wavefront6targetE0EEEvT1_
                                        ; -- End function
	.set _ZN7rocprim17ROCPRIM_400000_NS6detail17trampoline_kernelINS0_14default_configENS1_27scan_by_key_config_selectorIssEEZZNS1_16scan_by_key_implILNS1_25lookback_scan_determinismE0ELb1ES3_N6thrust23THRUST_200600_302600_NS6detail15normal_iteratorINS9_10device_ptrIsEEEESE_SE_sNS9_10multipliesIsEENS9_8equal_toIsEEsEE10hipError_tPvRmT2_T3_T4_T5_mT6_T7_P12ihipStream_tbENKUlT_T0_E_clISt17integral_constantIbLb1EESY_IbLb0EEEEDaSU_SV_EUlSU_E_NS1_11comp_targetILNS1_3genE3ELNS1_11target_archE908ELNS1_3gpuE7ELNS1_3repE0EEENS1_30default_config_static_selectorELNS0_4arch9wavefront6targetE0EEEvT1_.num_vgpr, 0
	.set _ZN7rocprim17ROCPRIM_400000_NS6detail17trampoline_kernelINS0_14default_configENS1_27scan_by_key_config_selectorIssEEZZNS1_16scan_by_key_implILNS1_25lookback_scan_determinismE0ELb1ES3_N6thrust23THRUST_200600_302600_NS6detail15normal_iteratorINS9_10device_ptrIsEEEESE_SE_sNS9_10multipliesIsEENS9_8equal_toIsEEsEE10hipError_tPvRmT2_T3_T4_T5_mT6_T7_P12ihipStream_tbENKUlT_T0_E_clISt17integral_constantIbLb1EESY_IbLb0EEEEDaSU_SV_EUlSU_E_NS1_11comp_targetILNS1_3genE3ELNS1_11target_archE908ELNS1_3gpuE7ELNS1_3repE0EEENS1_30default_config_static_selectorELNS0_4arch9wavefront6targetE0EEEvT1_.num_agpr, 0
	.set _ZN7rocprim17ROCPRIM_400000_NS6detail17trampoline_kernelINS0_14default_configENS1_27scan_by_key_config_selectorIssEEZZNS1_16scan_by_key_implILNS1_25lookback_scan_determinismE0ELb1ES3_N6thrust23THRUST_200600_302600_NS6detail15normal_iteratorINS9_10device_ptrIsEEEESE_SE_sNS9_10multipliesIsEENS9_8equal_toIsEEsEE10hipError_tPvRmT2_T3_T4_T5_mT6_T7_P12ihipStream_tbENKUlT_T0_E_clISt17integral_constantIbLb1EESY_IbLb0EEEEDaSU_SV_EUlSU_E_NS1_11comp_targetILNS1_3genE3ELNS1_11target_archE908ELNS1_3gpuE7ELNS1_3repE0EEENS1_30default_config_static_selectorELNS0_4arch9wavefront6targetE0EEEvT1_.numbered_sgpr, 0
	.set _ZN7rocprim17ROCPRIM_400000_NS6detail17trampoline_kernelINS0_14default_configENS1_27scan_by_key_config_selectorIssEEZZNS1_16scan_by_key_implILNS1_25lookback_scan_determinismE0ELb1ES3_N6thrust23THRUST_200600_302600_NS6detail15normal_iteratorINS9_10device_ptrIsEEEESE_SE_sNS9_10multipliesIsEENS9_8equal_toIsEEsEE10hipError_tPvRmT2_T3_T4_T5_mT6_T7_P12ihipStream_tbENKUlT_T0_E_clISt17integral_constantIbLb1EESY_IbLb0EEEEDaSU_SV_EUlSU_E_NS1_11comp_targetILNS1_3genE3ELNS1_11target_archE908ELNS1_3gpuE7ELNS1_3repE0EEENS1_30default_config_static_selectorELNS0_4arch9wavefront6targetE0EEEvT1_.num_named_barrier, 0
	.set _ZN7rocprim17ROCPRIM_400000_NS6detail17trampoline_kernelINS0_14default_configENS1_27scan_by_key_config_selectorIssEEZZNS1_16scan_by_key_implILNS1_25lookback_scan_determinismE0ELb1ES3_N6thrust23THRUST_200600_302600_NS6detail15normal_iteratorINS9_10device_ptrIsEEEESE_SE_sNS9_10multipliesIsEENS9_8equal_toIsEEsEE10hipError_tPvRmT2_T3_T4_T5_mT6_T7_P12ihipStream_tbENKUlT_T0_E_clISt17integral_constantIbLb1EESY_IbLb0EEEEDaSU_SV_EUlSU_E_NS1_11comp_targetILNS1_3genE3ELNS1_11target_archE908ELNS1_3gpuE7ELNS1_3repE0EEENS1_30default_config_static_selectorELNS0_4arch9wavefront6targetE0EEEvT1_.private_seg_size, 0
	.set _ZN7rocprim17ROCPRIM_400000_NS6detail17trampoline_kernelINS0_14default_configENS1_27scan_by_key_config_selectorIssEEZZNS1_16scan_by_key_implILNS1_25lookback_scan_determinismE0ELb1ES3_N6thrust23THRUST_200600_302600_NS6detail15normal_iteratorINS9_10device_ptrIsEEEESE_SE_sNS9_10multipliesIsEENS9_8equal_toIsEEsEE10hipError_tPvRmT2_T3_T4_T5_mT6_T7_P12ihipStream_tbENKUlT_T0_E_clISt17integral_constantIbLb1EESY_IbLb0EEEEDaSU_SV_EUlSU_E_NS1_11comp_targetILNS1_3genE3ELNS1_11target_archE908ELNS1_3gpuE7ELNS1_3repE0EEENS1_30default_config_static_selectorELNS0_4arch9wavefront6targetE0EEEvT1_.uses_vcc, 0
	.set _ZN7rocprim17ROCPRIM_400000_NS6detail17trampoline_kernelINS0_14default_configENS1_27scan_by_key_config_selectorIssEEZZNS1_16scan_by_key_implILNS1_25lookback_scan_determinismE0ELb1ES3_N6thrust23THRUST_200600_302600_NS6detail15normal_iteratorINS9_10device_ptrIsEEEESE_SE_sNS9_10multipliesIsEENS9_8equal_toIsEEsEE10hipError_tPvRmT2_T3_T4_T5_mT6_T7_P12ihipStream_tbENKUlT_T0_E_clISt17integral_constantIbLb1EESY_IbLb0EEEEDaSU_SV_EUlSU_E_NS1_11comp_targetILNS1_3genE3ELNS1_11target_archE908ELNS1_3gpuE7ELNS1_3repE0EEENS1_30default_config_static_selectorELNS0_4arch9wavefront6targetE0EEEvT1_.uses_flat_scratch, 0
	.set _ZN7rocprim17ROCPRIM_400000_NS6detail17trampoline_kernelINS0_14default_configENS1_27scan_by_key_config_selectorIssEEZZNS1_16scan_by_key_implILNS1_25lookback_scan_determinismE0ELb1ES3_N6thrust23THRUST_200600_302600_NS6detail15normal_iteratorINS9_10device_ptrIsEEEESE_SE_sNS9_10multipliesIsEENS9_8equal_toIsEEsEE10hipError_tPvRmT2_T3_T4_T5_mT6_T7_P12ihipStream_tbENKUlT_T0_E_clISt17integral_constantIbLb1EESY_IbLb0EEEEDaSU_SV_EUlSU_E_NS1_11comp_targetILNS1_3genE3ELNS1_11target_archE908ELNS1_3gpuE7ELNS1_3repE0EEENS1_30default_config_static_selectorELNS0_4arch9wavefront6targetE0EEEvT1_.has_dyn_sized_stack, 0
	.set _ZN7rocprim17ROCPRIM_400000_NS6detail17trampoline_kernelINS0_14default_configENS1_27scan_by_key_config_selectorIssEEZZNS1_16scan_by_key_implILNS1_25lookback_scan_determinismE0ELb1ES3_N6thrust23THRUST_200600_302600_NS6detail15normal_iteratorINS9_10device_ptrIsEEEESE_SE_sNS9_10multipliesIsEENS9_8equal_toIsEEsEE10hipError_tPvRmT2_T3_T4_T5_mT6_T7_P12ihipStream_tbENKUlT_T0_E_clISt17integral_constantIbLb1EESY_IbLb0EEEEDaSU_SV_EUlSU_E_NS1_11comp_targetILNS1_3genE3ELNS1_11target_archE908ELNS1_3gpuE7ELNS1_3repE0EEENS1_30default_config_static_selectorELNS0_4arch9wavefront6targetE0EEEvT1_.has_recursion, 0
	.set _ZN7rocprim17ROCPRIM_400000_NS6detail17trampoline_kernelINS0_14default_configENS1_27scan_by_key_config_selectorIssEEZZNS1_16scan_by_key_implILNS1_25lookback_scan_determinismE0ELb1ES3_N6thrust23THRUST_200600_302600_NS6detail15normal_iteratorINS9_10device_ptrIsEEEESE_SE_sNS9_10multipliesIsEENS9_8equal_toIsEEsEE10hipError_tPvRmT2_T3_T4_T5_mT6_T7_P12ihipStream_tbENKUlT_T0_E_clISt17integral_constantIbLb1EESY_IbLb0EEEEDaSU_SV_EUlSU_E_NS1_11comp_targetILNS1_3genE3ELNS1_11target_archE908ELNS1_3gpuE7ELNS1_3repE0EEENS1_30default_config_static_selectorELNS0_4arch9wavefront6targetE0EEEvT1_.has_indirect_call, 0
	.section	.AMDGPU.csdata,"",@progbits
; Kernel info:
; codeLenInByte = 0
; TotalNumSgprs: 0
; NumVgprs: 0
; ScratchSize: 0
; MemoryBound: 0
; FloatMode: 240
; IeeeMode: 1
; LDSByteSize: 0 bytes/workgroup (compile time only)
; SGPRBlocks: 0
; VGPRBlocks: 0
; NumSGPRsForWavesPerEU: 1
; NumVGPRsForWavesPerEU: 1
; Occupancy: 16
; WaveLimiterHint : 0
; COMPUTE_PGM_RSRC2:SCRATCH_EN: 0
; COMPUTE_PGM_RSRC2:USER_SGPR: 6
; COMPUTE_PGM_RSRC2:TRAP_HANDLER: 0
; COMPUTE_PGM_RSRC2:TGID_X_EN: 1
; COMPUTE_PGM_RSRC2:TGID_Y_EN: 0
; COMPUTE_PGM_RSRC2:TGID_Z_EN: 0
; COMPUTE_PGM_RSRC2:TIDIG_COMP_CNT: 0
	.section	.text._ZN7rocprim17ROCPRIM_400000_NS6detail17trampoline_kernelINS0_14default_configENS1_27scan_by_key_config_selectorIssEEZZNS1_16scan_by_key_implILNS1_25lookback_scan_determinismE0ELb1ES3_N6thrust23THRUST_200600_302600_NS6detail15normal_iteratorINS9_10device_ptrIsEEEESE_SE_sNS9_10multipliesIsEENS9_8equal_toIsEEsEE10hipError_tPvRmT2_T3_T4_T5_mT6_T7_P12ihipStream_tbENKUlT_T0_E_clISt17integral_constantIbLb1EESY_IbLb0EEEEDaSU_SV_EUlSU_E_NS1_11comp_targetILNS1_3genE2ELNS1_11target_archE906ELNS1_3gpuE6ELNS1_3repE0EEENS1_30default_config_static_selectorELNS0_4arch9wavefront6targetE0EEEvT1_,"axG",@progbits,_ZN7rocprim17ROCPRIM_400000_NS6detail17trampoline_kernelINS0_14default_configENS1_27scan_by_key_config_selectorIssEEZZNS1_16scan_by_key_implILNS1_25lookback_scan_determinismE0ELb1ES3_N6thrust23THRUST_200600_302600_NS6detail15normal_iteratorINS9_10device_ptrIsEEEESE_SE_sNS9_10multipliesIsEENS9_8equal_toIsEEsEE10hipError_tPvRmT2_T3_T4_T5_mT6_T7_P12ihipStream_tbENKUlT_T0_E_clISt17integral_constantIbLb1EESY_IbLb0EEEEDaSU_SV_EUlSU_E_NS1_11comp_targetILNS1_3genE2ELNS1_11target_archE906ELNS1_3gpuE6ELNS1_3repE0EEENS1_30default_config_static_selectorELNS0_4arch9wavefront6targetE0EEEvT1_,comdat
	.protected	_ZN7rocprim17ROCPRIM_400000_NS6detail17trampoline_kernelINS0_14default_configENS1_27scan_by_key_config_selectorIssEEZZNS1_16scan_by_key_implILNS1_25lookback_scan_determinismE0ELb1ES3_N6thrust23THRUST_200600_302600_NS6detail15normal_iteratorINS9_10device_ptrIsEEEESE_SE_sNS9_10multipliesIsEENS9_8equal_toIsEEsEE10hipError_tPvRmT2_T3_T4_T5_mT6_T7_P12ihipStream_tbENKUlT_T0_E_clISt17integral_constantIbLb1EESY_IbLb0EEEEDaSU_SV_EUlSU_E_NS1_11comp_targetILNS1_3genE2ELNS1_11target_archE906ELNS1_3gpuE6ELNS1_3repE0EEENS1_30default_config_static_selectorELNS0_4arch9wavefront6targetE0EEEvT1_ ; -- Begin function _ZN7rocprim17ROCPRIM_400000_NS6detail17trampoline_kernelINS0_14default_configENS1_27scan_by_key_config_selectorIssEEZZNS1_16scan_by_key_implILNS1_25lookback_scan_determinismE0ELb1ES3_N6thrust23THRUST_200600_302600_NS6detail15normal_iteratorINS9_10device_ptrIsEEEESE_SE_sNS9_10multipliesIsEENS9_8equal_toIsEEsEE10hipError_tPvRmT2_T3_T4_T5_mT6_T7_P12ihipStream_tbENKUlT_T0_E_clISt17integral_constantIbLb1EESY_IbLb0EEEEDaSU_SV_EUlSU_E_NS1_11comp_targetILNS1_3genE2ELNS1_11target_archE906ELNS1_3gpuE6ELNS1_3repE0EEENS1_30default_config_static_selectorELNS0_4arch9wavefront6targetE0EEEvT1_
	.globl	_ZN7rocprim17ROCPRIM_400000_NS6detail17trampoline_kernelINS0_14default_configENS1_27scan_by_key_config_selectorIssEEZZNS1_16scan_by_key_implILNS1_25lookback_scan_determinismE0ELb1ES3_N6thrust23THRUST_200600_302600_NS6detail15normal_iteratorINS9_10device_ptrIsEEEESE_SE_sNS9_10multipliesIsEENS9_8equal_toIsEEsEE10hipError_tPvRmT2_T3_T4_T5_mT6_T7_P12ihipStream_tbENKUlT_T0_E_clISt17integral_constantIbLb1EESY_IbLb0EEEEDaSU_SV_EUlSU_E_NS1_11comp_targetILNS1_3genE2ELNS1_11target_archE906ELNS1_3gpuE6ELNS1_3repE0EEENS1_30default_config_static_selectorELNS0_4arch9wavefront6targetE0EEEvT1_
	.p2align	8
	.type	_ZN7rocprim17ROCPRIM_400000_NS6detail17trampoline_kernelINS0_14default_configENS1_27scan_by_key_config_selectorIssEEZZNS1_16scan_by_key_implILNS1_25lookback_scan_determinismE0ELb1ES3_N6thrust23THRUST_200600_302600_NS6detail15normal_iteratorINS9_10device_ptrIsEEEESE_SE_sNS9_10multipliesIsEENS9_8equal_toIsEEsEE10hipError_tPvRmT2_T3_T4_T5_mT6_T7_P12ihipStream_tbENKUlT_T0_E_clISt17integral_constantIbLb1EESY_IbLb0EEEEDaSU_SV_EUlSU_E_NS1_11comp_targetILNS1_3genE2ELNS1_11target_archE906ELNS1_3gpuE6ELNS1_3repE0EEENS1_30default_config_static_selectorELNS0_4arch9wavefront6targetE0EEEvT1_,@function
_ZN7rocprim17ROCPRIM_400000_NS6detail17trampoline_kernelINS0_14default_configENS1_27scan_by_key_config_selectorIssEEZZNS1_16scan_by_key_implILNS1_25lookback_scan_determinismE0ELb1ES3_N6thrust23THRUST_200600_302600_NS6detail15normal_iteratorINS9_10device_ptrIsEEEESE_SE_sNS9_10multipliesIsEENS9_8equal_toIsEEsEE10hipError_tPvRmT2_T3_T4_T5_mT6_T7_P12ihipStream_tbENKUlT_T0_E_clISt17integral_constantIbLb1EESY_IbLb0EEEEDaSU_SV_EUlSU_E_NS1_11comp_targetILNS1_3genE2ELNS1_11target_archE906ELNS1_3gpuE6ELNS1_3repE0EEENS1_30default_config_static_selectorELNS0_4arch9wavefront6targetE0EEEvT1_: ; @_ZN7rocprim17ROCPRIM_400000_NS6detail17trampoline_kernelINS0_14default_configENS1_27scan_by_key_config_selectorIssEEZZNS1_16scan_by_key_implILNS1_25lookback_scan_determinismE0ELb1ES3_N6thrust23THRUST_200600_302600_NS6detail15normal_iteratorINS9_10device_ptrIsEEEESE_SE_sNS9_10multipliesIsEENS9_8equal_toIsEEsEE10hipError_tPvRmT2_T3_T4_T5_mT6_T7_P12ihipStream_tbENKUlT_T0_E_clISt17integral_constantIbLb1EESY_IbLb0EEEEDaSU_SV_EUlSU_E_NS1_11comp_targetILNS1_3genE2ELNS1_11target_archE906ELNS1_3gpuE6ELNS1_3repE0EEENS1_30default_config_static_selectorELNS0_4arch9wavefront6targetE0EEEvT1_
; %bb.0:
	.section	.rodata,"a",@progbits
	.p2align	6, 0x0
	.amdhsa_kernel _ZN7rocprim17ROCPRIM_400000_NS6detail17trampoline_kernelINS0_14default_configENS1_27scan_by_key_config_selectorIssEEZZNS1_16scan_by_key_implILNS1_25lookback_scan_determinismE0ELb1ES3_N6thrust23THRUST_200600_302600_NS6detail15normal_iteratorINS9_10device_ptrIsEEEESE_SE_sNS9_10multipliesIsEENS9_8equal_toIsEEsEE10hipError_tPvRmT2_T3_T4_T5_mT6_T7_P12ihipStream_tbENKUlT_T0_E_clISt17integral_constantIbLb1EESY_IbLb0EEEEDaSU_SV_EUlSU_E_NS1_11comp_targetILNS1_3genE2ELNS1_11target_archE906ELNS1_3gpuE6ELNS1_3repE0EEENS1_30default_config_static_selectorELNS0_4arch9wavefront6targetE0EEEvT1_
		.amdhsa_group_segment_fixed_size 0
		.amdhsa_private_segment_fixed_size 0
		.amdhsa_kernarg_size 112
		.amdhsa_user_sgpr_count 6
		.amdhsa_user_sgpr_private_segment_buffer 1
		.amdhsa_user_sgpr_dispatch_ptr 0
		.amdhsa_user_sgpr_queue_ptr 0
		.amdhsa_user_sgpr_kernarg_segment_ptr 1
		.amdhsa_user_sgpr_dispatch_id 0
		.amdhsa_user_sgpr_flat_scratch_init 0
		.amdhsa_user_sgpr_private_segment_size 0
		.amdhsa_wavefront_size32 1
		.amdhsa_uses_dynamic_stack 0
		.amdhsa_system_sgpr_private_segment_wavefront_offset 0
		.amdhsa_system_sgpr_workgroup_id_x 1
		.amdhsa_system_sgpr_workgroup_id_y 0
		.amdhsa_system_sgpr_workgroup_id_z 0
		.amdhsa_system_sgpr_workgroup_info 0
		.amdhsa_system_vgpr_workitem_id 0
		.amdhsa_next_free_vgpr 1
		.amdhsa_next_free_sgpr 1
		.amdhsa_reserve_vcc 0
		.amdhsa_reserve_flat_scratch 0
		.amdhsa_float_round_mode_32 0
		.amdhsa_float_round_mode_16_64 0
		.amdhsa_float_denorm_mode_32 3
		.amdhsa_float_denorm_mode_16_64 3
		.amdhsa_dx10_clamp 1
		.amdhsa_ieee_mode 1
		.amdhsa_fp16_overflow 0
		.amdhsa_workgroup_processor_mode 1
		.amdhsa_memory_ordered 1
		.amdhsa_forward_progress 1
		.amdhsa_shared_vgpr_count 0
		.amdhsa_exception_fp_ieee_invalid_op 0
		.amdhsa_exception_fp_denorm_src 0
		.amdhsa_exception_fp_ieee_div_zero 0
		.amdhsa_exception_fp_ieee_overflow 0
		.amdhsa_exception_fp_ieee_underflow 0
		.amdhsa_exception_fp_ieee_inexact 0
		.amdhsa_exception_int_div_zero 0
	.end_amdhsa_kernel
	.section	.text._ZN7rocprim17ROCPRIM_400000_NS6detail17trampoline_kernelINS0_14default_configENS1_27scan_by_key_config_selectorIssEEZZNS1_16scan_by_key_implILNS1_25lookback_scan_determinismE0ELb1ES3_N6thrust23THRUST_200600_302600_NS6detail15normal_iteratorINS9_10device_ptrIsEEEESE_SE_sNS9_10multipliesIsEENS9_8equal_toIsEEsEE10hipError_tPvRmT2_T3_T4_T5_mT6_T7_P12ihipStream_tbENKUlT_T0_E_clISt17integral_constantIbLb1EESY_IbLb0EEEEDaSU_SV_EUlSU_E_NS1_11comp_targetILNS1_3genE2ELNS1_11target_archE906ELNS1_3gpuE6ELNS1_3repE0EEENS1_30default_config_static_selectorELNS0_4arch9wavefront6targetE0EEEvT1_,"axG",@progbits,_ZN7rocprim17ROCPRIM_400000_NS6detail17trampoline_kernelINS0_14default_configENS1_27scan_by_key_config_selectorIssEEZZNS1_16scan_by_key_implILNS1_25lookback_scan_determinismE0ELb1ES3_N6thrust23THRUST_200600_302600_NS6detail15normal_iteratorINS9_10device_ptrIsEEEESE_SE_sNS9_10multipliesIsEENS9_8equal_toIsEEsEE10hipError_tPvRmT2_T3_T4_T5_mT6_T7_P12ihipStream_tbENKUlT_T0_E_clISt17integral_constantIbLb1EESY_IbLb0EEEEDaSU_SV_EUlSU_E_NS1_11comp_targetILNS1_3genE2ELNS1_11target_archE906ELNS1_3gpuE6ELNS1_3repE0EEENS1_30default_config_static_selectorELNS0_4arch9wavefront6targetE0EEEvT1_,comdat
.Lfunc_end628:
	.size	_ZN7rocprim17ROCPRIM_400000_NS6detail17trampoline_kernelINS0_14default_configENS1_27scan_by_key_config_selectorIssEEZZNS1_16scan_by_key_implILNS1_25lookback_scan_determinismE0ELb1ES3_N6thrust23THRUST_200600_302600_NS6detail15normal_iteratorINS9_10device_ptrIsEEEESE_SE_sNS9_10multipliesIsEENS9_8equal_toIsEEsEE10hipError_tPvRmT2_T3_T4_T5_mT6_T7_P12ihipStream_tbENKUlT_T0_E_clISt17integral_constantIbLb1EESY_IbLb0EEEEDaSU_SV_EUlSU_E_NS1_11comp_targetILNS1_3genE2ELNS1_11target_archE906ELNS1_3gpuE6ELNS1_3repE0EEENS1_30default_config_static_selectorELNS0_4arch9wavefront6targetE0EEEvT1_, .Lfunc_end628-_ZN7rocprim17ROCPRIM_400000_NS6detail17trampoline_kernelINS0_14default_configENS1_27scan_by_key_config_selectorIssEEZZNS1_16scan_by_key_implILNS1_25lookback_scan_determinismE0ELb1ES3_N6thrust23THRUST_200600_302600_NS6detail15normal_iteratorINS9_10device_ptrIsEEEESE_SE_sNS9_10multipliesIsEENS9_8equal_toIsEEsEE10hipError_tPvRmT2_T3_T4_T5_mT6_T7_P12ihipStream_tbENKUlT_T0_E_clISt17integral_constantIbLb1EESY_IbLb0EEEEDaSU_SV_EUlSU_E_NS1_11comp_targetILNS1_3genE2ELNS1_11target_archE906ELNS1_3gpuE6ELNS1_3repE0EEENS1_30default_config_static_selectorELNS0_4arch9wavefront6targetE0EEEvT1_
                                        ; -- End function
	.set _ZN7rocprim17ROCPRIM_400000_NS6detail17trampoline_kernelINS0_14default_configENS1_27scan_by_key_config_selectorIssEEZZNS1_16scan_by_key_implILNS1_25lookback_scan_determinismE0ELb1ES3_N6thrust23THRUST_200600_302600_NS6detail15normal_iteratorINS9_10device_ptrIsEEEESE_SE_sNS9_10multipliesIsEENS9_8equal_toIsEEsEE10hipError_tPvRmT2_T3_T4_T5_mT6_T7_P12ihipStream_tbENKUlT_T0_E_clISt17integral_constantIbLb1EESY_IbLb0EEEEDaSU_SV_EUlSU_E_NS1_11comp_targetILNS1_3genE2ELNS1_11target_archE906ELNS1_3gpuE6ELNS1_3repE0EEENS1_30default_config_static_selectorELNS0_4arch9wavefront6targetE0EEEvT1_.num_vgpr, 0
	.set _ZN7rocprim17ROCPRIM_400000_NS6detail17trampoline_kernelINS0_14default_configENS1_27scan_by_key_config_selectorIssEEZZNS1_16scan_by_key_implILNS1_25lookback_scan_determinismE0ELb1ES3_N6thrust23THRUST_200600_302600_NS6detail15normal_iteratorINS9_10device_ptrIsEEEESE_SE_sNS9_10multipliesIsEENS9_8equal_toIsEEsEE10hipError_tPvRmT2_T3_T4_T5_mT6_T7_P12ihipStream_tbENKUlT_T0_E_clISt17integral_constantIbLb1EESY_IbLb0EEEEDaSU_SV_EUlSU_E_NS1_11comp_targetILNS1_3genE2ELNS1_11target_archE906ELNS1_3gpuE6ELNS1_3repE0EEENS1_30default_config_static_selectorELNS0_4arch9wavefront6targetE0EEEvT1_.num_agpr, 0
	.set _ZN7rocprim17ROCPRIM_400000_NS6detail17trampoline_kernelINS0_14default_configENS1_27scan_by_key_config_selectorIssEEZZNS1_16scan_by_key_implILNS1_25lookback_scan_determinismE0ELb1ES3_N6thrust23THRUST_200600_302600_NS6detail15normal_iteratorINS9_10device_ptrIsEEEESE_SE_sNS9_10multipliesIsEENS9_8equal_toIsEEsEE10hipError_tPvRmT2_T3_T4_T5_mT6_T7_P12ihipStream_tbENKUlT_T0_E_clISt17integral_constantIbLb1EESY_IbLb0EEEEDaSU_SV_EUlSU_E_NS1_11comp_targetILNS1_3genE2ELNS1_11target_archE906ELNS1_3gpuE6ELNS1_3repE0EEENS1_30default_config_static_selectorELNS0_4arch9wavefront6targetE0EEEvT1_.numbered_sgpr, 0
	.set _ZN7rocprim17ROCPRIM_400000_NS6detail17trampoline_kernelINS0_14default_configENS1_27scan_by_key_config_selectorIssEEZZNS1_16scan_by_key_implILNS1_25lookback_scan_determinismE0ELb1ES3_N6thrust23THRUST_200600_302600_NS6detail15normal_iteratorINS9_10device_ptrIsEEEESE_SE_sNS9_10multipliesIsEENS9_8equal_toIsEEsEE10hipError_tPvRmT2_T3_T4_T5_mT6_T7_P12ihipStream_tbENKUlT_T0_E_clISt17integral_constantIbLb1EESY_IbLb0EEEEDaSU_SV_EUlSU_E_NS1_11comp_targetILNS1_3genE2ELNS1_11target_archE906ELNS1_3gpuE6ELNS1_3repE0EEENS1_30default_config_static_selectorELNS0_4arch9wavefront6targetE0EEEvT1_.num_named_barrier, 0
	.set _ZN7rocprim17ROCPRIM_400000_NS6detail17trampoline_kernelINS0_14default_configENS1_27scan_by_key_config_selectorIssEEZZNS1_16scan_by_key_implILNS1_25lookback_scan_determinismE0ELb1ES3_N6thrust23THRUST_200600_302600_NS6detail15normal_iteratorINS9_10device_ptrIsEEEESE_SE_sNS9_10multipliesIsEENS9_8equal_toIsEEsEE10hipError_tPvRmT2_T3_T4_T5_mT6_T7_P12ihipStream_tbENKUlT_T0_E_clISt17integral_constantIbLb1EESY_IbLb0EEEEDaSU_SV_EUlSU_E_NS1_11comp_targetILNS1_3genE2ELNS1_11target_archE906ELNS1_3gpuE6ELNS1_3repE0EEENS1_30default_config_static_selectorELNS0_4arch9wavefront6targetE0EEEvT1_.private_seg_size, 0
	.set _ZN7rocprim17ROCPRIM_400000_NS6detail17trampoline_kernelINS0_14default_configENS1_27scan_by_key_config_selectorIssEEZZNS1_16scan_by_key_implILNS1_25lookback_scan_determinismE0ELb1ES3_N6thrust23THRUST_200600_302600_NS6detail15normal_iteratorINS9_10device_ptrIsEEEESE_SE_sNS9_10multipliesIsEENS9_8equal_toIsEEsEE10hipError_tPvRmT2_T3_T4_T5_mT6_T7_P12ihipStream_tbENKUlT_T0_E_clISt17integral_constantIbLb1EESY_IbLb0EEEEDaSU_SV_EUlSU_E_NS1_11comp_targetILNS1_3genE2ELNS1_11target_archE906ELNS1_3gpuE6ELNS1_3repE0EEENS1_30default_config_static_selectorELNS0_4arch9wavefront6targetE0EEEvT1_.uses_vcc, 0
	.set _ZN7rocprim17ROCPRIM_400000_NS6detail17trampoline_kernelINS0_14default_configENS1_27scan_by_key_config_selectorIssEEZZNS1_16scan_by_key_implILNS1_25lookback_scan_determinismE0ELb1ES3_N6thrust23THRUST_200600_302600_NS6detail15normal_iteratorINS9_10device_ptrIsEEEESE_SE_sNS9_10multipliesIsEENS9_8equal_toIsEEsEE10hipError_tPvRmT2_T3_T4_T5_mT6_T7_P12ihipStream_tbENKUlT_T0_E_clISt17integral_constantIbLb1EESY_IbLb0EEEEDaSU_SV_EUlSU_E_NS1_11comp_targetILNS1_3genE2ELNS1_11target_archE906ELNS1_3gpuE6ELNS1_3repE0EEENS1_30default_config_static_selectorELNS0_4arch9wavefront6targetE0EEEvT1_.uses_flat_scratch, 0
	.set _ZN7rocprim17ROCPRIM_400000_NS6detail17trampoline_kernelINS0_14default_configENS1_27scan_by_key_config_selectorIssEEZZNS1_16scan_by_key_implILNS1_25lookback_scan_determinismE0ELb1ES3_N6thrust23THRUST_200600_302600_NS6detail15normal_iteratorINS9_10device_ptrIsEEEESE_SE_sNS9_10multipliesIsEENS9_8equal_toIsEEsEE10hipError_tPvRmT2_T3_T4_T5_mT6_T7_P12ihipStream_tbENKUlT_T0_E_clISt17integral_constantIbLb1EESY_IbLb0EEEEDaSU_SV_EUlSU_E_NS1_11comp_targetILNS1_3genE2ELNS1_11target_archE906ELNS1_3gpuE6ELNS1_3repE0EEENS1_30default_config_static_selectorELNS0_4arch9wavefront6targetE0EEEvT1_.has_dyn_sized_stack, 0
	.set _ZN7rocprim17ROCPRIM_400000_NS6detail17trampoline_kernelINS0_14default_configENS1_27scan_by_key_config_selectorIssEEZZNS1_16scan_by_key_implILNS1_25lookback_scan_determinismE0ELb1ES3_N6thrust23THRUST_200600_302600_NS6detail15normal_iteratorINS9_10device_ptrIsEEEESE_SE_sNS9_10multipliesIsEENS9_8equal_toIsEEsEE10hipError_tPvRmT2_T3_T4_T5_mT6_T7_P12ihipStream_tbENKUlT_T0_E_clISt17integral_constantIbLb1EESY_IbLb0EEEEDaSU_SV_EUlSU_E_NS1_11comp_targetILNS1_3genE2ELNS1_11target_archE906ELNS1_3gpuE6ELNS1_3repE0EEENS1_30default_config_static_selectorELNS0_4arch9wavefront6targetE0EEEvT1_.has_recursion, 0
	.set _ZN7rocprim17ROCPRIM_400000_NS6detail17trampoline_kernelINS0_14default_configENS1_27scan_by_key_config_selectorIssEEZZNS1_16scan_by_key_implILNS1_25lookback_scan_determinismE0ELb1ES3_N6thrust23THRUST_200600_302600_NS6detail15normal_iteratorINS9_10device_ptrIsEEEESE_SE_sNS9_10multipliesIsEENS9_8equal_toIsEEsEE10hipError_tPvRmT2_T3_T4_T5_mT6_T7_P12ihipStream_tbENKUlT_T0_E_clISt17integral_constantIbLb1EESY_IbLb0EEEEDaSU_SV_EUlSU_E_NS1_11comp_targetILNS1_3genE2ELNS1_11target_archE906ELNS1_3gpuE6ELNS1_3repE0EEENS1_30default_config_static_selectorELNS0_4arch9wavefront6targetE0EEEvT1_.has_indirect_call, 0
	.section	.AMDGPU.csdata,"",@progbits
; Kernel info:
; codeLenInByte = 0
; TotalNumSgprs: 0
; NumVgprs: 0
; ScratchSize: 0
; MemoryBound: 0
; FloatMode: 240
; IeeeMode: 1
; LDSByteSize: 0 bytes/workgroup (compile time only)
; SGPRBlocks: 0
; VGPRBlocks: 0
; NumSGPRsForWavesPerEU: 1
; NumVGPRsForWavesPerEU: 1
; Occupancy: 16
; WaveLimiterHint : 0
; COMPUTE_PGM_RSRC2:SCRATCH_EN: 0
; COMPUTE_PGM_RSRC2:USER_SGPR: 6
; COMPUTE_PGM_RSRC2:TRAP_HANDLER: 0
; COMPUTE_PGM_RSRC2:TGID_X_EN: 1
; COMPUTE_PGM_RSRC2:TGID_Y_EN: 0
; COMPUTE_PGM_RSRC2:TGID_Z_EN: 0
; COMPUTE_PGM_RSRC2:TIDIG_COMP_CNT: 0
	.section	.text._ZN7rocprim17ROCPRIM_400000_NS6detail17trampoline_kernelINS0_14default_configENS1_27scan_by_key_config_selectorIssEEZZNS1_16scan_by_key_implILNS1_25lookback_scan_determinismE0ELb1ES3_N6thrust23THRUST_200600_302600_NS6detail15normal_iteratorINS9_10device_ptrIsEEEESE_SE_sNS9_10multipliesIsEENS9_8equal_toIsEEsEE10hipError_tPvRmT2_T3_T4_T5_mT6_T7_P12ihipStream_tbENKUlT_T0_E_clISt17integral_constantIbLb1EESY_IbLb0EEEEDaSU_SV_EUlSU_E_NS1_11comp_targetILNS1_3genE10ELNS1_11target_archE1200ELNS1_3gpuE4ELNS1_3repE0EEENS1_30default_config_static_selectorELNS0_4arch9wavefront6targetE0EEEvT1_,"axG",@progbits,_ZN7rocprim17ROCPRIM_400000_NS6detail17trampoline_kernelINS0_14default_configENS1_27scan_by_key_config_selectorIssEEZZNS1_16scan_by_key_implILNS1_25lookback_scan_determinismE0ELb1ES3_N6thrust23THRUST_200600_302600_NS6detail15normal_iteratorINS9_10device_ptrIsEEEESE_SE_sNS9_10multipliesIsEENS9_8equal_toIsEEsEE10hipError_tPvRmT2_T3_T4_T5_mT6_T7_P12ihipStream_tbENKUlT_T0_E_clISt17integral_constantIbLb1EESY_IbLb0EEEEDaSU_SV_EUlSU_E_NS1_11comp_targetILNS1_3genE10ELNS1_11target_archE1200ELNS1_3gpuE4ELNS1_3repE0EEENS1_30default_config_static_selectorELNS0_4arch9wavefront6targetE0EEEvT1_,comdat
	.protected	_ZN7rocprim17ROCPRIM_400000_NS6detail17trampoline_kernelINS0_14default_configENS1_27scan_by_key_config_selectorIssEEZZNS1_16scan_by_key_implILNS1_25lookback_scan_determinismE0ELb1ES3_N6thrust23THRUST_200600_302600_NS6detail15normal_iteratorINS9_10device_ptrIsEEEESE_SE_sNS9_10multipliesIsEENS9_8equal_toIsEEsEE10hipError_tPvRmT2_T3_T4_T5_mT6_T7_P12ihipStream_tbENKUlT_T0_E_clISt17integral_constantIbLb1EESY_IbLb0EEEEDaSU_SV_EUlSU_E_NS1_11comp_targetILNS1_3genE10ELNS1_11target_archE1200ELNS1_3gpuE4ELNS1_3repE0EEENS1_30default_config_static_selectorELNS0_4arch9wavefront6targetE0EEEvT1_ ; -- Begin function _ZN7rocprim17ROCPRIM_400000_NS6detail17trampoline_kernelINS0_14default_configENS1_27scan_by_key_config_selectorIssEEZZNS1_16scan_by_key_implILNS1_25lookback_scan_determinismE0ELb1ES3_N6thrust23THRUST_200600_302600_NS6detail15normal_iteratorINS9_10device_ptrIsEEEESE_SE_sNS9_10multipliesIsEENS9_8equal_toIsEEsEE10hipError_tPvRmT2_T3_T4_T5_mT6_T7_P12ihipStream_tbENKUlT_T0_E_clISt17integral_constantIbLb1EESY_IbLb0EEEEDaSU_SV_EUlSU_E_NS1_11comp_targetILNS1_3genE10ELNS1_11target_archE1200ELNS1_3gpuE4ELNS1_3repE0EEENS1_30default_config_static_selectorELNS0_4arch9wavefront6targetE0EEEvT1_
	.globl	_ZN7rocprim17ROCPRIM_400000_NS6detail17trampoline_kernelINS0_14default_configENS1_27scan_by_key_config_selectorIssEEZZNS1_16scan_by_key_implILNS1_25lookback_scan_determinismE0ELb1ES3_N6thrust23THRUST_200600_302600_NS6detail15normal_iteratorINS9_10device_ptrIsEEEESE_SE_sNS9_10multipliesIsEENS9_8equal_toIsEEsEE10hipError_tPvRmT2_T3_T4_T5_mT6_T7_P12ihipStream_tbENKUlT_T0_E_clISt17integral_constantIbLb1EESY_IbLb0EEEEDaSU_SV_EUlSU_E_NS1_11comp_targetILNS1_3genE10ELNS1_11target_archE1200ELNS1_3gpuE4ELNS1_3repE0EEENS1_30default_config_static_selectorELNS0_4arch9wavefront6targetE0EEEvT1_
	.p2align	8
	.type	_ZN7rocprim17ROCPRIM_400000_NS6detail17trampoline_kernelINS0_14default_configENS1_27scan_by_key_config_selectorIssEEZZNS1_16scan_by_key_implILNS1_25lookback_scan_determinismE0ELb1ES3_N6thrust23THRUST_200600_302600_NS6detail15normal_iteratorINS9_10device_ptrIsEEEESE_SE_sNS9_10multipliesIsEENS9_8equal_toIsEEsEE10hipError_tPvRmT2_T3_T4_T5_mT6_T7_P12ihipStream_tbENKUlT_T0_E_clISt17integral_constantIbLb1EESY_IbLb0EEEEDaSU_SV_EUlSU_E_NS1_11comp_targetILNS1_3genE10ELNS1_11target_archE1200ELNS1_3gpuE4ELNS1_3repE0EEENS1_30default_config_static_selectorELNS0_4arch9wavefront6targetE0EEEvT1_,@function
_ZN7rocprim17ROCPRIM_400000_NS6detail17trampoline_kernelINS0_14default_configENS1_27scan_by_key_config_selectorIssEEZZNS1_16scan_by_key_implILNS1_25lookback_scan_determinismE0ELb1ES3_N6thrust23THRUST_200600_302600_NS6detail15normal_iteratorINS9_10device_ptrIsEEEESE_SE_sNS9_10multipliesIsEENS9_8equal_toIsEEsEE10hipError_tPvRmT2_T3_T4_T5_mT6_T7_P12ihipStream_tbENKUlT_T0_E_clISt17integral_constantIbLb1EESY_IbLb0EEEEDaSU_SV_EUlSU_E_NS1_11comp_targetILNS1_3genE10ELNS1_11target_archE1200ELNS1_3gpuE4ELNS1_3repE0EEENS1_30default_config_static_selectorELNS0_4arch9wavefront6targetE0EEEvT1_: ; @_ZN7rocprim17ROCPRIM_400000_NS6detail17trampoline_kernelINS0_14default_configENS1_27scan_by_key_config_selectorIssEEZZNS1_16scan_by_key_implILNS1_25lookback_scan_determinismE0ELb1ES3_N6thrust23THRUST_200600_302600_NS6detail15normal_iteratorINS9_10device_ptrIsEEEESE_SE_sNS9_10multipliesIsEENS9_8equal_toIsEEsEE10hipError_tPvRmT2_T3_T4_T5_mT6_T7_P12ihipStream_tbENKUlT_T0_E_clISt17integral_constantIbLb1EESY_IbLb0EEEEDaSU_SV_EUlSU_E_NS1_11comp_targetILNS1_3genE10ELNS1_11target_archE1200ELNS1_3gpuE4ELNS1_3repE0EEENS1_30default_config_static_selectorELNS0_4arch9wavefront6targetE0EEEvT1_
; %bb.0:
	.section	.rodata,"a",@progbits
	.p2align	6, 0x0
	.amdhsa_kernel _ZN7rocprim17ROCPRIM_400000_NS6detail17trampoline_kernelINS0_14default_configENS1_27scan_by_key_config_selectorIssEEZZNS1_16scan_by_key_implILNS1_25lookback_scan_determinismE0ELb1ES3_N6thrust23THRUST_200600_302600_NS6detail15normal_iteratorINS9_10device_ptrIsEEEESE_SE_sNS9_10multipliesIsEENS9_8equal_toIsEEsEE10hipError_tPvRmT2_T3_T4_T5_mT6_T7_P12ihipStream_tbENKUlT_T0_E_clISt17integral_constantIbLb1EESY_IbLb0EEEEDaSU_SV_EUlSU_E_NS1_11comp_targetILNS1_3genE10ELNS1_11target_archE1200ELNS1_3gpuE4ELNS1_3repE0EEENS1_30default_config_static_selectorELNS0_4arch9wavefront6targetE0EEEvT1_
		.amdhsa_group_segment_fixed_size 0
		.amdhsa_private_segment_fixed_size 0
		.amdhsa_kernarg_size 112
		.amdhsa_user_sgpr_count 6
		.amdhsa_user_sgpr_private_segment_buffer 1
		.amdhsa_user_sgpr_dispatch_ptr 0
		.amdhsa_user_sgpr_queue_ptr 0
		.amdhsa_user_sgpr_kernarg_segment_ptr 1
		.amdhsa_user_sgpr_dispatch_id 0
		.amdhsa_user_sgpr_flat_scratch_init 0
		.amdhsa_user_sgpr_private_segment_size 0
		.amdhsa_wavefront_size32 1
		.amdhsa_uses_dynamic_stack 0
		.amdhsa_system_sgpr_private_segment_wavefront_offset 0
		.amdhsa_system_sgpr_workgroup_id_x 1
		.amdhsa_system_sgpr_workgroup_id_y 0
		.amdhsa_system_sgpr_workgroup_id_z 0
		.amdhsa_system_sgpr_workgroup_info 0
		.amdhsa_system_vgpr_workitem_id 0
		.amdhsa_next_free_vgpr 1
		.amdhsa_next_free_sgpr 1
		.amdhsa_reserve_vcc 0
		.amdhsa_reserve_flat_scratch 0
		.amdhsa_float_round_mode_32 0
		.amdhsa_float_round_mode_16_64 0
		.amdhsa_float_denorm_mode_32 3
		.amdhsa_float_denorm_mode_16_64 3
		.amdhsa_dx10_clamp 1
		.amdhsa_ieee_mode 1
		.amdhsa_fp16_overflow 0
		.amdhsa_workgroup_processor_mode 1
		.amdhsa_memory_ordered 1
		.amdhsa_forward_progress 1
		.amdhsa_shared_vgpr_count 0
		.amdhsa_exception_fp_ieee_invalid_op 0
		.amdhsa_exception_fp_denorm_src 0
		.amdhsa_exception_fp_ieee_div_zero 0
		.amdhsa_exception_fp_ieee_overflow 0
		.amdhsa_exception_fp_ieee_underflow 0
		.amdhsa_exception_fp_ieee_inexact 0
		.amdhsa_exception_int_div_zero 0
	.end_amdhsa_kernel
	.section	.text._ZN7rocprim17ROCPRIM_400000_NS6detail17trampoline_kernelINS0_14default_configENS1_27scan_by_key_config_selectorIssEEZZNS1_16scan_by_key_implILNS1_25lookback_scan_determinismE0ELb1ES3_N6thrust23THRUST_200600_302600_NS6detail15normal_iteratorINS9_10device_ptrIsEEEESE_SE_sNS9_10multipliesIsEENS9_8equal_toIsEEsEE10hipError_tPvRmT2_T3_T4_T5_mT6_T7_P12ihipStream_tbENKUlT_T0_E_clISt17integral_constantIbLb1EESY_IbLb0EEEEDaSU_SV_EUlSU_E_NS1_11comp_targetILNS1_3genE10ELNS1_11target_archE1200ELNS1_3gpuE4ELNS1_3repE0EEENS1_30default_config_static_selectorELNS0_4arch9wavefront6targetE0EEEvT1_,"axG",@progbits,_ZN7rocprim17ROCPRIM_400000_NS6detail17trampoline_kernelINS0_14default_configENS1_27scan_by_key_config_selectorIssEEZZNS1_16scan_by_key_implILNS1_25lookback_scan_determinismE0ELb1ES3_N6thrust23THRUST_200600_302600_NS6detail15normal_iteratorINS9_10device_ptrIsEEEESE_SE_sNS9_10multipliesIsEENS9_8equal_toIsEEsEE10hipError_tPvRmT2_T3_T4_T5_mT6_T7_P12ihipStream_tbENKUlT_T0_E_clISt17integral_constantIbLb1EESY_IbLb0EEEEDaSU_SV_EUlSU_E_NS1_11comp_targetILNS1_3genE10ELNS1_11target_archE1200ELNS1_3gpuE4ELNS1_3repE0EEENS1_30default_config_static_selectorELNS0_4arch9wavefront6targetE0EEEvT1_,comdat
.Lfunc_end629:
	.size	_ZN7rocprim17ROCPRIM_400000_NS6detail17trampoline_kernelINS0_14default_configENS1_27scan_by_key_config_selectorIssEEZZNS1_16scan_by_key_implILNS1_25lookback_scan_determinismE0ELb1ES3_N6thrust23THRUST_200600_302600_NS6detail15normal_iteratorINS9_10device_ptrIsEEEESE_SE_sNS9_10multipliesIsEENS9_8equal_toIsEEsEE10hipError_tPvRmT2_T3_T4_T5_mT6_T7_P12ihipStream_tbENKUlT_T0_E_clISt17integral_constantIbLb1EESY_IbLb0EEEEDaSU_SV_EUlSU_E_NS1_11comp_targetILNS1_3genE10ELNS1_11target_archE1200ELNS1_3gpuE4ELNS1_3repE0EEENS1_30default_config_static_selectorELNS0_4arch9wavefront6targetE0EEEvT1_, .Lfunc_end629-_ZN7rocprim17ROCPRIM_400000_NS6detail17trampoline_kernelINS0_14default_configENS1_27scan_by_key_config_selectorIssEEZZNS1_16scan_by_key_implILNS1_25lookback_scan_determinismE0ELb1ES3_N6thrust23THRUST_200600_302600_NS6detail15normal_iteratorINS9_10device_ptrIsEEEESE_SE_sNS9_10multipliesIsEENS9_8equal_toIsEEsEE10hipError_tPvRmT2_T3_T4_T5_mT6_T7_P12ihipStream_tbENKUlT_T0_E_clISt17integral_constantIbLb1EESY_IbLb0EEEEDaSU_SV_EUlSU_E_NS1_11comp_targetILNS1_3genE10ELNS1_11target_archE1200ELNS1_3gpuE4ELNS1_3repE0EEENS1_30default_config_static_selectorELNS0_4arch9wavefront6targetE0EEEvT1_
                                        ; -- End function
	.set _ZN7rocprim17ROCPRIM_400000_NS6detail17trampoline_kernelINS0_14default_configENS1_27scan_by_key_config_selectorIssEEZZNS1_16scan_by_key_implILNS1_25lookback_scan_determinismE0ELb1ES3_N6thrust23THRUST_200600_302600_NS6detail15normal_iteratorINS9_10device_ptrIsEEEESE_SE_sNS9_10multipliesIsEENS9_8equal_toIsEEsEE10hipError_tPvRmT2_T3_T4_T5_mT6_T7_P12ihipStream_tbENKUlT_T0_E_clISt17integral_constantIbLb1EESY_IbLb0EEEEDaSU_SV_EUlSU_E_NS1_11comp_targetILNS1_3genE10ELNS1_11target_archE1200ELNS1_3gpuE4ELNS1_3repE0EEENS1_30default_config_static_selectorELNS0_4arch9wavefront6targetE0EEEvT1_.num_vgpr, 0
	.set _ZN7rocprim17ROCPRIM_400000_NS6detail17trampoline_kernelINS0_14default_configENS1_27scan_by_key_config_selectorIssEEZZNS1_16scan_by_key_implILNS1_25lookback_scan_determinismE0ELb1ES3_N6thrust23THRUST_200600_302600_NS6detail15normal_iteratorINS9_10device_ptrIsEEEESE_SE_sNS9_10multipliesIsEENS9_8equal_toIsEEsEE10hipError_tPvRmT2_T3_T4_T5_mT6_T7_P12ihipStream_tbENKUlT_T0_E_clISt17integral_constantIbLb1EESY_IbLb0EEEEDaSU_SV_EUlSU_E_NS1_11comp_targetILNS1_3genE10ELNS1_11target_archE1200ELNS1_3gpuE4ELNS1_3repE0EEENS1_30default_config_static_selectorELNS0_4arch9wavefront6targetE0EEEvT1_.num_agpr, 0
	.set _ZN7rocprim17ROCPRIM_400000_NS6detail17trampoline_kernelINS0_14default_configENS1_27scan_by_key_config_selectorIssEEZZNS1_16scan_by_key_implILNS1_25lookback_scan_determinismE0ELb1ES3_N6thrust23THRUST_200600_302600_NS6detail15normal_iteratorINS9_10device_ptrIsEEEESE_SE_sNS9_10multipliesIsEENS9_8equal_toIsEEsEE10hipError_tPvRmT2_T3_T4_T5_mT6_T7_P12ihipStream_tbENKUlT_T0_E_clISt17integral_constantIbLb1EESY_IbLb0EEEEDaSU_SV_EUlSU_E_NS1_11comp_targetILNS1_3genE10ELNS1_11target_archE1200ELNS1_3gpuE4ELNS1_3repE0EEENS1_30default_config_static_selectorELNS0_4arch9wavefront6targetE0EEEvT1_.numbered_sgpr, 0
	.set _ZN7rocprim17ROCPRIM_400000_NS6detail17trampoline_kernelINS0_14default_configENS1_27scan_by_key_config_selectorIssEEZZNS1_16scan_by_key_implILNS1_25lookback_scan_determinismE0ELb1ES3_N6thrust23THRUST_200600_302600_NS6detail15normal_iteratorINS9_10device_ptrIsEEEESE_SE_sNS9_10multipliesIsEENS9_8equal_toIsEEsEE10hipError_tPvRmT2_T3_T4_T5_mT6_T7_P12ihipStream_tbENKUlT_T0_E_clISt17integral_constantIbLb1EESY_IbLb0EEEEDaSU_SV_EUlSU_E_NS1_11comp_targetILNS1_3genE10ELNS1_11target_archE1200ELNS1_3gpuE4ELNS1_3repE0EEENS1_30default_config_static_selectorELNS0_4arch9wavefront6targetE0EEEvT1_.num_named_barrier, 0
	.set _ZN7rocprim17ROCPRIM_400000_NS6detail17trampoline_kernelINS0_14default_configENS1_27scan_by_key_config_selectorIssEEZZNS1_16scan_by_key_implILNS1_25lookback_scan_determinismE0ELb1ES3_N6thrust23THRUST_200600_302600_NS6detail15normal_iteratorINS9_10device_ptrIsEEEESE_SE_sNS9_10multipliesIsEENS9_8equal_toIsEEsEE10hipError_tPvRmT2_T3_T4_T5_mT6_T7_P12ihipStream_tbENKUlT_T0_E_clISt17integral_constantIbLb1EESY_IbLb0EEEEDaSU_SV_EUlSU_E_NS1_11comp_targetILNS1_3genE10ELNS1_11target_archE1200ELNS1_3gpuE4ELNS1_3repE0EEENS1_30default_config_static_selectorELNS0_4arch9wavefront6targetE0EEEvT1_.private_seg_size, 0
	.set _ZN7rocprim17ROCPRIM_400000_NS6detail17trampoline_kernelINS0_14default_configENS1_27scan_by_key_config_selectorIssEEZZNS1_16scan_by_key_implILNS1_25lookback_scan_determinismE0ELb1ES3_N6thrust23THRUST_200600_302600_NS6detail15normal_iteratorINS9_10device_ptrIsEEEESE_SE_sNS9_10multipliesIsEENS9_8equal_toIsEEsEE10hipError_tPvRmT2_T3_T4_T5_mT6_T7_P12ihipStream_tbENKUlT_T0_E_clISt17integral_constantIbLb1EESY_IbLb0EEEEDaSU_SV_EUlSU_E_NS1_11comp_targetILNS1_3genE10ELNS1_11target_archE1200ELNS1_3gpuE4ELNS1_3repE0EEENS1_30default_config_static_selectorELNS0_4arch9wavefront6targetE0EEEvT1_.uses_vcc, 0
	.set _ZN7rocprim17ROCPRIM_400000_NS6detail17trampoline_kernelINS0_14default_configENS1_27scan_by_key_config_selectorIssEEZZNS1_16scan_by_key_implILNS1_25lookback_scan_determinismE0ELb1ES3_N6thrust23THRUST_200600_302600_NS6detail15normal_iteratorINS9_10device_ptrIsEEEESE_SE_sNS9_10multipliesIsEENS9_8equal_toIsEEsEE10hipError_tPvRmT2_T3_T4_T5_mT6_T7_P12ihipStream_tbENKUlT_T0_E_clISt17integral_constantIbLb1EESY_IbLb0EEEEDaSU_SV_EUlSU_E_NS1_11comp_targetILNS1_3genE10ELNS1_11target_archE1200ELNS1_3gpuE4ELNS1_3repE0EEENS1_30default_config_static_selectorELNS0_4arch9wavefront6targetE0EEEvT1_.uses_flat_scratch, 0
	.set _ZN7rocprim17ROCPRIM_400000_NS6detail17trampoline_kernelINS0_14default_configENS1_27scan_by_key_config_selectorIssEEZZNS1_16scan_by_key_implILNS1_25lookback_scan_determinismE0ELb1ES3_N6thrust23THRUST_200600_302600_NS6detail15normal_iteratorINS9_10device_ptrIsEEEESE_SE_sNS9_10multipliesIsEENS9_8equal_toIsEEsEE10hipError_tPvRmT2_T3_T4_T5_mT6_T7_P12ihipStream_tbENKUlT_T0_E_clISt17integral_constantIbLb1EESY_IbLb0EEEEDaSU_SV_EUlSU_E_NS1_11comp_targetILNS1_3genE10ELNS1_11target_archE1200ELNS1_3gpuE4ELNS1_3repE0EEENS1_30default_config_static_selectorELNS0_4arch9wavefront6targetE0EEEvT1_.has_dyn_sized_stack, 0
	.set _ZN7rocprim17ROCPRIM_400000_NS6detail17trampoline_kernelINS0_14default_configENS1_27scan_by_key_config_selectorIssEEZZNS1_16scan_by_key_implILNS1_25lookback_scan_determinismE0ELb1ES3_N6thrust23THRUST_200600_302600_NS6detail15normal_iteratorINS9_10device_ptrIsEEEESE_SE_sNS9_10multipliesIsEENS9_8equal_toIsEEsEE10hipError_tPvRmT2_T3_T4_T5_mT6_T7_P12ihipStream_tbENKUlT_T0_E_clISt17integral_constantIbLb1EESY_IbLb0EEEEDaSU_SV_EUlSU_E_NS1_11comp_targetILNS1_3genE10ELNS1_11target_archE1200ELNS1_3gpuE4ELNS1_3repE0EEENS1_30default_config_static_selectorELNS0_4arch9wavefront6targetE0EEEvT1_.has_recursion, 0
	.set _ZN7rocprim17ROCPRIM_400000_NS6detail17trampoline_kernelINS0_14default_configENS1_27scan_by_key_config_selectorIssEEZZNS1_16scan_by_key_implILNS1_25lookback_scan_determinismE0ELb1ES3_N6thrust23THRUST_200600_302600_NS6detail15normal_iteratorINS9_10device_ptrIsEEEESE_SE_sNS9_10multipliesIsEENS9_8equal_toIsEEsEE10hipError_tPvRmT2_T3_T4_T5_mT6_T7_P12ihipStream_tbENKUlT_T0_E_clISt17integral_constantIbLb1EESY_IbLb0EEEEDaSU_SV_EUlSU_E_NS1_11comp_targetILNS1_3genE10ELNS1_11target_archE1200ELNS1_3gpuE4ELNS1_3repE0EEENS1_30default_config_static_selectorELNS0_4arch9wavefront6targetE0EEEvT1_.has_indirect_call, 0
	.section	.AMDGPU.csdata,"",@progbits
; Kernel info:
; codeLenInByte = 0
; TotalNumSgprs: 0
; NumVgprs: 0
; ScratchSize: 0
; MemoryBound: 0
; FloatMode: 240
; IeeeMode: 1
; LDSByteSize: 0 bytes/workgroup (compile time only)
; SGPRBlocks: 0
; VGPRBlocks: 0
; NumSGPRsForWavesPerEU: 1
; NumVGPRsForWavesPerEU: 1
; Occupancy: 16
; WaveLimiterHint : 0
; COMPUTE_PGM_RSRC2:SCRATCH_EN: 0
; COMPUTE_PGM_RSRC2:USER_SGPR: 6
; COMPUTE_PGM_RSRC2:TRAP_HANDLER: 0
; COMPUTE_PGM_RSRC2:TGID_X_EN: 1
; COMPUTE_PGM_RSRC2:TGID_Y_EN: 0
; COMPUTE_PGM_RSRC2:TGID_Z_EN: 0
; COMPUTE_PGM_RSRC2:TIDIG_COMP_CNT: 0
	.section	.text._ZN7rocprim17ROCPRIM_400000_NS6detail17trampoline_kernelINS0_14default_configENS1_27scan_by_key_config_selectorIssEEZZNS1_16scan_by_key_implILNS1_25lookback_scan_determinismE0ELb1ES3_N6thrust23THRUST_200600_302600_NS6detail15normal_iteratorINS9_10device_ptrIsEEEESE_SE_sNS9_10multipliesIsEENS9_8equal_toIsEEsEE10hipError_tPvRmT2_T3_T4_T5_mT6_T7_P12ihipStream_tbENKUlT_T0_E_clISt17integral_constantIbLb1EESY_IbLb0EEEEDaSU_SV_EUlSU_E_NS1_11comp_targetILNS1_3genE9ELNS1_11target_archE1100ELNS1_3gpuE3ELNS1_3repE0EEENS1_30default_config_static_selectorELNS0_4arch9wavefront6targetE0EEEvT1_,"axG",@progbits,_ZN7rocprim17ROCPRIM_400000_NS6detail17trampoline_kernelINS0_14default_configENS1_27scan_by_key_config_selectorIssEEZZNS1_16scan_by_key_implILNS1_25lookback_scan_determinismE0ELb1ES3_N6thrust23THRUST_200600_302600_NS6detail15normal_iteratorINS9_10device_ptrIsEEEESE_SE_sNS9_10multipliesIsEENS9_8equal_toIsEEsEE10hipError_tPvRmT2_T3_T4_T5_mT6_T7_P12ihipStream_tbENKUlT_T0_E_clISt17integral_constantIbLb1EESY_IbLb0EEEEDaSU_SV_EUlSU_E_NS1_11comp_targetILNS1_3genE9ELNS1_11target_archE1100ELNS1_3gpuE3ELNS1_3repE0EEENS1_30default_config_static_selectorELNS0_4arch9wavefront6targetE0EEEvT1_,comdat
	.protected	_ZN7rocprim17ROCPRIM_400000_NS6detail17trampoline_kernelINS0_14default_configENS1_27scan_by_key_config_selectorIssEEZZNS1_16scan_by_key_implILNS1_25lookback_scan_determinismE0ELb1ES3_N6thrust23THRUST_200600_302600_NS6detail15normal_iteratorINS9_10device_ptrIsEEEESE_SE_sNS9_10multipliesIsEENS9_8equal_toIsEEsEE10hipError_tPvRmT2_T3_T4_T5_mT6_T7_P12ihipStream_tbENKUlT_T0_E_clISt17integral_constantIbLb1EESY_IbLb0EEEEDaSU_SV_EUlSU_E_NS1_11comp_targetILNS1_3genE9ELNS1_11target_archE1100ELNS1_3gpuE3ELNS1_3repE0EEENS1_30default_config_static_selectorELNS0_4arch9wavefront6targetE0EEEvT1_ ; -- Begin function _ZN7rocprim17ROCPRIM_400000_NS6detail17trampoline_kernelINS0_14default_configENS1_27scan_by_key_config_selectorIssEEZZNS1_16scan_by_key_implILNS1_25lookback_scan_determinismE0ELb1ES3_N6thrust23THRUST_200600_302600_NS6detail15normal_iteratorINS9_10device_ptrIsEEEESE_SE_sNS9_10multipliesIsEENS9_8equal_toIsEEsEE10hipError_tPvRmT2_T3_T4_T5_mT6_T7_P12ihipStream_tbENKUlT_T0_E_clISt17integral_constantIbLb1EESY_IbLb0EEEEDaSU_SV_EUlSU_E_NS1_11comp_targetILNS1_3genE9ELNS1_11target_archE1100ELNS1_3gpuE3ELNS1_3repE0EEENS1_30default_config_static_selectorELNS0_4arch9wavefront6targetE0EEEvT1_
	.globl	_ZN7rocprim17ROCPRIM_400000_NS6detail17trampoline_kernelINS0_14default_configENS1_27scan_by_key_config_selectorIssEEZZNS1_16scan_by_key_implILNS1_25lookback_scan_determinismE0ELb1ES3_N6thrust23THRUST_200600_302600_NS6detail15normal_iteratorINS9_10device_ptrIsEEEESE_SE_sNS9_10multipliesIsEENS9_8equal_toIsEEsEE10hipError_tPvRmT2_T3_T4_T5_mT6_T7_P12ihipStream_tbENKUlT_T0_E_clISt17integral_constantIbLb1EESY_IbLb0EEEEDaSU_SV_EUlSU_E_NS1_11comp_targetILNS1_3genE9ELNS1_11target_archE1100ELNS1_3gpuE3ELNS1_3repE0EEENS1_30default_config_static_selectorELNS0_4arch9wavefront6targetE0EEEvT1_
	.p2align	8
	.type	_ZN7rocprim17ROCPRIM_400000_NS6detail17trampoline_kernelINS0_14default_configENS1_27scan_by_key_config_selectorIssEEZZNS1_16scan_by_key_implILNS1_25lookback_scan_determinismE0ELb1ES3_N6thrust23THRUST_200600_302600_NS6detail15normal_iteratorINS9_10device_ptrIsEEEESE_SE_sNS9_10multipliesIsEENS9_8equal_toIsEEsEE10hipError_tPvRmT2_T3_T4_T5_mT6_T7_P12ihipStream_tbENKUlT_T0_E_clISt17integral_constantIbLb1EESY_IbLb0EEEEDaSU_SV_EUlSU_E_NS1_11comp_targetILNS1_3genE9ELNS1_11target_archE1100ELNS1_3gpuE3ELNS1_3repE0EEENS1_30default_config_static_selectorELNS0_4arch9wavefront6targetE0EEEvT1_,@function
_ZN7rocprim17ROCPRIM_400000_NS6detail17trampoline_kernelINS0_14default_configENS1_27scan_by_key_config_selectorIssEEZZNS1_16scan_by_key_implILNS1_25lookback_scan_determinismE0ELb1ES3_N6thrust23THRUST_200600_302600_NS6detail15normal_iteratorINS9_10device_ptrIsEEEESE_SE_sNS9_10multipliesIsEENS9_8equal_toIsEEsEE10hipError_tPvRmT2_T3_T4_T5_mT6_T7_P12ihipStream_tbENKUlT_T0_E_clISt17integral_constantIbLb1EESY_IbLb0EEEEDaSU_SV_EUlSU_E_NS1_11comp_targetILNS1_3genE9ELNS1_11target_archE1100ELNS1_3gpuE3ELNS1_3repE0EEENS1_30default_config_static_selectorELNS0_4arch9wavefront6targetE0EEEvT1_: ; @_ZN7rocprim17ROCPRIM_400000_NS6detail17trampoline_kernelINS0_14default_configENS1_27scan_by_key_config_selectorIssEEZZNS1_16scan_by_key_implILNS1_25lookback_scan_determinismE0ELb1ES3_N6thrust23THRUST_200600_302600_NS6detail15normal_iteratorINS9_10device_ptrIsEEEESE_SE_sNS9_10multipliesIsEENS9_8equal_toIsEEsEE10hipError_tPvRmT2_T3_T4_T5_mT6_T7_P12ihipStream_tbENKUlT_T0_E_clISt17integral_constantIbLb1EESY_IbLb0EEEEDaSU_SV_EUlSU_E_NS1_11comp_targetILNS1_3genE9ELNS1_11target_archE1100ELNS1_3gpuE3ELNS1_3repE0EEENS1_30default_config_static_selectorELNS0_4arch9wavefront6targetE0EEEvT1_
; %bb.0:
	.section	.rodata,"a",@progbits
	.p2align	6, 0x0
	.amdhsa_kernel _ZN7rocprim17ROCPRIM_400000_NS6detail17trampoline_kernelINS0_14default_configENS1_27scan_by_key_config_selectorIssEEZZNS1_16scan_by_key_implILNS1_25lookback_scan_determinismE0ELb1ES3_N6thrust23THRUST_200600_302600_NS6detail15normal_iteratorINS9_10device_ptrIsEEEESE_SE_sNS9_10multipliesIsEENS9_8equal_toIsEEsEE10hipError_tPvRmT2_T3_T4_T5_mT6_T7_P12ihipStream_tbENKUlT_T0_E_clISt17integral_constantIbLb1EESY_IbLb0EEEEDaSU_SV_EUlSU_E_NS1_11comp_targetILNS1_3genE9ELNS1_11target_archE1100ELNS1_3gpuE3ELNS1_3repE0EEENS1_30default_config_static_selectorELNS0_4arch9wavefront6targetE0EEEvT1_
		.amdhsa_group_segment_fixed_size 0
		.amdhsa_private_segment_fixed_size 0
		.amdhsa_kernarg_size 112
		.amdhsa_user_sgpr_count 6
		.amdhsa_user_sgpr_private_segment_buffer 1
		.amdhsa_user_sgpr_dispatch_ptr 0
		.amdhsa_user_sgpr_queue_ptr 0
		.amdhsa_user_sgpr_kernarg_segment_ptr 1
		.amdhsa_user_sgpr_dispatch_id 0
		.amdhsa_user_sgpr_flat_scratch_init 0
		.amdhsa_user_sgpr_private_segment_size 0
		.amdhsa_wavefront_size32 1
		.amdhsa_uses_dynamic_stack 0
		.amdhsa_system_sgpr_private_segment_wavefront_offset 0
		.amdhsa_system_sgpr_workgroup_id_x 1
		.amdhsa_system_sgpr_workgroup_id_y 0
		.amdhsa_system_sgpr_workgroup_id_z 0
		.amdhsa_system_sgpr_workgroup_info 0
		.amdhsa_system_vgpr_workitem_id 0
		.amdhsa_next_free_vgpr 1
		.amdhsa_next_free_sgpr 1
		.amdhsa_reserve_vcc 0
		.amdhsa_reserve_flat_scratch 0
		.amdhsa_float_round_mode_32 0
		.amdhsa_float_round_mode_16_64 0
		.amdhsa_float_denorm_mode_32 3
		.amdhsa_float_denorm_mode_16_64 3
		.amdhsa_dx10_clamp 1
		.amdhsa_ieee_mode 1
		.amdhsa_fp16_overflow 0
		.amdhsa_workgroup_processor_mode 1
		.amdhsa_memory_ordered 1
		.amdhsa_forward_progress 1
		.amdhsa_shared_vgpr_count 0
		.amdhsa_exception_fp_ieee_invalid_op 0
		.amdhsa_exception_fp_denorm_src 0
		.amdhsa_exception_fp_ieee_div_zero 0
		.amdhsa_exception_fp_ieee_overflow 0
		.amdhsa_exception_fp_ieee_underflow 0
		.amdhsa_exception_fp_ieee_inexact 0
		.amdhsa_exception_int_div_zero 0
	.end_amdhsa_kernel
	.section	.text._ZN7rocprim17ROCPRIM_400000_NS6detail17trampoline_kernelINS0_14default_configENS1_27scan_by_key_config_selectorIssEEZZNS1_16scan_by_key_implILNS1_25lookback_scan_determinismE0ELb1ES3_N6thrust23THRUST_200600_302600_NS6detail15normal_iteratorINS9_10device_ptrIsEEEESE_SE_sNS9_10multipliesIsEENS9_8equal_toIsEEsEE10hipError_tPvRmT2_T3_T4_T5_mT6_T7_P12ihipStream_tbENKUlT_T0_E_clISt17integral_constantIbLb1EESY_IbLb0EEEEDaSU_SV_EUlSU_E_NS1_11comp_targetILNS1_3genE9ELNS1_11target_archE1100ELNS1_3gpuE3ELNS1_3repE0EEENS1_30default_config_static_selectorELNS0_4arch9wavefront6targetE0EEEvT1_,"axG",@progbits,_ZN7rocprim17ROCPRIM_400000_NS6detail17trampoline_kernelINS0_14default_configENS1_27scan_by_key_config_selectorIssEEZZNS1_16scan_by_key_implILNS1_25lookback_scan_determinismE0ELb1ES3_N6thrust23THRUST_200600_302600_NS6detail15normal_iteratorINS9_10device_ptrIsEEEESE_SE_sNS9_10multipliesIsEENS9_8equal_toIsEEsEE10hipError_tPvRmT2_T3_T4_T5_mT6_T7_P12ihipStream_tbENKUlT_T0_E_clISt17integral_constantIbLb1EESY_IbLb0EEEEDaSU_SV_EUlSU_E_NS1_11comp_targetILNS1_3genE9ELNS1_11target_archE1100ELNS1_3gpuE3ELNS1_3repE0EEENS1_30default_config_static_selectorELNS0_4arch9wavefront6targetE0EEEvT1_,comdat
.Lfunc_end630:
	.size	_ZN7rocprim17ROCPRIM_400000_NS6detail17trampoline_kernelINS0_14default_configENS1_27scan_by_key_config_selectorIssEEZZNS1_16scan_by_key_implILNS1_25lookback_scan_determinismE0ELb1ES3_N6thrust23THRUST_200600_302600_NS6detail15normal_iteratorINS9_10device_ptrIsEEEESE_SE_sNS9_10multipliesIsEENS9_8equal_toIsEEsEE10hipError_tPvRmT2_T3_T4_T5_mT6_T7_P12ihipStream_tbENKUlT_T0_E_clISt17integral_constantIbLb1EESY_IbLb0EEEEDaSU_SV_EUlSU_E_NS1_11comp_targetILNS1_3genE9ELNS1_11target_archE1100ELNS1_3gpuE3ELNS1_3repE0EEENS1_30default_config_static_selectorELNS0_4arch9wavefront6targetE0EEEvT1_, .Lfunc_end630-_ZN7rocprim17ROCPRIM_400000_NS6detail17trampoline_kernelINS0_14default_configENS1_27scan_by_key_config_selectorIssEEZZNS1_16scan_by_key_implILNS1_25lookback_scan_determinismE0ELb1ES3_N6thrust23THRUST_200600_302600_NS6detail15normal_iteratorINS9_10device_ptrIsEEEESE_SE_sNS9_10multipliesIsEENS9_8equal_toIsEEsEE10hipError_tPvRmT2_T3_T4_T5_mT6_T7_P12ihipStream_tbENKUlT_T0_E_clISt17integral_constantIbLb1EESY_IbLb0EEEEDaSU_SV_EUlSU_E_NS1_11comp_targetILNS1_3genE9ELNS1_11target_archE1100ELNS1_3gpuE3ELNS1_3repE0EEENS1_30default_config_static_selectorELNS0_4arch9wavefront6targetE0EEEvT1_
                                        ; -- End function
	.set _ZN7rocprim17ROCPRIM_400000_NS6detail17trampoline_kernelINS0_14default_configENS1_27scan_by_key_config_selectorIssEEZZNS1_16scan_by_key_implILNS1_25lookback_scan_determinismE0ELb1ES3_N6thrust23THRUST_200600_302600_NS6detail15normal_iteratorINS9_10device_ptrIsEEEESE_SE_sNS9_10multipliesIsEENS9_8equal_toIsEEsEE10hipError_tPvRmT2_T3_T4_T5_mT6_T7_P12ihipStream_tbENKUlT_T0_E_clISt17integral_constantIbLb1EESY_IbLb0EEEEDaSU_SV_EUlSU_E_NS1_11comp_targetILNS1_3genE9ELNS1_11target_archE1100ELNS1_3gpuE3ELNS1_3repE0EEENS1_30default_config_static_selectorELNS0_4arch9wavefront6targetE0EEEvT1_.num_vgpr, 0
	.set _ZN7rocprim17ROCPRIM_400000_NS6detail17trampoline_kernelINS0_14default_configENS1_27scan_by_key_config_selectorIssEEZZNS1_16scan_by_key_implILNS1_25lookback_scan_determinismE0ELb1ES3_N6thrust23THRUST_200600_302600_NS6detail15normal_iteratorINS9_10device_ptrIsEEEESE_SE_sNS9_10multipliesIsEENS9_8equal_toIsEEsEE10hipError_tPvRmT2_T3_T4_T5_mT6_T7_P12ihipStream_tbENKUlT_T0_E_clISt17integral_constantIbLb1EESY_IbLb0EEEEDaSU_SV_EUlSU_E_NS1_11comp_targetILNS1_3genE9ELNS1_11target_archE1100ELNS1_3gpuE3ELNS1_3repE0EEENS1_30default_config_static_selectorELNS0_4arch9wavefront6targetE0EEEvT1_.num_agpr, 0
	.set _ZN7rocprim17ROCPRIM_400000_NS6detail17trampoline_kernelINS0_14default_configENS1_27scan_by_key_config_selectorIssEEZZNS1_16scan_by_key_implILNS1_25lookback_scan_determinismE0ELb1ES3_N6thrust23THRUST_200600_302600_NS6detail15normal_iteratorINS9_10device_ptrIsEEEESE_SE_sNS9_10multipliesIsEENS9_8equal_toIsEEsEE10hipError_tPvRmT2_T3_T4_T5_mT6_T7_P12ihipStream_tbENKUlT_T0_E_clISt17integral_constantIbLb1EESY_IbLb0EEEEDaSU_SV_EUlSU_E_NS1_11comp_targetILNS1_3genE9ELNS1_11target_archE1100ELNS1_3gpuE3ELNS1_3repE0EEENS1_30default_config_static_selectorELNS0_4arch9wavefront6targetE0EEEvT1_.numbered_sgpr, 0
	.set _ZN7rocprim17ROCPRIM_400000_NS6detail17trampoline_kernelINS0_14default_configENS1_27scan_by_key_config_selectorIssEEZZNS1_16scan_by_key_implILNS1_25lookback_scan_determinismE0ELb1ES3_N6thrust23THRUST_200600_302600_NS6detail15normal_iteratorINS9_10device_ptrIsEEEESE_SE_sNS9_10multipliesIsEENS9_8equal_toIsEEsEE10hipError_tPvRmT2_T3_T4_T5_mT6_T7_P12ihipStream_tbENKUlT_T0_E_clISt17integral_constantIbLb1EESY_IbLb0EEEEDaSU_SV_EUlSU_E_NS1_11comp_targetILNS1_3genE9ELNS1_11target_archE1100ELNS1_3gpuE3ELNS1_3repE0EEENS1_30default_config_static_selectorELNS0_4arch9wavefront6targetE0EEEvT1_.num_named_barrier, 0
	.set _ZN7rocprim17ROCPRIM_400000_NS6detail17trampoline_kernelINS0_14default_configENS1_27scan_by_key_config_selectorIssEEZZNS1_16scan_by_key_implILNS1_25lookback_scan_determinismE0ELb1ES3_N6thrust23THRUST_200600_302600_NS6detail15normal_iteratorINS9_10device_ptrIsEEEESE_SE_sNS9_10multipliesIsEENS9_8equal_toIsEEsEE10hipError_tPvRmT2_T3_T4_T5_mT6_T7_P12ihipStream_tbENKUlT_T0_E_clISt17integral_constantIbLb1EESY_IbLb0EEEEDaSU_SV_EUlSU_E_NS1_11comp_targetILNS1_3genE9ELNS1_11target_archE1100ELNS1_3gpuE3ELNS1_3repE0EEENS1_30default_config_static_selectorELNS0_4arch9wavefront6targetE0EEEvT1_.private_seg_size, 0
	.set _ZN7rocprim17ROCPRIM_400000_NS6detail17trampoline_kernelINS0_14default_configENS1_27scan_by_key_config_selectorIssEEZZNS1_16scan_by_key_implILNS1_25lookback_scan_determinismE0ELb1ES3_N6thrust23THRUST_200600_302600_NS6detail15normal_iteratorINS9_10device_ptrIsEEEESE_SE_sNS9_10multipliesIsEENS9_8equal_toIsEEsEE10hipError_tPvRmT2_T3_T4_T5_mT6_T7_P12ihipStream_tbENKUlT_T0_E_clISt17integral_constantIbLb1EESY_IbLb0EEEEDaSU_SV_EUlSU_E_NS1_11comp_targetILNS1_3genE9ELNS1_11target_archE1100ELNS1_3gpuE3ELNS1_3repE0EEENS1_30default_config_static_selectorELNS0_4arch9wavefront6targetE0EEEvT1_.uses_vcc, 0
	.set _ZN7rocprim17ROCPRIM_400000_NS6detail17trampoline_kernelINS0_14default_configENS1_27scan_by_key_config_selectorIssEEZZNS1_16scan_by_key_implILNS1_25lookback_scan_determinismE0ELb1ES3_N6thrust23THRUST_200600_302600_NS6detail15normal_iteratorINS9_10device_ptrIsEEEESE_SE_sNS9_10multipliesIsEENS9_8equal_toIsEEsEE10hipError_tPvRmT2_T3_T4_T5_mT6_T7_P12ihipStream_tbENKUlT_T0_E_clISt17integral_constantIbLb1EESY_IbLb0EEEEDaSU_SV_EUlSU_E_NS1_11comp_targetILNS1_3genE9ELNS1_11target_archE1100ELNS1_3gpuE3ELNS1_3repE0EEENS1_30default_config_static_selectorELNS0_4arch9wavefront6targetE0EEEvT1_.uses_flat_scratch, 0
	.set _ZN7rocprim17ROCPRIM_400000_NS6detail17trampoline_kernelINS0_14default_configENS1_27scan_by_key_config_selectorIssEEZZNS1_16scan_by_key_implILNS1_25lookback_scan_determinismE0ELb1ES3_N6thrust23THRUST_200600_302600_NS6detail15normal_iteratorINS9_10device_ptrIsEEEESE_SE_sNS9_10multipliesIsEENS9_8equal_toIsEEsEE10hipError_tPvRmT2_T3_T4_T5_mT6_T7_P12ihipStream_tbENKUlT_T0_E_clISt17integral_constantIbLb1EESY_IbLb0EEEEDaSU_SV_EUlSU_E_NS1_11comp_targetILNS1_3genE9ELNS1_11target_archE1100ELNS1_3gpuE3ELNS1_3repE0EEENS1_30default_config_static_selectorELNS0_4arch9wavefront6targetE0EEEvT1_.has_dyn_sized_stack, 0
	.set _ZN7rocprim17ROCPRIM_400000_NS6detail17trampoline_kernelINS0_14default_configENS1_27scan_by_key_config_selectorIssEEZZNS1_16scan_by_key_implILNS1_25lookback_scan_determinismE0ELb1ES3_N6thrust23THRUST_200600_302600_NS6detail15normal_iteratorINS9_10device_ptrIsEEEESE_SE_sNS9_10multipliesIsEENS9_8equal_toIsEEsEE10hipError_tPvRmT2_T3_T4_T5_mT6_T7_P12ihipStream_tbENKUlT_T0_E_clISt17integral_constantIbLb1EESY_IbLb0EEEEDaSU_SV_EUlSU_E_NS1_11comp_targetILNS1_3genE9ELNS1_11target_archE1100ELNS1_3gpuE3ELNS1_3repE0EEENS1_30default_config_static_selectorELNS0_4arch9wavefront6targetE0EEEvT1_.has_recursion, 0
	.set _ZN7rocprim17ROCPRIM_400000_NS6detail17trampoline_kernelINS0_14default_configENS1_27scan_by_key_config_selectorIssEEZZNS1_16scan_by_key_implILNS1_25lookback_scan_determinismE0ELb1ES3_N6thrust23THRUST_200600_302600_NS6detail15normal_iteratorINS9_10device_ptrIsEEEESE_SE_sNS9_10multipliesIsEENS9_8equal_toIsEEsEE10hipError_tPvRmT2_T3_T4_T5_mT6_T7_P12ihipStream_tbENKUlT_T0_E_clISt17integral_constantIbLb1EESY_IbLb0EEEEDaSU_SV_EUlSU_E_NS1_11comp_targetILNS1_3genE9ELNS1_11target_archE1100ELNS1_3gpuE3ELNS1_3repE0EEENS1_30default_config_static_selectorELNS0_4arch9wavefront6targetE0EEEvT1_.has_indirect_call, 0
	.section	.AMDGPU.csdata,"",@progbits
; Kernel info:
; codeLenInByte = 0
; TotalNumSgprs: 0
; NumVgprs: 0
; ScratchSize: 0
; MemoryBound: 0
; FloatMode: 240
; IeeeMode: 1
; LDSByteSize: 0 bytes/workgroup (compile time only)
; SGPRBlocks: 0
; VGPRBlocks: 0
; NumSGPRsForWavesPerEU: 1
; NumVGPRsForWavesPerEU: 1
; Occupancy: 16
; WaveLimiterHint : 0
; COMPUTE_PGM_RSRC2:SCRATCH_EN: 0
; COMPUTE_PGM_RSRC2:USER_SGPR: 6
; COMPUTE_PGM_RSRC2:TRAP_HANDLER: 0
; COMPUTE_PGM_RSRC2:TGID_X_EN: 1
; COMPUTE_PGM_RSRC2:TGID_Y_EN: 0
; COMPUTE_PGM_RSRC2:TGID_Z_EN: 0
; COMPUTE_PGM_RSRC2:TIDIG_COMP_CNT: 0
	.section	.text._ZN7rocprim17ROCPRIM_400000_NS6detail17trampoline_kernelINS0_14default_configENS1_27scan_by_key_config_selectorIssEEZZNS1_16scan_by_key_implILNS1_25lookback_scan_determinismE0ELb1ES3_N6thrust23THRUST_200600_302600_NS6detail15normal_iteratorINS9_10device_ptrIsEEEESE_SE_sNS9_10multipliesIsEENS9_8equal_toIsEEsEE10hipError_tPvRmT2_T3_T4_T5_mT6_T7_P12ihipStream_tbENKUlT_T0_E_clISt17integral_constantIbLb1EESY_IbLb0EEEEDaSU_SV_EUlSU_E_NS1_11comp_targetILNS1_3genE8ELNS1_11target_archE1030ELNS1_3gpuE2ELNS1_3repE0EEENS1_30default_config_static_selectorELNS0_4arch9wavefront6targetE0EEEvT1_,"axG",@progbits,_ZN7rocprim17ROCPRIM_400000_NS6detail17trampoline_kernelINS0_14default_configENS1_27scan_by_key_config_selectorIssEEZZNS1_16scan_by_key_implILNS1_25lookback_scan_determinismE0ELb1ES3_N6thrust23THRUST_200600_302600_NS6detail15normal_iteratorINS9_10device_ptrIsEEEESE_SE_sNS9_10multipliesIsEENS9_8equal_toIsEEsEE10hipError_tPvRmT2_T3_T4_T5_mT6_T7_P12ihipStream_tbENKUlT_T0_E_clISt17integral_constantIbLb1EESY_IbLb0EEEEDaSU_SV_EUlSU_E_NS1_11comp_targetILNS1_3genE8ELNS1_11target_archE1030ELNS1_3gpuE2ELNS1_3repE0EEENS1_30default_config_static_selectorELNS0_4arch9wavefront6targetE0EEEvT1_,comdat
	.protected	_ZN7rocprim17ROCPRIM_400000_NS6detail17trampoline_kernelINS0_14default_configENS1_27scan_by_key_config_selectorIssEEZZNS1_16scan_by_key_implILNS1_25lookback_scan_determinismE0ELb1ES3_N6thrust23THRUST_200600_302600_NS6detail15normal_iteratorINS9_10device_ptrIsEEEESE_SE_sNS9_10multipliesIsEENS9_8equal_toIsEEsEE10hipError_tPvRmT2_T3_T4_T5_mT6_T7_P12ihipStream_tbENKUlT_T0_E_clISt17integral_constantIbLb1EESY_IbLb0EEEEDaSU_SV_EUlSU_E_NS1_11comp_targetILNS1_3genE8ELNS1_11target_archE1030ELNS1_3gpuE2ELNS1_3repE0EEENS1_30default_config_static_selectorELNS0_4arch9wavefront6targetE0EEEvT1_ ; -- Begin function _ZN7rocprim17ROCPRIM_400000_NS6detail17trampoline_kernelINS0_14default_configENS1_27scan_by_key_config_selectorIssEEZZNS1_16scan_by_key_implILNS1_25lookback_scan_determinismE0ELb1ES3_N6thrust23THRUST_200600_302600_NS6detail15normal_iteratorINS9_10device_ptrIsEEEESE_SE_sNS9_10multipliesIsEENS9_8equal_toIsEEsEE10hipError_tPvRmT2_T3_T4_T5_mT6_T7_P12ihipStream_tbENKUlT_T0_E_clISt17integral_constantIbLb1EESY_IbLb0EEEEDaSU_SV_EUlSU_E_NS1_11comp_targetILNS1_3genE8ELNS1_11target_archE1030ELNS1_3gpuE2ELNS1_3repE0EEENS1_30default_config_static_selectorELNS0_4arch9wavefront6targetE0EEEvT1_
	.globl	_ZN7rocprim17ROCPRIM_400000_NS6detail17trampoline_kernelINS0_14default_configENS1_27scan_by_key_config_selectorIssEEZZNS1_16scan_by_key_implILNS1_25lookback_scan_determinismE0ELb1ES3_N6thrust23THRUST_200600_302600_NS6detail15normal_iteratorINS9_10device_ptrIsEEEESE_SE_sNS9_10multipliesIsEENS9_8equal_toIsEEsEE10hipError_tPvRmT2_T3_T4_T5_mT6_T7_P12ihipStream_tbENKUlT_T0_E_clISt17integral_constantIbLb1EESY_IbLb0EEEEDaSU_SV_EUlSU_E_NS1_11comp_targetILNS1_3genE8ELNS1_11target_archE1030ELNS1_3gpuE2ELNS1_3repE0EEENS1_30default_config_static_selectorELNS0_4arch9wavefront6targetE0EEEvT1_
	.p2align	8
	.type	_ZN7rocprim17ROCPRIM_400000_NS6detail17trampoline_kernelINS0_14default_configENS1_27scan_by_key_config_selectorIssEEZZNS1_16scan_by_key_implILNS1_25lookback_scan_determinismE0ELb1ES3_N6thrust23THRUST_200600_302600_NS6detail15normal_iteratorINS9_10device_ptrIsEEEESE_SE_sNS9_10multipliesIsEENS9_8equal_toIsEEsEE10hipError_tPvRmT2_T3_T4_T5_mT6_T7_P12ihipStream_tbENKUlT_T0_E_clISt17integral_constantIbLb1EESY_IbLb0EEEEDaSU_SV_EUlSU_E_NS1_11comp_targetILNS1_3genE8ELNS1_11target_archE1030ELNS1_3gpuE2ELNS1_3repE0EEENS1_30default_config_static_selectorELNS0_4arch9wavefront6targetE0EEEvT1_,@function
_ZN7rocprim17ROCPRIM_400000_NS6detail17trampoline_kernelINS0_14default_configENS1_27scan_by_key_config_selectorIssEEZZNS1_16scan_by_key_implILNS1_25lookback_scan_determinismE0ELb1ES3_N6thrust23THRUST_200600_302600_NS6detail15normal_iteratorINS9_10device_ptrIsEEEESE_SE_sNS9_10multipliesIsEENS9_8equal_toIsEEsEE10hipError_tPvRmT2_T3_T4_T5_mT6_T7_P12ihipStream_tbENKUlT_T0_E_clISt17integral_constantIbLb1EESY_IbLb0EEEEDaSU_SV_EUlSU_E_NS1_11comp_targetILNS1_3genE8ELNS1_11target_archE1030ELNS1_3gpuE2ELNS1_3repE0EEENS1_30default_config_static_selectorELNS0_4arch9wavefront6targetE0EEEvT1_: ; @_ZN7rocprim17ROCPRIM_400000_NS6detail17trampoline_kernelINS0_14default_configENS1_27scan_by_key_config_selectorIssEEZZNS1_16scan_by_key_implILNS1_25lookback_scan_determinismE0ELb1ES3_N6thrust23THRUST_200600_302600_NS6detail15normal_iteratorINS9_10device_ptrIsEEEESE_SE_sNS9_10multipliesIsEENS9_8equal_toIsEEsEE10hipError_tPvRmT2_T3_T4_T5_mT6_T7_P12ihipStream_tbENKUlT_T0_E_clISt17integral_constantIbLb1EESY_IbLb0EEEEDaSU_SV_EUlSU_E_NS1_11comp_targetILNS1_3genE8ELNS1_11target_archE1030ELNS1_3gpuE2ELNS1_3repE0EEENS1_30default_config_static_selectorELNS0_4arch9wavefront6targetE0EEEvT1_
; %bb.0:
	s_endpgm
	.section	.rodata,"a",@progbits
	.p2align	6, 0x0
	.amdhsa_kernel _ZN7rocprim17ROCPRIM_400000_NS6detail17trampoline_kernelINS0_14default_configENS1_27scan_by_key_config_selectorIssEEZZNS1_16scan_by_key_implILNS1_25lookback_scan_determinismE0ELb1ES3_N6thrust23THRUST_200600_302600_NS6detail15normal_iteratorINS9_10device_ptrIsEEEESE_SE_sNS9_10multipliesIsEENS9_8equal_toIsEEsEE10hipError_tPvRmT2_T3_T4_T5_mT6_T7_P12ihipStream_tbENKUlT_T0_E_clISt17integral_constantIbLb1EESY_IbLb0EEEEDaSU_SV_EUlSU_E_NS1_11comp_targetILNS1_3genE8ELNS1_11target_archE1030ELNS1_3gpuE2ELNS1_3repE0EEENS1_30default_config_static_selectorELNS0_4arch9wavefront6targetE0EEEvT1_
		.amdhsa_group_segment_fixed_size 0
		.amdhsa_private_segment_fixed_size 0
		.amdhsa_kernarg_size 112
		.amdhsa_user_sgpr_count 6
		.amdhsa_user_sgpr_private_segment_buffer 1
		.amdhsa_user_sgpr_dispatch_ptr 0
		.amdhsa_user_sgpr_queue_ptr 0
		.amdhsa_user_sgpr_kernarg_segment_ptr 1
		.amdhsa_user_sgpr_dispatch_id 0
		.amdhsa_user_sgpr_flat_scratch_init 0
		.amdhsa_user_sgpr_private_segment_size 0
		.amdhsa_wavefront_size32 1
		.amdhsa_uses_dynamic_stack 0
		.amdhsa_system_sgpr_private_segment_wavefront_offset 0
		.amdhsa_system_sgpr_workgroup_id_x 1
		.amdhsa_system_sgpr_workgroup_id_y 0
		.amdhsa_system_sgpr_workgroup_id_z 0
		.amdhsa_system_sgpr_workgroup_info 0
		.amdhsa_system_vgpr_workitem_id 0
		.amdhsa_next_free_vgpr 1
		.amdhsa_next_free_sgpr 1
		.amdhsa_reserve_vcc 0
		.amdhsa_reserve_flat_scratch 0
		.amdhsa_float_round_mode_32 0
		.amdhsa_float_round_mode_16_64 0
		.amdhsa_float_denorm_mode_32 3
		.amdhsa_float_denorm_mode_16_64 3
		.amdhsa_dx10_clamp 1
		.amdhsa_ieee_mode 1
		.amdhsa_fp16_overflow 0
		.amdhsa_workgroup_processor_mode 1
		.amdhsa_memory_ordered 1
		.amdhsa_forward_progress 1
		.amdhsa_shared_vgpr_count 0
		.amdhsa_exception_fp_ieee_invalid_op 0
		.amdhsa_exception_fp_denorm_src 0
		.amdhsa_exception_fp_ieee_div_zero 0
		.amdhsa_exception_fp_ieee_overflow 0
		.amdhsa_exception_fp_ieee_underflow 0
		.amdhsa_exception_fp_ieee_inexact 0
		.amdhsa_exception_int_div_zero 0
	.end_amdhsa_kernel
	.section	.text._ZN7rocprim17ROCPRIM_400000_NS6detail17trampoline_kernelINS0_14default_configENS1_27scan_by_key_config_selectorIssEEZZNS1_16scan_by_key_implILNS1_25lookback_scan_determinismE0ELb1ES3_N6thrust23THRUST_200600_302600_NS6detail15normal_iteratorINS9_10device_ptrIsEEEESE_SE_sNS9_10multipliesIsEENS9_8equal_toIsEEsEE10hipError_tPvRmT2_T3_T4_T5_mT6_T7_P12ihipStream_tbENKUlT_T0_E_clISt17integral_constantIbLb1EESY_IbLb0EEEEDaSU_SV_EUlSU_E_NS1_11comp_targetILNS1_3genE8ELNS1_11target_archE1030ELNS1_3gpuE2ELNS1_3repE0EEENS1_30default_config_static_selectorELNS0_4arch9wavefront6targetE0EEEvT1_,"axG",@progbits,_ZN7rocprim17ROCPRIM_400000_NS6detail17trampoline_kernelINS0_14default_configENS1_27scan_by_key_config_selectorIssEEZZNS1_16scan_by_key_implILNS1_25lookback_scan_determinismE0ELb1ES3_N6thrust23THRUST_200600_302600_NS6detail15normal_iteratorINS9_10device_ptrIsEEEESE_SE_sNS9_10multipliesIsEENS9_8equal_toIsEEsEE10hipError_tPvRmT2_T3_T4_T5_mT6_T7_P12ihipStream_tbENKUlT_T0_E_clISt17integral_constantIbLb1EESY_IbLb0EEEEDaSU_SV_EUlSU_E_NS1_11comp_targetILNS1_3genE8ELNS1_11target_archE1030ELNS1_3gpuE2ELNS1_3repE0EEENS1_30default_config_static_selectorELNS0_4arch9wavefront6targetE0EEEvT1_,comdat
.Lfunc_end631:
	.size	_ZN7rocprim17ROCPRIM_400000_NS6detail17trampoline_kernelINS0_14default_configENS1_27scan_by_key_config_selectorIssEEZZNS1_16scan_by_key_implILNS1_25lookback_scan_determinismE0ELb1ES3_N6thrust23THRUST_200600_302600_NS6detail15normal_iteratorINS9_10device_ptrIsEEEESE_SE_sNS9_10multipliesIsEENS9_8equal_toIsEEsEE10hipError_tPvRmT2_T3_T4_T5_mT6_T7_P12ihipStream_tbENKUlT_T0_E_clISt17integral_constantIbLb1EESY_IbLb0EEEEDaSU_SV_EUlSU_E_NS1_11comp_targetILNS1_3genE8ELNS1_11target_archE1030ELNS1_3gpuE2ELNS1_3repE0EEENS1_30default_config_static_selectorELNS0_4arch9wavefront6targetE0EEEvT1_, .Lfunc_end631-_ZN7rocprim17ROCPRIM_400000_NS6detail17trampoline_kernelINS0_14default_configENS1_27scan_by_key_config_selectorIssEEZZNS1_16scan_by_key_implILNS1_25lookback_scan_determinismE0ELb1ES3_N6thrust23THRUST_200600_302600_NS6detail15normal_iteratorINS9_10device_ptrIsEEEESE_SE_sNS9_10multipliesIsEENS9_8equal_toIsEEsEE10hipError_tPvRmT2_T3_T4_T5_mT6_T7_P12ihipStream_tbENKUlT_T0_E_clISt17integral_constantIbLb1EESY_IbLb0EEEEDaSU_SV_EUlSU_E_NS1_11comp_targetILNS1_3genE8ELNS1_11target_archE1030ELNS1_3gpuE2ELNS1_3repE0EEENS1_30default_config_static_selectorELNS0_4arch9wavefront6targetE0EEEvT1_
                                        ; -- End function
	.set _ZN7rocprim17ROCPRIM_400000_NS6detail17trampoline_kernelINS0_14default_configENS1_27scan_by_key_config_selectorIssEEZZNS1_16scan_by_key_implILNS1_25lookback_scan_determinismE0ELb1ES3_N6thrust23THRUST_200600_302600_NS6detail15normal_iteratorINS9_10device_ptrIsEEEESE_SE_sNS9_10multipliesIsEENS9_8equal_toIsEEsEE10hipError_tPvRmT2_T3_T4_T5_mT6_T7_P12ihipStream_tbENKUlT_T0_E_clISt17integral_constantIbLb1EESY_IbLb0EEEEDaSU_SV_EUlSU_E_NS1_11comp_targetILNS1_3genE8ELNS1_11target_archE1030ELNS1_3gpuE2ELNS1_3repE0EEENS1_30default_config_static_selectorELNS0_4arch9wavefront6targetE0EEEvT1_.num_vgpr, 0
	.set _ZN7rocprim17ROCPRIM_400000_NS6detail17trampoline_kernelINS0_14default_configENS1_27scan_by_key_config_selectorIssEEZZNS1_16scan_by_key_implILNS1_25lookback_scan_determinismE0ELb1ES3_N6thrust23THRUST_200600_302600_NS6detail15normal_iteratorINS9_10device_ptrIsEEEESE_SE_sNS9_10multipliesIsEENS9_8equal_toIsEEsEE10hipError_tPvRmT2_T3_T4_T5_mT6_T7_P12ihipStream_tbENKUlT_T0_E_clISt17integral_constantIbLb1EESY_IbLb0EEEEDaSU_SV_EUlSU_E_NS1_11comp_targetILNS1_3genE8ELNS1_11target_archE1030ELNS1_3gpuE2ELNS1_3repE0EEENS1_30default_config_static_selectorELNS0_4arch9wavefront6targetE0EEEvT1_.num_agpr, 0
	.set _ZN7rocprim17ROCPRIM_400000_NS6detail17trampoline_kernelINS0_14default_configENS1_27scan_by_key_config_selectorIssEEZZNS1_16scan_by_key_implILNS1_25lookback_scan_determinismE0ELb1ES3_N6thrust23THRUST_200600_302600_NS6detail15normal_iteratorINS9_10device_ptrIsEEEESE_SE_sNS9_10multipliesIsEENS9_8equal_toIsEEsEE10hipError_tPvRmT2_T3_T4_T5_mT6_T7_P12ihipStream_tbENKUlT_T0_E_clISt17integral_constantIbLb1EESY_IbLb0EEEEDaSU_SV_EUlSU_E_NS1_11comp_targetILNS1_3genE8ELNS1_11target_archE1030ELNS1_3gpuE2ELNS1_3repE0EEENS1_30default_config_static_selectorELNS0_4arch9wavefront6targetE0EEEvT1_.numbered_sgpr, 0
	.set _ZN7rocprim17ROCPRIM_400000_NS6detail17trampoline_kernelINS0_14default_configENS1_27scan_by_key_config_selectorIssEEZZNS1_16scan_by_key_implILNS1_25lookback_scan_determinismE0ELb1ES3_N6thrust23THRUST_200600_302600_NS6detail15normal_iteratorINS9_10device_ptrIsEEEESE_SE_sNS9_10multipliesIsEENS9_8equal_toIsEEsEE10hipError_tPvRmT2_T3_T4_T5_mT6_T7_P12ihipStream_tbENKUlT_T0_E_clISt17integral_constantIbLb1EESY_IbLb0EEEEDaSU_SV_EUlSU_E_NS1_11comp_targetILNS1_3genE8ELNS1_11target_archE1030ELNS1_3gpuE2ELNS1_3repE0EEENS1_30default_config_static_selectorELNS0_4arch9wavefront6targetE0EEEvT1_.num_named_barrier, 0
	.set _ZN7rocprim17ROCPRIM_400000_NS6detail17trampoline_kernelINS0_14default_configENS1_27scan_by_key_config_selectorIssEEZZNS1_16scan_by_key_implILNS1_25lookback_scan_determinismE0ELb1ES3_N6thrust23THRUST_200600_302600_NS6detail15normal_iteratorINS9_10device_ptrIsEEEESE_SE_sNS9_10multipliesIsEENS9_8equal_toIsEEsEE10hipError_tPvRmT2_T3_T4_T5_mT6_T7_P12ihipStream_tbENKUlT_T0_E_clISt17integral_constantIbLb1EESY_IbLb0EEEEDaSU_SV_EUlSU_E_NS1_11comp_targetILNS1_3genE8ELNS1_11target_archE1030ELNS1_3gpuE2ELNS1_3repE0EEENS1_30default_config_static_selectorELNS0_4arch9wavefront6targetE0EEEvT1_.private_seg_size, 0
	.set _ZN7rocprim17ROCPRIM_400000_NS6detail17trampoline_kernelINS0_14default_configENS1_27scan_by_key_config_selectorIssEEZZNS1_16scan_by_key_implILNS1_25lookback_scan_determinismE0ELb1ES3_N6thrust23THRUST_200600_302600_NS6detail15normal_iteratorINS9_10device_ptrIsEEEESE_SE_sNS9_10multipliesIsEENS9_8equal_toIsEEsEE10hipError_tPvRmT2_T3_T4_T5_mT6_T7_P12ihipStream_tbENKUlT_T0_E_clISt17integral_constantIbLb1EESY_IbLb0EEEEDaSU_SV_EUlSU_E_NS1_11comp_targetILNS1_3genE8ELNS1_11target_archE1030ELNS1_3gpuE2ELNS1_3repE0EEENS1_30default_config_static_selectorELNS0_4arch9wavefront6targetE0EEEvT1_.uses_vcc, 0
	.set _ZN7rocprim17ROCPRIM_400000_NS6detail17trampoline_kernelINS0_14default_configENS1_27scan_by_key_config_selectorIssEEZZNS1_16scan_by_key_implILNS1_25lookback_scan_determinismE0ELb1ES3_N6thrust23THRUST_200600_302600_NS6detail15normal_iteratorINS9_10device_ptrIsEEEESE_SE_sNS9_10multipliesIsEENS9_8equal_toIsEEsEE10hipError_tPvRmT2_T3_T4_T5_mT6_T7_P12ihipStream_tbENKUlT_T0_E_clISt17integral_constantIbLb1EESY_IbLb0EEEEDaSU_SV_EUlSU_E_NS1_11comp_targetILNS1_3genE8ELNS1_11target_archE1030ELNS1_3gpuE2ELNS1_3repE0EEENS1_30default_config_static_selectorELNS0_4arch9wavefront6targetE0EEEvT1_.uses_flat_scratch, 0
	.set _ZN7rocprim17ROCPRIM_400000_NS6detail17trampoline_kernelINS0_14default_configENS1_27scan_by_key_config_selectorIssEEZZNS1_16scan_by_key_implILNS1_25lookback_scan_determinismE0ELb1ES3_N6thrust23THRUST_200600_302600_NS6detail15normal_iteratorINS9_10device_ptrIsEEEESE_SE_sNS9_10multipliesIsEENS9_8equal_toIsEEsEE10hipError_tPvRmT2_T3_T4_T5_mT6_T7_P12ihipStream_tbENKUlT_T0_E_clISt17integral_constantIbLb1EESY_IbLb0EEEEDaSU_SV_EUlSU_E_NS1_11comp_targetILNS1_3genE8ELNS1_11target_archE1030ELNS1_3gpuE2ELNS1_3repE0EEENS1_30default_config_static_selectorELNS0_4arch9wavefront6targetE0EEEvT1_.has_dyn_sized_stack, 0
	.set _ZN7rocprim17ROCPRIM_400000_NS6detail17trampoline_kernelINS0_14default_configENS1_27scan_by_key_config_selectorIssEEZZNS1_16scan_by_key_implILNS1_25lookback_scan_determinismE0ELb1ES3_N6thrust23THRUST_200600_302600_NS6detail15normal_iteratorINS9_10device_ptrIsEEEESE_SE_sNS9_10multipliesIsEENS9_8equal_toIsEEsEE10hipError_tPvRmT2_T3_T4_T5_mT6_T7_P12ihipStream_tbENKUlT_T0_E_clISt17integral_constantIbLb1EESY_IbLb0EEEEDaSU_SV_EUlSU_E_NS1_11comp_targetILNS1_3genE8ELNS1_11target_archE1030ELNS1_3gpuE2ELNS1_3repE0EEENS1_30default_config_static_selectorELNS0_4arch9wavefront6targetE0EEEvT1_.has_recursion, 0
	.set _ZN7rocprim17ROCPRIM_400000_NS6detail17trampoline_kernelINS0_14default_configENS1_27scan_by_key_config_selectorIssEEZZNS1_16scan_by_key_implILNS1_25lookback_scan_determinismE0ELb1ES3_N6thrust23THRUST_200600_302600_NS6detail15normal_iteratorINS9_10device_ptrIsEEEESE_SE_sNS9_10multipliesIsEENS9_8equal_toIsEEsEE10hipError_tPvRmT2_T3_T4_T5_mT6_T7_P12ihipStream_tbENKUlT_T0_E_clISt17integral_constantIbLb1EESY_IbLb0EEEEDaSU_SV_EUlSU_E_NS1_11comp_targetILNS1_3genE8ELNS1_11target_archE1030ELNS1_3gpuE2ELNS1_3repE0EEENS1_30default_config_static_selectorELNS0_4arch9wavefront6targetE0EEEvT1_.has_indirect_call, 0
	.section	.AMDGPU.csdata,"",@progbits
; Kernel info:
; codeLenInByte = 4
; TotalNumSgprs: 0
; NumVgprs: 0
; ScratchSize: 0
; MemoryBound: 0
; FloatMode: 240
; IeeeMode: 1
; LDSByteSize: 0 bytes/workgroup (compile time only)
; SGPRBlocks: 0
; VGPRBlocks: 0
; NumSGPRsForWavesPerEU: 1
; NumVGPRsForWavesPerEU: 1
; Occupancy: 16
; WaveLimiterHint : 0
; COMPUTE_PGM_RSRC2:SCRATCH_EN: 0
; COMPUTE_PGM_RSRC2:USER_SGPR: 6
; COMPUTE_PGM_RSRC2:TRAP_HANDLER: 0
; COMPUTE_PGM_RSRC2:TGID_X_EN: 1
; COMPUTE_PGM_RSRC2:TGID_Y_EN: 0
; COMPUTE_PGM_RSRC2:TGID_Z_EN: 0
; COMPUTE_PGM_RSRC2:TIDIG_COMP_CNT: 0
	.section	.text._ZN7rocprim17ROCPRIM_400000_NS6detail17trampoline_kernelINS0_14default_configENS1_27scan_by_key_config_selectorIssEEZZNS1_16scan_by_key_implILNS1_25lookback_scan_determinismE0ELb1ES3_N6thrust23THRUST_200600_302600_NS6detail15normal_iteratorINS9_10device_ptrIsEEEESE_SE_sNS9_10multipliesIsEENS9_8equal_toIsEEsEE10hipError_tPvRmT2_T3_T4_T5_mT6_T7_P12ihipStream_tbENKUlT_T0_E_clISt17integral_constantIbLb0EESY_IbLb1EEEEDaSU_SV_EUlSU_E_NS1_11comp_targetILNS1_3genE0ELNS1_11target_archE4294967295ELNS1_3gpuE0ELNS1_3repE0EEENS1_30default_config_static_selectorELNS0_4arch9wavefront6targetE0EEEvT1_,"axG",@progbits,_ZN7rocprim17ROCPRIM_400000_NS6detail17trampoline_kernelINS0_14default_configENS1_27scan_by_key_config_selectorIssEEZZNS1_16scan_by_key_implILNS1_25lookback_scan_determinismE0ELb1ES3_N6thrust23THRUST_200600_302600_NS6detail15normal_iteratorINS9_10device_ptrIsEEEESE_SE_sNS9_10multipliesIsEENS9_8equal_toIsEEsEE10hipError_tPvRmT2_T3_T4_T5_mT6_T7_P12ihipStream_tbENKUlT_T0_E_clISt17integral_constantIbLb0EESY_IbLb1EEEEDaSU_SV_EUlSU_E_NS1_11comp_targetILNS1_3genE0ELNS1_11target_archE4294967295ELNS1_3gpuE0ELNS1_3repE0EEENS1_30default_config_static_selectorELNS0_4arch9wavefront6targetE0EEEvT1_,comdat
	.protected	_ZN7rocprim17ROCPRIM_400000_NS6detail17trampoline_kernelINS0_14default_configENS1_27scan_by_key_config_selectorIssEEZZNS1_16scan_by_key_implILNS1_25lookback_scan_determinismE0ELb1ES3_N6thrust23THRUST_200600_302600_NS6detail15normal_iteratorINS9_10device_ptrIsEEEESE_SE_sNS9_10multipliesIsEENS9_8equal_toIsEEsEE10hipError_tPvRmT2_T3_T4_T5_mT6_T7_P12ihipStream_tbENKUlT_T0_E_clISt17integral_constantIbLb0EESY_IbLb1EEEEDaSU_SV_EUlSU_E_NS1_11comp_targetILNS1_3genE0ELNS1_11target_archE4294967295ELNS1_3gpuE0ELNS1_3repE0EEENS1_30default_config_static_selectorELNS0_4arch9wavefront6targetE0EEEvT1_ ; -- Begin function _ZN7rocprim17ROCPRIM_400000_NS6detail17trampoline_kernelINS0_14default_configENS1_27scan_by_key_config_selectorIssEEZZNS1_16scan_by_key_implILNS1_25lookback_scan_determinismE0ELb1ES3_N6thrust23THRUST_200600_302600_NS6detail15normal_iteratorINS9_10device_ptrIsEEEESE_SE_sNS9_10multipliesIsEENS9_8equal_toIsEEsEE10hipError_tPvRmT2_T3_T4_T5_mT6_T7_P12ihipStream_tbENKUlT_T0_E_clISt17integral_constantIbLb0EESY_IbLb1EEEEDaSU_SV_EUlSU_E_NS1_11comp_targetILNS1_3genE0ELNS1_11target_archE4294967295ELNS1_3gpuE0ELNS1_3repE0EEENS1_30default_config_static_selectorELNS0_4arch9wavefront6targetE0EEEvT1_
	.globl	_ZN7rocprim17ROCPRIM_400000_NS6detail17trampoline_kernelINS0_14default_configENS1_27scan_by_key_config_selectorIssEEZZNS1_16scan_by_key_implILNS1_25lookback_scan_determinismE0ELb1ES3_N6thrust23THRUST_200600_302600_NS6detail15normal_iteratorINS9_10device_ptrIsEEEESE_SE_sNS9_10multipliesIsEENS9_8equal_toIsEEsEE10hipError_tPvRmT2_T3_T4_T5_mT6_T7_P12ihipStream_tbENKUlT_T0_E_clISt17integral_constantIbLb0EESY_IbLb1EEEEDaSU_SV_EUlSU_E_NS1_11comp_targetILNS1_3genE0ELNS1_11target_archE4294967295ELNS1_3gpuE0ELNS1_3repE0EEENS1_30default_config_static_selectorELNS0_4arch9wavefront6targetE0EEEvT1_
	.p2align	8
	.type	_ZN7rocprim17ROCPRIM_400000_NS6detail17trampoline_kernelINS0_14default_configENS1_27scan_by_key_config_selectorIssEEZZNS1_16scan_by_key_implILNS1_25lookback_scan_determinismE0ELb1ES3_N6thrust23THRUST_200600_302600_NS6detail15normal_iteratorINS9_10device_ptrIsEEEESE_SE_sNS9_10multipliesIsEENS9_8equal_toIsEEsEE10hipError_tPvRmT2_T3_T4_T5_mT6_T7_P12ihipStream_tbENKUlT_T0_E_clISt17integral_constantIbLb0EESY_IbLb1EEEEDaSU_SV_EUlSU_E_NS1_11comp_targetILNS1_3genE0ELNS1_11target_archE4294967295ELNS1_3gpuE0ELNS1_3repE0EEENS1_30default_config_static_selectorELNS0_4arch9wavefront6targetE0EEEvT1_,@function
_ZN7rocprim17ROCPRIM_400000_NS6detail17trampoline_kernelINS0_14default_configENS1_27scan_by_key_config_selectorIssEEZZNS1_16scan_by_key_implILNS1_25lookback_scan_determinismE0ELb1ES3_N6thrust23THRUST_200600_302600_NS6detail15normal_iteratorINS9_10device_ptrIsEEEESE_SE_sNS9_10multipliesIsEENS9_8equal_toIsEEsEE10hipError_tPvRmT2_T3_T4_T5_mT6_T7_P12ihipStream_tbENKUlT_T0_E_clISt17integral_constantIbLb0EESY_IbLb1EEEEDaSU_SV_EUlSU_E_NS1_11comp_targetILNS1_3genE0ELNS1_11target_archE4294967295ELNS1_3gpuE0ELNS1_3repE0EEENS1_30default_config_static_selectorELNS0_4arch9wavefront6targetE0EEEvT1_: ; @_ZN7rocprim17ROCPRIM_400000_NS6detail17trampoline_kernelINS0_14default_configENS1_27scan_by_key_config_selectorIssEEZZNS1_16scan_by_key_implILNS1_25lookback_scan_determinismE0ELb1ES3_N6thrust23THRUST_200600_302600_NS6detail15normal_iteratorINS9_10device_ptrIsEEEESE_SE_sNS9_10multipliesIsEENS9_8equal_toIsEEsEE10hipError_tPvRmT2_T3_T4_T5_mT6_T7_P12ihipStream_tbENKUlT_T0_E_clISt17integral_constantIbLb0EESY_IbLb1EEEEDaSU_SV_EUlSU_E_NS1_11comp_targetILNS1_3genE0ELNS1_11target_archE4294967295ELNS1_3gpuE0ELNS1_3repE0EEENS1_30default_config_static_selectorELNS0_4arch9wavefront6targetE0EEEvT1_
; %bb.0:
	.section	.rodata,"a",@progbits
	.p2align	6, 0x0
	.amdhsa_kernel _ZN7rocprim17ROCPRIM_400000_NS6detail17trampoline_kernelINS0_14default_configENS1_27scan_by_key_config_selectorIssEEZZNS1_16scan_by_key_implILNS1_25lookback_scan_determinismE0ELb1ES3_N6thrust23THRUST_200600_302600_NS6detail15normal_iteratorINS9_10device_ptrIsEEEESE_SE_sNS9_10multipliesIsEENS9_8equal_toIsEEsEE10hipError_tPvRmT2_T3_T4_T5_mT6_T7_P12ihipStream_tbENKUlT_T0_E_clISt17integral_constantIbLb0EESY_IbLb1EEEEDaSU_SV_EUlSU_E_NS1_11comp_targetILNS1_3genE0ELNS1_11target_archE4294967295ELNS1_3gpuE0ELNS1_3repE0EEENS1_30default_config_static_selectorELNS0_4arch9wavefront6targetE0EEEvT1_
		.amdhsa_group_segment_fixed_size 0
		.amdhsa_private_segment_fixed_size 0
		.amdhsa_kernarg_size 112
		.amdhsa_user_sgpr_count 6
		.amdhsa_user_sgpr_private_segment_buffer 1
		.amdhsa_user_sgpr_dispatch_ptr 0
		.amdhsa_user_sgpr_queue_ptr 0
		.amdhsa_user_sgpr_kernarg_segment_ptr 1
		.amdhsa_user_sgpr_dispatch_id 0
		.amdhsa_user_sgpr_flat_scratch_init 0
		.amdhsa_user_sgpr_private_segment_size 0
		.amdhsa_wavefront_size32 1
		.amdhsa_uses_dynamic_stack 0
		.amdhsa_system_sgpr_private_segment_wavefront_offset 0
		.amdhsa_system_sgpr_workgroup_id_x 1
		.amdhsa_system_sgpr_workgroup_id_y 0
		.amdhsa_system_sgpr_workgroup_id_z 0
		.amdhsa_system_sgpr_workgroup_info 0
		.amdhsa_system_vgpr_workitem_id 0
		.amdhsa_next_free_vgpr 1
		.amdhsa_next_free_sgpr 1
		.amdhsa_reserve_vcc 0
		.amdhsa_reserve_flat_scratch 0
		.amdhsa_float_round_mode_32 0
		.amdhsa_float_round_mode_16_64 0
		.amdhsa_float_denorm_mode_32 3
		.amdhsa_float_denorm_mode_16_64 3
		.amdhsa_dx10_clamp 1
		.amdhsa_ieee_mode 1
		.amdhsa_fp16_overflow 0
		.amdhsa_workgroup_processor_mode 1
		.amdhsa_memory_ordered 1
		.amdhsa_forward_progress 1
		.amdhsa_shared_vgpr_count 0
		.amdhsa_exception_fp_ieee_invalid_op 0
		.amdhsa_exception_fp_denorm_src 0
		.amdhsa_exception_fp_ieee_div_zero 0
		.amdhsa_exception_fp_ieee_overflow 0
		.amdhsa_exception_fp_ieee_underflow 0
		.amdhsa_exception_fp_ieee_inexact 0
		.amdhsa_exception_int_div_zero 0
	.end_amdhsa_kernel
	.section	.text._ZN7rocprim17ROCPRIM_400000_NS6detail17trampoline_kernelINS0_14default_configENS1_27scan_by_key_config_selectorIssEEZZNS1_16scan_by_key_implILNS1_25lookback_scan_determinismE0ELb1ES3_N6thrust23THRUST_200600_302600_NS6detail15normal_iteratorINS9_10device_ptrIsEEEESE_SE_sNS9_10multipliesIsEENS9_8equal_toIsEEsEE10hipError_tPvRmT2_T3_T4_T5_mT6_T7_P12ihipStream_tbENKUlT_T0_E_clISt17integral_constantIbLb0EESY_IbLb1EEEEDaSU_SV_EUlSU_E_NS1_11comp_targetILNS1_3genE0ELNS1_11target_archE4294967295ELNS1_3gpuE0ELNS1_3repE0EEENS1_30default_config_static_selectorELNS0_4arch9wavefront6targetE0EEEvT1_,"axG",@progbits,_ZN7rocprim17ROCPRIM_400000_NS6detail17trampoline_kernelINS0_14default_configENS1_27scan_by_key_config_selectorIssEEZZNS1_16scan_by_key_implILNS1_25lookback_scan_determinismE0ELb1ES3_N6thrust23THRUST_200600_302600_NS6detail15normal_iteratorINS9_10device_ptrIsEEEESE_SE_sNS9_10multipliesIsEENS9_8equal_toIsEEsEE10hipError_tPvRmT2_T3_T4_T5_mT6_T7_P12ihipStream_tbENKUlT_T0_E_clISt17integral_constantIbLb0EESY_IbLb1EEEEDaSU_SV_EUlSU_E_NS1_11comp_targetILNS1_3genE0ELNS1_11target_archE4294967295ELNS1_3gpuE0ELNS1_3repE0EEENS1_30default_config_static_selectorELNS0_4arch9wavefront6targetE0EEEvT1_,comdat
.Lfunc_end632:
	.size	_ZN7rocprim17ROCPRIM_400000_NS6detail17trampoline_kernelINS0_14default_configENS1_27scan_by_key_config_selectorIssEEZZNS1_16scan_by_key_implILNS1_25lookback_scan_determinismE0ELb1ES3_N6thrust23THRUST_200600_302600_NS6detail15normal_iteratorINS9_10device_ptrIsEEEESE_SE_sNS9_10multipliesIsEENS9_8equal_toIsEEsEE10hipError_tPvRmT2_T3_T4_T5_mT6_T7_P12ihipStream_tbENKUlT_T0_E_clISt17integral_constantIbLb0EESY_IbLb1EEEEDaSU_SV_EUlSU_E_NS1_11comp_targetILNS1_3genE0ELNS1_11target_archE4294967295ELNS1_3gpuE0ELNS1_3repE0EEENS1_30default_config_static_selectorELNS0_4arch9wavefront6targetE0EEEvT1_, .Lfunc_end632-_ZN7rocprim17ROCPRIM_400000_NS6detail17trampoline_kernelINS0_14default_configENS1_27scan_by_key_config_selectorIssEEZZNS1_16scan_by_key_implILNS1_25lookback_scan_determinismE0ELb1ES3_N6thrust23THRUST_200600_302600_NS6detail15normal_iteratorINS9_10device_ptrIsEEEESE_SE_sNS9_10multipliesIsEENS9_8equal_toIsEEsEE10hipError_tPvRmT2_T3_T4_T5_mT6_T7_P12ihipStream_tbENKUlT_T0_E_clISt17integral_constantIbLb0EESY_IbLb1EEEEDaSU_SV_EUlSU_E_NS1_11comp_targetILNS1_3genE0ELNS1_11target_archE4294967295ELNS1_3gpuE0ELNS1_3repE0EEENS1_30default_config_static_selectorELNS0_4arch9wavefront6targetE0EEEvT1_
                                        ; -- End function
	.set _ZN7rocprim17ROCPRIM_400000_NS6detail17trampoline_kernelINS0_14default_configENS1_27scan_by_key_config_selectorIssEEZZNS1_16scan_by_key_implILNS1_25lookback_scan_determinismE0ELb1ES3_N6thrust23THRUST_200600_302600_NS6detail15normal_iteratorINS9_10device_ptrIsEEEESE_SE_sNS9_10multipliesIsEENS9_8equal_toIsEEsEE10hipError_tPvRmT2_T3_T4_T5_mT6_T7_P12ihipStream_tbENKUlT_T0_E_clISt17integral_constantIbLb0EESY_IbLb1EEEEDaSU_SV_EUlSU_E_NS1_11comp_targetILNS1_3genE0ELNS1_11target_archE4294967295ELNS1_3gpuE0ELNS1_3repE0EEENS1_30default_config_static_selectorELNS0_4arch9wavefront6targetE0EEEvT1_.num_vgpr, 0
	.set _ZN7rocprim17ROCPRIM_400000_NS6detail17trampoline_kernelINS0_14default_configENS1_27scan_by_key_config_selectorIssEEZZNS1_16scan_by_key_implILNS1_25lookback_scan_determinismE0ELb1ES3_N6thrust23THRUST_200600_302600_NS6detail15normal_iteratorINS9_10device_ptrIsEEEESE_SE_sNS9_10multipliesIsEENS9_8equal_toIsEEsEE10hipError_tPvRmT2_T3_T4_T5_mT6_T7_P12ihipStream_tbENKUlT_T0_E_clISt17integral_constantIbLb0EESY_IbLb1EEEEDaSU_SV_EUlSU_E_NS1_11comp_targetILNS1_3genE0ELNS1_11target_archE4294967295ELNS1_3gpuE0ELNS1_3repE0EEENS1_30default_config_static_selectorELNS0_4arch9wavefront6targetE0EEEvT1_.num_agpr, 0
	.set _ZN7rocprim17ROCPRIM_400000_NS6detail17trampoline_kernelINS0_14default_configENS1_27scan_by_key_config_selectorIssEEZZNS1_16scan_by_key_implILNS1_25lookback_scan_determinismE0ELb1ES3_N6thrust23THRUST_200600_302600_NS6detail15normal_iteratorINS9_10device_ptrIsEEEESE_SE_sNS9_10multipliesIsEENS9_8equal_toIsEEsEE10hipError_tPvRmT2_T3_T4_T5_mT6_T7_P12ihipStream_tbENKUlT_T0_E_clISt17integral_constantIbLb0EESY_IbLb1EEEEDaSU_SV_EUlSU_E_NS1_11comp_targetILNS1_3genE0ELNS1_11target_archE4294967295ELNS1_3gpuE0ELNS1_3repE0EEENS1_30default_config_static_selectorELNS0_4arch9wavefront6targetE0EEEvT1_.numbered_sgpr, 0
	.set _ZN7rocprim17ROCPRIM_400000_NS6detail17trampoline_kernelINS0_14default_configENS1_27scan_by_key_config_selectorIssEEZZNS1_16scan_by_key_implILNS1_25lookback_scan_determinismE0ELb1ES3_N6thrust23THRUST_200600_302600_NS6detail15normal_iteratorINS9_10device_ptrIsEEEESE_SE_sNS9_10multipliesIsEENS9_8equal_toIsEEsEE10hipError_tPvRmT2_T3_T4_T5_mT6_T7_P12ihipStream_tbENKUlT_T0_E_clISt17integral_constantIbLb0EESY_IbLb1EEEEDaSU_SV_EUlSU_E_NS1_11comp_targetILNS1_3genE0ELNS1_11target_archE4294967295ELNS1_3gpuE0ELNS1_3repE0EEENS1_30default_config_static_selectorELNS0_4arch9wavefront6targetE0EEEvT1_.num_named_barrier, 0
	.set _ZN7rocprim17ROCPRIM_400000_NS6detail17trampoline_kernelINS0_14default_configENS1_27scan_by_key_config_selectorIssEEZZNS1_16scan_by_key_implILNS1_25lookback_scan_determinismE0ELb1ES3_N6thrust23THRUST_200600_302600_NS6detail15normal_iteratorINS9_10device_ptrIsEEEESE_SE_sNS9_10multipliesIsEENS9_8equal_toIsEEsEE10hipError_tPvRmT2_T3_T4_T5_mT6_T7_P12ihipStream_tbENKUlT_T0_E_clISt17integral_constantIbLb0EESY_IbLb1EEEEDaSU_SV_EUlSU_E_NS1_11comp_targetILNS1_3genE0ELNS1_11target_archE4294967295ELNS1_3gpuE0ELNS1_3repE0EEENS1_30default_config_static_selectorELNS0_4arch9wavefront6targetE0EEEvT1_.private_seg_size, 0
	.set _ZN7rocprim17ROCPRIM_400000_NS6detail17trampoline_kernelINS0_14default_configENS1_27scan_by_key_config_selectorIssEEZZNS1_16scan_by_key_implILNS1_25lookback_scan_determinismE0ELb1ES3_N6thrust23THRUST_200600_302600_NS6detail15normal_iteratorINS9_10device_ptrIsEEEESE_SE_sNS9_10multipliesIsEENS9_8equal_toIsEEsEE10hipError_tPvRmT2_T3_T4_T5_mT6_T7_P12ihipStream_tbENKUlT_T0_E_clISt17integral_constantIbLb0EESY_IbLb1EEEEDaSU_SV_EUlSU_E_NS1_11comp_targetILNS1_3genE0ELNS1_11target_archE4294967295ELNS1_3gpuE0ELNS1_3repE0EEENS1_30default_config_static_selectorELNS0_4arch9wavefront6targetE0EEEvT1_.uses_vcc, 0
	.set _ZN7rocprim17ROCPRIM_400000_NS6detail17trampoline_kernelINS0_14default_configENS1_27scan_by_key_config_selectorIssEEZZNS1_16scan_by_key_implILNS1_25lookback_scan_determinismE0ELb1ES3_N6thrust23THRUST_200600_302600_NS6detail15normal_iteratorINS9_10device_ptrIsEEEESE_SE_sNS9_10multipliesIsEENS9_8equal_toIsEEsEE10hipError_tPvRmT2_T3_T4_T5_mT6_T7_P12ihipStream_tbENKUlT_T0_E_clISt17integral_constantIbLb0EESY_IbLb1EEEEDaSU_SV_EUlSU_E_NS1_11comp_targetILNS1_3genE0ELNS1_11target_archE4294967295ELNS1_3gpuE0ELNS1_3repE0EEENS1_30default_config_static_selectorELNS0_4arch9wavefront6targetE0EEEvT1_.uses_flat_scratch, 0
	.set _ZN7rocprim17ROCPRIM_400000_NS6detail17trampoline_kernelINS0_14default_configENS1_27scan_by_key_config_selectorIssEEZZNS1_16scan_by_key_implILNS1_25lookback_scan_determinismE0ELb1ES3_N6thrust23THRUST_200600_302600_NS6detail15normal_iteratorINS9_10device_ptrIsEEEESE_SE_sNS9_10multipliesIsEENS9_8equal_toIsEEsEE10hipError_tPvRmT2_T3_T4_T5_mT6_T7_P12ihipStream_tbENKUlT_T0_E_clISt17integral_constantIbLb0EESY_IbLb1EEEEDaSU_SV_EUlSU_E_NS1_11comp_targetILNS1_3genE0ELNS1_11target_archE4294967295ELNS1_3gpuE0ELNS1_3repE0EEENS1_30default_config_static_selectorELNS0_4arch9wavefront6targetE0EEEvT1_.has_dyn_sized_stack, 0
	.set _ZN7rocprim17ROCPRIM_400000_NS6detail17trampoline_kernelINS0_14default_configENS1_27scan_by_key_config_selectorIssEEZZNS1_16scan_by_key_implILNS1_25lookback_scan_determinismE0ELb1ES3_N6thrust23THRUST_200600_302600_NS6detail15normal_iteratorINS9_10device_ptrIsEEEESE_SE_sNS9_10multipliesIsEENS9_8equal_toIsEEsEE10hipError_tPvRmT2_T3_T4_T5_mT6_T7_P12ihipStream_tbENKUlT_T0_E_clISt17integral_constantIbLb0EESY_IbLb1EEEEDaSU_SV_EUlSU_E_NS1_11comp_targetILNS1_3genE0ELNS1_11target_archE4294967295ELNS1_3gpuE0ELNS1_3repE0EEENS1_30default_config_static_selectorELNS0_4arch9wavefront6targetE0EEEvT1_.has_recursion, 0
	.set _ZN7rocprim17ROCPRIM_400000_NS6detail17trampoline_kernelINS0_14default_configENS1_27scan_by_key_config_selectorIssEEZZNS1_16scan_by_key_implILNS1_25lookback_scan_determinismE0ELb1ES3_N6thrust23THRUST_200600_302600_NS6detail15normal_iteratorINS9_10device_ptrIsEEEESE_SE_sNS9_10multipliesIsEENS9_8equal_toIsEEsEE10hipError_tPvRmT2_T3_T4_T5_mT6_T7_P12ihipStream_tbENKUlT_T0_E_clISt17integral_constantIbLb0EESY_IbLb1EEEEDaSU_SV_EUlSU_E_NS1_11comp_targetILNS1_3genE0ELNS1_11target_archE4294967295ELNS1_3gpuE0ELNS1_3repE0EEENS1_30default_config_static_selectorELNS0_4arch9wavefront6targetE0EEEvT1_.has_indirect_call, 0
	.section	.AMDGPU.csdata,"",@progbits
; Kernel info:
; codeLenInByte = 0
; TotalNumSgprs: 0
; NumVgprs: 0
; ScratchSize: 0
; MemoryBound: 0
; FloatMode: 240
; IeeeMode: 1
; LDSByteSize: 0 bytes/workgroup (compile time only)
; SGPRBlocks: 0
; VGPRBlocks: 0
; NumSGPRsForWavesPerEU: 1
; NumVGPRsForWavesPerEU: 1
; Occupancy: 16
; WaveLimiterHint : 0
; COMPUTE_PGM_RSRC2:SCRATCH_EN: 0
; COMPUTE_PGM_RSRC2:USER_SGPR: 6
; COMPUTE_PGM_RSRC2:TRAP_HANDLER: 0
; COMPUTE_PGM_RSRC2:TGID_X_EN: 1
; COMPUTE_PGM_RSRC2:TGID_Y_EN: 0
; COMPUTE_PGM_RSRC2:TGID_Z_EN: 0
; COMPUTE_PGM_RSRC2:TIDIG_COMP_CNT: 0
	.section	.text._ZN7rocprim17ROCPRIM_400000_NS6detail17trampoline_kernelINS0_14default_configENS1_27scan_by_key_config_selectorIssEEZZNS1_16scan_by_key_implILNS1_25lookback_scan_determinismE0ELb1ES3_N6thrust23THRUST_200600_302600_NS6detail15normal_iteratorINS9_10device_ptrIsEEEESE_SE_sNS9_10multipliesIsEENS9_8equal_toIsEEsEE10hipError_tPvRmT2_T3_T4_T5_mT6_T7_P12ihipStream_tbENKUlT_T0_E_clISt17integral_constantIbLb0EESY_IbLb1EEEEDaSU_SV_EUlSU_E_NS1_11comp_targetILNS1_3genE10ELNS1_11target_archE1201ELNS1_3gpuE5ELNS1_3repE0EEENS1_30default_config_static_selectorELNS0_4arch9wavefront6targetE0EEEvT1_,"axG",@progbits,_ZN7rocprim17ROCPRIM_400000_NS6detail17trampoline_kernelINS0_14default_configENS1_27scan_by_key_config_selectorIssEEZZNS1_16scan_by_key_implILNS1_25lookback_scan_determinismE0ELb1ES3_N6thrust23THRUST_200600_302600_NS6detail15normal_iteratorINS9_10device_ptrIsEEEESE_SE_sNS9_10multipliesIsEENS9_8equal_toIsEEsEE10hipError_tPvRmT2_T3_T4_T5_mT6_T7_P12ihipStream_tbENKUlT_T0_E_clISt17integral_constantIbLb0EESY_IbLb1EEEEDaSU_SV_EUlSU_E_NS1_11comp_targetILNS1_3genE10ELNS1_11target_archE1201ELNS1_3gpuE5ELNS1_3repE0EEENS1_30default_config_static_selectorELNS0_4arch9wavefront6targetE0EEEvT1_,comdat
	.protected	_ZN7rocprim17ROCPRIM_400000_NS6detail17trampoline_kernelINS0_14default_configENS1_27scan_by_key_config_selectorIssEEZZNS1_16scan_by_key_implILNS1_25lookback_scan_determinismE0ELb1ES3_N6thrust23THRUST_200600_302600_NS6detail15normal_iteratorINS9_10device_ptrIsEEEESE_SE_sNS9_10multipliesIsEENS9_8equal_toIsEEsEE10hipError_tPvRmT2_T3_T4_T5_mT6_T7_P12ihipStream_tbENKUlT_T0_E_clISt17integral_constantIbLb0EESY_IbLb1EEEEDaSU_SV_EUlSU_E_NS1_11comp_targetILNS1_3genE10ELNS1_11target_archE1201ELNS1_3gpuE5ELNS1_3repE0EEENS1_30default_config_static_selectorELNS0_4arch9wavefront6targetE0EEEvT1_ ; -- Begin function _ZN7rocprim17ROCPRIM_400000_NS6detail17trampoline_kernelINS0_14default_configENS1_27scan_by_key_config_selectorIssEEZZNS1_16scan_by_key_implILNS1_25lookback_scan_determinismE0ELb1ES3_N6thrust23THRUST_200600_302600_NS6detail15normal_iteratorINS9_10device_ptrIsEEEESE_SE_sNS9_10multipliesIsEENS9_8equal_toIsEEsEE10hipError_tPvRmT2_T3_T4_T5_mT6_T7_P12ihipStream_tbENKUlT_T0_E_clISt17integral_constantIbLb0EESY_IbLb1EEEEDaSU_SV_EUlSU_E_NS1_11comp_targetILNS1_3genE10ELNS1_11target_archE1201ELNS1_3gpuE5ELNS1_3repE0EEENS1_30default_config_static_selectorELNS0_4arch9wavefront6targetE0EEEvT1_
	.globl	_ZN7rocprim17ROCPRIM_400000_NS6detail17trampoline_kernelINS0_14default_configENS1_27scan_by_key_config_selectorIssEEZZNS1_16scan_by_key_implILNS1_25lookback_scan_determinismE0ELb1ES3_N6thrust23THRUST_200600_302600_NS6detail15normal_iteratorINS9_10device_ptrIsEEEESE_SE_sNS9_10multipliesIsEENS9_8equal_toIsEEsEE10hipError_tPvRmT2_T3_T4_T5_mT6_T7_P12ihipStream_tbENKUlT_T0_E_clISt17integral_constantIbLb0EESY_IbLb1EEEEDaSU_SV_EUlSU_E_NS1_11comp_targetILNS1_3genE10ELNS1_11target_archE1201ELNS1_3gpuE5ELNS1_3repE0EEENS1_30default_config_static_selectorELNS0_4arch9wavefront6targetE0EEEvT1_
	.p2align	8
	.type	_ZN7rocprim17ROCPRIM_400000_NS6detail17trampoline_kernelINS0_14default_configENS1_27scan_by_key_config_selectorIssEEZZNS1_16scan_by_key_implILNS1_25lookback_scan_determinismE0ELb1ES3_N6thrust23THRUST_200600_302600_NS6detail15normal_iteratorINS9_10device_ptrIsEEEESE_SE_sNS9_10multipliesIsEENS9_8equal_toIsEEsEE10hipError_tPvRmT2_T3_T4_T5_mT6_T7_P12ihipStream_tbENKUlT_T0_E_clISt17integral_constantIbLb0EESY_IbLb1EEEEDaSU_SV_EUlSU_E_NS1_11comp_targetILNS1_3genE10ELNS1_11target_archE1201ELNS1_3gpuE5ELNS1_3repE0EEENS1_30default_config_static_selectorELNS0_4arch9wavefront6targetE0EEEvT1_,@function
_ZN7rocprim17ROCPRIM_400000_NS6detail17trampoline_kernelINS0_14default_configENS1_27scan_by_key_config_selectorIssEEZZNS1_16scan_by_key_implILNS1_25lookback_scan_determinismE0ELb1ES3_N6thrust23THRUST_200600_302600_NS6detail15normal_iteratorINS9_10device_ptrIsEEEESE_SE_sNS9_10multipliesIsEENS9_8equal_toIsEEsEE10hipError_tPvRmT2_T3_T4_T5_mT6_T7_P12ihipStream_tbENKUlT_T0_E_clISt17integral_constantIbLb0EESY_IbLb1EEEEDaSU_SV_EUlSU_E_NS1_11comp_targetILNS1_3genE10ELNS1_11target_archE1201ELNS1_3gpuE5ELNS1_3repE0EEENS1_30default_config_static_selectorELNS0_4arch9wavefront6targetE0EEEvT1_: ; @_ZN7rocprim17ROCPRIM_400000_NS6detail17trampoline_kernelINS0_14default_configENS1_27scan_by_key_config_selectorIssEEZZNS1_16scan_by_key_implILNS1_25lookback_scan_determinismE0ELb1ES3_N6thrust23THRUST_200600_302600_NS6detail15normal_iteratorINS9_10device_ptrIsEEEESE_SE_sNS9_10multipliesIsEENS9_8equal_toIsEEsEE10hipError_tPvRmT2_T3_T4_T5_mT6_T7_P12ihipStream_tbENKUlT_T0_E_clISt17integral_constantIbLb0EESY_IbLb1EEEEDaSU_SV_EUlSU_E_NS1_11comp_targetILNS1_3genE10ELNS1_11target_archE1201ELNS1_3gpuE5ELNS1_3repE0EEENS1_30default_config_static_selectorELNS0_4arch9wavefront6targetE0EEEvT1_
; %bb.0:
	.section	.rodata,"a",@progbits
	.p2align	6, 0x0
	.amdhsa_kernel _ZN7rocprim17ROCPRIM_400000_NS6detail17trampoline_kernelINS0_14default_configENS1_27scan_by_key_config_selectorIssEEZZNS1_16scan_by_key_implILNS1_25lookback_scan_determinismE0ELb1ES3_N6thrust23THRUST_200600_302600_NS6detail15normal_iteratorINS9_10device_ptrIsEEEESE_SE_sNS9_10multipliesIsEENS9_8equal_toIsEEsEE10hipError_tPvRmT2_T3_T4_T5_mT6_T7_P12ihipStream_tbENKUlT_T0_E_clISt17integral_constantIbLb0EESY_IbLb1EEEEDaSU_SV_EUlSU_E_NS1_11comp_targetILNS1_3genE10ELNS1_11target_archE1201ELNS1_3gpuE5ELNS1_3repE0EEENS1_30default_config_static_selectorELNS0_4arch9wavefront6targetE0EEEvT1_
		.amdhsa_group_segment_fixed_size 0
		.amdhsa_private_segment_fixed_size 0
		.amdhsa_kernarg_size 112
		.amdhsa_user_sgpr_count 6
		.amdhsa_user_sgpr_private_segment_buffer 1
		.amdhsa_user_sgpr_dispatch_ptr 0
		.amdhsa_user_sgpr_queue_ptr 0
		.amdhsa_user_sgpr_kernarg_segment_ptr 1
		.amdhsa_user_sgpr_dispatch_id 0
		.amdhsa_user_sgpr_flat_scratch_init 0
		.amdhsa_user_sgpr_private_segment_size 0
		.amdhsa_wavefront_size32 1
		.amdhsa_uses_dynamic_stack 0
		.amdhsa_system_sgpr_private_segment_wavefront_offset 0
		.amdhsa_system_sgpr_workgroup_id_x 1
		.amdhsa_system_sgpr_workgroup_id_y 0
		.amdhsa_system_sgpr_workgroup_id_z 0
		.amdhsa_system_sgpr_workgroup_info 0
		.amdhsa_system_vgpr_workitem_id 0
		.amdhsa_next_free_vgpr 1
		.amdhsa_next_free_sgpr 1
		.amdhsa_reserve_vcc 0
		.amdhsa_reserve_flat_scratch 0
		.amdhsa_float_round_mode_32 0
		.amdhsa_float_round_mode_16_64 0
		.amdhsa_float_denorm_mode_32 3
		.amdhsa_float_denorm_mode_16_64 3
		.amdhsa_dx10_clamp 1
		.amdhsa_ieee_mode 1
		.amdhsa_fp16_overflow 0
		.amdhsa_workgroup_processor_mode 1
		.amdhsa_memory_ordered 1
		.amdhsa_forward_progress 1
		.amdhsa_shared_vgpr_count 0
		.amdhsa_exception_fp_ieee_invalid_op 0
		.amdhsa_exception_fp_denorm_src 0
		.amdhsa_exception_fp_ieee_div_zero 0
		.amdhsa_exception_fp_ieee_overflow 0
		.amdhsa_exception_fp_ieee_underflow 0
		.amdhsa_exception_fp_ieee_inexact 0
		.amdhsa_exception_int_div_zero 0
	.end_amdhsa_kernel
	.section	.text._ZN7rocprim17ROCPRIM_400000_NS6detail17trampoline_kernelINS0_14default_configENS1_27scan_by_key_config_selectorIssEEZZNS1_16scan_by_key_implILNS1_25lookback_scan_determinismE0ELb1ES3_N6thrust23THRUST_200600_302600_NS6detail15normal_iteratorINS9_10device_ptrIsEEEESE_SE_sNS9_10multipliesIsEENS9_8equal_toIsEEsEE10hipError_tPvRmT2_T3_T4_T5_mT6_T7_P12ihipStream_tbENKUlT_T0_E_clISt17integral_constantIbLb0EESY_IbLb1EEEEDaSU_SV_EUlSU_E_NS1_11comp_targetILNS1_3genE10ELNS1_11target_archE1201ELNS1_3gpuE5ELNS1_3repE0EEENS1_30default_config_static_selectorELNS0_4arch9wavefront6targetE0EEEvT1_,"axG",@progbits,_ZN7rocprim17ROCPRIM_400000_NS6detail17trampoline_kernelINS0_14default_configENS1_27scan_by_key_config_selectorIssEEZZNS1_16scan_by_key_implILNS1_25lookback_scan_determinismE0ELb1ES3_N6thrust23THRUST_200600_302600_NS6detail15normal_iteratorINS9_10device_ptrIsEEEESE_SE_sNS9_10multipliesIsEENS9_8equal_toIsEEsEE10hipError_tPvRmT2_T3_T4_T5_mT6_T7_P12ihipStream_tbENKUlT_T0_E_clISt17integral_constantIbLb0EESY_IbLb1EEEEDaSU_SV_EUlSU_E_NS1_11comp_targetILNS1_3genE10ELNS1_11target_archE1201ELNS1_3gpuE5ELNS1_3repE0EEENS1_30default_config_static_selectorELNS0_4arch9wavefront6targetE0EEEvT1_,comdat
.Lfunc_end633:
	.size	_ZN7rocprim17ROCPRIM_400000_NS6detail17trampoline_kernelINS0_14default_configENS1_27scan_by_key_config_selectorIssEEZZNS1_16scan_by_key_implILNS1_25lookback_scan_determinismE0ELb1ES3_N6thrust23THRUST_200600_302600_NS6detail15normal_iteratorINS9_10device_ptrIsEEEESE_SE_sNS9_10multipliesIsEENS9_8equal_toIsEEsEE10hipError_tPvRmT2_T3_T4_T5_mT6_T7_P12ihipStream_tbENKUlT_T0_E_clISt17integral_constantIbLb0EESY_IbLb1EEEEDaSU_SV_EUlSU_E_NS1_11comp_targetILNS1_3genE10ELNS1_11target_archE1201ELNS1_3gpuE5ELNS1_3repE0EEENS1_30default_config_static_selectorELNS0_4arch9wavefront6targetE0EEEvT1_, .Lfunc_end633-_ZN7rocprim17ROCPRIM_400000_NS6detail17trampoline_kernelINS0_14default_configENS1_27scan_by_key_config_selectorIssEEZZNS1_16scan_by_key_implILNS1_25lookback_scan_determinismE0ELb1ES3_N6thrust23THRUST_200600_302600_NS6detail15normal_iteratorINS9_10device_ptrIsEEEESE_SE_sNS9_10multipliesIsEENS9_8equal_toIsEEsEE10hipError_tPvRmT2_T3_T4_T5_mT6_T7_P12ihipStream_tbENKUlT_T0_E_clISt17integral_constantIbLb0EESY_IbLb1EEEEDaSU_SV_EUlSU_E_NS1_11comp_targetILNS1_3genE10ELNS1_11target_archE1201ELNS1_3gpuE5ELNS1_3repE0EEENS1_30default_config_static_selectorELNS0_4arch9wavefront6targetE0EEEvT1_
                                        ; -- End function
	.set _ZN7rocprim17ROCPRIM_400000_NS6detail17trampoline_kernelINS0_14default_configENS1_27scan_by_key_config_selectorIssEEZZNS1_16scan_by_key_implILNS1_25lookback_scan_determinismE0ELb1ES3_N6thrust23THRUST_200600_302600_NS6detail15normal_iteratorINS9_10device_ptrIsEEEESE_SE_sNS9_10multipliesIsEENS9_8equal_toIsEEsEE10hipError_tPvRmT2_T3_T4_T5_mT6_T7_P12ihipStream_tbENKUlT_T0_E_clISt17integral_constantIbLb0EESY_IbLb1EEEEDaSU_SV_EUlSU_E_NS1_11comp_targetILNS1_3genE10ELNS1_11target_archE1201ELNS1_3gpuE5ELNS1_3repE0EEENS1_30default_config_static_selectorELNS0_4arch9wavefront6targetE0EEEvT1_.num_vgpr, 0
	.set _ZN7rocprim17ROCPRIM_400000_NS6detail17trampoline_kernelINS0_14default_configENS1_27scan_by_key_config_selectorIssEEZZNS1_16scan_by_key_implILNS1_25lookback_scan_determinismE0ELb1ES3_N6thrust23THRUST_200600_302600_NS6detail15normal_iteratorINS9_10device_ptrIsEEEESE_SE_sNS9_10multipliesIsEENS9_8equal_toIsEEsEE10hipError_tPvRmT2_T3_T4_T5_mT6_T7_P12ihipStream_tbENKUlT_T0_E_clISt17integral_constantIbLb0EESY_IbLb1EEEEDaSU_SV_EUlSU_E_NS1_11comp_targetILNS1_3genE10ELNS1_11target_archE1201ELNS1_3gpuE5ELNS1_3repE0EEENS1_30default_config_static_selectorELNS0_4arch9wavefront6targetE0EEEvT1_.num_agpr, 0
	.set _ZN7rocprim17ROCPRIM_400000_NS6detail17trampoline_kernelINS0_14default_configENS1_27scan_by_key_config_selectorIssEEZZNS1_16scan_by_key_implILNS1_25lookback_scan_determinismE0ELb1ES3_N6thrust23THRUST_200600_302600_NS6detail15normal_iteratorINS9_10device_ptrIsEEEESE_SE_sNS9_10multipliesIsEENS9_8equal_toIsEEsEE10hipError_tPvRmT2_T3_T4_T5_mT6_T7_P12ihipStream_tbENKUlT_T0_E_clISt17integral_constantIbLb0EESY_IbLb1EEEEDaSU_SV_EUlSU_E_NS1_11comp_targetILNS1_3genE10ELNS1_11target_archE1201ELNS1_3gpuE5ELNS1_3repE0EEENS1_30default_config_static_selectorELNS0_4arch9wavefront6targetE0EEEvT1_.numbered_sgpr, 0
	.set _ZN7rocprim17ROCPRIM_400000_NS6detail17trampoline_kernelINS0_14default_configENS1_27scan_by_key_config_selectorIssEEZZNS1_16scan_by_key_implILNS1_25lookback_scan_determinismE0ELb1ES3_N6thrust23THRUST_200600_302600_NS6detail15normal_iteratorINS9_10device_ptrIsEEEESE_SE_sNS9_10multipliesIsEENS9_8equal_toIsEEsEE10hipError_tPvRmT2_T3_T4_T5_mT6_T7_P12ihipStream_tbENKUlT_T0_E_clISt17integral_constantIbLb0EESY_IbLb1EEEEDaSU_SV_EUlSU_E_NS1_11comp_targetILNS1_3genE10ELNS1_11target_archE1201ELNS1_3gpuE5ELNS1_3repE0EEENS1_30default_config_static_selectorELNS0_4arch9wavefront6targetE0EEEvT1_.num_named_barrier, 0
	.set _ZN7rocprim17ROCPRIM_400000_NS6detail17trampoline_kernelINS0_14default_configENS1_27scan_by_key_config_selectorIssEEZZNS1_16scan_by_key_implILNS1_25lookback_scan_determinismE0ELb1ES3_N6thrust23THRUST_200600_302600_NS6detail15normal_iteratorINS9_10device_ptrIsEEEESE_SE_sNS9_10multipliesIsEENS9_8equal_toIsEEsEE10hipError_tPvRmT2_T3_T4_T5_mT6_T7_P12ihipStream_tbENKUlT_T0_E_clISt17integral_constantIbLb0EESY_IbLb1EEEEDaSU_SV_EUlSU_E_NS1_11comp_targetILNS1_3genE10ELNS1_11target_archE1201ELNS1_3gpuE5ELNS1_3repE0EEENS1_30default_config_static_selectorELNS0_4arch9wavefront6targetE0EEEvT1_.private_seg_size, 0
	.set _ZN7rocprim17ROCPRIM_400000_NS6detail17trampoline_kernelINS0_14default_configENS1_27scan_by_key_config_selectorIssEEZZNS1_16scan_by_key_implILNS1_25lookback_scan_determinismE0ELb1ES3_N6thrust23THRUST_200600_302600_NS6detail15normal_iteratorINS9_10device_ptrIsEEEESE_SE_sNS9_10multipliesIsEENS9_8equal_toIsEEsEE10hipError_tPvRmT2_T3_T4_T5_mT6_T7_P12ihipStream_tbENKUlT_T0_E_clISt17integral_constantIbLb0EESY_IbLb1EEEEDaSU_SV_EUlSU_E_NS1_11comp_targetILNS1_3genE10ELNS1_11target_archE1201ELNS1_3gpuE5ELNS1_3repE0EEENS1_30default_config_static_selectorELNS0_4arch9wavefront6targetE0EEEvT1_.uses_vcc, 0
	.set _ZN7rocprim17ROCPRIM_400000_NS6detail17trampoline_kernelINS0_14default_configENS1_27scan_by_key_config_selectorIssEEZZNS1_16scan_by_key_implILNS1_25lookback_scan_determinismE0ELb1ES3_N6thrust23THRUST_200600_302600_NS6detail15normal_iteratorINS9_10device_ptrIsEEEESE_SE_sNS9_10multipliesIsEENS9_8equal_toIsEEsEE10hipError_tPvRmT2_T3_T4_T5_mT6_T7_P12ihipStream_tbENKUlT_T0_E_clISt17integral_constantIbLb0EESY_IbLb1EEEEDaSU_SV_EUlSU_E_NS1_11comp_targetILNS1_3genE10ELNS1_11target_archE1201ELNS1_3gpuE5ELNS1_3repE0EEENS1_30default_config_static_selectorELNS0_4arch9wavefront6targetE0EEEvT1_.uses_flat_scratch, 0
	.set _ZN7rocprim17ROCPRIM_400000_NS6detail17trampoline_kernelINS0_14default_configENS1_27scan_by_key_config_selectorIssEEZZNS1_16scan_by_key_implILNS1_25lookback_scan_determinismE0ELb1ES3_N6thrust23THRUST_200600_302600_NS6detail15normal_iteratorINS9_10device_ptrIsEEEESE_SE_sNS9_10multipliesIsEENS9_8equal_toIsEEsEE10hipError_tPvRmT2_T3_T4_T5_mT6_T7_P12ihipStream_tbENKUlT_T0_E_clISt17integral_constantIbLb0EESY_IbLb1EEEEDaSU_SV_EUlSU_E_NS1_11comp_targetILNS1_3genE10ELNS1_11target_archE1201ELNS1_3gpuE5ELNS1_3repE0EEENS1_30default_config_static_selectorELNS0_4arch9wavefront6targetE0EEEvT1_.has_dyn_sized_stack, 0
	.set _ZN7rocprim17ROCPRIM_400000_NS6detail17trampoline_kernelINS0_14default_configENS1_27scan_by_key_config_selectorIssEEZZNS1_16scan_by_key_implILNS1_25lookback_scan_determinismE0ELb1ES3_N6thrust23THRUST_200600_302600_NS6detail15normal_iteratorINS9_10device_ptrIsEEEESE_SE_sNS9_10multipliesIsEENS9_8equal_toIsEEsEE10hipError_tPvRmT2_T3_T4_T5_mT6_T7_P12ihipStream_tbENKUlT_T0_E_clISt17integral_constantIbLb0EESY_IbLb1EEEEDaSU_SV_EUlSU_E_NS1_11comp_targetILNS1_3genE10ELNS1_11target_archE1201ELNS1_3gpuE5ELNS1_3repE0EEENS1_30default_config_static_selectorELNS0_4arch9wavefront6targetE0EEEvT1_.has_recursion, 0
	.set _ZN7rocprim17ROCPRIM_400000_NS6detail17trampoline_kernelINS0_14default_configENS1_27scan_by_key_config_selectorIssEEZZNS1_16scan_by_key_implILNS1_25lookback_scan_determinismE0ELb1ES3_N6thrust23THRUST_200600_302600_NS6detail15normal_iteratorINS9_10device_ptrIsEEEESE_SE_sNS9_10multipliesIsEENS9_8equal_toIsEEsEE10hipError_tPvRmT2_T3_T4_T5_mT6_T7_P12ihipStream_tbENKUlT_T0_E_clISt17integral_constantIbLb0EESY_IbLb1EEEEDaSU_SV_EUlSU_E_NS1_11comp_targetILNS1_3genE10ELNS1_11target_archE1201ELNS1_3gpuE5ELNS1_3repE0EEENS1_30default_config_static_selectorELNS0_4arch9wavefront6targetE0EEEvT1_.has_indirect_call, 0
	.section	.AMDGPU.csdata,"",@progbits
; Kernel info:
; codeLenInByte = 0
; TotalNumSgprs: 0
; NumVgprs: 0
; ScratchSize: 0
; MemoryBound: 0
; FloatMode: 240
; IeeeMode: 1
; LDSByteSize: 0 bytes/workgroup (compile time only)
; SGPRBlocks: 0
; VGPRBlocks: 0
; NumSGPRsForWavesPerEU: 1
; NumVGPRsForWavesPerEU: 1
; Occupancy: 16
; WaveLimiterHint : 0
; COMPUTE_PGM_RSRC2:SCRATCH_EN: 0
; COMPUTE_PGM_RSRC2:USER_SGPR: 6
; COMPUTE_PGM_RSRC2:TRAP_HANDLER: 0
; COMPUTE_PGM_RSRC2:TGID_X_EN: 1
; COMPUTE_PGM_RSRC2:TGID_Y_EN: 0
; COMPUTE_PGM_RSRC2:TGID_Z_EN: 0
; COMPUTE_PGM_RSRC2:TIDIG_COMP_CNT: 0
	.section	.text._ZN7rocprim17ROCPRIM_400000_NS6detail17trampoline_kernelINS0_14default_configENS1_27scan_by_key_config_selectorIssEEZZNS1_16scan_by_key_implILNS1_25lookback_scan_determinismE0ELb1ES3_N6thrust23THRUST_200600_302600_NS6detail15normal_iteratorINS9_10device_ptrIsEEEESE_SE_sNS9_10multipliesIsEENS9_8equal_toIsEEsEE10hipError_tPvRmT2_T3_T4_T5_mT6_T7_P12ihipStream_tbENKUlT_T0_E_clISt17integral_constantIbLb0EESY_IbLb1EEEEDaSU_SV_EUlSU_E_NS1_11comp_targetILNS1_3genE5ELNS1_11target_archE942ELNS1_3gpuE9ELNS1_3repE0EEENS1_30default_config_static_selectorELNS0_4arch9wavefront6targetE0EEEvT1_,"axG",@progbits,_ZN7rocprim17ROCPRIM_400000_NS6detail17trampoline_kernelINS0_14default_configENS1_27scan_by_key_config_selectorIssEEZZNS1_16scan_by_key_implILNS1_25lookback_scan_determinismE0ELb1ES3_N6thrust23THRUST_200600_302600_NS6detail15normal_iteratorINS9_10device_ptrIsEEEESE_SE_sNS9_10multipliesIsEENS9_8equal_toIsEEsEE10hipError_tPvRmT2_T3_T4_T5_mT6_T7_P12ihipStream_tbENKUlT_T0_E_clISt17integral_constantIbLb0EESY_IbLb1EEEEDaSU_SV_EUlSU_E_NS1_11comp_targetILNS1_3genE5ELNS1_11target_archE942ELNS1_3gpuE9ELNS1_3repE0EEENS1_30default_config_static_selectorELNS0_4arch9wavefront6targetE0EEEvT1_,comdat
	.protected	_ZN7rocprim17ROCPRIM_400000_NS6detail17trampoline_kernelINS0_14default_configENS1_27scan_by_key_config_selectorIssEEZZNS1_16scan_by_key_implILNS1_25lookback_scan_determinismE0ELb1ES3_N6thrust23THRUST_200600_302600_NS6detail15normal_iteratorINS9_10device_ptrIsEEEESE_SE_sNS9_10multipliesIsEENS9_8equal_toIsEEsEE10hipError_tPvRmT2_T3_T4_T5_mT6_T7_P12ihipStream_tbENKUlT_T0_E_clISt17integral_constantIbLb0EESY_IbLb1EEEEDaSU_SV_EUlSU_E_NS1_11comp_targetILNS1_3genE5ELNS1_11target_archE942ELNS1_3gpuE9ELNS1_3repE0EEENS1_30default_config_static_selectorELNS0_4arch9wavefront6targetE0EEEvT1_ ; -- Begin function _ZN7rocprim17ROCPRIM_400000_NS6detail17trampoline_kernelINS0_14default_configENS1_27scan_by_key_config_selectorIssEEZZNS1_16scan_by_key_implILNS1_25lookback_scan_determinismE0ELb1ES3_N6thrust23THRUST_200600_302600_NS6detail15normal_iteratorINS9_10device_ptrIsEEEESE_SE_sNS9_10multipliesIsEENS9_8equal_toIsEEsEE10hipError_tPvRmT2_T3_T4_T5_mT6_T7_P12ihipStream_tbENKUlT_T0_E_clISt17integral_constantIbLb0EESY_IbLb1EEEEDaSU_SV_EUlSU_E_NS1_11comp_targetILNS1_3genE5ELNS1_11target_archE942ELNS1_3gpuE9ELNS1_3repE0EEENS1_30default_config_static_selectorELNS0_4arch9wavefront6targetE0EEEvT1_
	.globl	_ZN7rocprim17ROCPRIM_400000_NS6detail17trampoline_kernelINS0_14default_configENS1_27scan_by_key_config_selectorIssEEZZNS1_16scan_by_key_implILNS1_25lookback_scan_determinismE0ELb1ES3_N6thrust23THRUST_200600_302600_NS6detail15normal_iteratorINS9_10device_ptrIsEEEESE_SE_sNS9_10multipliesIsEENS9_8equal_toIsEEsEE10hipError_tPvRmT2_T3_T4_T5_mT6_T7_P12ihipStream_tbENKUlT_T0_E_clISt17integral_constantIbLb0EESY_IbLb1EEEEDaSU_SV_EUlSU_E_NS1_11comp_targetILNS1_3genE5ELNS1_11target_archE942ELNS1_3gpuE9ELNS1_3repE0EEENS1_30default_config_static_selectorELNS0_4arch9wavefront6targetE0EEEvT1_
	.p2align	8
	.type	_ZN7rocprim17ROCPRIM_400000_NS6detail17trampoline_kernelINS0_14default_configENS1_27scan_by_key_config_selectorIssEEZZNS1_16scan_by_key_implILNS1_25lookback_scan_determinismE0ELb1ES3_N6thrust23THRUST_200600_302600_NS6detail15normal_iteratorINS9_10device_ptrIsEEEESE_SE_sNS9_10multipliesIsEENS9_8equal_toIsEEsEE10hipError_tPvRmT2_T3_T4_T5_mT6_T7_P12ihipStream_tbENKUlT_T0_E_clISt17integral_constantIbLb0EESY_IbLb1EEEEDaSU_SV_EUlSU_E_NS1_11comp_targetILNS1_3genE5ELNS1_11target_archE942ELNS1_3gpuE9ELNS1_3repE0EEENS1_30default_config_static_selectorELNS0_4arch9wavefront6targetE0EEEvT1_,@function
_ZN7rocprim17ROCPRIM_400000_NS6detail17trampoline_kernelINS0_14default_configENS1_27scan_by_key_config_selectorIssEEZZNS1_16scan_by_key_implILNS1_25lookback_scan_determinismE0ELb1ES3_N6thrust23THRUST_200600_302600_NS6detail15normal_iteratorINS9_10device_ptrIsEEEESE_SE_sNS9_10multipliesIsEENS9_8equal_toIsEEsEE10hipError_tPvRmT2_T3_T4_T5_mT6_T7_P12ihipStream_tbENKUlT_T0_E_clISt17integral_constantIbLb0EESY_IbLb1EEEEDaSU_SV_EUlSU_E_NS1_11comp_targetILNS1_3genE5ELNS1_11target_archE942ELNS1_3gpuE9ELNS1_3repE0EEENS1_30default_config_static_selectorELNS0_4arch9wavefront6targetE0EEEvT1_: ; @_ZN7rocprim17ROCPRIM_400000_NS6detail17trampoline_kernelINS0_14default_configENS1_27scan_by_key_config_selectorIssEEZZNS1_16scan_by_key_implILNS1_25lookback_scan_determinismE0ELb1ES3_N6thrust23THRUST_200600_302600_NS6detail15normal_iteratorINS9_10device_ptrIsEEEESE_SE_sNS9_10multipliesIsEENS9_8equal_toIsEEsEE10hipError_tPvRmT2_T3_T4_T5_mT6_T7_P12ihipStream_tbENKUlT_T0_E_clISt17integral_constantIbLb0EESY_IbLb1EEEEDaSU_SV_EUlSU_E_NS1_11comp_targetILNS1_3genE5ELNS1_11target_archE942ELNS1_3gpuE9ELNS1_3repE0EEENS1_30default_config_static_selectorELNS0_4arch9wavefront6targetE0EEEvT1_
; %bb.0:
	.section	.rodata,"a",@progbits
	.p2align	6, 0x0
	.amdhsa_kernel _ZN7rocprim17ROCPRIM_400000_NS6detail17trampoline_kernelINS0_14default_configENS1_27scan_by_key_config_selectorIssEEZZNS1_16scan_by_key_implILNS1_25lookback_scan_determinismE0ELb1ES3_N6thrust23THRUST_200600_302600_NS6detail15normal_iteratorINS9_10device_ptrIsEEEESE_SE_sNS9_10multipliesIsEENS9_8equal_toIsEEsEE10hipError_tPvRmT2_T3_T4_T5_mT6_T7_P12ihipStream_tbENKUlT_T0_E_clISt17integral_constantIbLb0EESY_IbLb1EEEEDaSU_SV_EUlSU_E_NS1_11comp_targetILNS1_3genE5ELNS1_11target_archE942ELNS1_3gpuE9ELNS1_3repE0EEENS1_30default_config_static_selectorELNS0_4arch9wavefront6targetE0EEEvT1_
		.amdhsa_group_segment_fixed_size 0
		.amdhsa_private_segment_fixed_size 0
		.amdhsa_kernarg_size 112
		.amdhsa_user_sgpr_count 6
		.amdhsa_user_sgpr_private_segment_buffer 1
		.amdhsa_user_sgpr_dispatch_ptr 0
		.amdhsa_user_sgpr_queue_ptr 0
		.amdhsa_user_sgpr_kernarg_segment_ptr 1
		.amdhsa_user_sgpr_dispatch_id 0
		.amdhsa_user_sgpr_flat_scratch_init 0
		.amdhsa_user_sgpr_private_segment_size 0
		.amdhsa_wavefront_size32 1
		.amdhsa_uses_dynamic_stack 0
		.amdhsa_system_sgpr_private_segment_wavefront_offset 0
		.amdhsa_system_sgpr_workgroup_id_x 1
		.amdhsa_system_sgpr_workgroup_id_y 0
		.amdhsa_system_sgpr_workgroup_id_z 0
		.amdhsa_system_sgpr_workgroup_info 0
		.amdhsa_system_vgpr_workitem_id 0
		.amdhsa_next_free_vgpr 1
		.amdhsa_next_free_sgpr 1
		.amdhsa_reserve_vcc 0
		.amdhsa_reserve_flat_scratch 0
		.amdhsa_float_round_mode_32 0
		.amdhsa_float_round_mode_16_64 0
		.amdhsa_float_denorm_mode_32 3
		.amdhsa_float_denorm_mode_16_64 3
		.amdhsa_dx10_clamp 1
		.amdhsa_ieee_mode 1
		.amdhsa_fp16_overflow 0
		.amdhsa_workgroup_processor_mode 1
		.amdhsa_memory_ordered 1
		.amdhsa_forward_progress 1
		.amdhsa_shared_vgpr_count 0
		.amdhsa_exception_fp_ieee_invalid_op 0
		.amdhsa_exception_fp_denorm_src 0
		.amdhsa_exception_fp_ieee_div_zero 0
		.amdhsa_exception_fp_ieee_overflow 0
		.amdhsa_exception_fp_ieee_underflow 0
		.amdhsa_exception_fp_ieee_inexact 0
		.amdhsa_exception_int_div_zero 0
	.end_amdhsa_kernel
	.section	.text._ZN7rocprim17ROCPRIM_400000_NS6detail17trampoline_kernelINS0_14default_configENS1_27scan_by_key_config_selectorIssEEZZNS1_16scan_by_key_implILNS1_25lookback_scan_determinismE0ELb1ES3_N6thrust23THRUST_200600_302600_NS6detail15normal_iteratorINS9_10device_ptrIsEEEESE_SE_sNS9_10multipliesIsEENS9_8equal_toIsEEsEE10hipError_tPvRmT2_T3_T4_T5_mT6_T7_P12ihipStream_tbENKUlT_T0_E_clISt17integral_constantIbLb0EESY_IbLb1EEEEDaSU_SV_EUlSU_E_NS1_11comp_targetILNS1_3genE5ELNS1_11target_archE942ELNS1_3gpuE9ELNS1_3repE0EEENS1_30default_config_static_selectorELNS0_4arch9wavefront6targetE0EEEvT1_,"axG",@progbits,_ZN7rocprim17ROCPRIM_400000_NS6detail17trampoline_kernelINS0_14default_configENS1_27scan_by_key_config_selectorIssEEZZNS1_16scan_by_key_implILNS1_25lookback_scan_determinismE0ELb1ES3_N6thrust23THRUST_200600_302600_NS6detail15normal_iteratorINS9_10device_ptrIsEEEESE_SE_sNS9_10multipliesIsEENS9_8equal_toIsEEsEE10hipError_tPvRmT2_T3_T4_T5_mT6_T7_P12ihipStream_tbENKUlT_T0_E_clISt17integral_constantIbLb0EESY_IbLb1EEEEDaSU_SV_EUlSU_E_NS1_11comp_targetILNS1_3genE5ELNS1_11target_archE942ELNS1_3gpuE9ELNS1_3repE0EEENS1_30default_config_static_selectorELNS0_4arch9wavefront6targetE0EEEvT1_,comdat
.Lfunc_end634:
	.size	_ZN7rocprim17ROCPRIM_400000_NS6detail17trampoline_kernelINS0_14default_configENS1_27scan_by_key_config_selectorIssEEZZNS1_16scan_by_key_implILNS1_25lookback_scan_determinismE0ELb1ES3_N6thrust23THRUST_200600_302600_NS6detail15normal_iteratorINS9_10device_ptrIsEEEESE_SE_sNS9_10multipliesIsEENS9_8equal_toIsEEsEE10hipError_tPvRmT2_T3_T4_T5_mT6_T7_P12ihipStream_tbENKUlT_T0_E_clISt17integral_constantIbLb0EESY_IbLb1EEEEDaSU_SV_EUlSU_E_NS1_11comp_targetILNS1_3genE5ELNS1_11target_archE942ELNS1_3gpuE9ELNS1_3repE0EEENS1_30default_config_static_selectorELNS0_4arch9wavefront6targetE0EEEvT1_, .Lfunc_end634-_ZN7rocprim17ROCPRIM_400000_NS6detail17trampoline_kernelINS0_14default_configENS1_27scan_by_key_config_selectorIssEEZZNS1_16scan_by_key_implILNS1_25lookback_scan_determinismE0ELb1ES3_N6thrust23THRUST_200600_302600_NS6detail15normal_iteratorINS9_10device_ptrIsEEEESE_SE_sNS9_10multipliesIsEENS9_8equal_toIsEEsEE10hipError_tPvRmT2_T3_T4_T5_mT6_T7_P12ihipStream_tbENKUlT_T0_E_clISt17integral_constantIbLb0EESY_IbLb1EEEEDaSU_SV_EUlSU_E_NS1_11comp_targetILNS1_3genE5ELNS1_11target_archE942ELNS1_3gpuE9ELNS1_3repE0EEENS1_30default_config_static_selectorELNS0_4arch9wavefront6targetE0EEEvT1_
                                        ; -- End function
	.set _ZN7rocprim17ROCPRIM_400000_NS6detail17trampoline_kernelINS0_14default_configENS1_27scan_by_key_config_selectorIssEEZZNS1_16scan_by_key_implILNS1_25lookback_scan_determinismE0ELb1ES3_N6thrust23THRUST_200600_302600_NS6detail15normal_iteratorINS9_10device_ptrIsEEEESE_SE_sNS9_10multipliesIsEENS9_8equal_toIsEEsEE10hipError_tPvRmT2_T3_T4_T5_mT6_T7_P12ihipStream_tbENKUlT_T0_E_clISt17integral_constantIbLb0EESY_IbLb1EEEEDaSU_SV_EUlSU_E_NS1_11comp_targetILNS1_3genE5ELNS1_11target_archE942ELNS1_3gpuE9ELNS1_3repE0EEENS1_30default_config_static_selectorELNS0_4arch9wavefront6targetE0EEEvT1_.num_vgpr, 0
	.set _ZN7rocprim17ROCPRIM_400000_NS6detail17trampoline_kernelINS0_14default_configENS1_27scan_by_key_config_selectorIssEEZZNS1_16scan_by_key_implILNS1_25lookback_scan_determinismE0ELb1ES3_N6thrust23THRUST_200600_302600_NS6detail15normal_iteratorINS9_10device_ptrIsEEEESE_SE_sNS9_10multipliesIsEENS9_8equal_toIsEEsEE10hipError_tPvRmT2_T3_T4_T5_mT6_T7_P12ihipStream_tbENKUlT_T0_E_clISt17integral_constantIbLb0EESY_IbLb1EEEEDaSU_SV_EUlSU_E_NS1_11comp_targetILNS1_3genE5ELNS1_11target_archE942ELNS1_3gpuE9ELNS1_3repE0EEENS1_30default_config_static_selectorELNS0_4arch9wavefront6targetE0EEEvT1_.num_agpr, 0
	.set _ZN7rocprim17ROCPRIM_400000_NS6detail17trampoline_kernelINS0_14default_configENS1_27scan_by_key_config_selectorIssEEZZNS1_16scan_by_key_implILNS1_25lookback_scan_determinismE0ELb1ES3_N6thrust23THRUST_200600_302600_NS6detail15normal_iteratorINS9_10device_ptrIsEEEESE_SE_sNS9_10multipliesIsEENS9_8equal_toIsEEsEE10hipError_tPvRmT2_T3_T4_T5_mT6_T7_P12ihipStream_tbENKUlT_T0_E_clISt17integral_constantIbLb0EESY_IbLb1EEEEDaSU_SV_EUlSU_E_NS1_11comp_targetILNS1_3genE5ELNS1_11target_archE942ELNS1_3gpuE9ELNS1_3repE0EEENS1_30default_config_static_selectorELNS0_4arch9wavefront6targetE0EEEvT1_.numbered_sgpr, 0
	.set _ZN7rocprim17ROCPRIM_400000_NS6detail17trampoline_kernelINS0_14default_configENS1_27scan_by_key_config_selectorIssEEZZNS1_16scan_by_key_implILNS1_25lookback_scan_determinismE0ELb1ES3_N6thrust23THRUST_200600_302600_NS6detail15normal_iteratorINS9_10device_ptrIsEEEESE_SE_sNS9_10multipliesIsEENS9_8equal_toIsEEsEE10hipError_tPvRmT2_T3_T4_T5_mT6_T7_P12ihipStream_tbENKUlT_T0_E_clISt17integral_constantIbLb0EESY_IbLb1EEEEDaSU_SV_EUlSU_E_NS1_11comp_targetILNS1_3genE5ELNS1_11target_archE942ELNS1_3gpuE9ELNS1_3repE0EEENS1_30default_config_static_selectorELNS0_4arch9wavefront6targetE0EEEvT1_.num_named_barrier, 0
	.set _ZN7rocprim17ROCPRIM_400000_NS6detail17trampoline_kernelINS0_14default_configENS1_27scan_by_key_config_selectorIssEEZZNS1_16scan_by_key_implILNS1_25lookback_scan_determinismE0ELb1ES3_N6thrust23THRUST_200600_302600_NS6detail15normal_iteratorINS9_10device_ptrIsEEEESE_SE_sNS9_10multipliesIsEENS9_8equal_toIsEEsEE10hipError_tPvRmT2_T3_T4_T5_mT6_T7_P12ihipStream_tbENKUlT_T0_E_clISt17integral_constantIbLb0EESY_IbLb1EEEEDaSU_SV_EUlSU_E_NS1_11comp_targetILNS1_3genE5ELNS1_11target_archE942ELNS1_3gpuE9ELNS1_3repE0EEENS1_30default_config_static_selectorELNS0_4arch9wavefront6targetE0EEEvT1_.private_seg_size, 0
	.set _ZN7rocprim17ROCPRIM_400000_NS6detail17trampoline_kernelINS0_14default_configENS1_27scan_by_key_config_selectorIssEEZZNS1_16scan_by_key_implILNS1_25lookback_scan_determinismE0ELb1ES3_N6thrust23THRUST_200600_302600_NS6detail15normal_iteratorINS9_10device_ptrIsEEEESE_SE_sNS9_10multipliesIsEENS9_8equal_toIsEEsEE10hipError_tPvRmT2_T3_T4_T5_mT6_T7_P12ihipStream_tbENKUlT_T0_E_clISt17integral_constantIbLb0EESY_IbLb1EEEEDaSU_SV_EUlSU_E_NS1_11comp_targetILNS1_3genE5ELNS1_11target_archE942ELNS1_3gpuE9ELNS1_3repE0EEENS1_30default_config_static_selectorELNS0_4arch9wavefront6targetE0EEEvT1_.uses_vcc, 0
	.set _ZN7rocprim17ROCPRIM_400000_NS6detail17trampoline_kernelINS0_14default_configENS1_27scan_by_key_config_selectorIssEEZZNS1_16scan_by_key_implILNS1_25lookback_scan_determinismE0ELb1ES3_N6thrust23THRUST_200600_302600_NS6detail15normal_iteratorINS9_10device_ptrIsEEEESE_SE_sNS9_10multipliesIsEENS9_8equal_toIsEEsEE10hipError_tPvRmT2_T3_T4_T5_mT6_T7_P12ihipStream_tbENKUlT_T0_E_clISt17integral_constantIbLb0EESY_IbLb1EEEEDaSU_SV_EUlSU_E_NS1_11comp_targetILNS1_3genE5ELNS1_11target_archE942ELNS1_3gpuE9ELNS1_3repE0EEENS1_30default_config_static_selectorELNS0_4arch9wavefront6targetE0EEEvT1_.uses_flat_scratch, 0
	.set _ZN7rocprim17ROCPRIM_400000_NS6detail17trampoline_kernelINS0_14default_configENS1_27scan_by_key_config_selectorIssEEZZNS1_16scan_by_key_implILNS1_25lookback_scan_determinismE0ELb1ES3_N6thrust23THRUST_200600_302600_NS6detail15normal_iteratorINS9_10device_ptrIsEEEESE_SE_sNS9_10multipliesIsEENS9_8equal_toIsEEsEE10hipError_tPvRmT2_T3_T4_T5_mT6_T7_P12ihipStream_tbENKUlT_T0_E_clISt17integral_constantIbLb0EESY_IbLb1EEEEDaSU_SV_EUlSU_E_NS1_11comp_targetILNS1_3genE5ELNS1_11target_archE942ELNS1_3gpuE9ELNS1_3repE0EEENS1_30default_config_static_selectorELNS0_4arch9wavefront6targetE0EEEvT1_.has_dyn_sized_stack, 0
	.set _ZN7rocprim17ROCPRIM_400000_NS6detail17trampoline_kernelINS0_14default_configENS1_27scan_by_key_config_selectorIssEEZZNS1_16scan_by_key_implILNS1_25lookback_scan_determinismE0ELb1ES3_N6thrust23THRUST_200600_302600_NS6detail15normal_iteratorINS9_10device_ptrIsEEEESE_SE_sNS9_10multipliesIsEENS9_8equal_toIsEEsEE10hipError_tPvRmT2_T3_T4_T5_mT6_T7_P12ihipStream_tbENKUlT_T0_E_clISt17integral_constantIbLb0EESY_IbLb1EEEEDaSU_SV_EUlSU_E_NS1_11comp_targetILNS1_3genE5ELNS1_11target_archE942ELNS1_3gpuE9ELNS1_3repE0EEENS1_30default_config_static_selectorELNS0_4arch9wavefront6targetE0EEEvT1_.has_recursion, 0
	.set _ZN7rocprim17ROCPRIM_400000_NS6detail17trampoline_kernelINS0_14default_configENS1_27scan_by_key_config_selectorIssEEZZNS1_16scan_by_key_implILNS1_25lookback_scan_determinismE0ELb1ES3_N6thrust23THRUST_200600_302600_NS6detail15normal_iteratorINS9_10device_ptrIsEEEESE_SE_sNS9_10multipliesIsEENS9_8equal_toIsEEsEE10hipError_tPvRmT2_T3_T4_T5_mT6_T7_P12ihipStream_tbENKUlT_T0_E_clISt17integral_constantIbLb0EESY_IbLb1EEEEDaSU_SV_EUlSU_E_NS1_11comp_targetILNS1_3genE5ELNS1_11target_archE942ELNS1_3gpuE9ELNS1_3repE0EEENS1_30default_config_static_selectorELNS0_4arch9wavefront6targetE0EEEvT1_.has_indirect_call, 0
	.section	.AMDGPU.csdata,"",@progbits
; Kernel info:
; codeLenInByte = 0
; TotalNumSgprs: 0
; NumVgprs: 0
; ScratchSize: 0
; MemoryBound: 0
; FloatMode: 240
; IeeeMode: 1
; LDSByteSize: 0 bytes/workgroup (compile time only)
; SGPRBlocks: 0
; VGPRBlocks: 0
; NumSGPRsForWavesPerEU: 1
; NumVGPRsForWavesPerEU: 1
; Occupancy: 16
; WaveLimiterHint : 0
; COMPUTE_PGM_RSRC2:SCRATCH_EN: 0
; COMPUTE_PGM_RSRC2:USER_SGPR: 6
; COMPUTE_PGM_RSRC2:TRAP_HANDLER: 0
; COMPUTE_PGM_RSRC2:TGID_X_EN: 1
; COMPUTE_PGM_RSRC2:TGID_Y_EN: 0
; COMPUTE_PGM_RSRC2:TGID_Z_EN: 0
; COMPUTE_PGM_RSRC2:TIDIG_COMP_CNT: 0
	.section	.text._ZN7rocprim17ROCPRIM_400000_NS6detail17trampoline_kernelINS0_14default_configENS1_27scan_by_key_config_selectorIssEEZZNS1_16scan_by_key_implILNS1_25lookback_scan_determinismE0ELb1ES3_N6thrust23THRUST_200600_302600_NS6detail15normal_iteratorINS9_10device_ptrIsEEEESE_SE_sNS9_10multipliesIsEENS9_8equal_toIsEEsEE10hipError_tPvRmT2_T3_T4_T5_mT6_T7_P12ihipStream_tbENKUlT_T0_E_clISt17integral_constantIbLb0EESY_IbLb1EEEEDaSU_SV_EUlSU_E_NS1_11comp_targetILNS1_3genE4ELNS1_11target_archE910ELNS1_3gpuE8ELNS1_3repE0EEENS1_30default_config_static_selectorELNS0_4arch9wavefront6targetE0EEEvT1_,"axG",@progbits,_ZN7rocprim17ROCPRIM_400000_NS6detail17trampoline_kernelINS0_14default_configENS1_27scan_by_key_config_selectorIssEEZZNS1_16scan_by_key_implILNS1_25lookback_scan_determinismE0ELb1ES3_N6thrust23THRUST_200600_302600_NS6detail15normal_iteratorINS9_10device_ptrIsEEEESE_SE_sNS9_10multipliesIsEENS9_8equal_toIsEEsEE10hipError_tPvRmT2_T3_T4_T5_mT6_T7_P12ihipStream_tbENKUlT_T0_E_clISt17integral_constantIbLb0EESY_IbLb1EEEEDaSU_SV_EUlSU_E_NS1_11comp_targetILNS1_3genE4ELNS1_11target_archE910ELNS1_3gpuE8ELNS1_3repE0EEENS1_30default_config_static_selectorELNS0_4arch9wavefront6targetE0EEEvT1_,comdat
	.protected	_ZN7rocprim17ROCPRIM_400000_NS6detail17trampoline_kernelINS0_14default_configENS1_27scan_by_key_config_selectorIssEEZZNS1_16scan_by_key_implILNS1_25lookback_scan_determinismE0ELb1ES3_N6thrust23THRUST_200600_302600_NS6detail15normal_iteratorINS9_10device_ptrIsEEEESE_SE_sNS9_10multipliesIsEENS9_8equal_toIsEEsEE10hipError_tPvRmT2_T3_T4_T5_mT6_T7_P12ihipStream_tbENKUlT_T0_E_clISt17integral_constantIbLb0EESY_IbLb1EEEEDaSU_SV_EUlSU_E_NS1_11comp_targetILNS1_3genE4ELNS1_11target_archE910ELNS1_3gpuE8ELNS1_3repE0EEENS1_30default_config_static_selectorELNS0_4arch9wavefront6targetE0EEEvT1_ ; -- Begin function _ZN7rocprim17ROCPRIM_400000_NS6detail17trampoline_kernelINS0_14default_configENS1_27scan_by_key_config_selectorIssEEZZNS1_16scan_by_key_implILNS1_25lookback_scan_determinismE0ELb1ES3_N6thrust23THRUST_200600_302600_NS6detail15normal_iteratorINS9_10device_ptrIsEEEESE_SE_sNS9_10multipliesIsEENS9_8equal_toIsEEsEE10hipError_tPvRmT2_T3_T4_T5_mT6_T7_P12ihipStream_tbENKUlT_T0_E_clISt17integral_constantIbLb0EESY_IbLb1EEEEDaSU_SV_EUlSU_E_NS1_11comp_targetILNS1_3genE4ELNS1_11target_archE910ELNS1_3gpuE8ELNS1_3repE0EEENS1_30default_config_static_selectorELNS0_4arch9wavefront6targetE0EEEvT1_
	.globl	_ZN7rocprim17ROCPRIM_400000_NS6detail17trampoline_kernelINS0_14default_configENS1_27scan_by_key_config_selectorIssEEZZNS1_16scan_by_key_implILNS1_25lookback_scan_determinismE0ELb1ES3_N6thrust23THRUST_200600_302600_NS6detail15normal_iteratorINS9_10device_ptrIsEEEESE_SE_sNS9_10multipliesIsEENS9_8equal_toIsEEsEE10hipError_tPvRmT2_T3_T4_T5_mT6_T7_P12ihipStream_tbENKUlT_T0_E_clISt17integral_constantIbLb0EESY_IbLb1EEEEDaSU_SV_EUlSU_E_NS1_11comp_targetILNS1_3genE4ELNS1_11target_archE910ELNS1_3gpuE8ELNS1_3repE0EEENS1_30default_config_static_selectorELNS0_4arch9wavefront6targetE0EEEvT1_
	.p2align	8
	.type	_ZN7rocprim17ROCPRIM_400000_NS6detail17trampoline_kernelINS0_14default_configENS1_27scan_by_key_config_selectorIssEEZZNS1_16scan_by_key_implILNS1_25lookback_scan_determinismE0ELb1ES3_N6thrust23THRUST_200600_302600_NS6detail15normal_iteratorINS9_10device_ptrIsEEEESE_SE_sNS9_10multipliesIsEENS9_8equal_toIsEEsEE10hipError_tPvRmT2_T3_T4_T5_mT6_T7_P12ihipStream_tbENKUlT_T0_E_clISt17integral_constantIbLb0EESY_IbLb1EEEEDaSU_SV_EUlSU_E_NS1_11comp_targetILNS1_3genE4ELNS1_11target_archE910ELNS1_3gpuE8ELNS1_3repE0EEENS1_30default_config_static_selectorELNS0_4arch9wavefront6targetE0EEEvT1_,@function
_ZN7rocprim17ROCPRIM_400000_NS6detail17trampoline_kernelINS0_14default_configENS1_27scan_by_key_config_selectorIssEEZZNS1_16scan_by_key_implILNS1_25lookback_scan_determinismE0ELb1ES3_N6thrust23THRUST_200600_302600_NS6detail15normal_iteratorINS9_10device_ptrIsEEEESE_SE_sNS9_10multipliesIsEENS9_8equal_toIsEEsEE10hipError_tPvRmT2_T3_T4_T5_mT6_T7_P12ihipStream_tbENKUlT_T0_E_clISt17integral_constantIbLb0EESY_IbLb1EEEEDaSU_SV_EUlSU_E_NS1_11comp_targetILNS1_3genE4ELNS1_11target_archE910ELNS1_3gpuE8ELNS1_3repE0EEENS1_30default_config_static_selectorELNS0_4arch9wavefront6targetE0EEEvT1_: ; @_ZN7rocprim17ROCPRIM_400000_NS6detail17trampoline_kernelINS0_14default_configENS1_27scan_by_key_config_selectorIssEEZZNS1_16scan_by_key_implILNS1_25lookback_scan_determinismE0ELb1ES3_N6thrust23THRUST_200600_302600_NS6detail15normal_iteratorINS9_10device_ptrIsEEEESE_SE_sNS9_10multipliesIsEENS9_8equal_toIsEEsEE10hipError_tPvRmT2_T3_T4_T5_mT6_T7_P12ihipStream_tbENKUlT_T0_E_clISt17integral_constantIbLb0EESY_IbLb1EEEEDaSU_SV_EUlSU_E_NS1_11comp_targetILNS1_3genE4ELNS1_11target_archE910ELNS1_3gpuE8ELNS1_3repE0EEENS1_30default_config_static_selectorELNS0_4arch9wavefront6targetE0EEEvT1_
; %bb.0:
	.section	.rodata,"a",@progbits
	.p2align	6, 0x0
	.amdhsa_kernel _ZN7rocprim17ROCPRIM_400000_NS6detail17trampoline_kernelINS0_14default_configENS1_27scan_by_key_config_selectorIssEEZZNS1_16scan_by_key_implILNS1_25lookback_scan_determinismE0ELb1ES3_N6thrust23THRUST_200600_302600_NS6detail15normal_iteratorINS9_10device_ptrIsEEEESE_SE_sNS9_10multipliesIsEENS9_8equal_toIsEEsEE10hipError_tPvRmT2_T3_T4_T5_mT6_T7_P12ihipStream_tbENKUlT_T0_E_clISt17integral_constantIbLb0EESY_IbLb1EEEEDaSU_SV_EUlSU_E_NS1_11comp_targetILNS1_3genE4ELNS1_11target_archE910ELNS1_3gpuE8ELNS1_3repE0EEENS1_30default_config_static_selectorELNS0_4arch9wavefront6targetE0EEEvT1_
		.amdhsa_group_segment_fixed_size 0
		.amdhsa_private_segment_fixed_size 0
		.amdhsa_kernarg_size 112
		.amdhsa_user_sgpr_count 6
		.amdhsa_user_sgpr_private_segment_buffer 1
		.amdhsa_user_sgpr_dispatch_ptr 0
		.amdhsa_user_sgpr_queue_ptr 0
		.amdhsa_user_sgpr_kernarg_segment_ptr 1
		.amdhsa_user_sgpr_dispatch_id 0
		.amdhsa_user_sgpr_flat_scratch_init 0
		.amdhsa_user_sgpr_private_segment_size 0
		.amdhsa_wavefront_size32 1
		.amdhsa_uses_dynamic_stack 0
		.amdhsa_system_sgpr_private_segment_wavefront_offset 0
		.amdhsa_system_sgpr_workgroup_id_x 1
		.amdhsa_system_sgpr_workgroup_id_y 0
		.amdhsa_system_sgpr_workgroup_id_z 0
		.amdhsa_system_sgpr_workgroup_info 0
		.amdhsa_system_vgpr_workitem_id 0
		.amdhsa_next_free_vgpr 1
		.amdhsa_next_free_sgpr 1
		.amdhsa_reserve_vcc 0
		.amdhsa_reserve_flat_scratch 0
		.amdhsa_float_round_mode_32 0
		.amdhsa_float_round_mode_16_64 0
		.amdhsa_float_denorm_mode_32 3
		.amdhsa_float_denorm_mode_16_64 3
		.amdhsa_dx10_clamp 1
		.amdhsa_ieee_mode 1
		.amdhsa_fp16_overflow 0
		.amdhsa_workgroup_processor_mode 1
		.amdhsa_memory_ordered 1
		.amdhsa_forward_progress 1
		.amdhsa_shared_vgpr_count 0
		.amdhsa_exception_fp_ieee_invalid_op 0
		.amdhsa_exception_fp_denorm_src 0
		.amdhsa_exception_fp_ieee_div_zero 0
		.amdhsa_exception_fp_ieee_overflow 0
		.amdhsa_exception_fp_ieee_underflow 0
		.amdhsa_exception_fp_ieee_inexact 0
		.amdhsa_exception_int_div_zero 0
	.end_amdhsa_kernel
	.section	.text._ZN7rocprim17ROCPRIM_400000_NS6detail17trampoline_kernelINS0_14default_configENS1_27scan_by_key_config_selectorIssEEZZNS1_16scan_by_key_implILNS1_25lookback_scan_determinismE0ELb1ES3_N6thrust23THRUST_200600_302600_NS6detail15normal_iteratorINS9_10device_ptrIsEEEESE_SE_sNS9_10multipliesIsEENS9_8equal_toIsEEsEE10hipError_tPvRmT2_T3_T4_T5_mT6_T7_P12ihipStream_tbENKUlT_T0_E_clISt17integral_constantIbLb0EESY_IbLb1EEEEDaSU_SV_EUlSU_E_NS1_11comp_targetILNS1_3genE4ELNS1_11target_archE910ELNS1_3gpuE8ELNS1_3repE0EEENS1_30default_config_static_selectorELNS0_4arch9wavefront6targetE0EEEvT1_,"axG",@progbits,_ZN7rocprim17ROCPRIM_400000_NS6detail17trampoline_kernelINS0_14default_configENS1_27scan_by_key_config_selectorIssEEZZNS1_16scan_by_key_implILNS1_25lookback_scan_determinismE0ELb1ES3_N6thrust23THRUST_200600_302600_NS6detail15normal_iteratorINS9_10device_ptrIsEEEESE_SE_sNS9_10multipliesIsEENS9_8equal_toIsEEsEE10hipError_tPvRmT2_T3_T4_T5_mT6_T7_P12ihipStream_tbENKUlT_T0_E_clISt17integral_constantIbLb0EESY_IbLb1EEEEDaSU_SV_EUlSU_E_NS1_11comp_targetILNS1_3genE4ELNS1_11target_archE910ELNS1_3gpuE8ELNS1_3repE0EEENS1_30default_config_static_selectorELNS0_4arch9wavefront6targetE0EEEvT1_,comdat
.Lfunc_end635:
	.size	_ZN7rocprim17ROCPRIM_400000_NS6detail17trampoline_kernelINS0_14default_configENS1_27scan_by_key_config_selectorIssEEZZNS1_16scan_by_key_implILNS1_25lookback_scan_determinismE0ELb1ES3_N6thrust23THRUST_200600_302600_NS6detail15normal_iteratorINS9_10device_ptrIsEEEESE_SE_sNS9_10multipliesIsEENS9_8equal_toIsEEsEE10hipError_tPvRmT2_T3_T4_T5_mT6_T7_P12ihipStream_tbENKUlT_T0_E_clISt17integral_constantIbLb0EESY_IbLb1EEEEDaSU_SV_EUlSU_E_NS1_11comp_targetILNS1_3genE4ELNS1_11target_archE910ELNS1_3gpuE8ELNS1_3repE0EEENS1_30default_config_static_selectorELNS0_4arch9wavefront6targetE0EEEvT1_, .Lfunc_end635-_ZN7rocprim17ROCPRIM_400000_NS6detail17trampoline_kernelINS0_14default_configENS1_27scan_by_key_config_selectorIssEEZZNS1_16scan_by_key_implILNS1_25lookback_scan_determinismE0ELb1ES3_N6thrust23THRUST_200600_302600_NS6detail15normal_iteratorINS9_10device_ptrIsEEEESE_SE_sNS9_10multipliesIsEENS9_8equal_toIsEEsEE10hipError_tPvRmT2_T3_T4_T5_mT6_T7_P12ihipStream_tbENKUlT_T0_E_clISt17integral_constantIbLb0EESY_IbLb1EEEEDaSU_SV_EUlSU_E_NS1_11comp_targetILNS1_3genE4ELNS1_11target_archE910ELNS1_3gpuE8ELNS1_3repE0EEENS1_30default_config_static_selectorELNS0_4arch9wavefront6targetE0EEEvT1_
                                        ; -- End function
	.set _ZN7rocprim17ROCPRIM_400000_NS6detail17trampoline_kernelINS0_14default_configENS1_27scan_by_key_config_selectorIssEEZZNS1_16scan_by_key_implILNS1_25lookback_scan_determinismE0ELb1ES3_N6thrust23THRUST_200600_302600_NS6detail15normal_iteratorINS9_10device_ptrIsEEEESE_SE_sNS9_10multipliesIsEENS9_8equal_toIsEEsEE10hipError_tPvRmT2_T3_T4_T5_mT6_T7_P12ihipStream_tbENKUlT_T0_E_clISt17integral_constantIbLb0EESY_IbLb1EEEEDaSU_SV_EUlSU_E_NS1_11comp_targetILNS1_3genE4ELNS1_11target_archE910ELNS1_3gpuE8ELNS1_3repE0EEENS1_30default_config_static_selectorELNS0_4arch9wavefront6targetE0EEEvT1_.num_vgpr, 0
	.set _ZN7rocprim17ROCPRIM_400000_NS6detail17trampoline_kernelINS0_14default_configENS1_27scan_by_key_config_selectorIssEEZZNS1_16scan_by_key_implILNS1_25lookback_scan_determinismE0ELb1ES3_N6thrust23THRUST_200600_302600_NS6detail15normal_iteratorINS9_10device_ptrIsEEEESE_SE_sNS9_10multipliesIsEENS9_8equal_toIsEEsEE10hipError_tPvRmT2_T3_T4_T5_mT6_T7_P12ihipStream_tbENKUlT_T0_E_clISt17integral_constantIbLb0EESY_IbLb1EEEEDaSU_SV_EUlSU_E_NS1_11comp_targetILNS1_3genE4ELNS1_11target_archE910ELNS1_3gpuE8ELNS1_3repE0EEENS1_30default_config_static_selectorELNS0_4arch9wavefront6targetE0EEEvT1_.num_agpr, 0
	.set _ZN7rocprim17ROCPRIM_400000_NS6detail17trampoline_kernelINS0_14default_configENS1_27scan_by_key_config_selectorIssEEZZNS1_16scan_by_key_implILNS1_25lookback_scan_determinismE0ELb1ES3_N6thrust23THRUST_200600_302600_NS6detail15normal_iteratorINS9_10device_ptrIsEEEESE_SE_sNS9_10multipliesIsEENS9_8equal_toIsEEsEE10hipError_tPvRmT2_T3_T4_T5_mT6_T7_P12ihipStream_tbENKUlT_T0_E_clISt17integral_constantIbLb0EESY_IbLb1EEEEDaSU_SV_EUlSU_E_NS1_11comp_targetILNS1_3genE4ELNS1_11target_archE910ELNS1_3gpuE8ELNS1_3repE0EEENS1_30default_config_static_selectorELNS0_4arch9wavefront6targetE0EEEvT1_.numbered_sgpr, 0
	.set _ZN7rocprim17ROCPRIM_400000_NS6detail17trampoline_kernelINS0_14default_configENS1_27scan_by_key_config_selectorIssEEZZNS1_16scan_by_key_implILNS1_25lookback_scan_determinismE0ELb1ES3_N6thrust23THRUST_200600_302600_NS6detail15normal_iteratorINS9_10device_ptrIsEEEESE_SE_sNS9_10multipliesIsEENS9_8equal_toIsEEsEE10hipError_tPvRmT2_T3_T4_T5_mT6_T7_P12ihipStream_tbENKUlT_T0_E_clISt17integral_constantIbLb0EESY_IbLb1EEEEDaSU_SV_EUlSU_E_NS1_11comp_targetILNS1_3genE4ELNS1_11target_archE910ELNS1_3gpuE8ELNS1_3repE0EEENS1_30default_config_static_selectorELNS0_4arch9wavefront6targetE0EEEvT1_.num_named_barrier, 0
	.set _ZN7rocprim17ROCPRIM_400000_NS6detail17trampoline_kernelINS0_14default_configENS1_27scan_by_key_config_selectorIssEEZZNS1_16scan_by_key_implILNS1_25lookback_scan_determinismE0ELb1ES3_N6thrust23THRUST_200600_302600_NS6detail15normal_iteratorINS9_10device_ptrIsEEEESE_SE_sNS9_10multipliesIsEENS9_8equal_toIsEEsEE10hipError_tPvRmT2_T3_T4_T5_mT6_T7_P12ihipStream_tbENKUlT_T0_E_clISt17integral_constantIbLb0EESY_IbLb1EEEEDaSU_SV_EUlSU_E_NS1_11comp_targetILNS1_3genE4ELNS1_11target_archE910ELNS1_3gpuE8ELNS1_3repE0EEENS1_30default_config_static_selectorELNS0_4arch9wavefront6targetE0EEEvT1_.private_seg_size, 0
	.set _ZN7rocprim17ROCPRIM_400000_NS6detail17trampoline_kernelINS0_14default_configENS1_27scan_by_key_config_selectorIssEEZZNS1_16scan_by_key_implILNS1_25lookback_scan_determinismE0ELb1ES3_N6thrust23THRUST_200600_302600_NS6detail15normal_iteratorINS9_10device_ptrIsEEEESE_SE_sNS9_10multipliesIsEENS9_8equal_toIsEEsEE10hipError_tPvRmT2_T3_T4_T5_mT6_T7_P12ihipStream_tbENKUlT_T0_E_clISt17integral_constantIbLb0EESY_IbLb1EEEEDaSU_SV_EUlSU_E_NS1_11comp_targetILNS1_3genE4ELNS1_11target_archE910ELNS1_3gpuE8ELNS1_3repE0EEENS1_30default_config_static_selectorELNS0_4arch9wavefront6targetE0EEEvT1_.uses_vcc, 0
	.set _ZN7rocprim17ROCPRIM_400000_NS6detail17trampoline_kernelINS0_14default_configENS1_27scan_by_key_config_selectorIssEEZZNS1_16scan_by_key_implILNS1_25lookback_scan_determinismE0ELb1ES3_N6thrust23THRUST_200600_302600_NS6detail15normal_iteratorINS9_10device_ptrIsEEEESE_SE_sNS9_10multipliesIsEENS9_8equal_toIsEEsEE10hipError_tPvRmT2_T3_T4_T5_mT6_T7_P12ihipStream_tbENKUlT_T0_E_clISt17integral_constantIbLb0EESY_IbLb1EEEEDaSU_SV_EUlSU_E_NS1_11comp_targetILNS1_3genE4ELNS1_11target_archE910ELNS1_3gpuE8ELNS1_3repE0EEENS1_30default_config_static_selectorELNS0_4arch9wavefront6targetE0EEEvT1_.uses_flat_scratch, 0
	.set _ZN7rocprim17ROCPRIM_400000_NS6detail17trampoline_kernelINS0_14default_configENS1_27scan_by_key_config_selectorIssEEZZNS1_16scan_by_key_implILNS1_25lookback_scan_determinismE0ELb1ES3_N6thrust23THRUST_200600_302600_NS6detail15normal_iteratorINS9_10device_ptrIsEEEESE_SE_sNS9_10multipliesIsEENS9_8equal_toIsEEsEE10hipError_tPvRmT2_T3_T4_T5_mT6_T7_P12ihipStream_tbENKUlT_T0_E_clISt17integral_constantIbLb0EESY_IbLb1EEEEDaSU_SV_EUlSU_E_NS1_11comp_targetILNS1_3genE4ELNS1_11target_archE910ELNS1_3gpuE8ELNS1_3repE0EEENS1_30default_config_static_selectorELNS0_4arch9wavefront6targetE0EEEvT1_.has_dyn_sized_stack, 0
	.set _ZN7rocprim17ROCPRIM_400000_NS6detail17trampoline_kernelINS0_14default_configENS1_27scan_by_key_config_selectorIssEEZZNS1_16scan_by_key_implILNS1_25lookback_scan_determinismE0ELb1ES3_N6thrust23THRUST_200600_302600_NS6detail15normal_iteratorINS9_10device_ptrIsEEEESE_SE_sNS9_10multipliesIsEENS9_8equal_toIsEEsEE10hipError_tPvRmT2_T3_T4_T5_mT6_T7_P12ihipStream_tbENKUlT_T0_E_clISt17integral_constantIbLb0EESY_IbLb1EEEEDaSU_SV_EUlSU_E_NS1_11comp_targetILNS1_3genE4ELNS1_11target_archE910ELNS1_3gpuE8ELNS1_3repE0EEENS1_30default_config_static_selectorELNS0_4arch9wavefront6targetE0EEEvT1_.has_recursion, 0
	.set _ZN7rocprim17ROCPRIM_400000_NS6detail17trampoline_kernelINS0_14default_configENS1_27scan_by_key_config_selectorIssEEZZNS1_16scan_by_key_implILNS1_25lookback_scan_determinismE0ELb1ES3_N6thrust23THRUST_200600_302600_NS6detail15normal_iteratorINS9_10device_ptrIsEEEESE_SE_sNS9_10multipliesIsEENS9_8equal_toIsEEsEE10hipError_tPvRmT2_T3_T4_T5_mT6_T7_P12ihipStream_tbENKUlT_T0_E_clISt17integral_constantIbLb0EESY_IbLb1EEEEDaSU_SV_EUlSU_E_NS1_11comp_targetILNS1_3genE4ELNS1_11target_archE910ELNS1_3gpuE8ELNS1_3repE0EEENS1_30default_config_static_selectorELNS0_4arch9wavefront6targetE0EEEvT1_.has_indirect_call, 0
	.section	.AMDGPU.csdata,"",@progbits
; Kernel info:
; codeLenInByte = 0
; TotalNumSgprs: 0
; NumVgprs: 0
; ScratchSize: 0
; MemoryBound: 0
; FloatMode: 240
; IeeeMode: 1
; LDSByteSize: 0 bytes/workgroup (compile time only)
; SGPRBlocks: 0
; VGPRBlocks: 0
; NumSGPRsForWavesPerEU: 1
; NumVGPRsForWavesPerEU: 1
; Occupancy: 16
; WaveLimiterHint : 0
; COMPUTE_PGM_RSRC2:SCRATCH_EN: 0
; COMPUTE_PGM_RSRC2:USER_SGPR: 6
; COMPUTE_PGM_RSRC2:TRAP_HANDLER: 0
; COMPUTE_PGM_RSRC2:TGID_X_EN: 1
; COMPUTE_PGM_RSRC2:TGID_Y_EN: 0
; COMPUTE_PGM_RSRC2:TGID_Z_EN: 0
; COMPUTE_PGM_RSRC2:TIDIG_COMP_CNT: 0
	.section	.text._ZN7rocprim17ROCPRIM_400000_NS6detail17trampoline_kernelINS0_14default_configENS1_27scan_by_key_config_selectorIssEEZZNS1_16scan_by_key_implILNS1_25lookback_scan_determinismE0ELb1ES3_N6thrust23THRUST_200600_302600_NS6detail15normal_iteratorINS9_10device_ptrIsEEEESE_SE_sNS9_10multipliesIsEENS9_8equal_toIsEEsEE10hipError_tPvRmT2_T3_T4_T5_mT6_T7_P12ihipStream_tbENKUlT_T0_E_clISt17integral_constantIbLb0EESY_IbLb1EEEEDaSU_SV_EUlSU_E_NS1_11comp_targetILNS1_3genE3ELNS1_11target_archE908ELNS1_3gpuE7ELNS1_3repE0EEENS1_30default_config_static_selectorELNS0_4arch9wavefront6targetE0EEEvT1_,"axG",@progbits,_ZN7rocprim17ROCPRIM_400000_NS6detail17trampoline_kernelINS0_14default_configENS1_27scan_by_key_config_selectorIssEEZZNS1_16scan_by_key_implILNS1_25lookback_scan_determinismE0ELb1ES3_N6thrust23THRUST_200600_302600_NS6detail15normal_iteratorINS9_10device_ptrIsEEEESE_SE_sNS9_10multipliesIsEENS9_8equal_toIsEEsEE10hipError_tPvRmT2_T3_T4_T5_mT6_T7_P12ihipStream_tbENKUlT_T0_E_clISt17integral_constantIbLb0EESY_IbLb1EEEEDaSU_SV_EUlSU_E_NS1_11comp_targetILNS1_3genE3ELNS1_11target_archE908ELNS1_3gpuE7ELNS1_3repE0EEENS1_30default_config_static_selectorELNS0_4arch9wavefront6targetE0EEEvT1_,comdat
	.protected	_ZN7rocprim17ROCPRIM_400000_NS6detail17trampoline_kernelINS0_14default_configENS1_27scan_by_key_config_selectorIssEEZZNS1_16scan_by_key_implILNS1_25lookback_scan_determinismE0ELb1ES3_N6thrust23THRUST_200600_302600_NS6detail15normal_iteratorINS9_10device_ptrIsEEEESE_SE_sNS9_10multipliesIsEENS9_8equal_toIsEEsEE10hipError_tPvRmT2_T3_T4_T5_mT6_T7_P12ihipStream_tbENKUlT_T0_E_clISt17integral_constantIbLb0EESY_IbLb1EEEEDaSU_SV_EUlSU_E_NS1_11comp_targetILNS1_3genE3ELNS1_11target_archE908ELNS1_3gpuE7ELNS1_3repE0EEENS1_30default_config_static_selectorELNS0_4arch9wavefront6targetE0EEEvT1_ ; -- Begin function _ZN7rocprim17ROCPRIM_400000_NS6detail17trampoline_kernelINS0_14default_configENS1_27scan_by_key_config_selectorIssEEZZNS1_16scan_by_key_implILNS1_25lookback_scan_determinismE0ELb1ES3_N6thrust23THRUST_200600_302600_NS6detail15normal_iteratorINS9_10device_ptrIsEEEESE_SE_sNS9_10multipliesIsEENS9_8equal_toIsEEsEE10hipError_tPvRmT2_T3_T4_T5_mT6_T7_P12ihipStream_tbENKUlT_T0_E_clISt17integral_constantIbLb0EESY_IbLb1EEEEDaSU_SV_EUlSU_E_NS1_11comp_targetILNS1_3genE3ELNS1_11target_archE908ELNS1_3gpuE7ELNS1_3repE0EEENS1_30default_config_static_selectorELNS0_4arch9wavefront6targetE0EEEvT1_
	.globl	_ZN7rocprim17ROCPRIM_400000_NS6detail17trampoline_kernelINS0_14default_configENS1_27scan_by_key_config_selectorIssEEZZNS1_16scan_by_key_implILNS1_25lookback_scan_determinismE0ELb1ES3_N6thrust23THRUST_200600_302600_NS6detail15normal_iteratorINS9_10device_ptrIsEEEESE_SE_sNS9_10multipliesIsEENS9_8equal_toIsEEsEE10hipError_tPvRmT2_T3_T4_T5_mT6_T7_P12ihipStream_tbENKUlT_T0_E_clISt17integral_constantIbLb0EESY_IbLb1EEEEDaSU_SV_EUlSU_E_NS1_11comp_targetILNS1_3genE3ELNS1_11target_archE908ELNS1_3gpuE7ELNS1_3repE0EEENS1_30default_config_static_selectorELNS0_4arch9wavefront6targetE0EEEvT1_
	.p2align	8
	.type	_ZN7rocprim17ROCPRIM_400000_NS6detail17trampoline_kernelINS0_14default_configENS1_27scan_by_key_config_selectorIssEEZZNS1_16scan_by_key_implILNS1_25lookback_scan_determinismE0ELb1ES3_N6thrust23THRUST_200600_302600_NS6detail15normal_iteratorINS9_10device_ptrIsEEEESE_SE_sNS9_10multipliesIsEENS9_8equal_toIsEEsEE10hipError_tPvRmT2_T3_T4_T5_mT6_T7_P12ihipStream_tbENKUlT_T0_E_clISt17integral_constantIbLb0EESY_IbLb1EEEEDaSU_SV_EUlSU_E_NS1_11comp_targetILNS1_3genE3ELNS1_11target_archE908ELNS1_3gpuE7ELNS1_3repE0EEENS1_30default_config_static_selectorELNS0_4arch9wavefront6targetE0EEEvT1_,@function
_ZN7rocprim17ROCPRIM_400000_NS6detail17trampoline_kernelINS0_14default_configENS1_27scan_by_key_config_selectorIssEEZZNS1_16scan_by_key_implILNS1_25lookback_scan_determinismE0ELb1ES3_N6thrust23THRUST_200600_302600_NS6detail15normal_iteratorINS9_10device_ptrIsEEEESE_SE_sNS9_10multipliesIsEENS9_8equal_toIsEEsEE10hipError_tPvRmT2_T3_T4_T5_mT6_T7_P12ihipStream_tbENKUlT_T0_E_clISt17integral_constantIbLb0EESY_IbLb1EEEEDaSU_SV_EUlSU_E_NS1_11comp_targetILNS1_3genE3ELNS1_11target_archE908ELNS1_3gpuE7ELNS1_3repE0EEENS1_30default_config_static_selectorELNS0_4arch9wavefront6targetE0EEEvT1_: ; @_ZN7rocprim17ROCPRIM_400000_NS6detail17trampoline_kernelINS0_14default_configENS1_27scan_by_key_config_selectorIssEEZZNS1_16scan_by_key_implILNS1_25lookback_scan_determinismE0ELb1ES3_N6thrust23THRUST_200600_302600_NS6detail15normal_iteratorINS9_10device_ptrIsEEEESE_SE_sNS9_10multipliesIsEENS9_8equal_toIsEEsEE10hipError_tPvRmT2_T3_T4_T5_mT6_T7_P12ihipStream_tbENKUlT_T0_E_clISt17integral_constantIbLb0EESY_IbLb1EEEEDaSU_SV_EUlSU_E_NS1_11comp_targetILNS1_3genE3ELNS1_11target_archE908ELNS1_3gpuE7ELNS1_3repE0EEENS1_30default_config_static_selectorELNS0_4arch9wavefront6targetE0EEEvT1_
; %bb.0:
	.section	.rodata,"a",@progbits
	.p2align	6, 0x0
	.amdhsa_kernel _ZN7rocprim17ROCPRIM_400000_NS6detail17trampoline_kernelINS0_14default_configENS1_27scan_by_key_config_selectorIssEEZZNS1_16scan_by_key_implILNS1_25lookback_scan_determinismE0ELb1ES3_N6thrust23THRUST_200600_302600_NS6detail15normal_iteratorINS9_10device_ptrIsEEEESE_SE_sNS9_10multipliesIsEENS9_8equal_toIsEEsEE10hipError_tPvRmT2_T3_T4_T5_mT6_T7_P12ihipStream_tbENKUlT_T0_E_clISt17integral_constantIbLb0EESY_IbLb1EEEEDaSU_SV_EUlSU_E_NS1_11comp_targetILNS1_3genE3ELNS1_11target_archE908ELNS1_3gpuE7ELNS1_3repE0EEENS1_30default_config_static_selectorELNS0_4arch9wavefront6targetE0EEEvT1_
		.amdhsa_group_segment_fixed_size 0
		.amdhsa_private_segment_fixed_size 0
		.amdhsa_kernarg_size 112
		.amdhsa_user_sgpr_count 6
		.amdhsa_user_sgpr_private_segment_buffer 1
		.amdhsa_user_sgpr_dispatch_ptr 0
		.amdhsa_user_sgpr_queue_ptr 0
		.amdhsa_user_sgpr_kernarg_segment_ptr 1
		.amdhsa_user_sgpr_dispatch_id 0
		.amdhsa_user_sgpr_flat_scratch_init 0
		.amdhsa_user_sgpr_private_segment_size 0
		.amdhsa_wavefront_size32 1
		.amdhsa_uses_dynamic_stack 0
		.amdhsa_system_sgpr_private_segment_wavefront_offset 0
		.amdhsa_system_sgpr_workgroup_id_x 1
		.amdhsa_system_sgpr_workgroup_id_y 0
		.amdhsa_system_sgpr_workgroup_id_z 0
		.amdhsa_system_sgpr_workgroup_info 0
		.amdhsa_system_vgpr_workitem_id 0
		.amdhsa_next_free_vgpr 1
		.amdhsa_next_free_sgpr 1
		.amdhsa_reserve_vcc 0
		.amdhsa_reserve_flat_scratch 0
		.amdhsa_float_round_mode_32 0
		.amdhsa_float_round_mode_16_64 0
		.amdhsa_float_denorm_mode_32 3
		.amdhsa_float_denorm_mode_16_64 3
		.amdhsa_dx10_clamp 1
		.amdhsa_ieee_mode 1
		.amdhsa_fp16_overflow 0
		.amdhsa_workgroup_processor_mode 1
		.amdhsa_memory_ordered 1
		.amdhsa_forward_progress 1
		.amdhsa_shared_vgpr_count 0
		.amdhsa_exception_fp_ieee_invalid_op 0
		.amdhsa_exception_fp_denorm_src 0
		.amdhsa_exception_fp_ieee_div_zero 0
		.amdhsa_exception_fp_ieee_overflow 0
		.amdhsa_exception_fp_ieee_underflow 0
		.amdhsa_exception_fp_ieee_inexact 0
		.amdhsa_exception_int_div_zero 0
	.end_amdhsa_kernel
	.section	.text._ZN7rocprim17ROCPRIM_400000_NS6detail17trampoline_kernelINS0_14default_configENS1_27scan_by_key_config_selectorIssEEZZNS1_16scan_by_key_implILNS1_25lookback_scan_determinismE0ELb1ES3_N6thrust23THRUST_200600_302600_NS6detail15normal_iteratorINS9_10device_ptrIsEEEESE_SE_sNS9_10multipliesIsEENS9_8equal_toIsEEsEE10hipError_tPvRmT2_T3_T4_T5_mT6_T7_P12ihipStream_tbENKUlT_T0_E_clISt17integral_constantIbLb0EESY_IbLb1EEEEDaSU_SV_EUlSU_E_NS1_11comp_targetILNS1_3genE3ELNS1_11target_archE908ELNS1_3gpuE7ELNS1_3repE0EEENS1_30default_config_static_selectorELNS0_4arch9wavefront6targetE0EEEvT1_,"axG",@progbits,_ZN7rocprim17ROCPRIM_400000_NS6detail17trampoline_kernelINS0_14default_configENS1_27scan_by_key_config_selectorIssEEZZNS1_16scan_by_key_implILNS1_25lookback_scan_determinismE0ELb1ES3_N6thrust23THRUST_200600_302600_NS6detail15normal_iteratorINS9_10device_ptrIsEEEESE_SE_sNS9_10multipliesIsEENS9_8equal_toIsEEsEE10hipError_tPvRmT2_T3_T4_T5_mT6_T7_P12ihipStream_tbENKUlT_T0_E_clISt17integral_constantIbLb0EESY_IbLb1EEEEDaSU_SV_EUlSU_E_NS1_11comp_targetILNS1_3genE3ELNS1_11target_archE908ELNS1_3gpuE7ELNS1_3repE0EEENS1_30default_config_static_selectorELNS0_4arch9wavefront6targetE0EEEvT1_,comdat
.Lfunc_end636:
	.size	_ZN7rocprim17ROCPRIM_400000_NS6detail17trampoline_kernelINS0_14default_configENS1_27scan_by_key_config_selectorIssEEZZNS1_16scan_by_key_implILNS1_25lookback_scan_determinismE0ELb1ES3_N6thrust23THRUST_200600_302600_NS6detail15normal_iteratorINS9_10device_ptrIsEEEESE_SE_sNS9_10multipliesIsEENS9_8equal_toIsEEsEE10hipError_tPvRmT2_T3_T4_T5_mT6_T7_P12ihipStream_tbENKUlT_T0_E_clISt17integral_constantIbLb0EESY_IbLb1EEEEDaSU_SV_EUlSU_E_NS1_11comp_targetILNS1_3genE3ELNS1_11target_archE908ELNS1_3gpuE7ELNS1_3repE0EEENS1_30default_config_static_selectorELNS0_4arch9wavefront6targetE0EEEvT1_, .Lfunc_end636-_ZN7rocprim17ROCPRIM_400000_NS6detail17trampoline_kernelINS0_14default_configENS1_27scan_by_key_config_selectorIssEEZZNS1_16scan_by_key_implILNS1_25lookback_scan_determinismE0ELb1ES3_N6thrust23THRUST_200600_302600_NS6detail15normal_iteratorINS9_10device_ptrIsEEEESE_SE_sNS9_10multipliesIsEENS9_8equal_toIsEEsEE10hipError_tPvRmT2_T3_T4_T5_mT6_T7_P12ihipStream_tbENKUlT_T0_E_clISt17integral_constantIbLb0EESY_IbLb1EEEEDaSU_SV_EUlSU_E_NS1_11comp_targetILNS1_3genE3ELNS1_11target_archE908ELNS1_3gpuE7ELNS1_3repE0EEENS1_30default_config_static_selectorELNS0_4arch9wavefront6targetE0EEEvT1_
                                        ; -- End function
	.set _ZN7rocprim17ROCPRIM_400000_NS6detail17trampoline_kernelINS0_14default_configENS1_27scan_by_key_config_selectorIssEEZZNS1_16scan_by_key_implILNS1_25lookback_scan_determinismE0ELb1ES3_N6thrust23THRUST_200600_302600_NS6detail15normal_iteratorINS9_10device_ptrIsEEEESE_SE_sNS9_10multipliesIsEENS9_8equal_toIsEEsEE10hipError_tPvRmT2_T3_T4_T5_mT6_T7_P12ihipStream_tbENKUlT_T0_E_clISt17integral_constantIbLb0EESY_IbLb1EEEEDaSU_SV_EUlSU_E_NS1_11comp_targetILNS1_3genE3ELNS1_11target_archE908ELNS1_3gpuE7ELNS1_3repE0EEENS1_30default_config_static_selectorELNS0_4arch9wavefront6targetE0EEEvT1_.num_vgpr, 0
	.set _ZN7rocprim17ROCPRIM_400000_NS6detail17trampoline_kernelINS0_14default_configENS1_27scan_by_key_config_selectorIssEEZZNS1_16scan_by_key_implILNS1_25lookback_scan_determinismE0ELb1ES3_N6thrust23THRUST_200600_302600_NS6detail15normal_iteratorINS9_10device_ptrIsEEEESE_SE_sNS9_10multipliesIsEENS9_8equal_toIsEEsEE10hipError_tPvRmT2_T3_T4_T5_mT6_T7_P12ihipStream_tbENKUlT_T0_E_clISt17integral_constantIbLb0EESY_IbLb1EEEEDaSU_SV_EUlSU_E_NS1_11comp_targetILNS1_3genE3ELNS1_11target_archE908ELNS1_3gpuE7ELNS1_3repE0EEENS1_30default_config_static_selectorELNS0_4arch9wavefront6targetE0EEEvT1_.num_agpr, 0
	.set _ZN7rocprim17ROCPRIM_400000_NS6detail17trampoline_kernelINS0_14default_configENS1_27scan_by_key_config_selectorIssEEZZNS1_16scan_by_key_implILNS1_25lookback_scan_determinismE0ELb1ES3_N6thrust23THRUST_200600_302600_NS6detail15normal_iteratorINS9_10device_ptrIsEEEESE_SE_sNS9_10multipliesIsEENS9_8equal_toIsEEsEE10hipError_tPvRmT2_T3_T4_T5_mT6_T7_P12ihipStream_tbENKUlT_T0_E_clISt17integral_constantIbLb0EESY_IbLb1EEEEDaSU_SV_EUlSU_E_NS1_11comp_targetILNS1_3genE3ELNS1_11target_archE908ELNS1_3gpuE7ELNS1_3repE0EEENS1_30default_config_static_selectorELNS0_4arch9wavefront6targetE0EEEvT1_.numbered_sgpr, 0
	.set _ZN7rocprim17ROCPRIM_400000_NS6detail17trampoline_kernelINS0_14default_configENS1_27scan_by_key_config_selectorIssEEZZNS1_16scan_by_key_implILNS1_25lookback_scan_determinismE0ELb1ES3_N6thrust23THRUST_200600_302600_NS6detail15normal_iteratorINS9_10device_ptrIsEEEESE_SE_sNS9_10multipliesIsEENS9_8equal_toIsEEsEE10hipError_tPvRmT2_T3_T4_T5_mT6_T7_P12ihipStream_tbENKUlT_T0_E_clISt17integral_constantIbLb0EESY_IbLb1EEEEDaSU_SV_EUlSU_E_NS1_11comp_targetILNS1_3genE3ELNS1_11target_archE908ELNS1_3gpuE7ELNS1_3repE0EEENS1_30default_config_static_selectorELNS0_4arch9wavefront6targetE0EEEvT1_.num_named_barrier, 0
	.set _ZN7rocprim17ROCPRIM_400000_NS6detail17trampoline_kernelINS0_14default_configENS1_27scan_by_key_config_selectorIssEEZZNS1_16scan_by_key_implILNS1_25lookback_scan_determinismE0ELb1ES3_N6thrust23THRUST_200600_302600_NS6detail15normal_iteratorINS9_10device_ptrIsEEEESE_SE_sNS9_10multipliesIsEENS9_8equal_toIsEEsEE10hipError_tPvRmT2_T3_T4_T5_mT6_T7_P12ihipStream_tbENKUlT_T0_E_clISt17integral_constantIbLb0EESY_IbLb1EEEEDaSU_SV_EUlSU_E_NS1_11comp_targetILNS1_3genE3ELNS1_11target_archE908ELNS1_3gpuE7ELNS1_3repE0EEENS1_30default_config_static_selectorELNS0_4arch9wavefront6targetE0EEEvT1_.private_seg_size, 0
	.set _ZN7rocprim17ROCPRIM_400000_NS6detail17trampoline_kernelINS0_14default_configENS1_27scan_by_key_config_selectorIssEEZZNS1_16scan_by_key_implILNS1_25lookback_scan_determinismE0ELb1ES3_N6thrust23THRUST_200600_302600_NS6detail15normal_iteratorINS9_10device_ptrIsEEEESE_SE_sNS9_10multipliesIsEENS9_8equal_toIsEEsEE10hipError_tPvRmT2_T3_T4_T5_mT6_T7_P12ihipStream_tbENKUlT_T0_E_clISt17integral_constantIbLb0EESY_IbLb1EEEEDaSU_SV_EUlSU_E_NS1_11comp_targetILNS1_3genE3ELNS1_11target_archE908ELNS1_3gpuE7ELNS1_3repE0EEENS1_30default_config_static_selectorELNS0_4arch9wavefront6targetE0EEEvT1_.uses_vcc, 0
	.set _ZN7rocprim17ROCPRIM_400000_NS6detail17trampoline_kernelINS0_14default_configENS1_27scan_by_key_config_selectorIssEEZZNS1_16scan_by_key_implILNS1_25lookback_scan_determinismE0ELb1ES3_N6thrust23THRUST_200600_302600_NS6detail15normal_iteratorINS9_10device_ptrIsEEEESE_SE_sNS9_10multipliesIsEENS9_8equal_toIsEEsEE10hipError_tPvRmT2_T3_T4_T5_mT6_T7_P12ihipStream_tbENKUlT_T0_E_clISt17integral_constantIbLb0EESY_IbLb1EEEEDaSU_SV_EUlSU_E_NS1_11comp_targetILNS1_3genE3ELNS1_11target_archE908ELNS1_3gpuE7ELNS1_3repE0EEENS1_30default_config_static_selectorELNS0_4arch9wavefront6targetE0EEEvT1_.uses_flat_scratch, 0
	.set _ZN7rocprim17ROCPRIM_400000_NS6detail17trampoline_kernelINS0_14default_configENS1_27scan_by_key_config_selectorIssEEZZNS1_16scan_by_key_implILNS1_25lookback_scan_determinismE0ELb1ES3_N6thrust23THRUST_200600_302600_NS6detail15normal_iteratorINS9_10device_ptrIsEEEESE_SE_sNS9_10multipliesIsEENS9_8equal_toIsEEsEE10hipError_tPvRmT2_T3_T4_T5_mT6_T7_P12ihipStream_tbENKUlT_T0_E_clISt17integral_constantIbLb0EESY_IbLb1EEEEDaSU_SV_EUlSU_E_NS1_11comp_targetILNS1_3genE3ELNS1_11target_archE908ELNS1_3gpuE7ELNS1_3repE0EEENS1_30default_config_static_selectorELNS0_4arch9wavefront6targetE0EEEvT1_.has_dyn_sized_stack, 0
	.set _ZN7rocprim17ROCPRIM_400000_NS6detail17trampoline_kernelINS0_14default_configENS1_27scan_by_key_config_selectorIssEEZZNS1_16scan_by_key_implILNS1_25lookback_scan_determinismE0ELb1ES3_N6thrust23THRUST_200600_302600_NS6detail15normal_iteratorINS9_10device_ptrIsEEEESE_SE_sNS9_10multipliesIsEENS9_8equal_toIsEEsEE10hipError_tPvRmT2_T3_T4_T5_mT6_T7_P12ihipStream_tbENKUlT_T0_E_clISt17integral_constantIbLb0EESY_IbLb1EEEEDaSU_SV_EUlSU_E_NS1_11comp_targetILNS1_3genE3ELNS1_11target_archE908ELNS1_3gpuE7ELNS1_3repE0EEENS1_30default_config_static_selectorELNS0_4arch9wavefront6targetE0EEEvT1_.has_recursion, 0
	.set _ZN7rocprim17ROCPRIM_400000_NS6detail17trampoline_kernelINS0_14default_configENS1_27scan_by_key_config_selectorIssEEZZNS1_16scan_by_key_implILNS1_25lookback_scan_determinismE0ELb1ES3_N6thrust23THRUST_200600_302600_NS6detail15normal_iteratorINS9_10device_ptrIsEEEESE_SE_sNS9_10multipliesIsEENS9_8equal_toIsEEsEE10hipError_tPvRmT2_T3_T4_T5_mT6_T7_P12ihipStream_tbENKUlT_T0_E_clISt17integral_constantIbLb0EESY_IbLb1EEEEDaSU_SV_EUlSU_E_NS1_11comp_targetILNS1_3genE3ELNS1_11target_archE908ELNS1_3gpuE7ELNS1_3repE0EEENS1_30default_config_static_selectorELNS0_4arch9wavefront6targetE0EEEvT1_.has_indirect_call, 0
	.section	.AMDGPU.csdata,"",@progbits
; Kernel info:
; codeLenInByte = 0
; TotalNumSgprs: 0
; NumVgprs: 0
; ScratchSize: 0
; MemoryBound: 0
; FloatMode: 240
; IeeeMode: 1
; LDSByteSize: 0 bytes/workgroup (compile time only)
; SGPRBlocks: 0
; VGPRBlocks: 0
; NumSGPRsForWavesPerEU: 1
; NumVGPRsForWavesPerEU: 1
; Occupancy: 16
; WaveLimiterHint : 0
; COMPUTE_PGM_RSRC2:SCRATCH_EN: 0
; COMPUTE_PGM_RSRC2:USER_SGPR: 6
; COMPUTE_PGM_RSRC2:TRAP_HANDLER: 0
; COMPUTE_PGM_RSRC2:TGID_X_EN: 1
; COMPUTE_PGM_RSRC2:TGID_Y_EN: 0
; COMPUTE_PGM_RSRC2:TGID_Z_EN: 0
; COMPUTE_PGM_RSRC2:TIDIG_COMP_CNT: 0
	.section	.text._ZN7rocprim17ROCPRIM_400000_NS6detail17trampoline_kernelINS0_14default_configENS1_27scan_by_key_config_selectorIssEEZZNS1_16scan_by_key_implILNS1_25lookback_scan_determinismE0ELb1ES3_N6thrust23THRUST_200600_302600_NS6detail15normal_iteratorINS9_10device_ptrIsEEEESE_SE_sNS9_10multipliesIsEENS9_8equal_toIsEEsEE10hipError_tPvRmT2_T3_T4_T5_mT6_T7_P12ihipStream_tbENKUlT_T0_E_clISt17integral_constantIbLb0EESY_IbLb1EEEEDaSU_SV_EUlSU_E_NS1_11comp_targetILNS1_3genE2ELNS1_11target_archE906ELNS1_3gpuE6ELNS1_3repE0EEENS1_30default_config_static_selectorELNS0_4arch9wavefront6targetE0EEEvT1_,"axG",@progbits,_ZN7rocprim17ROCPRIM_400000_NS6detail17trampoline_kernelINS0_14default_configENS1_27scan_by_key_config_selectorIssEEZZNS1_16scan_by_key_implILNS1_25lookback_scan_determinismE0ELb1ES3_N6thrust23THRUST_200600_302600_NS6detail15normal_iteratorINS9_10device_ptrIsEEEESE_SE_sNS9_10multipliesIsEENS9_8equal_toIsEEsEE10hipError_tPvRmT2_T3_T4_T5_mT6_T7_P12ihipStream_tbENKUlT_T0_E_clISt17integral_constantIbLb0EESY_IbLb1EEEEDaSU_SV_EUlSU_E_NS1_11comp_targetILNS1_3genE2ELNS1_11target_archE906ELNS1_3gpuE6ELNS1_3repE0EEENS1_30default_config_static_selectorELNS0_4arch9wavefront6targetE0EEEvT1_,comdat
	.protected	_ZN7rocprim17ROCPRIM_400000_NS6detail17trampoline_kernelINS0_14default_configENS1_27scan_by_key_config_selectorIssEEZZNS1_16scan_by_key_implILNS1_25lookback_scan_determinismE0ELb1ES3_N6thrust23THRUST_200600_302600_NS6detail15normal_iteratorINS9_10device_ptrIsEEEESE_SE_sNS9_10multipliesIsEENS9_8equal_toIsEEsEE10hipError_tPvRmT2_T3_T4_T5_mT6_T7_P12ihipStream_tbENKUlT_T0_E_clISt17integral_constantIbLb0EESY_IbLb1EEEEDaSU_SV_EUlSU_E_NS1_11comp_targetILNS1_3genE2ELNS1_11target_archE906ELNS1_3gpuE6ELNS1_3repE0EEENS1_30default_config_static_selectorELNS0_4arch9wavefront6targetE0EEEvT1_ ; -- Begin function _ZN7rocprim17ROCPRIM_400000_NS6detail17trampoline_kernelINS0_14default_configENS1_27scan_by_key_config_selectorIssEEZZNS1_16scan_by_key_implILNS1_25lookback_scan_determinismE0ELb1ES3_N6thrust23THRUST_200600_302600_NS6detail15normal_iteratorINS9_10device_ptrIsEEEESE_SE_sNS9_10multipliesIsEENS9_8equal_toIsEEsEE10hipError_tPvRmT2_T3_T4_T5_mT6_T7_P12ihipStream_tbENKUlT_T0_E_clISt17integral_constantIbLb0EESY_IbLb1EEEEDaSU_SV_EUlSU_E_NS1_11comp_targetILNS1_3genE2ELNS1_11target_archE906ELNS1_3gpuE6ELNS1_3repE0EEENS1_30default_config_static_selectorELNS0_4arch9wavefront6targetE0EEEvT1_
	.globl	_ZN7rocprim17ROCPRIM_400000_NS6detail17trampoline_kernelINS0_14default_configENS1_27scan_by_key_config_selectorIssEEZZNS1_16scan_by_key_implILNS1_25lookback_scan_determinismE0ELb1ES3_N6thrust23THRUST_200600_302600_NS6detail15normal_iteratorINS9_10device_ptrIsEEEESE_SE_sNS9_10multipliesIsEENS9_8equal_toIsEEsEE10hipError_tPvRmT2_T3_T4_T5_mT6_T7_P12ihipStream_tbENKUlT_T0_E_clISt17integral_constantIbLb0EESY_IbLb1EEEEDaSU_SV_EUlSU_E_NS1_11comp_targetILNS1_3genE2ELNS1_11target_archE906ELNS1_3gpuE6ELNS1_3repE0EEENS1_30default_config_static_selectorELNS0_4arch9wavefront6targetE0EEEvT1_
	.p2align	8
	.type	_ZN7rocprim17ROCPRIM_400000_NS6detail17trampoline_kernelINS0_14default_configENS1_27scan_by_key_config_selectorIssEEZZNS1_16scan_by_key_implILNS1_25lookback_scan_determinismE0ELb1ES3_N6thrust23THRUST_200600_302600_NS6detail15normal_iteratorINS9_10device_ptrIsEEEESE_SE_sNS9_10multipliesIsEENS9_8equal_toIsEEsEE10hipError_tPvRmT2_T3_T4_T5_mT6_T7_P12ihipStream_tbENKUlT_T0_E_clISt17integral_constantIbLb0EESY_IbLb1EEEEDaSU_SV_EUlSU_E_NS1_11comp_targetILNS1_3genE2ELNS1_11target_archE906ELNS1_3gpuE6ELNS1_3repE0EEENS1_30default_config_static_selectorELNS0_4arch9wavefront6targetE0EEEvT1_,@function
_ZN7rocprim17ROCPRIM_400000_NS6detail17trampoline_kernelINS0_14default_configENS1_27scan_by_key_config_selectorIssEEZZNS1_16scan_by_key_implILNS1_25lookback_scan_determinismE0ELb1ES3_N6thrust23THRUST_200600_302600_NS6detail15normal_iteratorINS9_10device_ptrIsEEEESE_SE_sNS9_10multipliesIsEENS9_8equal_toIsEEsEE10hipError_tPvRmT2_T3_T4_T5_mT6_T7_P12ihipStream_tbENKUlT_T0_E_clISt17integral_constantIbLb0EESY_IbLb1EEEEDaSU_SV_EUlSU_E_NS1_11comp_targetILNS1_3genE2ELNS1_11target_archE906ELNS1_3gpuE6ELNS1_3repE0EEENS1_30default_config_static_selectorELNS0_4arch9wavefront6targetE0EEEvT1_: ; @_ZN7rocprim17ROCPRIM_400000_NS6detail17trampoline_kernelINS0_14default_configENS1_27scan_by_key_config_selectorIssEEZZNS1_16scan_by_key_implILNS1_25lookback_scan_determinismE0ELb1ES3_N6thrust23THRUST_200600_302600_NS6detail15normal_iteratorINS9_10device_ptrIsEEEESE_SE_sNS9_10multipliesIsEENS9_8equal_toIsEEsEE10hipError_tPvRmT2_T3_T4_T5_mT6_T7_P12ihipStream_tbENKUlT_T0_E_clISt17integral_constantIbLb0EESY_IbLb1EEEEDaSU_SV_EUlSU_E_NS1_11comp_targetILNS1_3genE2ELNS1_11target_archE906ELNS1_3gpuE6ELNS1_3repE0EEENS1_30default_config_static_selectorELNS0_4arch9wavefront6targetE0EEEvT1_
; %bb.0:
	.section	.rodata,"a",@progbits
	.p2align	6, 0x0
	.amdhsa_kernel _ZN7rocprim17ROCPRIM_400000_NS6detail17trampoline_kernelINS0_14default_configENS1_27scan_by_key_config_selectorIssEEZZNS1_16scan_by_key_implILNS1_25lookback_scan_determinismE0ELb1ES3_N6thrust23THRUST_200600_302600_NS6detail15normal_iteratorINS9_10device_ptrIsEEEESE_SE_sNS9_10multipliesIsEENS9_8equal_toIsEEsEE10hipError_tPvRmT2_T3_T4_T5_mT6_T7_P12ihipStream_tbENKUlT_T0_E_clISt17integral_constantIbLb0EESY_IbLb1EEEEDaSU_SV_EUlSU_E_NS1_11comp_targetILNS1_3genE2ELNS1_11target_archE906ELNS1_3gpuE6ELNS1_3repE0EEENS1_30default_config_static_selectorELNS0_4arch9wavefront6targetE0EEEvT1_
		.amdhsa_group_segment_fixed_size 0
		.amdhsa_private_segment_fixed_size 0
		.amdhsa_kernarg_size 112
		.amdhsa_user_sgpr_count 6
		.amdhsa_user_sgpr_private_segment_buffer 1
		.amdhsa_user_sgpr_dispatch_ptr 0
		.amdhsa_user_sgpr_queue_ptr 0
		.amdhsa_user_sgpr_kernarg_segment_ptr 1
		.amdhsa_user_sgpr_dispatch_id 0
		.amdhsa_user_sgpr_flat_scratch_init 0
		.amdhsa_user_sgpr_private_segment_size 0
		.amdhsa_wavefront_size32 1
		.amdhsa_uses_dynamic_stack 0
		.amdhsa_system_sgpr_private_segment_wavefront_offset 0
		.amdhsa_system_sgpr_workgroup_id_x 1
		.amdhsa_system_sgpr_workgroup_id_y 0
		.amdhsa_system_sgpr_workgroup_id_z 0
		.amdhsa_system_sgpr_workgroup_info 0
		.amdhsa_system_vgpr_workitem_id 0
		.amdhsa_next_free_vgpr 1
		.amdhsa_next_free_sgpr 1
		.amdhsa_reserve_vcc 0
		.amdhsa_reserve_flat_scratch 0
		.amdhsa_float_round_mode_32 0
		.amdhsa_float_round_mode_16_64 0
		.amdhsa_float_denorm_mode_32 3
		.amdhsa_float_denorm_mode_16_64 3
		.amdhsa_dx10_clamp 1
		.amdhsa_ieee_mode 1
		.amdhsa_fp16_overflow 0
		.amdhsa_workgroup_processor_mode 1
		.amdhsa_memory_ordered 1
		.amdhsa_forward_progress 1
		.amdhsa_shared_vgpr_count 0
		.amdhsa_exception_fp_ieee_invalid_op 0
		.amdhsa_exception_fp_denorm_src 0
		.amdhsa_exception_fp_ieee_div_zero 0
		.amdhsa_exception_fp_ieee_overflow 0
		.amdhsa_exception_fp_ieee_underflow 0
		.amdhsa_exception_fp_ieee_inexact 0
		.amdhsa_exception_int_div_zero 0
	.end_amdhsa_kernel
	.section	.text._ZN7rocprim17ROCPRIM_400000_NS6detail17trampoline_kernelINS0_14default_configENS1_27scan_by_key_config_selectorIssEEZZNS1_16scan_by_key_implILNS1_25lookback_scan_determinismE0ELb1ES3_N6thrust23THRUST_200600_302600_NS6detail15normal_iteratorINS9_10device_ptrIsEEEESE_SE_sNS9_10multipliesIsEENS9_8equal_toIsEEsEE10hipError_tPvRmT2_T3_T4_T5_mT6_T7_P12ihipStream_tbENKUlT_T0_E_clISt17integral_constantIbLb0EESY_IbLb1EEEEDaSU_SV_EUlSU_E_NS1_11comp_targetILNS1_3genE2ELNS1_11target_archE906ELNS1_3gpuE6ELNS1_3repE0EEENS1_30default_config_static_selectorELNS0_4arch9wavefront6targetE0EEEvT1_,"axG",@progbits,_ZN7rocprim17ROCPRIM_400000_NS6detail17trampoline_kernelINS0_14default_configENS1_27scan_by_key_config_selectorIssEEZZNS1_16scan_by_key_implILNS1_25lookback_scan_determinismE0ELb1ES3_N6thrust23THRUST_200600_302600_NS6detail15normal_iteratorINS9_10device_ptrIsEEEESE_SE_sNS9_10multipliesIsEENS9_8equal_toIsEEsEE10hipError_tPvRmT2_T3_T4_T5_mT6_T7_P12ihipStream_tbENKUlT_T0_E_clISt17integral_constantIbLb0EESY_IbLb1EEEEDaSU_SV_EUlSU_E_NS1_11comp_targetILNS1_3genE2ELNS1_11target_archE906ELNS1_3gpuE6ELNS1_3repE0EEENS1_30default_config_static_selectorELNS0_4arch9wavefront6targetE0EEEvT1_,comdat
.Lfunc_end637:
	.size	_ZN7rocprim17ROCPRIM_400000_NS6detail17trampoline_kernelINS0_14default_configENS1_27scan_by_key_config_selectorIssEEZZNS1_16scan_by_key_implILNS1_25lookback_scan_determinismE0ELb1ES3_N6thrust23THRUST_200600_302600_NS6detail15normal_iteratorINS9_10device_ptrIsEEEESE_SE_sNS9_10multipliesIsEENS9_8equal_toIsEEsEE10hipError_tPvRmT2_T3_T4_T5_mT6_T7_P12ihipStream_tbENKUlT_T0_E_clISt17integral_constantIbLb0EESY_IbLb1EEEEDaSU_SV_EUlSU_E_NS1_11comp_targetILNS1_3genE2ELNS1_11target_archE906ELNS1_3gpuE6ELNS1_3repE0EEENS1_30default_config_static_selectorELNS0_4arch9wavefront6targetE0EEEvT1_, .Lfunc_end637-_ZN7rocprim17ROCPRIM_400000_NS6detail17trampoline_kernelINS0_14default_configENS1_27scan_by_key_config_selectorIssEEZZNS1_16scan_by_key_implILNS1_25lookback_scan_determinismE0ELb1ES3_N6thrust23THRUST_200600_302600_NS6detail15normal_iteratorINS9_10device_ptrIsEEEESE_SE_sNS9_10multipliesIsEENS9_8equal_toIsEEsEE10hipError_tPvRmT2_T3_T4_T5_mT6_T7_P12ihipStream_tbENKUlT_T0_E_clISt17integral_constantIbLb0EESY_IbLb1EEEEDaSU_SV_EUlSU_E_NS1_11comp_targetILNS1_3genE2ELNS1_11target_archE906ELNS1_3gpuE6ELNS1_3repE0EEENS1_30default_config_static_selectorELNS0_4arch9wavefront6targetE0EEEvT1_
                                        ; -- End function
	.set _ZN7rocprim17ROCPRIM_400000_NS6detail17trampoline_kernelINS0_14default_configENS1_27scan_by_key_config_selectorIssEEZZNS1_16scan_by_key_implILNS1_25lookback_scan_determinismE0ELb1ES3_N6thrust23THRUST_200600_302600_NS6detail15normal_iteratorINS9_10device_ptrIsEEEESE_SE_sNS9_10multipliesIsEENS9_8equal_toIsEEsEE10hipError_tPvRmT2_T3_T4_T5_mT6_T7_P12ihipStream_tbENKUlT_T0_E_clISt17integral_constantIbLb0EESY_IbLb1EEEEDaSU_SV_EUlSU_E_NS1_11comp_targetILNS1_3genE2ELNS1_11target_archE906ELNS1_3gpuE6ELNS1_3repE0EEENS1_30default_config_static_selectorELNS0_4arch9wavefront6targetE0EEEvT1_.num_vgpr, 0
	.set _ZN7rocprim17ROCPRIM_400000_NS6detail17trampoline_kernelINS0_14default_configENS1_27scan_by_key_config_selectorIssEEZZNS1_16scan_by_key_implILNS1_25lookback_scan_determinismE0ELb1ES3_N6thrust23THRUST_200600_302600_NS6detail15normal_iteratorINS9_10device_ptrIsEEEESE_SE_sNS9_10multipliesIsEENS9_8equal_toIsEEsEE10hipError_tPvRmT2_T3_T4_T5_mT6_T7_P12ihipStream_tbENKUlT_T0_E_clISt17integral_constantIbLb0EESY_IbLb1EEEEDaSU_SV_EUlSU_E_NS1_11comp_targetILNS1_3genE2ELNS1_11target_archE906ELNS1_3gpuE6ELNS1_3repE0EEENS1_30default_config_static_selectorELNS0_4arch9wavefront6targetE0EEEvT1_.num_agpr, 0
	.set _ZN7rocprim17ROCPRIM_400000_NS6detail17trampoline_kernelINS0_14default_configENS1_27scan_by_key_config_selectorIssEEZZNS1_16scan_by_key_implILNS1_25lookback_scan_determinismE0ELb1ES3_N6thrust23THRUST_200600_302600_NS6detail15normal_iteratorINS9_10device_ptrIsEEEESE_SE_sNS9_10multipliesIsEENS9_8equal_toIsEEsEE10hipError_tPvRmT2_T3_T4_T5_mT6_T7_P12ihipStream_tbENKUlT_T0_E_clISt17integral_constantIbLb0EESY_IbLb1EEEEDaSU_SV_EUlSU_E_NS1_11comp_targetILNS1_3genE2ELNS1_11target_archE906ELNS1_3gpuE6ELNS1_3repE0EEENS1_30default_config_static_selectorELNS0_4arch9wavefront6targetE0EEEvT1_.numbered_sgpr, 0
	.set _ZN7rocprim17ROCPRIM_400000_NS6detail17trampoline_kernelINS0_14default_configENS1_27scan_by_key_config_selectorIssEEZZNS1_16scan_by_key_implILNS1_25lookback_scan_determinismE0ELb1ES3_N6thrust23THRUST_200600_302600_NS6detail15normal_iteratorINS9_10device_ptrIsEEEESE_SE_sNS9_10multipliesIsEENS9_8equal_toIsEEsEE10hipError_tPvRmT2_T3_T4_T5_mT6_T7_P12ihipStream_tbENKUlT_T0_E_clISt17integral_constantIbLb0EESY_IbLb1EEEEDaSU_SV_EUlSU_E_NS1_11comp_targetILNS1_3genE2ELNS1_11target_archE906ELNS1_3gpuE6ELNS1_3repE0EEENS1_30default_config_static_selectorELNS0_4arch9wavefront6targetE0EEEvT1_.num_named_barrier, 0
	.set _ZN7rocprim17ROCPRIM_400000_NS6detail17trampoline_kernelINS0_14default_configENS1_27scan_by_key_config_selectorIssEEZZNS1_16scan_by_key_implILNS1_25lookback_scan_determinismE0ELb1ES3_N6thrust23THRUST_200600_302600_NS6detail15normal_iteratorINS9_10device_ptrIsEEEESE_SE_sNS9_10multipliesIsEENS9_8equal_toIsEEsEE10hipError_tPvRmT2_T3_T4_T5_mT6_T7_P12ihipStream_tbENKUlT_T0_E_clISt17integral_constantIbLb0EESY_IbLb1EEEEDaSU_SV_EUlSU_E_NS1_11comp_targetILNS1_3genE2ELNS1_11target_archE906ELNS1_3gpuE6ELNS1_3repE0EEENS1_30default_config_static_selectorELNS0_4arch9wavefront6targetE0EEEvT1_.private_seg_size, 0
	.set _ZN7rocprim17ROCPRIM_400000_NS6detail17trampoline_kernelINS0_14default_configENS1_27scan_by_key_config_selectorIssEEZZNS1_16scan_by_key_implILNS1_25lookback_scan_determinismE0ELb1ES3_N6thrust23THRUST_200600_302600_NS6detail15normal_iteratorINS9_10device_ptrIsEEEESE_SE_sNS9_10multipliesIsEENS9_8equal_toIsEEsEE10hipError_tPvRmT2_T3_T4_T5_mT6_T7_P12ihipStream_tbENKUlT_T0_E_clISt17integral_constantIbLb0EESY_IbLb1EEEEDaSU_SV_EUlSU_E_NS1_11comp_targetILNS1_3genE2ELNS1_11target_archE906ELNS1_3gpuE6ELNS1_3repE0EEENS1_30default_config_static_selectorELNS0_4arch9wavefront6targetE0EEEvT1_.uses_vcc, 0
	.set _ZN7rocprim17ROCPRIM_400000_NS6detail17trampoline_kernelINS0_14default_configENS1_27scan_by_key_config_selectorIssEEZZNS1_16scan_by_key_implILNS1_25lookback_scan_determinismE0ELb1ES3_N6thrust23THRUST_200600_302600_NS6detail15normal_iteratorINS9_10device_ptrIsEEEESE_SE_sNS9_10multipliesIsEENS9_8equal_toIsEEsEE10hipError_tPvRmT2_T3_T4_T5_mT6_T7_P12ihipStream_tbENKUlT_T0_E_clISt17integral_constantIbLb0EESY_IbLb1EEEEDaSU_SV_EUlSU_E_NS1_11comp_targetILNS1_3genE2ELNS1_11target_archE906ELNS1_3gpuE6ELNS1_3repE0EEENS1_30default_config_static_selectorELNS0_4arch9wavefront6targetE0EEEvT1_.uses_flat_scratch, 0
	.set _ZN7rocprim17ROCPRIM_400000_NS6detail17trampoline_kernelINS0_14default_configENS1_27scan_by_key_config_selectorIssEEZZNS1_16scan_by_key_implILNS1_25lookback_scan_determinismE0ELb1ES3_N6thrust23THRUST_200600_302600_NS6detail15normal_iteratorINS9_10device_ptrIsEEEESE_SE_sNS9_10multipliesIsEENS9_8equal_toIsEEsEE10hipError_tPvRmT2_T3_T4_T5_mT6_T7_P12ihipStream_tbENKUlT_T0_E_clISt17integral_constantIbLb0EESY_IbLb1EEEEDaSU_SV_EUlSU_E_NS1_11comp_targetILNS1_3genE2ELNS1_11target_archE906ELNS1_3gpuE6ELNS1_3repE0EEENS1_30default_config_static_selectorELNS0_4arch9wavefront6targetE0EEEvT1_.has_dyn_sized_stack, 0
	.set _ZN7rocprim17ROCPRIM_400000_NS6detail17trampoline_kernelINS0_14default_configENS1_27scan_by_key_config_selectorIssEEZZNS1_16scan_by_key_implILNS1_25lookback_scan_determinismE0ELb1ES3_N6thrust23THRUST_200600_302600_NS6detail15normal_iteratorINS9_10device_ptrIsEEEESE_SE_sNS9_10multipliesIsEENS9_8equal_toIsEEsEE10hipError_tPvRmT2_T3_T4_T5_mT6_T7_P12ihipStream_tbENKUlT_T0_E_clISt17integral_constantIbLb0EESY_IbLb1EEEEDaSU_SV_EUlSU_E_NS1_11comp_targetILNS1_3genE2ELNS1_11target_archE906ELNS1_3gpuE6ELNS1_3repE0EEENS1_30default_config_static_selectorELNS0_4arch9wavefront6targetE0EEEvT1_.has_recursion, 0
	.set _ZN7rocprim17ROCPRIM_400000_NS6detail17trampoline_kernelINS0_14default_configENS1_27scan_by_key_config_selectorIssEEZZNS1_16scan_by_key_implILNS1_25lookback_scan_determinismE0ELb1ES3_N6thrust23THRUST_200600_302600_NS6detail15normal_iteratorINS9_10device_ptrIsEEEESE_SE_sNS9_10multipliesIsEENS9_8equal_toIsEEsEE10hipError_tPvRmT2_T3_T4_T5_mT6_T7_P12ihipStream_tbENKUlT_T0_E_clISt17integral_constantIbLb0EESY_IbLb1EEEEDaSU_SV_EUlSU_E_NS1_11comp_targetILNS1_3genE2ELNS1_11target_archE906ELNS1_3gpuE6ELNS1_3repE0EEENS1_30default_config_static_selectorELNS0_4arch9wavefront6targetE0EEEvT1_.has_indirect_call, 0
	.section	.AMDGPU.csdata,"",@progbits
; Kernel info:
; codeLenInByte = 0
; TotalNumSgprs: 0
; NumVgprs: 0
; ScratchSize: 0
; MemoryBound: 0
; FloatMode: 240
; IeeeMode: 1
; LDSByteSize: 0 bytes/workgroup (compile time only)
; SGPRBlocks: 0
; VGPRBlocks: 0
; NumSGPRsForWavesPerEU: 1
; NumVGPRsForWavesPerEU: 1
; Occupancy: 16
; WaveLimiterHint : 0
; COMPUTE_PGM_RSRC2:SCRATCH_EN: 0
; COMPUTE_PGM_RSRC2:USER_SGPR: 6
; COMPUTE_PGM_RSRC2:TRAP_HANDLER: 0
; COMPUTE_PGM_RSRC2:TGID_X_EN: 1
; COMPUTE_PGM_RSRC2:TGID_Y_EN: 0
; COMPUTE_PGM_RSRC2:TGID_Z_EN: 0
; COMPUTE_PGM_RSRC2:TIDIG_COMP_CNT: 0
	.section	.text._ZN7rocprim17ROCPRIM_400000_NS6detail17trampoline_kernelINS0_14default_configENS1_27scan_by_key_config_selectorIssEEZZNS1_16scan_by_key_implILNS1_25lookback_scan_determinismE0ELb1ES3_N6thrust23THRUST_200600_302600_NS6detail15normal_iteratorINS9_10device_ptrIsEEEESE_SE_sNS9_10multipliesIsEENS9_8equal_toIsEEsEE10hipError_tPvRmT2_T3_T4_T5_mT6_T7_P12ihipStream_tbENKUlT_T0_E_clISt17integral_constantIbLb0EESY_IbLb1EEEEDaSU_SV_EUlSU_E_NS1_11comp_targetILNS1_3genE10ELNS1_11target_archE1200ELNS1_3gpuE4ELNS1_3repE0EEENS1_30default_config_static_selectorELNS0_4arch9wavefront6targetE0EEEvT1_,"axG",@progbits,_ZN7rocprim17ROCPRIM_400000_NS6detail17trampoline_kernelINS0_14default_configENS1_27scan_by_key_config_selectorIssEEZZNS1_16scan_by_key_implILNS1_25lookback_scan_determinismE0ELb1ES3_N6thrust23THRUST_200600_302600_NS6detail15normal_iteratorINS9_10device_ptrIsEEEESE_SE_sNS9_10multipliesIsEENS9_8equal_toIsEEsEE10hipError_tPvRmT2_T3_T4_T5_mT6_T7_P12ihipStream_tbENKUlT_T0_E_clISt17integral_constantIbLb0EESY_IbLb1EEEEDaSU_SV_EUlSU_E_NS1_11comp_targetILNS1_3genE10ELNS1_11target_archE1200ELNS1_3gpuE4ELNS1_3repE0EEENS1_30default_config_static_selectorELNS0_4arch9wavefront6targetE0EEEvT1_,comdat
	.protected	_ZN7rocprim17ROCPRIM_400000_NS6detail17trampoline_kernelINS0_14default_configENS1_27scan_by_key_config_selectorIssEEZZNS1_16scan_by_key_implILNS1_25lookback_scan_determinismE0ELb1ES3_N6thrust23THRUST_200600_302600_NS6detail15normal_iteratorINS9_10device_ptrIsEEEESE_SE_sNS9_10multipliesIsEENS9_8equal_toIsEEsEE10hipError_tPvRmT2_T3_T4_T5_mT6_T7_P12ihipStream_tbENKUlT_T0_E_clISt17integral_constantIbLb0EESY_IbLb1EEEEDaSU_SV_EUlSU_E_NS1_11comp_targetILNS1_3genE10ELNS1_11target_archE1200ELNS1_3gpuE4ELNS1_3repE0EEENS1_30default_config_static_selectorELNS0_4arch9wavefront6targetE0EEEvT1_ ; -- Begin function _ZN7rocprim17ROCPRIM_400000_NS6detail17trampoline_kernelINS0_14default_configENS1_27scan_by_key_config_selectorIssEEZZNS1_16scan_by_key_implILNS1_25lookback_scan_determinismE0ELb1ES3_N6thrust23THRUST_200600_302600_NS6detail15normal_iteratorINS9_10device_ptrIsEEEESE_SE_sNS9_10multipliesIsEENS9_8equal_toIsEEsEE10hipError_tPvRmT2_T3_T4_T5_mT6_T7_P12ihipStream_tbENKUlT_T0_E_clISt17integral_constantIbLb0EESY_IbLb1EEEEDaSU_SV_EUlSU_E_NS1_11comp_targetILNS1_3genE10ELNS1_11target_archE1200ELNS1_3gpuE4ELNS1_3repE0EEENS1_30default_config_static_selectorELNS0_4arch9wavefront6targetE0EEEvT1_
	.globl	_ZN7rocprim17ROCPRIM_400000_NS6detail17trampoline_kernelINS0_14default_configENS1_27scan_by_key_config_selectorIssEEZZNS1_16scan_by_key_implILNS1_25lookback_scan_determinismE0ELb1ES3_N6thrust23THRUST_200600_302600_NS6detail15normal_iteratorINS9_10device_ptrIsEEEESE_SE_sNS9_10multipliesIsEENS9_8equal_toIsEEsEE10hipError_tPvRmT2_T3_T4_T5_mT6_T7_P12ihipStream_tbENKUlT_T0_E_clISt17integral_constantIbLb0EESY_IbLb1EEEEDaSU_SV_EUlSU_E_NS1_11comp_targetILNS1_3genE10ELNS1_11target_archE1200ELNS1_3gpuE4ELNS1_3repE0EEENS1_30default_config_static_selectorELNS0_4arch9wavefront6targetE0EEEvT1_
	.p2align	8
	.type	_ZN7rocprim17ROCPRIM_400000_NS6detail17trampoline_kernelINS0_14default_configENS1_27scan_by_key_config_selectorIssEEZZNS1_16scan_by_key_implILNS1_25lookback_scan_determinismE0ELb1ES3_N6thrust23THRUST_200600_302600_NS6detail15normal_iteratorINS9_10device_ptrIsEEEESE_SE_sNS9_10multipliesIsEENS9_8equal_toIsEEsEE10hipError_tPvRmT2_T3_T4_T5_mT6_T7_P12ihipStream_tbENKUlT_T0_E_clISt17integral_constantIbLb0EESY_IbLb1EEEEDaSU_SV_EUlSU_E_NS1_11comp_targetILNS1_3genE10ELNS1_11target_archE1200ELNS1_3gpuE4ELNS1_3repE0EEENS1_30default_config_static_selectorELNS0_4arch9wavefront6targetE0EEEvT1_,@function
_ZN7rocprim17ROCPRIM_400000_NS6detail17trampoline_kernelINS0_14default_configENS1_27scan_by_key_config_selectorIssEEZZNS1_16scan_by_key_implILNS1_25lookback_scan_determinismE0ELb1ES3_N6thrust23THRUST_200600_302600_NS6detail15normal_iteratorINS9_10device_ptrIsEEEESE_SE_sNS9_10multipliesIsEENS9_8equal_toIsEEsEE10hipError_tPvRmT2_T3_T4_T5_mT6_T7_P12ihipStream_tbENKUlT_T0_E_clISt17integral_constantIbLb0EESY_IbLb1EEEEDaSU_SV_EUlSU_E_NS1_11comp_targetILNS1_3genE10ELNS1_11target_archE1200ELNS1_3gpuE4ELNS1_3repE0EEENS1_30default_config_static_selectorELNS0_4arch9wavefront6targetE0EEEvT1_: ; @_ZN7rocprim17ROCPRIM_400000_NS6detail17trampoline_kernelINS0_14default_configENS1_27scan_by_key_config_selectorIssEEZZNS1_16scan_by_key_implILNS1_25lookback_scan_determinismE0ELb1ES3_N6thrust23THRUST_200600_302600_NS6detail15normal_iteratorINS9_10device_ptrIsEEEESE_SE_sNS9_10multipliesIsEENS9_8equal_toIsEEsEE10hipError_tPvRmT2_T3_T4_T5_mT6_T7_P12ihipStream_tbENKUlT_T0_E_clISt17integral_constantIbLb0EESY_IbLb1EEEEDaSU_SV_EUlSU_E_NS1_11comp_targetILNS1_3genE10ELNS1_11target_archE1200ELNS1_3gpuE4ELNS1_3repE0EEENS1_30default_config_static_selectorELNS0_4arch9wavefront6targetE0EEEvT1_
; %bb.0:
	.section	.rodata,"a",@progbits
	.p2align	6, 0x0
	.amdhsa_kernel _ZN7rocprim17ROCPRIM_400000_NS6detail17trampoline_kernelINS0_14default_configENS1_27scan_by_key_config_selectorIssEEZZNS1_16scan_by_key_implILNS1_25lookback_scan_determinismE0ELb1ES3_N6thrust23THRUST_200600_302600_NS6detail15normal_iteratorINS9_10device_ptrIsEEEESE_SE_sNS9_10multipliesIsEENS9_8equal_toIsEEsEE10hipError_tPvRmT2_T3_T4_T5_mT6_T7_P12ihipStream_tbENKUlT_T0_E_clISt17integral_constantIbLb0EESY_IbLb1EEEEDaSU_SV_EUlSU_E_NS1_11comp_targetILNS1_3genE10ELNS1_11target_archE1200ELNS1_3gpuE4ELNS1_3repE0EEENS1_30default_config_static_selectorELNS0_4arch9wavefront6targetE0EEEvT1_
		.amdhsa_group_segment_fixed_size 0
		.amdhsa_private_segment_fixed_size 0
		.amdhsa_kernarg_size 112
		.amdhsa_user_sgpr_count 6
		.amdhsa_user_sgpr_private_segment_buffer 1
		.amdhsa_user_sgpr_dispatch_ptr 0
		.amdhsa_user_sgpr_queue_ptr 0
		.amdhsa_user_sgpr_kernarg_segment_ptr 1
		.amdhsa_user_sgpr_dispatch_id 0
		.amdhsa_user_sgpr_flat_scratch_init 0
		.amdhsa_user_sgpr_private_segment_size 0
		.amdhsa_wavefront_size32 1
		.amdhsa_uses_dynamic_stack 0
		.amdhsa_system_sgpr_private_segment_wavefront_offset 0
		.amdhsa_system_sgpr_workgroup_id_x 1
		.amdhsa_system_sgpr_workgroup_id_y 0
		.amdhsa_system_sgpr_workgroup_id_z 0
		.amdhsa_system_sgpr_workgroup_info 0
		.amdhsa_system_vgpr_workitem_id 0
		.amdhsa_next_free_vgpr 1
		.amdhsa_next_free_sgpr 1
		.amdhsa_reserve_vcc 0
		.amdhsa_reserve_flat_scratch 0
		.amdhsa_float_round_mode_32 0
		.amdhsa_float_round_mode_16_64 0
		.amdhsa_float_denorm_mode_32 3
		.amdhsa_float_denorm_mode_16_64 3
		.amdhsa_dx10_clamp 1
		.amdhsa_ieee_mode 1
		.amdhsa_fp16_overflow 0
		.amdhsa_workgroup_processor_mode 1
		.amdhsa_memory_ordered 1
		.amdhsa_forward_progress 1
		.amdhsa_shared_vgpr_count 0
		.amdhsa_exception_fp_ieee_invalid_op 0
		.amdhsa_exception_fp_denorm_src 0
		.amdhsa_exception_fp_ieee_div_zero 0
		.amdhsa_exception_fp_ieee_overflow 0
		.amdhsa_exception_fp_ieee_underflow 0
		.amdhsa_exception_fp_ieee_inexact 0
		.amdhsa_exception_int_div_zero 0
	.end_amdhsa_kernel
	.section	.text._ZN7rocprim17ROCPRIM_400000_NS6detail17trampoline_kernelINS0_14default_configENS1_27scan_by_key_config_selectorIssEEZZNS1_16scan_by_key_implILNS1_25lookback_scan_determinismE0ELb1ES3_N6thrust23THRUST_200600_302600_NS6detail15normal_iteratorINS9_10device_ptrIsEEEESE_SE_sNS9_10multipliesIsEENS9_8equal_toIsEEsEE10hipError_tPvRmT2_T3_T4_T5_mT6_T7_P12ihipStream_tbENKUlT_T0_E_clISt17integral_constantIbLb0EESY_IbLb1EEEEDaSU_SV_EUlSU_E_NS1_11comp_targetILNS1_3genE10ELNS1_11target_archE1200ELNS1_3gpuE4ELNS1_3repE0EEENS1_30default_config_static_selectorELNS0_4arch9wavefront6targetE0EEEvT1_,"axG",@progbits,_ZN7rocprim17ROCPRIM_400000_NS6detail17trampoline_kernelINS0_14default_configENS1_27scan_by_key_config_selectorIssEEZZNS1_16scan_by_key_implILNS1_25lookback_scan_determinismE0ELb1ES3_N6thrust23THRUST_200600_302600_NS6detail15normal_iteratorINS9_10device_ptrIsEEEESE_SE_sNS9_10multipliesIsEENS9_8equal_toIsEEsEE10hipError_tPvRmT2_T3_T4_T5_mT6_T7_P12ihipStream_tbENKUlT_T0_E_clISt17integral_constantIbLb0EESY_IbLb1EEEEDaSU_SV_EUlSU_E_NS1_11comp_targetILNS1_3genE10ELNS1_11target_archE1200ELNS1_3gpuE4ELNS1_3repE0EEENS1_30default_config_static_selectorELNS0_4arch9wavefront6targetE0EEEvT1_,comdat
.Lfunc_end638:
	.size	_ZN7rocprim17ROCPRIM_400000_NS6detail17trampoline_kernelINS0_14default_configENS1_27scan_by_key_config_selectorIssEEZZNS1_16scan_by_key_implILNS1_25lookback_scan_determinismE0ELb1ES3_N6thrust23THRUST_200600_302600_NS6detail15normal_iteratorINS9_10device_ptrIsEEEESE_SE_sNS9_10multipliesIsEENS9_8equal_toIsEEsEE10hipError_tPvRmT2_T3_T4_T5_mT6_T7_P12ihipStream_tbENKUlT_T0_E_clISt17integral_constantIbLb0EESY_IbLb1EEEEDaSU_SV_EUlSU_E_NS1_11comp_targetILNS1_3genE10ELNS1_11target_archE1200ELNS1_3gpuE4ELNS1_3repE0EEENS1_30default_config_static_selectorELNS0_4arch9wavefront6targetE0EEEvT1_, .Lfunc_end638-_ZN7rocprim17ROCPRIM_400000_NS6detail17trampoline_kernelINS0_14default_configENS1_27scan_by_key_config_selectorIssEEZZNS1_16scan_by_key_implILNS1_25lookback_scan_determinismE0ELb1ES3_N6thrust23THRUST_200600_302600_NS6detail15normal_iteratorINS9_10device_ptrIsEEEESE_SE_sNS9_10multipliesIsEENS9_8equal_toIsEEsEE10hipError_tPvRmT2_T3_T4_T5_mT6_T7_P12ihipStream_tbENKUlT_T0_E_clISt17integral_constantIbLb0EESY_IbLb1EEEEDaSU_SV_EUlSU_E_NS1_11comp_targetILNS1_3genE10ELNS1_11target_archE1200ELNS1_3gpuE4ELNS1_3repE0EEENS1_30default_config_static_selectorELNS0_4arch9wavefront6targetE0EEEvT1_
                                        ; -- End function
	.set _ZN7rocprim17ROCPRIM_400000_NS6detail17trampoline_kernelINS0_14default_configENS1_27scan_by_key_config_selectorIssEEZZNS1_16scan_by_key_implILNS1_25lookback_scan_determinismE0ELb1ES3_N6thrust23THRUST_200600_302600_NS6detail15normal_iteratorINS9_10device_ptrIsEEEESE_SE_sNS9_10multipliesIsEENS9_8equal_toIsEEsEE10hipError_tPvRmT2_T3_T4_T5_mT6_T7_P12ihipStream_tbENKUlT_T0_E_clISt17integral_constantIbLb0EESY_IbLb1EEEEDaSU_SV_EUlSU_E_NS1_11comp_targetILNS1_3genE10ELNS1_11target_archE1200ELNS1_3gpuE4ELNS1_3repE0EEENS1_30default_config_static_selectorELNS0_4arch9wavefront6targetE0EEEvT1_.num_vgpr, 0
	.set _ZN7rocprim17ROCPRIM_400000_NS6detail17trampoline_kernelINS0_14default_configENS1_27scan_by_key_config_selectorIssEEZZNS1_16scan_by_key_implILNS1_25lookback_scan_determinismE0ELb1ES3_N6thrust23THRUST_200600_302600_NS6detail15normal_iteratorINS9_10device_ptrIsEEEESE_SE_sNS9_10multipliesIsEENS9_8equal_toIsEEsEE10hipError_tPvRmT2_T3_T4_T5_mT6_T7_P12ihipStream_tbENKUlT_T0_E_clISt17integral_constantIbLb0EESY_IbLb1EEEEDaSU_SV_EUlSU_E_NS1_11comp_targetILNS1_3genE10ELNS1_11target_archE1200ELNS1_3gpuE4ELNS1_3repE0EEENS1_30default_config_static_selectorELNS0_4arch9wavefront6targetE0EEEvT1_.num_agpr, 0
	.set _ZN7rocprim17ROCPRIM_400000_NS6detail17trampoline_kernelINS0_14default_configENS1_27scan_by_key_config_selectorIssEEZZNS1_16scan_by_key_implILNS1_25lookback_scan_determinismE0ELb1ES3_N6thrust23THRUST_200600_302600_NS6detail15normal_iteratorINS9_10device_ptrIsEEEESE_SE_sNS9_10multipliesIsEENS9_8equal_toIsEEsEE10hipError_tPvRmT2_T3_T4_T5_mT6_T7_P12ihipStream_tbENKUlT_T0_E_clISt17integral_constantIbLb0EESY_IbLb1EEEEDaSU_SV_EUlSU_E_NS1_11comp_targetILNS1_3genE10ELNS1_11target_archE1200ELNS1_3gpuE4ELNS1_3repE0EEENS1_30default_config_static_selectorELNS0_4arch9wavefront6targetE0EEEvT1_.numbered_sgpr, 0
	.set _ZN7rocprim17ROCPRIM_400000_NS6detail17trampoline_kernelINS0_14default_configENS1_27scan_by_key_config_selectorIssEEZZNS1_16scan_by_key_implILNS1_25lookback_scan_determinismE0ELb1ES3_N6thrust23THRUST_200600_302600_NS6detail15normal_iteratorINS9_10device_ptrIsEEEESE_SE_sNS9_10multipliesIsEENS9_8equal_toIsEEsEE10hipError_tPvRmT2_T3_T4_T5_mT6_T7_P12ihipStream_tbENKUlT_T0_E_clISt17integral_constantIbLb0EESY_IbLb1EEEEDaSU_SV_EUlSU_E_NS1_11comp_targetILNS1_3genE10ELNS1_11target_archE1200ELNS1_3gpuE4ELNS1_3repE0EEENS1_30default_config_static_selectorELNS0_4arch9wavefront6targetE0EEEvT1_.num_named_barrier, 0
	.set _ZN7rocprim17ROCPRIM_400000_NS6detail17trampoline_kernelINS0_14default_configENS1_27scan_by_key_config_selectorIssEEZZNS1_16scan_by_key_implILNS1_25lookback_scan_determinismE0ELb1ES3_N6thrust23THRUST_200600_302600_NS6detail15normal_iteratorINS9_10device_ptrIsEEEESE_SE_sNS9_10multipliesIsEENS9_8equal_toIsEEsEE10hipError_tPvRmT2_T3_T4_T5_mT6_T7_P12ihipStream_tbENKUlT_T0_E_clISt17integral_constantIbLb0EESY_IbLb1EEEEDaSU_SV_EUlSU_E_NS1_11comp_targetILNS1_3genE10ELNS1_11target_archE1200ELNS1_3gpuE4ELNS1_3repE0EEENS1_30default_config_static_selectorELNS0_4arch9wavefront6targetE0EEEvT1_.private_seg_size, 0
	.set _ZN7rocprim17ROCPRIM_400000_NS6detail17trampoline_kernelINS0_14default_configENS1_27scan_by_key_config_selectorIssEEZZNS1_16scan_by_key_implILNS1_25lookback_scan_determinismE0ELb1ES3_N6thrust23THRUST_200600_302600_NS6detail15normal_iteratorINS9_10device_ptrIsEEEESE_SE_sNS9_10multipliesIsEENS9_8equal_toIsEEsEE10hipError_tPvRmT2_T3_T4_T5_mT6_T7_P12ihipStream_tbENKUlT_T0_E_clISt17integral_constantIbLb0EESY_IbLb1EEEEDaSU_SV_EUlSU_E_NS1_11comp_targetILNS1_3genE10ELNS1_11target_archE1200ELNS1_3gpuE4ELNS1_3repE0EEENS1_30default_config_static_selectorELNS0_4arch9wavefront6targetE0EEEvT1_.uses_vcc, 0
	.set _ZN7rocprim17ROCPRIM_400000_NS6detail17trampoline_kernelINS0_14default_configENS1_27scan_by_key_config_selectorIssEEZZNS1_16scan_by_key_implILNS1_25lookback_scan_determinismE0ELb1ES3_N6thrust23THRUST_200600_302600_NS6detail15normal_iteratorINS9_10device_ptrIsEEEESE_SE_sNS9_10multipliesIsEENS9_8equal_toIsEEsEE10hipError_tPvRmT2_T3_T4_T5_mT6_T7_P12ihipStream_tbENKUlT_T0_E_clISt17integral_constantIbLb0EESY_IbLb1EEEEDaSU_SV_EUlSU_E_NS1_11comp_targetILNS1_3genE10ELNS1_11target_archE1200ELNS1_3gpuE4ELNS1_3repE0EEENS1_30default_config_static_selectorELNS0_4arch9wavefront6targetE0EEEvT1_.uses_flat_scratch, 0
	.set _ZN7rocprim17ROCPRIM_400000_NS6detail17trampoline_kernelINS0_14default_configENS1_27scan_by_key_config_selectorIssEEZZNS1_16scan_by_key_implILNS1_25lookback_scan_determinismE0ELb1ES3_N6thrust23THRUST_200600_302600_NS6detail15normal_iteratorINS9_10device_ptrIsEEEESE_SE_sNS9_10multipliesIsEENS9_8equal_toIsEEsEE10hipError_tPvRmT2_T3_T4_T5_mT6_T7_P12ihipStream_tbENKUlT_T0_E_clISt17integral_constantIbLb0EESY_IbLb1EEEEDaSU_SV_EUlSU_E_NS1_11comp_targetILNS1_3genE10ELNS1_11target_archE1200ELNS1_3gpuE4ELNS1_3repE0EEENS1_30default_config_static_selectorELNS0_4arch9wavefront6targetE0EEEvT1_.has_dyn_sized_stack, 0
	.set _ZN7rocprim17ROCPRIM_400000_NS6detail17trampoline_kernelINS0_14default_configENS1_27scan_by_key_config_selectorIssEEZZNS1_16scan_by_key_implILNS1_25lookback_scan_determinismE0ELb1ES3_N6thrust23THRUST_200600_302600_NS6detail15normal_iteratorINS9_10device_ptrIsEEEESE_SE_sNS9_10multipliesIsEENS9_8equal_toIsEEsEE10hipError_tPvRmT2_T3_T4_T5_mT6_T7_P12ihipStream_tbENKUlT_T0_E_clISt17integral_constantIbLb0EESY_IbLb1EEEEDaSU_SV_EUlSU_E_NS1_11comp_targetILNS1_3genE10ELNS1_11target_archE1200ELNS1_3gpuE4ELNS1_3repE0EEENS1_30default_config_static_selectorELNS0_4arch9wavefront6targetE0EEEvT1_.has_recursion, 0
	.set _ZN7rocprim17ROCPRIM_400000_NS6detail17trampoline_kernelINS0_14default_configENS1_27scan_by_key_config_selectorIssEEZZNS1_16scan_by_key_implILNS1_25lookback_scan_determinismE0ELb1ES3_N6thrust23THRUST_200600_302600_NS6detail15normal_iteratorINS9_10device_ptrIsEEEESE_SE_sNS9_10multipliesIsEENS9_8equal_toIsEEsEE10hipError_tPvRmT2_T3_T4_T5_mT6_T7_P12ihipStream_tbENKUlT_T0_E_clISt17integral_constantIbLb0EESY_IbLb1EEEEDaSU_SV_EUlSU_E_NS1_11comp_targetILNS1_3genE10ELNS1_11target_archE1200ELNS1_3gpuE4ELNS1_3repE0EEENS1_30default_config_static_selectorELNS0_4arch9wavefront6targetE0EEEvT1_.has_indirect_call, 0
	.section	.AMDGPU.csdata,"",@progbits
; Kernel info:
; codeLenInByte = 0
; TotalNumSgprs: 0
; NumVgprs: 0
; ScratchSize: 0
; MemoryBound: 0
; FloatMode: 240
; IeeeMode: 1
; LDSByteSize: 0 bytes/workgroup (compile time only)
; SGPRBlocks: 0
; VGPRBlocks: 0
; NumSGPRsForWavesPerEU: 1
; NumVGPRsForWavesPerEU: 1
; Occupancy: 16
; WaveLimiterHint : 0
; COMPUTE_PGM_RSRC2:SCRATCH_EN: 0
; COMPUTE_PGM_RSRC2:USER_SGPR: 6
; COMPUTE_PGM_RSRC2:TRAP_HANDLER: 0
; COMPUTE_PGM_RSRC2:TGID_X_EN: 1
; COMPUTE_PGM_RSRC2:TGID_Y_EN: 0
; COMPUTE_PGM_RSRC2:TGID_Z_EN: 0
; COMPUTE_PGM_RSRC2:TIDIG_COMP_CNT: 0
	.section	.text._ZN7rocprim17ROCPRIM_400000_NS6detail17trampoline_kernelINS0_14default_configENS1_27scan_by_key_config_selectorIssEEZZNS1_16scan_by_key_implILNS1_25lookback_scan_determinismE0ELb1ES3_N6thrust23THRUST_200600_302600_NS6detail15normal_iteratorINS9_10device_ptrIsEEEESE_SE_sNS9_10multipliesIsEENS9_8equal_toIsEEsEE10hipError_tPvRmT2_T3_T4_T5_mT6_T7_P12ihipStream_tbENKUlT_T0_E_clISt17integral_constantIbLb0EESY_IbLb1EEEEDaSU_SV_EUlSU_E_NS1_11comp_targetILNS1_3genE9ELNS1_11target_archE1100ELNS1_3gpuE3ELNS1_3repE0EEENS1_30default_config_static_selectorELNS0_4arch9wavefront6targetE0EEEvT1_,"axG",@progbits,_ZN7rocprim17ROCPRIM_400000_NS6detail17trampoline_kernelINS0_14default_configENS1_27scan_by_key_config_selectorIssEEZZNS1_16scan_by_key_implILNS1_25lookback_scan_determinismE0ELb1ES3_N6thrust23THRUST_200600_302600_NS6detail15normal_iteratorINS9_10device_ptrIsEEEESE_SE_sNS9_10multipliesIsEENS9_8equal_toIsEEsEE10hipError_tPvRmT2_T3_T4_T5_mT6_T7_P12ihipStream_tbENKUlT_T0_E_clISt17integral_constantIbLb0EESY_IbLb1EEEEDaSU_SV_EUlSU_E_NS1_11comp_targetILNS1_3genE9ELNS1_11target_archE1100ELNS1_3gpuE3ELNS1_3repE0EEENS1_30default_config_static_selectorELNS0_4arch9wavefront6targetE0EEEvT1_,comdat
	.protected	_ZN7rocprim17ROCPRIM_400000_NS6detail17trampoline_kernelINS0_14default_configENS1_27scan_by_key_config_selectorIssEEZZNS1_16scan_by_key_implILNS1_25lookback_scan_determinismE0ELb1ES3_N6thrust23THRUST_200600_302600_NS6detail15normal_iteratorINS9_10device_ptrIsEEEESE_SE_sNS9_10multipliesIsEENS9_8equal_toIsEEsEE10hipError_tPvRmT2_T3_T4_T5_mT6_T7_P12ihipStream_tbENKUlT_T0_E_clISt17integral_constantIbLb0EESY_IbLb1EEEEDaSU_SV_EUlSU_E_NS1_11comp_targetILNS1_3genE9ELNS1_11target_archE1100ELNS1_3gpuE3ELNS1_3repE0EEENS1_30default_config_static_selectorELNS0_4arch9wavefront6targetE0EEEvT1_ ; -- Begin function _ZN7rocprim17ROCPRIM_400000_NS6detail17trampoline_kernelINS0_14default_configENS1_27scan_by_key_config_selectorIssEEZZNS1_16scan_by_key_implILNS1_25lookback_scan_determinismE0ELb1ES3_N6thrust23THRUST_200600_302600_NS6detail15normal_iteratorINS9_10device_ptrIsEEEESE_SE_sNS9_10multipliesIsEENS9_8equal_toIsEEsEE10hipError_tPvRmT2_T3_T4_T5_mT6_T7_P12ihipStream_tbENKUlT_T0_E_clISt17integral_constantIbLb0EESY_IbLb1EEEEDaSU_SV_EUlSU_E_NS1_11comp_targetILNS1_3genE9ELNS1_11target_archE1100ELNS1_3gpuE3ELNS1_3repE0EEENS1_30default_config_static_selectorELNS0_4arch9wavefront6targetE0EEEvT1_
	.globl	_ZN7rocprim17ROCPRIM_400000_NS6detail17trampoline_kernelINS0_14default_configENS1_27scan_by_key_config_selectorIssEEZZNS1_16scan_by_key_implILNS1_25lookback_scan_determinismE0ELb1ES3_N6thrust23THRUST_200600_302600_NS6detail15normal_iteratorINS9_10device_ptrIsEEEESE_SE_sNS9_10multipliesIsEENS9_8equal_toIsEEsEE10hipError_tPvRmT2_T3_T4_T5_mT6_T7_P12ihipStream_tbENKUlT_T0_E_clISt17integral_constantIbLb0EESY_IbLb1EEEEDaSU_SV_EUlSU_E_NS1_11comp_targetILNS1_3genE9ELNS1_11target_archE1100ELNS1_3gpuE3ELNS1_3repE0EEENS1_30default_config_static_selectorELNS0_4arch9wavefront6targetE0EEEvT1_
	.p2align	8
	.type	_ZN7rocprim17ROCPRIM_400000_NS6detail17trampoline_kernelINS0_14default_configENS1_27scan_by_key_config_selectorIssEEZZNS1_16scan_by_key_implILNS1_25lookback_scan_determinismE0ELb1ES3_N6thrust23THRUST_200600_302600_NS6detail15normal_iteratorINS9_10device_ptrIsEEEESE_SE_sNS9_10multipliesIsEENS9_8equal_toIsEEsEE10hipError_tPvRmT2_T3_T4_T5_mT6_T7_P12ihipStream_tbENKUlT_T0_E_clISt17integral_constantIbLb0EESY_IbLb1EEEEDaSU_SV_EUlSU_E_NS1_11comp_targetILNS1_3genE9ELNS1_11target_archE1100ELNS1_3gpuE3ELNS1_3repE0EEENS1_30default_config_static_selectorELNS0_4arch9wavefront6targetE0EEEvT1_,@function
_ZN7rocprim17ROCPRIM_400000_NS6detail17trampoline_kernelINS0_14default_configENS1_27scan_by_key_config_selectorIssEEZZNS1_16scan_by_key_implILNS1_25lookback_scan_determinismE0ELb1ES3_N6thrust23THRUST_200600_302600_NS6detail15normal_iteratorINS9_10device_ptrIsEEEESE_SE_sNS9_10multipliesIsEENS9_8equal_toIsEEsEE10hipError_tPvRmT2_T3_T4_T5_mT6_T7_P12ihipStream_tbENKUlT_T0_E_clISt17integral_constantIbLb0EESY_IbLb1EEEEDaSU_SV_EUlSU_E_NS1_11comp_targetILNS1_3genE9ELNS1_11target_archE1100ELNS1_3gpuE3ELNS1_3repE0EEENS1_30default_config_static_selectorELNS0_4arch9wavefront6targetE0EEEvT1_: ; @_ZN7rocprim17ROCPRIM_400000_NS6detail17trampoline_kernelINS0_14default_configENS1_27scan_by_key_config_selectorIssEEZZNS1_16scan_by_key_implILNS1_25lookback_scan_determinismE0ELb1ES3_N6thrust23THRUST_200600_302600_NS6detail15normal_iteratorINS9_10device_ptrIsEEEESE_SE_sNS9_10multipliesIsEENS9_8equal_toIsEEsEE10hipError_tPvRmT2_T3_T4_T5_mT6_T7_P12ihipStream_tbENKUlT_T0_E_clISt17integral_constantIbLb0EESY_IbLb1EEEEDaSU_SV_EUlSU_E_NS1_11comp_targetILNS1_3genE9ELNS1_11target_archE1100ELNS1_3gpuE3ELNS1_3repE0EEENS1_30default_config_static_selectorELNS0_4arch9wavefront6targetE0EEEvT1_
; %bb.0:
	.section	.rodata,"a",@progbits
	.p2align	6, 0x0
	.amdhsa_kernel _ZN7rocprim17ROCPRIM_400000_NS6detail17trampoline_kernelINS0_14default_configENS1_27scan_by_key_config_selectorIssEEZZNS1_16scan_by_key_implILNS1_25lookback_scan_determinismE0ELb1ES3_N6thrust23THRUST_200600_302600_NS6detail15normal_iteratorINS9_10device_ptrIsEEEESE_SE_sNS9_10multipliesIsEENS9_8equal_toIsEEsEE10hipError_tPvRmT2_T3_T4_T5_mT6_T7_P12ihipStream_tbENKUlT_T0_E_clISt17integral_constantIbLb0EESY_IbLb1EEEEDaSU_SV_EUlSU_E_NS1_11comp_targetILNS1_3genE9ELNS1_11target_archE1100ELNS1_3gpuE3ELNS1_3repE0EEENS1_30default_config_static_selectorELNS0_4arch9wavefront6targetE0EEEvT1_
		.amdhsa_group_segment_fixed_size 0
		.amdhsa_private_segment_fixed_size 0
		.amdhsa_kernarg_size 112
		.amdhsa_user_sgpr_count 6
		.amdhsa_user_sgpr_private_segment_buffer 1
		.amdhsa_user_sgpr_dispatch_ptr 0
		.amdhsa_user_sgpr_queue_ptr 0
		.amdhsa_user_sgpr_kernarg_segment_ptr 1
		.amdhsa_user_sgpr_dispatch_id 0
		.amdhsa_user_sgpr_flat_scratch_init 0
		.amdhsa_user_sgpr_private_segment_size 0
		.amdhsa_wavefront_size32 1
		.amdhsa_uses_dynamic_stack 0
		.amdhsa_system_sgpr_private_segment_wavefront_offset 0
		.amdhsa_system_sgpr_workgroup_id_x 1
		.amdhsa_system_sgpr_workgroup_id_y 0
		.amdhsa_system_sgpr_workgroup_id_z 0
		.amdhsa_system_sgpr_workgroup_info 0
		.amdhsa_system_vgpr_workitem_id 0
		.amdhsa_next_free_vgpr 1
		.amdhsa_next_free_sgpr 1
		.amdhsa_reserve_vcc 0
		.amdhsa_reserve_flat_scratch 0
		.amdhsa_float_round_mode_32 0
		.amdhsa_float_round_mode_16_64 0
		.amdhsa_float_denorm_mode_32 3
		.amdhsa_float_denorm_mode_16_64 3
		.amdhsa_dx10_clamp 1
		.amdhsa_ieee_mode 1
		.amdhsa_fp16_overflow 0
		.amdhsa_workgroup_processor_mode 1
		.amdhsa_memory_ordered 1
		.amdhsa_forward_progress 1
		.amdhsa_shared_vgpr_count 0
		.amdhsa_exception_fp_ieee_invalid_op 0
		.amdhsa_exception_fp_denorm_src 0
		.amdhsa_exception_fp_ieee_div_zero 0
		.amdhsa_exception_fp_ieee_overflow 0
		.amdhsa_exception_fp_ieee_underflow 0
		.amdhsa_exception_fp_ieee_inexact 0
		.amdhsa_exception_int_div_zero 0
	.end_amdhsa_kernel
	.section	.text._ZN7rocprim17ROCPRIM_400000_NS6detail17trampoline_kernelINS0_14default_configENS1_27scan_by_key_config_selectorIssEEZZNS1_16scan_by_key_implILNS1_25lookback_scan_determinismE0ELb1ES3_N6thrust23THRUST_200600_302600_NS6detail15normal_iteratorINS9_10device_ptrIsEEEESE_SE_sNS9_10multipliesIsEENS9_8equal_toIsEEsEE10hipError_tPvRmT2_T3_T4_T5_mT6_T7_P12ihipStream_tbENKUlT_T0_E_clISt17integral_constantIbLb0EESY_IbLb1EEEEDaSU_SV_EUlSU_E_NS1_11comp_targetILNS1_3genE9ELNS1_11target_archE1100ELNS1_3gpuE3ELNS1_3repE0EEENS1_30default_config_static_selectorELNS0_4arch9wavefront6targetE0EEEvT1_,"axG",@progbits,_ZN7rocprim17ROCPRIM_400000_NS6detail17trampoline_kernelINS0_14default_configENS1_27scan_by_key_config_selectorIssEEZZNS1_16scan_by_key_implILNS1_25lookback_scan_determinismE0ELb1ES3_N6thrust23THRUST_200600_302600_NS6detail15normal_iteratorINS9_10device_ptrIsEEEESE_SE_sNS9_10multipliesIsEENS9_8equal_toIsEEsEE10hipError_tPvRmT2_T3_T4_T5_mT6_T7_P12ihipStream_tbENKUlT_T0_E_clISt17integral_constantIbLb0EESY_IbLb1EEEEDaSU_SV_EUlSU_E_NS1_11comp_targetILNS1_3genE9ELNS1_11target_archE1100ELNS1_3gpuE3ELNS1_3repE0EEENS1_30default_config_static_selectorELNS0_4arch9wavefront6targetE0EEEvT1_,comdat
.Lfunc_end639:
	.size	_ZN7rocprim17ROCPRIM_400000_NS6detail17trampoline_kernelINS0_14default_configENS1_27scan_by_key_config_selectorIssEEZZNS1_16scan_by_key_implILNS1_25lookback_scan_determinismE0ELb1ES3_N6thrust23THRUST_200600_302600_NS6detail15normal_iteratorINS9_10device_ptrIsEEEESE_SE_sNS9_10multipliesIsEENS9_8equal_toIsEEsEE10hipError_tPvRmT2_T3_T4_T5_mT6_T7_P12ihipStream_tbENKUlT_T0_E_clISt17integral_constantIbLb0EESY_IbLb1EEEEDaSU_SV_EUlSU_E_NS1_11comp_targetILNS1_3genE9ELNS1_11target_archE1100ELNS1_3gpuE3ELNS1_3repE0EEENS1_30default_config_static_selectorELNS0_4arch9wavefront6targetE0EEEvT1_, .Lfunc_end639-_ZN7rocprim17ROCPRIM_400000_NS6detail17trampoline_kernelINS0_14default_configENS1_27scan_by_key_config_selectorIssEEZZNS1_16scan_by_key_implILNS1_25lookback_scan_determinismE0ELb1ES3_N6thrust23THRUST_200600_302600_NS6detail15normal_iteratorINS9_10device_ptrIsEEEESE_SE_sNS9_10multipliesIsEENS9_8equal_toIsEEsEE10hipError_tPvRmT2_T3_T4_T5_mT6_T7_P12ihipStream_tbENKUlT_T0_E_clISt17integral_constantIbLb0EESY_IbLb1EEEEDaSU_SV_EUlSU_E_NS1_11comp_targetILNS1_3genE9ELNS1_11target_archE1100ELNS1_3gpuE3ELNS1_3repE0EEENS1_30default_config_static_selectorELNS0_4arch9wavefront6targetE0EEEvT1_
                                        ; -- End function
	.set _ZN7rocprim17ROCPRIM_400000_NS6detail17trampoline_kernelINS0_14default_configENS1_27scan_by_key_config_selectorIssEEZZNS1_16scan_by_key_implILNS1_25lookback_scan_determinismE0ELb1ES3_N6thrust23THRUST_200600_302600_NS6detail15normal_iteratorINS9_10device_ptrIsEEEESE_SE_sNS9_10multipliesIsEENS9_8equal_toIsEEsEE10hipError_tPvRmT2_T3_T4_T5_mT6_T7_P12ihipStream_tbENKUlT_T0_E_clISt17integral_constantIbLb0EESY_IbLb1EEEEDaSU_SV_EUlSU_E_NS1_11comp_targetILNS1_3genE9ELNS1_11target_archE1100ELNS1_3gpuE3ELNS1_3repE0EEENS1_30default_config_static_selectorELNS0_4arch9wavefront6targetE0EEEvT1_.num_vgpr, 0
	.set _ZN7rocprim17ROCPRIM_400000_NS6detail17trampoline_kernelINS0_14default_configENS1_27scan_by_key_config_selectorIssEEZZNS1_16scan_by_key_implILNS1_25lookback_scan_determinismE0ELb1ES3_N6thrust23THRUST_200600_302600_NS6detail15normal_iteratorINS9_10device_ptrIsEEEESE_SE_sNS9_10multipliesIsEENS9_8equal_toIsEEsEE10hipError_tPvRmT2_T3_T4_T5_mT6_T7_P12ihipStream_tbENKUlT_T0_E_clISt17integral_constantIbLb0EESY_IbLb1EEEEDaSU_SV_EUlSU_E_NS1_11comp_targetILNS1_3genE9ELNS1_11target_archE1100ELNS1_3gpuE3ELNS1_3repE0EEENS1_30default_config_static_selectorELNS0_4arch9wavefront6targetE0EEEvT1_.num_agpr, 0
	.set _ZN7rocprim17ROCPRIM_400000_NS6detail17trampoline_kernelINS0_14default_configENS1_27scan_by_key_config_selectorIssEEZZNS1_16scan_by_key_implILNS1_25lookback_scan_determinismE0ELb1ES3_N6thrust23THRUST_200600_302600_NS6detail15normal_iteratorINS9_10device_ptrIsEEEESE_SE_sNS9_10multipliesIsEENS9_8equal_toIsEEsEE10hipError_tPvRmT2_T3_T4_T5_mT6_T7_P12ihipStream_tbENKUlT_T0_E_clISt17integral_constantIbLb0EESY_IbLb1EEEEDaSU_SV_EUlSU_E_NS1_11comp_targetILNS1_3genE9ELNS1_11target_archE1100ELNS1_3gpuE3ELNS1_3repE0EEENS1_30default_config_static_selectorELNS0_4arch9wavefront6targetE0EEEvT1_.numbered_sgpr, 0
	.set _ZN7rocprim17ROCPRIM_400000_NS6detail17trampoline_kernelINS0_14default_configENS1_27scan_by_key_config_selectorIssEEZZNS1_16scan_by_key_implILNS1_25lookback_scan_determinismE0ELb1ES3_N6thrust23THRUST_200600_302600_NS6detail15normal_iteratorINS9_10device_ptrIsEEEESE_SE_sNS9_10multipliesIsEENS9_8equal_toIsEEsEE10hipError_tPvRmT2_T3_T4_T5_mT6_T7_P12ihipStream_tbENKUlT_T0_E_clISt17integral_constantIbLb0EESY_IbLb1EEEEDaSU_SV_EUlSU_E_NS1_11comp_targetILNS1_3genE9ELNS1_11target_archE1100ELNS1_3gpuE3ELNS1_3repE0EEENS1_30default_config_static_selectorELNS0_4arch9wavefront6targetE0EEEvT1_.num_named_barrier, 0
	.set _ZN7rocprim17ROCPRIM_400000_NS6detail17trampoline_kernelINS0_14default_configENS1_27scan_by_key_config_selectorIssEEZZNS1_16scan_by_key_implILNS1_25lookback_scan_determinismE0ELb1ES3_N6thrust23THRUST_200600_302600_NS6detail15normal_iteratorINS9_10device_ptrIsEEEESE_SE_sNS9_10multipliesIsEENS9_8equal_toIsEEsEE10hipError_tPvRmT2_T3_T4_T5_mT6_T7_P12ihipStream_tbENKUlT_T0_E_clISt17integral_constantIbLb0EESY_IbLb1EEEEDaSU_SV_EUlSU_E_NS1_11comp_targetILNS1_3genE9ELNS1_11target_archE1100ELNS1_3gpuE3ELNS1_3repE0EEENS1_30default_config_static_selectorELNS0_4arch9wavefront6targetE0EEEvT1_.private_seg_size, 0
	.set _ZN7rocprim17ROCPRIM_400000_NS6detail17trampoline_kernelINS0_14default_configENS1_27scan_by_key_config_selectorIssEEZZNS1_16scan_by_key_implILNS1_25lookback_scan_determinismE0ELb1ES3_N6thrust23THRUST_200600_302600_NS6detail15normal_iteratorINS9_10device_ptrIsEEEESE_SE_sNS9_10multipliesIsEENS9_8equal_toIsEEsEE10hipError_tPvRmT2_T3_T4_T5_mT6_T7_P12ihipStream_tbENKUlT_T0_E_clISt17integral_constantIbLb0EESY_IbLb1EEEEDaSU_SV_EUlSU_E_NS1_11comp_targetILNS1_3genE9ELNS1_11target_archE1100ELNS1_3gpuE3ELNS1_3repE0EEENS1_30default_config_static_selectorELNS0_4arch9wavefront6targetE0EEEvT1_.uses_vcc, 0
	.set _ZN7rocprim17ROCPRIM_400000_NS6detail17trampoline_kernelINS0_14default_configENS1_27scan_by_key_config_selectorIssEEZZNS1_16scan_by_key_implILNS1_25lookback_scan_determinismE0ELb1ES3_N6thrust23THRUST_200600_302600_NS6detail15normal_iteratorINS9_10device_ptrIsEEEESE_SE_sNS9_10multipliesIsEENS9_8equal_toIsEEsEE10hipError_tPvRmT2_T3_T4_T5_mT6_T7_P12ihipStream_tbENKUlT_T0_E_clISt17integral_constantIbLb0EESY_IbLb1EEEEDaSU_SV_EUlSU_E_NS1_11comp_targetILNS1_3genE9ELNS1_11target_archE1100ELNS1_3gpuE3ELNS1_3repE0EEENS1_30default_config_static_selectorELNS0_4arch9wavefront6targetE0EEEvT1_.uses_flat_scratch, 0
	.set _ZN7rocprim17ROCPRIM_400000_NS6detail17trampoline_kernelINS0_14default_configENS1_27scan_by_key_config_selectorIssEEZZNS1_16scan_by_key_implILNS1_25lookback_scan_determinismE0ELb1ES3_N6thrust23THRUST_200600_302600_NS6detail15normal_iteratorINS9_10device_ptrIsEEEESE_SE_sNS9_10multipliesIsEENS9_8equal_toIsEEsEE10hipError_tPvRmT2_T3_T4_T5_mT6_T7_P12ihipStream_tbENKUlT_T0_E_clISt17integral_constantIbLb0EESY_IbLb1EEEEDaSU_SV_EUlSU_E_NS1_11comp_targetILNS1_3genE9ELNS1_11target_archE1100ELNS1_3gpuE3ELNS1_3repE0EEENS1_30default_config_static_selectorELNS0_4arch9wavefront6targetE0EEEvT1_.has_dyn_sized_stack, 0
	.set _ZN7rocprim17ROCPRIM_400000_NS6detail17trampoline_kernelINS0_14default_configENS1_27scan_by_key_config_selectorIssEEZZNS1_16scan_by_key_implILNS1_25lookback_scan_determinismE0ELb1ES3_N6thrust23THRUST_200600_302600_NS6detail15normal_iteratorINS9_10device_ptrIsEEEESE_SE_sNS9_10multipliesIsEENS9_8equal_toIsEEsEE10hipError_tPvRmT2_T3_T4_T5_mT6_T7_P12ihipStream_tbENKUlT_T0_E_clISt17integral_constantIbLb0EESY_IbLb1EEEEDaSU_SV_EUlSU_E_NS1_11comp_targetILNS1_3genE9ELNS1_11target_archE1100ELNS1_3gpuE3ELNS1_3repE0EEENS1_30default_config_static_selectorELNS0_4arch9wavefront6targetE0EEEvT1_.has_recursion, 0
	.set _ZN7rocprim17ROCPRIM_400000_NS6detail17trampoline_kernelINS0_14default_configENS1_27scan_by_key_config_selectorIssEEZZNS1_16scan_by_key_implILNS1_25lookback_scan_determinismE0ELb1ES3_N6thrust23THRUST_200600_302600_NS6detail15normal_iteratorINS9_10device_ptrIsEEEESE_SE_sNS9_10multipliesIsEENS9_8equal_toIsEEsEE10hipError_tPvRmT2_T3_T4_T5_mT6_T7_P12ihipStream_tbENKUlT_T0_E_clISt17integral_constantIbLb0EESY_IbLb1EEEEDaSU_SV_EUlSU_E_NS1_11comp_targetILNS1_3genE9ELNS1_11target_archE1100ELNS1_3gpuE3ELNS1_3repE0EEENS1_30default_config_static_selectorELNS0_4arch9wavefront6targetE0EEEvT1_.has_indirect_call, 0
	.section	.AMDGPU.csdata,"",@progbits
; Kernel info:
; codeLenInByte = 0
; TotalNumSgprs: 0
; NumVgprs: 0
; ScratchSize: 0
; MemoryBound: 0
; FloatMode: 240
; IeeeMode: 1
; LDSByteSize: 0 bytes/workgroup (compile time only)
; SGPRBlocks: 0
; VGPRBlocks: 0
; NumSGPRsForWavesPerEU: 1
; NumVGPRsForWavesPerEU: 1
; Occupancy: 16
; WaveLimiterHint : 0
; COMPUTE_PGM_RSRC2:SCRATCH_EN: 0
; COMPUTE_PGM_RSRC2:USER_SGPR: 6
; COMPUTE_PGM_RSRC2:TRAP_HANDLER: 0
; COMPUTE_PGM_RSRC2:TGID_X_EN: 1
; COMPUTE_PGM_RSRC2:TGID_Y_EN: 0
; COMPUTE_PGM_RSRC2:TGID_Z_EN: 0
; COMPUTE_PGM_RSRC2:TIDIG_COMP_CNT: 0
	.section	.text._ZN7rocprim17ROCPRIM_400000_NS6detail17trampoline_kernelINS0_14default_configENS1_27scan_by_key_config_selectorIssEEZZNS1_16scan_by_key_implILNS1_25lookback_scan_determinismE0ELb1ES3_N6thrust23THRUST_200600_302600_NS6detail15normal_iteratorINS9_10device_ptrIsEEEESE_SE_sNS9_10multipliesIsEENS9_8equal_toIsEEsEE10hipError_tPvRmT2_T3_T4_T5_mT6_T7_P12ihipStream_tbENKUlT_T0_E_clISt17integral_constantIbLb0EESY_IbLb1EEEEDaSU_SV_EUlSU_E_NS1_11comp_targetILNS1_3genE8ELNS1_11target_archE1030ELNS1_3gpuE2ELNS1_3repE0EEENS1_30default_config_static_selectorELNS0_4arch9wavefront6targetE0EEEvT1_,"axG",@progbits,_ZN7rocprim17ROCPRIM_400000_NS6detail17trampoline_kernelINS0_14default_configENS1_27scan_by_key_config_selectorIssEEZZNS1_16scan_by_key_implILNS1_25lookback_scan_determinismE0ELb1ES3_N6thrust23THRUST_200600_302600_NS6detail15normal_iteratorINS9_10device_ptrIsEEEESE_SE_sNS9_10multipliesIsEENS9_8equal_toIsEEsEE10hipError_tPvRmT2_T3_T4_T5_mT6_T7_P12ihipStream_tbENKUlT_T0_E_clISt17integral_constantIbLb0EESY_IbLb1EEEEDaSU_SV_EUlSU_E_NS1_11comp_targetILNS1_3genE8ELNS1_11target_archE1030ELNS1_3gpuE2ELNS1_3repE0EEENS1_30default_config_static_selectorELNS0_4arch9wavefront6targetE0EEEvT1_,comdat
	.protected	_ZN7rocprim17ROCPRIM_400000_NS6detail17trampoline_kernelINS0_14default_configENS1_27scan_by_key_config_selectorIssEEZZNS1_16scan_by_key_implILNS1_25lookback_scan_determinismE0ELb1ES3_N6thrust23THRUST_200600_302600_NS6detail15normal_iteratorINS9_10device_ptrIsEEEESE_SE_sNS9_10multipliesIsEENS9_8equal_toIsEEsEE10hipError_tPvRmT2_T3_T4_T5_mT6_T7_P12ihipStream_tbENKUlT_T0_E_clISt17integral_constantIbLb0EESY_IbLb1EEEEDaSU_SV_EUlSU_E_NS1_11comp_targetILNS1_3genE8ELNS1_11target_archE1030ELNS1_3gpuE2ELNS1_3repE0EEENS1_30default_config_static_selectorELNS0_4arch9wavefront6targetE0EEEvT1_ ; -- Begin function _ZN7rocprim17ROCPRIM_400000_NS6detail17trampoline_kernelINS0_14default_configENS1_27scan_by_key_config_selectorIssEEZZNS1_16scan_by_key_implILNS1_25lookback_scan_determinismE0ELb1ES3_N6thrust23THRUST_200600_302600_NS6detail15normal_iteratorINS9_10device_ptrIsEEEESE_SE_sNS9_10multipliesIsEENS9_8equal_toIsEEsEE10hipError_tPvRmT2_T3_T4_T5_mT6_T7_P12ihipStream_tbENKUlT_T0_E_clISt17integral_constantIbLb0EESY_IbLb1EEEEDaSU_SV_EUlSU_E_NS1_11comp_targetILNS1_3genE8ELNS1_11target_archE1030ELNS1_3gpuE2ELNS1_3repE0EEENS1_30default_config_static_selectorELNS0_4arch9wavefront6targetE0EEEvT1_
	.globl	_ZN7rocprim17ROCPRIM_400000_NS6detail17trampoline_kernelINS0_14default_configENS1_27scan_by_key_config_selectorIssEEZZNS1_16scan_by_key_implILNS1_25lookback_scan_determinismE0ELb1ES3_N6thrust23THRUST_200600_302600_NS6detail15normal_iteratorINS9_10device_ptrIsEEEESE_SE_sNS9_10multipliesIsEENS9_8equal_toIsEEsEE10hipError_tPvRmT2_T3_T4_T5_mT6_T7_P12ihipStream_tbENKUlT_T0_E_clISt17integral_constantIbLb0EESY_IbLb1EEEEDaSU_SV_EUlSU_E_NS1_11comp_targetILNS1_3genE8ELNS1_11target_archE1030ELNS1_3gpuE2ELNS1_3repE0EEENS1_30default_config_static_selectorELNS0_4arch9wavefront6targetE0EEEvT1_
	.p2align	8
	.type	_ZN7rocprim17ROCPRIM_400000_NS6detail17trampoline_kernelINS0_14default_configENS1_27scan_by_key_config_selectorIssEEZZNS1_16scan_by_key_implILNS1_25lookback_scan_determinismE0ELb1ES3_N6thrust23THRUST_200600_302600_NS6detail15normal_iteratorINS9_10device_ptrIsEEEESE_SE_sNS9_10multipliesIsEENS9_8equal_toIsEEsEE10hipError_tPvRmT2_T3_T4_T5_mT6_T7_P12ihipStream_tbENKUlT_T0_E_clISt17integral_constantIbLb0EESY_IbLb1EEEEDaSU_SV_EUlSU_E_NS1_11comp_targetILNS1_3genE8ELNS1_11target_archE1030ELNS1_3gpuE2ELNS1_3repE0EEENS1_30default_config_static_selectorELNS0_4arch9wavefront6targetE0EEEvT1_,@function
_ZN7rocprim17ROCPRIM_400000_NS6detail17trampoline_kernelINS0_14default_configENS1_27scan_by_key_config_selectorIssEEZZNS1_16scan_by_key_implILNS1_25lookback_scan_determinismE0ELb1ES3_N6thrust23THRUST_200600_302600_NS6detail15normal_iteratorINS9_10device_ptrIsEEEESE_SE_sNS9_10multipliesIsEENS9_8equal_toIsEEsEE10hipError_tPvRmT2_T3_T4_T5_mT6_T7_P12ihipStream_tbENKUlT_T0_E_clISt17integral_constantIbLb0EESY_IbLb1EEEEDaSU_SV_EUlSU_E_NS1_11comp_targetILNS1_3genE8ELNS1_11target_archE1030ELNS1_3gpuE2ELNS1_3repE0EEENS1_30default_config_static_selectorELNS0_4arch9wavefront6targetE0EEEvT1_: ; @_ZN7rocprim17ROCPRIM_400000_NS6detail17trampoline_kernelINS0_14default_configENS1_27scan_by_key_config_selectorIssEEZZNS1_16scan_by_key_implILNS1_25lookback_scan_determinismE0ELb1ES3_N6thrust23THRUST_200600_302600_NS6detail15normal_iteratorINS9_10device_ptrIsEEEESE_SE_sNS9_10multipliesIsEENS9_8equal_toIsEEsEE10hipError_tPvRmT2_T3_T4_T5_mT6_T7_P12ihipStream_tbENKUlT_T0_E_clISt17integral_constantIbLb0EESY_IbLb1EEEEDaSU_SV_EUlSU_E_NS1_11comp_targetILNS1_3genE8ELNS1_11target_archE1030ELNS1_3gpuE2ELNS1_3repE0EEENS1_30default_config_static_selectorELNS0_4arch9wavefront6targetE0EEEvT1_
; %bb.0:
	s_clause 0x2
	s_load_dword s28, s[4:5], 0x20
	s_load_dwordx4 s[16:19], s[4:5], 0x28
	s_load_dwordx2 s[26:27], s[4:5], 0x38
	v_cmp_ne_u32_e64 s1, 0, v0
	v_cmp_eq_u32_e64 s0, 0, v0
	s_and_saveexec_b32 s2, s0
	s_cbranch_execz .LBB640_4
; %bb.1:
	s_mov_b32 s6, exec_lo
	s_mov_b32 s3, exec_lo
	v_mbcnt_lo_u32_b32 v1, s6, 0
                                        ; implicit-def: $vgpr2
	v_cmpx_eq_u32_e32 0, v1
	s_cbranch_execz .LBB640_3
; %bb.2:
	s_load_dwordx2 s[8:9], s[4:5], 0x68
	s_bcnt1_i32_b32 s6, s6
	v_mov_b32_e32 v2, 0
	v_mov_b32_e32 v3, s6
	s_waitcnt lgkmcnt(0)
	global_atomic_add v2, v2, v3, s[8:9] glc
.LBB640_3:
	s_or_b32 exec_lo, exec_lo, s3
	s_waitcnt vmcnt(0)
	v_readfirstlane_b32 s3, v2
	v_mov_b32_e32 v2, 0
	v_add_nc_u32_e32 v1, s3, v1
	ds_write_b32 v2, v1
.LBB640_4:
	s_or_b32 exec_lo, exec_lo, s2
	v_mov_b32_e32 v2, 0
	s_clause 0x2
	s_load_dwordx8 s[8:15], s[4:5], 0x0
	s_load_dword s2, s[4:5], 0x40
	s_load_dwordx4 s[20:23], s[4:5], 0x48
	s_waitcnt lgkmcnt(0)
	s_barrier
	buffer_gl0_inv
	ds_read_b32 v5, v2
	s_waitcnt lgkmcnt(0)
	s_barrier
	buffer_gl0_inv
	s_barrier
	buffer_gl0_inv
	s_lshl_b64 s[24:25], s[10:11], 1
	s_mul_i32 s3, s27, s2
	s_add_u32 s6, s8, s24
	s_mul_hi_u32 s4, s26, s2
	s_mul_i32 s2, s26, s2
	s_addc_u32 s7, s9, s25
	v_mul_lo_u32 v1, 0x280, v5
	s_add_u32 s8, s12, s24
	s_addc_u32 s9, s13, s25
	s_add_i32 s4, s4, s3
	v_add_co_u32 v3, s2, s2, v5
	v_add_co_ci_u32_e64 v4, null, s4, 0, s2
	v_lshlrev_b64 v[9:10], 1, v[1:2]
	s_add_u32 s4, s20, -1
	s_addc_u32 s5, s21, -1
	v_readfirstlane_b32 s20, v5
	v_cmp_le_u64_e64 s2, s[4:5], v[3:4]
	s_mul_i32 s19, s4, 0xfffffd80
	v_add_co_u32 v11, vcc_lo, s6, v9
	v_add_co_ci_u32_e64 v12, null, s7, v10, vcc_lo
	v_add_co_u32 v26, vcc_lo, s8, v9
	v_add_co_ci_u32_e64 v27, null, s9, v10, vcc_lo
	s_and_b32 vcc_lo, exec_lo, s2
	s_cbranch_vccz .LBB640_59
; %bb.5:
	flat_load_ushort v1, v[11:12]
	s_add_i32 s13, s19, s18
	v_cmp_gt_u32_e64 s11, s13, v0
	s_waitcnt vmcnt(0) lgkmcnt(0)
	v_mov_b32_e32 v2, v1
	s_and_saveexec_b32 s3, s11
	s_cbranch_execz .LBB640_7
; %bb.6:
	v_lshlrev_b32_e32 v2, 1, v0
	v_add_co_u32 v2, vcc_lo, v11, v2
	v_add_co_ci_u32_e64 v3, null, 0, v12, vcc_lo
	flat_load_ushort v2, v[2:3]
.LBB640_7:
	s_or_b32 exec_lo, exec_lo, s3
	v_or_b32_e32 v3, 64, v0
	v_cmp_gt_u32_e64 s10, s13, v3
	v_mov_b32_e32 v3, v1
	s_and_saveexec_b32 s3, s10
	s_cbranch_execz .LBB640_9
; %bb.8:
	v_lshlrev_b32_e32 v3, 1, v0
	v_add_co_u32 v3, vcc_lo, v11, v3
	v_add_co_ci_u32_e64 v4, null, 0, v12, vcc_lo
	flat_load_ushort v3, v[3:4] offset:128
.LBB640_9:
	s_or_b32 exec_lo, exec_lo, s3
	v_or_b32_e32 v4, 0x80, v0
	v_cmp_gt_u32_e64 s9, s13, v4
	v_mov_b32_e32 v4, v1
	s_and_saveexec_b32 s3, s9
	s_cbranch_execz .LBB640_11
; %bb.10:
	v_lshlrev_b32_e32 v4, 1, v0
	v_add_co_u32 v4, vcc_lo, v11, v4
	v_add_co_ci_u32_e64 v5, null, 0, v12, vcc_lo
	flat_load_ushort v4, v[4:5] offset:256
.LBB640_11:
	;; [unrolled: 12-line block ×8, first 2 shown]
	s_or_b32 exec_lo, exec_lo, s12
	v_or_b32_e32 v15, 0x240, v0
	v_cmp_le_u32_e64 s12, s13, v15
	v_cmp_gt_u32_e32 vcc_lo, s13, v15
	s_and_saveexec_b32 s21, s12
	s_xor_b32 s12, exec_lo, s21
	s_andn2_saveexec_b32 s21, s12
	s_cbranch_execz .LBB640_25
; %bb.24:
	v_lshlrev_b32_e32 v1, 1, v0
	v_add_co_u32 v15, s12, v11, v1
	v_add_co_ci_u32_e64 v16, null, 0, v12, s12
	flat_load_ushort v1, v[15:16] offset:1152
.LBB640_25:
	s_or_b32 exec_lo, exec_lo, s21
	v_lshlrev_b32_e32 v17, 1, v0
	s_mov_b32 s21, exec_lo
	s_waitcnt vmcnt(0) lgkmcnt(0)
	ds_write_b16 v17, v2
	ds_write_b16 v17, v3 offset:128
	ds_write_b16 v17, v4 offset:256
	;; [unrolled: 1-line block ×9, first 2 shown]
	s_waitcnt lgkmcnt(0)
	s_barrier
	buffer_gl0_inv
	flat_load_ushort v29, v[11:12]
	v_mad_u32_u24 v28, v0, 18, v17
	ds_read2_b32 v[15:16], v28 offset1:1
	ds_read2_b32 v[13:14], v28 offset0:2 offset1:3
	ds_read_b32 v30, v28 offset:16
	v_mad_i32_i24 v1, 0xffffffee, v0, v28
	s_waitcnt lgkmcnt(2)
	ds_write_b16 v1, v15 offset:1408
	s_waitcnt vmcnt(0) lgkmcnt(0)
	s_barrier
	buffer_gl0_inv
	v_cmpx_ne_u32_e32 63, v0
; %bb.26:
	v_mul_i32_i24_e32 v1, 0xffffffee, v0
	v_add_nc_u32_e32 v1, v28, v1
	ds_read_u16 v29, v1 offset:1410
; %bb.27:
	s_or_b32 exec_lo, exec_lo, s21
	v_mov_b32_e32 v1, 0
	v_lshlrev_b32_e32 v18, 1, v0
	s_waitcnt lgkmcnt(0)
	s_barrier
	buffer_gl0_inv
	v_mov_b32_e32 v2, v1
	v_mov_b32_e32 v3, v1
	;; [unrolled: 1-line block ×4, first 2 shown]
	s_and_saveexec_b32 s12, s11
	s_cbranch_execnz .LBB640_185
; %bb.28:
	s_or_b32 exec_lo, exec_lo, s12
	s_and_saveexec_b32 s11, s10
	s_cbranch_execnz .LBB640_186
.LBB640_29:
	s_or_b32 exec_lo, exec_lo, s11
	s_and_saveexec_b32 s10, s9
	s_cbranch_execnz .LBB640_187
.LBB640_30:
	s_or_b32 exec_lo, exec_lo, s10
	s_and_saveexec_b32 s9, s8
	s_cbranch_execnz .LBB640_188
.LBB640_31:
	s_or_b32 exec_lo, exec_lo, s9
	s_and_saveexec_b32 s8, s7
	s_cbranch_execnz .LBB640_189
.LBB640_32:
	s_or_b32 exec_lo, exec_lo, s8
	s_and_saveexec_b32 s7, s6
	s_cbranch_execnz .LBB640_190
.LBB640_33:
	s_or_b32 exec_lo, exec_lo, s7
	s_and_saveexec_b32 s6, s5
	s_cbranch_execnz .LBB640_191
.LBB640_34:
	s_or_b32 exec_lo, exec_lo, s6
	s_and_saveexec_b32 s5, s4
	s_cbranch_execnz .LBB640_192
.LBB640_35:
	s_or_b32 exec_lo, exec_lo, s5
	s_and_saveexec_b32 s4, s3
	s_cbranch_execnz .LBB640_193
.LBB640_36:
	s_or_b32 exec_lo, exec_lo, s4
	v_mul_u32_u24_e32 v35, 10, v0
	s_and_saveexec_b32 s3, vcc_lo
	s_cbranch_execz .LBB640_38
.LBB640_37:
	v_add_co_u32 v6, vcc_lo, v26, v18
	v_add_co_ci_u32_e64 v7, null, 0, v27, vcc_lo
	s_waitcnt vmcnt(0) lgkmcnt(0)
	flat_load_short_d16_hi v5, v[6:7] offset:1152
.LBB640_38:
	s_or_b32 exec_lo, exec_lo, s3
	s_waitcnt vmcnt(0) lgkmcnt(0)
	ds_write_b16 v17, v1
	ds_write_b16_d16_hi v17, v1 offset:128
	ds_write_b16 v17, v2 offset:256
	ds_write_b16_d16_hi v17, v2 offset:384
	ds_write_b16 v17, v3 offset:512
	;; [unrolled: 2-line block ×4, first 2 shown]
	ds_write_b16_d16_hi v17, v5 offset:1152
	v_cmp_gt_u32_e32 vcc_lo, s13, v35
	v_mov_b32_e32 v23, 0
	v_mov_b32_e32 v1, 0
	;; [unrolled: 1-line block ×17, first 2 shown]
	s_mov_b32 s4, 0
	s_mov_b32 s3, 0
	s_waitcnt lgkmcnt(0)
	s_barrier
	buffer_gl0_inv
                                        ; implicit-def: $sgpr6
                                        ; implicit-def: $vgpr8
	s_and_saveexec_b32 s5, vcc_lo
	s_cbranch_execz .LBB640_58
; %bb.39:
	ds_read_u16 v2, v28
	v_cmp_eq_u16_sdwa vcc_lo, v15, v15 src0_sel:DWORD src1_sel:WORD_1
	v_mov_b32_e32 v1, 0
	v_or_b32_e32 v3, 1, v35
	v_mov_b32_e32 v34, 0
	v_mov_b32_e32 v33, 0
	;; [unrolled: 1-line block ×13, first 2 shown]
	v_cndmask_b32_e64 v25, 0x10000, 0, vcc_lo
	v_mov_b32_e32 v17, 0
	s_mov_b32 s8, 0
	s_waitcnt lgkmcnt(0)
	v_cndmask_b32_e32 v23, s28, v2, vcc_lo
	s_mov_b32 s7, exec_lo
                                        ; implicit-def: $sgpr6
                                        ; implicit-def: $vgpr8
	v_cmpx_gt_u32_e64 s13, v3
	s_cbranch_execz .LBB640_57
; %bb.40:
	ds_read_b128 v[1:4], v28 offset:2
	v_cmp_eq_u16_sdwa vcc_lo, v15, v16 src0_sel:WORD_1 src1_sel:DWORD
	v_add_nc_u32_e32 v8, 2, v35
	v_mov_b32_e32 v34, 0
	v_mov_b32_e32 v33, 0
	v_mov_b32_e32 v32, 0
	v_mov_b32_e32 v31, 0
	v_mov_b32_e32 v7, 0
	v_mov_b32_e32 v6, 0
	v_mov_b32_e32 v5, 0
	v_mov_b32_e32 v22, 0
	v_mov_b32_e32 v21, 0
	v_mov_b32_e32 v20, 0
	v_mov_b32_e32 v19, 0
	v_mov_b32_e32 v18, 0
	v_cmp_gt_u32_e64 s3, s13, v8
	v_cndmask_b32_e64 v24, 0x10000, 0, vcc_lo
	v_mov_b32_e32 v17, 0
	s_mov_b32 s9, 0
                                        ; implicit-def: $sgpr6
                                        ; implicit-def: $vgpr8
	s_waitcnt lgkmcnt(0)
	v_cndmask_b32_e32 v15, s28, v1, vcc_lo
	s_and_saveexec_b32 s8, s3
	s_cbranch_execz .LBB640_56
; %bb.41:
	v_add_nc_u32_e32 v5, 3, v35
	v_cmp_eq_u16_sdwa vcc_lo, v16, v16 src0_sel:DWORD src1_sel:WORD_1
	v_mov_b32_e32 v33, 0
	v_mov_b32_e32 v32, 0
	;; [unrolled: 1-line block ×3, first 2 shown]
	v_cmp_gt_u32_e64 s3, s13, v5
	v_cndmask_b32_e64 v22, 0x10000, 0, vcc_lo
	v_cndmask_b32_sdwa v1, s28, v1, vcc_lo dst_sel:DWORD dst_unused:UNUSED_PAD src0_sel:DWORD src1_sel:WORD_1
	v_mov_b32_e32 v7, 0
	v_mov_b32_e32 v6, 0
	;; [unrolled: 1-line block ×8, first 2 shown]
	s_mov_b32 s10, 0
                                        ; implicit-def: $sgpr6
                                        ; implicit-def: $vgpr8
	s_and_saveexec_b32 s9, s3
	s_cbranch_execz .LBB640_55
; %bb.42:
	v_cmp_eq_u16_sdwa vcc_lo, v16, v13 src0_sel:WORD_1 src1_sel:DWORD
	v_add_nc_u32_e32 v5, 4, v35
	v_mov_b32_e32 v32, 0
	v_mov_b32_e32 v31, 0
	;; [unrolled: 1-line block ×3, first 2 shown]
	v_cndmask_b32_e32 v16, s28, v2, vcc_lo
	v_cndmask_b32_e64 v21, 0x10000, 0, vcc_lo
	v_cmp_gt_u32_e32 vcc_lo, s13, v5
	v_mov_b32_e32 v6, 0
	v_mov_b32_e32 v5, 0
	;; [unrolled: 1-line block ×6, first 2 shown]
	s_mov_b32 s3, 0
                                        ; implicit-def: $sgpr6
                                        ; implicit-def: $vgpr8
	s_and_saveexec_b32 s10, vcc_lo
	s_cbranch_execz .LBB640_54
; %bb.43:
	v_add_nc_u32_e32 v5, 5, v35
	v_cmp_eq_u16_sdwa vcc_lo, v13, v13 src0_sel:DWORD src1_sel:WORD_1
	v_mov_b32_e32 v31, 0
	v_mov_b32_e32 v7, 0
	;; [unrolled: 1-line block ×3, first 2 shown]
	v_cmp_gt_u32_e64 s3, s13, v5
	v_cndmask_b32_e64 v20, 0x10000, 0, vcc_lo
	v_cndmask_b32_sdwa v2, s28, v2, vcc_lo dst_sel:DWORD dst_unused:UNUSED_PAD src0_sel:DWORD src1_sel:WORD_1
	v_mov_b32_e32 v5, 0
	v_mov_b32_e32 v19, 0
	;; [unrolled: 1-line block ×4, first 2 shown]
	s_mov_b32 s12, 0
                                        ; implicit-def: $sgpr6
                                        ; implicit-def: $vgpr8
	s_and_saveexec_b32 s11, s3
	s_cbranch_execz .LBB640_53
; %bb.44:
	v_cmp_eq_u16_sdwa vcc_lo, v13, v14 src0_sel:WORD_1 src1_sel:DWORD
	v_add_nc_u32_e32 v5, 6, v35
	v_mov_b32_e32 v7, 0
	v_mov_b32_e32 v6, 0
	;; [unrolled: 1-line block ×3, first 2 shown]
	v_cndmask_b32_e32 v13, s28, v3, vcc_lo
	v_cndmask_b32_e64 v19, 0x10000, 0, vcc_lo
	v_cmp_gt_u32_e32 vcc_lo, s13, v5
	v_mov_b32_e32 v5, 0
	v_mov_b32_e32 v17, 0
	s_mov_b32 s3, 0
                                        ; implicit-def: $sgpr6
                                        ; implicit-def: $vgpr8
	s_and_saveexec_b32 s12, vcc_lo
	s_cbranch_execz .LBB640_52
; %bb.45:
	v_add_nc_u32_e32 v8, 7, v35
	v_cmp_eq_u16_sdwa vcc_lo, v14, v14 src0_sel:DWORD src1_sel:WORD_1
	v_mov_b32_e32 v6, 0
	v_mov_b32_e32 v5, 0
	;; [unrolled: 1-line block ×3, first 2 shown]
	v_cmp_gt_u32_e64 s3, s13, v8
	v_cndmask_b32_e64 v7, 0x10000, 0, vcc_lo
	v_cndmask_b32_sdwa v3, s28, v3, vcc_lo dst_sel:DWORD dst_unused:UNUSED_PAD src0_sel:DWORD src1_sel:WORD_1
	s_mov_b32 s29, 0
                                        ; implicit-def: $sgpr6
                                        ; implicit-def: $vgpr8
	s_and_saveexec_b32 s21, s3
	s_cbranch_execz .LBB640_51
; %bb.46:
	v_cmp_eq_u16_sdwa vcc_lo, v14, v30 src0_sel:WORD_1 src1_sel:DWORD
	v_add_nc_u32_e32 v8, 8, v35
	v_mov_b32_e32 v5, 0
                                        ; implicit-def: $sgpr6
	v_cndmask_b32_e32 v6, s28, v4, vcc_lo
	v_cndmask_b32_e64 v14, 0x10000, 0, vcc_lo
	v_cmp_gt_u32_e32 vcc_lo, s13, v8
                                        ; implicit-def: $vgpr8
	s_and_saveexec_b32 s3, vcc_lo
	s_cbranch_execz .LBB640_50
; %bb.47:
	v_cmp_eq_u16_sdwa vcc_lo, v30, v30 src0_sel:DWORD src1_sel:WORD_1
	v_add_nc_u32_e32 v8, 9, v35
                                        ; implicit-def: $sgpr6
	v_cndmask_b32_e64 v5, 0x10000, 0, vcc_lo
	v_cndmask_b32_sdwa v4, s28, v4, vcc_lo dst_sel:DWORD dst_unused:UNUSED_PAD src0_sel:DWORD src1_sel:WORD_1
	v_cmp_gt_u32_e32 vcc_lo, s13, v8
	s_mov_b32 s13, 0
                                        ; implicit-def: $vgpr8
	s_and_saveexec_b32 s29, vcc_lo
	s_xor_b32 s29, exec_lo, s29
	s_cbranch_execz .LBB640_49
; %bb.48:
	ds_read_u16 v8, v28 offset:18
	v_cmp_ne_u16_sdwa s6, v30, v29 src0_sel:WORD_1 src1_sel:DWORD
	s_mov_b32 s13, exec_lo
	s_waitcnt lgkmcnt(0)
	v_cndmask_b32_e64 v8, v8, s28, s6
.LBB640_49:
	s_or_b32 exec_lo, exec_lo, s29
	v_or_b32_sdwa v5, v5, v4 dst_sel:DWORD dst_unused:UNUSED_PAD src0_sel:DWORD src1_sel:WORD_0
	s_and_b32 s29, s13, exec_lo
.LBB640_50:
	s_or_b32 exec_lo, exec_lo, s3
	v_or_b32_sdwa v6, v14, v6 dst_sel:DWORD dst_unused:UNUSED_PAD src0_sel:DWORD src1_sel:WORD_0
	v_mov_b32_e32 v17, v5
	s_and_b32 s29, s29, exec_lo
.LBB640_51:
	s_or_b32 exec_lo, exec_lo, s21
	v_or_b32_sdwa v7, v7, v3 dst_sel:DWORD dst_unused:UNUSED_PAD src0_sel:DWORD src1_sel:WORD_0
	v_mov_b32_e32 v18, v6
	s_and_b32 s3, s29, exec_lo
.LBB640_52:
	s_or_b32 exec_lo, exec_lo, s12
	v_or_b32_sdwa v31, v19, v13 dst_sel:DWORD dst_unused:UNUSED_PAD src0_sel:DWORD src1_sel:WORD_0
	v_mov_b32_e32 v19, v7
	s_and_b32 s12, s3, exec_lo
.LBB640_53:
	s_or_b32 exec_lo, exec_lo, s11
	v_or_b32_sdwa v32, v20, v2 dst_sel:DWORD dst_unused:UNUSED_PAD src0_sel:DWORD src1_sel:WORD_0
	v_mov_b32_e32 v20, v31
	s_and_b32 s3, s12, exec_lo
.LBB640_54:
	s_or_b32 exec_lo, exec_lo, s10
	v_or_b32_sdwa v33, v21, v16 dst_sel:DWORD dst_unused:UNUSED_PAD src0_sel:DWORD src1_sel:WORD_0
	v_mov_b32_e32 v21, v32
	s_and_b32 s10, s3, exec_lo
.LBB640_55:
	s_or_b32 exec_lo, exec_lo, s9
	v_or_b32_sdwa v34, v22, v1 dst_sel:DWORD dst_unused:UNUSED_PAD src0_sel:DWORD src1_sel:WORD_0
	v_mov_b32_e32 v22, v33
	s_and_b32 s9, s10, exec_lo
.LBB640_56:
	s_or_b32 exec_lo, exec_lo, s8
	v_or_b32_sdwa v1, v24, v15 dst_sel:DWORD dst_unused:UNUSED_PAD src0_sel:DWORD src1_sel:WORD_0
	v_mov_b32_e32 v24, v34
	s_and_b32 s8, s9, exec_lo
.LBB640_57:
	s_or_b32 exec_lo, exec_lo, s7
	v_or_b32_sdwa v23, v25, v23 dst_sel:DWORD dst_unused:UNUSED_PAD src0_sel:DWORD src1_sel:WORD_0
	v_mov_b32_e32 v25, v1
	s_and_b32 s3, s8, exec_lo
.LBB640_58:
	s_or_b32 exec_lo, exec_lo, s5
	v_lshlrev_b32_e32 v13, 1, v0
	s_and_b32 vcc_lo, exec_lo, s4
	s_cbranch_vccnz .LBB640_60
	s_branch .LBB640_63
.LBB640_59:
	s_mov_b32 s3, 0
                                        ; implicit-def: $sgpr6
                                        ; implicit-def: $vgpr8
                                        ; implicit-def: $vgpr23
                                        ; implicit-def: $vgpr1
                                        ; implicit-def: $vgpr34
                                        ; implicit-def: $vgpr33
                                        ; implicit-def: $vgpr32
                                        ; implicit-def: $vgpr31
                                        ; implicit-def: $vgpr7
                                        ; implicit-def: $vgpr6
                                        ; implicit-def: $vgpr5
                                        ; implicit-def: $vgpr25
                                        ; implicit-def: $vgpr24
                                        ; implicit-def: $vgpr22
                                        ; implicit-def: $vgpr21
                                        ; implicit-def: $vgpr20
                                        ; implicit-def: $vgpr19
                                        ; implicit-def: $vgpr18
                                        ; implicit-def: $vgpr17
	v_lshlrev_b32_e32 v13, 1, v0
	s_cbranch_execz .LBB640_63
.LBB640_60:
	v_add_co_u32 v1, vcc_lo, v11, v13
	v_add_co_ci_u32_e64 v2, null, 0, v12, vcc_lo
	s_mov_b32 s3, exec_lo
	s_clause 0x9
	flat_load_ushort v3, v[1:2]
	flat_load_ushort v4, v[1:2] offset:128
	flat_load_ushort v5, v[1:2] offset:256
	;; [unrolled: 1-line block ×9, first 2 shown]
	s_waitcnt vmcnt(9) lgkmcnt(9)
	ds_write_b16 v13, v3
	s_waitcnt vmcnt(8) lgkmcnt(9)
	ds_write_b16 v13, v4 offset:128
	s_waitcnt vmcnt(7) lgkmcnt(9)
	ds_write_b16 v13, v5 offset:256
	s_waitcnt vmcnt(6) lgkmcnt(9)
	ds_write_b16 v13, v6 offset:384
	s_waitcnt vmcnt(5) lgkmcnt(9)
	ds_write_b16 v13, v7 offset:512
	s_waitcnt vmcnt(4) lgkmcnt(9)
	ds_write_b16 v13, v8 offset:640
	s_waitcnt vmcnt(3) lgkmcnt(9)
	ds_write_b16 v13, v14 offset:768
	s_waitcnt vmcnt(2) lgkmcnt(9)
	ds_write_b16 v13, v15 offset:896
	s_waitcnt vmcnt(1) lgkmcnt(9)
	ds_write_b16 v13, v16 offset:1024
	s_waitcnt vmcnt(0) lgkmcnt(9)
	ds_write_b16 v13, v1 offset:1152
	s_waitcnt lgkmcnt(0)
	s_barrier
	buffer_gl0_inv
	flat_load_ushort v6, v[11:12] offset:1280
	v_mad_u32_u24 v5, v0, 18, v13
	ds_read2_b32 v[3:4], v5 offset1:1
	ds_read2_b32 v[1:2], v5 offset0:2 offset1:3
	ds_read_b32 v8, v5 offset:16
	v_mad_i32_i24 v7, 0xffffffee, v0, v5
	s_waitcnt lgkmcnt(2)
	ds_write_b16 v7, v3 offset:1408
	s_waitcnt vmcnt(0) lgkmcnt(0)
	s_barrier
	buffer_gl0_inv
	v_cmpx_ne_u32_e32 63, v0
; %bb.61:
	v_mul_i32_i24_e32 v6, 0xffffffee, v0
	v_add_nc_u32_e32 v6, v5, v6
	ds_read_u16 v6, v6 offset:1410
; %bb.62:
	s_or_b32 exec_lo, exec_lo, s3
	v_add_co_u32 v11, vcc_lo, v26, v13
	v_add_co_ci_u32_e64 v12, null, 0, v27, vcc_lo
	s_waitcnt lgkmcnt(0)
	s_barrier
	buffer_gl0_inv
	s_clause 0x9
	flat_load_ushort v7, v[11:12]
	flat_load_ushort v14, v[11:12] offset:128
	flat_load_ushort v15, v[11:12] offset:256
	;; [unrolled: 1-line block ×9, first 2 shown]
	v_cmp_eq_u16_sdwa vcc_lo, v3, v3 src0_sel:DWORD src1_sel:WORD_1
	v_cmp_eq_u16_sdwa s3, v4, v4 src0_sel:DWORD src1_sel:WORD_1
	v_cmp_eq_u16_sdwa s4, v1, v1 src0_sel:DWORD src1_sel:WORD_1
	;; [unrolled: 1-line block ×4, first 2 shown]
	v_cmp_eq_u16_sdwa s7, v3, v4 src0_sel:WORD_1 src1_sel:DWORD
	v_cmp_eq_u16_sdwa s8, v4, v1 src0_sel:WORD_1 src1_sel:DWORD
	;; [unrolled: 1-line block ×4, first 2 shown]
	s_waitcnt vmcnt(9) lgkmcnt(9)
	ds_write_b16 v13, v7
	s_waitcnt vmcnt(8) lgkmcnt(9)
	ds_write_b16 v13, v14 offset:128
	s_waitcnt vmcnt(7) lgkmcnt(9)
	ds_write_b16 v13, v15 offset:256
	;; [unrolled: 2-line block ×9, first 2 shown]
	s_waitcnt lgkmcnt(0)
	s_barrier
	buffer_gl0_inv
	ds_read2_b32 v[11:12], v5 offset1:1
	ds_read2_b32 v[14:15], v5 offset0:2 offset1:3
	ds_read_b32 v5, v5 offset:16
	v_cndmask_b32_e64 v16, 0x10000, 0, vcc_lo
	v_cndmask_b32_e64 v17, 0x10000, 0, s3
	v_cndmask_b32_e64 v18, 0x10000, 0, s4
	;; [unrolled: 1-line block ×4, first 2 shown]
	s_waitcnt lgkmcnt(2)
	v_lshrrev_b32_e32 v7, 16, v11
	v_lshrrev_b32_e32 v3, 16, v12
	s_waitcnt lgkmcnt(1)
	v_lshrrev_b32_e32 v4, 16, v14
	v_lshrrev_b32_e32 v1, 16, v15
	v_cndmask_b32_e32 v11, s28, v11, vcc_lo
	v_cndmask_b32_e64 v12, s28, v12, s3
	v_cndmask_b32_e64 v14, s28, v14, s4
	;; [unrolled: 1-line block ×3, first 2 shown]
	s_waitcnt lgkmcnt(0)
	v_lshrrev_b32_e32 v2, 16, v5
	v_cndmask_b32_e64 v5, s28, v5, s6
	v_or_b32_sdwa v23, v16, v11 dst_sel:DWORD dst_unused:UNUSED_PAD src0_sel:DWORD src1_sel:WORD_0
	v_cndmask_b32_e64 v11, s28, v7, s7
	v_cndmask_b32_e64 v16, 0x10000, 0, s7
	v_or_b32_sdwa v34, v17, v12 dst_sel:DWORD dst_unused:UNUSED_PAD src0_sel:DWORD src1_sel:WORD_0
	v_cndmask_b32_e64 v3, s28, v3, s8
	;; [unrolled: 3-line block ×4, first 2 shown]
	v_cndmask_b32_e64 v17, 0x10000, 0, s10
	v_or_b32_sdwa v5, v20, v5 dst_sel:DWORD dst_unused:UNUSED_PAD src0_sel:DWORD src1_sel:WORD_0
	v_cmp_ne_u16_sdwa s6, v8, v6 src0_sel:WORD_1 src1_sel:DWORD
	v_or_b32_sdwa v1, v16, v11 dst_sel:DWORD dst_unused:UNUSED_PAD src0_sel:DWORD src1_sel:WORD_0
	v_or_b32_sdwa v33, v12, v3 dst_sel:DWORD dst_unused:UNUSED_PAD src0_sel:DWORD src1_sel:WORD_0
	v_or_b32_sdwa v31, v14, v4 dst_sel:DWORD dst_unused:UNUSED_PAD src0_sel:DWORD src1_sel:WORD_0
	v_or_b32_sdwa v6, v17, v15 dst_sel:DWORD dst_unused:UNUSED_PAD src0_sel:DWORD src1_sel:WORD_0
	v_cndmask_b32_e64 v8, v2, s28, s6
	v_mov_b32_e32 v24, v34
	v_mov_b32_e32 v21, v32
	;; [unrolled: 1-line block ×8, first 2 shown]
	s_mov_b32 s3, -1
.LBB640_63:
	v_mov_b32_e32 v11, 0
	s_and_saveexec_b32 s4, s3
	s_cbranch_execz .LBB640_65
; %bb.64:
	v_cndmask_b32_e64 v2, 0, 0x10000, s6
	v_mov_b32_e32 v17, v5
	v_mov_b32_e32 v18, v6
	;; [unrolled: 1-line block ×4, first 2 shown]
	v_or_b32_sdwa v11, v2, v8 dst_sel:DWORD dst_unused:UNUSED_PAD src0_sel:DWORD src1_sel:WORD_0
	v_mov_b32_e32 v21, v32
	v_mov_b32_e32 v22, v33
	;; [unrolled: 1-line block ×4, first 2 shown]
.LBB640_65:
	s_or_b32 exec_lo, exec_lo, s4
	v_or3_b32 v1, v18, v17, v19
	v_cmp_gt_u32_e64 s10, 0x10000, v25
	v_cmp_gt_u32_e64 s9, 0x10000, v24
	;; [unrolled: 1-line block ×8, first 2 shown]
	v_or3_b32 v15, v1, v20, v21
	v_cmp_gt_u32_e64 s11, 0x10000, v11
	v_lshrrev_b32_e32 v12, 16, v23
	v_lshrrev_b32_e32 v14, 3, v0
	s_cmp_lg_u32 s20, 0
	v_cmp_gt_u32_e32 vcc_lo, 32, v0
	s_barrier
	buffer_gl0_inv
	s_cbranch_scc0 .LBB640_115
; %bb.66:
	v_cndmask_b32_e64 v1, 1, v23, s10
	v_or3_b32 v2, v15, v22, v24
	v_and_b32_e32 v3, 4, v14
	v_mul_lo_u16 v1, v1, v25
	v_or3_b32 v2, v2, v25, v11
	v_lshl_add_u32 v3, v0, 2, v3
	v_cndmask_b32_e64 v1, 1, v1, s9
	v_and_b32_e32 v2, 0xff0000, v2
	v_mul_lo_u16 v1, v1, v24
	v_cndmask_b32_e64 v1, 1, v1, s8
	v_mul_lo_u16 v1, v1, v22
	v_cndmask_b32_e64 v1, 1, v1, s7
	v_mul_lo_u16 v1, v1, v21
	v_cndmask_b32_e64 v1, 1, v1, s6
	v_mul_lo_u16 v1, v1, v20
	v_cndmask_b32_e64 v1, 1, v1, s5
	v_mul_lo_u16 v1, v1, v19
	v_cndmask_b32_e64 v1, 1, v1, s4
	v_mul_lo_u16 v1, v1, v18
	v_cndmask_b32_e64 v1, 1, v1, s3
	v_mul_lo_u16 v1, v1, v17
	v_cndmask_b32_e64 v1, 1, v1, s11
	v_cmp_eq_u32_e64 s11, 0, v2
	v_mul_lo_u16 v16, v1, v11
	v_cndmask_b32_e64 v26, 1, v12, s11
	ds_write_b8 v3, v26 offset:2
	ds_write_b16 v3, v16
	s_waitcnt lgkmcnt(0)
	s_barrier
	buffer_gl0_inv
	s_and_saveexec_b32 s12, vcc_lo
	s_cbranch_execz .LBB640_78
; %bb.67:
	v_lshrrev_b32_e32 v1, 2, v0
	v_lshlrev_b32_e32 v2, 3, v0
	s_mov_b32 s13, exec_lo
	v_and_b32_e32 v1, 12, v1
	v_add_nc_u32_e32 v1, v1, v2
	ds_read_u8 v3, v1 offset:6
	ds_read_b32 v2, v1
	ds_read_u16 v4, v1 offset:4
	s_waitcnt lgkmcnt(2)
	v_cmp_eq_u16_e64 s11, 0, v3
	v_and_b32_e32 v6, 1, v3
	s_waitcnt lgkmcnt(1)
	v_and_b32_e32 v3, 0x10000, v2
	v_cndmask_b32_e64 v5, 1, v2, s11
	v_cmp_eq_u32_e64 s11, 1, v6
	v_mbcnt_lo_u32_b32 v6, -1, 0
	s_waitcnt lgkmcnt(0)
	v_mul_lo_u16 v5, v5, v4
	v_and_b32_e32 v4, 0xff000000, v2
	v_cndmask_b32_e64 v7, v3, 0x10000, s11
	v_and_b32_e32 v8, 0xffff, v5
	v_or_b32_e32 v27, v7, v4
	v_or3_b32 v28, v4, v8, v7
	v_and_b32_e32 v7, 15, v6
	v_lshrrev_b32_e32 v8, 16, v27
	v_mov_b32_dpp v29, v28 row_shr:1 row_mask:0xf bank_mask:0xf
	v_cmpx_ne_u32_e32 0, v7
	s_cbranch_execz .LBB640_69
; %bb.68:
	v_mov_b32_e32 v8, 0xff
	v_mov_b32_e32 v28, 1
	v_and_b32_sdwa v8, v27, v8 dst_sel:DWORD dst_unused:UNUSED_PAD src0_sel:WORD_1 src1_sel:DWORD
	v_and_b32_e32 v27, 0x10000, v27
	v_and_b32_sdwa v28, v29, v28 dst_sel:DWORD dst_unused:UNUSED_PAD src0_sel:WORD_1 src1_sel:DWORD
	v_cmp_eq_u16_e64 s11, 0, v8
	v_cndmask_b32_e64 v29, 1, v29, s11
	v_cmp_ne_u32_e64 s11, 0, v27
	v_mul_lo_u16 v5, v29, v5
	v_cndmask_b32_e64 v8, v28, 1, s11
	v_and_b32_e32 v28, 0xffff, v5
	v_lshlrev_b32_e32 v27, 16, v8
	v_or3_b32 v28, v27, v28, v4
.LBB640_69:
	s_or_b32 exec_lo, exec_lo, s13
	v_lshrrev_b32_e32 v27, 16, v28
	v_mov_b32_dpp v29, v28 row_shr:2 row_mask:0xf bank_mask:0xf
	s_mov_b32 s13, exec_lo
	v_cmpx_lt_u32_e32 1, v7
	s_cbranch_execz .LBB640_71
; %bb.70:
	v_mov_b32_e32 v30, 0
	v_mov_b32_e32 v8, 1
	v_and_b32_e32 v28, 0x10000, v28
	v_cmp_eq_u16_sdwa s11, v27, v30 src0_sel:BYTE_0 src1_sel:DWORD
	v_and_b32_sdwa v8, v29, v8 dst_sel:DWORD dst_unused:UNUSED_PAD src0_sel:WORD_1 src1_sel:DWORD
	v_cndmask_b32_e64 v27, 1, v29, s11
	v_cmp_ne_u32_e64 s11, 0, v28
	v_mul_lo_u16 v5, v27, v5
	v_cndmask_b32_e64 v8, v8, 1, s11
	v_and_b32_e32 v28, 0xffff, v5
	v_lshlrev_b32_e32 v27, 16, v8
	v_or3_b32 v28, v27, v28, v4
	v_mov_b32_e32 v27, v8
.LBB640_71:
	s_or_b32 exec_lo, exec_lo, s13
	v_mov_b32_dpp v29, v28 row_shr:4 row_mask:0xf bank_mask:0xf
	s_mov_b32 s13, exec_lo
	v_cmpx_lt_u32_e32 3, v7
	s_cbranch_execz .LBB640_73
; %bb.72:
	v_mov_b32_e32 v28, 0
	v_mov_b32_e32 v8, 1
	v_and_b32_e32 v30, 1, v27
	v_cmp_eq_u16_sdwa s11, v27, v28 src0_sel:BYTE_0 src1_sel:DWORD
	v_and_b32_sdwa v8, v29, v8 dst_sel:DWORD dst_unused:UNUSED_PAD src0_sel:WORD_1 src1_sel:DWORD
	v_cndmask_b32_e64 v27, 1, v29, s11
	v_cmp_eq_u32_e64 s11, 1, v30
	v_mul_lo_u16 v5, v27, v5
	v_cndmask_b32_e64 v8, v8, 1, s11
	v_and_b32_e32 v28, 0xffff, v5
	v_lshlrev_b32_e32 v27, 16, v8
	v_or3_b32 v28, v27, v28, v4
	v_mov_b32_e32 v27, v8
.LBB640_73:
	s_or_b32 exec_lo, exec_lo, s13
	v_mov_b32_dpp v29, v28 row_shr:8 row_mask:0xf bank_mask:0xf
	s_mov_b32 s13, exec_lo
	v_cmpx_lt_u32_e32 7, v7
	s_cbranch_execz .LBB640_75
; %bb.74:
	v_mov_b32_e32 v8, 0
	v_mov_b32_e32 v7, 1
	v_and_b32_e32 v28, 1, v27
	v_cmp_eq_u16_sdwa s11, v27, v8 src0_sel:BYTE_0 src1_sel:DWORD
	v_and_b32_sdwa v7, v29, v7 dst_sel:DWORD dst_unused:UNUSED_PAD src0_sel:WORD_1 src1_sel:DWORD
	v_cndmask_b32_e64 v27, 1, v29, s11
	v_cmp_eq_u32_e64 s11, 1, v28
	v_mul_lo_u16 v5, v27, v5
	v_cndmask_b32_e64 v8, v7, 1, s11
	v_and_b32_e32 v27, 0xffff, v5
	v_lshlrev_b32_e32 v7, 16, v8
	v_or3_b32 v28, v7, v27, v4
	v_mov_b32_e32 v27, v8
.LBB640_75:
	s_or_b32 exec_lo, exec_lo, s13
	ds_swizzle_b32 v7, v28 offset:swizzle(BROADCAST,32,15)
	v_and_b32_e32 v28, 16, v6
	s_mov_b32 s13, exec_lo
	v_cmpx_ne_u32_e32 0, v28
	s_cbranch_execz .LBB640_77
; %bb.76:
	v_mov_b32_e32 v8, 0
	v_mov_b32_e32 v28, 1
	v_cmp_eq_u16_sdwa s11, v27, v8 src0_sel:BYTE_0 src1_sel:DWORD
	v_and_b32_e32 v27, 1, v27
	s_waitcnt lgkmcnt(0)
	v_cndmask_b32_e64 v8, 1, v7, s11
	v_and_b32_sdwa v7, v7, v28 dst_sel:DWORD dst_unused:UNUSED_PAD src0_sel:WORD_1 src1_sel:DWORD
	v_cmp_eq_u32_e64 s11, 1, v27
	v_mul_lo_u16 v5, v8, v5
	v_cndmask_b32_e64 v8, v7, 1, s11
.LBB640_77:
	s_or_b32 exec_lo, exec_lo, s13
	s_waitcnt lgkmcnt(0)
	v_and_b32_e32 v7, 0xff, v8
	v_add_nc_u32_e32 v8, -1, v6
	v_and_b32_e32 v5, 0xffff, v5
	; wave barrier
	v_lshlrev_b32_e32 v7, 16, v7
	v_cmp_gt_i32_e64 s11, 0, v8
	v_or3_b32 v4, v7, v5, v4
	v_cndmask_b32_e64 v6, v8, v6, s11
	v_lshlrev_b32_e32 v5, 2, v6
	v_mov_b32_e32 v6, 1
	ds_bpermute_b32 v4, v5, v4
	v_and_b32_e32 v5, 0xff0000, v2
	v_cmp_eq_u32_e64 s11, 0, v5
	s_waitcnt lgkmcnt(0)
	v_cndmask_b32_e64 v5, 1, v4, s11
	v_and_b32_sdwa v4, v4, v6 dst_sel:DWORD dst_unused:UNUSED_PAD src0_sel:WORD_1 src1_sel:DWORD
	v_cmp_eq_u32_e64 s11, 0, v3
	v_mul_lo_u16 v2, v5, v2
	v_cndmask_b32_e64 v3, 1, v4, s11
	v_cndmask_b32_e64 v2, v2, v16, s0
	;; [unrolled: 1-line block ×3, first 2 shown]
	ds_write_b16 v1, v2
	ds_write_b8 v1, v3 offset:2
	; wave barrier
	ds_read_u8 v4, v1 offset:6
	ds_read_u16 v5, v1 offset:4
	s_waitcnt lgkmcnt(1)
	v_cmp_eq_u16_e64 s11, 0, v4
	v_and_b32_e32 v4, 1, v4
	v_cndmask_b32_e64 v2, 1, v2, s11
	v_cmp_eq_u32_e64 s11, 1, v4
	s_waitcnt lgkmcnt(0)
	v_mul_lo_u16 v2, v2, v5
	v_cndmask_b32_e64 v3, v3, 1, s11
	ds_write_b16 v1, v2 offset:4
	ds_write_b8 v1, v3 offset:6
.LBB640_78:
	s_or_b32 exec_lo, exec_lo, s12
	s_waitcnt lgkmcnt(0)
	s_barrier
	buffer_gl0_inv
	s_and_saveexec_b32 s11, s1
	s_cbranch_execz .LBB640_80
; %bb.79:
	v_add_nc_u32_e32 v1, -1, v0
	v_lshrrev_b32_e32 v2, 3, v1
	v_and_b32_e32 v2, 0x1ffffffc, v2
	v_lshl_add_u32 v1, v1, 2, v2
	ds_read_u16 v16, v1
	ds_read_u8 v26, v1 offset:2
.LBB640_80:
	s_or_b32 exec_lo, exec_lo, s11
	s_and_saveexec_b32 s21, vcc_lo
	s_cbranch_execz .LBB640_120
; %bb.81:
	v_mov_b32_e32 v6, 0
	v_mbcnt_lo_u32_b32 v27, -1, 0
	s_mov_b32 s13, 0
	ds_read_b32 v1, v6 offset:256
	v_cmp_eq_u32_e64 s11, 0, v27
	s_and_saveexec_b32 s29, s11
	s_cbranch_execz .LBB640_83
; %bb.82:
	s_add_i32 s12, s20, 32
	v_mov_b32_e32 v2, 1
	s_lshl_b64 s[12:13], s[12:13], 3
	s_add_u32 s12, s16, s12
	s_addc_u32 s13, s17, s13
	s_waitcnt lgkmcnt(0)
	global_store_dwordx2 v6, v[1:2], s[12:13]
.LBB640_83:
	s_or_b32 exec_lo, exec_lo, s29
	v_xad_u32 v2, v27, -1, s20
	v_add_nc_u32_e32 v5, 32, v2
	v_lshlrev_b64 v[3:4], 3, v[5:6]
	v_add_co_u32 v7, vcc_lo, s16, v3
	v_add_co_ci_u32_e64 v8, null, s17, v4, vcc_lo
	global_load_dwordx2 v[4:5], v[7:8], off glc dlc
	s_waitcnt vmcnt(0)
	v_cmp_eq_u16_sdwa s13, v5, v6 src0_sel:BYTE_0 src1_sel:DWORD
	s_and_saveexec_b32 s12, s13
	s_cbranch_execz .LBB640_87
; %bb.84:
	v_mov_b32_e32 v3, 0
	s_mov_b32 s13, 0
.LBB640_85:                             ; =>This Inner Loop Header: Depth=1
	global_load_dwordx2 v[4:5], v[7:8], off glc dlc
	s_waitcnt vmcnt(0)
	v_cmp_ne_u16_sdwa s29, v5, v3 src0_sel:BYTE_0 src1_sel:DWORD
	s_or_b32 s13, s29, s13
	s_andn2_b32 exec_lo, exec_lo, s13
	s_cbranch_execnz .LBB640_85
; %bb.86:
	s_or_b32 exec_lo, exec_lo, s13
.LBB640_87:
	s_or_b32 exec_lo, exec_lo, s12
	v_cmp_ne_u32_e32 vcc_lo, 31, v27
	v_and_b32_e32 v35, 0xffffff, v4
	v_mov_b32_e32 v6, 2
	v_lshlrev_b32_e64 v28, v27, -1
	v_bfe_u32 v7, v4, 16, 8
	v_add_co_ci_u32_e64 v3, null, 0, v27, vcc_lo
	v_cmp_eq_u16_sdwa s12, v5, v6 src0_sel:BYTE_0 src1_sel:DWORD
	v_lshrrev_b32_e32 v6, 16, v4
	v_lshlrev_b32_e32 v8, 2, v3
	v_and_or_b32 v3, s12, v28, 0x80000000
	s_mov_b32 s12, exec_lo
	ds_bpermute_b32 v29, v8, v35
	v_ffbl_b32_e32 v3, v3
	v_cmpx_lt_u32_e64 v27, v3
	s_cbranch_execz .LBB640_89
; %bb.88:
	v_and_b32_e32 v6, 0xff0000, v4
	v_mov_b32_e32 v7, 1
	v_and_b32_e32 v30, 0x10000, v6
	v_cmp_eq_u32_e32 vcc_lo, 0, v6
	s_waitcnt lgkmcnt(0)
	v_and_b32_sdwa v7, v29, v7 dst_sel:DWORD dst_unused:UNUSED_PAD src0_sel:WORD_1 src1_sel:DWORD
	v_cndmask_b32_e32 v29, 1, v29, vcc_lo
	v_cmp_ne_u32_e32 vcc_lo, 0, v30
	v_mul_lo_u16 v4, v29, v4
	v_cndmask_b32_e64 v6, v7, 1, vcc_lo
	v_lshlrev_b32_e32 v7, 16, v6
	v_or_b32_sdwa v35, v7, v4 dst_sel:DWORD dst_unused:UNUSED_PAD src0_sel:DWORD src1_sel:WORD_0
	v_mov_b32_e32 v7, v6
.LBB640_89:
	s_or_b32 exec_lo, exec_lo, s12
	v_cmp_gt_u32_e32 vcc_lo, 30, v27
	v_add_nc_u32_e32 v30, 2, v27
	s_mov_b32 s12, exec_lo
	s_waitcnt lgkmcnt(0)
	v_cndmask_b32_e64 v29, 0, 2, vcc_lo
	v_add_lshl_u32 v29, v29, v27, 2
	ds_bpermute_b32 v31, v29, v35
	v_cmpx_le_u32_e64 v30, v3
	s_cbranch_execz .LBB640_91
; %bb.90:
	v_mov_b32_e32 v6, 1
	v_and_b32_e32 v32, 1, v7
	v_cmp_eq_u16_e32 vcc_lo, 0, v7
	s_waitcnt lgkmcnt(0)
	v_and_b32_sdwa v6, v31, v6 dst_sel:DWORD dst_unused:UNUSED_PAD src0_sel:WORD_1 src1_sel:DWORD
	v_cndmask_b32_e32 v7, 1, v31, vcc_lo
	v_cmp_eq_u32_e32 vcc_lo, 1, v32
	v_mul_lo_u16 v4, v7, v4
	v_cndmask_b32_e64 v6, v6, 1, vcc_lo
	v_lshlrev_b32_e32 v7, 16, v6
	v_or_b32_sdwa v35, v7, v4 dst_sel:DWORD dst_unused:UNUSED_PAD src0_sel:DWORD src1_sel:WORD_0
	v_mov_b32_e32 v7, v6
.LBB640_91:
	s_or_b32 exec_lo, exec_lo, s12
	v_cmp_gt_u32_e32 vcc_lo, 28, v27
	v_add_nc_u32_e32 v32, 4, v27
	s_mov_b32 s12, exec_lo
	s_waitcnt lgkmcnt(0)
	v_cndmask_b32_e64 v31, 0, 4, vcc_lo
	v_add_lshl_u32 v31, v31, v27, 2
	ds_bpermute_b32 v33, v31, v35
	v_cmpx_le_u32_e64 v32, v3
	s_cbranch_execz .LBB640_93
; %bb.92:
	v_mov_b32_e32 v6, 1
	v_and_b32_e32 v34, 1, v7
	v_cmp_eq_u16_e32 vcc_lo, 0, v7
	s_waitcnt lgkmcnt(0)
	v_and_b32_sdwa v6, v33, v6 dst_sel:DWORD dst_unused:UNUSED_PAD src0_sel:WORD_1 src1_sel:DWORD
	v_cndmask_b32_e32 v7, 1, v33, vcc_lo
	v_cmp_eq_u32_e32 vcc_lo, 1, v34
	v_mul_lo_u16 v4, v7, v4
	v_cndmask_b32_e64 v6, v6, 1, vcc_lo
	v_lshlrev_b32_e32 v7, 16, v6
	v_or_b32_sdwa v35, v7, v4 dst_sel:DWORD dst_unused:UNUSED_PAD src0_sel:DWORD src1_sel:WORD_0
	v_mov_b32_e32 v7, v6
.LBB640_93:
	;; [unrolled: 24-line block ×3, first 2 shown]
	s_or_b32 exec_lo, exec_lo, s12
	v_lshl_or_b32 v37, v27, 2, 64
	v_add_nc_u32_e32 v38, 16, v27
	s_mov_b32 s12, exec_lo
	ds_bpermute_b32 v35, v37, v35
	v_cmpx_le_u32_e64 v38, v3
	s_cbranch_execz .LBB640_97
; %bb.96:
	v_mov_b32_e32 v3, 1
	v_cmp_eq_u16_e32 vcc_lo, 0, v7
	v_and_b32_e32 v7, 1, v7
	s_waitcnt lgkmcnt(0)
	v_and_b32_sdwa v3, v35, v3 dst_sel:DWORD dst_unused:UNUSED_PAD src0_sel:WORD_1 src1_sel:DWORD
	v_cndmask_b32_e32 v6, 1, v35, vcc_lo
	v_cmp_eq_u32_e32 vcc_lo, 1, v7
	v_mul_lo_u16 v4, v6, v4
	v_cndmask_b32_e64 v6, v3, 1, vcc_lo
.LBB640_97:
	s_or_b32 exec_lo, exec_lo, s12
	v_mov_b32_e32 v3, 0
	v_mov_b32_e32 v39, 2
	;; [unrolled: 1-line block ×3, first 2 shown]
	s_branch .LBB640_100
.LBB640_98:                             ;   in Loop: Header=BB640_100 Depth=1
	s_or_b32 exec_lo, exec_lo, s12
	v_cmp_eq_u16_sdwa vcc_lo, v35, v3 src0_sel:BYTE_0 src1_sel:DWORD
	v_and_b32_e32 v6, 1, v35
	v_and_b32_e32 v7, 1, v7
	v_subrev_nc_u32_e32 v2, 32, v2
	s_mov_b32 s12, 0
	v_cndmask_b32_e32 v4, 1, v4, vcc_lo
	v_cmp_eq_u32_e32 vcc_lo, 1, v6
	v_mul_lo_u16 v4, v4, v36
	v_cndmask_b32_e64 v6, v7, 1, vcc_lo
.LBB640_99:                             ;   in Loop: Header=BB640_100 Depth=1
	s_and_b32 vcc_lo, exec_lo, s12
	s_cbranch_vccnz .LBB640_116
.LBB640_100:                            ; =>This Loop Header: Depth=1
                                        ;     Child Loop BB640_103 Depth 2
	v_cmp_ne_u16_sdwa s12, v5, v39 src0_sel:BYTE_0 src1_sel:DWORD
	s_waitcnt lgkmcnt(0)
	v_mov_b32_e32 v35, v6
	v_mov_b32_e32 v36, v4
                                        ; implicit-def: $vgpr6
                                        ; implicit-def: $vgpr4
	s_cmp_lg_u32 s12, exec_lo
	s_mov_b32 s12, -1
	s_cbranch_scc1 .LBB640_99
; %bb.101:                              ;   in Loop: Header=BB640_100 Depth=1
	v_lshlrev_b64 v[4:5], 3, v[2:3]
	v_add_co_u32 v6, vcc_lo, s16, v4
	v_add_co_ci_u32_e64 v7, null, s17, v5, vcc_lo
	global_load_dwordx2 v[4:5], v[6:7], off glc dlc
	s_waitcnt vmcnt(0)
	v_cmp_eq_u16_sdwa s13, v5, v3 src0_sel:BYTE_0 src1_sel:DWORD
	s_and_saveexec_b32 s12, s13
	s_cbranch_execz .LBB640_105
; %bb.102:                              ;   in Loop: Header=BB640_100 Depth=1
	s_mov_b32 s13, 0
.LBB640_103:                            ;   Parent Loop BB640_100 Depth=1
                                        ; =>  This Inner Loop Header: Depth=2
	global_load_dwordx2 v[4:5], v[6:7], off glc dlc
	s_waitcnt vmcnt(0)
	v_cmp_ne_u16_sdwa s29, v5, v3 src0_sel:BYTE_0 src1_sel:DWORD
	s_or_b32 s13, s29, s13
	s_andn2_b32 exec_lo, exec_lo, s13
	s_cbranch_execnz .LBB640_103
; %bb.104:                              ;   in Loop: Header=BB640_100 Depth=1
	s_or_b32 exec_lo, exec_lo, s13
.LBB640_105:                            ;   in Loop: Header=BB640_100 Depth=1
	s_or_b32 exec_lo, exec_lo, s12
	v_and_b32_e32 v42, 0xffffff, v4
	v_cmp_eq_u16_sdwa s12, v5, v39 src0_sel:BYTE_0 src1_sel:DWORD
	v_lshrrev_b32_e32 v7, 16, v4
	v_bfe_u32 v41, v4, 16, 8
	ds_bpermute_b32 v43, v8, v42
	v_and_or_b32 v6, s12, v28, 0x80000000
	s_mov_b32 s12, exec_lo
	v_ffbl_b32_e32 v6, v6
	v_cmpx_lt_u32_e64 v27, v6
	s_cbranch_execz .LBB640_107
; %bb.106:                              ;   in Loop: Header=BB640_100 Depth=1
	v_and_b32_e32 v7, 0xff0000, v4
	s_waitcnt lgkmcnt(0)
	v_and_b32_sdwa v42, v43, v40 dst_sel:DWORD dst_unused:UNUSED_PAD src0_sel:WORD_1 src1_sel:DWORD
	v_and_b32_e32 v41, 0x10000, v7
	v_cmp_eq_u32_e32 vcc_lo, 0, v7
	v_cndmask_b32_e32 v43, 1, v43, vcc_lo
	v_cmp_ne_u32_e32 vcc_lo, 0, v41
	v_mul_lo_u16 v4, v43, v4
	v_cndmask_b32_e64 v7, v42, 1, vcc_lo
	v_lshlrev_b32_e32 v41, 16, v7
	v_or_b32_sdwa v42, v41, v4 dst_sel:DWORD dst_unused:UNUSED_PAD src0_sel:DWORD src1_sel:WORD_0
	v_mov_b32_e32 v41, v7
.LBB640_107:                            ;   in Loop: Header=BB640_100 Depth=1
	s_or_b32 exec_lo, exec_lo, s12
	s_waitcnt lgkmcnt(0)
	ds_bpermute_b32 v43, v29, v42
	s_mov_b32 s12, exec_lo
	v_cmpx_le_u32_e64 v30, v6
	s_cbranch_execz .LBB640_109
; %bb.108:                              ;   in Loop: Header=BB640_100 Depth=1
	v_and_b32_e32 v7, 1, v41
	v_cmp_eq_u16_e32 vcc_lo, 0, v41
	s_waitcnt lgkmcnt(0)
	v_and_b32_sdwa v42, v43, v40 dst_sel:DWORD dst_unused:UNUSED_PAD src0_sel:WORD_1 src1_sel:DWORD
	v_cndmask_b32_e32 v41, 1, v43, vcc_lo
	v_cmp_eq_u32_e32 vcc_lo, 1, v7
	v_mul_lo_u16 v4, v41, v4
	v_cndmask_b32_e64 v7, v42, 1, vcc_lo
	v_lshlrev_b32_e32 v41, 16, v7
	v_or_b32_sdwa v42, v41, v4 dst_sel:DWORD dst_unused:UNUSED_PAD src0_sel:DWORD src1_sel:WORD_0
	v_mov_b32_e32 v41, v7
.LBB640_109:                            ;   in Loop: Header=BB640_100 Depth=1
	s_or_b32 exec_lo, exec_lo, s12
	s_waitcnt lgkmcnt(0)
	ds_bpermute_b32 v43, v31, v42
	s_mov_b32 s12, exec_lo
	v_cmpx_le_u32_e64 v32, v6
	s_cbranch_execz .LBB640_111
; %bb.110:                              ;   in Loop: Header=BB640_100 Depth=1
	v_and_b32_e32 v7, 1, v41
	v_cmp_eq_u16_e32 vcc_lo, 0, v41
	s_waitcnt lgkmcnt(0)
	v_and_b32_sdwa v42, v43, v40 dst_sel:DWORD dst_unused:UNUSED_PAD src0_sel:WORD_1 src1_sel:DWORD
	v_cndmask_b32_e32 v41, 1, v43, vcc_lo
	v_cmp_eq_u32_e32 vcc_lo, 1, v7
	v_mul_lo_u16 v4, v41, v4
	v_cndmask_b32_e64 v7, v42, 1, vcc_lo
	v_lshlrev_b32_e32 v41, 16, v7
	v_or_b32_sdwa v42, v41, v4 dst_sel:DWORD dst_unused:UNUSED_PAD src0_sel:DWORD src1_sel:WORD_0
	v_mov_b32_e32 v41, v7
.LBB640_111:                            ;   in Loop: Header=BB640_100 Depth=1
	s_or_b32 exec_lo, exec_lo, s12
	s_waitcnt lgkmcnt(0)
	ds_bpermute_b32 v43, v33, v42
	s_mov_b32 s12, exec_lo
	v_cmpx_le_u32_e64 v34, v6
	s_cbranch_execz .LBB640_113
; %bb.112:                              ;   in Loop: Header=BB640_100 Depth=1
	v_and_b32_e32 v7, 1, v41
	v_cmp_eq_u16_e32 vcc_lo, 0, v41
	s_waitcnt lgkmcnt(0)
	v_and_b32_sdwa v42, v43, v40 dst_sel:DWORD dst_unused:UNUSED_PAD src0_sel:WORD_1 src1_sel:DWORD
	v_cndmask_b32_e32 v41, 1, v43, vcc_lo
	v_cmp_eq_u32_e32 vcc_lo, 1, v7
	v_mul_lo_u16 v4, v41, v4
	v_cndmask_b32_e64 v7, v42, 1, vcc_lo
	v_lshlrev_b32_e32 v41, 16, v7
	v_or_b32_sdwa v42, v41, v4 dst_sel:DWORD dst_unused:UNUSED_PAD src0_sel:DWORD src1_sel:WORD_0
	v_mov_b32_e32 v41, v7
.LBB640_113:                            ;   in Loop: Header=BB640_100 Depth=1
	s_or_b32 exec_lo, exec_lo, s12
	ds_bpermute_b32 v42, v37, v42
	s_mov_b32 s12, exec_lo
	v_cmpx_le_u32_e64 v38, v6
	s_cbranch_execz .LBB640_98
; %bb.114:                              ;   in Loop: Header=BB640_100 Depth=1
	v_cmp_eq_u16_e32 vcc_lo, 0, v41
	v_and_b32_e32 v7, 1, v41
	s_waitcnt lgkmcnt(0)
	v_lshrrev_b32_e32 v41, 16, v42
	v_cndmask_b32_e32 v6, 1, v42, vcc_lo
	v_cmp_eq_u32_e32 vcc_lo, 1, v7
	v_mul_lo_u16 v4, v6, v4
	v_cndmask_b32_e64 v7, v41, 1, vcc_lo
	s_branch .LBB640_98
.LBB640_115:
                                        ; implicit-def: $vgpr3
                                        ; implicit-def: $vgpr4
                                        ; implicit-def: $vgpr5
                                        ; implicit-def: $vgpr6
                                        ; implicit-def: $vgpr7
                                        ; implicit-def: $vgpr8
                                        ; implicit-def: $vgpr16
                                        ; implicit-def: $vgpr27
                                        ; implicit-def: $vgpr26
                                        ; implicit-def: $vgpr28
	s_cbranch_execnz .LBB640_121
	s_branch .LBB640_140
.LBB640_116:
	s_and_saveexec_b32 s12, s11
	s_cbranch_execz .LBB640_118
; %bb.117:
	v_and_b32_e32 v2, 0xff0000, v1
	v_mov_b32_e32 v3, 1
	v_and_b32_e32 v4, 0x10000, v1
	s_mov_b32 s31, 0
	s_add_i32 s30, s20, 32
	v_cmp_eq_u32_e32 vcc_lo, 0, v2
	v_and_b32_sdwa v3, v35, v3 dst_sel:WORD_1 dst_unused:UNUSED_PAD src0_sel:DWORD src1_sel:DWORD
	s_lshl_b64 s[30:31], s[30:31], 3
	s_add_u32 s30, s16, s30
	v_cndmask_b32_e32 v2, 1, v36, vcc_lo
	v_cmp_eq_u32_e32 vcc_lo, 0, v4
	s_addc_u32 s31, s17, s31
	v_mul_lo_u16 v1, v2, v1
	v_cndmask_b32_e32 v2, 0x10000, v3, vcc_lo
	v_mov_b32_e32 v3, 0
	v_or_b32_sdwa v1, v2, v1 dst_sel:DWORD dst_unused:UNUSED_PAD src0_sel:DWORD src1_sel:WORD_0
	v_mov_b32_e32 v2, 2
	global_store_dwordx2 v3, v[1:2], s[30:31]
.LBB640_118:
	s_or_b32 exec_lo, exec_lo, s12
	s_and_b32 exec_lo, exec_lo, s0
	s_cbranch_execz .LBB640_120
; %bb.119:
	v_mov_b32_e32 v1, 0
	ds_write_b16 v1, v36
	ds_write_b8 v1, v35 offset:2
.LBB640_120:
	s_or_b32 exec_lo, exec_lo, s21
	v_mov_b32_e32 v1, 0
	s_waitcnt lgkmcnt(0)
	s_waitcnt_vscnt null, 0x0
	s_barrier
	buffer_gl0_inv
	v_and_b32_e32 v4, 0xff0000, v23
	ds_read_b32 v2, v1
	v_cmp_eq_u16_sdwa vcc_lo, v26, v1 src0_sel:BYTE_0 src1_sel:DWORD
	s_waitcnt lgkmcnt(0)
	v_cndmask_b32_e32 v1, 1, v2, vcc_lo
	v_cmp_eq_u32_e32 vcc_lo, 0, v4
	v_mul_lo_u16 v1, v1, v16
	v_cndmask_b32_e64 v3, v1, v2, s0
	v_cndmask_b32_e32 v1, 1, v3, vcc_lo
	v_mul_lo_u16 v4, v1, v23
	v_cndmask_b32_e64 v1, 1, v4, s10
	v_mul_lo_u16 v5, v1, v25
	v_cndmask_b32_e64 v1, 1, v5, s9
	;; [unrolled: 2-line block ×8, first 2 shown]
	v_mul_lo_u16 v28, v1, v17
	s_branch .LBB640_140
.LBB640_121:
	s_cmp_eq_u64 s[26:27], 0
	v_mov_b32_e32 v1, s28
	s_cselect_b32 s3, -1, 0
	s_cmp_eq_u64 s[22:23], 0
	s_cselect_b32 s4, -1, 0
	s_or_b32 s3, s3, s4
	s_and_b32 vcc_lo, exec_lo, s3
	s_cbranch_vccnz .LBB640_123
; %bb.122:
	v_mov_b32_e32 v1, 0
	global_load_ushort v1, v1, s[22:23]
.LBB640_123:
	v_cmp_gt_u32_e32 vcc_lo, 0x10000, v25
	v_cmp_gt_u32_e64 s3, 0x10000, v24
	v_cmp_gt_u32_e64 s4, 0x10000, v22
	;; [unrolled: 1-line block ×4, first 2 shown]
	v_cndmask_b32_e32 v2, 1, v23, vcc_lo
	v_cmp_gt_u32_e64 s7, 0x10000, v19
	v_cmp_gt_u32_e64 s8, 0x10000, v18
	v_or3_b32 v3, v15, v22, v24
	v_cmp_gt_u32_e64 s9, 0x10000, v17
	v_mul_lo_u16 v2, v2, v25
	v_cmp_gt_u32_e64 s10, 0x10000, v11
	v_and_b32_e32 v4, 4, v14
	v_or3_b32 v3, v3, v25, v11
	s_mov_b32 s11, exec_lo
	v_cndmask_b32_e64 v2, 1, v2, s3
	v_lshl_add_u32 v4, v0, 2, v4
	v_and_b32_e32 v3, 0xff0000, v3
	v_mul_lo_u16 v2, v2, v24
	v_cndmask_b32_e64 v2, 1, v2, s4
	v_mul_lo_u16 v2, v2, v22
	v_cndmask_b32_e64 v2, 1, v2, s5
	;; [unrolled: 2-line block ×7, first 2 shown]
	v_cmp_eq_u32_e64 s10, 0, v3
	v_mul_lo_u16 v3, v5, v11
	v_cndmask_b32_e64 v2, 1, v12, s10
	ds_write_b8 v4, v2 offset:2
	ds_write_b16 v4, v3
	s_waitcnt vmcnt(0) lgkmcnt(0)
	s_barrier
	buffer_gl0_inv
	v_cmpx_gt_u32_e32 32, v0
	s_cbranch_execz .LBB640_135
; %bb.124:
	v_lshrrev_b32_e32 v4, 2, v0
	v_lshlrev_b32_e32 v5, 3, v0
	s_mov_b32 s12, exec_lo
	v_and_b32_e32 v4, 12, v4
	v_add_nc_u32_e32 v4, v4, v5
	ds_read_u8 v6, v4 offset:6
	ds_read_b32 v5, v4
	ds_read_u16 v7, v4 offset:4
	s_waitcnt lgkmcnt(2)
	v_cmp_eq_u16_e64 s10, 0, v6
	v_and_b32_e32 v11, 1, v6
	s_waitcnt lgkmcnt(1)
	v_and_b32_e32 v6, 0x10000, v5
	v_cndmask_b32_e64 v8, 1, v5, s10
	v_cmp_eq_u32_e64 s10, 1, v11
	v_mbcnt_lo_u32_b32 v11, -1, 0
	s_waitcnt lgkmcnt(0)
	v_mul_lo_u16 v8, v8, v7
	v_and_b32_e32 v7, 0xff000000, v5
	v_cndmask_b32_e64 v12, v6, 0x10000, s10
	v_and_b32_e32 v14, 0xffff, v8
	v_or_b32_e32 v15, v12, v7
	v_or3_b32 v16, v7, v14, v12
	v_and_b32_e32 v12, 15, v11
	v_lshrrev_b32_e32 v14, 16, v15
	v_mov_b32_dpp v26, v16 row_shr:1 row_mask:0xf bank_mask:0xf
	v_cmpx_ne_u32_e32 0, v12
	s_cbranch_execz .LBB640_126
; %bb.125:
	v_mov_b32_e32 v14, 0xff
	v_mov_b32_e32 v16, 1
	v_and_b32_sdwa v14, v15, v14 dst_sel:DWORD dst_unused:UNUSED_PAD src0_sel:WORD_1 src1_sel:DWORD
	v_and_b32_e32 v15, 0x10000, v15
	v_and_b32_sdwa v16, v26, v16 dst_sel:DWORD dst_unused:UNUSED_PAD src0_sel:WORD_1 src1_sel:DWORD
	v_cmp_eq_u16_e64 s10, 0, v14
	v_cndmask_b32_e64 v26, 1, v26, s10
	v_cmp_ne_u32_e64 s10, 0, v15
	v_mul_lo_u16 v8, v26, v8
	v_cndmask_b32_e64 v14, v16, 1, s10
	v_and_b32_e32 v16, 0xffff, v8
	v_lshlrev_b32_e32 v15, 16, v14
	v_or3_b32 v16, v15, v16, v7
.LBB640_126:
	s_or_b32 exec_lo, exec_lo, s12
	v_lshrrev_b32_e32 v15, 16, v16
	v_mov_b32_dpp v26, v16 row_shr:2 row_mask:0xf bank_mask:0xf
	s_mov_b32 s12, exec_lo
	v_cmpx_lt_u32_e32 1, v12
	s_cbranch_execz .LBB640_128
; %bb.127:
	v_mov_b32_e32 v27, 0
	v_mov_b32_e32 v14, 1
	v_and_b32_e32 v16, 0x10000, v16
	v_cmp_eq_u16_sdwa s10, v15, v27 src0_sel:BYTE_0 src1_sel:DWORD
	v_and_b32_sdwa v14, v26, v14 dst_sel:DWORD dst_unused:UNUSED_PAD src0_sel:WORD_1 src1_sel:DWORD
	v_cndmask_b32_e64 v15, 1, v26, s10
	v_cmp_ne_u32_e64 s10, 0, v16
	v_mul_lo_u16 v8, v15, v8
	v_cndmask_b32_e64 v14, v14, 1, s10
	v_and_b32_e32 v16, 0xffff, v8
	v_lshlrev_b32_e32 v15, 16, v14
	v_or3_b32 v16, v15, v16, v7
	v_mov_b32_e32 v15, v14
.LBB640_128:
	s_or_b32 exec_lo, exec_lo, s12
	v_mov_b32_dpp v26, v16 row_shr:4 row_mask:0xf bank_mask:0xf
	s_mov_b32 s12, exec_lo
	v_cmpx_lt_u32_e32 3, v12
	s_cbranch_execz .LBB640_130
; %bb.129:
	v_mov_b32_e32 v16, 0
	v_mov_b32_e32 v14, 1
	v_and_b32_e32 v27, 1, v15
	v_cmp_eq_u16_sdwa s10, v15, v16 src0_sel:BYTE_0 src1_sel:DWORD
	v_and_b32_sdwa v14, v26, v14 dst_sel:DWORD dst_unused:UNUSED_PAD src0_sel:WORD_1 src1_sel:DWORD
	v_cndmask_b32_e64 v15, 1, v26, s10
	v_cmp_eq_u32_e64 s10, 1, v27
	v_mul_lo_u16 v8, v15, v8
	v_cndmask_b32_e64 v14, v14, 1, s10
	v_and_b32_e32 v16, 0xffff, v8
	v_lshlrev_b32_e32 v15, 16, v14
	v_or3_b32 v16, v15, v16, v7
	v_mov_b32_e32 v15, v14
.LBB640_130:
	s_or_b32 exec_lo, exec_lo, s12
	v_mov_b32_dpp v26, v16 row_shr:8 row_mask:0xf bank_mask:0xf
	s_mov_b32 s12, exec_lo
	v_cmpx_lt_u32_e32 7, v12
	s_cbranch_execz .LBB640_132
; %bb.131:
	v_mov_b32_e32 v14, 0
	v_mov_b32_e32 v12, 1
	v_and_b32_e32 v16, 1, v15
	v_cmp_eq_u16_sdwa s10, v15, v14 src0_sel:BYTE_0 src1_sel:DWORD
	v_and_b32_sdwa v12, v26, v12 dst_sel:DWORD dst_unused:UNUSED_PAD src0_sel:WORD_1 src1_sel:DWORD
	v_cndmask_b32_e64 v15, 1, v26, s10
	v_cmp_eq_u32_e64 s10, 1, v16
	v_mul_lo_u16 v8, v15, v8
	v_cndmask_b32_e64 v14, v12, 1, s10
	v_and_b32_e32 v15, 0xffff, v8
	v_lshlrev_b32_e32 v12, 16, v14
	v_or3_b32 v16, v12, v15, v7
	v_mov_b32_e32 v15, v14
.LBB640_132:
	s_or_b32 exec_lo, exec_lo, s12
	ds_swizzle_b32 v12, v16 offset:swizzle(BROADCAST,32,15)
	v_and_b32_e32 v16, 16, v11
	s_mov_b32 s12, exec_lo
	v_cmpx_ne_u32_e32 0, v16
	s_cbranch_execz .LBB640_134
; %bb.133:
	v_mov_b32_e32 v14, 0
	v_mov_b32_e32 v16, 1
	v_cmp_eq_u16_sdwa s10, v15, v14 src0_sel:BYTE_0 src1_sel:DWORD
	v_and_b32_e32 v15, 1, v15
	s_waitcnt lgkmcnt(0)
	v_cndmask_b32_e64 v14, 1, v12, s10
	v_and_b32_sdwa v12, v12, v16 dst_sel:DWORD dst_unused:UNUSED_PAD src0_sel:WORD_1 src1_sel:DWORD
	v_cmp_eq_u32_e64 s10, 1, v15
	v_mul_lo_u16 v8, v14, v8
	v_cndmask_b32_e64 v14, v12, 1, s10
.LBB640_134:
	s_or_b32 exec_lo, exec_lo, s12
	s_waitcnt lgkmcnt(0)
	v_and_b32_e32 v12, 0xff, v14
	v_add_nc_u32_e32 v14, -1, v11
	v_and_b32_e32 v8, 0xffff, v8
	; wave barrier
	v_lshlrev_b32_e32 v12, 16, v12
	v_cmp_gt_i32_e64 s10, 0, v14
	v_or3_b32 v7, v12, v8, v7
	v_cndmask_b32_e64 v11, v14, v11, s10
	v_lshlrev_b32_e32 v8, 2, v11
	v_mov_b32_e32 v11, 1
	ds_bpermute_b32 v7, v8, v7
	v_and_b32_e32 v8, 0xff0000, v5
	v_cmp_eq_u32_e64 s10, 0, v8
	s_waitcnt lgkmcnt(0)
	v_cndmask_b32_e64 v8, 1, v7, s10
	v_and_b32_sdwa v7, v7, v11 dst_sel:DWORD dst_unused:UNUSED_PAD src0_sel:WORD_1 src1_sel:DWORD
	v_cmp_eq_u32_e64 s10, 0, v6
	v_mul_lo_u16 v5, v8, v5
	v_cndmask_b32_e64 v6, 1, v7, s10
	v_cndmask_b32_e64 v3, v5, v3, s0
	;; [unrolled: 1-line block ×3, first 2 shown]
	ds_write_b16 v4, v3
	ds_write_b8 v4, v2 offset:2
	; wave barrier
	ds_read_u8 v5, v4 offset:6
	ds_read_u16 v6, v4 offset:4
	s_waitcnt lgkmcnt(1)
	v_cmp_eq_u16_e64 s10, 0, v5
	v_and_b32_e32 v5, 1, v5
	v_cndmask_b32_e64 v3, 1, v3, s10
	v_cmp_eq_u32_e64 s10, 1, v5
	s_waitcnt lgkmcnt(0)
	v_mul_lo_u16 v3, v3, v6
	v_cndmask_b32_e64 v2, v2, 1, s10
	ds_write_b16 v4, v3 offset:4
	ds_write_b8 v4, v2 offset:6
.LBB640_135:
	s_or_b32 exec_lo, exec_lo, s11
	v_mov_b32_e32 v3, v1
	s_waitcnt lgkmcnt(0)
	s_barrier
	buffer_gl0_inv
	s_and_saveexec_b32 s10, s1
	s_cbranch_execz .LBB640_137
; %bb.136:
	v_add_nc_u32_e32 v2, -1, v0
	v_lshrrev_b32_e32 v3, 3, v2
	v_and_b32_e32 v3, 0x1ffffffc, v3
	v_lshl_add_u32 v2, v2, 2, v3
	ds_read_u8 v3, v2 offset:2
	ds_read_u16 v2, v2
	s_waitcnt lgkmcnt(1)
	v_cmp_eq_u16_e64 s1, 0, v3
	v_cndmask_b32_e64 v3, 1, v1, s1
	s_waitcnt lgkmcnt(0)
	v_mul_lo_u16 v3, v3, v2
.LBB640_137:
	s_or_b32 exec_lo, exec_lo, s10
	v_and_b32_e32 v2, 0xff0000, v23
	v_cmp_eq_u32_e64 s1, 0, v2
	v_cndmask_b32_e64 v2, 1, v3, s1
	v_mul_lo_u16 v4, v2, v23
	v_cndmask_b32_e32 v2, 1, v4, vcc_lo
	v_mul_lo_u16 v5, v2, v25
	v_cndmask_b32_e64 v2, 1, v5, s3
	v_mul_lo_u16 v6, v2, v24
	v_cndmask_b32_e64 v2, 1, v6, s4
	v_mul_lo_u16 v7, v2, v22
	v_cndmask_b32_e64 v2, 1, v7, s5
	v_mul_lo_u16 v8, v2, v21
	v_cndmask_b32_e64 v2, 1, v8, s6
	v_mul_lo_u16 v16, v2, v20
	v_cndmask_b32_e64 v2, 1, v16, s7
	v_mul_lo_u16 v27, v2, v19
	v_cndmask_b32_e64 v2, 1, v27, s8
	v_mul_lo_u16 v26, v2, v18
	v_cndmask_b32_e64 v2, 1, v26, s9
	s_and_saveexec_b32 s1, s0
	s_cbranch_execz .LBB640_139
; %bb.138:
	v_mov_b32_e32 v14, 0
	ds_read_u8 v11, v14 offset:258
	ds_read_u16 v12, v14 offset:256
	s_waitcnt lgkmcnt(1)
	v_cmp_eq_u32_e32 vcc_lo, 0, v11
	v_lshlrev_b32_e32 v11, 16, v11
	v_cndmask_b32_e32 v1, 1, v1, vcc_lo
	s_waitcnt lgkmcnt(0)
	v_mul_lo_u32 v1, v1, v12
	v_mov_b32_e32 v12, 2
	v_or_b32_sdwa v11, v11, v1 dst_sel:DWORD dst_unused:UNUSED_PAD src0_sel:DWORD src1_sel:WORD_0
	global_store_dwordx2 v14, v[11:12], s[16:17] offset:256
.LBB640_139:
	s_or_b32 exec_lo, exec_lo, s1
	v_mul_lo_u16 v28, v2, v17
.LBB640_140:
	s_add_u32 s0, s14, s24
	s_addc_u32 s1, s15, s25
	v_add_co_u32 v9, vcc_lo, s0, v9
	v_add_co_ci_u32_e64 v10, null, s1, v10, vcc_lo
	v_mov_b32_e32 v1, 0
	s_and_b32 vcc_lo, exec_lo, s2
	s_cbranch_vccz .LBB640_180
; %bb.141:
	v_mul_u32_u24_e32 v2, 10, v0
	v_mov_b32_e32 v11, 0
	v_mov_b32_e32 v12, 0
	;; [unrolled: 1-line block ×4, first 2 shown]
	s_add_i32 s19, s19, s18
	s_mov_b32 s0, exec_lo
	v_cmpx_gt_u32_e64 s19, v2
	s_cbranch_execz .LBB640_161
; %bb.142:
	v_or_b32_e32 v15, 1, v2
	v_and_b32_e32 v1, 0xffff, v3
	v_mov_b32_e32 v11, 0
	v_mov_b32_e32 v12, 0
	;; [unrolled: 1-line block ×3, first 2 shown]
	v_cmp_gt_u32_e32 vcc_lo, s19, v15
	v_mov_b32_e32 v15, 0
	s_and_saveexec_b32 s1, vcc_lo
	s_cbranch_execz .LBB640_160
; %bb.143:
	v_perm_b32 v1, v4, v1, 0x5040100
	v_add_nc_u32_e32 v17, 2, v2
	v_mov_b32_e32 v15, 0
	v_mov_b32_e32 v14, 0
	v_mov_b32_e32 v12, 0
	v_mov_b32_e32 v11, 0
	s_mov_b32 s2, exec_lo
	v_cmpx_gt_u32_e64 s19, v17
	s_cbranch_execz .LBB640_159
; %bb.144:
	v_add_nc_u32_e32 v17, 3, v2
	v_bfi_b32 v11, 0xffff, v5, 0
	v_mov_b32_e32 v15, 0
	v_mov_b32_e32 v14, 0
	;; [unrolled: 1-line block ×3, first 2 shown]
	s_mov_b32 s3, exec_lo
	v_cmpx_gt_u32_e64 s19, v17
	s_cbranch_execz .LBB640_158
; %bb.145:
	v_add_nc_u32_e32 v17, 4, v2
	v_perm_b32 v11, v6, v11, 0x5040100
	v_mov_b32_e32 v15, 0
	v_mov_b32_e32 v14, 0
	;; [unrolled: 1-line block ×3, first 2 shown]
	s_mov_b32 s4, exec_lo
	v_cmpx_gt_u32_e64 s19, v17
	s_cbranch_execz .LBB640_157
; %bb.146:
	v_add_nc_u32_e32 v17, 5, v2
	v_bfi_b32 v12, 0xffff, v7, 0
	v_mov_b32_e32 v15, 0
	v_mov_b32_e32 v14, 0
	s_mov_b32 s5, exec_lo
	v_cmpx_gt_u32_e64 s19, v17
	s_cbranch_execz .LBB640_156
; %bb.147:
	v_add_nc_u32_e32 v17, 6, v2
	v_perm_b32 v12, v8, v12, 0x5040100
	v_mov_b32_e32 v15, 0
	v_mov_b32_e32 v14, 0
	s_mov_b32 s6, exec_lo
	v_cmpx_gt_u32_e64 s19, v17
	s_cbranch_execz .LBB640_155
; %bb.148:
	v_add_nc_u32_e32 v17, 7, v2
	v_bfi_b32 v14, 0xffff, v16, 0
	v_mov_b32_e32 v15, 0
	s_mov_b32 s7, exec_lo
	v_cmpx_gt_u32_e64 s19, v17
	s_cbranch_execz .LBB640_154
; %bb.149:
	v_add_nc_u32_e32 v17, 8, v2
	v_perm_b32 v14, v27, v14, 0x5040100
	v_mov_b32_e32 v15, 0
	s_mov_b32 s8, exec_lo
	v_cmpx_gt_u32_e64 s19, v17
	s_cbranch_execz .LBB640_153
; %bb.150:
	v_add_nc_u32_e32 v17, 9, v2
	v_bfi_b32 v15, 0xffff, v26, 0
	s_mov_b32 s9, exec_lo
	v_cmpx_gt_u32_e64 s19, v17
; %bb.151:
	v_perm_b32 v15, v28, v15, 0x5040100
; %bb.152:
	s_or_b32 exec_lo, exec_lo, s9
.LBB640_153:
	s_or_b32 exec_lo, exec_lo, s8
.LBB640_154:
	s_or_b32 exec_lo, exec_lo, s7
.LBB640_155:
	s_or_b32 exec_lo, exec_lo, s6
.LBB640_156:
	s_or_b32 exec_lo, exec_lo, s5
.LBB640_157:
	s_or_b32 exec_lo, exec_lo, s4
.LBB640_158:
	s_or_b32 exec_lo, exec_lo, s3
.LBB640_159:
	s_or_b32 exec_lo, exec_lo, s2
.LBB640_160:
	s_or_b32 exec_lo, exec_lo, s1
.LBB640_161:
	s_or_b32 exec_lo, exec_lo, s0
	v_lshlrev_b32_e32 v21, 1, v2
	s_waitcnt_vscnt null, 0x0
	s_barrier
	buffer_gl0_inv
	s_mov_b32 s0, exec_lo
	ds_write2_b32 v21, v1, v11 offset1:1
	ds_write2_b32 v21, v12, v14 offset0:2 offset1:3
	v_mad_i32_i24 v1, 0xffffffee, v0, v21
	ds_write_b32 v21, v15 offset:16
	s_waitcnt lgkmcnt(0)
	s_barrier
	buffer_gl0_inv
	ds_read_u16 v22, v1 offset:128
	ds_read_u16 v20, v1 offset:256
	;; [unrolled: 1-line block ×9, first 2 shown]
	v_add_co_u32 v1, vcc_lo, v9, v13
	v_add_co_ci_u32_e64 v2, null, 0, v10, vcc_lo
	v_cmpx_gt_u32_e64 s19, v0
	s_cbranch_execz .LBB640_163
; %bb.162:
	v_mul_i32_i24_e32 v23, 0xffffffee, v0
	v_add_nc_u32_e32 v21, v21, v23
	ds_read_u16 v21, v21
	s_waitcnt lgkmcnt(0)
	flat_store_short v[1:2], v21
.LBB640_163:
	s_or_b32 exec_lo, exec_lo, s0
	v_or_b32_e32 v21, 64, v0
	s_mov_b32 s0, exec_lo
	v_cmpx_gt_u32_e64 s19, v21
	s_cbranch_execz .LBB640_165
; %bb.164:
	s_waitcnt lgkmcnt(8)
	flat_store_short v[1:2], v22 offset:128
.LBB640_165:
	s_or_b32 exec_lo, exec_lo, s0
	v_or_b32_e32 v21, 0x80, v0
	s_mov_b32 s0, exec_lo
	v_cmpx_gt_u32_e64 s19, v21
	s_cbranch_execz .LBB640_167
; %bb.166:
	s_waitcnt lgkmcnt(7)
	flat_store_short v[1:2], v20 offset:256
.LBB640_167:
	s_or_b32 exec_lo, exec_lo, s0
	s_waitcnt lgkmcnt(7)
	v_or_b32_e32 v20, 0xc0, v0
	s_mov_b32 s0, exec_lo
	v_cmpx_gt_u32_e64 s19, v20
	s_cbranch_execz .LBB640_169
; %bb.168:
	s_waitcnt lgkmcnt(6)
	flat_store_short v[1:2], v19 offset:384
.LBB640_169:
	s_or_b32 exec_lo, exec_lo, s0
	s_waitcnt lgkmcnt(6)
	;; [unrolled: 10-line block ×6, first 2 shown]
	v_or_b32_e32 v14, 0x200, v0
	s_mov_b32 s0, exec_lo
	v_cmpx_gt_u32_e64 s19, v14
	s_cbranch_execz .LBB640_179
; %bb.178:
	s_waitcnt lgkmcnt(1)
	flat_store_short v[1:2], v12 offset:1024
.LBB640_179:
	s_or_b32 exec_lo, exec_lo, s0
	v_or_b32_e32 v1, 0x240, v0
	v_cmp_gt_u32_e64 s0, s19, v1
	s_branch .LBB640_182
.LBB640_180:
	s_mov_b32 s0, 0
                                        ; implicit-def: $vgpr11
	s_cbranch_execz .LBB640_182
; %bb.181:
	v_mul_u32_u24_e32 v1, 20, v0
	v_perm_b32 v2, v6, v5, 0x5040100
	v_perm_b32 v3, v4, v3, 0x5040100
	v_mul_i32_i24_e32 v6, 0xffffffee, v0
	v_perm_b32 v4, v27, v16, 0x5040100
	v_perm_b32 v5, v8, v7, 0x5040100
	s_waitcnt lgkmcnt(0)
	s_waitcnt_vscnt null, 0x0
	s_barrier
	v_perm_b32 v7, v28, v26, 0x5040100
	buffer_gl0_inv
	ds_write2_b32 v1, v3, v2 offset1:1
	ds_write2_b32 v1, v5, v4 offset0:2 offset1:3
	v_mad_u32_u24 v2, v0, 20, v6
	s_or_b32 s0, s0, exec_lo
	ds_write_b32 v1, v7 offset:16
	s_waitcnt lgkmcnt(0)
	s_barrier
	buffer_gl0_inv
	ds_read_u16 v3, v2
	ds_read_u16 v4, v2 offset:128
	ds_read_u16 v5, v2 offset:256
	;; [unrolled: 1-line block ×9, first 2 shown]
	v_add_co_u32 v1, vcc_lo, v9, v13
	v_add_co_ci_u32_e64 v2, null, 0, v10, vcc_lo
	s_waitcnt lgkmcnt(9)
	flat_store_short v[1:2], v3
	s_waitcnt lgkmcnt(9)
	flat_store_short v[1:2], v4 offset:128
	s_waitcnt lgkmcnt(9)
	flat_store_short v[1:2], v5 offset:256
	;; [unrolled: 2-line block ×8, first 2 shown]
.LBB640_182:
	s_and_saveexec_b32 s1, s0
	s_cbranch_execnz .LBB640_184
; %bb.183:
	s_endpgm
.LBB640_184:
	v_lshlrev_b32_e32 v0, 1, v0
	v_add_co_u32 v0, vcc_lo, v9, v0
	v_add_co_ci_u32_e64 v1, null, 0, v10, vcc_lo
	s_waitcnt lgkmcnt(0)
	flat_store_short v[0:1], v11 offset:1152
	s_endpgm
.LBB640_185:
	v_add_co_u32 v3, s11, v26, v18
	v_add_co_ci_u32_e64 v4, null, 0, v27, s11
	v_mov_b32_e32 v2, v1
	v_mov_b32_e32 v5, v1
	;; [unrolled: 1-line block ×3, first 2 shown]
	flat_load_short_d16 v2, v[3:4]
	v_mov_b32_e32 v3, v1
	v_mov_b32_e32 v4, v1
	s_waitcnt vmcnt(0) lgkmcnt(0)
	v_mov_b32_e32 v1, v2
	v_mov_b32_e32 v2, v3
	;; [unrolled: 1-line block ×8, first 2 shown]
	s_or_b32 exec_lo, exec_lo, s12
	s_and_saveexec_b32 s11, s10
	s_cbranch_execz .LBB640_29
.LBB640_186:
	v_add_co_u32 v6, s10, v26, v18
	v_add_co_ci_u32_e64 v7, null, 0, v27, s10
	flat_load_short_d16_hi v1, v[6:7] offset:128
	s_or_b32 exec_lo, exec_lo, s11
	s_and_saveexec_b32 s10, s9
	s_cbranch_execz .LBB640_30
.LBB640_187:
	v_add_co_u32 v6, s9, v26, v18
	v_add_co_ci_u32_e64 v7, null, 0, v27, s9
	flat_load_short_d16 v2, v[6:7] offset:256
	s_or_b32 exec_lo, exec_lo, s10
	s_and_saveexec_b32 s9, s8
	s_cbranch_execz .LBB640_31
.LBB640_188:
	v_add_co_u32 v6, s8, v26, v18
	v_add_co_ci_u32_e64 v7, null, 0, v27, s8
	s_waitcnt vmcnt(0) lgkmcnt(0)
	flat_load_short_d16_hi v2, v[6:7] offset:384
	s_or_b32 exec_lo, exec_lo, s9
	s_and_saveexec_b32 s8, s7
	s_cbranch_execz .LBB640_32
.LBB640_189:
	v_add_co_u32 v6, s7, v26, v18
	v_add_co_ci_u32_e64 v7, null, 0, v27, s7
	flat_load_short_d16 v3, v[6:7] offset:512
	s_or_b32 exec_lo, exec_lo, s8
	s_and_saveexec_b32 s7, s6
	s_cbranch_execz .LBB640_33
.LBB640_190:
	v_add_co_u32 v6, s6, v26, v18
	v_add_co_ci_u32_e64 v7, null, 0, v27, s6
	s_waitcnt vmcnt(0) lgkmcnt(0)
	flat_load_short_d16_hi v3, v[6:7] offset:640
	s_or_b32 exec_lo, exec_lo, s7
	s_and_saveexec_b32 s6, s5
	s_cbranch_execz .LBB640_34
.LBB640_191:
	v_add_co_u32 v6, s5, v26, v18
	v_add_co_ci_u32_e64 v7, null, 0, v27, s5
	flat_load_short_d16 v4, v[6:7] offset:768
	s_or_b32 exec_lo, exec_lo, s6
	s_and_saveexec_b32 s5, s4
	s_cbranch_execz .LBB640_35
.LBB640_192:
	v_add_co_u32 v6, s4, v26, v18
	v_add_co_ci_u32_e64 v7, null, 0, v27, s4
	s_waitcnt vmcnt(0) lgkmcnt(0)
	flat_load_short_d16_hi v4, v[6:7] offset:896
	s_or_b32 exec_lo, exec_lo, s5
	s_and_saveexec_b32 s4, s3
	s_cbranch_execz .LBB640_36
.LBB640_193:
	v_add_co_u32 v6, s3, v26, v18
	v_add_co_ci_u32_e64 v7, null, 0, v27, s3
	flat_load_short_d16 v5, v[6:7] offset:1024
	s_or_b32 exec_lo, exec_lo, s4
	v_mul_u32_u24_e32 v35, 10, v0
	s_and_saveexec_b32 s3, vcc_lo
	s_cbranch_execnz .LBB640_37
	s_branch .LBB640_38
	.section	.rodata,"a",@progbits
	.p2align	6, 0x0
	.amdhsa_kernel _ZN7rocprim17ROCPRIM_400000_NS6detail17trampoline_kernelINS0_14default_configENS1_27scan_by_key_config_selectorIssEEZZNS1_16scan_by_key_implILNS1_25lookback_scan_determinismE0ELb1ES3_N6thrust23THRUST_200600_302600_NS6detail15normal_iteratorINS9_10device_ptrIsEEEESE_SE_sNS9_10multipliesIsEENS9_8equal_toIsEEsEE10hipError_tPvRmT2_T3_T4_T5_mT6_T7_P12ihipStream_tbENKUlT_T0_E_clISt17integral_constantIbLb0EESY_IbLb1EEEEDaSU_SV_EUlSU_E_NS1_11comp_targetILNS1_3genE8ELNS1_11target_archE1030ELNS1_3gpuE2ELNS1_3repE0EEENS1_30default_config_static_selectorELNS0_4arch9wavefront6targetE0EEEvT1_
		.amdhsa_group_segment_fixed_size 1536
		.amdhsa_private_segment_fixed_size 0
		.amdhsa_kernarg_size 112
		.amdhsa_user_sgpr_count 6
		.amdhsa_user_sgpr_private_segment_buffer 1
		.amdhsa_user_sgpr_dispatch_ptr 0
		.amdhsa_user_sgpr_queue_ptr 0
		.amdhsa_user_sgpr_kernarg_segment_ptr 1
		.amdhsa_user_sgpr_dispatch_id 0
		.amdhsa_user_sgpr_flat_scratch_init 0
		.amdhsa_user_sgpr_private_segment_size 0
		.amdhsa_wavefront_size32 1
		.amdhsa_uses_dynamic_stack 0
		.amdhsa_system_sgpr_private_segment_wavefront_offset 0
		.amdhsa_system_sgpr_workgroup_id_x 1
		.amdhsa_system_sgpr_workgroup_id_y 0
		.amdhsa_system_sgpr_workgroup_id_z 0
		.amdhsa_system_sgpr_workgroup_info 0
		.amdhsa_system_vgpr_workitem_id 0
		.amdhsa_next_free_vgpr 44
		.amdhsa_next_free_sgpr 32
		.amdhsa_reserve_vcc 1
		.amdhsa_reserve_flat_scratch 1
		.amdhsa_float_round_mode_32 0
		.amdhsa_float_round_mode_16_64 0
		.amdhsa_float_denorm_mode_32 3
		.amdhsa_float_denorm_mode_16_64 3
		.amdhsa_dx10_clamp 1
		.amdhsa_ieee_mode 1
		.amdhsa_fp16_overflow 0
		.amdhsa_workgroup_processor_mode 1
		.amdhsa_memory_ordered 1
		.amdhsa_forward_progress 1
		.amdhsa_shared_vgpr_count 0
		.amdhsa_exception_fp_ieee_invalid_op 0
		.amdhsa_exception_fp_denorm_src 0
		.amdhsa_exception_fp_ieee_div_zero 0
		.amdhsa_exception_fp_ieee_overflow 0
		.amdhsa_exception_fp_ieee_underflow 0
		.amdhsa_exception_fp_ieee_inexact 0
		.amdhsa_exception_int_div_zero 0
	.end_amdhsa_kernel
	.section	.text._ZN7rocprim17ROCPRIM_400000_NS6detail17trampoline_kernelINS0_14default_configENS1_27scan_by_key_config_selectorIssEEZZNS1_16scan_by_key_implILNS1_25lookback_scan_determinismE0ELb1ES3_N6thrust23THRUST_200600_302600_NS6detail15normal_iteratorINS9_10device_ptrIsEEEESE_SE_sNS9_10multipliesIsEENS9_8equal_toIsEEsEE10hipError_tPvRmT2_T3_T4_T5_mT6_T7_P12ihipStream_tbENKUlT_T0_E_clISt17integral_constantIbLb0EESY_IbLb1EEEEDaSU_SV_EUlSU_E_NS1_11comp_targetILNS1_3genE8ELNS1_11target_archE1030ELNS1_3gpuE2ELNS1_3repE0EEENS1_30default_config_static_selectorELNS0_4arch9wavefront6targetE0EEEvT1_,"axG",@progbits,_ZN7rocprim17ROCPRIM_400000_NS6detail17trampoline_kernelINS0_14default_configENS1_27scan_by_key_config_selectorIssEEZZNS1_16scan_by_key_implILNS1_25lookback_scan_determinismE0ELb1ES3_N6thrust23THRUST_200600_302600_NS6detail15normal_iteratorINS9_10device_ptrIsEEEESE_SE_sNS9_10multipliesIsEENS9_8equal_toIsEEsEE10hipError_tPvRmT2_T3_T4_T5_mT6_T7_P12ihipStream_tbENKUlT_T0_E_clISt17integral_constantIbLb0EESY_IbLb1EEEEDaSU_SV_EUlSU_E_NS1_11comp_targetILNS1_3genE8ELNS1_11target_archE1030ELNS1_3gpuE2ELNS1_3repE0EEENS1_30default_config_static_selectorELNS0_4arch9wavefront6targetE0EEEvT1_,comdat
.Lfunc_end640:
	.size	_ZN7rocprim17ROCPRIM_400000_NS6detail17trampoline_kernelINS0_14default_configENS1_27scan_by_key_config_selectorIssEEZZNS1_16scan_by_key_implILNS1_25lookback_scan_determinismE0ELb1ES3_N6thrust23THRUST_200600_302600_NS6detail15normal_iteratorINS9_10device_ptrIsEEEESE_SE_sNS9_10multipliesIsEENS9_8equal_toIsEEsEE10hipError_tPvRmT2_T3_T4_T5_mT6_T7_P12ihipStream_tbENKUlT_T0_E_clISt17integral_constantIbLb0EESY_IbLb1EEEEDaSU_SV_EUlSU_E_NS1_11comp_targetILNS1_3genE8ELNS1_11target_archE1030ELNS1_3gpuE2ELNS1_3repE0EEENS1_30default_config_static_selectorELNS0_4arch9wavefront6targetE0EEEvT1_, .Lfunc_end640-_ZN7rocprim17ROCPRIM_400000_NS6detail17trampoline_kernelINS0_14default_configENS1_27scan_by_key_config_selectorIssEEZZNS1_16scan_by_key_implILNS1_25lookback_scan_determinismE0ELb1ES3_N6thrust23THRUST_200600_302600_NS6detail15normal_iteratorINS9_10device_ptrIsEEEESE_SE_sNS9_10multipliesIsEENS9_8equal_toIsEEsEE10hipError_tPvRmT2_T3_T4_T5_mT6_T7_P12ihipStream_tbENKUlT_T0_E_clISt17integral_constantIbLb0EESY_IbLb1EEEEDaSU_SV_EUlSU_E_NS1_11comp_targetILNS1_3genE8ELNS1_11target_archE1030ELNS1_3gpuE2ELNS1_3repE0EEENS1_30default_config_static_selectorELNS0_4arch9wavefront6targetE0EEEvT1_
                                        ; -- End function
	.set _ZN7rocprim17ROCPRIM_400000_NS6detail17trampoline_kernelINS0_14default_configENS1_27scan_by_key_config_selectorIssEEZZNS1_16scan_by_key_implILNS1_25lookback_scan_determinismE0ELb1ES3_N6thrust23THRUST_200600_302600_NS6detail15normal_iteratorINS9_10device_ptrIsEEEESE_SE_sNS9_10multipliesIsEENS9_8equal_toIsEEsEE10hipError_tPvRmT2_T3_T4_T5_mT6_T7_P12ihipStream_tbENKUlT_T0_E_clISt17integral_constantIbLb0EESY_IbLb1EEEEDaSU_SV_EUlSU_E_NS1_11comp_targetILNS1_3genE8ELNS1_11target_archE1030ELNS1_3gpuE2ELNS1_3repE0EEENS1_30default_config_static_selectorELNS0_4arch9wavefront6targetE0EEEvT1_.num_vgpr, 44
	.set _ZN7rocprim17ROCPRIM_400000_NS6detail17trampoline_kernelINS0_14default_configENS1_27scan_by_key_config_selectorIssEEZZNS1_16scan_by_key_implILNS1_25lookback_scan_determinismE0ELb1ES3_N6thrust23THRUST_200600_302600_NS6detail15normal_iteratorINS9_10device_ptrIsEEEESE_SE_sNS9_10multipliesIsEENS9_8equal_toIsEEsEE10hipError_tPvRmT2_T3_T4_T5_mT6_T7_P12ihipStream_tbENKUlT_T0_E_clISt17integral_constantIbLb0EESY_IbLb1EEEEDaSU_SV_EUlSU_E_NS1_11comp_targetILNS1_3genE8ELNS1_11target_archE1030ELNS1_3gpuE2ELNS1_3repE0EEENS1_30default_config_static_selectorELNS0_4arch9wavefront6targetE0EEEvT1_.num_agpr, 0
	.set _ZN7rocprim17ROCPRIM_400000_NS6detail17trampoline_kernelINS0_14default_configENS1_27scan_by_key_config_selectorIssEEZZNS1_16scan_by_key_implILNS1_25lookback_scan_determinismE0ELb1ES3_N6thrust23THRUST_200600_302600_NS6detail15normal_iteratorINS9_10device_ptrIsEEEESE_SE_sNS9_10multipliesIsEENS9_8equal_toIsEEsEE10hipError_tPvRmT2_T3_T4_T5_mT6_T7_P12ihipStream_tbENKUlT_T0_E_clISt17integral_constantIbLb0EESY_IbLb1EEEEDaSU_SV_EUlSU_E_NS1_11comp_targetILNS1_3genE8ELNS1_11target_archE1030ELNS1_3gpuE2ELNS1_3repE0EEENS1_30default_config_static_selectorELNS0_4arch9wavefront6targetE0EEEvT1_.numbered_sgpr, 32
	.set _ZN7rocprim17ROCPRIM_400000_NS6detail17trampoline_kernelINS0_14default_configENS1_27scan_by_key_config_selectorIssEEZZNS1_16scan_by_key_implILNS1_25lookback_scan_determinismE0ELb1ES3_N6thrust23THRUST_200600_302600_NS6detail15normal_iteratorINS9_10device_ptrIsEEEESE_SE_sNS9_10multipliesIsEENS9_8equal_toIsEEsEE10hipError_tPvRmT2_T3_T4_T5_mT6_T7_P12ihipStream_tbENKUlT_T0_E_clISt17integral_constantIbLb0EESY_IbLb1EEEEDaSU_SV_EUlSU_E_NS1_11comp_targetILNS1_3genE8ELNS1_11target_archE1030ELNS1_3gpuE2ELNS1_3repE0EEENS1_30default_config_static_selectorELNS0_4arch9wavefront6targetE0EEEvT1_.num_named_barrier, 0
	.set _ZN7rocprim17ROCPRIM_400000_NS6detail17trampoline_kernelINS0_14default_configENS1_27scan_by_key_config_selectorIssEEZZNS1_16scan_by_key_implILNS1_25lookback_scan_determinismE0ELb1ES3_N6thrust23THRUST_200600_302600_NS6detail15normal_iteratorINS9_10device_ptrIsEEEESE_SE_sNS9_10multipliesIsEENS9_8equal_toIsEEsEE10hipError_tPvRmT2_T3_T4_T5_mT6_T7_P12ihipStream_tbENKUlT_T0_E_clISt17integral_constantIbLb0EESY_IbLb1EEEEDaSU_SV_EUlSU_E_NS1_11comp_targetILNS1_3genE8ELNS1_11target_archE1030ELNS1_3gpuE2ELNS1_3repE0EEENS1_30default_config_static_selectorELNS0_4arch9wavefront6targetE0EEEvT1_.private_seg_size, 0
	.set _ZN7rocprim17ROCPRIM_400000_NS6detail17trampoline_kernelINS0_14default_configENS1_27scan_by_key_config_selectorIssEEZZNS1_16scan_by_key_implILNS1_25lookback_scan_determinismE0ELb1ES3_N6thrust23THRUST_200600_302600_NS6detail15normal_iteratorINS9_10device_ptrIsEEEESE_SE_sNS9_10multipliesIsEENS9_8equal_toIsEEsEE10hipError_tPvRmT2_T3_T4_T5_mT6_T7_P12ihipStream_tbENKUlT_T0_E_clISt17integral_constantIbLb0EESY_IbLb1EEEEDaSU_SV_EUlSU_E_NS1_11comp_targetILNS1_3genE8ELNS1_11target_archE1030ELNS1_3gpuE2ELNS1_3repE0EEENS1_30default_config_static_selectorELNS0_4arch9wavefront6targetE0EEEvT1_.uses_vcc, 1
	.set _ZN7rocprim17ROCPRIM_400000_NS6detail17trampoline_kernelINS0_14default_configENS1_27scan_by_key_config_selectorIssEEZZNS1_16scan_by_key_implILNS1_25lookback_scan_determinismE0ELb1ES3_N6thrust23THRUST_200600_302600_NS6detail15normal_iteratorINS9_10device_ptrIsEEEESE_SE_sNS9_10multipliesIsEENS9_8equal_toIsEEsEE10hipError_tPvRmT2_T3_T4_T5_mT6_T7_P12ihipStream_tbENKUlT_T0_E_clISt17integral_constantIbLb0EESY_IbLb1EEEEDaSU_SV_EUlSU_E_NS1_11comp_targetILNS1_3genE8ELNS1_11target_archE1030ELNS1_3gpuE2ELNS1_3repE0EEENS1_30default_config_static_selectorELNS0_4arch9wavefront6targetE0EEEvT1_.uses_flat_scratch, 1
	.set _ZN7rocprim17ROCPRIM_400000_NS6detail17trampoline_kernelINS0_14default_configENS1_27scan_by_key_config_selectorIssEEZZNS1_16scan_by_key_implILNS1_25lookback_scan_determinismE0ELb1ES3_N6thrust23THRUST_200600_302600_NS6detail15normal_iteratorINS9_10device_ptrIsEEEESE_SE_sNS9_10multipliesIsEENS9_8equal_toIsEEsEE10hipError_tPvRmT2_T3_T4_T5_mT6_T7_P12ihipStream_tbENKUlT_T0_E_clISt17integral_constantIbLb0EESY_IbLb1EEEEDaSU_SV_EUlSU_E_NS1_11comp_targetILNS1_3genE8ELNS1_11target_archE1030ELNS1_3gpuE2ELNS1_3repE0EEENS1_30default_config_static_selectorELNS0_4arch9wavefront6targetE0EEEvT1_.has_dyn_sized_stack, 0
	.set _ZN7rocprim17ROCPRIM_400000_NS6detail17trampoline_kernelINS0_14default_configENS1_27scan_by_key_config_selectorIssEEZZNS1_16scan_by_key_implILNS1_25lookback_scan_determinismE0ELb1ES3_N6thrust23THRUST_200600_302600_NS6detail15normal_iteratorINS9_10device_ptrIsEEEESE_SE_sNS9_10multipliesIsEENS9_8equal_toIsEEsEE10hipError_tPvRmT2_T3_T4_T5_mT6_T7_P12ihipStream_tbENKUlT_T0_E_clISt17integral_constantIbLb0EESY_IbLb1EEEEDaSU_SV_EUlSU_E_NS1_11comp_targetILNS1_3genE8ELNS1_11target_archE1030ELNS1_3gpuE2ELNS1_3repE0EEENS1_30default_config_static_selectorELNS0_4arch9wavefront6targetE0EEEvT1_.has_recursion, 0
	.set _ZN7rocprim17ROCPRIM_400000_NS6detail17trampoline_kernelINS0_14default_configENS1_27scan_by_key_config_selectorIssEEZZNS1_16scan_by_key_implILNS1_25lookback_scan_determinismE0ELb1ES3_N6thrust23THRUST_200600_302600_NS6detail15normal_iteratorINS9_10device_ptrIsEEEESE_SE_sNS9_10multipliesIsEENS9_8equal_toIsEEsEE10hipError_tPvRmT2_T3_T4_T5_mT6_T7_P12ihipStream_tbENKUlT_T0_E_clISt17integral_constantIbLb0EESY_IbLb1EEEEDaSU_SV_EUlSU_E_NS1_11comp_targetILNS1_3genE8ELNS1_11target_archE1030ELNS1_3gpuE2ELNS1_3repE0EEENS1_30default_config_static_selectorELNS0_4arch9wavefront6targetE0EEEvT1_.has_indirect_call, 0
	.section	.AMDGPU.csdata,"",@progbits
; Kernel info:
; codeLenInByte = 10436
; TotalNumSgprs: 34
; NumVgprs: 44
; ScratchSize: 0
; MemoryBound: 0
; FloatMode: 240
; IeeeMode: 1
; LDSByteSize: 1536 bytes/workgroup (compile time only)
; SGPRBlocks: 0
; VGPRBlocks: 5
; NumSGPRsForWavesPerEU: 34
; NumVGPRsForWavesPerEU: 44
; Occupancy: 16
; WaveLimiterHint : 1
; COMPUTE_PGM_RSRC2:SCRATCH_EN: 0
; COMPUTE_PGM_RSRC2:USER_SGPR: 6
; COMPUTE_PGM_RSRC2:TRAP_HANDLER: 0
; COMPUTE_PGM_RSRC2:TGID_X_EN: 1
; COMPUTE_PGM_RSRC2:TGID_Y_EN: 0
; COMPUTE_PGM_RSRC2:TGID_Z_EN: 0
; COMPUTE_PGM_RSRC2:TIDIG_COMP_CNT: 0
	.section	.text._ZN7rocprim17ROCPRIM_400000_NS6detail17trampoline_kernelINS0_14default_configENS1_27scan_by_key_config_selectorIssEEZZNS1_16scan_by_key_implILNS1_25lookback_scan_determinismE0ELb1ES3_N6thrust23THRUST_200600_302600_NS6detail15normal_iteratorINS9_10device_ptrIsEEEESE_SE_sNS9_4plusIvEENS9_8equal_toIsEEsEE10hipError_tPvRmT2_T3_T4_T5_mT6_T7_P12ihipStream_tbENKUlT_T0_E_clISt17integral_constantIbLb0EESZ_EEDaSU_SV_EUlSU_E_NS1_11comp_targetILNS1_3genE0ELNS1_11target_archE4294967295ELNS1_3gpuE0ELNS1_3repE0EEENS1_30default_config_static_selectorELNS0_4arch9wavefront6targetE0EEEvT1_,"axG",@progbits,_ZN7rocprim17ROCPRIM_400000_NS6detail17trampoline_kernelINS0_14default_configENS1_27scan_by_key_config_selectorIssEEZZNS1_16scan_by_key_implILNS1_25lookback_scan_determinismE0ELb1ES3_N6thrust23THRUST_200600_302600_NS6detail15normal_iteratorINS9_10device_ptrIsEEEESE_SE_sNS9_4plusIvEENS9_8equal_toIsEEsEE10hipError_tPvRmT2_T3_T4_T5_mT6_T7_P12ihipStream_tbENKUlT_T0_E_clISt17integral_constantIbLb0EESZ_EEDaSU_SV_EUlSU_E_NS1_11comp_targetILNS1_3genE0ELNS1_11target_archE4294967295ELNS1_3gpuE0ELNS1_3repE0EEENS1_30default_config_static_selectorELNS0_4arch9wavefront6targetE0EEEvT1_,comdat
	.protected	_ZN7rocprim17ROCPRIM_400000_NS6detail17trampoline_kernelINS0_14default_configENS1_27scan_by_key_config_selectorIssEEZZNS1_16scan_by_key_implILNS1_25lookback_scan_determinismE0ELb1ES3_N6thrust23THRUST_200600_302600_NS6detail15normal_iteratorINS9_10device_ptrIsEEEESE_SE_sNS9_4plusIvEENS9_8equal_toIsEEsEE10hipError_tPvRmT2_T3_T4_T5_mT6_T7_P12ihipStream_tbENKUlT_T0_E_clISt17integral_constantIbLb0EESZ_EEDaSU_SV_EUlSU_E_NS1_11comp_targetILNS1_3genE0ELNS1_11target_archE4294967295ELNS1_3gpuE0ELNS1_3repE0EEENS1_30default_config_static_selectorELNS0_4arch9wavefront6targetE0EEEvT1_ ; -- Begin function _ZN7rocprim17ROCPRIM_400000_NS6detail17trampoline_kernelINS0_14default_configENS1_27scan_by_key_config_selectorIssEEZZNS1_16scan_by_key_implILNS1_25lookback_scan_determinismE0ELb1ES3_N6thrust23THRUST_200600_302600_NS6detail15normal_iteratorINS9_10device_ptrIsEEEESE_SE_sNS9_4plusIvEENS9_8equal_toIsEEsEE10hipError_tPvRmT2_T3_T4_T5_mT6_T7_P12ihipStream_tbENKUlT_T0_E_clISt17integral_constantIbLb0EESZ_EEDaSU_SV_EUlSU_E_NS1_11comp_targetILNS1_3genE0ELNS1_11target_archE4294967295ELNS1_3gpuE0ELNS1_3repE0EEENS1_30default_config_static_selectorELNS0_4arch9wavefront6targetE0EEEvT1_
	.globl	_ZN7rocprim17ROCPRIM_400000_NS6detail17trampoline_kernelINS0_14default_configENS1_27scan_by_key_config_selectorIssEEZZNS1_16scan_by_key_implILNS1_25lookback_scan_determinismE0ELb1ES3_N6thrust23THRUST_200600_302600_NS6detail15normal_iteratorINS9_10device_ptrIsEEEESE_SE_sNS9_4plusIvEENS9_8equal_toIsEEsEE10hipError_tPvRmT2_T3_T4_T5_mT6_T7_P12ihipStream_tbENKUlT_T0_E_clISt17integral_constantIbLb0EESZ_EEDaSU_SV_EUlSU_E_NS1_11comp_targetILNS1_3genE0ELNS1_11target_archE4294967295ELNS1_3gpuE0ELNS1_3repE0EEENS1_30default_config_static_selectorELNS0_4arch9wavefront6targetE0EEEvT1_
	.p2align	8
	.type	_ZN7rocprim17ROCPRIM_400000_NS6detail17trampoline_kernelINS0_14default_configENS1_27scan_by_key_config_selectorIssEEZZNS1_16scan_by_key_implILNS1_25lookback_scan_determinismE0ELb1ES3_N6thrust23THRUST_200600_302600_NS6detail15normal_iteratorINS9_10device_ptrIsEEEESE_SE_sNS9_4plusIvEENS9_8equal_toIsEEsEE10hipError_tPvRmT2_T3_T4_T5_mT6_T7_P12ihipStream_tbENKUlT_T0_E_clISt17integral_constantIbLb0EESZ_EEDaSU_SV_EUlSU_E_NS1_11comp_targetILNS1_3genE0ELNS1_11target_archE4294967295ELNS1_3gpuE0ELNS1_3repE0EEENS1_30default_config_static_selectorELNS0_4arch9wavefront6targetE0EEEvT1_,@function
_ZN7rocprim17ROCPRIM_400000_NS6detail17trampoline_kernelINS0_14default_configENS1_27scan_by_key_config_selectorIssEEZZNS1_16scan_by_key_implILNS1_25lookback_scan_determinismE0ELb1ES3_N6thrust23THRUST_200600_302600_NS6detail15normal_iteratorINS9_10device_ptrIsEEEESE_SE_sNS9_4plusIvEENS9_8equal_toIsEEsEE10hipError_tPvRmT2_T3_T4_T5_mT6_T7_P12ihipStream_tbENKUlT_T0_E_clISt17integral_constantIbLb0EESZ_EEDaSU_SV_EUlSU_E_NS1_11comp_targetILNS1_3genE0ELNS1_11target_archE4294967295ELNS1_3gpuE0ELNS1_3repE0EEENS1_30default_config_static_selectorELNS0_4arch9wavefront6targetE0EEEvT1_: ; @_ZN7rocprim17ROCPRIM_400000_NS6detail17trampoline_kernelINS0_14default_configENS1_27scan_by_key_config_selectorIssEEZZNS1_16scan_by_key_implILNS1_25lookback_scan_determinismE0ELb1ES3_N6thrust23THRUST_200600_302600_NS6detail15normal_iteratorINS9_10device_ptrIsEEEESE_SE_sNS9_4plusIvEENS9_8equal_toIsEEsEE10hipError_tPvRmT2_T3_T4_T5_mT6_T7_P12ihipStream_tbENKUlT_T0_E_clISt17integral_constantIbLb0EESZ_EEDaSU_SV_EUlSU_E_NS1_11comp_targetILNS1_3genE0ELNS1_11target_archE4294967295ELNS1_3gpuE0ELNS1_3repE0EEENS1_30default_config_static_selectorELNS0_4arch9wavefront6targetE0EEEvT1_
; %bb.0:
	.section	.rodata,"a",@progbits
	.p2align	6, 0x0
	.amdhsa_kernel _ZN7rocprim17ROCPRIM_400000_NS6detail17trampoline_kernelINS0_14default_configENS1_27scan_by_key_config_selectorIssEEZZNS1_16scan_by_key_implILNS1_25lookback_scan_determinismE0ELb1ES3_N6thrust23THRUST_200600_302600_NS6detail15normal_iteratorINS9_10device_ptrIsEEEESE_SE_sNS9_4plusIvEENS9_8equal_toIsEEsEE10hipError_tPvRmT2_T3_T4_T5_mT6_T7_P12ihipStream_tbENKUlT_T0_E_clISt17integral_constantIbLb0EESZ_EEDaSU_SV_EUlSU_E_NS1_11comp_targetILNS1_3genE0ELNS1_11target_archE4294967295ELNS1_3gpuE0ELNS1_3repE0EEENS1_30default_config_static_selectorELNS0_4arch9wavefront6targetE0EEEvT1_
		.amdhsa_group_segment_fixed_size 0
		.amdhsa_private_segment_fixed_size 0
		.amdhsa_kernarg_size 112
		.amdhsa_user_sgpr_count 6
		.amdhsa_user_sgpr_private_segment_buffer 1
		.amdhsa_user_sgpr_dispatch_ptr 0
		.amdhsa_user_sgpr_queue_ptr 0
		.amdhsa_user_sgpr_kernarg_segment_ptr 1
		.amdhsa_user_sgpr_dispatch_id 0
		.amdhsa_user_sgpr_flat_scratch_init 0
		.amdhsa_user_sgpr_private_segment_size 0
		.amdhsa_wavefront_size32 1
		.amdhsa_uses_dynamic_stack 0
		.amdhsa_system_sgpr_private_segment_wavefront_offset 0
		.amdhsa_system_sgpr_workgroup_id_x 1
		.amdhsa_system_sgpr_workgroup_id_y 0
		.amdhsa_system_sgpr_workgroup_id_z 0
		.amdhsa_system_sgpr_workgroup_info 0
		.amdhsa_system_vgpr_workitem_id 0
		.amdhsa_next_free_vgpr 1
		.amdhsa_next_free_sgpr 1
		.amdhsa_reserve_vcc 0
		.amdhsa_reserve_flat_scratch 0
		.amdhsa_float_round_mode_32 0
		.amdhsa_float_round_mode_16_64 0
		.amdhsa_float_denorm_mode_32 3
		.amdhsa_float_denorm_mode_16_64 3
		.amdhsa_dx10_clamp 1
		.amdhsa_ieee_mode 1
		.amdhsa_fp16_overflow 0
		.amdhsa_workgroup_processor_mode 1
		.amdhsa_memory_ordered 1
		.amdhsa_forward_progress 1
		.amdhsa_shared_vgpr_count 0
		.amdhsa_exception_fp_ieee_invalid_op 0
		.amdhsa_exception_fp_denorm_src 0
		.amdhsa_exception_fp_ieee_div_zero 0
		.amdhsa_exception_fp_ieee_overflow 0
		.amdhsa_exception_fp_ieee_underflow 0
		.amdhsa_exception_fp_ieee_inexact 0
		.amdhsa_exception_int_div_zero 0
	.end_amdhsa_kernel
	.section	.text._ZN7rocprim17ROCPRIM_400000_NS6detail17trampoline_kernelINS0_14default_configENS1_27scan_by_key_config_selectorIssEEZZNS1_16scan_by_key_implILNS1_25lookback_scan_determinismE0ELb1ES3_N6thrust23THRUST_200600_302600_NS6detail15normal_iteratorINS9_10device_ptrIsEEEESE_SE_sNS9_4plusIvEENS9_8equal_toIsEEsEE10hipError_tPvRmT2_T3_T4_T5_mT6_T7_P12ihipStream_tbENKUlT_T0_E_clISt17integral_constantIbLb0EESZ_EEDaSU_SV_EUlSU_E_NS1_11comp_targetILNS1_3genE0ELNS1_11target_archE4294967295ELNS1_3gpuE0ELNS1_3repE0EEENS1_30default_config_static_selectorELNS0_4arch9wavefront6targetE0EEEvT1_,"axG",@progbits,_ZN7rocprim17ROCPRIM_400000_NS6detail17trampoline_kernelINS0_14default_configENS1_27scan_by_key_config_selectorIssEEZZNS1_16scan_by_key_implILNS1_25lookback_scan_determinismE0ELb1ES3_N6thrust23THRUST_200600_302600_NS6detail15normal_iteratorINS9_10device_ptrIsEEEESE_SE_sNS9_4plusIvEENS9_8equal_toIsEEsEE10hipError_tPvRmT2_T3_T4_T5_mT6_T7_P12ihipStream_tbENKUlT_T0_E_clISt17integral_constantIbLb0EESZ_EEDaSU_SV_EUlSU_E_NS1_11comp_targetILNS1_3genE0ELNS1_11target_archE4294967295ELNS1_3gpuE0ELNS1_3repE0EEENS1_30default_config_static_selectorELNS0_4arch9wavefront6targetE0EEEvT1_,comdat
.Lfunc_end641:
	.size	_ZN7rocprim17ROCPRIM_400000_NS6detail17trampoline_kernelINS0_14default_configENS1_27scan_by_key_config_selectorIssEEZZNS1_16scan_by_key_implILNS1_25lookback_scan_determinismE0ELb1ES3_N6thrust23THRUST_200600_302600_NS6detail15normal_iteratorINS9_10device_ptrIsEEEESE_SE_sNS9_4plusIvEENS9_8equal_toIsEEsEE10hipError_tPvRmT2_T3_T4_T5_mT6_T7_P12ihipStream_tbENKUlT_T0_E_clISt17integral_constantIbLb0EESZ_EEDaSU_SV_EUlSU_E_NS1_11comp_targetILNS1_3genE0ELNS1_11target_archE4294967295ELNS1_3gpuE0ELNS1_3repE0EEENS1_30default_config_static_selectorELNS0_4arch9wavefront6targetE0EEEvT1_, .Lfunc_end641-_ZN7rocprim17ROCPRIM_400000_NS6detail17trampoline_kernelINS0_14default_configENS1_27scan_by_key_config_selectorIssEEZZNS1_16scan_by_key_implILNS1_25lookback_scan_determinismE0ELb1ES3_N6thrust23THRUST_200600_302600_NS6detail15normal_iteratorINS9_10device_ptrIsEEEESE_SE_sNS9_4plusIvEENS9_8equal_toIsEEsEE10hipError_tPvRmT2_T3_T4_T5_mT6_T7_P12ihipStream_tbENKUlT_T0_E_clISt17integral_constantIbLb0EESZ_EEDaSU_SV_EUlSU_E_NS1_11comp_targetILNS1_3genE0ELNS1_11target_archE4294967295ELNS1_3gpuE0ELNS1_3repE0EEENS1_30default_config_static_selectorELNS0_4arch9wavefront6targetE0EEEvT1_
                                        ; -- End function
	.set _ZN7rocprim17ROCPRIM_400000_NS6detail17trampoline_kernelINS0_14default_configENS1_27scan_by_key_config_selectorIssEEZZNS1_16scan_by_key_implILNS1_25lookback_scan_determinismE0ELb1ES3_N6thrust23THRUST_200600_302600_NS6detail15normal_iteratorINS9_10device_ptrIsEEEESE_SE_sNS9_4plusIvEENS9_8equal_toIsEEsEE10hipError_tPvRmT2_T3_T4_T5_mT6_T7_P12ihipStream_tbENKUlT_T0_E_clISt17integral_constantIbLb0EESZ_EEDaSU_SV_EUlSU_E_NS1_11comp_targetILNS1_3genE0ELNS1_11target_archE4294967295ELNS1_3gpuE0ELNS1_3repE0EEENS1_30default_config_static_selectorELNS0_4arch9wavefront6targetE0EEEvT1_.num_vgpr, 0
	.set _ZN7rocprim17ROCPRIM_400000_NS6detail17trampoline_kernelINS0_14default_configENS1_27scan_by_key_config_selectorIssEEZZNS1_16scan_by_key_implILNS1_25lookback_scan_determinismE0ELb1ES3_N6thrust23THRUST_200600_302600_NS6detail15normal_iteratorINS9_10device_ptrIsEEEESE_SE_sNS9_4plusIvEENS9_8equal_toIsEEsEE10hipError_tPvRmT2_T3_T4_T5_mT6_T7_P12ihipStream_tbENKUlT_T0_E_clISt17integral_constantIbLb0EESZ_EEDaSU_SV_EUlSU_E_NS1_11comp_targetILNS1_3genE0ELNS1_11target_archE4294967295ELNS1_3gpuE0ELNS1_3repE0EEENS1_30default_config_static_selectorELNS0_4arch9wavefront6targetE0EEEvT1_.num_agpr, 0
	.set _ZN7rocprim17ROCPRIM_400000_NS6detail17trampoline_kernelINS0_14default_configENS1_27scan_by_key_config_selectorIssEEZZNS1_16scan_by_key_implILNS1_25lookback_scan_determinismE0ELb1ES3_N6thrust23THRUST_200600_302600_NS6detail15normal_iteratorINS9_10device_ptrIsEEEESE_SE_sNS9_4plusIvEENS9_8equal_toIsEEsEE10hipError_tPvRmT2_T3_T4_T5_mT6_T7_P12ihipStream_tbENKUlT_T0_E_clISt17integral_constantIbLb0EESZ_EEDaSU_SV_EUlSU_E_NS1_11comp_targetILNS1_3genE0ELNS1_11target_archE4294967295ELNS1_3gpuE0ELNS1_3repE0EEENS1_30default_config_static_selectorELNS0_4arch9wavefront6targetE0EEEvT1_.numbered_sgpr, 0
	.set _ZN7rocprim17ROCPRIM_400000_NS6detail17trampoline_kernelINS0_14default_configENS1_27scan_by_key_config_selectorIssEEZZNS1_16scan_by_key_implILNS1_25lookback_scan_determinismE0ELb1ES3_N6thrust23THRUST_200600_302600_NS6detail15normal_iteratorINS9_10device_ptrIsEEEESE_SE_sNS9_4plusIvEENS9_8equal_toIsEEsEE10hipError_tPvRmT2_T3_T4_T5_mT6_T7_P12ihipStream_tbENKUlT_T0_E_clISt17integral_constantIbLb0EESZ_EEDaSU_SV_EUlSU_E_NS1_11comp_targetILNS1_3genE0ELNS1_11target_archE4294967295ELNS1_3gpuE0ELNS1_3repE0EEENS1_30default_config_static_selectorELNS0_4arch9wavefront6targetE0EEEvT1_.num_named_barrier, 0
	.set _ZN7rocprim17ROCPRIM_400000_NS6detail17trampoline_kernelINS0_14default_configENS1_27scan_by_key_config_selectorIssEEZZNS1_16scan_by_key_implILNS1_25lookback_scan_determinismE0ELb1ES3_N6thrust23THRUST_200600_302600_NS6detail15normal_iteratorINS9_10device_ptrIsEEEESE_SE_sNS9_4plusIvEENS9_8equal_toIsEEsEE10hipError_tPvRmT2_T3_T4_T5_mT6_T7_P12ihipStream_tbENKUlT_T0_E_clISt17integral_constantIbLb0EESZ_EEDaSU_SV_EUlSU_E_NS1_11comp_targetILNS1_3genE0ELNS1_11target_archE4294967295ELNS1_3gpuE0ELNS1_3repE0EEENS1_30default_config_static_selectorELNS0_4arch9wavefront6targetE0EEEvT1_.private_seg_size, 0
	.set _ZN7rocprim17ROCPRIM_400000_NS6detail17trampoline_kernelINS0_14default_configENS1_27scan_by_key_config_selectorIssEEZZNS1_16scan_by_key_implILNS1_25lookback_scan_determinismE0ELb1ES3_N6thrust23THRUST_200600_302600_NS6detail15normal_iteratorINS9_10device_ptrIsEEEESE_SE_sNS9_4plusIvEENS9_8equal_toIsEEsEE10hipError_tPvRmT2_T3_T4_T5_mT6_T7_P12ihipStream_tbENKUlT_T0_E_clISt17integral_constantIbLb0EESZ_EEDaSU_SV_EUlSU_E_NS1_11comp_targetILNS1_3genE0ELNS1_11target_archE4294967295ELNS1_3gpuE0ELNS1_3repE0EEENS1_30default_config_static_selectorELNS0_4arch9wavefront6targetE0EEEvT1_.uses_vcc, 0
	.set _ZN7rocprim17ROCPRIM_400000_NS6detail17trampoline_kernelINS0_14default_configENS1_27scan_by_key_config_selectorIssEEZZNS1_16scan_by_key_implILNS1_25lookback_scan_determinismE0ELb1ES3_N6thrust23THRUST_200600_302600_NS6detail15normal_iteratorINS9_10device_ptrIsEEEESE_SE_sNS9_4plusIvEENS9_8equal_toIsEEsEE10hipError_tPvRmT2_T3_T4_T5_mT6_T7_P12ihipStream_tbENKUlT_T0_E_clISt17integral_constantIbLb0EESZ_EEDaSU_SV_EUlSU_E_NS1_11comp_targetILNS1_3genE0ELNS1_11target_archE4294967295ELNS1_3gpuE0ELNS1_3repE0EEENS1_30default_config_static_selectorELNS0_4arch9wavefront6targetE0EEEvT1_.uses_flat_scratch, 0
	.set _ZN7rocprim17ROCPRIM_400000_NS6detail17trampoline_kernelINS0_14default_configENS1_27scan_by_key_config_selectorIssEEZZNS1_16scan_by_key_implILNS1_25lookback_scan_determinismE0ELb1ES3_N6thrust23THRUST_200600_302600_NS6detail15normal_iteratorINS9_10device_ptrIsEEEESE_SE_sNS9_4plusIvEENS9_8equal_toIsEEsEE10hipError_tPvRmT2_T3_T4_T5_mT6_T7_P12ihipStream_tbENKUlT_T0_E_clISt17integral_constantIbLb0EESZ_EEDaSU_SV_EUlSU_E_NS1_11comp_targetILNS1_3genE0ELNS1_11target_archE4294967295ELNS1_3gpuE0ELNS1_3repE0EEENS1_30default_config_static_selectorELNS0_4arch9wavefront6targetE0EEEvT1_.has_dyn_sized_stack, 0
	.set _ZN7rocprim17ROCPRIM_400000_NS6detail17trampoline_kernelINS0_14default_configENS1_27scan_by_key_config_selectorIssEEZZNS1_16scan_by_key_implILNS1_25lookback_scan_determinismE0ELb1ES3_N6thrust23THRUST_200600_302600_NS6detail15normal_iteratorINS9_10device_ptrIsEEEESE_SE_sNS9_4plusIvEENS9_8equal_toIsEEsEE10hipError_tPvRmT2_T3_T4_T5_mT6_T7_P12ihipStream_tbENKUlT_T0_E_clISt17integral_constantIbLb0EESZ_EEDaSU_SV_EUlSU_E_NS1_11comp_targetILNS1_3genE0ELNS1_11target_archE4294967295ELNS1_3gpuE0ELNS1_3repE0EEENS1_30default_config_static_selectorELNS0_4arch9wavefront6targetE0EEEvT1_.has_recursion, 0
	.set _ZN7rocprim17ROCPRIM_400000_NS6detail17trampoline_kernelINS0_14default_configENS1_27scan_by_key_config_selectorIssEEZZNS1_16scan_by_key_implILNS1_25lookback_scan_determinismE0ELb1ES3_N6thrust23THRUST_200600_302600_NS6detail15normal_iteratorINS9_10device_ptrIsEEEESE_SE_sNS9_4plusIvEENS9_8equal_toIsEEsEE10hipError_tPvRmT2_T3_T4_T5_mT6_T7_P12ihipStream_tbENKUlT_T0_E_clISt17integral_constantIbLb0EESZ_EEDaSU_SV_EUlSU_E_NS1_11comp_targetILNS1_3genE0ELNS1_11target_archE4294967295ELNS1_3gpuE0ELNS1_3repE0EEENS1_30default_config_static_selectorELNS0_4arch9wavefront6targetE0EEEvT1_.has_indirect_call, 0
	.section	.AMDGPU.csdata,"",@progbits
; Kernel info:
; codeLenInByte = 0
; TotalNumSgprs: 0
; NumVgprs: 0
; ScratchSize: 0
; MemoryBound: 0
; FloatMode: 240
; IeeeMode: 1
; LDSByteSize: 0 bytes/workgroup (compile time only)
; SGPRBlocks: 0
; VGPRBlocks: 0
; NumSGPRsForWavesPerEU: 1
; NumVGPRsForWavesPerEU: 1
; Occupancy: 16
; WaveLimiterHint : 0
; COMPUTE_PGM_RSRC2:SCRATCH_EN: 0
; COMPUTE_PGM_RSRC2:USER_SGPR: 6
; COMPUTE_PGM_RSRC2:TRAP_HANDLER: 0
; COMPUTE_PGM_RSRC2:TGID_X_EN: 1
; COMPUTE_PGM_RSRC2:TGID_Y_EN: 0
; COMPUTE_PGM_RSRC2:TGID_Z_EN: 0
; COMPUTE_PGM_RSRC2:TIDIG_COMP_CNT: 0
	.section	.text._ZN7rocprim17ROCPRIM_400000_NS6detail17trampoline_kernelINS0_14default_configENS1_27scan_by_key_config_selectorIssEEZZNS1_16scan_by_key_implILNS1_25lookback_scan_determinismE0ELb1ES3_N6thrust23THRUST_200600_302600_NS6detail15normal_iteratorINS9_10device_ptrIsEEEESE_SE_sNS9_4plusIvEENS9_8equal_toIsEEsEE10hipError_tPvRmT2_T3_T4_T5_mT6_T7_P12ihipStream_tbENKUlT_T0_E_clISt17integral_constantIbLb0EESZ_EEDaSU_SV_EUlSU_E_NS1_11comp_targetILNS1_3genE10ELNS1_11target_archE1201ELNS1_3gpuE5ELNS1_3repE0EEENS1_30default_config_static_selectorELNS0_4arch9wavefront6targetE0EEEvT1_,"axG",@progbits,_ZN7rocprim17ROCPRIM_400000_NS6detail17trampoline_kernelINS0_14default_configENS1_27scan_by_key_config_selectorIssEEZZNS1_16scan_by_key_implILNS1_25lookback_scan_determinismE0ELb1ES3_N6thrust23THRUST_200600_302600_NS6detail15normal_iteratorINS9_10device_ptrIsEEEESE_SE_sNS9_4plusIvEENS9_8equal_toIsEEsEE10hipError_tPvRmT2_T3_T4_T5_mT6_T7_P12ihipStream_tbENKUlT_T0_E_clISt17integral_constantIbLb0EESZ_EEDaSU_SV_EUlSU_E_NS1_11comp_targetILNS1_3genE10ELNS1_11target_archE1201ELNS1_3gpuE5ELNS1_3repE0EEENS1_30default_config_static_selectorELNS0_4arch9wavefront6targetE0EEEvT1_,comdat
	.protected	_ZN7rocprim17ROCPRIM_400000_NS6detail17trampoline_kernelINS0_14default_configENS1_27scan_by_key_config_selectorIssEEZZNS1_16scan_by_key_implILNS1_25lookback_scan_determinismE0ELb1ES3_N6thrust23THRUST_200600_302600_NS6detail15normal_iteratorINS9_10device_ptrIsEEEESE_SE_sNS9_4plusIvEENS9_8equal_toIsEEsEE10hipError_tPvRmT2_T3_T4_T5_mT6_T7_P12ihipStream_tbENKUlT_T0_E_clISt17integral_constantIbLb0EESZ_EEDaSU_SV_EUlSU_E_NS1_11comp_targetILNS1_3genE10ELNS1_11target_archE1201ELNS1_3gpuE5ELNS1_3repE0EEENS1_30default_config_static_selectorELNS0_4arch9wavefront6targetE0EEEvT1_ ; -- Begin function _ZN7rocprim17ROCPRIM_400000_NS6detail17trampoline_kernelINS0_14default_configENS1_27scan_by_key_config_selectorIssEEZZNS1_16scan_by_key_implILNS1_25lookback_scan_determinismE0ELb1ES3_N6thrust23THRUST_200600_302600_NS6detail15normal_iteratorINS9_10device_ptrIsEEEESE_SE_sNS9_4plusIvEENS9_8equal_toIsEEsEE10hipError_tPvRmT2_T3_T4_T5_mT6_T7_P12ihipStream_tbENKUlT_T0_E_clISt17integral_constantIbLb0EESZ_EEDaSU_SV_EUlSU_E_NS1_11comp_targetILNS1_3genE10ELNS1_11target_archE1201ELNS1_3gpuE5ELNS1_3repE0EEENS1_30default_config_static_selectorELNS0_4arch9wavefront6targetE0EEEvT1_
	.globl	_ZN7rocprim17ROCPRIM_400000_NS6detail17trampoline_kernelINS0_14default_configENS1_27scan_by_key_config_selectorIssEEZZNS1_16scan_by_key_implILNS1_25lookback_scan_determinismE0ELb1ES3_N6thrust23THRUST_200600_302600_NS6detail15normal_iteratorINS9_10device_ptrIsEEEESE_SE_sNS9_4plusIvEENS9_8equal_toIsEEsEE10hipError_tPvRmT2_T3_T4_T5_mT6_T7_P12ihipStream_tbENKUlT_T0_E_clISt17integral_constantIbLb0EESZ_EEDaSU_SV_EUlSU_E_NS1_11comp_targetILNS1_3genE10ELNS1_11target_archE1201ELNS1_3gpuE5ELNS1_3repE0EEENS1_30default_config_static_selectorELNS0_4arch9wavefront6targetE0EEEvT1_
	.p2align	8
	.type	_ZN7rocprim17ROCPRIM_400000_NS6detail17trampoline_kernelINS0_14default_configENS1_27scan_by_key_config_selectorIssEEZZNS1_16scan_by_key_implILNS1_25lookback_scan_determinismE0ELb1ES3_N6thrust23THRUST_200600_302600_NS6detail15normal_iteratorINS9_10device_ptrIsEEEESE_SE_sNS9_4plusIvEENS9_8equal_toIsEEsEE10hipError_tPvRmT2_T3_T4_T5_mT6_T7_P12ihipStream_tbENKUlT_T0_E_clISt17integral_constantIbLb0EESZ_EEDaSU_SV_EUlSU_E_NS1_11comp_targetILNS1_3genE10ELNS1_11target_archE1201ELNS1_3gpuE5ELNS1_3repE0EEENS1_30default_config_static_selectorELNS0_4arch9wavefront6targetE0EEEvT1_,@function
_ZN7rocprim17ROCPRIM_400000_NS6detail17trampoline_kernelINS0_14default_configENS1_27scan_by_key_config_selectorIssEEZZNS1_16scan_by_key_implILNS1_25lookback_scan_determinismE0ELb1ES3_N6thrust23THRUST_200600_302600_NS6detail15normal_iteratorINS9_10device_ptrIsEEEESE_SE_sNS9_4plusIvEENS9_8equal_toIsEEsEE10hipError_tPvRmT2_T3_T4_T5_mT6_T7_P12ihipStream_tbENKUlT_T0_E_clISt17integral_constantIbLb0EESZ_EEDaSU_SV_EUlSU_E_NS1_11comp_targetILNS1_3genE10ELNS1_11target_archE1201ELNS1_3gpuE5ELNS1_3repE0EEENS1_30default_config_static_selectorELNS0_4arch9wavefront6targetE0EEEvT1_: ; @_ZN7rocprim17ROCPRIM_400000_NS6detail17trampoline_kernelINS0_14default_configENS1_27scan_by_key_config_selectorIssEEZZNS1_16scan_by_key_implILNS1_25lookback_scan_determinismE0ELb1ES3_N6thrust23THRUST_200600_302600_NS6detail15normal_iteratorINS9_10device_ptrIsEEEESE_SE_sNS9_4plusIvEENS9_8equal_toIsEEsEE10hipError_tPvRmT2_T3_T4_T5_mT6_T7_P12ihipStream_tbENKUlT_T0_E_clISt17integral_constantIbLb0EESZ_EEDaSU_SV_EUlSU_E_NS1_11comp_targetILNS1_3genE10ELNS1_11target_archE1201ELNS1_3gpuE5ELNS1_3repE0EEENS1_30default_config_static_selectorELNS0_4arch9wavefront6targetE0EEEvT1_
; %bb.0:
	.section	.rodata,"a",@progbits
	.p2align	6, 0x0
	.amdhsa_kernel _ZN7rocprim17ROCPRIM_400000_NS6detail17trampoline_kernelINS0_14default_configENS1_27scan_by_key_config_selectorIssEEZZNS1_16scan_by_key_implILNS1_25lookback_scan_determinismE0ELb1ES3_N6thrust23THRUST_200600_302600_NS6detail15normal_iteratorINS9_10device_ptrIsEEEESE_SE_sNS9_4plusIvEENS9_8equal_toIsEEsEE10hipError_tPvRmT2_T3_T4_T5_mT6_T7_P12ihipStream_tbENKUlT_T0_E_clISt17integral_constantIbLb0EESZ_EEDaSU_SV_EUlSU_E_NS1_11comp_targetILNS1_3genE10ELNS1_11target_archE1201ELNS1_3gpuE5ELNS1_3repE0EEENS1_30default_config_static_selectorELNS0_4arch9wavefront6targetE0EEEvT1_
		.amdhsa_group_segment_fixed_size 0
		.amdhsa_private_segment_fixed_size 0
		.amdhsa_kernarg_size 112
		.amdhsa_user_sgpr_count 6
		.amdhsa_user_sgpr_private_segment_buffer 1
		.amdhsa_user_sgpr_dispatch_ptr 0
		.amdhsa_user_sgpr_queue_ptr 0
		.amdhsa_user_sgpr_kernarg_segment_ptr 1
		.amdhsa_user_sgpr_dispatch_id 0
		.amdhsa_user_sgpr_flat_scratch_init 0
		.amdhsa_user_sgpr_private_segment_size 0
		.amdhsa_wavefront_size32 1
		.amdhsa_uses_dynamic_stack 0
		.amdhsa_system_sgpr_private_segment_wavefront_offset 0
		.amdhsa_system_sgpr_workgroup_id_x 1
		.amdhsa_system_sgpr_workgroup_id_y 0
		.amdhsa_system_sgpr_workgroup_id_z 0
		.amdhsa_system_sgpr_workgroup_info 0
		.amdhsa_system_vgpr_workitem_id 0
		.amdhsa_next_free_vgpr 1
		.amdhsa_next_free_sgpr 1
		.amdhsa_reserve_vcc 0
		.amdhsa_reserve_flat_scratch 0
		.amdhsa_float_round_mode_32 0
		.amdhsa_float_round_mode_16_64 0
		.amdhsa_float_denorm_mode_32 3
		.amdhsa_float_denorm_mode_16_64 3
		.amdhsa_dx10_clamp 1
		.amdhsa_ieee_mode 1
		.amdhsa_fp16_overflow 0
		.amdhsa_workgroup_processor_mode 1
		.amdhsa_memory_ordered 1
		.amdhsa_forward_progress 1
		.amdhsa_shared_vgpr_count 0
		.amdhsa_exception_fp_ieee_invalid_op 0
		.amdhsa_exception_fp_denorm_src 0
		.amdhsa_exception_fp_ieee_div_zero 0
		.amdhsa_exception_fp_ieee_overflow 0
		.amdhsa_exception_fp_ieee_underflow 0
		.amdhsa_exception_fp_ieee_inexact 0
		.amdhsa_exception_int_div_zero 0
	.end_amdhsa_kernel
	.section	.text._ZN7rocprim17ROCPRIM_400000_NS6detail17trampoline_kernelINS0_14default_configENS1_27scan_by_key_config_selectorIssEEZZNS1_16scan_by_key_implILNS1_25lookback_scan_determinismE0ELb1ES3_N6thrust23THRUST_200600_302600_NS6detail15normal_iteratorINS9_10device_ptrIsEEEESE_SE_sNS9_4plusIvEENS9_8equal_toIsEEsEE10hipError_tPvRmT2_T3_T4_T5_mT6_T7_P12ihipStream_tbENKUlT_T0_E_clISt17integral_constantIbLb0EESZ_EEDaSU_SV_EUlSU_E_NS1_11comp_targetILNS1_3genE10ELNS1_11target_archE1201ELNS1_3gpuE5ELNS1_3repE0EEENS1_30default_config_static_selectorELNS0_4arch9wavefront6targetE0EEEvT1_,"axG",@progbits,_ZN7rocprim17ROCPRIM_400000_NS6detail17trampoline_kernelINS0_14default_configENS1_27scan_by_key_config_selectorIssEEZZNS1_16scan_by_key_implILNS1_25lookback_scan_determinismE0ELb1ES3_N6thrust23THRUST_200600_302600_NS6detail15normal_iteratorINS9_10device_ptrIsEEEESE_SE_sNS9_4plusIvEENS9_8equal_toIsEEsEE10hipError_tPvRmT2_T3_T4_T5_mT6_T7_P12ihipStream_tbENKUlT_T0_E_clISt17integral_constantIbLb0EESZ_EEDaSU_SV_EUlSU_E_NS1_11comp_targetILNS1_3genE10ELNS1_11target_archE1201ELNS1_3gpuE5ELNS1_3repE0EEENS1_30default_config_static_selectorELNS0_4arch9wavefront6targetE0EEEvT1_,comdat
.Lfunc_end642:
	.size	_ZN7rocprim17ROCPRIM_400000_NS6detail17trampoline_kernelINS0_14default_configENS1_27scan_by_key_config_selectorIssEEZZNS1_16scan_by_key_implILNS1_25lookback_scan_determinismE0ELb1ES3_N6thrust23THRUST_200600_302600_NS6detail15normal_iteratorINS9_10device_ptrIsEEEESE_SE_sNS9_4plusIvEENS9_8equal_toIsEEsEE10hipError_tPvRmT2_T3_T4_T5_mT6_T7_P12ihipStream_tbENKUlT_T0_E_clISt17integral_constantIbLb0EESZ_EEDaSU_SV_EUlSU_E_NS1_11comp_targetILNS1_3genE10ELNS1_11target_archE1201ELNS1_3gpuE5ELNS1_3repE0EEENS1_30default_config_static_selectorELNS0_4arch9wavefront6targetE0EEEvT1_, .Lfunc_end642-_ZN7rocprim17ROCPRIM_400000_NS6detail17trampoline_kernelINS0_14default_configENS1_27scan_by_key_config_selectorIssEEZZNS1_16scan_by_key_implILNS1_25lookback_scan_determinismE0ELb1ES3_N6thrust23THRUST_200600_302600_NS6detail15normal_iteratorINS9_10device_ptrIsEEEESE_SE_sNS9_4plusIvEENS9_8equal_toIsEEsEE10hipError_tPvRmT2_T3_T4_T5_mT6_T7_P12ihipStream_tbENKUlT_T0_E_clISt17integral_constantIbLb0EESZ_EEDaSU_SV_EUlSU_E_NS1_11comp_targetILNS1_3genE10ELNS1_11target_archE1201ELNS1_3gpuE5ELNS1_3repE0EEENS1_30default_config_static_selectorELNS0_4arch9wavefront6targetE0EEEvT1_
                                        ; -- End function
	.set _ZN7rocprim17ROCPRIM_400000_NS6detail17trampoline_kernelINS0_14default_configENS1_27scan_by_key_config_selectorIssEEZZNS1_16scan_by_key_implILNS1_25lookback_scan_determinismE0ELb1ES3_N6thrust23THRUST_200600_302600_NS6detail15normal_iteratorINS9_10device_ptrIsEEEESE_SE_sNS9_4plusIvEENS9_8equal_toIsEEsEE10hipError_tPvRmT2_T3_T4_T5_mT6_T7_P12ihipStream_tbENKUlT_T0_E_clISt17integral_constantIbLb0EESZ_EEDaSU_SV_EUlSU_E_NS1_11comp_targetILNS1_3genE10ELNS1_11target_archE1201ELNS1_3gpuE5ELNS1_3repE0EEENS1_30default_config_static_selectorELNS0_4arch9wavefront6targetE0EEEvT1_.num_vgpr, 0
	.set _ZN7rocprim17ROCPRIM_400000_NS6detail17trampoline_kernelINS0_14default_configENS1_27scan_by_key_config_selectorIssEEZZNS1_16scan_by_key_implILNS1_25lookback_scan_determinismE0ELb1ES3_N6thrust23THRUST_200600_302600_NS6detail15normal_iteratorINS9_10device_ptrIsEEEESE_SE_sNS9_4plusIvEENS9_8equal_toIsEEsEE10hipError_tPvRmT2_T3_T4_T5_mT6_T7_P12ihipStream_tbENKUlT_T0_E_clISt17integral_constantIbLb0EESZ_EEDaSU_SV_EUlSU_E_NS1_11comp_targetILNS1_3genE10ELNS1_11target_archE1201ELNS1_3gpuE5ELNS1_3repE0EEENS1_30default_config_static_selectorELNS0_4arch9wavefront6targetE0EEEvT1_.num_agpr, 0
	.set _ZN7rocprim17ROCPRIM_400000_NS6detail17trampoline_kernelINS0_14default_configENS1_27scan_by_key_config_selectorIssEEZZNS1_16scan_by_key_implILNS1_25lookback_scan_determinismE0ELb1ES3_N6thrust23THRUST_200600_302600_NS6detail15normal_iteratorINS9_10device_ptrIsEEEESE_SE_sNS9_4plusIvEENS9_8equal_toIsEEsEE10hipError_tPvRmT2_T3_T4_T5_mT6_T7_P12ihipStream_tbENKUlT_T0_E_clISt17integral_constantIbLb0EESZ_EEDaSU_SV_EUlSU_E_NS1_11comp_targetILNS1_3genE10ELNS1_11target_archE1201ELNS1_3gpuE5ELNS1_3repE0EEENS1_30default_config_static_selectorELNS0_4arch9wavefront6targetE0EEEvT1_.numbered_sgpr, 0
	.set _ZN7rocprim17ROCPRIM_400000_NS6detail17trampoline_kernelINS0_14default_configENS1_27scan_by_key_config_selectorIssEEZZNS1_16scan_by_key_implILNS1_25lookback_scan_determinismE0ELb1ES3_N6thrust23THRUST_200600_302600_NS6detail15normal_iteratorINS9_10device_ptrIsEEEESE_SE_sNS9_4plusIvEENS9_8equal_toIsEEsEE10hipError_tPvRmT2_T3_T4_T5_mT6_T7_P12ihipStream_tbENKUlT_T0_E_clISt17integral_constantIbLb0EESZ_EEDaSU_SV_EUlSU_E_NS1_11comp_targetILNS1_3genE10ELNS1_11target_archE1201ELNS1_3gpuE5ELNS1_3repE0EEENS1_30default_config_static_selectorELNS0_4arch9wavefront6targetE0EEEvT1_.num_named_barrier, 0
	.set _ZN7rocprim17ROCPRIM_400000_NS6detail17trampoline_kernelINS0_14default_configENS1_27scan_by_key_config_selectorIssEEZZNS1_16scan_by_key_implILNS1_25lookback_scan_determinismE0ELb1ES3_N6thrust23THRUST_200600_302600_NS6detail15normal_iteratorINS9_10device_ptrIsEEEESE_SE_sNS9_4plusIvEENS9_8equal_toIsEEsEE10hipError_tPvRmT2_T3_T4_T5_mT6_T7_P12ihipStream_tbENKUlT_T0_E_clISt17integral_constantIbLb0EESZ_EEDaSU_SV_EUlSU_E_NS1_11comp_targetILNS1_3genE10ELNS1_11target_archE1201ELNS1_3gpuE5ELNS1_3repE0EEENS1_30default_config_static_selectorELNS0_4arch9wavefront6targetE0EEEvT1_.private_seg_size, 0
	.set _ZN7rocprim17ROCPRIM_400000_NS6detail17trampoline_kernelINS0_14default_configENS1_27scan_by_key_config_selectorIssEEZZNS1_16scan_by_key_implILNS1_25lookback_scan_determinismE0ELb1ES3_N6thrust23THRUST_200600_302600_NS6detail15normal_iteratorINS9_10device_ptrIsEEEESE_SE_sNS9_4plusIvEENS9_8equal_toIsEEsEE10hipError_tPvRmT2_T3_T4_T5_mT6_T7_P12ihipStream_tbENKUlT_T0_E_clISt17integral_constantIbLb0EESZ_EEDaSU_SV_EUlSU_E_NS1_11comp_targetILNS1_3genE10ELNS1_11target_archE1201ELNS1_3gpuE5ELNS1_3repE0EEENS1_30default_config_static_selectorELNS0_4arch9wavefront6targetE0EEEvT1_.uses_vcc, 0
	.set _ZN7rocprim17ROCPRIM_400000_NS6detail17trampoline_kernelINS0_14default_configENS1_27scan_by_key_config_selectorIssEEZZNS1_16scan_by_key_implILNS1_25lookback_scan_determinismE0ELb1ES3_N6thrust23THRUST_200600_302600_NS6detail15normal_iteratorINS9_10device_ptrIsEEEESE_SE_sNS9_4plusIvEENS9_8equal_toIsEEsEE10hipError_tPvRmT2_T3_T4_T5_mT6_T7_P12ihipStream_tbENKUlT_T0_E_clISt17integral_constantIbLb0EESZ_EEDaSU_SV_EUlSU_E_NS1_11comp_targetILNS1_3genE10ELNS1_11target_archE1201ELNS1_3gpuE5ELNS1_3repE0EEENS1_30default_config_static_selectorELNS0_4arch9wavefront6targetE0EEEvT1_.uses_flat_scratch, 0
	.set _ZN7rocprim17ROCPRIM_400000_NS6detail17trampoline_kernelINS0_14default_configENS1_27scan_by_key_config_selectorIssEEZZNS1_16scan_by_key_implILNS1_25lookback_scan_determinismE0ELb1ES3_N6thrust23THRUST_200600_302600_NS6detail15normal_iteratorINS9_10device_ptrIsEEEESE_SE_sNS9_4plusIvEENS9_8equal_toIsEEsEE10hipError_tPvRmT2_T3_T4_T5_mT6_T7_P12ihipStream_tbENKUlT_T0_E_clISt17integral_constantIbLb0EESZ_EEDaSU_SV_EUlSU_E_NS1_11comp_targetILNS1_3genE10ELNS1_11target_archE1201ELNS1_3gpuE5ELNS1_3repE0EEENS1_30default_config_static_selectorELNS0_4arch9wavefront6targetE0EEEvT1_.has_dyn_sized_stack, 0
	.set _ZN7rocprim17ROCPRIM_400000_NS6detail17trampoline_kernelINS0_14default_configENS1_27scan_by_key_config_selectorIssEEZZNS1_16scan_by_key_implILNS1_25lookback_scan_determinismE0ELb1ES3_N6thrust23THRUST_200600_302600_NS6detail15normal_iteratorINS9_10device_ptrIsEEEESE_SE_sNS9_4plusIvEENS9_8equal_toIsEEsEE10hipError_tPvRmT2_T3_T4_T5_mT6_T7_P12ihipStream_tbENKUlT_T0_E_clISt17integral_constantIbLb0EESZ_EEDaSU_SV_EUlSU_E_NS1_11comp_targetILNS1_3genE10ELNS1_11target_archE1201ELNS1_3gpuE5ELNS1_3repE0EEENS1_30default_config_static_selectorELNS0_4arch9wavefront6targetE0EEEvT1_.has_recursion, 0
	.set _ZN7rocprim17ROCPRIM_400000_NS6detail17trampoline_kernelINS0_14default_configENS1_27scan_by_key_config_selectorIssEEZZNS1_16scan_by_key_implILNS1_25lookback_scan_determinismE0ELb1ES3_N6thrust23THRUST_200600_302600_NS6detail15normal_iteratorINS9_10device_ptrIsEEEESE_SE_sNS9_4plusIvEENS9_8equal_toIsEEsEE10hipError_tPvRmT2_T3_T4_T5_mT6_T7_P12ihipStream_tbENKUlT_T0_E_clISt17integral_constantIbLb0EESZ_EEDaSU_SV_EUlSU_E_NS1_11comp_targetILNS1_3genE10ELNS1_11target_archE1201ELNS1_3gpuE5ELNS1_3repE0EEENS1_30default_config_static_selectorELNS0_4arch9wavefront6targetE0EEEvT1_.has_indirect_call, 0
	.section	.AMDGPU.csdata,"",@progbits
; Kernel info:
; codeLenInByte = 0
; TotalNumSgprs: 0
; NumVgprs: 0
; ScratchSize: 0
; MemoryBound: 0
; FloatMode: 240
; IeeeMode: 1
; LDSByteSize: 0 bytes/workgroup (compile time only)
; SGPRBlocks: 0
; VGPRBlocks: 0
; NumSGPRsForWavesPerEU: 1
; NumVGPRsForWavesPerEU: 1
; Occupancy: 16
; WaveLimiterHint : 0
; COMPUTE_PGM_RSRC2:SCRATCH_EN: 0
; COMPUTE_PGM_RSRC2:USER_SGPR: 6
; COMPUTE_PGM_RSRC2:TRAP_HANDLER: 0
; COMPUTE_PGM_RSRC2:TGID_X_EN: 1
; COMPUTE_PGM_RSRC2:TGID_Y_EN: 0
; COMPUTE_PGM_RSRC2:TGID_Z_EN: 0
; COMPUTE_PGM_RSRC2:TIDIG_COMP_CNT: 0
	.section	.text._ZN7rocprim17ROCPRIM_400000_NS6detail17trampoline_kernelINS0_14default_configENS1_27scan_by_key_config_selectorIssEEZZNS1_16scan_by_key_implILNS1_25lookback_scan_determinismE0ELb1ES3_N6thrust23THRUST_200600_302600_NS6detail15normal_iteratorINS9_10device_ptrIsEEEESE_SE_sNS9_4plusIvEENS9_8equal_toIsEEsEE10hipError_tPvRmT2_T3_T4_T5_mT6_T7_P12ihipStream_tbENKUlT_T0_E_clISt17integral_constantIbLb0EESZ_EEDaSU_SV_EUlSU_E_NS1_11comp_targetILNS1_3genE5ELNS1_11target_archE942ELNS1_3gpuE9ELNS1_3repE0EEENS1_30default_config_static_selectorELNS0_4arch9wavefront6targetE0EEEvT1_,"axG",@progbits,_ZN7rocprim17ROCPRIM_400000_NS6detail17trampoline_kernelINS0_14default_configENS1_27scan_by_key_config_selectorIssEEZZNS1_16scan_by_key_implILNS1_25lookback_scan_determinismE0ELb1ES3_N6thrust23THRUST_200600_302600_NS6detail15normal_iteratorINS9_10device_ptrIsEEEESE_SE_sNS9_4plusIvEENS9_8equal_toIsEEsEE10hipError_tPvRmT2_T3_T4_T5_mT6_T7_P12ihipStream_tbENKUlT_T0_E_clISt17integral_constantIbLb0EESZ_EEDaSU_SV_EUlSU_E_NS1_11comp_targetILNS1_3genE5ELNS1_11target_archE942ELNS1_3gpuE9ELNS1_3repE0EEENS1_30default_config_static_selectorELNS0_4arch9wavefront6targetE0EEEvT1_,comdat
	.protected	_ZN7rocprim17ROCPRIM_400000_NS6detail17trampoline_kernelINS0_14default_configENS1_27scan_by_key_config_selectorIssEEZZNS1_16scan_by_key_implILNS1_25lookback_scan_determinismE0ELb1ES3_N6thrust23THRUST_200600_302600_NS6detail15normal_iteratorINS9_10device_ptrIsEEEESE_SE_sNS9_4plusIvEENS9_8equal_toIsEEsEE10hipError_tPvRmT2_T3_T4_T5_mT6_T7_P12ihipStream_tbENKUlT_T0_E_clISt17integral_constantIbLb0EESZ_EEDaSU_SV_EUlSU_E_NS1_11comp_targetILNS1_3genE5ELNS1_11target_archE942ELNS1_3gpuE9ELNS1_3repE0EEENS1_30default_config_static_selectorELNS0_4arch9wavefront6targetE0EEEvT1_ ; -- Begin function _ZN7rocprim17ROCPRIM_400000_NS6detail17trampoline_kernelINS0_14default_configENS1_27scan_by_key_config_selectorIssEEZZNS1_16scan_by_key_implILNS1_25lookback_scan_determinismE0ELb1ES3_N6thrust23THRUST_200600_302600_NS6detail15normal_iteratorINS9_10device_ptrIsEEEESE_SE_sNS9_4plusIvEENS9_8equal_toIsEEsEE10hipError_tPvRmT2_T3_T4_T5_mT6_T7_P12ihipStream_tbENKUlT_T0_E_clISt17integral_constantIbLb0EESZ_EEDaSU_SV_EUlSU_E_NS1_11comp_targetILNS1_3genE5ELNS1_11target_archE942ELNS1_3gpuE9ELNS1_3repE0EEENS1_30default_config_static_selectorELNS0_4arch9wavefront6targetE0EEEvT1_
	.globl	_ZN7rocprim17ROCPRIM_400000_NS6detail17trampoline_kernelINS0_14default_configENS1_27scan_by_key_config_selectorIssEEZZNS1_16scan_by_key_implILNS1_25lookback_scan_determinismE0ELb1ES3_N6thrust23THRUST_200600_302600_NS6detail15normal_iteratorINS9_10device_ptrIsEEEESE_SE_sNS9_4plusIvEENS9_8equal_toIsEEsEE10hipError_tPvRmT2_T3_T4_T5_mT6_T7_P12ihipStream_tbENKUlT_T0_E_clISt17integral_constantIbLb0EESZ_EEDaSU_SV_EUlSU_E_NS1_11comp_targetILNS1_3genE5ELNS1_11target_archE942ELNS1_3gpuE9ELNS1_3repE0EEENS1_30default_config_static_selectorELNS0_4arch9wavefront6targetE0EEEvT1_
	.p2align	8
	.type	_ZN7rocprim17ROCPRIM_400000_NS6detail17trampoline_kernelINS0_14default_configENS1_27scan_by_key_config_selectorIssEEZZNS1_16scan_by_key_implILNS1_25lookback_scan_determinismE0ELb1ES3_N6thrust23THRUST_200600_302600_NS6detail15normal_iteratorINS9_10device_ptrIsEEEESE_SE_sNS9_4plusIvEENS9_8equal_toIsEEsEE10hipError_tPvRmT2_T3_T4_T5_mT6_T7_P12ihipStream_tbENKUlT_T0_E_clISt17integral_constantIbLb0EESZ_EEDaSU_SV_EUlSU_E_NS1_11comp_targetILNS1_3genE5ELNS1_11target_archE942ELNS1_3gpuE9ELNS1_3repE0EEENS1_30default_config_static_selectorELNS0_4arch9wavefront6targetE0EEEvT1_,@function
_ZN7rocprim17ROCPRIM_400000_NS6detail17trampoline_kernelINS0_14default_configENS1_27scan_by_key_config_selectorIssEEZZNS1_16scan_by_key_implILNS1_25lookback_scan_determinismE0ELb1ES3_N6thrust23THRUST_200600_302600_NS6detail15normal_iteratorINS9_10device_ptrIsEEEESE_SE_sNS9_4plusIvEENS9_8equal_toIsEEsEE10hipError_tPvRmT2_T3_T4_T5_mT6_T7_P12ihipStream_tbENKUlT_T0_E_clISt17integral_constantIbLb0EESZ_EEDaSU_SV_EUlSU_E_NS1_11comp_targetILNS1_3genE5ELNS1_11target_archE942ELNS1_3gpuE9ELNS1_3repE0EEENS1_30default_config_static_selectorELNS0_4arch9wavefront6targetE0EEEvT1_: ; @_ZN7rocprim17ROCPRIM_400000_NS6detail17trampoline_kernelINS0_14default_configENS1_27scan_by_key_config_selectorIssEEZZNS1_16scan_by_key_implILNS1_25lookback_scan_determinismE0ELb1ES3_N6thrust23THRUST_200600_302600_NS6detail15normal_iteratorINS9_10device_ptrIsEEEESE_SE_sNS9_4plusIvEENS9_8equal_toIsEEsEE10hipError_tPvRmT2_T3_T4_T5_mT6_T7_P12ihipStream_tbENKUlT_T0_E_clISt17integral_constantIbLb0EESZ_EEDaSU_SV_EUlSU_E_NS1_11comp_targetILNS1_3genE5ELNS1_11target_archE942ELNS1_3gpuE9ELNS1_3repE0EEENS1_30default_config_static_selectorELNS0_4arch9wavefront6targetE0EEEvT1_
; %bb.0:
	.section	.rodata,"a",@progbits
	.p2align	6, 0x0
	.amdhsa_kernel _ZN7rocprim17ROCPRIM_400000_NS6detail17trampoline_kernelINS0_14default_configENS1_27scan_by_key_config_selectorIssEEZZNS1_16scan_by_key_implILNS1_25lookback_scan_determinismE0ELb1ES3_N6thrust23THRUST_200600_302600_NS6detail15normal_iteratorINS9_10device_ptrIsEEEESE_SE_sNS9_4plusIvEENS9_8equal_toIsEEsEE10hipError_tPvRmT2_T3_T4_T5_mT6_T7_P12ihipStream_tbENKUlT_T0_E_clISt17integral_constantIbLb0EESZ_EEDaSU_SV_EUlSU_E_NS1_11comp_targetILNS1_3genE5ELNS1_11target_archE942ELNS1_3gpuE9ELNS1_3repE0EEENS1_30default_config_static_selectorELNS0_4arch9wavefront6targetE0EEEvT1_
		.amdhsa_group_segment_fixed_size 0
		.amdhsa_private_segment_fixed_size 0
		.amdhsa_kernarg_size 112
		.amdhsa_user_sgpr_count 6
		.amdhsa_user_sgpr_private_segment_buffer 1
		.amdhsa_user_sgpr_dispatch_ptr 0
		.amdhsa_user_sgpr_queue_ptr 0
		.amdhsa_user_sgpr_kernarg_segment_ptr 1
		.amdhsa_user_sgpr_dispatch_id 0
		.amdhsa_user_sgpr_flat_scratch_init 0
		.amdhsa_user_sgpr_private_segment_size 0
		.amdhsa_wavefront_size32 1
		.amdhsa_uses_dynamic_stack 0
		.amdhsa_system_sgpr_private_segment_wavefront_offset 0
		.amdhsa_system_sgpr_workgroup_id_x 1
		.amdhsa_system_sgpr_workgroup_id_y 0
		.amdhsa_system_sgpr_workgroup_id_z 0
		.amdhsa_system_sgpr_workgroup_info 0
		.amdhsa_system_vgpr_workitem_id 0
		.amdhsa_next_free_vgpr 1
		.amdhsa_next_free_sgpr 1
		.amdhsa_reserve_vcc 0
		.amdhsa_reserve_flat_scratch 0
		.amdhsa_float_round_mode_32 0
		.amdhsa_float_round_mode_16_64 0
		.amdhsa_float_denorm_mode_32 3
		.amdhsa_float_denorm_mode_16_64 3
		.amdhsa_dx10_clamp 1
		.amdhsa_ieee_mode 1
		.amdhsa_fp16_overflow 0
		.amdhsa_workgroup_processor_mode 1
		.amdhsa_memory_ordered 1
		.amdhsa_forward_progress 1
		.amdhsa_shared_vgpr_count 0
		.amdhsa_exception_fp_ieee_invalid_op 0
		.amdhsa_exception_fp_denorm_src 0
		.amdhsa_exception_fp_ieee_div_zero 0
		.amdhsa_exception_fp_ieee_overflow 0
		.amdhsa_exception_fp_ieee_underflow 0
		.amdhsa_exception_fp_ieee_inexact 0
		.amdhsa_exception_int_div_zero 0
	.end_amdhsa_kernel
	.section	.text._ZN7rocprim17ROCPRIM_400000_NS6detail17trampoline_kernelINS0_14default_configENS1_27scan_by_key_config_selectorIssEEZZNS1_16scan_by_key_implILNS1_25lookback_scan_determinismE0ELb1ES3_N6thrust23THRUST_200600_302600_NS6detail15normal_iteratorINS9_10device_ptrIsEEEESE_SE_sNS9_4plusIvEENS9_8equal_toIsEEsEE10hipError_tPvRmT2_T3_T4_T5_mT6_T7_P12ihipStream_tbENKUlT_T0_E_clISt17integral_constantIbLb0EESZ_EEDaSU_SV_EUlSU_E_NS1_11comp_targetILNS1_3genE5ELNS1_11target_archE942ELNS1_3gpuE9ELNS1_3repE0EEENS1_30default_config_static_selectorELNS0_4arch9wavefront6targetE0EEEvT1_,"axG",@progbits,_ZN7rocprim17ROCPRIM_400000_NS6detail17trampoline_kernelINS0_14default_configENS1_27scan_by_key_config_selectorIssEEZZNS1_16scan_by_key_implILNS1_25lookback_scan_determinismE0ELb1ES3_N6thrust23THRUST_200600_302600_NS6detail15normal_iteratorINS9_10device_ptrIsEEEESE_SE_sNS9_4plusIvEENS9_8equal_toIsEEsEE10hipError_tPvRmT2_T3_T4_T5_mT6_T7_P12ihipStream_tbENKUlT_T0_E_clISt17integral_constantIbLb0EESZ_EEDaSU_SV_EUlSU_E_NS1_11comp_targetILNS1_3genE5ELNS1_11target_archE942ELNS1_3gpuE9ELNS1_3repE0EEENS1_30default_config_static_selectorELNS0_4arch9wavefront6targetE0EEEvT1_,comdat
.Lfunc_end643:
	.size	_ZN7rocprim17ROCPRIM_400000_NS6detail17trampoline_kernelINS0_14default_configENS1_27scan_by_key_config_selectorIssEEZZNS1_16scan_by_key_implILNS1_25lookback_scan_determinismE0ELb1ES3_N6thrust23THRUST_200600_302600_NS6detail15normal_iteratorINS9_10device_ptrIsEEEESE_SE_sNS9_4plusIvEENS9_8equal_toIsEEsEE10hipError_tPvRmT2_T3_T4_T5_mT6_T7_P12ihipStream_tbENKUlT_T0_E_clISt17integral_constantIbLb0EESZ_EEDaSU_SV_EUlSU_E_NS1_11comp_targetILNS1_3genE5ELNS1_11target_archE942ELNS1_3gpuE9ELNS1_3repE0EEENS1_30default_config_static_selectorELNS0_4arch9wavefront6targetE0EEEvT1_, .Lfunc_end643-_ZN7rocprim17ROCPRIM_400000_NS6detail17trampoline_kernelINS0_14default_configENS1_27scan_by_key_config_selectorIssEEZZNS1_16scan_by_key_implILNS1_25lookback_scan_determinismE0ELb1ES3_N6thrust23THRUST_200600_302600_NS6detail15normal_iteratorINS9_10device_ptrIsEEEESE_SE_sNS9_4plusIvEENS9_8equal_toIsEEsEE10hipError_tPvRmT2_T3_T4_T5_mT6_T7_P12ihipStream_tbENKUlT_T0_E_clISt17integral_constantIbLb0EESZ_EEDaSU_SV_EUlSU_E_NS1_11comp_targetILNS1_3genE5ELNS1_11target_archE942ELNS1_3gpuE9ELNS1_3repE0EEENS1_30default_config_static_selectorELNS0_4arch9wavefront6targetE0EEEvT1_
                                        ; -- End function
	.set _ZN7rocprim17ROCPRIM_400000_NS6detail17trampoline_kernelINS0_14default_configENS1_27scan_by_key_config_selectorIssEEZZNS1_16scan_by_key_implILNS1_25lookback_scan_determinismE0ELb1ES3_N6thrust23THRUST_200600_302600_NS6detail15normal_iteratorINS9_10device_ptrIsEEEESE_SE_sNS9_4plusIvEENS9_8equal_toIsEEsEE10hipError_tPvRmT2_T3_T4_T5_mT6_T7_P12ihipStream_tbENKUlT_T0_E_clISt17integral_constantIbLb0EESZ_EEDaSU_SV_EUlSU_E_NS1_11comp_targetILNS1_3genE5ELNS1_11target_archE942ELNS1_3gpuE9ELNS1_3repE0EEENS1_30default_config_static_selectorELNS0_4arch9wavefront6targetE0EEEvT1_.num_vgpr, 0
	.set _ZN7rocprim17ROCPRIM_400000_NS6detail17trampoline_kernelINS0_14default_configENS1_27scan_by_key_config_selectorIssEEZZNS1_16scan_by_key_implILNS1_25lookback_scan_determinismE0ELb1ES3_N6thrust23THRUST_200600_302600_NS6detail15normal_iteratorINS9_10device_ptrIsEEEESE_SE_sNS9_4plusIvEENS9_8equal_toIsEEsEE10hipError_tPvRmT2_T3_T4_T5_mT6_T7_P12ihipStream_tbENKUlT_T0_E_clISt17integral_constantIbLb0EESZ_EEDaSU_SV_EUlSU_E_NS1_11comp_targetILNS1_3genE5ELNS1_11target_archE942ELNS1_3gpuE9ELNS1_3repE0EEENS1_30default_config_static_selectorELNS0_4arch9wavefront6targetE0EEEvT1_.num_agpr, 0
	.set _ZN7rocprim17ROCPRIM_400000_NS6detail17trampoline_kernelINS0_14default_configENS1_27scan_by_key_config_selectorIssEEZZNS1_16scan_by_key_implILNS1_25lookback_scan_determinismE0ELb1ES3_N6thrust23THRUST_200600_302600_NS6detail15normal_iteratorINS9_10device_ptrIsEEEESE_SE_sNS9_4plusIvEENS9_8equal_toIsEEsEE10hipError_tPvRmT2_T3_T4_T5_mT6_T7_P12ihipStream_tbENKUlT_T0_E_clISt17integral_constantIbLb0EESZ_EEDaSU_SV_EUlSU_E_NS1_11comp_targetILNS1_3genE5ELNS1_11target_archE942ELNS1_3gpuE9ELNS1_3repE0EEENS1_30default_config_static_selectorELNS0_4arch9wavefront6targetE0EEEvT1_.numbered_sgpr, 0
	.set _ZN7rocprim17ROCPRIM_400000_NS6detail17trampoline_kernelINS0_14default_configENS1_27scan_by_key_config_selectorIssEEZZNS1_16scan_by_key_implILNS1_25lookback_scan_determinismE0ELb1ES3_N6thrust23THRUST_200600_302600_NS6detail15normal_iteratorINS9_10device_ptrIsEEEESE_SE_sNS9_4plusIvEENS9_8equal_toIsEEsEE10hipError_tPvRmT2_T3_T4_T5_mT6_T7_P12ihipStream_tbENKUlT_T0_E_clISt17integral_constantIbLb0EESZ_EEDaSU_SV_EUlSU_E_NS1_11comp_targetILNS1_3genE5ELNS1_11target_archE942ELNS1_3gpuE9ELNS1_3repE0EEENS1_30default_config_static_selectorELNS0_4arch9wavefront6targetE0EEEvT1_.num_named_barrier, 0
	.set _ZN7rocprim17ROCPRIM_400000_NS6detail17trampoline_kernelINS0_14default_configENS1_27scan_by_key_config_selectorIssEEZZNS1_16scan_by_key_implILNS1_25lookback_scan_determinismE0ELb1ES3_N6thrust23THRUST_200600_302600_NS6detail15normal_iteratorINS9_10device_ptrIsEEEESE_SE_sNS9_4plusIvEENS9_8equal_toIsEEsEE10hipError_tPvRmT2_T3_T4_T5_mT6_T7_P12ihipStream_tbENKUlT_T0_E_clISt17integral_constantIbLb0EESZ_EEDaSU_SV_EUlSU_E_NS1_11comp_targetILNS1_3genE5ELNS1_11target_archE942ELNS1_3gpuE9ELNS1_3repE0EEENS1_30default_config_static_selectorELNS0_4arch9wavefront6targetE0EEEvT1_.private_seg_size, 0
	.set _ZN7rocprim17ROCPRIM_400000_NS6detail17trampoline_kernelINS0_14default_configENS1_27scan_by_key_config_selectorIssEEZZNS1_16scan_by_key_implILNS1_25lookback_scan_determinismE0ELb1ES3_N6thrust23THRUST_200600_302600_NS6detail15normal_iteratorINS9_10device_ptrIsEEEESE_SE_sNS9_4plusIvEENS9_8equal_toIsEEsEE10hipError_tPvRmT2_T3_T4_T5_mT6_T7_P12ihipStream_tbENKUlT_T0_E_clISt17integral_constantIbLb0EESZ_EEDaSU_SV_EUlSU_E_NS1_11comp_targetILNS1_3genE5ELNS1_11target_archE942ELNS1_3gpuE9ELNS1_3repE0EEENS1_30default_config_static_selectorELNS0_4arch9wavefront6targetE0EEEvT1_.uses_vcc, 0
	.set _ZN7rocprim17ROCPRIM_400000_NS6detail17trampoline_kernelINS0_14default_configENS1_27scan_by_key_config_selectorIssEEZZNS1_16scan_by_key_implILNS1_25lookback_scan_determinismE0ELb1ES3_N6thrust23THRUST_200600_302600_NS6detail15normal_iteratorINS9_10device_ptrIsEEEESE_SE_sNS9_4plusIvEENS9_8equal_toIsEEsEE10hipError_tPvRmT2_T3_T4_T5_mT6_T7_P12ihipStream_tbENKUlT_T0_E_clISt17integral_constantIbLb0EESZ_EEDaSU_SV_EUlSU_E_NS1_11comp_targetILNS1_3genE5ELNS1_11target_archE942ELNS1_3gpuE9ELNS1_3repE0EEENS1_30default_config_static_selectorELNS0_4arch9wavefront6targetE0EEEvT1_.uses_flat_scratch, 0
	.set _ZN7rocprim17ROCPRIM_400000_NS6detail17trampoline_kernelINS0_14default_configENS1_27scan_by_key_config_selectorIssEEZZNS1_16scan_by_key_implILNS1_25lookback_scan_determinismE0ELb1ES3_N6thrust23THRUST_200600_302600_NS6detail15normal_iteratorINS9_10device_ptrIsEEEESE_SE_sNS9_4plusIvEENS9_8equal_toIsEEsEE10hipError_tPvRmT2_T3_T4_T5_mT6_T7_P12ihipStream_tbENKUlT_T0_E_clISt17integral_constantIbLb0EESZ_EEDaSU_SV_EUlSU_E_NS1_11comp_targetILNS1_3genE5ELNS1_11target_archE942ELNS1_3gpuE9ELNS1_3repE0EEENS1_30default_config_static_selectorELNS0_4arch9wavefront6targetE0EEEvT1_.has_dyn_sized_stack, 0
	.set _ZN7rocprim17ROCPRIM_400000_NS6detail17trampoline_kernelINS0_14default_configENS1_27scan_by_key_config_selectorIssEEZZNS1_16scan_by_key_implILNS1_25lookback_scan_determinismE0ELb1ES3_N6thrust23THRUST_200600_302600_NS6detail15normal_iteratorINS9_10device_ptrIsEEEESE_SE_sNS9_4plusIvEENS9_8equal_toIsEEsEE10hipError_tPvRmT2_T3_T4_T5_mT6_T7_P12ihipStream_tbENKUlT_T0_E_clISt17integral_constantIbLb0EESZ_EEDaSU_SV_EUlSU_E_NS1_11comp_targetILNS1_3genE5ELNS1_11target_archE942ELNS1_3gpuE9ELNS1_3repE0EEENS1_30default_config_static_selectorELNS0_4arch9wavefront6targetE0EEEvT1_.has_recursion, 0
	.set _ZN7rocprim17ROCPRIM_400000_NS6detail17trampoline_kernelINS0_14default_configENS1_27scan_by_key_config_selectorIssEEZZNS1_16scan_by_key_implILNS1_25lookback_scan_determinismE0ELb1ES3_N6thrust23THRUST_200600_302600_NS6detail15normal_iteratorINS9_10device_ptrIsEEEESE_SE_sNS9_4plusIvEENS9_8equal_toIsEEsEE10hipError_tPvRmT2_T3_T4_T5_mT6_T7_P12ihipStream_tbENKUlT_T0_E_clISt17integral_constantIbLb0EESZ_EEDaSU_SV_EUlSU_E_NS1_11comp_targetILNS1_3genE5ELNS1_11target_archE942ELNS1_3gpuE9ELNS1_3repE0EEENS1_30default_config_static_selectorELNS0_4arch9wavefront6targetE0EEEvT1_.has_indirect_call, 0
	.section	.AMDGPU.csdata,"",@progbits
; Kernel info:
; codeLenInByte = 0
; TotalNumSgprs: 0
; NumVgprs: 0
; ScratchSize: 0
; MemoryBound: 0
; FloatMode: 240
; IeeeMode: 1
; LDSByteSize: 0 bytes/workgroup (compile time only)
; SGPRBlocks: 0
; VGPRBlocks: 0
; NumSGPRsForWavesPerEU: 1
; NumVGPRsForWavesPerEU: 1
; Occupancy: 16
; WaveLimiterHint : 0
; COMPUTE_PGM_RSRC2:SCRATCH_EN: 0
; COMPUTE_PGM_RSRC2:USER_SGPR: 6
; COMPUTE_PGM_RSRC2:TRAP_HANDLER: 0
; COMPUTE_PGM_RSRC2:TGID_X_EN: 1
; COMPUTE_PGM_RSRC2:TGID_Y_EN: 0
; COMPUTE_PGM_RSRC2:TGID_Z_EN: 0
; COMPUTE_PGM_RSRC2:TIDIG_COMP_CNT: 0
	.section	.text._ZN7rocprim17ROCPRIM_400000_NS6detail17trampoline_kernelINS0_14default_configENS1_27scan_by_key_config_selectorIssEEZZNS1_16scan_by_key_implILNS1_25lookback_scan_determinismE0ELb1ES3_N6thrust23THRUST_200600_302600_NS6detail15normal_iteratorINS9_10device_ptrIsEEEESE_SE_sNS9_4plusIvEENS9_8equal_toIsEEsEE10hipError_tPvRmT2_T3_T4_T5_mT6_T7_P12ihipStream_tbENKUlT_T0_E_clISt17integral_constantIbLb0EESZ_EEDaSU_SV_EUlSU_E_NS1_11comp_targetILNS1_3genE4ELNS1_11target_archE910ELNS1_3gpuE8ELNS1_3repE0EEENS1_30default_config_static_selectorELNS0_4arch9wavefront6targetE0EEEvT1_,"axG",@progbits,_ZN7rocprim17ROCPRIM_400000_NS6detail17trampoline_kernelINS0_14default_configENS1_27scan_by_key_config_selectorIssEEZZNS1_16scan_by_key_implILNS1_25lookback_scan_determinismE0ELb1ES3_N6thrust23THRUST_200600_302600_NS6detail15normal_iteratorINS9_10device_ptrIsEEEESE_SE_sNS9_4plusIvEENS9_8equal_toIsEEsEE10hipError_tPvRmT2_T3_T4_T5_mT6_T7_P12ihipStream_tbENKUlT_T0_E_clISt17integral_constantIbLb0EESZ_EEDaSU_SV_EUlSU_E_NS1_11comp_targetILNS1_3genE4ELNS1_11target_archE910ELNS1_3gpuE8ELNS1_3repE0EEENS1_30default_config_static_selectorELNS0_4arch9wavefront6targetE0EEEvT1_,comdat
	.protected	_ZN7rocprim17ROCPRIM_400000_NS6detail17trampoline_kernelINS0_14default_configENS1_27scan_by_key_config_selectorIssEEZZNS1_16scan_by_key_implILNS1_25lookback_scan_determinismE0ELb1ES3_N6thrust23THRUST_200600_302600_NS6detail15normal_iteratorINS9_10device_ptrIsEEEESE_SE_sNS9_4plusIvEENS9_8equal_toIsEEsEE10hipError_tPvRmT2_T3_T4_T5_mT6_T7_P12ihipStream_tbENKUlT_T0_E_clISt17integral_constantIbLb0EESZ_EEDaSU_SV_EUlSU_E_NS1_11comp_targetILNS1_3genE4ELNS1_11target_archE910ELNS1_3gpuE8ELNS1_3repE0EEENS1_30default_config_static_selectorELNS0_4arch9wavefront6targetE0EEEvT1_ ; -- Begin function _ZN7rocprim17ROCPRIM_400000_NS6detail17trampoline_kernelINS0_14default_configENS1_27scan_by_key_config_selectorIssEEZZNS1_16scan_by_key_implILNS1_25lookback_scan_determinismE0ELb1ES3_N6thrust23THRUST_200600_302600_NS6detail15normal_iteratorINS9_10device_ptrIsEEEESE_SE_sNS9_4plusIvEENS9_8equal_toIsEEsEE10hipError_tPvRmT2_T3_T4_T5_mT6_T7_P12ihipStream_tbENKUlT_T0_E_clISt17integral_constantIbLb0EESZ_EEDaSU_SV_EUlSU_E_NS1_11comp_targetILNS1_3genE4ELNS1_11target_archE910ELNS1_3gpuE8ELNS1_3repE0EEENS1_30default_config_static_selectorELNS0_4arch9wavefront6targetE0EEEvT1_
	.globl	_ZN7rocprim17ROCPRIM_400000_NS6detail17trampoline_kernelINS0_14default_configENS1_27scan_by_key_config_selectorIssEEZZNS1_16scan_by_key_implILNS1_25lookback_scan_determinismE0ELb1ES3_N6thrust23THRUST_200600_302600_NS6detail15normal_iteratorINS9_10device_ptrIsEEEESE_SE_sNS9_4plusIvEENS9_8equal_toIsEEsEE10hipError_tPvRmT2_T3_T4_T5_mT6_T7_P12ihipStream_tbENKUlT_T0_E_clISt17integral_constantIbLb0EESZ_EEDaSU_SV_EUlSU_E_NS1_11comp_targetILNS1_3genE4ELNS1_11target_archE910ELNS1_3gpuE8ELNS1_3repE0EEENS1_30default_config_static_selectorELNS0_4arch9wavefront6targetE0EEEvT1_
	.p2align	8
	.type	_ZN7rocprim17ROCPRIM_400000_NS6detail17trampoline_kernelINS0_14default_configENS1_27scan_by_key_config_selectorIssEEZZNS1_16scan_by_key_implILNS1_25lookback_scan_determinismE0ELb1ES3_N6thrust23THRUST_200600_302600_NS6detail15normal_iteratorINS9_10device_ptrIsEEEESE_SE_sNS9_4plusIvEENS9_8equal_toIsEEsEE10hipError_tPvRmT2_T3_T4_T5_mT6_T7_P12ihipStream_tbENKUlT_T0_E_clISt17integral_constantIbLb0EESZ_EEDaSU_SV_EUlSU_E_NS1_11comp_targetILNS1_3genE4ELNS1_11target_archE910ELNS1_3gpuE8ELNS1_3repE0EEENS1_30default_config_static_selectorELNS0_4arch9wavefront6targetE0EEEvT1_,@function
_ZN7rocprim17ROCPRIM_400000_NS6detail17trampoline_kernelINS0_14default_configENS1_27scan_by_key_config_selectorIssEEZZNS1_16scan_by_key_implILNS1_25lookback_scan_determinismE0ELb1ES3_N6thrust23THRUST_200600_302600_NS6detail15normal_iteratorINS9_10device_ptrIsEEEESE_SE_sNS9_4plusIvEENS9_8equal_toIsEEsEE10hipError_tPvRmT2_T3_T4_T5_mT6_T7_P12ihipStream_tbENKUlT_T0_E_clISt17integral_constantIbLb0EESZ_EEDaSU_SV_EUlSU_E_NS1_11comp_targetILNS1_3genE4ELNS1_11target_archE910ELNS1_3gpuE8ELNS1_3repE0EEENS1_30default_config_static_selectorELNS0_4arch9wavefront6targetE0EEEvT1_: ; @_ZN7rocprim17ROCPRIM_400000_NS6detail17trampoline_kernelINS0_14default_configENS1_27scan_by_key_config_selectorIssEEZZNS1_16scan_by_key_implILNS1_25lookback_scan_determinismE0ELb1ES3_N6thrust23THRUST_200600_302600_NS6detail15normal_iteratorINS9_10device_ptrIsEEEESE_SE_sNS9_4plusIvEENS9_8equal_toIsEEsEE10hipError_tPvRmT2_T3_T4_T5_mT6_T7_P12ihipStream_tbENKUlT_T0_E_clISt17integral_constantIbLb0EESZ_EEDaSU_SV_EUlSU_E_NS1_11comp_targetILNS1_3genE4ELNS1_11target_archE910ELNS1_3gpuE8ELNS1_3repE0EEENS1_30default_config_static_selectorELNS0_4arch9wavefront6targetE0EEEvT1_
; %bb.0:
	.section	.rodata,"a",@progbits
	.p2align	6, 0x0
	.amdhsa_kernel _ZN7rocprim17ROCPRIM_400000_NS6detail17trampoline_kernelINS0_14default_configENS1_27scan_by_key_config_selectorIssEEZZNS1_16scan_by_key_implILNS1_25lookback_scan_determinismE0ELb1ES3_N6thrust23THRUST_200600_302600_NS6detail15normal_iteratorINS9_10device_ptrIsEEEESE_SE_sNS9_4plusIvEENS9_8equal_toIsEEsEE10hipError_tPvRmT2_T3_T4_T5_mT6_T7_P12ihipStream_tbENKUlT_T0_E_clISt17integral_constantIbLb0EESZ_EEDaSU_SV_EUlSU_E_NS1_11comp_targetILNS1_3genE4ELNS1_11target_archE910ELNS1_3gpuE8ELNS1_3repE0EEENS1_30default_config_static_selectorELNS0_4arch9wavefront6targetE0EEEvT1_
		.amdhsa_group_segment_fixed_size 0
		.amdhsa_private_segment_fixed_size 0
		.amdhsa_kernarg_size 112
		.amdhsa_user_sgpr_count 6
		.amdhsa_user_sgpr_private_segment_buffer 1
		.amdhsa_user_sgpr_dispatch_ptr 0
		.amdhsa_user_sgpr_queue_ptr 0
		.amdhsa_user_sgpr_kernarg_segment_ptr 1
		.amdhsa_user_sgpr_dispatch_id 0
		.amdhsa_user_sgpr_flat_scratch_init 0
		.amdhsa_user_sgpr_private_segment_size 0
		.amdhsa_wavefront_size32 1
		.amdhsa_uses_dynamic_stack 0
		.amdhsa_system_sgpr_private_segment_wavefront_offset 0
		.amdhsa_system_sgpr_workgroup_id_x 1
		.amdhsa_system_sgpr_workgroup_id_y 0
		.amdhsa_system_sgpr_workgroup_id_z 0
		.amdhsa_system_sgpr_workgroup_info 0
		.amdhsa_system_vgpr_workitem_id 0
		.amdhsa_next_free_vgpr 1
		.amdhsa_next_free_sgpr 1
		.amdhsa_reserve_vcc 0
		.amdhsa_reserve_flat_scratch 0
		.amdhsa_float_round_mode_32 0
		.amdhsa_float_round_mode_16_64 0
		.amdhsa_float_denorm_mode_32 3
		.amdhsa_float_denorm_mode_16_64 3
		.amdhsa_dx10_clamp 1
		.amdhsa_ieee_mode 1
		.amdhsa_fp16_overflow 0
		.amdhsa_workgroup_processor_mode 1
		.amdhsa_memory_ordered 1
		.amdhsa_forward_progress 1
		.amdhsa_shared_vgpr_count 0
		.amdhsa_exception_fp_ieee_invalid_op 0
		.amdhsa_exception_fp_denorm_src 0
		.amdhsa_exception_fp_ieee_div_zero 0
		.amdhsa_exception_fp_ieee_overflow 0
		.amdhsa_exception_fp_ieee_underflow 0
		.amdhsa_exception_fp_ieee_inexact 0
		.amdhsa_exception_int_div_zero 0
	.end_amdhsa_kernel
	.section	.text._ZN7rocprim17ROCPRIM_400000_NS6detail17trampoline_kernelINS0_14default_configENS1_27scan_by_key_config_selectorIssEEZZNS1_16scan_by_key_implILNS1_25lookback_scan_determinismE0ELb1ES3_N6thrust23THRUST_200600_302600_NS6detail15normal_iteratorINS9_10device_ptrIsEEEESE_SE_sNS9_4plusIvEENS9_8equal_toIsEEsEE10hipError_tPvRmT2_T3_T4_T5_mT6_T7_P12ihipStream_tbENKUlT_T0_E_clISt17integral_constantIbLb0EESZ_EEDaSU_SV_EUlSU_E_NS1_11comp_targetILNS1_3genE4ELNS1_11target_archE910ELNS1_3gpuE8ELNS1_3repE0EEENS1_30default_config_static_selectorELNS0_4arch9wavefront6targetE0EEEvT1_,"axG",@progbits,_ZN7rocprim17ROCPRIM_400000_NS6detail17trampoline_kernelINS0_14default_configENS1_27scan_by_key_config_selectorIssEEZZNS1_16scan_by_key_implILNS1_25lookback_scan_determinismE0ELb1ES3_N6thrust23THRUST_200600_302600_NS6detail15normal_iteratorINS9_10device_ptrIsEEEESE_SE_sNS9_4plusIvEENS9_8equal_toIsEEsEE10hipError_tPvRmT2_T3_T4_T5_mT6_T7_P12ihipStream_tbENKUlT_T0_E_clISt17integral_constantIbLb0EESZ_EEDaSU_SV_EUlSU_E_NS1_11comp_targetILNS1_3genE4ELNS1_11target_archE910ELNS1_3gpuE8ELNS1_3repE0EEENS1_30default_config_static_selectorELNS0_4arch9wavefront6targetE0EEEvT1_,comdat
.Lfunc_end644:
	.size	_ZN7rocprim17ROCPRIM_400000_NS6detail17trampoline_kernelINS0_14default_configENS1_27scan_by_key_config_selectorIssEEZZNS1_16scan_by_key_implILNS1_25lookback_scan_determinismE0ELb1ES3_N6thrust23THRUST_200600_302600_NS6detail15normal_iteratorINS9_10device_ptrIsEEEESE_SE_sNS9_4plusIvEENS9_8equal_toIsEEsEE10hipError_tPvRmT2_T3_T4_T5_mT6_T7_P12ihipStream_tbENKUlT_T0_E_clISt17integral_constantIbLb0EESZ_EEDaSU_SV_EUlSU_E_NS1_11comp_targetILNS1_3genE4ELNS1_11target_archE910ELNS1_3gpuE8ELNS1_3repE0EEENS1_30default_config_static_selectorELNS0_4arch9wavefront6targetE0EEEvT1_, .Lfunc_end644-_ZN7rocprim17ROCPRIM_400000_NS6detail17trampoline_kernelINS0_14default_configENS1_27scan_by_key_config_selectorIssEEZZNS1_16scan_by_key_implILNS1_25lookback_scan_determinismE0ELb1ES3_N6thrust23THRUST_200600_302600_NS6detail15normal_iteratorINS9_10device_ptrIsEEEESE_SE_sNS9_4plusIvEENS9_8equal_toIsEEsEE10hipError_tPvRmT2_T3_T4_T5_mT6_T7_P12ihipStream_tbENKUlT_T0_E_clISt17integral_constantIbLb0EESZ_EEDaSU_SV_EUlSU_E_NS1_11comp_targetILNS1_3genE4ELNS1_11target_archE910ELNS1_3gpuE8ELNS1_3repE0EEENS1_30default_config_static_selectorELNS0_4arch9wavefront6targetE0EEEvT1_
                                        ; -- End function
	.set _ZN7rocprim17ROCPRIM_400000_NS6detail17trampoline_kernelINS0_14default_configENS1_27scan_by_key_config_selectorIssEEZZNS1_16scan_by_key_implILNS1_25lookback_scan_determinismE0ELb1ES3_N6thrust23THRUST_200600_302600_NS6detail15normal_iteratorINS9_10device_ptrIsEEEESE_SE_sNS9_4plusIvEENS9_8equal_toIsEEsEE10hipError_tPvRmT2_T3_T4_T5_mT6_T7_P12ihipStream_tbENKUlT_T0_E_clISt17integral_constantIbLb0EESZ_EEDaSU_SV_EUlSU_E_NS1_11comp_targetILNS1_3genE4ELNS1_11target_archE910ELNS1_3gpuE8ELNS1_3repE0EEENS1_30default_config_static_selectorELNS0_4arch9wavefront6targetE0EEEvT1_.num_vgpr, 0
	.set _ZN7rocprim17ROCPRIM_400000_NS6detail17trampoline_kernelINS0_14default_configENS1_27scan_by_key_config_selectorIssEEZZNS1_16scan_by_key_implILNS1_25lookback_scan_determinismE0ELb1ES3_N6thrust23THRUST_200600_302600_NS6detail15normal_iteratorINS9_10device_ptrIsEEEESE_SE_sNS9_4plusIvEENS9_8equal_toIsEEsEE10hipError_tPvRmT2_T3_T4_T5_mT6_T7_P12ihipStream_tbENKUlT_T0_E_clISt17integral_constantIbLb0EESZ_EEDaSU_SV_EUlSU_E_NS1_11comp_targetILNS1_3genE4ELNS1_11target_archE910ELNS1_3gpuE8ELNS1_3repE0EEENS1_30default_config_static_selectorELNS0_4arch9wavefront6targetE0EEEvT1_.num_agpr, 0
	.set _ZN7rocprim17ROCPRIM_400000_NS6detail17trampoline_kernelINS0_14default_configENS1_27scan_by_key_config_selectorIssEEZZNS1_16scan_by_key_implILNS1_25lookback_scan_determinismE0ELb1ES3_N6thrust23THRUST_200600_302600_NS6detail15normal_iteratorINS9_10device_ptrIsEEEESE_SE_sNS9_4plusIvEENS9_8equal_toIsEEsEE10hipError_tPvRmT2_T3_T4_T5_mT6_T7_P12ihipStream_tbENKUlT_T0_E_clISt17integral_constantIbLb0EESZ_EEDaSU_SV_EUlSU_E_NS1_11comp_targetILNS1_3genE4ELNS1_11target_archE910ELNS1_3gpuE8ELNS1_3repE0EEENS1_30default_config_static_selectorELNS0_4arch9wavefront6targetE0EEEvT1_.numbered_sgpr, 0
	.set _ZN7rocprim17ROCPRIM_400000_NS6detail17trampoline_kernelINS0_14default_configENS1_27scan_by_key_config_selectorIssEEZZNS1_16scan_by_key_implILNS1_25lookback_scan_determinismE0ELb1ES3_N6thrust23THRUST_200600_302600_NS6detail15normal_iteratorINS9_10device_ptrIsEEEESE_SE_sNS9_4plusIvEENS9_8equal_toIsEEsEE10hipError_tPvRmT2_T3_T4_T5_mT6_T7_P12ihipStream_tbENKUlT_T0_E_clISt17integral_constantIbLb0EESZ_EEDaSU_SV_EUlSU_E_NS1_11comp_targetILNS1_3genE4ELNS1_11target_archE910ELNS1_3gpuE8ELNS1_3repE0EEENS1_30default_config_static_selectorELNS0_4arch9wavefront6targetE0EEEvT1_.num_named_barrier, 0
	.set _ZN7rocprim17ROCPRIM_400000_NS6detail17trampoline_kernelINS0_14default_configENS1_27scan_by_key_config_selectorIssEEZZNS1_16scan_by_key_implILNS1_25lookback_scan_determinismE0ELb1ES3_N6thrust23THRUST_200600_302600_NS6detail15normal_iteratorINS9_10device_ptrIsEEEESE_SE_sNS9_4plusIvEENS9_8equal_toIsEEsEE10hipError_tPvRmT2_T3_T4_T5_mT6_T7_P12ihipStream_tbENKUlT_T0_E_clISt17integral_constantIbLb0EESZ_EEDaSU_SV_EUlSU_E_NS1_11comp_targetILNS1_3genE4ELNS1_11target_archE910ELNS1_3gpuE8ELNS1_3repE0EEENS1_30default_config_static_selectorELNS0_4arch9wavefront6targetE0EEEvT1_.private_seg_size, 0
	.set _ZN7rocprim17ROCPRIM_400000_NS6detail17trampoline_kernelINS0_14default_configENS1_27scan_by_key_config_selectorIssEEZZNS1_16scan_by_key_implILNS1_25lookback_scan_determinismE0ELb1ES3_N6thrust23THRUST_200600_302600_NS6detail15normal_iteratorINS9_10device_ptrIsEEEESE_SE_sNS9_4plusIvEENS9_8equal_toIsEEsEE10hipError_tPvRmT2_T3_T4_T5_mT6_T7_P12ihipStream_tbENKUlT_T0_E_clISt17integral_constantIbLb0EESZ_EEDaSU_SV_EUlSU_E_NS1_11comp_targetILNS1_3genE4ELNS1_11target_archE910ELNS1_3gpuE8ELNS1_3repE0EEENS1_30default_config_static_selectorELNS0_4arch9wavefront6targetE0EEEvT1_.uses_vcc, 0
	.set _ZN7rocprim17ROCPRIM_400000_NS6detail17trampoline_kernelINS0_14default_configENS1_27scan_by_key_config_selectorIssEEZZNS1_16scan_by_key_implILNS1_25lookback_scan_determinismE0ELb1ES3_N6thrust23THRUST_200600_302600_NS6detail15normal_iteratorINS9_10device_ptrIsEEEESE_SE_sNS9_4plusIvEENS9_8equal_toIsEEsEE10hipError_tPvRmT2_T3_T4_T5_mT6_T7_P12ihipStream_tbENKUlT_T0_E_clISt17integral_constantIbLb0EESZ_EEDaSU_SV_EUlSU_E_NS1_11comp_targetILNS1_3genE4ELNS1_11target_archE910ELNS1_3gpuE8ELNS1_3repE0EEENS1_30default_config_static_selectorELNS0_4arch9wavefront6targetE0EEEvT1_.uses_flat_scratch, 0
	.set _ZN7rocprim17ROCPRIM_400000_NS6detail17trampoline_kernelINS0_14default_configENS1_27scan_by_key_config_selectorIssEEZZNS1_16scan_by_key_implILNS1_25lookback_scan_determinismE0ELb1ES3_N6thrust23THRUST_200600_302600_NS6detail15normal_iteratorINS9_10device_ptrIsEEEESE_SE_sNS9_4plusIvEENS9_8equal_toIsEEsEE10hipError_tPvRmT2_T3_T4_T5_mT6_T7_P12ihipStream_tbENKUlT_T0_E_clISt17integral_constantIbLb0EESZ_EEDaSU_SV_EUlSU_E_NS1_11comp_targetILNS1_3genE4ELNS1_11target_archE910ELNS1_3gpuE8ELNS1_3repE0EEENS1_30default_config_static_selectorELNS0_4arch9wavefront6targetE0EEEvT1_.has_dyn_sized_stack, 0
	.set _ZN7rocprim17ROCPRIM_400000_NS6detail17trampoline_kernelINS0_14default_configENS1_27scan_by_key_config_selectorIssEEZZNS1_16scan_by_key_implILNS1_25lookback_scan_determinismE0ELb1ES3_N6thrust23THRUST_200600_302600_NS6detail15normal_iteratorINS9_10device_ptrIsEEEESE_SE_sNS9_4plusIvEENS9_8equal_toIsEEsEE10hipError_tPvRmT2_T3_T4_T5_mT6_T7_P12ihipStream_tbENKUlT_T0_E_clISt17integral_constantIbLb0EESZ_EEDaSU_SV_EUlSU_E_NS1_11comp_targetILNS1_3genE4ELNS1_11target_archE910ELNS1_3gpuE8ELNS1_3repE0EEENS1_30default_config_static_selectorELNS0_4arch9wavefront6targetE0EEEvT1_.has_recursion, 0
	.set _ZN7rocprim17ROCPRIM_400000_NS6detail17trampoline_kernelINS0_14default_configENS1_27scan_by_key_config_selectorIssEEZZNS1_16scan_by_key_implILNS1_25lookback_scan_determinismE0ELb1ES3_N6thrust23THRUST_200600_302600_NS6detail15normal_iteratorINS9_10device_ptrIsEEEESE_SE_sNS9_4plusIvEENS9_8equal_toIsEEsEE10hipError_tPvRmT2_T3_T4_T5_mT6_T7_P12ihipStream_tbENKUlT_T0_E_clISt17integral_constantIbLb0EESZ_EEDaSU_SV_EUlSU_E_NS1_11comp_targetILNS1_3genE4ELNS1_11target_archE910ELNS1_3gpuE8ELNS1_3repE0EEENS1_30default_config_static_selectorELNS0_4arch9wavefront6targetE0EEEvT1_.has_indirect_call, 0
	.section	.AMDGPU.csdata,"",@progbits
; Kernel info:
; codeLenInByte = 0
; TotalNumSgprs: 0
; NumVgprs: 0
; ScratchSize: 0
; MemoryBound: 0
; FloatMode: 240
; IeeeMode: 1
; LDSByteSize: 0 bytes/workgroup (compile time only)
; SGPRBlocks: 0
; VGPRBlocks: 0
; NumSGPRsForWavesPerEU: 1
; NumVGPRsForWavesPerEU: 1
; Occupancy: 16
; WaveLimiterHint : 0
; COMPUTE_PGM_RSRC2:SCRATCH_EN: 0
; COMPUTE_PGM_RSRC2:USER_SGPR: 6
; COMPUTE_PGM_RSRC2:TRAP_HANDLER: 0
; COMPUTE_PGM_RSRC2:TGID_X_EN: 1
; COMPUTE_PGM_RSRC2:TGID_Y_EN: 0
; COMPUTE_PGM_RSRC2:TGID_Z_EN: 0
; COMPUTE_PGM_RSRC2:TIDIG_COMP_CNT: 0
	.section	.text._ZN7rocprim17ROCPRIM_400000_NS6detail17trampoline_kernelINS0_14default_configENS1_27scan_by_key_config_selectorIssEEZZNS1_16scan_by_key_implILNS1_25lookback_scan_determinismE0ELb1ES3_N6thrust23THRUST_200600_302600_NS6detail15normal_iteratorINS9_10device_ptrIsEEEESE_SE_sNS9_4plusIvEENS9_8equal_toIsEEsEE10hipError_tPvRmT2_T3_T4_T5_mT6_T7_P12ihipStream_tbENKUlT_T0_E_clISt17integral_constantIbLb0EESZ_EEDaSU_SV_EUlSU_E_NS1_11comp_targetILNS1_3genE3ELNS1_11target_archE908ELNS1_3gpuE7ELNS1_3repE0EEENS1_30default_config_static_selectorELNS0_4arch9wavefront6targetE0EEEvT1_,"axG",@progbits,_ZN7rocprim17ROCPRIM_400000_NS6detail17trampoline_kernelINS0_14default_configENS1_27scan_by_key_config_selectorIssEEZZNS1_16scan_by_key_implILNS1_25lookback_scan_determinismE0ELb1ES3_N6thrust23THRUST_200600_302600_NS6detail15normal_iteratorINS9_10device_ptrIsEEEESE_SE_sNS9_4plusIvEENS9_8equal_toIsEEsEE10hipError_tPvRmT2_T3_T4_T5_mT6_T7_P12ihipStream_tbENKUlT_T0_E_clISt17integral_constantIbLb0EESZ_EEDaSU_SV_EUlSU_E_NS1_11comp_targetILNS1_3genE3ELNS1_11target_archE908ELNS1_3gpuE7ELNS1_3repE0EEENS1_30default_config_static_selectorELNS0_4arch9wavefront6targetE0EEEvT1_,comdat
	.protected	_ZN7rocprim17ROCPRIM_400000_NS6detail17trampoline_kernelINS0_14default_configENS1_27scan_by_key_config_selectorIssEEZZNS1_16scan_by_key_implILNS1_25lookback_scan_determinismE0ELb1ES3_N6thrust23THRUST_200600_302600_NS6detail15normal_iteratorINS9_10device_ptrIsEEEESE_SE_sNS9_4plusIvEENS9_8equal_toIsEEsEE10hipError_tPvRmT2_T3_T4_T5_mT6_T7_P12ihipStream_tbENKUlT_T0_E_clISt17integral_constantIbLb0EESZ_EEDaSU_SV_EUlSU_E_NS1_11comp_targetILNS1_3genE3ELNS1_11target_archE908ELNS1_3gpuE7ELNS1_3repE0EEENS1_30default_config_static_selectorELNS0_4arch9wavefront6targetE0EEEvT1_ ; -- Begin function _ZN7rocprim17ROCPRIM_400000_NS6detail17trampoline_kernelINS0_14default_configENS1_27scan_by_key_config_selectorIssEEZZNS1_16scan_by_key_implILNS1_25lookback_scan_determinismE0ELb1ES3_N6thrust23THRUST_200600_302600_NS6detail15normal_iteratorINS9_10device_ptrIsEEEESE_SE_sNS9_4plusIvEENS9_8equal_toIsEEsEE10hipError_tPvRmT2_T3_T4_T5_mT6_T7_P12ihipStream_tbENKUlT_T0_E_clISt17integral_constantIbLb0EESZ_EEDaSU_SV_EUlSU_E_NS1_11comp_targetILNS1_3genE3ELNS1_11target_archE908ELNS1_3gpuE7ELNS1_3repE0EEENS1_30default_config_static_selectorELNS0_4arch9wavefront6targetE0EEEvT1_
	.globl	_ZN7rocprim17ROCPRIM_400000_NS6detail17trampoline_kernelINS0_14default_configENS1_27scan_by_key_config_selectorIssEEZZNS1_16scan_by_key_implILNS1_25lookback_scan_determinismE0ELb1ES3_N6thrust23THRUST_200600_302600_NS6detail15normal_iteratorINS9_10device_ptrIsEEEESE_SE_sNS9_4plusIvEENS9_8equal_toIsEEsEE10hipError_tPvRmT2_T3_T4_T5_mT6_T7_P12ihipStream_tbENKUlT_T0_E_clISt17integral_constantIbLb0EESZ_EEDaSU_SV_EUlSU_E_NS1_11comp_targetILNS1_3genE3ELNS1_11target_archE908ELNS1_3gpuE7ELNS1_3repE0EEENS1_30default_config_static_selectorELNS0_4arch9wavefront6targetE0EEEvT1_
	.p2align	8
	.type	_ZN7rocprim17ROCPRIM_400000_NS6detail17trampoline_kernelINS0_14default_configENS1_27scan_by_key_config_selectorIssEEZZNS1_16scan_by_key_implILNS1_25lookback_scan_determinismE0ELb1ES3_N6thrust23THRUST_200600_302600_NS6detail15normal_iteratorINS9_10device_ptrIsEEEESE_SE_sNS9_4plusIvEENS9_8equal_toIsEEsEE10hipError_tPvRmT2_T3_T4_T5_mT6_T7_P12ihipStream_tbENKUlT_T0_E_clISt17integral_constantIbLb0EESZ_EEDaSU_SV_EUlSU_E_NS1_11comp_targetILNS1_3genE3ELNS1_11target_archE908ELNS1_3gpuE7ELNS1_3repE0EEENS1_30default_config_static_selectorELNS0_4arch9wavefront6targetE0EEEvT1_,@function
_ZN7rocprim17ROCPRIM_400000_NS6detail17trampoline_kernelINS0_14default_configENS1_27scan_by_key_config_selectorIssEEZZNS1_16scan_by_key_implILNS1_25lookback_scan_determinismE0ELb1ES3_N6thrust23THRUST_200600_302600_NS6detail15normal_iteratorINS9_10device_ptrIsEEEESE_SE_sNS9_4plusIvEENS9_8equal_toIsEEsEE10hipError_tPvRmT2_T3_T4_T5_mT6_T7_P12ihipStream_tbENKUlT_T0_E_clISt17integral_constantIbLb0EESZ_EEDaSU_SV_EUlSU_E_NS1_11comp_targetILNS1_3genE3ELNS1_11target_archE908ELNS1_3gpuE7ELNS1_3repE0EEENS1_30default_config_static_selectorELNS0_4arch9wavefront6targetE0EEEvT1_: ; @_ZN7rocprim17ROCPRIM_400000_NS6detail17trampoline_kernelINS0_14default_configENS1_27scan_by_key_config_selectorIssEEZZNS1_16scan_by_key_implILNS1_25lookback_scan_determinismE0ELb1ES3_N6thrust23THRUST_200600_302600_NS6detail15normal_iteratorINS9_10device_ptrIsEEEESE_SE_sNS9_4plusIvEENS9_8equal_toIsEEsEE10hipError_tPvRmT2_T3_T4_T5_mT6_T7_P12ihipStream_tbENKUlT_T0_E_clISt17integral_constantIbLb0EESZ_EEDaSU_SV_EUlSU_E_NS1_11comp_targetILNS1_3genE3ELNS1_11target_archE908ELNS1_3gpuE7ELNS1_3repE0EEENS1_30default_config_static_selectorELNS0_4arch9wavefront6targetE0EEEvT1_
; %bb.0:
	.section	.rodata,"a",@progbits
	.p2align	6, 0x0
	.amdhsa_kernel _ZN7rocprim17ROCPRIM_400000_NS6detail17trampoline_kernelINS0_14default_configENS1_27scan_by_key_config_selectorIssEEZZNS1_16scan_by_key_implILNS1_25lookback_scan_determinismE0ELb1ES3_N6thrust23THRUST_200600_302600_NS6detail15normal_iteratorINS9_10device_ptrIsEEEESE_SE_sNS9_4plusIvEENS9_8equal_toIsEEsEE10hipError_tPvRmT2_T3_T4_T5_mT6_T7_P12ihipStream_tbENKUlT_T0_E_clISt17integral_constantIbLb0EESZ_EEDaSU_SV_EUlSU_E_NS1_11comp_targetILNS1_3genE3ELNS1_11target_archE908ELNS1_3gpuE7ELNS1_3repE0EEENS1_30default_config_static_selectorELNS0_4arch9wavefront6targetE0EEEvT1_
		.amdhsa_group_segment_fixed_size 0
		.amdhsa_private_segment_fixed_size 0
		.amdhsa_kernarg_size 112
		.amdhsa_user_sgpr_count 6
		.amdhsa_user_sgpr_private_segment_buffer 1
		.amdhsa_user_sgpr_dispatch_ptr 0
		.amdhsa_user_sgpr_queue_ptr 0
		.amdhsa_user_sgpr_kernarg_segment_ptr 1
		.amdhsa_user_sgpr_dispatch_id 0
		.amdhsa_user_sgpr_flat_scratch_init 0
		.amdhsa_user_sgpr_private_segment_size 0
		.amdhsa_wavefront_size32 1
		.amdhsa_uses_dynamic_stack 0
		.amdhsa_system_sgpr_private_segment_wavefront_offset 0
		.amdhsa_system_sgpr_workgroup_id_x 1
		.amdhsa_system_sgpr_workgroup_id_y 0
		.amdhsa_system_sgpr_workgroup_id_z 0
		.amdhsa_system_sgpr_workgroup_info 0
		.amdhsa_system_vgpr_workitem_id 0
		.amdhsa_next_free_vgpr 1
		.amdhsa_next_free_sgpr 1
		.amdhsa_reserve_vcc 0
		.amdhsa_reserve_flat_scratch 0
		.amdhsa_float_round_mode_32 0
		.amdhsa_float_round_mode_16_64 0
		.amdhsa_float_denorm_mode_32 3
		.amdhsa_float_denorm_mode_16_64 3
		.amdhsa_dx10_clamp 1
		.amdhsa_ieee_mode 1
		.amdhsa_fp16_overflow 0
		.amdhsa_workgroup_processor_mode 1
		.amdhsa_memory_ordered 1
		.amdhsa_forward_progress 1
		.amdhsa_shared_vgpr_count 0
		.amdhsa_exception_fp_ieee_invalid_op 0
		.amdhsa_exception_fp_denorm_src 0
		.amdhsa_exception_fp_ieee_div_zero 0
		.amdhsa_exception_fp_ieee_overflow 0
		.amdhsa_exception_fp_ieee_underflow 0
		.amdhsa_exception_fp_ieee_inexact 0
		.amdhsa_exception_int_div_zero 0
	.end_amdhsa_kernel
	.section	.text._ZN7rocprim17ROCPRIM_400000_NS6detail17trampoline_kernelINS0_14default_configENS1_27scan_by_key_config_selectorIssEEZZNS1_16scan_by_key_implILNS1_25lookback_scan_determinismE0ELb1ES3_N6thrust23THRUST_200600_302600_NS6detail15normal_iteratorINS9_10device_ptrIsEEEESE_SE_sNS9_4plusIvEENS9_8equal_toIsEEsEE10hipError_tPvRmT2_T3_T4_T5_mT6_T7_P12ihipStream_tbENKUlT_T0_E_clISt17integral_constantIbLb0EESZ_EEDaSU_SV_EUlSU_E_NS1_11comp_targetILNS1_3genE3ELNS1_11target_archE908ELNS1_3gpuE7ELNS1_3repE0EEENS1_30default_config_static_selectorELNS0_4arch9wavefront6targetE0EEEvT1_,"axG",@progbits,_ZN7rocprim17ROCPRIM_400000_NS6detail17trampoline_kernelINS0_14default_configENS1_27scan_by_key_config_selectorIssEEZZNS1_16scan_by_key_implILNS1_25lookback_scan_determinismE0ELb1ES3_N6thrust23THRUST_200600_302600_NS6detail15normal_iteratorINS9_10device_ptrIsEEEESE_SE_sNS9_4plusIvEENS9_8equal_toIsEEsEE10hipError_tPvRmT2_T3_T4_T5_mT6_T7_P12ihipStream_tbENKUlT_T0_E_clISt17integral_constantIbLb0EESZ_EEDaSU_SV_EUlSU_E_NS1_11comp_targetILNS1_3genE3ELNS1_11target_archE908ELNS1_3gpuE7ELNS1_3repE0EEENS1_30default_config_static_selectorELNS0_4arch9wavefront6targetE0EEEvT1_,comdat
.Lfunc_end645:
	.size	_ZN7rocprim17ROCPRIM_400000_NS6detail17trampoline_kernelINS0_14default_configENS1_27scan_by_key_config_selectorIssEEZZNS1_16scan_by_key_implILNS1_25lookback_scan_determinismE0ELb1ES3_N6thrust23THRUST_200600_302600_NS6detail15normal_iteratorINS9_10device_ptrIsEEEESE_SE_sNS9_4plusIvEENS9_8equal_toIsEEsEE10hipError_tPvRmT2_T3_T4_T5_mT6_T7_P12ihipStream_tbENKUlT_T0_E_clISt17integral_constantIbLb0EESZ_EEDaSU_SV_EUlSU_E_NS1_11comp_targetILNS1_3genE3ELNS1_11target_archE908ELNS1_3gpuE7ELNS1_3repE0EEENS1_30default_config_static_selectorELNS0_4arch9wavefront6targetE0EEEvT1_, .Lfunc_end645-_ZN7rocprim17ROCPRIM_400000_NS6detail17trampoline_kernelINS0_14default_configENS1_27scan_by_key_config_selectorIssEEZZNS1_16scan_by_key_implILNS1_25lookback_scan_determinismE0ELb1ES3_N6thrust23THRUST_200600_302600_NS6detail15normal_iteratorINS9_10device_ptrIsEEEESE_SE_sNS9_4plusIvEENS9_8equal_toIsEEsEE10hipError_tPvRmT2_T3_T4_T5_mT6_T7_P12ihipStream_tbENKUlT_T0_E_clISt17integral_constantIbLb0EESZ_EEDaSU_SV_EUlSU_E_NS1_11comp_targetILNS1_3genE3ELNS1_11target_archE908ELNS1_3gpuE7ELNS1_3repE0EEENS1_30default_config_static_selectorELNS0_4arch9wavefront6targetE0EEEvT1_
                                        ; -- End function
	.set _ZN7rocprim17ROCPRIM_400000_NS6detail17trampoline_kernelINS0_14default_configENS1_27scan_by_key_config_selectorIssEEZZNS1_16scan_by_key_implILNS1_25lookback_scan_determinismE0ELb1ES3_N6thrust23THRUST_200600_302600_NS6detail15normal_iteratorINS9_10device_ptrIsEEEESE_SE_sNS9_4plusIvEENS9_8equal_toIsEEsEE10hipError_tPvRmT2_T3_T4_T5_mT6_T7_P12ihipStream_tbENKUlT_T0_E_clISt17integral_constantIbLb0EESZ_EEDaSU_SV_EUlSU_E_NS1_11comp_targetILNS1_3genE3ELNS1_11target_archE908ELNS1_3gpuE7ELNS1_3repE0EEENS1_30default_config_static_selectorELNS0_4arch9wavefront6targetE0EEEvT1_.num_vgpr, 0
	.set _ZN7rocprim17ROCPRIM_400000_NS6detail17trampoline_kernelINS0_14default_configENS1_27scan_by_key_config_selectorIssEEZZNS1_16scan_by_key_implILNS1_25lookback_scan_determinismE0ELb1ES3_N6thrust23THRUST_200600_302600_NS6detail15normal_iteratorINS9_10device_ptrIsEEEESE_SE_sNS9_4plusIvEENS9_8equal_toIsEEsEE10hipError_tPvRmT2_T3_T4_T5_mT6_T7_P12ihipStream_tbENKUlT_T0_E_clISt17integral_constantIbLb0EESZ_EEDaSU_SV_EUlSU_E_NS1_11comp_targetILNS1_3genE3ELNS1_11target_archE908ELNS1_3gpuE7ELNS1_3repE0EEENS1_30default_config_static_selectorELNS0_4arch9wavefront6targetE0EEEvT1_.num_agpr, 0
	.set _ZN7rocprim17ROCPRIM_400000_NS6detail17trampoline_kernelINS0_14default_configENS1_27scan_by_key_config_selectorIssEEZZNS1_16scan_by_key_implILNS1_25lookback_scan_determinismE0ELb1ES3_N6thrust23THRUST_200600_302600_NS6detail15normal_iteratorINS9_10device_ptrIsEEEESE_SE_sNS9_4plusIvEENS9_8equal_toIsEEsEE10hipError_tPvRmT2_T3_T4_T5_mT6_T7_P12ihipStream_tbENKUlT_T0_E_clISt17integral_constantIbLb0EESZ_EEDaSU_SV_EUlSU_E_NS1_11comp_targetILNS1_3genE3ELNS1_11target_archE908ELNS1_3gpuE7ELNS1_3repE0EEENS1_30default_config_static_selectorELNS0_4arch9wavefront6targetE0EEEvT1_.numbered_sgpr, 0
	.set _ZN7rocprim17ROCPRIM_400000_NS6detail17trampoline_kernelINS0_14default_configENS1_27scan_by_key_config_selectorIssEEZZNS1_16scan_by_key_implILNS1_25lookback_scan_determinismE0ELb1ES3_N6thrust23THRUST_200600_302600_NS6detail15normal_iteratorINS9_10device_ptrIsEEEESE_SE_sNS9_4plusIvEENS9_8equal_toIsEEsEE10hipError_tPvRmT2_T3_T4_T5_mT6_T7_P12ihipStream_tbENKUlT_T0_E_clISt17integral_constantIbLb0EESZ_EEDaSU_SV_EUlSU_E_NS1_11comp_targetILNS1_3genE3ELNS1_11target_archE908ELNS1_3gpuE7ELNS1_3repE0EEENS1_30default_config_static_selectorELNS0_4arch9wavefront6targetE0EEEvT1_.num_named_barrier, 0
	.set _ZN7rocprim17ROCPRIM_400000_NS6detail17trampoline_kernelINS0_14default_configENS1_27scan_by_key_config_selectorIssEEZZNS1_16scan_by_key_implILNS1_25lookback_scan_determinismE0ELb1ES3_N6thrust23THRUST_200600_302600_NS6detail15normal_iteratorINS9_10device_ptrIsEEEESE_SE_sNS9_4plusIvEENS9_8equal_toIsEEsEE10hipError_tPvRmT2_T3_T4_T5_mT6_T7_P12ihipStream_tbENKUlT_T0_E_clISt17integral_constantIbLb0EESZ_EEDaSU_SV_EUlSU_E_NS1_11comp_targetILNS1_3genE3ELNS1_11target_archE908ELNS1_3gpuE7ELNS1_3repE0EEENS1_30default_config_static_selectorELNS0_4arch9wavefront6targetE0EEEvT1_.private_seg_size, 0
	.set _ZN7rocprim17ROCPRIM_400000_NS6detail17trampoline_kernelINS0_14default_configENS1_27scan_by_key_config_selectorIssEEZZNS1_16scan_by_key_implILNS1_25lookback_scan_determinismE0ELb1ES3_N6thrust23THRUST_200600_302600_NS6detail15normal_iteratorINS9_10device_ptrIsEEEESE_SE_sNS9_4plusIvEENS9_8equal_toIsEEsEE10hipError_tPvRmT2_T3_T4_T5_mT6_T7_P12ihipStream_tbENKUlT_T0_E_clISt17integral_constantIbLb0EESZ_EEDaSU_SV_EUlSU_E_NS1_11comp_targetILNS1_3genE3ELNS1_11target_archE908ELNS1_3gpuE7ELNS1_3repE0EEENS1_30default_config_static_selectorELNS0_4arch9wavefront6targetE0EEEvT1_.uses_vcc, 0
	.set _ZN7rocprim17ROCPRIM_400000_NS6detail17trampoline_kernelINS0_14default_configENS1_27scan_by_key_config_selectorIssEEZZNS1_16scan_by_key_implILNS1_25lookback_scan_determinismE0ELb1ES3_N6thrust23THRUST_200600_302600_NS6detail15normal_iteratorINS9_10device_ptrIsEEEESE_SE_sNS9_4plusIvEENS9_8equal_toIsEEsEE10hipError_tPvRmT2_T3_T4_T5_mT6_T7_P12ihipStream_tbENKUlT_T0_E_clISt17integral_constantIbLb0EESZ_EEDaSU_SV_EUlSU_E_NS1_11comp_targetILNS1_3genE3ELNS1_11target_archE908ELNS1_3gpuE7ELNS1_3repE0EEENS1_30default_config_static_selectorELNS0_4arch9wavefront6targetE0EEEvT1_.uses_flat_scratch, 0
	.set _ZN7rocprim17ROCPRIM_400000_NS6detail17trampoline_kernelINS0_14default_configENS1_27scan_by_key_config_selectorIssEEZZNS1_16scan_by_key_implILNS1_25lookback_scan_determinismE0ELb1ES3_N6thrust23THRUST_200600_302600_NS6detail15normal_iteratorINS9_10device_ptrIsEEEESE_SE_sNS9_4plusIvEENS9_8equal_toIsEEsEE10hipError_tPvRmT2_T3_T4_T5_mT6_T7_P12ihipStream_tbENKUlT_T0_E_clISt17integral_constantIbLb0EESZ_EEDaSU_SV_EUlSU_E_NS1_11comp_targetILNS1_3genE3ELNS1_11target_archE908ELNS1_3gpuE7ELNS1_3repE0EEENS1_30default_config_static_selectorELNS0_4arch9wavefront6targetE0EEEvT1_.has_dyn_sized_stack, 0
	.set _ZN7rocprim17ROCPRIM_400000_NS6detail17trampoline_kernelINS0_14default_configENS1_27scan_by_key_config_selectorIssEEZZNS1_16scan_by_key_implILNS1_25lookback_scan_determinismE0ELb1ES3_N6thrust23THRUST_200600_302600_NS6detail15normal_iteratorINS9_10device_ptrIsEEEESE_SE_sNS9_4plusIvEENS9_8equal_toIsEEsEE10hipError_tPvRmT2_T3_T4_T5_mT6_T7_P12ihipStream_tbENKUlT_T0_E_clISt17integral_constantIbLb0EESZ_EEDaSU_SV_EUlSU_E_NS1_11comp_targetILNS1_3genE3ELNS1_11target_archE908ELNS1_3gpuE7ELNS1_3repE0EEENS1_30default_config_static_selectorELNS0_4arch9wavefront6targetE0EEEvT1_.has_recursion, 0
	.set _ZN7rocprim17ROCPRIM_400000_NS6detail17trampoline_kernelINS0_14default_configENS1_27scan_by_key_config_selectorIssEEZZNS1_16scan_by_key_implILNS1_25lookback_scan_determinismE0ELb1ES3_N6thrust23THRUST_200600_302600_NS6detail15normal_iteratorINS9_10device_ptrIsEEEESE_SE_sNS9_4plusIvEENS9_8equal_toIsEEsEE10hipError_tPvRmT2_T3_T4_T5_mT6_T7_P12ihipStream_tbENKUlT_T0_E_clISt17integral_constantIbLb0EESZ_EEDaSU_SV_EUlSU_E_NS1_11comp_targetILNS1_3genE3ELNS1_11target_archE908ELNS1_3gpuE7ELNS1_3repE0EEENS1_30default_config_static_selectorELNS0_4arch9wavefront6targetE0EEEvT1_.has_indirect_call, 0
	.section	.AMDGPU.csdata,"",@progbits
; Kernel info:
; codeLenInByte = 0
; TotalNumSgprs: 0
; NumVgprs: 0
; ScratchSize: 0
; MemoryBound: 0
; FloatMode: 240
; IeeeMode: 1
; LDSByteSize: 0 bytes/workgroup (compile time only)
; SGPRBlocks: 0
; VGPRBlocks: 0
; NumSGPRsForWavesPerEU: 1
; NumVGPRsForWavesPerEU: 1
; Occupancy: 16
; WaveLimiterHint : 0
; COMPUTE_PGM_RSRC2:SCRATCH_EN: 0
; COMPUTE_PGM_RSRC2:USER_SGPR: 6
; COMPUTE_PGM_RSRC2:TRAP_HANDLER: 0
; COMPUTE_PGM_RSRC2:TGID_X_EN: 1
; COMPUTE_PGM_RSRC2:TGID_Y_EN: 0
; COMPUTE_PGM_RSRC2:TGID_Z_EN: 0
; COMPUTE_PGM_RSRC2:TIDIG_COMP_CNT: 0
	.section	.text._ZN7rocprim17ROCPRIM_400000_NS6detail17trampoline_kernelINS0_14default_configENS1_27scan_by_key_config_selectorIssEEZZNS1_16scan_by_key_implILNS1_25lookback_scan_determinismE0ELb1ES3_N6thrust23THRUST_200600_302600_NS6detail15normal_iteratorINS9_10device_ptrIsEEEESE_SE_sNS9_4plusIvEENS9_8equal_toIsEEsEE10hipError_tPvRmT2_T3_T4_T5_mT6_T7_P12ihipStream_tbENKUlT_T0_E_clISt17integral_constantIbLb0EESZ_EEDaSU_SV_EUlSU_E_NS1_11comp_targetILNS1_3genE2ELNS1_11target_archE906ELNS1_3gpuE6ELNS1_3repE0EEENS1_30default_config_static_selectorELNS0_4arch9wavefront6targetE0EEEvT1_,"axG",@progbits,_ZN7rocprim17ROCPRIM_400000_NS6detail17trampoline_kernelINS0_14default_configENS1_27scan_by_key_config_selectorIssEEZZNS1_16scan_by_key_implILNS1_25lookback_scan_determinismE0ELb1ES3_N6thrust23THRUST_200600_302600_NS6detail15normal_iteratorINS9_10device_ptrIsEEEESE_SE_sNS9_4plusIvEENS9_8equal_toIsEEsEE10hipError_tPvRmT2_T3_T4_T5_mT6_T7_P12ihipStream_tbENKUlT_T0_E_clISt17integral_constantIbLb0EESZ_EEDaSU_SV_EUlSU_E_NS1_11comp_targetILNS1_3genE2ELNS1_11target_archE906ELNS1_3gpuE6ELNS1_3repE0EEENS1_30default_config_static_selectorELNS0_4arch9wavefront6targetE0EEEvT1_,comdat
	.protected	_ZN7rocprim17ROCPRIM_400000_NS6detail17trampoline_kernelINS0_14default_configENS1_27scan_by_key_config_selectorIssEEZZNS1_16scan_by_key_implILNS1_25lookback_scan_determinismE0ELb1ES3_N6thrust23THRUST_200600_302600_NS6detail15normal_iteratorINS9_10device_ptrIsEEEESE_SE_sNS9_4plusIvEENS9_8equal_toIsEEsEE10hipError_tPvRmT2_T3_T4_T5_mT6_T7_P12ihipStream_tbENKUlT_T0_E_clISt17integral_constantIbLb0EESZ_EEDaSU_SV_EUlSU_E_NS1_11comp_targetILNS1_3genE2ELNS1_11target_archE906ELNS1_3gpuE6ELNS1_3repE0EEENS1_30default_config_static_selectorELNS0_4arch9wavefront6targetE0EEEvT1_ ; -- Begin function _ZN7rocprim17ROCPRIM_400000_NS6detail17trampoline_kernelINS0_14default_configENS1_27scan_by_key_config_selectorIssEEZZNS1_16scan_by_key_implILNS1_25lookback_scan_determinismE0ELb1ES3_N6thrust23THRUST_200600_302600_NS6detail15normal_iteratorINS9_10device_ptrIsEEEESE_SE_sNS9_4plusIvEENS9_8equal_toIsEEsEE10hipError_tPvRmT2_T3_T4_T5_mT6_T7_P12ihipStream_tbENKUlT_T0_E_clISt17integral_constantIbLb0EESZ_EEDaSU_SV_EUlSU_E_NS1_11comp_targetILNS1_3genE2ELNS1_11target_archE906ELNS1_3gpuE6ELNS1_3repE0EEENS1_30default_config_static_selectorELNS0_4arch9wavefront6targetE0EEEvT1_
	.globl	_ZN7rocprim17ROCPRIM_400000_NS6detail17trampoline_kernelINS0_14default_configENS1_27scan_by_key_config_selectorIssEEZZNS1_16scan_by_key_implILNS1_25lookback_scan_determinismE0ELb1ES3_N6thrust23THRUST_200600_302600_NS6detail15normal_iteratorINS9_10device_ptrIsEEEESE_SE_sNS9_4plusIvEENS9_8equal_toIsEEsEE10hipError_tPvRmT2_T3_T4_T5_mT6_T7_P12ihipStream_tbENKUlT_T0_E_clISt17integral_constantIbLb0EESZ_EEDaSU_SV_EUlSU_E_NS1_11comp_targetILNS1_3genE2ELNS1_11target_archE906ELNS1_3gpuE6ELNS1_3repE0EEENS1_30default_config_static_selectorELNS0_4arch9wavefront6targetE0EEEvT1_
	.p2align	8
	.type	_ZN7rocprim17ROCPRIM_400000_NS6detail17trampoline_kernelINS0_14default_configENS1_27scan_by_key_config_selectorIssEEZZNS1_16scan_by_key_implILNS1_25lookback_scan_determinismE0ELb1ES3_N6thrust23THRUST_200600_302600_NS6detail15normal_iteratorINS9_10device_ptrIsEEEESE_SE_sNS9_4plusIvEENS9_8equal_toIsEEsEE10hipError_tPvRmT2_T3_T4_T5_mT6_T7_P12ihipStream_tbENKUlT_T0_E_clISt17integral_constantIbLb0EESZ_EEDaSU_SV_EUlSU_E_NS1_11comp_targetILNS1_3genE2ELNS1_11target_archE906ELNS1_3gpuE6ELNS1_3repE0EEENS1_30default_config_static_selectorELNS0_4arch9wavefront6targetE0EEEvT1_,@function
_ZN7rocprim17ROCPRIM_400000_NS6detail17trampoline_kernelINS0_14default_configENS1_27scan_by_key_config_selectorIssEEZZNS1_16scan_by_key_implILNS1_25lookback_scan_determinismE0ELb1ES3_N6thrust23THRUST_200600_302600_NS6detail15normal_iteratorINS9_10device_ptrIsEEEESE_SE_sNS9_4plusIvEENS9_8equal_toIsEEsEE10hipError_tPvRmT2_T3_T4_T5_mT6_T7_P12ihipStream_tbENKUlT_T0_E_clISt17integral_constantIbLb0EESZ_EEDaSU_SV_EUlSU_E_NS1_11comp_targetILNS1_3genE2ELNS1_11target_archE906ELNS1_3gpuE6ELNS1_3repE0EEENS1_30default_config_static_selectorELNS0_4arch9wavefront6targetE0EEEvT1_: ; @_ZN7rocprim17ROCPRIM_400000_NS6detail17trampoline_kernelINS0_14default_configENS1_27scan_by_key_config_selectorIssEEZZNS1_16scan_by_key_implILNS1_25lookback_scan_determinismE0ELb1ES3_N6thrust23THRUST_200600_302600_NS6detail15normal_iteratorINS9_10device_ptrIsEEEESE_SE_sNS9_4plusIvEENS9_8equal_toIsEEsEE10hipError_tPvRmT2_T3_T4_T5_mT6_T7_P12ihipStream_tbENKUlT_T0_E_clISt17integral_constantIbLb0EESZ_EEDaSU_SV_EUlSU_E_NS1_11comp_targetILNS1_3genE2ELNS1_11target_archE906ELNS1_3gpuE6ELNS1_3repE0EEENS1_30default_config_static_selectorELNS0_4arch9wavefront6targetE0EEEvT1_
; %bb.0:
	.section	.rodata,"a",@progbits
	.p2align	6, 0x0
	.amdhsa_kernel _ZN7rocprim17ROCPRIM_400000_NS6detail17trampoline_kernelINS0_14default_configENS1_27scan_by_key_config_selectorIssEEZZNS1_16scan_by_key_implILNS1_25lookback_scan_determinismE0ELb1ES3_N6thrust23THRUST_200600_302600_NS6detail15normal_iteratorINS9_10device_ptrIsEEEESE_SE_sNS9_4plusIvEENS9_8equal_toIsEEsEE10hipError_tPvRmT2_T3_T4_T5_mT6_T7_P12ihipStream_tbENKUlT_T0_E_clISt17integral_constantIbLb0EESZ_EEDaSU_SV_EUlSU_E_NS1_11comp_targetILNS1_3genE2ELNS1_11target_archE906ELNS1_3gpuE6ELNS1_3repE0EEENS1_30default_config_static_selectorELNS0_4arch9wavefront6targetE0EEEvT1_
		.amdhsa_group_segment_fixed_size 0
		.amdhsa_private_segment_fixed_size 0
		.amdhsa_kernarg_size 112
		.amdhsa_user_sgpr_count 6
		.amdhsa_user_sgpr_private_segment_buffer 1
		.amdhsa_user_sgpr_dispatch_ptr 0
		.amdhsa_user_sgpr_queue_ptr 0
		.amdhsa_user_sgpr_kernarg_segment_ptr 1
		.amdhsa_user_sgpr_dispatch_id 0
		.amdhsa_user_sgpr_flat_scratch_init 0
		.amdhsa_user_sgpr_private_segment_size 0
		.amdhsa_wavefront_size32 1
		.amdhsa_uses_dynamic_stack 0
		.amdhsa_system_sgpr_private_segment_wavefront_offset 0
		.amdhsa_system_sgpr_workgroup_id_x 1
		.amdhsa_system_sgpr_workgroup_id_y 0
		.amdhsa_system_sgpr_workgroup_id_z 0
		.amdhsa_system_sgpr_workgroup_info 0
		.amdhsa_system_vgpr_workitem_id 0
		.amdhsa_next_free_vgpr 1
		.amdhsa_next_free_sgpr 1
		.amdhsa_reserve_vcc 0
		.amdhsa_reserve_flat_scratch 0
		.amdhsa_float_round_mode_32 0
		.amdhsa_float_round_mode_16_64 0
		.amdhsa_float_denorm_mode_32 3
		.amdhsa_float_denorm_mode_16_64 3
		.amdhsa_dx10_clamp 1
		.amdhsa_ieee_mode 1
		.amdhsa_fp16_overflow 0
		.amdhsa_workgroup_processor_mode 1
		.amdhsa_memory_ordered 1
		.amdhsa_forward_progress 1
		.amdhsa_shared_vgpr_count 0
		.amdhsa_exception_fp_ieee_invalid_op 0
		.amdhsa_exception_fp_denorm_src 0
		.amdhsa_exception_fp_ieee_div_zero 0
		.amdhsa_exception_fp_ieee_overflow 0
		.amdhsa_exception_fp_ieee_underflow 0
		.amdhsa_exception_fp_ieee_inexact 0
		.amdhsa_exception_int_div_zero 0
	.end_amdhsa_kernel
	.section	.text._ZN7rocprim17ROCPRIM_400000_NS6detail17trampoline_kernelINS0_14default_configENS1_27scan_by_key_config_selectorIssEEZZNS1_16scan_by_key_implILNS1_25lookback_scan_determinismE0ELb1ES3_N6thrust23THRUST_200600_302600_NS6detail15normal_iteratorINS9_10device_ptrIsEEEESE_SE_sNS9_4plusIvEENS9_8equal_toIsEEsEE10hipError_tPvRmT2_T3_T4_T5_mT6_T7_P12ihipStream_tbENKUlT_T0_E_clISt17integral_constantIbLb0EESZ_EEDaSU_SV_EUlSU_E_NS1_11comp_targetILNS1_3genE2ELNS1_11target_archE906ELNS1_3gpuE6ELNS1_3repE0EEENS1_30default_config_static_selectorELNS0_4arch9wavefront6targetE0EEEvT1_,"axG",@progbits,_ZN7rocprim17ROCPRIM_400000_NS6detail17trampoline_kernelINS0_14default_configENS1_27scan_by_key_config_selectorIssEEZZNS1_16scan_by_key_implILNS1_25lookback_scan_determinismE0ELb1ES3_N6thrust23THRUST_200600_302600_NS6detail15normal_iteratorINS9_10device_ptrIsEEEESE_SE_sNS9_4plusIvEENS9_8equal_toIsEEsEE10hipError_tPvRmT2_T3_T4_T5_mT6_T7_P12ihipStream_tbENKUlT_T0_E_clISt17integral_constantIbLb0EESZ_EEDaSU_SV_EUlSU_E_NS1_11comp_targetILNS1_3genE2ELNS1_11target_archE906ELNS1_3gpuE6ELNS1_3repE0EEENS1_30default_config_static_selectorELNS0_4arch9wavefront6targetE0EEEvT1_,comdat
.Lfunc_end646:
	.size	_ZN7rocprim17ROCPRIM_400000_NS6detail17trampoline_kernelINS0_14default_configENS1_27scan_by_key_config_selectorIssEEZZNS1_16scan_by_key_implILNS1_25lookback_scan_determinismE0ELb1ES3_N6thrust23THRUST_200600_302600_NS6detail15normal_iteratorINS9_10device_ptrIsEEEESE_SE_sNS9_4plusIvEENS9_8equal_toIsEEsEE10hipError_tPvRmT2_T3_T4_T5_mT6_T7_P12ihipStream_tbENKUlT_T0_E_clISt17integral_constantIbLb0EESZ_EEDaSU_SV_EUlSU_E_NS1_11comp_targetILNS1_3genE2ELNS1_11target_archE906ELNS1_3gpuE6ELNS1_3repE0EEENS1_30default_config_static_selectorELNS0_4arch9wavefront6targetE0EEEvT1_, .Lfunc_end646-_ZN7rocprim17ROCPRIM_400000_NS6detail17trampoline_kernelINS0_14default_configENS1_27scan_by_key_config_selectorIssEEZZNS1_16scan_by_key_implILNS1_25lookback_scan_determinismE0ELb1ES3_N6thrust23THRUST_200600_302600_NS6detail15normal_iteratorINS9_10device_ptrIsEEEESE_SE_sNS9_4plusIvEENS9_8equal_toIsEEsEE10hipError_tPvRmT2_T3_T4_T5_mT6_T7_P12ihipStream_tbENKUlT_T0_E_clISt17integral_constantIbLb0EESZ_EEDaSU_SV_EUlSU_E_NS1_11comp_targetILNS1_3genE2ELNS1_11target_archE906ELNS1_3gpuE6ELNS1_3repE0EEENS1_30default_config_static_selectorELNS0_4arch9wavefront6targetE0EEEvT1_
                                        ; -- End function
	.set _ZN7rocprim17ROCPRIM_400000_NS6detail17trampoline_kernelINS0_14default_configENS1_27scan_by_key_config_selectorIssEEZZNS1_16scan_by_key_implILNS1_25lookback_scan_determinismE0ELb1ES3_N6thrust23THRUST_200600_302600_NS6detail15normal_iteratorINS9_10device_ptrIsEEEESE_SE_sNS9_4plusIvEENS9_8equal_toIsEEsEE10hipError_tPvRmT2_T3_T4_T5_mT6_T7_P12ihipStream_tbENKUlT_T0_E_clISt17integral_constantIbLb0EESZ_EEDaSU_SV_EUlSU_E_NS1_11comp_targetILNS1_3genE2ELNS1_11target_archE906ELNS1_3gpuE6ELNS1_3repE0EEENS1_30default_config_static_selectorELNS0_4arch9wavefront6targetE0EEEvT1_.num_vgpr, 0
	.set _ZN7rocprim17ROCPRIM_400000_NS6detail17trampoline_kernelINS0_14default_configENS1_27scan_by_key_config_selectorIssEEZZNS1_16scan_by_key_implILNS1_25lookback_scan_determinismE0ELb1ES3_N6thrust23THRUST_200600_302600_NS6detail15normal_iteratorINS9_10device_ptrIsEEEESE_SE_sNS9_4plusIvEENS9_8equal_toIsEEsEE10hipError_tPvRmT2_T3_T4_T5_mT6_T7_P12ihipStream_tbENKUlT_T0_E_clISt17integral_constantIbLb0EESZ_EEDaSU_SV_EUlSU_E_NS1_11comp_targetILNS1_3genE2ELNS1_11target_archE906ELNS1_3gpuE6ELNS1_3repE0EEENS1_30default_config_static_selectorELNS0_4arch9wavefront6targetE0EEEvT1_.num_agpr, 0
	.set _ZN7rocprim17ROCPRIM_400000_NS6detail17trampoline_kernelINS0_14default_configENS1_27scan_by_key_config_selectorIssEEZZNS1_16scan_by_key_implILNS1_25lookback_scan_determinismE0ELb1ES3_N6thrust23THRUST_200600_302600_NS6detail15normal_iteratorINS9_10device_ptrIsEEEESE_SE_sNS9_4plusIvEENS9_8equal_toIsEEsEE10hipError_tPvRmT2_T3_T4_T5_mT6_T7_P12ihipStream_tbENKUlT_T0_E_clISt17integral_constantIbLb0EESZ_EEDaSU_SV_EUlSU_E_NS1_11comp_targetILNS1_3genE2ELNS1_11target_archE906ELNS1_3gpuE6ELNS1_3repE0EEENS1_30default_config_static_selectorELNS0_4arch9wavefront6targetE0EEEvT1_.numbered_sgpr, 0
	.set _ZN7rocprim17ROCPRIM_400000_NS6detail17trampoline_kernelINS0_14default_configENS1_27scan_by_key_config_selectorIssEEZZNS1_16scan_by_key_implILNS1_25lookback_scan_determinismE0ELb1ES3_N6thrust23THRUST_200600_302600_NS6detail15normal_iteratorINS9_10device_ptrIsEEEESE_SE_sNS9_4plusIvEENS9_8equal_toIsEEsEE10hipError_tPvRmT2_T3_T4_T5_mT6_T7_P12ihipStream_tbENKUlT_T0_E_clISt17integral_constantIbLb0EESZ_EEDaSU_SV_EUlSU_E_NS1_11comp_targetILNS1_3genE2ELNS1_11target_archE906ELNS1_3gpuE6ELNS1_3repE0EEENS1_30default_config_static_selectorELNS0_4arch9wavefront6targetE0EEEvT1_.num_named_barrier, 0
	.set _ZN7rocprim17ROCPRIM_400000_NS6detail17trampoline_kernelINS0_14default_configENS1_27scan_by_key_config_selectorIssEEZZNS1_16scan_by_key_implILNS1_25lookback_scan_determinismE0ELb1ES3_N6thrust23THRUST_200600_302600_NS6detail15normal_iteratorINS9_10device_ptrIsEEEESE_SE_sNS9_4plusIvEENS9_8equal_toIsEEsEE10hipError_tPvRmT2_T3_T4_T5_mT6_T7_P12ihipStream_tbENKUlT_T0_E_clISt17integral_constantIbLb0EESZ_EEDaSU_SV_EUlSU_E_NS1_11comp_targetILNS1_3genE2ELNS1_11target_archE906ELNS1_3gpuE6ELNS1_3repE0EEENS1_30default_config_static_selectorELNS0_4arch9wavefront6targetE0EEEvT1_.private_seg_size, 0
	.set _ZN7rocprim17ROCPRIM_400000_NS6detail17trampoline_kernelINS0_14default_configENS1_27scan_by_key_config_selectorIssEEZZNS1_16scan_by_key_implILNS1_25lookback_scan_determinismE0ELb1ES3_N6thrust23THRUST_200600_302600_NS6detail15normal_iteratorINS9_10device_ptrIsEEEESE_SE_sNS9_4plusIvEENS9_8equal_toIsEEsEE10hipError_tPvRmT2_T3_T4_T5_mT6_T7_P12ihipStream_tbENKUlT_T0_E_clISt17integral_constantIbLb0EESZ_EEDaSU_SV_EUlSU_E_NS1_11comp_targetILNS1_3genE2ELNS1_11target_archE906ELNS1_3gpuE6ELNS1_3repE0EEENS1_30default_config_static_selectorELNS0_4arch9wavefront6targetE0EEEvT1_.uses_vcc, 0
	.set _ZN7rocprim17ROCPRIM_400000_NS6detail17trampoline_kernelINS0_14default_configENS1_27scan_by_key_config_selectorIssEEZZNS1_16scan_by_key_implILNS1_25lookback_scan_determinismE0ELb1ES3_N6thrust23THRUST_200600_302600_NS6detail15normal_iteratorINS9_10device_ptrIsEEEESE_SE_sNS9_4plusIvEENS9_8equal_toIsEEsEE10hipError_tPvRmT2_T3_T4_T5_mT6_T7_P12ihipStream_tbENKUlT_T0_E_clISt17integral_constantIbLb0EESZ_EEDaSU_SV_EUlSU_E_NS1_11comp_targetILNS1_3genE2ELNS1_11target_archE906ELNS1_3gpuE6ELNS1_3repE0EEENS1_30default_config_static_selectorELNS0_4arch9wavefront6targetE0EEEvT1_.uses_flat_scratch, 0
	.set _ZN7rocprim17ROCPRIM_400000_NS6detail17trampoline_kernelINS0_14default_configENS1_27scan_by_key_config_selectorIssEEZZNS1_16scan_by_key_implILNS1_25lookback_scan_determinismE0ELb1ES3_N6thrust23THRUST_200600_302600_NS6detail15normal_iteratorINS9_10device_ptrIsEEEESE_SE_sNS9_4plusIvEENS9_8equal_toIsEEsEE10hipError_tPvRmT2_T3_T4_T5_mT6_T7_P12ihipStream_tbENKUlT_T0_E_clISt17integral_constantIbLb0EESZ_EEDaSU_SV_EUlSU_E_NS1_11comp_targetILNS1_3genE2ELNS1_11target_archE906ELNS1_3gpuE6ELNS1_3repE0EEENS1_30default_config_static_selectorELNS0_4arch9wavefront6targetE0EEEvT1_.has_dyn_sized_stack, 0
	.set _ZN7rocprim17ROCPRIM_400000_NS6detail17trampoline_kernelINS0_14default_configENS1_27scan_by_key_config_selectorIssEEZZNS1_16scan_by_key_implILNS1_25lookback_scan_determinismE0ELb1ES3_N6thrust23THRUST_200600_302600_NS6detail15normal_iteratorINS9_10device_ptrIsEEEESE_SE_sNS9_4plusIvEENS9_8equal_toIsEEsEE10hipError_tPvRmT2_T3_T4_T5_mT6_T7_P12ihipStream_tbENKUlT_T0_E_clISt17integral_constantIbLb0EESZ_EEDaSU_SV_EUlSU_E_NS1_11comp_targetILNS1_3genE2ELNS1_11target_archE906ELNS1_3gpuE6ELNS1_3repE0EEENS1_30default_config_static_selectorELNS0_4arch9wavefront6targetE0EEEvT1_.has_recursion, 0
	.set _ZN7rocprim17ROCPRIM_400000_NS6detail17trampoline_kernelINS0_14default_configENS1_27scan_by_key_config_selectorIssEEZZNS1_16scan_by_key_implILNS1_25lookback_scan_determinismE0ELb1ES3_N6thrust23THRUST_200600_302600_NS6detail15normal_iteratorINS9_10device_ptrIsEEEESE_SE_sNS9_4plusIvEENS9_8equal_toIsEEsEE10hipError_tPvRmT2_T3_T4_T5_mT6_T7_P12ihipStream_tbENKUlT_T0_E_clISt17integral_constantIbLb0EESZ_EEDaSU_SV_EUlSU_E_NS1_11comp_targetILNS1_3genE2ELNS1_11target_archE906ELNS1_3gpuE6ELNS1_3repE0EEENS1_30default_config_static_selectorELNS0_4arch9wavefront6targetE0EEEvT1_.has_indirect_call, 0
	.section	.AMDGPU.csdata,"",@progbits
; Kernel info:
; codeLenInByte = 0
; TotalNumSgprs: 0
; NumVgprs: 0
; ScratchSize: 0
; MemoryBound: 0
; FloatMode: 240
; IeeeMode: 1
; LDSByteSize: 0 bytes/workgroup (compile time only)
; SGPRBlocks: 0
; VGPRBlocks: 0
; NumSGPRsForWavesPerEU: 1
; NumVGPRsForWavesPerEU: 1
; Occupancy: 16
; WaveLimiterHint : 0
; COMPUTE_PGM_RSRC2:SCRATCH_EN: 0
; COMPUTE_PGM_RSRC2:USER_SGPR: 6
; COMPUTE_PGM_RSRC2:TRAP_HANDLER: 0
; COMPUTE_PGM_RSRC2:TGID_X_EN: 1
; COMPUTE_PGM_RSRC2:TGID_Y_EN: 0
; COMPUTE_PGM_RSRC2:TGID_Z_EN: 0
; COMPUTE_PGM_RSRC2:TIDIG_COMP_CNT: 0
	.section	.text._ZN7rocprim17ROCPRIM_400000_NS6detail17trampoline_kernelINS0_14default_configENS1_27scan_by_key_config_selectorIssEEZZNS1_16scan_by_key_implILNS1_25lookback_scan_determinismE0ELb1ES3_N6thrust23THRUST_200600_302600_NS6detail15normal_iteratorINS9_10device_ptrIsEEEESE_SE_sNS9_4plusIvEENS9_8equal_toIsEEsEE10hipError_tPvRmT2_T3_T4_T5_mT6_T7_P12ihipStream_tbENKUlT_T0_E_clISt17integral_constantIbLb0EESZ_EEDaSU_SV_EUlSU_E_NS1_11comp_targetILNS1_3genE10ELNS1_11target_archE1200ELNS1_3gpuE4ELNS1_3repE0EEENS1_30default_config_static_selectorELNS0_4arch9wavefront6targetE0EEEvT1_,"axG",@progbits,_ZN7rocprim17ROCPRIM_400000_NS6detail17trampoline_kernelINS0_14default_configENS1_27scan_by_key_config_selectorIssEEZZNS1_16scan_by_key_implILNS1_25lookback_scan_determinismE0ELb1ES3_N6thrust23THRUST_200600_302600_NS6detail15normal_iteratorINS9_10device_ptrIsEEEESE_SE_sNS9_4plusIvEENS9_8equal_toIsEEsEE10hipError_tPvRmT2_T3_T4_T5_mT6_T7_P12ihipStream_tbENKUlT_T0_E_clISt17integral_constantIbLb0EESZ_EEDaSU_SV_EUlSU_E_NS1_11comp_targetILNS1_3genE10ELNS1_11target_archE1200ELNS1_3gpuE4ELNS1_3repE0EEENS1_30default_config_static_selectorELNS0_4arch9wavefront6targetE0EEEvT1_,comdat
	.protected	_ZN7rocprim17ROCPRIM_400000_NS6detail17trampoline_kernelINS0_14default_configENS1_27scan_by_key_config_selectorIssEEZZNS1_16scan_by_key_implILNS1_25lookback_scan_determinismE0ELb1ES3_N6thrust23THRUST_200600_302600_NS6detail15normal_iteratorINS9_10device_ptrIsEEEESE_SE_sNS9_4plusIvEENS9_8equal_toIsEEsEE10hipError_tPvRmT2_T3_T4_T5_mT6_T7_P12ihipStream_tbENKUlT_T0_E_clISt17integral_constantIbLb0EESZ_EEDaSU_SV_EUlSU_E_NS1_11comp_targetILNS1_3genE10ELNS1_11target_archE1200ELNS1_3gpuE4ELNS1_3repE0EEENS1_30default_config_static_selectorELNS0_4arch9wavefront6targetE0EEEvT1_ ; -- Begin function _ZN7rocprim17ROCPRIM_400000_NS6detail17trampoline_kernelINS0_14default_configENS1_27scan_by_key_config_selectorIssEEZZNS1_16scan_by_key_implILNS1_25lookback_scan_determinismE0ELb1ES3_N6thrust23THRUST_200600_302600_NS6detail15normal_iteratorINS9_10device_ptrIsEEEESE_SE_sNS9_4plusIvEENS9_8equal_toIsEEsEE10hipError_tPvRmT2_T3_T4_T5_mT6_T7_P12ihipStream_tbENKUlT_T0_E_clISt17integral_constantIbLb0EESZ_EEDaSU_SV_EUlSU_E_NS1_11comp_targetILNS1_3genE10ELNS1_11target_archE1200ELNS1_3gpuE4ELNS1_3repE0EEENS1_30default_config_static_selectorELNS0_4arch9wavefront6targetE0EEEvT1_
	.globl	_ZN7rocprim17ROCPRIM_400000_NS6detail17trampoline_kernelINS0_14default_configENS1_27scan_by_key_config_selectorIssEEZZNS1_16scan_by_key_implILNS1_25lookback_scan_determinismE0ELb1ES3_N6thrust23THRUST_200600_302600_NS6detail15normal_iteratorINS9_10device_ptrIsEEEESE_SE_sNS9_4plusIvEENS9_8equal_toIsEEsEE10hipError_tPvRmT2_T3_T4_T5_mT6_T7_P12ihipStream_tbENKUlT_T0_E_clISt17integral_constantIbLb0EESZ_EEDaSU_SV_EUlSU_E_NS1_11comp_targetILNS1_3genE10ELNS1_11target_archE1200ELNS1_3gpuE4ELNS1_3repE0EEENS1_30default_config_static_selectorELNS0_4arch9wavefront6targetE0EEEvT1_
	.p2align	8
	.type	_ZN7rocprim17ROCPRIM_400000_NS6detail17trampoline_kernelINS0_14default_configENS1_27scan_by_key_config_selectorIssEEZZNS1_16scan_by_key_implILNS1_25lookback_scan_determinismE0ELb1ES3_N6thrust23THRUST_200600_302600_NS6detail15normal_iteratorINS9_10device_ptrIsEEEESE_SE_sNS9_4plusIvEENS9_8equal_toIsEEsEE10hipError_tPvRmT2_T3_T4_T5_mT6_T7_P12ihipStream_tbENKUlT_T0_E_clISt17integral_constantIbLb0EESZ_EEDaSU_SV_EUlSU_E_NS1_11comp_targetILNS1_3genE10ELNS1_11target_archE1200ELNS1_3gpuE4ELNS1_3repE0EEENS1_30default_config_static_selectorELNS0_4arch9wavefront6targetE0EEEvT1_,@function
_ZN7rocprim17ROCPRIM_400000_NS6detail17trampoline_kernelINS0_14default_configENS1_27scan_by_key_config_selectorIssEEZZNS1_16scan_by_key_implILNS1_25lookback_scan_determinismE0ELb1ES3_N6thrust23THRUST_200600_302600_NS6detail15normal_iteratorINS9_10device_ptrIsEEEESE_SE_sNS9_4plusIvEENS9_8equal_toIsEEsEE10hipError_tPvRmT2_T3_T4_T5_mT6_T7_P12ihipStream_tbENKUlT_T0_E_clISt17integral_constantIbLb0EESZ_EEDaSU_SV_EUlSU_E_NS1_11comp_targetILNS1_3genE10ELNS1_11target_archE1200ELNS1_3gpuE4ELNS1_3repE0EEENS1_30default_config_static_selectorELNS0_4arch9wavefront6targetE0EEEvT1_: ; @_ZN7rocprim17ROCPRIM_400000_NS6detail17trampoline_kernelINS0_14default_configENS1_27scan_by_key_config_selectorIssEEZZNS1_16scan_by_key_implILNS1_25lookback_scan_determinismE0ELb1ES3_N6thrust23THRUST_200600_302600_NS6detail15normal_iteratorINS9_10device_ptrIsEEEESE_SE_sNS9_4plusIvEENS9_8equal_toIsEEsEE10hipError_tPvRmT2_T3_T4_T5_mT6_T7_P12ihipStream_tbENKUlT_T0_E_clISt17integral_constantIbLb0EESZ_EEDaSU_SV_EUlSU_E_NS1_11comp_targetILNS1_3genE10ELNS1_11target_archE1200ELNS1_3gpuE4ELNS1_3repE0EEENS1_30default_config_static_selectorELNS0_4arch9wavefront6targetE0EEEvT1_
; %bb.0:
	.section	.rodata,"a",@progbits
	.p2align	6, 0x0
	.amdhsa_kernel _ZN7rocprim17ROCPRIM_400000_NS6detail17trampoline_kernelINS0_14default_configENS1_27scan_by_key_config_selectorIssEEZZNS1_16scan_by_key_implILNS1_25lookback_scan_determinismE0ELb1ES3_N6thrust23THRUST_200600_302600_NS6detail15normal_iteratorINS9_10device_ptrIsEEEESE_SE_sNS9_4plusIvEENS9_8equal_toIsEEsEE10hipError_tPvRmT2_T3_T4_T5_mT6_T7_P12ihipStream_tbENKUlT_T0_E_clISt17integral_constantIbLb0EESZ_EEDaSU_SV_EUlSU_E_NS1_11comp_targetILNS1_3genE10ELNS1_11target_archE1200ELNS1_3gpuE4ELNS1_3repE0EEENS1_30default_config_static_selectorELNS0_4arch9wavefront6targetE0EEEvT1_
		.amdhsa_group_segment_fixed_size 0
		.amdhsa_private_segment_fixed_size 0
		.amdhsa_kernarg_size 112
		.amdhsa_user_sgpr_count 6
		.amdhsa_user_sgpr_private_segment_buffer 1
		.amdhsa_user_sgpr_dispatch_ptr 0
		.amdhsa_user_sgpr_queue_ptr 0
		.amdhsa_user_sgpr_kernarg_segment_ptr 1
		.amdhsa_user_sgpr_dispatch_id 0
		.amdhsa_user_sgpr_flat_scratch_init 0
		.amdhsa_user_sgpr_private_segment_size 0
		.amdhsa_wavefront_size32 1
		.amdhsa_uses_dynamic_stack 0
		.amdhsa_system_sgpr_private_segment_wavefront_offset 0
		.amdhsa_system_sgpr_workgroup_id_x 1
		.amdhsa_system_sgpr_workgroup_id_y 0
		.amdhsa_system_sgpr_workgroup_id_z 0
		.amdhsa_system_sgpr_workgroup_info 0
		.amdhsa_system_vgpr_workitem_id 0
		.amdhsa_next_free_vgpr 1
		.amdhsa_next_free_sgpr 1
		.amdhsa_reserve_vcc 0
		.amdhsa_reserve_flat_scratch 0
		.amdhsa_float_round_mode_32 0
		.amdhsa_float_round_mode_16_64 0
		.amdhsa_float_denorm_mode_32 3
		.amdhsa_float_denorm_mode_16_64 3
		.amdhsa_dx10_clamp 1
		.amdhsa_ieee_mode 1
		.amdhsa_fp16_overflow 0
		.amdhsa_workgroup_processor_mode 1
		.amdhsa_memory_ordered 1
		.amdhsa_forward_progress 1
		.amdhsa_shared_vgpr_count 0
		.amdhsa_exception_fp_ieee_invalid_op 0
		.amdhsa_exception_fp_denorm_src 0
		.amdhsa_exception_fp_ieee_div_zero 0
		.amdhsa_exception_fp_ieee_overflow 0
		.amdhsa_exception_fp_ieee_underflow 0
		.amdhsa_exception_fp_ieee_inexact 0
		.amdhsa_exception_int_div_zero 0
	.end_amdhsa_kernel
	.section	.text._ZN7rocprim17ROCPRIM_400000_NS6detail17trampoline_kernelINS0_14default_configENS1_27scan_by_key_config_selectorIssEEZZNS1_16scan_by_key_implILNS1_25lookback_scan_determinismE0ELb1ES3_N6thrust23THRUST_200600_302600_NS6detail15normal_iteratorINS9_10device_ptrIsEEEESE_SE_sNS9_4plusIvEENS9_8equal_toIsEEsEE10hipError_tPvRmT2_T3_T4_T5_mT6_T7_P12ihipStream_tbENKUlT_T0_E_clISt17integral_constantIbLb0EESZ_EEDaSU_SV_EUlSU_E_NS1_11comp_targetILNS1_3genE10ELNS1_11target_archE1200ELNS1_3gpuE4ELNS1_3repE0EEENS1_30default_config_static_selectorELNS0_4arch9wavefront6targetE0EEEvT1_,"axG",@progbits,_ZN7rocprim17ROCPRIM_400000_NS6detail17trampoline_kernelINS0_14default_configENS1_27scan_by_key_config_selectorIssEEZZNS1_16scan_by_key_implILNS1_25lookback_scan_determinismE0ELb1ES3_N6thrust23THRUST_200600_302600_NS6detail15normal_iteratorINS9_10device_ptrIsEEEESE_SE_sNS9_4plusIvEENS9_8equal_toIsEEsEE10hipError_tPvRmT2_T3_T4_T5_mT6_T7_P12ihipStream_tbENKUlT_T0_E_clISt17integral_constantIbLb0EESZ_EEDaSU_SV_EUlSU_E_NS1_11comp_targetILNS1_3genE10ELNS1_11target_archE1200ELNS1_3gpuE4ELNS1_3repE0EEENS1_30default_config_static_selectorELNS0_4arch9wavefront6targetE0EEEvT1_,comdat
.Lfunc_end647:
	.size	_ZN7rocprim17ROCPRIM_400000_NS6detail17trampoline_kernelINS0_14default_configENS1_27scan_by_key_config_selectorIssEEZZNS1_16scan_by_key_implILNS1_25lookback_scan_determinismE0ELb1ES3_N6thrust23THRUST_200600_302600_NS6detail15normal_iteratorINS9_10device_ptrIsEEEESE_SE_sNS9_4plusIvEENS9_8equal_toIsEEsEE10hipError_tPvRmT2_T3_T4_T5_mT6_T7_P12ihipStream_tbENKUlT_T0_E_clISt17integral_constantIbLb0EESZ_EEDaSU_SV_EUlSU_E_NS1_11comp_targetILNS1_3genE10ELNS1_11target_archE1200ELNS1_3gpuE4ELNS1_3repE0EEENS1_30default_config_static_selectorELNS0_4arch9wavefront6targetE0EEEvT1_, .Lfunc_end647-_ZN7rocprim17ROCPRIM_400000_NS6detail17trampoline_kernelINS0_14default_configENS1_27scan_by_key_config_selectorIssEEZZNS1_16scan_by_key_implILNS1_25lookback_scan_determinismE0ELb1ES3_N6thrust23THRUST_200600_302600_NS6detail15normal_iteratorINS9_10device_ptrIsEEEESE_SE_sNS9_4plusIvEENS9_8equal_toIsEEsEE10hipError_tPvRmT2_T3_T4_T5_mT6_T7_P12ihipStream_tbENKUlT_T0_E_clISt17integral_constantIbLb0EESZ_EEDaSU_SV_EUlSU_E_NS1_11comp_targetILNS1_3genE10ELNS1_11target_archE1200ELNS1_3gpuE4ELNS1_3repE0EEENS1_30default_config_static_selectorELNS0_4arch9wavefront6targetE0EEEvT1_
                                        ; -- End function
	.set _ZN7rocprim17ROCPRIM_400000_NS6detail17trampoline_kernelINS0_14default_configENS1_27scan_by_key_config_selectorIssEEZZNS1_16scan_by_key_implILNS1_25lookback_scan_determinismE0ELb1ES3_N6thrust23THRUST_200600_302600_NS6detail15normal_iteratorINS9_10device_ptrIsEEEESE_SE_sNS9_4plusIvEENS9_8equal_toIsEEsEE10hipError_tPvRmT2_T3_T4_T5_mT6_T7_P12ihipStream_tbENKUlT_T0_E_clISt17integral_constantIbLb0EESZ_EEDaSU_SV_EUlSU_E_NS1_11comp_targetILNS1_3genE10ELNS1_11target_archE1200ELNS1_3gpuE4ELNS1_3repE0EEENS1_30default_config_static_selectorELNS0_4arch9wavefront6targetE0EEEvT1_.num_vgpr, 0
	.set _ZN7rocprim17ROCPRIM_400000_NS6detail17trampoline_kernelINS0_14default_configENS1_27scan_by_key_config_selectorIssEEZZNS1_16scan_by_key_implILNS1_25lookback_scan_determinismE0ELb1ES3_N6thrust23THRUST_200600_302600_NS6detail15normal_iteratorINS9_10device_ptrIsEEEESE_SE_sNS9_4plusIvEENS9_8equal_toIsEEsEE10hipError_tPvRmT2_T3_T4_T5_mT6_T7_P12ihipStream_tbENKUlT_T0_E_clISt17integral_constantIbLb0EESZ_EEDaSU_SV_EUlSU_E_NS1_11comp_targetILNS1_3genE10ELNS1_11target_archE1200ELNS1_3gpuE4ELNS1_3repE0EEENS1_30default_config_static_selectorELNS0_4arch9wavefront6targetE0EEEvT1_.num_agpr, 0
	.set _ZN7rocprim17ROCPRIM_400000_NS6detail17trampoline_kernelINS0_14default_configENS1_27scan_by_key_config_selectorIssEEZZNS1_16scan_by_key_implILNS1_25lookback_scan_determinismE0ELb1ES3_N6thrust23THRUST_200600_302600_NS6detail15normal_iteratorINS9_10device_ptrIsEEEESE_SE_sNS9_4plusIvEENS9_8equal_toIsEEsEE10hipError_tPvRmT2_T3_T4_T5_mT6_T7_P12ihipStream_tbENKUlT_T0_E_clISt17integral_constantIbLb0EESZ_EEDaSU_SV_EUlSU_E_NS1_11comp_targetILNS1_3genE10ELNS1_11target_archE1200ELNS1_3gpuE4ELNS1_3repE0EEENS1_30default_config_static_selectorELNS0_4arch9wavefront6targetE0EEEvT1_.numbered_sgpr, 0
	.set _ZN7rocprim17ROCPRIM_400000_NS6detail17trampoline_kernelINS0_14default_configENS1_27scan_by_key_config_selectorIssEEZZNS1_16scan_by_key_implILNS1_25lookback_scan_determinismE0ELb1ES3_N6thrust23THRUST_200600_302600_NS6detail15normal_iteratorINS9_10device_ptrIsEEEESE_SE_sNS9_4plusIvEENS9_8equal_toIsEEsEE10hipError_tPvRmT2_T3_T4_T5_mT6_T7_P12ihipStream_tbENKUlT_T0_E_clISt17integral_constantIbLb0EESZ_EEDaSU_SV_EUlSU_E_NS1_11comp_targetILNS1_3genE10ELNS1_11target_archE1200ELNS1_3gpuE4ELNS1_3repE0EEENS1_30default_config_static_selectorELNS0_4arch9wavefront6targetE0EEEvT1_.num_named_barrier, 0
	.set _ZN7rocprim17ROCPRIM_400000_NS6detail17trampoline_kernelINS0_14default_configENS1_27scan_by_key_config_selectorIssEEZZNS1_16scan_by_key_implILNS1_25lookback_scan_determinismE0ELb1ES3_N6thrust23THRUST_200600_302600_NS6detail15normal_iteratorINS9_10device_ptrIsEEEESE_SE_sNS9_4plusIvEENS9_8equal_toIsEEsEE10hipError_tPvRmT2_T3_T4_T5_mT6_T7_P12ihipStream_tbENKUlT_T0_E_clISt17integral_constantIbLb0EESZ_EEDaSU_SV_EUlSU_E_NS1_11comp_targetILNS1_3genE10ELNS1_11target_archE1200ELNS1_3gpuE4ELNS1_3repE0EEENS1_30default_config_static_selectorELNS0_4arch9wavefront6targetE0EEEvT1_.private_seg_size, 0
	.set _ZN7rocprim17ROCPRIM_400000_NS6detail17trampoline_kernelINS0_14default_configENS1_27scan_by_key_config_selectorIssEEZZNS1_16scan_by_key_implILNS1_25lookback_scan_determinismE0ELb1ES3_N6thrust23THRUST_200600_302600_NS6detail15normal_iteratorINS9_10device_ptrIsEEEESE_SE_sNS9_4plusIvEENS9_8equal_toIsEEsEE10hipError_tPvRmT2_T3_T4_T5_mT6_T7_P12ihipStream_tbENKUlT_T0_E_clISt17integral_constantIbLb0EESZ_EEDaSU_SV_EUlSU_E_NS1_11comp_targetILNS1_3genE10ELNS1_11target_archE1200ELNS1_3gpuE4ELNS1_3repE0EEENS1_30default_config_static_selectorELNS0_4arch9wavefront6targetE0EEEvT1_.uses_vcc, 0
	.set _ZN7rocprim17ROCPRIM_400000_NS6detail17trampoline_kernelINS0_14default_configENS1_27scan_by_key_config_selectorIssEEZZNS1_16scan_by_key_implILNS1_25lookback_scan_determinismE0ELb1ES3_N6thrust23THRUST_200600_302600_NS6detail15normal_iteratorINS9_10device_ptrIsEEEESE_SE_sNS9_4plusIvEENS9_8equal_toIsEEsEE10hipError_tPvRmT2_T3_T4_T5_mT6_T7_P12ihipStream_tbENKUlT_T0_E_clISt17integral_constantIbLb0EESZ_EEDaSU_SV_EUlSU_E_NS1_11comp_targetILNS1_3genE10ELNS1_11target_archE1200ELNS1_3gpuE4ELNS1_3repE0EEENS1_30default_config_static_selectorELNS0_4arch9wavefront6targetE0EEEvT1_.uses_flat_scratch, 0
	.set _ZN7rocprim17ROCPRIM_400000_NS6detail17trampoline_kernelINS0_14default_configENS1_27scan_by_key_config_selectorIssEEZZNS1_16scan_by_key_implILNS1_25lookback_scan_determinismE0ELb1ES3_N6thrust23THRUST_200600_302600_NS6detail15normal_iteratorINS9_10device_ptrIsEEEESE_SE_sNS9_4plusIvEENS9_8equal_toIsEEsEE10hipError_tPvRmT2_T3_T4_T5_mT6_T7_P12ihipStream_tbENKUlT_T0_E_clISt17integral_constantIbLb0EESZ_EEDaSU_SV_EUlSU_E_NS1_11comp_targetILNS1_3genE10ELNS1_11target_archE1200ELNS1_3gpuE4ELNS1_3repE0EEENS1_30default_config_static_selectorELNS0_4arch9wavefront6targetE0EEEvT1_.has_dyn_sized_stack, 0
	.set _ZN7rocprim17ROCPRIM_400000_NS6detail17trampoline_kernelINS0_14default_configENS1_27scan_by_key_config_selectorIssEEZZNS1_16scan_by_key_implILNS1_25lookback_scan_determinismE0ELb1ES3_N6thrust23THRUST_200600_302600_NS6detail15normal_iteratorINS9_10device_ptrIsEEEESE_SE_sNS9_4plusIvEENS9_8equal_toIsEEsEE10hipError_tPvRmT2_T3_T4_T5_mT6_T7_P12ihipStream_tbENKUlT_T0_E_clISt17integral_constantIbLb0EESZ_EEDaSU_SV_EUlSU_E_NS1_11comp_targetILNS1_3genE10ELNS1_11target_archE1200ELNS1_3gpuE4ELNS1_3repE0EEENS1_30default_config_static_selectorELNS0_4arch9wavefront6targetE0EEEvT1_.has_recursion, 0
	.set _ZN7rocprim17ROCPRIM_400000_NS6detail17trampoline_kernelINS0_14default_configENS1_27scan_by_key_config_selectorIssEEZZNS1_16scan_by_key_implILNS1_25lookback_scan_determinismE0ELb1ES3_N6thrust23THRUST_200600_302600_NS6detail15normal_iteratorINS9_10device_ptrIsEEEESE_SE_sNS9_4plusIvEENS9_8equal_toIsEEsEE10hipError_tPvRmT2_T3_T4_T5_mT6_T7_P12ihipStream_tbENKUlT_T0_E_clISt17integral_constantIbLb0EESZ_EEDaSU_SV_EUlSU_E_NS1_11comp_targetILNS1_3genE10ELNS1_11target_archE1200ELNS1_3gpuE4ELNS1_3repE0EEENS1_30default_config_static_selectorELNS0_4arch9wavefront6targetE0EEEvT1_.has_indirect_call, 0
	.section	.AMDGPU.csdata,"",@progbits
; Kernel info:
; codeLenInByte = 0
; TotalNumSgprs: 0
; NumVgprs: 0
; ScratchSize: 0
; MemoryBound: 0
; FloatMode: 240
; IeeeMode: 1
; LDSByteSize: 0 bytes/workgroup (compile time only)
; SGPRBlocks: 0
; VGPRBlocks: 0
; NumSGPRsForWavesPerEU: 1
; NumVGPRsForWavesPerEU: 1
; Occupancy: 16
; WaveLimiterHint : 0
; COMPUTE_PGM_RSRC2:SCRATCH_EN: 0
; COMPUTE_PGM_RSRC2:USER_SGPR: 6
; COMPUTE_PGM_RSRC2:TRAP_HANDLER: 0
; COMPUTE_PGM_RSRC2:TGID_X_EN: 1
; COMPUTE_PGM_RSRC2:TGID_Y_EN: 0
; COMPUTE_PGM_RSRC2:TGID_Z_EN: 0
; COMPUTE_PGM_RSRC2:TIDIG_COMP_CNT: 0
	.section	.text._ZN7rocprim17ROCPRIM_400000_NS6detail17trampoline_kernelINS0_14default_configENS1_27scan_by_key_config_selectorIssEEZZNS1_16scan_by_key_implILNS1_25lookback_scan_determinismE0ELb1ES3_N6thrust23THRUST_200600_302600_NS6detail15normal_iteratorINS9_10device_ptrIsEEEESE_SE_sNS9_4plusIvEENS9_8equal_toIsEEsEE10hipError_tPvRmT2_T3_T4_T5_mT6_T7_P12ihipStream_tbENKUlT_T0_E_clISt17integral_constantIbLb0EESZ_EEDaSU_SV_EUlSU_E_NS1_11comp_targetILNS1_3genE9ELNS1_11target_archE1100ELNS1_3gpuE3ELNS1_3repE0EEENS1_30default_config_static_selectorELNS0_4arch9wavefront6targetE0EEEvT1_,"axG",@progbits,_ZN7rocprim17ROCPRIM_400000_NS6detail17trampoline_kernelINS0_14default_configENS1_27scan_by_key_config_selectorIssEEZZNS1_16scan_by_key_implILNS1_25lookback_scan_determinismE0ELb1ES3_N6thrust23THRUST_200600_302600_NS6detail15normal_iteratorINS9_10device_ptrIsEEEESE_SE_sNS9_4plusIvEENS9_8equal_toIsEEsEE10hipError_tPvRmT2_T3_T4_T5_mT6_T7_P12ihipStream_tbENKUlT_T0_E_clISt17integral_constantIbLb0EESZ_EEDaSU_SV_EUlSU_E_NS1_11comp_targetILNS1_3genE9ELNS1_11target_archE1100ELNS1_3gpuE3ELNS1_3repE0EEENS1_30default_config_static_selectorELNS0_4arch9wavefront6targetE0EEEvT1_,comdat
	.protected	_ZN7rocprim17ROCPRIM_400000_NS6detail17trampoline_kernelINS0_14default_configENS1_27scan_by_key_config_selectorIssEEZZNS1_16scan_by_key_implILNS1_25lookback_scan_determinismE0ELb1ES3_N6thrust23THRUST_200600_302600_NS6detail15normal_iteratorINS9_10device_ptrIsEEEESE_SE_sNS9_4plusIvEENS9_8equal_toIsEEsEE10hipError_tPvRmT2_T3_T4_T5_mT6_T7_P12ihipStream_tbENKUlT_T0_E_clISt17integral_constantIbLb0EESZ_EEDaSU_SV_EUlSU_E_NS1_11comp_targetILNS1_3genE9ELNS1_11target_archE1100ELNS1_3gpuE3ELNS1_3repE0EEENS1_30default_config_static_selectorELNS0_4arch9wavefront6targetE0EEEvT1_ ; -- Begin function _ZN7rocprim17ROCPRIM_400000_NS6detail17trampoline_kernelINS0_14default_configENS1_27scan_by_key_config_selectorIssEEZZNS1_16scan_by_key_implILNS1_25lookback_scan_determinismE0ELb1ES3_N6thrust23THRUST_200600_302600_NS6detail15normal_iteratorINS9_10device_ptrIsEEEESE_SE_sNS9_4plusIvEENS9_8equal_toIsEEsEE10hipError_tPvRmT2_T3_T4_T5_mT6_T7_P12ihipStream_tbENKUlT_T0_E_clISt17integral_constantIbLb0EESZ_EEDaSU_SV_EUlSU_E_NS1_11comp_targetILNS1_3genE9ELNS1_11target_archE1100ELNS1_3gpuE3ELNS1_3repE0EEENS1_30default_config_static_selectorELNS0_4arch9wavefront6targetE0EEEvT1_
	.globl	_ZN7rocprim17ROCPRIM_400000_NS6detail17trampoline_kernelINS0_14default_configENS1_27scan_by_key_config_selectorIssEEZZNS1_16scan_by_key_implILNS1_25lookback_scan_determinismE0ELb1ES3_N6thrust23THRUST_200600_302600_NS6detail15normal_iteratorINS9_10device_ptrIsEEEESE_SE_sNS9_4plusIvEENS9_8equal_toIsEEsEE10hipError_tPvRmT2_T3_T4_T5_mT6_T7_P12ihipStream_tbENKUlT_T0_E_clISt17integral_constantIbLb0EESZ_EEDaSU_SV_EUlSU_E_NS1_11comp_targetILNS1_3genE9ELNS1_11target_archE1100ELNS1_3gpuE3ELNS1_3repE0EEENS1_30default_config_static_selectorELNS0_4arch9wavefront6targetE0EEEvT1_
	.p2align	8
	.type	_ZN7rocprim17ROCPRIM_400000_NS6detail17trampoline_kernelINS0_14default_configENS1_27scan_by_key_config_selectorIssEEZZNS1_16scan_by_key_implILNS1_25lookback_scan_determinismE0ELb1ES3_N6thrust23THRUST_200600_302600_NS6detail15normal_iteratorINS9_10device_ptrIsEEEESE_SE_sNS9_4plusIvEENS9_8equal_toIsEEsEE10hipError_tPvRmT2_T3_T4_T5_mT6_T7_P12ihipStream_tbENKUlT_T0_E_clISt17integral_constantIbLb0EESZ_EEDaSU_SV_EUlSU_E_NS1_11comp_targetILNS1_3genE9ELNS1_11target_archE1100ELNS1_3gpuE3ELNS1_3repE0EEENS1_30default_config_static_selectorELNS0_4arch9wavefront6targetE0EEEvT1_,@function
_ZN7rocprim17ROCPRIM_400000_NS6detail17trampoline_kernelINS0_14default_configENS1_27scan_by_key_config_selectorIssEEZZNS1_16scan_by_key_implILNS1_25lookback_scan_determinismE0ELb1ES3_N6thrust23THRUST_200600_302600_NS6detail15normal_iteratorINS9_10device_ptrIsEEEESE_SE_sNS9_4plusIvEENS9_8equal_toIsEEsEE10hipError_tPvRmT2_T3_T4_T5_mT6_T7_P12ihipStream_tbENKUlT_T0_E_clISt17integral_constantIbLb0EESZ_EEDaSU_SV_EUlSU_E_NS1_11comp_targetILNS1_3genE9ELNS1_11target_archE1100ELNS1_3gpuE3ELNS1_3repE0EEENS1_30default_config_static_selectorELNS0_4arch9wavefront6targetE0EEEvT1_: ; @_ZN7rocprim17ROCPRIM_400000_NS6detail17trampoline_kernelINS0_14default_configENS1_27scan_by_key_config_selectorIssEEZZNS1_16scan_by_key_implILNS1_25lookback_scan_determinismE0ELb1ES3_N6thrust23THRUST_200600_302600_NS6detail15normal_iteratorINS9_10device_ptrIsEEEESE_SE_sNS9_4plusIvEENS9_8equal_toIsEEsEE10hipError_tPvRmT2_T3_T4_T5_mT6_T7_P12ihipStream_tbENKUlT_T0_E_clISt17integral_constantIbLb0EESZ_EEDaSU_SV_EUlSU_E_NS1_11comp_targetILNS1_3genE9ELNS1_11target_archE1100ELNS1_3gpuE3ELNS1_3repE0EEENS1_30default_config_static_selectorELNS0_4arch9wavefront6targetE0EEEvT1_
; %bb.0:
	.section	.rodata,"a",@progbits
	.p2align	6, 0x0
	.amdhsa_kernel _ZN7rocprim17ROCPRIM_400000_NS6detail17trampoline_kernelINS0_14default_configENS1_27scan_by_key_config_selectorIssEEZZNS1_16scan_by_key_implILNS1_25lookback_scan_determinismE0ELb1ES3_N6thrust23THRUST_200600_302600_NS6detail15normal_iteratorINS9_10device_ptrIsEEEESE_SE_sNS9_4plusIvEENS9_8equal_toIsEEsEE10hipError_tPvRmT2_T3_T4_T5_mT6_T7_P12ihipStream_tbENKUlT_T0_E_clISt17integral_constantIbLb0EESZ_EEDaSU_SV_EUlSU_E_NS1_11comp_targetILNS1_3genE9ELNS1_11target_archE1100ELNS1_3gpuE3ELNS1_3repE0EEENS1_30default_config_static_selectorELNS0_4arch9wavefront6targetE0EEEvT1_
		.amdhsa_group_segment_fixed_size 0
		.amdhsa_private_segment_fixed_size 0
		.amdhsa_kernarg_size 112
		.amdhsa_user_sgpr_count 6
		.amdhsa_user_sgpr_private_segment_buffer 1
		.amdhsa_user_sgpr_dispatch_ptr 0
		.amdhsa_user_sgpr_queue_ptr 0
		.amdhsa_user_sgpr_kernarg_segment_ptr 1
		.amdhsa_user_sgpr_dispatch_id 0
		.amdhsa_user_sgpr_flat_scratch_init 0
		.amdhsa_user_sgpr_private_segment_size 0
		.amdhsa_wavefront_size32 1
		.amdhsa_uses_dynamic_stack 0
		.amdhsa_system_sgpr_private_segment_wavefront_offset 0
		.amdhsa_system_sgpr_workgroup_id_x 1
		.amdhsa_system_sgpr_workgroup_id_y 0
		.amdhsa_system_sgpr_workgroup_id_z 0
		.amdhsa_system_sgpr_workgroup_info 0
		.amdhsa_system_vgpr_workitem_id 0
		.amdhsa_next_free_vgpr 1
		.amdhsa_next_free_sgpr 1
		.amdhsa_reserve_vcc 0
		.amdhsa_reserve_flat_scratch 0
		.amdhsa_float_round_mode_32 0
		.amdhsa_float_round_mode_16_64 0
		.amdhsa_float_denorm_mode_32 3
		.amdhsa_float_denorm_mode_16_64 3
		.amdhsa_dx10_clamp 1
		.amdhsa_ieee_mode 1
		.amdhsa_fp16_overflow 0
		.amdhsa_workgroup_processor_mode 1
		.amdhsa_memory_ordered 1
		.amdhsa_forward_progress 1
		.amdhsa_shared_vgpr_count 0
		.amdhsa_exception_fp_ieee_invalid_op 0
		.amdhsa_exception_fp_denorm_src 0
		.amdhsa_exception_fp_ieee_div_zero 0
		.amdhsa_exception_fp_ieee_overflow 0
		.amdhsa_exception_fp_ieee_underflow 0
		.amdhsa_exception_fp_ieee_inexact 0
		.amdhsa_exception_int_div_zero 0
	.end_amdhsa_kernel
	.section	.text._ZN7rocprim17ROCPRIM_400000_NS6detail17trampoline_kernelINS0_14default_configENS1_27scan_by_key_config_selectorIssEEZZNS1_16scan_by_key_implILNS1_25lookback_scan_determinismE0ELb1ES3_N6thrust23THRUST_200600_302600_NS6detail15normal_iteratorINS9_10device_ptrIsEEEESE_SE_sNS9_4plusIvEENS9_8equal_toIsEEsEE10hipError_tPvRmT2_T3_T4_T5_mT6_T7_P12ihipStream_tbENKUlT_T0_E_clISt17integral_constantIbLb0EESZ_EEDaSU_SV_EUlSU_E_NS1_11comp_targetILNS1_3genE9ELNS1_11target_archE1100ELNS1_3gpuE3ELNS1_3repE0EEENS1_30default_config_static_selectorELNS0_4arch9wavefront6targetE0EEEvT1_,"axG",@progbits,_ZN7rocprim17ROCPRIM_400000_NS6detail17trampoline_kernelINS0_14default_configENS1_27scan_by_key_config_selectorIssEEZZNS1_16scan_by_key_implILNS1_25lookback_scan_determinismE0ELb1ES3_N6thrust23THRUST_200600_302600_NS6detail15normal_iteratorINS9_10device_ptrIsEEEESE_SE_sNS9_4plusIvEENS9_8equal_toIsEEsEE10hipError_tPvRmT2_T3_T4_T5_mT6_T7_P12ihipStream_tbENKUlT_T0_E_clISt17integral_constantIbLb0EESZ_EEDaSU_SV_EUlSU_E_NS1_11comp_targetILNS1_3genE9ELNS1_11target_archE1100ELNS1_3gpuE3ELNS1_3repE0EEENS1_30default_config_static_selectorELNS0_4arch9wavefront6targetE0EEEvT1_,comdat
.Lfunc_end648:
	.size	_ZN7rocprim17ROCPRIM_400000_NS6detail17trampoline_kernelINS0_14default_configENS1_27scan_by_key_config_selectorIssEEZZNS1_16scan_by_key_implILNS1_25lookback_scan_determinismE0ELb1ES3_N6thrust23THRUST_200600_302600_NS6detail15normal_iteratorINS9_10device_ptrIsEEEESE_SE_sNS9_4plusIvEENS9_8equal_toIsEEsEE10hipError_tPvRmT2_T3_T4_T5_mT6_T7_P12ihipStream_tbENKUlT_T0_E_clISt17integral_constantIbLb0EESZ_EEDaSU_SV_EUlSU_E_NS1_11comp_targetILNS1_3genE9ELNS1_11target_archE1100ELNS1_3gpuE3ELNS1_3repE0EEENS1_30default_config_static_selectorELNS0_4arch9wavefront6targetE0EEEvT1_, .Lfunc_end648-_ZN7rocprim17ROCPRIM_400000_NS6detail17trampoline_kernelINS0_14default_configENS1_27scan_by_key_config_selectorIssEEZZNS1_16scan_by_key_implILNS1_25lookback_scan_determinismE0ELb1ES3_N6thrust23THRUST_200600_302600_NS6detail15normal_iteratorINS9_10device_ptrIsEEEESE_SE_sNS9_4plusIvEENS9_8equal_toIsEEsEE10hipError_tPvRmT2_T3_T4_T5_mT6_T7_P12ihipStream_tbENKUlT_T0_E_clISt17integral_constantIbLb0EESZ_EEDaSU_SV_EUlSU_E_NS1_11comp_targetILNS1_3genE9ELNS1_11target_archE1100ELNS1_3gpuE3ELNS1_3repE0EEENS1_30default_config_static_selectorELNS0_4arch9wavefront6targetE0EEEvT1_
                                        ; -- End function
	.set _ZN7rocprim17ROCPRIM_400000_NS6detail17trampoline_kernelINS0_14default_configENS1_27scan_by_key_config_selectorIssEEZZNS1_16scan_by_key_implILNS1_25lookback_scan_determinismE0ELb1ES3_N6thrust23THRUST_200600_302600_NS6detail15normal_iteratorINS9_10device_ptrIsEEEESE_SE_sNS9_4plusIvEENS9_8equal_toIsEEsEE10hipError_tPvRmT2_T3_T4_T5_mT6_T7_P12ihipStream_tbENKUlT_T0_E_clISt17integral_constantIbLb0EESZ_EEDaSU_SV_EUlSU_E_NS1_11comp_targetILNS1_3genE9ELNS1_11target_archE1100ELNS1_3gpuE3ELNS1_3repE0EEENS1_30default_config_static_selectorELNS0_4arch9wavefront6targetE0EEEvT1_.num_vgpr, 0
	.set _ZN7rocprim17ROCPRIM_400000_NS6detail17trampoline_kernelINS0_14default_configENS1_27scan_by_key_config_selectorIssEEZZNS1_16scan_by_key_implILNS1_25lookback_scan_determinismE0ELb1ES3_N6thrust23THRUST_200600_302600_NS6detail15normal_iteratorINS9_10device_ptrIsEEEESE_SE_sNS9_4plusIvEENS9_8equal_toIsEEsEE10hipError_tPvRmT2_T3_T4_T5_mT6_T7_P12ihipStream_tbENKUlT_T0_E_clISt17integral_constantIbLb0EESZ_EEDaSU_SV_EUlSU_E_NS1_11comp_targetILNS1_3genE9ELNS1_11target_archE1100ELNS1_3gpuE3ELNS1_3repE0EEENS1_30default_config_static_selectorELNS0_4arch9wavefront6targetE0EEEvT1_.num_agpr, 0
	.set _ZN7rocprim17ROCPRIM_400000_NS6detail17trampoline_kernelINS0_14default_configENS1_27scan_by_key_config_selectorIssEEZZNS1_16scan_by_key_implILNS1_25lookback_scan_determinismE0ELb1ES3_N6thrust23THRUST_200600_302600_NS6detail15normal_iteratorINS9_10device_ptrIsEEEESE_SE_sNS9_4plusIvEENS9_8equal_toIsEEsEE10hipError_tPvRmT2_T3_T4_T5_mT6_T7_P12ihipStream_tbENKUlT_T0_E_clISt17integral_constantIbLb0EESZ_EEDaSU_SV_EUlSU_E_NS1_11comp_targetILNS1_3genE9ELNS1_11target_archE1100ELNS1_3gpuE3ELNS1_3repE0EEENS1_30default_config_static_selectorELNS0_4arch9wavefront6targetE0EEEvT1_.numbered_sgpr, 0
	.set _ZN7rocprim17ROCPRIM_400000_NS6detail17trampoline_kernelINS0_14default_configENS1_27scan_by_key_config_selectorIssEEZZNS1_16scan_by_key_implILNS1_25lookback_scan_determinismE0ELb1ES3_N6thrust23THRUST_200600_302600_NS6detail15normal_iteratorINS9_10device_ptrIsEEEESE_SE_sNS9_4plusIvEENS9_8equal_toIsEEsEE10hipError_tPvRmT2_T3_T4_T5_mT6_T7_P12ihipStream_tbENKUlT_T0_E_clISt17integral_constantIbLb0EESZ_EEDaSU_SV_EUlSU_E_NS1_11comp_targetILNS1_3genE9ELNS1_11target_archE1100ELNS1_3gpuE3ELNS1_3repE0EEENS1_30default_config_static_selectorELNS0_4arch9wavefront6targetE0EEEvT1_.num_named_barrier, 0
	.set _ZN7rocprim17ROCPRIM_400000_NS6detail17trampoline_kernelINS0_14default_configENS1_27scan_by_key_config_selectorIssEEZZNS1_16scan_by_key_implILNS1_25lookback_scan_determinismE0ELb1ES3_N6thrust23THRUST_200600_302600_NS6detail15normal_iteratorINS9_10device_ptrIsEEEESE_SE_sNS9_4plusIvEENS9_8equal_toIsEEsEE10hipError_tPvRmT2_T3_T4_T5_mT6_T7_P12ihipStream_tbENKUlT_T0_E_clISt17integral_constantIbLb0EESZ_EEDaSU_SV_EUlSU_E_NS1_11comp_targetILNS1_3genE9ELNS1_11target_archE1100ELNS1_3gpuE3ELNS1_3repE0EEENS1_30default_config_static_selectorELNS0_4arch9wavefront6targetE0EEEvT1_.private_seg_size, 0
	.set _ZN7rocprim17ROCPRIM_400000_NS6detail17trampoline_kernelINS0_14default_configENS1_27scan_by_key_config_selectorIssEEZZNS1_16scan_by_key_implILNS1_25lookback_scan_determinismE0ELb1ES3_N6thrust23THRUST_200600_302600_NS6detail15normal_iteratorINS9_10device_ptrIsEEEESE_SE_sNS9_4plusIvEENS9_8equal_toIsEEsEE10hipError_tPvRmT2_T3_T4_T5_mT6_T7_P12ihipStream_tbENKUlT_T0_E_clISt17integral_constantIbLb0EESZ_EEDaSU_SV_EUlSU_E_NS1_11comp_targetILNS1_3genE9ELNS1_11target_archE1100ELNS1_3gpuE3ELNS1_3repE0EEENS1_30default_config_static_selectorELNS0_4arch9wavefront6targetE0EEEvT1_.uses_vcc, 0
	.set _ZN7rocprim17ROCPRIM_400000_NS6detail17trampoline_kernelINS0_14default_configENS1_27scan_by_key_config_selectorIssEEZZNS1_16scan_by_key_implILNS1_25lookback_scan_determinismE0ELb1ES3_N6thrust23THRUST_200600_302600_NS6detail15normal_iteratorINS9_10device_ptrIsEEEESE_SE_sNS9_4plusIvEENS9_8equal_toIsEEsEE10hipError_tPvRmT2_T3_T4_T5_mT6_T7_P12ihipStream_tbENKUlT_T0_E_clISt17integral_constantIbLb0EESZ_EEDaSU_SV_EUlSU_E_NS1_11comp_targetILNS1_3genE9ELNS1_11target_archE1100ELNS1_3gpuE3ELNS1_3repE0EEENS1_30default_config_static_selectorELNS0_4arch9wavefront6targetE0EEEvT1_.uses_flat_scratch, 0
	.set _ZN7rocprim17ROCPRIM_400000_NS6detail17trampoline_kernelINS0_14default_configENS1_27scan_by_key_config_selectorIssEEZZNS1_16scan_by_key_implILNS1_25lookback_scan_determinismE0ELb1ES3_N6thrust23THRUST_200600_302600_NS6detail15normal_iteratorINS9_10device_ptrIsEEEESE_SE_sNS9_4plusIvEENS9_8equal_toIsEEsEE10hipError_tPvRmT2_T3_T4_T5_mT6_T7_P12ihipStream_tbENKUlT_T0_E_clISt17integral_constantIbLb0EESZ_EEDaSU_SV_EUlSU_E_NS1_11comp_targetILNS1_3genE9ELNS1_11target_archE1100ELNS1_3gpuE3ELNS1_3repE0EEENS1_30default_config_static_selectorELNS0_4arch9wavefront6targetE0EEEvT1_.has_dyn_sized_stack, 0
	.set _ZN7rocprim17ROCPRIM_400000_NS6detail17trampoline_kernelINS0_14default_configENS1_27scan_by_key_config_selectorIssEEZZNS1_16scan_by_key_implILNS1_25lookback_scan_determinismE0ELb1ES3_N6thrust23THRUST_200600_302600_NS6detail15normal_iteratorINS9_10device_ptrIsEEEESE_SE_sNS9_4plusIvEENS9_8equal_toIsEEsEE10hipError_tPvRmT2_T3_T4_T5_mT6_T7_P12ihipStream_tbENKUlT_T0_E_clISt17integral_constantIbLb0EESZ_EEDaSU_SV_EUlSU_E_NS1_11comp_targetILNS1_3genE9ELNS1_11target_archE1100ELNS1_3gpuE3ELNS1_3repE0EEENS1_30default_config_static_selectorELNS0_4arch9wavefront6targetE0EEEvT1_.has_recursion, 0
	.set _ZN7rocprim17ROCPRIM_400000_NS6detail17trampoline_kernelINS0_14default_configENS1_27scan_by_key_config_selectorIssEEZZNS1_16scan_by_key_implILNS1_25lookback_scan_determinismE0ELb1ES3_N6thrust23THRUST_200600_302600_NS6detail15normal_iteratorINS9_10device_ptrIsEEEESE_SE_sNS9_4plusIvEENS9_8equal_toIsEEsEE10hipError_tPvRmT2_T3_T4_T5_mT6_T7_P12ihipStream_tbENKUlT_T0_E_clISt17integral_constantIbLb0EESZ_EEDaSU_SV_EUlSU_E_NS1_11comp_targetILNS1_3genE9ELNS1_11target_archE1100ELNS1_3gpuE3ELNS1_3repE0EEENS1_30default_config_static_selectorELNS0_4arch9wavefront6targetE0EEEvT1_.has_indirect_call, 0
	.section	.AMDGPU.csdata,"",@progbits
; Kernel info:
; codeLenInByte = 0
; TotalNumSgprs: 0
; NumVgprs: 0
; ScratchSize: 0
; MemoryBound: 0
; FloatMode: 240
; IeeeMode: 1
; LDSByteSize: 0 bytes/workgroup (compile time only)
; SGPRBlocks: 0
; VGPRBlocks: 0
; NumSGPRsForWavesPerEU: 1
; NumVGPRsForWavesPerEU: 1
; Occupancy: 16
; WaveLimiterHint : 0
; COMPUTE_PGM_RSRC2:SCRATCH_EN: 0
; COMPUTE_PGM_RSRC2:USER_SGPR: 6
; COMPUTE_PGM_RSRC2:TRAP_HANDLER: 0
; COMPUTE_PGM_RSRC2:TGID_X_EN: 1
; COMPUTE_PGM_RSRC2:TGID_Y_EN: 0
; COMPUTE_PGM_RSRC2:TGID_Z_EN: 0
; COMPUTE_PGM_RSRC2:TIDIG_COMP_CNT: 0
	.section	.text._ZN7rocprim17ROCPRIM_400000_NS6detail17trampoline_kernelINS0_14default_configENS1_27scan_by_key_config_selectorIssEEZZNS1_16scan_by_key_implILNS1_25lookback_scan_determinismE0ELb1ES3_N6thrust23THRUST_200600_302600_NS6detail15normal_iteratorINS9_10device_ptrIsEEEESE_SE_sNS9_4plusIvEENS9_8equal_toIsEEsEE10hipError_tPvRmT2_T3_T4_T5_mT6_T7_P12ihipStream_tbENKUlT_T0_E_clISt17integral_constantIbLb0EESZ_EEDaSU_SV_EUlSU_E_NS1_11comp_targetILNS1_3genE8ELNS1_11target_archE1030ELNS1_3gpuE2ELNS1_3repE0EEENS1_30default_config_static_selectorELNS0_4arch9wavefront6targetE0EEEvT1_,"axG",@progbits,_ZN7rocprim17ROCPRIM_400000_NS6detail17trampoline_kernelINS0_14default_configENS1_27scan_by_key_config_selectorIssEEZZNS1_16scan_by_key_implILNS1_25lookback_scan_determinismE0ELb1ES3_N6thrust23THRUST_200600_302600_NS6detail15normal_iteratorINS9_10device_ptrIsEEEESE_SE_sNS9_4plusIvEENS9_8equal_toIsEEsEE10hipError_tPvRmT2_T3_T4_T5_mT6_T7_P12ihipStream_tbENKUlT_T0_E_clISt17integral_constantIbLb0EESZ_EEDaSU_SV_EUlSU_E_NS1_11comp_targetILNS1_3genE8ELNS1_11target_archE1030ELNS1_3gpuE2ELNS1_3repE0EEENS1_30default_config_static_selectorELNS0_4arch9wavefront6targetE0EEEvT1_,comdat
	.protected	_ZN7rocprim17ROCPRIM_400000_NS6detail17trampoline_kernelINS0_14default_configENS1_27scan_by_key_config_selectorIssEEZZNS1_16scan_by_key_implILNS1_25lookback_scan_determinismE0ELb1ES3_N6thrust23THRUST_200600_302600_NS6detail15normal_iteratorINS9_10device_ptrIsEEEESE_SE_sNS9_4plusIvEENS9_8equal_toIsEEsEE10hipError_tPvRmT2_T3_T4_T5_mT6_T7_P12ihipStream_tbENKUlT_T0_E_clISt17integral_constantIbLb0EESZ_EEDaSU_SV_EUlSU_E_NS1_11comp_targetILNS1_3genE8ELNS1_11target_archE1030ELNS1_3gpuE2ELNS1_3repE0EEENS1_30default_config_static_selectorELNS0_4arch9wavefront6targetE0EEEvT1_ ; -- Begin function _ZN7rocprim17ROCPRIM_400000_NS6detail17trampoline_kernelINS0_14default_configENS1_27scan_by_key_config_selectorIssEEZZNS1_16scan_by_key_implILNS1_25lookback_scan_determinismE0ELb1ES3_N6thrust23THRUST_200600_302600_NS6detail15normal_iteratorINS9_10device_ptrIsEEEESE_SE_sNS9_4plusIvEENS9_8equal_toIsEEsEE10hipError_tPvRmT2_T3_T4_T5_mT6_T7_P12ihipStream_tbENKUlT_T0_E_clISt17integral_constantIbLb0EESZ_EEDaSU_SV_EUlSU_E_NS1_11comp_targetILNS1_3genE8ELNS1_11target_archE1030ELNS1_3gpuE2ELNS1_3repE0EEENS1_30default_config_static_selectorELNS0_4arch9wavefront6targetE0EEEvT1_
	.globl	_ZN7rocprim17ROCPRIM_400000_NS6detail17trampoline_kernelINS0_14default_configENS1_27scan_by_key_config_selectorIssEEZZNS1_16scan_by_key_implILNS1_25lookback_scan_determinismE0ELb1ES3_N6thrust23THRUST_200600_302600_NS6detail15normal_iteratorINS9_10device_ptrIsEEEESE_SE_sNS9_4plusIvEENS9_8equal_toIsEEsEE10hipError_tPvRmT2_T3_T4_T5_mT6_T7_P12ihipStream_tbENKUlT_T0_E_clISt17integral_constantIbLb0EESZ_EEDaSU_SV_EUlSU_E_NS1_11comp_targetILNS1_3genE8ELNS1_11target_archE1030ELNS1_3gpuE2ELNS1_3repE0EEENS1_30default_config_static_selectorELNS0_4arch9wavefront6targetE0EEEvT1_
	.p2align	8
	.type	_ZN7rocprim17ROCPRIM_400000_NS6detail17trampoline_kernelINS0_14default_configENS1_27scan_by_key_config_selectorIssEEZZNS1_16scan_by_key_implILNS1_25lookback_scan_determinismE0ELb1ES3_N6thrust23THRUST_200600_302600_NS6detail15normal_iteratorINS9_10device_ptrIsEEEESE_SE_sNS9_4plusIvEENS9_8equal_toIsEEsEE10hipError_tPvRmT2_T3_T4_T5_mT6_T7_P12ihipStream_tbENKUlT_T0_E_clISt17integral_constantIbLb0EESZ_EEDaSU_SV_EUlSU_E_NS1_11comp_targetILNS1_3genE8ELNS1_11target_archE1030ELNS1_3gpuE2ELNS1_3repE0EEENS1_30default_config_static_selectorELNS0_4arch9wavefront6targetE0EEEvT1_,@function
_ZN7rocprim17ROCPRIM_400000_NS6detail17trampoline_kernelINS0_14default_configENS1_27scan_by_key_config_selectorIssEEZZNS1_16scan_by_key_implILNS1_25lookback_scan_determinismE0ELb1ES3_N6thrust23THRUST_200600_302600_NS6detail15normal_iteratorINS9_10device_ptrIsEEEESE_SE_sNS9_4plusIvEENS9_8equal_toIsEEsEE10hipError_tPvRmT2_T3_T4_T5_mT6_T7_P12ihipStream_tbENKUlT_T0_E_clISt17integral_constantIbLb0EESZ_EEDaSU_SV_EUlSU_E_NS1_11comp_targetILNS1_3genE8ELNS1_11target_archE1030ELNS1_3gpuE2ELNS1_3repE0EEENS1_30default_config_static_selectorELNS0_4arch9wavefront6targetE0EEEvT1_: ; @_ZN7rocprim17ROCPRIM_400000_NS6detail17trampoline_kernelINS0_14default_configENS1_27scan_by_key_config_selectorIssEEZZNS1_16scan_by_key_implILNS1_25lookback_scan_determinismE0ELb1ES3_N6thrust23THRUST_200600_302600_NS6detail15normal_iteratorINS9_10device_ptrIsEEEESE_SE_sNS9_4plusIvEENS9_8equal_toIsEEsEE10hipError_tPvRmT2_T3_T4_T5_mT6_T7_P12ihipStream_tbENKUlT_T0_E_clISt17integral_constantIbLb0EESZ_EEDaSU_SV_EUlSU_E_NS1_11comp_targetILNS1_3genE8ELNS1_11target_archE1030ELNS1_3gpuE2ELNS1_3repE0EEENS1_30default_config_static_selectorELNS0_4arch9wavefront6targetE0EEEvT1_
; %bb.0:
	s_clause 0x5
	s_load_dwordx8 s[8:15], s[4:5], 0x0
	s_load_dwordx2 s[26:27], s[4:5], 0x38
	s_load_dword s2, s[4:5], 0x40
	s_load_dwordx4 s[20:23], s[4:5], 0x48
	s_load_dword s30, s[4:5], 0x20
	s_load_dwordx4 s[16:19], s[4:5], 0x28
	s_mov_b32 s1, 0
	s_mul_i32 s0, s6, 0x280
	s_waitcnt lgkmcnt(0)
	s_barrier
	buffer_gl0_inv
	s_lshl_b64 s[24:25], s[10:11], 1
	s_add_u32 s5, s8, s24
	s_addc_u32 s7, s9, s25
	s_mul_i32 s3, s27, s2
	s_mul_hi_u32 s4, s26, s2
	s_add_u32 s8, s12, s24
	s_addc_u32 s9, s13, s25
	s_lshl_b64 s[12:13], s[0:1], 1
	s_add_i32 s4, s4, s3
	s_add_u32 s28, s5, s12
	s_addc_u32 s29, s7, s13
	s_mul_i32 s0, s26, s2
	s_add_u32 s31, s8, s12
	s_addc_u32 s33, s9, s13
	s_add_u32 s2, s0, s6
	s_addc_u32 s3, s4, 0
	s_add_u32 s4, s20, -1
	s_addc_u32 s5, s21, -1
	s_mul_i32 s19, s4, 0xfffffd80
	v_cmp_ge_u64_e64 s11, s[2:3], s[4:5]
	s_and_b32 vcc_lo, exec_lo, s11
	s_cbranch_vccz .LBB649_55
; %bb.1:
	v_mov_b32_e32 v1, s28
	v_mov_b32_e32 v2, s29
	s_add_i32 s20, s19, s18
	v_cmp_gt_u32_e64 s9, s20, v0
	flat_load_ushort v1, v[1:2]
	s_waitcnt vmcnt(0) lgkmcnt(0)
	v_mov_b32_e32 v2, v1
	s_and_saveexec_b32 s0, s9
	s_cbranch_execz .LBB649_3
; %bb.2:
	v_lshlrev_b32_e32 v2, 1, v0
	v_add_co_u32 v2, s1, s28, v2
	v_add_co_ci_u32_e64 v3, null, s29, 0, s1
	flat_load_ushort v2, v[2:3]
.LBB649_3:
	s_or_b32 exec_lo, exec_lo, s0
	v_or_b32_e32 v3, 64, v0
	v_cmp_gt_u32_e64 s8, s20, v3
	v_mov_b32_e32 v3, v1
	s_and_saveexec_b32 s0, s8
	s_cbranch_execz .LBB649_5
; %bb.4:
	v_lshlrev_b32_e32 v3, 1, v0
	v_add_co_u32 v3, s1, s28, v3
	v_add_co_ci_u32_e64 v4, null, s29, 0, s1
	flat_load_ushort v3, v[3:4] offset:128
.LBB649_5:
	s_or_b32 exec_lo, exec_lo, s0
	v_or_b32_e32 v4, 0x80, v0
	v_cmp_gt_u32_e64 s7, s20, v4
	v_mov_b32_e32 v4, v1
	s_and_saveexec_b32 s0, s7
	s_cbranch_execz .LBB649_7
; %bb.6:
	v_lshlrev_b32_e32 v4, 1, v0
	v_add_co_u32 v4, s1, s28, v4
	v_add_co_ci_u32_e64 v5, null, s29, 0, s1
	flat_load_ushort v4, v[4:5] offset:256
.LBB649_7:
	s_or_b32 exec_lo, exec_lo, s0
	v_or_b32_e32 v5, 0xc0, v0
	v_cmp_gt_u32_e64 s5, s20, v5
	v_mov_b32_e32 v5, v1
	s_and_saveexec_b32 s0, s5
	s_cbranch_execz .LBB649_9
; %bb.8:
	v_lshlrev_b32_e32 v5, 1, v0
	v_add_co_u32 v5, s1, s28, v5
	v_add_co_ci_u32_e64 v6, null, s29, 0, s1
	flat_load_ushort v5, v[5:6] offset:384
.LBB649_9:
	s_or_b32 exec_lo, exec_lo, s0
	v_or_b32_e32 v6, 0x100, v0
	v_cmp_gt_u32_e64 s4, s20, v6
	v_mov_b32_e32 v6, v1
	s_and_saveexec_b32 s0, s4
	s_cbranch_execz .LBB649_11
; %bb.10:
	v_lshlrev_b32_e32 v6, 1, v0
	v_add_co_u32 v6, s1, s28, v6
	v_add_co_ci_u32_e64 v7, null, s29, 0, s1
	flat_load_ushort v6, v[6:7] offset:512
.LBB649_11:
	s_or_b32 exec_lo, exec_lo, s0
	v_or_b32_e32 v7, 0x140, v0
	v_cmp_gt_u32_e64 s3, s20, v7
	v_mov_b32_e32 v7, v1
	s_and_saveexec_b32 s0, s3
	s_cbranch_execz .LBB649_13
; %bb.12:
	v_lshlrev_b32_e32 v7, 1, v0
	v_add_co_u32 v7, s1, s28, v7
	v_add_co_ci_u32_e64 v8, null, s29, 0, s1
	flat_load_ushort v7, v[7:8] offset:640
.LBB649_13:
	s_or_b32 exec_lo, exec_lo, s0
	v_or_b32_e32 v8, 0x180, v0
	v_cmp_gt_u32_e64 s2, s20, v8
	v_mov_b32_e32 v8, v1
	s_and_saveexec_b32 s0, s2
	s_cbranch_execz .LBB649_15
; %bb.14:
	v_lshlrev_b32_e32 v8, 1, v0
	v_add_co_u32 v8, s1, s28, v8
	v_add_co_ci_u32_e64 v9, null, s29, 0, s1
	flat_load_ushort v8, v[8:9] offset:768
.LBB649_15:
	s_or_b32 exec_lo, exec_lo, s0
	v_or_b32_e32 v9, 0x1c0, v0
	v_cmp_gt_u32_e64 s1, s20, v9
	v_mov_b32_e32 v9, v1
	s_and_saveexec_b32 s0, s1
	s_cbranch_execz .LBB649_17
; %bb.16:
	v_lshlrev_b32_e32 v9, 1, v0
	v_add_co_u32 v9, s10, s28, v9
	v_add_co_ci_u32_e64 v10, null, s29, 0, s10
	flat_load_ushort v9, v[9:10] offset:896
.LBB649_17:
	s_or_b32 exec_lo, exec_lo, s0
	v_or_b32_e32 v10, 0x200, v0
	v_cmp_gt_u32_e64 s0, s20, v10
	v_mov_b32_e32 v10, v1
	s_and_saveexec_b32 s10, s0
	s_cbranch_execz .LBB649_19
; %bb.18:
	v_lshlrev_b32_e32 v10, 1, v0
	v_add_co_u32 v10, s21, s28, v10
	v_add_co_ci_u32_e64 v11, null, s29, 0, s21
	flat_load_ushort v10, v[10:11] offset:1024
.LBB649_19:
	s_or_b32 exec_lo, exec_lo, s10
	v_or_b32_e32 v11, 0x240, v0
	v_cmp_le_u32_e64 s10, s20, v11
	v_cmp_gt_u32_e32 vcc_lo, s20, v11
	s_and_saveexec_b32 s21, s10
	s_xor_b32 s10, exec_lo, s21
	s_andn2_saveexec_b32 s10, s10
	s_cbranch_execz .LBB649_21
; %bb.20:
	v_lshlrev_b32_e32 v1, 1, v0
	v_add_co_u32 v11, s21, s28, v1
	v_add_co_ci_u32_e64 v12, null, s29, 0, s21
	flat_load_ushort v1, v[11:12] offset:1152
.LBB649_21:
	s_or_b32 exec_lo, exec_lo, s10
	v_lshlrev_b32_e32 v13, 1, v0
	s_mov_b32 s21, exec_lo
	s_waitcnt vmcnt(0) lgkmcnt(0)
	ds_write_b16 v13, v2
	ds_write_b16 v13, v3 offset:128
	ds_write_b16 v13, v4 offset:256
	;; [unrolled: 1-line block ×8, first 2 shown]
	v_mov_b32_e32 v2, s28
	v_mov_b32_e32 v3, s29
	ds_write_b16 v13, v1 offset:1152
	s_waitcnt lgkmcnt(0)
	s_barrier
	buffer_gl0_inv
	flat_load_ushort v23, v[2:3]
	v_mad_u32_u24 v22, v0, 18, v13
	ds_read2_b32 v[11:12], v22 offset1:1
	ds_read2_b32 v[9:10], v22 offset0:2 offset1:3
	ds_read_b32 v24, v22 offset:16
	v_mad_i32_i24 v1, 0xffffffee, v0, v22
	s_waitcnt lgkmcnt(2)
	ds_write_b16 v1, v11 offset:1408
	s_waitcnt vmcnt(0) lgkmcnt(0)
	s_barrier
	buffer_gl0_inv
	v_cmpx_ne_u32_e32 63, v0
; %bb.22:
	v_mul_i32_i24_e32 v1, 0xffffffee, v0
	v_add_nc_u32_e32 v1, v22, v1
	ds_read_u16 v23, v1 offset:1410
; %bb.23:
	s_or_b32 exec_lo, exec_lo, s21
	v_mov_b32_e32 v1, 0
	v_lshlrev_b32_e32 v14, 1, v0
	s_waitcnt lgkmcnt(0)
	s_barrier
	buffer_gl0_inv
	v_mov_b32_e32 v2, v1
	v_mov_b32_e32 v3, v1
	v_mov_b32_e32 v4, v1
	v_mov_b32_e32 v5, v1
	s_and_saveexec_b32 s10, s9
	s_cbranch_execnz .LBB649_181
; %bb.24:
	s_or_b32 exec_lo, exec_lo, s10
	s_and_saveexec_b32 s9, s8
	s_cbranch_execnz .LBB649_182
.LBB649_25:
	s_or_b32 exec_lo, exec_lo, s9
	s_and_saveexec_b32 s8, s7
	s_cbranch_execnz .LBB649_183
.LBB649_26:
	s_or_b32 exec_lo, exec_lo, s8
	s_and_saveexec_b32 s7, s5
	s_cbranch_execnz .LBB649_184
.LBB649_27:
	s_or_b32 exec_lo, exec_lo, s7
	s_and_saveexec_b32 s5, s4
	s_cbranch_execnz .LBB649_185
.LBB649_28:
	s_or_b32 exec_lo, exec_lo, s5
	s_and_saveexec_b32 s4, s3
	s_cbranch_execnz .LBB649_186
.LBB649_29:
	s_or_b32 exec_lo, exec_lo, s4
	s_and_saveexec_b32 s3, s2
	s_cbranch_execnz .LBB649_187
.LBB649_30:
	s_or_b32 exec_lo, exec_lo, s3
	s_and_saveexec_b32 s2, s1
	s_cbranch_execnz .LBB649_188
.LBB649_31:
	s_or_b32 exec_lo, exec_lo, s2
	s_and_saveexec_b32 s1, s0
	s_cbranch_execnz .LBB649_189
.LBB649_32:
	s_or_b32 exec_lo, exec_lo, s1
	v_mul_u32_u24_e32 v29, 10, v0
	s_and_saveexec_b32 s0, vcc_lo
	s_cbranch_execz .LBB649_34
.LBB649_33:
	v_add_co_u32 v6, s1, s31, v14
	v_add_co_ci_u32_e64 v7, null, s33, 0, s1
	s_waitcnt vmcnt(0) lgkmcnt(0)
	flat_load_short_d16_hi v5, v[6:7] offset:1152
.LBB649_34:
	s_or_b32 exec_lo, exec_lo, s0
	s_waitcnt vmcnt(0) lgkmcnt(0)
	ds_write_b16 v13, v1
	ds_write_b16_d16_hi v13, v1 offset:128
	ds_write_b16 v13, v2 offset:256
	ds_write_b16_d16_hi v13, v2 offset:384
	ds_write_b16 v13, v3 offset:512
	;; [unrolled: 2-line block ×4, first 2 shown]
	ds_write_b16_d16_hi v13, v5 offset:1152
	v_cmp_gt_u32_e32 vcc_lo, s20, v29
	v_mov_b32_e32 v19, 0
	v_mov_b32_e32 v1, 0
	v_mov_b32_e32 v28, 0
	v_mov_b32_e32 v27, 0
	v_mov_b32_e32 v26, 0
	v_mov_b32_e32 v25, 0
	v_mov_b32_e32 v7, 0
	v_mov_b32_e32 v6, 0
	v_mov_b32_e32 v5, 0
	v_mov_b32_e32 v21, 0
	v_mov_b32_e32 v20, 0
	v_mov_b32_e32 v18, 0
	v_mov_b32_e32 v17, 0
	v_mov_b32_e32 v16, 0
	v_mov_b32_e32 v15, 0
	v_mov_b32_e32 v14, 0
	v_mov_b32_e32 v13, 0
	s_mov_b32 s2, 0
	s_mov_b32 s1, 0
	s_waitcnt lgkmcnt(0)
	s_barrier
	buffer_gl0_inv
                                        ; implicit-def: $sgpr4
                                        ; implicit-def: $vgpr8
	s_and_saveexec_b32 s3, vcc_lo
	s_cbranch_execz .LBB649_54
; %bb.35:
	ds_read_u16 v2, v22
	v_cmp_eq_u16_sdwa vcc_lo, v11, v11 src0_sel:DWORD src1_sel:WORD_1
	v_mov_b32_e32 v1, 0
	v_or_b32_e32 v3, 1, v29
	v_mov_b32_e32 v28, 0
	v_mov_b32_e32 v27, 0
	;; [unrolled: 1-line block ×13, first 2 shown]
	v_cndmask_b32_e64 v21, 0x10000, 0, vcc_lo
	v_mov_b32_e32 v13, 0
	s_mov_b32 s5, 0
	s_waitcnt lgkmcnt(0)
	v_cndmask_b32_e32 v19, s30, v2, vcc_lo
	s_mov_b32 s1, exec_lo
                                        ; implicit-def: $sgpr4
                                        ; implicit-def: $vgpr8
	v_cmpx_gt_u32_e64 s20, v3
	s_cbranch_execz .LBB649_53
; %bb.36:
	ds_read_b128 v[1:4], v22 offset:2
	v_cmp_eq_u16_sdwa vcc_lo, v11, v12 src0_sel:WORD_1 src1_sel:DWORD
	v_add_nc_u32_e32 v8, 2, v29
	v_mov_b32_e32 v28, 0
	v_mov_b32_e32 v27, 0
	;; [unrolled: 1-line block ×12, first 2 shown]
	v_cmp_gt_u32_e64 s0, s20, v8
	v_cndmask_b32_e64 v20, 0x10000, 0, vcc_lo
	v_mov_b32_e32 v13, 0
	s_mov_b32 s7, 0
                                        ; implicit-def: $sgpr4
                                        ; implicit-def: $vgpr8
	s_waitcnt lgkmcnt(0)
	v_cndmask_b32_e32 v11, s30, v1, vcc_lo
	s_and_saveexec_b32 s5, s0
	s_cbranch_execz .LBB649_52
; %bb.37:
	v_add_nc_u32_e32 v5, 3, v29
	v_cmp_eq_u16_sdwa vcc_lo, v12, v12 src0_sel:DWORD src1_sel:WORD_1
	v_mov_b32_e32 v27, 0
	v_mov_b32_e32 v26, 0
	;; [unrolled: 1-line block ×3, first 2 shown]
	v_cmp_gt_u32_e64 s0, s20, v5
	v_cndmask_b32_e64 v18, 0x10000, 0, vcc_lo
	v_cndmask_b32_sdwa v1, s30, v1, vcc_lo dst_sel:DWORD dst_unused:UNUSED_PAD src0_sel:DWORD src1_sel:WORD_1
	v_mov_b32_e32 v7, 0
	v_mov_b32_e32 v6, 0
	;; [unrolled: 1-line block ×8, first 2 shown]
	s_mov_b32 s8, 0
                                        ; implicit-def: $sgpr4
                                        ; implicit-def: $vgpr8
	s_and_saveexec_b32 s7, s0
	s_cbranch_execz .LBB649_51
; %bb.38:
	v_cmp_eq_u16_sdwa vcc_lo, v12, v9 src0_sel:WORD_1 src1_sel:DWORD
	v_add_nc_u32_e32 v5, 4, v29
	v_mov_b32_e32 v26, 0
	v_mov_b32_e32 v25, 0
	;; [unrolled: 1-line block ×3, first 2 shown]
	v_cndmask_b32_e32 v12, s30, v2, vcc_lo
	v_cndmask_b32_e64 v17, 0x10000, 0, vcc_lo
	v_cmp_gt_u32_e32 vcc_lo, s20, v5
	v_mov_b32_e32 v6, 0
	v_mov_b32_e32 v5, 0
	;; [unrolled: 1-line block ×6, first 2 shown]
	s_mov_b32 s0, 0
                                        ; implicit-def: $sgpr4
                                        ; implicit-def: $vgpr8
	s_and_saveexec_b32 s8, vcc_lo
	s_cbranch_execz .LBB649_50
; %bb.39:
	v_add_nc_u32_e32 v5, 5, v29
	v_cmp_eq_u16_sdwa vcc_lo, v9, v9 src0_sel:DWORD src1_sel:WORD_1
	v_mov_b32_e32 v25, 0
	v_mov_b32_e32 v7, 0
	;; [unrolled: 1-line block ×3, first 2 shown]
	v_cmp_gt_u32_e64 s0, s20, v5
	v_cndmask_b32_e64 v16, 0x10000, 0, vcc_lo
	v_cndmask_b32_sdwa v2, s30, v2, vcc_lo dst_sel:DWORD dst_unused:UNUSED_PAD src0_sel:DWORD src1_sel:WORD_1
	v_mov_b32_e32 v5, 0
	v_mov_b32_e32 v15, 0
	v_mov_b32_e32 v14, 0
	v_mov_b32_e32 v13, 0
	s_mov_b32 s10, 0
                                        ; implicit-def: $sgpr4
                                        ; implicit-def: $vgpr8
	s_and_saveexec_b32 s9, s0
	s_cbranch_execz .LBB649_49
; %bb.40:
	v_cmp_eq_u16_sdwa vcc_lo, v9, v10 src0_sel:WORD_1 src1_sel:DWORD
	v_add_nc_u32_e32 v5, 6, v29
	v_mov_b32_e32 v7, 0
	v_mov_b32_e32 v6, 0
	;; [unrolled: 1-line block ×3, first 2 shown]
	v_cndmask_b32_e32 v9, s30, v3, vcc_lo
	v_cndmask_b32_e64 v15, 0x10000, 0, vcc_lo
	v_cmp_gt_u32_e32 vcc_lo, s20, v5
	v_mov_b32_e32 v5, 0
	v_mov_b32_e32 v13, 0
	s_mov_b32 s0, 0
                                        ; implicit-def: $sgpr4
                                        ; implicit-def: $vgpr8
	s_and_saveexec_b32 s10, vcc_lo
	s_cbranch_execz .LBB649_48
; %bb.41:
	v_add_nc_u32_e32 v8, 7, v29
	v_cmp_eq_u16_sdwa vcc_lo, v10, v10 src0_sel:DWORD src1_sel:WORD_1
	v_mov_b32_e32 v6, 0
	v_mov_b32_e32 v5, 0
	;; [unrolled: 1-line block ×3, first 2 shown]
	v_cmp_gt_u32_e64 s0, s20, v8
	v_cndmask_b32_e64 v7, 0x10000, 0, vcc_lo
	v_cndmask_b32_sdwa v3, s30, v3, vcc_lo dst_sel:DWORD dst_unused:UNUSED_PAD src0_sel:DWORD src1_sel:WORD_1
	s_mov_b32 s34, 0
                                        ; implicit-def: $sgpr4
                                        ; implicit-def: $vgpr8
	s_and_saveexec_b32 s21, s0
	s_cbranch_execz .LBB649_47
; %bb.42:
	v_cmp_eq_u16_sdwa vcc_lo, v10, v24 src0_sel:WORD_1 src1_sel:DWORD
	v_add_nc_u32_e32 v8, 8, v29
	v_mov_b32_e32 v5, 0
                                        ; implicit-def: $sgpr4
	v_cndmask_b32_e32 v6, s30, v4, vcc_lo
	v_cndmask_b32_e64 v10, 0x10000, 0, vcc_lo
	v_cmp_gt_u32_e32 vcc_lo, s20, v8
                                        ; implicit-def: $vgpr8
	s_and_saveexec_b32 s0, vcc_lo
	s_cbranch_execz .LBB649_46
; %bb.43:
	v_cmp_eq_u16_sdwa vcc_lo, v24, v24 src0_sel:DWORD src1_sel:WORD_1
	v_add_nc_u32_e32 v8, 9, v29
                                        ; implicit-def: $sgpr4
	v_cndmask_b32_e64 v5, 0x10000, 0, vcc_lo
	v_cndmask_b32_sdwa v4, s30, v4, vcc_lo dst_sel:DWORD dst_unused:UNUSED_PAD src0_sel:DWORD src1_sel:WORD_1
	v_cmp_gt_u32_e32 vcc_lo, s20, v8
	s_mov_b32 s20, 0
                                        ; implicit-def: $vgpr8
	s_and_saveexec_b32 s34, vcc_lo
	s_xor_b32 s34, exec_lo, s34
	s_cbranch_execz .LBB649_45
; %bb.44:
	ds_read_u16 v8, v22 offset:18
	v_cmp_ne_u16_sdwa s4, v24, v23 src0_sel:WORD_1 src1_sel:DWORD
	s_mov_b32 s20, exec_lo
	s_waitcnt lgkmcnt(0)
	v_cndmask_b32_e64 v8, v8, s30, s4
.LBB649_45:
	s_or_b32 exec_lo, exec_lo, s34
	v_or_b32_sdwa v5, v5, v4 dst_sel:DWORD dst_unused:UNUSED_PAD src0_sel:DWORD src1_sel:WORD_0
	s_and_b32 s34, s20, exec_lo
.LBB649_46:
	s_or_b32 exec_lo, exec_lo, s0
	v_or_b32_sdwa v6, v10, v6 dst_sel:DWORD dst_unused:UNUSED_PAD src0_sel:DWORD src1_sel:WORD_0
	v_mov_b32_e32 v13, v5
	s_and_b32 s34, s34, exec_lo
.LBB649_47:
	s_or_b32 exec_lo, exec_lo, s21
	v_or_b32_sdwa v7, v7, v3 dst_sel:DWORD dst_unused:UNUSED_PAD src0_sel:DWORD src1_sel:WORD_0
	v_mov_b32_e32 v14, v6
	s_and_b32 s0, s34, exec_lo
.LBB649_48:
	s_or_b32 exec_lo, exec_lo, s10
	v_or_b32_sdwa v25, v15, v9 dst_sel:DWORD dst_unused:UNUSED_PAD src0_sel:DWORD src1_sel:WORD_0
	v_mov_b32_e32 v15, v7
	s_and_b32 s10, s0, exec_lo
.LBB649_49:
	s_or_b32 exec_lo, exec_lo, s9
	v_or_b32_sdwa v26, v16, v2 dst_sel:DWORD dst_unused:UNUSED_PAD src0_sel:DWORD src1_sel:WORD_0
	v_mov_b32_e32 v16, v25
	s_and_b32 s0, s10, exec_lo
.LBB649_50:
	s_or_b32 exec_lo, exec_lo, s8
	v_or_b32_sdwa v27, v17, v12 dst_sel:DWORD dst_unused:UNUSED_PAD src0_sel:DWORD src1_sel:WORD_0
	v_mov_b32_e32 v17, v26
	s_and_b32 s8, s0, exec_lo
.LBB649_51:
	s_or_b32 exec_lo, exec_lo, s7
	v_or_b32_sdwa v28, v18, v1 dst_sel:DWORD dst_unused:UNUSED_PAD src0_sel:DWORD src1_sel:WORD_0
	v_mov_b32_e32 v18, v27
	s_and_b32 s7, s8, exec_lo
.LBB649_52:
	s_or_b32 exec_lo, exec_lo, s5
	v_or_b32_sdwa v1, v20, v11 dst_sel:DWORD dst_unused:UNUSED_PAD src0_sel:DWORD src1_sel:WORD_0
	v_mov_b32_e32 v20, v28
	s_and_b32 s5, s7, exec_lo
.LBB649_53:
	s_or_b32 exec_lo, exec_lo, s1
	v_or_b32_sdwa v19, v21, v19 dst_sel:DWORD dst_unused:UNUSED_PAD src0_sel:DWORD src1_sel:WORD_0
	v_mov_b32_e32 v21, v1
	s_and_b32 s1, s5, exec_lo
.LBB649_54:
	s_or_b32 exec_lo, exec_lo, s3
	v_lshlrev_b32_e32 v9, 1, v0
	s_and_b32 vcc_lo, exec_lo, s2
	s_cbranch_vccnz .LBB649_56
	s_branch .LBB649_59
.LBB649_55:
                                        ; implicit-def: $sgpr4
                                        ; implicit-def: $vgpr8
                                        ; implicit-def: $vgpr19
                                        ; implicit-def: $vgpr1
                                        ; implicit-def: $vgpr28
                                        ; implicit-def: $vgpr27
                                        ; implicit-def: $vgpr26
                                        ; implicit-def: $vgpr25
                                        ; implicit-def: $vgpr7
                                        ; implicit-def: $vgpr6
                                        ; implicit-def: $vgpr5
                                        ; implicit-def: $vgpr21
                                        ; implicit-def: $vgpr20
                                        ; implicit-def: $vgpr18
                                        ; implicit-def: $vgpr17
                                        ; implicit-def: $vgpr16
                                        ; implicit-def: $vgpr15
                                        ; implicit-def: $vgpr14
                                        ; implicit-def: $vgpr13
	v_lshlrev_b32_e32 v9, 1, v0
	s_cbranch_execz .LBB649_59
.LBB649_56:
	v_add_co_u32 v1, s0, s28, v9
	v_add_co_ci_u32_e64 v2, null, s29, 0, s0
	s_mov_b32 s0, exec_lo
	s_clause 0x9
	flat_load_ushort v3, v[1:2]
	flat_load_ushort v4, v[1:2] offset:128
	flat_load_ushort v5, v[1:2] offset:256
	;; [unrolled: 1-line block ×9, first 2 shown]
	v_mov_b32_e32 v1, s28
	v_mov_b32_e32 v2, s29
	s_waitcnt vmcnt(9) lgkmcnt(9)
	ds_write_b16 v9, v3
	s_waitcnt vmcnt(8) lgkmcnt(9)
	ds_write_b16 v9, v4 offset:128
	s_waitcnt vmcnt(7) lgkmcnt(9)
	ds_write_b16 v9, v5 offset:256
	;; [unrolled: 2-line block ×9, first 2 shown]
	s_waitcnt lgkmcnt(0)
	s_barrier
	buffer_gl0_inv
	flat_load_ushort v6, v[1:2] offset:1280
	v_mad_u32_u24 v5, v0, 18, v9
	ds_read2_b32 v[3:4], v5 offset1:1
	ds_read2_b32 v[1:2], v5 offset0:2 offset1:3
	ds_read_b32 v8, v5 offset:16
	v_mad_i32_i24 v7, 0xffffffee, v0, v5
	s_waitcnt lgkmcnt(2)
	ds_write_b16 v7, v3 offset:1408
	s_waitcnt vmcnt(0) lgkmcnt(0)
	s_barrier
	buffer_gl0_inv
	v_cmpx_ne_u32_e32 63, v0
; %bb.57:
	v_mul_i32_i24_e32 v6, 0xffffffee, v0
	v_add_nc_u32_e32 v6, v5, v6
	ds_read_u16 v6, v6 offset:1410
; %bb.58:
	s_or_b32 exec_lo, exec_lo, s0
	v_add_co_u32 v10, s0, s31, v9
	v_add_co_ci_u32_e64 v11, null, s33, 0, s0
	s_waitcnt lgkmcnt(0)
	s_barrier
	buffer_gl0_inv
	s_clause 0x9
	flat_load_ushort v7, v[10:11]
	flat_load_ushort v12, v[10:11] offset:128
	flat_load_ushort v13, v[10:11] offset:256
	;; [unrolled: 1-line block ×9, first 2 shown]
	v_cmp_eq_u16_sdwa vcc_lo, v3, v3 src0_sel:DWORD src1_sel:WORD_1
	v_cmp_eq_u16_sdwa s0, v4, v4 src0_sel:DWORD src1_sel:WORD_1
	v_cmp_eq_u16_sdwa s1, v1, v1 src0_sel:DWORD src1_sel:WORD_1
	;; [unrolled: 1-line block ×4, first 2 shown]
	v_cmp_eq_u16_sdwa s4, v3, v4 src0_sel:WORD_1 src1_sel:DWORD
	v_cmp_eq_u16_sdwa s5, v4, v1 src0_sel:WORD_1 src1_sel:DWORD
	v_cmp_eq_u16_sdwa s7, v1, v2 src0_sel:WORD_1 src1_sel:DWORD
	v_cmp_eq_u16_sdwa s8, v2, v8 src0_sel:WORD_1 src1_sel:DWORD
	s_waitcnt vmcnt(9) lgkmcnt(9)
	ds_write_b16 v9, v7
	s_waitcnt vmcnt(8) lgkmcnt(9)
	ds_write_b16 v9, v12 offset:128
	s_waitcnt vmcnt(7) lgkmcnt(9)
	ds_write_b16 v9, v13 offset:256
	s_waitcnt vmcnt(6) lgkmcnt(9)
	ds_write_b16 v9, v14 offset:384
	s_waitcnt vmcnt(5) lgkmcnt(9)
	ds_write_b16 v9, v15 offset:512
	s_waitcnt vmcnt(4) lgkmcnt(9)
	ds_write_b16 v9, v16 offset:640
	s_waitcnt vmcnt(3) lgkmcnt(9)
	ds_write_b16 v9, v17 offset:768
	s_waitcnt vmcnt(2) lgkmcnt(9)
	ds_write_b16 v9, v18 offset:896
	s_waitcnt vmcnt(1) lgkmcnt(9)
	ds_write_b16 v9, v19 offset:1024
	s_waitcnt vmcnt(0) lgkmcnt(9)
	ds_write_b16 v9, v10 offset:1152
	s_waitcnt lgkmcnt(0)
	s_barrier
	buffer_gl0_inv
	ds_read2_b32 v[10:11], v5 offset1:1
	ds_read2_b32 v[12:13], v5 offset0:2 offset1:3
	ds_read_b32 v5, v5 offset:16
	v_cndmask_b32_e64 v14, 0x10000, 0, vcc_lo
	v_cndmask_b32_e64 v15, 0x10000, 0, s0
	v_cndmask_b32_e64 v16, 0x10000, 0, s1
	;; [unrolled: 1-line block ×4, first 2 shown]
	s_waitcnt lgkmcnt(2)
	v_lshrrev_b32_e32 v7, 16, v10
	v_lshrrev_b32_e32 v3, 16, v11
	s_waitcnt lgkmcnt(1)
	v_lshrrev_b32_e32 v4, 16, v12
	v_lshrrev_b32_e32 v1, 16, v13
	v_cndmask_b32_e32 v10, s30, v10, vcc_lo
	v_cndmask_b32_e64 v11, s30, v11, s0
	v_cndmask_b32_e64 v12, s30, v12, s1
	;; [unrolled: 1-line block ×3, first 2 shown]
	s_waitcnt lgkmcnt(0)
	v_lshrrev_b32_e32 v2, 16, v5
	v_cndmask_b32_e64 v5, s30, v5, s3
	v_or_b32_sdwa v19, v14, v10 dst_sel:DWORD dst_unused:UNUSED_PAD src0_sel:DWORD src1_sel:WORD_0
	v_cndmask_b32_e64 v10, s30, v7, s4
	v_cndmask_b32_e64 v14, 0x10000, 0, s4
	v_or_b32_sdwa v28, v15, v11 dst_sel:DWORD dst_unused:UNUSED_PAD src0_sel:DWORD src1_sel:WORD_0
	v_cndmask_b32_e64 v3, s30, v3, s5
	;; [unrolled: 3-line block ×4, first 2 shown]
	v_cndmask_b32_e64 v15, 0x10000, 0, s8
	v_or_b32_sdwa v5, v18, v5 dst_sel:DWORD dst_unused:UNUSED_PAD src0_sel:DWORD src1_sel:WORD_0
	v_cmp_ne_u16_sdwa s4, v8, v6 src0_sel:WORD_1 src1_sel:DWORD
	v_or_b32_sdwa v1, v14, v10 dst_sel:DWORD dst_unused:UNUSED_PAD src0_sel:DWORD src1_sel:WORD_0
	v_or_b32_sdwa v27, v11, v3 dst_sel:DWORD dst_unused:UNUSED_PAD src0_sel:DWORD src1_sel:WORD_0
	;; [unrolled: 1-line block ×4, first 2 shown]
	v_cndmask_b32_e64 v8, v2, s30, s4
	v_mov_b32_e32 v20, v28
	v_mov_b32_e32 v17, v26
	;; [unrolled: 1-line block ×8, first 2 shown]
	s_mov_b32 s1, -1
.LBB649_59:
	v_mov_b32_e32 v10, 0
	s_and_saveexec_b32 s0, s1
	s_cbranch_execz .LBB649_61
; %bb.60:
	v_cndmask_b32_e64 v2, 0, 0x10000, s4
	v_mov_b32_e32 v13, v5
	v_mov_b32_e32 v14, v6
	;; [unrolled: 1-line block ×4, first 2 shown]
	v_or_b32_sdwa v10, v2, v8 dst_sel:DWORD dst_unused:UNUSED_PAD src0_sel:DWORD src1_sel:WORD_0
	v_mov_b32_e32 v17, v26
	v_mov_b32_e32 v18, v27
	;; [unrolled: 1-line block ×4, first 2 shown]
.LBB649_61:
	s_or_b32 exec_lo, exec_lo, s0
	v_or3_b32 v1, v14, v13, v15
	v_cmp_gt_u32_e64 s8, 0x10000, v21
	v_cmp_gt_u32_e64 s7, 0x10000, v20
	;; [unrolled: 1-line block ×8, first 2 shown]
	v_or3_b32 v22, v1, v16, v17
	v_cmp_gt_u32_e64 s9, 0x10000, v10
	v_lshrrev_b32_e32 v11, 16, v19
	v_lshrrev_b32_e32 v12, 3, v0
	s_cmp_lg_u32 s6, 0
	v_cmp_gt_u32_e32 vcc_lo, 32, v0
	s_barrier
	buffer_gl0_inv
	s_cbranch_scc0 .LBB649_111
; %bb.62:
	v_cndmask_b32_e64 v1, 0, v19, s8
	v_or3_b32 v2, v22, v18, v20
	v_and_b32_e32 v3, 4, v12
	v_add_nc_u16 v1, v1, v21
	v_or3_b32 v2, v2, v21, v10
	v_lshl_add_u32 v3, v0, 2, v3
	v_cndmask_b32_e64 v1, 0, v1, s7
	v_and_b32_e32 v2, 0xff0000, v2
	v_add_nc_u16 v1, v1, v20
	v_cndmask_b32_e64 v1, 0, v1, s5
	v_add_nc_u16 v1, v1, v18
	v_cndmask_b32_e64 v1, 0, v1, s4
	;; [unrolled: 2-line block ×7, first 2 shown]
	v_cmp_eq_u32_e64 s9, 0, v2
	v_add_nc_u16 v23, v1, v10
	v_cndmask_b32_e64 v24, 1, v11, s9
	ds_write_b8 v3, v24 offset:2
	ds_write_b16 v3, v23
	s_waitcnt lgkmcnt(0)
	s_barrier
	buffer_gl0_inv
	s_and_saveexec_b32 s10, vcc_lo
	s_cbranch_execz .LBB649_74
; %bb.63:
	v_lshrrev_b32_e32 v1, 2, v0
	v_lshlrev_b32_e32 v2, 3, v0
	s_mov_b32 s20, exec_lo
	v_and_b32_e32 v1, 12, v1
	v_add_nc_u32_e32 v1, v1, v2
	ds_read_u8 v3, v1 offset:6
	ds_read_b32 v2, v1
	ds_read_u16 v4, v1 offset:4
	s_waitcnt lgkmcnt(2)
	v_cmp_eq_u16_e64 s9, 0, v3
	v_and_b32_e32 v6, 1, v3
	s_waitcnt lgkmcnt(1)
	v_and_b32_e32 v3, 0x10000, v2
	v_cndmask_b32_e64 v5, 0, v2, s9
	v_cmp_eq_u32_e64 s9, 1, v6
	v_mbcnt_lo_u32_b32 v6, -1, 0
	s_waitcnt lgkmcnt(0)
	v_add_nc_u16 v5, v5, v4
	v_and_b32_e32 v4, 0xff000000, v2
	v_cndmask_b32_e64 v7, v3, 0x10000, s9
	v_and_b32_e32 v8, 0xffff, v5
	v_or_b32_e32 v25, v7, v4
	v_or3_b32 v26, v4, v8, v7
	v_and_b32_e32 v7, 15, v6
	v_lshrrev_b32_e32 v8, 16, v25
	v_mov_b32_dpp v27, v26 row_shr:1 row_mask:0xf bank_mask:0xf
	v_cmpx_ne_u32_e32 0, v7
	s_cbranch_execz .LBB649_65
; %bb.64:
	v_mov_b32_e32 v8, 0xff
	v_mov_b32_e32 v26, 1
	v_and_b32_sdwa v8, v25, v8 dst_sel:DWORD dst_unused:UNUSED_PAD src0_sel:WORD_1 src1_sel:DWORD
	v_and_b32_e32 v25, 0x10000, v25
	v_and_b32_sdwa v26, v27, v26 dst_sel:DWORD dst_unused:UNUSED_PAD src0_sel:WORD_1 src1_sel:DWORD
	v_cmp_eq_u16_e64 s9, 0, v8
	v_cndmask_b32_e64 v27, 0, v27, s9
	v_cmp_ne_u32_e64 s9, 0, v25
	v_add_nc_u16 v5, v27, v5
	v_cndmask_b32_e64 v8, v26, 1, s9
	v_and_b32_e32 v26, 0xffff, v5
	v_lshlrev_b32_e32 v25, 16, v8
	v_or3_b32 v26, v25, v26, v4
.LBB649_65:
	s_or_b32 exec_lo, exec_lo, s20
	v_lshrrev_b32_e32 v25, 16, v26
	v_mov_b32_dpp v27, v26 row_shr:2 row_mask:0xf bank_mask:0xf
	s_mov_b32 s20, exec_lo
	v_cmpx_lt_u32_e32 1, v7
	s_cbranch_execz .LBB649_67
; %bb.66:
	v_mov_b32_e32 v28, 0
	v_mov_b32_e32 v8, 1
	v_and_b32_e32 v26, 0x10000, v26
	v_cmp_eq_u16_sdwa s9, v25, v28 src0_sel:BYTE_0 src1_sel:DWORD
	v_and_b32_sdwa v8, v27, v8 dst_sel:DWORD dst_unused:UNUSED_PAD src0_sel:WORD_1 src1_sel:DWORD
	v_cndmask_b32_e64 v25, 0, v27, s9
	v_cmp_ne_u32_e64 s9, 0, v26
	v_add_nc_u16 v5, v25, v5
	v_cndmask_b32_e64 v8, v8, 1, s9
	v_and_b32_e32 v26, 0xffff, v5
	v_lshlrev_b32_e32 v25, 16, v8
	v_or3_b32 v26, v25, v26, v4
	v_mov_b32_e32 v25, v8
.LBB649_67:
	s_or_b32 exec_lo, exec_lo, s20
	v_mov_b32_dpp v27, v26 row_shr:4 row_mask:0xf bank_mask:0xf
	s_mov_b32 s20, exec_lo
	v_cmpx_lt_u32_e32 3, v7
	s_cbranch_execz .LBB649_69
; %bb.68:
	v_mov_b32_e32 v26, 0
	v_mov_b32_e32 v8, 1
	v_and_b32_e32 v28, 1, v25
	v_cmp_eq_u16_sdwa s9, v25, v26 src0_sel:BYTE_0 src1_sel:DWORD
	v_and_b32_sdwa v8, v27, v8 dst_sel:DWORD dst_unused:UNUSED_PAD src0_sel:WORD_1 src1_sel:DWORD
	v_cndmask_b32_e64 v25, 0, v27, s9
	v_cmp_eq_u32_e64 s9, 1, v28
	v_add_nc_u16 v5, v25, v5
	v_cndmask_b32_e64 v8, v8, 1, s9
	v_and_b32_e32 v26, 0xffff, v5
	v_lshlrev_b32_e32 v25, 16, v8
	v_or3_b32 v26, v25, v26, v4
	v_mov_b32_e32 v25, v8
.LBB649_69:
	s_or_b32 exec_lo, exec_lo, s20
	v_mov_b32_dpp v27, v26 row_shr:8 row_mask:0xf bank_mask:0xf
	s_mov_b32 s20, exec_lo
	v_cmpx_lt_u32_e32 7, v7
	s_cbranch_execz .LBB649_71
; %bb.70:
	v_mov_b32_e32 v8, 0
	v_mov_b32_e32 v7, 1
	v_and_b32_e32 v26, 1, v25
	v_cmp_eq_u16_sdwa s9, v25, v8 src0_sel:BYTE_0 src1_sel:DWORD
	v_and_b32_sdwa v7, v27, v7 dst_sel:DWORD dst_unused:UNUSED_PAD src0_sel:WORD_1 src1_sel:DWORD
	v_cndmask_b32_e64 v25, 0, v27, s9
	v_cmp_eq_u32_e64 s9, 1, v26
	v_add_nc_u16 v5, v25, v5
	v_cndmask_b32_e64 v8, v7, 1, s9
	v_and_b32_e32 v25, 0xffff, v5
	v_lshlrev_b32_e32 v7, 16, v8
	v_or3_b32 v26, v7, v25, v4
	v_mov_b32_e32 v25, v8
.LBB649_71:
	s_or_b32 exec_lo, exec_lo, s20
	ds_swizzle_b32 v7, v26 offset:swizzle(BROADCAST,32,15)
	v_and_b32_e32 v26, 16, v6
	s_mov_b32 s20, exec_lo
	v_cmpx_ne_u32_e32 0, v26
	s_cbranch_execz .LBB649_73
; %bb.72:
	v_mov_b32_e32 v8, 0
	v_mov_b32_e32 v26, 1
	v_cmp_eq_u16_sdwa s9, v25, v8 src0_sel:BYTE_0 src1_sel:DWORD
	v_and_b32_e32 v25, 1, v25
	s_waitcnt lgkmcnt(0)
	v_cndmask_b32_e64 v8, 0, v7, s9
	v_and_b32_sdwa v7, v7, v26 dst_sel:DWORD dst_unused:UNUSED_PAD src0_sel:WORD_1 src1_sel:DWORD
	v_cmp_eq_u32_e64 s9, 1, v25
	v_add_nc_u16 v5, v8, v5
	v_cndmask_b32_e64 v8, v7, 1, s9
.LBB649_73:
	s_or_b32 exec_lo, exec_lo, s20
	s_waitcnt lgkmcnt(0)
	v_and_b32_e32 v7, 0xff, v8
	v_add_nc_u32_e32 v8, -1, v6
	v_and_b32_e32 v5, 0xffff, v5
	; wave barrier
	v_lshlrev_b32_e32 v7, 16, v7
	v_cmp_gt_i32_e64 s9, 0, v8
	v_or3_b32 v4, v7, v5, v4
	v_cndmask_b32_e64 v6, v8, v6, s9
	v_lshlrev_b32_e32 v5, 2, v6
	v_mov_b32_e32 v6, 1
	ds_bpermute_b32 v4, v5, v4
	v_and_b32_e32 v5, 0xff0000, v2
	v_cmp_eq_u32_e64 s9, 0, v5
	s_waitcnt lgkmcnt(0)
	v_cndmask_b32_e64 v5, 0, v4, s9
	v_and_b32_sdwa v4, v4, v6 dst_sel:DWORD dst_unused:UNUSED_PAD src0_sel:WORD_1 src1_sel:DWORD
	v_cmp_eq_u32_e64 s9, 0, v3
	v_add_nc_u16 v2, v5, v2
	v_cndmask_b32_e64 v3, 1, v4, s9
	v_cmp_eq_u32_e64 s9, 0, v0
	v_cndmask_b32_e64 v2, v2, v23, s9
	v_cndmask_b32_e64 v3, v3, v24, s9
	ds_write_b16 v1, v2
	ds_write_b8 v1, v3 offset:2
	; wave barrier
	ds_read_u8 v4, v1 offset:6
	ds_read_u16 v5, v1 offset:4
	s_waitcnt lgkmcnt(1)
	v_cmp_eq_u16_e64 s9, 0, v4
	v_and_b32_e32 v4, 1, v4
	v_cndmask_b32_e64 v2, 0, v2, s9
	v_cmp_eq_u32_e64 s9, 1, v4
	s_waitcnt lgkmcnt(0)
	v_add_nc_u16 v2, v2, v5
	v_cndmask_b32_e64 v3, v3, 1, s9
	ds_write_b16 v1, v2 offset:4
	ds_write_b8 v1, v3 offset:6
.LBB649_74:
	s_or_b32 exec_lo, exec_lo, s10
	v_cmp_eq_u32_e64 s9, 0, v0
	s_mov_b32 s20, exec_lo
	s_waitcnt lgkmcnt(0)
	s_barrier
	buffer_gl0_inv
	v_cmpx_ne_u32_e32 0, v0
	s_cbranch_execz .LBB649_76
; %bb.75:
	v_add_nc_u32_e32 v1, -1, v0
	v_lshrrev_b32_e32 v2, 3, v1
	v_and_b32_e32 v2, 0x1ffffffc, v2
	v_lshl_add_u32 v1, v1, 2, v2
	ds_read_u16 v23, v1
	ds_read_u8 v24, v1 offset:2
.LBB649_76:
	s_or_b32 exec_lo, exec_lo, s20
	s_and_saveexec_b32 s28, vcc_lo
	s_cbranch_execz .LBB649_116
; %bb.77:
	v_mov_b32_e32 v6, 0
	v_mbcnt_lo_u32_b32 v25, -1, 0
	s_mov_b32 s21, 0
	ds_read_b32 v1, v6 offset:256
	v_cmp_eq_u32_e64 s10, 0, v25
	s_and_saveexec_b32 s29, s10
	s_cbranch_execz .LBB649_79
; %bb.78:
	s_add_i32 s20, s6, 32
	v_mov_b32_e32 v2, 1
	s_lshl_b64 s[20:21], s[20:21], 3
	s_add_u32 s20, s16, s20
	s_addc_u32 s21, s17, s21
	s_waitcnt lgkmcnt(0)
	global_store_dwordx2 v6, v[1:2], s[20:21]
.LBB649_79:
	s_or_b32 exec_lo, exec_lo, s29
	v_xad_u32 v2, v25, -1, s6
	v_add_nc_u32_e32 v5, 32, v2
	v_lshlrev_b64 v[3:4], 3, v[5:6]
	v_add_co_u32 v7, vcc_lo, s16, v3
	v_add_co_ci_u32_e64 v8, null, s17, v4, vcc_lo
	global_load_dwordx2 v[4:5], v[7:8], off glc dlc
	s_waitcnt vmcnt(0)
	v_cmp_eq_u16_sdwa s21, v5, v6 src0_sel:BYTE_0 src1_sel:DWORD
	s_and_saveexec_b32 s20, s21
	s_cbranch_execz .LBB649_83
; %bb.80:
	v_mov_b32_e32 v3, 0
	s_mov_b32 s21, 0
.LBB649_81:                             ; =>This Inner Loop Header: Depth=1
	global_load_dwordx2 v[4:5], v[7:8], off glc dlc
	s_waitcnt vmcnt(0)
	v_cmp_ne_u16_sdwa s29, v5, v3 src0_sel:BYTE_0 src1_sel:DWORD
	s_or_b32 s21, s29, s21
	s_andn2_b32 exec_lo, exec_lo, s21
	s_cbranch_execnz .LBB649_81
; %bb.82:
	s_or_b32 exec_lo, exec_lo, s21
.LBB649_83:
	s_or_b32 exec_lo, exec_lo, s20
	v_cmp_ne_u32_e32 vcc_lo, 31, v25
	v_and_b32_e32 v33, 0xffffff, v4
	v_mov_b32_e32 v6, 2
	v_lshlrev_b32_e64 v26, v25, -1
	v_bfe_u32 v7, v4, 16, 8
	v_add_co_ci_u32_e64 v3, null, 0, v25, vcc_lo
	v_cmp_eq_u16_sdwa s20, v5, v6 src0_sel:BYTE_0 src1_sel:DWORD
	v_lshrrev_b32_e32 v6, 16, v4
	v_lshlrev_b32_e32 v8, 2, v3
	v_and_or_b32 v3, s20, v26, 0x80000000
	s_mov_b32 s20, exec_lo
	ds_bpermute_b32 v27, v8, v33
	v_ffbl_b32_e32 v3, v3
	v_cmpx_lt_u32_e64 v25, v3
	s_cbranch_execz .LBB649_85
; %bb.84:
	v_and_b32_e32 v6, 0xff0000, v4
	v_mov_b32_e32 v7, 1
	v_and_b32_e32 v28, 0x10000, v6
	v_cmp_eq_u32_e32 vcc_lo, 0, v6
	s_waitcnt lgkmcnt(0)
	v_and_b32_sdwa v7, v27, v7 dst_sel:DWORD dst_unused:UNUSED_PAD src0_sel:WORD_1 src1_sel:DWORD
	v_cndmask_b32_e32 v27, 0, v27, vcc_lo
	v_cmp_ne_u32_e32 vcc_lo, 0, v28
	v_add_nc_u16 v4, v27, v4
	v_cndmask_b32_e64 v6, v7, 1, vcc_lo
	v_lshlrev_b32_e32 v7, 16, v6
	v_or_b32_sdwa v33, v7, v4 dst_sel:DWORD dst_unused:UNUSED_PAD src0_sel:DWORD src1_sel:WORD_0
	v_mov_b32_e32 v7, v6
.LBB649_85:
	s_or_b32 exec_lo, exec_lo, s20
	v_cmp_gt_u32_e32 vcc_lo, 30, v25
	v_add_nc_u32_e32 v28, 2, v25
	s_mov_b32 s20, exec_lo
	s_waitcnt lgkmcnt(0)
	v_cndmask_b32_e64 v27, 0, 2, vcc_lo
	v_add_lshl_u32 v27, v27, v25, 2
	ds_bpermute_b32 v29, v27, v33
	v_cmpx_le_u32_e64 v28, v3
	s_cbranch_execz .LBB649_87
; %bb.86:
	v_mov_b32_e32 v6, 1
	v_and_b32_e32 v30, 1, v7
	v_cmp_eq_u16_e32 vcc_lo, 0, v7
	s_waitcnt lgkmcnt(0)
	v_and_b32_sdwa v6, v29, v6 dst_sel:DWORD dst_unused:UNUSED_PAD src0_sel:WORD_1 src1_sel:DWORD
	v_cndmask_b32_e32 v7, 0, v29, vcc_lo
	v_cmp_eq_u32_e32 vcc_lo, 1, v30
	v_add_nc_u16 v4, v7, v4
	v_cndmask_b32_e64 v6, v6, 1, vcc_lo
	v_lshlrev_b32_e32 v7, 16, v6
	v_or_b32_sdwa v33, v7, v4 dst_sel:DWORD dst_unused:UNUSED_PAD src0_sel:DWORD src1_sel:WORD_0
	v_mov_b32_e32 v7, v6
.LBB649_87:
	s_or_b32 exec_lo, exec_lo, s20
	v_cmp_gt_u32_e32 vcc_lo, 28, v25
	v_add_nc_u32_e32 v30, 4, v25
	s_mov_b32 s20, exec_lo
	s_waitcnt lgkmcnt(0)
	v_cndmask_b32_e64 v29, 0, 4, vcc_lo
	v_add_lshl_u32 v29, v29, v25, 2
	ds_bpermute_b32 v31, v29, v33
	v_cmpx_le_u32_e64 v30, v3
	s_cbranch_execz .LBB649_89
; %bb.88:
	v_mov_b32_e32 v6, 1
	v_and_b32_e32 v32, 1, v7
	v_cmp_eq_u16_e32 vcc_lo, 0, v7
	s_waitcnt lgkmcnt(0)
	v_and_b32_sdwa v6, v31, v6 dst_sel:DWORD dst_unused:UNUSED_PAD src0_sel:WORD_1 src1_sel:DWORD
	v_cndmask_b32_e32 v7, 0, v31, vcc_lo
	v_cmp_eq_u32_e32 vcc_lo, 1, v32
	v_add_nc_u16 v4, v7, v4
	v_cndmask_b32_e64 v6, v6, 1, vcc_lo
	v_lshlrev_b32_e32 v7, 16, v6
	v_or_b32_sdwa v33, v7, v4 dst_sel:DWORD dst_unused:UNUSED_PAD src0_sel:DWORD src1_sel:WORD_0
	v_mov_b32_e32 v7, v6
.LBB649_89:
	;; [unrolled: 24-line block ×3, first 2 shown]
	s_or_b32 exec_lo, exec_lo, s20
	v_lshl_or_b32 v35, v25, 2, 64
	v_add_nc_u32_e32 v36, 16, v25
	s_mov_b32 s20, exec_lo
	ds_bpermute_b32 v33, v35, v33
	v_cmpx_le_u32_e64 v36, v3
	s_cbranch_execz .LBB649_93
; %bb.92:
	v_mov_b32_e32 v3, 1
	v_cmp_eq_u16_e32 vcc_lo, 0, v7
	v_and_b32_e32 v7, 1, v7
	s_waitcnt lgkmcnt(0)
	v_and_b32_sdwa v3, v33, v3 dst_sel:DWORD dst_unused:UNUSED_PAD src0_sel:WORD_1 src1_sel:DWORD
	v_cndmask_b32_e32 v6, 0, v33, vcc_lo
	v_cmp_eq_u32_e32 vcc_lo, 1, v7
	v_add_nc_u16 v4, v6, v4
	v_cndmask_b32_e64 v6, v3, 1, vcc_lo
.LBB649_93:
	s_or_b32 exec_lo, exec_lo, s20
	v_mov_b32_e32 v3, 0
	v_mov_b32_e32 v37, 2
	;; [unrolled: 1-line block ×3, first 2 shown]
	s_branch .LBB649_96
.LBB649_94:                             ;   in Loop: Header=BB649_96 Depth=1
	s_or_b32 exec_lo, exec_lo, s20
	v_cmp_eq_u16_sdwa vcc_lo, v33, v3 src0_sel:BYTE_0 src1_sel:DWORD
	v_and_b32_e32 v6, 1, v33
	v_and_b32_e32 v7, 1, v7
	v_subrev_nc_u32_e32 v2, 32, v2
	s_mov_b32 s20, 0
	v_cndmask_b32_e32 v4, 0, v4, vcc_lo
	v_cmp_eq_u32_e32 vcc_lo, 1, v6
	v_add_nc_u16 v4, v4, v34
	v_cndmask_b32_e64 v6, v7, 1, vcc_lo
.LBB649_95:                             ;   in Loop: Header=BB649_96 Depth=1
	s_and_b32 vcc_lo, exec_lo, s20
	s_cbranch_vccnz .LBB649_112
.LBB649_96:                             ; =>This Loop Header: Depth=1
                                        ;     Child Loop BB649_99 Depth 2
	v_cmp_ne_u16_sdwa s20, v5, v37 src0_sel:BYTE_0 src1_sel:DWORD
	s_waitcnt lgkmcnt(0)
	v_mov_b32_e32 v33, v6
	v_mov_b32_e32 v34, v4
                                        ; implicit-def: $vgpr6
                                        ; implicit-def: $vgpr4
	s_cmp_lg_u32 s20, exec_lo
	s_mov_b32 s20, -1
	s_cbranch_scc1 .LBB649_95
; %bb.97:                               ;   in Loop: Header=BB649_96 Depth=1
	v_lshlrev_b64 v[4:5], 3, v[2:3]
	v_add_co_u32 v6, vcc_lo, s16, v4
	v_add_co_ci_u32_e64 v7, null, s17, v5, vcc_lo
	global_load_dwordx2 v[4:5], v[6:7], off glc dlc
	s_waitcnt vmcnt(0)
	v_cmp_eq_u16_sdwa s21, v5, v3 src0_sel:BYTE_0 src1_sel:DWORD
	s_and_saveexec_b32 s20, s21
	s_cbranch_execz .LBB649_101
; %bb.98:                               ;   in Loop: Header=BB649_96 Depth=1
	s_mov_b32 s21, 0
.LBB649_99:                             ;   Parent Loop BB649_96 Depth=1
                                        ; =>  This Inner Loop Header: Depth=2
	global_load_dwordx2 v[4:5], v[6:7], off glc dlc
	s_waitcnt vmcnt(0)
	v_cmp_ne_u16_sdwa s29, v5, v3 src0_sel:BYTE_0 src1_sel:DWORD
	s_or_b32 s21, s29, s21
	s_andn2_b32 exec_lo, exec_lo, s21
	s_cbranch_execnz .LBB649_99
; %bb.100:                              ;   in Loop: Header=BB649_96 Depth=1
	s_or_b32 exec_lo, exec_lo, s21
.LBB649_101:                            ;   in Loop: Header=BB649_96 Depth=1
	s_or_b32 exec_lo, exec_lo, s20
	v_and_b32_e32 v40, 0xffffff, v4
	v_cmp_eq_u16_sdwa s20, v5, v37 src0_sel:BYTE_0 src1_sel:DWORD
	v_lshrrev_b32_e32 v7, 16, v4
	v_bfe_u32 v39, v4, 16, 8
	ds_bpermute_b32 v41, v8, v40
	v_and_or_b32 v6, s20, v26, 0x80000000
	s_mov_b32 s20, exec_lo
	v_ffbl_b32_e32 v6, v6
	v_cmpx_lt_u32_e64 v25, v6
	s_cbranch_execz .LBB649_103
; %bb.102:                              ;   in Loop: Header=BB649_96 Depth=1
	v_and_b32_e32 v7, 0xff0000, v4
	s_waitcnt lgkmcnt(0)
	v_and_b32_sdwa v40, v41, v38 dst_sel:DWORD dst_unused:UNUSED_PAD src0_sel:WORD_1 src1_sel:DWORD
	v_and_b32_e32 v39, 0x10000, v7
	v_cmp_eq_u32_e32 vcc_lo, 0, v7
	v_cndmask_b32_e32 v41, 0, v41, vcc_lo
	v_cmp_ne_u32_e32 vcc_lo, 0, v39
	v_add_nc_u16 v4, v41, v4
	v_cndmask_b32_e64 v7, v40, 1, vcc_lo
	v_lshlrev_b32_e32 v39, 16, v7
	v_or_b32_sdwa v40, v39, v4 dst_sel:DWORD dst_unused:UNUSED_PAD src0_sel:DWORD src1_sel:WORD_0
	v_mov_b32_e32 v39, v7
.LBB649_103:                            ;   in Loop: Header=BB649_96 Depth=1
	s_or_b32 exec_lo, exec_lo, s20
	s_waitcnt lgkmcnt(0)
	ds_bpermute_b32 v41, v27, v40
	s_mov_b32 s20, exec_lo
	v_cmpx_le_u32_e64 v28, v6
	s_cbranch_execz .LBB649_105
; %bb.104:                              ;   in Loop: Header=BB649_96 Depth=1
	v_and_b32_e32 v7, 1, v39
	v_cmp_eq_u16_e32 vcc_lo, 0, v39
	s_waitcnt lgkmcnt(0)
	v_and_b32_sdwa v40, v41, v38 dst_sel:DWORD dst_unused:UNUSED_PAD src0_sel:WORD_1 src1_sel:DWORD
	v_cndmask_b32_e32 v39, 0, v41, vcc_lo
	v_cmp_eq_u32_e32 vcc_lo, 1, v7
	v_add_nc_u16 v4, v39, v4
	v_cndmask_b32_e64 v7, v40, 1, vcc_lo
	v_lshlrev_b32_e32 v39, 16, v7
	v_or_b32_sdwa v40, v39, v4 dst_sel:DWORD dst_unused:UNUSED_PAD src0_sel:DWORD src1_sel:WORD_0
	v_mov_b32_e32 v39, v7
.LBB649_105:                            ;   in Loop: Header=BB649_96 Depth=1
	s_or_b32 exec_lo, exec_lo, s20
	s_waitcnt lgkmcnt(0)
	ds_bpermute_b32 v41, v29, v40
	s_mov_b32 s20, exec_lo
	v_cmpx_le_u32_e64 v30, v6
	s_cbranch_execz .LBB649_107
; %bb.106:                              ;   in Loop: Header=BB649_96 Depth=1
	v_and_b32_e32 v7, 1, v39
	v_cmp_eq_u16_e32 vcc_lo, 0, v39
	s_waitcnt lgkmcnt(0)
	v_and_b32_sdwa v40, v41, v38 dst_sel:DWORD dst_unused:UNUSED_PAD src0_sel:WORD_1 src1_sel:DWORD
	v_cndmask_b32_e32 v39, 0, v41, vcc_lo
	v_cmp_eq_u32_e32 vcc_lo, 1, v7
	v_add_nc_u16 v4, v39, v4
	v_cndmask_b32_e64 v7, v40, 1, vcc_lo
	v_lshlrev_b32_e32 v39, 16, v7
	v_or_b32_sdwa v40, v39, v4 dst_sel:DWORD dst_unused:UNUSED_PAD src0_sel:DWORD src1_sel:WORD_0
	v_mov_b32_e32 v39, v7
.LBB649_107:                            ;   in Loop: Header=BB649_96 Depth=1
	s_or_b32 exec_lo, exec_lo, s20
	s_waitcnt lgkmcnt(0)
	ds_bpermute_b32 v41, v31, v40
	s_mov_b32 s20, exec_lo
	v_cmpx_le_u32_e64 v32, v6
	s_cbranch_execz .LBB649_109
; %bb.108:                              ;   in Loop: Header=BB649_96 Depth=1
	v_and_b32_e32 v7, 1, v39
	v_cmp_eq_u16_e32 vcc_lo, 0, v39
	s_waitcnt lgkmcnt(0)
	v_and_b32_sdwa v40, v41, v38 dst_sel:DWORD dst_unused:UNUSED_PAD src0_sel:WORD_1 src1_sel:DWORD
	v_cndmask_b32_e32 v39, 0, v41, vcc_lo
	v_cmp_eq_u32_e32 vcc_lo, 1, v7
	v_add_nc_u16 v4, v39, v4
	v_cndmask_b32_e64 v7, v40, 1, vcc_lo
	v_lshlrev_b32_e32 v39, 16, v7
	v_or_b32_sdwa v40, v39, v4 dst_sel:DWORD dst_unused:UNUSED_PAD src0_sel:DWORD src1_sel:WORD_0
	v_mov_b32_e32 v39, v7
.LBB649_109:                            ;   in Loop: Header=BB649_96 Depth=1
	s_or_b32 exec_lo, exec_lo, s20
	ds_bpermute_b32 v40, v35, v40
	s_mov_b32 s20, exec_lo
	v_cmpx_le_u32_e64 v36, v6
	s_cbranch_execz .LBB649_94
; %bb.110:                              ;   in Loop: Header=BB649_96 Depth=1
	v_cmp_eq_u16_e32 vcc_lo, 0, v39
	v_and_b32_e32 v7, 1, v39
	s_waitcnt lgkmcnt(0)
	v_lshrrev_b32_e32 v39, 16, v40
	v_cndmask_b32_e32 v6, 0, v40, vcc_lo
	v_cmp_eq_u32_e32 vcc_lo, 1, v7
	v_add_nc_u16 v4, v6, v4
	v_cndmask_b32_e64 v7, v39, 1, vcc_lo
	s_branch .LBB649_94
.LBB649_111:
                                        ; implicit-def: $vgpr3
                                        ; implicit-def: $vgpr4
                                        ; implicit-def: $vgpr5
                                        ; implicit-def: $vgpr6
                                        ; implicit-def: $vgpr7
                                        ; implicit-def: $vgpr8
                                        ; implicit-def: $vgpr23
                                        ; implicit-def: $vgpr25
                                        ; implicit-def: $vgpr24
                                        ; implicit-def: $vgpr26
	s_cbranch_execnz .LBB649_117
	s_branch .LBB649_136
.LBB649_112:
	s_and_saveexec_b32 s20, s10
	s_cbranch_execz .LBB649_114
; %bb.113:
	v_and_b32_e32 v2, 0xff0000, v1
	v_mov_b32_e32 v3, 1
	v_and_b32_e32 v4, 0x10000, v1
	s_mov_b32 s35, 0
	s_add_i32 s34, s6, 32
	v_cmp_eq_u32_e32 vcc_lo, 0, v2
	v_and_b32_sdwa v3, v33, v3 dst_sel:WORD_1 dst_unused:UNUSED_PAD src0_sel:DWORD src1_sel:DWORD
	s_lshl_b64 s[34:35], s[34:35], 3
	s_add_u32 s34, s16, s34
	v_cndmask_b32_e32 v2, 0, v34, vcc_lo
	v_cmp_eq_u32_e32 vcc_lo, 0, v4
	s_addc_u32 s35, s17, s35
	v_add_nc_u16 v1, v2, v1
	v_cndmask_b32_e32 v2, 0x10000, v3, vcc_lo
	v_mov_b32_e32 v3, 0
	v_or_b32_sdwa v1, v2, v1 dst_sel:DWORD dst_unused:UNUSED_PAD src0_sel:DWORD src1_sel:WORD_0
	v_mov_b32_e32 v2, 2
	global_store_dwordx2 v3, v[1:2], s[34:35]
.LBB649_114:
	s_or_b32 exec_lo, exec_lo, s20
	s_and_b32 exec_lo, exec_lo, s9
	s_cbranch_execz .LBB649_116
; %bb.115:
	v_mov_b32_e32 v1, 0
	ds_write_b16 v1, v34
	ds_write_b8 v1, v33 offset:2
.LBB649_116:
	s_or_b32 exec_lo, exec_lo, s28
	v_mov_b32_e32 v1, 0
	s_waitcnt lgkmcnt(0)
	s_waitcnt_vscnt null, 0x0
	s_barrier
	buffer_gl0_inv
	v_and_b32_e32 v4, 0xff0000, v19
	ds_read_b32 v2, v1
	v_cmp_eq_u16_sdwa vcc_lo, v24, v1 src0_sel:BYTE_0 src1_sel:DWORD
	s_waitcnt lgkmcnt(0)
	v_cndmask_b32_e32 v1, 0, v2, vcc_lo
	v_cmp_eq_u32_e32 vcc_lo, 0, v4
	v_add_nc_u16 v1, v1, v23
	v_cndmask_b32_e64 v3, v1, v2, s9
	v_cndmask_b32_e32 v1, 0, v3, vcc_lo
	v_add_nc_u16 v4, v1, v19
	v_cndmask_b32_e64 v1, 0, v4, s8
	v_add_nc_u16 v5, v1, v21
	v_cndmask_b32_e64 v1, 0, v5, s7
	v_add_nc_u16 v6, v1, v20
	v_cndmask_b32_e64 v1, 0, v6, s5
	v_add_nc_u16 v7, v1, v18
	v_cndmask_b32_e64 v1, 0, v7, s4
	v_add_nc_u16 v8, v1, v17
	v_cndmask_b32_e64 v1, 0, v8, s3
	v_add_nc_u16 v23, v1, v16
	v_cndmask_b32_e64 v1, 0, v23, s2
	v_add_nc_u16 v25, v1, v15
	v_cndmask_b32_e64 v1, 0, v25, s1
	v_add_nc_u16 v24, v1, v14
	v_cndmask_b32_e64 v1, 0, v24, s0
	v_add_nc_u16 v26, v1, v13
	s_branch .LBB649_136
.LBB649_117:
	s_cmp_eq_u64 s[26:27], 0
	v_mov_b32_e32 v1, s30
	s_cselect_b32 s0, -1, 0
	s_cmp_eq_u64 s[22:23], 0
	s_cselect_b32 s1, -1, 0
	s_or_b32 s0, s0, s1
	s_and_b32 vcc_lo, exec_lo, s0
	s_cbranch_vccnz .LBB649_119
; %bb.118:
	v_mov_b32_e32 v1, 0
	global_load_ushort v1, v1, s[22:23]
.LBB649_119:
	v_cmp_gt_u32_e32 vcc_lo, 0x10000, v21
	v_cmp_gt_u32_e64 s0, 0x10000, v20
	v_cmp_gt_u32_e64 s1, 0x10000, v18
	;; [unrolled: 1-line block ×4, first 2 shown]
	v_cndmask_b32_e32 v2, 0, v19, vcc_lo
	v_cmp_gt_u32_e64 s4, 0x10000, v15
	v_cmp_gt_u32_e64 s5, 0x10000, v14
	v_or3_b32 v3, v22, v18, v20
	v_cmp_gt_u32_e64 s6, 0x10000, v13
	v_add_nc_u16 v2, v2, v21
	v_cmp_gt_u32_e64 s7, 0x10000, v10
	v_and_b32_e32 v4, 4, v12
	v_or3_b32 v3, v3, v21, v10
	s_mov_b32 s8, exec_lo
	v_cndmask_b32_e64 v2, 0, v2, s0
	v_lshl_add_u32 v4, v0, 2, v4
	v_and_b32_e32 v3, 0xff0000, v3
	v_add_nc_u16 v2, v2, v20
	v_cndmask_b32_e64 v2, 0, v2, s1
	v_add_nc_u16 v2, v2, v18
	v_cndmask_b32_e64 v2, 0, v2, s2
	;; [unrolled: 2-line block ×7, first 2 shown]
	v_cmp_eq_u32_e64 s7, 0, v3
	v_add_nc_u16 v3, v5, v10
	v_cndmask_b32_e64 v2, 1, v11, s7
	ds_write_b8 v4, v2 offset:2
	ds_write_b16 v4, v3
	s_waitcnt vmcnt(0) lgkmcnt(0)
	s_barrier
	buffer_gl0_inv
	v_cmpx_gt_u32_e32 32, v0
	s_cbranch_execz .LBB649_131
; %bb.120:
	v_lshrrev_b32_e32 v4, 2, v0
	v_lshlrev_b32_e32 v5, 3, v0
	s_mov_b32 s9, exec_lo
	v_and_b32_e32 v4, 12, v4
	v_add_nc_u32_e32 v4, v4, v5
	ds_read_u8 v6, v4 offset:6
	ds_read_b32 v5, v4
	ds_read_u16 v7, v4 offset:4
	s_waitcnt lgkmcnt(2)
	v_cmp_eq_u16_e64 s7, 0, v6
	v_and_b32_e32 v10, 1, v6
	s_waitcnt lgkmcnt(1)
	v_and_b32_e32 v6, 0x10000, v5
	v_cndmask_b32_e64 v8, 0, v5, s7
	v_cmp_eq_u32_e64 s7, 1, v10
	v_mbcnt_lo_u32_b32 v10, -1, 0
	s_waitcnt lgkmcnt(0)
	v_add_nc_u16 v8, v8, v7
	v_and_b32_e32 v7, 0xff000000, v5
	v_cndmask_b32_e64 v11, v6, 0x10000, s7
	v_and_b32_e32 v12, 0xffff, v8
	v_or_b32_e32 v22, v11, v7
	v_or3_b32 v23, v7, v12, v11
	v_and_b32_e32 v11, 15, v10
	v_lshrrev_b32_e32 v12, 16, v22
	v_mov_b32_dpp v24, v23 row_shr:1 row_mask:0xf bank_mask:0xf
	v_cmpx_ne_u32_e32 0, v11
	s_cbranch_execz .LBB649_122
; %bb.121:
	v_mov_b32_e32 v12, 0xff
	v_mov_b32_e32 v23, 1
	v_and_b32_sdwa v12, v22, v12 dst_sel:DWORD dst_unused:UNUSED_PAD src0_sel:WORD_1 src1_sel:DWORD
	v_and_b32_e32 v22, 0x10000, v22
	v_and_b32_sdwa v23, v24, v23 dst_sel:DWORD dst_unused:UNUSED_PAD src0_sel:WORD_1 src1_sel:DWORD
	v_cmp_eq_u16_e64 s7, 0, v12
	v_cndmask_b32_e64 v24, 0, v24, s7
	v_cmp_ne_u32_e64 s7, 0, v22
	v_add_nc_u16 v8, v24, v8
	v_cndmask_b32_e64 v12, v23, 1, s7
	v_and_b32_e32 v23, 0xffff, v8
	v_lshlrev_b32_e32 v22, 16, v12
	v_or3_b32 v23, v22, v23, v7
.LBB649_122:
	s_or_b32 exec_lo, exec_lo, s9
	v_lshrrev_b32_e32 v22, 16, v23
	v_mov_b32_dpp v24, v23 row_shr:2 row_mask:0xf bank_mask:0xf
	s_mov_b32 s9, exec_lo
	v_cmpx_lt_u32_e32 1, v11
	s_cbranch_execz .LBB649_124
; %bb.123:
	v_mov_b32_e32 v25, 0
	v_mov_b32_e32 v12, 1
	v_and_b32_e32 v23, 0x10000, v23
	v_cmp_eq_u16_sdwa s7, v22, v25 src0_sel:BYTE_0 src1_sel:DWORD
	v_and_b32_sdwa v12, v24, v12 dst_sel:DWORD dst_unused:UNUSED_PAD src0_sel:WORD_1 src1_sel:DWORD
	v_cndmask_b32_e64 v22, 0, v24, s7
	v_cmp_ne_u32_e64 s7, 0, v23
	v_add_nc_u16 v8, v22, v8
	v_cndmask_b32_e64 v12, v12, 1, s7
	v_and_b32_e32 v23, 0xffff, v8
	v_lshlrev_b32_e32 v22, 16, v12
	v_or3_b32 v23, v22, v23, v7
	v_mov_b32_e32 v22, v12
.LBB649_124:
	s_or_b32 exec_lo, exec_lo, s9
	v_mov_b32_dpp v24, v23 row_shr:4 row_mask:0xf bank_mask:0xf
	s_mov_b32 s9, exec_lo
	v_cmpx_lt_u32_e32 3, v11
	s_cbranch_execz .LBB649_126
; %bb.125:
	v_mov_b32_e32 v23, 0
	v_mov_b32_e32 v12, 1
	v_and_b32_e32 v25, 1, v22
	v_cmp_eq_u16_sdwa s7, v22, v23 src0_sel:BYTE_0 src1_sel:DWORD
	v_and_b32_sdwa v12, v24, v12 dst_sel:DWORD dst_unused:UNUSED_PAD src0_sel:WORD_1 src1_sel:DWORD
	v_cndmask_b32_e64 v22, 0, v24, s7
	v_cmp_eq_u32_e64 s7, 1, v25
	v_add_nc_u16 v8, v22, v8
	v_cndmask_b32_e64 v12, v12, 1, s7
	v_and_b32_e32 v23, 0xffff, v8
	v_lshlrev_b32_e32 v22, 16, v12
	v_or3_b32 v23, v22, v23, v7
	v_mov_b32_e32 v22, v12
.LBB649_126:
	s_or_b32 exec_lo, exec_lo, s9
	v_mov_b32_dpp v24, v23 row_shr:8 row_mask:0xf bank_mask:0xf
	s_mov_b32 s9, exec_lo
	v_cmpx_lt_u32_e32 7, v11
	s_cbranch_execz .LBB649_128
; %bb.127:
	v_mov_b32_e32 v12, 0
	v_mov_b32_e32 v11, 1
	v_and_b32_e32 v23, 1, v22
	v_cmp_eq_u16_sdwa s7, v22, v12 src0_sel:BYTE_0 src1_sel:DWORD
	v_and_b32_sdwa v11, v24, v11 dst_sel:DWORD dst_unused:UNUSED_PAD src0_sel:WORD_1 src1_sel:DWORD
	v_cndmask_b32_e64 v22, 0, v24, s7
	v_cmp_eq_u32_e64 s7, 1, v23
	v_add_nc_u16 v8, v22, v8
	v_cndmask_b32_e64 v12, v11, 1, s7
	v_and_b32_e32 v22, 0xffff, v8
	v_lshlrev_b32_e32 v11, 16, v12
	v_or3_b32 v23, v11, v22, v7
	v_mov_b32_e32 v22, v12
.LBB649_128:
	s_or_b32 exec_lo, exec_lo, s9
	ds_swizzle_b32 v11, v23 offset:swizzle(BROADCAST,32,15)
	v_and_b32_e32 v23, 16, v10
	s_mov_b32 s9, exec_lo
	v_cmpx_ne_u32_e32 0, v23
	s_cbranch_execz .LBB649_130
; %bb.129:
	v_mov_b32_e32 v12, 0
	v_mov_b32_e32 v23, 1
	v_cmp_eq_u16_sdwa s7, v22, v12 src0_sel:BYTE_0 src1_sel:DWORD
	v_and_b32_e32 v22, 1, v22
	s_waitcnt lgkmcnt(0)
	v_cndmask_b32_e64 v12, 0, v11, s7
	v_and_b32_sdwa v11, v11, v23 dst_sel:DWORD dst_unused:UNUSED_PAD src0_sel:WORD_1 src1_sel:DWORD
	v_cmp_eq_u32_e64 s7, 1, v22
	v_add_nc_u16 v8, v12, v8
	v_cndmask_b32_e64 v12, v11, 1, s7
.LBB649_130:
	s_or_b32 exec_lo, exec_lo, s9
	s_waitcnt lgkmcnt(0)
	v_and_b32_e32 v11, 0xff, v12
	v_add_nc_u32_e32 v12, -1, v10
	v_and_b32_e32 v8, 0xffff, v8
	; wave barrier
	v_lshlrev_b32_e32 v11, 16, v11
	v_cmp_gt_i32_e64 s7, 0, v12
	v_or3_b32 v7, v11, v8, v7
	v_cndmask_b32_e64 v10, v12, v10, s7
	v_lshlrev_b32_e32 v8, 2, v10
	v_mov_b32_e32 v10, 1
	ds_bpermute_b32 v7, v8, v7
	v_and_b32_e32 v8, 0xff0000, v5
	v_cmp_eq_u32_e64 s7, 0, v8
	s_waitcnt lgkmcnt(0)
	v_cndmask_b32_e64 v8, 0, v7, s7
	v_and_b32_sdwa v7, v7, v10 dst_sel:DWORD dst_unused:UNUSED_PAD src0_sel:WORD_1 src1_sel:DWORD
	v_cmp_eq_u32_e64 s7, 0, v6
	v_add_nc_u16 v5, v8, v5
	v_cndmask_b32_e64 v6, 1, v7, s7
	v_cmp_eq_u32_e64 s7, 0, v0
	v_cndmask_b32_e64 v3, v5, v3, s7
	v_cndmask_b32_e64 v2, v6, v2, s7
	ds_write_b16 v4, v3
	ds_write_b8 v4, v2 offset:2
	; wave barrier
	ds_read_u8 v5, v4 offset:6
	ds_read_u16 v6, v4 offset:4
	s_waitcnt lgkmcnt(1)
	v_cmp_eq_u16_e64 s7, 0, v5
	v_and_b32_e32 v5, 1, v5
	v_cndmask_b32_e64 v3, 0, v3, s7
	v_cmp_eq_u32_e64 s7, 1, v5
	s_waitcnt lgkmcnt(0)
	v_add_nc_u16 v3, v3, v6
	v_cndmask_b32_e64 v2, v2, 1, s7
	ds_write_b16 v4, v3 offset:4
	ds_write_b8 v4, v2 offset:6
.LBB649_131:
	s_or_b32 exec_lo, exec_lo, s8
	v_cmp_eq_u32_e64 s7, 0, v0
	v_mov_b32_e32 v3, v1
	s_mov_b32 s9, exec_lo
	s_waitcnt lgkmcnt(0)
	s_barrier
	buffer_gl0_inv
	v_cmpx_ne_u32_e32 0, v0
	s_cbranch_execz .LBB649_133
; %bb.132:
	v_add_nc_u32_e32 v2, -1, v0
	v_lshrrev_b32_e32 v3, 3, v2
	v_and_b32_e32 v3, 0x1ffffffc, v3
	v_lshl_add_u32 v2, v2, 2, v3
	ds_read_u8 v3, v2 offset:2
	ds_read_u16 v2, v2
	s_waitcnt lgkmcnt(1)
	v_cmp_eq_u16_e64 s8, 0, v3
	v_cndmask_b32_e64 v3, 0, v1, s8
	s_waitcnt lgkmcnt(0)
	v_add_nc_u16 v3, v3, v2
.LBB649_133:
	s_or_b32 exec_lo, exec_lo, s9
	v_and_b32_e32 v2, 0xff0000, v19
	v_cmp_eq_u32_e64 s8, 0, v2
	v_cndmask_b32_e64 v2, 0, v3, s8
	v_add_nc_u16 v4, v2, v19
	v_cndmask_b32_e32 v2, 0, v4, vcc_lo
	v_add_nc_u16 v5, v2, v21
	v_cndmask_b32_e64 v2, 0, v5, s0
	v_add_nc_u16 v6, v2, v20
	v_cndmask_b32_e64 v2, 0, v6, s1
	v_add_nc_u16 v7, v2, v18
	v_cndmask_b32_e64 v2, 0, v7, s2
	v_add_nc_u16 v8, v2, v17
	v_cndmask_b32_e64 v2, 0, v8, s3
	v_add_nc_u16 v23, v2, v16
	v_cndmask_b32_e64 v2, 0, v23, s4
	v_add_nc_u16 v25, v2, v15
	v_cndmask_b32_e64 v2, 0, v25, s5
	v_add_nc_u16 v24, v2, v14
	v_cndmask_b32_e64 v2, 0, v24, s6
	s_and_saveexec_b32 s0, s7
	s_cbranch_execz .LBB649_135
; %bb.134:
	v_mov_b32_e32 v12, 0
	ds_read_u8 v10, v12 offset:258
	ds_read_u16 v11, v12 offset:256
	s_waitcnt lgkmcnt(1)
	v_cmp_eq_u32_e32 vcc_lo, 0, v10
	v_lshlrev_b32_e32 v10, 16, v10
	v_cndmask_b32_e32 v1, 0, v1, vcc_lo
	s_waitcnt lgkmcnt(0)
	v_add_nc_u32_e32 v1, v1, v11
	v_mov_b32_e32 v11, 2
	v_or_b32_sdwa v10, v10, v1 dst_sel:DWORD dst_unused:UNUSED_PAD src0_sel:DWORD src1_sel:WORD_0
	global_store_dwordx2 v12, v[10:11], s[16:17] offset:256
.LBB649_135:
	s_or_b32 exec_lo, exec_lo, s0
	v_add_nc_u16 v26, v2, v13
.LBB649_136:
	s_add_u32 s0, s14, s24
	v_mov_b32_e32 v1, 0
	s_addc_u32 s1, s15, s25
	s_add_u32 s0, s0, s12
	s_addc_u32 s1, s1, s13
	s_and_b32 vcc_lo, exec_lo, s11
	s_cbranch_vccz .LBB649_176
; %bb.137:
	v_mul_u32_u24_e32 v2, 10, v0
	v_mov_b32_e32 v10, 0
	v_mov_b32_e32 v11, 0
	;; [unrolled: 1-line block ×4, first 2 shown]
	s_add_i32 s19, s19, s18
	s_mov_b32 s2, exec_lo
	v_cmpx_gt_u32_e64 s19, v2
	s_cbranch_execz .LBB649_157
; %bb.138:
	v_or_b32_e32 v13, 1, v2
	v_and_b32_e32 v1, 0xffff, v3
	v_mov_b32_e32 v10, 0
	v_mov_b32_e32 v11, 0
	;; [unrolled: 1-line block ×3, first 2 shown]
	v_cmp_gt_u32_e32 vcc_lo, s19, v13
	v_mov_b32_e32 v13, 0
	s_and_saveexec_b32 s3, vcc_lo
	s_cbranch_execz .LBB649_156
; %bb.139:
	v_perm_b32 v1, v4, v1, 0x5040100
	v_add_nc_u32_e32 v14, 2, v2
	v_mov_b32_e32 v13, 0
	v_mov_b32_e32 v12, 0
	;; [unrolled: 1-line block ×4, first 2 shown]
	s_mov_b32 s4, exec_lo
	v_cmpx_gt_u32_e64 s19, v14
	s_cbranch_execz .LBB649_155
; %bb.140:
	v_add_nc_u32_e32 v14, 3, v2
	v_bfi_b32 v10, 0xffff, v5, 0
	v_mov_b32_e32 v13, 0
	v_mov_b32_e32 v12, 0
	;; [unrolled: 1-line block ×3, first 2 shown]
	s_mov_b32 s5, exec_lo
	v_cmpx_gt_u32_e64 s19, v14
	s_cbranch_execz .LBB649_154
; %bb.141:
	v_add_nc_u32_e32 v14, 4, v2
	v_perm_b32 v10, v6, v10, 0x5040100
	v_mov_b32_e32 v13, 0
	v_mov_b32_e32 v12, 0
	;; [unrolled: 1-line block ×3, first 2 shown]
	s_mov_b32 s6, exec_lo
	v_cmpx_gt_u32_e64 s19, v14
	s_cbranch_execz .LBB649_153
; %bb.142:
	v_add_nc_u32_e32 v14, 5, v2
	v_bfi_b32 v11, 0xffff, v7, 0
	v_mov_b32_e32 v13, 0
	v_mov_b32_e32 v12, 0
	s_mov_b32 s7, exec_lo
	v_cmpx_gt_u32_e64 s19, v14
	s_cbranch_execz .LBB649_152
; %bb.143:
	v_add_nc_u32_e32 v14, 6, v2
	v_perm_b32 v11, v8, v11, 0x5040100
	v_mov_b32_e32 v13, 0
	v_mov_b32_e32 v12, 0
	s_mov_b32 s8, exec_lo
	v_cmpx_gt_u32_e64 s19, v14
	s_cbranch_execz .LBB649_151
; %bb.144:
	v_add_nc_u32_e32 v14, 7, v2
	v_bfi_b32 v12, 0xffff, v23, 0
	v_mov_b32_e32 v13, 0
	s_mov_b32 s9, exec_lo
	v_cmpx_gt_u32_e64 s19, v14
	s_cbranch_execz .LBB649_150
; %bb.145:
	v_add_nc_u32_e32 v14, 8, v2
	v_perm_b32 v12, v25, v12, 0x5040100
	v_mov_b32_e32 v13, 0
	s_mov_b32 s10, exec_lo
	v_cmpx_gt_u32_e64 s19, v14
	s_cbranch_execz .LBB649_149
; %bb.146:
	v_add_nc_u32_e32 v14, 9, v2
	v_bfi_b32 v13, 0xffff, v24, 0
	s_mov_b32 s11, exec_lo
	v_cmpx_gt_u32_e64 s19, v14
; %bb.147:
	v_perm_b32 v13, v26, v13, 0x5040100
; %bb.148:
	s_or_b32 exec_lo, exec_lo, s11
.LBB649_149:
	s_or_b32 exec_lo, exec_lo, s10
.LBB649_150:
	s_or_b32 exec_lo, exec_lo, s9
.LBB649_151:
	s_or_b32 exec_lo, exec_lo, s8
.LBB649_152:
	s_or_b32 exec_lo, exec_lo, s7
.LBB649_153:
	s_or_b32 exec_lo, exec_lo, s6
.LBB649_154:
	s_or_b32 exec_lo, exec_lo, s5
.LBB649_155:
	s_or_b32 exec_lo, exec_lo, s4
.LBB649_156:
	s_or_b32 exec_lo, exec_lo, s3
.LBB649_157:
	s_or_b32 exec_lo, exec_lo, s2
	v_lshlrev_b32_e32 v18, 1, v2
	s_waitcnt_vscnt null, 0x0
	s_barrier
	buffer_gl0_inv
	ds_write2_b32 v18, v1, v10 offset1:1
	ds_write2_b32 v18, v11, v12 offset0:2 offset1:3
	v_mad_i32_i24 v1, 0xffffffee, v0, v18
	ds_write_b32 v18, v13 offset:16
	s_waitcnt lgkmcnt(0)
	s_barrier
	buffer_gl0_inv
	ds_read_u16 v19, v1 offset:128
	ds_read_u16 v17, v1 offset:256
	;; [unrolled: 1-line block ×9, first 2 shown]
	v_add_co_u32 v1, s2, s0, v9
	v_add_co_ci_u32_e64 v2, null, s1, 0, s2
	s_mov_b32 s2, exec_lo
	v_cmpx_gt_u32_e64 s19, v0
	s_cbranch_execz .LBB649_159
; %bb.158:
	v_mul_i32_i24_e32 v20, 0xffffffee, v0
	v_add_nc_u32_e32 v18, v18, v20
	ds_read_u16 v18, v18
	s_waitcnt lgkmcnt(0)
	flat_store_short v[1:2], v18
.LBB649_159:
	s_or_b32 exec_lo, exec_lo, s2
	v_or_b32_e32 v18, 64, v0
	s_mov_b32 s2, exec_lo
	v_cmpx_gt_u32_e64 s19, v18
	s_cbranch_execz .LBB649_161
; %bb.160:
	s_waitcnt lgkmcnt(8)
	flat_store_short v[1:2], v19 offset:128
.LBB649_161:
	s_or_b32 exec_lo, exec_lo, s2
	v_or_b32_e32 v18, 0x80, v0
	s_mov_b32 s2, exec_lo
	v_cmpx_gt_u32_e64 s19, v18
	s_cbranch_execz .LBB649_163
; %bb.162:
	s_waitcnt lgkmcnt(7)
	flat_store_short v[1:2], v17 offset:256
.LBB649_163:
	s_or_b32 exec_lo, exec_lo, s2
	s_waitcnt lgkmcnt(7)
	v_or_b32_e32 v17, 0xc0, v0
	s_mov_b32 s2, exec_lo
	v_cmpx_gt_u32_e64 s19, v17
	s_cbranch_execz .LBB649_165
; %bb.164:
	s_waitcnt lgkmcnt(6)
	flat_store_short v[1:2], v16 offset:384
.LBB649_165:
	s_or_b32 exec_lo, exec_lo, s2
	s_waitcnt lgkmcnt(6)
	;; [unrolled: 10-line block ×6, first 2 shown]
	v_or_b32_e32 v12, 0x200, v0
	s_mov_b32 s2, exec_lo
	v_cmpx_gt_u32_e64 s19, v12
	s_cbranch_execz .LBB649_175
; %bb.174:
	s_waitcnt lgkmcnt(1)
	flat_store_short v[1:2], v11 offset:1024
.LBB649_175:
	s_or_b32 exec_lo, exec_lo, s2
	v_or_b32_e32 v1, 0x240, v0
	v_cmp_gt_u32_e64 s2, s19, v1
	s_branch .LBB649_178
.LBB649_176:
	s_mov_b32 s2, 0
                                        ; implicit-def: $vgpr10
	s_cbranch_execz .LBB649_178
; %bb.177:
	v_mul_u32_u24_e32 v1, 20, v0
	v_perm_b32 v2, v6, v5, 0x5040100
	v_perm_b32 v3, v4, v3, 0x5040100
	v_mul_i32_i24_e32 v6, 0xffffffee, v0
	v_perm_b32 v4, v25, v23, 0x5040100
	v_perm_b32 v5, v8, v7, 0x5040100
	s_waitcnt lgkmcnt(0)
	s_waitcnt_vscnt null, 0x0
	s_barrier
	v_perm_b32 v7, v26, v24, 0x5040100
	buffer_gl0_inv
	ds_write2_b32 v1, v3, v2 offset1:1
	ds_write2_b32 v1, v5, v4 offset0:2 offset1:3
	v_mad_u32_u24 v2, v0, 20, v6
	s_or_b32 s2, s2, exec_lo
	ds_write_b32 v1, v7 offset:16
	s_waitcnt lgkmcnt(0)
	s_barrier
	buffer_gl0_inv
	ds_read_u16 v3, v2
	ds_read_u16 v4, v2 offset:128
	ds_read_u16 v5, v2 offset:256
	;; [unrolled: 1-line block ×9, first 2 shown]
	v_add_co_u32 v1, s3, s0, v9
	v_add_co_ci_u32_e64 v2, null, s1, 0, s3
	s_waitcnt lgkmcnt(9)
	flat_store_short v[1:2], v3
	s_waitcnt lgkmcnt(9)
	flat_store_short v[1:2], v4 offset:128
	s_waitcnt lgkmcnt(9)
	flat_store_short v[1:2], v5 offset:256
	;; [unrolled: 2-line block ×8, first 2 shown]
.LBB649_178:
	s_and_saveexec_b32 s3, s2
	s_cbranch_execnz .LBB649_180
; %bb.179:
	s_endpgm
.LBB649_180:
	v_lshlrev_b32_e32 v0, 1, v0
	v_add_co_u32 v0, s0, s0, v0
	v_add_co_ci_u32_e64 v1, null, s1, 0, s0
	s_waitcnt lgkmcnt(0)
	flat_store_short v[0:1], v10 offset:1152
	s_endpgm
.LBB649_181:
	v_add_co_u32 v3, s9, s31, v14
	v_add_co_ci_u32_e64 v4, null, s33, 0, s9
	v_mov_b32_e32 v2, v1
	v_mov_b32_e32 v5, v1
	;; [unrolled: 1-line block ×3, first 2 shown]
	flat_load_short_d16 v2, v[3:4]
	v_mov_b32_e32 v3, v1
	v_mov_b32_e32 v4, v1
	s_waitcnt vmcnt(0) lgkmcnt(0)
	v_mov_b32_e32 v1, v2
	v_mov_b32_e32 v2, v3
	;; [unrolled: 1-line block ×8, first 2 shown]
	s_or_b32 exec_lo, exec_lo, s10
	s_and_saveexec_b32 s9, s8
	s_cbranch_execz .LBB649_25
.LBB649_182:
	v_add_co_u32 v6, s8, s31, v14
	v_add_co_ci_u32_e64 v7, null, s33, 0, s8
	flat_load_short_d16_hi v1, v[6:7] offset:128
	s_or_b32 exec_lo, exec_lo, s9
	s_and_saveexec_b32 s8, s7
	s_cbranch_execz .LBB649_26
.LBB649_183:
	v_add_co_u32 v6, s7, s31, v14
	v_add_co_ci_u32_e64 v7, null, s33, 0, s7
	flat_load_short_d16 v2, v[6:7] offset:256
	s_or_b32 exec_lo, exec_lo, s8
	s_and_saveexec_b32 s7, s5
	s_cbranch_execz .LBB649_27
.LBB649_184:
	v_add_co_u32 v6, s5, s31, v14
	v_add_co_ci_u32_e64 v7, null, s33, 0, s5
	s_waitcnt vmcnt(0) lgkmcnt(0)
	flat_load_short_d16_hi v2, v[6:7] offset:384
	s_or_b32 exec_lo, exec_lo, s7
	s_and_saveexec_b32 s5, s4
	s_cbranch_execz .LBB649_28
.LBB649_185:
	v_add_co_u32 v6, s4, s31, v14
	v_add_co_ci_u32_e64 v7, null, s33, 0, s4
	flat_load_short_d16 v3, v[6:7] offset:512
	s_or_b32 exec_lo, exec_lo, s5
	s_and_saveexec_b32 s4, s3
	s_cbranch_execz .LBB649_29
.LBB649_186:
	v_add_co_u32 v6, s3, s31, v14
	v_add_co_ci_u32_e64 v7, null, s33, 0, s3
	s_waitcnt vmcnt(0) lgkmcnt(0)
	flat_load_short_d16_hi v3, v[6:7] offset:640
	s_or_b32 exec_lo, exec_lo, s4
	s_and_saveexec_b32 s3, s2
	s_cbranch_execz .LBB649_30
.LBB649_187:
	v_add_co_u32 v6, s2, s31, v14
	v_add_co_ci_u32_e64 v7, null, s33, 0, s2
	flat_load_short_d16 v4, v[6:7] offset:768
	s_or_b32 exec_lo, exec_lo, s3
	s_and_saveexec_b32 s2, s1
	s_cbranch_execz .LBB649_31
.LBB649_188:
	v_add_co_u32 v6, s1, s31, v14
	v_add_co_ci_u32_e64 v7, null, s33, 0, s1
	s_waitcnt vmcnt(0) lgkmcnt(0)
	flat_load_short_d16_hi v4, v[6:7] offset:896
	s_or_b32 exec_lo, exec_lo, s2
	s_and_saveexec_b32 s1, s0
	s_cbranch_execz .LBB649_32
.LBB649_189:
	v_add_co_u32 v6, s0, s31, v14
	v_add_co_ci_u32_e64 v7, null, s33, 0, s0
	flat_load_short_d16 v5, v[6:7] offset:1024
	s_or_b32 exec_lo, exec_lo, s1
	v_mul_u32_u24_e32 v29, 10, v0
	s_and_saveexec_b32 s0, vcc_lo
	s_cbranch_execnz .LBB649_33
	s_branch .LBB649_34
	.section	.rodata,"a",@progbits
	.p2align	6, 0x0
	.amdhsa_kernel _ZN7rocprim17ROCPRIM_400000_NS6detail17trampoline_kernelINS0_14default_configENS1_27scan_by_key_config_selectorIssEEZZNS1_16scan_by_key_implILNS1_25lookback_scan_determinismE0ELb1ES3_N6thrust23THRUST_200600_302600_NS6detail15normal_iteratorINS9_10device_ptrIsEEEESE_SE_sNS9_4plusIvEENS9_8equal_toIsEEsEE10hipError_tPvRmT2_T3_T4_T5_mT6_T7_P12ihipStream_tbENKUlT_T0_E_clISt17integral_constantIbLb0EESZ_EEDaSU_SV_EUlSU_E_NS1_11comp_targetILNS1_3genE8ELNS1_11target_archE1030ELNS1_3gpuE2ELNS1_3repE0EEENS1_30default_config_static_selectorELNS0_4arch9wavefront6targetE0EEEvT1_
		.amdhsa_group_segment_fixed_size 1536
		.amdhsa_private_segment_fixed_size 0
		.amdhsa_kernarg_size 112
		.amdhsa_user_sgpr_count 6
		.amdhsa_user_sgpr_private_segment_buffer 1
		.amdhsa_user_sgpr_dispatch_ptr 0
		.amdhsa_user_sgpr_queue_ptr 0
		.amdhsa_user_sgpr_kernarg_segment_ptr 1
		.amdhsa_user_sgpr_dispatch_id 0
		.amdhsa_user_sgpr_flat_scratch_init 0
		.amdhsa_user_sgpr_private_segment_size 0
		.amdhsa_wavefront_size32 1
		.amdhsa_uses_dynamic_stack 0
		.amdhsa_system_sgpr_private_segment_wavefront_offset 0
		.amdhsa_system_sgpr_workgroup_id_x 1
		.amdhsa_system_sgpr_workgroup_id_y 0
		.amdhsa_system_sgpr_workgroup_id_z 0
		.amdhsa_system_sgpr_workgroup_info 0
		.amdhsa_system_vgpr_workitem_id 0
		.amdhsa_next_free_vgpr 42
		.amdhsa_next_free_sgpr 36
		.amdhsa_reserve_vcc 1
		.amdhsa_reserve_flat_scratch 1
		.amdhsa_float_round_mode_32 0
		.amdhsa_float_round_mode_16_64 0
		.amdhsa_float_denorm_mode_32 3
		.amdhsa_float_denorm_mode_16_64 3
		.amdhsa_dx10_clamp 1
		.amdhsa_ieee_mode 1
		.amdhsa_fp16_overflow 0
		.amdhsa_workgroup_processor_mode 1
		.amdhsa_memory_ordered 1
		.amdhsa_forward_progress 1
		.amdhsa_shared_vgpr_count 0
		.amdhsa_exception_fp_ieee_invalid_op 0
		.amdhsa_exception_fp_denorm_src 0
		.amdhsa_exception_fp_ieee_div_zero 0
		.amdhsa_exception_fp_ieee_overflow 0
		.amdhsa_exception_fp_ieee_underflow 0
		.amdhsa_exception_fp_ieee_inexact 0
		.amdhsa_exception_int_div_zero 0
	.end_amdhsa_kernel
	.section	.text._ZN7rocprim17ROCPRIM_400000_NS6detail17trampoline_kernelINS0_14default_configENS1_27scan_by_key_config_selectorIssEEZZNS1_16scan_by_key_implILNS1_25lookback_scan_determinismE0ELb1ES3_N6thrust23THRUST_200600_302600_NS6detail15normal_iteratorINS9_10device_ptrIsEEEESE_SE_sNS9_4plusIvEENS9_8equal_toIsEEsEE10hipError_tPvRmT2_T3_T4_T5_mT6_T7_P12ihipStream_tbENKUlT_T0_E_clISt17integral_constantIbLb0EESZ_EEDaSU_SV_EUlSU_E_NS1_11comp_targetILNS1_3genE8ELNS1_11target_archE1030ELNS1_3gpuE2ELNS1_3repE0EEENS1_30default_config_static_selectorELNS0_4arch9wavefront6targetE0EEEvT1_,"axG",@progbits,_ZN7rocprim17ROCPRIM_400000_NS6detail17trampoline_kernelINS0_14default_configENS1_27scan_by_key_config_selectorIssEEZZNS1_16scan_by_key_implILNS1_25lookback_scan_determinismE0ELb1ES3_N6thrust23THRUST_200600_302600_NS6detail15normal_iteratorINS9_10device_ptrIsEEEESE_SE_sNS9_4plusIvEENS9_8equal_toIsEEsEE10hipError_tPvRmT2_T3_T4_T5_mT6_T7_P12ihipStream_tbENKUlT_T0_E_clISt17integral_constantIbLb0EESZ_EEDaSU_SV_EUlSU_E_NS1_11comp_targetILNS1_3genE8ELNS1_11target_archE1030ELNS1_3gpuE2ELNS1_3repE0EEENS1_30default_config_static_selectorELNS0_4arch9wavefront6targetE0EEEvT1_,comdat
.Lfunc_end649:
	.size	_ZN7rocprim17ROCPRIM_400000_NS6detail17trampoline_kernelINS0_14default_configENS1_27scan_by_key_config_selectorIssEEZZNS1_16scan_by_key_implILNS1_25lookback_scan_determinismE0ELb1ES3_N6thrust23THRUST_200600_302600_NS6detail15normal_iteratorINS9_10device_ptrIsEEEESE_SE_sNS9_4plusIvEENS9_8equal_toIsEEsEE10hipError_tPvRmT2_T3_T4_T5_mT6_T7_P12ihipStream_tbENKUlT_T0_E_clISt17integral_constantIbLb0EESZ_EEDaSU_SV_EUlSU_E_NS1_11comp_targetILNS1_3genE8ELNS1_11target_archE1030ELNS1_3gpuE2ELNS1_3repE0EEENS1_30default_config_static_selectorELNS0_4arch9wavefront6targetE0EEEvT1_, .Lfunc_end649-_ZN7rocprim17ROCPRIM_400000_NS6detail17trampoline_kernelINS0_14default_configENS1_27scan_by_key_config_selectorIssEEZZNS1_16scan_by_key_implILNS1_25lookback_scan_determinismE0ELb1ES3_N6thrust23THRUST_200600_302600_NS6detail15normal_iteratorINS9_10device_ptrIsEEEESE_SE_sNS9_4plusIvEENS9_8equal_toIsEEsEE10hipError_tPvRmT2_T3_T4_T5_mT6_T7_P12ihipStream_tbENKUlT_T0_E_clISt17integral_constantIbLb0EESZ_EEDaSU_SV_EUlSU_E_NS1_11comp_targetILNS1_3genE8ELNS1_11target_archE1030ELNS1_3gpuE2ELNS1_3repE0EEENS1_30default_config_static_selectorELNS0_4arch9wavefront6targetE0EEEvT1_
                                        ; -- End function
	.set _ZN7rocprim17ROCPRIM_400000_NS6detail17trampoline_kernelINS0_14default_configENS1_27scan_by_key_config_selectorIssEEZZNS1_16scan_by_key_implILNS1_25lookback_scan_determinismE0ELb1ES3_N6thrust23THRUST_200600_302600_NS6detail15normal_iteratorINS9_10device_ptrIsEEEESE_SE_sNS9_4plusIvEENS9_8equal_toIsEEsEE10hipError_tPvRmT2_T3_T4_T5_mT6_T7_P12ihipStream_tbENKUlT_T0_E_clISt17integral_constantIbLb0EESZ_EEDaSU_SV_EUlSU_E_NS1_11comp_targetILNS1_3genE8ELNS1_11target_archE1030ELNS1_3gpuE2ELNS1_3repE0EEENS1_30default_config_static_selectorELNS0_4arch9wavefront6targetE0EEEvT1_.num_vgpr, 42
	.set _ZN7rocprim17ROCPRIM_400000_NS6detail17trampoline_kernelINS0_14default_configENS1_27scan_by_key_config_selectorIssEEZZNS1_16scan_by_key_implILNS1_25lookback_scan_determinismE0ELb1ES3_N6thrust23THRUST_200600_302600_NS6detail15normal_iteratorINS9_10device_ptrIsEEEESE_SE_sNS9_4plusIvEENS9_8equal_toIsEEsEE10hipError_tPvRmT2_T3_T4_T5_mT6_T7_P12ihipStream_tbENKUlT_T0_E_clISt17integral_constantIbLb0EESZ_EEDaSU_SV_EUlSU_E_NS1_11comp_targetILNS1_3genE8ELNS1_11target_archE1030ELNS1_3gpuE2ELNS1_3repE0EEENS1_30default_config_static_selectorELNS0_4arch9wavefront6targetE0EEEvT1_.num_agpr, 0
	.set _ZN7rocprim17ROCPRIM_400000_NS6detail17trampoline_kernelINS0_14default_configENS1_27scan_by_key_config_selectorIssEEZZNS1_16scan_by_key_implILNS1_25lookback_scan_determinismE0ELb1ES3_N6thrust23THRUST_200600_302600_NS6detail15normal_iteratorINS9_10device_ptrIsEEEESE_SE_sNS9_4plusIvEENS9_8equal_toIsEEsEE10hipError_tPvRmT2_T3_T4_T5_mT6_T7_P12ihipStream_tbENKUlT_T0_E_clISt17integral_constantIbLb0EESZ_EEDaSU_SV_EUlSU_E_NS1_11comp_targetILNS1_3genE8ELNS1_11target_archE1030ELNS1_3gpuE2ELNS1_3repE0EEENS1_30default_config_static_selectorELNS0_4arch9wavefront6targetE0EEEvT1_.numbered_sgpr, 36
	.set _ZN7rocprim17ROCPRIM_400000_NS6detail17trampoline_kernelINS0_14default_configENS1_27scan_by_key_config_selectorIssEEZZNS1_16scan_by_key_implILNS1_25lookback_scan_determinismE0ELb1ES3_N6thrust23THRUST_200600_302600_NS6detail15normal_iteratorINS9_10device_ptrIsEEEESE_SE_sNS9_4plusIvEENS9_8equal_toIsEEsEE10hipError_tPvRmT2_T3_T4_T5_mT6_T7_P12ihipStream_tbENKUlT_T0_E_clISt17integral_constantIbLb0EESZ_EEDaSU_SV_EUlSU_E_NS1_11comp_targetILNS1_3genE8ELNS1_11target_archE1030ELNS1_3gpuE2ELNS1_3repE0EEENS1_30default_config_static_selectorELNS0_4arch9wavefront6targetE0EEEvT1_.num_named_barrier, 0
	.set _ZN7rocprim17ROCPRIM_400000_NS6detail17trampoline_kernelINS0_14default_configENS1_27scan_by_key_config_selectorIssEEZZNS1_16scan_by_key_implILNS1_25lookback_scan_determinismE0ELb1ES3_N6thrust23THRUST_200600_302600_NS6detail15normal_iteratorINS9_10device_ptrIsEEEESE_SE_sNS9_4plusIvEENS9_8equal_toIsEEsEE10hipError_tPvRmT2_T3_T4_T5_mT6_T7_P12ihipStream_tbENKUlT_T0_E_clISt17integral_constantIbLb0EESZ_EEDaSU_SV_EUlSU_E_NS1_11comp_targetILNS1_3genE8ELNS1_11target_archE1030ELNS1_3gpuE2ELNS1_3repE0EEENS1_30default_config_static_selectorELNS0_4arch9wavefront6targetE0EEEvT1_.private_seg_size, 0
	.set _ZN7rocprim17ROCPRIM_400000_NS6detail17trampoline_kernelINS0_14default_configENS1_27scan_by_key_config_selectorIssEEZZNS1_16scan_by_key_implILNS1_25lookback_scan_determinismE0ELb1ES3_N6thrust23THRUST_200600_302600_NS6detail15normal_iteratorINS9_10device_ptrIsEEEESE_SE_sNS9_4plusIvEENS9_8equal_toIsEEsEE10hipError_tPvRmT2_T3_T4_T5_mT6_T7_P12ihipStream_tbENKUlT_T0_E_clISt17integral_constantIbLb0EESZ_EEDaSU_SV_EUlSU_E_NS1_11comp_targetILNS1_3genE8ELNS1_11target_archE1030ELNS1_3gpuE2ELNS1_3repE0EEENS1_30default_config_static_selectorELNS0_4arch9wavefront6targetE0EEEvT1_.uses_vcc, 1
	.set _ZN7rocprim17ROCPRIM_400000_NS6detail17trampoline_kernelINS0_14default_configENS1_27scan_by_key_config_selectorIssEEZZNS1_16scan_by_key_implILNS1_25lookback_scan_determinismE0ELb1ES3_N6thrust23THRUST_200600_302600_NS6detail15normal_iteratorINS9_10device_ptrIsEEEESE_SE_sNS9_4plusIvEENS9_8equal_toIsEEsEE10hipError_tPvRmT2_T3_T4_T5_mT6_T7_P12ihipStream_tbENKUlT_T0_E_clISt17integral_constantIbLb0EESZ_EEDaSU_SV_EUlSU_E_NS1_11comp_targetILNS1_3genE8ELNS1_11target_archE1030ELNS1_3gpuE2ELNS1_3repE0EEENS1_30default_config_static_selectorELNS0_4arch9wavefront6targetE0EEEvT1_.uses_flat_scratch, 1
	.set _ZN7rocprim17ROCPRIM_400000_NS6detail17trampoline_kernelINS0_14default_configENS1_27scan_by_key_config_selectorIssEEZZNS1_16scan_by_key_implILNS1_25lookback_scan_determinismE0ELb1ES3_N6thrust23THRUST_200600_302600_NS6detail15normal_iteratorINS9_10device_ptrIsEEEESE_SE_sNS9_4plusIvEENS9_8equal_toIsEEsEE10hipError_tPvRmT2_T3_T4_T5_mT6_T7_P12ihipStream_tbENKUlT_T0_E_clISt17integral_constantIbLb0EESZ_EEDaSU_SV_EUlSU_E_NS1_11comp_targetILNS1_3genE8ELNS1_11target_archE1030ELNS1_3gpuE2ELNS1_3repE0EEENS1_30default_config_static_selectorELNS0_4arch9wavefront6targetE0EEEvT1_.has_dyn_sized_stack, 0
	.set _ZN7rocprim17ROCPRIM_400000_NS6detail17trampoline_kernelINS0_14default_configENS1_27scan_by_key_config_selectorIssEEZZNS1_16scan_by_key_implILNS1_25lookback_scan_determinismE0ELb1ES3_N6thrust23THRUST_200600_302600_NS6detail15normal_iteratorINS9_10device_ptrIsEEEESE_SE_sNS9_4plusIvEENS9_8equal_toIsEEsEE10hipError_tPvRmT2_T3_T4_T5_mT6_T7_P12ihipStream_tbENKUlT_T0_E_clISt17integral_constantIbLb0EESZ_EEDaSU_SV_EUlSU_E_NS1_11comp_targetILNS1_3genE8ELNS1_11target_archE1030ELNS1_3gpuE2ELNS1_3repE0EEENS1_30default_config_static_selectorELNS0_4arch9wavefront6targetE0EEEvT1_.has_recursion, 0
	.set _ZN7rocprim17ROCPRIM_400000_NS6detail17trampoline_kernelINS0_14default_configENS1_27scan_by_key_config_selectorIssEEZZNS1_16scan_by_key_implILNS1_25lookback_scan_determinismE0ELb1ES3_N6thrust23THRUST_200600_302600_NS6detail15normal_iteratorINS9_10device_ptrIsEEEESE_SE_sNS9_4plusIvEENS9_8equal_toIsEEsEE10hipError_tPvRmT2_T3_T4_T5_mT6_T7_P12ihipStream_tbENKUlT_T0_E_clISt17integral_constantIbLb0EESZ_EEDaSU_SV_EUlSU_E_NS1_11comp_targetILNS1_3genE8ELNS1_11target_archE1030ELNS1_3gpuE2ELNS1_3repE0EEENS1_30default_config_static_selectorELNS0_4arch9wavefront6targetE0EEEvT1_.has_indirect_call, 0
	.section	.AMDGPU.csdata,"",@progbits
; Kernel info:
; codeLenInByte = 10296
; TotalNumSgprs: 38
; NumVgprs: 42
; ScratchSize: 0
; MemoryBound: 0
; FloatMode: 240
; IeeeMode: 1
; LDSByteSize: 1536 bytes/workgroup (compile time only)
; SGPRBlocks: 0
; VGPRBlocks: 5
; NumSGPRsForWavesPerEU: 38
; NumVGPRsForWavesPerEU: 42
; Occupancy: 16
; WaveLimiterHint : 1
; COMPUTE_PGM_RSRC2:SCRATCH_EN: 0
; COMPUTE_PGM_RSRC2:USER_SGPR: 6
; COMPUTE_PGM_RSRC2:TRAP_HANDLER: 0
; COMPUTE_PGM_RSRC2:TGID_X_EN: 1
; COMPUTE_PGM_RSRC2:TGID_Y_EN: 0
; COMPUTE_PGM_RSRC2:TGID_Z_EN: 0
; COMPUTE_PGM_RSRC2:TIDIG_COMP_CNT: 0
	.section	.text._ZN7rocprim17ROCPRIM_400000_NS6detail17trampoline_kernelINS0_14default_configENS1_27scan_by_key_config_selectorIssEEZZNS1_16scan_by_key_implILNS1_25lookback_scan_determinismE0ELb1ES3_N6thrust23THRUST_200600_302600_NS6detail15normal_iteratorINS9_10device_ptrIsEEEESE_SE_sNS9_4plusIvEENS9_8equal_toIsEEsEE10hipError_tPvRmT2_T3_T4_T5_mT6_T7_P12ihipStream_tbENKUlT_T0_E_clISt17integral_constantIbLb1EESZ_EEDaSU_SV_EUlSU_E_NS1_11comp_targetILNS1_3genE0ELNS1_11target_archE4294967295ELNS1_3gpuE0ELNS1_3repE0EEENS1_30default_config_static_selectorELNS0_4arch9wavefront6targetE0EEEvT1_,"axG",@progbits,_ZN7rocprim17ROCPRIM_400000_NS6detail17trampoline_kernelINS0_14default_configENS1_27scan_by_key_config_selectorIssEEZZNS1_16scan_by_key_implILNS1_25lookback_scan_determinismE0ELb1ES3_N6thrust23THRUST_200600_302600_NS6detail15normal_iteratorINS9_10device_ptrIsEEEESE_SE_sNS9_4plusIvEENS9_8equal_toIsEEsEE10hipError_tPvRmT2_T3_T4_T5_mT6_T7_P12ihipStream_tbENKUlT_T0_E_clISt17integral_constantIbLb1EESZ_EEDaSU_SV_EUlSU_E_NS1_11comp_targetILNS1_3genE0ELNS1_11target_archE4294967295ELNS1_3gpuE0ELNS1_3repE0EEENS1_30default_config_static_selectorELNS0_4arch9wavefront6targetE0EEEvT1_,comdat
	.protected	_ZN7rocprim17ROCPRIM_400000_NS6detail17trampoline_kernelINS0_14default_configENS1_27scan_by_key_config_selectorIssEEZZNS1_16scan_by_key_implILNS1_25lookback_scan_determinismE0ELb1ES3_N6thrust23THRUST_200600_302600_NS6detail15normal_iteratorINS9_10device_ptrIsEEEESE_SE_sNS9_4plusIvEENS9_8equal_toIsEEsEE10hipError_tPvRmT2_T3_T4_T5_mT6_T7_P12ihipStream_tbENKUlT_T0_E_clISt17integral_constantIbLb1EESZ_EEDaSU_SV_EUlSU_E_NS1_11comp_targetILNS1_3genE0ELNS1_11target_archE4294967295ELNS1_3gpuE0ELNS1_3repE0EEENS1_30default_config_static_selectorELNS0_4arch9wavefront6targetE0EEEvT1_ ; -- Begin function _ZN7rocprim17ROCPRIM_400000_NS6detail17trampoline_kernelINS0_14default_configENS1_27scan_by_key_config_selectorIssEEZZNS1_16scan_by_key_implILNS1_25lookback_scan_determinismE0ELb1ES3_N6thrust23THRUST_200600_302600_NS6detail15normal_iteratorINS9_10device_ptrIsEEEESE_SE_sNS9_4plusIvEENS9_8equal_toIsEEsEE10hipError_tPvRmT2_T3_T4_T5_mT6_T7_P12ihipStream_tbENKUlT_T0_E_clISt17integral_constantIbLb1EESZ_EEDaSU_SV_EUlSU_E_NS1_11comp_targetILNS1_3genE0ELNS1_11target_archE4294967295ELNS1_3gpuE0ELNS1_3repE0EEENS1_30default_config_static_selectorELNS0_4arch9wavefront6targetE0EEEvT1_
	.globl	_ZN7rocprim17ROCPRIM_400000_NS6detail17trampoline_kernelINS0_14default_configENS1_27scan_by_key_config_selectorIssEEZZNS1_16scan_by_key_implILNS1_25lookback_scan_determinismE0ELb1ES3_N6thrust23THRUST_200600_302600_NS6detail15normal_iteratorINS9_10device_ptrIsEEEESE_SE_sNS9_4plusIvEENS9_8equal_toIsEEsEE10hipError_tPvRmT2_T3_T4_T5_mT6_T7_P12ihipStream_tbENKUlT_T0_E_clISt17integral_constantIbLb1EESZ_EEDaSU_SV_EUlSU_E_NS1_11comp_targetILNS1_3genE0ELNS1_11target_archE4294967295ELNS1_3gpuE0ELNS1_3repE0EEENS1_30default_config_static_selectorELNS0_4arch9wavefront6targetE0EEEvT1_
	.p2align	8
	.type	_ZN7rocprim17ROCPRIM_400000_NS6detail17trampoline_kernelINS0_14default_configENS1_27scan_by_key_config_selectorIssEEZZNS1_16scan_by_key_implILNS1_25lookback_scan_determinismE0ELb1ES3_N6thrust23THRUST_200600_302600_NS6detail15normal_iteratorINS9_10device_ptrIsEEEESE_SE_sNS9_4plusIvEENS9_8equal_toIsEEsEE10hipError_tPvRmT2_T3_T4_T5_mT6_T7_P12ihipStream_tbENKUlT_T0_E_clISt17integral_constantIbLb1EESZ_EEDaSU_SV_EUlSU_E_NS1_11comp_targetILNS1_3genE0ELNS1_11target_archE4294967295ELNS1_3gpuE0ELNS1_3repE0EEENS1_30default_config_static_selectorELNS0_4arch9wavefront6targetE0EEEvT1_,@function
_ZN7rocprim17ROCPRIM_400000_NS6detail17trampoline_kernelINS0_14default_configENS1_27scan_by_key_config_selectorIssEEZZNS1_16scan_by_key_implILNS1_25lookback_scan_determinismE0ELb1ES3_N6thrust23THRUST_200600_302600_NS6detail15normal_iteratorINS9_10device_ptrIsEEEESE_SE_sNS9_4plusIvEENS9_8equal_toIsEEsEE10hipError_tPvRmT2_T3_T4_T5_mT6_T7_P12ihipStream_tbENKUlT_T0_E_clISt17integral_constantIbLb1EESZ_EEDaSU_SV_EUlSU_E_NS1_11comp_targetILNS1_3genE0ELNS1_11target_archE4294967295ELNS1_3gpuE0ELNS1_3repE0EEENS1_30default_config_static_selectorELNS0_4arch9wavefront6targetE0EEEvT1_: ; @_ZN7rocprim17ROCPRIM_400000_NS6detail17trampoline_kernelINS0_14default_configENS1_27scan_by_key_config_selectorIssEEZZNS1_16scan_by_key_implILNS1_25lookback_scan_determinismE0ELb1ES3_N6thrust23THRUST_200600_302600_NS6detail15normal_iteratorINS9_10device_ptrIsEEEESE_SE_sNS9_4plusIvEENS9_8equal_toIsEEsEE10hipError_tPvRmT2_T3_T4_T5_mT6_T7_P12ihipStream_tbENKUlT_T0_E_clISt17integral_constantIbLb1EESZ_EEDaSU_SV_EUlSU_E_NS1_11comp_targetILNS1_3genE0ELNS1_11target_archE4294967295ELNS1_3gpuE0ELNS1_3repE0EEENS1_30default_config_static_selectorELNS0_4arch9wavefront6targetE0EEEvT1_
; %bb.0:
	.section	.rodata,"a",@progbits
	.p2align	6, 0x0
	.amdhsa_kernel _ZN7rocprim17ROCPRIM_400000_NS6detail17trampoline_kernelINS0_14default_configENS1_27scan_by_key_config_selectorIssEEZZNS1_16scan_by_key_implILNS1_25lookback_scan_determinismE0ELb1ES3_N6thrust23THRUST_200600_302600_NS6detail15normal_iteratorINS9_10device_ptrIsEEEESE_SE_sNS9_4plusIvEENS9_8equal_toIsEEsEE10hipError_tPvRmT2_T3_T4_T5_mT6_T7_P12ihipStream_tbENKUlT_T0_E_clISt17integral_constantIbLb1EESZ_EEDaSU_SV_EUlSU_E_NS1_11comp_targetILNS1_3genE0ELNS1_11target_archE4294967295ELNS1_3gpuE0ELNS1_3repE0EEENS1_30default_config_static_selectorELNS0_4arch9wavefront6targetE0EEEvT1_
		.amdhsa_group_segment_fixed_size 0
		.amdhsa_private_segment_fixed_size 0
		.amdhsa_kernarg_size 112
		.amdhsa_user_sgpr_count 6
		.amdhsa_user_sgpr_private_segment_buffer 1
		.amdhsa_user_sgpr_dispatch_ptr 0
		.amdhsa_user_sgpr_queue_ptr 0
		.amdhsa_user_sgpr_kernarg_segment_ptr 1
		.amdhsa_user_sgpr_dispatch_id 0
		.amdhsa_user_sgpr_flat_scratch_init 0
		.amdhsa_user_sgpr_private_segment_size 0
		.amdhsa_wavefront_size32 1
		.amdhsa_uses_dynamic_stack 0
		.amdhsa_system_sgpr_private_segment_wavefront_offset 0
		.amdhsa_system_sgpr_workgroup_id_x 1
		.amdhsa_system_sgpr_workgroup_id_y 0
		.amdhsa_system_sgpr_workgroup_id_z 0
		.amdhsa_system_sgpr_workgroup_info 0
		.amdhsa_system_vgpr_workitem_id 0
		.amdhsa_next_free_vgpr 1
		.amdhsa_next_free_sgpr 1
		.amdhsa_reserve_vcc 0
		.amdhsa_reserve_flat_scratch 0
		.amdhsa_float_round_mode_32 0
		.amdhsa_float_round_mode_16_64 0
		.amdhsa_float_denorm_mode_32 3
		.amdhsa_float_denorm_mode_16_64 3
		.amdhsa_dx10_clamp 1
		.amdhsa_ieee_mode 1
		.amdhsa_fp16_overflow 0
		.amdhsa_workgroup_processor_mode 1
		.amdhsa_memory_ordered 1
		.amdhsa_forward_progress 1
		.amdhsa_shared_vgpr_count 0
		.amdhsa_exception_fp_ieee_invalid_op 0
		.amdhsa_exception_fp_denorm_src 0
		.amdhsa_exception_fp_ieee_div_zero 0
		.amdhsa_exception_fp_ieee_overflow 0
		.amdhsa_exception_fp_ieee_underflow 0
		.amdhsa_exception_fp_ieee_inexact 0
		.amdhsa_exception_int_div_zero 0
	.end_amdhsa_kernel
	.section	.text._ZN7rocprim17ROCPRIM_400000_NS6detail17trampoline_kernelINS0_14default_configENS1_27scan_by_key_config_selectorIssEEZZNS1_16scan_by_key_implILNS1_25lookback_scan_determinismE0ELb1ES3_N6thrust23THRUST_200600_302600_NS6detail15normal_iteratorINS9_10device_ptrIsEEEESE_SE_sNS9_4plusIvEENS9_8equal_toIsEEsEE10hipError_tPvRmT2_T3_T4_T5_mT6_T7_P12ihipStream_tbENKUlT_T0_E_clISt17integral_constantIbLb1EESZ_EEDaSU_SV_EUlSU_E_NS1_11comp_targetILNS1_3genE0ELNS1_11target_archE4294967295ELNS1_3gpuE0ELNS1_3repE0EEENS1_30default_config_static_selectorELNS0_4arch9wavefront6targetE0EEEvT1_,"axG",@progbits,_ZN7rocprim17ROCPRIM_400000_NS6detail17trampoline_kernelINS0_14default_configENS1_27scan_by_key_config_selectorIssEEZZNS1_16scan_by_key_implILNS1_25lookback_scan_determinismE0ELb1ES3_N6thrust23THRUST_200600_302600_NS6detail15normal_iteratorINS9_10device_ptrIsEEEESE_SE_sNS9_4plusIvEENS9_8equal_toIsEEsEE10hipError_tPvRmT2_T3_T4_T5_mT6_T7_P12ihipStream_tbENKUlT_T0_E_clISt17integral_constantIbLb1EESZ_EEDaSU_SV_EUlSU_E_NS1_11comp_targetILNS1_3genE0ELNS1_11target_archE4294967295ELNS1_3gpuE0ELNS1_3repE0EEENS1_30default_config_static_selectorELNS0_4arch9wavefront6targetE0EEEvT1_,comdat
.Lfunc_end650:
	.size	_ZN7rocprim17ROCPRIM_400000_NS6detail17trampoline_kernelINS0_14default_configENS1_27scan_by_key_config_selectorIssEEZZNS1_16scan_by_key_implILNS1_25lookback_scan_determinismE0ELb1ES3_N6thrust23THRUST_200600_302600_NS6detail15normal_iteratorINS9_10device_ptrIsEEEESE_SE_sNS9_4plusIvEENS9_8equal_toIsEEsEE10hipError_tPvRmT2_T3_T4_T5_mT6_T7_P12ihipStream_tbENKUlT_T0_E_clISt17integral_constantIbLb1EESZ_EEDaSU_SV_EUlSU_E_NS1_11comp_targetILNS1_3genE0ELNS1_11target_archE4294967295ELNS1_3gpuE0ELNS1_3repE0EEENS1_30default_config_static_selectorELNS0_4arch9wavefront6targetE0EEEvT1_, .Lfunc_end650-_ZN7rocprim17ROCPRIM_400000_NS6detail17trampoline_kernelINS0_14default_configENS1_27scan_by_key_config_selectorIssEEZZNS1_16scan_by_key_implILNS1_25lookback_scan_determinismE0ELb1ES3_N6thrust23THRUST_200600_302600_NS6detail15normal_iteratorINS9_10device_ptrIsEEEESE_SE_sNS9_4plusIvEENS9_8equal_toIsEEsEE10hipError_tPvRmT2_T3_T4_T5_mT6_T7_P12ihipStream_tbENKUlT_T0_E_clISt17integral_constantIbLb1EESZ_EEDaSU_SV_EUlSU_E_NS1_11comp_targetILNS1_3genE0ELNS1_11target_archE4294967295ELNS1_3gpuE0ELNS1_3repE0EEENS1_30default_config_static_selectorELNS0_4arch9wavefront6targetE0EEEvT1_
                                        ; -- End function
	.set _ZN7rocprim17ROCPRIM_400000_NS6detail17trampoline_kernelINS0_14default_configENS1_27scan_by_key_config_selectorIssEEZZNS1_16scan_by_key_implILNS1_25lookback_scan_determinismE0ELb1ES3_N6thrust23THRUST_200600_302600_NS6detail15normal_iteratorINS9_10device_ptrIsEEEESE_SE_sNS9_4plusIvEENS9_8equal_toIsEEsEE10hipError_tPvRmT2_T3_T4_T5_mT6_T7_P12ihipStream_tbENKUlT_T0_E_clISt17integral_constantIbLb1EESZ_EEDaSU_SV_EUlSU_E_NS1_11comp_targetILNS1_3genE0ELNS1_11target_archE4294967295ELNS1_3gpuE0ELNS1_3repE0EEENS1_30default_config_static_selectorELNS0_4arch9wavefront6targetE0EEEvT1_.num_vgpr, 0
	.set _ZN7rocprim17ROCPRIM_400000_NS6detail17trampoline_kernelINS0_14default_configENS1_27scan_by_key_config_selectorIssEEZZNS1_16scan_by_key_implILNS1_25lookback_scan_determinismE0ELb1ES3_N6thrust23THRUST_200600_302600_NS6detail15normal_iteratorINS9_10device_ptrIsEEEESE_SE_sNS9_4plusIvEENS9_8equal_toIsEEsEE10hipError_tPvRmT2_T3_T4_T5_mT6_T7_P12ihipStream_tbENKUlT_T0_E_clISt17integral_constantIbLb1EESZ_EEDaSU_SV_EUlSU_E_NS1_11comp_targetILNS1_3genE0ELNS1_11target_archE4294967295ELNS1_3gpuE0ELNS1_3repE0EEENS1_30default_config_static_selectorELNS0_4arch9wavefront6targetE0EEEvT1_.num_agpr, 0
	.set _ZN7rocprim17ROCPRIM_400000_NS6detail17trampoline_kernelINS0_14default_configENS1_27scan_by_key_config_selectorIssEEZZNS1_16scan_by_key_implILNS1_25lookback_scan_determinismE0ELb1ES3_N6thrust23THRUST_200600_302600_NS6detail15normal_iteratorINS9_10device_ptrIsEEEESE_SE_sNS9_4plusIvEENS9_8equal_toIsEEsEE10hipError_tPvRmT2_T3_T4_T5_mT6_T7_P12ihipStream_tbENKUlT_T0_E_clISt17integral_constantIbLb1EESZ_EEDaSU_SV_EUlSU_E_NS1_11comp_targetILNS1_3genE0ELNS1_11target_archE4294967295ELNS1_3gpuE0ELNS1_3repE0EEENS1_30default_config_static_selectorELNS0_4arch9wavefront6targetE0EEEvT1_.numbered_sgpr, 0
	.set _ZN7rocprim17ROCPRIM_400000_NS6detail17trampoline_kernelINS0_14default_configENS1_27scan_by_key_config_selectorIssEEZZNS1_16scan_by_key_implILNS1_25lookback_scan_determinismE0ELb1ES3_N6thrust23THRUST_200600_302600_NS6detail15normal_iteratorINS9_10device_ptrIsEEEESE_SE_sNS9_4plusIvEENS9_8equal_toIsEEsEE10hipError_tPvRmT2_T3_T4_T5_mT6_T7_P12ihipStream_tbENKUlT_T0_E_clISt17integral_constantIbLb1EESZ_EEDaSU_SV_EUlSU_E_NS1_11comp_targetILNS1_3genE0ELNS1_11target_archE4294967295ELNS1_3gpuE0ELNS1_3repE0EEENS1_30default_config_static_selectorELNS0_4arch9wavefront6targetE0EEEvT1_.num_named_barrier, 0
	.set _ZN7rocprim17ROCPRIM_400000_NS6detail17trampoline_kernelINS0_14default_configENS1_27scan_by_key_config_selectorIssEEZZNS1_16scan_by_key_implILNS1_25lookback_scan_determinismE0ELb1ES3_N6thrust23THRUST_200600_302600_NS6detail15normal_iteratorINS9_10device_ptrIsEEEESE_SE_sNS9_4plusIvEENS9_8equal_toIsEEsEE10hipError_tPvRmT2_T3_T4_T5_mT6_T7_P12ihipStream_tbENKUlT_T0_E_clISt17integral_constantIbLb1EESZ_EEDaSU_SV_EUlSU_E_NS1_11comp_targetILNS1_3genE0ELNS1_11target_archE4294967295ELNS1_3gpuE0ELNS1_3repE0EEENS1_30default_config_static_selectorELNS0_4arch9wavefront6targetE0EEEvT1_.private_seg_size, 0
	.set _ZN7rocprim17ROCPRIM_400000_NS6detail17trampoline_kernelINS0_14default_configENS1_27scan_by_key_config_selectorIssEEZZNS1_16scan_by_key_implILNS1_25lookback_scan_determinismE0ELb1ES3_N6thrust23THRUST_200600_302600_NS6detail15normal_iteratorINS9_10device_ptrIsEEEESE_SE_sNS9_4plusIvEENS9_8equal_toIsEEsEE10hipError_tPvRmT2_T3_T4_T5_mT6_T7_P12ihipStream_tbENKUlT_T0_E_clISt17integral_constantIbLb1EESZ_EEDaSU_SV_EUlSU_E_NS1_11comp_targetILNS1_3genE0ELNS1_11target_archE4294967295ELNS1_3gpuE0ELNS1_3repE0EEENS1_30default_config_static_selectorELNS0_4arch9wavefront6targetE0EEEvT1_.uses_vcc, 0
	.set _ZN7rocprim17ROCPRIM_400000_NS6detail17trampoline_kernelINS0_14default_configENS1_27scan_by_key_config_selectorIssEEZZNS1_16scan_by_key_implILNS1_25lookback_scan_determinismE0ELb1ES3_N6thrust23THRUST_200600_302600_NS6detail15normal_iteratorINS9_10device_ptrIsEEEESE_SE_sNS9_4plusIvEENS9_8equal_toIsEEsEE10hipError_tPvRmT2_T3_T4_T5_mT6_T7_P12ihipStream_tbENKUlT_T0_E_clISt17integral_constantIbLb1EESZ_EEDaSU_SV_EUlSU_E_NS1_11comp_targetILNS1_3genE0ELNS1_11target_archE4294967295ELNS1_3gpuE0ELNS1_3repE0EEENS1_30default_config_static_selectorELNS0_4arch9wavefront6targetE0EEEvT1_.uses_flat_scratch, 0
	.set _ZN7rocprim17ROCPRIM_400000_NS6detail17trampoline_kernelINS0_14default_configENS1_27scan_by_key_config_selectorIssEEZZNS1_16scan_by_key_implILNS1_25lookback_scan_determinismE0ELb1ES3_N6thrust23THRUST_200600_302600_NS6detail15normal_iteratorINS9_10device_ptrIsEEEESE_SE_sNS9_4plusIvEENS9_8equal_toIsEEsEE10hipError_tPvRmT2_T3_T4_T5_mT6_T7_P12ihipStream_tbENKUlT_T0_E_clISt17integral_constantIbLb1EESZ_EEDaSU_SV_EUlSU_E_NS1_11comp_targetILNS1_3genE0ELNS1_11target_archE4294967295ELNS1_3gpuE0ELNS1_3repE0EEENS1_30default_config_static_selectorELNS0_4arch9wavefront6targetE0EEEvT1_.has_dyn_sized_stack, 0
	.set _ZN7rocprim17ROCPRIM_400000_NS6detail17trampoline_kernelINS0_14default_configENS1_27scan_by_key_config_selectorIssEEZZNS1_16scan_by_key_implILNS1_25lookback_scan_determinismE0ELb1ES3_N6thrust23THRUST_200600_302600_NS6detail15normal_iteratorINS9_10device_ptrIsEEEESE_SE_sNS9_4plusIvEENS9_8equal_toIsEEsEE10hipError_tPvRmT2_T3_T4_T5_mT6_T7_P12ihipStream_tbENKUlT_T0_E_clISt17integral_constantIbLb1EESZ_EEDaSU_SV_EUlSU_E_NS1_11comp_targetILNS1_3genE0ELNS1_11target_archE4294967295ELNS1_3gpuE0ELNS1_3repE0EEENS1_30default_config_static_selectorELNS0_4arch9wavefront6targetE0EEEvT1_.has_recursion, 0
	.set _ZN7rocprim17ROCPRIM_400000_NS6detail17trampoline_kernelINS0_14default_configENS1_27scan_by_key_config_selectorIssEEZZNS1_16scan_by_key_implILNS1_25lookback_scan_determinismE0ELb1ES3_N6thrust23THRUST_200600_302600_NS6detail15normal_iteratorINS9_10device_ptrIsEEEESE_SE_sNS9_4plusIvEENS9_8equal_toIsEEsEE10hipError_tPvRmT2_T3_T4_T5_mT6_T7_P12ihipStream_tbENKUlT_T0_E_clISt17integral_constantIbLb1EESZ_EEDaSU_SV_EUlSU_E_NS1_11comp_targetILNS1_3genE0ELNS1_11target_archE4294967295ELNS1_3gpuE0ELNS1_3repE0EEENS1_30default_config_static_selectorELNS0_4arch9wavefront6targetE0EEEvT1_.has_indirect_call, 0
	.section	.AMDGPU.csdata,"",@progbits
; Kernel info:
; codeLenInByte = 0
; TotalNumSgprs: 0
; NumVgprs: 0
; ScratchSize: 0
; MemoryBound: 0
; FloatMode: 240
; IeeeMode: 1
; LDSByteSize: 0 bytes/workgroup (compile time only)
; SGPRBlocks: 0
; VGPRBlocks: 0
; NumSGPRsForWavesPerEU: 1
; NumVGPRsForWavesPerEU: 1
; Occupancy: 16
; WaveLimiterHint : 0
; COMPUTE_PGM_RSRC2:SCRATCH_EN: 0
; COMPUTE_PGM_RSRC2:USER_SGPR: 6
; COMPUTE_PGM_RSRC2:TRAP_HANDLER: 0
; COMPUTE_PGM_RSRC2:TGID_X_EN: 1
; COMPUTE_PGM_RSRC2:TGID_Y_EN: 0
; COMPUTE_PGM_RSRC2:TGID_Z_EN: 0
; COMPUTE_PGM_RSRC2:TIDIG_COMP_CNT: 0
	.section	.text._ZN7rocprim17ROCPRIM_400000_NS6detail17trampoline_kernelINS0_14default_configENS1_27scan_by_key_config_selectorIssEEZZNS1_16scan_by_key_implILNS1_25lookback_scan_determinismE0ELb1ES3_N6thrust23THRUST_200600_302600_NS6detail15normal_iteratorINS9_10device_ptrIsEEEESE_SE_sNS9_4plusIvEENS9_8equal_toIsEEsEE10hipError_tPvRmT2_T3_T4_T5_mT6_T7_P12ihipStream_tbENKUlT_T0_E_clISt17integral_constantIbLb1EESZ_EEDaSU_SV_EUlSU_E_NS1_11comp_targetILNS1_3genE10ELNS1_11target_archE1201ELNS1_3gpuE5ELNS1_3repE0EEENS1_30default_config_static_selectorELNS0_4arch9wavefront6targetE0EEEvT1_,"axG",@progbits,_ZN7rocprim17ROCPRIM_400000_NS6detail17trampoline_kernelINS0_14default_configENS1_27scan_by_key_config_selectorIssEEZZNS1_16scan_by_key_implILNS1_25lookback_scan_determinismE0ELb1ES3_N6thrust23THRUST_200600_302600_NS6detail15normal_iteratorINS9_10device_ptrIsEEEESE_SE_sNS9_4plusIvEENS9_8equal_toIsEEsEE10hipError_tPvRmT2_T3_T4_T5_mT6_T7_P12ihipStream_tbENKUlT_T0_E_clISt17integral_constantIbLb1EESZ_EEDaSU_SV_EUlSU_E_NS1_11comp_targetILNS1_3genE10ELNS1_11target_archE1201ELNS1_3gpuE5ELNS1_3repE0EEENS1_30default_config_static_selectorELNS0_4arch9wavefront6targetE0EEEvT1_,comdat
	.protected	_ZN7rocprim17ROCPRIM_400000_NS6detail17trampoline_kernelINS0_14default_configENS1_27scan_by_key_config_selectorIssEEZZNS1_16scan_by_key_implILNS1_25lookback_scan_determinismE0ELb1ES3_N6thrust23THRUST_200600_302600_NS6detail15normal_iteratorINS9_10device_ptrIsEEEESE_SE_sNS9_4plusIvEENS9_8equal_toIsEEsEE10hipError_tPvRmT2_T3_T4_T5_mT6_T7_P12ihipStream_tbENKUlT_T0_E_clISt17integral_constantIbLb1EESZ_EEDaSU_SV_EUlSU_E_NS1_11comp_targetILNS1_3genE10ELNS1_11target_archE1201ELNS1_3gpuE5ELNS1_3repE0EEENS1_30default_config_static_selectorELNS0_4arch9wavefront6targetE0EEEvT1_ ; -- Begin function _ZN7rocprim17ROCPRIM_400000_NS6detail17trampoline_kernelINS0_14default_configENS1_27scan_by_key_config_selectorIssEEZZNS1_16scan_by_key_implILNS1_25lookback_scan_determinismE0ELb1ES3_N6thrust23THRUST_200600_302600_NS6detail15normal_iteratorINS9_10device_ptrIsEEEESE_SE_sNS9_4plusIvEENS9_8equal_toIsEEsEE10hipError_tPvRmT2_T3_T4_T5_mT6_T7_P12ihipStream_tbENKUlT_T0_E_clISt17integral_constantIbLb1EESZ_EEDaSU_SV_EUlSU_E_NS1_11comp_targetILNS1_3genE10ELNS1_11target_archE1201ELNS1_3gpuE5ELNS1_3repE0EEENS1_30default_config_static_selectorELNS0_4arch9wavefront6targetE0EEEvT1_
	.globl	_ZN7rocprim17ROCPRIM_400000_NS6detail17trampoline_kernelINS0_14default_configENS1_27scan_by_key_config_selectorIssEEZZNS1_16scan_by_key_implILNS1_25lookback_scan_determinismE0ELb1ES3_N6thrust23THRUST_200600_302600_NS6detail15normal_iteratorINS9_10device_ptrIsEEEESE_SE_sNS9_4plusIvEENS9_8equal_toIsEEsEE10hipError_tPvRmT2_T3_T4_T5_mT6_T7_P12ihipStream_tbENKUlT_T0_E_clISt17integral_constantIbLb1EESZ_EEDaSU_SV_EUlSU_E_NS1_11comp_targetILNS1_3genE10ELNS1_11target_archE1201ELNS1_3gpuE5ELNS1_3repE0EEENS1_30default_config_static_selectorELNS0_4arch9wavefront6targetE0EEEvT1_
	.p2align	8
	.type	_ZN7rocprim17ROCPRIM_400000_NS6detail17trampoline_kernelINS0_14default_configENS1_27scan_by_key_config_selectorIssEEZZNS1_16scan_by_key_implILNS1_25lookback_scan_determinismE0ELb1ES3_N6thrust23THRUST_200600_302600_NS6detail15normal_iteratorINS9_10device_ptrIsEEEESE_SE_sNS9_4plusIvEENS9_8equal_toIsEEsEE10hipError_tPvRmT2_T3_T4_T5_mT6_T7_P12ihipStream_tbENKUlT_T0_E_clISt17integral_constantIbLb1EESZ_EEDaSU_SV_EUlSU_E_NS1_11comp_targetILNS1_3genE10ELNS1_11target_archE1201ELNS1_3gpuE5ELNS1_3repE0EEENS1_30default_config_static_selectorELNS0_4arch9wavefront6targetE0EEEvT1_,@function
_ZN7rocprim17ROCPRIM_400000_NS6detail17trampoline_kernelINS0_14default_configENS1_27scan_by_key_config_selectorIssEEZZNS1_16scan_by_key_implILNS1_25lookback_scan_determinismE0ELb1ES3_N6thrust23THRUST_200600_302600_NS6detail15normal_iteratorINS9_10device_ptrIsEEEESE_SE_sNS9_4plusIvEENS9_8equal_toIsEEsEE10hipError_tPvRmT2_T3_T4_T5_mT6_T7_P12ihipStream_tbENKUlT_T0_E_clISt17integral_constantIbLb1EESZ_EEDaSU_SV_EUlSU_E_NS1_11comp_targetILNS1_3genE10ELNS1_11target_archE1201ELNS1_3gpuE5ELNS1_3repE0EEENS1_30default_config_static_selectorELNS0_4arch9wavefront6targetE0EEEvT1_: ; @_ZN7rocprim17ROCPRIM_400000_NS6detail17trampoline_kernelINS0_14default_configENS1_27scan_by_key_config_selectorIssEEZZNS1_16scan_by_key_implILNS1_25lookback_scan_determinismE0ELb1ES3_N6thrust23THRUST_200600_302600_NS6detail15normal_iteratorINS9_10device_ptrIsEEEESE_SE_sNS9_4plusIvEENS9_8equal_toIsEEsEE10hipError_tPvRmT2_T3_T4_T5_mT6_T7_P12ihipStream_tbENKUlT_T0_E_clISt17integral_constantIbLb1EESZ_EEDaSU_SV_EUlSU_E_NS1_11comp_targetILNS1_3genE10ELNS1_11target_archE1201ELNS1_3gpuE5ELNS1_3repE0EEENS1_30default_config_static_selectorELNS0_4arch9wavefront6targetE0EEEvT1_
; %bb.0:
	.section	.rodata,"a",@progbits
	.p2align	6, 0x0
	.amdhsa_kernel _ZN7rocprim17ROCPRIM_400000_NS6detail17trampoline_kernelINS0_14default_configENS1_27scan_by_key_config_selectorIssEEZZNS1_16scan_by_key_implILNS1_25lookback_scan_determinismE0ELb1ES3_N6thrust23THRUST_200600_302600_NS6detail15normal_iteratorINS9_10device_ptrIsEEEESE_SE_sNS9_4plusIvEENS9_8equal_toIsEEsEE10hipError_tPvRmT2_T3_T4_T5_mT6_T7_P12ihipStream_tbENKUlT_T0_E_clISt17integral_constantIbLb1EESZ_EEDaSU_SV_EUlSU_E_NS1_11comp_targetILNS1_3genE10ELNS1_11target_archE1201ELNS1_3gpuE5ELNS1_3repE0EEENS1_30default_config_static_selectorELNS0_4arch9wavefront6targetE0EEEvT1_
		.amdhsa_group_segment_fixed_size 0
		.amdhsa_private_segment_fixed_size 0
		.amdhsa_kernarg_size 112
		.amdhsa_user_sgpr_count 6
		.amdhsa_user_sgpr_private_segment_buffer 1
		.amdhsa_user_sgpr_dispatch_ptr 0
		.amdhsa_user_sgpr_queue_ptr 0
		.amdhsa_user_sgpr_kernarg_segment_ptr 1
		.amdhsa_user_sgpr_dispatch_id 0
		.amdhsa_user_sgpr_flat_scratch_init 0
		.amdhsa_user_sgpr_private_segment_size 0
		.amdhsa_wavefront_size32 1
		.amdhsa_uses_dynamic_stack 0
		.amdhsa_system_sgpr_private_segment_wavefront_offset 0
		.amdhsa_system_sgpr_workgroup_id_x 1
		.amdhsa_system_sgpr_workgroup_id_y 0
		.amdhsa_system_sgpr_workgroup_id_z 0
		.amdhsa_system_sgpr_workgroup_info 0
		.amdhsa_system_vgpr_workitem_id 0
		.amdhsa_next_free_vgpr 1
		.amdhsa_next_free_sgpr 1
		.amdhsa_reserve_vcc 0
		.amdhsa_reserve_flat_scratch 0
		.amdhsa_float_round_mode_32 0
		.amdhsa_float_round_mode_16_64 0
		.amdhsa_float_denorm_mode_32 3
		.amdhsa_float_denorm_mode_16_64 3
		.amdhsa_dx10_clamp 1
		.amdhsa_ieee_mode 1
		.amdhsa_fp16_overflow 0
		.amdhsa_workgroup_processor_mode 1
		.amdhsa_memory_ordered 1
		.amdhsa_forward_progress 1
		.amdhsa_shared_vgpr_count 0
		.amdhsa_exception_fp_ieee_invalid_op 0
		.amdhsa_exception_fp_denorm_src 0
		.amdhsa_exception_fp_ieee_div_zero 0
		.amdhsa_exception_fp_ieee_overflow 0
		.amdhsa_exception_fp_ieee_underflow 0
		.amdhsa_exception_fp_ieee_inexact 0
		.amdhsa_exception_int_div_zero 0
	.end_amdhsa_kernel
	.section	.text._ZN7rocprim17ROCPRIM_400000_NS6detail17trampoline_kernelINS0_14default_configENS1_27scan_by_key_config_selectorIssEEZZNS1_16scan_by_key_implILNS1_25lookback_scan_determinismE0ELb1ES3_N6thrust23THRUST_200600_302600_NS6detail15normal_iteratorINS9_10device_ptrIsEEEESE_SE_sNS9_4plusIvEENS9_8equal_toIsEEsEE10hipError_tPvRmT2_T3_T4_T5_mT6_T7_P12ihipStream_tbENKUlT_T0_E_clISt17integral_constantIbLb1EESZ_EEDaSU_SV_EUlSU_E_NS1_11comp_targetILNS1_3genE10ELNS1_11target_archE1201ELNS1_3gpuE5ELNS1_3repE0EEENS1_30default_config_static_selectorELNS0_4arch9wavefront6targetE0EEEvT1_,"axG",@progbits,_ZN7rocprim17ROCPRIM_400000_NS6detail17trampoline_kernelINS0_14default_configENS1_27scan_by_key_config_selectorIssEEZZNS1_16scan_by_key_implILNS1_25lookback_scan_determinismE0ELb1ES3_N6thrust23THRUST_200600_302600_NS6detail15normal_iteratorINS9_10device_ptrIsEEEESE_SE_sNS9_4plusIvEENS9_8equal_toIsEEsEE10hipError_tPvRmT2_T3_T4_T5_mT6_T7_P12ihipStream_tbENKUlT_T0_E_clISt17integral_constantIbLb1EESZ_EEDaSU_SV_EUlSU_E_NS1_11comp_targetILNS1_3genE10ELNS1_11target_archE1201ELNS1_3gpuE5ELNS1_3repE0EEENS1_30default_config_static_selectorELNS0_4arch9wavefront6targetE0EEEvT1_,comdat
.Lfunc_end651:
	.size	_ZN7rocprim17ROCPRIM_400000_NS6detail17trampoline_kernelINS0_14default_configENS1_27scan_by_key_config_selectorIssEEZZNS1_16scan_by_key_implILNS1_25lookback_scan_determinismE0ELb1ES3_N6thrust23THRUST_200600_302600_NS6detail15normal_iteratorINS9_10device_ptrIsEEEESE_SE_sNS9_4plusIvEENS9_8equal_toIsEEsEE10hipError_tPvRmT2_T3_T4_T5_mT6_T7_P12ihipStream_tbENKUlT_T0_E_clISt17integral_constantIbLb1EESZ_EEDaSU_SV_EUlSU_E_NS1_11comp_targetILNS1_3genE10ELNS1_11target_archE1201ELNS1_3gpuE5ELNS1_3repE0EEENS1_30default_config_static_selectorELNS0_4arch9wavefront6targetE0EEEvT1_, .Lfunc_end651-_ZN7rocprim17ROCPRIM_400000_NS6detail17trampoline_kernelINS0_14default_configENS1_27scan_by_key_config_selectorIssEEZZNS1_16scan_by_key_implILNS1_25lookback_scan_determinismE0ELb1ES3_N6thrust23THRUST_200600_302600_NS6detail15normal_iteratorINS9_10device_ptrIsEEEESE_SE_sNS9_4plusIvEENS9_8equal_toIsEEsEE10hipError_tPvRmT2_T3_T4_T5_mT6_T7_P12ihipStream_tbENKUlT_T0_E_clISt17integral_constantIbLb1EESZ_EEDaSU_SV_EUlSU_E_NS1_11comp_targetILNS1_3genE10ELNS1_11target_archE1201ELNS1_3gpuE5ELNS1_3repE0EEENS1_30default_config_static_selectorELNS0_4arch9wavefront6targetE0EEEvT1_
                                        ; -- End function
	.set _ZN7rocprim17ROCPRIM_400000_NS6detail17trampoline_kernelINS0_14default_configENS1_27scan_by_key_config_selectorIssEEZZNS1_16scan_by_key_implILNS1_25lookback_scan_determinismE0ELb1ES3_N6thrust23THRUST_200600_302600_NS6detail15normal_iteratorINS9_10device_ptrIsEEEESE_SE_sNS9_4plusIvEENS9_8equal_toIsEEsEE10hipError_tPvRmT2_T3_T4_T5_mT6_T7_P12ihipStream_tbENKUlT_T0_E_clISt17integral_constantIbLb1EESZ_EEDaSU_SV_EUlSU_E_NS1_11comp_targetILNS1_3genE10ELNS1_11target_archE1201ELNS1_3gpuE5ELNS1_3repE0EEENS1_30default_config_static_selectorELNS0_4arch9wavefront6targetE0EEEvT1_.num_vgpr, 0
	.set _ZN7rocprim17ROCPRIM_400000_NS6detail17trampoline_kernelINS0_14default_configENS1_27scan_by_key_config_selectorIssEEZZNS1_16scan_by_key_implILNS1_25lookback_scan_determinismE0ELb1ES3_N6thrust23THRUST_200600_302600_NS6detail15normal_iteratorINS9_10device_ptrIsEEEESE_SE_sNS9_4plusIvEENS9_8equal_toIsEEsEE10hipError_tPvRmT2_T3_T4_T5_mT6_T7_P12ihipStream_tbENKUlT_T0_E_clISt17integral_constantIbLb1EESZ_EEDaSU_SV_EUlSU_E_NS1_11comp_targetILNS1_3genE10ELNS1_11target_archE1201ELNS1_3gpuE5ELNS1_3repE0EEENS1_30default_config_static_selectorELNS0_4arch9wavefront6targetE0EEEvT1_.num_agpr, 0
	.set _ZN7rocprim17ROCPRIM_400000_NS6detail17trampoline_kernelINS0_14default_configENS1_27scan_by_key_config_selectorIssEEZZNS1_16scan_by_key_implILNS1_25lookback_scan_determinismE0ELb1ES3_N6thrust23THRUST_200600_302600_NS6detail15normal_iteratorINS9_10device_ptrIsEEEESE_SE_sNS9_4plusIvEENS9_8equal_toIsEEsEE10hipError_tPvRmT2_T3_T4_T5_mT6_T7_P12ihipStream_tbENKUlT_T0_E_clISt17integral_constantIbLb1EESZ_EEDaSU_SV_EUlSU_E_NS1_11comp_targetILNS1_3genE10ELNS1_11target_archE1201ELNS1_3gpuE5ELNS1_3repE0EEENS1_30default_config_static_selectorELNS0_4arch9wavefront6targetE0EEEvT1_.numbered_sgpr, 0
	.set _ZN7rocprim17ROCPRIM_400000_NS6detail17trampoline_kernelINS0_14default_configENS1_27scan_by_key_config_selectorIssEEZZNS1_16scan_by_key_implILNS1_25lookback_scan_determinismE0ELb1ES3_N6thrust23THRUST_200600_302600_NS6detail15normal_iteratorINS9_10device_ptrIsEEEESE_SE_sNS9_4plusIvEENS9_8equal_toIsEEsEE10hipError_tPvRmT2_T3_T4_T5_mT6_T7_P12ihipStream_tbENKUlT_T0_E_clISt17integral_constantIbLb1EESZ_EEDaSU_SV_EUlSU_E_NS1_11comp_targetILNS1_3genE10ELNS1_11target_archE1201ELNS1_3gpuE5ELNS1_3repE0EEENS1_30default_config_static_selectorELNS0_4arch9wavefront6targetE0EEEvT1_.num_named_barrier, 0
	.set _ZN7rocprim17ROCPRIM_400000_NS6detail17trampoline_kernelINS0_14default_configENS1_27scan_by_key_config_selectorIssEEZZNS1_16scan_by_key_implILNS1_25lookback_scan_determinismE0ELb1ES3_N6thrust23THRUST_200600_302600_NS6detail15normal_iteratorINS9_10device_ptrIsEEEESE_SE_sNS9_4plusIvEENS9_8equal_toIsEEsEE10hipError_tPvRmT2_T3_T4_T5_mT6_T7_P12ihipStream_tbENKUlT_T0_E_clISt17integral_constantIbLb1EESZ_EEDaSU_SV_EUlSU_E_NS1_11comp_targetILNS1_3genE10ELNS1_11target_archE1201ELNS1_3gpuE5ELNS1_3repE0EEENS1_30default_config_static_selectorELNS0_4arch9wavefront6targetE0EEEvT1_.private_seg_size, 0
	.set _ZN7rocprim17ROCPRIM_400000_NS6detail17trampoline_kernelINS0_14default_configENS1_27scan_by_key_config_selectorIssEEZZNS1_16scan_by_key_implILNS1_25lookback_scan_determinismE0ELb1ES3_N6thrust23THRUST_200600_302600_NS6detail15normal_iteratorINS9_10device_ptrIsEEEESE_SE_sNS9_4plusIvEENS9_8equal_toIsEEsEE10hipError_tPvRmT2_T3_T4_T5_mT6_T7_P12ihipStream_tbENKUlT_T0_E_clISt17integral_constantIbLb1EESZ_EEDaSU_SV_EUlSU_E_NS1_11comp_targetILNS1_3genE10ELNS1_11target_archE1201ELNS1_3gpuE5ELNS1_3repE0EEENS1_30default_config_static_selectorELNS0_4arch9wavefront6targetE0EEEvT1_.uses_vcc, 0
	.set _ZN7rocprim17ROCPRIM_400000_NS6detail17trampoline_kernelINS0_14default_configENS1_27scan_by_key_config_selectorIssEEZZNS1_16scan_by_key_implILNS1_25lookback_scan_determinismE0ELb1ES3_N6thrust23THRUST_200600_302600_NS6detail15normal_iteratorINS9_10device_ptrIsEEEESE_SE_sNS9_4plusIvEENS9_8equal_toIsEEsEE10hipError_tPvRmT2_T3_T4_T5_mT6_T7_P12ihipStream_tbENKUlT_T0_E_clISt17integral_constantIbLb1EESZ_EEDaSU_SV_EUlSU_E_NS1_11comp_targetILNS1_3genE10ELNS1_11target_archE1201ELNS1_3gpuE5ELNS1_3repE0EEENS1_30default_config_static_selectorELNS0_4arch9wavefront6targetE0EEEvT1_.uses_flat_scratch, 0
	.set _ZN7rocprim17ROCPRIM_400000_NS6detail17trampoline_kernelINS0_14default_configENS1_27scan_by_key_config_selectorIssEEZZNS1_16scan_by_key_implILNS1_25lookback_scan_determinismE0ELb1ES3_N6thrust23THRUST_200600_302600_NS6detail15normal_iteratorINS9_10device_ptrIsEEEESE_SE_sNS9_4plusIvEENS9_8equal_toIsEEsEE10hipError_tPvRmT2_T3_T4_T5_mT6_T7_P12ihipStream_tbENKUlT_T0_E_clISt17integral_constantIbLb1EESZ_EEDaSU_SV_EUlSU_E_NS1_11comp_targetILNS1_3genE10ELNS1_11target_archE1201ELNS1_3gpuE5ELNS1_3repE0EEENS1_30default_config_static_selectorELNS0_4arch9wavefront6targetE0EEEvT1_.has_dyn_sized_stack, 0
	.set _ZN7rocprim17ROCPRIM_400000_NS6detail17trampoline_kernelINS0_14default_configENS1_27scan_by_key_config_selectorIssEEZZNS1_16scan_by_key_implILNS1_25lookback_scan_determinismE0ELb1ES3_N6thrust23THRUST_200600_302600_NS6detail15normal_iteratorINS9_10device_ptrIsEEEESE_SE_sNS9_4plusIvEENS9_8equal_toIsEEsEE10hipError_tPvRmT2_T3_T4_T5_mT6_T7_P12ihipStream_tbENKUlT_T0_E_clISt17integral_constantIbLb1EESZ_EEDaSU_SV_EUlSU_E_NS1_11comp_targetILNS1_3genE10ELNS1_11target_archE1201ELNS1_3gpuE5ELNS1_3repE0EEENS1_30default_config_static_selectorELNS0_4arch9wavefront6targetE0EEEvT1_.has_recursion, 0
	.set _ZN7rocprim17ROCPRIM_400000_NS6detail17trampoline_kernelINS0_14default_configENS1_27scan_by_key_config_selectorIssEEZZNS1_16scan_by_key_implILNS1_25lookback_scan_determinismE0ELb1ES3_N6thrust23THRUST_200600_302600_NS6detail15normal_iteratorINS9_10device_ptrIsEEEESE_SE_sNS9_4plusIvEENS9_8equal_toIsEEsEE10hipError_tPvRmT2_T3_T4_T5_mT6_T7_P12ihipStream_tbENKUlT_T0_E_clISt17integral_constantIbLb1EESZ_EEDaSU_SV_EUlSU_E_NS1_11comp_targetILNS1_3genE10ELNS1_11target_archE1201ELNS1_3gpuE5ELNS1_3repE0EEENS1_30default_config_static_selectorELNS0_4arch9wavefront6targetE0EEEvT1_.has_indirect_call, 0
	.section	.AMDGPU.csdata,"",@progbits
; Kernel info:
; codeLenInByte = 0
; TotalNumSgprs: 0
; NumVgprs: 0
; ScratchSize: 0
; MemoryBound: 0
; FloatMode: 240
; IeeeMode: 1
; LDSByteSize: 0 bytes/workgroup (compile time only)
; SGPRBlocks: 0
; VGPRBlocks: 0
; NumSGPRsForWavesPerEU: 1
; NumVGPRsForWavesPerEU: 1
; Occupancy: 16
; WaveLimiterHint : 0
; COMPUTE_PGM_RSRC2:SCRATCH_EN: 0
; COMPUTE_PGM_RSRC2:USER_SGPR: 6
; COMPUTE_PGM_RSRC2:TRAP_HANDLER: 0
; COMPUTE_PGM_RSRC2:TGID_X_EN: 1
; COMPUTE_PGM_RSRC2:TGID_Y_EN: 0
; COMPUTE_PGM_RSRC2:TGID_Z_EN: 0
; COMPUTE_PGM_RSRC2:TIDIG_COMP_CNT: 0
	.section	.text._ZN7rocprim17ROCPRIM_400000_NS6detail17trampoline_kernelINS0_14default_configENS1_27scan_by_key_config_selectorIssEEZZNS1_16scan_by_key_implILNS1_25lookback_scan_determinismE0ELb1ES3_N6thrust23THRUST_200600_302600_NS6detail15normal_iteratorINS9_10device_ptrIsEEEESE_SE_sNS9_4plusIvEENS9_8equal_toIsEEsEE10hipError_tPvRmT2_T3_T4_T5_mT6_T7_P12ihipStream_tbENKUlT_T0_E_clISt17integral_constantIbLb1EESZ_EEDaSU_SV_EUlSU_E_NS1_11comp_targetILNS1_3genE5ELNS1_11target_archE942ELNS1_3gpuE9ELNS1_3repE0EEENS1_30default_config_static_selectorELNS0_4arch9wavefront6targetE0EEEvT1_,"axG",@progbits,_ZN7rocprim17ROCPRIM_400000_NS6detail17trampoline_kernelINS0_14default_configENS1_27scan_by_key_config_selectorIssEEZZNS1_16scan_by_key_implILNS1_25lookback_scan_determinismE0ELb1ES3_N6thrust23THRUST_200600_302600_NS6detail15normal_iteratorINS9_10device_ptrIsEEEESE_SE_sNS9_4plusIvEENS9_8equal_toIsEEsEE10hipError_tPvRmT2_T3_T4_T5_mT6_T7_P12ihipStream_tbENKUlT_T0_E_clISt17integral_constantIbLb1EESZ_EEDaSU_SV_EUlSU_E_NS1_11comp_targetILNS1_3genE5ELNS1_11target_archE942ELNS1_3gpuE9ELNS1_3repE0EEENS1_30default_config_static_selectorELNS0_4arch9wavefront6targetE0EEEvT1_,comdat
	.protected	_ZN7rocprim17ROCPRIM_400000_NS6detail17trampoline_kernelINS0_14default_configENS1_27scan_by_key_config_selectorIssEEZZNS1_16scan_by_key_implILNS1_25lookback_scan_determinismE0ELb1ES3_N6thrust23THRUST_200600_302600_NS6detail15normal_iteratorINS9_10device_ptrIsEEEESE_SE_sNS9_4plusIvEENS9_8equal_toIsEEsEE10hipError_tPvRmT2_T3_T4_T5_mT6_T7_P12ihipStream_tbENKUlT_T0_E_clISt17integral_constantIbLb1EESZ_EEDaSU_SV_EUlSU_E_NS1_11comp_targetILNS1_3genE5ELNS1_11target_archE942ELNS1_3gpuE9ELNS1_3repE0EEENS1_30default_config_static_selectorELNS0_4arch9wavefront6targetE0EEEvT1_ ; -- Begin function _ZN7rocprim17ROCPRIM_400000_NS6detail17trampoline_kernelINS0_14default_configENS1_27scan_by_key_config_selectorIssEEZZNS1_16scan_by_key_implILNS1_25lookback_scan_determinismE0ELb1ES3_N6thrust23THRUST_200600_302600_NS6detail15normal_iteratorINS9_10device_ptrIsEEEESE_SE_sNS9_4plusIvEENS9_8equal_toIsEEsEE10hipError_tPvRmT2_T3_T4_T5_mT6_T7_P12ihipStream_tbENKUlT_T0_E_clISt17integral_constantIbLb1EESZ_EEDaSU_SV_EUlSU_E_NS1_11comp_targetILNS1_3genE5ELNS1_11target_archE942ELNS1_3gpuE9ELNS1_3repE0EEENS1_30default_config_static_selectorELNS0_4arch9wavefront6targetE0EEEvT1_
	.globl	_ZN7rocprim17ROCPRIM_400000_NS6detail17trampoline_kernelINS0_14default_configENS1_27scan_by_key_config_selectorIssEEZZNS1_16scan_by_key_implILNS1_25lookback_scan_determinismE0ELb1ES3_N6thrust23THRUST_200600_302600_NS6detail15normal_iteratorINS9_10device_ptrIsEEEESE_SE_sNS9_4plusIvEENS9_8equal_toIsEEsEE10hipError_tPvRmT2_T3_T4_T5_mT6_T7_P12ihipStream_tbENKUlT_T0_E_clISt17integral_constantIbLb1EESZ_EEDaSU_SV_EUlSU_E_NS1_11comp_targetILNS1_3genE5ELNS1_11target_archE942ELNS1_3gpuE9ELNS1_3repE0EEENS1_30default_config_static_selectorELNS0_4arch9wavefront6targetE0EEEvT1_
	.p2align	8
	.type	_ZN7rocprim17ROCPRIM_400000_NS6detail17trampoline_kernelINS0_14default_configENS1_27scan_by_key_config_selectorIssEEZZNS1_16scan_by_key_implILNS1_25lookback_scan_determinismE0ELb1ES3_N6thrust23THRUST_200600_302600_NS6detail15normal_iteratorINS9_10device_ptrIsEEEESE_SE_sNS9_4plusIvEENS9_8equal_toIsEEsEE10hipError_tPvRmT2_T3_T4_T5_mT6_T7_P12ihipStream_tbENKUlT_T0_E_clISt17integral_constantIbLb1EESZ_EEDaSU_SV_EUlSU_E_NS1_11comp_targetILNS1_3genE5ELNS1_11target_archE942ELNS1_3gpuE9ELNS1_3repE0EEENS1_30default_config_static_selectorELNS0_4arch9wavefront6targetE0EEEvT1_,@function
_ZN7rocprim17ROCPRIM_400000_NS6detail17trampoline_kernelINS0_14default_configENS1_27scan_by_key_config_selectorIssEEZZNS1_16scan_by_key_implILNS1_25lookback_scan_determinismE0ELb1ES3_N6thrust23THRUST_200600_302600_NS6detail15normal_iteratorINS9_10device_ptrIsEEEESE_SE_sNS9_4plusIvEENS9_8equal_toIsEEsEE10hipError_tPvRmT2_T3_T4_T5_mT6_T7_P12ihipStream_tbENKUlT_T0_E_clISt17integral_constantIbLb1EESZ_EEDaSU_SV_EUlSU_E_NS1_11comp_targetILNS1_3genE5ELNS1_11target_archE942ELNS1_3gpuE9ELNS1_3repE0EEENS1_30default_config_static_selectorELNS0_4arch9wavefront6targetE0EEEvT1_: ; @_ZN7rocprim17ROCPRIM_400000_NS6detail17trampoline_kernelINS0_14default_configENS1_27scan_by_key_config_selectorIssEEZZNS1_16scan_by_key_implILNS1_25lookback_scan_determinismE0ELb1ES3_N6thrust23THRUST_200600_302600_NS6detail15normal_iteratorINS9_10device_ptrIsEEEESE_SE_sNS9_4plusIvEENS9_8equal_toIsEEsEE10hipError_tPvRmT2_T3_T4_T5_mT6_T7_P12ihipStream_tbENKUlT_T0_E_clISt17integral_constantIbLb1EESZ_EEDaSU_SV_EUlSU_E_NS1_11comp_targetILNS1_3genE5ELNS1_11target_archE942ELNS1_3gpuE9ELNS1_3repE0EEENS1_30default_config_static_selectorELNS0_4arch9wavefront6targetE0EEEvT1_
; %bb.0:
	.section	.rodata,"a",@progbits
	.p2align	6, 0x0
	.amdhsa_kernel _ZN7rocprim17ROCPRIM_400000_NS6detail17trampoline_kernelINS0_14default_configENS1_27scan_by_key_config_selectorIssEEZZNS1_16scan_by_key_implILNS1_25lookback_scan_determinismE0ELb1ES3_N6thrust23THRUST_200600_302600_NS6detail15normal_iteratorINS9_10device_ptrIsEEEESE_SE_sNS9_4plusIvEENS9_8equal_toIsEEsEE10hipError_tPvRmT2_T3_T4_T5_mT6_T7_P12ihipStream_tbENKUlT_T0_E_clISt17integral_constantIbLb1EESZ_EEDaSU_SV_EUlSU_E_NS1_11comp_targetILNS1_3genE5ELNS1_11target_archE942ELNS1_3gpuE9ELNS1_3repE0EEENS1_30default_config_static_selectorELNS0_4arch9wavefront6targetE0EEEvT1_
		.amdhsa_group_segment_fixed_size 0
		.amdhsa_private_segment_fixed_size 0
		.amdhsa_kernarg_size 112
		.amdhsa_user_sgpr_count 6
		.amdhsa_user_sgpr_private_segment_buffer 1
		.amdhsa_user_sgpr_dispatch_ptr 0
		.amdhsa_user_sgpr_queue_ptr 0
		.amdhsa_user_sgpr_kernarg_segment_ptr 1
		.amdhsa_user_sgpr_dispatch_id 0
		.amdhsa_user_sgpr_flat_scratch_init 0
		.amdhsa_user_sgpr_private_segment_size 0
		.amdhsa_wavefront_size32 1
		.amdhsa_uses_dynamic_stack 0
		.amdhsa_system_sgpr_private_segment_wavefront_offset 0
		.amdhsa_system_sgpr_workgroup_id_x 1
		.amdhsa_system_sgpr_workgroup_id_y 0
		.amdhsa_system_sgpr_workgroup_id_z 0
		.amdhsa_system_sgpr_workgroup_info 0
		.amdhsa_system_vgpr_workitem_id 0
		.amdhsa_next_free_vgpr 1
		.amdhsa_next_free_sgpr 1
		.amdhsa_reserve_vcc 0
		.amdhsa_reserve_flat_scratch 0
		.amdhsa_float_round_mode_32 0
		.amdhsa_float_round_mode_16_64 0
		.amdhsa_float_denorm_mode_32 3
		.amdhsa_float_denorm_mode_16_64 3
		.amdhsa_dx10_clamp 1
		.amdhsa_ieee_mode 1
		.amdhsa_fp16_overflow 0
		.amdhsa_workgroup_processor_mode 1
		.amdhsa_memory_ordered 1
		.amdhsa_forward_progress 1
		.amdhsa_shared_vgpr_count 0
		.amdhsa_exception_fp_ieee_invalid_op 0
		.amdhsa_exception_fp_denorm_src 0
		.amdhsa_exception_fp_ieee_div_zero 0
		.amdhsa_exception_fp_ieee_overflow 0
		.amdhsa_exception_fp_ieee_underflow 0
		.amdhsa_exception_fp_ieee_inexact 0
		.amdhsa_exception_int_div_zero 0
	.end_amdhsa_kernel
	.section	.text._ZN7rocprim17ROCPRIM_400000_NS6detail17trampoline_kernelINS0_14default_configENS1_27scan_by_key_config_selectorIssEEZZNS1_16scan_by_key_implILNS1_25lookback_scan_determinismE0ELb1ES3_N6thrust23THRUST_200600_302600_NS6detail15normal_iteratorINS9_10device_ptrIsEEEESE_SE_sNS9_4plusIvEENS9_8equal_toIsEEsEE10hipError_tPvRmT2_T3_T4_T5_mT6_T7_P12ihipStream_tbENKUlT_T0_E_clISt17integral_constantIbLb1EESZ_EEDaSU_SV_EUlSU_E_NS1_11comp_targetILNS1_3genE5ELNS1_11target_archE942ELNS1_3gpuE9ELNS1_3repE0EEENS1_30default_config_static_selectorELNS0_4arch9wavefront6targetE0EEEvT1_,"axG",@progbits,_ZN7rocprim17ROCPRIM_400000_NS6detail17trampoline_kernelINS0_14default_configENS1_27scan_by_key_config_selectorIssEEZZNS1_16scan_by_key_implILNS1_25lookback_scan_determinismE0ELb1ES3_N6thrust23THRUST_200600_302600_NS6detail15normal_iteratorINS9_10device_ptrIsEEEESE_SE_sNS9_4plusIvEENS9_8equal_toIsEEsEE10hipError_tPvRmT2_T3_T4_T5_mT6_T7_P12ihipStream_tbENKUlT_T0_E_clISt17integral_constantIbLb1EESZ_EEDaSU_SV_EUlSU_E_NS1_11comp_targetILNS1_3genE5ELNS1_11target_archE942ELNS1_3gpuE9ELNS1_3repE0EEENS1_30default_config_static_selectorELNS0_4arch9wavefront6targetE0EEEvT1_,comdat
.Lfunc_end652:
	.size	_ZN7rocprim17ROCPRIM_400000_NS6detail17trampoline_kernelINS0_14default_configENS1_27scan_by_key_config_selectorIssEEZZNS1_16scan_by_key_implILNS1_25lookback_scan_determinismE0ELb1ES3_N6thrust23THRUST_200600_302600_NS6detail15normal_iteratorINS9_10device_ptrIsEEEESE_SE_sNS9_4plusIvEENS9_8equal_toIsEEsEE10hipError_tPvRmT2_T3_T4_T5_mT6_T7_P12ihipStream_tbENKUlT_T0_E_clISt17integral_constantIbLb1EESZ_EEDaSU_SV_EUlSU_E_NS1_11comp_targetILNS1_3genE5ELNS1_11target_archE942ELNS1_3gpuE9ELNS1_3repE0EEENS1_30default_config_static_selectorELNS0_4arch9wavefront6targetE0EEEvT1_, .Lfunc_end652-_ZN7rocprim17ROCPRIM_400000_NS6detail17trampoline_kernelINS0_14default_configENS1_27scan_by_key_config_selectorIssEEZZNS1_16scan_by_key_implILNS1_25lookback_scan_determinismE0ELb1ES3_N6thrust23THRUST_200600_302600_NS6detail15normal_iteratorINS9_10device_ptrIsEEEESE_SE_sNS9_4plusIvEENS9_8equal_toIsEEsEE10hipError_tPvRmT2_T3_T4_T5_mT6_T7_P12ihipStream_tbENKUlT_T0_E_clISt17integral_constantIbLb1EESZ_EEDaSU_SV_EUlSU_E_NS1_11comp_targetILNS1_3genE5ELNS1_11target_archE942ELNS1_3gpuE9ELNS1_3repE0EEENS1_30default_config_static_selectorELNS0_4arch9wavefront6targetE0EEEvT1_
                                        ; -- End function
	.set _ZN7rocprim17ROCPRIM_400000_NS6detail17trampoline_kernelINS0_14default_configENS1_27scan_by_key_config_selectorIssEEZZNS1_16scan_by_key_implILNS1_25lookback_scan_determinismE0ELb1ES3_N6thrust23THRUST_200600_302600_NS6detail15normal_iteratorINS9_10device_ptrIsEEEESE_SE_sNS9_4plusIvEENS9_8equal_toIsEEsEE10hipError_tPvRmT2_T3_T4_T5_mT6_T7_P12ihipStream_tbENKUlT_T0_E_clISt17integral_constantIbLb1EESZ_EEDaSU_SV_EUlSU_E_NS1_11comp_targetILNS1_3genE5ELNS1_11target_archE942ELNS1_3gpuE9ELNS1_3repE0EEENS1_30default_config_static_selectorELNS0_4arch9wavefront6targetE0EEEvT1_.num_vgpr, 0
	.set _ZN7rocprim17ROCPRIM_400000_NS6detail17trampoline_kernelINS0_14default_configENS1_27scan_by_key_config_selectorIssEEZZNS1_16scan_by_key_implILNS1_25lookback_scan_determinismE0ELb1ES3_N6thrust23THRUST_200600_302600_NS6detail15normal_iteratorINS9_10device_ptrIsEEEESE_SE_sNS9_4plusIvEENS9_8equal_toIsEEsEE10hipError_tPvRmT2_T3_T4_T5_mT6_T7_P12ihipStream_tbENKUlT_T0_E_clISt17integral_constantIbLb1EESZ_EEDaSU_SV_EUlSU_E_NS1_11comp_targetILNS1_3genE5ELNS1_11target_archE942ELNS1_3gpuE9ELNS1_3repE0EEENS1_30default_config_static_selectorELNS0_4arch9wavefront6targetE0EEEvT1_.num_agpr, 0
	.set _ZN7rocprim17ROCPRIM_400000_NS6detail17trampoline_kernelINS0_14default_configENS1_27scan_by_key_config_selectorIssEEZZNS1_16scan_by_key_implILNS1_25lookback_scan_determinismE0ELb1ES3_N6thrust23THRUST_200600_302600_NS6detail15normal_iteratorINS9_10device_ptrIsEEEESE_SE_sNS9_4plusIvEENS9_8equal_toIsEEsEE10hipError_tPvRmT2_T3_T4_T5_mT6_T7_P12ihipStream_tbENKUlT_T0_E_clISt17integral_constantIbLb1EESZ_EEDaSU_SV_EUlSU_E_NS1_11comp_targetILNS1_3genE5ELNS1_11target_archE942ELNS1_3gpuE9ELNS1_3repE0EEENS1_30default_config_static_selectorELNS0_4arch9wavefront6targetE0EEEvT1_.numbered_sgpr, 0
	.set _ZN7rocprim17ROCPRIM_400000_NS6detail17trampoline_kernelINS0_14default_configENS1_27scan_by_key_config_selectorIssEEZZNS1_16scan_by_key_implILNS1_25lookback_scan_determinismE0ELb1ES3_N6thrust23THRUST_200600_302600_NS6detail15normal_iteratorINS9_10device_ptrIsEEEESE_SE_sNS9_4plusIvEENS9_8equal_toIsEEsEE10hipError_tPvRmT2_T3_T4_T5_mT6_T7_P12ihipStream_tbENKUlT_T0_E_clISt17integral_constantIbLb1EESZ_EEDaSU_SV_EUlSU_E_NS1_11comp_targetILNS1_3genE5ELNS1_11target_archE942ELNS1_3gpuE9ELNS1_3repE0EEENS1_30default_config_static_selectorELNS0_4arch9wavefront6targetE0EEEvT1_.num_named_barrier, 0
	.set _ZN7rocprim17ROCPRIM_400000_NS6detail17trampoline_kernelINS0_14default_configENS1_27scan_by_key_config_selectorIssEEZZNS1_16scan_by_key_implILNS1_25lookback_scan_determinismE0ELb1ES3_N6thrust23THRUST_200600_302600_NS6detail15normal_iteratorINS9_10device_ptrIsEEEESE_SE_sNS9_4plusIvEENS9_8equal_toIsEEsEE10hipError_tPvRmT2_T3_T4_T5_mT6_T7_P12ihipStream_tbENKUlT_T0_E_clISt17integral_constantIbLb1EESZ_EEDaSU_SV_EUlSU_E_NS1_11comp_targetILNS1_3genE5ELNS1_11target_archE942ELNS1_3gpuE9ELNS1_3repE0EEENS1_30default_config_static_selectorELNS0_4arch9wavefront6targetE0EEEvT1_.private_seg_size, 0
	.set _ZN7rocprim17ROCPRIM_400000_NS6detail17trampoline_kernelINS0_14default_configENS1_27scan_by_key_config_selectorIssEEZZNS1_16scan_by_key_implILNS1_25lookback_scan_determinismE0ELb1ES3_N6thrust23THRUST_200600_302600_NS6detail15normal_iteratorINS9_10device_ptrIsEEEESE_SE_sNS9_4plusIvEENS9_8equal_toIsEEsEE10hipError_tPvRmT2_T3_T4_T5_mT6_T7_P12ihipStream_tbENKUlT_T0_E_clISt17integral_constantIbLb1EESZ_EEDaSU_SV_EUlSU_E_NS1_11comp_targetILNS1_3genE5ELNS1_11target_archE942ELNS1_3gpuE9ELNS1_3repE0EEENS1_30default_config_static_selectorELNS0_4arch9wavefront6targetE0EEEvT1_.uses_vcc, 0
	.set _ZN7rocprim17ROCPRIM_400000_NS6detail17trampoline_kernelINS0_14default_configENS1_27scan_by_key_config_selectorIssEEZZNS1_16scan_by_key_implILNS1_25lookback_scan_determinismE0ELb1ES3_N6thrust23THRUST_200600_302600_NS6detail15normal_iteratorINS9_10device_ptrIsEEEESE_SE_sNS9_4plusIvEENS9_8equal_toIsEEsEE10hipError_tPvRmT2_T3_T4_T5_mT6_T7_P12ihipStream_tbENKUlT_T0_E_clISt17integral_constantIbLb1EESZ_EEDaSU_SV_EUlSU_E_NS1_11comp_targetILNS1_3genE5ELNS1_11target_archE942ELNS1_3gpuE9ELNS1_3repE0EEENS1_30default_config_static_selectorELNS0_4arch9wavefront6targetE0EEEvT1_.uses_flat_scratch, 0
	.set _ZN7rocprim17ROCPRIM_400000_NS6detail17trampoline_kernelINS0_14default_configENS1_27scan_by_key_config_selectorIssEEZZNS1_16scan_by_key_implILNS1_25lookback_scan_determinismE0ELb1ES3_N6thrust23THRUST_200600_302600_NS6detail15normal_iteratorINS9_10device_ptrIsEEEESE_SE_sNS9_4plusIvEENS9_8equal_toIsEEsEE10hipError_tPvRmT2_T3_T4_T5_mT6_T7_P12ihipStream_tbENKUlT_T0_E_clISt17integral_constantIbLb1EESZ_EEDaSU_SV_EUlSU_E_NS1_11comp_targetILNS1_3genE5ELNS1_11target_archE942ELNS1_3gpuE9ELNS1_3repE0EEENS1_30default_config_static_selectorELNS0_4arch9wavefront6targetE0EEEvT1_.has_dyn_sized_stack, 0
	.set _ZN7rocprim17ROCPRIM_400000_NS6detail17trampoline_kernelINS0_14default_configENS1_27scan_by_key_config_selectorIssEEZZNS1_16scan_by_key_implILNS1_25lookback_scan_determinismE0ELb1ES3_N6thrust23THRUST_200600_302600_NS6detail15normal_iteratorINS9_10device_ptrIsEEEESE_SE_sNS9_4plusIvEENS9_8equal_toIsEEsEE10hipError_tPvRmT2_T3_T4_T5_mT6_T7_P12ihipStream_tbENKUlT_T0_E_clISt17integral_constantIbLb1EESZ_EEDaSU_SV_EUlSU_E_NS1_11comp_targetILNS1_3genE5ELNS1_11target_archE942ELNS1_3gpuE9ELNS1_3repE0EEENS1_30default_config_static_selectorELNS0_4arch9wavefront6targetE0EEEvT1_.has_recursion, 0
	.set _ZN7rocprim17ROCPRIM_400000_NS6detail17trampoline_kernelINS0_14default_configENS1_27scan_by_key_config_selectorIssEEZZNS1_16scan_by_key_implILNS1_25lookback_scan_determinismE0ELb1ES3_N6thrust23THRUST_200600_302600_NS6detail15normal_iteratorINS9_10device_ptrIsEEEESE_SE_sNS9_4plusIvEENS9_8equal_toIsEEsEE10hipError_tPvRmT2_T3_T4_T5_mT6_T7_P12ihipStream_tbENKUlT_T0_E_clISt17integral_constantIbLb1EESZ_EEDaSU_SV_EUlSU_E_NS1_11comp_targetILNS1_3genE5ELNS1_11target_archE942ELNS1_3gpuE9ELNS1_3repE0EEENS1_30default_config_static_selectorELNS0_4arch9wavefront6targetE0EEEvT1_.has_indirect_call, 0
	.section	.AMDGPU.csdata,"",@progbits
; Kernel info:
; codeLenInByte = 0
; TotalNumSgprs: 0
; NumVgprs: 0
; ScratchSize: 0
; MemoryBound: 0
; FloatMode: 240
; IeeeMode: 1
; LDSByteSize: 0 bytes/workgroup (compile time only)
; SGPRBlocks: 0
; VGPRBlocks: 0
; NumSGPRsForWavesPerEU: 1
; NumVGPRsForWavesPerEU: 1
; Occupancy: 16
; WaveLimiterHint : 0
; COMPUTE_PGM_RSRC2:SCRATCH_EN: 0
; COMPUTE_PGM_RSRC2:USER_SGPR: 6
; COMPUTE_PGM_RSRC2:TRAP_HANDLER: 0
; COMPUTE_PGM_RSRC2:TGID_X_EN: 1
; COMPUTE_PGM_RSRC2:TGID_Y_EN: 0
; COMPUTE_PGM_RSRC2:TGID_Z_EN: 0
; COMPUTE_PGM_RSRC2:TIDIG_COMP_CNT: 0
	.section	.text._ZN7rocprim17ROCPRIM_400000_NS6detail17trampoline_kernelINS0_14default_configENS1_27scan_by_key_config_selectorIssEEZZNS1_16scan_by_key_implILNS1_25lookback_scan_determinismE0ELb1ES3_N6thrust23THRUST_200600_302600_NS6detail15normal_iteratorINS9_10device_ptrIsEEEESE_SE_sNS9_4plusIvEENS9_8equal_toIsEEsEE10hipError_tPvRmT2_T3_T4_T5_mT6_T7_P12ihipStream_tbENKUlT_T0_E_clISt17integral_constantIbLb1EESZ_EEDaSU_SV_EUlSU_E_NS1_11comp_targetILNS1_3genE4ELNS1_11target_archE910ELNS1_3gpuE8ELNS1_3repE0EEENS1_30default_config_static_selectorELNS0_4arch9wavefront6targetE0EEEvT1_,"axG",@progbits,_ZN7rocprim17ROCPRIM_400000_NS6detail17trampoline_kernelINS0_14default_configENS1_27scan_by_key_config_selectorIssEEZZNS1_16scan_by_key_implILNS1_25lookback_scan_determinismE0ELb1ES3_N6thrust23THRUST_200600_302600_NS6detail15normal_iteratorINS9_10device_ptrIsEEEESE_SE_sNS9_4plusIvEENS9_8equal_toIsEEsEE10hipError_tPvRmT2_T3_T4_T5_mT6_T7_P12ihipStream_tbENKUlT_T0_E_clISt17integral_constantIbLb1EESZ_EEDaSU_SV_EUlSU_E_NS1_11comp_targetILNS1_3genE4ELNS1_11target_archE910ELNS1_3gpuE8ELNS1_3repE0EEENS1_30default_config_static_selectorELNS0_4arch9wavefront6targetE0EEEvT1_,comdat
	.protected	_ZN7rocprim17ROCPRIM_400000_NS6detail17trampoline_kernelINS0_14default_configENS1_27scan_by_key_config_selectorIssEEZZNS1_16scan_by_key_implILNS1_25lookback_scan_determinismE0ELb1ES3_N6thrust23THRUST_200600_302600_NS6detail15normal_iteratorINS9_10device_ptrIsEEEESE_SE_sNS9_4plusIvEENS9_8equal_toIsEEsEE10hipError_tPvRmT2_T3_T4_T5_mT6_T7_P12ihipStream_tbENKUlT_T0_E_clISt17integral_constantIbLb1EESZ_EEDaSU_SV_EUlSU_E_NS1_11comp_targetILNS1_3genE4ELNS1_11target_archE910ELNS1_3gpuE8ELNS1_3repE0EEENS1_30default_config_static_selectorELNS0_4arch9wavefront6targetE0EEEvT1_ ; -- Begin function _ZN7rocprim17ROCPRIM_400000_NS6detail17trampoline_kernelINS0_14default_configENS1_27scan_by_key_config_selectorIssEEZZNS1_16scan_by_key_implILNS1_25lookback_scan_determinismE0ELb1ES3_N6thrust23THRUST_200600_302600_NS6detail15normal_iteratorINS9_10device_ptrIsEEEESE_SE_sNS9_4plusIvEENS9_8equal_toIsEEsEE10hipError_tPvRmT2_T3_T4_T5_mT6_T7_P12ihipStream_tbENKUlT_T0_E_clISt17integral_constantIbLb1EESZ_EEDaSU_SV_EUlSU_E_NS1_11comp_targetILNS1_3genE4ELNS1_11target_archE910ELNS1_3gpuE8ELNS1_3repE0EEENS1_30default_config_static_selectorELNS0_4arch9wavefront6targetE0EEEvT1_
	.globl	_ZN7rocprim17ROCPRIM_400000_NS6detail17trampoline_kernelINS0_14default_configENS1_27scan_by_key_config_selectorIssEEZZNS1_16scan_by_key_implILNS1_25lookback_scan_determinismE0ELb1ES3_N6thrust23THRUST_200600_302600_NS6detail15normal_iteratorINS9_10device_ptrIsEEEESE_SE_sNS9_4plusIvEENS9_8equal_toIsEEsEE10hipError_tPvRmT2_T3_T4_T5_mT6_T7_P12ihipStream_tbENKUlT_T0_E_clISt17integral_constantIbLb1EESZ_EEDaSU_SV_EUlSU_E_NS1_11comp_targetILNS1_3genE4ELNS1_11target_archE910ELNS1_3gpuE8ELNS1_3repE0EEENS1_30default_config_static_selectorELNS0_4arch9wavefront6targetE0EEEvT1_
	.p2align	8
	.type	_ZN7rocprim17ROCPRIM_400000_NS6detail17trampoline_kernelINS0_14default_configENS1_27scan_by_key_config_selectorIssEEZZNS1_16scan_by_key_implILNS1_25lookback_scan_determinismE0ELb1ES3_N6thrust23THRUST_200600_302600_NS6detail15normal_iteratorINS9_10device_ptrIsEEEESE_SE_sNS9_4plusIvEENS9_8equal_toIsEEsEE10hipError_tPvRmT2_T3_T4_T5_mT6_T7_P12ihipStream_tbENKUlT_T0_E_clISt17integral_constantIbLb1EESZ_EEDaSU_SV_EUlSU_E_NS1_11comp_targetILNS1_3genE4ELNS1_11target_archE910ELNS1_3gpuE8ELNS1_3repE0EEENS1_30default_config_static_selectorELNS0_4arch9wavefront6targetE0EEEvT1_,@function
_ZN7rocprim17ROCPRIM_400000_NS6detail17trampoline_kernelINS0_14default_configENS1_27scan_by_key_config_selectorIssEEZZNS1_16scan_by_key_implILNS1_25lookback_scan_determinismE0ELb1ES3_N6thrust23THRUST_200600_302600_NS6detail15normal_iteratorINS9_10device_ptrIsEEEESE_SE_sNS9_4plusIvEENS9_8equal_toIsEEsEE10hipError_tPvRmT2_T3_T4_T5_mT6_T7_P12ihipStream_tbENKUlT_T0_E_clISt17integral_constantIbLb1EESZ_EEDaSU_SV_EUlSU_E_NS1_11comp_targetILNS1_3genE4ELNS1_11target_archE910ELNS1_3gpuE8ELNS1_3repE0EEENS1_30default_config_static_selectorELNS0_4arch9wavefront6targetE0EEEvT1_: ; @_ZN7rocprim17ROCPRIM_400000_NS6detail17trampoline_kernelINS0_14default_configENS1_27scan_by_key_config_selectorIssEEZZNS1_16scan_by_key_implILNS1_25lookback_scan_determinismE0ELb1ES3_N6thrust23THRUST_200600_302600_NS6detail15normal_iteratorINS9_10device_ptrIsEEEESE_SE_sNS9_4plusIvEENS9_8equal_toIsEEsEE10hipError_tPvRmT2_T3_T4_T5_mT6_T7_P12ihipStream_tbENKUlT_T0_E_clISt17integral_constantIbLb1EESZ_EEDaSU_SV_EUlSU_E_NS1_11comp_targetILNS1_3genE4ELNS1_11target_archE910ELNS1_3gpuE8ELNS1_3repE0EEENS1_30default_config_static_selectorELNS0_4arch9wavefront6targetE0EEEvT1_
; %bb.0:
	.section	.rodata,"a",@progbits
	.p2align	6, 0x0
	.amdhsa_kernel _ZN7rocprim17ROCPRIM_400000_NS6detail17trampoline_kernelINS0_14default_configENS1_27scan_by_key_config_selectorIssEEZZNS1_16scan_by_key_implILNS1_25lookback_scan_determinismE0ELb1ES3_N6thrust23THRUST_200600_302600_NS6detail15normal_iteratorINS9_10device_ptrIsEEEESE_SE_sNS9_4plusIvEENS9_8equal_toIsEEsEE10hipError_tPvRmT2_T3_T4_T5_mT6_T7_P12ihipStream_tbENKUlT_T0_E_clISt17integral_constantIbLb1EESZ_EEDaSU_SV_EUlSU_E_NS1_11comp_targetILNS1_3genE4ELNS1_11target_archE910ELNS1_3gpuE8ELNS1_3repE0EEENS1_30default_config_static_selectorELNS0_4arch9wavefront6targetE0EEEvT1_
		.amdhsa_group_segment_fixed_size 0
		.amdhsa_private_segment_fixed_size 0
		.amdhsa_kernarg_size 112
		.amdhsa_user_sgpr_count 6
		.amdhsa_user_sgpr_private_segment_buffer 1
		.amdhsa_user_sgpr_dispatch_ptr 0
		.amdhsa_user_sgpr_queue_ptr 0
		.amdhsa_user_sgpr_kernarg_segment_ptr 1
		.amdhsa_user_sgpr_dispatch_id 0
		.amdhsa_user_sgpr_flat_scratch_init 0
		.amdhsa_user_sgpr_private_segment_size 0
		.amdhsa_wavefront_size32 1
		.amdhsa_uses_dynamic_stack 0
		.amdhsa_system_sgpr_private_segment_wavefront_offset 0
		.amdhsa_system_sgpr_workgroup_id_x 1
		.amdhsa_system_sgpr_workgroup_id_y 0
		.amdhsa_system_sgpr_workgroup_id_z 0
		.amdhsa_system_sgpr_workgroup_info 0
		.amdhsa_system_vgpr_workitem_id 0
		.amdhsa_next_free_vgpr 1
		.amdhsa_next_free_sgpr 1
		.amdhsa_reserve_vcc 0
		.amdhsa_reserve_flat_scratch 0
		.amdhsa_float_round_mode_32 0
		.amdhsa_float_round_mode_16_64 0
		.amdhsa_float_denorm_mode_32 3
		.amdhsa_float_denorm_mode_16_64 3
		.amdhsa_dx10_clamp 1
		.amdhsa_ieee_mode 1
		.amdhsa_fp16_overflow 0
		.amdhsa_workgroup_processor_mode 1
		.amdhsa_memory_ordered 1
		.amdhsa_forward_progress 1
		.amdhsa_shared_vgpr_count 0
		.amdhsa_exception_fp_ieee_invalid_op 0
		.amdhsa_exception_fp_denorm_src 0
		.amdhsa_exception_fp_ieee_div_zero 0
		.amdhsa_exception_fp_ieee_overflow 0
		.amdhsa_exception_fp_ieee_underflow 0
		.amdhsa_exception_fp_ieee_inexact 0
		.amdhsa_exception_int_div_zero 0
	.end_amdhsa_kernel
	.section	.text._ZN7rocprim17ROCPRIM_400000_NS6detail17trampoline_kernelINS0_14default_configENS1_27scan_by_key_config_selectorIssEEZZNS1_16scan_by_key_implILNS1_25lookback_scan_determinismE0ELb1ES3_N6thrust23THRUST_200600_302600_NS6detail15normal_iteratorINS9_10device_ptrIsEEEESE_SE_sNS9_4plusIvEENS9_8equal_toIsEEsEE10hipError_tPvRmT2_T3_T4_T5_mT6_T7_P12ihipStream_tbENKUlT_T0_E_clISt17integral_constantIbLb1EESZ_EEDaSU_SV_EUlSU_E_NS1_11comp_targetILNS1_3genE4ELNS1_11target_archE910ELNS1_3gpuE8ELNS1_3repE0EEENS1_30default_config_static_selectorELNS0_4arch9wavefront6targetE0EEEvT1_,"axG",@progbits,_ZN7rocprim17ROCPRIM_400000_NS6detail17trampoline_kernelINS0_14default_configENS1_27scan_by_key_config_selectorIssEEZZNS1_16scan_by_key_implILNS1_25lookback_scan_determinismE0ELb1ES3_N6thrust23THRUST_200600_302600_NS6detail15normal_iteratorINS9_10device_ptrIsEEEESE_SE_sNS9_4plusIvEENS9_8equal_toIsEEsEE10hipError_tPvRmT2_T3_T4_T5_mT6_T7_P12ihipStream_tbENKUlT_T0_E_clISt17integral_constantIbLb1EESZ_EEDaSU_SV_EUlSU_E_NS1_11comp_targetILNS1_3genE4ELNS1_11target_archE910ELNS1_3gpuE8ELNS1_3repE0EEENS1_30default_config_static_selectorELNS0_4arch9wavefront6targetE0EEEvT1_,comdat
.Lfunc_end653:
	.size	_ZN7rocprim17ROCPRIM_400000_NS6detail17trampoline_kernelINS0_14default_configENS1_27scan_by_key_config_selectorIssEEZZNS1_16scan_by_key_implILNS1_25lookback_scan_determinismE0ELb1ES3_N6thrust23THRUST_200600_302600_NS6detail15normal_iteratorINS9_10device_ptrIsEEEESE_SE_sNS9_4plusIvEENS9_8equal_toIsEEsEE10hipError_tPvRmT2_T3_T4_T5_mT6_T7_P12ihipStream_tbENKUlT_T0_E_clISt17integral_constantIbLb1EESZ_EEDaSU_SV_EUlSU_E_NS1_11comp_targetILNS1_3genE4ELNS1_11target_archE910ELNS1_3gpuE8ELNS1_3repE0EEENS1_30default_config_static_selectorELNS0_4arch9wavefront6targetE0EEEvT1_, .Lfunc_end653-_ZN7rocprim17ROCPRIM_400000_NS6detail17trampoline_kernelINS0_14default_configENS1_27scan_by_key_config_selectorIssEEZZNS1_16scan_by_key_implILNS1_25lookback_scan_determinismE0ELb1ES3_N6thrust23THRUST_200600_302600_NS6detail15normal_iteratorINS9_10device_ptrIsEEEESE_SE_sNS9_4plusIvEENS9_8equal_toIsEEsEE10hipError_tPvRmT2_T3_T4_T5_mT6_T7_P12ihipStream_tbENKUlT_T0_E_clISt17integral_constantIbLb1EESZ_EEDaSU_SV_EUlSU_E_NS1_11comp_targetILNS1_3genE4ELNS1_11target_archE910ELNS1_3gpuE8ELNS1_3repE0EEENS1_30default_config_static_selectorELNS0_4arch9wavefront6targetE0EEEvT1_
                                        ; -- End function
	.set _ZN7rocprim17ROCPRIM_400000_NS6detail17trampoline_kernelINS0_14default_configENS1_27scan_by_key_config_selectorIssEEZZNS1_16scan_by_key_implILNS1_25lookback_scan_determinismE0ELb1ES3_N6thrust23THRUST_200600_302600_NS6detail15normal_iteratorINS9_10device_ptrIsEEEESE_SE_sNS9_4plusIvEENS9_8equal_toIsEEsEE10hipError_tPvRmT2_T3_T4_T5_mT6_T7_P12ihipStream_tbENKUlT_T0_E_clISt17integral_constantIbLb1EESZ_EEDaSU_SV_EUlSU_E_NS1_11comp_targetILNS1_3genE4ELNS1_11target_archE910ELNS1_3gpuE8ELNS1_3repE0EEENS1_30default_config_static_selectorELNS0_4arch9wavefront6targetE0EEEvT1_.num_vgpr, 0
	.set _ZN7rocprim17ROCPRIM_400000_NS6detail17trampoline_kernelINS0_14default_configENS1_27scan_by_key_config_selectorIssEEZZNS1_16scan_by_key_implILNS1_25lookback_scan_determinismE0ELb1ES3_N6thrust23THRUST_200600_302600_NS6detail15normal_iteratorINS9_10device_ptrIsEEEESE_SE_sNS9_4plusIvEENS9_8equal_toIsEEsEE10hipError_tPvRmT2_T3_T4_T5_mT6_T7_P12ihipStream_tbENKUlT_T0_E_clISt17integral_constantIbLb1EESZ_EEDaSU_SV_EUlSU_E_NS1_11comp_targetILNS1_3genE4ELNS1_11target_archE910ELNS1_3gpuE8ELNS1_3repE0EEENS1_30default_config_static_selectorELNS0_4arch9wavefront6targetE0EEEvT1_.num_agpr, 0
	.set _ZN7rocprim17ROCPRIM_400000_NS6detail17trampoline_kernelINS0_14default_configENS1_27scan_by_key_config_selectorIssEEZZNS1_16scan_by_key_implILNS1_25lookback_scan_determinismE0ELb1ES3_N6thrust23THRUST_200600_302600_NS6detail15normal_iteratorINS9_10device_ptrIsEEEESE_SE_sNS9_4plusIvEENS9_8equal_toIsEEsEE10hipError_tPvRmT2_T3_T4_T5_mT6_T7_P12ihipStream_tbENKUlT_T0_E_clISt17integral_constantIbLb1EESZ_EEDaSU_SV_EUlSU_E_NS1_11comp_targetILNS1_3genE4ELNS1_11target_archE910ELNS1_3gpuE8ELNS1_3repE0EEENS1_30default_config_static_selectorELNS0_4arch9wavefront6targetE0EEEvT1_.numbered_sgpr, 0
	.set _ZN7rocprim17ROCPRIM_400000_NS6detail17trampoline_kernelINS0_14default_configENS1_27scan_by_key_config_selectorIssEEZZNS1_16scan_by_key_implILNS1_25lookback_scan_determinismE0ELb1ES3_N6thrust23THRUST_200600_302600_NS6detail15normal_iteratorINS9_10device_ptrIsEEEESE_SE_sNS9_4plusIvEENS9_8equal_toIsEEsEE10hipError_tPvRmT2_T3_T4_T5_mT6_T7_P12ihipStream_tbENKUlT_T0_E_clISt17integral_constantIbLb1EESZ_EEDaSU_SV_EUlSU_E_NS1_11comp_targetILNS1_3genE4ELNS1_11target_archE910ELNS1_3gpuE8ELNS1_3repE0EEENS1_30default_config_static_selectorELNS0_4arch9wavefront6targetE0EEEvT1_.num_named_barrier, 0
	.set _ZN7rocprim17ROCPRIM_400000_NS6detail17trampoline_kernelINS0_14default_configENS1_27scan_by_key_config_selectorIssEEZZNS1_16scan_by_key_implILNS1_25lookback_scan_determinismE0ELb1ES3_N6thrust23THRUST_200600_302600_NS6detail15normal_iteratorINS9_10device_ptrIsEEEESE_SE_sNS9_4plusIvEENS9_8equal_toIsEEsEE10hipError_tPvRmT2_T3_T4_T5_mT6_T7_P12ihipStream_tbENKUlT_T0_E_clISt17integral_constantIbLb1EESZ_EEDaSU_SV_EUlSU_E_NS1_11comp_targetILNS1_3genE4ELNS1_11target_archE910ELNS1_3gpuE8ELNS1_3repE0EEENS1_30default_config_static_selectorELNS0_4arch9wavefront6targetE0EEEvT1_.private_seg_size, 0
	.set _ZN7rocprim17ROCPRIM_400000_NS6detail17trampoline_kernelINS0_14default_configENS1_27scan_by_key_config_selectorIssEEZZNS1_16scan_by_key_implILNS1_25lookback_scan_determinismE0ELb1ES3_N6thrust23THRUST_200600_302600_NS6detail15normal_iteratorINS9_10device_ptrIsEEEESE_SE_sNS9_4plusIvEENS9_8equal_toIsEEsEE10hipError_tPvRmT2_T3_T4_T5_mT6_T7_P12ihipStream_tbENKUlT_T0_E_clISt17integral_constantIbLb1EESZ_EEDaSU_SV_EUlSU_E_NS1_11comp_targetILNS1_3genE4ELNS1_11target_archE910ELNS1_3gpuE8ELNS1_3repE0EEENS1_30default_config_static_selectorELNS0_4arch9wavefront6targetE0EEEvT1_.uses_vcc, 0
	.set _ZN7rocprim17ROCPRIM_400000_NS6detail17trampoline_kernelINS0_14default_configENS1_27scan_by_key_config_selectorIssEEZZNS1_16scan_by_key_implILNS1_25lookback_scan_determinismE0ELb1ES3_N6thrust23THRUST_200600_302600_NS6detail15normal_iteratorINS9_10device_ptrIsEEEESE_SE_sNS9_4plusIvEENS9_8equal_toIsEEsEE10hipError_tPvRmT2_T3_T4_T5_mT6_T7_P12ihipStream_tbENKUlT_T0_E_clISt17integral_constantIbLb1EESZ_EEDaSU_SV_EUlSU_E_NS1_11comp_targetILNS1_3genE4ELNS1_11target_archE910ELNS1_3gpuE8ELNS1_3repE0EEENS1_30default_config_static_selectorELNS0_4arch9wavefront6targetE0EEEvT1_.uses_flat_scratch, 0
	.set _ZN7rocprim17ROCPRIM_400000_NS6detail17trampoline_kernelINS0_14default_configENS1_27scan_by_key_config_selectorIssEEZZNS1_16scan_by_key_implILNS1_25lookback_scan_determinismE0ELb1ES3_N6thrust23THRUST_200600_302600_NS6detail15normal_iteratorINS9_10device_ptrIsEEEESE_SE_sNS9_4plusIvEENS9_8equal_toIsEEsEE10hipError_tPvRmT2_T3_T4_T5_mT6_T7_P12ihipStream_tbENKUlT_T0_E_clISt17integral_constantIbLb1EESZ_EEDaSU_SV_EUlSU_E_NS1_11comp_targetILNS1_3genE4ELNS1_11target_archE910ELNS1_3gpuE8ELNS1_3repE0EEENS1_30default_config_static_selectorELNS0_4arch9wavefront6targetE0EEEvT1_.has_dyn_sized_stack, 0
	.set _ZN7rocprim17ROCPRIM_400000_NS6detail17trampoline_kernelINS0_14default_configENS1_27scan_by_key_config_selectorIssEEZZNS1_16scan_by_key_implILNS1_25lookback_scan_determinismE0ELb1ES3_N6thrust23THRUST_200600_302600_NS6detail15normal_iteratorINS9_10device_ptrIsEEEESE_SE_sNS9_4plusIvEENS9_8equal_toIsEEsEE10hipError_tPvRmT2_T3_T4_T5_mT6_T7_P12ihipStream_tbENKUlT_T0_E_clISt17integral_constantIbLb1EESZ_EEDaSU_SV_EUlSU_E_NS1_11comp_targetILNS1_3genE4ELNS1_11target_archE910ELNS1_3gpuE8ELNS1_3repE0EEENS1_30default_config_static_selectorELNS0_4arch9wavefront6targetE0EEEvT1_.has_recursion, 0
	.set _ZN7rocprim17ROCPRIM_400000_NS6detail17trampoline_kernelINS0_14default_configENS1_27scan_by_key_config_selectorIssEEZZNS1_16scan_by_key_implILNS1_25lookback_scan_determinismE0ELb1ES3_N6thrust23THRUST_200600_302600_NS6detail15normal_iteratorINS9_10device_ptrIsEEEESE_SE_sNS9_4plusIvEENS9_8equal_toIsEEsEE10hipError_tPvRmT2_T3_T4_T5_mT6_T7_P12ihipStream_tbENKUlT_T0_E_clISt17integral_constantIbLb1EESZ_EEDaSU_SV_EUlSU_E_NS1_11comp_targetILNS1_3genE4ELNS1_11target_archE910ELNS1_3gpuE8ELNS1_3repE0EEENS1_30default_config_static_selectorELNS0_4arch9wavefront6targetE0EEEvT1_.has_indirect_call, 0
	.section	.AMDGPU.csdata,"",@progbits
; Kernel info:
; codeLenInByte = 0
; TotalNumSgprs: 0
; NumVgprs: 0
; ScratchSize: 0
; MemoryBound: 0
; FloatMode: 240
; IeeeMode: 1
; LDSByteSize: 0 bytes/workgroup (compile time only)
; SGPRBlocks: 0
; VGPRBlocks: 0
; NumSGPRsForWavesPerEU: 1
; NumVGPRsForWavesPerEU: 1
; Occupancy: 16
; WaveLimiterHint : 0
; COMPUTE_PGM_RSRC2:SCRATCH_EN: 0
; COMPUTE_PGM_RSRC2:USER_SGPR: 6
; COMPUTE_PGM_RSRC2:TRAP_HANDLER: 0
; COMPUTE_PGM_RSRC2:TGID_X_EN: 1
; COMPUTE_PGM_RSRC2:TGID_Y_EN: 0
; COMPUTE_PGM_RSRC2:TGID_Z_EN: 0
; COMPUTE_PGM_RSRC2:TIDIG_COMP_CNT: 0
	.section	.text._ZN7rocprim17ROCPRIM_400000_NS6detail17trampoline_kernelINS0_14default_configENS1_27scan_by_key_config_selectorIssEEZZNS1_16scan_by_key_implILNS1_25lookback_scan_determinismE0ELb1ES3_N6thrust23THRUST_200600_302600_NS6detail15normal_iteratorINS9_10device_ptrIsEEEESE_SE_sNS9_4plusIvEENS9_8equal_toIsEEsEE10hipError_tPvRmT2_T3_T4_T5_mT6_T7_P12ihipStream_tbENKUlT_T0_E_clISt17integral_constantIbLb1EESZ_EEDaSU_SV_EUlSU_E_NS1_11comp_targetILNS1_3genE3ELNS1_11target_archE908ELNS1_3gpuE7ELNS1_3repE0EEENS1_30default_config_static_selectorELNS0_4arch9wavefront6targetE0EEEvT1_,"axG",@progbits,_ZN7rocprim17ROCPRIM_400000_NS6detail17trampoline_kernelINS0_14default_configENS1_27scan_by_key_config_selectorIssEEZZNS1_16scan_by_key_implILNS1_25lookback_scan_determinismE0ELb1ES3_N6thrust23THRUST_200600_302600_NS6detail15normal_iteratorINS9_10device_ptrIsEEEESE_SE_sNS9_4plusIvEENS9_8equal_toIsEEsEE10hipError_tPvRmT2_T3_T4_T5_mT6_T7_P12ihipStream_tbENKUlT_T0_E_clISt17integral_constantIbLb1EESZ_EEDaSU_SV_EUlSU_E_NS1_11comp_targetILNS1_3genE3ELNS1_11target_archE908ELNS1_3gpuE7ELNS1_3repE0EEENS1_30default_config_static_selectorELNS0_4arch9wavefront6targetE0EEEvT1_,comdat
	.protected	_ZN7rocprim17ROCPRIM_400000_NS6detail17trampoline_kernelINS0_14default_configENS1_27scan_by_key_config_selectorIssEEZZNS1_16scan_by_key_implILNS1_25lookback_scan_determinismE0ELb1ES3_N6thrust23THRUST_200600_302600_NS6detail15normal_iteratorINS9_10device_ptrIsEEEESE_SE_sNS9_4plusIvEENS9_8equal_toIsEEsEE10hipError_tPvRmT2_T3_T4_T5_mT6_T7_P12ihipStream_tbENKUlT_T0_E_clISt17integral_constantIbLb1EESZ_EEDaSU_SV_EUlSU_E_NS1_11comp_targetILNS1_3genE3ELNS1_11target_archE908ELNS1_3gpuE7ELNS1_3repE0EEENS1_30default_config_static_selectorELNS0_4arch9wavefront6targetE0EEEvT1_ ; -- Begin function _ZN7rocprim17ROCPRIM_400000_NS6detail17trampoline_kernelINS0_14default_configENS1_27scan_by_key_config_selectorIssEEZZNS1_16scan_by_key_implILNS1_25lookback_scan_determinismE0ELb1ES3_N6thrust23THRUST_200600_302600_NS6detail15normal_iteratorINS9_10device_ptrIsEEEESE_SE_sNS9_4plusIvEENS9_8equal_toIsEEsEE10hipError_tPvRmT2_T3_T4_T5_mT6_T7_P12ihipStream_tbENKUlT_T0_E_clISt17integral_constantIbLb1EESZ_EEDaSU_SV_EUlSU_E_NS1_11comp_targetILNS1_3genE3ELNS1_11target_archE908ELNS1_3gpuE7ELNS1_3repE0EEENS1_30default_config_static_selectorELNS0_4arch9wavefront6targetE0EEEvT1_
	.globl	_ZN7rocprim17ROCPRIM_400000_NS6detail17trampoline_kernelINS0_14default_configENS1_27scan_by_key_config_selectorIssEEZZNS1_16scan_by_key_implILNS1_25lookback_scan_determinismE0ELb1ES3_N6thrust23THRUST_200600_302600_NS6detail15normal_iteratorINS9_10device_ptrIsEEEESE_SE_sNS9_4plusIvEENS9_8equal_toIsEEsEE10hipError_tPvRmT2_T3_T4_T5_mT6_T7_P12ihipStream_tbENKUlT_T0_E_clISt17integral_constantIbLb1EESZ_EEDaSU_SV_EUlSU_E_NS1_11comp_targetILNS1_3genE3ELNS1_11target_archE908ELNS1_3gpuE7ELNS1_3repE0EEENS1_30default_config_static_selectorELNS0_4arch9wavefront6targetE0EEEvT1_
	.p2align	8
	.type	_ZN7rocprim17ROCPRIM_400000_NS6detail17trampoline_kernelINS0_14default_configENS1_27scan_by_key_config_selectorIssEEZZNS1_16scan_by_key_implILNS1_25lookback_scan_determinismE0ELb1ES3_N6thrust23THRUST_200600_302600_NS6detail15normal_iteratorINS9_10device_ptrIsEEEESE_SE_sNS9_4plusIvEENS9_8equal_toIsEEsEE10hipError_tPvRmT2_T3_T4_T5_mT6_T7_P12ihipStream_tbENKUlT_T0_E_clISt17integral_constantIbLb1EESZ_EEDaSU_SV_EUlSU_E_NS1_11comp_targetILNS1_3genE3ELNS1_11target_archE908ELNS1_3gpuE7ELNS1_3repE0EEENS1_30default_config_static_selectorELNS0_4arch9wavefront6targetE0EEEvT1_,@function
_ZN7rocprim17ROCPRIM_400000_NS6detail17trampoline_kernelINS0_14default_configENS1_27scan_by_key_config_selectorIssEEZZNS1_16scan_by_key_implILNS1_25lookback_scan_determinismE0ELb1ES3_N6thrust23THRUST_200600_302600_NS6detail15normal_iteratorINS9_10device_ptrIsEEEESE_SE_sNS9_4plusIvEENS9_8equal_toIsEEsEE10hipError_tPvRmT2_T3_T4_T5_mT6_T7_P12ihipStream_tbENKUlT_T0_E_clISt17integral_constantIbLb1EESZ_EEDaSU_SV_EUlSU_E_NS1_11comp_targetILNS1_3genE3ELNS1_11target_archE908ELNS1_3gpuE7ELNS1_3repE0EEENS1_30default_config_static_selectorELNS0_4arch9wavefront6targetE0EEEvT1_: ; @_ZN7rocprim17ROCPRIM_400000_NS6detail17trampoline_kernelINS0_14default_configENS1_27scan_by_key_config_selectorIssEEZZNS1_16scan_by_key_implILNS1_25lookback_scan_determinismE0ELb1ES3_N6thrust23THRUST_200600_302600_NS6detail15normal_iteratorINS9_10device_ptrIsEEEESE_SE_sNS9_4plusIvEENS9_8equal_toIsEEsEE10hipError_tPvRmT2_T3_T4_T5_mT6_T7_P12ihipStream_tbENKUlT_T0_E_clISt17integral_constantIbLb1EESZ_EEDaSU_SV_EUlSU_E_NS1_11comp_targetILNS1_3genE3ELNS1_11target_archE908ELNS1_3gpuE7ELNS1_3repE0EEENS1_30default_config_static_selectorELNS0_4arch9wavefront6targetE0EEEvT1_
; %bb.0:
	.section	.rodata,"a",@progbits
	.p2align	6, 0x0
	.amdhsa_kernel _ZN7rocprim17ROCPRIM_400000_NS6detail17trampoline_kernelINS0_14default_configENS1_27scan_by_key_config_selectorIssEEZZNS1_16scan_by_key_implILNS1_25lookback_scan_determinismE0ELb1ES3_N6thrust23THRUST_200600_302600_NS6detail15normal_iteratorINS9_10device_ptrIsEEEESE_SE_sNS9_4plusIvEENS9_8equal_toIsEEsEE10hipError_tPvRmT2_T3_T4_T5_mT6_T7_P12ihipStream_tbENKUlT_T0_E_clISt17integral_constantIbLb1EESZ_EEDaSU_SV_EUlSU_E_NS1_11comp_targetILNS1_3genE3ELNS1_11target_archE908ELNS1_3gpuE7ELNS1_3repE0EEENS1_30default_config_static_selectorELNS0_4arch9wavefront6targetE0EEEvT1_
		.amdhsa_group_segment_fixed_size 0
		.amdhsa_private_segment_fixed_size 0
		.amdhsa_kernarg_size 112
		.amdhsa_user_sgpr_count 6
		.amdhsa_user_sgpr_private_segment_buffer 1
		.amdhsa_user_sgpr_dispatch_ptr 0
		.amdhsa_user_sgpr_queue_ptr 0
		.amdhsa_user_sgpr_kernarg_segment_ptr 1
		.amdhsa_user_sgpr_dispatch_id 0
		.amdhsa_user_sgpr_flat_scratch_init 0
		.amdhsa_user_sgpr_private_segment_size 0
		.amdhsa_wavefront_size32 1
		.amdhsa_uses_dynamic_stack 0
		.amdhsa_system_sgpr_private_segment_wavefront_offset 0
		.amdhsa_system_sgpr_workgroup_id_x 1
		.amdhsa_system_sgpr_workgroup_id_y 0
		.amdhsa_system_sgpr_workgroup_id_z 0
		.amdhsa_system_sgpr_workgroup_info 0
		.amdhsa_system_vgpr_workitem_id 0
		.amdhsa_next_free_vgpr 1
		.amdhsa_next_free_sgpr 1
		.amdhsa_reserve_vcc 0
		.amdhsa_reserve_flat_scratch 0
		.amdhsa_float_round_mode_32 0
		.amdhsa_float_round_mode_16_64 0
		.amdhsa_float_denorm_mode_32 3
		.amdhsa_float_denorm_mode_16_64 3
		.amdhsa_dx10_clamp 1
		.amdhsa_ieee_mode 1
		.amdhsa_fp16_overflow 0
		.amdhsa_workgroup_processor_mode 1
		.amdhsa_memory_ordered 1
		.amdhsa_forward_progress 1
		.amdhsa_shared_vgpr_count 0
		.amdhsa_exception_fp_ieee_invalid_op 0
		.amdhsa_exception_fp_denorm_src 0
		.amdhsa_exception_fp_ieee_div_zero 0
		.amdhsa_exception_fp_ieee_overflow 0
		.amdhsa_exception_fp_ieee_underflow 0
		.amdhsa_exception_fp_ieee_inexact 0
		.amdhsa_exception_int_div_zero 0
	.end_amdhsa_kernel
	.section	.text._ZN7rocprim17ROCPRIM_400000_NS6detail17trampoline_kernelINS0_14default_configENS1_27scan_by_key_config_selectorIssEEZZNS1_16scan_by_key_implILNS1_25lookback_scan_determinismE0ELb1ES3_N6thrust23THRUST_200600_302600_NS6detail15normal_iteratorINS9_10device_ptrIsEEEESE_SE_sNS9_4plusIvEENS9_8equal_toIsEEsEE10hipError_tPvRmT2_T3_T4_T5_mT6_T7_P12ihipStream_tbENKUlT_T0_E_clISt17integral_constantIbLb1EESZ_EEDaSU_SV_EUlSU_E_NS1_11comp_targetILNS1_3genE3ELNS1_11target_archE908ELNS1_3gpuE7ELNS1_3repE0EEENS1_30default_config_static_selectorELNS0_4arch9wavefront6targetE0EEEvT1_,"axG",@progbits,_ZN7rocprim17ROCPRIM_400000_NS6detail17trampoline_kernelINS0_14default_configENS1_27scan_by_key_config_selectorIssEEZZNS1_16scan_by_key_implILNS1_25lookback_scan_determinismE0ELb1ES3_N6thrust23THRUST_200600_302600_NS6detail15normal_iteratorINS9_10device_ptrIsEEEESE_SE_sNS9_4plusIvEENS9_8equal_toIsEEsEE10hipError_tPvRmT2_T3_T4_T5_mT6_T7_P12ihipStream_tbENKUlT_T0_E_clISt17integral_constantIbLb1EESZ_EEDaSU_SV_EUlSU_E_NS1_11comp_targetILNS1_3genE3ELNS1_11target_archE908ELNS1_3gpuE7ELNS1_3repE0EEENS1_30default_config_static_selectorELNS0_4arch9wavefront6targetE0EEEvT1_,comdat
.Lfunc_end654:
	.size	_ZN7rocprim17ROCPRIM_400000_NS6detail17trampoline_kernelINS0_14default_configENS1_27scan_by_key_config_selectorIssEEZZNS1_16scan_by_key_implILNS1_25lookback_scan_determinismE0ELb1ES3_N6thrust23THRUST_200600_302600_NS6detail15normal_iteratorINS9_10device_ptrIsEEEESE_SE_sNS9_4plusIvEENS9_8equal_toIsEEsEE10hipError_tPvRmT2_T3_T4_T5_mT6_T7_P12ihipStream_tbENKUlT_T0_E_clISt17integral_constantIbLb1EESZ_EEDaSU_SV_EUlSU_E_NS1_11comp_targetILNS1_3genE3ELNS1_11target_archE908ELNS1_3gpuE7ELNS1_3repE0EEENS1_30default_config_static_selectorELNS0_4arch9wavefront6targetE0EEEvT1_, .Lfunc_end654-_ZN7rocprim17ROCPRIM_400000_NS6detail17trampoline_kernelINS0_14default_configENS1_27scan_by_key_config_selectorIssEEZZNS1_16scan_by_key_implILNS1_25lookback_scan_determinismE0ELb1ES3_N6thrust23THRUST_200600_302600_NS6detail15normal_iteratorINS9_10device_ptrIsEEEESE_SE_sNS9_4plusIvEENS9_8equal_toIsEEsEE10hipError_tPvRmT2_T3_T4_T5_mT6_T7_P12ihipStream_tbENKUlT_T0_E_clISt17integral_constantIbLb1EESZ_EEDaSU_SV_EUlSU_E_NS1_11comp_targetILNS1_3genE3ELNS1_11target_archE908ELNS1_3gpuE7ELNS1_3repE0EEENS1_30default_config_static_selectorELNS0_4arch9wavefront6targetE0EEEvT1_
                                        ; -- End function
	.set _ZN7rocprim17ROCPRIM_400000_NS6detail17trampoline_kernelINS0_14default_configENS1_27scan_by_key_config_selectorIssEEZZNS1_16scan_by_key_implILNS1_25lookback_scan_determinismE0ELb1ES3_N6thrust23THRUST_200600_302600_NS6detail15normal_iteratorINS9_10device_ptrIsEEEESE_SE_sNS9_4plusIvEENS9_8equal_toIsEEsEE10hipError_tPvRmT2_T3_T4_T5_mT6_T7_P12ihipStream_tbENKUlT_T0_E_clISt17integral_constantIbLb1EESZ_EEDaSU_SV_EUlSU_E_NS1_11comp_targetILNS1_3genE3ELNS1_11target_archE908ELNS1_3gpuE7ELNS1_3repE0EEENS1_30default_config_static_selectorELNS0_4arch9wavefront6targetE0EEEvT1_.num_vgpr, 0
	.set _ZN7rocprim17ROCPRIM_400000_NS6detail17trampoline_kernelINS0_14default_configENS1_27scan_by_key_config_selectorIssEEZZNS1_16scan_by_key_implILNS1_25lookback_scan_determinismE0ELb1ES3_N6thrust23THRUST_200600_302600_NS6detail15normal_iteratorINS9_10device_ptrIsEEEESE_SE_sNS9_4plusIvEENS9_8equal_toIsEEsEE10hipError_tPvRmT2_T3_T4_T5_mT6_T7_P12ihipStream_tbENKUlT_T0_E_clISt17integral_constantIbLb1EESZ_EEDaSU_SV_EUlSU_E_NS1_11comp_targetILNS1_3genE3ELNS1_11target_archE908ELNS1_3gpuE7ELNS1_3repE0EEENS1_30default_config_static_selectorELNS0_4arch9wavefront6targetE0EEEvT1_.num_agpr, 0
	.set _ZN7rocprim17ROCPRIM_400000_NS6detail17trampoline_kernelINS0_14default_configENS1_27scan_by_key_config_selectorIssEEZZNS1_16scan_by_key_implILNS1_25lookback_scan_determinismE0ELb1ES3_N6thrust23THRUST_200600_302600_NS6detail15normal_iteratorINS9_10device_ptrIsEEEESE_SE_sNS9_4plusIvEENS9_8equal_toIsEEsEE10hipError_tPvRmT2_T3_T4_T5_mT6_T7_P12ihipStream_tbENKUlT_T0_E_clISt17integral_constantIbLb1EESZ_EEDaSU_SV_EUlSU_E_NS1_11comp_targetILNS1_3genE3ELNS1_11target_archE908ELNS1_3gpuE7ELNS1_3repE0EEENS1_30default_config_static_selectorELNS0_4arch9wavefront6targetE0EEEvT1_.numbered_sgpr, 0
	.set _ZN7rocprim17ROCPRIM_400000_NS6detail17trampoline_kernelINS0_14default_configENS1_27scan_by_key_config_selectorIssEEZZNS1_16scan_by_key_implILNS1_25lookback_scan_determinismE0ELb1ES3_N6thrust23THRUST_200600_302600_NS6detail15normal_iteratorINS9_10device_ptrIsEEEESE_SE_sNS9_4plusIvEENS9_8equal_toIsEEsEE10hipError_tPvRmT2_T3_T4_T5_mT6_T7_P12ihipStream_tbENKUlT_T0_E_clISt17integral_constantIbLb1EESZ_EEDaSU_SV_EUlSU_E_NS1_11comp_targetILNS1_3genE3ELNS1_11target_archE908ELNS1_3gpuE7ELNS1_3repE0EEENS1_30default_config_static_selectorELNS0_4arch9wavefront6targetE0EEEvT1_.num_named_barrier, 0
	.set _ZN7rocprim17ROCPRIM_400000_NS6detail17trampoline_kernelINS0_14default_configENS1_27scan_by_key_config_selectorIssEEZZNS1_16scan_by_key_implILNS1_25lookback_scan_determinismE0ELb1ES3_N6thrust23THRUST_200600_302600_NS6detail15normal_iteratorINS9_10device_ptrIsEEEESE_SE_sNS9_4plusIvEENS9_8equal_toIsEEsEE10hipError_tPvRmT2_T3_T4_T5_mT6_T7_P12ihipStream_tbENKUlT_T0_E_clISt17integral_constantIbLb1EESZ_EEDaSU_SV_EUlSU_E_NS1_11comp_targetILNS1_3genE3ELNS1_11target_archE908ELNS1_3gpuE7ELNS1_3repE0EEENS1_30default_config_static_selectorELNS0_4arch9wavefront6targetE0EEEvT1_.private_seg_size, 0
	.set _ZN7rocprim17ROCPRIM_400000_NS6detail17trampoline_kernelINS0_14default_configENS1_27scan_by_key_config_selectorIssEEZZNS1_16scan_by_key_implILNS1_25lookback_scan_determinismE0ELb1ES3_N6thrust23THRUST_200600_302600_NS6detail15normal_iteratorINS9_10device_ptrIsEEEESE_SE_sNS9_4plusIvEENS9_8equal_toIsEEsEE10hipError_tPvRmT2_T3_T4_T5_mT6_T7_P12ihipStream_tbENKUlT_T0_E_clISt17integral_constantIbLb1EESZ_EEDaSU_SV_EUlSU_E_NS1_11comp_targetILNS1_3genE3ELNS1_11target_archE908ELNS1_3gpuE7ELNS1_3repE0EEENS1_30default_config_static_selectorELNS0_4arch9wavefront6targetE0EEEvT1_.uses_vcc, 0
	.set _ZN7rocprim17ROCPRIM_400000_NS6detail17trampoline_kernelINS0_14default_configENS1_27scan_by_key_config_selectorIssEEZZNS1_16scan_by_key_implILNS1_25lookback_scan_determinismE0ELb1ES3_N6thrust23THRUST_200600_302600_NS6detail15normal_iteratorINS9_10device_ptrIsEEEESE_SE_sNS9_4plusIvEENS9_8equal_toIsEEsEE10hipError_tPvRmT2_T3_T4_T5_mT6_T7_P12ihipStream_tbENKUlT_T0_E_clISt17integral_constantIbLb1EESZ_EEDaSU_SV_EUlSU_E_NS1_11comp_targetILNS1_3genE3ELNS1_11target_archE908ELNS1_3gpuE7ELNS1_3repE0EEENS1_30default_config_static_selectorELNS0_4arch9wavefront6targetE0EEEvT1_.uses_flat_scratch, 0
	.set _ZN7rocprim17ROCPRIM_400000_NS6detail17trampoline_kernelINS0_14default_configENS1_27scan_by_key_config_selectorIssEEZZNS1_16scan_by_key_implILNS1_25lookback_scan_determinismE0ELb1ES3_N6thrust23THRUST_200600_302600_NS6detail15normal_iteratorINS9_10device_ptrIsEEEESE_SE_sNS9_4plusIvEENS9_8equal_toIsEEsEE10hipError_tPvRmT2_T3_T4_T5_mT6_T7_P12ihipStream_tbENKUlT_T0_E_clISt17integral_constantIbLb1EESZ_EEDaSU_SV_EUlSU_E_NS1_11comp_targetILNS1_3genE3ELNS1_11target_archE908ELNS1_3gpuE7ELNS1_3repE0EEENS1_30default_config_static_selectorELNS0_4arch9wavefront6targetE0EEEvT1_.has_dyn_sized_stack, 0
	.set _ZN7rocprim17ROCPRIM_400000_NS6detail17trampoline_kernelINS0_14default_configENS1_27scan_by_key_config_selectorIssEEZZNS1_16scan_by_key_implILNS1_25lookback_scan_determinismE0ELb1ES3_N6thrust23THRUST_200600_302600_NS6detail15normal_iteratorINS9_10device_ptrIsEEEESE_SE_sNS9_4plusIvEENS9_8equal_toIsEEsEE10hipError_tPvRmT2_T3_T4_T5_mT6_T7_P12ihipStream_tbENKUlT_T0_E_clISt17integral_constantIbLb1EESZ_EEDaSU_SV_EUlSU_E_NS1_11comp_targetILNS1_3genE3ELNS1_11target_archE908ELNS1_3gpuE7ELNS1_3repE0EEENS1_30default_config_static_selectorELNS0_4arch9wavefront6targetE0EEEvT1_.has_recursion, 0
	.set _ZN7rocprim17ROCPRIM_400000_NS6detail17trampoline_kernelINS0_14default_configENS1_27scan_by_key_config_selectorIssEEZZNS1_16scan_by_key_implILNS1_25lookback_scan_determinismE0ELb1ES3_N6thrust23THRUST_200600_302600_NS6detail15normal_iteratorINS9_10device_ptrIsEEEESE_SE_sNS9_4plusIvEENS9_8equal_toIsEEsEE10hipError_tPvRmT2_T3_T4_T5_mT6_T7_P12ihipStream_tbENKUlT_T0_E_clISt17integral_constantIbLb1EESZ_EEDaSU_SV_EUlSU_E_NS1_11comp_targetILNS1_3genE3ELNS1_11target_archE908ELNS1_3gpuE7ELNS1_3repE0EEENS1_30default_config_static_selectorELNS0_4arch9wavefront6targetE0EEEvT1_.has_indirect_call, 0
	.section	.AMDGPU.csdata,"",@progbits
; Kernel info:
; codeLenInByte = 0
; TotalNumSgprs: 0
; NumVgprs: 0
; ScratchSize: 0
; MemoryBound: 0
; FloatMode: 240
; IeeeMode: 1
; LDSByteSize: 0 bytes/workgroup (compile time only)
; SGPRBlocks: 0
; VGPRBlocks: 0
; NumSGPRsForWavesPerEU: 1
; NumVGPRsForWavesPerEU: 1
; Occupancy: 16
; WaveLimiterHint : 0
; COMPUTE_PGM_RSRC2:SCRATCH_EN: 0
; COMPUTE_PGM_RSRC2:USER_SGPR: 6
; COMPUTE_PGM_RSRC2:TRAP_HANDLER: 0
; COMPUTE_PGM_RSRC2:TGID_X_EN: 1
; COMPUTE_PGM_RSRC2:TGID_Y_EN: 0
; COMPUTE_PGM_RSRC2:TGID_Z_EN: 0
; COMPUTE_PGM_RSRC2:TIDIG_COMP_CNT: 0
	.section	.text._ZN7rocprim17ROCPRIM_400000_NS6detail17trampoline_kernelINS0_14default_configENS1_27scan_by_key_config_selectorIssEEZZNS1_16scan_by_key_implILNS1_25lookback_scan_determinismE0ELb1ES3_N6thrust23THRUST_200600_302600_NS6detail15normal_iteratorINS9_10device_ptrIsEEEESE_SE_sNS9_4plusIvEENS9_8equal_toIsEEsEE10hipError_tPvRmT2_T3_T4_T5_mT6_T7_P12ihipStream_tbENKUlT_T0_E_clISt17integral_constantIbLb1EESZ_EEDaSU_SV_EUlSU_E_NS1_11comp_targetILNS1_3genE2ELNS1_11target_archE906ELNS1_3gpuE6ELNS1_3repE0EEENS1_30default_config_static_selectorELNS0_4arch9wavefront6targetE0EEEvT1_,"axG",@progbits,_ZN7rocprim17ROCPRIM_400000_NS6detail17trampoline_kernelINS0_14default_configENS1_27scan_by_key_config_selectorIssEEZZNS1_16scan_by_key_implILNS1_25lookback_scan_determinismE0ELb1ES3_N6thrust23THRUST_200600_302600_NS6detail15normal_iteratorINS9_10device_ptrIsEEEESE_SE_sNS9_4plusIvEENS9_8equal_toIsEEsEE10hipError_tPvRmT2_T3_T4_T5_mT6_T7_P12ihipStream_tbENKUlT_T0_E_clISt17integral_constantIbLb1EESZ_EEDaSU_SV_EUlSU_E_NS1_11comp_targetILNS1_3genE2ELNS1_11target_archE906ELNS1_3gpuE6ELNS1_3repE0EEENS1_30default_config_static_selectorELNS0_4arch9wavefront6targetE0EEEvT1_,comdat
	.protected	_ZN7rocprim17ROCPRIM_400000_NS6detail17trampoline_kernelINS0_14default_configENS1_27scan_by_key_config_selectorIssEEZZNS1_16scan_by_key_implILNS1_25lookback_scan_determinismE0ELb1ES3_N6thrust23THRUST_200600_302600_NS6detail15normal_iteratorINS9_10device_ptrIsEEEESE_SE_sNS9_4plusIvEENS9_8equal_toIsEEsEE10hipError_tPvRmT2_T3_T4_T5_mT6_T7_P12ihipStream_tbENKUlT_T0_E_clISt17integral_constantIbLb1EESZ_EEDaSU_SV_EUlSU_E_NS1_11comp_targetILNS1_3genE2ELNS1_11target_archE906ELNS1_3gpuE6ELNS1_3repE0EEENS1_30default_config_static_selectorELNS0_4arch9wavefront6targetE0EEEvT1_ ; -- Begin function _ZN7rocprim17ROCPRIM_400000_NS6detail17trampoline_kernelINS0_14default_configENS1_27scan_by_key_config_selectorIssEEZZNS1_16scan_by_key_implILNS1_25lookback_scan_determinismE0ELb1ES3_N6thrust23THRUST_200600_302600_NS6detail15normal_iteratorINS9_10device_ptrIsEEEESE_SE_sNS9_4plusIvEENS9_8equal_toIsEEsEE10hipError_tPvRmT2_T3_T4_T5_mT6_T7_P12ihipStream_tbENKUlT_T0_E_clISt17integral_constantIbLb1EESZ_EEDaSU_SV_EUlSU_E_NS1_11comp_targetILNS1_3genE2ELNS1_11target_archE906ELNS1_3gpuE6ELNS1_3repE0EEENS1_30default_config_static_selectorELNS0_4arch9wavefront6targetE0EEEvT1_
	.globl	_ZN7rocprim17ROCPRIM_400000_NS6detail17trampoline_kernelINS0_14default_configENS1_27scan_by_key_config_selectorIssEEZZNS1_16scan_by_key_implILNS1_25lookback_scan_determinismE0ELb1ES3_N6thrust23THRUST_200600_302600_NS6detail15normal_iteratorINS9_10device_ptrIsEEEESE_SE_sNS9_4plusIvEENS9_8equal_toIsEEsEE10hipError_tPvRmT2_T3_T4_T5_mT6_T7_P12ihipStream_tbENKUlT_T0_E_clISt17integral_constantIbLb1EESZ_EEDaSU_SV_EUlSU_E_NS1_11comp_targetILNS1_3genE2ELNS1_11target_archE906ELNS1_3gpuE6ELNS1_3repE0EEENS1_30default_config_static_selectorELNS0_4arch9wavefront6targetE0EEEvT1_
	.p2align	8
	.type	_ZN7rocprim17ROCPRIM_400000_NS6detail17trampoline_kernelINS0_14default_configENS1_27scan_by_key_config_selectorIssEEZZNS1_16scan_by_key_implILNS1_25lookback_scan_determinismE0ELb1ES3_N6thrust23THRUST_200600_302600_NS6detail15normal_iteratorINS9_10device_ptrIsEEEESE_SE_sNS9_4plusIvEENS9_8equal_toIsEEsEE10hipError_tPvRmT2_T3_T4_T5_mT6_T7_P12ihipStream_tbENKUlT_T0_E_clISt17integral_constantIbLb1EESZ_EEDaSU_SV_EUlSU_E_NS1_11comp_targetILNS1_3genE2ELNS1_11target_archE906ELNS1_3gpuE6ELNS1_3repE0EEENS1_30default_config_static_selectorELNS0_4arch9wavefront6targetE0EEEvT1_,@function
_ZN7rocprim17ROCPRIM_400000_NS6detail17trampoline_kernelINS0_14default_configENS1_27scan_by_key_config_selectorIssEEZZNS1_16scan_by_key_implILNS1_25lookback_scan_determinismE0ELb1ES3_N6thrust23THRUST_200600_302600_NS6detail15normal_iteratorINS9_10device_ptrIsEEEESE_SE_sNS9_4plusIvEENS9_8equal_toIsEEsEE10hipError_tPvRmT2_T3_T4_T5_mT6_T7_P12ihipStream_tbENKUlT_T0_E_clISt17integral_constantIbLb1EESZ_EEDaSU_SV_EUlSU_E_NS1_11comp_targetILNS1_3genE2ELNS1_11target_archE906ELNS1_3gpuE6ELNS1_3repE0EEENS1_30default_config_static_selectorELNS0_4arch9wavefront6targetE0EEEvT1_: ; @_ZN7rocprim17ROCPRIM_400000_NS6detail17trampoline_kernelINS0_14default_configENS1_27scan_by_key_config_selectorIssEEZZNS1_16scan_by_key_implILNS1_25lookback_scan_determinismE0ELb1ES3_N6thrust23THRUST_200600_302600_NS6detail15normal_iteratorINS9_10device_ptrIsEEEESE_SE_sNS9_4plusIvEENS9_8equal_toIsEEsEE10hipError_tPvRmT2_T3_T4_T5_mT6_T7_P12ihipStream_tbENKUlT_T0_E_clISt17integral_constantIbLb1EESZ_EEDaSU_SV_EUlSU_E_NS1_11comp_targetILNS1_3genE2ELNS1_11target_archE906ELNS1_3gpuE6ELNS1_3repE0EEENS1_30default_config_static_selectorELNS0_4arch9wavefront6targetE0EEEvT1_
; %bb.0:
	.section	.rodata,"a",@progbits
	.p2align	6, 0x0
	.amdhsa_kernel _ZN7rocprim17ROCPRIM_400000_NS6detail17trampoline_kernelINS0_14default_configENS1_27scan_by_key_config_selectorIssEEZZNS1_16scan_by_key_implILNS1_25lookback_scan_determinismE0ELb1ES3_N6thrust23THRUST_200600_302600_NS6detail15normal_iteratorINS9_10device_ptrIsEEEESE_SE_sNS9_4plusIvEENS9_8equal_toIsEEsEE10hipError_tPvRmT2_T3_T4_T5_mT6_T7_P12ihipStream_tbENKUlT_T0_E_clISt17integral_constantIbLb1EESZ_EEDaSU_SV_EUlSU_E_NS1_11comp_targetILNS1_3genE2ELNS1_11target_archE906ELNS1_3gpuE6ELNS1_3repE0EEENS1_30default_config_static_selectorELNS0_4arch9wavefront6targetE0EEEvT1_
		.amdhsa_group_segment_fixed_size 0
		.amdhsa_private_segment_fixed_size 0
		.amdhsa_kernarg_size 112
		.amdhsa_user_sgpr_count 6
		.amdhsa_user_sgpr_private_segment_buffer 1
		.amdhsa_user_sgpr_dispatch_ptr 0
		.amdhsa_user_sgpr_queue_ptr 0
		.amdhsa_user_sgpr_kernarg_segment_ptr 1
		.amdhsa_user_sgpr_dispatch_id 0
		.amdhsa_user_sgpr_flat_scratch_init 0
		.amdhsa_user_sgpr_private_segment_size 0
		.amdhsa_wavefront_size32 1
		.amdhsa_uses_dynamic_stack 0
		.amdhsa_system_sgpr_private_segment_wavefront_offset 0
		.amdhsa_system_sgpr_workgroup_id_x 1
		.amdhsa_system_sgpr_workgroup_id_y 0
		.amdhsa_system_sgpr_workgroup_id_z 0
		.amdhsa_system_sgpr_workgroup_info 0
		.amdhsa_system_vgpr_workitem_id 0
		.amdhsa_next_free_vgpr 1
		.amdhsa_next_free_sgpr 1
		.amdhsa_reserve_vcc 0
		.amdhsa_reserve_flat_scratch 0
		.amdhsa_float_round_mode_32 0
		.amdhsa_float_round_mode_16_64 0
		.amdhsa_float_denorm_mode_32 3
		.amdhsa_float_denorm_mode_16_64 3
		.amdhsa_dx10_clamp 1
		.amdhsa_ieee_mode 1
		.amdhsa_fp16_overflow 0
		.amdhsa_workgroup_processor_mode 1
		.amdhsa_memory_ordered 1
		.amdhsa_forward_progress 1
		.amdhsa_shared_vgpr_count 0
		.amdhsa_exception_fp_ieee_invalid_op 0
		.amdhsa_exception_fp_denorm_src 0
		.amdhsa_exception_fp_ieee_div_zero 0
		.amdhsa_exception_fp_ieee_overflow 0
		.amdhsa_exception_fp_ieee_underflow 0
		.amdhsa_exception_fp_ieee_inexact 0
		.amdhsa_exception_int_div_zero 0
	.end_amdhsa_kernel
	.section	.text._ZN7rocprim17ROCPRIM_400000_NS6detail17trampoline_kernelINS0_14default_configENS1_27scan_by_key_config_selectorIssEEZZNS1_16scan_by_key_implILNS1_25lookback_scan_determinismE0ELb1ES3_N6thrust23THRUST_200600_302600_NS6detail15normal_iteratorINS9_10device_ptrIsEEEESE_SE_sNS9_4plusIvEENS9_8equal_toIsEEsEE10hipError_tPvRmT2_T3_T4_T5_mT6_T7_P12ihipStream_tbENKUlT_T0_E_clISt17integral_constantIbLb1EESZ_EEDaSU_SV_EUlSU_E_NS1_11comp_targetILNS1_3genE2ELNS1_11target_archE906ELNS1_3gpuE6ELNS1_3repE0EEENS1_30default_config_static_selectorELNS0_4arch9wavefront6targetE0EEEvT1_,"axG",@progbits,_ZN7rocprim17ROCPRIM_400000_NS6detail17trampoline_kernelINS0_14default_configENS1_27scan_by_key_config_selectorIssEEZZNS1_16scan_by_key_implILNS1_25lookback_scan_determinismE0ELb1ES3_N6thrust23THRUST_200600_302600_NS6detail15normal_iteratorINS9_10device_ptrIsEEEESE_SE_sNS9_4plusIvEENS9_8equal_toIsEEsEE10hipError_tPvRmT2_T3_T4_T5_mT6_T7_P12ihipStream_tbENKUlT_T0_E_clISt17integral_constantIbLb1EESZ_EEDaSU_SV_EUlSU_E_NS1_11comp_targetILNS1_3genE2ELNS1_11target_archE906ELNS1_3gpuE6ELNS1_3repE0EEENS1_30default_config_static_selectorELNS0_4arch9wavefront6targetE0EEEvT1_,comdat
.Lfunc_end655:
	.size	_ZN7rocprim17ROCPRIM_400000_NS6detail17trampoline_kernelINS0_14default_configENS1_27scan_by_key_config_selectorIssEEZZNS1_16scan_by_key_implILNS1_25lookback_scan_determinismE0ELb1ES3_N6thrust23THRUST_200600_302600_NS6detail15normal_iteratorINS9_10device_ptrIsEEEESE_SE_sNS9_4plusIvEENS9_8equal_toIsEEsEE10hipError_tPvRmT2_T3_T4_T5_mT6_T7_P12ihipStream_tbENKUlT_T0_E_clISt17integral_constantIbLb1EESZ_EEDaSU_SV_EUlSU_E_NS1_11comp_targetILNS1_3genE2ELNS1_11target_archE906ELNS1_3gpuE6ELNS1_3repE0EEENS1_30default_config_static_selectorELNS0_4arch9wavefront6targetE0EEEvT1_, .Lfunc_end655-_ZN7rocprim17ROCPRIM_400000_NS6detail17trampoline_kernelINS0_14default_configENS1_27scan_by_key_config_selectorIssEEZZNS1_16scan_by_key_implILNS1_25lookback_scan_determinismE0ELb1ES3_N6thrust23THRUST_200600_302600_NS6detail15normal_iteratorINS9_10device_ptrIsEEEESE_SE_sNS9_4plusIvEENS9_8equal_toIsEEsEE10hipError_tPvRmT2_T3_T4_T5_mT6_T7_P12ihipStream_tbENKUlT_T0_E_clISt17integral_constantIbLb1EESZ_EEDaSU_SV_EUlSU_E_NS1_11comp_targetILNS1_3genE2ELNS1_11target_archE906ELNS1_3gpuE6ELNS1_3repE0EEENS1_30default_config_static_selectorELNS0_4arch9wavefront6targetE0EEEvT1_
                                        ; -- End function
	.set _ZN7rocprim17ROCPRIM_400000_NS6detail17trampoline_kernelINS0_14default_configENS1_27scan_by_key_config_selectorIssEEZZNS1_16scan_by_key_implILNS1_25lookback_scan_determinismE0ELb1ES3_N6thrust23THRUST_200600_302600_NS6detail15normal_iteratorINS9_10device_ptrIsEEEESE_SE_sNS9_4plusIvEENS9_8equal_toIsEEsEE10hipError_tPvRmT2_T3_T4_T5_mT6_T7_P12ihipStream_tbENKUlT_T0_E_clISt17integral_constantIbLb1EESZ_EEDaSU_SV_EUlSU_E_NS1_11comp_targetILNS1_3genE2ELNS1_11target_archE906ELNS1_3gpuE6ELNS1_3repE0EEENS1_30default_config_static_selectorELNS0_4arch9wavefront6targetE0EEEvT1_.num_vgpr, 0
	.set _ZN7rocprim17ROCPRIM_400000_NS6detail17trampoline_kernelINS0_14default_configENS1_27scan_by_key_config_selectorIssEEZZNS1_16scan_by_key_implILNS1_25lookback_scan_determinismE0ELb1ES3_N6thrust23THRUST_200600_302600_NS6detail15normal_iteratorINS9_10device_ptrIsEEEESE_SE_sNS9_4plusIvEENS9_8equal_toIsEEsEE10hipError_tPvRmT2_T3_T4_T5_mT6_T7_P12ihipStream_tbENKUlT_T0_E_clISt17integral_constantIbLb1EESZ_EEDaSU_SV_EUlSU_E_NS1_11comp_targetILNS1_3genE2ELNS1_11target_archE906ELNS1_3gpuE6ELNS1_3repE0EEENS1_30default_config_static_selectorELNS0_4arch9wavefront6targetE0EEEvT1_.num_agpr, 0
	.set _ZN7rocprim17ROCPRIM_400000_NS6detail17trampoline_kernelINS0_14default_configENS1_27scan_by_key_config_selectorIssEEZZNS1_16scan_by_key_implILNS1_25lookback_scan_determinismE0ELb1ES3_N6thrust23THRUST_200600_302600_NS6detail15normal_iteratorINS9_10device_ptrIsEEEESE_SE_sNS9_4plusIvEENS9_8equal_toIsEEsEE10hipError_tPvRmT2_T3_T4_T5_mT6_T7_P12ihipStream_tbENKUlT_T0_E_clISt17integral_constantIbLb1EESZ_EEDaSU_SV_EUlSU_E_NS1_11comp_targetILNS1_3genE2ELNS1_11target_archE906ELNS1_3gpuE6ELNS1_3repE0EEENS1_30default_config_static_selectorELNS0_4arch9wavefront6targetE0EEEvT1_.numbered_sgpr, 0
	.set _ZN7rocprim17ROCPRIM_400000_NS6detail17trampoline_kernelINS0_14default_configENS1_27scan_by_key_config_selectorIssEEZZNS1_16scan_by_key_implILNS1_25lookback_scan_determinismE0ELb1ES3_N6thrust23THRUST_200600_302600_NS6detail15normal_iteratorINS9_10device_ptrIsEEEESE_SE_sNS9_4plusIvEENS9_8equal_toIsEEsEE10hipError_tPvRmT2_T3_T4_T5_mT6_T7_P12ihipStream_tbENKUlT_T0_E_clISt17integral_constantIbLb1EESZ_EEDaSU_SV_EUlSU_E_NS1_11comp_targetILNS1_3genE2ELNS1_11target_archE906ELNS1_3gpuE6ELNS1_3repE0EEENS1_30default_config_static_selectorELNS0_4arch9wavefront6targetE0EEEvT1_.num_named_barrier, 0
	.set _ZN7rocprim17ROCPRIM_400000_NS6detail17trampoline_kernelINS0_14default_configENS1_27scan_by_key_config_selectorIssEEZZNS1_16scan_by_key_implILNS1_25lookback_scan_determinismE0ELb1ES3_N6thrust23THRUST_200600_302600_NS6detail15normal_iteratorINS9_10device_ptrIsEEEESE_SE_sNS9_4plusIvEENS9_8equal_toIsEEsEE10hipError_tPvRmT2_T3_T4_T5_mT6_T7_P12ihipStream_tbENKUlT_T0_E_clISt17integral_constantIbLb1EESZ_EEDaSU_SV_EUlSU_E_NS1_11comp_targetILNS1_3genE2ELNS1_11target_archE906ELNS1_3gpuE6ELNS1_3repE0EEENS1_30default_config_static_selectorELNS0_4arch9wavefront6targetE0EEEvT1_.private_seg_size, 0
	.set _ZN7rocprim17ROCPRIM_400000_NS6detail17trampoline_kernelINS0_14default_configENS1_27scan_by_key_config_selectorIssEEZZNS1_16scan_by_key_implILNS1_25lookback_scan_determinismE0ELb1ES3_N6thrust23THRUST_200600_302600_NS6detail15normal_iteratorINS9_10device_ptrIsEEEESE_SE_sNS9_4plusIvEENS9_8equal_toIsEEsEE10hipError_tPvRmT2_T3_T4_T5_mT6_T7_P12ihipStream_tbENKUlT_T0_E_clISt17integral_constantIbLb1EESZ_EEDaSU_SV_EUlSU_E_NS1_11comp_targetILNS1_3genE2ELNS1_11target_archE906ELNS1_3gpuE6ELNS1_3repE0EEENS1_30default_config_static_selectorELNS0_4arch9wavefront6targetE0EEEvT1_.uses_vcc, 0
	.set _ZN7rocprim17ROCPRIM_400000_NS6detail17trampoline_kernelINS0_14default_configENS1_27scan_by_key_config_selectorIssEEZZNS1_16scan_by_key_implILNS1_25lookback_scan_determinismE0ELb1ES3_N6thrust23THRUST_200600_302600_NS6detail15normal_iteratorINS9_10device_ptrIsEEEESE_SE_sNS9_4plusIvEENS9_8equal_toIsEEsEE10hipError_tPvRmT2_T3_T4_T5_mT6_T7_P12ihipStream_tbENKUlT_T0_E_clISt17integral_constantIbLb1EESZ_EEDaSU_SV_EUlSU_E_NS1_11comp_targetILNS1_3genE2ELNS1_11target_archE906ELNS1_3gpuE6ELNS1_3repE0EEENS1_30default_config_static_selectorELNS0_4arch9wavefront6targetE0EEEvT1_.uses_flat_scratch, 0
	.set _ZN7rocprim17ROCPRIM_400000_NS6detail17trampoline_kernelINS0_14default_configENS1_27scan_by_key_config_selectorIssEEZZNS1_16scan_by_key_implILNS1_25lookback_scan_determinismE0ELb1ES3_N6thrust23THRUST_200600_302600_NS6detail15normal_iteratorINS9_10device_ptrIsEEEESE_SE_sNS9_4plusIvEENS9_8equal_toIsEEsEE10hipError_tPvRmT2_T3_T4_T5_mT6_T7_P12ihipStream_tbENKUlT_T0_E_clISt17integral_constantIbLb1EESZ_EEDaSU_SV_EUlSU_E_NS1_11comp_targetILNS1_3genE2ELNS1_11target_archE906ELNS1_3gpuE6ELNS1_3repE0EEENS1_30default_config_static_selectorELNS0_4arch9wavefront6targetE0EEEvT1_.has_dyn_sized_stack, 0
	.set _ZN7rocprim17ROCPRIM_400000_NS6detail17trampoline_kernelINS0_14default_configENS1_27scan_by_key_config_selectorIssEEZZNS1_16scan_by_key_implILNS1_25lookback_scan_determinismE0ELb1ES3_N6thrust23THRUST_200600_302600_NS6detail15normal_iteratorINS9_10device_ptrIsEEEESE_SE_sNS9_4plusIvEENS9_8equal_toIsEEsEE10hipError_tPvRmT2_T3_T4_T5_mT6_T7_P12ihipStream_tbENKUlT_T0_E_clISt17integral_constantIbLb1EESZ_EEDaSU_SV_EUlSU_E_NS1_11comp_targetILNS1_3genE2ELNS1_11target_archE906ELNS1_3gpuE6ELNS1_3repE0EEENS1_30default_config_static_selectorELNS0_4arch9wavefront6targetE0EEEvT1_.has_recursion, 0
	.set _ZN7rocprim17ROCPRIM_400000_NS6detail17trampoline_kernelINS0_14default_configENS1_27scan_by_key_config_selectorIssEEZZNS1_16scan_by_key_implILNS1_25lookback_scan_determinismE0ELb1ES3_N6thrust23THRUST_200600_302600_NS6detail15normal_iteratorINS9_10device_ptrIsEEEESE_SE_sNS9_4plusIvEENS9_8equal_toIsEEsEE10hipError_tPvRmT2_T3_T4_T5_mT6_T7_P12ihipStream_tbENKUlT_T0_E_clISt17integral_constantIbLb1EESZ_EEDaSU_SV_EUlSU_E_NS1_11comp_targetILNS1_3genE2ELNS1_11target_archE906ELNS1_3gpuE6ELNS1_3repE0EEENS1_30default_config_static_selectorELNS0_4arch9wavefront6targetE0EEEvT1_.has_indirect_call, 0
	.section	.AMDGPU.csdata,"",@progbits
; Kernel info:
; codeLenInByte = 0
; TotalNumSgprs: 0
; NumVgprs: 0
; ScratchSize: 0
; MemoryBound: 0
; FloatMode: 240
; IeeeMode: 1
; LDSByteSize: 0 bytes/workgroup (compile time only)
; SGPRBlocks: 0
; VGPRBlocks: 0
; NumSGPRsForWavesPerEU: 1
; NumVGPRsForWavesPerEU: 1
; Occupancy: 16
; WaveLimiterHint : 0
; COMPUTE_PGM_RSRC2:SCRATCH_EN: 0
; COMPUTE_PGM_RSRC2:USER_SGPR: 6
; COMPUTE_PGM_RSRC2:TRAP_HANDLER: 0
; COMPUTE_PGM_RSRC2:TGID_X_EN: 1
; COMPUTE_PGM_RSRC2:TGID_Y_EN: 0
; COMPUTE_PGM_RSRC2:TGID_Z_EN: 0
; COMPUTE_PGM_RSRC2:TIDIG_COMP_CNT: 0
	.section	.text._ZN7rocprim17ROCPRIM_400000_NS6detail17trampoline_kernelINS0_14default_configENS1_27scan_by_key_config_selectorIssEEZZNS1_16scan_by_key_implILNS1_25lookback_scan_determinismE0ELb1ES3_N6thrust23THRUST_200600_302600_NS6detail15normal_iteratorINS9_10device_ptrIsEEEESE_SE_sNS9_4plusIvEENS9_8equal_toIsEEsEE10hipError_tPvRmT2_T3_T4_T5_mT6_T7_P12ihipStream_tbENKUlT_T0_E_clISt17integral_constantIbLb1EESZ_EEDaSU_SV_EUlSU_E_NS1_11comp_targetILNS1_3genE10ELNS1_11target_archE1200ELNS1_3gpuE4ELNS1_3repE0EEENS1_30default_config_static_selectorELNS0_4arch9wavefront6targetE0EEEvT1_,"axG",@progbits,_ZN7rocprim17ROCPRIM_400000_NS6detail17trampoline_kernelINS0_14default_configENS1_27scan_by_key_config_selectorIssEEZZNS1_16scan_by_key_implILNS1_25lookback_scan_determinismE0ELb1ES3_N6thrust23THRUST_200600_302600_NS6detail15normal_iteratorINS9_10device_ptrIsEEEESE_SE_sNS9_4plusIvEENS9_8equal_toIsEEsEE10hipError_tPvRmT2_T3_T4_T5_mT6_T7_P12ihipStream_tbENKUlT_T0_E_clISt17integral_constantIbLb1EESZ_EEDaSU_SV_EUlSU_E_NS1_11comp_targetILNS1_3genE10ELNS1_11target_archE1200ELNS1_3gpuE4ELNS1_3repE0EEENS1_30default_config_static_selectorELNS0_4arch9wavefront6targetE0EEEvT1_,comdat
	.protected	_ZN7rocprim17ROCPRIM_400000_NS6detail17trampoline_kernelINS0_14default_configENS1_27scan_by_key_config_selectorIssEEZZNS1_16scan_by_key_implILNS1_25lookback_scan_determinismE0ELb1ES3_N6thrust23THRUST_200600_302600_NS6detail15normal_iteratorINS9_10device_ptrIsEEEESE_SE_sNS9_4plusIvEENS9_8equal_toIsEEsEE10hipError_tPvRmT2_T3_T4_T5_mT6_T7_P12ihipStream_tbENKUlT_T0_E_clISt17integral_constantIbLb1EESZ_EEDaSU_SV_EUlSU_E_NS1_11comp_targetILNS1_3genE10ELNS1_11target_archE1200ELNS1_3gpuE4ELNS1_3repE0EEENS1_30default_config_static_selectorELNS0_4arch9wavefront6targetE0EEEvT1_ ; -- Begin function _ZN7rocprim17ROCPRIM_400000_NS6detail17trampoline_kernelINS0_14default_configENS1_27scan_by_key_config_selectorIssEEZZNS1_16scan_by_key_implILNS1_25lookback_scan_determinismE0ELb1ES3_N6thrust23THRUST_200600_302600_NS6detail15normal_iteratorINS9_10device_ptrIsEEEESE_SE_sNS9_4plusIvEENS9_8equal_toIsEEsEE10hipError_tPvRmT2_T3_T4_T5_mT6_T7_P12ihipStream_tbENKUlT_T0_E_clISt17integral_constantIbLb1EESZ_EEDaSU_SV_EUlSU_E_NS1_11comp_targetILNS1_3genE10ELNS1_11target_archE1200ELNS1_3gpuE4ELNS1_3repE0EEENS1_30default_config_static_selectorELNS0_4arch9wavefront6targetE0EEEvT1_
	.globl	_ZN7rocprim17ROCPRIM_400000_NS6detail17trampoline_kernelINS0_14default_configENS1_27scan_by_key_config_selectorIssEEZZNS1_16scan_by_key_implILNS1_25lookback_scan_determinismE0ELb1ES3_N6thrust23THRUST_200600_302600_NS6detail15normal_iteratorINS9_10device_ptrIsEEEESE_SE_sNS9_4plusIvEENS9_8equal_toIsEEsEE10hipError_tPvRmT2_T3_T4_T5_mT6_T7_P12ihipStream_tbENKUlT_T0_E_clISt17integral_constantIbLb1EESZ_EEDaSU_SV_EUlSU_E_NS1_11comp_targetILNS1_3genE10ELNS1_11target_archE1200ELNS1_3gpuE4ELNS1_3repE0EEENS1_30default_config_static_selectorELNS0_4arch9wavefront6targetE0EEEvT1_
	.p2align	8
	.type	_ZN7rocprim17ROCPRIM_400000_NS6detail17trampoline_kernelINS0_14default_configENS1_27scan_by_key_config_selectorIssEEZZNS1_16scan_by_key_implILNS1_25lookback_scan_determinismE0ELb1ES3_N6thrust23THRUST_200600_302600_NS6detail15normal_iteratorINS9_10device_ptrIsEEEESE_SE_sNS9_4plusIvEENS9_8equal_toIsEEsEE10hipError_tPvRmT2_T3_T4_T5_mT6_T7_P12ihipStream_tbENKUlT_T0_E_clISt17integral_constantIbLb1EESZ_EEDaSU_SV_EUlSU_E_NS1_11comp_targetILNS1_3genE10ELNS1_11target_archE1200ELNS1_3gpuE4ELNS1_3repE0EEENS1_30default_config_static_selectorELNS0_4arch9wavefront6targetE0EEEvT1_,@function
_ZN7rocprim17ROCPRIM_400000_NS6detail17trampoline_kernelINS0_14default_configENS1_27scan_by_key_config_selectorIssEEZZNS1_16scan_by_key_implILNS1_25lookback_scan_determinismE0ELb1ES3_N6thrust23THRUST_200600_302600_NS6detail15normal_iteratorINS9_10device_ptrIsEEEESE_SE_sNS9_4plusIvEENS9_8equal_toIsEEsEE10hipError_tPvRmT2_T3_T4_T5_mT6_T7_P12ihipStream_tbENKUlT_T0_E_clISt17integral_constantIbLb1EESZ_EEDaSU_SV_EUlSU_E_NS1_11comp_targetILNS1_3genE10ELNS1_11target_archE1200ELNS1_3gpuE4ELNS1_3repE0EEENS1_30default_config_static_selectorELNS0_4arch9wavefront6targetE0EEEvT1_: ; @_ZN7rocprim17ROCPRIM_400000_NS6detail17trampoline_kernelINS0_14default_configENS1_27scan_by_key_config_selectorIssEEZZNS1_16scan_by_key_implILNS1_25lookback_scan_determinismE0ELb1ES3_N6thrust23THRUST_200600_302600_NS6detail15normal_iteratorINS9_10device_ptrIsEEEESE_SE_sNS9_4plusIvEENS9_8equal_toIsEEsEE10hipError_tPvRmT2_T3_T4_T5_mT6_T7_P12ihipStream_tbENKUlT_T0_E_clISt17integral_constantIbLb1EESZ_EEDaSU_SV_EUlSU_E_NS1_11comp_targetILNS1_3genE10ELNS1_11target_archE1200ELNS1_3gpuE4ELNS1_3repE0EEENS1_30default_config_static_selectorELNS0_4arch9wavefront6targetE0EEEvT1_
; %bb.0:
	.section	.rodata,"a",@progbits
	.p2align	6, 0x0
	.amdhsa_kernel _ZN7rocprim17ROCPRIM_400000_NS6detail17trampoline_kernelINS0_14default_configENS1_27scan_by_key_config_selectorIssEEZZNS1_16scan_by_key_implILNS1_25lookback_scan_determinismE0ELb1ES3_N6thrust23THRUST_200600_302600_NS6detail15normal_iteratorINS9_10device_ptrIsEEEESE_SE_sNS9_4plusIvEENS9_8equal_toIsEEsEE10hipError_tPvRmT2_T3_T4_T5_mT6_T7_P12ihipStream_tbENKUlT_T0_E_clISt17integral_constantIbLb1EESZ_EEDaSU_SV_EUlSU_E_NS1_11comp_targetILNS1_3genE10ELNS1_11target_archE1200ELNS1_3gpuE4ELNS1_3repE0EEENS1_30default_config_static_selectorELNS0_4arch9wavefront6targetE0EEEvT1_
		.amdhsa_group_segment_fixed_size 0
		.amdhsa_private_segment_fixed_size 0
		.amdhsa_kernarg_size 112
		.amdhsa_user_sgpr_count 6
		.amdhsa_user_sgpr_private_segment_buffer 1
		.amdhsa_user_sgpr_dispatch_ptr 0
		.amdhsa_user_sgpr_queue_ptr 0
		.amdhsa_user_sgpr_kernarg_segment_ptr 1
		.amdhsa_user_sgpr_dispatch_id 0
		.amdhsa_user_sgpr_flat_scratch_init 0
		.amdhsa_user_sgpr_private_segment_size 0
		.amdhsa_wavefront_size32 1
		.amdhsa_uses_dynamic_stack 0
		.amdhsa_system_sgpr_private_segment_wavefront_offset 0
		.amdhsa_system_sgpr_workgroup_id_x 1
		.amdhsa_system_sgpr_workgroup_id_y 0
		.amdhsa_system_sgpr_workgroup_id_z 0
		.amdhsa_system_sgpr_workgroup_info 0
		.amdhsa_system_vgpr_workitem_id 0
		.amdhsa_next_free_vgpr 1
		.amdhsa_next_free_sgpr 1
		.amdhsa_reserve_vcc 0
		.amdhsa_reserve_flat_scratch 0
		.amdhsa_float_round_mode_32 0
		.amdhsa_float_round_mode_16_64 0
		.amdhsa_float_denorm_mode_32 3
		.amdhsa_float_denorm_mode_16_64 3
		.amdhsa_dx10_clamp 1
		.amdhsa_ieee_mode 1
		.amdhsa_fp16_overflow 0
		.amdhsa_workgroup_processor_mode 1
		.amdhsa_memory_ordered 1
		.amdhsa_forward_progress 1
		.amdhsa_shared_vgpr_count 0
		.amdhsa_exception_fp_ieee_invalid_op 0
		.amdhsa_exception_fp_denorm_src 0
		.amdhsa_exception_fp_ieee_div_zero 0
		.amdhsa_exception_fp_ieee_overflow 0
		.amdhsa_exception_fp_ieee_underflow 0
		.amdhsa_exception_fp_ieee_inexact 0
		.amdhsa_exception_int_div_zero 0
	.end_amdhsa_kernel
	.section	.text._ZN7rocprim17ROCPRIM_400000_NS6detail17trampoline_kernelINS0_14default_configENS1_27scan_by_key_config_selectorIssEEZZNS1_16scan_by_key_implILNS1_25lookback_scan_determinismE0ELb1ES3_N6thrust23THRUST_200600_302600_NS6detail15normal_iteratorINS9_10device_ptrIsEEEESE_SE_sNS9_4plusIvEENS9_8equal_toIsEEsEE10hipError_tPvRmT2_T3_T4_T5_mT6_T7_P12ihipStream_tbENKUlT_T0_E_clISt17integral_constantIbLb1EESZ_EEDaSU_SV_EUlSU_E_NS1_11comp_targetILNS1_3genE10ELNS1_11target_archE1200ELNS1_3gpuE4ELNS1_3repE0EEENS1_30default_config_static_selectorELNS0_4arch9wavefront6targetE0EEEvT1_,"axG",@progbits,_ZN7rocprim17ROCPRIM_400000_NS6detail17trampoline_kernelINS0_14default_configENS1_27scan_by_key_config_selectorIssEEZZNS1_16scan_by_key_implILNS1_25lookback_scan_determinismE0ELb1ES3_N6thrust23THRUST_200600_302600_NS6detail15normal_iteratorINS9_10device_ptrIsEEEESE_SE_sNS9_4plusIvEENS9_8equal_toIsEEsEE10hipError_tPvRmT2_T3_T4_T5_mT6_T7_P12ihipStream_tbENKUlT_T0_E_clISt17integral_constantIbLb1EESZ_EEDaSU_SV_EUlSU_E_NS1_11comp_targetILNS1_3genE10ELNS1_11target_archE1200ELNS1_3gpuE4ELNS1_3repE0EEENS1_30default_config_static_selectorELNS0_4arch9wavefront6targetE0EEEvT1_,comdat
.Lfunc_end656:
	.size	_ZN7rocprim17ROCPRIM_400000_NS6detail17trampoline_kernelINS0_14default_configENS1_27scan_by_key_config_selectorIssEEZZNS1_16scan_by_key_implILNS1_25lookback_scan_determinismE0ELb1ES3_N6thrust23THRUST_200600_302600_NS6detail15normal_iteratorINS9_10device_ptrIsEEEESE_SE_sNS9_4plusIvEENS9_8equal_toIsEEsEE10hipError_tPvRmT2_T3_T4_T5_mT6_T7_P12ihipStream_tbENKUlT_T0_E_clISt17integral_constantIbLb1EESZ_EEDaSU_SV_EUlSU_E_NS1_11comp_targetILNS1_3genE10ELNS1_11target_archE1200ELNS1_3gpuE4ELNS1_3repE0EEENS1_30default_config_static_selectorELNS0_4arch9wavefront6targetE0EEEvT1_, .Lfunc_end656-_ZN7rocprim17ROCPRIM_400000_NS6detail17trampoline_kernelINS0_14default_configENS1_27scan_by_key_config_selectorIssEEZZNS1_16scan_by_key_implILNS1_25lookback_scan_determinismE0ELb1ES3_N6thrust23THRUST_200600_302600_NS6detail15normal_iteratorINS9_10device_ptrIsEEEESE_SE_sNS9_4plusIvEENS9_8equal_toIsEEsEE10hipError_tPvRmT2_T3_T4_T5_mT6_T7_P12ihipStream_tbENKUlT_T0_E_clISt17integral_constantIbLb1EESZ_EEDaSU_SV_EUlSU_E_NS1_11comp_targetILNS1_3genE10ELNS1_11target_archE1200ELNS1_3gpuE4ELNS1_3repE0EEENS1_30default_config_static_selectorELNS0_4arch9wavefront6targetE0EEEvT1_
                                        ; -- End function
	.set _ZN7rocprim17ROCPRIM_400000_NS6detail17trampoline_kernelINS0_14default_configENS1_27scan_by_key_config_selectorIssEEZZNS1_16scan_by_key_implILNS1_25lookback_scan_determinismE0ELb1ES3_N6thrust23THRUST_200600_302600_NS6detail15normal_iteratorINS9_10device_ptrIsEEEESE_SE_sNS9_4plusIvEENS9_8equal_toIsEEsEE10hipError_tPvRmT2_T3_T4_T5_mT6_T7_P12ihipStream_tbENKUlT_T0_E_clISt17integral_constantIbLb1EESZ_EEDaSU_SV_EUlSU_E_NS1_11comp_targetILNS1_3genE10ELNS1_11target_archE1200ELNS1_3gpuE4ELNS1_3repE0EEENS1_30default_config_static_selectorELNS0_4arch9wavefront6targetE0EEEvT1_.num_vgpr, 0
	.set _ZN7rocprim17ROCPRIM_400000_NS6detail17trampoline_kernelINS0_14default_configENS1_27scan_by_key_config_selectorIssEEZZNS1_16scan_by_key_implILNS1_25lookback_scan_determinismE0ELb1ES3_N6thrust23THRUST_200600_302600_NS6detail15normal_iteratorINS9_10device_ptrIsEEEESE_SE_sNS9_4plusIvEENS9_8equal_toIsEEsEE10hipError_tPvRmT2_T3_T4_T5_mT6_T7_P12ihipStream_tbENKUlT_T0_E_clISt17integral_constantIbLb1EESZ_EEDaSU_SV_EUlSU_E_NS1_11comp_targetILNS1_3genE10ELNS1_11target_archE1200ELNS1_3gpuE4ELNS1_3repE0EEENS1_30default_config_static_selectorELNS0_4arch9wavefront6targetE0EEEvT1_.num_agpr, 0
	.set _ZN7rocprim17ROCPRIM_400000_NS6detail17trampoline_kernelINS0_14default_configENS1_27scan_by_key_config_selectorIssEEZZNS1_16scan_by_key_implILNS1_25lookback_scan_determinismE0ELb1ES3_N6thrust23THRUST_200600_302600_NS6detail15normal_iteratorINS9_10device_ptrIsEEEESE_SE_sNS9_4plusIvEENS9_8equal_toIsEEsEE10hipError_tPvRmT2_T3_T4_T5_mT6_T7_P12ihipStream_tbENKUlT_T0_E_clISt17integral_constantIbLb1EESZ_EEDaSU_SV_EUlSU_E_NS1_11comp_targetILNS1_3genE10ELNS1_11target_archE1200ELNS1_3gpuE4ELNS1_3repE0EEENS1_30default_config_static_selectorELNS0_4arch9wavefront6targetE0EEEvT1_.numbered_sgpr, 0
	.set _ZN7rocprim17ROCPRIM_400000_NS6detail17trampoline_kernelINS0_14default_configENS1_27scan_by_key_config_selectorIssEEZZNS1_16scan_by_key_implILNS1_25lookback_scan_determinismE0ELb1ES3_N6thrust23THRUST_200600_302600_NS6detail15normal_iteratorINS9_10device_ptrIsEEEESE_SE_sNS9_4plusIvEENS9_8equal_toIsEEsEE10hipError_tPvRmT2_T3_T4_T5_mT6_T7_P12ihipStream_tbENKUlT_T0_E_clISt17integral_constantIbLb1EESZ_EEDaSU_SV_EUlSU_E_NS1_11comp_targetILNS1_3genE10ELNS1_11target_archE1200ELNS1_3gpuE4ELNS1_3repE0EEENS1_30default_config_static_selectorELNS0_4arch9wavefront6targetE0EEEvT1_.num_named_barrier, 0
	.set _ZN7rocprim17ROCPRIM_400000_NS6detail17trampoline_kernelINS0_14default_configENS1_27scan_by_key_config_selectorIssEEZZNS1_16scan_by_key_implILNS1_25lookback_scan_determinismE0ELb1ES3_N6thrust23THRUST_200600_302600_NS6detail15normal_iteratorINS9_10device_ptrIsEEEESE_SE_sNS9_4plusIvEENS9_8equal_toIsEEsEE10hipError_tPvRmT2_T3_T4_T5_mT6_T7_P12ihipStream_tbENKUlT_T0_E_clISt17integral_constantIbLb1EESZ_EEDaSU_SV_EUlSU_E_NS1_11comp_targetILNS1_3genE10ELNS1_11target_archE1200ELNS1_3gpuE4ELNS1_3repE0EEENS1_30default_config_static_selectorELNS0_4arch9wavefront6targetE0EEEvT1_.private_seg_size, 0
	.set _ZN7rocprim17ROCPRIM_400000_NS6detail17trampoline_kernelINS0_14default_configENS1_27scan_by_key_config_selectorIssEEZZNS1_16scan_by_key_implILNS1_25lookback_scan_determinismE0ELb1ES3_N6thrust23THRUST_200600_302600_NS6detail15normal_iteratorINS9_10device_ptrIsEEEESE_SE_sNS9_4plusIvEENS9_8equal_toIsEEsEE10hipError_tPvRmT2_T3_T4_T5_mT6_T7_P12ihipStream_tbENKUlT_T0_E_clISt17integral_constantIbLb1EESZ_EEDaSU_SV_EUlSU_E_NS1_11comp_targetILNS1_3genE10ELNS1_11target_archE1200ELNS1_3gpuE4ELNS1_3repE0EEENS1_30default_config_static_selectorELNS0_4arch9wavefront6targetE0EEEvT1_.uses_vcc, 0
	.set _ZN7rocprim17ROCPRIM_400000_NS6detail17trampoline_kernelINS0_14default_configENS1_27scan_by_key_config_selectorIssEEZZNS1_16scan_by_key_implILNS1_25lookback_scan_determinismE0ELb1ES3_N6thrust23THRUST_200600_302600_NS6detail15normal_iteratorINS9_10device_ptrIsEEEESE_SE_sNS9_4plusIvEENS9_8equal_toIsEEsEE10hipError_tPvRmT2_T3_T4_T5_mT6_T7_P12ihipStream_tbENKUlT_T0_E_clISt17integral_constantIbLb1EESZ_EEDaSU_SV_EUlSU_E_NS1_11comp_targetILNS1_3genE10ELNS1_11target_archE1200ELNS1_3gpuE4ELNS1_3repE0EEENS1_30default_config_static_selectorELNS0_4arch9wavefront6targetE0EEEvT1_.uses_flat_scratch, 0
	.set _ZN7rocprim17ROCPRIM_400000_NS6detail17trampoline_kernelINS0_14default_configENS1_27scan_by_key_config_selectorIssEEZZNS1_16scan_by_key_implILNS1_25lookback_scan_determinismE0ELb1ES3_N6thrust23THRUST_200600_302600_NS6detail15normal_iteratorINS9_10device_ptrIsEEEESE_SE_sNS9_4plusIvEENS9_8equal_toIsEEsEE10hipError_tPvRmT2_T3_T4_T5_mT6_T7_P12ihipStream_tbENKUlT_T0_E_clISt17integral_constantIbLb1EESZ_EEDaSU_SV_EUlSU_E_NS1_11comp_targetILNS1_3genE10ELNS1_11target_archE1200ELNS1_3gpuE4ELNS1_3repE0EEENS1_30default_config_static_selectorELNS0_4arch9wavefront6targetE0EEEvT1_.has_dyn_sized_stack, 0
	.set _ZN7rocprim17ROCPRIM_400000_NS6detail17trampoline_kernelINS0_14default_configENS1_27scan_by_key_config_selectorIssEEZZNS1_16scan_by_key_implILNS1_25lookback_scan_determinismE0ELb1ES3_N6thrust23THRUST_200600_302600_NS6detail15normal_iteratorINS9_10device_ptrIsEEEESE_SE_sNS9_4plusIvEENS9_8equal_toIsEEsEE10hipError_tPvRmT2_T3_T4_T5_mT6_T7_P12ihipStream_tbENKUlT_T0_E_clISt17integral_constantIbLb1EESZ_EEDaSU_SV_EUlSU_E_NS1_11comp_targetILNS1_3genE10ELNS1_11target_archE1200ELNS1_3gpuE4ELNS1_3repE0EEENS1_30default_config_static_selectorELNS0_4arch9wavefront6targetE0EEEvT1_.has_recursion, 0
	.set _ZN7rocprim17ROCPRIM_400000_NS6detail17trampoline_kernelINS0_14default_configENS1_27scan_by_key_config_selectorIssEEZZNS1_16scan_by_key_implILNS1_25lookback_scan_determinismE0ELb1ES3_N6thrust23THRUST_200600_302600_NS6detail15normal_iteratorINS9_10device_ptrIsEEEESE_SE_sNS9_4plusIvEENS9_8equal_toIsEEsEE10hipError_tPvRmT2_T3_T4_T5_mT6_T7_P12ihipStream_tbENKUlT_T0_E_clISt17integral_constantIbLb1EESZ_EEDaSU_SV_EUlSU_E_NS1_11comp_targetILNS1_3genE10ELNS1_11target_archE1200ELNS1_3gpuE4ELNS1_3repE0EEENS1_30default_config_static_selectorELNS0_4arch9wavefront6targetE0EEEvT1_.has_indirect_call, 0
	.section	.AMDGPU.csdata,"",@progbits
; Kernel info:
; codeLenInByte = 0
; TotalNumSgprs: 0
; NumVgprs: 0
; ScratchSize: 0
; MemoryBound: 0
; FloatMode: 240
; IeeeMode: 1
; LDSByteSize: 0 bytes/workgroup (compile time only)
; SGPRBlocks: 0
; VGPRBlocks: 0
; NumSGPRsForWavesPerEU: 1
; NumVGPRsForWavesPerEU: 1
; Occupancy: 16
; WaveLimiterHint : 0
; COMPUTE_PGM_RSRC2:SCRATCH_EN: 0
; COMPUTE_PGM_RSRC2:USER_SGPR: 6
; COMPUTE_PGM_RSRC2:TRAP_HANDLER: 0
; COMPUTE_PGM_RSRC2:TGID_X_EN: 1
; COMPUTE_PGM_RSRC2:TGID_Y_EN: 0
; COMPUTE_PGM_RSRC2:TGID_Z_EN: 0
; COMPUTE_PGM_RSRC2:TIDIG_COMP_CNT: 0
	.section	.text._ZN7rocprim17ROCPRIM_400000_NS6detail17trampoline_kernelINS0_14default_configENS1_27scan_by_key_config_selectorIssEEZZNS1_16scan_by_key_implILNS1_25lookback_scan_determinismE0ELb1ES3_N6thrust23THRUST_200600_302600_NS6detail15normal_iteratorINS9_10device_ptrIsEEEESE_SE_sNS9_4plusIvEENS9_8equal_toIsEEsEE10hipError_tPvRmT2_T3_T4_T5_mT6_T7_P12ihipStream_tbENKUlT_T0_E_clISt17integral_constantIbLb1EESZ_EEDaSU_SV_EUlSU_E_NS1_11comp_targetILNS1_3genE9ELNS1_11target_archE1100ELNS1_3gpuE3ELNS1_3repE0EEENS1_30default_config_static_selectorELNS0_4arch9wavefront6targetE0EEEvT1_,"axG",@progbits,_ZN7rocprim17ROCPRIM_400000_NS6detail17trampoline_kernelINS0_14default_configENS1_27scan_by_key_config_selectorIssEEZZNS1_16scan_by_key_implILNS1_25lookback_scan_determinismE0ELb1ES3_N6thrust23THRUST_200600_302600_NS6detail15normal_iteratorINS9_10device_ptrIsEEEESE_SE_sNS9_4plusIvEENS9_8equal_toIsEEsEE10hipError_tPvRmT2_T3_T4_T5_mT6_T7_P12ihipStream_tbENKUlT_T0_E_clISt17integral_constantIbLb1EESZ_EEDaSU_SV_EUlSU_E_NS1_11comp_targetILNS1_3genE9ELNS1_11target_archE1100ELNS1_3gpuE3ELNS1_3repE0EEENS1_30default_config_static_selectorELNS0_4arch9wavefront6targetE0EEEvT1_,comdat
	.protected	_ZN7rocprim17ROCPRIM_400000_NS6detail17trampoline_kernelINS0_14default_configENS1_27scan_by_key_config_selectorIssEEZZNS1_16scan_by_key_implILNS1_25lookback_scan_determinismE0ELb1ES3_N6thrust23THRUST_200600_302600_NS6detail15normal_iteratorINS9_10device_ptrIsEEEESE_SE_sNS9_4plusIvEENS9_8equal_toIsEEsEE10hipError_tPvRmT2_T3_T4_T5_mT6_T7_P12ihipStream_tbENKUlT_T0_E_clISt17integral_constantIbLb1EESZ_EEDaSU_SV_EUlSU_E_NS1_11comp_targetILNS1_3genE9ELNS1_11target_archE1100ELNS1_3gpuE3ELNS1_3repE0EEENS1_30default_config_static_selectorELNS0_4arch9wavefront6targetE0EEEvT1_ ; -- Begin function _ZN7rocprim17ROCPRIM_400000_NS6detail17trampoline_kernelINS0_14default_configENS1_27scan_by_key_config_selectorIssEEZZNS1_16scan_by_key_implILNS1_25lookback_scan_determinismE0ELb1ES3_N6thrust23THRUST_200600_302600_NS6detail15normal_iteratorINS9_10device_ptrIsEEEESE_SE_sNS9_4plusIvEENS9_8equal_toIsEEsEE10hipError_tPvRmT2_T3_T4_T5_mT6_T7_P12ihipStream_tbENKUlT_T0_E_clISt17integral_constantIbLb1EESZ_EEDaSU_SV_EUlSU_E_NS1_11comp_targetILNS1_3genE9ELNS1_11target_archE1100ELNS1_3gpuE3ELNS1_3repE0EEENS1_30default_config_static_selectorELNS0_4arch9wavefront6targetE0EEEvT1_
	.globl	_ZN7rocprim17ROCPRIM_400000_NS6detail17trampoline_kernelINS0_14default_configENS1_27scan_by_key_config_selectorIssEEZZNS1_16scan_by_key_implILNS1_25lookback_scan_determinismE0ELb1ES3_N6thrust23THRUST_200600_302600_NS6detail15normal_iteratorINS9_10device_ptrIsEEEESE_SE_sNS9_4plusIvEENS9_8equal_toIsEEsEE10hipError_tPvRmT2_T3_T4_T5_mT6_T7_P12ihipStream_tbENKUlT_T0_E_clISt17integral_constantIbLb1EESZ_EEDaSU_SV_EUlSU_E_NS1_11comp_targetILNS1_3genE9ELNS1_11target_archE1100ELNS1_3gpuE3ELNS1_3repE0EEENS1_30default_config_static_selectorELNS0_4arch9wavefront6targetE0EEEvT1_
	.p2align	8
	.type	_ZN7rocprim17ROCPRIM_400000_NS6detail17trampoline_kernelINS0_14default_configENS1_27scan_by_key_config_selectorIssEEZZNS1_16scan_by_key_implILNS1_25lookback_scan_determinismE0ELb1ES3_N6thrust23THRUST_200600_302600_NS6detail15normal_iteratorINS9_10device_ptrIsEEEESE_SE_sNS9_4plusIvEENS9_8equal_toIsEEsEE10hipError_tPvRmT2_T3_T4_T5_mT6_T7_P12ihipStream_tbENKUlT_T0_E_clISt17integral_constantIbLb1EESZ_EEDaSU_SV_EUlSU_E_NS1_11comp_targetILNS1_3genE9ELNS1_11target_archE1100ELNS1_3gpuE3ELNS1_3repE0EEENS1_30default_config_static_selectorELNS0_4arch9wavefront6targetE0EEEvT1_,@function
_ZN7rocprim17ROCPRIM_400000_NS6detail17trampoline_kernelINS0_14default_configENS1_27scan_by_key_config_selectorIssEEZZNS1_16scan_by_key_implILNS1_25lookback_scan_determinismE0ELb1ES3_N6thrust23THRUST_200600_302600_NS6detail15normal_iteratorINS9_10device_ptrIsEEEESE_SE_sNS9_4plusIvEENS9_8equal_toIsEEsEE10hipError_tPvRmT2_T3_T4_T5_mT6_T7_P12ihipStream_tbENKUlT_T0_E_clISt17integral_constantIbLb1EESZ_EEDaSU_SV_EUlSU_E_NS1_11comp_targetILNS1_3genE9ELNS1_11target_archE1100ELNS1_3gpuE3ELNS1_3repE0EEENS1_30default_config_static_selectorELNS0_4arch9wavefront6targetE0EEEvT1_: ; @_ZN7rocprim17ROCPRIM_400000_NS6detail17trampoline_kernelINS0_14default_configENS1_27scan_by_key_config_selectorIssEEZZNS1_16scan_by_key_implILNS1_25lookback_scan_determinismE0ELb1ES3_N6thrust23THRUST_200600_302600_NS6detail15normal_iteratorINS9_10device_ptrIsEEEESE_SE_sNS9_4plusIvEENS9_8equal_toIsEEsEE10hipError_tPvRmT2_T3_T4_T5_mT6_T7_P12ihipStream_tbENKUlT_T0_E_clISt17integral_constantIbLb1EESZ_EEDaSU_SV_EUlSU_E_NS1_11comp_targetILNS1_3genE9ELNS1_11target_archE1100ELNS1_3gpuE3ELNS1_3repE0EEENS1_30default_config_static_selectorELNS0_4arch9wavefront6targetE0EEEvT1_
; %bb.0:
	.section	.rodata,"a",@progbits
	.p2align	6, 0x0
	.amdhsa_kernel _ZN7rocprim17ROCPRIM_400000_NS6detail17trampoline_kernelINS0_14default_configENS1_27scan_by_key_config_selectorIssEEZZNS1_16scan_by_key_implILNS1_25lookback_scan_determinismE0ELb1ES3_N6thrust23THRUST_200600_302600_NS6detail15normal_iteratorINS9_10device_ptrIsEEEESE_SE_sNS9_4plusIvEENS9_8equal_toIsEEsEE10hipError_tPvRmT2_T3_T4_T5_mT6_T7_P12ihipStream_tbENKUlT_T0_E_clISt17integral_constantIbLb1EESZ_EEDaSU_SV_EUlSU_E_NS1_11comp_targetILNS1_3genE9ELNS1_11target_archE1100ELNS1_3gpuE3ELNS1_3repE0EEENS1_30default_config_static_selectorELNS0_4arch9wavefront6targetE0EEEvT1_
		.amdhsa_group_segment_fixed_size 0
		.amdhsa_private_segment_fixed_size 0
		.amdhsa_kernarg_size 112
		.amdhsa_user_sgpr_count 6
		.amdhsa_user_sgpr_private_segment_buffer 1
		.amdhsa_user_sgpr_dispatch_ptr 0
		.amdhsa_user_sgpr_queue_ptr 0
		.amdhsa_user_sgpr_kernarg_segment_ptr 1
		.amdhsa_user_sgpr_dispatch_id 0
		.amdhsa_user_sgpr_flat_scratch_init 0
		.amdhsa_user_sgpr_private_segment_size 0
		.amdhsa_wavefront_size32 1
		.amdhsa_uses_dynamic_stack 0
		.amdhsa_system_sgpr_private_segment_wavefront_offset 0
		.amdhsa_system_sgpr_workgroup_id_x 1
		.amdhsa_system_sgpr_workgroup_id_y 0
		.amdhsa_system_sgpr_workgroup_id_z 0
		.amdhsa_system_sgpr_workgroup_info 0
		.amdhsa_system_vgpr_workitem_id 0
		.amdhsa_next_free_vgpr 1
		.amdhsa_next_free_sgpr 1
		.amdhsa_reserve_vcc 0
		.amdhsa_reserve_flat_scratch 0
		.amdhsa_float_round_mode_32 0
		.amdhsa_float_round_mode_16_64 0
		.amdhsa_float_denorm_mode_32 3
		.amdhsa_float_denorm_mode_16_64 3
		.amdhsa_dx10_clamp 1
		.amdhsa_ieee_mode 1
		.amdhsa_fp16_overflow 0
		.amdhsa_workgroup_processor_mode 1
		.amdhsa_memory_ordered 1
		.amdhsa_forward_progress 1
		.amdhsa_shared_vgpr_count 0
		.amdhsa_exception_fp_ieee_invalid_op 0
		.amdhsa_exception_fp_denorm_src 0
		.amdhsa_exception_fp_ieee_div_zero 0
		.amdhsa_exception_fp_ieee_overflow 0
		.amdhsa_exception_fp_ieee_underflow 0
		.amdhsa_exception_fp_ieee_inexact 0
		.amdhsa_exception_int_div_zero 0
	.end_amdhsa_kernel
	.section	.text._ZN7rocprim17ROCPRIM_400000_NS6detail17trampoline_kernelINS0_14default_configENS1_27scan_by_key_config_selectorIssEEZZNS1_16scan_by_key_implILNS1_25lookback_scan_determinismE0ELb1ES3_N6thrust23THRUST_200600_302600_NS6detail15normal_iteratorINS9_10device_ptrIsEEEESE_SE_sNS9_4plusIvEENS9_8equal_toIsEEsEE10hipError_tPvRmT2_T3_T4_T5_mT6_T7_P12ihipStream_tbENKUlT_T0_E_clISt17integral_constantIbLb1EESZ_EEDaSU_SV_EUlSU_E_NS1_11comp_targetILNS1_3genE9ELNS1_11target_archE1100ELNS1_3gpuE3ELNS1_3repE0EEENS1_30default_config_static_selectorELNS0_4arch9wavefront6targetE0EEEvT1_,"axG",@progbits,_ZN7rocprim17ROCPRIM_400000_NS6detail17trampoline_kernelINS0_14default_configENS1_27scan_by_key_config_selectorIssEEZZNS1_16scan_by_key_implILNS1_25lookback_scan_determinismE0ELb1ES3_N6thrust23THRUST_200600_302600_NS6detail15normal_iteratorINS9_10device_ptrIsEEEESE_SE_sNS9_4plusIvEENS9_8equal_toIsEEsEE10hipError_tPvRmT2_T3_T4_T5_mT6_T7_P12ihipStream_tbENKUlT_T0_E_clISt17integral_constantIbLb1EESZ_EEDaSU_SV_EUlSU_E_NS1_11comp_targetILNS1_3genE9ELNS1_11target_archE1100ELNS1_3gpuE3ELNS1_3repE0EEENS1_30default_config_static_selectorELNS0_4arch9wavefront6targetE0EEEvT1_,comdat
.Lfunc_end657:
	.size	_ZN7rocprim17ROCPRIM_400000_NS6detail17trampoline_kernelINS0_14default_configENS1_27scan_by_key_config_selectorIssEEZZNS1_16scan_by_key_implILNS1_25lookback_scan_determinismE0ELb1ES3_N6thrust23THRUST_200600_302600_NS6detail15normal_iteratorINS9_10device_ptrIsEEEESE_SE_sNS9_4plusIvEENS9_8equal_toIsEEsEE10hipError_tPvRmT2_T3_T4_T5_mT6_T7_P12ihipStream_tbENKUlT_T0_E_clISt17integral_constantIbLb1EESZ_EEDaSU_SV_EUlSU_E_NS1_11comp_targetILNS1_3genE9ELNS1_11target_archE1100ELNS1_3gpuE3ELNS1_3repE0EEENS1_30default_config_static_selectorELNS0_4arch9wavefront6targetE0EEEvT1_, .Lfunc_end657-_ZN7rocprim17ROCPRIM_400000_NS6detail17trampoline_kernelINS0_14default_configENS1_27scan_by_key_config_selectorIssEEZZNS1_16scan_by_key_implILNS1_25lookback_scan_determinismE0ELb1ES3_N6thrust23THRUST_200600_302600_NS6detail15normal_iteratorINS9_10device_ptrIsEEEESE_SE_sNS9_4plusIvEENS9_8equal_toIsEEsEE10hipError_tPvRmT2_T3_T4_T5_mT6_T7_P12ihipStream_tbENKUlT_T0_E_clISt17integral_constantIbLb1EESZ_EEDaSU_SV_EUlSU_E_NS1_11comp_targetILNS1_3genE9ELNS1_11target_archE1100ELNS1_3gpuE3ELNS1_3repE0EEENS1_30default_config_static_selectorELNS0_4arch9wavefront6targetE0EEEvT1_
                                        ; -- End function
	.set _ZN7rocprim17ROCPRIM_400000_NS6detail17trampoline_kernelINS0_14default_configENS1_27scan_by_key_config_selectorIssEEZZNS1_16scan_by_key_implILNS1_25lookback_scan_determinismE0ELb1ES3_N6thrust23THRUST_200600_302600_NS6detail15normal_iteratorINS9_10device_ptrIsEEEESE_SE_sNS9_4plusIvEENS9_8equal_toIsEEsEE10hipError_tPvRmT2_T3_T4_T5_mT6_T7_P12ihipStream_tbENKUlT_T0_E_clISt17integral_constantIbLb1EESZ_EEDaSU_SV_EUlSU_E_NS1_11comp_targetILNS1_3genE9ELNS1_11target_archE1100ELNS1_3gpuE3ELNS1_3repE0EEENS1_30default_config_static_selectorELNS0_4arch9wavefront6targetE0EEEvT1_.num_vgpr, 0
	.set _ZN7rocprim17ROCPRIM_400000_NS6detail17trampoline_kernelINS0_14default_configENS1_27scan_by_key_config_selectorIssEEZZNS1_16scan_by_key_implILNS1_25lookback_scan_determinismE0ELb1ES3_N6thrust23THRUST_200600_302600_NS6detail15normal_iteratorINS9_10device_ptrIsEEEESE_SE_sNS9_4plusIvEENS9_8equal_toIsEEsEE10hipError_tPvRmT2_T3_T4_T5_mT6_T7_P12ihipStream_tbENKUlT_T0_E_clISt17integral_constantIbLb1EESZ_EEDaSU_SV_EUlSU_E_NS1_11comp_targetILNS1_3genE9ELNS1_11target_archE1100ELNS1_3gpuE3ELNS1_3repE0EEENS1_30default_config_static_selectorELNS0_4arch9wavefront6targetE0EEEvT1_.num_agpr, 0
	.set _ZN7rocprim17ROCPRIM_400000_NS6detail17trampoline_kernelINS0_14default_configENS1_27scan_by_key_config_selectorIssEEZZNS1_16scan_by_key_implILNS1_25lookback_scan_determinismE0ELb1ES3_N6thrust23THRUST_200600_302600_NS6detail15normal_iteratorINS9_10device_ptrIsEEEESE_SE_sNS9_4plusIvEENS9_8equal_toIsEEsEE10hipError_tPvRmT2_T3_T4_T5_mT6_T7_P12ihipStream_tbENKUlT_T0_E_clISt17integral_constantIbLb1EESZ_EEDaSU_SV_EUlSU_E_NS1_11comp_targetILNS1_3genE9ELNS1_11target_archE1100ELNS1_3gpuE3ELNS1_3repE0EEENS1_30default_config_static_selectorELNS0_4arch9wavefront6targetE0EEEvT1_.numbered_sgpr, 0
	.set _ZN7rocprim17ROCPRIM_400000_NS6detail17trampoline_kernelINS0_14default_configENS1_27scan_by_key_config_selectorIssEEZZNS1_16scan_by_key_implILNS1_25lookback_scan_determinismE0ELb1ES3_N6thrust23THRUST_200600_302600_NS6detail15normal_iteratorINS9_10device_ptrIsEEEESE_SE_sNS9_4plusIvEENS9_8equal_toIsEEsEE10hipError_tPvRmT2_T3_T4_T5_mT6_T7_P12ihipStream_tbENKUlT_T0_E_clISt17integral_constantIbLb1EESZ_EEDaSU_SV_EUlSU_E_NS1_11comp_targetILNS1_3genE9ELNS1_11target_archE1100ELNS1_3gpuE3ELNS1_3repE0EEENS1_30default_config_static_selectorELNS0_4arch9wavefront6targetE0EEEvT1_.num_named_barrier, 0
	.set _ZN7rocprim17ROCPRIM_400000_NS6detail17trampoline_kernelINS0_14default_configENS1_27scan_by_key_config_selectorIssEEZZNS1_16scan_by_key_implILNS1_25lookback_scan_determinismE0ELb1ES3_N6thrust23THRUST_200600_302600_NS6detail15normal_iteratorINS9_10device_ptrIsEEEESE_SE_sNS9_4plusIvEENS9_8equal_toIsEEsEE10hipError_tPvRmT2_T3_T4_T5_mT6_T7_P12ihipStream_tbENKUlT_T0_E_clISt17integral_constantIbLb1EESZ_EEDaSU_SV_EUlSU_E_NS1_11comp_targetILNS1_3genE9ELNS1_11target_archE1100ELNS1_3gpuE3ELNS1_3repE0EEENS1_30default_config_static_selectorELNS0_4arch9wavefront6targetE0EEEvT1_.private_seg_size, 0
	.set _ZN7rocprim17ROCPRIM_400000_NS6detail17trampoline_kernelINS0_14default_configENS1_27scan_by_key_config_selectorIssEEZZNS1_16scan_by_key_implILNS1_25lookback_scan_determinismE0ELb1ES3_N6thrust23THRUST_200600_302600_NS6detail15normal_iteratorINS9_10device_ptrIsEEEESE_SE_sNS9_4plusIvEENS9_8equal_toIsEEsEE10hipError_tPvRmT2_T3_T4_T5_mT6_T7_P12ihipStream_tbENKUlT_T0_E_clISt17integral_constantIbLb1EESZ_EEDaSU_SV_EUlSU_E_NS1_11comp_targetILNS1_3genE9ELNS1_11target_archE1100ELNS1_3gpuE3ELNS1_3repE0EEENS1_30default_config_static_selectorELNS0_4arch9wavefront6targetE0EEEvT1_.uses_vcc, 0
	.set _ZN7rocprim17ROCPRIM_400000_NS6detail17trampoline_kernelINS0_14default_configENS1_27scan_by_key_config_selectorIssEEZZNS1_16scan_by_key_implILNS1_25lookback_scan_determinismE0ELb1ES3_N6thrust23THRUST_200600_302600_NS6detail15normal_iteratorINS9_10device_ptrIsEEEESE_SE_sNS9_4plusIvEENS9_8equal_toIsEEsEE10hipError_tPvRmT2_T3_T4_T5_mT6_T7_P12ihipStream_tbENKUlT_T0_E_clISt17integral_constantIbLb1EESZ_EEDaSU_SV_EUlSU_E_NS1_11comp_targetILNS1_3genE9ELNS1_11target_archE1100ELNS1_3gpuE3ELNS1_3repE0EEENS1_30default_config_static_selectorELNS0_4arch9wavefront6targetE0EEEvT1_.uses_flat_scratch, 0
	.set _ZN7rocprim17ROCPRIM_400000_NS6detail17trampoline_kernelINS0_14default_configENS1_27scan_by_key_config_selectorIssEEZZNS1_16scan_by_key_implILNS1_25lookback_scan_determinismE0ELb1ES3_N6thrust23THRUST_200600_302600_NS6detail15normal_iteratorINS9_10device_ptrIsEEEESE_SE_sNS9_4plusIvEENS9_8equal_toIsEEsEE10hipError_tPvRmT2_T3_T4_T5_mT6_T7_P12ihipStream_tbENKUlT_T0_E_clISt17integral_constantIbLb1EESZ_EEDaSU_SV_EUlSU_E_NS1_11comp_targetILNS1_3genE9ELNS1_11target_archE1100ELNS1_3gpuE3ELNS1_3repE0EEENS1_30default_config_static_selectorELNS0_4arch9wavefront6targetE0EEEvT1_.has_dyn_sized_stack, 0
	.set _ZN7rocprim17ROCPRIM_400000_NS6detail17trampoline_kernelINS0_14default_configENS1_27scan_by_key_config_selectorIssEEZZNS1_16scan_by_key_implILNS1_25lookback_scan_determinismE0ELb1ES3_N6thrust23THRUST_200600_302600_NS6detail15normal_iteratorINS9_10device_ptrIsEEEESE_SE_sNS9_4plusIvEENS9_8equal_toIsEEsEE10hipError_tPvRmT2_T3_T4_T5_mT6_T7_P12ihipStream_tbENKUlT_T0_E_clISt17integral_constantIbLb1EESZ_EEDaSU_SV_EUlSU_E_NS1_11comp_targetILNS1_3genE9ELNS1_11target_archE1100ELNS1_3gpuE3ELNS1_3repE0EEENS1_30default_config_static_selectorELNS0_4arch9wavefront6targetE0EEEvT1_.has_recursion, 0
	.set _ZN7rocprim17ROCPRIM_400000_NS6detail17trampoline_kernelINS0_14default_configENS1_27scan_by_key_config_selectorIssEEZZNS1_16scan_by_key_implILNS1_25lookback_scan_determinismE0ELb1ES3_N6thrust23THRUST_200600_302600_NS6detail15normal_iteratorINS9_10device_ptrIsEEEESE_SE_sNS9_4plusIvEENS9_8equal_toIsEEsEE10hipError_tPvRmT2_T3_T4_T5_mT6_T7_P12ihipStream_tbENKUlT_T0_E_clISt17integral_constantIbLb1EESZ_EEDaSU_SV_EUlSU_E_NS1_11comp_targetILNS1_3genE9ELNS1_11target_archE1100ELNS1_3gpuE3ELNS1_3repE0EEENS1_30default_config_static_selectorELNS0_4arch9wavefront6targetE0EEEvT1_.has_indirect_call, 0
	.section	.AMDGPU.csdata,"",@progbits
; Kernel info:
; codeLenInByte = 0
; TotalNumSgprs: 0
; NumVgprs: 0
; ScratchSize: 0
; MemoryBound: 0
; FloatMode: 240
; IeeeMode: 1
; LDSByteSize: 0 bytes/workgroup (compile time only)
; SGPRBlocks: 0
; VGPRBlocks: 0
; NumSGPRsForWavesPerEU: 1
; NumVGPRsForWavesPerEU: 1
; Occupancy: 16
; WaveLimiterHint : 0
; COMPUTE_PGM_RSRC2:SCRATCH_EN: 0
; COMPUTE_PGM_RSRC2:USER_SGPR: 6
; COMPUTE_PGM_RSRC2:TRAP_HANDLER: 0
; COMPUTE_PGM_RSRC2:TGID_X_EN: 1
; COMPUTE_PGM_RSRC2:TGID_Y_EN: 0
; COMPUTE_PGM_RSRC2:TGID_Z_EN: 0
; COMPUTE_PGM_RSRC2:TIDIG_COMP_CNT: 0
	.section	.text._ZN7rocprim17ROCPRIM_400000_NS6detail17trampoline_kernelINS0_14default_configENS1_27scan_by_key_config_selectorIssEEZZNS1_16scan_by_key_implILNS1_25lookback_scan_determinismE0ELb1ES3_N6thrust23THRUST_200600_302600_NS6detail15normal_iteratorINS9_10device_ptrIsEEEESE_SE_sNS9_4plusIvEENS9_8equal_toIsEEsEE10hipError_tPvRmT2_T3_T4_T5_mT6_T7_P12ihipStream_tbENKUlT_T0_E_clISt17integral_constantIbLb1EESZ_EEDaSU_SV_EUlSU_E_NS1_11comp_targetILNS1_3genE8ELNS1_11target_archE1030ELNS1_3gpuE2ELNS1_3repE0EEENS1_30default_config_static_selectorELNS0_4arch9wavefront6targetE0EEEvT1_,"axG",@progbits,_ZN7rocprim17ROCPRIM_400000_NS6detail17trampoline_kernelINS0_14default_configENS1_27scan_by_key_config_selectorIssEEZZNS1_16scan_by_key_implILNS1_25lookback_scan_determinismE0ELb1ES3_N6thrust23THRUST_200600_302600_NS6detail15normal_iteratorINS9_10device_ptrIsEEEESE_SE_sNS9_4plusIvEENS9_8equal_toIsEEsEE10hipError_tPvRmT2_T3_T4_T5_mT6_T7_P12ihipStream_tbENKUlT_T0_E_clISt17integral_constantIbLb1EESZ_EEDaSU_SV_EUlSU_E_NS1_11comp_targetILNS1_3genE8ELNS1_11target_archE1030ELNS1_3gpuE2ELNS1_3repE0EEENS1_30default_config_static_selectorELNS0_4arch9wavefront6targetE0EEEvT1_,comdat
	.protected	_ZN7rocprim17ROCPRIM_400000_NS6detail17trampoline_kernelINS0_14default_configENS1_27scan_by_key_config_selectorIssEEZZNS1_16scan_by_key_implILNS1_25lookback_scan_determinismE0ELb1ES3_N6thrust23THRUST_200600_302600_NS6detail15normal_iteratorINS9_10device_ptrIsEEEESE_SE_sNS9_4plusIvEENS9_8equal_toIsEEsEE10hipError_tPvRmT2_T3_T4_T5_mT6_T7_P12ihipStream_tbENKUlT_T0_E_clISt17integral_constantIbLb1EESZ_EEDaSU_SV_EUlSU_E_NS1_11comp_targetILNS1_3genE8ELNS1_11target_archE1030ELNS1_3gpuE2ELNS1_3repE0EEENS1_30default_config_static_selectorELNS0_4arch9wavefront6targetE0EEEvT1_ ; -- Begin function _ZN7rocprim17ROCPRIM_400000_NS6detail17trampoline_kernelINS0_14default_configENS1_27scan_by_key_config_selectorIssEEZZNS1_16scan_by_key_implILNS1_25lookback_scan_determinismE0ELb1ES3_N6thrust23THRUST_200600_302600_NS6detail15normal_iteratorINS9_10device_ptrIsEEEESE_SE_sNS9_4plusIvEENS9_8equal_toIsEEsEE10hipError_tPvRmT2_T3_T4_T5_mT6_T7_P12ihipStream_tbENKUlT_T0_E_clISt17integral_constantIbLb1EESZ_EEDaSU_SV_EUlSU_E_NS1_11comp_targetILNS1_3genE8ELNS1_11target_archE1030ELNS1_3gpuE2ELNS1_3repE0EEENS1_30default_config_static_selectorELNS0_4arch9wavefront6targetE0EEEvT1_
	.globl	_ZN7rocprim17ROCPRIM_400000_NS6detail17trampoline_kernelINS0_14default_configENS1_27scan_by_key_config_selectorIssEEZZNS1_16scan_by_key_implILNS1_25lookback_scan_determinismE0ELb1ES3_N6thrust23THRUST_200600_302600_NS6detail15normal_iteratorINS9_10device_ptrIsEEEESE_SE_sNS9_4plusIvEENS9_8equal_toIsEEsEE10hipError_tPvRmT2_T3_T4_T5_mT6_T7_P12ihipStream_tbENKUlT_T0_E_clISt17integral_constantIbLb1EESZ_EEDaSU_SV_EUlSU_E_NS1_11comp_targetILNS1_3genE8ELNS1_11target_archE1030ELNS1_3gpuE2ELNS1_3repE0EEENS1_30default_config_static_selectorELNS0_4arch9wavefront6targetE0EEEvT1_
	.p2align	8
	.type	_ZN7rocprim17ROCPRIM_400000_NS6detail17trampoline_kernelINS0_14default_configENS1_27scan_by_key_config_selectorIssEEZZNS1_16scan_by_key_implILNS1_25lookback_scan_determinismE0ELb1ES3_N6thrust23THRUST_200600_302600_NS6detail15normal_iteratorINS9_10device_ptrIsEEEESE_SE_sNS9_4plusIvEENS9_8equal_toIsEEsEE10hipError_tPvRmT2_T3_T4_T5_mT6_T7_P12ihipStream_tbENKUlT_T0_E_clISt17integral_constantIbLb1EESZ_EEDaSU_SV_EUlSU_E_NS1_11comp_targetILNS1_3genE8ELNS1_11target_archE1030ELNS1_3gpuE2ELNS1_3repE0EEENS1_30default_config_static_selectorELNS0_4arch9wavefront6targetE0EEEvT1_,@function
_ZN7rocprim17ROCPRIM_400000_NS6detail17trampoline_kernelINS0_14default_configENS1_27scan_by_key_config_selectorIssEEZZNS1_16scan_by_key_implILNS1_25lookback_scan_determinismE0ELb1ES3_N6thrust23THRUST_200600_302600_NS6detail15normal_iteratorINS9_10device_ptrIsEEEESE_SE_sNS9_4plusIvEENS9_8equal_toIsEEsEE10hipError_tPvRmT2_T3_T4_T5_mT6_T7_P12ihipStream_tbENKUlT_T0_E_clISt17integral_constantIbLb1EESZ_EEDaSU_SV_EUlSU_E_NS1_11comp_targetILNS1_3genE8ELNS1_11target_archE1030ELNS1_3gpuE2ELNS1_3repE0EEENS1_30default_config_static_selectorELNS0_4arch9wavefront6targetE0EEEvT1_: ; @_ZN7rocprim17ROCPRIM_400000_NS6detail17trampoline_kernelINS0_14default_configENS1_27scan_by_key_config_selectorIssEEZZNS1_16scan_by_key_implILNS1_25lookback_scan_determinismE0ELb1ES3_N6thrust23THRUST_200600_302600_NS6detail15normal_iteratorINS9_10device_ptrIsEEEESE_SE_sNS9_4plusIvEENS9_8equal_toIsEEsEE10hipError_tPvRmT2_T3_T4_T5_mT6_T7_P12ihipStream_tbENKUlT_T0_E_clISt17integral_constantIbLb1EESZ_EEDaSU_SV_EUlSU_E_NS1_11comp_targetILNS1_3genE8ELNS1_11target_archE1030ELNS1_3gpuE2ELNS1_3repE0EEENS1_30default_config_static_selectorELNS0_4arch9wavefront6targetE0EEEvT1_
; %bb.0:
	s_endpgm
	.section	.rodata,"a",@progbits
	.p2align	6, 0x0
	.amdhsa_kernel _ZN7rocprim17ROCPRIM_400000_NS6detail17trampoline_kernelINS0_14default_configENS1_27scan_by_key_config_selectorIssEEZZNS1_16scan_by_key_implILNS1_25lookback_scan_determinismE0ELb1ES3_N6thrust23THRUST_200600_302600_NS6detail15normal_iteratorINS9_10device_ptrIsEEEESE_SE_sNS9_4plusIvEENS9_8equal_toIsEEsEE10hipError_tPvRmT2_T3_T4_T5_mT6_T7_P12ihipStream_tbENKUlT_T0_E_clISt17integral_constantIbLb1EESZ_EEDaSU_SV_EUlSU_E_NS1_11comp_targetILNS1_3genE8ELNS1_11target_archE1030ELNS1_3gpuE2ELNS1_3repE0EEENS1_30default_config_static_selectorELNS0_4arch9wavefront6targetE0EEEvT1_
		.amdhsa_group_segment_fixed_size 0
		.amdhsa_private_segment_fixed_size 0
		.amdhsa_kernarg_size 112
		.amdhsa_user_sgpr_count 6
		.amdhsa_user_sgpr_private_segment_buffer 1
		.amdhsa_user_sgpr_dispatch_ptr 0
		.amdhsa_user_sgpr_queue_ptr 0
		.amdhsa_user_sgpr_kernarg_segment_ptr 1
		.amdhsa_user_sgpr_dispatch_id 0
		.amdhsa_user_sgpr_flat_scratch_init 0
		.amdhsa_user_sgpr_private_segment_size 0
		.amdhsa_wavefront_size32 1
		.amdhsa_uses_dynamic_stack 0
		.amdhsa_system_sgpr_private_segment_wavefront_offset 0
		.amdhsa_system_sgpr_workgroup_id_x 1
		.amdhsa_system_sgpr_workgroup_id_y 0
		.amdhsa_system_sgpr_workgroup_id_z 0
		.amdhsa_system_sgpr_workgroup_info 0
		.amdhsa_system_vgpr_workitem_id 0
		.amdhsa_next_free_vgpr 1
		.amdhsa_next_free_sgpr 1
		.amdhsa_reserve_vcc 0
		.amdhsa_reserve_flat_scratch 0
		.amdhsa_float_round_mode_32 0
		.amdhsa_float_round_mode_16_64 0
		.amdhsa_float_denorm_mode_32 3
		.amdhsa_float_denorm_mode_16_64 3
		.amdhsa_dx10_clamp 1
		.amdhsa_ieee_mode 1
		.amdhsa_fp16_overflow 0
		.amdhsa_workgroup_processor_mode 1
		.amdhsa_memory_ordered 1
		.amdhsa_forward_progress 1
		.amdhsa_shared_vgpr_count 0
		.amdhsa_exception_fp_ieee_invalid_op 0
		.amdhsa_exception_fp_denorm_src 0
		.amdhsa_exception_fp_ieee_div_zero 0
		.amdhsa_exception_fp_ieee_overflow 0
		.amdhsa_exception_fp_ieee_underflow 0
		.amdhsa_exception_fp_ieee_inexact 0
		.amdhsa_exception_int_div_zero 0
	.end_amdhsa_kernel
	.section	.text._ZN7rocprim17ROCPRIM_400000_NS6detail17trampoline_kernelINS0_14default_configENS1_27scan_by_key_config_selectorIssEEZZNS1_16scan_by_key_implILNS1_25lookback_scan_determinismE0ELb1ES3_N6thrust23THRUST_200600_302600_NS6detail15normal_iteratorINS9_10device_ptrIsEEEESE_SE_sNS9_4plusIvEENS9_8equal_toIsEEsEE10hipError_tPvRmT2_T3_T4_T5_mT6_T7_P12ihipStream_tbENKUlT_T0_E_clISt17integral_constantIbLb1EESZ_EEDaSU_SV_EUlSU_E_NS1_11comp_targetILNS1_3genE8ELNS1_11target_archE1030ELNS1_3gpuE2ELNS1_3repE0EEENS1_30default_config_static_selectorELNS0_4arch9wavefront6targetE0EEEvT1_,"axG",@progbits,_ZN7rocprim17ROCPRIM_400000_NS6detail17trampoline_kernelINS0_14default_configENS1_27scan_by_key_config_selectorIssEEZZNS1_16scan_by_key_implILNS1_25lookback_scan_determinismE0ELb1ES3_N6thrust23THRUST_200600_302600_NS6detail15normal_iteratorINS9_10device_ptrIsEEEESE_SE_sNS9_4plusIvEENS9_8equal_toIsEEsEE10hipError_tPvRmT2_T3_T4_T5_mT6_T7_P12ihipStream_tbENKUlT_T0_E_clISt17integral_constantIbLb1EESZ_EEDaSU_SV_EUlSU_E_NS1_11comp_targetILNS1_3genE8ELNS1_11target_archE1030ELNS1_3gpuE2ELNS1_3repE0EEENS1_30default_config_static_selectorELNS0_4arch9wavefront6targetE0EEEvT1_,comdat
.Lfunc_end658:
	.size	_ZN7rocprim17ROCPRIM_400000_NS6detail17trampoline_kernelINS0_14default_configENS1_27scan_by_key_config_selectorIssEEZZNS1_16scan_by_key_implILNS1_25lookback_scan_determinismE0ELb1ES3_N6thrust23THRUST_200600_302600_NS6detail15normal_iteratorINS9_10device_ptrIsEEEESE_SE_sNS9_4plusIvEENS9_8equal_toIsEEsEE10hipError_tPvRmT2_T3_T4_T5_mT6_T7_P12ihipStream_tbENKUlT_T0_E_clISt17integral_constantIbLb1EESZ_EEDaSU_SV_EUlSU_E_NS1_11comp_targetILNS1_3genE8ELNS1_11target_archE1030ELNS1_3gpuE2ELNS1_3repE0EEENS1_30default_config_static_selectorELNS0_4arch9wavefront6targetE0EEEvT1_, .Lfunc_end658-_ZN7rocprim17ROCPRIM_400000_NS6detail17trampoline_kernelINS0_14default_configENS1_27scan_by_key_config_selectorIssEEZZNS1_16scan_by_key_implILNS1_25lookback_scan_determinismE0ELb1ES3_N6thrust23THRUST_200600_302600_NS6detail15normal_iteratorINS9_10device_ptrIsEEEESE_SE_sNS9_4plusIvEENS9_8equal_toIsEEsEE10hipError_tPvRmT2_T3_T4_T5_mT6_T7_P12ihipStream_tbENKUlT_T0_E_clISt17integral_constantIbLb1EESZ_EEDaSU_SV_EUlSU_E_NS1_11comp_targetILNS1_3genE8ELNS1_11target_archE1030ELNS1_3gpuE2ELNS1_3repE0EEENS1_30default_config_static_selectorELNS0_4arch9wavefront6targetE0EEEvT1_
                                        ; -- End function
	.set _ZN7rocprim17ROCPRIM_400000_NS6detail17trampoline_kernelINS0_14default_configENS1_27scan_by_key_config_selectorIssEEZZNS1_16scan_by_key_implILNS1_25lookback_scan_determinismE0ELb1ES3_N6thrust23THRUST_200600_302600_NS6detail15normal_iteratorINS9_10device_ptrIsEEEESE_SE_sNS9_4plusIvEENS9_8equal_toIsEEsEE10hipError_tPvRmT2_T3_T4_T5_mT6_T7_P12ihipStream_tbENKUlT_T0_E_clISt17integral_constantIbLb1EESZ_EEDaSU_SV_EUlSU_E_NS1_11comp_targetILNS1_3genE8ELNS1_11target_archE1030ELNS1_3gpuE2ELNS1_3repE0EEENS1_30default_config_static_selectorELNS0_4arch9wavefront6targetE0EEEvT1_.num_vgpr, 0
	.set _ZN7rocprim17ROCPRIM_400000_NS6detail17trampoline_kernelINS0_14default_configENS1_27scan_by_key_config_selectorIssEEZZNS1_16scan_by_key_implILNS1_25lookback_scan_determinismE0ELb1ES3_N6thrust23THRUST_200600_302600_NS6detail15normal_iteratorINS9_10device_ptrIsEEEESE_SE_sNS9_4plusIvEENS9_8equal_toIsEEsEE10hipError_tPvRmT2_T3_T4_T5_mT6_T7_P12ihipStream_tbENKUlT_T0_E_clISt17integral_constantIbLb1EESZ_EEDaSU_SV_EUlSU_E_NS1_11comp_targetILNS1_3genE8ELNS1_11target_archE1030ELNS1_3gpuE2ELNS1_3repE0EEENS1_30default_config_static_selectorELNS0_4arch9wavefront6targetE0EEEvT1_.num_agpr, 0
	.set _ZN7rocprim17ROCPRIM_400000_NS6detail17trampoline_kernelINS0_14default_configENS1_27scan_by_key_config_selectorIssEEZZNS1_16scan_by_key_implILNS1_25lookback_scan_determinismE0ELb1ES3_N6thrust23THRUST_200600_302600_NS6detail15normal_iteratorINS9_10device_ptrIsEEEESE_SE_sNS9_4plusIvEENS9_8equal_toIsEEsEE10hipError_tPvRmT2_T3_T4_T5_mT6_T7_P12ihipStream_tbENKUlT_T0_E_clISt17integral_constantIbLb1EESZ_EEDaSU_SV_EUlSU_E_NS1_11comp_targetILNS1_3genE8ELNS1_11target_archE1030ELNS1_3gpuE2ELNS1_3repE0EEENS1_30default_config_static_selectorELNS0_4arch9wavefront6targetE0EEEvT1_.numbered_sgpr, 0
	.set _ZN7rocprim17ROCPRIM_400000_NS6detail17trampoline_kernelINS0_14default_configENS1_27scan_by_key_config_selectorIssEEZZNS1_16scan_by_key_implILNS1_25lookback_scan_determinismE0ELb1ES3_N6thrust23THRUST_200600_302600_NS6detail15normal_iteratorINS9_10device_ptrIsEEEESE_SE_sNS9_4plusIvEENS9_8equal_toIsEEsEE10hipError_tPvRmT2_T3_T4_T5_mT6_T7_P12ihipStream_tbENKUlT_T0_E_clISt17integral_constantIbLb1EESZ_EEDaSU_SV_EUlSU_E_NS1_11comp_targetILNS1_3genE8ELNS1_11target_archE1030ELNS1_3gpuE2ELNS1_3repE0EEENS1_30default_config_static_selectorELNS0_4arch9wavefront6targetE0EEEvT1_.num_named_barrier, 0
	.set _ZN7rocprim17ROCPRIM_400000_NS6detail17trampoline_kernelINS0_14default_configENS1_27scan_by_key_config_selectorIssEEZZNS1_16scan_by_key_implILNS1_25lookback_scan_determinismE0ELb1ES3_N6thrust23THRUST_200600_302600_NS6detail15normal_iteratorINS9_10device_ptrIsEEEESE_SE_sNS9_4plusIvEENS9_8equal_toIsEEsEE10hipError_tPvRmT2_T3_T4_T5_mT6_T7_P12ihipStream_tbENKUlT_T0_E_clISt17integral_constantIbLb1EESZ_EEDaSU_SV_EUlSU_E_NS1_11comp_targetILNS1_3genE8ELNS1_11target_archE1030ELNS1_3gpuE2ELNS1_3repE0EEENS1_30default_config_static_selectorELNS0_4arch9wavefront6targetE0EEEvT1_.private_seg_size, 0
	.set _ZN7rocprim17ROCPRIM_400000_NS6detail17trampoline_kernelINS0_14default_configENS1_27scan_by_key_config_selectorIssEEZZNS1_16scan_by_key_implILNS1_25lookback_scan_determinismE0ELb1ES3_N6thrust23THRUST_200600_302600_NS6detail15normal_iteratorINS9_10device_ptrIsEEEESE_SE_sNS9_4plusIvEENS9_8equal_toIsEEsEE10hipError_tPvRmT2_T3_T4_T5_mT6_T7_P12ihipStream_tbENKUlT_T0_E_clISt17integral_constantIbLb1EESZ_EEDaSU_SV_EUlSU_E_NS1_11comp_targetILNS1_3genE8ELNS1_11target_archE1030ELNS1_3gpuE2ELNS1_3repE0EEENS1_30default_config_static_selectorELNS0_4arch9wavefront6targetE0EEEvT1_.uses_vcc, 0
	.set _ZN7rocprim17ROCPRIM_400000_NS6detail17trampoline_kernelINS0_14default_configENS1_27scan_by_key_config_selectorIssEEZZNS1_16scan_by_key_implILNS1_25lookback_scan_determinismE0ELb1ES3_N6thrust23THRUST_200600_302600_NS6detail15normal_iteratorINS9_10device_ptrIsEEEESE_SE_sNS9_4plusIvEENS9_8equal_toIsEEsEE10hipError_tPvRmT2_T3_T4_T5_mT6_T7_P12ihipStream_tbENKUlT_T0_E_clISt17integral_constantIbLb1EESZ_EEDaSU_SV_EUlSU_E_NS1_11comp_targetILNS1_3genE8ELNS1_11target_archE1030ELNS1_3gpuE2ELNS1_3repE0EEENS1_30default_config_static_selectorELNS0_4arch9wavefront6targetE0EEEvT1_.uses_flat_scratch, 0
	.set _ZN7rocprim17ROCPRIM_400000_NS6detail17trampoline_kernelINS0_14default_configENS1_27scan_by_key_config_selectorIssEEZZNS1_16scan_by_key_implILNS1_25lookback_scan_determinismE0ELb1ES3_N6thrust23THRUST_200600_302600_NS6detail15normal_iteratorINS9_10device_ptrIsEEEESE_SE_sNS9_4plusIvEENS9_8equal_toIsEEsEE10hipError_tPvRmT2_T3_T4_T5_mT6_T7_P12ihipStream_tbENKUlT_T0_E_clISt17integral_constantIbLb1EESZ_EEDaSU_SV_EUlSU_E_NS1_11comp_targetILNS1_3genE8ELNS1_11target_archE1030ELNS1_3gpuE2ELNS1_3repE0EEENS1_30default_config_static_selectorELNS0_4arch9wavefront6targetE0EEEvT1_.has_dyn_sized_stack, 0
	.set _ZN7rocprim17ROCPRIM_400000_NS6detail17trampoline_kernelINS0_14default_configENS1_27scan_by_key_config_selectorIssEEZZNS1_16scan_by_key_implILNS1_25lookback_scan_determinismE0ELb1ES3_N6thrust23THRUST_200600_302600_NS6detail15normal_iteratorINS9_10device_ptrIsEEEESE_SE_sNS9_4plusIvEENS9_8equal_toIsEEsEE10hipError_tPvRmT2_T3_T4_T5_mT6_T7_P12ihipStream_tbENKUlT_T0_E_clISt17integral_constantIbLb1EESZ_EEDaSU_SV_EUlSU_E_NS1_11comp_targetILNS1_3genE8ELNS1_11target_archE1030ELNS1_3gpuE2ELNS1_3repE0EEENS1_30default_config_static_selectorELNS0_4arch9wavefront6targetE0EEEvT1_.has_recursion, 0
	.set _ZN7rocprim17ROCPRIM_400000_NS6detail17trampoline_kernelINS0_14default_configENS1_27scan_by_key_config_selectorIssEEZZNS1_16scan_by_key_implILNS1_25lookback_scan_determinismE0ELb1ES3_N6thrust23THRUST_200600_302600_NS6detail15normal_iteratorINS9_10device_ptrIsEEEESE_SE_sNS9_4plusIvEENS9_8equal_toIsEEsEE10hipError_tPvRmT2_T3_T4_T5_mT6_T7_P12ihipStream_tbENKUlT_T0_E_clISt17integral_constantIbLb1EESZ_EEDaSU_SV_EUlSU_E_NS1_11comp_targetILNS1_3genE8ELNS1_11target_archE1030ELNS1_3gpuE2ELNS1_3repE0EEENS1_30default_config_static_selectorELNS0_4arch9wavefront6targetE0EEEvT1_.has_indirect_call, 0
	.section	.AMDGPU.csdata,"",@progbits
; Kernel info:
; codeLenInByte = 4
; TotalNumSgprs: 0
; NumVgprs: 0
; ScratchSize: 0
; MemoryBound: 0
; FloatMode: 240
; IeeeMode: 1
; LDSByteSize: 0 bytes/workgroup (compile time only)
; SGPRBlocks: 0
; VGPRBlocks: 0
; NumSGPRsForWavesPerEU: 1
; NumVGPRsForWavesPerEU: 1
; Occupancy: 16
; WaveLimiterHint : 0
; COMPUTE_PGM_RSRC2:SCRATCH_EN: 0
; COMPUTE_PGM_RSRC2:USER_SGPR: 6
; COMPUTE_PGM_RSRC2:TRAP_HANDLER: 0
; COMPUTE_PGM_RSRC2:TGID_X_EN: 1
; COMPUTE_PGM_RSRC2:TGID_Y_EN: 0
; COMPUTE_PGM_RSRC2:TGID_Z_EN: 0
; COMPUTE_PGM_RSRC2:TIDIG_COMP_CNT: 0
	.section	.text._ZN7rocprim17ROCPRIM_400000_NS6detail17trampoline_kernelINS0_14default_configENS1_27scan_by_key_config_selectorIssEEZZNS1_16scan_by_key_implILNS1_25lookback_scan_determinismE0ELb1ES3_N6thrust23THRUST_200600_302600_NS6detail15normal_iteratorINS9_10device_ptrIsEEEESE_SE_sNS9_4plusIvEENS9_8equal_toIsEEsEE10hipError_tPvRmT2_T3_T4_T5_mT6_T7_P12ihipStream_tbENKUlT_T0_E_clISt17integral_constantIbLb1EESY_IbLb0EEEEDaSU_SV_EUlSU_E_NS1_11comp_targetILNS1_3genE0ELNS1_11target_archE4294967295ELNS1_3gpuE0ELNS1_3repE0EEENS1_30default_config_static_selectorELNS0_4arch9wavefront6targetE0EEEvT1_,"axG",@progbits,_ZN7rocprim17ROCPRIM_400000_NS6detail17trampoline_kernelINS0_14default_configENS1_27scan_by_key_config_selectorIssEEZZNS1_16scan_by_key_implILNS1_25lookback_scan_determinismE0ELb1ES3_N6thrust23THRUST_200600_302600_NS6detail15normal_iteratorINS9_10device_ptrIsEEEESE_SE_sNS9_4plusIvEENS9_8equal_toIsEEsEE10hipError_tPvRmT2_T3_T4_T5_mT6_T7_P12ihipStream_tbENKUlT_T0_E_clISt17integral_constantIbLb1EESY_IbLb0EEEEDaSU_SV_EUlSU_E_NS1_11comp_targetILNS1_3genE0ELNS1_11target_archE4294967295ELNS1_3gpuE0ELNS1_3repE0EEENS1_30default_config_static_selectorELNS0_4arch9wavefront6targetE0EEEvT1_,comdat
	.protected	_ZN7rocprim17ROCPRIM_400000_NS6detail17trampoline_kernelINS0_14default_configENS1_27scan_by_key_config_selectorIssEEZZNS1_16scan_by_key_implILNS1_25lookback_scan_determinismE0ELb1ES3_N6thrust23THRUST_200600_302600_NS6detail15normal_iteratorINS9_10device_ptrIsEEEESE_SE_sNS9_4plusIvEENS9_8equal_toIsEEsEE10hipError_tPvRmT2_T3_T4_T5_mT6_T7_P12ihipStream_tbENKUlT_T0_E_clISt17integral_constantIbLb1EESY_IbLb0EEEEDaSU_SV_EUlSU_E_NS1_11comp_targetILNS1_3genE0ELNS1_11target_archE4294967295ELNS1_3gpuE0ELNS1_3repE0EEENS1_30default_config_static_selectorELNS0_4arch9wavefront6targetE0EEEvT1_ ; -- Begin function _ZN7rocprim17ROCPRIM_400000_NS6detail17trampoline_kernelINS0_14default_configENS1_27scan_by_key_config_selectorIssEEZZNS1_16scan_by_key_implILNS1_25lookback_scan_determinismE0ELb1ES3_N6thrust23THRUST_200600_302600_NS6detail15normal_iteratorINS9_10device_ptrIsEEEESE_SE_sNS9_4plusIvEENS9_8equal_toIsEEsEE10hipError_tPvRmT2_T3_T4_T5_mT6_T7_P12ihipStream_tbENKUlT_T0_E_clISt17integral_constantIbLb1EESY_IbLb0EEEEDaSU_SV_EUlSU_E_NS1_11comp_targetILNS1_3genE0ELNS1_11target_archE4294967295ELNS1_3gpuE0ELNS1_3repE0EEENS1_30default_config_static_selectorELNS0_4arch9wavefront6targetE0EEEvT1_
	.globl	_ZN7rocprim17ROCPRIM_400000_NS6detail17trampoline_kernelINS0_14default_configENS1_27scan_by_key_config_selectorIssEEZZNS1_16scan_by_key_implILNS1_25lookback_scan_determinismE0ELb1ES3_N6thrust23THRUST_200600_302600_NS6detail15normal_iteratorINS9_10device_ptrIsEEEESE_SE_sNS9_4plusIvEENS9_8equal_toIsEEsEE10hipError_tPvRmT2_T3_T4_T5_mT6_T7_P12ihipStream_tbENKUlT_T0_E_clISt17integral_constantIbLb1EESY_IbLb0EEEEDaSU_SV_EUlSU_E_NS1_11comp_targetILNS1_3genE0ELNS1_11target_archE4294967295ELNS1_3gpuE0ELNS1_3repE0EEENS1_30default_config_static_selectorELNS0_4arch9wavefront6targetE0EEEvT1_
	.p2align	8
	.type	_ZN7rocprim17ROCPRIM_400000_NS6detail17trampoline_kernelINS0_14default_configENS1_27scan_by_key_config_selectorIssEEZZNS1_16scan_by_key_implILNS1_25lookback_scan_determinismE0ELb1ES3_N6thrust23THRUST_200600_302600_NS6detail15normal_iteratorINS9_10device_ptrIsEEEESE_SE_sNS9_4plusIvEENS9_8equal_toIsEEsEE10hipError_tPvRmT2_T3_T4_T5_mT6_T7_P12ihipStream_tbENKUlT_T0_E_clISt17integral_constantIbLb1EESY_IbLb0EEEEDaSU_SV_EUlSU_E_NS1_11comp_targetILNS1_3genE0ELNS1_11target_archE4294967295ELNS1_3gpuE0ELNS1_3repE0EEENS1_30default_config_static_selectorELNS0_4arch9wavefront6targetE0EEEvT1_,@function
_ZN7rocprim17ROCPRIM_400000_NS6detail17trampoline_kernelINS0_14default_configENS1_27scan_by_key_config_selectorIssEEZZNS1_16scan_by_key_implILNS1_25lookback_scan_determinismE0ELb1ES3_N6thrust23THRUST_200600_302600_NS6detail15normal_iteratorINS9_10device_ptrIsEEEESE_SE_sNS9_4plusIvEENS9_8equal_toIsEEsEE10hipError_tPvRmT2_T3_T4_T5_mT6_T7_P12ihipStream_tbENKUlT_T0_E_clISt17integral_constantIbLb1EESY_IbLb0EEEEDaSU_SV_EUlSU_E_NS1_11comp_targetILNS1_3genE0ELNS1_11target_archE4294967295ELNS1_3gpuE0ELNS1_3repE0EEENS1_30default_config_static_selectorELNS0_4arch9wavefront6targetE0EEEvT1_: ; @_ZN7rocprim17ROCPRIM_400000_NS6detail17trampoline_kernelINS0_14default_configENS1_27scan_by_key_config_selectorIssEEZZNS1_16scan_by_key_implILNS1_25lookback_scan_determinismE0ELb1ES3_N6thrust23THRUST_200600_302600_NS6detail15normal_iteratorINS9_10device_ptrIsEEEESE_SE_sNS9_4plusIvEENS9_8equal_toIsEEsEE10hipError_tPvRmT2_T3_T4_T5_mT6_T7_P12ihipStream_tbENKUlT_T0_E_clISt17integral_constantIbLb1EESY_IbLb0EEEEDaSU_SV_EUlSU_E_NS1_11comp_targetILNS1_3genE0ELNS1_11target_archE4294967295ELNS1_3gpuE0ELNS1_3repE0EEENS1_30default_config_static_selectorELNS0_4arch9wavefront6targetE0EEEvT1_
; %bb.0:
	.section	.rodata,"a",@progbits
	.p2align	6, 0x0
	.amdhsa_kernel _ZN7rocprim17ROCPRIM_400000_NS6detail17trampoline_kernelINS0_14default_configENS1_27scan_by_key_config_selectorIssEEZZNS1_16scan_by_key_implILNS1_25lookback_scan_determinismE0ELb1ES3_N6thrust23THRUST_200600_302600_NS6detail15normal_iteratorINS9_10device_ptrIsEEEESE_SE_sNS9_4plusIvEENS9_8equal_toIsEEsEE10hipError_tPvRmT2_T3_T4_T5_mT6_T7_P12ihipStream_tbENKUlT_T0_E_clISt17integral_constantIbLb1EESY_IbLb0EEEEDaSU_SV_EUlSU_E_NS1_11comp_targetILNS1_3genE0ELNS1_11target_archE4294967295ELNS1_3gpuE0ELNS1_3repE0EEENS1_30default_config_static_selectorELNS0_4arch9wavefront6targetE0EEEvT1_
		.amdhsa_group_segment_fixed_size 0
		.amdhsa_private_segment_fixed_size 0
		.amdhsa_kernarg_size 112
		.amdhsa_user_sgpr_count 6
		.amdhsa_user_sgpr_private_segment_buffer 1
		.amdhsa_user_sgpr_dispatch_ptr 0
		.amdhsa_user_sgpr_queue_ptr 0
		.amdhsa_user_sgpr_kernarg_segment_ptr 1
		.amdhsa_user_sgpr_dispatch_id 0
		.amdhsa_user_sgpr_flat_scratch_init 0
		.amdhsa_user_sgpr_private_segment_size 0
		.amdhsa_wavefront_size32 1
		.amdhsa_uses_dynamic_stack 0
		.amdhsa_system_sgpr_private_segment_wavefront_offset 0
		.amdhsa_system_sgpr_workgroup_id_x 1
		.amdhsa_system_sgpr_workgroup_id_y 0
		.amdhsa_system_sgpr_workgroup_id_z 0
		.amdhsa_system_sgpr_workgroup_info 0
		.amdhsa_system_vgpr_workitem_id 0
		.amdhsa_next_free_vgpr 1
		.amdhsa_next_free_sgpr 1
		.amdhsa_reserve_vcc 0
		.amdhsa_reserve_flat_scratch 0
		.amdhsa_float_round_mode_32 0
		.amdhsa_float_round_mode_16_64 0
		.amdhsa_float_denorm_mode_32 3
		.amdhsa_float_denorm_mode_16_64 3
		.amdhsa_dx10_clamp 1
		.amdhsa_ieee_mode 1
		.amdhsa_fp16_overflow 0
		.amdhsa_workgroup_processor_mode 1
		.amdhsa_memory_ordered 1
		.amdhsa_forward_progress 1
		.amdhsa_shared_vgpr_count 0
		.amdhsa_exception_fp_ieee_invalid_op 0
		.amdhsa_exception_fp_denorm_src 0
		.amdhsa_exception_fp_ieee_div_zero 0
		.amdhsa_exception_fp_ieee_overflow 0
		.amdhsa_exception_fp_ieee_underflow 0
		.amdhsa_exception_fp_ieee_inexact 0
		.amdhsa_exception_int_div_zero 0
	.end_amdhsa_kernel
	.section	.text._ZN7rocprim17ROCPRIM_400000_NS6detail17trampoline_kernelINS0_14default_configENS1_27scan_by_key_config_selectorIssEEZZNS1_16scan_by_key_implILNS1_25lookback_scan_determinismE0ELb1ES3_N6thrust23THRUST_200600_302600_NS6detail15normal_iteratorINS9_10device_ptrIsEEEESE_SE_sNS9_4plusIvEENS9_8equal_toIsEEsEE10hipError_tPvRmT2_T3_T4_T5_mT6_T7_P12ihipStream_tbENKUlT_T0_E_clISt17integral_constantIbLb1EESY_IbLb0EEEEDaSU_SV_EUlSU_E_NS1_11comp_targetILNS1_3genE0ELNS1_11target_archE4294967295ELNS1_3gpuE0ELNS1_3repE0EEENS1_30default_config_static_selectorELNS0_4arch9wavefront6targetE0EEEvT1_,"axG",@progbits,_ZN7rocprim17ROCPRIM_400000_NS6detail17trampoline_kernelINS0_14default_configENS1_27scan_by_key_config_selectorIssEEZZNS1_16scan_by_key_implILNS1_25lookback_scan_determinismE0ELb1ES3_N6thrust23THRUST_200600_302600_NS6detail15normal_iteratorINS9_10device_ptrIsEEEESE_SE_sNS9_4plusIvEENS9_8equal_toIsEEsEE10hipError_tPvRmT2_T3_T4_T5_mT6_T7_P12ihipStream_tbENKUlT_T0_E_clISt17integral_constantIbLb1EESY_IbLb0EEEEDaSU_SV_EUlSU_E_NS1_11comp_targetILNS1_3genE0ELNS1_11target_archE4294967295ELNS1_3gpuE0ELNS1_3repE0EEENS1_30default_config_static_selectorELNS0_4arch9wavefront6targetE0EEEvT1_,comdat
.Lfunc_end659:
	.size	_ZN7rocprim17ROCPRIM_400000_NS6detail17trampoline_kernelINS0_14default_configENS1_27scan_by_key_config_selectorIssEEZZNS1_16scan_by_key_implILNS1_25lookback_scan_determinismE0ELb1ES3_N6thrust23THRUST_200600_302600_NS6detail15normal_iteratorINS9_10device_ptrIsEEEESE_SE_sNS9_4plusIvEENS9_8equal_toIsEEsEE10hipError_tPvRmT2_T3_T4_T5_mT6_T7_P12ihipStream_tbENKUlT_T0_E_clISt17integral_constantIbLb1EESY_IbLb0EEEEDaSU_SV_EUlSU_E_NS1_11comp_targetILNS1_3genE0ELNS1_11target_archE4294967295ELNS1_3gpuE0ELNS1_3repE0EEENS1_30default_config_static_selectorELNS0_4arch9wavefront6targetE0EEEvT1_, .Lfunc_end659-_ZN7rocprim17ROCPRIM_400000_NS6detail17trampoline_kernelINS0_14default_configENS1_27scan_by_key_config_selectorIssEEZZNS1_16scan_by_key_implILNS1_25lookback_scan_determinismE0ELb1ES3_N6thrust23THRUST_200600_302600_NS6detail15normal_iteratorINS9_10device_ptrIsEEEESE_SE_sNS9_4plusIvEENS9_8equal_toIsEEsEE10hipError_tPvRmT2_T3_T4_T5_mT6_T7_P12ihipStream_tbENKUlT_T0_E_clISt17integral_constantIbLb1EESY_IbLb0EEEEDaSU_SV_EUlSU_E_NS1_11comp_targetILNS1_3genE0ELNS1_11target_archE4294967295ELNS1_3gpuE0ELNS1_3repE0EEENS1_30default_config_static_selectorELNS0_4arch9wavefront6targetE0EEEvT1_
                                        ; -- End function
	.set _ZN7rocprim17ROCPRIM_400000_NS6detail17trampoline_kernelINS0_14default_configENS1_27scan_by_key_config_selectorIssEEZZNS1_16scan_by_key_implILNS1_25lookback_scan_determinismE0ELb1ES3_N6thrust23THRUST_200600_302600_NS6detail15normal_iteratorINS9_10device_ptrIsEEEESE_SE_sNS9_4plusIvEENS9_8equal_toIsEEsEE10hipError_tPvRmT2_T3_T4_T5_mT6_T7_P12ihipStream_tbENKUlT_T0_E_clISt17integral_constantIbLb1EESY_IbLb0EEEEDaSU_SV_EUlSU_E_NS1_11comp_targetILNS1_3genE0ELNS1_11target_archE4294967295ELNS1_3gpuE0ELNS1_3repE0EEENS1_30default_config_static_selectorELNS0_4arch9wavefront6targetE0EEEvT1_.num_vgpr, 0
	.set _ZN7rocprim17ROCPRIM_400000_NS6detail17trampoline_kernelINS0_14default_configENS1_27scan_by_key_config_selectorIssEEZZNS1_16scan_by_key_implILNS1_25lookback_scan_determinismE0ELb1ES3_N6thrust23THRUST_200600_302600_NS6detail15normal_iteratorINS9_10device_ptrIsEEEESE_SE_sNS9_4plusIvEENS9_8equal_toIsEEsEE10hipError_tPvRmT2_T3_T4_T5_mT6_T7_P12ihipStream_tbENKUlT_T0_E_clISt17integral_constantIbLb1EESY_IbLb0EEEEDaSU_SV_EUlSU_E_NS1_11comp_targetILNS1_3genE0ELNS1_11target_archE4294967295ELNS1_3gpuE0ELNS1_3repE0EEENS1_30default_config_static_selectorELNS0_4arch9wavefront6targetE0EEEvT1_.num_agpr, 0
	.set _ZN7rocprim17ROCPRIM_400000_NS6detail17trampoline_kernelINS0_14default_configENS1_27scan_by_key_config_selectorIssEEZZNS1_16scan_by_key_implILNS1_25lookback_scan_determinismE0ELb1ES3_N6thrust23THRUST_200600_302600_NS6detail15normal_iteratorINS9_10device_ptrIsEEEESE_SE_sNS9_4plusIvEENS9_8equal_toIsEEsEE10hipError_tPvRmT2_T3_T4_T5_mT6_T7_P12ihipStream_tbENKUlT_T0_E_clISt17integral_constantIbLb1EESY_IbLb0EEEEDaSU_SV_EUlSU_E_NS1_11comp_targetILNS1_3genE0ELNS1_11target_archE4294967295ELNS1_3gpuE0ELNS1_3repE0EEENS1_30default_config_static_selectorELNS0_4arch9wavefront6targetE0EEEvT1_.numbered_sgpr, 0
	.set _ZN7rocprim17ROCPRIM_400000_NS6detail17trampoline_kernelINS0_14default_configENS1_27scan_by_key_config_selectorIssEEZZNS1_16scan_by_key_implILNS1_25lookback_scan_determinismE0ELb1ES3_N6thrust23THRUST_200600_302600_NS6detail15normal_iteratorINS9_10device_ptrIsEEEESE_SE_sNS9_4plusIvEENS9_8equal_toIsEEsEE10hipError_tPvRmT2_T3_T4_T5_mT6_T7_P12ihipStream_tbENKUlT_T0_E_clISt17integral_constantIbLb1EESY_IbLb0EEEEDaSU_SV_EUlSU_E_NS1_11comp_targetILNS1_3genE0ELNS1_11target_archE4294967295ELNS1_3gpuE0ELNS1_3repE0EEENS1_30default_config_static_selectorELNS0_4arch9wavefront6targetE0EEEvT1_.num_named_barrier, 0
	.set _ZN7rocprim17ROCPRIM_400000_NS6detail17trampoline_kernelINS0_14default_configENS1_27scan_by_key_config_selectorIssEEZZNS1_16scan_by_key_implILNS1_25lookback_scan_determinismE0ELb1ES3_N6thrust23THRUST_200600_302600_NS6detail15normal_iteratorINS9_10device_ptrIsEEEESE_SE_sNS9_4plusIvEENS9_8equal_toIsEEsEE10hipError_tPvRmT2_T3_T4_T5_mT6_T7_P12ihipStream_tbENKUlT_T0_E_clISt17integral_constantIbLb1EESY_IbLb0EEEEDaSU_SV_EUlSU_E_NS1_11comp_targetILNS1_3genE0ELNS1_11target_archE4294967295ELNS1_3gpuE0ELNS1_3repE0EEENS1_30default_config_static_selectorELNS0_4arch9wavefront6targetE0EEEvT1_.private_seg_size, 0
	.set _ZN7rocprim17ROCPRIM_400000_NS6detail17trampoline_kernelINS0_14default_configENS1_27scan_by_key_config_selectorIssEEZZNS1_16scan_by_key_implILNS1_25lookback_scan_determinismE0ELb1ES3_N6thrust23THRUST_200600_302600_NS6detail15normal_iteratorINS9_10device_ptrIsEEEESE_SE_sNS9_4plusIvEENS9_8equal_toIsEEsEE10hipError_tPvRmT2_T3_T4_T5_mT6_T7_P12ihipStream_tbENKUlT_T0_E_clISt17integral_constantIbLb1EESY_IbLb0EEEEDaSU_SV_EUlSU_E_NS1_11comp_targetILNS1_3genE0ELNS1_11target_archE4294967295ELNS1_3gpuE0ELNS1_3repE0EEENS1_30default_config_static_selectorELNS0_4arch9wavefront6targetE0EEEvT1_.uses_vcc, 0
	.set _ZN7rocprim17ROCPRIM_400000_NS6detail17trampoline_kernelINS0_14default_configENS1_27scan_by_key_config_selectorIssEEZZNS1_16scan_by_key_implILNS1_25lookback_scan_determinismE0ELb1ES3_N6thrust23THRUST_200600_302600_NS6detail15normal_iteratorINS9_10device_ptrIsEEEESE_SE_sNS9_4plusIvEENS9_8equal_toIsEEsEE10hipError_tPvRmT2_T3_T4_T5_mT6_T7_P12ihipStream_tbENKUlT_T0_E_clISt17integral_constantIbLb1EESY_IbLb0EEEEDaSU_SV_EUlSU_E_NS1_11comp_targetILNS1_3genE0ELNS1_11target_archE4294967295ELNS1_3gpuE0ELNS1_3repE0EEENS1_30default_config_static_selectorELNS0_4arch9wavefront6targetE0EEEvT1_.uses_flat_scratch, 0
	.set _ZN7rocprim17ROCPRIM_400000_NS6detail17trampoline_kernelINS0_14default_configENS1_27scan_by_key_config_selectorIssEEZZNS1_16scan_by_key_implILNS1_25lookback_scan_determinismE0ELb1ES3_N6thrust23THRUST_200600_302600_NS6detail15normal_iteratorINS9_10device_ptrIsEEEESE_SE_sNS9_4plusIvEENS9_8equal_toIsEEsEE10hipError_tPvRmT2_T3_T4_T5_mT6_T7_P12ihipStream_tbENKUlT_T0_E_clISt17integral_constantIbLb1EESY_IbLb0EEEEDaSU_SV_EUlSU_E_NS1_11comp_targetILNS1_3genE0ELNS1_11target_archE4294967295ELNS1_3gpuE0ELNS1_3repE0EEENS1_30default_config_static_selectorELNS0_4arch9wavefront6targetE0EEEvT1_.has_dyn_sized_stack, 0
	.set _ZN7rocprim17ROCPRIM_400000_NS6detail17trampoline_kernelINS0_14default_configENS1_27scan_by_key_config_selectorIssEEZZNS1_16scan_by_key_implILNS1_25lookback_scan_determinismE0ELb1ES3_N6thrust23THRUST_200600_302600_NS6detail15normal_iteratorINS9_10device_ptrIsEEEESE_SE_sNS9_4plusIvEENS9_8equal_toIsEEsEE10hipError_tPvRmT2_T3_T4_T5_mT6_T7_P12ihipStream_tbENKUlT_T0_E_clISt17integral_constantIbLb1EESY_IbLb0EEEEDaSU_SV_EUlSU_E_NS1_11comp_targetILNS1_3genE0ELNS1_11target_archE4294967295ELNS1_3gpuE0ELNS1_3repE0EEENS1_30default_config_static_selectorELNS0_4arch9wavefront6targetE0EEEvT1_.has_recursion, 0
	.set _ZN7rocprim17ROCPRIM_400000_NS6detail17trampoline_kernelINS0_14default_configENS1_27scan_by_key_config_selectorIssEEZZNS1_16scan_by_key_implILNS1_25lookback_scan_determinismE0ELb1ES3_N6thrust23THRUST_200600_302600_NS6detail15normal_iteratorINS9_10device_ptrIsEEEESE_SE_sNS9_4plusIvEENS9_8equal_toIsEEsEE10hipError_tPvRmT2_T3_T4_T5_mT6_T7_P12ihipStream_tbENKUlT_T0_E_clISt17integral_constantIbLb1EESY_IbLb0EEEEDaSU_SV_EUlSU_E_NS1_11comp_targetILNS1_3genE0ELNS1_11target_archE4294967295ELNS1_3gpuE0ELNS1_3repE0EEENS1_30default_config_static_selectorELNS0_4arch9wavefront6targetE0EEEvT1_.has_indirect_call, 0
	.section	.AMDGPU.csdata,"",@progbits
; Kernel info:
; codeLenInByte = 0
; TotalNumSgprs: 0
; NumVgprs: 0
; ScratchSize: 0
; MemoryBound: 0
; FloatMode: 240
; IeeeMode: 1
; LDSByteSize: 0 bytes/workgroup (compile time only)
; SGPRBlocks: 0
; VGPRBlocks: 0
; NumSGPRsForWavesPerEU: 1
; NumVGPRsForWavesPerEU: 1
; Occupancy: 16
; WaveLimiterHint : 0
; COMPUTE_PGM_RSRC2:SCRATCH_EN: 0
; COMPUTE_PGM_RSRC2:USER_SGPR: 6
; COMPUTE_PGM_RSRC2:TRAP_HANDLER: 0
; COMPUTE_PGM_RSRC2:TGID_X_EN: 1
; COMPUTE_PGM_RSRC2:TGID_Y_EN: 0
; COMPUTE_PGM_RSRC2:TGID_Z_EN: 0
; COMPUTE_PGM_RSRC2:TIDIG_COMP_CNT: 0
	.section	.text._ZN7rocprim17ROCPRIM_400000_NS6detail17trampoline_kernelINS0_14default_configENS1_27scan_by_key_config_selectorIssEEZZNS1_16scan_by_key_implILNS1_25lookback_scan_determinismE0ELb1ES3_N6thrust23THRUST_200600_302600_NS6detail15normal_iteratorINS9_10device_ptrIsEEEESE_SE_sNS9_4plusIvEENS9_8equal_toIsEEsEE10hipError_tPvRmT2_T3_T4_T5_mT6_T7_P12ihipStream_tbENKUlT_T0_E_clISt17integral_constantIbLb1EESY_IbLb0EEEEDaSU_SV_EUlSU_E_NS1_11comp_targetILNS1_3genE10ELNS1_11target_archE1201ELNS1_3gpuE5ELNS1_3repE0EEENS1_30default_config_static_selectorELNS0_4arch9wavefront6targetE0EEEvT1_,"axG",@progbits,_ZN7rocprim17ROCPRIM_400000_NS6detail17trampoline_kernelINS0_14default_configENS1_27scan_by_key_config_selectorIssEEZZNS1_16scan_by_key_implILNS1_25lookback_scan_determinismE0ELb1ES3_N6thrust23THRUST_200600_302600_NS6detail15normal_iteratorINS9_10device_ptrIsEEEESE_SE_sNS9_4plusIvEENS9_8equal_toIsEEsEE10hipError_tPvRmT2_T3_T4_T5_mT6_T7_P12ihipStream_tbENKUlT_T0_E_clISt17integral_constantIbLb1EESY_IbLb0EEEEDaSU_SV_EUlSU_E_NS1_11comp_targetILNS1_3genE10ELNS1_11target_archE1201ELNS1_3gpuE5ELNS1_3repE0EEENS1_30default_config_static_selectorELNS0_4arch9wavefront6targetE0EEEvT1_,comdat
	.protected	_ZN7rocprim17ROCPRIM_400000_NS6detail17trampoline_kernelINS0_14default_configENS1_27scan_by_key_config_selectorIssEEZZNS1_16scan_by_key_implILNS1_25lookback_scan_determinismE0ELb1ES3_N6thrust23THRUST_200600_302600_NS6detail15normal_iteratorINS9_10device_ptrIsEEEESE_SE_sNS9_4plusIvEENS9_8equal_toIsEEsEE10hipError_tPvRmT2_T3_T4_T5_mT6_T7_P12ihipStream_tbENKUlT_T0_E_clISt17integral_constantIbLb1EESY_IbLb0EEEEDaSU_SV_EUlSU_E_NS1_11comp_targetILNS1_3genE10ELNS1_11target_archE1201ELNS1_3gpuE5ELNS1_3repE0EEENS1_30default_config_static_selectorELNS0_4arch9wavefront6targetE0EEEvT1_ ; -- Begin function _ZN7rocprim17ROCPRIM_400000_NS6detail17trampoline_kernelINS0_14default_configENS1_27scan_by_key_config_selectorIssEEZZNS1_16scan_by_key_implILNS1_25lookback_scan_determinismE0ELb1ES3_N6thrust23THRUST_200600_302600_NS6detail15normal_iteratorINS9_10device_ptrIsEEEESE_SE_sNS9_4plusIvEENS9_8equal_toIsEEsEE10hipError_tPvRmT2_T3_T4_T5_mT6_T7_P12ihipStream_tbENKUlT_T0_E_clISt17integral_constantIbLb1EESY_IbLb0EEEEDaSU_SV_EUlSU_E_NS1_11comp_targetILNS1_3genE10ELNS1_11target_archE1201ELNS1_3gpuE5ELNS1_3repE0EEENS1_30default_config_static_selectorELNS0_4arch9wavefront6targetE0EEEvT1_
	.globl	_ZN7rocprim17ROCPRIM_400000_NS6detail17trampoline_kernelINS0_14default_configENS1_27scan_by_key_config_selectorIssEEZZNS1_16scan_by_key_implILNS1_25lookback_scan_determinismE0ELb1ES3_N6thrust23THRUST_200600_302600_NS6detail15normal_iteratorINS9_10device_ptrIsEEEESE_SE_sNS9_4plusIvEENS9_8equal_toIsEEsEE10hipError_tPvRmT2_T3_T4_T5_mT6_T7_P12ihipStream_tbENKUlT_T0_E_clISt17integral_constantIbLb1EESY_IbLb0EEEEDaSU_SV_EUlSU_E_NS1_11comp_targetILNS1_3genE10ELNS1_11target_archE1201ELNS1_3gpuE5ELNS1_3repE0EEENS1_30default_config_static_selectorELNS0_4arch9wavefront6targetE0EEEvT1_
	.p2align	8
	.type	_ZN7rocprim17ROCPRIM_400000_NS6detail17trampoline_kernelINS0_14default_configENS1_27scan_by_key_config_selectorIssEEZZNS1_16scan_by_key_implILNS1_25lookback_scan_determinismE0ELb1ES3_N6thrust23THRUST_200600_302600_NS6detail15normal_iteratorINS9_10device_ptrIsEEEESE_SE_sNS9_4plusIvEENS9_8equal_toIsEEsEE10hipError_tPvRmT2_T3_T4_T5_mT6_T7_P12ihipStream_tbENKUlT_T0_E_clISt17integral_constantIbLb1EESY_IbLb0EEEEDaSU_SV_EUlSU_E_NS1_11comp_targetILNS1_3genE10ELNS1_11target_archE1201ELNS1_3gpuE5ELNS1_3repE0EEENS1_30default_config_static_selectorELNS0_4arch9wavefront6targetE0EEEvT1_,@function
_ZN7rocprim17ROCPRIM_400000_NS6detail17trampoline_kernelINS0_14default_configENS1_27scan_by_key_config_selectorIssEEZZNS1_16scan_by_key_implILNS1_25lookback_scan_determinismE0ELb1ES3_N6thrust23THRUST_200600_302600_NS6detail15normal_iteratorINS9_10device_ptrIsEEEESE_SE_sNS9_4plusIvEENS9_8equal_toIsEEsEE10hipError_tPvRmT2_T3_T4_T5_mT6_T7_P12ihipStream_tbENKUlT_T0_E_clISt17integral_constantIbLb1EESY_IbLb0EEEEDaSU_SV_EUlSU_E_NS1_11comp_targetILNS1_3genE10ELNS1_11target_archE1201ELNS1_3gpuE5ELNS1_3repE0EEENS1_30default_config_static_selectorELNS0_4arch9wavefront6targetE0EEEvT1_: ; @_ZN7rocprim17ROCPRIM_400000_NS6detail17trampoline_kernelINS0_14default_configENS1_27scan_by_key_config_selectorIssEEZZNS1_16scan_by_key_implILNS1_25lookback_scan_determinismE0ELb1ES3_N6thrust23THRUST_200600_302600_NS6detail15normal_iteratorINS9_10device_ptrIsEEEESE_SE_sNS9_4plusIvEENS9_8equal_toIsEEsEE10hipError_tPvRmT2_T3_T4_T5_mT6_T7_P12ihipStream_tbENKUlT_T0_E_clISt17integral_constantIbLb1EESY_IbLb0EEEEDaSU_SV_EUlSU_E_NS1_11comp_targetILNS1_3genE10ELNS1_11target_archE1201ELNS1_3gpuE5ELNS1_3repE0EEENS1_30default_config_static_selectorELNS0_4arch9wavefront6targetE0EEEvT1_
; %bb.0:
	.section	.rodata,"a",@progbits
	.p2align	6, 0x0
	.amdhsa_kernel _ZN7rocprim17ROCPRIM_400000_NS6detail17trampoline_kernelINS0_14default_configENS1_27scan_by_key_config_selectorIssEEZZNS1_16scan_by_key_implILNS1_25lookback_scan_determinismE0ELb1ES3_N6thrust23THRUST_200600_302600_NS6detail15normal_iteratorINS9_10device_ptrIsEEEESE_SE_sNS9_4plusIvEENS9_8equal_toIsEEsEE10hipError_tPvRmT2_T3_T4_T5_mT6_T7_P12ihipStream_tbENKUlT_T0_E_clISt17integral_constantIbLb1EESY_IbLb0EEEEDaSU_SV_EUlSU_E_NS1_11comp_targetILNS1_3genE10ELNS1_11target_archE1201ELNS1_3gpuE5ELNS1_3repE0EEENS1_30default_config_static_selectorELNS0_4arch9wavefront6targetE0EEEvT1_
		.amdhsa_group_segment_fixed_size 0
		.amdhsa_private_segment_fixed_size 0
		.amdhsa_kernarg_size 112
		.amdhsa_user_sgpr_count 6
		.amdhsa_user_sgpr_private_segment_buffer 1
		.amdhsa_user_sgpr_dispatch_ptr 0
		.amdhsa_user_sgpr_queue_ptr 0
		.amdhsa_user_sgpr_kernarg_segment_ptr 1
		.amdhsa_user_sgpr_dispatch_id 0
		.amdhsa_user_sgpr_flat_scratch_init 0
		.amdhsa_user_sgpr_private_segment_size 0
		.amdhsa_wavefront_size32 1
		.amdhsa_uses_dynamic_stack 0
		.amdhsa_system_sgpr_private_segment_wavefront_offset 0
		.amdhsa_system_sgpr_workgroup_id_x 1
		.amdhsa_system_sgpr_workgroup_id_y 0
		.amdhsa_system_sgpr_workgroup_id_z 0
		.amdhsa_system_sgpr_workgroup_info 0
		.amdhsa_system_vgpr_workitem_id 0
		.amdhsa_next_free_vgpr 1
		.amdhsa_next_free_sgpr 1
		.amdhsa_reserve_vcc 0
		.amdhsa_reserve_flat_scratch 0
		.amdhsa_float_round_mode_32 0
		.amdhsa_float_round_mode_16_64 0
		.amdhsa_float_denorm_mode_32 3
		.amdhsa_float_denorm_mode_16_64 3
		.amdhsa_dx10_clamp 1
		.amdhsa_ieee_mode 1
		.amdhsa_fp16_overflow 0
		.amdhsa_workgroup_processor_mode 1
		.amdhsa_memory_ordered 1
		.amdhsa_forward_progress 1
		.amdhsa_shared_vgpr_count 0
		.amdhsa_exception_fp_ieee_invalid_op 0
		.amdhsa_exception_fp_denorm_src 0
		.amdhsa_exception_fp_ieee_div_zero 0
		.amdhsa_exception_fp_ieee_overflow 0
		.amdhsa_exception_fp_ieee_underflow 0
		.amdhsa_exception_fp_ieee_inexact 0
		.amdhsa_exception_int_div_zero 0
	.end_amdhsa_kernel
	.section	.text._ZN7rocprim17ROCPRIM_400000_NS6detail17trampoline_kernelINS0_14default_configENS1_27scan_by_key_config_selectorIssEEZZNS1_16scan_by_key_implILNS1_25lookback_scan_determinismE0ELb1ES3_N6thrust23THRUST_200600_302600_NS6detail15normal_iteratorINS9_10device_ptrIsEEEESE_SE_sNS9_4plusIvEENS9_8equal_toIsEEsEE10hipError_tPvRmT2_T3_T4_T5_mT6_T7_P12ihipStream_tbENKUlT_T0_E_clISt17integral_constantIbLb1EESY_IbLb0EEEEDaSU_SV_EUlSU_E_NS1_11comp_targetILNS1_3genE10ELNS1_11target_archE1201ELNS1_3gpuE5ELNS1_3repE0EEENS1_30default_config_static_selectorELNS0_4arch9wavefront6targetE0EEEvT1_,"axG",@progbits,_ZN7rocprim17ROCPRIM_400000_NS6detail17trampoline_kernelINS0_14default_configENS1_27scan_by_key_config_selectorIssEEZZNS1_16scan_by_key_implILNS1_25lookback_scan_determinismE0ELb1ES3_N6thrust23THRUST_200600_302600_NS6detail15normal_iteratorINS9_10device_ptrIsEEEESE_SE_sNS9_4plusIvEENS9_8equal_toIsEEsEE10hipError_tPvRmT2_T3_T4_T5_mT6_T7_P12ihipStream_tbENKUlT_T0_E_clISt17integral_constantIbLb1EESY_IbLb0EEEEDaSU_SV_EUlSU_E_NS1_11comp_targetILNS1_3genE10ELNS1_11target_archE1201ELNS1_3gpuE5ELNS1_3repE0EEENS1_30default_config_static_selectorELNS0_4arch9wavefront6targetE0EEEvT1_,comdat
.Lfunc_end660:
	.size	_ZN7rocprim17ROCPRIM_400000_NS6detail17trampoline_kernelINS0_14default_configENS1_27scan_by_key_config_selectorIssEEZZNS1_16scan_by_key_implILNS1_25lookback_scan_determinismE0ELb1ES3_N6thrust23THRUST_200600_302600_NS6detail15normal_iteratorINS9_10device_ptrIsEEEESE_SE_sNS9_4plusIvEENS9_8equal_toIsEEsEE10hipError_tPvRmT2_T3_T4_T5_mT6_T7_P12ihipStream_tbENKUlT_T0_E_clISt17integral_constantIbLb1EESY_IbLb0EEEEDaSU_SV_EUlSU_E_NS1_11comp_targetILNS1_3genE10ELNS1_11target_archE1201ELNS1_3gpuE5ELNS1_3repE0EEENS1_30default_config_static_selectorELNS0_4arch9wavefront6targetE0EEEvT1_, .Lfunc_end660-_ZN7rocprim17ROCPRIM_400000_NS6detail17trampoline_kernelINS0_14default_configENS1_27scan_by_key_config_selectorIssEEZZNS1_16scan_by_key_implILNS1_25lookback_scan_determinismE0ELb1ES3_N6thrust23THRUST_200600_302600_NS6detail15normal_iteratorINS9_10device_ptrIsEEEESE_SE_sNS9_4plusIvEENS9_8equal_toIsEEsEE10hipError_tPvRmT2_T3_T4_T5_mT6_T7_P12ihipStream_tbENKUlT_T0_E_clISt17integral_constantIbLb1EESY_IbLb0EEEEDaSU_SV_EUlSU_E_NS1_11comp_targetILNS1_3genE10ELNS1_11target_archE1201ELNS1_3gpuE5ELNS1_3repE0EEENS1_30default_config_static_selectorELNS0_4arch9wavefront6targetE0EEEvT1_
                                        ; -- End function
	.set _ZN7rocprim17ROCPRIM_400000_NS6detail17trampoline_kernelINS0_14default_configENS1_27scan_by_key_config_selectorIssEEZZNS1_16scan_by_key_implILNS1_25lookback_scan_determinismE0ELb1ES3_N6thrust23THRUST_200600_302600_NS6detail15normal_iteratorINS9_10device_ptrIsEEEESE_SE_sNS9_4plusIvEENS9_8equal_toIsEEsEE10hipError_tPvRmT2_T3_T4_T5_mT6_T7_P12ihipStream_tbENKUlT_T0_E_clISt17integral_constantIbLb1EESY_IbLb0EEEEDaSU_SV_EUlSU_E_NS1_11comp_targetILNS1_3genE10ELNS1_11target_archE1201ELNS1_3gpuE5ELNS1_3repE0EEENS1_30default_config_static_selectorELNS0_4arch9wavefront6targetE0EEEvT1_.num_vgpr, 0
	.set _ZN7rocprim17ROCPRIM_400000_NS6detail17trampoline_kernelINS0_14default_configENS1_27scan_by_key_config_selectorIssEEZZNS1_16scan_by_key_implILNS1_25lookback_scan_determinismE0ELb1ES3_N6thrust23THRUST_200600_302600_NS6detail15normal_iteratorINS9_10device_ptrIsEEEESE_SE_sNS9_4plusIvEENS9_8equal_toIsEEsEE10hipError_tPvRmT2_T3_T4_T5_mT6_T7_P12ihipStream_tbENKUlT_T0_E_clISt17integral_constantIbLb1EESY_IbLb0EEEEDaSU_SV_EUlSU_E_NS1_11comp_targetILNS1_3genE10ELNS1_11target_archE1201ELNS1_3gpuE5ELNS1_3repE0EEENS1_30default_config_static_selectorELNS0_4arch9wavefront6targetE0EEEvT1_.num_agpr, 0
	.set _ZN7rocprim17ROCPRIM_400000_NS6detail17trampoline_kernelINS0_14default_configENS1_27scan_by_key_config_selectorIssEEZZNS1_16scan_by_key_implILNS1_25lookback_scan_determinismE0ELb1ES3_N6thrust23THRUST_200600_302600_NS6detail15normal_iteratorINS9_10device_ptrIsEEEESE_SE_sNS9_4plusIvEENS9_8equal_toIsEEsEE10hipError_tPvRmT2_T3_T4_T5_mT6_T7_P12ihipStream_tbENKUlT_T0_E_clISt17integral_constantIbLb1EESY_IbLb0EEEEDaSU_SV_EUlSU_E_NS1_11comp_targetILNS1_3genE10ELNS1_11target_archE1201ELNS1_3gpuE5ELNS1_3repE0EEENS1_30default_config_static_selectorELNS0_4arch9wavefront6targetE0EEEvT1_.numbered_sgpr, 0
	.set _ZN7rocprim17ROCPRIM_400000_NS6detail17trampoline_kernelINS0_14default_configENS1_27scan_by_key_config_selectorIssEEZZNS1_16scan_by_key_implILNS1_25lookback_scan_determinismE0ELb1ES3_N6thrust23THRUST_200600_302600_NS6detail15normal_iteratorINS9_10device_ptrIsEEEESE_SE_sNS9_4plusIvEENS9_8equal_toIsEEsEE10hipError_tPvRmT2_T3_T4_T5_mT6_T7_P12ihipStream_tbENKUlT_T0_E_clISt17integral_constantIbLb1EESY_IbLb0EEEEDaSU_SV_EUlSU_E_NS1_11comp_targetILNS1_3genE10ELNS1_11target_archE1201ELNS1_3gpuE5ELNS1_3repE0EEENS1_30default_config_static_selectorELNS0_4arch9wavefront6targetE0EEEvT1_.num_named_barrier, 0
	.set _ZN7rocprim17ROCPRIM_400000_NS6detail17trampoline_kernelINS0_14default_configENS1_27scan_by_key_config_selectorIssEEZZNS1_16scan_by_key_implILNS1_25lookback_scan_determinismE0ELb1ES3_N6thrust23THRUST_200600_302600_NS6detail15normal_iteratorINS9_10device_ptrIsEEEESE_SE_sNS9_4plusIvEENS9_8equal_toIsEEsEE10hipError_tPvRmT2_T3_T4_T5_mT6_T7_P12ihipStream_tbENKUlT_T0_E_clISt17integral_constantIbLb1EESY_IbLb0EEEEDaSU_SV_EUlSU_E_NS1_11comp_targetILNS1_3genE10ELNS1_11target_archE1201ELNS1_3gpuE5ELNS1_3repE0EEENS1_30default_config_static_selectorELNS0_4arch9wavefront6targetE0EEEvT1_.private_seg_size, 0
	.set _ZN7rocprim17ROCPRIM_400000_NS6detail17trampoline_kernelINS0_14default_configENS1_27scan_by_key_config_selectorIssEEZZNS1_16scan_by_key_implILNS1_25lookback_scan_determinismE0ELb1ES3_N6thrust23THRUST_200600_302600_NS6detail15normal_iteratorINS9_10device_ptrIsEEEESE_SE_sNS9_4plusIvEENS9_8equal_toIsEEsEE10hipError_tPvRmT2_T3_T4_T5_mT6_T7_P12ihipStream_tbENKUlT_T0_E_clISt17integral_constantIbLb1EESY_IbLb0EEEEDaSU_SV_EUlSU_E_NS1_11comp_targetILNS1_3genE10ELNS1_11target_archE1201ELNS1_3gpuE5ELNS1_3repE0EEENS1_30default_config_static_selectorELNS0_4arch9wavefront6targetE0EEEvT1_.uses_vcc, 0
	.set _ZN7rocprim17ROCPRIM_400000_NS6detail17trampoline_kernelINS0_14default_configENS1_27scan_by_key_config_selectorIssEEZZNS1_16scan_by_key_implILNS1_25lookback_scan_determinismE0ELb1ES3_N6thrust23THRUST_200600_302600_NS6detail15normal_iteratorINS9_10device_ptrIsEEEESE_SE_sNS9_4plusIvEENS9_8equal_toIsEEsEE10hipError_tPvRmT2_T3_T4_T5_mT6_T7_P12ihipStream_tbENKUlT_T0_E_clISt17integral_constantIbLb1EESY_IbLb0EEEEDaSU_SV_EUlSU_E_NS1_11comp_targetILNS1_3genE10ELNS1_11target_archE1201ELNS1_3gpuE5ELNS1_3repE0EEENS1_30default_config_static_selectorELNS0_4arch9wavefront6targetE0EEEvT1_.uses_flat_scratch, 0
	.set _ZN7rocprim17ROCPRIM_400000_NS6detail17trampoline_kernelINS0_14default_configENS1_27scan_by_key_config_selectorIssEEZZNS1_16scan_by_key_implILNS1_25lookback_scan_determinismE0ELb1ES3_N6thrust23THRUST_200600_302600_NS6detail15normal_iteratorINS9_10device_ptrIsEEEESE_SE_sNS9_4plusIvEENS9_8equal_toIsEEsEE10hipError_tPvRmT2_T3_T4_T5_mT6_T7_P12ihipStream_tbENKUlT_T0_E_clISt17integral_constantIbLb1EESY_IbLb0EEEEDaSU_SV_EUlSU_E_NS1_11comp_targetILNS1_3genE10ELNS1_11target_archE1201ELNS1_3gpuE5ELNS1_3repE0EEENS1_30default_config_static_selectorELNS0_4arch9wavefront6targetE0EEEvT1_.has_dyn_sized_stack, 0
	.set _ZN7rocprim17ROCPRIM_400000_NS6detail17trampoline_kernelINS0_14default_configENS1_27scan_by_key_config_selectorIssEEZZNS1_16scan_by_key_implILNS1_25lookback_scan_determinismE0ELb1ES3_N6thrust23THRUST_200600_302600_NS6detail15normal_iteratorINS9_10device_ptrIsEEEESE_SE_sNS9_4plusIvEENS9_8equal_toIsEEsEE10hipError_tPvRmT2_T3_T4_T5_mT6_T7_P12ihipStream_tbENKUlT_T0_E_clISt17integral_constantIbLb1EESY_IbLb0EEEEDaSU_SV_EUlSU_E_NS1_11comp_targetILNS1_3genE10ELNS1_11target_archE1201ELNS1_3gpuE5ELNS1_3repE0EEENS1_30default_config_static_selectorELNS0_4arch9wavefront6targetE0EEEvT1_.has_recursion, 0
	.set _ZN7rocprim17ROCPRIM_400000_NS6detail17trampoline_kernelINS0_14default_configENS1_27scan_by_key_config_selectorIssEEZZNS1_16scan_by_key_implILNS1_25lookback_scan_determinismE0ELb1ES3_N6thrust23THRUST_200600_302600_NS6detail15normal_iteratorINS9_10device_ptrIsEEEESE_SE_sNS9_4plusIvEENS9_8equal_toIsEEsEE10hipError_tPvRmT2_T3_T4_T5_mT6_T7_P12ihipStream_tbENKUlT_T0_E_clISt17integral_constantIbLb1EESY_IbLb0EEEEDaSU_SV_EUlSU_E_NS1_11comp_targetILNS1_3genE10ELNS1_11target_archE1201ELNS1_3gpuE5ELNS1_3repE0EEENS1_30default_config_static_selectorELNS0_4arch9wavefront6targetE0EEEvT1_.has_indirect_call, 0
	.section	.AMDGPU.csdata,"",@progbits
; Kernel info:
; codeLenInByte = 0
; TotalNumSgprs: 0
; NumVgprs: 0
; ScratchSize: 0
; MemoryBound: 0
; FloatMode: 240
; IeeeMode: 1
; LDSByteSize: 0 bytes/workgroup (compile time only)
; SGPRBlocks: 0
; VGPRBlocks: 0
; NumSGPRsForWavesPerEU: 1
; NumVGPRsForWavesPerEU: 1
; Occupancy: 16
; WaveLimiterHint : 0
; COMPUTE_PGM_RSRC2:SCRATCH_EN: 0
; COMPUTE_PGM_RSRC2:USER_SGPR: 6
; COMPUTE_PGM_RSRC2:TRAP_HANDLER: 0
; COMPUTE_PGM_RSRC2:TGID_X_EN: 1
; COMPUTE_PGM_RSRC2:TGID_Y_EN: 0
; COMPUTE_PGM_RSRC2:TGID_Z_EN: 0
; COMPUTE_PGM_RSRC2:TIDIG_COMP_CNT: 0
	.section	.text._ZN7rocprim17ROCPRIM_400000_NS6detail17trampoline_kernelINS0_14default_configENS1_27scan_by_key_config_selectorIssEEZZNS1_16scan_by_key_implILNS1_25lookback_scan_determinismE0ELb1ES3_N6thrust23THRUST_200600_302600_NS6detail15normal_iteratorINS9_10device_ptrIsEEEESE_SE_sNS9_4plusIvEENS9_8equal_toIsEEsEE10hipError_tPvRmT2_T3_T4_T5_mT6_T7_P12ihipStream_tbENKUlT_T0_E_clISt17integral_constantIbLb1EESY_IbLb0EEEEDaSU_SV_EUlSU_E_NS1_11comp_targetILNS1_3genE5ELNS1_11target_archE942ELNS1_3gpuE9ELNS1_3repE0EEENS1_30default_config_static_selectorELNS0_4arch9wavefront6targetE0EEEvT1_,"axG",@progbits,_ZN7rocprim17ROCPRIM_400000_NS6detail17trampoline_kernelINS0_14default_configENS1_27scan_by_key_config_selectorIssEEZZNS1_16scan_by_key_implILNS1_25lookback_scan_determinismE0ELb1ES3_N6thrust23THRUST_200600_302600_NS6detail15normal_iteratorINS9_10device_ptrIsEEEESE_SE_sNS9_4plusIvEENS9_8equal_toIsEEsEE10hipError_tPvRmT2_T3_T4_T5_mT6_T7_P12ihipStream_tbENKUlT_T0_E_clISt17integral_constantIbLb1EESY_IbLb0EEEEDaSU_SV_EUlSU_E_NS1_11comp_targetILNS1_3genE5ELNS1_11target_archE942ELNS1_3gpuE9ELNS1_3repE0EEENS1_30default_config_static_selectorELNS0_4arch9wavefront6targetE0EEEvT1_,comdat
	.protected	_ZN7rocprim17ROCPRIM_400000_NS6detail17trampoline_kernelINS0_14default_configENS1_27scan_by_key_config_selectorIssEEZZNS1_16scan_by_key_implILNS1_25lookback_scan_determinismE0ELb1ES3_N6thrust23THRUST_200600_302600_NS6detail15normal_iteratorINS9_10device_ptrIsEEEESE_SE_sNS9_4plusIvEENS9_8equal_toIsEEsEE10hipError_tPvRmT2_T3_T4_T5_mT6_T7_P12ihipStream_tbENKUlT_T0_E_clISt17integral_constantIbLb1EESY_IbLb0EEEEDaSU_SV_EUlSU_E_NS1_11comp_targetILNS1_3genE5ELNS1_11target_archE942ELNS1_3gpuE9ELNS1_3repE0EEENS1_30default_config_static_selectorELNS0_4arch9wavefront6targetE0EEEvT1_ ; -- Begin function _ZN7rocprim17ROCPRIM_400000_NS6detail17trampoline_kernelINS0_14default_configENS1_27scan_by_key_config_selectorIssEEZZNS1_16scan_by_key_implILNS1_25lookback_scan_determinismE0ELb1ES3_N6thrust23THRUST_200600_302600_NS6detail15normal_iteratorINS9_10device_ptrIsEEEESE_SE_sNS9_4plusIvEENS9_8equal_toIsEEsEE10hipError_tPvRmT2_T3_T4_T5_mT6_T7_P12ihipStream_tbENKUlT_T0_E_clISt17integral_constantIbLb1EESY_IbLb0EEEEDaSU_SV_EUlSU_E_NS1_11comp_targetILNS1_3genE5ELNS1_11target_archE942ELNS1_3gpuE9ELNS1_3repE0EEENS1_30default_config_static_selectorELNS0_4arch9wavefront6targetE0EEEvT1_
	.globl	_ZN7rocprim17ROCPRIM_400000_NS6detail17trampoline_kernelINS0_14default_configENS1_27scan_by_key_config_selectorIssEEZZNS1_16scan_by_key_implILNS1_25lookback_scan_determinismE0ELb1ES3_N6thrust23THRUST_200600_302600_NS6detail15normal_iteratorINS9_10device_ptrIsEEEESE_SE_sNS9_4plusIvEENS9_8equal_toIsEEsEE10hipError_tPvRmT2_T3_T4_T5_mT6_T7_P12ihipStream_tbENKUlT_T0_E_clISt17integral_constantIbLb1EESY_IbLb0EEEEDaSU_SV_EUlSU_E_NS1_11comp_targetILNS1_3genE5ELNS1_11target_archE942ELNS1_3gpuE9ELNS1_3repE0EEENS1_30default_config_static_selectorELNS0_4arch9wavefront6targetE0EEEvT1_
	.p2align	8
	.type	_ZN7rocprim17ROCPRIM_400000_NS6detail17trampoline_kernelINS0_14default_configENS1_27scan_by_key_config_selectorIssEEZZNS1_16scan_by_key_implILNS1_25lookback_scan_determinismE0ELb1ES3_N6thrust23THRUST_200600_302600_NS6detail15normal_iteratorINS9_10device_ptrIsEEEESE_SE_sNS9_4plusIvEENS9_8equal_toIsEEsEE10hipError_tPvRmT2_T3_T4_T5_mT6_T7_P12ihipStream_tbENKUlT_T0_E_clISt17integral_constantIbLb1EESY_IbLb0EEEEDaSU_SV_EUlSU_E_NS1_11comp_targetILNS1_3genE5ELNS1_11target_archE942ELNS1_3gpuE9ELNS1_3repE0EEENS1_30default_config_static_selectorELNS0_4arch9wavefront6targetE0EEEvT1_,@function
_ZN7rocprim17ROCPRIM_400000_NS6detail17trampoline_kernelINS0_14default_configENS1_27scan_by_key_config_selectorIssEEZZNS1_16scan_by_key_implILNS1_25lookback_scan_determinismE0ELb1ES3_N6thrust23THRUST_200600_302600_NS6detail15normal_iteratorINS9_10device_ptrIsEEEESE_SE_sNS9_4plusIvEENS9_8equal_toIsEEsEE10hipError_tPvRmT2_T3_T4_T5_mT6_T7_P12ihipStream_tbENKUlT_T0_E_clISt17integral_constantIbLb1EESY_IbLb0EEEEDaSU_SV_EUlSU_E_NS1_11comp_targetILNS1_3genE5ELNS1_11target_archE942ELNS1_3gpuE9ELNS1_3repE0EEENS1_30default_config_static_selectorELNS0_4arch9wavefront6targetE0EEEvT1_: ; @_ZN7rocprim17ROCPRIM_400000_NS6detail17trampoline_kernelINS0_14default_configENS1_27scan_by_key_config_selectorIssEEZZNS1_16scan_by_key_implILNS1_25lookback_scan_determinismE0ELb1ES3_N6thrust23THRUST_200600_302600_NS6detail15normal_iteratorINS9_10device_ptrIsEEEESE_SE_sNS9_4plusIvEENS9_8equal_toIsEEsEE10hipError_tPvRmT2_T3_T4_T5_mT6_T7_P12ihipStream_tbENKUlT_T0_E_clISt17integral_constantIbLb1EESY_IbLb0EEEEDaSU_SV_EUlSU_E_NS1_11comp_targetILNS1_3genE5ELNS1_11target_archE942ELNS1_3gpuE9ELNS1_3repE0EEENS1_30default_config_static_selectorELNS0_4arch9wavefront6targetE0EEEvT1_
; %bb.0:
	.section	.rodata,"a",@progbits
	.p2align	6, 0x0
	.amdhsa_kernel _ZN7rocprim17ROCPRIM_400000_NS6detail17trampoline_kernelINS0_14default_configENS1_27scan_by_key_config_selectorIssEEZZNS1_16scan_by_key_implILNS1_25lookback_scan_determinismE0ELb1ES3_N6thrust23THRUST_200600_302600_NS6detail15normal_iteratorINS9_10device_ptrIsEEEESE_SE_sNS9_4plusIvEENS9_8equal_toIsEEsEE10hipError_tPvRmT2_T3_T4_T5_mT6_T7_P12ihipStream_tbENKUlT_T0_E_clISt17integral_constantIbLb1EESY_IbLb0EEEEDaSU_SV_EUlSU_E_NS1_11comp_targetILNS1_3genE5ELNS1_11target_archE942ELNS1_3gpuE9ELNS1_3repE0EEENS1_30default_config_static_selectorELNS0_4arch9wavefront6targetE0EEEvT1_
		.amdhsa_group_segment_fixed_size 0
		.amdhsa_private_segment_fixed_size 0
		.amdhsa_kernarg_size 112
		.amdhsa_user_sgpr_count 6
		.amdhsa_user_sgpr_private_segment_buffer 1
		.amdhsa_user_sgpr_dispatch_ptr 0
		.amdhsa_user_sgpr_queue_ptr 0
		.amdhsa_user_sgpr_kernarg_segment_ptr 1
		.amdhsa_user_sgpr_dispatch_id 0
		.amdhsa_user_sgpr_flat_scratch_init 0
		.amdhsa_user_sgpr_private_segment_size 0
		.amdhsa_wavefront_size32 1
		.amdhsa_uses_dynamic_stack 0
		.amdhsa_system_sgpr_private_segment_wavefront_offset 0
		.amdhsa_system_sgpr_workgroup_id_x 1
		.amdhsa_system_sgpr_workgroup_id_y 0
		.amdhsa_system_sgpr_workgroup_id_z 0
		.amdhsa_system_sgpr_workgroup_info 0
		.amdhsa_system_vgpr_workitem_id 0
		.amdhsa_next_free_vgpr 1
		.amdhsa_next_free_sgpr 1
		.amdhsa_reserve_vcc 0
		.amdhsa_reserve_flat_scratch 0
		.amdhsa_float_round_mode_32 0
		.amdhsa_float_round_mode_16_64 0
		.amdhsa_float_denorm_mode_32 3
		.amdhsa_float_denorm_mode_16_64 3
		.amdhsa_dx10_clamp 1
		.amdhsa_ieee_mode 1
		.amdhsa_fp16_overflow 0
		.amdhsa_workgroup_processor_mode 1
		.amdhsa_memory_ordered 1
		.amdhsa_forward_progress 1
		.amdhsa_shared_vgpr_count 0
		.amdhsa_exception_fp_ieee_invalid_op 0
		.amdhsa_exception_fp_denorm_src 0
		.amdhsa_exception_fp_ieee_div_zero 0
		.amdhsa_exception_fp_ieee_overflow 0
		.amdhsa_exception_fp_ieee_underflow 0
		.amdhsa_exception_fp_ieee_inexact 0
		.amdhsa_exception_int_div_zero 0
	.end_amdhsa_kernel
	.section	.text._ZN7rocprim17ROCPRIM_400000_NS6detail17trampoline_kernelINS0_14default_configENS1_27scan_by_key_config_selectorIssEEZZNS1_16scan_by_key_implILNS1_25lookback_scan_determinismE0ELb1ES3_N6thrust23THRUST_200600_302600_NS6detail15normal_iteratorINS9_10device_ptrIsEEEESE_SE_sNS9_4plusIvEENS9_8equal_toIsEEsEE10hipError_tPvRmT2_T3_T4_T5_mT6_T7_P12ihipStream_tbENKUlT_T0_E_clISt17integral_constantIbLb1EESY_IbLb0EEEEDaSU_SV_EUlSU_E_NS1_11comp_targetILNS1_3genE5ELNS1_11target_archE942ELNS1_3gpuE9ELNS1_3repE0EEENS1_30default_config_static_selectorELNS0_4arch9wavefront6targetE0EEEvT1_,"axG",@progbits,_ZN7rocprim17ROCPRIM_400000_NS6detail17trampoline_kernelINS0_14default_configENS1_27scan_by_key_config_selectorIssEEZZNS1_16scan_by_key_implILNS1_25lookback_scan_determinismE0ELb1ES3_N6thrust23THRUST_200600_302600_NS6detail15normal_iteratorINS9_10device_ptrIsEEEESE_SE_sNS9_4plusIvEENS9_8equal_toIsEEsEE10hipError_tPvRmT2_T3_T4_T5_mT6_T7_P12ihipStream_tbENKUlT_T0_E_clISt17integral_constantIbLb1EESY_IbLb0EEEEDaSU_SV_EUlSU_E_NS1_11comp_targetILNS1_3genE5ELNS1_11target_archE942ELNS1_3gpuE9ELNS1_3repE0EEENS1_30default_config_static_selectorELNS0_4arch9wavefront6targetE0EEEvT1_,comdat
.Lfunc_end661:
	.size	_ZN7rocprim17ROCPRIM_400000_NS6detail17trampoline_kernelINS0_14default_configENS1_27scan_by_key_config_selectorIssEEZZNS1_16scan_by_key_implILNS1_25lookback_scan_determinismE0ELb1ES3_N6thrust23THRUST_200600_302600_NS6detail15normal_iteratorINS9_10device_ptrIsEEEESE_SE_sNS9_4plusIvEENS9_8equal_toIsEEsEE10hipError_tPvRmT2_T3_T4_T5_mT6_T7_P12ihipStream_tbENKUlT_T0_E_clISt17integral_constantIbLb1EESY_IbLb0EEEEDaSU_SV_EUlSU_E_NS1_11comp_targetILNS1_3genE5ELNS1_11target_archE942ELNS1_3gpuE9ELNS1_3repE0EEENS1_30default_config_static_selectorELNS0_4arch9wavefront6targetE0EEEvT1_, .Lfunc_end661-_ZN7rocprim17ROCPRIM_400000_NS6detail17trampoline_kernelINS0_14default_configENS1_27scan_by_key_config_selectorIssEEZZNS1_16scan_by_key_implILNS1_25lookback_scan_determinismE0ELb1ES3_N6thrust23THRUST_200600_302600_NS6detail15normal_iteratorINS9_10device_ptrIsEEEESE_SE_sNS9_4plusIvEENS9_8equal_toIsEEsEE10hipError_tPvRmT2_T3_T4_T5_mT6_T7_P12ihipStream_tbENKUlT_T0_E_clISt17integral_constantIbLb1EESY_IbLb0EEEEDaSU_SV_EUlSU_E_NS1_11comp_targetILNS1_3genE5ELNS1_11target_archE942ELNS1_3gpuE9ELNS1_3repE0EEENS1_30default_config_static_selectorELNS0_4arch9wavefront6targetE0EEEvT1_
                                        ; -- End function
	.set _ZN7rocprim17ROCPRIM_400000_NS6detail17trampoline_kernelINS0_14default_configENS1_27scan_by_key_config_selectorIssEEZZNS1_16scan_by_key_implILNS1_25lookback_scan_determinismE0ELb1ES3_N6thrust23THRUST_200600_302600_NS6detail15normal_iteratorINS9_10device_ptrIsEEEESE_SE_sNS9_4plusIvEENS9_8equal_toIsEEsEE10hipError_tPvRmT2_T3_T4_T5_mT6_T7_P12ihipStream_tbENKUlT_T0_E_clISt17integral_constantIbLb1EESY_IbLb0EEEEDaSU_SV_EUlSU_E_NS1_11comp_targetILNS1_3genE5ELNS1_11target_archE942ELNS1_3gpuE9ELNS1_3repE0EEENS1_30default_config_static_selectorELNS0_4arch9wavefront6targetE0EEEvT1_.num_vgpr, 0
	.set _ZN7rocprim17ROCPRIM_400000_NS6detail17trampoline_kernelINS0_14default_configENS1_27scan_by_key_config_selectorIssEEZZNS1_16scan_by_key_implILNS1_25lookback_scan_determinismE0ELb1ES3_N6thrust23THRUST_200600_302600_NS6detail15normal_iteratorINS9_10device_ptrIsEEEESE_SE_sNS9_4plusIvEENS9_8equal_toIsEEsEE10hipError_tPvRmT2_T3_T4_T5_mT6_T7_P12ihipStream_tbENKUlT_T0_E_clISt17integral_constantIbLb1EESY_IbLb0EEEEDaSU_SV_EUlSU_E_NS1_11comp_targetILNS1_3genE5ELNS1_11target_archE942ELNS1_3gpuE9ELNS1_3repE0EEENS1_30default_config_static_selectorELNS0_4arch9wavefront6targetE0EEEvT1_.num_agpr, 0
	.set _ZN7rocprim17ROCPRIM_400000_NS6detail17trampoline_kernelINS0_14default_configENS1_27scan_by_key_config_selectorIssEEZZNS1_16scan_by_key_implILNS1_25lookback_scan_determinismE0ELb1ES3_N6thrust23THRUST_200600_302600_NS6detail15normal_iteratorINS9_10device_ptrIsEEEESE_SE_sNS9_4plusIvEENS9_8equal_toIsEEsEE10hipError_tPvRmT2_T3_T4_T5_mT6_T7_P12ihipStream_tbENKUlT_T0_E_clISt17integral_constantIbLb1EESY_IbLb0EEEEDaSU_SV_EUlSU_E_NS1_11comp_targetILNS1_3genE5ELNS1_11target_archE942ELNS1_3gpuE9ELNS1_3repE0EEENS1_30default_config_static_selectorELNS0_4arch9wavefront6targetE0EEEvT1_.numbered_sgpr, 0
	.set _ZN7rocprim17ROCPRIM_400000_NS6detail17trampoline_kernelINS0_14default_configENS1_27scan_by_key_config_selectorIssEEZZNS1_16scan_by_key_implILNS1_25lookback_scan_determinismE0ELb1ES3_N6thrust23THRUST_200600_302600_NS6detail15normal_iteratorINS9_10device_ptrIsEEEESE_SE_sNS9_4plusIvEENS9_8equal_toIsEEsEE10hipError_tPvRmT2_T3_T4_T5_mT6_T7_P12ihipStream_tbENKUlT_T0_E_clISt17integral_constantIbLb1EESY_IbLb0EEEEDaSU_SV_EUlSU_E_NS1_11comp_targetILNS1_3genE5ELNS1_11target_archE942ELNS1_3gpuE9ELNS1_3repE0EEENS1_30default_config_static_selectorELNS0_4arch9wavefront6targetE0EEEvT1_.num_named_barrier, 0
	.set _ZN7rocprim17ROCPRIM_400000_NS6detail17trampoline_kernelINS0_14default_configENS1_27scan_by_key_config_selectorIssEEZZNS1_16scan_by_key_implILNS1_25lookback_scan_determinismE0ELb1ES3_N6thrust23THRUST_200600_302600_NS6detail15normal_iteratorINS9_10device_ptrIsEEEESE_SE_sNS9_4plusIvEENS9_8equal_toIsEEsEE10hipError_tPvRmT2_T3_T4_T5_mT6_T7_P12ihipStream_tbENKUlT_T0_E_clISt17integral_constantIbLb1EESY_IbLb0EEEEDaSU_SV_EUlSU_E_NS1_11comp_targetILNS1_3genE5ELNS1_11target_archE942ELNS1_3gpuE9ELNS1_3repE0EEENS1_30default_config_static_selectorELNS0_4arch9wavefront6targetE0EEEvT1_.private_seg_size, 0
	.set _ZN7rocprim17ROCPRIM_400000_NS6detail17trampoline_kernelINS0_14default_configENS1_27scan_by_key_config_selectorIssEEZZNS1_16scan_by_key_implILNS1_25lookback_scan_determinismE0ELb1ES3_N6thrust23THRUST_200600_302600_NS6detail15normal_iteratorINS9_10device_ptrIsEEEESE_SE_sNS9_4plusIvEENS9_8equal_toIsEEsEE10hipError_tPvRmT2_T3_T4_T5_mT6_T7_P12ihipStream_tbENKUlT_T0_E_clISt17integral_constantIbLb1EESY_IbLb0EEEEDaSU_SV_EUlSU_E_NS1_11comp_targetILNS1_3genE5ELNS1_11target_archE942ELNS1_3gpuE9ELNS1_3repE0EEENS1_30default_config_static_selectorELNS0_4arch9wavefront6targetE0EEEvT1_.uses_vcc, 0
	.set _ZN7rocprim17ROCPRIM_400000_NS6detail17trampoline_kernelINS0_14default_configENS1_27scan_by_key_config_selectorIssEEZZNS1_16scan_by_key_implILNS1_25lookback_scan_determinismE0ELb1ES3_N6thrust23THRUST_200600_302600_NS6detail15normal_iteratorINS9_10device_ptrIsEEEESE_SE_sNS9_4plusIvEENS9_8equal_toIsEEsEE10hipError_tPvRmT2_T3_T4_T5_mT6_T7_P12ihipStream_tbENKUlT_T0_E_clISt17integral_constantIbLb1EESY_IbLb0EEEEDaSU_SV_EUlSU_E_NS1_11comp_targetILNS1_3genE5ELNS1_11target_archE942ELNS1_3gpuE9ELNS1_3repE0EEENS1_30default_config_static_selectorELNS0_4arch9wavefront6targetE0EEEvT1_.uses_flat_scratch, 0
	.set _ZN7rocprim17ROCPRIM_400000_NS6detail17trampoline_kernelINS0_14default_configENS1_27scan_by_key_config_selectorIssEEZZNS1_16scan_by_key_implILNS1_25lookback_scan_determinismE0ELb1ES3_N6thrust23THRUST_200600_302600_NS6detail15normal_iteratorINS9_10device_ptrIsEEEESE_SE_sNS9_4plusIvEENS9_8equal_toIsEEsEE10hipError_tPvRmT2_T3_T4_T5_mT6_T7_P12ihipStream_tbENKUlT_T0_E_clISt17integral_constantIbLb1EESY_IbLb0EEEEDaSU_SV_EUlSU_E_NS1_11comp_targetILNS1_3genE5ELNS1_11target_archE942ELNS1_3gpuE9ELNS1_3repE0EEENS1_30default_config_static_selectorELNS0_4arch9wavefront6targetE0EEEvT1_.has_dyn_sized_stack, 0
	.set _ZN7rocprim17ROCPRIM_400000_NS6detail17trampoline_kernelINS0_14default_configENS1_27scan_by_key_config_selectorIssEEZZNS1_16scan_by_key_implILNS1_25lookback_scan_determinismE0ELb1ES3_N6thrust23THRUST_200600_302600_NS6detail15normal_iteratorINS9_10device_ptrIsEEEESE_SE_sNS9_4plusIvEENS9_8equal_toIsEEsEE10hipError_tPvRmT2_T3_T4_T5_mT6_T7_P12ihipStream_tbENKUlT_T0_E_clISt17integral_constantIbLb1EESY_IbLb0EEEEDaSU_SV_EUlSU_E_NS1_11comp_targetILNS1_3genE5ELNS1_11target_archE942ELNS1_3gpuE9ELNS1_3repE0EEENS1_30default_config_static_selectorELNS0_4arch9wavefront6targetE0EEEvT1_.has_recursion, 0
	.set _ZN7rocprim17ROCPRIM_400000_NS6detail17trampoline_kernelINS0_14default_configENS1_27scan_by_key_config_selectorIssEEZZNS1_16scan_by_key_implILNS1_25lookback_scan_determinismE0ELb1ES3_N6thrust23THRUST_200600_302600_NS6detail15normal_iteratorINS9_10device_ptrIsEEEESE_SE_sNS9_4plusIvEENS9_8equal_toIsEEsEE10hipError_tPvRmT2_T3_T4_T5_mT6_T7_P12ihipStream_tbENKUlT_T0_E_clISt17integral_constantIbLb1EESY_IbLb0EEEEDaSU_SV_EUlSU_E_NS1_11comp_targetILNS1_3genE5ELNS1_11target_archE942ELNS1_3gpuE9ELNS1_3repE0EEENS1_30default_config_static_selectorELNS0_4arch9wavefront6targetE0EEEvT1_.has_indirect_call, 0
	.section	.AMDGPU.csdata,"",@progbits
; Kernel info:
; codeLenInByte = 0
; TotalNumSgprs: 0
; NumVgprs: 0
; ScratchSize: 0
; MemoryBound: 0
; FloatMode: 240
; IeeeMode: 1
; LDSByteSize: 0 bytes/workgroup (compile time only)
; SGPRBlocks: 0
; VGPRBlocks: 0
; NumSGPRsForWavesPerEU: 1
; NumVGPRsForWavesPerEU: 1
; Occupancy: 16
; WaveLimiterHint : 0
; COMPUTE_PGM_RSRC2:SCRATCH_EN: 0
; COMPUTE_PGM_RSRC2:USER_SGPR: 6
; COMPUTE_PGM_RSRC2:TRAP_HANDLER: 0
; COMPUTE_PGM_RSRC2:TGID_X_EN: 1
; COMPUTE_PGM_RSRC2:TGID_Y_EN: 0
; COMPUTE_PGM_RSRC2:TGID_Z_EN: 0
; COMPUTE_PGM_RSRC2:TIDIG_COMP_CNT: 0
	.section	.text._ZN7rocprim17ROCPRIM_400000_NS6detail17trampoline_kernelINS0_14default_configENS1_27scan_by_key_config_selectorIssEEZZNS1_16scan_by_key_implILNS1_25lookback_scan_determinismE0ELb1ES3_N6thrust23THRUST_200600_302600_NS6detail15normal_iteratorINS9_10device_ptrIsEEEESE_SE_sNS9_4plusIvEENS9_8equal_toIsEEsEE10hipError_tPvRmT2_T3_T4_T5_mT6_T7_P12ihipStream_tbENKUlT_T0_E_clISt17integral_constantIbLb1EESY_IbLb0EEEEDaSU_SV_EUlSU_E_NS1_11comp_targetILNS1_3genE4ELNS1_11target_archE910ELNS1_3gpuE8ELNS1_3repE0EEENS1_30default_config_static_selectorELNS0_4arch9wavefront6targetE0EEEvT1_,"axG",@progbits,_ZN7rocprim17ROCPRIM_400000_NS6detail17trampoline_kernelINS0_14default_configENS1_27scan_by_key_config_selectorIssEEZZNS1_16scan_by_key_implILNS1_25lookback_scan_determinismE0ELb1ES3_N6thrust23THRUST_200600_302600_NS6detail15normal_iteratorINS9_10device_ptrIsEEEESE_SE_sNS9_4plusIvEENS9_8equal_toIsEEsEE10hipError_tPvRmT2_T3_T4_T5_mT6_T7_P12ihipStream_tbENKUlT_T0_E_clISt17integral_constantIbLb1EESY_IbLb0EEEEDaSU_SV_EUlSU_E_NS1_11comp_targetILNS1_3genE4ELNS1_11target_archE910ELNS1_3gpuE8ELNS1_3repE0EEENS1_30default_config_static_selectorELNS0_4arch9wavefront6targetE0EEEvT1_,comdat
	.protected	_ZN7rocprim17ROCPRIM_400000_NS6detail17trampoline_kernelINS0_14default_configENS1_27scan_by_key_config_selectorIssEEZZNS1_16scan_by_key_implILNS1_25lookback_scan_determinismE0ELb1ES3_N6thrust23THRUST_200600_302600_NS6detail15normal_iteratorINS9_10device_ptrIsEEEESE_SE_sNS9_4plusIvEENS9_8equal_toIsEEsEE10hipError_tPvRmT2_T3_T4_T5_mT6_T7_P12ihipStream_tbENKUlT_T0_E_clISt17integral_constantIbLb1EESY_IbLb0EEEEDaSU_SV_EUlSU_E_NS1_11comp_targetILNS1_3genE4ELNS1_11target_archE910ELNS1_3gpuE8ELNS1_3repE0EEENS1_30default_config_static_selectorELNS0_4arch9wavefront6targetE0EEEvT1_ ; -- Begin function _ZN7rocprim17ROCPRIM_400000_NS6detail17trampoline_kernelINS0_14default_configENS1_27scan_by_key_config_selectorIssEEZZNS1_16scan_by_key_implILNS1_25lookback_scan_determinismE0ELb1ES3_N6thrust23THRUST_200600_302600_NS6detail15normal_iteratorINS9_10device_ptrIsEEEESE_SE_sNS9_4plusIvEENS9_8equal_toIsEEsEE10hipError_tPvRmT2_T3_T4_T5_mT6_T7_P12ihipStream_tbENKUlT_T0_E_clISt17integral_constantIbLb1EESY_IbLb0EEEEDaSU_SV_EUlSU_E_NS1_11comp_targetILNS1_3genE4ELNS1_11target_archE910ELNS1_3gpuE8ELNS1_3repE0EEENS1_30default_config_static_selectorELNS0_4arch9wavefront6targetE0EEEvT1_
	.globl	_ZN7rocprim17ROCPRIM_400000_NS6detail17trampoline_kernelINS0_14default_configENS1_27scan_by_key_config_selectorIssEEZZNS1_16scan_by_key_implILNS1_25lookback_scan_determinismE0ELb1ES3_N6thrust23THRUST_200600_302600_NS6detail15normal_iteratorINS9_10device_ptrIsEEEESE_SE_sNS9_4plusIvEENS9_8equal_toIsEEsEE10hipError_tPvRmT2_T3_T4_T5_mT6_T7_P12ihipStream_tbENKUlT_T0_E_clISt17integral_constantIbLb1EESY_IbLb0EEEEDaSU_SV_EUlSU_E_NS1_11comp_targetILNS1_3genE4ELNS1_11target_archE910ELNS1_3gpuE8ELNS1_3repE0EEENS1_30default_config_static_selectorELNS0_4arch9wavefront6targetE0EEEvT1_
	.p2align	8
	.type	_ZN7rocprim17ROCPRIM_400000_NS6detail17trampoline_kernelINS0_14default_configENS1_27scan_by_key_config_selectorIssEEZZNS1_16scan_by_key_implILNS1_25lookback_scan_determinismE0ELb1ES3_N6thrust23THRUST_200600_302600_NS6detail15normal_iteratorINS9_10device_ptrIsEEEESE_SE_sNS9_4plusIvEENS9_8equal_toIsEEsEE10hipError_tPvRmT2_T3_T4_T5_mT6_T7_P12ihipStream_tbENKUlT_T0_E_clISt17integral_constantIbLb1EESY_IbLb0EEEEDaSU_SV_EUlSU_E_NS1_11comp_targetILNS1_3genE4ELNS1_11target_archE910ELNS1_3gpuE8ELNS1_3repE0EEENS1_30default_config_static_selectorELNS0_4arch9wavefront6targetE0EEEvT1_,@function
_ZN7rocprim17ROCPRIM_400000_NS6detail17trampoline_kernelINS0_14default_configENS1_27scan_by_key_config_selectorIssEEZZNS1_16scan_by_key_implILNS1_25lookback_scan_determinismE0ELb1ES3_N6thrust23THRUST_200600_302600_NS6detail15normal_iteratorINS9_10device_ptrIsEEEESE_SE_sNS9_4plusIvEENS9_8equal_toIsEEsEE10hipError_tPvRmT2_T3_T4_T5_mT6_T7_P12ihipStream_tbENKUlT_T0_E_clISt17integral_constantIbLb1EESY_IbLb0EEEEDaSU_SV_EUlSU_E_NS1_11comp_targetILNS1_3genE4ELNS1_11target_archE910ELNS1_3gpuE8ELNS1_3repE0EEENS1_30default_config_static_selectorELNS0_4arch9wavefront6targetE0EEEvT1_: ; @_ZN7rocprim17ROCPRIM_400000_NS6detail17trampoline_kernelINS0_14default_configENS1_27scan_by_key_config_selectorIssEEZZNS1_16scan_by_key_implILNS1_25lookback_scan_determinismE0ELb1ES3_N6thrust23THRUST_200600_302600_NS6detail15normal_iteratorINS9_10device_ptrIsEEEESE_SE_sNS9_4plusIvEENS9_8equal_toIsEEsEE10hipError_tPvRmT2_T3_T4_T5_mT6_T7_P12ihipStream_tbENKUlT_T0_E_clISt17integral_constantIbLb1EESY_IbLb0EEEEDaSU_SV_EUlSU_E_NS1_11comp_targetILNS1_3genE4ELNS1_11target_archE910ELNS1_3gpuE8ELNS1_3repE0EEENS1_30default_config_static_selectorELNS0_4arch9wavefront6targetE0EEEvT1_
; %bb.0:
	.section	.rodata,"a",@progbits
	.p2align	6, 0x0
	.amdhsa_kernel _ZN7rocprim17ROCPRIM_400000_NS6detail17trampoline_kernelINS0_14default_configENS1_27scan_by_key_config_selectorIssEEZZNS1_16scan_by_key_implILNS1_25lookback_scan_determinismE0ELb1ES3_N6thrust23THRUST_200600_302600_NS6detail15normal_iteratorINS9_10device_ptrIsEEEESE_SE_sNS9_4plusIvEENS9_8equal_toIsEEsEE10hipError_tPvRmT2_T3_T4_T5_mT6_T7_P12ihipStream_tbENKUlT_T0_E_clISt17integral_constantIbLb1EESY_IbLb0EEEEDaSU_SV_EUlSU_E_NS1_11comp_targetILNS1_3genE4ELNS1_11target_archE910ELNS1_3gpuE8ELNS1_3repE0EEENS1_30default_config_static_selectorELNS0_4arch9wavefront6targetE0EEEvT1_
		.amdhsa_group_segment_fixed_size 0
		.amdhsa_private_segment_fixed_size 0
		.amdhsa_kernarg_size 112
		.amdhsa_user_sgpr_count 6
		.amdhsa_user_sgpr_private_segment_buffer 1
		.amdhsa_user_sgpr_dispatch_ptr 0
		.amdhsa_user_sgpr_queue_ptr 0
		.amdhsa_user_sgpr_kernarg_segment_ptr 1
		.amdhsa_user_sgpr_dispatch_id 0
		.amdhsa_user_sgpr_flat_scratch_init 0
		.amdhsa_user_sgpr_private_segment_size 0
		.amdhsa_wavefront_size32 1
		.amdhsa_uses_dynamic_stack 0
		.amdhsa_system_sgpr_private_segment_wavefront_offset 0
		.amdhsa_system_sgpr_workgroup_id_x 1
		.amdhsa_system_sgpr_workgroup_id_y 0
		.amdhsa_system_sgpr_workgroup_id_z 0
		.amdhsa_system_sgpr_workgroup_info 0
		.amdhsa_system_vgpr_workitem_id 0
		.amdhsa_next_free_vgpr 1
		.amdhsa_next_free_sgpr 1
		.amdhsa_reserve_vcc 0
		.amdhsa_reserve_flat_scratch 0
		.amdhsa_float_round_mode_32 0
		.amdhsa_float_round_mode_16_64 0
		.amdhsa_float_denorm_mode_32 3
		.amdhsa_float_denorm_mode_16_64 3
		.amdhsa_dx10_clamp 1
		.amdhsa_ieee_mode 1
		.amdhsa_fp16_overflow 0
		.amdhsa_workgroup_processor_mode 1
		.amdhsa_memory_ordered 1
		.amdhsa_forward_progress 1
		.amdhsa_shared_vgpr_count 0
		.amdhsa_exception_fp_ieee_invalid_op 0
		.amdhsa_exception_fp_denorm_src 0
		.amdhsa_exception_fp_ieee_div_zero 0
		.amdhsa_exception_fp_ieee_overflow 0
		.amdhsa_exception_fp_ieee_underflow 0
		.amdhsa_exception_fp_ieee_inexact 0
		.amdhsa_exception_int_div_zero 0
	.end_amdhsa_kernel
	.section	.text._ZN7rocprim17ROCPRIM_400000_NS6detail17trampoline_kernelINS0_14default_configENS1_27scan_by_key_config_selectorIssEEZZNS1_16scan_by_key_implILNS1_25lookback_scan_determinismE0ELb1ES3_N6thrust23THRUST_200600_302600_NS6detail15normal_iteratorINS9_10device_ptrIsEEEESE_SE_sNS9_4plusIvEENS9_8equal_toIsEEsEE10hipError_tPvRmT2_T3_T4_T5_mT6_T7_P12ihipStream_tbENKUlT_T0_E_clISt17integral_constantIbLb1EESY_IbLb0EEEEDaSU_SV_EUlSU_E_NS1_11comp_targetILNS1_3genE4ELNS1_11target_archE910ELNS1_3gpuE8ELNS1_3repE0EEENS1_30default_config_static_selectorELNS0_4arch9wavefront6targetE0EEEvT1_,"axG",@progbits,_ZN7rocprim17ROCPRIM_400000_NS6detail17trampoline_kernelINS0_14default_configENS1_27scan_by_key_config_selectorIssEEZZNS1_16scan_by_key_implILNS1_25lookback_scan_determinismE0ELb1ES3_N6thrust23THRUST_200600_302600_NS6detail15normal_iteratorINS9_10device_ptrIsEEEESE_SE_sNS9_4plusIvEENS9_8equal_toIsEEsEE10hipError_tPvRmT2_T3_T4_T5_mT6_T7_P12ihipStream_tbENKUlT_T0_E_clISt17integral_constantIbLb1EESY_IbLb0EEEEDaSU_SV_EUlSU_E_NS1_11comp_targetILNS1_3genE4ELNS1_11target_archE910ELNS1_3gpuE8ELNS1_3repE0EEENS1_30default_config_static_selectorELNS0_4arch9wavefront6targetE0EEEvT1_,comdat
.Lfunc_end662:
	.size	_ZN7rocprim17ROCPRIM_400000_NS6detail17trampoline_kernelINS0_14default_configENS1_27scan_by_key_config_selectorIssEEZZNS1_16scan_by_key_implILNS1_25lookback_scan_determinismE0ELb1ES3_N6thrust23THRUST_200600_302600_NS6detail15normal_iteratorINS9_10device_ptrIsEEEESE_SE_sNS9_4plusIvEENS9_8equal_toIsEEsEE10hipError_tPvRmT2_T3_T4_T5_mT6_T7_P12ihipStream_tbENKUlT_T0_E_clISt17integral_constantIbLb1EESY_IbLb0EEEEDaSU_SV_EUlSU_E_NS1_11comp_targetILNS1_3genE4ELNS1_11target_archE910ELNS1_3gpuE8ELNS1_3repE0EEENS1_30default_config_static_selectorELNS0_4arch9wavefront6targetE0EEEvT1_, .Lfunc_end662-_ZN7rocprim17ROCPRIM_400000_NS6detail17trampoline_kernelINS0_14default_configENS1_27scan_by_key_config_selectorIssEEZZNS1_16scan_by_key_implILNS1_25lookback_scan_determinismE0ELb1ES3_N6thrust23THRUST_200600_302600_NS6detail15normal_iteratorINS9_10device_ptrIsEEEESE_SE_sNS9_4plusIvEENS9_8equal_toIsEEsEE10hipError_tPvRmT2_T3_T4_T5_mT6_T7_P12ihipStream_tbENKUlT_T0_E_clISt17integral_constantIbLb1EESY_IbLb0EEEEDaSU_SV_EUlSU_E_NS1_11comp_targetILNS1_3genE4ELNS1_11target_archE910ELNS1_3gpuE8ELNS1_3repE0EEENS1_30default_config_static_selectorELNS0_4arch9wavefront6targetE0EEEvT1_
                                        ; -- End function
	.set _ZN7rocprim17ROCPRIM_400000_NS6detail17trampoline_kernelINS0_14default_configENS1_27scan_by_key_config_selectorIssEEZZNS1_16scan_by_key_implILNS1_25lookback_scan_determinismE0ELb1ES3_N6thrust23THRUST_200600_302600_NS6detail15normal_iteratorINS9_10device_ptrIsEEEESE_SE_sNS9_4plusIvEENS9_8equal_toIsEEsEE10hipError_tPvRmT2_T3_T4_T5_mT6_T7_P12ihipStream_tbENKUlT_T0_E_clISt17integral_constantIbLb1EESY_IbLb0EEEEDaSU_SV_EUlSU_E_NS1_11comp_targetILNS1_3genE4ELNS1_11target_archE910ELNS1_3gpuE8ELNS1_3repE0EEENS1_30default_config_static_selectorELNS0_4arch9wavefront6targetE0EEEvT1_.num_vgpr, 0
	.set _ZN7rocprim17ROCPRIM_400000_NS6detail17trampoline_kernelINS0_14default_configENS1_27scan_by_key_config_selectorIssEEZZNS1_16scan_by_key_implILNS1_25lookback_scan_determinismE0ELb1ES3_N6thrust23THRUST_200600_302600_NS6detail15normal_iteratorINS9_10device_ptrIsEEEESE_SE_sNS9_4plusIvEENS9_8equal_toIsEEsEE10hipError_tPvRmT2_T3_T4_T5_mT6_T7_P12ihipStream_tbENKUlT_T0_E_clISt17integral_constantIbLb1EESY_IbLb0EEEEDaSU_SV_EUlSU_E_NS1_11comp_targetILNS1_3genE4ELNS1_11target_archE910ELNS1_3gpuE8ELNS1_3repE0EEENS1_30default_config_static_selectorELNS0_4arch9wavefront6targetE0EEEvT1_.num_agpr, 0
	.set _ZN7rocprim17ROCPRIM_400000_NS6detail17trampoline_kernelINS0_14default_configENS1_27scan_by_key_config_selectorIssEEZZNS1_16scan_by_key_implILNS1_25lookback_scan_determinismE0ELb1ES3_N6thrust23THRUST_200600_302600_NS6detail15normal_iteratorINS9_10device_ptrIsEEEESE_SE_sNS9_4plusIvEENS9_8equal_toIsEEsEE10hipError_tPvRmT2_T3_T4_T5_mT6_T7_P12ihipStream_tbENKUlT_T0_E_clISt17integral_constantIbLb1EESY_IbLb0EEEEDaSU_SV_EUlSU_E_NS1_11comp_targetILNS1_3genE4ELNS1_11target_archE910ELNS1_3gpuE8ELNS1_3repE0EEENS1_30default_config_static_selectorELNS0_4arch9wavefront6targetE0EEEvT1_.numbered_sgpr, 0
	.set _ZN7rocprim17ROCPRIM_400000_NS6detail17trampoline_kernelINS0_14default_configENS1_27scan_by_key_config_selectorIssEEZZNS1_16scan_by_key_implILNS1_25lookback_scan_determinismE0ELb1ES3_N6thrust23THRUST_200600_302600_NS6detail15normal_iteratorINS9_10device_ptrIsEEEESE_SE_sNS9_4plusIvEENS9_8equal_toIsEEsEE10hipError_tPvRmT2_T3_T4_T5_mT6_T7_P12ihipStream_tbENKUlT_T0_E_clISt17integral_constantIbLb1EESY_IbLb0EEEEDaSU_SV_EUlSU_E_NS1_11comp_targetILNS1_3genE4ELNS1_11target_archE910ELNS1_3gpuE8ELNS1_3repE0EEENS1_30default_config_static_selectorELNS0_4arch9wavefront6targetE0EEEvT1_.num_named_barrier, 0
	.set _ZN7rocprim17ROCPRIM_400000_NS6detail17trampoline_kernelINS0_14default_configENS1_27scan_by_key_config_selectorIssEEZZNS1_16scan_by_key_implILNS1_25lookback_scan_determinismE0ELb1ES3_N6thrust23THRUST_200600_302600_NS6detail15normal_iteratorINS9_10device_ptrIsEEEESE_SE_sNS9_4plusIvEENS9_8equal_toIsEEsEE10hipError_tPvRmT2_T3_T4_T5_mT6_T7_P12ihipStream_tbENKUlT_T0_E_clISt17integral_constantIbLb1EESY_IbLb0EEEEDaSU_SV_EUlSU_E_NS1_11comp_targetILNS1_3genE4ELNS1_11target_archE910ELNS1_3gpuE8ELNS1_3repE0EEENS1_30default_config_static_selectorELNS0_4arch9wavefront6targetE0EEEvT1_.private_seg_size, 0
	.set _ZN7rocprim17ROCPRIM_400000_NS6detail17trampoline_kernelINS0_14default_configENS1_27scan_by_key_config_selectorIssEEZZNS1_16scan_by_key_implILNS1_25lookback_scan_determinismE0ELb1ES3_N6thrust23THRUST_200600_302600_NS6detail15normal_iteratorINS9_10device_ptrIsEEEESE_SE_sNS9_4plusIvEENS9_8equal_toIsEEsEE10hipError_tPvRmT2_T3_T4_T5_mT6_T7_P12ihipStream_tbENKUlT_T0_E_clISt17integral_constantIbLb1EESY_IbLb0EEEEDaSU_SV_EUlSU_E_NS1_11comp_targetILNS1_3genE4ELNS1_11target_archE910ELNS1_3gpuE8ELNS1_3repE0EEENS1_30default_config_static_selectorELNS0_4arch9wavefront6targetE0EEEvT1_.uses_vcc, 0
	.set _ZN7rocprim17ROCPRIM_400000_NS6detail17trampoline_kernelINS0_14default_configENS1_27scan_by_key_config_selectorIssEEZZNS1_16scan_by_key_implILNS1_25lookback_scan_determinismE0ELb1ES3_N6thrust23THRUST_200600_302600_NS6detail15normal_iteratorINS9_10device_ptrIsEEEESE_SE_sNS9_4plusIvEENS9_8equal_toIsEEsEE10hipError_tPvRmT2_T3_T4_T5_mT6_T7_P12ihipStream_tbENKUlT_T0_E_clISt17integral_constantIbLb1EESY_IbLb0EEEEDaSU_SV_EUlSU_E_NS1_11comp_targetILNS1_3genE4ELNS1_11target_archE910ELNS1_3gpuE8ELNS1_3repE0EEENS1_30default_config_static_selectorELNS0_4arch9wavefront6targetE0EEEvT1_.uses_flat_scratch, 0
	.set _ZN7rocprim17ROCPRIM_400000_NS6detail17trampoline_kernelINS0_14default_configENS1_27scan_by_key_config_selectorIssEEZZNS1_16scan_by_key_implILNS1_25lookback_scan_determinismE0ELb1ES3_N6thrust23THRUST_200600_302600_NS6detail15normal_iteratorINS9_10device_ptrIsEEEESE_SE_sNS9_4plusIvEENS9_8equal_toIsEEsEE10hipError_tPvRmT2_T3_T4_T5_mT6_T7_P12ihipStream_tbENKUlT_T0_E_clISt17integral_constantIbLb1EESY_IbLb0EEEEDaSU_SV_EUlSU_E_NS1_11comp_targetILNS1_3genE4ELNS1_11target_archE910ELNS1_3gpuE8ELNS1_3repE0EEENS1_30default_config_static_selectorELNS0_4arch9wavefront6targetE0EEEvT1_.has_dyn_sized_stack, 0
	.set _ZN7rocprim17ROCPRIM_400000_NS6detail17trampoline_kernelINS0_14default_configENS1_27scan_by_key_config_selectorIssEEZZNS1_16scan_by_key_implILNS1_25lookback_scan_determinismE0ELb1ES3_N6thrust23THRUST_200600_302600_NS6detail15normal_iteratorINS9_10device_ptrIsEEEESE_SE_sNS9_4plusIvEENS9_8equal_toIsEEsEE10hipError_tPvRmT2_T3_T4_T5_mT6_T7_P12ihipStream_tbENKUlT_T0_E_clISt17integral_constantIbLb1EESY_IbLb0EEEEDaSU_SV_EUlSU_E_NS1_11comp_targetILNS1_3genE4ELNS1_11target_archE910ELNS1_3gpuE8ELNS1_3repE0EEENS1_30default_config_static_selectorELNS0_4arch9wavefront6targetE0EEEvT1_.has_recursion, 0
	.set _ZN7rocprim17ROCPRIM_400000_NS6detail17trampoline_kernelINS0_14default_configENS1_27scan_by_key_config_selectorIssEEZZNS1_16scan_by_key_implILNS1_25lookback_scan_determinismE0ELb1ES3_N6thrust23THRUST_200600_302600_NS6detail15normal_iteratorINS9_10device_ptrIsEEEESE_SE_sNS9_4plusIvEENS9_8equal_toIsEEsEE10hipError_tPvRmT2_T3_T4_T5_mT6_T7_P12ihipStream_tbENKUlT_T0_E_clISt17integral_constantIbLb1EESY_IbLb0EEEEDaSU_SV_EUlSU_E_NS1_11comp_targetILNS1_3genE4ELNS1_11target_archE910ELNS1_3gpuE8ELNS1_3repE0EEENS1_30default_config_static_selectorELNS0_4arch9wavefront6targetE0EEEvT1_.has_indirect_call, 0
	.section	.AMDGPU.csdata,"",@progbits
; Kernel info:
; codeLenInByte = 0
; TotalNumSgprs: 0
; NumVgprs: 0
; ScratchSize: 0
; MemoryBound: 0
; FloatMode: 240
; IeeeMode: 1
; LDSByteSize: 0 bytes/workgroup (compile time only)
; SGPRBlocks: 0
; VGPRBlocks: 0
; NumSGPRsForWavesPerEU: 1
; NumVGPRsForWavesPerEU: 1
; Occupancy: 16
; WaveLimiterHint : 0
; COMPUTE_PGM_RSRC2:SCRATCH_EN: 0
; COMPUTE_PGM_RSRC2:USER_SGPR: 6
; COMPUTE_PGM_RSRC2:TRAP_HANDLER: 0
; COMPUTE_PGM_RSRC2:TGID_X_EN: 1
; COMPUTE_PGM_RSRC2:TGID_Y_EN: 0
; COMPUTE_PGM_RSRC2:TGID_Z_EN: 0
; COMPUTE_PGM_RSRC2:TIDIG_COMP_CNT: 0
	.section	.text._ZN7rocprim17ROCPRIM_400000_NS6detail17trampoline_kernelINS0_14default_configENS1_27scan_by_key_config_selectorIssEEZZNS1_16scan_by_key_implILNS1_25lookback_scan_determinismE0ELb1ES3_N6thrust23THRUST_200600_302600_NS6detail15normal_iteratorINS9_10device_ptrIsEEEESE_SE_sNS9_4plusIvEENS9_8equal_toIsEEsEE10hipError_tPvRmT2_T3_T4_T5_mT6_T7_P12ihipStream_tbENKUlT_T0_E_clISt17integral_constantIbLb1EESY_IbLb0EEEEDaSU_SV_EUlSU_E_NS1_11comp_targetILNS1_3genE3ELNS1_11target_archE908ELNS1_3gpuE7ELNS1_3repE0EEENS1_30default_config_static_selectorELNS0_4arch9wavefront6targetE0EEEvT1_,"axG",@progbits,_ZN7rocprim17ROCPRIM_400000_NS6detail17trampoline_kernelINS0_14default_configENS1_27scan_by_key_config_selectorIssEEZZNS1_16scan_by_key_implILNS1_25lookback_scan_determinismE0ELb1ES3_N6thrust23THRUST_200600_302600_NS6detail15normal_iteratorINS9_10device_ptrIsEEEESE_SE_sNS9_4plusIvEENS9_8equal_toIsEEsEE10hipError_tPvRmT2_T3_T4_T5_mT6_T7_P12ihipStream_tbENKUlT_T0_E_clISt17integral_constantIbLb1EESY_IbLb0EEEEDaSU_SV_EUlSU_E_NS1_11comp_targetILNS1_3genE3ELNS1_11target_archE908ELNS1_3gpuE7ELNS1_3repE0EEENS1_30default_config_static_selectorELNS0_4arch9wavefront6targetE0EEEvT1_,comdat
	.protected	_ZN7rocprim17ROCPRIM_400000_NS6detail17trampoline_kernelINS0_14default_configENS1_27scan_by_key_config_selectorIssEEZZNS1_16scan_by_key_implILNS1_25lookback_scan_determinismE0ELb1ES3_N6thrust23THRUST_200600_302600_NS6detail15normal_iteratorINS9_10device_ptrIsEEEESE_SE_sNS9_4plusIvEENS9_8equal_toIsEEsEE10hipError_tPvRmT2_T3_T4_T5_mT6_T7_P12ihipStream_tbENKUlT_T0_E_clISt17integral_constantIbLb1EESY_IbLb0EEEEDaSU_SV_EUlSU_E_NS1_11comp_targetILNS1_3genE3ELNS1_11target_archE908ELNS1_3gpuE7ELNS1_3repE0EEENS1_30default_config_static_selectorELNS0_4arch9wavefront6targetE0EEEvT1_ ; -- Begin function _ZN7rocprim17ROCPRIM_400000_NS6detail17trampoline_kernelINS0_14default_configENS1_27scan_by_key_config_selectorIssEEZZNS1_16scan_by_key_implILNS1_25lookback_scan_determinismE0ELb1ES3_N6thrust23THRUST_200600_302600_NS6detail15normal_iteratorINS9_10device_ptrIsEEEESE_SE_sNS9_4plusIvEENS9_8equal_toIsEEsEE10hipError_tPvRmT2_T3_T4_T5_mT6_T7_P12ihipStream_tbENKUlT_T0_E_clISt17integral_constantIbLb1EESY_IbLb0EEEEDaSU_SV_EUlSU_E_NS1_11comp_targetILNS1_3genE3ELNS1_11target_archE908ELNS1_3gpuE7ELNS1_3repE0EEENS1_30default_config_static_selectorELNS0_4arch9wavefront6targetE0EEEvT1_
	.globl	_ZN7rocprim17ROCPRIM_400000_NS6detail17trampoline_kernelINS0_14default_configENS1_27scan_by_key_config_selectorIssEEZZNS1_16scan_by_key_implILNS1_25lookback_scan_determinismE0ELb1ES3_N6thrust23THRUST_200600_302600_NS6detail15normal_iteratorINS9_10device_ptrIsEEEESE_SE_sNS9_4plusIvEENS9_8equal_toIsEEsEE10hipError_tPvRmT2_T3_T4_T5_mT6_T7_P12ihipStream_tbENKUlT_T0_E_clISt17integral_constantIbLb1EESY_IbLb0EEEEDaSU_SV_EUlSU_E_NS1_11comp_targetILNS1_3genE3ELNS1_11target_archE908ELNS1_3gpuE7ELNS1_3repE0EEENS1_30default_config_static_selectorELNS0_4arch9wavefront6targetE0EEEvT1_
	.p2align	8
	.type	_ZN7rocprim17ROCPRIM_400000_NS6detail17trampoline_kernelINS0_14default_configENS1_27scan_by_key_config_selectorIssEEZZNS1_16scan_by_key_implILNS1_25lookback_scan_determinismE0ELb1ES3_N6thrust23THRUST_200600_302600_NS6detail15normal_iteratorINS9_10device_ptrIsEEEESE_SE_sNS9_4plusIvEENS9_8equal_toIsEEsEE10hipError_tPvRmT2_T3_T4_T5_mT6_T7_P12ihipStream_tbENKUlT_T0_E_clISt17integral_constantIbLb1EESY_IbLb0EEEEDaSU_SV_EUlSU_E_NS1_11comp_targetILNS1_3genE3ELNS1_11target_archE908ELNS1_3gpuE7ELNS1_3repE0EEENS1_30default_config_static_selectorELNS0_4arch9wavefront6targetE0EEEvT1_,@function
_ZN7rocprim17ROCPRIM_400000_NS6detail17trampoline_kernelINS0_14default_configENS1_27scan_by_key_config_selectorIssEEZZNS1_16scan_by_key_implILNS1_25lookback_scan_determinismE0ELb1ES3_N6thrust23THRUST_200600_302600_NS6detail15normal_iteratorINS9_10device_ptrIsEEEESE_SE_sNS9_4plusIvEENS9_8equal_toIsEEsEE10hipError_tPvRmT2_T3_T4_T5_mT6_T7_P12ihipStream_tbENKUlT_T0_E_clISt17integral_constantIbLb1EESY_IbLb0EEEEDaSU_SV_EUlSU_E_NS1_11comp_targetILNS1_3genE3ELNS1_11target_archE908ELNS1_3gpuE7ELNS1_3repE0EEENS1_30default_config_static_selectorELNS0_4arch9wavefront6targetE0EEEvT1_: ; @_ZN7rocprim17ROCPRIM_400000_NS6detail17trampoline_kernelINS0_14default_configENS1_27scan_by_key_config_selectorIssEEZZNS1_16scan_by_key_implILNS1_25lookback_scan_determinismE0ELb1ES3_N6thrust23THRUST_200600_302600_NS6detail15normal_iteratorINS9_10device_ptrIsEEEESE_SE_sNS9_4plusIvEENS9_8equal_toIsEEsEE10hipError_tPvRmT2_T3_T4_T5_mT6_T7_P12ihipStream_tbENKUlT_T0_E_clISt17integral_constantIbLb1EESY_IbLb0EEEEDaSU_SV_EUlSU_E_NS1_11comp_targetILNS1_3genE3ELNS1_11target_archE908ELNS1_3gpuE7ELNS1_3repE0EEENS1_30default_config_static_selectorELNS0_4arch9wavefront6targetE0EEEvT1_
; %bb.0:
	.section	.rodata,"a",@progbits
	.p2align	6, 0x0
	.amdhsa_kernel _ZN7rocprim17ROCPRIM_400000_NS6detail17trampoline_kernelINS0_14default_configENS1_27scan_by_key_config_selectorIssEEZZNS1_16scan_by_key_implILNS1_25lookback_scan_determinismE0ELb1ES3_N6thrust23THRUST_200600_302600_NS6detail15normal_iteratorINS9_10device_ptrIsEEEESE_SE_sNS9_4plusIvEENS9_8equal_toIsEEsEE10hipError_tPvRmT2_T3_T4_T5_mT6_T7_P12ihipStream_tbENKUlT_T0_E_clISt17integral_constantIbLb1EESY_IbLb0EEEEDaSU_SV_EUlSU_E_NS1_11comp_targetILNS1_3genE3ELNS1_11target_archE908ELNS1_3gpuE7ELNS1_3repE0EEENS1_30default_config_static_selectorELNS0_4arch9wavefront6targetE0EEEvT1_
		.amdhsa_group_segment_fixed_size 0
		.amdhsa_private_segment_fixed_size 0
		.amdhsa_kernarg_size 112
		.amdhsa_user_sgpr_count 6
		.amdhsa_user_sgpr_private_segment_buffer 1
		.amdhsa_user_sgpr_dispatch_ptr 0
		.amdhsa_user_sgpr_queue_ptr 0
		.amdhsa_user_sgpr_kernarg_segment_ptr 1
		.amdhsa_user_sgpr_dispatch_id 0
		.amdhsa_user_sgpr_flat_scratch_init 0
		.amdhsa_user_sgpr_private_segment_size 0
		.amdhsa_wavefront_size32 1
		.amdhsa_uses_dynamic_stack 0
		.amdhsa_system_sgpr_private_segment_wavefront_offset 0
		.amdhsa_system_sgpr_workgroup_id_x 1
		.amdhsa_system_sgpr_workgroup_id_y 0
		.amdhsa_system_sgpr_workgroup_id_z 0
		.amdhsa_system_sgpr_workgroup_info 0
		.amdhsa_system_vgpr_workitem_id 0
		.amdhsa_next_free_vgpr 1
		.amdhsa_next_free_sgpr 1
		.amdhsa_reserve_vcc 0
		.amdhsa_reserve_flat_scratch 0
		.amdhsa_float_round_mode_32 0
		.amdhsa_float_round_mode_16_64 0
		.amdhsa_float_denorm_mode_32 3
		.amdhsa_float_denorm_mode_16_64 3
		.amdhsa_dx10_clamp 1
		.amdhsa_ieee_mode 1
		.amdhsa_fp16_overflow 0
		.amdhsa_workgroup_processor_mode 1
		.amdhsa_memory_ordered 1
		.amdhsa_forward_progress 1
		.amdhsa_shared_vgpr_count 0
		.amdhsa_exception_fp_ieee_invalid_op 0
		.amdhsa_exception_fp_denorm_src 0
		.amdhsa_exception_fp_ieee_div_zero 0
		.amdhsa_exception_fp_ieee_overflow 0
		.amdhsa_exception_fp_ieee_underflow 0
		.amdhsa_exception_fp_ieee_inexact 0
		.amdhsa_exception_int_div_zero 0
	.end_amdhsa_kernel
	.section	.text._ZN7rocprim17ROCPRIM_400000_NS6detail17trampoline_kernelINS0_14default_configENS1_27scan_by_key_config_selectorIssEEZZNS1_16scan_by_key_implILNS1_25lookback_scan_determinismE0ELb1ES3_N6thrust23THRUST_200600_302600_NS6detail15normal_iteratorINS9_10device_ptrIsEEEESE_SE_sNS9_4plusIvEENS9_8equal_toIsEEsEE10hipError_tPvRmT2_T3_T4_T5_mT6_T7_P12ihipStream_tbENKUlT_T0_E_clISt17integral_constantIbLb1EESY_IbLb0EEEEDaSU_SV_EUlSU_E_NS1_11comp_targetILNS1_3genE3ELNS1_11target_archE908ELNS1_3gpuE7ELNS1_3repE0EEENS1_30default_config_static_selectorELNS0_4arch9wavefront6targetE0EEEvT1_,"axG",@progbits,_ZN7rocprim17ROCPRIM_400000_NS6detail17trampoline_kernelINS0_14default_configENS1_27scan_by_key_config_selectorIssEEZZNS1_16scan_by_key_implILNS1_25lookback_scan_determinismE0ELb1ES3_N6thrust23THRUST_200600_302600_NS6detail15normal_iteratorINS9_10device_ptrIsEEEESE_SE_sNS9_4plusIvEENS9_8equal_toIsEEsEE10hipError_tPvRmT2_T3_T4_T5_mT6_T7_P12ihipStream_tbENKUlT_T0_E_clISt17integral_constantIbLb1EESY_IbLb0EEEEDaSU_SV_EUlSU_E_NS1_11comp_targetILNS1_3genE3ELNS1_11target_archE908ELNS1_3gpuE7ELNS1_3repE0EEENS1_30default_config_static_selectorELNS0_4arch9wavefront6targetE0EEEvT1_,comdat
.Lfunc_end663:
	.size	_ZN7rocprim17ROCPRIM_400000_NS6detail17trampoline_kernelINS0_14default_configENS1_27scan_by_key_config_selectorIssEEZZNS1_16scan_by_key_implILNS1_25lookback_scan_determinismE0ELb1ES3_N6thrust23THRUST_200600_302600_NS6detail15normal_iteratorINS9_10device_ptrIsEEEESE_SE_sNS9_4plusIvEENS9_8equal_toIsEEsEE10hipError_tPvRmT2_T3_T4_T5_mT6_T7_P12ihipStream_tbENKUlT_T0_E_clISt17integral_constantIbLb1EESY_IbLb0EEEEDaSU_SV_EUlSU_E_NS1_11comp_targetILNS1_3genE3ELNS1_11target_archE908ELNS1_3gpuE7ELNS1_3repE0EEENS1_30default_config_static_selectorELNS0_4arch9wavefront6targetE0EEEvT1_, .Lfunc_end663-_ZN7rocprim17ROCPRIM_400000_NS6detail17trampoline_kernelINS0_14default_configENS1_27scan_by_key_config_selectorIssEEZZNS1_16scan_by_key_implILNS1_25lookback_scan_determinismE0ELb1ES3_N6thrust23THRUST_200600_302600_NS6detail15normal_iteratorINS9_10device_ptrIsEEEESE_SE_sNS9_4plusIvEENS9_8equal_toIsEEsEE10hipError_tPvRmT2_T3_T4_T5_mT6_T7_P12ihipStream_tbENKUlT_T0_E_clISt17integral_constantIbLb1EESY_IbLb0EEEEDaSU_SV_EUlSU_E_NS1_11comp_targetILNS1_3genE3ELNS1_11target_archE908ELNS1_3gpuE7ELNS1_3repE0EEENS1_30default_config_static_selectorELNS0_4arch9wavefront6targetE0EEEvT1_
                                        ; -- End function
	.set _ZN7rocprim17ROCPRIM_400000_NS6detail17trampoline_kernelINS0_14default_configENS1_27scan_by_key_config_selectorIssEEZZNS1_16scan_by_key_implILNS1_25lookback_scan_determinismE0ELb1ES3_N6thrust23THRUST_200600_302600_NS6detail15normal_iteratorINS9_10device_ptrIsEEEESE_SE_sNS9_4plusIvEENS9_8equal_toIsEEsEE10hipError_tPvRmT2_T3_T4_T5_mT6_T7_P12ihipStream_tbENKUlT_T0_E_clISt17integral_constantIbLb1EESY_IbLb0EEEEDaSU_SV_EUlSU_E_NS1_11comp_targetILNS1_3genE3ELNS1_11target_archE908ELNS1_3gpuE7ELNS1_3repE0EEENS1_30default_config_static_selectorELNS0_4arch9wavefront6targetE0EEEvT1_.num_vgpr, 0
	.set _ZN7rocprim17ROCPRIM_400000_NS6detail17trampoline_kernelINS0_14default_configENS1_27scan_by_key_config_selectorIssEEZZNS1_16scan_by_key_implILNS1_25lookback_scan_determinismE0ELb1ES3_N6thrust23THRUST_200600_302600_NS6detail15normal_iteratorINS9_10device_ptrIsEEEESE_SE_sNS9_4plusIvEENS9_8equal_toIsEEsEE10hipError_tPvRmT2_T3_T4_T5_mT6_T7_P12ihipStream_tbENKUlT_T0_E_clISt17integral_constantIbLb1EESY_IbLb0EEEEDaSU_SV_EUlSU_E_NS1_11comp_targetILNS1_3genE3ELNS1_11target_archE908ELNS1_3gpuE7ELNS1_3repE0EEENS1_30default_config_static_selectorELNS0_4arch9wavefront6targetE0EEEvT1_.num_agpr, 0
	.set _ZN7rocprim17ROCPRIM_400000_NS6detail17trampoline_kernelINS0_14default_configENS1_27scan_by_key_config_selectorIssEEZZNS1_16scan_by_key_implILNS1_25lookback_scan_determinismE0ELb1ES3_N6thrust23THRUST_200600_302600_NS6detail15normal_iteratorINS9_10device_ptrIsEEEESE_SE_sNS9_4plusIvEENS9_8equal_toIsEEsEE10hipError_tPvRmT2_T3_T4_T5_mT6_T7_P12ihipStream_tbENKUlT_T0_E_clISt17integral_constantIbLb1EESY_IbLb0EEEEDaSU_SV_EUlSU_E_NS1_11comp_targetILNS1_3genE3ELNS1_11target_archE908ELNS1_3gpuE7ELNS1_3repE0EEENS1_30default_config_static_selectorELNS0_4arch9wavefront6targetE0EEEvT1_.numbered_sgpr, 0
	.set _ZN7rocprim17ROCPRIM_400000_NS6detail17trampoline_kernelINS0_14default_configENS1_27scan_by_key_config_selectorIssEEZZNS1_16scan_by_key_implILNS1_25lookback_scan_determinismE0ELb1ES3_N6thrust23THRUST_200600_302600_NS6detail15normal_iteratorINS9_10device_ptrIsEEEESE_SE_sNS9_4plusIvEENS9_8equal_toIsEEsEE10hipError_tPvRmT2_T3_T4_T5_mT6_T7_P12ihipStream_tbENKUlT_T0_E_clISt17integral_constantIbLb1EESY_IbLb0EEEEDaSU_SV_EUlSU_E_NS1_11comp_targetILNS1_3genE3ELNS1_11target_archE908ELNS1_3gpuE7ELNS1_3repE0EEENS1_30default_config_static_selectorELNS0_4arch9wavefront6targetE0EEEvT1_.num_named_barrier, 0
	.set _ZN7rocprim17ROCPRIM_400000_NS6detail17trampoline_kernelINS0_14default_configENS1_27scan_by_key_config_selectorIssEEZZNS1_16scan_by_key_implILNS1_25lookback_scan_determinismE0ELb1ES3_N6thrust23THRUST_200600_302600_NS6detail15normal_iteratorINS9_10device_ptrIsEEEESE_SE_sNS9_4plusIvEENS9_8equal_toIsEEsEE10hipError_tPvRmT2_T3_T4_T5_mT6_T7_P12ihipStream_tbENKUlT_T0_E_clISt17integral_constantIbLb1EESY_IbLb0EEEEDaSU_SV_EUlSU_E_NS1_11comp_targetILNS1_3genE3ELNS1_11target_archE908ELNS1_3gpuE7ELNS1_3repE0EEENS1_30default_config_static_selectorELNS0_4arch9wavefront6targetE0EEEvT1_.private_seg_size, 0
	.set _ZN7rocprim17ROCPRIM_400000_NS6detail17trampoline_kernelINS0_14default_configENS1_27scan_by_key_config_selectorIssEEZZNS1_16scan_by_key_implILNS1_25lookback_scan_determinismE0ELb1ES3_N6thrust23THRUST_200600_302600_NS6detail15normal_iteratorINS9_10device_ptrIsEEEESE_SE_sNS9_4plusIvEENS9_8equal_toIsEEsEE10hipError_tPvRmT2_T3_T4_T5_mT6_T7_P12ihipStream_tbENKUlT_T0_E_clISt17integral_constantIbLb1EESY_IbLb0EEEEDaSU_SV_EUlSU_E_NS1_11comp_targetILNS1_3genE3ELNS1_11target_archE908ELNS1_3gpuE7ELNS1_3repE0EEENS1_30default_config_static_selectorELNS0_4arch9wavefront6targetE0EEEvT1_.uses_vcc, 0
	.set _ZN7rocprim17ROCPRIM_400000_NS6detail17trampoline_kernelINS0_14default_configENS1_27scan_by_key_config_selectorIssEEZZNS1_16scan_by_key_implILNS1_25lookback_scan_determinismE0ELb1ES3_N6thrust23THRUST_200600_302600_NS6detail15normal_iteratorINS9_10device_ptrIsEEEESE_SE_sNS9_4plusIvEENS9_8equal_toIsEEsEE10hipError_tPvRmT2_T3_T4_T5_mT6_T7_P12ihipStream_tbENKUlT_T0_E_clISt17integral_constantIbLb1EESY_IbLb0EEEEDaSU_SV_EUlSU_E_NS1_11comp_targetILNS1_3genE3ELNS1_11target_archE908ELNS1_3gpuE7ELNS1_3repE0EEENS1_30default_config_static_selectorELNS0_4arch9wavefront6targetE0EEEvT1_.uses_flat_scratch, 0
	.set _ZN7rocprim17ROCPRIM_400000_NS6detail17trampoline_kernelINS0_14default_configENS1_27scan_by_key_config_selectorIssEEZZNS1_16scan_by_key_implILNS1_25lookback_scan_determinismE0ELb1ES3_N6thrust23THRUST_200600_302600_NS6detail15normal_iteratorINS9_10device_ptrIsEEEESE_SE_sNS9_4plusIvEENS9_8equal_toIsEEsEE10hipError_tPvRmT2_T3_T4_T5_mT6_T7_P12ihipStream_tbENKUlT_T0_E_clISt17integral_constantIbLb1EESY_IbLb0EEEEDaSU_SV_EUlSU_E_NS1_11comp_targetILNS1_3genE3ELNS1_11target_archE908ELNS1_3gpuE7ELNS1_3repE0EEENS1_30default_config_static_selectorELNS0_4arch9wavefront6targetE0EEEvT1_.has_dyn_sized_stack, 0
	.set _ZN7rocprim17ROCPRIM_400000_NS6detail17trampoline_kernelINS0_14default_configENS1_27scan_by_key_config_selectorIssEEZZNS1_16scan_by_key_implILNS1_25lookback_scan_determinismE0ELb1ES3_N6thrust23THRUST_200600_302600_NS6detail15normal_iteratorINS9_10device_ptrIsEEEESE_SE_sNS9_4plusIvEENS9_8equal_toIsEEsEE10hipError_tPvRmT2_T3_T4_T5_mT6_T7_P12ihipStream_tbENKUlT_T0_E_clISt17integral_constantIbLb1EESY_IbLb0EEEEDaSU_SV_EUlSU_E_NS1_11comp_targetILNS1_3genE3ELNS1_11target_archE908ELNS1_3gpuE7ELNS1_3repE0EEENS1_30default_config_static_selectorELNS0_4arch9wavefront6targetE0EEEvT1_.has_recursion, 0
	.set _ZN7rocprim17ROCPRIM_400000_NS6detail17trampoline_kernelINS0_14default_configENS1_27scan_by_key_config_selectorIssEEZZNS1_16scan_by_key_implILNS1_25lookback_scan_determinismE0ELb1ES3_N6thrust23THRUST_200600_302600_NS6detail15normal_iteratorINS9_10device_ptrIsEEEESE_SE_sNS9_4plusIvEENS9_8equal_toIsEEsEE10hipError_tPvRmT2_T3_T4_T5_mT6_T7_P12ihipStream_tbENKUlT_T0_E_clISt17integral_constantIbLb1EESY_IbLb0EEEEDaSU_SV_EUlSU_E_NS1_11comp_targetILNS1_3genE3ELNS1_11target_archE908ELNS1_3gpuE7ELNS1_3repE0EEENS1_30default_config_static_selectorELNS0_4arch9wavefront6targetE0EEEvT1_.has_indirect_call, 0
	.section	.AMDGPU.csdata,"",@progbits
; Kernel info:
; codeLenInByte = 0
; TotalNumSgprs: 0
; NumVgprs: 0
; ScratchSize: 0
; MemoryBound: 0
; FloatMode: 240
; IeeeMode: 1
; LDSByteSize: 0 bytes/workgroup (compile time only)
; SGPRBlocks: 0
; VGPRBlocks: 0
; NumSGPRsForWavesPerEU: 1
; NumVGPRsForWavesPerEU: 1
; Occupancy: 16
; WaveLimiterHint : 0
; COMPUTE_PGM_RSRC2:SCRATCH_EN: 0
; COMPUTE_PGM_RSRC2:USER_SGPR: 6
; COMPUTE_PGM_RSRC2:TRAP_HANDLER: 0
; COMPUTE_PGM_RSRC2:TGID_X_EN: 1
; COMPUTE_PGM_RSRC2:TGID_Y_EN: 0
; COMPUTE_PGM_RSRC2:TGID_Z_EN: 0
; COMPUTE_PGM_RSRC2:TIDIG_COMP_CNT: 0
	.section	.text._ZN7rocprim17ROCPRIM_400000_NS6detail17trampoline_kernelINS0_14default_configENS1_27scan_by_key_config_selectorIssEEZZNS1_16scan_by_key_implILNS1_25lookback_scan_determinismE0ELb1ES3_N6thrust23THRUST_200600_302600_NS6detail15normal_iteratorINS9_10device_ptrIsEEEESE_SE_sNS9_4plusIvEENS9_8equal_toIsEEsEE10hipError_tPvRmT2_T3_T4_T5_mT6_T7_P12ihipStream_tbENKUlT_T0_E_clISt17integral_constantIbLb1EESY_IbLb0EEEEDaSU_SV_EUlSU_E_NS1_11comp_targetILNS1_3genE2ELNS1_11target_archE906ELNS1_3gpuE6ELNS1_3repE0EEENS1_30default_config_static_selectorELNS0_4arch9wavefront6targetE0EEEvT1_,"axG",@progbits,_ZN7rocprim17ROCPRIM_400000_NS6detail17trampoline_kernelINS0_14default_configENS1_27scan_by_key_config_selectorIssEEZZNS1_16scan_by_key_implILNS1_25lookback_scan_determinismE0ELb1ES3_N6thrust23THRUST_200600_302600_NS6detail15normal_iteratorINS9_10device_ptrIsEEEESE_SE_sNS9_4plusIvEENS9_8equal_toIsEEsEE10hipError_tPvRmT2_T3_T4_T5_mT6_T7_P12ihipStream_tbENKUlT_T0_E_clISt17integral_constantIbLb1EESY_IbLb0EEEEDaSU_SV_EUlSU_E_NS1_11comp_targetILNS1_3genE2ELNS1_11target_archE906ELNS1_3gpuE6ELNS1_3repE0EEENS1_30default_config_static_selectorELNS0_4arch9wavefront6targetE0EEEvT1_,comdat
	.protected	_ZN7rocprim17ROCPRIM_400000_NS6detail17trampoline_kernelINS0_14default_configENS1_27scan_by_key_config_selectorIssEEZZNS1_16scan_by_key_implILNS1_25lookback_scan_determinismE0ELb1ES3_N6thrust23THRUST_200600_302600_NS6detail15normal_iteratorINS9_10device_ptrIsEEEESE_SE_sNS9_4plusIvEENS9_8equal_toIsEEsEE10hipError_tPvRmT2_T3_T4_T5_mT6_T7_P12ihipStream_tbENKUlT_T0_E_clISt17integral_constantIbLb1EESY_IbLb0EEEEDaSU_SV_EUlSU_E_NS1_11comp_targetILNS1_3genE2ELNS1_11target_archE906ELNS1_3gpuE6ELNS1_3repE0EEENS1_30default_config_static_selectorELNS0_4arch9wavefront6targetE0EEEvT1_ ; -- Begin function _ZN7rocprim17ROCPRIM_400000_NS6detail17trampoline_kernelINS0_14default_configENS1_27scan_by_key_config_selectorIssEEZZNS1_16scan_by_key_implILNS1_25lookback_scan_determinismE0ELb1ES3_N6thrust23THRUST_200600_302600_NS6detail15normal_iteratorINS9_10device_ptrIsEEEESE_SE_sNS9_4plusIvEENS9_8equal_toIsEEsEE10hipError_tPvRmT2_T3_T4_T5_mT6_T7_P12ihipStream_tbENKUlT_T0_E_clISt17integral_constantIbLb1EESY_IbLb0EEEEDaSU_SV_EUlSU_E_NS1_11comp_targetILNS1_3genE2ELNS1_11target_archE906ELNS1_3gpuE6ELNS1_3repE0EEENS1_30default_config_static_selectorELNS0_4arch9wavefront6targetE0EEEvT1_
	.globl	_ZN7rocprim17ROCPRIM_400000_NS6detail17trampoline_kernelINS0_14default_configENS1_27scan_by_key_config_selectorIssEEZZNS1_16scan_by_key_implILNS1_25lookback_scan_determinismE0ELb1ES3_N6thrust23THRUST_200600_302600_NS6detail15normal_iteratorINS9_10device_ptrIsEEEESE_SE_sNS9_4plusIvEENS9_8equal_toIsEEsEE10hipError_tPvRmT2_T3_T4_T5_mT6_T7_P12ihipStream_tbENKUlT_T0_E_clISt17integral_constantIbLb1EESY_IbLb0EEEEDaSU_SV_EUlSU_E_NS1_11comp_targetILNS1_3genE2ELNS1_11target_archE906ELNS1_3gpuE6ELNS1_3repE0EEENS1_30default_config_static_selectorELNS0_4arch9wavefront6targetE0EEEvT1_
	.p2align	8
	.type	_ZN7rocprim17ROCPRIM_400000_NS6detail17trampoline_kernelINS0_14default_configENS1_27scan_by_key_config_selectorIssEEZZNS1_16scan_by_key_implILNS1_25lookback_scan_determinismE0ELb1ES3_N6thrust23THRUST_200600_302600_NS6detail15normal_iteratorINS9_10device_ptrIsEEEESE_SE_sNS9_4plusIvEENS9_8equal_toIsEEsEE10hipError_tPvRmT2_T3_T4_T5_mT6_T7_P12ihipStream_tbENKUlT_T0_E_clISt17integral_constantIbLb1EESY_IbLb0EEEEDaSU_SV_EUlSU_E_NS1_11comp_targetILNS1_3genE2ELNS1_11target_archE906ELNS1_3gpuE6ELNS1_3repE0EEENS1_30default_config_static_selectorELNS0_4arch9wavefront6targetE0EEEvT1_,@function
_ZN7rocprim17ROCPRIM_400000_NS6detail17trampoline_kernelINS0_14default_configENS1_27scan_by_key_config_selectorIssEEZZNS1_16scan_by_key_implILNS1_25lookback_scan_determinismE0ELb1ES3_N6thrust23THRUST_200600_302600_NS6detail15normal_iteratorINS9_10device_ptrIsEEEESE_SE_sNS9_4plusIvEENS9_8equal_toIsEEsEE10hipError_tPvRmT2_T3_T4_T5_mT6_T7_P12ihipStream_tbENKUlT_T0_E_clISt17integral_constantIbLb1EESY_IbLb0EEEEDaSU_SV_EUlSU_E_NS1_11comp_targetILNS1_3genE2ELNS1_11target_archE906ELNS1_3gpuE6ELNS1_3repE0EEENS1_30default_config_static_selectorELNS0_4arch9wavefront6targetE0EEEvT1_: ; @_ZN7rocprim17ROCPRIM_400000_NS6detail17trampoline_kernelINS0_14default_configENS1_27scan_by_key_config_selectorIssEEZZNS1_16scan_by_key_implILNS1_25lookback_scan_determinismE0ELb1ES3_N6thrust23THRUST_200600_302600_NS6detail15normal_iteratorINS9_10device_ptrIsEEEESE_SE_sNS9_4plusIvEENS9_8equal_toIsEEsEE10hipError_tPvRmT2_T3_T4_T5_mT6_T7_P12ihipStream_tbENKUlT_T0_E_clISt17integral_constantIbLb1EESY_IbLb0EEEEDaSU_SV_EUlSU_E_NS1_11comp_targetILNS1_3genE2ELNS1_11target_archE906ELNS1_3gpuE6ELNS1_3repE0EEENS1_30default_config_static_selectorELNS0_4arch9wavefront6targetE0EEEvT1_
; %bb.0:
	.section	.rodata,"a",@progbits
	.p2align	6, 0x0
	.amdhsa_kernel _ZN7rocprim17ROCPRIM_400000_NS6detail17trampoline_kernelINS0_14default_configENS1_27scan_by_key_config_selectorIssEEZZNS1_16scan_by_key_implILNS1_25lookback_scan_determinismE0ELb1ES3_N6thrust23THRUST_200600_302600_NS6detail15normal_iteratorINS9_10device_ptrIsEEEESE_SE_sNS9_4plusIvEENS9_8equal_toIsEEsEE10hipError_tPvRmT2_T3_T4_T5_mT6_T7_P12ihipStream_tbENKUlT_T0_E_clISt17integral_constantIbLb1EESY_IbLb0EEEEDaSU_SV_EUlSU_E_NS1_11comp_targetILNS1_3genE2ELNS1_11target_archE906ELNS1_3gpuE6ELNS1_3repE0EEENS1_30default_config_static_selectorELNS0_4arch9wavefront6targetE0EEEvT1_
		.amdhsa_group_segment_fixed_size 0
		.amdhsa_private_segment_fixed_size 0
		.amdhsa_kernarg_size 112
		.amdhsa_user_sgpr_count 6
		.amdhsa_user_sgpr_private_segment_buffer 1
		.amdhsa_user_sgpr_dispatch_ptr 0
		.amdhsa_user_sgpr_queue_ptr 0
		.amdhsa_user_sgpr_kernarg_segment_ptr 1
		.amdhsa_user_sgpr_dispatch_id 0
		.amdhsa_user_sgpr_flat_scratch_init 0
		.amdhsa_user_sgpr_private_segment_size 0
		.amdhsa_wavefront_size32 1
		.amdhsa_uses_dynamic_stack 0
		.amdhsa_system_sgpr_private_segment_wavefront_offset 0
		.amdhsa_system_sgpr_workgroup_id_x 1
		.amdhsa_system_sgpr_workgroup_id_y 0
		.amdhsa_system_sgpr_workgroup_id_z 0
		.amdhsa_system_sgpr_workgroup_info 0
		.amdhsa_system_vgpr_workitem_id 0
		.amdhsa_next_free_vgpr 1
		.amdhsa_next_free_sgpr 1
		.amdhsa_reserve_vcc 0
		.amdhsa_reserve_flat_scratch 0
		.amdhsa_float_round_mode_32 0
		.amdhsa_float_round_mode_16_64 0
		.amdhsa_float_denorm_mode_32 3
		.amdhsa_float_denorm_mode_16_64 3
		.amdhsa_dx10_clamp 1
		.amdhsa_ieee_mode 1
		.amdhsa_fp16_overflow 0
		.amdhsa_workgroup_processor_mode 1
		.amdhsa_memory_ordered 1
		.amdhsa_forward_progress 1
		.amdhsa_shared_vgpr_count 0
		.amdhsa_exception_fp_ieee_invalid_op 0
		.amdhsa_exception_fp_denorm_src 0
		.amdhsa_exception_fp_ieee_div_zero 0
		.amdhsa_exception_fp_ieee_overflow 0
		.amdhsa_exception_fp_ieee_underflow 0
		.amdhsa_exception_fp_ieee_inexact 0
		.amdhsa_exception_int_div_zero 0
	.end_amdhsa_kernel
	.section	.text._ZN7rocprim17ROCPRIM_400000_NS6detail17trampoline_kernelINS0_14default_configENS1_27scan_by_key_config_selectorIssEEZZNS1_16scan_by_key_implILNS1_25lookback_scan_determinismE0ELb1ES3_N6thrust23THRUST_200600_302600_NS6detail15normal_iteratorINS9_10device_ptrIsEEEESE_SE_sNS9_4plusIvEENS9_8equal_toIsEEsEE10hipError_tPvRmT2_T3_T4_T5_mT6_T7_P12ihipStream_tbENKUlT_T0_E_clISt17integral_constantIbLb1EESY_IbLb0EEEEDaSU_SV_EUlSU_E_NS1_11comp_targetILNS1_3genE2ELNS1_11target_archE906ELNS1_3gpuE6ELNS1_3repE0EEENS1_30default_config_static_selectorELNS0_4arch9wavefront6targetE0EEEvT1_,"axG",@progbits,_ZN7rocprim17ROCPRIM_400000_NS6detail17trampoline_kernelINS0_14default_configENS1_27scan_by_key_config_selectorIssEEZZNS1_16scan_by_key_implILNS1_25lookback_scan_determinismE0ELb1ES3_N6thrust23THRUST_200600_302600_NS6detail15normal_iteratorINS9_10device_ptrIsEEEESE_SE_sNS9_4plusIvEENS9_8equal_toIsEEsEE10hipError_tPvRmT2_T3_T4_T5_mT6_T7_P12ihipStream_tbENKUlT_T0_E_clISt17integral_constantIbLb1EESY_IbLb0EEEEDaSU_SV_EUlSU_E_NS1_11comp_targetILNS1_3genE2ELNS1_11target_archE906ELNS1_3gpuE6ELNS1_3repE0EEENS1_30default_config_static_selectorELNS0_4arch9wavefront6targetE0EEEvT1_,comdat
.Lfunc_end664:
	.size	_ZN7rocprim17ROCPRIM_400000_NS6detail17trampoline_kernelINS0_14default_configENS1_27scan_by_key_config_selectorIssEEZZNS1_16scan_by_key_implILNS1_25lookback_scan_determinismE0ELb1ES3_N6thrust23THRUST_200600_302600_NS6detail15normal_iteratorINS9_10device_ptrIsEEEESE_SE_sNS9_4plusIvEENS9_8equal_toIsEEsEE10hipError_tPvRmT2_T3_T4_T5_mT6_T7_P12ihipStream_tbENKUlT_T0_E_clISt17integral_constantIbLb1EESY_IbLb0EEEEDaSU_SV_EUlSU_E_NS1_11comp_targetILNS1_3genE2ELNS1_11target_archE906ELNS1_3gpuE6ELNS1_3repE0EEENS1_30default_config_static_selectorELNS0_4arch9wavefront6targetE0EEEvT1_, .Lfunc_end664-_ZN7rocprim17ROCPRIM_400000_NS6detail17trampoline_kernelINS0_14default_configENS1_27scan_by_key_config_selectorIssEEZZNS1_16scan_by_key_implILNS1_25lookback_scan_determinismE0ELb1ES3_N6thrust23THRUST_200600_302600_NS6detail15normal_iteratorINS9_10device_ptrIsEEEESE_SE_sNS9_4plusIvEENS9_8equal_toIsEEsEE10hipError_tPvRmT2_T3_T4_T5_mT6_T7_P12ihipStream_tbENKUlT_T0_E_clISt17integral_constantIbLb1EESY_IbLb0EEEEDaSU_SV_EUlSU_E_NS1_11comp_targetILNS1_3genE2ELNS1_11target_archE906ELNS1_3gpuE6ELNS1_3repE0EEENS1_30default_config_static_selectorELNS0_4arch9wavefront6targetE0EEEvT1_
                                        ; -- End function
	.set _ZN7rocprim17ROCPRIM_400000_NS6detail17trampoline_kernelINS0_14default_configENS1_27scan_by_key_config_selectorIssEEZZNS1_16scan_by_key_implILNS1_25lookback_scan_determinismE0ELb1ES3_N6thrust23THRUST_200600_302600_NS6detail15normal_iteratorINS9_10device_ptrIsEEEESE_SE_sNS9_4plusIvEENS9_8equal_toIsEEsEE10hipError_tPvRmT2_T3_T4_T5_mT6_T7_P12ihipStream_tbENKUlT_T0_E_clISt17integral_constantIbLb1EESY_IbLb0EEEEDaSU_SV_EUlSU_E_NS1_11comp_targetILNS1_3genE2ELNS1_11target_archE906ELNS1_3gpuE6ELNS1_3repE0EEENS1_30default_config_static_selectorELNS0_4arch9wavefront6targetE0EEEvT1_.num_vgpr, 0
	.set _ZN7rocprim17ROCPRIM_400000_NS6detail17trampoline_kernelINS0_14default_configENS1_27scan_by_key_config_selectorIssEEZZNS1_16scan_by_key_implILNS1_25lookback_scan_determinismE0ELb1ES3_N6thrust23THRUST_200600_302600_NS6detail15normal_iteratorINS9_10device_ptrIsEEEESE_SE_sNS9_4plusIvEENS9_8equal_toIsEEsEE10hipError_tPvRmT2_T3_T4_T5_mT6_T7_P12ihipStream_tbENKUlT_T0_E_clISt17integral_constantIbLb1EESY_IbLb0EEEEDaSU_SV_EUlSU_E_NS1_11comp_targetILNS1_3genE2ELNS1_11target_archE906ELNS1_3gpuE6ELNS1_3repE0EEENS1_30default_config_static_selectorELNS0_4arch9wavefront6targetE0EEEvT1_.num_agpr, 0
	.set _ZN7rocprim17ROCPRIM_400000_NS6detail17trampoline_kernelINS0_14default_configENS1_27scan_by_key_config_selectorIssEEZZNS1_16scan_by_key_implILNS1_25lookback_scan_determinismE0ELb1ES3_N6thrust23THRUST_200600_302600_NS6detail15normal_iteratorINS9_10device_ptrIsEEEESE_SE_sNS9_4plusIvEENS9_8equal_toIsEEsEE10hipError_tPvRmT2_T3_T4_T5_mT6_T7_P12ihipStream_tbENKUlT_T0_E_clISt17integral_constantIbLb1EESY_IbLb0EEEEDaSU_SV_EUlSU_E_NS1_11comp_targetILNS1_3genE2ELNS1_11target_archE906ELNS1_3gpuE6ELNS1_3repE0EEENS1_30default_config_static_selectorELNS0_4arch9wavefront6targetE0EEEvT1_.numbered_sgpr, 0
	.set _ZN7rocprim17ROCPRIM_400000_NS6detail17trampoline_kernelINS0_14default_configENS1_27scan_by_key_config_selectorIssEEZZNS1_16scan_by_key_implILNS1_25lookback_scan_determinismE0ELb1ES3_N6thrust23THRUST_200600_302600_NS6detail15normal_iteratorINS9_10device_ptrIsEEEESE_SE_sNS9_4plusIvEENS9_8equal_toIsEEsEE10hipError_tPvRmT2_T3_T4_T5_mT6_T7_P12ihipStream_tbENKUlT_T0_E_clISt17integral_constantIbLb1EESY_IbLb0EEEEDaSU_SV_EUlSU_E_NS1_11comp_targetILNS1_3genE2ELNS1_11target_archE906ELNS1_3gpuE6ELNS1_3repE0EEENS1_30default_config_static_selectorELNS0_4arch9wavefront6targetE0EEEvT1_.num_named_barrier, 0
	.set _ZN7rocprim17ROCPRIM_400000_NS6detail17trampoline_kernelINS0_14default_configENS1_27scan_by_key_config_selectorIssEEZZNS1_16scan_by_key_implILNS1_25lookback_scan_determinismE0ELb1ES3_N6thrust23THRUST_200600_302600_NS6detail15normal_iteratorINS9_10device_ptrIsEEEESE_SE_sNS9_4plusIvEENS9_8equal_toIsEEsEE10hipError_tPvRmT2_T3_T4_T5_mT6_T7_P12ihipStream_tbENKUlT_T0_E_clISt17integral_constantIbLb1EESY_IbLb0EEEEDaSU_SV_EUlSU_E_NS1_11comp_targetILNS1_3genE2ELNS1_11target_archE906ELNS1_3gpuE6ELNS1_3repE0EEENS1_30default_config_static_selectorELNS0_4arch9wavefront6targetE0EEEvT1_.private_seg_size, 0
	.set _ZN7rocprim17ROCPRIM_400000_NS6detail17trampoline_kernelINS0_14default_configENS1_27scan_by_key_config_selectorIssEEZZNS1_16scan_by_key_implILNS1_25lookback_scan_determinismE0ELb1ES3_N6thrust23THRUST_200600_302600_NS6detail15normal_iteratorINS9_10device_ptrIsEEEESE_SE_sNS9_4plusIvEENS9_8equal_toIsEEsEE10hipError_tPvRmT2_T3_T4_T5_mT6_T7_P12ihipStream_tbENKUlT_T0_E_clISt17integral_constantIbLb1EESY_IbLb0EEEEDaSU_SV_EUlSU_E_NS1_11comp_targetILNS1_3genE2ELNS1_11target_archE906ELNS1_3gpuE6ELNS1_3repE0EEENS1_30default_config_static_selectorELNS0_4arch9wavefront6targetE0EEEvT1_.uses_vcc, 0
	.set _ZN7rocprim17ROCPRIM_400000_NS6detail17trampoline_kernelINS0_14default_configENS1_27scan_by_key_config_selectorIssEEZZNS1_16scan_by_key_implILNS1_25lookback_scan_determinismE0ELb1ES3_N6thrust23THRUST_200600_302600_NS6detail15normal_iteratorINS9_10device_ptrIsEEEESE_SE_sNS9_4plusIvEENS9_8equal_toIsEEsEE10hipError_tPvRmT2_T3_T4_T5_mT6_T7_P12ihipStream_tbENKUlT_T0_E_clISt17integral_constantIbLb1EESY_IbLb0EEEEDaSU_SV_EUlSU_E_NS1_11comp_targetILNS1_3genE2ELNS1_11target_archE906ELNS1_3gpuE6ELNS1_3repE0EEENS1_30default_config_static_selectorELNS0_4arch9wavefront6targetE0EEEvT1_.uses_flat_scratch, 0
	.set _ZN7rocprim17ROCPRIM_400000_NS6detail17trampoline_kernelINS0_14default_configENS1_27scan_by_key_config_selectorIssEEZZNS1_16scan_by_key_implILNS1_25lookback_scan_determinismE0ELb1ES3_N6thrust23THRUST_200600_302600_NS6detail15normal_iteratorINS9_10device_ptrIsEEEESE_SE_sNS9_4plusIvEENS9_8equal_toIsEEsEE10hipError_tPvRmT2_T3_T4_T5_mT6_T7_P12ihipStream_tbENKUlT_T0_E_clISt17integral_constantIbLb1EESY_IbLb0EEEEDaSU_SV_EUlSU_E_NS1_11comp_targetILNS1_3genE2ELNS1_11target_archE906ELNS1_3gpuE6ELNS1_3repE0EEENS1_30default_config_static_selectorELNS0_4arch9wavefront6targetE0EEEvT1_.has_dyn_sized_stack, 0
	.set _ZN7rocprim17ROCPRIM_400000_NS6detail17trampoline_kernelINS0_14default_configENS1_27scan_by_key_config_selectorIssEEZZNS1_16scan_by_key_implILNS1_25lookback_scan_determinismE0ELb1ES3_N6thrust23THRUST_200600_302600_NS6detail15normal_iteratorINS9_10device_ptrIsEEEESE_SE_sNS9_4plusIvEENS9_8equal_toIsEEsEE10hipError_tPvRmT2_T3_T4_T5_mT6_T7_P12ihipStream_tbENKUlT_T0_E_clISt17integral_constantIbLb1EESY_IbLb0EEEEDaSU_SV_EUlSU_E_NS1_11comp_targetILNS1_3genE2ELNS1_11target_archE906ELNS1_3gpuE6ELNS1_3repE0EEENS1_30default_config_static_selectorELNS0_4arch9wavefront6targetE0EEEvT1_.has_recursion, 0
	.set _ZN7rocprim17ROCPRIM_400000_NS6detail17trampoline_kernelINS0_14default_configENS1_27scan_by_key_config_selectorIssEEZZNS1_16scan_by_key_implILNS1_25lookback_scan_determinismE0ELb1ES3_N6thrust23THRUST_200600_302600_NS6detail15normal_iteratorINS9_10device_ptrIsEEEESE_SE_sNS9_4plusIvEENS9_8equal_toIsEEsEE10hipError_tPvRmT2_T3_T4_T5_mT6_T7_P12ihipStream_tbENKUlT_T0_E_clISt17integral_constantIbLb1EESY_IbLb0EEEEDaSU_SV_EUlSU_E_NS1_11comp_targetILNS1_3genE2ELNS1_11target_archE906ELNS1_3gpuE6ELNS1_3repE0EEENS1_30default_config_static_selectorELNS0_4arch9wavefront6targetE0EEEvT1_.has_indirect_call, 0
	.section	.AMDGPU.csdata,"",@progbits
; Kernel info:
; codeLenInByte = 0
; TotalNumSgprs: 0
; NumVgprs: 0
; ScratchSize: 0
; MemoryBound: 0
; FloatMode: 240
; IeeeMode: 1
; LDSByteSize: 0 bytes/workgroup (compile time only)
; SGPRBlocks: 0
; VGPRBlocks: 0
; NumSGPRsForWavesPerEU: 1
; NumVGPRsForWavesPerEU: 1
; Occupancy: 16
; WaveLimiterHint : 0
; COMPUTE_PGM_RSRC2:SCRATCH_EN: 0
; COMPUTE_PGM_RSRC2:USER_SGPR: 6
; COMPUTE_PGM_RSRC2:TRAP_HANDLER: 0
; COMPUTE_PGM_RSRC2:TGID_X_EN: 1
; COMPUTE_PGM_RSRC2:TGID_Y_EN: 0
; COMPUTE_PGM_RSRC2:TGID_Z_EN: 0
; COMPUTE_PGM_RSRC2:TIDIG_COMP_CNT: 0
	.section	.text._ZN7rocprim17ROCPRIM_400000_NS6detail17trampoline_kernelINS0_14default_configENS1_27scan_by_key_config_selectorIssEEZZNS1_16scan_by_key_implILNS1_25lookback_scan_determinismE0ELb1ES3_N6thrust23THRUST_200600_302600_NS6detail15normal_iteratorINS9_10device_ptrIsEEEESE_SE_sNS9_4plusIvEENS9_8equal_toIsEEsEE10hipError_tPvRmT2_T3_T4_T5_mT6_T7_P12ihipStream_tbENKUlT_T0_E_clISt17integral_constantIbLb1EESY_IbLb0EEEEDaSU_SV_EUlSU_E_NS1_11comp_targetILNS1_3genE10ELNS1_11target_archE1200ELNS1_3gpuE4ELNS1_3repE0EEENS1_30default_config_static_selectorELNS0_4arch9wavefront6targetE0EEEvT1_,"axG",@progbits,_ZN7rocprim17ROCPRIM_400000_NS6detail17trampoline_kernelINS0_14default_configENS1_27scan_by_key_config_selectorIssEEZZNS1_16scan_by_key_implILNS1_25lookback_scan_determinismE0ELb1ES3_N6thrust23THRUST_200600_302600_NS6detail15normal_iteratorINS9_10device_ptrIsEEEESE_SE_sNS9_4plusIvEENS9_8equal_toIsEEsEE10hipError_tPvRmT2_T3_T4_T5_mT6_T7_P12ihipStream_tbENKUlT_T0_E_clISt17integral_constantIbLb1EESY_IbLb0EEEEDaSU_SV_EUlSU_E_NS1_11comp_targetILNS1_3genE10ELNS1_11target_archE1200ELNS1_3gpuE4ELNS1_3repE0EEENS1_30default_config_static_selectorELNS0_4arch9wavefront6targetE0EEEvT1_,comdat
	.protected	_ZN7rocprim17ROCPRIM_400000_NS6detail17trampoline_kernelINS0_14default_configENS1_27scan_by_key_config_selectorIssEEZZNS1_16scan_by_key_implILNS1_25lookback_scan_determinismE0ELb1ES3_N6thrust23THRUST_200600_302600_NS6detail15normal_iteratorINS9_10device_ptrIsEEEESE_SE_sNS9_4plusIvEENS9_8equal_toIsEEsEE10hipError_tPvRmT2_T3_T4_T5_mT6_T7_P12ihipStream_tbENKUlT_T0_E_clISt17integral_constantIbLb1EESY_IbLb0EEEEDaSU_SV_EUlSU_E_NS1_11comp_targetILNS1_3genE10ELNS1_11target_archE1200ELNS1_3gpuE4ELNS1_3repE0EEENS1_30default_config_static_selectorELNS0_4arch9wavefront6targetE0EEEvT1_ ; -- Begin function _ZN7rocprim17ROCPRIM_400000_NS6detail17trampoline_kernelINS0_14default_configENS1_27scan_by_key_config_selectorIssEEZZNS1_16scan_by_key_implILNS1_25lookback_scan_determinismE0ELb1ES3_N6thrust23THRUST_200600_302600_NS6detail15normal_iteratorINS9_10device_ptrIsEEEESE_SE_sNS9_4plusIvEENS9_8equal_toIsEEsEE10hipError_tPvRmT2_T3_T4_T5_mT6_T7_P12ihipStream_tbENKUlT_T0_E_clISt17integral_constantIbLb1EESY_IbLb0EEEEDaSU_SV_EUlSU_E_NS1_11comp_targetILNS1_3genE10ELNS1_11target_archE1200ELNS1_3gpuE4ELNS1_3repE0EEENS1_30default_config_static_selectorELNS0_4arch9wavefront6targetE0EEEvT1_
	.globl	_ZN7rocprim17ROCPRIM_400000_NS6detail17trampoline_kernelINS0_14default_configENS1_27scan_by_key_config_selectorIssEEZZNS1_16scan_by_key_implILNS1_25lookback_scan_determinismE0ELb1ES3_N6thrust23THRUST_200600_302600_NS6detail15normal_iteratorINS9_10device_ptrIsEEEESE_SE_sNS9_4plusIvEENS9_8equal_toIsEEsEE10hipError_tPvRmT2_T3_T4_T5_mT6_T7_P12ihipStream_tbENKUlT_T0_E_clISt17integral_constantIbLb1EESY_IbLb0EEEEDaSU_SV_EUlSU_E_NS1_11comp_targetILNS1_3genE10ELNS1_11target_archE1200ELNS1_3gpuE4ELNS1_3repE0EEENS1_30default_config_static_selectorELNS0_4arch9wavefront6targetE0EEEvT1_
	.p2align	8
	.type	_ZN7rocprim17ROCPRIM_400000_NS6detail17trampoline_kernelINS0_14default_configENS1_27scan_by_key_config_selectorIssEEZZNS1_16scan_by_key_implILNS1_25lookback_scan_determinismE0ELb1ES3_N6thrust23THRUST_200600_302600_NS6detail15normal_iteratorINS9_10device_ptrIsEEEESE_SE_sNS9_4plusIvEENS9_8equal_toIsEEsEE10hipError_tPvRmT2_T3_T4_T5_mT6_T7_P12ihipStream_tbENKUlT_T0_E_clISt17integral_constantIbLb1EESY_IbLb0EEEEDaSU_SV_EUlSU_E_NS1_11comp_targetILNS1_3genE10ELNS1_11target_archE1200ELNS1_3gpuE4ELNS1_3repE0EEENS1_30default_config_static_selectorELNS0_4arch9wavefront6targetE0EEEvT1_,@function
_ZN7rocprim17ROCPRIM_400000_NS6detail17trampoline_kernelINS0_14default_configENS1_27scan_by_key_config_selectorIssEEZZNS1_16scan_by_key_implILNS1_25lookback_scan_determinismE0ELb1ES3_N6thrust23THRUST_200600_302600_NS6detail15normal_iteratorINS9_10device_ptrIsEEEESE_SE_sNS9_4plusIvEENS9_8equal_toIsEEsEE10hipError_tPvRmT2_T3_T4_T5_mT6_T7_P12ihipStream_tbENKUlT_T0_E_clISt17integral_constantIbLb1EESY_IbLb0EEEEDaSU_SV_EUlSU_E_NS1_11comp_targetILNS1_3genE10ELNS1_11target_archE1200ELNS1_3gpuE4ELNS1_3repE0EEENS1_30default_config_static_selectorELNS0_4arch9wavefront6targetE0EEEvT1_: ; @_ZN7rocprim17ROCPRIM_400000_NS6detail17trampoline_kernelINS0_14default_configENS1_27scan_by_key_config_selectorIssEEZZNS1_16scan_by_key_implILNS1_25lookback_scan_determinismE0ELb1ES3_N6thrust23THRUST_200600_302600_NS6detail15normal_iteratorINS9_10device_ptrIsEEEESE_SE_sNS9_4plusIvEENS9_8equal_toIsEEsEE10hipError_tPvRmT2_T3_T4_T5_mT6_T7_P12ihipStream_tbENKUlT_T0_E_clISt17integral_constantIbLb1EESY_IbLb0EEEEDaSU_SV_EUlSU_E_NS1_11comp_targetILNS1_3genE10ELNS1_11target_archE1200ELNS1_3gpuE4ELNS1_3repE0EEENS1_30default_config_static_selectorELNS0_4arch9wavefront6targetE0EEEvT1_
; %bb.0:
	.section	.rodata,"a",@progbits
	.p2align	6, 0x0
	.amdhsa_kernel _ZN7rocprim17ROCPRIM_400000_NS6detail17trampoline_kernelINS0_14default_configENS1_27scan_by_key_config_selectorIssEEZZNS1_16scan_by_key_implILNS1_25lookback_scan_determinismE0ELb1ES3_N6thrust23THRUST_200600_302600_NS6detail15normal_iteratorINS9_10device_ptrIsEEEESE_SE_sNS9_4plusIvEENS9_8equal_toIsEEsEE10hipError_tPvRmT2_T3_T4_T5_mT6_T7_P12ihipStream_tbENKUlT_T0_E_clISt17integral_constantIbLb1EESY_IbLb0EEEEDaSU_SV_EUlSU_E_NS1_11comp_targetILNS1_3genE10ELNS1_11target_archE1200ELNS1_3gpuE4ELNS1_3repE0EEENS1_30default_config_static_selectorELNS0_4arch9wavefront6targetE0EEEvT1_
		.amdhsa_group_segment_fixed_size 0
		.amdhsa_private_segment_fixed_size 0
		.amdhsa_kernarg_size 112
		.amdhsa_user_sgpr_count 6
		.amdhsa_user_sgpr_private_segment_buffer 1
		.amdhsa_user_sgpr_dispatch_ptr 0
		.amdhsa_user_sgpr_queue_ptr 0
		.amdhsa_user_sgpr_kernarg_segment_ptr 1
		.amdhsa_user_sgpr_dispatch_id 0
		.amdhsa_user_sgpr_flat_scratch_init 0
		.amdhsa_user_sgpr_private_segment_size 0
		.amdhsa_wavefront_size32 1
		.amdhsa_uses_dynamic_stack 0
		.amdhsa_system_sgpr_private_segment_wavefront_offset 0
		.amdhsa_system_sgpr_workgroup_id_x 1
		.amdhsa_system_sgpr_workgroup_id_y 0
		.amdhsa_system_sgpr_workgroup_id_z 0
		.amdhsa_system_sgpr_workgroup_info 0
		.amdhsa_system_vgpr_workitem_id 0
		.amdhsa_next_free_vgpr 1
		.amdhsa_next_free_sgpr 1
		.amdhsa_reserve_vcc 0
		.amdhsa_reserve_flat_scratch 0
		.amdhsa_float_round_mode_32 0
		.amdhsa_float_round_mode_16_64 0
		.amdhsa_float_denorm_mode_32 3
		.amdhsa_float_denorm_mode_16_64 3
		.amdhsa_dx10_clamp 1
		.amdhsa_ieee_mode 1
		.amdhsa_fp16_overflow 0
		.amdhsa_workgroup_processor_mode 1
		.amdhsa_memory_ordered 1
		.amdhsa_forward_progress 1
		.amdhsa_shared_vgpr_count 0
		.amdhsa_exception_fp_ieee_invalid_op 0
		.amdhsa_exception_fp_denorm_src 0
		.amdhsa_exception_fp_ieee_div_zero 0
		.amdhsa_exception_fp_ieee_overflow 0
		.amdhsa_exception_fp_ieee_underflow 0
		.amdhsa_exception_fp_ieee_inexact 0
		.amdhsa_exception_int_div_zero 0
	.end_amdhsa_kernel
	.section	.text._ZN7rocprim17ROCPRIM_400000_NS6detail17trampoline_kernelINS0_14default_configENS1_27scan_by_key_config_selectorIssEEZZNS1_16scan_by_key_implILNS1_25lookback_scan_determinismE0ELb1ES3_N6thrust23THRUST_200600_302600_NS6detail15normal_iteratorINS9_10device_ptrIsEEEESE_SE_sNS9_4plusIvEENS9_8equal_toIsEEsEE10hipError_tPvRmT2_T3_T4_T5_mT6_T7_P12ihipStream_tbENKUlT_T0_E_clISt17integral_constantIbLb1EESY_IbLb0EEEEDaSU_SV_EUlSU_E_NS1_11comp_targetILNS1_3genE10ELNS1_11target_archE1200ELNS1_3gpuE4ELNS1_3repE0EEENS1_30default_config_static_selectorELNS0_4arch9wavefront6targetE0EEEvT1_,"axG",@progbits,_ZN7rocprim17ROCPRIM_400000_NS6detail17trampoline_kernelINS0_14default_configENS1_27scan_by_key_config_selectorIssEEZZNS1_16scan_by_key_implILNS1_25lookback_scan_determinismE0ELb1ES3_N6thrust23THRUST_200600_302600_NS6detail15normal_iteratorINS9_10device_ptrIsEEEESE_SE_sNS9_4plusIvEENS9_8equal_toIsEEsEE10hipError_tPvRmT2_T3_T4_T5_mT6_T7_P12ihipStream_tbENKUlT_T0_E_clISt17integral_constantIbLb1EESY_IbLb0EEEEDaSU_SV_EUlSU_E_NS1_11comp_targetILNS1_3genE10ELNS1_11target_archE1200ELNS1_3gpuE4ELNS1_3repE0EEENS1_30default_config_static_selectorELNS0_4arch9wavefront6targetE0EEEvT1_,comdat
.Lfunc_end665:
	.size	_ZN7rocprim17ROCPRIM_400000_NS6detail17trampoline_kernelINS0_14default_configENS1_27scan_by_key_config_selectorIssEEZZNS1_16scan_by_key_implILNS1_25lookback_scan_determinismE0ELb1ES3_N6thrust23THRUST_200600_302600_NS6detail15normal_iteratorINS9_10device_ptrIsEEEESE_SE_sNS9_4plusIvEENS9_8equal_toIsEEsEE10hipError_tPvRmT2_T3_T4_T5_mT6_T7_P12ihipStream_tbENKUlT_T0_E_clISt17integral_constantIbLb1EESY_IbLb0EEEEDaSU_SV_EUlSU_E_NS1_11comp_targetILNS1_3genE10ELNS1_11target_archE1200ELNS1_3gpuE4ELNS1_3repE0EEENS1_30default_config_static_selectorELNS0_4arch9wavefront6targetE0EEEvT1_, .Lfunc_end665-_ZN7rocprim17ROCPRIM_400000_NS6detail17trampoline_kernelINS0_14default_configENS1_27scan_by_key_config_selectorIssEEZZNS1_16scan_by_key_implILNS1_25lookback_scan_determinismE0ELb1ES3_N6thrust23THRUST_200600_302600_NS6detail15normal_iteratorINS9_10device_ptrIsEEEESE_SE_sNS9_4plusIvEENS9_8equal_toIsEEsEE10hipError_tPvRmT2_T3_T4_T5_mT6_T7_P12ihipStream_tbENKUlT_T0_E_clISt17integral_constantIbLb1EESY_IbLb0EEEEDaSU_SV_EUlSU_E_NS1_11comp_targetILNS1_3genE10ELNS1_11target_archE1200ELNS1_3gpuE4ELNS1_3repE0EEENS1_30default_config_static_selectorELNS0_4arch9wavefront6targetE0EEEvT1_
                                        ; -- End function
	.set _ZN7rocprim17ROCPRIM_400000_NS6detail17trampoline_kernelINS0_14default_configENS1_27scan_by_key_config_selectorIssEEZZNS1_16scan_by_key_implILNS1_25lookback_scan_determinismE0ELb1ES3_N6thrust23THRUST_200600_302600_NS6detail15normal_iteratorINS9_10device_ptrIsEEEESE_SE_sNS9_4plusIvEENS9_8equal_toIsEEsEE10hipError_tPvRmT2_T3_T4_T5_mT6_T7_P12ihipStream_tbENKUlT_T0_E_clISt17integral_constantIbLb1EESY_IbLb0EEEEDaSU_SV_EUlSU_E_NS1_11comp_targetILNS1_3genE10ELNS1_11target_archE1200ELNS1_3gpuE4ELNS1_3repE0EEENS1_30default_config_static_selectorELNS0_4arch9wavefront6targetE0EEEvT1_.num_vgpr, 0
	.set _ZN7rocprim17ROCPRIM_400000_NS6detail17trampoline_kernelINS0_14default_configENS1_27scan_by_key_config_selectorIssEEZZNS1_16scan_by_key_implILNS1_25lookback_scan_determinismE0ELb1ES3_N6thrust23THRUST_200600_302600_NS6detail15normal_iteratorINS9_10device_ptrIsEEEESE_SE_sNS9_4plusIvEENS9_8equal_toIsEEsEE10hipError_tPvRmT2_T3_T4_T5_mT6_T7_P12ihipStream_tbENKUlT_T0_E_clISt17integral_constantIbLb1EESY_IbLb0EEEEDaSU_SV_EUlSU_E_NS1_11comp_targetILNS1_3genE10ELNS1_11target_archE1200ELNS1_3gpuE4ELNS1_3repE0EEENS1_30default_config_static_selectorELNS0_4arch9wavefront6targetE0EEEvT1_.num_agpr, 0
	.set _ZN7rocprim17ROCPRIM_400000_NS6detail17trampoline_kernelINS0_14default_configENS1_27scan_by_key_config_selectorIssEEZZNS1_16scan_by_key_implILNS1_25lookback_scan_determinismE0ELb1ES3_N6thrust23THRUST_200600_302600_NS6detail15normal_iteratorINS9_10device_ptrIsEEEESE_SE_sNS9_4plusIvEENS9_8equal_toIsEEsEE10hipError_tPvRmT2_T3_T4_T5_mT6_T7_P12ihipStream_tbENKUlT_T0_E_clISt17integral_constantIbLb1EESY_IbLb0EEEEDaSU_SV_EUlSU_E_NS1_11comp_targetILNS1_3genE10ELNS1_11target_archE1200ELNS1_3gpuE4ELNS1_3repE0EEENS1_30default_config_static_selectorELNS0_4arch9wavefront6targetE0EEEvT1_.numbered_sgpr, 0
	.set _ZN7rocprim17ROCPRIM_400000_NS6detail17trampoline_kernelINS0_14default_configENS1_27scan_by_key_config_selectorIssEEZZNS1_16scan_by_key_implILNS1_25lookback_scan_determinismE0ELb1ES3_N6thrust23THRUST_200600_302600_NS6detail15normal_iteratorINS9_10device_ptrIsEEEESE_SE_sNS9_4plusIvEENS9_8equal_toIsEEsEE10hipError_tPvRmT2_T3_T4_T5_mT6_T7_P12ihipStream_tbENKUlT_T0_E_clISt17integral_constantIbLb1EESY_IbLb0EEEEDaSU_SV_EUlSU_E_NS1_11comp_targetILNS1_3genE10ELNS1_11target_archE1200ELNS1_3gpuE4ELNS1_3repE0EEENS1_30default_config_static_selectorELNS0_4arch9wavefront6targetE0EEEvT1_.num_named_barrier, 0
	.set _ZN7rocprim17ROCPRIM_400000_NS6detail17trampoline_kernelINS0_14default_configENS1_27scan_by_key_config_selectorIssEEZZNS1_16scan_by_key_implILNS1_25lookback_scan_determinismE0ELb1ES3_N6thrust23THRUST_200600_302600_NS6detail15normal_iteratorINS9_10device_ptrIsEEEESE_SE_sNS9_4plusIvEENS9_8equal_toIsEEsEE10hipError_tPvRmT2_T3_T4_T5_mT6_T7_P12ihipStream_tbENKUlT_T0_E_clISt17integral_constantIbLb1EESY_IbLb0EEEEDaSU_SV_EUlSU_E_NS1_11comp_targetILNS1_3genE10ELNS1_11target_archE1200ELNS1_3gpuE4ELNS1_3repE0EEENS1_30default_config_static_selectorELNS0_4arch9wavefront6targetE0EEEvT1_.private_seg_size, 0
	.set _ZN7rocprim17ROCPRIM_400000_NS6detail17trampoline_kernelINS0_14default_configENS1_27scan_by_key_config_selectorIssEEZZNS1_16scan_by_key_implILNS1_25lookback_scan_determinismE0ELb1ES3_N6thrust23THRUST_200600_302600_NS6detail15normal_iteratorINS9_10device_ptrIsEEEESE_SE_sNS9_4plusIvEENS9_8equal_toIsEEsEE10hipError_tPvRmT2_T3_T4_T5_mT6_T7_P12ihipStream_tbENKUlT_T0_E_clISt17integral_constantIbLb1EESY_IbLb0EEEEDaSU_SV_EUlSU_E_NS1_11comp_targetILNS1_3genE10ELNS1_11target_archE1200ELNS1_3gpuE4ELNS1_3repE0EEENS1_30default_config_static_selectorELNS0_4arch9wavefront6targetE0EEEvT1_.uses_vcc, 0
	.set _ZN7rocprim17ROCPRIM_400000_NS6detail17trampoline_kernelINS0_14default_configENS1_27scan_by_key_config_selectorIssEEZZNS1_16scan_by_key_implILNS1_25lookback_scan_determinismE0ELb1ES3_N6thrust23THRUST_200600_302600_NS6detail15normal_iteratorINS9_10device_ptrIsEEEESE_SE_sNS9_4plusIvEENS9_8equal_toIsEEsEE10hipError_tPvRmT2_T3_T4_T5_mT6_T7_P12ihipStream_tbENKUlT_T0_E_clISt17integral_constantIbLb1EESY_IbLb0EEEEDaSU_SV_EUlSU_E_NS1_11comp_targetILNS1_3genE10ELNS1_11target_archE1200ELNS1_3gpuE4ELNS1_3repE0EEENS1_30default_config_static_selectorELNS0_4arch9wavefront6targetE0EEEvT1_.uses_flat_scratch, 0
	.set _ZN7rocprim17ROCPRIM_400000_NS6detail17trampoline_kernelINS0_14default_configENS1_27scan_by_key_config_selectorIssEEZZNS1_16scan_by_key_implILNS1_25lookback_scan_determinismE0ELb1ES3_N6thrust23THRUST_200600_302600_NS6detail15normal_iteratorINS9_10device_ptrIsEEEESE_SE_sNS9_4plusIvEENS9_8equal_toIsEEsEE10hipError_tPvRmT2_T3_T4_T5_mT6_T7_P12ihipStream_tbENKUlT_T0_E_clISt17integral_constantIbLb1EESY_IbLb0EEEEDaSU_SV_EUlSU_E_NS1_11comp_targetILNS1_3genE10ELNS1_11target_archE1200ELNS1_3gpuE4ELNS1_3repE0EEENS1_30default_config_static_selectorELNS0_4arch9wavefront6targetE0EEEvT1_.has_dyn_sized_stack, 0
	.set _ZN7rocprim17ROCPRIM_400000_NS6detail17trampoline_kernelINS0_14default_configENS1_27scan_by_key_config_selectorIssEEZZNS1_16scan_by_key_implILNS1_25lookback_scan_determinismE0ELb1ES3_N6thrust23THRUST_200600_302600_NS6detail15normal_iteratorINS9_10device_ptrIsEEEESE_SE_sNS9_4plusIvEENS9_8equal_toIsEEsEE10hipError_tPvRmT2_T3_T4_T5_mT6_T7_P12ihipStream_tbENKUlT_T0_E_clISt17integral_constantIbLb1EESY_IbLb0EEEEDaSU_SV_EUlSU_E_NS1_11comp_targetILNS1_3genE10ELNS1_11target_archE1200ELNS1_3gpuE4ELNS1_3repE0EEENS1_30default_config_static_selectorELNS0_4arch9wavefront6targetE0EEEvT1_.has_recursion, 0
	.set _ZN7rocprim17ROCPRIM_400000_NS6detail17trampoline_kernelINS0_14default_configENS1_27scan_by_key_config_selectorIssEEZZNS1_16scan_by_key_implILNS1_25lookback_scan_determinismE0ELb1ES3_N6thrust23THRUST_200600_302600_NS6detail15normal_iteratorINS9_10device_ptrIsEEEESE_SE_sNS9_4plusIvEENS9_8equal_toIsEEsEE10hipError_tPvRmT2_T3_T4_T5_mT6_T7_P12ihipStream_tbENKUlT_T0_E_clISt17integral_constantIbLb1EESY_IbLb0EEEEDaSU_SV_EUlSU_E_NS1_11comp_targetILNS1_3genE10ELNS1_11target_archE1200ELNS1_3gpuE4ELNS1_3repE0EEENS1_30default_config_static_selectorELNS0_4arch9wavefront6targetE0EEEvT1_.has_indirect_call, 0
	.section	.AMDGPU.csdata,"",@progbits
; Kernel info:
; codeLenInByte = 0
; TotalNumSgprs: 0
; NumVgprs: 0
; ScratchSize: 0
; MemoryBound: 0
; FloatMode: 240
; IeeeMode: 1
; LDSByteSize: 0 bytes/workgroup (compile time only)
; SGPRBlocks: 0
; VGPRBlocks: 0
; NumSGPRsForWavesPerEU: 1
; NumVGPRsForWavesPerEU: 1
; Occupancy: 16
; WaveLimiterHint : 0
; COMPUTE_PGM_RSRC2:SCRATCH_EN: 0
; COMPUTE_PGM_RSRC2:USER_SGPR: 6
; COMPUTE_PGM_RSRC2:TRAP_HANDLER: 0
; COMPUTE_PGM_RSRC2:TGID_X_EN: 1
; COMPUTE_PGM_RSRC2:TGID_Y_EN: 0
; COMPUTE_PGM_RSRC2:TGID_Z_EN: 0
; COMPUTE_PGM_RSRC2:TIDIG_COMP_CNT: 0
	.section	.text._ZN7rocprim17ROCPRIM_400000_NS6detail17trampoline_kernelINS0_14default_configENS1_27scan_by_key_config_selectorIssEEZZNS1_16scan_by_key_implILNS1_25lookback_scan_determinismE0ELb1ES3_N6thrust23THRUST_200600_302600_NS6detail15normal_iteratorINS9_10device_ptrIsEEEESE_SE_sNS9_4plusIvEENS9_8equal_toIsEEsEE10hipError_tPvRmT2_T3_T4_T5_mT6_T7_P12ihipStream_tbENKUlT_T0_E_clISt17integral_constantIbLb1EESY_IbLb0EEEEDaSU_SV_EUlSU_E_NS1_11comp_targetILNS1_3genE9ELNS1_11target_archE1100ELNS1_3gpuE3ELNS1_3repE0EEENS1_30default_config_static_selectorELNS0_4arch9wavefront6targetE0EEEvT1_,"axG",@progbits,_ZN7rocprim17ROCPRIM_400000_NS6detail17trampoline_kernelINS0_14default_configENS1_27scan_by_key_config_selectorIssEEZZNS1_16scan_by_key_implILNS1_25lookback_scan_determinismE0ELb1ES3_N6thrust23THRUST_200600_302600_NS6detail15normal_iteratorINS9_10device_ptrIsEEEESE_SE_sNS9_4plusIvEENS9_8equal_toIsEEsEE10hipError_tPvRmT2_T3_T4_T5_mT6_T7_P12ihipStream_tbENKUlT_T0_E_clISt17integral_constantIbLb1EESY_IbLb0EEEEDaSU_SV_EUlSU_E_NS1_11comp_targetILNS1_3genE9ELNS1_11target_archE1100ELNS1_3gpuE3ELNS1_3repE0EEENS1_30default_config_static_selectorELNS0_4arch9wavefront6targetE0EEEvT1_,comdat
	.protected	_ZN7rocprim17ROCPRIM_400000_NS6detail17trampoline_kernelINS0_14default_configENS1_27scan_by_key_config_selectorIssEEZZNS1_16scan_by_key_implILNS1_25lookback_scan_determinismE0ELb1ES3_N6thrust23THRUST_200600_302600_NS6detail15normal_iteratorINS9_10device_ptrIsEEEESE_SE_sNS9_4plusIvEENS9_8equal_toIsEEsEE10hipError_tPvRmT2_T3_T4_T5_mT6_T7_P12ihipStream_tbENKUlT_T0_E_clISt17integral_constantIbLb1EESY_IbLb0EEEEDaSU_SV_EUlSU_E_NS1_11comp_targetILNS1_3genE9ELNS1_11target_archE1100ELNS1_3gpuE3ELNS1_3repE0EEENS1_30default_config_static_selectorELNS0_4arch9wavefront6targetE0EEEvT1_ ; -- Begin function _ZN7rocprim17ROCPRIM_400000_NS6detail17trampoline_kernelINS0_14default_configENS1_27scan_by_key_config_selectorIssEEZZNS1_16scan_by_key_implILNS1_25lookback_scan_determinismE0ELb1ES3_N6thrust23THRUST_200600_302600_NS6detail15normal_iteratorINS9_10device_ptrIsEEEESE_SE_sNS9_4plusIvEENS9_8equal_toIsEEsEE10hipError_tPvRmT2_T3_T4_T5_mT6_T7_P12ihipStream_tbENKUlT_T0_E_clISt17integral_constantIbLb1EESY_IbLb0EEEEDaSU_SV_EUlSU_E_NS1_11comp_targetILNS1_3genE9ELNS1_11target_archE1100ELNS1_3gpuE3ELNS1_3repE0EEENS1_30default_config_static_selectorELNS0_4arch9wavefront6targetE0EEEvT1_
	.globl	_ZN7rocprim17ROCPRIM_400000_NS6detail17trampoline_kernelINS0_14default_configENS1_27scan_by_key_config_selectorIssEEZZNS1_16scan_by_key_implILNS1_25lookback_scan_determinismE0ELb1ES3_N6thrust23THRUST_200600_302600_NS6detail15normal_iteratorINS9_10device_ptrIsEEEESE_SE_sNS9_4plusIvEENS9_8equal_toIsEEsEE10hipError_tPvRmT2_T3_T4_T5_mT6_T7_P12ihipStream_tbENKUlT_T0_E_clISt17integral_constantIbLb1EESY_IbLb0EEEEDaSU_SV_EUlSU_E_NS1_11comp_targetILNS1_3genE9ELNS1_11target_archE1100ELNS1_3gpuE3ELNS1_3repE0EEENS1_30default_config_static_selectorELNS0_4arch9wavefront6targetE0EEEvT1_
	.p2align	8
	.type	_ZN7rocprim17ROCPRIM_400000_NS6detail17trampoline_kernelINS0_14default_configENS1_27scan_by_key_config_selectorIssEEZZNS1_16scan_by_key_implILNS1_25lookback_scan_determinismE0ELb1ES3_N6thrust23THRUST_200600_302600_NS6detail15normal_iteratorINS9_10device_ptrIsEEEESE_SE_sNS9_4plusIvEENS9_8equal_toIsEEsEE10hipError_tPvRmT2_T3_T4_T5_mT6_T7_P12ihipStream_tbENKUlT_T0_E_clISt17integral_constantIbLb1EESY_IbLb0EEEEDaSU_SV_EUlSU_E_NS1_11comp_targetILNS1_3genE9ELNS1_11target_archE1100ELNS1_3gpuE3ELNS1_3repE0EEENS1_30default_config_static_selectorELNS0_4arch9wavefront6targetE0EEEvT1_,@function
_ZN7rocprim17ROCPRIM_400000_NS6detail17trampoline_kernelINS0_14default_configENS1_27scan_by_key_config_selectorIssEEZZNS1_16scan_by_key_implILNS1_25lookback_scan_determinismE0ELb1ES3_N6thrust23THRUST_200600_302600_NS6detail15normal_iteratorINS9_10device_ptrIsEEEESE_SE_sNS9_4plusIvEENS9_8equal_toIsEEsEE10hipError_tPvRmT2_T3_T4_T5_mT6_T7_P12ihipStream_tbENKUlT_T0_E_clISt17integral_constantIbLb1EESY_IbLb0EEEEDaSU_SV_EUlSU_E_NS1_11comp_targetILNS1_3genE9ELNS1_11target_archE1100ELNS1_3gpuE3ELNS1_3repE0EEENS1_30default_config_static_selectorELNS0_4arch9wavefront6targetE0EEEvT1_: ; @_ZN7rocprim17ROCPRIM_400000_NS6detail17trampoline_kernelINS0_14default_configENS1_27scan_by_key_config_selectorIssEEZZNS1_16scan_by_key_implILNS1_25lookback_scan_determinismE0ELb1ES3_N6thrust23THRUST_200600_302600_NS6detail15normal_iteratorINS9_10device_ptrIsEEEESE_SE_sNS9_4plusIvEENS9_8equal_toIsEEsEE10hipError_tPvRmT2_T3_T4_T5_mT6_T7_P12ihipStream_tbENKUlT_T0_E_clISt17integral_constantIbLb1EESY_IbLb0EEEEDaSU_SV_EUlSU_E_NS1_11comp_targetILNS1_3genE9ELNS1_11target_archE1100ELNS1_3gpuE3ELNS1_3repE0EEENS1_30default_config_static_selectorELNS0_4arch9wavefront6targetE0EEEvT1_
; %bb.0:
	.section	.rodata,"a",@progbits
	.p2align	6, 0x0
	.amdhsa_kernel _ZN7rocprim17ROCPRIM_400000_NS6detail17trampoline_kernelINS0_14default_configENS1_27scan_by_key_config_selectorIssEEZZNS1_16scan_by_key_implILNS1_25lookback_scan_determinismE0ELb1ES3_N6thrust23THRUST_200600_302600_NS6detail15normal_iteratorINS9_10device_ptrIsEEEESE_SE_sNS9_4plusIvEENS9_8equal_toIsEEsEE10hipError_tPvRmT2_T3_T4_T5_mT6_T7_P12ihipStream_tbENKUlT_T0_E_clISt17integral_constantIbLb1EESY_IbLb0EEEEDaSU_SV_EUlSU_E_NS1_11comp_targetILNS1_3genE9ELNS1_11target_archE1100ELNS1_3gpuE3ELNS1_3repE0EEENS1_30default_config_static_selectorELNS0_4arch9wavefront6targetE0EEEvT1_
		.amdhsa_group_segment_fixed_size 0
		.amdhsa_private_segment_fixed_size 0
		.amdhsa_kernarg_size 112
		.amdhsa_user_sgpr_count 6
		.amdhsa_user_sgpr_private_segment_buffer 1
		.amdhsa_user_sgpr_dispatch_ptr 0
		.amdhsa_user_sgpr_queue_ptr 0
		.amdhsa_user_sgpr_kernarg_segment_ptr 1
		.amdhsa_user_sgpr_dispatch_id 0
		.amdhsa_user_sgpr_flat_scratch_init 0
		.amdhsa_user_sgpr_private_segment_size 0
		.amdhsa_wavefront_size32 1
		.amdhsa_uses_dynamic_stack 0
		.amdhsa_system_sgpr_private_segment_wavefront_offset 0
		.amdhsa_system_sgpr_workgroup_id_x 1
		.amdhsa_system_sgpr_workgroup_id_y 0
		.amdhsa_system_sgpr_workgroup_id_z 0
		.amdhsa_system_sgpr_workgroup_info 0
		.amdhsa_system_vgpr_workitem_id 0
		.amdhsa_next_free_vgpr 1
		.amdhsa_next_free_sgpr 1
		.amdhsa_reserve_vcc 0
		.amdhsa_reserve_flat_scratch 0
		.amdhsa_float_round_mode_32 0
		.amdhsa_float_round_mode_16_64 0
		.amdhsa_float_denorm_mode_32 3
		.amdhsa_float_denorm_mode_16_64 3
		.amdhsa_dx10_clamp 1
		.amdhsa_ieee_mode 1
		.amdhsa_fp16_overflow 0
		.amdhsa_workgroup_processor_mode 1
		.amdhsa_memory_ordered 1
		.amdhsa_forward_progress 1
		.amdhsa_shared_vgpr_count 0
		.amdhsa_exception_fp_ieee_invalid_op 0
		.amdhsa_exception_fp_denorm_src 0
		.amdhsa_exception_fp_ieee_div_zero 0
		.amdhsa_exception_fp_ieee_overflow 0
		.amdhsa_exception_fp_ieee_underflow 0
		.amdhsa_exception_fp_ieee_inexact 0
		.amdhsa_exception_int_div_zero 0
	.end_amdhsa_kernel
	.section	.text._ZN7rocprim17ROCPRIM_400000_NS6detail17trampoline_kernelINS0_14default_configENS1_27scan_by_key_config_selectorIssEEZZNS1_16scan_by_key_implILNS1_25lookback_scan_determinismE0ELb1ES3_N6thrust23THRUST_200600_302600_NS6detail15normal_iteratorINS9_10device_ptrIsEEEESE_SE_sNS9_4plusIvEENS9_8equal_toIsEEsEE10hipError_tPvRmT2_T3_T4_T5_mT6_T7_P12ihipStream_tbENKUlT_T0_E_clISt17integral_constantIbLb1EESY_IbLb0EEEEDaSU_SV_EUlSU_E_NS1_11comp_targetILNS1_3genE9ELNS1_11target_archE1100ELNS1_3gpuE3ELNS1_3repE0EEENS1_30default_config_static_selectorELNS0_4arch9wavefront6targetE0EEEvT1_,"axG",@progbits,_ZN7rocprim17ROCPRIM_400000_NS6detail17trampoline_kernelINS0_14default_configENS1_27scan_by_key_config_selectorIssEEZZNS1_16scan_by_key_implILNS1_25lookback_scan_determinismE0ELb1ES3_N6thrust23THRUST_200600_302600_NS6detail15normal_iteratorINS9_10device_ptrIsEEEESE_SE_sNS9_4plusIvEENS9_8equal_toIsEEsEE10hipError_tPvRmT2_T3_T4_T5_mT6_T7_P12ihipStream_tbENKUlT_T0_E_clISt17integral_constantIbLb1EESY_IbLb0EEEEDaSU_SV_EUlSU_E_NS1_11comp_targetILNS1_3genE9ELNS1_11target_archE1100ELNS1_3gpuE3ELNS1_3repE0EEENS1_30default_config_static_selectorELNS0_4arch9wavefront6targetE0EEEvT1_,comdat
.Lfunc_end666:
	.size	_ZN7rocprim17ROCPRIM_400000_NS6detail17trampoline_kernelINS0_14default_configENS1_27scan_by_key_config_selectorIssEEZZNS1_16scan_by_key_implILNS1_25lookback_scan_determinismE0ELb1ES3_N6thrust23THRUST_200600_302600_NS6detail15normal_iteratorINS9_10device_ptrIsEEEESE_SE_sNS9_4plusIvEENS9_8equal_toIsEEsEE10hipError_tPvRmT2_T3_T4_T5_mT6_T7_P12ihipStream_tbENKUlT_T0_E_clISt17integral_constantIbLb1EESY_IbLb0EEEEDaSU_SV_EUlSU_E_NS1_11comp_targetILNS1_3genE9ELNS1_11target_archE1100ELNS1_3gpuE3ELNS1_3repE0EEENS1_30default_config_static_selectorELNS0_4arch9wavefront6targetE0EEEvT1_, .Lfunc_end666-_ZN7rocprim17ROCPRIM_400000_NS6detail17trampoline_kernelINS0_14default_configENS1_27scan_by_key_config_selectorIssEEZZNS1_16scan_by_key_implILNS1_25lookback_scan_determinismE0ELb1ES3_N6thrust23THRUST_200600_302600_NS6detail15normal_iteratorINS9_10device_ptrIsEEEESE_SE_sNS9_4plusIvEENS9_8equal_toIsEEsEE10hipError_tPvRmT2_T3_T4_T5_mT6_T7_P12ihipStream_tbENKUlT_T0_E_clISt17integral_constantIbLb1EESY_IbLb0EEEEDaSU_SV_EUlSU_E_NS1_11comp_targetILNS1_3genE9ELNS1_11target_archE1100ELNS1_3gpuE3ELNS1_3repE0EEENS1_30default_config_static_selectorELNS0_4arch9wavefront6targetE0EEEvT1_
                                        ; -- End function
	.set _ZN7rocprim17ROCPRIM_400000_NS6detail17trampoline_kernelINS0_14default_configENS1_27scan_by_key_config_selectorIssEEZZNS1_16scan_by_key_implILNS1_25lookback_scan_determinismE0ELb1ES3_N6thrust23THRUST_200600_302600_NS6detail15normal_iteratorINS9_10device_ptrIsEEEESE_SE_sNS9_4plusIvEENS9_8equal_toIsEEsEE10hipError_tPvRmT2_T3_T4_T5_mT6_T7_P12ihipStream_tbENKUlT_T0_E_clISt17integral_constantIbLb1EESY_IbLb0EEEEDaSU_SV_EUlSU_E_NS1_11comp_targetILNS1_3genE9ELNS1_11target_archE1100ELNS1_3gpuE3ELNS1_3repE0EEENS1_30default_config_static_selectorELNS0_4arch9wavefront6targetE0EEEvT1_.num_vgpr, 0
	.set _ZN7rocprim17ROCPRIM_400000_NS6detail17trampoline_kernelINS0_14default_configENS1_27scan_by_key_config_selectorIssEEZZNS1_16scan_by_key_implILNS1_25lookback_scan_determinismE0ELb1ES3_N6thrust23THRUST_200600_302600_NS6detail15normal_iteratorINS9_10device_ptrIsEEEESE_SE_sNS9_4plusIvEENS9_8equal_toIsEEsEE10hipError_tPvRmT2_T3_T4_T5_mT6_T7_P12ihipStream_tbENKUlT_T0_E_clISt17integral_constantIbLb1EESY_IbLb0EEEEDaSU_SV_EUlSU_E_NS1_11comp_targetILNS1_3genE9ELNS1_11target_archE1100ELNS1_3gpuE3ELNS1_3repE0EEENS1_30default_config_static_selectorELNS0_4arch9wavefront6targetE0EEEvT1_.num_agpr, 0
	.set _ZN7rocprim17ROCPRIM_400000_NS6detail17trampoline_kernelINS0_14default_configENS1_27scan_by_key_config_selectorIssEEZZNS1_16scan_by_key_implILNS1_25lookback_scan_determinismE0ELb1ES3_N6thrust23THRUST_200600_302600_NS6detail15normal_iteratorINS9_10device_ptrIsEEEESE_SE_sNS9_4plusIvEENS9_8equal_toIsEEsEE10hipError_tPvRmT2_T3_T4_T5_mT6_T7_P12ihipStream_tbENKUlT_T0_E_clISt17integral_constantIbLb1EESY_IbLb0EEEEDaSU_SV_EUlSU_E_NS1_11comp_targetILNS1_3genE9ELNS1_11target_archE1100ELNS1_3gpuE3ELNS1_3repE0EEENS1_30default_config_static_selectorELNS0_4arch9wavefront6targetE0EEEvT1_.numbered_sgpr, 0
	.set _ZN7rocprim17ROCPRIM_400000_NS6detail17trampoline_kernelINS0_14default_configENS1_27scan_by_key_config_selectorIssEEZZNS1_16scan_by_key_implILNS1_25lookback_scan_determinismE0ELb1ES3_N6thrust23THRUST_200600_302600_NS6detail15normal_iteratorINS9_10device_ptrIsEEEESE_SE_sNS9_4plusIvEENS9_8equal_toIsEEsEE10hipError_tPvRmT2_T3_T4_T5_mT6_T7_P12ihipStream_tbENKUlT_T0_E_clISt17integral_constantIbLb1EESY_IbLb0EEEEDaSU_SV_EUlSU_E_NS1_11comp_targetILNS1_3genE9ELNS1_11target_archE1100ELNS1_3gpuE3ELNS1_3repE0EEENS1_30default_config_static_selectorELNS0_4arch9wavefront6targetE0EEEvT1_.num_named_barrier, 0
	.set _ZN7rocprim17ROCPRIM_400000_NS6detail17trampoline_kernelINS0_14default_configENS1_27scan_by_key_config_selectorIssEEZZNS1_16scan_by_key_implILNS1_25lookback_scan_determinismE0ELb1ES3_N6thrust23THRUST_200600_302600_NS6detail15normal_iteratorINS9_10device_ptrIsEEEESE_SE_sNS9_4plusIvEENS9_8equal_toIsEEsEE10hipError_tPvRmT2_T3_T4_T5_mT6_T7_P12ihipStream_tbENKUlT_T0_E_clISt17integral_constantIbLb1EESY_IbLb0EEEEDaSU_SV_EUlSU_E_NS1_11comp_targetILNS1_3genE9ELNS1_11target_archE1100ELNS1_3gpuE3ELNS1_3repE0EEENS1_30default_config_static_selectorELNS0_4arch9wavefront6targetE0EEEvT1_.private_seg_size, 0
	.set _ZN7rocprim17ROCPRIM_400000_NS6detail17trampoline_kernelINS0_14default_configENS1_27scan_by_key_config_selectorIssEEZZNS1_16scan_by_key_implILNS1_25lookback_scan_determinismE0ELb1ES3_N6thrust23THRUST_200600_302600_NS6detail15normal_iteratorINS9_10device_ptrIsEEEESE_SE_sNS9_4plusIvEENS9_8equal_toIsEEsEE10hipError_tPvRmT2_T3_T4_T5_mT6_T7_P12ihipStream_tbENKUlT_T0_E_clISt17integral_constantIbLb1EESY_IbLb0EEEEDaSU_SV_EUlSU_E_NS1_11comp_targetILNS1_3genE9ELNS1_11target_archE1100ELNS1_3gpuE3ELNS1_3repE0EEENS1_30default_config_static_selectorELNS0_4arch9wavefront6targetE0EEEvT1_.uses_vcc, 0
	.set _ZN7rocprim17ROCPRIM_400000_NS6detail17trampoline_kernelINS0_14default_configENS1_27scan_by_key_config_selectorIssEEZZNS1_16scan_by_key_implILNS1_25lookback_scan_determinismE0ELb1ES3_N6thrust23THRUST_200600_302600_NS6detail15normal_iteratorINS9_10device_ptrIsEEEESE_SE_sNS9_4plusIvEENS9_8equal_toIsEEsEE10hipError_tPvRmT2_T3_T4_T5_mT6_T7_P12ihipStream_tbENKUlT_T0_E_clISt17integral_constantIbLb1EESY_IbLb0EEEEDaSU_SV_EUlSU_E_NS1_11comp_targetILNS1_3genE9ELNS1_11target_archE1100ELNS1_3gpuE3ELNS1_3repE0EEENS1_30default_config_static_selectorELNS0_4arch9wavefront6targetE0EEEvT1_.uses_flat_scratch, 0
	.set _ZN7rocprim17ROCPRIM_400000_NS6detail17trampoline_kernelINS0_14default_configENS1_27scan_by_key_config_selectorIssEEZZNS1_16scan_by_key_implILNS1_25lookback_scan_determinismE0ELb1ES3_N6thrust23THRUST_200600_302600_NS6detail15normal_iteratorINS9_10device_ptrIsEEEESE_SE_sNS9_4plusIvEENS9_8equal_toIsEEsEE10hipError_tPvRmT2_T3_T4_T5_mT6_T7_P12ihipStream_tbENKUlT_T0_E_clISt17integral_constantIbLb1EESY_IbLb0EEEEDaSU_SV_EUlSU_E_NS1_11comp_targetILNS1_3genE9ELNS1_11target_archE1100ELNS1_3gpuE3ELNS1_3repE0EEENS1_30default_config_static_selectorELNS0_4arch9wavefront6targetE0EEEvT1_.has_dyn_sized_stack, 0
	.set _ZN7rocprim17ROCPRIM_400000_NS6detail17trampoline_kernelINS0_14default_configENS1_27scan_by_key_config_selectorIssEEZZNS1_16scan_by_key_implILNS1_25lookback_scan_determinismE0ELb1ES3_N6thrust23THRUST_200600_302600_NS6detail15normal_iteratorINS9_10device_ptrIsEEEESE_SE_sNS9_4plusIvEENS9_8equal_toIsEEsEE10hipError_tPvRmT2_T3_T4_T5_mT6_T7_P12ihipStream_tbENKUlT_T0_E_clISt17integral_constantIbLb1EESY_IbLb0EEEEDaSU_SV_EUlSU_E_NS1_11comp_targetILNS1_3genE9ELNS1_11target_archE1100ELNS1_3gpuE3ELNS1_3repE0EEENS1_30default_config_static_selectorELNS0_4arch9wavefront6targetE0EEEvT1_.has_recursion, 0
	.set _ZN7rocprim17ROCPRIM_400000_NS6detail17trampoline_kernelINS0_14default_configENS1_27scan_by_key_config_selectorIssEEZZNS1_16scan_by_key_implILNS1_25lookback_scan_determinismE0ELb1ES3_N6thrust23THRUST_200600_302600_NS6detail15normal_iteratorINS9_10device_ptrIsEEEESE_SE_sNS9_4plusIvEENS9_8equal_toIsEEsEE10hipError_tPvRmT2_T3_T4_T5_mT6_T7_P12ihipStream_tbENKUlT_T0_E_clISt17integral_constantIbLb1EESY_IbLb0EEEEDaSU_SV_EUlSU_E_NS1_11comp_targetILNS1_3genE9ELNS1_11target_archE1100ELNS1_3gpuE3ELNS1_3repE0EEENS1_30default_config_static_selectorELNS0_4arch9wavefront6targetE0EEEvT1_.has_indirect_call, 0
	.section	.AMDGPU.csdata,"",@progbits
; Kernel info:
; codeLenInByte = 0
; TotalNumSgprs: 0
; NumVgprs: 0
; ScratchSize: 0
; MemoryBound: 0
; FloatMode: 240
; IeeeMode: 1
; LDSByteSize: 0 bytes/workgroup (compile time only)
; SGPRBlocks: 0
; VGPRBlocks: 0
; NumSGPRsForWavesPerEU: 1
; NumVGPRsForWavesPerEU: 1
; Occupancy: 16
; WaveLimiterHint : 0
; COMPUTE_PGM_RSRC2:SCRATCH_EN: 0
; COMPUTE_PGM_RSRC2:USER_SGPR: 6
; COMPUTE_PGM_RSRC2:TRAP_HANDLER: 0
; COMPUTE_PGM_RSRC2:TGID_X_EN: 1
; COMPUTE_PGM_RSRC2:TGID_Y_EN: 0
; COMPUTE_PGM_RSRC2:TGID_Z_EN: 0
; COMPUTE_PGM_RSRC2:TIDIG_COMP_CNT: 0
	.section	.text._ZN7rocprim17ROCPRIM_400000_NS6detail17trampoline_kernelINS0_14default_configENS1_27scan_by_key_config_selectorIssEEZZNS1_16scan_by_key_implILNS1_25lookback_scan_determinismE0ELb1ES3_N6thrust23THRUST_200600_302600_NS6detail15normal_iteratorINS9_10device_ptrIsEEEESE_SE_sNS9_4plusIvEENS9_8equal_toIsEEsEE10hipError_tPvRmT2_T3_T4_T5_mT6_T7_P12ihipStream_tbENKUlT_T0_E_clISt17integral_constantIbLb1EESY_IbLb0EEEEDaSU_SV_EUlSU_E_NS1_11comp_targetILNS1_3genE8ELNS1_11target_archE1030ELNS1_3gpuE2ELNS1_3repE0EEENS1_30default_config_static_selectorELNS0_4arch9wavefront6targetE0EEEvT1_,"axG",@progbits,_ZN7rocprim17ROCPRIM_400000_NS6detail17trampoline_kernelINS0_14default_configENS1_27scan_by_key_config_selectorIssEEZZNS1_16scan_by_key_implILNS1_25lookback_scan_determinismE0ELb1ES3_N6thrust23THRUST_200600_302600_NS6detail15normal_iteratorINS9_10device_ptrIsEEEESE_SE_sNS9_4plusIvEENS9_8equal_toIsEEsEE10hipError_tPvRmT2_T3_T4_T5_mT6_T7_P12ihipStream_tbENKUlT_T0_E_clISt17integral_constantIbLb1EESY_IbLb0EEEEDaSU_SV_EUlSU_E_NS1_11comp_targetILNS1_3genE8ELNS1_11target_archE1030ELNS1_3gpuE2ELNS1_3repE0EEENS1_30default_config_static_selectorELNS0_4arch9wavefront6targetE0EEEvT1_,comdat
	.protected	_ZN7rocprim17ROCPRIM_400000_NS6detail17trampoline_kernelINS0_14default_configENS1_27scan_by_key_config_selectorIssEEZZNS1_16scan_by_key_implILNS1_25lookback_scan_determinismE0ELb1ES3_N6thrust23THRUST_200600_302600_NS6detail15normal_iteratorINS9_10device_ptrIsEEEESE_SE_sNS9_4plusIvEENS9_8equal_toIsEEsEE10hipError_tPvRmT2_T3_T4_T5_mT6_T7_P12ihipStream_tbENKUlT_T0_E_clISt17integral_constantIbLb1EESY_IbLb0EEEEDaSU_SV_EUlSU_E_NS1_11comp_targetILNS1_3genE8ELNS1_11target_archE1030ELNS1_3gpuE2ELNS1_3repE0EEENS1_30default_config_static_selectorELNS0_4arch9wavefront6targetE0EEEvT1_ ; -- Begin function _ZN7rocprim17ROCPRIM_400000_NS6detail17trampoline_kernelINS0_14default_configENS1_27scan_by_key_config_selectorIssEEZZNS1_16scan_by_key_implILNS1_25lookback_scan_determinismE0ELb1ES3_N6thrust23THRUST_200600_302600_NS6detail15normal_iteratorINS9_10device_ptrIsEEEESE_SE_sNS9_4plusIvEENS9_8equal_toIsEEsEE10hipError_tPvRmT2_T3_T4_T5_mT6_T7_P12ihipStream_tbENKUlT_T0_E_clISt17integral_constantIbLb1EESY_IbLb0EEEEDaSU_SV_EUlSU_E_NS1_11comp_targetILNS1_3genE8ELNS1_11target_archE1030ELNS1_3gpuE2ELNS1_3repE0EEENS1_30default_config_static_selectorELNS0_4arch9wavefront6targetE0EEEvT1_
	.globl	_ZN7rocprim17ROCPRIM_400000_NS6detail17trampoline_kernelINS0_14default_configENS1_27scan_by_key_config_selectorIssEEZZNS1_16scan_by_key_implILNS1_25lookback_scan_determinismE0ELb1ES3_N6thrust23THRUST_200600_302600_NS6detail15normal_iteratorINS9_10device_ptrIsEEEESE_SE_sNS9_4plusIvEENS9_8equal_toIsEEsEE10hipError_tPvRmT2_T3_T4_T5_mT6_T7_P12ihipStream_tbENKUlT_T0_E_clISt17integral_constantIbLb1EESY_IbLb0EEEEDaSU_SV_EUlSU_E_NS1_11comp_targetILNS1_3genE8ELNS1_11target_archE1030ELNS1_3gpuE2ELNS1_3repE0EEENS1_30default_config_static_selectorELNS0_4arch9wavefront6targetE0EEEvT1_
	.p2align	8
	.type	_ZN7rocprim17ROCPRIM_400000_NS6detail17trampoline_kernelINS0_14default_configENS1_27scan_by_key_config_selectorIssEEZZNS1_16scan_by_key_implILNS1_25lookback_scan_determinismE0ELb1ES3_N6thrust23THRUST_200600_302600_NS6detail15normal_iteratorINS9_10device_ptrIsEEEESE_SE_sNS9_4plusIvEENS9_8equal_toIsEEsEE10hipError_tPvRmT2_T3_T4_T5_mT6_T7_P12ihipStream_tbENKUlT_T0_E_clISt17integral_constantIbLb1EESY_IbLb0EEEEDaSU_SV_EUlSU_E_NS1_11comp_targetILNS1_3genE8ELNS1_11target_archE1030ELNS1_3gpuE2ELNS1_3repE0EEENS1_30default_config_static_selectorELNS0_4arch9wavefront6targetE0EEEvT1_,@function
_ZN7rocprim17ROCPRIM_400000_NS6detail17trampoline_kernelINS0_14default_configENS1_27scan_by_key_config_selectorIssEEZZNS1_16scan_by_key_implILNS1_25lookback_scan_determinismE0ELb1ES3_N6thrust23THRUST_200600_302600_NS6detail15normal_iteratorINS9_10device_ptrIsEEEESE_SE_sNS9_4plusIvEENS9_8equal_toIsEEsEE10hipError_tPvRmT2_T3_T4_T5_mT6_T7_P12ihipStream_tbENKUlT_T0_E_clISt17integral_constantIbLb1EESY_IbLb0EEEEDaSU_SV_EUlSU_E_NS1_11comp_targetILNS1_3genE8ELNS1_11target_archE1030ELNS1_3gpuE2ELNS1_3repE0EEENS1_30default_config_static_selectorELNS0_4arch9wavefront6targetE0EEEvT1_: ; @_ZN7rocprim17ROCPRIM_400000_NS6detail17trampoline_kernelINS0_14default_configENS1_27scan_by_key_config_selectorIssEEZZNS1_16scan_by_key_implILNS1_25lookback_scan_determinismE0ELb1ES3_N6thrust23THRUST_200600_302600_NS6detail15normal_iteratorINS9_10device_ptrIsEEEESE_SE_sNS9_4plusIvEENS9_8equal_toIsEEsEE10hipError_tPvRmT2_T3_T4_T5_mT6_T7_P12ihipStream_tbENKUlT_T0_E_clISt17integral_constantIbLb1EESY_IbLb0EEEEDaSU_SV_EUlSU_E_NS1_11comp_targetILNS1_3genE8ELNS1_11target_archE1030ELNS1_3gpuE2ELNS1_3repE0EEENS1_30default_config_static_selectorELNS0_4arch9wavefront6targetE0EEEvT1_
; %bb.0:
	s_endpgm
	.section	.rodata,"a",@progbits
	.p2align	6, 0x0
	.amdhsa_kernel _ZN7rocprim17ROCPRIM_400000_NS6detail17trampoline_kernelINS0_14default_configENS1_27scan_by_key_config_selectorIssEEZZNS1_16scan_by_key_implILNS1_25lookback_scan_determinismE0ELb1ES3_N6thrust23THRUST_200600_302600_NS6detail15normal_iteratorINS9_10device_ptrIsEEEESE_SE_sNS9_4plusIvEENS9_8equal_toIsEEsEE10hipError_tPvRmT2_T3_T4_T5_mT6_T7_P12ihipStream_tbENKUlT_T0_E_clISt17integral_constantIbLb1EESY_IbLb0EEEEDaSU_SV_EUlSU_E_NS1_11comp_targetILNS1_3genE8ELNS1_11target_archE1030ELNS1_3gpuE2ELNS1_3repE0EEENS1_30default_config_static_selectorELNS0_4arch9wavefront6targetE0EEEvT1_
		.amdhsa_group_segment_fixed_size 0
		.amdhsa_private_segment_fixed_size 0
		.amdhsa_kernarg_size 112
		.amdhsa_user_sgpr_count 6
		.amdhsa_user_sgpr_private_segment_buffer 1
		.amdhsa_user_sgpr_dispatch_ptr 0
		.amdhsa_user_sgpr_queue_ptr 0
		.amdhsa_user_sgpr_kernarg_segment_ptr 1
		.amdhsa_user_sgpr_dispatch_id 0
		.amdhsa_user_sgpr_flat_scratch_init 0
		.amdhsa_user_sgpr_private_segment_size 0
		.amdhsa_wavefront_size32 1
		.amdhsa_uses_dynamic_stack 0
		.amdhsa_system_sgpr_private_segment_wavefront_offset 0
		.amdhsa_system_sgpr_workgroup_id_x 1
		.amdhsa_system_sgpr_workgroup_id_y 0
		.amdhsa_system_sgpr_workgroup_id_z 0
		.amdhsa_system_sgpr_workgroup_info 0
		.amdhsa_system_vgpr_workitem_id 0
		.amdhsa_next_free_vgpr 1
		.amdhsa_next_free_sgpr 1
		.amdhsa_reserve_vcc 0
		.amdhsa_reserve_flat_scratch 0
		.amdhsa_float_round_mode_32 0
		.amdhsa_float_round_mode_16_64 0
		.amdhsa_float_denorm_mode_32 3
		.amdhsa_float_denorm_mode_16_64 3
		.amdhsa_dx10_clamp 1
		.amdhsa_ieee_mode 1
		.amdhsa_fp16_overflow 0
		.amdhsa_workgroup_processor_mode 1
		.amdhsa_memory_ordered 1
		.amdhsa_forward_progress 1
		.amdhsa_shared_vgpr_count 0
		.amdhsa_exception_fp_ieee_invalid_op 0
		.amdhsa_exception_fp_denorm_src 0
		.amdhsa_exception_fp_ieee_div_zero 0
		.amdhsa_exception_fp_ieee_overflow 0
		.amdhsa_exception_fp_ieee_underflow 0
		.amdhsa_exception_fp_ieee_inexact 0
		.amdhsa_exception_int_div_zero 0
	.end_amdhsa_kernel
	.section	.text._ZN7rocprim17ROCPRIM_400000_NS6detail17trampoline_kernelINS0_14default_configENS1_27scan_by_key_config_selectorIssEEZZNS1_16scan_by_key_implILNS1_25lookback_scan_determinismE0ELb1ES3_N6thrust23THRUST_200600_302600_NS6detail15normal_iteratorINS9_10device_ptrIsEEEESE_SE_sNS9_4plusIvEENS9_8equal_toIsEEsEE10hipError_tPvRmT2_T3_T4_T5_mT6_T7_P12ihipStream_tbENKUlT_T0_E_clISt17integral_constantIbLb1EESY_IbLb0EEEEDaSU_SV_EUlSU_E_NS1_11comp_targetILNS1_3genE8ELNS1_11target_archE1030ELNS1_3gpuE2ELNS1_3repE0EEENS1_30default_config_static_selectorELNS0_4arch9wavefront6targetE0EEEvT1_,"axG",@progbits,_ZN7rocprim17ROCPRIM_400000_NS6detail17trampoline_kernelINS0_14default_configENS1_27scan_by_key_config_selectorIssEEZZNS1_16scan_by_key_implILNS1_25lookback_scan_determinismE0ELb1ES3_N6thrust23THRUST_200600_302600_NS6detail15normal_iteratorINS9_10device_ptrIsEEEESE_SE_sNS9_4plusIvEENS9_8equal_toIsEEsEE10hipError_tPvRmT2_T3_T4_T5_mT6_T7_P12ihipStream_tbENKUlT_T0_E_clISt17integral_constantIbLb1EESY_IbLb0EEEEDaSU_SV_EUlSU_E_NS1_11comp_targetILNS1_3genE8ELNS1_11target_archE1030ELNS1_3gpuE2ELNS1_3repE0EEENS1_30default_config_static_selectorELNS0_4arch9wavefront6targetE0EEEvT1_,comdat
.Lfunc_end667:
	.size	_ZN7rocprim17ROCPRIM_400000_NS6detail17trampoline_kernelINS0_14default_configENS1_27scan_by_key_config_selectorIssEEZZNS1_16scan_by_key_implILNS1_25lookback_scan_determinismE0ELb1ES3_N6thrust23THRUST_200600_302600_NS6detail15normal_iteratorINS9_10device_ptrIsEEEESE_SE_sNS9_4plusIvEENS9_8equal_toIsEEsEE10hipError_tPvRmT2_T3_T4_T5_mT6_T7_P12ihipStream_tbENKUlT_T0_E_clISt17integral_constantIbLb1EESY_IbLb0EEEEDaSU_SV_EUlSU_E_NS1_11comp_targetILNS1_3genE8ELNS1_11target_archE1030ELNS1_3gpuE2ELNS1_3repE0EEENS1_30default_config_static_selectorELNS0_4arch9wavefront6targetE0EEEvT1_, .Lfunc_end667-_ZN7rocprim17ROCPRIM_400000_NS6detail17trampoline_kernelINS0_14default_configENS1_27scan_by_key_config_selectorIssEEZZNS1_16scan_by_key_implILNS1_25lookback_scan_determinismE0ELb1ES3_N6thrust23THRUST_200600_302600_NS6detail15normal_iteratorINS9_10device_ptrIsEEEESE_SE_sNS9_4plusIvEENS9_8equal_toIsEEsEE10hipError_tPvRmT2_T3_T4_T5_mT6_T7_P12ihipStream_tbENKUlT_T0_E_clISt17integral_constantIbLb1EESY_IbLb0EEEEDaSU_SV_EUlSU_E_NS1_11comp_targetILNS1_3genE8ELNS1_11target_archE1030ELNS1_3gpuE2ELNS1_3repE0EEENS1_30default_config_static_selectorELNS0_4arch9wavefront6targetE0EEEvT1_
                                        ; -- End function
	.set _ZN7rocprim17ROCPRIM_400000_NS6detail17trampoline_kernelINS0_14default_configENS1_27scan_by_key_config_selectorIssEEZZNS1_16scan_by_key_implILNS1_25lookback_scan_determinismE0ELb1ES3_N6thrust23THRUST_200600_302600_NS6detail15normal_iteratorINS9_10device_ptrIsEEEESE_SE_sNS9_4plusIvEENS9_8equal_toIsEEsEE10hipError_tPvRmT2_T3_T4_T5_mT6_T7_P12ihipStream_tbENKUlT_T0_E_clISt17integral_constantIbLb1EESY_IbLb0EEEEDaSU_SV_EUlSU_E_NS1_11comp_targetILNS1_3genE8ELNS1_11target_archE1030ELNS1_3gpuE2ELNS1_3repE0EEENS1_30default_config_static_selectorELNS0_4arch9wavefront6targetE0EEEvT1_.num_vgpr, 0
	.set _ZN7rocprim17ROCPRIM_400000_NS6detail17trampoline_kernelINS0_14default_configENS1_27scan_by_key_config_selectorIssEEZZNS1_16scan_by_key_implILNS1_25lookback_scan_determinismE0ELb1ES3_N6thrust23THRUST_200600_302600_NS6detail15normal_iteratorINS9_10device_ptrIsEEEESE_SE_sNS9_4plusIvEENS9_8equal_toIsEEsEE10hipError_tPvRmT2_T3_T4_T5_mT6_T7_P12ihipStream_tbENKUlT_T0_E_clISt17integral_constantIbLb1EESY_IbLb0EEEEDaSU_SV_EUlSU_E_NS1_11comp_targetILNS1_3genE8ELNS1_11target_archE1030ELNS1_3gpuE2ELNS1_3repE0EEENS1_30default_config_static_selectorELNS0_4arch9wavefront6targetE0EEEvT1_.num_agpr, 0
	.set _ZN7rocprim17ROCPRIM_400000_NS6detail17trampoline_kernelINS0_14default_configENS1_27scan_by_key_config_selectorIssEEZZNS1_16scan_by_key_implILNS1_25lookback_scan_determinismE0ELb1ES3_N6thrust23THRUST_200600_302600_NS6detail15normal_iteratorINS9_10device_ptrIsEEEESE_SE_sNS9_4plusIvEENS9_8equal_toIsEEsEE10hipError_tPvRmT2_T3_T4_T5_mT6_T7_P12ihipStream_tbENKUlT_T0_E_clISt17integral_constantIbLb1EESY_IbLb0EEEEDaSU_SV_EUlSU_E_NS1_11comp_targetILNS1_3genE8ELNS1_11target_archE1030ELNS1_3gpuE2ELNS1_3repE0EEENS1_30default_config_static_selectorELNS0_4arch9wavefront6targetE0EEEvT1_.numbered_sgpr, 0
	.set _ZN7rocprim17ROCPRIM_400000_NS6detail17trampoline_kernelINS0_14default_configENS1_27scan_by_key_config_selectorIssEEZZNS1_16scan_by_key_implILNS1_25lookback_scan_determinismE0ELb1ES3_N6thrust23THRUST_200600_302600_NS6detail15normal_iteratorINS9_10device_ptrIsEEEESE_SE_sNS9_4plusIvEENS9_8equal_toIsEEsEE10hipError_tPvRmT2_T3_T4_T5_mT6_T7_P12ihipStream_tbENKUlT_T0_E_clISt17integral_constantIbLb1EESY_IbLb0EEEEDaSU_SV_EUlSU_E_NS1_11comp_targetILNS1_3genE8ELNS1_11target_archE1030ELNS1_3gpuE2ELNS1_3repE0EEENS1_30default_config_static_selectorELNS0_4arch9wavefront6targetE0EEEvT1_.num_named_barrier, 0
	.set _ZN7rocprim17ROCPRIM_400000_NS6detail17trampoline_kernelINS0_14default_configENS1_27scan_by_key_config_selectorIssEEZZNS1_16scan_by_key_implILNS1_25lookback_scan_determinismE0ELb1ES3_N6thrust23THRUST_200600_302600_NS6detail15normal_iteratorINS9_10device_ptrIsEEEESE_SE_sNS9_4plusIvEENS9_8equal_toIsEEsEE10hipError_tPvRmT2_T3_T4_T5_mT6_T7_P12ihipStream_tbENKUlT_T0_E_clISt17integral_constantIbLb1EESY_IbLb0EEEEDaSU_SV_EUlSU_E_NS1_11comp_targetILNS1_3genE8ELNS1_11target_archE1030ELNS1_3gpuE2ELNS1_3repE0EEENS1_30default_config_static_selectorELNS0_4arch9wavefront6targetE0EEEvT1_.private_seg_size, 0
	.set _ZN7rocprim17ROCPRIM_400000_NS6detail17trampoline_kernelINS0_14default_configENS1_27scan_by_key_config_selectorIssEEZZNS1_16scan_by_key_implILNS1_25lookback_scan_determinismE0ELb1ES3_N6thrust23THRUST_200600_302600_NS6detail15normal_iteratorINS9_10device_ptrIsEEEESE_SE_sNS9_4plusIvEENS9_8equal_toIsEEsEE10hipError_tPvRmT2_T3_T4_T5_mT6_T7_P12ihipStream_tbENKUlT_T0_E_clISt17integral_constantIbLb1EESY_IbLb0EEEEDaSU_SV_EUlSU_E_NS1_11comp_targetILNS1_3genE8ELNS1_11target_archE1030ELNS1_3gpuE2ELNS1_3repE0EEENS1_30default_config_static_selectorELNS0_4arch9wavefront6targetE0EEEvT1_.uses_vcc, 0
	.set _ZN7rocprim17ROCPRIM_400000_NS6detail17trampoline_kernelINS0_14default_configENS1_27scan_by_key_config_selectorIssEEZZNS1_16scan_by_key_implILNS1_25lookback_scan_determinismE0ELb1ES3_N6thrust23THRUST_200600_302600_NS6detail15normal_iteratorINS9_10device_ptrIsEEEESE_SE_sNS9_4plusIvEENS9_8equal_toIsEEsEE10hipError_tPvRmT2_T3_T4_T5_mT6_T7_P12ihipStream_tbENKUlT_T0_E_clISt17integral_constantIbLb1EESY_IbLb0EEEEDaSU_SV_EUlSU_E_NS1_11comp_targetILNS1_3genE8ELNS1_11target_archE1030ELNS1_3gpuE2ELNS1_3repE0EEENS1_30default_config_static_selectorELNS0_4arch9wavefront6targetE0EEEvT1_.uses_flat_scratch, 0
	.set _ZN7rocprim17ROCPRIM_400000_NS6detail17trampoline_kernelINS0_14default_configENS1_27scan_by_key_config_selectorIssEEZZNS1_16scan_by_key_implILNS1_25lookback_scan_determinismE0ELb1ES3_N6thrust23THRUST_200600_302600_NS6detail15normal_iteratorINS9_10device_ptrIsEEEESE_SE_sNS9_4plusIvEENS9_8equal_toIsEEsEE10hipError_tPvRmT2_T3_T4_T5_mT6_T7_P12ihipStream_tbENKUlT_T0_E_clISt17integral_constantIbLb1EESY_IbLb0EEEEDaSU_SV_EUlSU_E_NS1_11comp_targetILNS1_3genE8ELNS1_11target_archE1030ELNS1_3gpuE2ELNS1_3repE0EEENS1_30default_config_static_selectorELNS0_4arch9wavefront6targetE0EEEvT1_.has_dyn_sized_stack, 0
	.set _ZN7rocprim17ROCPRIM_400000_NS6detail17trampoline_kernelINS0_14default_configENS1_27scan_by_key_config_selectorIssEEZZNS1_16scan_by_key_implILNS1_25lookback_scan_determinismE0ELb1ES3_N6thrust23THRUST_200600_302600_NS6detail15normal_iteratorINS9_10device_ptrIsEEEESE_SE_sNS9_4plusIvEENS9_8equal_toIsEEsEE10hipError_tPvRmT2_T3_T4_T5_mT6_T7_P12ihipStream_tbENKUlT_T0_E_clISt17integral_constantIbLb1EESY_IbLb0EEEEDaSU_SV_EUlSU_E_NS1_11comp_targetILNS1_3genE8ELNS1_11target_archE1030ELNS1_3gpuE2ELNS1_3repE0EEENS1_30default_config_static_selectorELNS0_4arch9wavefront6targetE0EEEvT1_.has_recursion, 0
	.set _ZN7rocprim17ROCPRIM_400000_NS6detail17trampoline_kernelINS0_14default_configENS1_27scan_by_key_config_selectorIssEEZZNS1_16scan_by_key_implILNS1_25lookback_scan_determinismE0ELb1ES3_N6thrust23THRUST_200600_302600_NS6detail15normal_iteratorINS9_10device_ptrIsEEEESE_SE_sNS9_4plusIvEENS9_8equal_toIsEEsEE10hipError_tPvRmT2_T3_T4_T5_mT6_T7_P12ihipStream_tbENKUlT_T0_E_clISt17integral_constantIbLb1EESY_IbLb0EEEEDaSU_SV_EUlSU_E_NS1_11comp_targetILNS1_3genE8ELNS1_11target_archE1030ELNS1_3gpuE2ELNS1_3repE0EEENS1_30default_config_static_selectorELNS0_4arch9wavefront6targetE0EEEvT1_.has_indirect_call, 0
	.section	.AMDGPU.csdata,"",@progbits
; Kernel info:
; codeLenInByte = 4
; TotalNumSgprs: 0
; NumVgprs: 0
; ScratchSize: 0
; MemoryBound: 0
; FloatMode: 240
; IeeeMode: 1
; LDSByteSize: 0 bytes/workgroup (compile time only)
; SGPRBlocks: 0
; VGPRBlocks: 0
; NumSGPRsForWavesPerEU: 1
; NumVGPRsForWavesPerEU: 1
; Occupancy: 16
; WaveLimiterHint : 0
; COMPUTE_PGM_RSRC2:SCRATCH_EN: 0
; COMPUTE_PGM_RSRC2:USER_SGPR: 6
; COMPUTE_PGM_RSRC2:TRAP_HANDLER: 0
; COMPUTE_PGM_RSRC2:TGID_X_EN: 1
; COMPUTE_PGM_RSRC2:TGID_Y_EN: 0
; COMPUTE_PGM_RSRC2:TGID_Z_EN: 0
; COMPUTE_PGM_RSRC2:TIDIG_COMP_CNT: 0
	.section	.text._ZN7rocprim17ROCPRIM_400000_NS6detail17trampoline_kernelINS0_14default_configENS1_27scan_by_key_config_selectorIssEEZZNS1_16scan_by_key_implILNS1_25lookback_scan_determinismE0ELb1ES3_N6thrust23THRUST_200600_302600_NS6detail15normal_iteratorINS9_10device_ptrIsEEEESE_SE_sNS9_4plusIvEENS9_8equal_toIsEEsEE10hipError_tPvRmT2_T3_T4_T5_mT6_T7_P12ihipStream_tbENKUlT_T0_E_clISt17integral_constantIbLb0EESY_IbLb1EEEEDaSU_SV_EUlSU_E_NS1_11comp_targetILNS1_3genE0ELNS1_11target_archE4294967295ELNS1_3gpuE0ELNS1_3repE0EEENS1_30default_config_static_selectorELNS0_4arch9wavefront6targetE0EEEvT1_,"axG",@progbits,_ZN7rocprim17ROCPRIM_400000_NS6detail17trampoline_kernelINS0_14default_configENS1_27scan_by_key_config_selectorIssEEZZNS1_16scan_by_key_implILNS1_25lookback_scan_determinismE0ELb1ES3_N6thrust23THRUST_200600_302600_NS6detail15normal_iteratorINS9_10device_ptrIsEEEESE_SE_sNS9_4plusIvEENS9_8equal_toIsEEsEE10hipError_tPvRmT2_T3_T4_T5_mT6_T7_P12ihipStream_tbENKUlT_T0_E_clISt17integral_constantIbLb0EESY_IbLb1EEEEDaSU_SV_EUlSU_E_NS1_11comp_targetILNS1_3genE0ELNS1_11target_archE4294967295ELNS1_3gpuE0ELNS1_3repE0EEENS1_30default_config_static_selectorELNS0_4arch9wavefront6targetE0EEEvT1_,comdat
	.protected	_ZN7rocprim17ROCPRIM_400000_NS6detail17trampoline_kernelINS0_14default_configENS1_27scan_by_key_config_selectorIssEEZZNS1_16scan_by_key_implILNS1_25lookback_scan_determinismE0ELb1ES3_N6thrust23THRUST_200600_302600_NS6detail15normal_iteratorINS9_10device_ptrIsEEEESE_SE_sNS9_4plusIvEENS9_8equal_toIsEEsEE10hipError_tPvRmT2_T3_T4_T5_mT6_T7_P12ihipStream_tbENKUlT_T0_E_clISt17integral_constantIbLb0EESY_IbLb1EEEEDaSU_SV_EUlSU_E_NS1_11comp_targetILNS1_3genE0ELNS1_11target_archE4294967295ELNS1_3gpuE0ELNS1_3repE0EEENS1_30default_config_static_selectorELNS0_4arch9wavefront6targetE0EEEvT1_ ; -- Begin function _ZN7rocprim17ROCPRIM_400000_NS6detail17trampoline_kernelINS0_14default_configENS1_27scan_by_key_config_selectorIssEEZZNS1_16scan_by_key_implILNS1_25lookback_scan_determinismE0ELb1ES3_N6thrust23THRUST_200600_302600_NS6detail15normal_iteratorINS9_10device_ptrIsEEEESE_SE_sNS9_4plusIvEENS9_8equal_toIsEEsEE10hipError_tPvRmT2_T3_T4_T5_mT6_T7_P12ihipStream_tbENKUlT_T0_E_clISt17integral_constantIbLb0EESY_IbLb1EEEEDaSU_SV_EUlSU_E_NS1_11comp_targetILNS1_3genE0ELNS1_11target_archE4294967295ELNS1_3gpuE0ELNS1_3repE0EEENS1_30default_config_static_selectorELNS0_4arch9wavefront6targetE0EEEvT1_
	.globl	_ZN7rocprim17ROCPRIM_400000_NS6detail17trampoline_kernelINS0_14default_configENS1_27scan_by_key_config_selectorIssEEZZNS1_16scan_by_key_implILNS1_25lookback_scan_determinismE0ELb1ES3_N6thrust23THRUST_200600_302600_NS6detail15normal_iteratorINS9_10device_ptrIsEEEESE_SE_sNS9_4plusIvEENS9_8equal_toIsEEsEE10hipError_tPvRmT2_T3_T4_T5_mT6_T7_P12ihipStream_tbENKUlT_T0_E_clISt17integral_constantIbLb0EESY_IbLb1EEEEDaSU_SV_EUlSU_E_NS1_11comp_targetILNS1_3genE0ELNS1_11target_archE4294967295ELNS1_3gpuE0ELNS1_3repE0EEENS1_30default_config_static_selectorELNS0_4arch9wavefront6targetE0EEEvT1_
	.p2align	8
	.type	_ZN7rocprim17ROCPRIM_400000_NS6detail17trampoline_kernelINS0_14default_configENS1_27scan_by_key_config_selectorIssEEZZNS1_16scan_by_key_implILNS1_25lookback_scan_determinismE0ELb1ES3_N6thrust23THRUST_200600_302600_NS6detail15normal_iteratorINS9_10device_ptrIsEEEESE_SE_sNS9_4plusIvEENS9_8equal_toIsEEsEE10hipError_tPvRmT2_T3_T4_T5_mT6_T7_P12ihipStream_tbENKUlT_T0_E_clISt17integral_constantIbLb0EESY_IbLb1EEEEDaSU_SV_EUlSU_E_NS1_11comp_targetILNS1_3genE0ELNS1_11target_archE4294967295ELNS1_3gpuE0ELNS1_3repE0EEENS1_30default_config_static_selectorELNS0_4arch9wavefront6targetE0EEEvT1_,@function
_ZN7rocprim17ROCPRIM_400000_NS6detail17trampoline_kernelINS0_14default_configENS1_27scan_by_key_config_selectorIssEEZZNS1_16scan_by_key_implILNS1_25lookback_scan_determinismE0ELb1ES3_N6thrust23THRUST_200600_302600_NS6detail15normal_iteratorINS9_10device_ptrIsEEEESE_SE_sNS9_4plusIvEENS9_8equal_toIsEEsEE10hipError_tPvRmT2_T3_T4_T5_mT6_T7_P12ihipStream_tbENKUlT_T0_E_clISt17integral_constantIbLb0EESY_IbLb1EEEEDaSU_SV_EUlSU_E_NS1_11comp_targetILNS1_3genE0ELNS1_11target_archE4294967295ELNS1_3gpuE0ELNS1_3repE0EEENS1_30default_config_static_selectorELNS0_4arch9wavefront6targetE0EEEvT1_: ; @_ZN7rocprim17ROCPRIM_400000_NS6detail17trampoline_kernelINS0_14default_configENS1_27scan_by_key_config_selectorIssEEZZNS1_16scan_by_key_implILNS1_25lookback_scan_determinismE0ELb1ES3_N6thrust23THRUST_200600_302600_NS6detail15normal_iteratorINS9_10device_ptrIsEEEESE_SE_sNS9_4plusIvEENS9_8equal_toIsEEsEE10hipError_tPvRmT2_T3_T4_T5_mT6_T7_P12ihipStream_tbENKUlT_T0_E_clISt17integral_constantIbLb0EESY_IbLb1EEEEDaSU_SV_EUlSU_E_NS1_11comp_targetILNS1_3genE0ELNS1_11target_archE4294967295ELNS1_3gpuE0ELNS1_3repE0EEENS1_30default_config_static_selectorELNS0_4arch9wavefront6targetE0EEEvT1_
; %bb.0:
	.section	.rodata,"a",@progbits
	.p2align	6, 0x0
	.amdhsa_kernel _ZN7rocprim17ROCPRIM_400000_NS6detail17trampoline_kernelINS0_14default_configENS1_27scan_by_key_config_selectorIssEEZZNS1_16scan_by_key_implILNS1_25lookback_scan_determinismE0ELb1ES3_N6thrust23THRUST_200600_302600_NS6detail15normal_iteratorINS9_10device_ptrIsEEEESE_SE_sNS9_4plusIvEENS9_8equal_toIsEEsEE10hipError_tPvRmT2_T3_T4_T5_mT6_T7_P12ihipStream_tbENKUlT_T0_E_clISt17integral_constantIbLb0EESY_IbLb1EEEEDaSU_SV_EUlSU_E_NS1_11comp_targetILNS1_3genE0ELNS1_11target_archE4294967295ELNS1_3gpuE0ELNS1_3repE0EEENS1_30default_config_static_selectorELNS0_4arch9wavefront6targetE0EEEvT1_
		.amdhsa_group_segment_fixed_size 0
		.amdhsa_private_segment_fixed_size 0
		.amdhsa_kernarg_size 112
		.amdhsa_user_sgpr_count 6
		.amdhsa_user_sgpr_private_segment_buffer 1
		.amdhsa_user_sgpr_dispatch_ptr 0
		.amdhsa_user_sgpr_queue_ptr 0
		.amdhsa_user_sgpr_kernarg_segment_ptr 1
		.amdhsa_user_sgpr_dispatch_id 0
		.amdhsa_user_sgpr_flat_scratch_init 0
		.amdhsa_user_sgpr_private_segment_size 0
		.amdhsa_wavefront_size32 1
		.amdhsa_uses_dynamic_stack 0
		.amdhsa_system_sgpr_private_segment_wavefront_offset 0
		.amdhsa_system_sgpr_workgroup_id_x 1
		.amdhsa_system_sgpr_workgroup_id_y 0
		.amdhsa_system_sgpr_workgroup_id_z 0
		.amdhsa_system_sgpr_workgroup_info 0
		.amdhsa_system_vgpr_workitem_id 0
		.amdhsa_next_free_vgpr 1
		.amdhsa_next_free_sgpr 1
		.amdhsa_reserve_vcc 0
		.amdhsa_reserve_flat_scratch 0
		.amdhsa_float_round_mode_32 0
		.amdhsa_float_round_mode_16_64 0
		.amdhsa_float_denorm_mode_32 3
		.amdhsa_float_denorm_mode_16_64 3
		.amdhsa_dx10_clamp 1
		.amdhsa_ieee_mode 1
		.amdhsa_fp16_overflow 0
		.amdhsa_workgroup_processor_mode 1
		.amdhsa_memory_ordered 1
		.amdhsa_forward_progress 1
		.amdhsa_shared_vgpr_count 0
		.amdhsa_exception_fp_ieee_invalid_op 0
		.amdhsa_exception_fp_denorm_src 0
		.amdhsa_exception_fp_ieee_div_zero 0
		.amdhsa_exception_fp_ieee_overflow 0
		.amdhsa_exception_fp_ieee_underflow 0
		.amdhsa_exception_fp_ieee_inexact 0
		.amdhsa_exception_int_div_zero 0
	.end_amdhsa_kernel
	.section	.text._ZN7rocprim17ROCPRIM_400000_NS6detail17trampoline_kernelINS0_14default_configENS1_27scan_by_key_config_selectorIssEEZZNS1_16scan_by_key_implILNS1_25lookback_scan_determinismE0ELb1ES3_N6thrust23THRUST_200600_302600_NS6detail15normal_iteratorINS9_10device_ptrIsEEEESE_SE_sNS9_4plusIvEENS9_8equal_toIsEEsEE10hipError_tPvRmT2_T3_T4_T5_mT6_T7_P12ihipStream_tbENKUlT_T0_E_clISt17integral_constantIbLb0EESY_IbLb1EEEEDaSU_SV_EUlSU_E_NS1_11comp_targetILNS1_3genE0ELNS1_11target_archE4294967295ELNS1_3gpuE0ELNS1_3repE0EEENS1_30default_config_static_selectorELNS0_4arch9wavefront6targetE0EEEvT1_,"axG",@progbits,_ZN7rocprim17ROCPRIM_400000_NS6detail17trampoline_kernelINS0_14default_configENS1_27scan_by_key_config_selectorIssEEZZNS1_16scan_by_key_implILNS1_25lookback_scan_determinismE0ELb1ES3_N6thrust23THRUST_200600_302600_NS6detail15normal_iteratorINS9_10device_ptrIsEEEESE_SE_sNS9_4plusIvEENS9_8equal_toIsEEsEE10hipError_tPvRmT2_T3_T4_T5_mT6_T7_P12ihipStream_tbENKUlT_T0_E_clISt17integral_constantIbLb0EESY_IbLb1EEEEDaSU_SV_EUlSU_E_NS1_11comp_targetILNS1_3genE0ELNS1_11target_archE4294967295ELNS1_3gpuE0ELNS1_3repE0EEENS1_30default_config_static_selectorELNS0_4arch9wavefront6targetE0EEEvT1_,comdat
.Lfunc_end668:
	.size	_ZN7rocprim17ROCPRIM_400000_NS6detail17trampoline_kernelINS0_14default_configENS1_27scan_by_key_config_selectorIssEEZZNS1_16scan_by_key_implILNS1_25lookback_scan_determinismE0ELb1ES3_N6thrust23THRUST_200600_302600_NS6detail15normal_iteratorINS9_10device_ptrIsEEEESE_SE_sNS9_4plusIvEENS9_8equal_toIsEEsEE10hipError_tPvRmT2_T3_T4_T5_mT6_T7_P12ihipStream_tbENKUlT_T0_E_clISt17integral_constantIbLb0EESY_IbLb1EEEEDaSU_SV_EUlSU_E_NS1_11comp_targetILNS1_3genE0ELNS1_11target_archE4294967295ELNS1_3gpuE0ELNS1_3repE0EEENS1_30default_config_static_selectorELNS0_4arch9wavefront6targetE0EEEvT1_, .Lfunc_end668-_ZN7rocprim17ROCPRIM_400000_NS6detail17trampoline_kernelINS0_14default_configENS1_27scan_by_key_config_selectorIssEEZZNS1_16scan_by_key_implILNS1_25lookback_scan_determinismE0ELb1ES3_N6thrust23THRUST_200600_302600_NS6detail15normal_iteratorINS9_10device_ptrIsEEEESE_SE_sNS9_4plusIvEENS9_8equal_toIsEEsEE10hipError_tPvRmT2_T3_T4_T5_mT6_T7_P12ihipStream_tbENKUlT_T0_E_clISt17integral_constantIbLb0EESY_IbLb1EEEEDaSU_SV_EUlSU_E_NS1_11comp_targetILNS1_3genE0ELNS1_11target_archE4294967295ELNS1_3gpuE0ELNS1_3repE0EEENS1_30default_config_static_selectorELNS0_4arch9wavefront6targetE0EEEvT1_
                                        ; -- End function
	.set _ZN7rocprim17ROCPRIM_400000_NS6detail17trampoline_kernelINS0_14default_configENS1_27scan_by_key_config_selectorIssEEZZNS1_16scan_by_key_implILNS1_25lookback_scan_determinismE0ELb1ES3_N6thrust23THRUST_200600_302600_NS6detail15normal_iteratorINS9_10device_ptrIsEEEESE_SE_sNS9_4plusIvEENS9_8equal_toIsEEsEE10hipError_tPvRmT2_T3_T4_T5_mT6_T7_P12ihipStream_tbENKUlT_T0_E_clISt17integral_constantIbLb0EESY_IbLb1EEEEDaSU_SV_EUlSU_E_NS1_11comp_targetILNS1_3genE0ELNS1_11target_archE4294967295ELNS1_3gpuE0ELNS1_3repE0EEENS1_30default_config_static_selectorELNS0_4arch9wavefront6targetE0EEEvT1_.num_vgpr, 0
	.set _ZN7rocprim17ROCPRIM_400000_NS6detail17trampoline_kernelINS0_14default_configENS1_27scan_by_key_config_selectorIssEEZZNS1_16scan_by_key_implILNS1_25lookback_scan_determinismE0ELb1ES3_N6thrust23THRUST_200600_302600_NS6detail15normal_iteratorINS9_10device_ptrIsEEEESE_SE_sNS9_4plusIvEENS9_8equal_toIsEEsEE10hipError_tPvRmT2_T3_T4_T5_mT6_T7_P12ihipStream_tbENKUlT_T0_E_clISt17integral_constantIbLb0EESY_IbLb1EEEEDaSU_SV_EUlSU_E_NS1_11comp_targetILNS1_3genE0ELNS1_11target_archE4294967295ELNS1_3gpuE0ELNS1_3repE0EEENS1_30default_config_static_selectorELNS0_4arch9wavefront6targetE0EEEvT1_.num_agpr, 0
	.set _ZN7rocprim17ROCPRIM_400000_NS6detail17trampoline_kernelINS0_14default_configENS1_27scan_by_key_config_selectorIssEEZZNS1_16scan_by_key_implILNS1_25lookback_scan_determinismE0ELb1ES3_N6thrust23THRUST_200600_302600_NS6detail15normal_iteratorINS9_10device_ptrIsEEEESE_SE_sNS9_4plusIvEENS9_8equal_toIsEEsEE10hipError_tPvRmT2_T3_T4_T5_mT6_T7_P12ihipStream_tbENKUlT_T0_E_clISt17integral_constantIbLb0EESY_IbLb1EEEEDaSU_SV_EUlSU_E_NS1_11comp_targetILNS1_3genE0ELNS1_11target_archE4294967295ELNS1_3gpuE0ELNS1_3repE0EEENS1_30default_config_static_selectorELNS0_4arch9wavefront6targetE0EEEvT1_.numbered_sgpr, 0
	.set _ZN7rocprim17ROCPRIM_400000_NS6detail17trampoline_kernelINS0_14default_configENS1_27scan_by_key_config_selectorIssEEZZNS1_16scan_by_key_implILNS1_25lookback_scan_determinismE0ELb1ES3_N6thrust23THRUST_200600_302600_NS6detail15normal_iteratorINS9_10device_ptrIsEEEESE_SE_sNS9_4plusIvEENS9_8equal_toIsEEsEE10hipError_tPvRmT2_T3_T4_T5_mT6_T7_P12ihipStream_tbENKUlT_T0_E_clISt17integral_constantIbLb0EESY_IbLb1EEEEDaSU_SV_EUlSU_E_NS1_11comp_targetILNS1_3genE0ELNS1_11target_archE4294967295ELNS1_3gpuE0ELNS1_3repE0EEENS1_30default_config_static_selectorELNS0_4arch9wavefront6targetE0EEEvT1_.num_named_barrier, 0
	.set _ZN7rocprim17ROCPRIM_400000_NS6detail17trampoline_kernelINS0_14default_configENS1_27scan_by_key_config_selectorIssEEZZNS1_16scan_by_key_implILNS1_25lookback_scan_determinismE0ELb1ES3_N6thrust23THRUST_200600_302600_NS6detail15normal_iteratorINS9_10device_ptrIsEEEESE_SE_sNS9_4plusIvEENS9_8equal_toIsEEsEE10hipError_tPvRmT2_T3_T4_T5_mT6_T7_P12ihipStream_tbENKUlT_T0_E_clISt17integral_constantIbLb0EESY_IbLb1EEEEDaSU_SV_EUlSU_E_NS1_11comp_targetILNS1_3genE0ELNS1_11target_archE4294967295ELNS1_3gpuE0ELNS1_3repE0EEENS1_30default_config_static_selectorELNS0_4arch9wavefront6targetE0EEEvT1_.private_seg_size, 0
	.set _ZN7rocprim17ROCPRIM_400000_NS6detail17trampoline_kernelINS0_14default_configENS1_27scan_by_key_config_selectorIssEEZZNS1_16scan_by_key_implILNS1_25lookback_scan_determinismE0ELb1ES3_N6thrust23THRUST_200600_302600_NS6detail15normal_iteratorINS9_10device_ptrIsEEEESE_SE_sNS9_4plusIvEENS9_8equal_toIsEEsEE10hipError_tPvRmT2_T3_T4_T5_mT6_T7_P12ihipStream_tbENKUlT_T0_E_clISt17integral_constantIbLb0EESY_IbLb1EEEEDaSU_SV_EUlSU_E_NS1_11comp_targetILNS1_3genE0ELNS1_11target_archE4294967295ELNS1_3gpuE0ELNS1_3repE0EEENS1_30default_config_static_selectorELNS0_4arch9wavefront6targetE0EEEvT1_.uses_vcc, 0
	.set _ZN7rocprim17ROCPRIM_400000_NS6detail17trampoline_kernelINS0_14default_configENS1_27scan_by_key_config_selectorIssEEZZNS1_16scan_by_key_implILNS1_25lookback_scan_determinismE0ELb1ES3_N6thrust23THRUST_200600_302600_NS6detail15normal_iteratorINS9_10device_ptrIsEEEESE_SE_sNS9_4plusIvEENS9_8equal_toIsEEsEE10hipError_tPvRmT2_T3_T4_T5_mT6_T7_P12ihipStream_tbENKUlT_T0_E_clISt17integral_constantIbLb0EESY_IbLb1EEEEDaSU_SV_EUlSU_E_NS1_11comp_targetILNS1_3genE0ELNS1_11target_archE4294967295ELNS1_3gpuE0ELNS1_3repE0EEENS1_30default_config_static_selectorELNS0_4arch9wavefront6targetE0EEEvT1_.uses_flat_scratch, 0
	.set _ZN7rocprim17ROCPRIM_400000_NS6detail17trampoline_kernelINS0_14default_configENS1_27scan_by_key_config_selectorIssEEZZNS1_16scan_by_key_implILNS1_25lookback_scan_determinismE0ELb1ES3_N6thrust23THRUST_200600_302600_NS6detail15normal_iteratorINS9_10device_ptrIsEEEESE_SE_sNS9_4plusIvEENS9_8equal_toIsEEsEE10hipError_tPvRmT2_T3_T4_T5_mT6_T7_P12ihipStream_tbENKUlT_T0_E_clISt17integral_constantIbLb0EESY_IbLb1EEEEDaSU_SV_EUlSU_E_NS1_11comp_targetILNS1_3genE0ELNS1_11target_archE4294967295ELNS1_3gpuE0ELNS1_3repE0EEENS1_30default_config_static_selectorELNS0_4arch9wavefront6targetE0EEEvT1_.has_dyn_sized_stack, 0
	.set _ZN7rocprim17ROCPRIM_400000_NS6detail17trampoline_kernelINS0_14default_configENS1_27scan_by_key_config_selectorIssEEZZNS1_16scan_by_key_implILNS1_25lookback_scan_determinismE0ELb1ES3_N6thrust23THRUST_200600_302600_NS6detail15normal_iteratorINS9_10device_ptrIsEEEESE_SE_sNS9_4plusIvEENS9_8equal_toIsEEsEE10hipError_tPvRmT2_T3_T4_T5_mT6_T7_P12ihipStream_tbENKUlT_T0_E_clISt17integral_constantIbLb0EESY_IbLb1EEEEDaSU_SV_EUlSU_E_NS1_11comp_targetILNS1_3genE0ELNS1_11target_archE4294967295ELNS1_3gpuE0ELNS1_3repE0EEENS1_30default_config_static_selectorELNS0_4arch9wavefront6targetE0EEEvT1_.has_recursion, 0
	.set _ZN7rocprim17ROCPRIM_400000_NS6detail17trampoline_kernelINS0_14default_configENS1_27scan_by_key_config_selectorIssEEZZNS1_16scan_by_key_implILNS1_25lookback_scan_determinismE0ELb1ES3_N6thrust23THRUST_200600_302600_NS6detail15normal_iteratorINS9_10device_ptrIsEEEESE_SE_sNS9_4plusIvEENS9_8equal_toIsEEsEE10hipError_tPvRmT2_T3_T4_T5_mT6_T7_P12ihipStream_tbENKUlT_T0_E_clISt17integral_constantIbLb0EESY_IbLb1EEEEDaSU_SV_EUlSU_E_NS1_11comp_targetILNS1_3genE0ELNS1_11target_archE4294967295ELNS1_3gpuE0ELNS1_3repE0EEENS1_30default_config_static_selectorELNS0_4arch9wavefront6targetE0EEEvT1_.has_indirect_call, 0
	.section	.AMDGPU.csdata,"",@progbits
; Kernel info:
; codeLenInByte = 0
; TotalNumSgprs: 0
; NumVgprs: 0
; ScratchSize: 0
; MemoryBound: 0
; FloatMode: 240
; IeeeMode: 1
; LDSByteSize: 0 bytes/workgroup (compile time only)
; SGPRBlocks: 0
; VGPRBlocks: 0
; NumSGPRsForWavesPerEU: 1
; NumVGPRsForWavesPerEU: 1
; Occupancy: 16
; WaveLimiterHint : 0
; COMPUTE_PGM_RSRC2:SCRATCH_EN: 0
; COMPUTE_PGM_RSRC2:USER_SGPR: 6
; COMPUTE_PGM_RSRC2:TRAP_HANDLER: 0
; COMPUTE_PGM_RSRC2:TGID_X_EN: 1
; COMPUTE_PGM_RSRC2:TGID_Y_EN: 0
; COMPUTE_PGM_RSRC2:TGID_Z_EN: 0
; COMPUTE_PGM_RSRC2:TIDIG_COMP_CNT: 0
	.section	.text._ZN7rocprim17ROCPRIM_400000_NS6detail17trampoline_kernelINS0_14default_configENS1_27scan_by_key_config_selectorIssEEZZNS1_16scan_by_key_implILNS1_25lookback_scan_determinismE0ELb1ES3_N6thrust23THRUST_200600_302600_NS6detail15normal_iteratorINS9_10device_ptrIsEEEESE_SE_sNS9_4plusIvEENS9_8equal_toIsEEsEE10hipError_tPvRmT2_T3_T4_T5_mT6_T7_P12ihipStream_tbENKUlT_T0_E_clISt17integral_constantIbLb0EESY_IbLb1EEEEDaSU_SV_EUlSU_E_NS1_11comp_targetILNS1_3genE10ELNS1_11target_archE1201ELNS1_3gpuE5ELNS1_3repE0EEENS1_30default_config_static_selectorELNS0_4arch9wavefront6targetE0EEEvT1_,"axG",@progbits,_ZN7rocprim17ROCPRIM_400000_NS6detail17trampoline_kernelINS0_14default_configENS1_27scan_by_key_config_selectorIssEEZZNS1_16scan_by_key_implILNS1_25lookback_scan_determinismE0ELb1ES3_N6thrust23THRUST_200600_302600_NS6detail15normal_iteratorINS9_10device_ptrIsEEEESE_SE_sNS9_4plusIvEENS9_8equal_toIsEEsEE10hipError_tPvRmT2_T3_T4_T5_mT6_T7_P12ihipStream_tbENKUlT_T0_E_clISt17integral_constantIbLb0EESY_IbLb1EEEEDaSU_SV_EUlSU_E_NS1_11comp_targetILNS1_3genE10ELNS1_11target_archE1201ELNS1_3gpuE5ELNS1_3repE0EEENS1_30default_config_static_selectorELNS0_4arch9wavefront6targetE0EEEvT1_,comdat
	.protected	_ZN7rocprim17ROCPRIM_400000_NS6detail17trampoline_kernelINS0_14default_configENS1_27scan_by_key_config_selectorIssEEZZNS1_16scan_by_key_implILNS1_25lookback_scan_determinismE0ELb1ES3_N6thrust23THRUST_200600_302600_NS6detail15normal_iteratorINS9_10device_ptrIsEEEESE_SE_sNS9_4plusIvEENS9_8equal_toIsEEsEE10hipError_tPvRmT2_T3_T4_T5_mT6_T7_P12ihipStream_tbENKUlT_T0_E_clISt17integral_constantIbLb0EESY_IbLb1EEEEDaSU_SV_EUlSU_E_NS1_11comp_targetILNS1_3genE10ELNS1_11target_archE1201ELNS1_3gpuE5ELNS1_3repE0EEENS1_30default_config_static_selectorELNS0_4arch9wavefront6targetE0EEEvT1_ ; -- Begin function _ZN7rocprim17ROCPRIM_400000_NS6detail17trampoline_kernelINS0_14default_configENS1_27scan_by_key_config_selectorIssEEZZNS1_16scan_by_key_implILNS1_25lookback_scan_determinismE0ELb1ES3_N6thrust23THRUST_200600_302600_NS6detail15normal_iteratorINS9_10device_ptrIsEEEESE_SE_sNS9_4plusIvEENS9_8equal_toIsEEsEE10hipError_tPvRmT2_T3_T4_T5_mT6_T7_P12ihipStream_tbENKUlT_T0_E_clISt17integral_constantIbLb0EESY_IbLb1EEEEDaSU_SV_EUlSU_E_NS1_11comp_targetILNS1_3genE10ELNS1_11target_archE1201ELNS1_3gpuE5ELNS1_3repE0EEENS1_30default_config_static_selectorELNS0_4arch9wavefront6targetE0EEEvT1_
	.globl	_ZN7rocprim17ROCPRIM_400000_NS6detail17trampoline_kernelINS0_14default_configENS1_27scan_by_key_config_selectorIssEEZZNS1_16scan_by_key_implILNS1_25lookback_scan_determinismE0ELb1ES3_N6thrust23THRUST_200600_302600_NS6detail15normal_iteratorINS9_10device_ptrIsEEEESE_SE_sNS9_4plusIvEENS9_8equal_toIsEEsEE10hipError_tPvRmT2_T3_T4_T5_mT6_T7_P12ihipStream_tbENKUlT_T0_E_clISt17integral_constantIbLb0EESY_IbLb1EEEEDaSU_SV_EUlSU_E_NS1_11comp_targetILNS1_3genE10ELNS1_11target_archE1201ELNS1_3gpuE5ELNS1_3repE0EEENS1_30default_config_static_selectorELNS0_4arch9wavefront6targetE0EEEvT1_
	.p2align	8
	.type	_ZN7rocprim17ROCPRIM_400000_NS6detail17trampoline_kernelINS0_14default_configENS1_27scan_by_key_config_selectorIssEEZZNS1_16scan_by_key_implILNS1_25lookback_scan_determinismE0ELb1ES3_N6thrust23THRUST_200600_302600_NS6detail15normal_iteratorINS9_10device_ptrIsEEEESE_SE_sNS9_4plusIvEENS9_8equal_toIsEEsEE10hipError_tPvRmT2_T3_T4_T5_mT6_T7_P12ihipStream_tbENKUlT_T0_E_clISt17integral_constantIbLb0EESY_IbLb1EEEEDaSU_SV_EUlSU_E_NS1_11comp_targetILNS1_3genE10ELNS1_11target_archE1201ELNS1_3gpuE5ELNS1_3repE0EEENS1_30default_config_static_selectorELNS0_4arch9wavefront6targetE0EEEvT1_,@function
_ZN7rocprim17ROCPRIM_400000_NS6detail17trampoline_kernelINS0_14default_configENS1_27scan_by_key_config_selectorIssEEZZNS1_16scan_by_key_implILNS1_25lookback_scan_determinismE0ELb1ES3_N6thrust23THRUST_200600_302600_NS6detail15normal_iteratorINS9_10device_ptrIsEEEESE_SE_sNS9_4plusIvEENS9_8equal_toIsEEsEE10hipError_tPvRmT2_T3_T4_T5_mT6_T7_P12ihipStream_tbENKUlT_T0_E_clISt17integral_constantIbLb0EESY_IbLb1EEEEDaSU_SV_EUlSU_E_NS1_11comp_targetILNS1_3genE10ELNS1_11target_archE1201ELNS1_3gpuE5ELNS1_3repE0EEENS1_30default_config_static_selectorELNS0_4arch9wavefront6targetE0EEEvT1_: ; @_ZN7rocprim17ROCPRIM_400000_NS6detail17trampoline_kernelINS0_14default_configENS1_27scan_by_key_config_selectorIssEEZZNS1_16scan_by_key_implILNS1_25lookback_scan_determinismE0ELb1ES3_N6thrust23THRUST_200600_302600_NS6detail15normal_iteratorINS9_10device_ptrIsEEEESE_SE_sNS9_4plusIvEENS9_8equal_toIsEEsEE10hipError_tPvRmT2_T3_T4_T5_mT6_T7_P12ihipStream_tbENKUlT_T0_E_clISt17integral_constantIbLb0EESY_IbLb1EEEEDaSU_SV_EUlSU_E_NS1_11comp_targetILNS1_3genE10ELNS1_11target_archE1201ELNS1_3gpuE5ELNS1_3repE0EEENS1_30default_config_static_selectorELNS0_4arch9wavefront6targetE0EEEvT1_
; %bb.0:
	.section	.rodata,"a",@progbits
	.p2align	6, 0x0
	.amdhsa_kernel _ZN7rocprim17ROCPRIM_400000_NS6detail17trampoline_kernelINS0_14default_configENS1_27scan_by_key_config_selectorIssEEZZNS1_16scan_by_key_implILNS1_25lookback_scan_determinismE0ELb1ES3_N6thrust23THRUST_200600_302600_NS6detail15normal_iteratorINS9_10device_ptrIsEEEESE_SE_sNS9_4plusIvEENS9_8equal_toIsEEsEE10hipError_tPvRmT2_T3_T4_T5_mT6_T7_P12ihipStream_tbENKUlT_T0_E_clISt17integral_constantIbLb0EESY_IbLb1EEEEDaSU_SV_EUlSU_E_NS1_11comp_targetILNS1_3genE10ELNS1_11target_archE1201ELNS1_3gpuE5ELNS1_3repE0EEENS1_30default_config_static_selectorELNS0_4arch9wavefront6targetE0EEEvT1_
		.amdhsa_group_segment_fixed_size 0
		.amdhsa_private_segment_fixed_size 0
		.amdhsa_kernarg_size 112
		.amdhsa_user_sgpr_count 6
		.amdhsa_user_sgpr_private_segment_buffer 1
		.amdhsa_user_sgpr_dispatch_ptr 0
		.amdhsa_user_sgpr_queue_ptr 0
		.amdhsa_user_sgpr_kernarg_segment_ptr 1
		.amdhsa_user_sgpr_dispatch_id 0
		.amdhsa_user_sgpr_flat_scratch_init 0
		.amdhsa_user_sgpr_private_segment_size 0
		.amdhsa_wavefront_size32 1
		.amdhsa_uses_dynamic_stack 0
		.amdhsa_system_sgpr_private_segment_wavefront_offset 0
		.amdhsa_system_sgpr_workgroup_id_x 1
		.amdhsa_system_sgpr_workgroup_id_y 0
		.amdhsa_system_sgpr_workgroup_id_z 0
		.amdhsa_system_sgpr_workgroup_info 0
		.amdhsa_system_vgpr_workitem_id 0
		.amdhsa_next_free_vgpr 1
		.amdhsa_next_free_sgpr 1
		.amdhsa_reserve_vcc 0
		.amdhsa_reserve_flat_scratch 0
		.amdhsa_float_round_mode_32 0
		.amdhsa_float_round_mode_16_64 0
		.amdhsa_float_denorm_mode_32 3
		.amdhsa_float_denorm_mode_16_64 3
		.amdhsa_dx10_clamp 1
		.amdhsa_ieee_mode 1
		.amdhsa_fp16_overflow 0
		.amdhsa_workgroup_processor_mode 1
		.amdhsa_memory_ordered 1
		.amdhsa_forward_progress 1
		.amdhsa_shared_vgpr_count 0
		.amdhsa_exception_fp_ieee_invalid_op 0
		.amdhsa_exception_fp_denorm_src 0
		.amdhsa_exception_fp_ieee_div_zero 0
		.amdhsa_exception_fp_ieee_overflow 0
		.amdhsa_exception_fp_ieee_underflow 0
		.amdhsa_exception_fp_ieee_inexact 0
		.amdhsa_exception_int_div_zero 0
	.end_amdhsa_kernel
	.section	.text._ZN7rocprim17ROCPRIM_400000_NS6detail17trampoline_kernelINS0_14default_configENS1_27scan_by_key_config_selectorIssEEZZNS1_16scan_by_key_implILNS1_25lookback_scan_determinismE0ELb1ES3_N6thrust23THRUST_200600_302600_NS6detail15normal_iteratorINS9_10device_ptrIsEEEESE_SE_sNS9_4plusIvEENS9_8equal_toIsEEsEE10hipError_tPvRmT2_T3_T4_T5_mT6_T7_P12ihipStream_tbENKUlT_T0_E_clISt17integral_constantIbLb0EESY_IbLb1EEEEDaSU_SV_EUlSU_E_NS1_11comp_targetILNS1_3genE10ELNS1_11target_archE1201ELNS1_3gpuE5ELNS1_3repE0EEENS1_30default_config_static_selectorELNS0_4arch9wavefront6targetE0EEEvT1_,"axG",@progbits,_ZN7rocprim17ROCPRIM_400000_NS6detail17trampoline_kernelINS0_14default_configENS1_27scan_by_key_config_selectorIssEEZZNS1_16scan_by_key_implILNS1_25lookback_scan_determinismE0ELb1ES3_N6thrust23THRUST_200600_302600_NS6detail15normal_iteratorINS9_10device_ptrIsEEEESE_SE_sNS9_4plusIvEENS9_8equal_toIsEEsEE10hipError_tPvRmT2_T3_T4_T5_mT6_T7_P12ihipStream_tbENKUlT_T0_E_clISt17integral_constantIbLb0EESY_IbLb1EEEEDaSU_SV_EUlSU_E_NS1_11comp_targetILNS1_3genE10ELNS1_11target_archE1201ELNS1_3gpuE5ELNS1_3repE0EEENS1_30default_config_static_selectorELNS0_4arch9wavefront6targetE0EEEvT1_,comdat
.Lfunc_end669:
	.size	_ZN7rocprim17ROCPRIM_400000_NS6detail17trampoline_kernelINS0_14default_configENS1_27scan_by_key_config_selectorIssEEZZNS1_16scan_by_key_implILNS1_25lookback_scan_determinismE0ELb1ES3_N6thrust23THRUST_200600_302600_NS6detail15normal_iteratorINS9_10device_ptrIsEEEESE_SE_sNS9_4plusIvEENS9_8equal_toIsEEsEE10hipError_tPvRmT2_T3_T4_T5_mT6_T7_P12ihipStream_tbENKUlT_T0_E_clISt17integral_constantIbLb0EESY_IbLb1EEEEDaSU_SV_EUlSU_E_NS1_11comp_targetILNS1_3genE10ELNS1_11target_archE1201ELNS1_3gpuE5ELNS1_3repE0EEENS1_30default_config_static_selectorELNS0_4arch9wavefront6targetE0EEEvT1_, .Lfunc_end669-_ZN7rocprim17ROCPRIM_400000_NS6detail17trampoline_kernelINS0_14default_configENS1_27scan_by_key_config_selectorIssEEZZNS1_16scan_by_key_implILNS1_25lookback_scan_determinismE0ELb1ES3_N6thrust23THRUST_200600_302600_NS6detail15normal_iteratorINS9_10device_ptrIsEEEESE_SE_sNS9_4plusIvEENS9_8equal_toIsEEsEE10hipError_tPvRmT2_T3_T4_T5_mT6_T7_P12ihipStream_tbENKUlT_T0_E_clISt17integral_constantIbLb0EESY_IbLb1EEEEDaSU_SV_EUlSU_E_NS1_11comp_targetILNS1_3genE10ELNS1_11target_archE1201ELNS1_3gpuE5ELNS1_3repE0EEENS1_30default_config_static_selectorELNS0_4arch9wavefront6targetE0EEEvT1_
                                        ; -- End function
	.set _ZN7rocprim17ROCPRIM_400000_NS6detail17trampoline_kernelINS0_14default_configENS1_27scan_by_key_config_selectorIssEEZZNS1_16scan_by_key_implILNS1_25lookback_scan_determinismE0ELb1ES3_N6thrust23THRUST_200600_302600_NS6detail15normal_iteratorINS9_10device_ptrIsEEEESE_SE_sNS9_4plusIvEENS9_8equal_toIsEEsEE10hipError_tPvRmT2_T3_T4_T5_mT6_T7_P12ihipStream_tbENKUlT_T0_E_clISt17integral_constantIbLb0EESY_IbLb1EEEEDaSU_SV_EUlSU_E_NS1_11comp_targetILNS1_3genE10ELNS1_11target_archE1201ELNS1_3gpuE5ELNS1_3repE0EEENS1_30default_config_static_selectorELNS0_4arch9wavefront6targetE0EEEvT1_.num_vgpr, 0
	.set _ZN7rocprim17ROCPRIM_400000_NS6detail17trampoline_kernelINS0_14default_configENS1_27scan_by_key_config_selectorIssEEZZNS1_16scan_by_key_implILNS1_25lookback_scan_determinismE0ELb1ES3_N6thrust23THRUST_200600_302600_NS6detail15normal_iteratorINS9_10device_ptrIsEEEESE_SE_sNS9_4plusIvEENS9_8equal_toIsEEsEE10hipError_tPvRmT2_T3_T4_T5_mT6_T7_P12ihipStream_tbENKUlT_T0_E_clISt17integral_constantIbLb0EESY_IbLb1EEEEDaSU_SV_EUlSU_E_NS1_11comp_targetILNS1_3genE10ELNS1_11target_archE1201ELNS1_3gpuE5ELNS1_3repE0EEENS1_30default_config_static_selectorELNS0_4arch9wavefront6targetE0EEEvT1_.num_agpr, 0
	.set _ZN7rocprim17ROCPRIM_400000_NS6detail17trampoline_kernelINS0_14default_configENS1_27scan_by_key_config_selectorIssEEZZNS1_16scan_by_key_implILNS1_25lookback_scan_determinismE0ELb1ES3_N6thrust23THRUST_200600_302600_NS6detail15normal_iteratorINS9_10device_ptrIsEEEESE_SE_sNS9_4plusIvEENS9_8equal_toIsEEsEE10hipError_tPvRmT2_T3_T4_T5_mT6_T7_P12ihipStream_tbENKUlT_T0_E_clISt17integral_constantIbLb0EESY_IbLb1EEEEDaSU_SV_EUlSU_E_NS1_11comp_targetILNS1_3genE10ELNS1_11target_archE1201ELNS1_3gpuE5ELNS1_3repE0EEENS1_30default_config_static_selectorELNS0_4arch9wavefront6targetE0EEEvT1_.numbered_sgpr, 0
	.set _ZN7rocprim17ROCPRIM_400000_NS6detail17trampoline_kernelINS0_14default_configENS1_27scan_by_key_config_selectorIssEEZZNS1_16scan_by_key_implILNS1_25lookback_scan_determinismE0ELb1ES3_N6thrust23THRUST_200600_302600_NS6detail15normal_iteratorINS9_10device_ptrIsEEEESE_SE_sNS9_4plusIvEENS9_8equal_toIsEEsEE10hipError_tPvRmT2_T3_T4_T5_mT6_T7_P12ihipStream_tbENKUlT_T0_E_clISt17integral_constantIbLb0EESY_IbLb1EEEEDaSU_SV_EUlSU_E_NS1_11comp_targetILNS1_3genE10ELNS1_11target_archE1201ELNS1_3gpuE5ELNS1_3repE0EEENS1_30default_config_static_selectorELNS0_4arch9wavefront6targetE0EEEvT1_.num_named_barrier, 0
	.set _ZN7rocprim17ROCPRIM_400000_NS6detail17trampoline_kernelINS0_14default_configENS1_27scan_by_key_config_selectorIssEEZZNS1_16scan_by_key_implILNS1_25lookback_scan_determinismE0ELb1ES3_N6thrust23THRUST_200600_302600_NS6detail15normal_iteratorINS9_10device_ptrIsEEEESE_SE_sNS9_4plusIvEENS9_8equal_toIsEEsEE10hipError_tPvRmT2_T3_T4_T5_mT6_T7_P12ihipStream_tbENKUlT_T0_E_clISt17integral_constantIbLb0EESY_IbLb1EEEEDaSU_SV_EUlSU_E_NS1_11comp_targetILNS1_3genE10ELNS1_11target_archE1201ELNS1_3gpuE5ELNS1_3repE0EEENS1_30default_config_static_selectorELNS0_4arch9wavefront6targetE0EEEvT1_.private_seg_size, 0
	.set _ZN7rocprim17ROCPRIM_400000_NS6detail17trampoline_kernelINS0_14default_configENS1_27scan_by_key_config_selectorIssEEZZNS1_16scan_by_key_implILNS1_25lookback_scan_determinismE0ELb1ES3_N6thrust23THRUST_200600_302600_NS6detail15normal_iteratorINS9_10device_ptrIsEEEESE_SE_sNS9_4plusIvEENS9_8equal_toIsEEsEE10hipError_tPvRmT2_T3_T4_T5_mT6_T7_P12ihipStream_tbENKUlT_T0_E_clISt17integral_constantIbLb0EESY_IbLb1EEEEDaSU_SV_EUlSU_E_NS1_11comp_targetILNS1_3genE10ELNS1_11target_archE1201ELNS1_3gpuE5ELNS1_3repE0EEENS1_30default_config_static_selectorELNS0_4arch9wavefront6targetE0EEEvT1_.uses_vcc, 0
	.set _ZN7rocprim17ROCPRIM_400000_NS6detail17trampoline_kernelINS0_14default_configENS1_27scan_by_key_config_selectorIssEEZZNS1_16scan_by_key_implILNS1_25lookback_scan_determinismE0ELb1ES3_N6thrust23THRUST_200600_302600_NS6detail15normal_iteratorINS9_10device_ptrIsEEEESE_SE_sNS9_4plusIvEENS9_8equal_toIsEEsEE10hipError_tPvRmT2_T3_T4_T5_mT6_T7_P12ihipStream_tbENKUlT_T0_E_clISt17integral_constantIbLb0EESY_IbLb1EEEEDaSU_SV_EUlSU_E_NS1_11comp_targetILNS1_3genE10ELNS1_11target_archE1201ELNS1_3gpuE5ELNS1_3repE0EEENS1_30default_config_static_selectorELNS0_4arch9wavefront6targetE0EEEvT1_.uses_flat_scratch, 0
	.set _ZN7rocprim17ROCPRIM_400000_NS6detail17trampoline_kernelINS0_14default_configENS1_27scan_by_key_config_selectorIssEEZZNS1_16scan_by_key_implILNS1_25lookback_scan_determinismE0ELb1ES3_N6thrust23THRUST_200600_302600_NS6detail15normal_iteratorINS9_10device_ptrIsEEEESE_SE_sNS9_4plusIvEENS9_8equal_toIsEEsEE10hipError_tPvRmT2_T3_T4_T5_mT6_T7_P12ihipStream_tbENKUlT_T0_E_clISt17integral_constantIbLb0EESY_IbLb1EEEEDaSU_SV_EUlSU_E_NS1_11comp_targetILNS1_3genE10ELNS1_11target_archE1201ELNS1_3gpuE5ELNS1_3repE0EEENS1_30default_config_static_selectorELNS0_4arch9wavefront6targetE0EEEvT1_.has_dyn_sized_stack, 0
	.set _ZN7rocprim17ROCPRIM_400000_NS6detail17trampoline_kernelINS0_14default_configENS1_27scan_by_key_config_selectorIssEEZZNS1_16scan_by_key_implILNS1_25lookback_scan_determinismE0ELb1ES3_N6thrust23THRUST_200600_302600_NS6detail15normal_iteratorINS9_10device_ptrIsEEEESE_SE_sNS9_4plusIvEENS9_8equal_toIsEEsEE10hipError_tPvRmT2_T3_T4_T5_mT6_T7_P12ihipStream_tbENKUlT_T0_E_clISt17integral_constantIbLb0EESY_IbLb1EEEEDaSU_SV_EUlSU_E_NS1_11comp_targetILNS1_3genE10ELNS1_11target_archE1201ELNS1_3gpuE5ELNS1_3repE0EEENS1_30default_config_static_selectorELNS0_4arch9wavefront6targetE0EEEvT1_.has_recursion, 0
	.set _ZN7rocprim17ROCPRIM_400000_NS6detail17trampoline_kernelINS0_14default_configENS1_27scan_by_key_config_selectorIssEEZZNS1_16scan_by_key_implILNS1_25lookback_scan_determinismE0ELb1ES3_N6thrust23THRUST_200600_302600_NS6detail15normal_iteratorINS9_10device_ptrIsEEEESE_SE_sNS9_4plusIvEENS9_8equal_toIsEEsEE10hipError_tPvRmT2_T3_T4_T5_mT6_T7_P12ihipStream_tbENKUlT_T0_E_clISt17integral_constantIbLb0EESY_IbLb1EEEEDaSU_SV_EUlSU_E_NS1_11comp_targetILNS1_3genE10ELNS1_11target_archE1201ELNS1_3gpuE5ELNS1_3repE0EEENS1_30default_config_static_selectorELNS0_4arch9wavefront6targetE0EEEvT1_.has_indirect_call, 0
	.section	.AMDGPU.csdata,"",@progbits
; Kernel info:
; codeLenInByte = 0
; TotalNumSgprs: 0
; NumVgprs: 0
; ScratchSize: 0
; MemoryBound: 0
; FloatMode: 240
; IeeeMode: 1
; LDSByteSize: 0 bytes/workgroup (compile time only)
; SGPRBlocks: 0
; VGPRBlocks: 0
; NumSGPRsForWavesPerEU: 1
; NumVGPRsForWavesPerEU: 1
; Occupancy: 16
; WaveLimiterHint : 0
; COMPUTE_PGM_RSRC2:SCRATCH_EN: 0
; COMPUTE_PGM_RSRC2:USER_SGPR: 6
; COMPUTE_PGM_RSRC2:TRAP_HANDLER: 0
; COMPUTE_PGM_RSRC2:TGID_X_EN: 1
; COMPUTE_PGM_RSRC2:TGID_Y_EN: 0
; COMPUTE_PGM_RSRC2:TGID_Z_EN: 0
; COMPUTE_PGM_RSRC2:TIDIG_COMP_CNT: 0
	.section	.text._ZN7rocprim17ROCPRIM_400000_NS6detail17trampoline_kernelINS0_14default_configENS1_27scan_by_key_config_selectorIssEEZZNS1_16scan_by_key_implILNS1_25lookback_scan_determinismE0ELb1ES3_N6thrust23THRUST_200600_302600_NS6detail15normal_iteratorINS9_10device_ptrIsEEEESE_SE_sNS9_4plusIvEENS9_8equal_toIsEEsEE10hipError_tPvRmT2_T3_T4_T5_mT6_T7_P12ihipStream_tbENKUlT_T0_E_clISt17integral_constantIbLb0EESY_IbLb1EEEEDaSU_SV_EUlSU_E_NS1_11comp_targetILNS1_3genE5ELNS1_11target_archE942ELNS1_3gpuE9ELNS1_3repE0EEENS1_30default_config_static_selectorELNS0_4arch9wavefront6targetE0EEEvT1_,"axG",@progbits,_ZN7rocprim17ROCPRIM_400000_NS6detail17trampoline_kernelINS0_14default_configENS1_27scan_by_key_config_selectorIssEEZZNS1_16scan_by_key_implILNS1_25lookback_scan_determinismE0ELb1ES3_N6thrust23THRUST_200600_302600_NS6detail15normal_iteratorINS9_10device_ptrIsEEEESE_SE_sNS9_4plusIvEENS9_8equal_toIsEEsEE10hipError_tPvRmT2_T3_T4_T5_mT6_T7_P12ihipStream_tbENKUlT_T0_E_clISt17integral_constantIbLb0EESY_IbLb1EEEEDaSU_SV_EUlSU_E_NS1_11comp_targetILNS1_3genE5ELNS1_11target_archE942ELNS1_3gpuE9ELNS1_3repE0EEENS1_30default_config_static_selectorELNS0_4arch9wavefront6targetE0EEEvT1_,comdat
	.protected	_ZN7rocprim17ROCPRIM_400000_NS6detail17trampoline_kernelINS0_14default_configENS1_27scan_by_key_config_selectorIssEEZZNS1_16scan_by_key_implILNS1_25lookback_scan_determinismE0ELb1ES3_N6thrust23THRUST_200600_302600_NS6detail15normal_iteratorINS9_10device_ptrIsEEEESE_SE_sNS9_4plusIvEENS9_8equal_toIsEEsEE10hipError_tPvRmT2_T3_T4_T5_mT6_T7_P12ihipStream_tbENKUlT_T0_E_clISt17integral_constantIbLb0EESY_IbLb1EEEEDaSU_SV_EUlSU_E_NS1_11comp_targetILNS1_3genE5ELNS1_11target_archE942ELNS1_3gpuE9ELNS1_3repE0EEENS1_30default_config_static_selectorELNS0_4arch9wavefront6targetE0EEEvT1_ ; -- Begin function _ZN7rocprim17ROCPRIM_400000_NS6detail17trampoline_kernelINS0_14default_configENS1_27scan_by_key_config_selectorIssEEZZNS1_16scan_by_key_implILNS1_25lookback_scan_determinismE0ELb1ES3_N6thrust23THRUST_200600_302600_NS6detail15normal_iteratorINS9_10device_ptrIsEEEESE_SE_sNS9_4plusIvEENS9_8equal_toIsEEsEE10hipError_tPvRmT2_T3_T4_T5_mT6_T7_P12ihipStream_tbENKUlT_T0_E_clISt17integral_constantIbLb0EESY_IbLb1EEEEDaSU_SV_EUlSU_E_NS1_11comp_targetILNS1_3genE5ELNS1_11target_archE942ELNS1_3gpuE9ELNS1_3repE0EEENS1_30default_config_static_selectorELNS0_4arch9wavefront6targetE0EEEvT1_
	.globl	_ZN7rocprim17ROCPRIM_400000_NS6detail17trampoline_kernelINS0_14default_configENS1_27scan_by_key_config_selectorIssEEZZNS1_16scan_by_key_implILNS1_25lookback_scan_determinismE0ELb1ES3_N6thrust23THRUST_200600_302600_NS6detail15normal_iteratorINS9_10device_ptrIsEEEESE_SE_sNS9_4plusIvEENS9_8equal_toIsEEsEE10hipError_tPvRmT2_T3_T4_T5_mT6_T7_P12ihipStream_tbENKUlT_T0_E_clISt17integral_constantIbLb0EESY_IbLb1EEEEDaSU_SV_EUlSU_E_NS1_11comp_targetILNS1_3genE5ELNS1_11target_archE942ELNS1_3gpuE9ELNS1_3repE0EEENS1_30default_config_static_selectorELNS0_4arch9wavefront6targetE0EEEvT1_
	.p2align	8
	.type	_ZN7rocprim17ROCPRIM_400000_NS6detail17trampoline_kernelINS0_14default_configENS1_27scan_by_key_config_selectorIssEEZZNS1_16scan_by_key_implILNS1_25lookback_scan_determinismE0ELb1ES3_N6thrust23THRUST_200600_302600_NS6detail15normal_iteratorINS9_10device_ptrIsEEEESE_SE_sNS9_4plusIvEENS9_8equal_toIsEEsEE10hipError_tPvRmT2_T3_T4_T5_mT6_T7_P12ihipStream_tbENKUlT_T0_E_clISt17integral_constantIbLb0EESY_IbLb1EEEEDaSU_SV_EUlSU_E_NS1_11comp_targetILNS1_3genE5ELNS1_11target_archE942ELNS1_3gpuE9ELNS1_3repE0EEENS1_30default_config_static_selectorELNS0_4arch9wavefront6targetE0EEEvT1_,@function
_ZN7rocprim17ROCPRIM_400000_NS6detail17trampoline_kernelINS0_14default_configENS1_27scan_by_key_config_selectorIssEEZZNS1_16scan_by_key_implILNS1_25lookback_scan_determinismE0ELb1ES3_N6thrust23THRUST_200600_302600_NS6detail15normal_iteratorINS9_10device_ptrIsEEEESE_SE_sNS9_4plusIvEENS9_8equal_toIsEEsEE10hipError_tPvRmT2_T3_T4_T5_mT6_T7_P12ihipStream_tbENKUlT_T0_E_clISt17integral_constantIbLb0EESY_IbLb1EEEEDaSU_SV_EUlSU_E_NS1_11comp_targetILNS1_3genE5ELNS1_11target_archE942ELNS1_3gpuE9ELNS1_3repE0EEENS1_30default_config_static_selectorELNS0_4arch9wavefront6targetE0EEEvT1_: ; @_ZN7rocprim17ROCPRIM_400000_NS6detail17trampoline_kernelINS0_14default_configENS1_27scan_by_key_config_selectorIssEEZZNS1_16scan_by_key_implILNS1_25lookback_scan_determinismE0ELb1ES3_N6thrust23THRUST_200600_302600_NS6detail15normal_iteratorINS9_10device_ptrIsEEEESE_SE_sNS9_4plusIvEENS9_8equal_toIsEEsEE10hipError_tPvRmT2_T3_T4_T5_mT6_T7_P12ihipStream_tbENKUlT_T0_E_clISt17integral_constantIbLb0EESY_IbLb1EEEEDaSU_SV_EUlSU_E_NS1_11comp_targetILNS1_3genE5ELNS1_11target_archE942ELNS1_3gpuE9ELNS1_3repE0EEENS1_30default_config_static_selectorELNS0_4arch9wavefront6targetE0EEEvT1_
; %bb.0:
	.section	.rodata,"a",@progbits
	.p2align	6, 0x0
	.amdhsa_kernel _ZN7rocprim17ROCPRIM_400000_NS6detail17trampoline_kernelINS0_14default_configENS1_27scan_by_key_config_selectorIssEEZZNS1_16scan_by_key_implILNS1_25lookback_scan_determinismE0ELb1ES3_N6thrust23THRUST_200600_302600_NS6detail15normal_iteratorINS9_10device_ptrIsEEEESE_SE_sNS9_4plusIvEENS9_8equal_toIsEEsEE10hipError_tPvRmT2_T3_T4_T5_mT6_T7_P12ihipStream_tbENKUlT_T0_E_clISt17integral_constantIbLb0EESY_IbLb1EEEEDaSU_SV_EUlSU_E_NS1_11comp_targetILNS1_3genE5ELNS1_11target_archE942ELNS1_3gpuE9ELNS1_3repE0EEENS1_30default_config_static_selectorELNS0_4arch9wavefront6targetE0EEEvT1_
		.amdhsa_group_segment_fixed_size 0
		.amdhsa_private_segment_fixed_size 0
		.amdhsa_kernarg_size 112
		.amdhsa_user_sgpr_count 6
		.amdhsa_user_sgpr_private_segment_buffer 1
		.amdhsa_user_sgpr_dispatch_ptr 0
		.amdhsa_user_sgpr_queue_ptr 0
		.amdhsa_user_sgpr_kernarg_segment_ptr 1
		.amdhsa_user_sgpr_dispatch_id 0
		.amdhsa_user_sgpr_flat_scratch_init 0
		.amdhsa_user_sgpr_private_segment_size 0
		.amdhsa_wavefront_size32 1
		.amdhsa_uses_dynamic_stack 0
		.amdhsa_system_sgpr_private_segment_wavefront_offset 0
		.amdhsa_system_sgpr_workgroup_id_x 1
		.amdhsa_system_sgpr_workgroup_id_y 0
		.amdhsa_system_sgpr_workgroup_id_z 0
		.amdhsa_system_sgpr_workgroup_info 0
		.amdhsa_system_vgpr_workitem_id 0
		.amdhsa_next_free_vgpr 1
		.amdhsa_next_free_sgpr 1
		.amdhsa_reserve_vcc 0
		.amdhsa_reserve_flat_scratch 0
		.amdhsa_float_round_mode_32 0
		.amdhsa_float_round_mode_16_64 0
		.amdhsa_float_denorm_mode_32 3
		.amdhsa_float_denorm_mode_16_64 3
		.amdhsa_dx10_clamp 1
		.amdhsa_ieee_mode 1
		.amdhsa_fp16_overflow 0
		.amdhsa_workgroup_processor_mode 1
		.amdhsa_memory_ordered 1
		.amdhsa_forward_progress 1
		.amdhsa_shared_vgpr_count 0
		.amdhsa_exception_fp_ieee_invalid_op 0
		.amdhsa_exception_fp_denorm_src 0
		.amdhsa_exception_fp_ieee_div_zero 0
		.amdhsa_exception_fp_ieee_overflow 0
		.amdhsa_exception_fp_ieee_underflow 0
		.amdhsa_exception_fp_ieee_inexact 0
		.amdhsa_exception_int_div_zero 0
	.end_amdhsa_kernel
	.section	.text._ZN7rocprim17ROCPRIM_400000_NS6detail17trampoline_kernelINS0_14default_configENS1_27scan_by_key_config_selectorIssEEZZNS1_16scan_by_key_implILNS1_25lookback_scan_determinismE0ELb1ES3_N6thrust23THRUST_200600_302600_NS6detail15normal_iteratorINS9_10device_ptrIsEEEESE_SE_sNS9_4plusIvEENS9_8equal_toIsEEsEE10hipError_tPvRmT2_T3_T4_T5_mT6_T7_P12ihipStream_tbENKUlT_T0_E_clISt17integral_constantIbLb0EESY_IbLb1EEEEDaSU_SV_EUlSU_E_NS1_11comp_targetILNS1_3genE5ELNS1_11target_archE942ELNS1_3gpuE9ELNS1_3repE0EEENS1_30default_config_static_selectorELNS0_4arch9wavefront6targetE0EEEvT1_,"axG",@progbits,_ZN7rocprim17ROCPRIM_400000_NS6detail17trampoline_kernelINS0_14default_configENS1_27scan_by_key_config_selectorIssEEZZNS1_16scan_by_key_implILNS1_25lookback_scan_determinismE0ELb1ES3_N6thrust23THRUST_200600_302600_NS6detail15normal_iteratorINS9_10device_ptrIsEEEESE_SE_sNS9_4plusIvEENS9_8equal_toIsEEsEE10hipError_tPvRmT2_T3_T4_T5_mT6_T7_P12ihipStream_tbENKUlT_T0_E_clISt17integral_constantIbLb0EESY_IbLb1EEEEDaSU_SV_EUlSU_E_NS1_11comp_targetILNS1_3genE5ELNS1_11target_archE942ELNS1_3gpuE9ELNS1_3repE0EEENS1_30default_config_static_selectorELNS0_4arch9wavefront6targetE0EEEvT1_,comdat
.Lfunc_end670:
	.size	_ZN7rocprim17ROCPRIM_400000_NS6detail17trampoline_kernelINS0_14default_configENS1_27scan_by_key_config_selectorIssEEZZNS1_16scan_by_key_implILNS1_25lookback_scan_determinismE0ELb1ES3_N6thrust23THRUST_200600_302600_NS6detail15normal_iteratorINS9_10device_ptrIsEEEESE_SE_sNS9_4plusIvEENS9_8equal_toIsEEsEE10hipError_tPvRmT2_T3_T4_T5_mT6_T7_P12ihipStream_tbENKUlT_T0_E_clISt17integral_constantIbLb0EESY_IbLb1EEEEDaSU_SV_EUlSU_E_NS1_11comp_targetILNS1_3genE5ELNS1_11target_archE942ELNS1_3gpuE9ELNS1_3repE0EEENS1_30default_config_static_selectorELNS0_4arch9wavefront6targetE0EEEvT1_, .Lfunc_end670-_ZN7rocprim17ROCPRIM_400000_NS6detail17trampoline_kernelINS0_14default_configENS1_27scan_by_key_config_selectorIssEEZZNS1_16scan_by_key_implILNS1_25lookback_scan_determinismE0ELb1ES3_N6thrust23THRUST_200600_302600_NS6detail15normal_iteratorINS9_10device_ptrIsEEEESE_SE_sNS9_4plusIvEENS9_8equal_toIsEEsEE10hipError_tPvRmT2_T3_T4_T5_mT6_T7_P12ihipStream_tbENKUlT_T0_E_clISt17integral_constantIbLb0EESY_IbLb1EEEEDaSU_SV_EUlSU_E_NS1_11comp_targetILNS1_3genE5ELNS1_11target_archE942ELNS1_3gpuE9ELNS1_3repE0EEENS1_30default_config_static_selectorELNS0_4arch9wavefront6targetE0EEEvT1_
                                        ; -- End function
	.set _ZN7rocprim17ROCPRIM_400000_NS6detail17trampoline_kernelINS0_14default_configENS1_27scan_by_key_config_selectorIssEEZZNS1_16scan_by_key_implILNS1_25lookback_scan_determinismE0ELb1ES3_N6thrust23THRUST_200600_302600_NS6detail15normal_iteratorINS9_10device_ptrIsEEEESE_SE_sNS9_4plusIvEENS9_8equal_toIsEEsEE10hipError_tPvRmT2_T3_T4_T5_mT6_T7_P12ihipStream_tbENKUlT_T0_E_clISt17integral_constantIbLb0EESY_IbLb1EEEEDaSU_SV_EUlSU_E_NS1_11comp_targetILNS1_3genE5ELNS1_11target_archE942ELNS1_3gpuE9ELNS1_3repE0EEENS1_30default_config_static_selectorELNS0_4arch9wavefront6targetE0EEEvT1_.num_vgpr, 0
	.set _ZN7rocprim17ROCPRIM_400000_NS6detail17trampoline_kernelINS0_14default_configENS1_27scan_by_key_config_selectorIssEEZZNS1_16scan_by_key_implILNS1_25lookback_scan_determinismE0ELb1ES3_N6thrust23THRUST_200600_302600_NS6detail15normal_iteratorINS9_10device_ptrIsEEEESE_SE_sNS9_4plusIvEENS9_8equal_toIsEEsEE10hipError_tPvRmT2_T3_T4_T5_mT6_T7_P12ihipStream_tbENKUlT_T0_E_clISt17integral_constantIbLb0EESY_IbLb1EEEEDaSU_SV_EUlSU_E_NS1_11comp_targetILNS1_3genE5ELNS1_11target_archE942ELNS1_3gpuE9ELNS1_3repE0EEENS1_30default_config_static_selectorELNS0_4arch9wavefront6targetE0EEEvT1_.num_agpr, 0
	.set _ZN7rocprim17ROCPRIM_400000_NS6detail17trampoline_kernelINS0_14default_configENS1_27scan_by_key_config_selectorIssEEZZNS1_16scan_by_key_implILNS1_25lookback_scan_determinismE0ELb1ES3_N6thrust23THRUST_200600_302600_NS6detail15normal_iteratorINS9_10device_ptrIsEEEESE_SE_sNS9_4plusIvEENS9_8equal_toIsEEsEE10hipError_tPvRmT2_T3_T4_T5_mT6_T7_P12ihipStream_tbENKUlT_T0_E_clISt17integral_constantIbLb0EESY_IbLb1EEEEDaSU_SV_EUlSU_E_NS1_11comp_targetILNS1_3genE5ELNS1_11target_archE942ELNS1_3gpuE9ELNS1_3repE0EEENS1_30default_config_static_selectorELNS0_4arch9wavefront6targetE0EEEvT1_.numbered_sgpr, 0
	.set _ZN7rocprim17ROCPRIM_400000_NS6detail17trampoline_kernelINS0_14default_configENS1_27scan_by_key_config_selectorIssEEZZNS1_16scan_by_key_implILNS1_25lookback_scan_determinismE0ELb1ES3_N6thrust23THRUST_200600_302600_NS6detail15normal_iteratorINS9_10device_ptrIsEEEESE_SE_sNS9_4plusIvEENS9_8equal_toIsEEsEE10hipError_tPvRmT2_T3_T4_T5_mT6_T7_P12ihipStream_tbENKUlT_T0_E_clISt17integral_constantIbLb0EESY_IbLb1EEEEDaSU_SV_EUlSU_E_NS1_11comp_targetILNS1_3genE5ELNS1_11target_archE942ELNS1_3gpuE9ELNS1_3repE0EEENS1_30default_config_static_selectorELNS0_4arch9wavefront6targetE0EEEvT1_.num_named_barrier, 0
	.set _ZN7rocprim17ROCPRIM_400000_NS6detail17trampoline_kernelINS0_14default_configENS1_27scan_by_key_config_selectorIssEEZZNS1_16scan_by_key_implILNS1_25lookback_scan_determinismE0ELb1ES3_N6thrust23THRUST_200600_302600_NS6detail15normal_iteratorINS9_10device_ptrIsEEEESE_SE_sNS9_4plusIvEENS9_8equal_toIsEEsEE10hipError_tPvRmT2_T3_T4_T5_mT6_T7_P12ihipStream_tbENKUlT_T0_E_clISt17integral_constantIbLb0EESY_IbLb1EEEEDaSU_SV_EUlSU_E_NS1_11comp_targetILNS1_3genE5ELNS1_11target_archE942ELNS1_3gpuE9ELNS1_3repE0EEENS1_30default_config_static_selectorELNS0_4arch9wavefront6targetE0EEEvT1_.private_seg_size, 0
	.set _ZN7rocprim17ROCPRIM_400000_NS6detail17trampoline_kernelINS0_14default_configENS1_27scan_by_key_config_selectorIssEEZZNS1_16scan_by_key_implILNS1_25lookback_scan_determinismE0ELb1ES3_N6thrust23THRUST_200600_302600_NS6detail15normal_iteratorINS9_10device_ptrIsEEEESE_SE_sNS9_4plusIvEENS9_8equal_toIsEEsEE10hipError_tPvRmT2_T3_T4_T5_mT6_T7_P12ihipStream_tbENKUlT_T0_E_clISt17integral_constantIbLb0EESY_IbLb1EEEEDaSU_SV_EUlSU_E_NS1_11comp_targetILNS1_3genE5ELNS1_11target_archE942ELNS1_3gpuE9ELNS1_3repE0EEENS1_30default_config_static_selectorELNS0_4arch9wavefront6targetE0EEEvT1_.uses_vcc, 0
	.set _ZN7rocprim17ROCPRIM_400000_NS6detail17trampoline_kernelINS0_14default_configENS1_27scan_by_key_config_selectorIssEEZZNS1_16scan_by_key_implILNS1_25lookback_scan_determinismE0ELb1ES3_N6thrust23THRUST_200600_302600_NS6detail15normal_iteratorINS9_10device_ptrIsEEEESE_SE_sNS9_4plusIvEENS9_8equal_toIsEEsEE10hipError_tPvRmT2_T3_T4_T5_mT6_T7_P12ihipStream_tbENKUlT_T0_E_clISt17integral_constantIbLb0EESY_IbLb1EEEEDaSU_SV_EUlSU_E_NS1_11comp_targetILNS1_3genE5ELNS1_11target_archE942ELNS1_3gpuE9ELNS1_3repE0EEENS1_30default_config_static_selectorELNS0_4arch9wavefront6targetE0EEEvT1_.uses_flat_scratch, 0
	.set _ZN7rocprim17ROCPRIM_400000_NS6detail17trampoline_kernelINS0_14default_configENS1_27scan_by_key_config_selectorIssEEZZNS1_16scan_by_key_implILNS1_25lookback_scan_determinismE0ELb1ES3_N6thrust23THRUST_200600_302600_NS6detail15normal_iteratorINS9_10device_ptrIsEEEESE_SE_sNS9_4plusIvEENS9_8equal_toIsEEsEE10hipError_tPvRmT2_T3_T4_T5_mT6_T7_P12ihipStream_tbENKUlT_T0_E_clISt17integral_constantIbLb0EESY_IbLb1EEEEDaSU_SV_EUlSU_E_NS1_11comp_targetILNS1_3genE5ELNS1_11target_archE942ELNS1_3gpuE9ELNS1_3repE0EEENS1_30default_config_static_selectorELNS0_4arch9wavefront6targetE0EEEvT1_.has_dyn_sized_stack, 0
	.set _ZN7rocprim17ROCPRIM_400000_NS6detail17trampoline_kernelINS0_14default_configENS1_27scan_by_key_config_selectorIssEEZZNS1_16scan_by_key_implILNS1_25lookback_scan_determinismE0ELb1ES3_N6thrust23THRUST_200600_302600_NS6detail15normal_iteratorINS9_10device_ptrIsEEEESE_SE_sNS9_4plusIvEENS9_8equal_toIsEEsEE10hipError_tPvRmT2_T3_T4_T5_mT6_T7_P12ihipStream_tbENKUlT_T0_E_clISt17integral_constantIbLb0EESY_IbLb1EEEEDaSU_SV_EUlSU_E_NS1_11comp_targetILNS1_3genE5ELNS1_11target_archE942ELNS1_3gpuE9ELNS1_3repE0EEENS1_30default_config_static_selectorELNS0_4arch9wavefront6targetE0EEEvT1_.has_recursion, 0
	.set _ZN7rocprim17ROCPRIM_400000_NS6detail17trampoline_kernelINS0_14default_configENS1_27scan_by_key_config_selectorIssEEZZNS1_16scan_by_key_implILNS1_25lookback_scan_determinismE0ELb1ES3_N6thrust23THRUST_200600_302600_NS6detail15normal_iteratorINS9_10device_ptrIsEEEESE_SE_sNS9_4plusIvEENS9_8equal_toIsEEsEE10hipError_tPvRmT2_T3_T4_T5_mT6_T7_P12ihipStream_tbENKUlT_T0_E_clISt17integral_constantIbLb0EESY_IbLb1EEEEDaSU_SV_EUlSU_E_NS1_11comp_targetILNS1_3genE5ELNS1_11target_archE942ELNS1_3gpuE9ELNS1_3repE0EEENS1_30default_config_static_selectorELNS0_4arch9wavefront6targetE0EEEvT1_.has_indirect_call, 0
	.section	.AMDGPU.csdata,"",@progbits
; Kernel info:
; codeLenInByte = 0
; TotalNumSgprs: 0
; NumVgprs: 0
; ScratchSize: 0
; MemoryBound: 0
; FloatMode: 240
; IeeeMode: 1
; LDSByteSize: 0 bytes/workgroup (compile time only)
; SGPRBlocks: 0
; VGPRBlocks: 0
; NumSGPRsForWavesPerEU: 1
; NumVGPRsForWavesPerEU: 1
; Occupancy: 16
; WaveLimiterHint : 0
; COMPUTE_PGM_RSRC2:SCRATCH_EN: 0
; COMPUTE_PGM_RSRC2:USER_SGPR: 6
; COMPUTE_PGM_RSRC2:TRAP_HANDLER: 0
; COMPUTE_PGM_RSRC2:TGID_X_EN: 1
; COMPUTE_PGM_RSRC2:TGID_Y_EN: 0
; COMPUTE_PGM_RSRC2:TGID_Z_EN: 0
; COMPUTE_PGM_RSRC2:TIDIG_COMP_CNT: 0
	.section	.text._ZN7rocprim17ROCPRIM_400000_NS6detail17trampoline_kernelINS0_14default_configENS1_27scan_by_key_config_selectorIssEEZZNS1_16scan_by_key_implILNS1_25lookback_scan_determinismE0ELb1ES3_N6thrust23THRUST_200600_302600_NS6detail15normal_iteratorINS9_10device_ptrIsEEEESE_SE_sNS9_4plusIvEENS9_8equal_toIsEEsEE10hipError_tPvRmT2_T3_T4_T5_mT6_T7_P12ihipStream_tbENKUlT_T0_E_clISt17integral_constantIbLb0EESY_IbLb1EEEEDaSU_SV_EUlSU_E_NS1_11comp_targetILNS1_3genE4ELNS1_11target_archE910ELNS1_3gpuE8ELNS1_3repE0EEENS1_30default_config_static_selectorELNS0_4arch9wavefront6targetE0EEEvT1_,"axG",@progbits,_ZN7rocprim17ROCPRIM_400000_NS6detail17trampoline_kernelINS0_14default_configENS1_27scan_by_key_config_selectorIssEEZZNS1_16scan_by_key_implILNS1_25lookback_scan_determinismE0ELb1ES3_N6thrust23THRUST_200600_302600_NS6detail15normal_iteratorINS9_10device_ptrIsEEEESE_SE_sNS9_4plusIvEENS9_8equal_toIsEEsEE10hipError_tPvRmT2_T3_T4_T5_mT6_T7_P12ihipStream_tbENKUlT_T0_E_clISt17integral_constantIbLb0EESY_IbLb1EEEEDaSU_SV_EUlSU_E_NS1_11comp_targetILNS1_3genE4ELNS1_11target_archE910ELNS1_3gpuE8ELNS1_3repE0EEENS1_30default_config_static_selectorELNS0_4arch9wavefront6targetE0EEEvT1_,comdat
	.protected	_ZN7rocprim17ROCPRIM_400000_NS6detail17trampoline_kernelINS0_14default_configENS1_27scan_by_key_config_selectorIssEEZZNS1_16scan_by_key_implILNS1_25lookback_scan_determinismE0ELb1ES3_N6thrust23THRUST_200600_302600_NS6detail15normal_iteratorINS9_10device_ptrIsEEEESE_SE_sNS9_4plusIvEENS9_8equal_toIsEEsEE10hipError_tPvRmT2_T3_T4_T5_mT6_T7_P12ihipStream_tbENKUlT_T0_E_clISt17integral_constantIbLb0EESY_IbLb1EEEEDaSU_SV_EUlSU_E_NS1_11comp_targetILNS1_3genE4ELNS1_11target_archE910ELNS1_3gpuE8ELNS1_3repE0EEENS1_30default_config_static_selectorELNS0_4arch9wavefront6targetE0EEEvT1_ ; -- Begin function _ZN7rocprim17ROCPRIM_400000_NS6detail17trampoline_kernelINS0_14default_configENS1_27scan_by_key_config_selectorIssEEZZNS1_16scan_by_key_implILNS1_25lookback_scan_determinismE0ELb1ES3_N6thrust23THRUST_200600_302600_NS6detail15normal_iteratorINS9_10device_ptrIsEEEESE_SE_sNS9_4plusIvEENS9_8equal_toIsEEsEE10hipError_tPvRmT2_T3_T4_T5_mT6_T7_P12ihipStream_tbENKUlT_T0_E_clISt17integral_constantIbLb0EESY_IbLb1EEEEDaSU_SV_EUlSU_E_NS1_11comp_targetILNS1_3genE4ELNS1_11target_archE910ELNS1_3gpuE8ELNS1_3repE0EEENS1_30default_config_static_selectorELNS0_4arch9wavefront6targetE0EEEvT1_
	.globl	_ZN7rocprim17ROCPRIM_400000_NS6detail17trampoline_kernelINS0_14default_configENS1_27scan_by_key_config_selectorIssEEZZNS1_16scan_by_key_implILNS1_25lookback_scan_determinismE0ELb1ES3_N6thrust23THRUST_200600_302600_NS6detail15normal_iteratorINS9_10device_ptrIsEEEESE_SE_sNS9_4plusIvEENS9_8equal_toIsEEsEE10hipError_tPvRmT2_T3_T4_T5_mT6_T7_P12ihipStream_tbENKUlT_T0_E_clISt17integral_constantIbLb0EESY_IbLb1EEEEDaSU_SV_EUlSU_E_NS1_11comp_targetILNS1_3genE4ELNS1_11target_archE910ELNS1_3gpuE8ELNS1_3repE0EEENS1_30default_config_static_selectorELNS0_4arch9wavefront6targetE0EEEvT1_
	.p2align	8
	.type	_ZN7rocprim17ROCPRIM_400000_NS6detail17trampoline_kernelINS0_14default_configENS1_27scan_by_key_config_selectorIssEEZZNS1_16scan_by_key_implILNS1_25lookback_scan_determinismE0ELb1ES3_N6thrust23THRUST_200600_302600_NS6detail15normal_iteratorINS9_10device_ptrIsEEEESE_SE_sNS9_4plusIvEENS9_8equal_toIsEEsEE10hipError_tPvRmT2_T3_T4_T5_mT6_T7_P12ihipStream_tbENKUlT_T0_E_clISt17integral_constantIbLb0EESY_IbLb1EEEEDaSU_SV_EUlSU_E_NS1_11comp_targetILNS1_3genE4ELNS1_11target_archE910ELNS1_3gpuE8ELNS1_3repE0EEENS1_30default_config_static_selectorELNS0_4arch9wavefront6targetE0EEEvT1_,@function
_ZN7rocprim17ROCPRIM_400000_NS6detail17trampoline_kernelINS0_14default_configENS1_27scan_by_key_config_selectorIssEEZZNS1_16scan_by_key_implILNS1_25lookback_scan_determinismE0ELb1ES3_N6thrust23THRUST_200600_302600_NS6detail15normal_iteratorINS9_10device_ptrIsEEEESE_SE_sNS9_4plusIvEENS9_8equal_toIsEEsEE10hipError_tPvRmT2_T3_T4_T5_mT6_T7_P12ihipStream_tbENKUlT_T0_E_clISt17integral_constantIbLb0EESY_IbLb1EEEEDaSU_SV_EUlSU_E_NS1_11comp_targetILNS1_3genE4ELNS1_11target_archE910ELNS1_3gpuE8ELNS1_3repE0EEENS1_30default_config_static_selectorELNS0_4arch9wavefront6targetE0EEEvT1_: ; @_ZN7rocprim17ROCPRIM_400000_NS6detail17trampoline_kernelINS0_14default_configENS1_27scan_by_key_config_selectorIssEEZZNS1_16scan_by_key_implILNS1_25lookback_scan_determinismE0ELb1ES3_N6thrust23THRUST_200600_302600_NS6detail15normal_iteratorINS9_10device_ptrIsEEEESE_SE_sNS9_4plusIvEENS9_8equal_toIsEEsEE10hipError_tPvRmT2_T3_T4_T5_mT6_T7_P12ihipStream_tbENKUlT_T0_E_clISt17integral_constantIbLb0EESY_IbLb1EEEEDaSU_SV_EUlSU_E_NS1_11comp_targetILNS1_3genE4ELNS1_11target_archE910ELNS1_3gpuE8ELNS1_3repE0EEENS1_30default_config_static_selectorELNS0_4arch9wavefront6targetE0EEEvT1_
; %bb.0:
	.section	.rodata,"a",@progbits
	.p2align	6, 0x0
	.amdhsa_kernel _ZN7rocprim17ROCPRIM_400000_NS6detail17trampoline_kernelINS0_14default_configENS1_27scan_by_key_config_selectorIssEEZZNS1_16scan_by_key_implILNS1_25lookback_scan_determinismE0ELb1ES3_N6thrust23THRUST_200600_302600_NS6detail15normal_iteratorINS9_10device_ptrIsEEEESE_SE_sNS9_4plusIvEENS9_8equal_toIsEEsEE10hipError_tPvRmT2_T3_T4_T5_mT6_T7_P12ihipStream_tbENKUlT_T0_E_clISt17integral_constantIbLb0EESY_IbLb1EEEEDaSU_SV_EUlSU_E_NS1_11comp_targetILNS1_3genE4ELNS1_11target_archE910ELNS1_3gpuE8ELNS1_3repE0EEENS1_30default_config_static_selectorELNS0_4arch9wavefront6targetE0EEEvT1_
		.amdhsa_group_segment_fixed_size 0
		.amdhsa_private_segment_fixed_size 0
		.amdhsa_kernarg_size 112
		.amdhsa_user_sgpr_count 6
		.amdhsa_user_sgpr_private_segment_buffer 1
		.amdhsa_user_sgpr_dispatch_ptr 0
		.amdhsa_user_sgpr_queue_ptr 0
		.amdhsa_user_sgpr_kernarg_segment_ptr 1
		.amdhsa_user_sgpr_dispatch_id 0
		.amdhsa_user_sgpr_flat_scratch_init 0
		.amdhsa_user_sgpr_private_segment_size 0
		.amdhsa_wavefront_size32 1
		.amdhsa_uses_dynamic_stack 0
		.amdhsa_system_sgpr_private_segment_wavefront_offset 0
		.amdhsa_system_sgpr_workgroup_id_x 1
		.amdhsa_system_sgpr_workgroup_id_y 0
		.amdhsa_system_sgpr_workgroup_id_z 0
		.amdhsa_system_sgpr_workgroup_info 0
		.amdhsa_system_vgpr_workitem_id 0
		.amdhsa_next_free_vgpr 1
		.amdhsa_next_free_sgpr 1
		.amdhsa_reserve_vcc 0
		.amdhsa_reserve_flat_scratch 0
		.amdhsa_float_round_mode_32 0
		.amdhsa_float_round_mode_16_64 0
		.amdhsa_float_denorm_mode_32 3
		.amdhsa_float_denorm_mode_16_64 3
		.amdhsa_dx10_clamp 1
		.amdhsa_ieee_mode 1
		.amdhsa_fp16_overflow 0
		.amdhsa_workgroup_processor_mode 1
		.amdhsa_memory_ordered 1
		.amdhsa_forward_progress 1
		.amdhsa_shared_vgpr_count 0
		.amdhsa_exception_fp_ieee_invalid_op 0
		.amdhsa_exception_fp_denorm_src 0
		.amdhsa_exception_fp_ieee_div_zero 0
		.amdhsa_exception_fp_ieee_overflow 0
		.amdhsa_exception_fp_ieee_underflow 0
		.amdhsa_exception_fp_ieee_inexact 0
		.amdhsa_exception_int_div_zero 0
	.end_amdhsa_kernel
	.section	.text._ZN7rocprim17ROCPRIM_400000_NS6detail17trampoline_kernelINS0_14default_configENS1_27scan_by_key_config_selectorIssEEZZNS1_16scan_by_key_implILNS1_25lookback_scan_determinismE0ELb1ES3_N6thrust23THRUST_200600_302600_NS6detail15normal_iteratorINS9_10device_ptrIsEEEESE_SE_sNS9_4plusIvEENS9_8equal_toIsEEsEE10hipError_tPvRmT2_T3_T4_T5_mT6_T7_P12ihipStream_tbENKUlT_T0_E_clISt17integral_constantIbLb0EESY_IbLb1EEEEDaSU_SV_EUlSU_E_NS1_11comp_targetILNS1_3genE4ELNS1_11target_archE910ELNS1_3gpuE8ELNS1_3repE0EEENS1_30default_config_static_selectorELNS0_4arch9wavefront6targetE0EEEvT1_,"axG",@progbits,_ZN7rocprim17ROCPRIM_400000_NS6detail17trampoline_kernelINS0_14default_configENS1_27scan_by_key_config_selectorIssEEZZNS1_16scan_by_key_implILNS1_25lookback_scan_determinismE0ELb1ES3_N6thrust23THRUST_200600_302600_NS6detail15normal_iteratorINS9_10device_ptrIsEEEESE_SE_sNS9_4plusIvEENS9_8equal_toIsEEsEE10hipError_tPvRmT2_T3_T4_T5_mT6_T7_P12ihipStream_tbENKUlT_T0_E_clISt17integral_constantIbLb0EESY_IbLb1EEEEDaSU_SV_EUlSU_E_NS1_11comp_targetILNS1_3genE4ELNS1_11target_archE910ELNS1_3gpuE8ELNS1_3repE0EEENS1_30default_config_static_selectorELNS0_4arch9wavefront6targetE0EEEvT1_,comdat
.Lfunc_end671:
	.size	_ZN7rocprim17ROCPRIM_400000_NS6detail17trampoline_kernelINS0_14default_configENS1_27scan_by_key_config_selectorIssEEZZNS1_16scan_by_key_implILNS1_25lookback_scan_determinismE0ELb1ES3_N6thrust23THRUST_200600_302600_NS6detail15normal_iteratorINS9_10device_ptrIsEEEESE_SE_sNS9_4plusIvEENS9_8equal_toIsEEsEE10hipError_tPvRmT2_T3_T4_T5_mT6_T7_P12ihipStream_tbENKUlT_T0_E_clISt17integral_constantIbLb0EESY_IbLb1EEEEDaSU_SV_EUlSU_E_NS1_11comp_targetILNS1_3genE4ELNS1_11target_archE910ELNS1_3gpuE8ELNS1_3repE0EEENS1_30default_config_static_selectorELNS0_4arch9wavefront6targetE0EEEvT1_, .Lfunc_end671-_ZN7rocprim17ROCPRIM_400000_NS6detail17trampoline_kernelINS0_14default_configENS1_27scan_by_key_config_selectorIssEEZZNS1_16scan_by_key_implILNS1_25lookback_scan_determinismE0ELb1ES3_N6thrust23THRUST_200600_302600_NS6detail15normal_iteratorINS9_10device_ptrIsEEEESE_SE_sNS9_4plusIvEENS9_8equal_toIsEEsEE10hipError_tPvRmT2_T3_T4_T5_mT6_T7_P12ihipStream_tbENKUlT_T0_E_clISt17integral_constantIbLb0EESY_IbLb1EEEEDaSU_SV_EUlSU_E_NS1_11comp_targetILNS1_3genE4ELNS1_11target_archE910ELNS1_3gpuE8ELNS1_3repE0EEENS1_30default_config_static_selectorELNS0_4arch9wavefront6targetE0EEEvT1_
                                        ; -- End function
	.set _ZN7rocprim17ROCPRIM_400000_NS6detail17trampoline_kernelINS0_14default_configENS1_27scan_by_key_config_selectorIssEEZZNS1_16scan_by_key_implILNS1_25lookback_scan_determinismE0ELb1ES3_N6thrust23THRUST_200600_302600_NS6detail15normal_iteratorINS9_10device_ptrIsEEEESE_SE_sNS9_4plusIvEENS9_8equal_toIsEEsEE10hipError_tPvRmT2_T3_T4_T5_mT6_T7_P12ihipStream_tbENKUlT_T0_E_clISt17integral_constantIbLb0EESY_IbLb1EEEEDaSU_SV_EUlSU_E_NS1_11comp_targetILNS1_3genE4ELNS1_11target_archE910ELNS1_3gpuE8ELNS1_3repE0EEENS1_30default_config_static_selectorELNS0_4arch9wavefront6targetE0EEEvT1_.num_vgpr, 0
	.set _ZN7rocprim17ROCPRIM_400000_NS6detail17trampoline_kernelINS0_14default_configENS1_27scan_by_key_config_selectorIssEEZZNS1_16scan_by_key_implILNS1_25lookback_scan_determinismE0ELb1ES3_N6thrust23THRUST_200600_302600_NS6detail15normal_iteratorINS9_10device_ptrIsEEEESE_SE_sNS9_4plusIvEENS9_8equal_toIsEEsEE10hipError_tPvRmT2_T3_T4_T5_mT6_T7_P12ihipStream_tbENKUlT_T0_E_clISt17integral_constantIbLb0EESY_IbLb1EEEEDaSU_SV_EUlSU_E_NS1_11comp_targetILNS1_3genE4ELNS1_11target_archE910ELNS1_3gpuE8ELNS1_3repE0EEENS1_30default_config_static_selectorELNS0_4arch9wavefront6targetE0EEEvT1_.num_agpr, 0
	.set _ZN7rocprim17ROCPRIM_400000_NS6detail17trampoline_kernelINS0_14default_configENS1_27scan_by_key_config_selectorIssEEZZNS1_16scan_by_key_implILNS1_25lookback_scan_determinismE0ELb1ES3_N6thrust23THRUST_200600_302600_NS6detail15normal_iteratorINS9_10device_ptrIsEEEESE_SE_sNS9_4plusIvEENS9_8equal_toIsEEsEE10hipError_tPvRmT2_T3_T4_T5_mT6_T7_P12ihipStream_tbENKUlT_T0_E_clISt17integral_constantIbLb0EESY_IbLb1EEEEDaSU_SV_EUlSU_E_NS1_11comp_targetILNS1_3genE4ELNS1_11target_archE910ELNS1_3gpuE8ELNS1_3repE0EEENS1_30default_config_static_selectorELNS0_4arch9wavefront6targetE0EEEvT1_.numbered_sgpr, 0
	.set _ZN7rocprim17ROCPRIM_400000_NS6detail17trampoline_kernelINS0_14default_configENS1_27scan_by_key_config_selectorIssEEZZNS1_16scan_by_key_implILNS1_25lookback_scan_determinismE0ELb1ES3_N6thrust23THRUST_200600_302600_NS6detail15normal_iteratorINS9_10device_ptrIsEEEESE_SE_sNS9_4plusIvEENS9_8equal_toIsEEsEE10hipError_tPvRmT2_T3_T4_T5_mT6_T7_P12ihipStream_tbENKUlT_T0_E_clISt17integral_constantIbLb0EESY_IbLb1EEEEDaSU_SV_EUlSU_E_NS1_11comp_targetILNS1_3genE4ELNS1_11target_archE910ELNS1_3gpuE8ELNS1_3repE0EEENS1_30default_config_static_selectorELNS0_4arch9wavefront6targetE0EEEvT1_.num_named_barrier, 0
	.set _ZN7rocprim17ROCPRIM_400000_NS6detail17trampoline_kernelINS0_14default_configENS1_27scan_by_key_config_selectorIssEEZZNS1_16scan_by_key_implILNS1_25lookback_scan_determinismE0ELb1ES3_N6thrust23THRUST_200600_302600_NS6detail15normal_iteratorINS9_10device_ptrIsEEEESE_SE_sNS9_4plusIvEENS9_8equal_toIsEEsEE10hipError_tPvRmT2_T3_T4_T5_mT6_T7_P12ihipStream_tbENKUlT_T0_E_clISt17integral_constantIbLb0EESY_IbLb1EEEEDaSU_SV_EUlSU_E_NS1_11comp_targetILNS1_3genE4ELNS1_11target_archE910ELNS1_3gpuE8ELNS1_3repE0EEENS1_30default_config_static_selectorELNS0_4arch9wavefront6targetE0EEEvT1_.private_seg_size, 0
	.set _ZN7rocprim17ROCPRIM_400000_NS6detail17trampoline_kernelINS0_14default_configENS1_27scan_by_key_config_selectorIssEEZZNS1_16scan_by_key_implILNS1_25lookback_scan_determinismE0ELb1ES3_N6thrust23THRUST_200600_302600_NS6detail15normal_iteratorINS9_10device_ptrIsEEEESE_SE_sNS9_4plusIvEENS9_8equal_toIsEEsEE10hipError_tPvRmT2_T3_T4_T5_mT6_T7_P12ihipStream_tbENKUlT_T0_E_clISt17integral_constantIbLb0EESY_IbLb1EEEEDaSU_SV_EUlSU_E_NS1_11comp_targetILNS1_3genE4ELNS1_11target_archE910ELNS1_3gpuE8ELNS1_3repE0EEENS1_30default_config_static_selectorELNS0_4arch9wavefront6targetE0EEEvT1_.uses_vcc, 0
	.set _ZN7rocprim17ROCPRIM_400000_NS6detail17trampoline_kernelINS0_14default_configENS1_27scan_by_key_config_selectorIssEEZZNS1_16scan_by_key_implILNS1_25lookback_scan_determinismE0ELb1ES3_N6thrust23THRUST_200600_302600_NS6detail15normal_iteratorINS9_10device_ptrIsEEEESE_SE_sNS9_4plusIvEENS9_8equal_toIsEEsEE10hipError_tPvRmT2_T3_T4_T5_mT6_T7_P12ihipStream_tbENKUlT_T0_E_clISt17integral_constantIbLb0EESY_IbLb1EEEEDaSU_SV_EUlSU_E_NS1_11comp_targetILNS1_3genE4ELNS1_11target_archE910ELNS1_3gpuE8ELNS1_3repE0EEENS1_30default_config_static_selectorELNS0_4arch9wavefront6targetE0EEEvT1_.uses_flat_scratch, 0
	.set _ZN7rocprim17ROCPRIM_400000_NS6detail17trampoline_kernelINS0_14default_configENS1_27scan_by_key_config_selectorIssEEZZNS1_16scan_by_key_implILNS1_25lookback_scan_determinismE0ELb1ES3_N6thrust23THRUST_200600_302600_NS6detail15normal_iteratorINS9_10device_ptrIsEEEESE_SE_sNS9_4plusIvEENS9_8equal_toIsEEsEE10hipError_tPvRmT2_T3_T4_T5_mT6_T7_P12ihipStream_tbENKUlT_T0_E_clISt17integral_constantIbLb0EESY_IbLb1EEEEDaSU_SV_EUlSU_E_NS1_11comp_targetILNS1_3genE4ELNS1_11target_archE910ELNS1_3gpuE8ELNS1_3repE0EEENS1_30default_config_static_selectorELNS0_4arch9wavefront6targetE0EEEvT1_.has_dyn_sized_stack, 0
	.set _ZN7rocprim17ROCPRIM_400000_NS6detail17trampoline_kernelINS0_14default_configENS1_27scan_by_key_config_selectorIssEEZZNS1_16scan_by_key_implILNS1_25lookback_scan_determinismE0ELb1ES3_N6thrust23THRUST_200600_302600_NS6detail15normal_iteratorINS9_10device_ptrIsEEEESE_SE_sNS9_4plusIvEENS9_8equal_toIsEEsEE10hipError_tPvRmT2_T3_T4_T5_mT6_T7_P12ihipStream_tbENKUlT_T0_E_clISt17integral_constantIbLb0EESY_IbLb1EEEEDaSU_SV_EUlSU_E_NS1_11comp_targetILNS1_3genE4ELNS1_11target_archE910ELNS1_3gpuE8ELNS1_3repE0EEENS1_30default_config_static_selectorELNS0_4arch9wavefront6targetE0EEEvT1_.has_recursion, 0
	.set _ZN7rocprim17ROCPRIM_400000_NS6detail17trampoline_kernelINS0_14default_configENS1_27scan_by_key_config_selectorIssEEZZNS1_16scan_by_key_implILNS1_25lookback_scan_determinismE0ELb1ES3_N6thrust23THRUST_200600_302600_NS6detail15normal_iteratorINS9_10device_ptrIsEEEESE_SE_sNS9_4plusIvEENS9_8equal_toIsEEsEE10hipError_tPvRmT2_T3_T4_T5_mT6_T7_P12ihipStream_tbENKUlT_T0_E_clISt17integral_constantIbLb0EESY_IbLb1EEEEDaSU_SV_EUlSU_E_NS1_11comp_targetILNS1_3genE4ELNS1_11target_archE910ELNS1_3gpuE8ELNS1_3repE0EEENS1_30default_config_static_selectorELNS0_4arch9wavefront6targetE0EEEvT1_.has_indirect_call, 0
	.section	.AMDGPU.csdata,"",@progbits
; Kernel info:
; codeLenInByte = 0
; TotalNumSgprs: 0
; NumVgprs: 0
; ScratchSize: 0
; MemoryBound: 0
; FloatMode: 240
; IeeeMode: 1
; LDSByteSize: 0 bytes/workgroup (compile time only)
; SGPRBlocks: 0
; VGPRBlocks: 0
; NumSGPRsForWavesPerEU: 1
; NumVGPRsForWavesPerEU: 1
; Occupancy: 16
; WaveLimiterHint : 0
; COMPUTE_PGM_RSRC2:SCRATCH_EN: 0
; COMPUTE_PGM_RSRC2:USER_SGPR: 6
; COMPUTE_PGM_RSRC2:TRAP_HANDLER: 0
; COMPUTE_PGM_RSRC2:TGID_X_EN: 1
; COMPUTE_PGM_RSRC2:TGID_Y_EN: 0
; COMPUTE_PGM_RSRC2:TGID_Z_EN: 0
; COMPUTE_PGM_RSRC2:TIDIG_COMP_CNT: 0
	.section	.text._ZN7rocprim17ROCPRIM_400000_NS6detail17trampoline_kernelINS0_14default_configENS1_27scan_by_key_config_selectorIssEEZZNS1_16scan_by_key_implILNS1_25lookback_scan_determinismE0ELb1ES3_N6thrust23THRUST_200600_302600_NS6detail15normal_iteratorINS9_10device_ptrIsEEEESE_SE_sNS9_4plusIvEENS9_8equal_toIsEEsEE10hipError_tPvRmT2_T3_T4_T5_mT6_T7_P12ihipStream_tbENKUlT_T0_E_clISt17integral_constantIbLb0EESY_IbLb1EEEEDaSU_SV_EUlSU_E_NS1_11comp_targetILNS1_3genE3ELNS1_11target_archE908ELNS1_3gpuE7ELNS1_3repE0EEENS1_30default_config_static_selectorELNS0_4arch9wavefront6targetE0EEEvT1_,"axG",@progbits,_ZN7rocprim17ROCPRIM_400000_NS6detail17trampoline_kernelINS0_14default_configENS1_27scan_by_key_config_selectorIssEEZZNS1_16scan_by_key_implILNS1_25lookback_scan_determinismE0ELb1ES3_N6thrust23THRUST_200600_302600_NS6detail15normal_iteratorINS9_10device_ptrIsEEEESE_SE_sNS9_4plusIvEENS9_8equal_toIsEEsEE10hipError_tPvRmT2_T3_T4_T5_mT6_T7_P12ihipStream_tbENKUlT_T0_E_clISt17integral_constantIbLb0EESY_IbLb1EEEEDaSU_SV_EUlSU_E_NS1_11comp_targetILNS1_3genE3ELNS1_11target_archE908ELNS1_3gpuE7ELNS1_3repE0EEENS1_30default_config_static_selectorELNS0_4arch9wavefront6targetE0EEEvT1_,comdat
	.protected	_ZN7rocprim17ROCPRIM_400000_NS6detail17trampoline_kernelINS0_14default_configENS1_27scan_by_key_config_selectorIssEEZZNS1_16scan_by_key_implILNS1_25lookback_scan_determinismE0ELb1ES3_N6thrust23THRUST_200600_302600_NS6detail15normal_iteratorINS9_10device_ptrIsEEEESE_SE_sNS9_4plusIvEENS9_8equal_toIsEEsEE10hipError_tPvRmT2_T3_T4_T5_mT6_T7_P12ihipStream_tbENKUlT_T0_E_clISt17integral_constantIbLb0EESY_IbLb1EEEEDaSU_SV_EUlSU_E_NS1_11comp_targetILNS1_3genE3ELNS1_11target_archE908ELNS1_3gpuE7ELNS1_3repE0EEENS1_30default_config_static_selectorELNS0_4arch9wavefront6targetE0EEEvT1_ ; -- Begin function _ZN7rocprim17ROCPRIM_400000_NS6detail17trampoline_kernelINS0_14default_configENS1_27scan_by_key_config_selectorIssEEZZNS1_16scan_by_key_implILNS1_25lookback_scan_determinismE0ELb1ES3_N6thrust23THRUST_200600_302600_NS6detail15normal_iteratorINS9_10device_ptrIsEEEESE_SE_sNS9_4plusIvEENS9_8equal_toIsEEsEE10hipError_tPvRmT2_T3_T4_T5_mT6_T7_P12ihipStream_tbENKUlT_T0_E_clISt17integral_constantIbLb0EESY_IbLb1EEEEDaSU_SV_EUlSU_E_NS1_11comp_targetILNS1_3genE3ELNS1_11target_archE908ELNS1_3gpuE7ELNS1_3repE0EEENS1_30default_config_static_selectorELNS0_4arch9wavefront6targetE0EEEvT1_
	.globl	_ZN7rocprim17ROCPRIM_400000_NS6detail17trampoline_kernelINS0_14default_configENS1_27scan_by_key_config_selectorIssEEZZNS1_16scan_by_key_implILNS1_25lookback_scan_determinismE0ELb1ES3_N6thrust23THRUST_200600_302600_NS6detail15normal_iteratorINS9_10device_ptrIsEEEESE_SE_sNS9_4plusIvEENS9_8equal_toIsEEsEE10hipError_tPvRmT2_T3_T4_T5_mT6_T7_P12ihipStream_tbENKUlT_T0_E_clISt17integral_constantIbLb0EESY_IbLb1EEEEDaSU_SV_EUlSU_E_NS1_11comp_targetILNS1_3genE3ELNS1_11target_archE908ELNS1_3gpuE7ELNS1_3repE0EEENS1_30default_config_static_selectorELNS0_4arch9wavefront6targetE0EEEvT1_
	.p2align	8
	.type	_ZN7rocprim17ROCPRIM_400000_NS6detail17trampoline_kernelINS0_14default_configENS1_27scan_by_key_config_selectorIssEEZZNS1_16scan_by_key_implILNS1_25lookback_scan_determinismE0ELb1ES3_N6thrust23THRUST_200600_302600_NS6detail15normal_iteratorINS9_10device_ptrIsEEEESE_SE_sNS9_4plusIvEENS9_8equal_toIsEEsEE10hipError_tPvRmT2_T3_T4_T5_mT6_T7_P12ihipStream_tbENKUlT_T0_E_clISt17integral_constantIbLb0EESY_IbLb1EEEEDaSU_SV_EUlSU_E_NS1_11comp_targetILNS1_3genE3ELNS1_11target_archE908ELNS1_3gpuE7ELNS1_3repE0EEENS1_30default_config_static_selectorELNS0_4arch9wavefront6targetE0EEEvT1_,@function
_ZN7rocprim17ROCPRIM_400000_NS6detail17trampoline_kernelINS0_14default_configENS1_27scan_by_key_config_selectorIssEEZZNS1_16scan_by_key_implILNS1_25lookback_scan_determinismE0ELb1ES3_N6thrust23THRUST_200600_302600_NS6detail15normal_iteratorINS9_10device_ptrIsEEEESE_SE_sNS9_4plusIvEENS9_8equal_toIsEEsEE10hipError_tPvRmT2_T3_T4_T5_mT6_T7_P12ihipStream_tbENKUlT_T0_E_clISt17integral_constantIbLb0EESY_IbLb1EEEEDaSU_SV_EUlSU_E_NS1_11comp_targetILNS1_3genE3ELNS1_11target_archE908ELNS1_3gpuE7ELNS1_3repE0EEENS1_30default_config_static_selectorELNS0_4arch9wavefront6targetE0EEEvT1_: ; @_ZN7rocprim17ROCPRIM_400000_NS6detail17trampoline_kernelINS0_14default_configENS1_27scan_by_key_config_selectorIssEEZZNS1_16scan_by_key_implILNS1_25lookback_scan_determinismE0ELb1ES3_N6thrust23THRUST_200600_302600_NS6detail15normal_iteratorINS9_10device_ptrIsEEEESE_SE_sNS9_4plusIvEENS9_8equal_toIsEEsEE10hipError_tPvRmT2_T3_T4_T5_mT6_T7_P12ihipStream_tbENKUlT_T0_E_clISt17integral_constantIbLb0EESY_IbLb1EEEEDaSU_SV_EUlSU_E_NS1_11comp_targetILNS1_3genE3ELNS1_11target_archE908ELNS1_3gpuE7ELNS1_3repE0EEENS1_30default_config_static_selectorELNS0_4arch9wavefront6targetE0EEEvT1_
; %bb.0:
	.section	.rodata,"a",@progbits
	.p2align	6, 0x0
	.amdhsa_kernel _ZN7rocprim17ROCPRIM_400000_NS6detail17trampoline_kernelINS0_14default_configENS1_27scan_by_key_config_selectorIssEEZZNS1_16scan_by_key_implILNS1_25lookback_scan_determinismE0ELb1ES3_N6thrust23THRUST_200600_302600_NS6detail15normal_iteratorINS9_10device_ptrIsEEEESE_SE_sNS9_4plusIvEENS9_8equal_toIsEEsEE10hipError_tPvRmT2_T3_T4_T5_mT6_T7_P12ihipStream_tbENKUlT_T0_E_clISt17integral_constantIbLb0EESY_IbLb1EEEEDaSU_SV_EUlSU_E_NS1_11comp_targetILNS1_3genE3ELNS1_11target_archE908ELNS1_3gpuE7ELNS1_3repE0EEENS1_30default_config_static_selectorELNS0_4arch9wavefront6targetE0EEEvT1_
		.amdhsa_group_segment_fixed_size 0
		.amdhsa_private_segment_fixed_size 0
		.amdhsa_kernarg_size 112
		.amdhsa_user_sgpr_count 6
		.amdhsa_user_sgpr_private_segment_buffer 1
		.amdhsa_user_sgpr_dispatch_ptr 0
		.amdhsa_user_sgpr_queue_ptr 0
		.amdhsa_user_sgpr_kernarg_segment_ptr 1
		.amdhsa_user_sgpr_dispatch_id 0
		.amdhsa_user_sgpr_flat_scratch_init 0
		.amdhsa_user_sgpr_private_segment_size 0
		.amdhsa_wavefront_size32 1
		.amdhsa_uses_dynamic_stack 0
		.amdhsa_system_sgpr_private_segment_wavefront_offset 0
		.amdhsa_system_sgpr_workgroup_id_x 1
		.amdhsa_system_sgpr_workgroup_id_y 0
		.amdhsa_system_sgpr_workgroup_id_z 0
		.amdhsa_system_sgpr_workgroup_info 0
		.amdhsa_system_vgpr_workitem_id 0
		.amdhsa_next_free_vgpr 1
		.amdhsa_next_free_sgpr 1
		.amdhsa_reserve_vcc 0
		.amdhsa_reserve_flat_scratch 0
		.amdhsa_float_round_mode_32 0
		.amdhsa_float_round_mode_16_64 0
		.amdhsa_float_denorm_mode_32 3
		.amdhsa_float_denorm_mode_16_64 3
		.amdhsa_dx10_clamp 1
		.amdhsa_ieee_mode 1
		.amdhsa_fp16_overflow 0
		.amdhsa_workgroup_processor_mode 1
		.amdhsa_memory_ordered 1
		.amdhsa_forward_progress 1
		.amdhsa_shared_vgpr_count 0
		.amdhsa_exception_fp_ieee_invalid_op 0
		.amdhsa_exception_fp_denorm_src 0
		.amdhsa_exception_fp_ieee_div_zero 0
		.amdhsa_exception_fp_ieee_overflow 0
		.amdhsa_exception_fp_ieee_underflow 0
		.amdhsa_exception_fp_ieee_inexact 0
		.amdhsa_exception_int_div_zero 0
	.end_amdhsa_kernel
	.section	.text._ZN7rocprim17ROCPRIM_400000_NS6detail17trampoline_kernelINS0_14default_configENS1_27scan_by_key_config_selectorIssEEZZNS1_16scan_by_key_implILNS1_25lookback_scan_determinismE0ELb1ES3_N6thrust23THRUST_200600_302600_NS6detail15normal_iteratorINS9_10device_ptrIsEEEESE_SE_sNS9_4plusIvEENS9_8equal_toIsEEsEE10hipError_tPvRmT2_T3_T4_T5_mT6_T7_P12ihipStream_tbENKUlT_T0_E_clISt17integral_constantIbLb0EESY_IbLb1EEEEDaSU_SV_EUlSU_E_NS1_11comp_targetILNS1_3genE3ELNS1_11target_archE908ELNS1_3gpuE7ELNS1_3repE0EEENS1_30default_config_static_selectorELNS0_4arch9wavefront6targetE0EEEvT1_,"axG",@progbits,_ZN7rocprim17ROCPRIM_400000_NS6detail17trampoline_kernelINS0_14default_configENS1_27scan_by_key_config_selectorIssEEZZNS1_16scan_by_key_implILNS1_25lookback_scan_determinismE0ELb1ES3_N6thrust23THRUST_200600_302600_NS6detail15normal_iteratorINS9_10device_ptrIsEEEESE_SE_sNS9_4plusIvEENS9_8equal_toIsEEsEE10hipError_tPvRmT2_T3_T4_T5_mT6_T7_P12ihipStream_tbENKUlT_T0_E_clISt17integral_constantIbLb0EESY_IbLb1EEEEDaSU_SV_EUlSU_E_NS1_11comp_targetILNS1_3genE3ELNS1_11target_archE908ELNS1_3gpuE7ELNS1_3repE0EEENS1_30default_config_static_selectorELNS0_4arch9wavefront6targetE0EEEvT1_,comdat
.Lfunc_end672:
	.size	_ZN7rocprim17ROCPRIM_400000_NS6detail17trampoline_kernelINS0_14default_configENS1_27scan_by_key_config_selectorIssEEZZNS1_16scan_by_key_implILNS1_25lookback_scan_determinismE0ELb1ES3_N6thrust23THRUST_200600_302600_NS6detail15normal_iteratorINS9_10device_ptrIsEEEESE_SE_sNS9_4plusIvEENS9_8equal_toIsEEsEE10hipError_tPvRmT2_T3_T4_T5_mT6_T7_P12ihipStream_tbENKUlT_T0_E_clISt17integral_constantIbLb0EESY_IbLb1EEEEDaSU_SV_EUlSU_E_NS1_11comp_targetILNS1_3genE3ELNS1_11target_archE908ELNS1_3gpuE7ELNS1_3repE0EEENS1_30default_config_static_selectorELNS0_4arch9wavefront6targetE0EEEvT1_, .Lfunc_end672-_ZN7rocprim17ROCPRIM_400000_NS6detail17trampoline_kernelINS0_14default_configENS1_27scan_by_key_config_selectorIssEEZZNS1_16scan_by_key_implILNS1_25lookback_scan_determinismE0ELb1ES3_N6thrust23THRUST_200600_302600_NS6detail15normal_iteratorINS9_10device_ptrIsEEEESE_SE_sNS9_4plusIvEENS9_8equal_toIsEEsEE10hipError_tPvRmT2_T3_T4_T5_mT6_T7_P12ihipStream_tbENKUlT_T0_E_clISt17integral_constantIbLb0EESY_IbLb1EEEEDaSU_SV_EUlSU_E_NS1_11comp_targetILNS1_3genE3ELNS1_11target_archE908ELNS1_3gpuE7ELNS1_3repE0EEENS1_30default_config_static_selectorELNS0_4arch9wavefront6targetE0EEEvT1_
                                        ; -- End function
	.set _ZN7rocprim17ROCPRIM_400000_NS6detail17trampoline_kernelINS0_14default_configENS1_27scan_by_key_config_selectorIssEEZZNS1_16scan_by_key_implILNS1_25lookback_scan_determinismE0ELb1ES3_N6thrust23THRUST_200600_302600_NS6detail15normal_iteratorINS9_10device_ptrIsEEEESE_SE_sNS9_4plusIvEENS9_8equal_toIsEEsEE10hipError_tPvRmT2_T3_T4_T5_mT6_T7_P12ihipStream_tbENKUlT_T0_E_clISt17integral_constantIbLb0EESY_IbLb1EEEEDaSU_SV_EUlSU_E_NS1_11comp_targetILNS1_3genE3ELNS1_11target_archE908ELNS1_3gpuE7ELNS1_3repE0EEENS1_30default_config_static_selectorELNS0_4arch9wavefront6targetE0EEEvT1_.num_vgpr, 0
	.set _ZN7rocprim17ROCPRIM_400000_NS6detail17trampoline_kernelINS0_14default_configENS1_27scan_by_key_config_selectorIssEEZZNS1_16scan_by_key_implILNS1_25lookback_scan_determinismE0ELb1ES3_N6thrust23THRUST_200600_302600_NS6detail15normal_iteratorINS9_10device_ptrIsEEEESE_SE_sNS9_4plusIvEENS9_8equal_toIsEEsEE10hipError_tPvRmT2_T3_T4_T5_mT6_T7_P12ihipStream_tbENKUlT_T0_E_clISt17integral_constantIbLb0EESY_IbLb1EEEEDaSU_SV_EUlSU_E_NS1_11comp_targetILNS1_3genE3ELNS1_11target_archE908ELNS1_3gpuE7ELNS1_3repE0EEENS1_30default_config_static_selectorELNS0_4arch9wavefront6targetE0EEEvT1_.num_agpr, 0
	.set _ZN7rocprim17ROCPRIM_400000_NS6detail17trampoline_kernelINS0_14default_configENS1_27scan_by_key_config_selectorIssEEZZNS1_16scan_by_key_implILNS1_25lookback_scan_determinismE0ELb1ES3_N6thrust23THRUST_200600_302600_NS6detail15normal_iteratorINS9_10device_ptrIsEEEESE_SE_sNS9_4plusIvEENS9_8equal_toIsEEsEE10hipError_tPvRmT2_T3_T4_T5_mT6_T7_P12ihipStream_tbENKUlT_T0_E_clISt17integral_constantIbLb0EESY_IbLb1EEEEDaSU_SV_EUlSU_E_NS1_11comp_targetILNS1_3genE3ELNS1_11target_archE908ELNS1_3gpuE7ELNS1_3repE0EEENS1_30default_config_static_selectorELNS0_4arch9wavefront6targetE0EEEvT1_.numbered_sgpr, 0
	.set _ZN7rocprim17ROCPRIM_400000_NS6detail17trampoline_kernelINS0_14default_configENS1_27scan_by_key_config_selectorIssEEZZNS1_16scan_by_key_implILNS1_25lookback_scan_determinismE0ELb1ES3_N6thrust23THRUST_200600_302600_NS6detail15normal_iteratorINS9_10device_ptrIsEEEESE_SE_sNS9_4plusIvEENS9_8equal_toIsEEsEE10hipError_tPvRmT2_T3_T4_T5_mT6_T7_P12ihipStream_tbENKUlT_T0_E_clISt17integral_constantIbLb0EESY_IbLb1EEEEDaSU_SV_EUlSU_E_NS1_11comp_targetILNS1_3genE3ELNS1_11target_archE908ELNS1_3gpuE7ELNS1_3repE0EEENS1_30default_config_static_selectorELNS0_4arch9wavefront6targetE0EEEvT1_.num_named_barrier, 0
	.set _ZN7rocprim17ROCPRIM_400000_NS6detail17trampoline_kernelINS0_14default_configENS1_27scan_by_key_config_selectorIssEEZZNS1_16scan_by_key_implILNS1_25lookback_scan_determinismE0ELb1ES3_N6thrust23THRUST_200600_302600_NS6detail15normal_iteratorINS9_10device_ptrIsEEEESE_SE_sNS9_4plusIvEENS9_8equal_toIsEEsEE10hipError_tPvRmT2_T3_T4_T5_mT6_T7_P12ihipStream_tbENKUlT_T0_E_clISt17integral_constantIbLb0EESY_IbLb1EEEEDaSU_SV_EUlSU_E_NS1_11comp_targetILNS1_3genE3ELNS1_11target_archE908ELNS1_3gpuE7ELNS1_3repE0EEENS1_30default_config_static_selectorELNS0_4arch9wavefront6targetE0EEEvT1_.private_seg_size, 0
	.set _ZN7rocprim17ROCPRIM_400000_NS6detail17trampoline_kernelINS0_14default_configENS1_27scan_by_key_config_selectorIssEEZZNS1_16scan_by_key_implILNS1_25lookback_scan_determinismE0ELb1ES3_N6thrust23THRUST_200600_302600_NS6detail15normal_iteratorINS9_10device_ptrIsEEEESE_SE_sNS9_4plusIvEENS9_8equal_toIsEEsEE10hipError_tPvRmT2_T3_T4_T5_mT6_T7_P12ihipStream_tbENKUlT_T0_E_clISt17integral_constantIbLb0EESY_IbLb1EEEEDaSU_SV_EUlSU_E_NS1_11comp_targetILNS1_3genE3ELNS1_11target_archE908ELNS1_3gpuE7ELNS1_3repE0EEENS1_30default_config_static_selectorELNS0_4arch9wavefront6targetE0EEEvT1_.uses_vcc, 0
	.set _ZN7rocprim17ROCPRIM_400000_NS6detail17trampoline_kernelINS0_14default_configENS1_27scan_by_key_config_selectorIssEEZZNS1_16scan_by_key_implILNS1_25lookback_scan_determinismE0ELb1ES3_N6thrust23THRUST_200600_302600_NS6detail15normal_iteratorINS9_10device_ptrIsEEEESE_SE_sNS9_4plusIvEENS9_8equal_toIsEEsEE10hipError_tPvRmT2_T3_T4_T5_mT6_T7_P12ihipStream_tbENKUlT_T0_E_clISt17integral_constantIbLb0EESY_IbLb1EEEEDaSU_SV_EUlSU_E_NS1_11comp_targetILNS1_3genE3ELNS1_11target_archE908ELNS1_3gpuE7ELNS1_3repE0EEENS1_30default_config_static_selectorELNS0_4arch9wavefront6targetE0EEEvT1_.uses_flat_scratch, 0
	.set _ZN7rocprim17ROCPRIM_400000_NS6detail17trampoline_kernelINS0_14default_configENS1_27scan_by_key_config_selectorIssEEZZNS1_16scan_by_key_implILNS1_25lookback_scan_determinismE0ELb1ES3_N6thrust23THRUST_200600_302600_NS6detail15normal_iteratorINS9_10device_ptrIsEEEESE_SE_sNS9_4plusIvEENS9_8equal_toIsEEsEE10hipError_tPvRmT2_T3_T4_T5_mT6_T7_P12ihipStream_tbENKUlT_T0_E_clISt17integral_constantIbLb0EESY_IbLb1EEEEDaSU_SV_EUlSU_E_NS1_11comp_targetILNS1_3genE3ELNS1_11target_archE908ELNS1_3gpuE7ELNS1_3repE0EEENS1_30default_config_static_selectorELNS0_4arch9wavefront6targetE0EEEvT1_.has_dyn_sized_stack, 0
	.set _ZN7rocprim17ROCPRIM_400000_NS6detail17trampoline_kernelINS0_14default_configENS1_27scan_by_key_config_selectorIssEEZZNS1_16scan_by_key_implILNS1_25lookback_scan_determinismE0ELb1ES3_N6thrust23THRUST_200600_302600_NS6detail15normal_iteratorINS9_10device_ptrIsEEEESE_SE_sNS9_4plusIvEENS9_8equal_toIsEEsEE10hipError_tPvRmT2_T3_T4_T5_mT6_T7_P12ihipStream_tbENKUlT_T0_E_clISt17integral_constantIbLb0EESY_IbLb1EEEEDaSU_SV_EUlSU_E_NS1_11comp_targetILNS1_3genE3ELNS1_11target_archE908ELNS1_3gpuE7ELNS1_3repE0EEENS1_30default_config_static_selectorELNS0_4arch9wavefront6targetE0EEEvT1_.has_recursion, 0
	.set _ZN7rocprim17ROCPRIM_400000_NS6detail17trampoline_kernelINS0_14default_configENS1_27scan_by_key_config_selectorIssEEZZNS1_16scan_by_key_implILNS1_25lookback_scan_determinismE0ELb1ES3_N6thrust23THRUST_200600_302600_NS6detail15normal_iteratorINS9_10device_ptrIsEEEESE_SE_sNS9_4plusIvEENS9_8equal_toIsEEsEE10hipError_tPvRmT2_T3_T4_T5_mT6_T7_P12ihipStream_tbENKUlT_T0_E_clISt17integral_constantIbLb0EESY_IbLb1EEEEDaSU_SV_EUlSU_E_NS1_11comp_targetILNS1_3genE3ELNS1_11target_archE908ELNS1_3gpuE7ELNS1_3repE0EEENS1_30default_config_static_selectorELNS0_4arch9wavefront6targetE0EEEvT1_.has_indirect_call, 0
	.section	.AMDGPU.csdata,"",@progbits
; Kernel info:
; codeLenInByte = 0
; TotalNumSgprs: 0
; NumVgprs: 0
; ScratchSize: 0
; MemoryBound: 0
; FloatMode: 240
; IeeeMode: 1
; LDSByteSize: 0 bytes/workgroup (compile time only)
; SGPRBlocks: 0
; VGPRBlocks: 0
; NumSGPRsForWavesPerEU: 1
; NumVGPRsForWavesPerEU: 1
; Occupancy: 16
; WaveLimiterHint : 0
; COMPUTE_PGM_RSRC2:SCRATCH_EN: 0
; COMPUTE_PGM_RSRC2:USER_SGPR: 6
; COMPUTE_PGM_RSRC2:TRAP_HANDLER: 0
; COMPUTE_PGM_RSRC2:TGID_X_EN: 1
; COMPUTE_PGM_RSRC2:TGID_Y_EN: 0
; COMPUTE_PGM_RSRC2:TGID_Z_EN: 0
; COMPUTE_PGM_RSRC2:TIDIG_COMP_CNT: 0
	.section	.text._ZN7rocprim17ROCPRIM_400000_NS6detail17trampoline_kernelINS0_14default_configENS1_27scan_by_key_config_selectorIssEEZZNS1_16scan_by_key_implILNS1_25lookback_scan_determinismE0ELb1ES3_N6thrust23THRUST_200600_302600_NS6detail15normal_iteratorINS9_10device_ptrIsEEEESE_SE_sNS9_4plusIvEENS9_8equal_toIsEEsEE10hipError_tPvRmT2_T3_T4_T5_mT6_T7_P12ihipStream_tbENKUlT_T0_E_clISt17integral_constantIbLb0EESY_IbLb1EEEEDaSU_SV_EUlSU_E_NS1_11comp_targetILNS1_3genE2ELNS1_11target_archE906ELNS1_3gpuE6ELNS1_3repE0EEENS1_30default_config_static_selectorELNS0_4arch9wavefront6targetE0EEEvT1_,"axG",@progbits,_ZN7rocprim17ROCPRIM_400000_NS6detail17trampoline_kernelINS0_14default_configENS1_27scan_by_key_config_selectorIssEEZZNS1_16scan_by_key_implILNS1_25lookback_scan_determinismE0ELb1ES3_N6thrust23THRUST_200600_302600_NS6detail15normal_iteratorINS9_10device_ptrIsEEEESE_SE_sNS9_4plusIvEENS9_8equal_toIsEEsEE10hipError_tPvRmT2_T3_T4_T5_mT6_T7_P12ihipStream_tbENKUlT_T0_E_clISt17integral_constantIbLb0EESY_IbLb1EEEEDaSU_SV_EUlSU_E_NS1_11comp_targetILNS1_3genE2ELNS1_11target_archE906ELNS1_3gpuE6ELNS1_3repE0EEENS1_30default_config_static_selectorELNS0_4arch9wavefront6targetE0EEEvT1_,comdat
	.protected	_ZN7rocprim17ROCPRIM_400000_NS6detail17trampoline_kernelINS0_14default_configENS1_27scan_by_key_config_selectorIssEEZZNS1_16scan_by_key_implILNS1_25lookback_scan_determinismE0ELb1ES3_N6thrust23THRUST_200600_302600_NS6detail15normal_iteratorINS9_10device_ptrIsEEEESE_SE_sNS9_4plusIvEENS9_8equal_toIsEEsEE10hipError_tPvRmT2_T3_T4_T5_mT6_T7_P12ihipStream_tbENKUlT_T0_E_clISt17integral_constantIbLb0EESY_IbLb1EEEEDaSU_SV_EUlSU_E_NS1_11comp_targetILNS1_3genE2ELNS1_11target_archE906ELNS1_3gpuE6ELNS1_3repE0EEENS1_30default_config_static_selectorELNS0_4arch9wavefront6targetE0EEEvT1_ ; -- Begin function _ZN7rocprim17ROCPRIM_400000_NS6detail17trampoline_kernelINS0_14default_configENS1_27scan_by_key_config_selectorIssEEZZNS1_16scan_by_key_implILNS1_25lookback_scan_determinismE0ELb1ES3_N6thrust23THRUST_200600_302600_NS6detail15normal_iteratorINS9_10device_ptrIsEEEESE_SE_sNS9_4plusIvEENS9_8equal_toIsEEsEE10hipError_tPvRmT2_T3_T4_T5_mT6_T7_P12ihipStream_tbENKUlT_T0_E_clISt17integral_constantIbLb0EESY_IbLb1EEEEDaSU_SV_EUlSU_E_NS1_11comp_targetILNS1_3genE2ELNS1_11target_archE906ELNS1_3gpuE6ELNS1_3repE0EEENS1_30default_config_static_selectorELNS0_4arch9wavefront6targetE0EEEvT1_
	.globl	_ZN7rocprim17ROCPRIM_400000_NS6detail17trampoline_kernelINS0_14default_configENS1_27scan_by_key_config_selectorIssEEZZNS1_16scan_by_key_implILNS1_25lookback_scan_determinismE0ELb1ES3_N6thrust23THRUST_200600_302600_NS6detail15normal_iteratorINS9_10device_ptrIsEEEESE_SE_sNS9_4plusIvEENS9_8equal_toIsEEsEE10hipError_tPvRmT2_T3_T4_T5_mT6_T7_P12ihipStream_tbENKUlT_T0_E_clISt17integral_constantIbLb0EESY_IbLb1EEEEDaSU_SV_EUlSU_E_NS1_11comp_targetILNS1_3genE2ELNS1_11target_archE906ELNS1_3gpuE6ELNS1_3repE0EEENS1_30default_config_static_selectorELNS0_4arch9wavefront6targetE0EEEvT1_
	.p2align	8
	.type	_ZN7rocprim17ROCPRIM_400000_NS6detail17trampoline_kernelINS0_14default_configENS1_27scan_by_key_config_selectorIssEEZZNS1_16scan_by_key_implILNS1_25lookback_scan_determinismE0ELb1ES3_N6thrust23THRUST_200600_302600_NS6detail15normal_iteratorINS9_10device_ptrIsEEEESE_SE_sNS9_4plusIvEENS9_8equal_toIsEEsEE10hipError_tPvRmT2_T3_T4_T5_mT6_T7_P12ihipStream_tbENKUlT_T0_E_clISt17integral_constantIbLb0EESY_IbLb1EEEEDaSU_SV_EUlSU_E_NS1_11comp_targetILNS1_3genE2ELNS1_11target_archE906ELNS1_3gpuE6ELNS1_3repE0EEENS1_30default_config_static_selectorELNS0_4arch9wavefront6targetE0EEEvT1_,@function
_ZN7rocprim17ROCPRIM_400000_NS6detail17trampoline_kernelINS0_14default_configENS1_27scan_by_key_config_selectorIssEEZZNS1_16scan_by_key_implILNS1_25lookback_scan_determinismE0ELb1ES3_N6thrust23THRUST_200600_302600_NS6detail15normal_iteratorINS9_10device_ptrIsEEEESE_SE_sNS9_4plusIvEENS9_8equal_toIsEEsEE10hipError_tPvRmT2_T3_T4_T5_mT6_T7_P12ihipStream_tbENKUlT_T0_E_clISt17integral_constantIbLb0EESY_IbLb1EEEEDaSU_SV_EUlSU_E_NS1_11comp_targetILNS1_3genE2ELNS1_11target_archE906ELNS1_3gpuE6ELNS1_3repE0EEENS1_30default_config_static_selectorELNS0_4arch9wavefront6targetE0EEEvT1_: ; @_ZN7rocprim17ROCPRIM_400000_NS6detail17trampoline_kernelINS0_14default_configENS1_27scan_by_key_config_selectorIssEEZZNS1_16scan_by_key_implILNS1_25lookback_scan_determinismE0ELb1ES3_N6thrust23THRUST_200600_302600_NS6detail15normal_iteratorINS9_10device_ptrIsEEEESE_SE_sNS9_4plusIvEENS9_8equal_toIsEEsEE10hipError_tPvRmT2_T3_T4_T5_mT6_T7_P12ihipStream_tbENKUlT_T0_E_clISt17integral_constantIbLb0EESY_IbLb1EEEEDaSU_SV_EUlSU_E_NS1_11comp_targetILNS1_3genE2ELNS1_11target_archE906ELNS1_3gpuE6ELNS1_3repE0EEENS1_30default_config_static_selectorELNS0_4arch9wavefront6targetE0EEEvT1_
; %bb.0:
	.section	.rodata,"a",@progbits
	.p2align	6, 0x0
	.amdhsa_kernel _ZN7rocprim17ROCPRIM_400000_NS6detail17trampoline_kernelINS0_14default_configENS1_27scan_by_key_config_selectorIssEEZZNS1_16scan_by_key_implILNS1_25lookback_scan_determinismE0ELb1ES3_N6thrust23THRUST_200600_302600_NS6detail15normal_iteratorINS9_10device_ptrIsEEEESE_SE_sNS9_4plusIvEENS9_8equal_toIsEEsEE10hipError_tPvRmT2_T3_T4_T5_mT6_T7_P12ihipStream_tbENKUlT_T0_E_clISt17integral_constantIbLb0EESY_IbLb1EEEEDaSU_SV_EUlSU_E_NS1_11comp_targetILNS1_3genE2ELNS1_11target_archE906ELNS1_3gpuE6ELNS1_3repE0EEENS1_30default_config_static_selectorELNS0_4arch9wavefront6targetE0EEEvT1_
		.amdhsa_group_segment_fixed_size 0
		.amdhsa_private_segment_fixed_size 0
		.amdhsa_kernarg_size 112
		.amdhsa_user_sgpr_count 6
		.amdhsa_user_sgpr_private_segment_buffer 1
		.amdhsa_user_sgpr_dispatch_ptr 0
		.amdhsa_user_sgpr_queue_ptr 0
		.amdhsa_user_sgpr_kernarg_segment_ptr 1
		.amdhsa_user_sgpr_dispatch_id 0
		.amdhsa_user_sgpr_flat_scratch_init 0
		.amdhsa_user_sgpr_private_segment_size 0
		.amdhsa_wavefront_size32 1
		.amdhsa_uses_dynamic_stack 0
		.amdhsa_system_sgpr_private_segment_wavefront_offset 0
		.amdhsa_system_sgpr_workgroup_id_x 1
		.amdhsa_system_sgpr_workgroup_id_y 0
		.amdhsa_system_sgpr_workgroup_id_z 0
		.amdhsa_system_sgpr_workgroup_info 0
		.amdhsa_system_vgpr_workitem_id 0
		.amdhsa_next_free_vgpr 1
		.amdhsa_next_free_sgpr 1
		.amdhsa_reserve_vcc 0
		.amdhsa_reserve_flat_scratch 0
		.amdhsa_float_round_mode_32 0
		.amdhsa_float_round_mode_16_64 0
		.amdhsa_float_denorm_mode_32 3
		.amdhsa_float_denorm_mode_16_64 3
		.amdhsa_dx10_clamp 1
		.amdhsa_ieee_mode 1
		.amdhsa_fp16_overflow 0
		.amdhsa_workgroup_processor_mode 1
		.amdhsa_memory_ordered 1
		.amdhsa_forward_progress 1
		.amdhsa_shared_vgpr_count 0
		.amdhsa_exception_fp_ieee_invalid_op 0
		.amdhsa_exception_fp_denorm_src 0
		.amdhsa_exception_fp_ieee_div_zero 0
		.amdhsa_exception_fp_ieee_overflow 0
		.amdhsa_exception_fp_ieee_underflow 0
		.amdhsa_exception_fp_ieee_inexact 0
		.amdhsa_exception_int_div_zero 0
	.end_amdhsa_kernel
	.section	.text._ZN7rocprim17ROCPRIM_400000_NS6detail17trampoline_kernelINS0_14default_configENS1_27scan_by_key_config_selectorIssEEZZNS1_16scan_by_key_implILNS1_25lookback_scan_determinismE0ELb1ES3_N6thrust23THRUST_200600_302600_NS6detail15normal_iteratorINS9_10device_ptrIsEEEESE_SE_sNS9_4plusIvEENS9_8equal_toIsEEsEE10hipError_tPvRmT2_T3_T4_T5_mT6_T7_P12ihipStream_tbENKUlT_T0_E_clISt17integral_constantIbLb0EESY_IbLb1EEEEDaSU_SV_EUlSU_E_NS1_11comp_targetILNS1_3genE2ELNS1_11target_archE906ELNS1_3gpuE6ELNS1_3repE0EEENS1_30default_config_static_selectorELNS0_4arch9wavefront6targetE0EEEvT1_,"axG",@progbits,_ZN7rocprim17ROCPRIM_400000_NS6detail17trampoline_kernelINS0_14default_configENS1_27scan_by_key_config_selectorIssEEZZNS1_16scan_by_key_implILNS1_25lookback_scan_determinismE0ELb1ES3_N6thrust23THRUST_200600_302600_NS6detail15normal_iteratorINS9_10device_ptrIsEEEESE_SE_sNS9_4plusIvEENS9_8equal_toIsEEsEE10hipError_tPvRmT2_T3_T4_T5_mT6_T7_P12ihipStream_tbENKUlT_T0_E_clISt17integral_constantIbLb0EESY_IbLb1EEEEDaSU_SV_EUlSU_E_NS1_11comp_targetILNS1_3genE2ELNS1_11target_archE906ELNS1_3gpuE6ELNS1_3repE0EEENS1_30default_config_static_selectorELNS0_4arch9wavefront6targetE0EEEvT1_,comdat
.Lfunc_end673:
	.size	_ZN7rocprim17ROCPRIM_400000_NS6detail17trampoline_kernelINS0_14default_configENS1_27scan_by_key_config_selectorIssEEZZNS1_16scan_by_key_implILNS1_25lookback_scan_determinismE0ELb1ES3_N6thrust23THRUST_200600_302600_NS6detail15normal_iteratorINS9_10device_ptrIsEEEESE_SE_sNS9_4plusIvEENS9_8equal_toIsEEsEE10hipError_tPvRmT2_T3_T4_T5_mT6_T7_P12ihipStream_tbENKUlT_T0_E_clISt17integral_constantIbLb0EESY_IbLb1EEEEDaSU_SV_EUlSU_E_NS1_11comp_targetILNS1_3genE2ELNS1_11target_archE906ELNS1_3gpuE6ELNS1_3repE0EEENS1_30default_config_static_selectorELNS0_4arch9wavefront6targetE0EEEvT1_, .Lfunc_end673-_ZN7rocprim17ROCPRIM_400000_NS6detail17trampoline_kernelINS0_14default_configENS1_27scan_by_key_config_selectorIssEEZZNS1_16scan_by_key_implILNS1_25lookback_scan_determinismE0ELb1ES3_N6thrust23THRUST_200600_302600_NS6detail15normal_iteratorINS9_10device_ptrIsEEEESE_SE_sNS9_4plusIvEENS9_8equal_toIsEEsEE10hipError_tPvRmT2_T3_T4_T5_mT6_T7_P12ihipStream_tbENKUlT_T0_E_clISt17integral_constantIbLb0EESY_IbLb1EEEEDaSU_SV_EUlSU_E_NS1_11comp_targetILNS1_3genE2ELNS1_11target_archE906ELNS1_3gpuE6ELNS1_3repE0EEENS1_30default_config_static_selectorELNS0_4arch9wavefront6targetE0EEEvT1_
                                        ; -- End function
	.set _ZN7rocprim17ROCPRIM_400000_NS6detail17trampoline_kernelINS0_14default_configENS1_27scan_by_key_config_selectorIssEEZZNS1_16scan_by_key_implILNS1_25lookback_scan_determinismE0ELb1ES3_N6thrust23THRUST_200600_302600_NS6detail15normal_iteratorINS9_10device_ptrIsEEEESE_SE_sNS9_4plusIvEENS9_8equal_toIsEEsEE10hipError_tPvRmT2_T3_T4_T5_mT6_T7_P12ihipStream_tbENKUlT_T0_E_clISt17integral_constantIbLb0EESY_IbLb1EEEEDaSU_SV_EUlSU_E_NS1_11comp_targetILNS1_3genE2ELNS1_11target_archE906ELNS1_3gpuE6ELNS1_3repE0EEENS1_30default_config_static_selectorELNS0_4arch9wavefront6targetE0EEEvT1_.num_vgpr, 0
	.set _ZN7rocprim17ROCPRIM_400000_NS6detail17trampoline_kernelINS0_14default_configENS1_27scan_by_key_config_selectorIssEEZZNS1_16scan_by_key_implILNS1_25lookback_scan_determinismE0ELb1ES3_N6thrust23THRUST_200600_302600_NS6detail15normal_iteratorINS9_10device_ptrIsEEEESE_SE_sNS9_4plusIvEENS9_8equal_toIsEEsEE10hipError_tPvRmT2_T3_T4_T5_mT6_T7_P12ihipStream_tbENKUlT_T0_E_clISt17integral_constantIbLb0EESY_IbLb1EEEEDaSU_SV_EUlSU_E_NS1_11comp_targetILNS1_3genE2ELNS1_11target_archE906ELNS1_3gpuE6ELNS1_3repE0EEENS1_30default_config_static_selectorELNS0_4arch9wavefront6targetE0EEEvT1_.num_agpr, 0
	.set _ZN7rocprim17ROCPRIM_400000_NS6detail17trampoline_kernelINS0_14default_configENS1_27scan_by_key_config_selectorIssEEZZNS1_16scan_by_key_implILNS1_25lookback_scan_determinismE0ELb1ES3_N6thrust23THRUST_200600_302600_NS6detail15normal_iteratorINS9_10device_ptrIsEEEESE_SE_sNS9_4plusIvEENS9_8equal_toIsEEsEE10hipError_tPvRmT2_T3_T4_T5_mT6_T7_P12ihipStream_tbENKUlT_T0_E_clISt17integral_constantIbLb0EESY_IbLb1EEEEDaSU_SV_EUlSU_E_NS1_11comp_targetILNS1_3genE2ELNS1_11target_archE906ELNS1_3gpuE6ELNS1_3repE0EEENS1_30default_config_static_selectorELNS0_4arch9wavefront6targetE0EEEvT1_.numbered_sgpr, 0
	.set _ZN7rocprim17ROCPRIM_400000_NS6detail17trampoline_kernelINS0_14default_configENS1_27scan_by_key_config_selectorIssEEZZNS1_16scan_by_key_implILNS1_25lookback_scan_determinismE0ELb1ES3_N6thrust23THRUST_200600_302600_NS6detail15normal_iteratorINS9_10device_ptrIsEEEESE_SE_sNS9_4plusIvEENS9_8equal_toIsEEsEE10hipError_tPvRmT2_T3_T4_T5_mT6_T7_P12ihipStream_tbENKUlT_T0_E_clISt17integral_constantIbLb0EESY_IbLb1EEEEDaSU_SV_EUlSU_E_NS1_11comp_targetILNS1_3genE2ELNS1_11target_archE906ELNS1_3gpuE6ELNS1_3repE0EEENS1_30default_config_static_selectorELNS0_4arch9wavefront6targetE0EEEvT1_.num_named_barrier, 0
	.set _ZN7rocprim17ROCPRIM_400000_NS6detail17trampoline_kernelINS0_14default_configENS1_27scan_by_key_config_selectorIssEEZZNS1_16scan_by_key_implILNS1_25lookback_scan_determinismE0ELb1ES3_N6thrust23THRUST_200600_302600_NS6detail15normal_iteratorINS9_10device_ptrIsEEEESE_SE_sNS9_4plusIvEENS9_8equal_toIsEEsEE10hipError_tPvRmT2_T3_T4_T5_mT6_T7_P12ihipStream_tbENKUlT_T0_E_clISt17integral_constantIbLb0EESY_IbLb1EEEEDaSU_SV_EUlSU_E_NS1_11comp_targetILNS1_3genE2ELNS1_11target_archE906ELNS1_3gpuE6ELNS1_3repE0EEENS1_30default_config_static_selectorELNS0_4arch9wavefront6targetE0EEEvT1_.private_seg_size, 0
	.set _ZN7rocprim17ROCPRIM_400000_NS6detail17trampoline_kernelINS0_14default_configENS1_27scan_by_key_config_selectorIssEEZZNS1_16scan_by_key_implILNS1_25lookback_scan_determinismE0ELb1ES3_N6thrust23THRUST_200600_302600_NS6detail15normal_iteratorINS9_10device_ptrIsEEEESE_SE_sNS9_4plusIvEENS9_8equal_toIsEEsEE10hipError_tPvRmT2_T3_T4_T5_mT6_T7_P12ihipStream_tbENKUlT_T0_E_clISt17integral_constantIbLb0EESY_IbLb1EEEEDaSU_SV_EUlSU_E_NS1_11comp_targetILNS1_3genE2ELNS1_11target_archE906ELNS1_3gpuE6ELNS1_3repE0EEENS1_30default_config_static_selectorELNS0_4arch9wavefront6targetE0EEEvT1_.uses_vcc, 0
	.set _ZN7rocprim17ROCPRIM_400000_NS6detail17trampoline_kernelINS0_14default_configENS1_27scan_by_key_config_selectorIssEEZZNS1_16scan_by_key_implILNS1_25lookback_scan_determinismE0ELb1ES3_N6thrust23THRUST_200600_302600_NS6detail15normal_iteratorINS9_10device_ptrIsEEEESE_SE_sNS9_4plusIvEENS9_8equal_toIsEEsEE10hipError_tPvRmT2_T3_T4_T5_mT6_T7_P12ihipStream_tbENKUlT_T0_E_clISt17integral_constantIbLb0EESY_IbLb1EEEEDaSU_SV_EUlSU_E_NS1_11comp_targetILNS1_3genE2ELNS1_11target_archE906ELNS1_3gpuE6ELNS1_3repE0EEENS1_30default_config_static_selectorELNS0_4arch9wavefront6targetE0EEEvT1_.uses_flat_scratch, 0
	.set _ZN7rocprim17ROCPRIM_400000_NS6detail17trampoline_kernelINS0_14default_configENS1_27scan_by_key_config_selectorIssEEZZNS1_16scan_by_key_implILNS1_25lookback_scan_determinismE0ELb1ES3_N6thrust23THRUST_200600_302600_NS6detail15normal_iteratorINS9_10device_ptrIsEEEESE_SE_sNS9_4plusIvEENS9_8equal_toIsEEsEE10hipError_tPvRmT2_T3_T4_T5_mT6_T7_P12ihipStream_tbENKUlT_T0_E_clISt17integral_constantIbLb0EESY_IbLb1EEEEDaSU_SV_EUlSU_E_NS1_11comp_targetILNS1_3genE2ELNS1_11target_archE906ELNS1_3gpuE6ELNS1_3repE0EEENS1_30default_config_static_selectorELNS0_4arch9wavefront6targetE0EEEvT1_.has_dyn_sized_stack, 0
	.set _ZN7rocprim17ROCPRIM_400000_NS6detail17trampoline_kernelINS0_14default_configENS1_27scan_by_key_config_selectorIssEEZZNS1_16scan_by_key_implILNS1_25lookback_scan_determinismE0ELb1ES3_N6thrust23THRUST_200600_302600_NS6detail15normal_iteratorINS9_10device_ptrIsEEEESE_SE_sNS9_4plusIvEENS9_8equal_toIsEEsEE10hipError_tPvRmT2_T3_T4_T5_mT6_T7_P12ihipStream_tbENKUlT_T0_E_clISt17integral_constantIbLb0EESY_IbLb1EEEEDaSU_SV_EUlSU_E_NS1_11comp_targetILNS1_3genE2ELNS1_11target_archE906ELNS1_3gpuE6ELNS1_3repE0EEENS1_30default_config_static_selectorELNS0_4arch9wavefront6targetE0EEEvT1_.has_recursion, 0
	.set _ZN7rocprim17ROCPRIM_400000_NS6detail17trampoline_kernelINS0_14default_configENS1_27scan_by_key_config_selectorIssEEZZNS1_16scan_by_key_implILNS1_25lookback_scan_determinismE0ELb1ES3_N6thrust23THRUST_200600_302600_NS6detail15normal_iteratorINS9_10device_ptrIsEEEESE_SE_sNS9_4plusIvEENS9_8equal_toIsEEsEE10hipError_tPvRmT2_T3_T4_T5_mT6_T7_P12ihipStream_tbENKUlT_T0_E_clISt17integral_constantIbLb0EESY_IbLb1EEEEDaSU_SV_EUlSU_E_NS1_11comp_targetILNS1_3genE2ELNS1_11target_archE906ELNS1_3gpuE6ELNS1_3repE0EEENS1_30default_config_static_selectorELNS0_4arch9wavefront6targetE0EEEvT1_.has_indirect_call, 0
	.section	.AMDGPU.csdata,"",@progbits
; Kernel info:
; codeLenInByte = 0
; TotalNumSgprs: 0
; NumVgprs: 0
; ScratchSize: 0
; MemoryBound: 0
; FloatMode: 240
; IeeeMode: 1
; LDSByteSize: 0 bytes/workgroup (compile time only)
; SGPRBlocks: 0
; VGPRBlocks: 0
; NumSGPRsForWavesPerEU: 1
; NumVGPRsForWavesPerEU: 1
; Occupancy: 16
; WaveLimiterHint : 0
; COMPUTE_PGM_RSRC2:SCRATCH_EN: 0
; COMPUTE_PGM_RSRC2:USER_SGPR: 6
; COMPUTE_PGM_RSRC2:TRAP_HANDLER: 0
; COMPUTE_PGM_RSRC2:TGID_X_EN: 1
; COMPUTE_PGM_RSRC2:TGID_Y_EN: 0
; COMPUTE_PGM_RSRC2:TGID_Z_EN: 0
; COMPUTE_PGM_RSRC2:TIDIG_COMP_CNT: 0
	.section	.text._ZN7rocprim17ROCPRIM_400000_NS6detail17trampoline_kernelINS0_14default_configENS1_27scan_by_key_config_selectorIssEEZZNS1_16scan_by_key_implILNS1_25lookback_scan_determinismE0ELb1ES3_N6thrust23THRUST_200600_302600_NS6detail15normal_iteratorINS9_10device_ptrIsEEEESE_SE_sNS9_4plusIvEENS9_8equal_toIsEEsEE10hipError_tPvRmT2_T3_T4_T5_mT6_T7_P12ihipStream_tbENKUlT_T0_E_clISt17integral_constantIbLb0EESY_IbLb1EEEEDaSU_SV_EUlSU_E_NS1_11comp_targetILNS1_3genE10ELNS1_11target_archE1200ELNS1_3gpuE4ELNS1_3repE0EEENS1_30default_config_static_selectorELNS0_4arch9wavefront6targetE0EEEvT1_,"axG",@progbits,_ZN7rocprim17ROCPRIM_400000_NS6detail17trampoline_kernelINS0_14default_configENS1_27scan_by_key_config_selectorIssEEZZNS1_16scan_by_key_implILNS1_25lookback_scan_determinismE0ELb1ES3_N6thrust23THRUST_200600_302600_NS6detail15normal_iteratorINS9_10device_ptrIsEEEESE_SE_sNS9_4plusIvEENS9_8equal_toIsEEsEE10hipError_tPvRmT2_T3_T4_T5_mT6_T7_P12ihipStream_tbENKUlT_T0_E_clISt17integral_constantIbLb0EESY_IbLb1EEEEDaSU_SV_EUlSU_E_NS1_11comp_targetILNS1_3genE10ELNS1_11target_archE1200ELNS1_3gpuE4ELNS1_3repE0EEENS1_30default_config_static_selectorELNS0_4arch9wavefront6targetE0EEEvT1_,comdat
	.protected	_ZN7rocprim17ROCPRIM_400000_NS6detail17trampoline_kernelINS0_14default_configENS1_27scan_by_key_config_selectorIssEEZZNS1_16scan_by_key_implILNS1_25lookback_scan_determinismE0ELb1ES3_N6thrust23THRUST_200600_302600_NS6detail15normal_iteratorINS9_10device_ptrIsEEEESE_SE_sNS9_4plusIvEENS9_8equal_toIsEEsEE10hipError_tPvRmT2_T3_T4_T5_mT6_T7_P12ihipStream_tbENKUlT_T0_E_clISt17integral_constantIbLb0EESY_IbLb1EEEEDaSU_SV_EUlSU_E_NS1_11comp_targetILNS1_3genE10ELNS1_11target_archE1200ELNS1_3gpuE4ELNS1_3repE0EEENS1_30default_config_static_selectorELNS0_4arch9wavefront6targetE0EEEvT1_ ; -- Begin function _ZN7rocprim17ROCPRIM_400000_NS6detail17trampoline_kernelINS0_14default_configENS1_27scan_by_key_config_selectorIssEEZZNS1_16scan_by_key_implILNS1_25lookback_scan_determinismE0ELb1ES3_N6thrust23THRUST_200600_302600_NS6detail15normal_iteratorINS9_10device_ptrIsEEEESE_SE_sNS9_4plusIvEENS9_8equal_toIsEEsEE10hipError_tPvRmT2_T3_T4_T5_mT6_T7_P12ihipStream_tbENKUlT_T0_E_clISt17integral_constantIbLb0EESY_IbLb1EEEEDaSU_SV_EUlSU_E_NS1_11comp_targetILNS1_3genE10ELNS1_11target_archE1200ELNS1_3gpuE4ELNS1_3repE0EEENS1_30default_config_static_selectorELNS0_4arch9wavefront6targetE0EEEvT1_
	.globl	_ZN7rocprim17ROCPRIM_400000_NS6detail17trampoline_kernelINS0_14default_configENS1_27scan_by_key_config_selectorIssEEZZNS1_16scan_by_key_implILNS1_25lookback_scan_determinismE0ELb1ES3_N6thrust23THRUST_200600_302600_NS6detail15normal_iteratorINS9_10device_ptrIsEEEESE_SE_sNS9_4plusIvEENS9_8equal_toIsEEsEE10hipError_tPvRmT2_T3_T4_T5_mT6_T7_P12ihipStream_tbENKUlT_T0_E_clISt17integral_constantIbLb0EESY_IbLb1EEEEDaSU_SV_EUlSU_E_NS1_11comp_targetILNS1_3genE10ELNS1_11target_archE1200ELNS1_3gpuE4ELNS1_3repE0EEENS1_30default_config_static_selectorELNS0_4arch9wavefront6targetE0EEEvT1_
	.p2align	8
	.type	_ZN7rocprim17ROCPRIM_400000_NS6detail17trampoline_kernelINS0_14default_configENS1_27scan_by_key_config_selectorIssEEZZNS1_16scan_by_key_implILNS1_25lookback_scan_determinismE0ELb1ES3_N6thrust23THRUST_200600_302600_NS6detail15normal_iteratorINS9_10device_ptrIsEEEESE_SE_sNS9_4plusIvEENS9_8equal_toIsEEsEE10hipError_tPvRmT2_T3_T4_T5_mT6_T7_P12ihipStream_tbENKUlT_T0_E_clISt17integral_constantIbLb0EESY_IbLb1EEEEDaSU_SV_EUlSU_E_NS1_11comp_targetILNS1_3genE10ELNS1_11target_archE1200ELNS1_3gpuE4ELNS1_3repE0EEENS1_30default_config_static_selectorELNS0_4arch9wavefront6targetE0EEEvT1_,@function
_ZN7rocprim17ROCPRIM_400000_NS6detail17trampoline_kernelINS0_14default_configENS1_27scan_by_key_config_selectorIssEEZZNS1_16scan_by_key_implILNS1_25lookback_scan_determinismE0ELb1ES3_N6thrust23THRUST_200600_302600_NS6detail15normal_iteratorINS9_10device_ptrIsEEEESE_SE_sNS9_4plusIvEENS9_8equal_toIsEEsEE10hipError_tPvRmT2_T3_T4_T5_mT6_T7_P12ihipStream_tbENKUlT_T0_E_clISt17integral_constantIbLb0EESY_IbLb1EEEEDaSU_SV_EUlSU_E_NS1_11comp_targetILNS1_3genE10ELNS1_11target_archE1200ELNS1_3gpuE4ELNS1_3repE0EEENS1_30default_config_static_selectorELNS0_4arch9wavefront6targetE0EEEvT1_: ; @_ZN7rocprim17ROCPRIM_400000_NS6detail17trampoline_kernelINS0_14default_configENS1_27scan_by_key_config_selectorIssEEZZNS1_16scan_by_key_implILNS1_25lookback_scan_determinismE0ELb1ES3_N6thrust23THRUST_200600_302600_NS6detail15normal_iteratorINS9_10device_ptrIsEEEESE_SE_sNS9_4plusIvEENS9_8equal_toIsEEsEE10hipError_tPvRmT2_T3_T4_T5_mT6_T7_P12ihipStream_tbENKUlT_T0_E_clISt17integral_constantIbLb0EESY_IbLb1EEEEDaSU_SV_EUlSU_E_NS1_11comp_targetILNS1_3genE10ELNS1_11target_archE1200ELNS1_3gpuE4ELNS1_3repE0EEENS1_30default_config_static_selectorELNS0_4arch9wavefront6targetE0EEEvT1_
; %bb.0:
	.section	.rodata,"a",@progbits
	.p2align	6, 0x0
	.amdhsa_kernel _ZN7rocprim17ROCPRIM_400000_NS6detail17trampoline_kernelINS0_14default_configENS1_27scan_by_key_config_selectorIssEEZZNS1_16scan_by_key_implILNS1_25lookback_scan_determinismE0ELb1ES3_N6thrust23THRUST_200600_302600_NS6detail15normal_iteratorINS9_10device_ptrIsEEEESE_SE_sNS9_4plusIvEENS9_8equal_toIsEEsEE10hipError_tPvRmT2_T3_T4_T5_mT6_T7_P12ihipStream_tbENKUlT_T0_E_clISt17integral_constantIbLb0EESY_IbLb1EEEEDaSU_SV_EUlSU_E_NS1_11comp_targetILNS1_3genE10ELNS1_11target_archE1200ELNS1_3gpuE4ELNS1_3repE0EEENS1_30default_config_static_selectorELNS0_4arch9wavefront6targetE0EEEvT1_
		.amdhsa_group_segment_fixed_size 0
		.amdhsa_private_segment_fixed_size 0
		.amdhsa_kernarg_size 112
		.amdhsa_user_sgpr_count 6
		.amdhsa_user_sgpr_private_segment_buffer 1
		.amdhsa_user_sgpr_dispatch_ptr 0
		.amdhsa_user_sgpr_queue_ptr 0
		.amdhsa_user_sgpr_kernarg_segment_ptr 1
		.amdhsa_user_sgpr_dispatch_id 0
		.amdhsa_user_sgpr_flat_scratch_init 0
		.amdhsa_user_sgpr_private_segment_size 0
		.amdhsa_wavefront_size32 1
		.amdhsa_uses_dynamic_stack 0
		.amdhsa_system_sgpr_private_segment_wavefront_offset 0
		.amdhsa_system_sgpr_workgroup_id_x 1
		.amdhsa_system_sgpr_workgroup_id_y 0
		.amdhsa_system_sgpr_workgroup_id_z 0
		.amdhsa_system_sgpr_workgroup_info 0
		.amdhsa_system_vgpr_workitem_id 0
		.amdhsa_next_free_vgpr 1
		.amdhsa_next_free_sgpr 1
		.amdhsa_reserve_vcc 0
		.amdhsa_reserve_flat_scratch 0
		.amdhsa_float_round_mode_32 0
		.amdhsa_float_round_mode_16_64 0
		.amdhsa_float_denorm_mode_32 3
		.amdhsa_float_denorm_mode_16_64 3
		.amdhsa_dx10_clamp 1
		.amdhsa_ieee_mode 1
		.amdhsa_fp16_overflow 0
		.amdhsa_workgroup_processor_mode 1
		.amdhsa_memory_ordered 1
		.amdhsa_forward_progress 1
		.amdhsa_shared_vgpr_count 0
		.amdhsa_exception_fp_ieee_invalid_op 0
		.amdhsa_exception_fp_denorm_src 0
		.amdhsa_exception_fp_ieee_div_zero 0
		.amdhsa_exception_fp_ieee_overflow 0
		.amdhsa_exception_fp_ieee_underflow 0
		.amdhsa_exception_fp_ieee_inexact 0
		.amdhsa_exception_int_div_zero 0
	.end_amdhsa_kernel
	.section	.text._ZN7rocprim17ROCPRIM_400000_NS6detail17trampoline_kernelINS0_14default_configENS1_27scan_by_key_config_selectorIssEEZZNS1_16scan_by_key_implILNS1_25lookback_scan_determinismE0ELb1ES3_N6thrust23THRUST_200600_302600_NS6detail15normal_iteratorINS9_10device_ptrIsEEEESE_SE_sNS9_4plusIvEENS9_8equal_toIsEEsEE10hipError_tPvRmT2_T3_T4_T5_mT6_T7_P12ihipStream_tbENKUlT_T0_E_clISt17integral_constantIbLb0EESY_IbLb1EEEEDaSU_SV_EUlSU_E_NS1_11comp_targetILNS1_3genE10ELNS1_11target_archE1200ELNS1_3gpuE4ELNS1_3repE0EEENS1_30default_config_static_selectorELNS0_4arch9wavefront6targetE0EEEvT1_,"axG",@progbits,_ZN7rocprim17ROCPRIM_400000_NS6detail17trampoline_kernelINS0_14default_configENS1_27scan_by_key_config_selectorIssEEZZNS1_16scan_by_key_implILNS1_25lookback_scan_determinismE0ELb1ES3_N6thrust23THRUST_200600_302600_NS6detail15normal_iteratorINS9_10device_ptrIsEEEESE_SE_sNS9_4plusIvEENS9_8equal_toIsEEsEE10hipError_tPvRmT2_T3_T4_T5_mT6_T7_P12ihipStream_tbENKUlT_T0_E_clISt17integral_constantIbLb0EESY_IbLb1EEEEDaSU_SV_EUlSU_E_NS1_11comp_targetILNS1_3genE10ELNS1_11target_archE1200ELNS1_3gpuE4ELNS1_3repE0EEENS1_30default_config_static_selectorELNS0_4arch9wavefront6targetE0EEEvT1_,comdat
.Lfunc_end674:
	.size	_ZN7rocprim17ROCPRIM_400000_NS6detail17trampoline_kernelINS0_14default_configENS1_27scan_by_key_config_selectorIssEEZZNS1_16scan_by_key_implILNS1_25lookback_scan_determinismE0ELb1ES3_N6thrust23THRUST_200600_302600_NS6detail15normal_iteratorINS9_10device_ptrIsEEEESE_SE_sNS9_4plusIvEENS9_8equal_toIsEEsEE10hipError_tPvRmT2_T3_T4_T5_mT6_T7_P12ihipStream_tbENKUlT_T0_E_clISt17integral_constantIbLb0EESY_IbLb1EEEEDaSU_SV_EUlSU_E_NS1_11comp_targetILNS1_3genE10ELNS1_11target_archE1200ELNS1_3gpuE4ELNS1_3repE0EEENS1_30default_config_static_selectorELNS0_4arch9wavefront6targetE0EEEvT1_, .Lfunc_end674-_ZN7rocprim17ROCPRIM_400000_NS6detail17trampoline_kernelINS0_14default_configENS1_27scan_by_key_config_selectorIssEEZZNS1_16scan_by_key_implILNS1_25lookback_scan_determinismE0ELb1ES3_N6thrust23THRUST_200600_302600_NS6detail15normal_iteratorINS9_10device_ptrIsEEEESE_SE_sNS9_4plusIvEENS9_8equal_toIsEEsEE10hipError_tPvRmT2_T3_T4_T5_mT6_T7_P12ihipStream_tbENKUlT_T0_E_clISt17integral_constantIbLb0EESY_IbLb1EEEEDaSU_SV_EUlSU_E_NS1_11comp_targetILNS1_3genE10ELNS1_11target_archE1200ELNS1_3gpuE4ELNS1_3repE0EEENS1_30default_config_static_selectorELNS0_4arch9wavefront6targetE0EEEvT1_
                                        ; -- End function
	.set _ZN7rocprim17ROCPRIM_400000_NS6detail17trampoline_kernelINS0_14default_configENS1_27scan_by_key_config_selectorIssEEZZNS1_16scan_by_key_implILNS1_25lookback_scan_determinismE0ELb1ES3_N6thrust23THRUST_200600_302600_NS6detail15normal_iteratorINS9_10device_ptrIsEEEESE_SE_sNS9_4plusIvEENS9_8equal_toIsEEsEE10hipError_tPvRmT2_T3_T4_T5_mT6_T7_P12ihipStream_tbENKUlT_T0_E_clISt17integral_constantIbLb0EESY_IbLb1EEEEDaSU_SV_EUlSU_E_NS1_11comp_targetILNS1_3genE10ELNS1_11target_archE1200ELNS1_3gpuE4ELNS1_3repE0EEENS1_30default_config_static_selectorELNS0_4arch9wavefront6targetE0EEEvT1_.num_vgpr, 0
	.set _ZN7rocprim17ROCPRIM_400000_NS6detail17trampoline_kernelINS0_14default_configENS1_27scan_by_key_config_selectorIssEEZZNS1_16scan_by_key_implILNS1_25lookback_scan_determinismE0ELb1ES3_N6thrust23THRUST_200600_302600_NS6detail15normal_iteratorINS9_10device_ptrIsEEEESE_SE_sNS9_4plusIvEENS9_8equal_toIsEEsEE10hipError_tPvRmT2_T3_T4_T5_mT6_T7_P12ihipStream_tbENKUlT_T0_E_clISt17integral_constantIbLb0EESY_IbLb1EEEEDaSU_SV_EUlSU_E_NS1_11comp_targetILNS1_3genE10ELNS1_11target_archE1200ELNS1_3gpuE4ELNS1_3repE0EEENS1_30default_config_static_selectorELNS0_4arch9wavefront6targetE0EEEvT1_.num_agpr, 0
	.set _ZN7rocprim17ROCPRIM_400000_NS6detail17trampoline_kernelINS0_14default_configENS1_27scan_by_key_config_selectorIssEEZZNS1_16scan_by_key_implILNS1_25lookback_scan_determinismE0ELb1ES3_N6thrust23THRUST_200600_302600_NS6detail15normal_iteratorINS9_10device_ptrIsEEEESE_SE_sNS9_4plusIvEENS9_8equal_toIsEEsEE10hipError_tPvRmT2_T3_T4_T5_mT6_T7_P12ihipStream_tbENKUlT_T0_E_clISt17integral_constantIbLb0EESY_IbLb1EEEEDaSU_SV_EUlSU_E_NS1_11comp_targetILNS1_3genE10ELNS1_11target_archE1200ELNS1_3gpuE4ELNS1_3repE0EEENS1_30default_config_static_selectorELNS0_4arch9wavefront6targetE0EEEvT1_.numbered_sgpr, 0
	.set _ZN7rocprim17ROCPRIM_400000_NS6detail17trampoline_kernelINS0_14default_configENS1_27scan_by_key_config_selectorIssEEZZNS1_16scan_by_key_implILNS1_25lookback_scan_determinismE0ELb1ES3_N6thrust23THRUST_200600_302600_NS6detail15normal_iteratorINS9_10device_ptrIsEEEESE_SE_sNS9_4plusIvEENS9_8equal_toIsEEsEE10hipError_tPvRmT2_T3_T4_T5_mT6_T7_P12ihipStream_tbENKUlT_T0_E_clISt17integral_constantIbLb0EESY_IbLb1EEEEDaSU_SV_EUlSU_E_NS1_11comp_targetILNS1_3genE10ELNS1_11target_archE1200ELNS1_3gpuE4ELNS1_3repE0EEENS1_30default_config_static_selectorELNS0_4arch9wavefront6targetE0EEEvT1_.num_named_barrier, 0
	.set _ZN7rocprim17ROCPRIM_400000_NS6detail17trampoline_kernelINS0_14default_configENS1_27scan_by_key_config_selectorIssEEZZNS1_16scan_by_key_implILNS1_25lookback_scan_determinismE0ELb1ES3_N6thrust23THRUST_200600_302600_NS6detail15normal_iteratorINS9_10device_ptrIsEEEESE_SE_sNS9_4plusIvEENS9_8equal_toIsEEsEE10hipError_tPvRmT2_T3_T4_T5_mT6_T7_P12ihipStream_tbENKUlT_T0_E_clISt17integral_constantIbLb0EESY_IbLb1EEEEDaSU_SV_EUlSU_E_NS1_11comp_targetILNS1_3genE10ELNS1_11target_archE1200ELNS1_3gpuE4ELNS1_3repE0EEENS1_30default_config_static_selectorELNS0_4arch9wavefront6targetE0EEEvT1_.private_seg_size, 0
	.set _ZN7rocprim17ROCPRIM_400000_NS6detail17trampoline_kernelINS0_14default_configENS1_27scan_by_key_config_selectorIssEEZZNS1_16scan_by_key_implILNS1_25lookback_scan_determinismE0ELb1ES3_N6thrust23THRUST_200600_302600_NS6detail15normal_iteratorINS9_10device_ptrIsEEEESE_SE_sNS9_4plusIvEENS9_8equal_toIsEEsEE10hipError_tPvRmT2_T3_T4_T5_mT6_T7_P12ihipStream_tbENKUlT_T0_E_clISt17integral_constantIbLb0EESY_IbLb1EEEEDaSU_SV_EUlSU_E_NS1_11comp_targetILNS1_3genE10ELNS1_11target_archE1200ELNS1_3gpuE4ELNS1_3repE0EEENS1_30default_config_static_selectorELNS0_4arch9wavefront6targetE0EEEvT1_.uses_vcc, 0
	.set _ZN7rocprim17ROCPRIM_400000_NS6detail17trampoline_kernelINS0_14default_configENS1_27scan_by_key_config_selectorIssEEZZNS1_16scan_by_key_implILNS1_25lookback_scan_determinismE0ELb1ES3_N6thrust23THRUST_200600_302600_NS6detail15normal_iteratorINS9_10device_ptrIsEEEESE_SE_sNS9_4plusIvEENS9_8equal_toIsEEsEE10hipError_tPvRmT2_T3_T4_T5_mT6_T7_P12ihipStream_tbENKUlT_T0_E_clISt17integral_constantIbLb0EESY_IbLb1EEEEDaSU_SV_EUlSU_E_NS1_11comp_targetILNS1_3genE10ELNS1_11target_archE1200ELNS1_3gpuE4ELNS1_3repE0EEENS1_30default_config_static_selectorELNS0_4arch9wavefront6targetE0EEEvT1_.uses_flat_scratch, 0
	.set _ZN7rocprim17ROCPRIM_400000_NS6detail17trampoline_kernelINS0_14default_configENS1_27scan_by_key_config_selectorIssEEZZNS1_16scan_by_key_implILNS1_25lookback_scan_determinismE0ELb1ES3_N6thrust23THRUST_200600_302600_NS6detail15normal_iteratorINS9_10device_ptrIsEEEESE_SE_sNS9_4plusIvEENS9_8equal_toIsEEsEE10hipError_tPvRmT2_T3_T4_T5_mT6_T7_P12ihipStream_tbENKUlT_T0_E_clISt17integral_constantIbLb0EESY_IbLb1EEEEDaSU_SV_EUlSU_E_NS1_11comp_targetILNS1_3genE10ELNS1_11target_archE1200ELNS1_3gpuE4ELNS1_3repE0EEENS1_30default_config_static_selectorELNS0_4arch9wavefront6targetE0EEEvT1_.has_dyn_sized_stack, 0
	.set _ZN7rocprim17ROCPRIM_400000_NS6detail17trampoline_kernelINS0_14default_configENS1_27scan_by_key_config_selectorIssEEZZNS1_16scan_by_key_implILNS1_25lookback_scan_determinismE0ELb1ES3_N6thrust23THRUST_200600_302600_NS6detail15normal_iteratorINS9_10device_ptrIsEEEESE_SE_sNS9_4plusIvEENS9_8equal_toIsEEsEE10hipError_tPvRmT2_T3_T4_T5_mT6_T7_P12ihipStream_tbENKUlT_T0_E_clISt17integral_constantIbLb0EESY_IbLb1EEEEDaSU_SV_EUlSU_E_NS1_11comp_targetILNS1_3genE10ELNS1_11target_archE1200ELNS1_3gpuE4ELNS1_3repE0EEENS1_30default_config_static_selectorELNS0_4arch9wavefront6targetE0EEEvT1_.has_recursion, 0
	.set _ZN7rocprim17ROCPRIM_400000_NS6detail17trampoline_kernelINS0_14default_configENS1_27scan_by_key_config_selectorIssEEZZNS1_16scan_by_key_implILNS1_25lookback_scan_determinismE0ELb1ES3_N6thrust23THRUST_200600_302600_NS6detail15normal_iteratorINS9_10device_ptrIsEEEESE_SE_sNS9_4plusIvEENS9_8equal_toIsEEsEE10hipError_tPvRmT2_T3_T4_T5_mT6_T7_P12ihipStream_tbENKUlT_T0_E_clISt17integral_constantIbLb0EESY_IbLb1EEEEDaSU_SV_EUlSU_E_NS1_11comp_targetILNS1_3genE10ELNS1_11target_archE1200ELNS1_3gpuE4ELNS1_3repE0EEENS1_30default_config_static_selectorELNS0_4arch9wavefront6targetE0EEEvT1_.has_indirect_call, 0
	.section	.AMDGPU.csdata,"",@progbits
; Kernel info:
; codeLenInByte = 0
; TotalNumSgprs: 0
; NumVgprs: 0
; ScratchSize: 0
; MemoryBound: 0
; FloatMode: 240
; IeeeMode: 1
; LDSByteSize: 0 bytes/workgroup (compile time only)
; SGPRBlocks: 0
; VGPRBlocks: 0
; NumSGPRsForWavesPerEU: 1
; NumVGPRsForWavesPerEU: 1
; Occupancy: 16
; WaveLimiterHint : 0
; COMPUTE_PGM_RSRC2:SCRATCH_EN: 0
; COMPUTE_PGM_RSRC2:USER_SGPR: 6
; COMPUTE_PGM_RSRC2:TRAP_HANDLER: 0
; COMPUTE_PGM_RSRC2:TGID_X_EN: 1
; COMPUTE_PGM_RSRC2:TGID_Y_EN: 0
; COMPUTE_PGM_RSRC2:TGID_Z_EN: 0
; COMPUTE_PGM_RSRC2:TIDIG_COMP_CNT: 0
	.section	.text._ZN7rocprim17ROCPRIM_400000_NS6detail17trampoline_kernelINS0_14default_configENS1_27scan_by_key_config_selectorIssEEZZNS1_16scan_by_key_implILNS1_25lookback_scan_determinismE0ELb1ES3_N6thrust23THRUST_200600_302600_NS6detail15normal_iteratorINS9_10device_ptrIsEEEESE_SE_sNS9_4plusIvEENS9_8equal_toIsEEsEE10hipError_tPvRmT2_T3_T4_T5_mT6_T7_P12ihipStream_tbENKUlT_T0_E_clISt17integral_constantIbLb0EESY_IbLb1EEEEDaSU_SV_EUlSU_E_NS1_11comp_targetILNS1_3genE9ELNS1_11target_archE1100ELNS1_3gpuE3ELNS1_3repE0EEENS1_30default_config_static_selectorELNS0_4arch9wavefront6targetE0EEEvT1_,"axG",@progbits,_ZN7rocprim17ROCPRIM_400000_NS6detail17trampoline_kernelINS0_14default_configENS1_27scan_by_key_config_selectorIssEEZZNS1_16scan_by_key_implILNS1_25lookback_scan_determinismE0ELb1ES3_N6thrust23THRUST_200600_302600_NS6detail15normal_iteratorINS9_10device_ptrIsEEEESE_SE_sNS9_4plusIvEENS9_8equal_toIsEEsEE10hipError_tPvRmT2_T3_T4_T5_mT6_T7_P12ihipStream_tbENKUlT_T0_E_clISt17integral_constantIbLb0EESY_IbLb1EEEEDaSU_SV_EUlSU_E_NS1_11comp_targetILNS1_3genE9ELNS1_11target_archE1100ELNS1_3gpuE3ELNS1_3repE0EEENS1_30default_config_static_selectorELNS0_4arch9wavefront6targetE0EEEvT1_,comdat
	.protected	_ZN7rocprim17ROCPRIM_400000_NS6detail17trampoline_kernelINS0_14default_configENS1_27scan_by_key_config_selectorIssEEZZNS1_16scan_by_key_implILNS1_25lookback_scan_determinismE0ELb1ES3_N6thrust23THRUST_200600_302600_NS6detail15normal_iteratorINS9_10device_ptrIsEEEESE_SE_sNS9_4plusIvEENS9_8equal_toIsEEsEE10hipError_tPvRmT2_T3_T4_T5_mT6_T7_P12ihipStream_tbENKUlT_T0_E_clISt17integral_constantIbLb0EESY_IbLb1EEEEDaSU_SV_EUlSU_E_NS1_11comp_targetILNS1_3genE9ELNS1_11target_archE1100ELNS1_3gpuE3ELNS1_3repE0EEENS1_30default_config_static_selectorELNS0_4arch9wavefront6targetE0EEEvT1_ ; -- Begin function _ZN7rocprim17ROCPRIM_400000_NS6detail17trampoline_kernelINS0_14default_configENS1_27scan_by_key_config_selectorIssEEZZNS1_16scan_by_key_implILNS1_25lookback_scan_determinismE0ELb1ES3_N6thrust23THRUST_200600_302600_NS6detail15normal_iteratorINS9_10device_ptrIsEEEESE_SE_sNS9_4plusIvEENS9_8equal_toIsEEsEE10hipError_tPvRmT2_T3_T4_T5_mT6_T7_P12ihipStream_tbENKUlT_T0_E_clISt17integral_constantIbLb0EESY_IbLb1EEEEDaSU_SV_EUlSU_E_NS1_11comp_targetILNS1_3genE9ELNS1_11target_archE1100ELNS1_3gpuE3ELNS1_3repE0EEENS1_30default_config_static_selectorELNS0_4arch9wavefront6targetE0EEEvT1_
	.globl	_ZN7rocprim17ROCPRIM_400000_NS6detail17trampoline_kernelINS0_14default_configENS1_27scan_by_key_config_selectorIssEEZZNS1_16scan_by_key_implILNS1_25lookback_scan_determinismE0ELb1ES3_N6thrust23THRUST_200600_302600_NS6detail15normal_iteratorINS9_10device_ptrIsEEEESE_SE_sNS9_4plusIvEENS9_8equal_toIsEEsEE10hipError_tPvRmT2_T3_T4_T5_mT6_T7_P12ihipStream_tbENKUlT_T0_E_clISt17integral_constantIbLb0EESY_IbLb1EEEEDaSU_SV_EUlSU_E_NS1_11comp_targetILNS1_3genE9ELNS1_11target_archE1100ELNS1_3gpuE3ELNS1_3repE0EEENS1_30default_config_static_selectorELNS0_4arch9wavefront6targetE0EEEvT1_
	.p2align	8
	.type	_ZN7rocprim17ROCPRIM_400000_NS6detail17trampoline_kernelINS0_14default_configENS1_27scan_by_key_config_selectorIssEEZZNS1_16scan_by_key_implILNS1_25lookback_scan_determinismE0ELb1ES3_N6thrust23THRUST_200600_302600_NS6detail15normal_iteratorINS9_10device_ptrIsEEEESE_SE_sNS9_4plusIvEENS9_8equal_toIsEEsEE10hipError_tPvRmT2_T3_T4_T5_mT6_T7_P12ihipStream_tbENKUlT_T0_E_clISt17integral_constantIbLb0EESY_IbLb1EEEEDaSU_SV_EUlSU_E_NS1_11comp_targetILNS1_3genE9ELNS1_11target_archE1100ELNS1_3gpuE3ELNS1_3repE0EEENS1_30default_config_static_selectorELNS0_4arch9wavefront6targetE0EEEvT1_,@function
_ZN7rocprim17ROCPRIM_400000_NS6detail17trampoline_kernelINS0_14default_configENS1_27scan_by_key_config_selectorIssEEZZNS1_16scan_by_key_implILNS1_25lookback_scan_determinismE0ELb1ES3_N6thrust23THRUST_200600_302600_NS6detail15normal_iteratorINS9_10device_ptrIsEEEESE_SE_sNS9_4plusIvEENS9_8equal_toIsEEsEE10hipError_tPvRmT2_T3_T4_T5_mT6_T7_P12ihipStream_tbENKUlT_T0_E_clISt17integral_constantIbLb0EESY_IbLb1EEEEDaSU_SV_EUlSU_E_NS1_11comp_targetILNS1_3genE9ELNS1_11target_archE1100ELNS1_3gpuE3ELNS1_3repE0EEENS1_30default_config_static_selectorELNS0_4arch9wavefront6targetE0EEEvT1_: ; @_ZN7rocprim17ROCPRIM_400000_NS6detail17trampoline_kernelINS0_14default_configENS1_27scan_by_key_config_selectorIssEEZZNS1_16scan_by_key_implILNS1_25lookback_scan_determinismE0ELb1ES3_N6thrust23THRUST_200600_302600_NS6detail15normal_iteratorINS9_10device_ptrIsEEEESE_SE_sNS9_4plusIvEENS9_8equal_toIsEEsEE10hipError_tPvRmT2_T3_T4_T5_mT6_T7_P12ihipStream_tbENKUlT_T0_E_clISt17integral_constantIbLb0EESY_IbLb1EEEEDaSU_SV_EUlSU_E_NS1_11comp_targetILNS1_3genE9ELNS1_11target_archE1100ELNS1_3gpuE3ELNS1_3repE0EEENS1_30default_config_static_selectorELNS0_4arch9wavefront6targetE0EEEvT1_
; %bb.0:
	.section	.rodata,"a",@progbits
	.p2align	6, 0x0
	.amdhsa_kernel _ZN7rocprim17ROCPRIM_400000_NS6detail17trampoline_kernelINS0_14default_configENS1_27scan_by_key_config_selectorIssEEZZNS1_16scan_by_key_implILNS1_25lookback_scan_determinismE0ELb1ES3_N6thrust23THRUST_200600_302600_NS6detail15normal_iteratorINS9_10device_ptrIsEEEESE_SE_sNS9_4plusIvEENS9_8equal_toIsEEsEE10hipError_tPvRmT2_T3_T4_T5_mT6_T7_P12ihipStream_tbENKUlT_T0_E_clISt17integral_constantIbLb0EESY_IbLb1EEEEDaSU_SV_EUlSU_E_NS1_11comp_targetILNS1_3genE9ELNS1_11target_archE1100ELNS1_3gpuE3ELNS1_3repE0EEENS1_30default_config_static_selectorELNS0_4arch9wavefront6targetE0EEEvT1_
		.amdhsa_group_segment_fixed_size 0
		.amdhsa_private_segment_fixed_size 0
		.amdhsa_kernarg_size 112
		.amdhsa_user_sgpr_count 6
		.amdhsa_user_sgpr_private_segment_buffer 1
		.amdhsa_user_sgpr_dispatch_ptr 0
		.amdhsa_user_sgpr_queue_ptr 0
		.amdhsa_user_sgpr_kernarg_segment_ptr 1
		.amdhsa_user_sgpr_dispatch_id 0
		.amdhsa_user_sgpr_flat_scratch_init 0
		.amdhsa_user_sgpr_private_segment_size 0
		.amdhsa_wavefront_size32 1
		.amdhsa_uses_dynamic_stack 0
		.amdhsa_system_sgpr_private_segment_wavefront_offset 0
		.amdhsa_system_sgpr_workgroup_id_x 1
		.amdhsa_system_sgpr_workgroup_id_y 0
		.amdhsa_system_sgpr_workgroup_id_z 0
		.amdhsa_system_sgpr_workgroup_info 0
		.amdhsa_system_vgpr_workitem_id 0
		.amdhsa_next_free_vgpr 1
		.amdhsa_next_free_sgpr 1
		.amdhsa_reserve_vcc 0
		.amdhsa_reserve_flat_scratch 0
		.amdhsa_float_round_mode_32 0
		.amdhsa_float_round_mode_16_64 0
		.amdhsa_float_denorm_mode_32 3
		.amdhsa_float_denorm_mode_16_64 3
		.amdhsa_dx10_clamp 1
		.amdhsa_ieee_mode 1
		.amdhsa_fp16_overflow 0
		.amdhsa_workgroup_processor_mode 1
		.amdhsa_memory_ordered 1
		.amdhsa_forward_progress 1
		.amdhsa_shared_vgpr_count 0
		.amdhsa_exception_fp_ieee_invalid_op 0
		.amdhsa_exception_fp_denorm_src 0
		.amdhsa_exception_fp_ieee_div_zero 0
		.amdhsa_exception_fp_ieee_overflow 0
		.amdhsa_exception_fp_ieee_underflow 0
		.amdhsa_exception_fp_ieee_inexact 0
		.amdhsa_exception_int_div_zero 0
	.end_amdhsa_kernel
	.section	.text._ZN7rocprim17ROCPRIM_400000_NS6detail17trampoline_kernelINS0_14default_configENS1_27scan_by_key_config_selectorIssEEZZNS1_16scan_by_key_implILNS1_25lookback_scan_determinismE0ELb1ES3_N6thrust23THRUST_200600_302600_NS6detail15normal_iteratorINS9_10device_ptrIsEEEESE_SE_sNS9_4plusIvEENS9_8equal_toIsEEsEE10hipError_tPvRmT2_T3_T4_T5_mT6_T7_P12ihipStream_tbENKUlT_T0_E_clISt17integral_constantIbLb0EESY_IbLb1EEEEDaSU_SV_EUlSU_E_NS1_11comp_targetILNS1_3genE9ELNS1_11target_archE1100ELNS1_3gpuE3ELNS1_3repE0EEENS1_30default_config_static_selectorELNS0_4arch9wavefront6targetE0EEEvT1_,"axG",@progbits,_ZN7rocprim17ROCPRIM_400000_NS6detail17trampoline_kernelINS0_14default_configENS1_27scan_by_key_config_selectorIssEEZZNS1_16scan_by_key_implILNS1_25lookback_scan_determinismE0ELb1ES3_N6thrust23THRUST_200600_302600_NS6detail15normal_iteratorINS9_10device_ptrIsEEEESE_SE_sNS9_4plusIvEENS9_8equal_toIsEEsEE10hipError_tPvRmT2_T3_T4_T5_mT6_T7_P12ihipStream_tbENKUlT_T0_E_clISt17integral_constantIbLb0EESY_IbLb1EEEEDaSU_SV_EUlSU_E_NS1_11comp_targetILNS1_3genE9ELNS1_11target_archE1100ELNS1_3gpuE3ELNS1_3repE0EEENS1_30default_config_static_selectorELNS0_4arch9wavefront6targetE0EEEvT1_,comdat
.Lfunc_end675:
	.size	_ZN7rocprim17ROCPRIM_400000_NS6detail17trampoline_kernelINS0_14default_configENS1_27scan_by_key_config_selectorIssEEZZNS1_16scan_by_key_implILNS1_25lookback_scan_determinismE0ELb1ES3_N6thrust23THRUST_200600_302600_NS6detail15normal_iteratorINS9_10device_ptrIsEEEESE_SE_sNS9_4plusIvEENS9_8equal_toIsEEsEE10hipError_tPvRmT2_T3_T4_T5_mT6_T7_P12ihipStream_tbENKUlT_T0_E_clISt17integral_constantIbLb0EESY_IbLb1EEEEDaSU_SV_EUlSU_E_NS1_11comp_targetILNS1_3genE9ELNS1_11target_archE1100ELNS1_3gpuE3ELNS1_3repE0EEENS1_30default_config_static_selectorELNS0_4arch9wavefront6targetE0EEEvT1_, .Lfunc_end675-_ZN7rocprim17ROCPRIM_400000_NS6detail17trampoline_kernelINS0_14default_configENS1_27scan_by_key_config_selectorIssEEZZNS1_16scan_by_key_implILNS1_25lookback_scan_determinismE0ELb1ES3_N6thrust23THRUST_200600_302600_NS6detail15normal_iteratorINS9_10device_ptrIsEEEESE_SE_sNS9_4plusIvEENS9_8equal_toIsEEsEE10hipError_tPvRmT2_T3_T4_T5_mT6_T7_P12ihipStream_tbENKUlT_T0_E_clISt17integral_constantIbLb0EESY_IbLb1EEEEDaSU_SV_EUlSU_E_NS1_11comp_targetILNS1_3genE9ELNS1_11target_archE1100ELNS1_3gpuE3ELNS1_3repE0EEENS1_30default_config_static_selectorELNS0_4arch9wavefront6targetE0EEEvT1_
                                        ; -- End function
	.set _ZN7rocprim17ROCPRIM_400000_NS6detail17trampoline_kernelINS0_14default_configENS1_27scan_by_key_config_selectorIssEEZZNS1_16scan_by_key_implILNS1_25lookback_scan_determinismE0ELb1ES3_N6thrust23THRUST_200600_302600_NS6detail15normal_iteratorINS9_10device_ptrIsEEEESE_SE_sNS9_4plusIvEENS9_8equal_toIsEEsEE10hipError_tPvRmT2_T3_T4_T5_mT6_T7_P12ihipStream_tbENKUlT_T0_E_clISt17integral_constantIbLb0EESY_IbLb1EEEEDaSU_SV_EUlSU_E_NS1_11comp_targetILNS1_3genE9ELNS1_11target_archE1100ELNS1_3gpuE3ELNS1_3repE0EEENS1_30default_config_static_selectorELNS0_4arch9wavefront6targetE0EEEvT1_.num_vgpr, 0
	.set _ZN7rocprim17ROCPRIM_400000_NS6detail17trampoline_kernelINS0_14default_configENS1_27scan_by_key_config_selectorIssEEZZNS1_16scan_by_key_implILNS1_25lookback_scan_determinismE0ELb1ES3_N6thrust23THRUST_200600_302600_NS6detail15normal_iteratorINS9_10device_ptrIsEEEESE_SE_sNS9_4plusIvEENS9_8equal_toIsEEsEE10hipError_tPvRmT2_T3_T4_T5_mT6_T7_P12ihipStream_tbENKUlT_T0_E_clISt17integral_constantIbLb0EESY_IbLb1EEEEDaSU_SV_EUlSU_E_NS1_11comp_targetILNS1_3genE9ELNS1_11target_archE1100ELNS1_3gpuE3ELNS1_3repE0EEENS1_30default_config_static_selectorELNS0_4arch9wavefront6targetE0EEEvT1_.num_agpr, 0
	.set _ZN7rocprim17ROCPRIM_400000_NS6detail17trampoline_kernelINS0_14default_configENS1_27scan_by_key_config_selectorIssEEZZNS1_16scan_by_key_implILNS1_25lookback_scan_determinismE0ELb1ES3_N6thrust23THRUST_200600_302600_NS6detail15normal_iteratorINS9_10device_ptrIsEEEESE_SE_sNS9_4plusIvEENS9_8equal_toIsEEsEE10hipError_tPvRmT2_T3_T4_T5_mT6_T7_P12ihipStream_tbENKUlT_T0_E_clISt17integral_constantIbLb0EESY_IbLb1EEEEDaSU_SV_EUlSU_E_NS1_11comp_targetILNS1_3genE9ELNS1_11target_archE1100ELNS1_3gpuE3ELNS1_3repE0EEENS1_30default_config_static_selectorELNS0_4arch9wavefront6targetE0EEEvT1_.numbered_sgpr, 0
	.set _ZN7rocprim17ROCPRIM_400000_NS6detail17trampoline_kernelINS0_14default_configENS1_27scan_by_key_config_selectorIssEEZZNS1_16scan_by_key_implILNS1_25lookback_scan_determinismE0ELb1ES3_N6thrust23THRUST_200600_302600_NS6detail15normal_iteratorINS9_10device_ptrIsEEEESE_SE_sNS9_4plusIvEENS9_8equal_toIsEEsEE10hipError_tPvRmT2_T3_T4_T5_mT6_T7_P12ihipStream_tbENKUlT_T0_E_clISt17integral_constantIbLb0EESY_IbLb1EEEEDaSU_SV_EUlSU_E_NS1_11comp_targetILNS1_3genE9ELNS1_11target_archE1100ELNS1_3gpuE3ELNS1_3repE0EEENS1_30default_config_static_selectorELNS0_4arch9wavefront6targetE0EEEvT1_.num_named_barrier, 0
	.set _ZN7rocprim17ROCPRIM_400000_NS6detail17trampoline_kernelINS0_14default_configENS1_27scan_by_key_config_selectorIssEEZZNS1_16scan_by_key_implILNS1_25lookback_scan_determinismE0ELb1ES3_N6thrust23THRUST_200600_302600_NS6detail15normal_iteratorINS9_10device_ptrIsEEEESE_SE_sNS9_4plusIvEENS9_8equal_toIsEEsEE10hipError_tPvRmT2_T3_T4_T5_mT6_T7_P12ihipStream_tbENKUlT_T0_E_clISt17integral_constantIbLb0EESY_IbLb1EEEEDaSU_SV_EUlSU_E_NS1_11comp_targetILNS1_3genE9ELNS1_11target_archE1100ELNS1_3gpuE3ELNS1_3repE0EEENS1_30default_config_static_selectorELNS0_4arch9wavefront6targetE0EEEvT1_.private_seg_size, 0
	.set _ZN7rocprim17ROCPRIM_400000_NS6detail17trampoline_kernelINS0_14default_configENS1_27scan_by_key_config_selectorIssEEZZNS1_16scan_by_key_implILNS1_25lookback_scan_determinismE0ELb1ES3_N6thrust23THRUST_200600_302600_NS6detail15normal_iteratorINS9_10device_ptrIsEEEESE_SE_sNS9_4plusIvEENS9_8equal_toIsEEsEE10hipError_tPvRmT2_T3_T4_T5_mT6_T7_P12ihipStream_tbENKUlT_T0_E_clISt17integral_constantIbLb0EESY_IbLb1EEEEDaSU_SV_EUlSU_E_NS1_11comp_targetILNS1_3genE9ELNS1_11target_archE1100ELNS1_3gpuE3ELNS1_3repE0EEENS1_30default_config_static_selectorELNS0_4arch9wavefront6targetE0EEEvT1_.uses_vcc, 0
	.set _ZN7rocprim17ROCPRIM_400000_NS6detail17trampoline_kernelINS0_14default_configENS1_27scan_by_key_config_selectorIssEEZZNS1_16scan_by_key_implILNS1_25lookback_scan_determinismE0ELb1ES3_N6thrust23THRUST_200600_302600_NS6detail15normal_iteratorINS9_10device_ptrIsEEEESE_SE_sNS9_4plusIvEENS9_8equal_toIsEEsEE10hipError_tPvRmT2_T3_T4_T5_mT6_T7_P12ihipStream_tbENKUlT_T0_E_clISt17integral_constantIbLb0EESY_IbLb1EEEEDaSU_SV_EUlSU_E_NS1_11comp_targetILNS1_3genE9ELNS1_11target_archE1100ELNS1_3gpuE3ELNS1_3repE0EEENS1_30default_config_static_selectorELNS0_4arch9wavefront6targetE0EEEvT1_.uses_flat_scratch, 0
	.set _ZN7rocprim17ROCPRIM_400000_NS6detail17trampoline_kernelINS0_14default_configENS1_27scan_by_key_config_selectorIssEEZZNS1_16scan_by_key_implILNS1_25lookback_scan_determinismE0ELb1ES3_N6thrust23THRUST_200600_302600_NS6detail15normal_iteratorINS9_10device_ptrIsEEEESE_SE_sNS9_4plusIvEENS9_8equal_toIsEEsEE10hipError_tPvRmT2_T3_T4_T5_mT6_T7_P12ihipStream_tbENKUlT_T0_E_clISt17integral_constantIbLb0EESY_IbLb1EEEEDaSU_SV_EUlSU_E_NS1_11comp_targetILNS1_3genE9ELNS1_11target_archE1100ELNS1_3gpuE3ELNS1_3repE0EEENS1_30default_config_static_selectorELNS0_4arch9wavefront6targetE0EEEvT1_.has_dyn_sized_stack, 0
	.set _ZN7rocprim17ROCPRIM_400000_NS6detail17trampoline_kernelINS0_14default_configENS1_27scan_by_key_config_selectorIssEEZZNS1_16scan_by_key_implILNS1_25lookback_scan_determinismE0ELb1ES3_N6thrust23THRUST_200600_302600_NS6detail15normal_iteratorINS9_10device_ptrIsEEEESE_SE_sNS9_4plusIvEENS9_8equal_toIsEEsEE10hipError_tPvRmT2_T3_T4_T5_mT6_T7_P12ihipStream_tbENKUlT_T0_E_clISt17integral_constantIbLb0EESY_IbLb1EEEEDaSU_SV_EUlSU_E_NS1_11comp_targetILNS1_3genE9ELNS1_11target_archE1100ELNS1_3gpuE3ELNS1_3repE0EEENS1_30default_config_static_selectorELNS0_4arch9wavefront6targetE0EEEvT1_.has_recursion, 0
	.set _ZN7rocprim17ROCPRIM_400000_NS6detail17trampoline_kernelINS0_14default_configENS1_27scan_by_key_config_selectorIssEEZZNS1_16scan_by_key_implILNS1_25lookback_scan_determinismE0ELb1ES3_N6thrust23THRUST_200600_302600_NS6detail15normal_iteratorINS9_10device_ptrIsEEEESE_SE_sNS9_4plusIvEENS9_8equal_toIsEEsEE10hipError_tPvRmT2_T3_T4_T5_mT6_T7_P12ihipStream_tbENKUlT_T0_E_clISt17integral_constantIbLb0EESY_IbLb1EEEEDaSU_SV_EUlSU_E_NS1_11comp_targetILNS1_3genE9ELNS1_11target_archE1100ELNS1_3gpuE3ELNS1_3repE0EEENS1_30default_config_static_selectorELNS0_4arch9wavefront6targetE0EEEvT1_.has_indirect_call, 0
	.section	.AMDGPU.csdata,"",@progbits
; Kernel info:
; codeLenInByte = 0
; TotalNumSgprs: 0
; NumVgprs: 0
; ScratchSize: 0
; MemoryBound: 0
; FloatMode: 240
; IeeeMode: 1
; LDSByteSize: 0 bytes/workgroup (compile time only)
; SGPRBlocks: 0
; VGPRBlocks: 0
; NumSGPRsForWavesPerEU: 1
; NumVGPRsForWavesPerEU: 1
; Occupancy: 16
; WaveLimiterHint : 0
; COMPUTE_PGM_RSRC2:SCRATCH_EN: 0
; COMPUTE_PGM_RSRC2:USER_SGPR: 6
; COMPUTE_PGM_RSRC2:TRAP_HANDLER: 0
; COMPUTE_PGM_RSRC2:TGID_X_EN: 1
; COMPUTE_PGM_RSRC2:TGID_Y_EN: 0
; COMPUTE_PGM_RSRC2:TGID_Z_EN: 0
; COMPUTE_PGM_RSRC2:TIDIG_COMP_CNT: 0
	.section	.text._ZN7rocprim17ROCPRIM_400000_NS6detail17trampoline_kernelINS0_14default_configENS1_27scan_by_key_config_selectorIssEEZZNS1_16scan_by_key_implILNS1_25lookback_scan_determinismE0ELb1ES3_N6thrust23THRUST_200600_302600_NS6detail15normal_iteratorINS9_10device_ptrIsEEEESE_SE_sNS9_4plusIvEENS9_8equal_toIsEEsEE10hipError_tPvRmT2_T3_T4_T5_mT6_T7_P12ihipStream_tbENKUlT_T0_E_clISt17integral_constantIbLb0EESY_IbLb1EEEEDaSU_SV_EUlSU_E_NS1_11comp_targetILNS1_3genE8ELNS1_11target_archE1030ELNS1_3gpuE2ELNS1_3repE0EEENS1_30default_config_static_selectorELNS0_4arch9wavefront6targetE0EEEvT1_,"axG",@progbits,_ZN7rocprim17ROCPRIM_400000_NS6detail17trampoline_kernelINS0_14default_configENS1_27scan_by_key_config_selectorIssEEZZNS1_16scan_by_key_implILNS1_25lookback_scan_determinismE0ELb1ES3_N6thrust23THRUST_200600_302600_NS6detail15normal_iteratorINS9_10device_ptrIsEEEESE_SE_sNS9_4plusIvEENS9_8equal_toIsEEsEE10hipError_tPvRmT2_T3_T4_T5_mT6_T7_P12ihipStream_tbENKUlT_T0_E_clISt17integral_constantIbLb0EESY_IbLb1EEEEDaSU_SV_EUlSU_E_NS1_11comp_targetILNS1_3genE8ELNS1_11target_archE1030ELNS1_3gpuE2ELNS1_3repE0EEENS1_30default_config_static_selectorELNS0_4arch9wavefront6targetE0EEEvT1_,comdat
	.protected	_ZN7rocprim17ROCPRIM_400000_NS6detail17trampoline_kernelINS0_14default_configENS1_27scan_by_key_config_selectorIssEEZZNS1_16scan_by_key_implILNS1_25lookback_scan_determinismE0ELb1ES3_N6thrust23THRUST_200600_302600_NS6detail15normal_iteratorINS9_10device_ptrIsEEEESE_SE_sNS9_4plusIvEENS9_8equal_toIsEEsEE10hipError_tPvRmT2_T3_T4_T5_mT6_T7_P12ihipStream_tbENKUlT_T0_E_clISt17integral_constantIbLb0EESY_IbLb1EEEEDaSU_SV_EUlSU_E_NS1_11comp_targetILNS1_3genE8ELNS1_11target_archE1030ELNS1_3gpuE2ELNS1_3repE0EEENS1_30default_config_static_selectorELNS0_4arch9wavefront6targetE0EEEvT1_ ; -- Begin function _ZN7rocprim17ROCPRIM_400000_NS6detail17trampoline_kernelINS0_14default_configENS1_27scan_by_key_config_selectorIssEEZZNS1_16scan_by_key_implILNS1_25lookback_scan_determinismE0ELb1ES3_N6thrust23THRUST_200600_302600_NS6detail15normal_iteratorINS9_10device_ptrIsEEEESE_SE_sNS9_4plusIvEENS9_8equal_toIsEEsEE10hipError_tPvRmT2_T3_T4_T5_mT6_T7_P12ihipStream_tbENKUlT_T0_E_clISt17integral_constantIbLb0EESY_IbLb1EEEEDaSU_SV_EUlSU_E_NS1_11comp_targetILNS1_3genE8ELNS1_11target_archE1030ELNS1_3gpuE2ELNS1_3repE0EEENS1_30default_config_static_selectorELNS0_4arch9wavefront6targetE0EEEvT1_
	.globl	_ZN7rocprim17ROCPRIM_400000_NS6detail17trampoline_kernelINS0_14default_configENS1_27scan_by_key_config_selectorIssEEZZNS1_16scan_by_key_implILNS1_25lookback_scan_determinismE0ELb1ES3_N6thrust23THRUST_200600_302600_NS6detail15normal_iteratorINS9_10device_ptrIsEEEESE_SE_sNS9_4plusIvEENS9_8equal_toIsEEsEE10hipError_tPvRmT2_T3_T4_T5_mT6_T7_P12ihipStream_tbENKUlT_T0_E_clISt17integral_constantIbLb0EESY_IbLb1EEEEDaSU_SV_EUlSU_E_NS1_11comp_targetILNS1_3genE8ELNS1_11target_archE1030ELNS1_3gpuE2ELNS1_3repE0EEENS1_30default_config_static_selectorELNS0_4arch9wavefront6targetE0EEEvT1_
	.p2align	8
	.type	_ZN7rocprim17ROCPRIM_400000_NS6detail17trampoline_kernelINS0_14default_configENS1_27scan_by_key_config_selectorIssEEZZNS1_16scan_by_key_implILNS1_25lookback_scan_determinismE0ELb1ES3_N6thrust23THRUST_200600_302600_NS6detail15normal_iteratorINS9_10device_ptrIsEEEESE_SE_sNS9_4plusIvEENS9_8equal_toIsEEsEE10hipError_tPvRmT2_T3_T4_T5_mT6_T7_P12ihipStream_tbENKUlT_T0_E_clISt17integral_constantIbLb0EESY_IbLb1EEEEDaSU_SV_EUlSU_E_NS1_11comp_targetILNS1_3genE8ELNS1_11target_archE1030ELNS1_3gpuE2ELNS1_3repE0EEENS1_30default_config_static_selectorELNS0_4arch9wavefront6targetE0EEEvT1_,@function
_ZN7rocprim17ROCPRIM_400000_NS6detail17trampoline_kernelINS0_14default_configENS1_27scan_by_key_config_selectorIssEEZZNS1_16scan_by_key_implILNS1_25lookback_scan_determinismE0ELb1ES3_N6thrust23THRUST_200600_302600_NS6detail15normal_iteratorINS9_10device_ptrIsEEEESE_SE_sNS9_4plusIvEENS9_8equal_toIsEEsEE10hipError_tPvRmT2_T3_T4_T5_mT6_T7_P12ihipStream_tbENKUlT_T0_E_clISt17integral_constantIbLb0EESY_IbLb1EEEEDaSU_SV_EUlSU_E_NS1_11comp_targetILNS1_3genE8ELNS1_11target_archE1030ELNS1_3gpuE2ELNS1_3repE0EEENS1_30default_config_static_selectorELNS0_4arch9wavefront6targetE0EEEvT1_: ; @_ZN7rocprim17ROCPRIM_400000_NS6detail17trampoline_kernelINS0_14default_configENS1_27scan_by_key_config_selectorIssEEZZNS1_16scan_by_key_implILNS1_25lookback_scan_determinismE0ELb1ES3_N6thrust23THRUST_200600_302600_NS6detail15normal_iteratorINS9_10device_ptrIsEEEESE_SE_sNS9_4plusIvEENS9_8equal_toIsEEsEE10hipError_tPvRmT2_T3_T4_T5_mT6_T7_P12ihipStream_tbENKUlT_T0_E_clISt17integral_constantIbLb0EESY_IbLb1EEEEDaSU_SV_EUlSU_E_NS1_11comp_targetILNS1_3genE8ELNS1_11target_archE1030ELNS1_3gpuE2ELNS1_3repE0EEENS1_30default_config_static_selectorELNS0_4arch9wavefront6targetE0EEEvT1_
; %bb.0:
	s_clause 0x2
	s_load_dword s28, s[4:5], 0x20
	s_load_dwordx4 s[16:19], s[4:5], 0x28
	s_load_dwordx2 s[26:27], s[4:5], 0x38
	v_cmp_ne_u32_e64 s1, 0, v0
	v_cmp_eq_u32_e64 s0, 0, v0
	s_and_saveexec_b32 s2, s0
	s_cbranch_execz .LBB676_4
; %bb.1:
	s_mov_b32 s6, exec_lo
	s_mov_b32 s3, exec_lo
	v_mbcnt_lo_u32_b32 v1, s6, 0
                                        ; implicit-def: $vgpr2
	v_cmpx_eq_u32_e32 0, v1
	s_cbranch_execz .LBB676_3
; %bb.2:
	s_load_dwordx2 s[8:9], s[4:5], 0x68
	s_bcnt1_i32_b32 s6, s6
	v_mov_b32_e32 v2, 0
	v_mov_b32_e32 v3, s6
	s_waitcnt lgkmcnt(0)
	global_atomic_add v2, v2, v3, s[8:9] glc
.LBB676_3:
	s_or_b32 exec_lo, exec_lo, s3
	s_waitcnt vmcnt(0)
	v_readfirstlane_b32 s3, v2
	v_mov_b32_e32 v2, 0
	v_add_nc_u32_e32 v1, s3, v1
	ds_write_b32 v2, v1
.LBB676_4:
	s_or_b32 exec_lo, exec_lo, s2
	v_mov_b32_e32 v2, 0
	s_clause 0x2
	s_load_dwordx8 s[8:15], s[4:5], 0x0
	s_load_dword s2, s[4:5], 0x40
	s_load_dwordx4 s[20:23], s[4:5], 0x48
	s_waitcnt lgkmcnt(0)
	s_barrier
	buffer_gl0_inv
	ds_read_b32 v5, v2
	s_waitcnt lgkmcnt(0)
	s_barrier
	buffer_gl0_inv
	s_barrier
	buffer_gl0_inv
	s_lshl_b64 s[24:25], s[10:11], 1
	s_mul_i32 s3, s27, s2
	s_add_u32 s6, s8, s24
	s_mul_hi_u32 s4, s26, s2
	s_mul_i32 s2, s26, s2
	s_addc_u32 s7, s9, s25
	v_mul_lo_u32 v1, 0x280, v5
	s_add_u32 s8, s12, s24
	s_addc_u32 s9, s13, s25
	s_add_i32 s4, s4, s3
	v_add_co_u32 v3, s2, s2, v5
	v_add_co_ci_u32_e64 v4, null, s4, 0, s2
	v_lshlrev_b64 v[9:10], 1, v[1:2]
	s_add_u32 s4, s20, -1
	s_addc_u32 s5, s21, -1
	v_readfirstlane_b32 s20, v5
	v_cmp_le_u64_e64 s2, s[4:5], v[3:4]
	s_mul_i32 s19, s4, 0xfffffd80
	v_add_co_u32 v11, vcc_lo, s6, v9
	v_add_co_ci_u32_e64 v12, null, s7, v10, vcc_lo
	v_add_co_u32 v26, vcc_lo, s8, v9
	v_add_co_ci_u32_e64 v27, null, s9, v10, vcc_lo
	s_and_b32 vcc_lo, exec_lo, s2
	s_cbranch_vccz .LBB676_59
; %bb.5:
	flat_load_ushort v1, v[11:12]
	s_add_i32 s13, s19, s18
	v_cmp_gt_u32_e64 s11, s13, v0
	s_waitcnt vmcnt(0) lgkmcnt(0)
	v_mov_b32_e32 v2, v1
	s_and_saveexec_b32 s3, s11
	s_cbranch_execz .LBB676_7
; %bb.6:
	v_lshlrev_b32_e32 v2, 1, v0
	v_add_co_u32 v2, vcc_lo, v11, v2
	v_add_co_ci_u32_e64 v3, null, 0, v12, vcc_lo
	flat_load_ushort v2, v[2:3]
.LBB676_7:
	s_or_b32 exec_lo, exec_lo, s3
	v_or_b32_e32 v3, 64, v0
	v_cmp_gt_u32_e64 s10, s13, v3
	v_mov_b32_e32 v3, v1
	s_and_saveexec_b32 s3, s10
	s_cbranch_execz .LBB676_9
; %bb.8:
	v_lshlrev_b32_e32 v3, 1, v0
	v_add_co_u32 v3, vcc_lo, v11, v3
	v_add_co_ci_u32_e64 v4, null, 0, v12, vcc_lo
	flat_load_ushort v3, v[3:4] offset:128
.LBB676_9:
	s_or_b32 exec_lo, exec_lo, s3
	v_or_b32_e32 v4, 0x80, v0
	v_cmp_gt_u32_e64 s9, s13, v4
	v_mov_b32_e32 v4, v1
	s_and_saveexec_b32 s3, s9
	s_cbranch_execz .LBB676_11
; %bb.10:
	v_lshlrev_b32_e32 v4, 1, v0
	v_add_co_u32 v4, vcc_lo, v11, v4
	v_add_co_ci_u32_e64 v5, null, 0, v12, vcc_lo
	flat_load_ushort v4, v[4:5] offset:256
.LBB676_11:
	;; [unrolled: 12-line block ×8, first 2 shown]
	s_or_b32 exec_lo, exec_lo, s12
	v_or_b32_e32 v15, 0x240, v0
	v_cmp_le_u32_e64 s12, s13, v15
	v_cmp_gt_u32_e32 vcc_lo, s13, v15
	s_and_saveexec_b32 s21, s12
	s_xor_b32 s12, exec_lo, s21
	s_andn2_saveexec_b32 s21, s12
	s_cbranch_execz .LBB676_25
; %bb.24:
	v_lshlrev_b32_e32 v1, 1, v0
	v_add_co_u32 v15, s12, v11, v1
	v_add_co_ci_u32_e64 v16, null, 0, v12, s12
	flat_load_ushort v1, v[15:16] offset:1152
.LBB676_25:
	s_or_b32 exec_lo, exec_lo, s21
	v_lshlrev_b32_e32 v17, 1, v0
	s_mov_b32 s21, exec_lo
	s_waitcnt vmcnt(0) lgkmcnt(0)
	ds_write_b16 v17, v2
	ds_write_b16 v17, v3 offset:128
	ds_write_b16 v17, v4 offset:256
	;; [unrolled: 1-line block ×9, first 2 shown]
	s_waitcnt lgkmcnt(0)
	s_barrier
	buffer_gl0_inv
	flat_load_ushort v29, v[11:12]
	v_mad_u32_u24 v28, v0, 18, v17
	ds_read2_b32 v[15:16], v28 offset1:1
	ds_read2_b32 v[13:14], v28 offset0:2 offset1:3
	ds_read_b32 v30, v28 offset:16
	v_mad_i32_i24 v1, 0xffffffee, v0, v28
	s_waitcnt lgkmcnt(2)
	ds_write_b16 v1, v15 offset:1408
	s_waitcnt vmcnt(0) lgkmcnt(0)
	s_barrier
	buffer_gl0_inv
	v_cmpx_ne_u32_e32 63, v0
; %bb.26:
	v_mul_i32_i24_e32 v1, 0xffffffee, v0
	v_add_nc_u32_e32 v1, v28, v1
	ds_read_u16 v29, v1 offset:1410
; %bb.27:
	s_or_b32 exec_lo, exec_lo, s21
	v_mov_b32_e32 v1, 0
	v_lshlrev_b32_e32 v18, 1, v0
	s_waitcnt lgkmcnt(0)
	s_barrier
	buffer_gl0_inv
	v_mov_b32_e32 v2, v1
	v_mov_b32_e32 v3, v1
	;; [unrolled: 1-line block ×4, first 2 shown]
	s_and_saveexec_b32 s12, s11
	s_cbranch_execnz .LBB676_185
; %bb.28:
	s_or_b32 exec_lo, exec_lo, s12
	s_and_saveexec_b32 s11, s10
	s_cbranch_execnz .LBB676_186
.LBB676_29:
	s_or_b32 exec_lo, exec_lo, s11
	s_and_saveexec_b32 s10, s9
	s_cbranch_execnz .LBB676_187
.LBB676_30:
	s_or_b32 exec_lo, exec_lo, s10
	s_and_saveexec_b32 s9, s8
	s_cbranch_execnz .LBB676_188
.LBB676_31:
	s_or_b32 exec_lo, exec_lo, s9
	s_and_saveexec_b32 s8, s7
	s_cbranch_execnz .LBB676_189
.LBB676_32:
	s_or_b32 exec_lo, exec_lo, s8
	s_and_saveexec_b32 s7, s6
	s_cbranch_execnz .LBB676_190
.LBB676_33:
	s_or_b32 exec_lo, exec_lo, s7
	s_and_saveexec_b32 s6, s5
	s_cbranch_execnz .LBB676_191
.LBB676_34:
	s_or_b32 exec_lo, exec_lo, s6
	s_and_saveexec_b32 s5, s4
	s_cbranch_execnz .LBB676_192
.LBB676_35:
	s_or_b32 exec_lo, exec_lo, s5
	s_and_saveexec_b32 s4, s3
	s_cbranch_execnz .LBB676_193
.LBB676_36:
	s_or_b32 exec_lo, exec_lo, s4
	v_mul_u32_u24_e32 v35, 10, v0
	s_and_saveexec_b32 s3, vcc_lo
	s_cbranch_execz .LBB676_38
.LBB676_37:
	v_add_co_u32 v6, vcc_lo, v26, v18
	v_add_co_ci_u32_e64 v7, null, 0, v27, vcc_lo
	s_waitcnt vmcnt(0) lgkmcnt(0)
	flat_load_short_d16_hi v5, v[6:7] offset:1152
.LBB676_38:
	s_or_b32 exec_lo, exec_lo, s3
	s_waitcnt vmcnt(0) lgkmcnt(0)
	ds_write_b16 v17, v1
	ds_write_b16_d16_hi v17, v1 offset:128
	ds_write_b16 v17, v2 offset:256
	ds_write_b16_d16_hi v17, v2 offset:384
	ds_write_b16 v17, v3 offset:512
	;; [unrolled: 2-line block ×4, first 2 shown]
	ds_write_b16_d16_hi v17, v5 offset:1152
	v_cmp_gt_u32_e32 vcc_lo, s13, v35
	v_mov_b32_e32 v23, 0
	v_mov_b32_e32 v1, 0
	;; [unrolled: 1-line block ×17, first 2 shown]
	s_mov_b32 s4, 0
	s_mov_b32 s3, 0
	s_waitcnt lgkmcnt(0)
	s_barrier
	buffer_gl0_inv
                                        ; implicit-def: $sgpr6
                                        ; implicit-def: $vgpr8
	s_and_saveexec_b32 s5, vcc_lo
	s_cbranch_execz .LBB676_58
; %bb.39:
	ds_read_u16 v2, v28
	v_cmp_eq_u16_sdwa vcc_lo, v15, v15 src0_sel:DWORD src1_sel:WORD_1
	v_mov_b32_e32 v1, 0
	v_or_b32_e32 v3, 1, v35
	v_mov_b32_e32 v34, 0
	v_mov_b32_e32 v33, 0
	;; [unrolled: 1-line block ×13, first 2 shown]
	v_cndmask_b32_e64 v25, 0x10000, 0, vcc_lo
	v_mov_b32_e32 v17, 0
	s_mov_b32 s8, 0
	s_waitcnt lgkmcnt(0)
	v_cndmask_b32_e32 v23, s28, v2, vcc_lo
	s_mov_b32 s7, exec_lo
                                        ; implicit-def: $sgpr6
                                        ; implicit-def: $vgpr8
	v_cmpx_gt_u32_e64 s13, v3
	s_cbranch_execz .LBB676_57
; %bb.40:
	ds_read_b128 v[1:4], v28 offset:2
	v_cmp_eq_u16_sdwa vcc_lo, v15, v16 src0_sel:WORD_1 src1_sel:DWORD
	v_add_nc_u32_e32 v8, 2, v35
	v_mov_b32_e32 v34, 0
	v_mov_b32_e32 v33, 0
	;; [unrolled: 1-line block ×12, first 2 shown]
	v_cmp_gt_u32_e64 s3, s13, v8
	v_cndmask_b32_e64 v24, 0x10000, 0, vcc_lo
	v_mov_b32_e32 v17, 0
	s_mov_b32 s9, 0
                                        ; implicit-def: $sgpr6
                                        ; implicit-def: $vgpr8
	s_waitcnt lgkmcnt(0)
	v_cndmask_b32_e32 v15, s28, v1, vcc_lo
	s_and_saveexec_b32 s8, s3
	s_cbranch_execz .LBB676_56
; %bb.41:
	v_add_nc_u32_e32 v5, 3, v35
	v_cmp_eq_u16_sdwa vcc_lo, v16, v16 src0_sel:DWORD src1_sel:WORD_1
	v_mov_b32_e32 v33, 0
	v_mov_b32_e32 v32, 0
	;; [unrolled: 1-line block ×3, first 2 shown]
	v_cmp_gt_u32_e64 s3, s13, v5
	v_cndmask_b32_e64 v22, 0x10000, 0, vcc_lo
	v_cndmask_b32_sdwa v1, s28, v1, vcc_lo dst_sel:DWORD dst_unused:UNUSED_PAD src0_sel:DWORD src1_sel:WORD_1
	v_mov_b32_e32 v7, 0
	v_mov_b32_e32 v6, 0
	;; [unrolled: 1-line block ×8, first 2 shown]
	s_mov_b32 s10, 0
                                        ; implicit-def: $sgpr6
                                        ; implicit-def: $vgpr8
	s_and_saveexec_b32 s9, s3
	s_cbranch_execz .LBB676_55
; %bb.42:
	v_cmp_eq_u16_sdwa vcc_lo, v16, v13 src0_sel:WORD_1 src1_sel:DWORD
	v_add_nc_u32_e32 v5, 4, v35
	v_mov_b32_e32 v32, 0
	v_mov_b32_e32 v31, 0
	;; [unrolled: 1-line block ×3, first 2 shown]
	v_cndmask_b32_e32 v16, s28, v2, vcc_lo
	v_cndmask_b32_e64 v21, 0x10000, 0, vcc_lo
	v_cmp_gt_u32_e32 vcc_lo, s13, v5
	v_mov_b32_e32 v6, 0
	v_mov_b32_e32 v5, 0
	;; [unrolled: 1-line block ×6, first 2 shown]
	s_mov_b32 s3, 0
                                        ; implicit-def: $sgpr6
                                        ; implicit-def: $vgpr8
	s_and_saveexec_b32 s10, vcc_lo
	s_cbranch_execz .LBB676_54
; %bb.43:
	v_add_nc_u32_e32 v5, 5, v35
	v_cmp_eq_u16_sdwa vcc_lo, v13, v13 src0_sel:DWORD src1_sel:WORD_1
	v_mov_b32_e32 v31, 0
	v_mov_b32_e32 v7, 0
	;; [unrolled: 1-line block ×3, first 2 shown]
	v_cmp_gt_u32_e64 s3, s13, v5
	v_cndmask_b32_e64 v20, 0x10000, 0, vcc_lo
	v_cndmask_b32_sdwa v2, s28, v2, vcc_lo dst_sel:DWORD dst_unused:UNUSED_PAD src0_sel:DWORD src1_sel:WORD_1
	v_mov_b32_e32 v5, 0
	v_mov_b32_e32 v19, 0
	;; [unrolled: 1-line block ×4, first 2 shown]
	s_mov_b32 s12, 0
                                        ; implicit-def: $sgpr6
                                        ; implicit-def: $vgpr8
	s_and_saveexec_b32 s11, s3
	s_cbranch_execz .LBB676_53
; %bb.44:
	v_cmp_eq_u16_sdwa vcc_lo, v13, v14 src0_sel:WORD_1 src1_sel:DWORD
	v_add_nc_u32_e32 v5, 6, v35
	v_mov_b32_e32 v7, 0
	v_mov_b32_e32 v6, 0
	;; [unrolled: 1-line block ×3, first 2 shown]
	v_cndmask_b32_e32 v13, s28, v3, vcc_lo
	v_cndmask_b32_e64 v19, 0x10000, 0, vcc_lo
	v_cmp_gt_u32_e32 vcc_lo, s13, v5
	v_mov_b32_e32 v5, 0
	v_mov_b32_e32 v17, 0
	s_mov_b32 s3, 0
                                        ; implicit-def: $sgpr6
                                        ; implicit-def: $vgpr8
	s_and_saveexec_b32 s12, vcc_lo
	s_cbranch_execz .LBB676_52
; %bb.45:
	v_add_nc_u32_e32 v8, 7, v35
	v_cmp_eq_u16_sdwa vcc_lo, v14, v14 src0_sel:DWORD src1_sel:WORD_1
	v_mov_b32_e32 v6, 0
	v_mov_b32_e32 v5, 0
	;; [unrolled: 1-line block ×3, first 2 shown]
	v_cmp_gt_u32_e64 s3, s13, v8
	v_cndmask_b32_e64 v7, 0x10000, 0, vcc_lo
	v_cndmask_b32_sdwa v3, s28, v3, vcc_lo dst_sel:DWORD dst_unused:UNUSED_PAD src0_sel:DWORD src1_sel:WORD_1
	s_mov_b32 s29, 0
                                        ; implicit-def: $sgpr6
                                        ; implicit-def: $vgpr8
	s_and_saveexec_b32 s21, s3
	s_cbranch_execz .LBB676_51
; %bb.46:
	v_cmp_eq_u16_sdwa vcc_lo, v14, v30 src0_sel:WORD_1 src1_sel:DWORD
	v_add_nc_u32_e32 v8, 8, v35
	v_mov_b32_e32 v5, 0
                                        ; implicit-def: $sgpr6
	v_cndmask_b32_e32 v6, s28, v4, vcc_lo
	v_cndmask_b32_e64 v14, 0x10000, 0, vcc_lo
	v_cmp_gt_u32_e32 vcc_lo, s13, v8
                                        ; implicit-def: $vgpr8
	s_and_saveexec_b32 s3, vcc_lo
	s_cbranch_execz .LBB676_50
; %bb.47:
	v_cmp_eq_u16_sdwa vcc_lo, v30, v30 src0_sel:DWORD src1_sel:WORD_1
	v_add_nc_u32_e32 v8, 9, v35
                                        ; implicit-def: $sgpr6
	v_cndmask_b32_e64 v5, 0x10000, 0, vcc_lo
	v_cndmask_b32_sdwa v4, s28, v4, vcc_lo dst_sel:DWORD dst_unused:UNUSED_PAD src0_sel:DWORD src1_sel:WORD_1
	v_cmp_gt_u32_e32 vcc_lo, s13, v8
	s_mov_b32 s13, 0
                                        ; implicit-def: $vgpr8
	s_and_saveexec_b32 s29, vcc_lo
	s_xor_b32 s29, exec_lo, s29
	s_cbranch_execz .LBB676_49
; %bb.48:
	ds_read_u16 v8, v28 offset:18
	v_cmp_ne_u16_sdwa s6, v30, v29 src0_sel:WORD_1 src1_sel:DWORD
	s_mov_b32 s13, exec_lo
	s_waitcnt lgkmcnt(0)
	v_cndmask_b32_e64 v8, v8, s28, s6
.LBB676_49:
	s_or_b32 exec_lo, exec_lo, s29
	v_or_b32_sdwa v5, v5, v4 dst_sel:DWORD dst_unused:UNUSED_PAD src0_sel:DWORD src1_sel:WORD_0
	s_and_b32 s29, s13, exec_lo
.LBB676_50:
	s_or_b32 exec_lo, exec_lo, s3
	v_or_b32_sdwa v6, v14, v6 dst_sel:DWORD dst_unused:UNUSED_PAD src0_sel:DWORD src1_sel:WORD_0
	v_mov_b32_e32 v17, v5
	s_and_b32 s29, s29, exec_lo
.LBB676_51:
	s_or_b32 exec_lo, exec_lo, s21
	v_or_b32_sdwa v7, v7, v3 dst_sel:DWORD dst_unused:UNUSED_PAD src0_sel:DWORD src1_sel:WORD_0
	v_mov_b32_e32 v18, v6
	s_and_b32 s3, s29, exec_lo
.LBB676_52:
	s_or_b32 exec_lo, exec_lo, s12
	v_or_b32_sdwa v31, v19, v13 dst_sel:DWORD dst_unused:UNUSED_PAD src0_sel:DWORD src1_sel:WORD_0
	v_mov_b32_e32 v19, v7
	s_and_b32 s12, s3, exec_lo
.LBB676_53:
	s_or_b32 exec_lo, exec_lo, s11
	v_or_b32_sdwa v32, v20, v2 dst_sel:DWORD dst_unused:UNUSED_PAD src0_sel:DWORD src1_sel:WORD_0
	v_mov_b32_e32 v20, v31
	s_and_b32 s3, s12, exec_lo
.LBB676_54:
	s_or_b32 exec_lo, exec_lo, s10
	v_or_b32_sdwa v33, v21, v16 dst_sel:DWORD dst_unused:UNUSED_PAD src0_sel:DWORD src1_sel:WORD_0
	v_mov_b32_e32 v21, v32
	s_and_b32 s10, s3, exec_lo
.LBB676_55:
	s_or_b32 exec_lo, exec_lo, s9
	v_or_b32_sdwa v34, v22, v1 dst_sel:DWORD dst_unused:UNUSED_PAD src0_sel:DWORD src1_sel:WORD_0
	v_mov_b32_e32 v22, v33
	s_and_b32 s9, s10, exec_lo
.LBB676_56:
	s_or_b32 exec_lo, exec_lo, s8
	v_or_b32_sdwa v1, v24, v15 dst_sel:DWORD dst_unused:UNUSED_PAD src0_sel:DWORD src1_sel:WORD_0
	v_mov_b32_e32 v24, v34
	s_and_b32 s8, s9, exec_lo
.LBB676_57:
	s_or_b32 exec_lo, exec_lo, s7
	v_or_b32_sdwa v23, v25, v23 dst_sel:DWORD dst_unused:UNUSED_PAD src0_sel:DWORD src1_sel:WORD_0
	v_mov_b32_e32 v25, v1
	s_and_b32 s3, s8, exec_lo
.LBB676_58:
	s_or_b32 exec_lo, exec_lo, s5
	v_lshlrev_b32_e32 v13, 1, v0
	s_and_b32 vcc_lo, exec_lo, s4
	s_cbranch_vccnz .LBB676_60
	s_branch .LBB676_63
.LBB676_59:
	s_mov_b32 s3, 0
                                        ; implicit-def: $sgpr6
                                        ; implicit-def: $vgpr8
                                        ; implicit-def: $vgpr23
                                        ; implicit-def: $vgpr1
                                        ; implicit-def: $vgpr34
                                        ; implicit-def: $vgpr33
                                        ; implicit-def: $vgpr32
                                        ; implicit-def: $vgpr31
                                        ; implicit-def: $vgpr7
                                        ; implicit-def: $vgpr6
                                        ; implicit-def: $vgpr5
                                        ; implicit-def: $vgpr25
                                        ; implicit-def: $vgpr24
                                        ; implicit-def: $vgpr22
                                        ; implicit-def: $vgpr21
                                        ; implicit-def: $vgpr20
                                        ; implicit-def: $vgpr19
                                        ; implicit-def: $vgpr18
                                        ; implicit-def: $vgpr17
	v_lshlrev_b32_e32 v13, 1, v0
	s_cbranch_execz .LBB676_63
.LBB676_60:
	v_add_co_u32 v1, vcc_lo, v11, v13
	v_add_co_ci_u32_e64 v2, null, 0, v12, vcc_lo
	s_mov_b32 s3, exec_lo
	s_clause 0x9
	flat_load_ushort v3, v[1:2]
	flat_load_ushort v4, v[1:2] offset:128
	flat_load_ushort v5, v[1:2] offset:256
	;; [unrolled: 1-line block ×9, first 2 shown]
	s_waitcnt vmcnt(9) lgkmcnt(9)
	ds_write_b16 v13, v3
	s_waitcnt vmcnt(8) lgkmcnt(9)
	ds_write_b16 v13, v4 offset:128
	s_waitcnt vmcnt(7) lgkmcnt(9)
	ds_write_b16 v13, v5 offset:256
	;; [unrolled: 2-line block ×9, first 2 shown]
	s_waitcnt lgkmcnt(0)
	s_barrier
	buffer_gl0_inv
	flat_load_ushort v6, v[11:12] offset:1280
	v_mad_u32_u24 v5, v0, 18, v13
	ds_read2_b32 v[3:4], v5 offset1:1
	ds_read2_b32 v[1:2], v5 offset0:2 offset1:3
	ds_read_b32 v8, v5 offset:16
	v_mad_i32_i24 v7, 0xffffffee, v0, v5
	s_waitcnt lgkmcnt(2)
	ds_write_b16 v7, v3 offset:1408
	s_waitcnt vmcnt(0) lgkmcnt(0)
	s_barrier
	buffer_gl0_inv
	v_cmpx_ne_u32_e32 63, v0
; %bb.61:
	v_mul_i32_i24_e32 v6, 0xffffffee, v0
	v_add_nc_u32_e32 v6, v5, v6
	ds_read_u16 v6, v6 offset:1410
; %bb.62:
	s_or_b32 exec_lo, exec_lo, s3
	v_add_co_u32 v11, vcc_lo, v26, v13
	v_add_co_ci_u32_e64 v12, null, 0, v27, vcc_lo
	s_waitcnt lgkmcnt(0)
	s_barrier
	buffer_gl0_inv
	s_clause 0x9
	flat_load_ushort v7, v[11:12]
	flat_load_ushort v14, v[11:12] offset:128
	flat_load_ushort v15, v[11:12] offset:256
	;; [unrolled: 1-line block ×9, first 2 shown]
	v_cmp_eq_u16_sdwa vcc_lo, v3, v3 src0_sel:DWORD src1_sel:WORD_1
	v_cmp_eq_u16_sdwa s3, v4, v4 src0_sel:DWORD src1_sel:WORD_1
	v_cmp_eq_u16_sdwa s4, v1, v1 src0_sel:DWORD src1_sel:WORD_1
	;; [unrolled: 1-line block ×4, first 2 shown]
	v_cmp_eq_u16_sdwa s7, v3, v4 src0_sel:WORD_1 src1_sel:DWORD
	v_cmp_eq_u16_sdwa s8, v4, v1 src0_sel:WORD_1 src1_sel:DWORD
	;; [unrolled: 1-line block ×4, first 2 shown]
	s_waitcnt vmcnt(9) lgkmcnt(9)
	ds_write_b16 v13, v7
	s_waitcnt vmcnt(8) lgkmcnt(9)
	ds_write_b16 v13, v14 offset:128
	s_waitcnt vmcnt(7) lgkmcnt(9)
	ds_write_b16 v13, v15 offset:256
	;; [unrolled: 2-line block ×9, first 2 shown]
	s_waitcnt lgkmcnt(0)
	s_barrier
	buffer_gl0_inv
	ds_read2_b32 v[11:12], v5 offset1:1
	ds_read2_b32 v[14:15], v5 offset0:2 offset1:3
	ds_read_b32 v5, v5 offset:16
	v_cndmask_b32_e64 v16, 0x10000, 0, vcc_lo
	v_cndmask_b32_e64 v17, 0x10000, 0, s3
	v_cndmask_b32_e64 v18, 0x10000, 0, s4
	;; [unrolled: 1-line block ×4, first 2 shown]
	s_waitcnt lgkmcnt(2)
	v_lshrrev_b32_e32 v7, 16, v11
	v_lshrrev_b32_e32 v3, 16, v12
	s_waitcnt lgkmcnt(1)
	v_lshrrev_b32_e32 v4, 16, v14
	v_lshrrev_b32_e32 v1, 16, v15
	v_cndmask_b32_e32 v11, s28, v11, vcc_lo
	v_cndmask_b32_e64 v12, s28, v12, s3
	v_cndmask_b32_e64 v14, s28, v14, s4
	;; [unrolled: 1-line block ×3, first 2 shown]
	s_waitcnt lgkmcnt(0)
	v_lshrrev_b32_e32 v2, 16, v5
	v_cndmask_b32_e64 v5, s28, v5, s6
	v_or_b32_sdwa v23, v16, v11 dst_sel:DWORD dst_unused:UNUSED_PAD src0_sel:DWORD src1_sel:WORD_0
	v_cndmask_b32_e64 v11, s28, v7, s7
	v_cndmask_b32_e64 v16, 0x10000, 0, s7
	v_or_b32_sdwa v34, v17, v12 dst_sel:DWORD dst_unused:UNUSED_PAD src0_sel:DWORD src1_sel:WORD_0
	v_cndmask_b32_e64 v3, s28, v3, s8
	;; [unrolled: 3-line block ×4, first 2 shown]
	v_cndmask_b32_e64 v17, 0x10000, 0, s10
	v_or_b32_sdwa v5, v20, v5 dst_sel:DWORD dst_unused:UNUSED_PAD src0_sel:DWORD src1_sel:WORD_0
	v_cmp_ne_u16_sdwa s6, v8, v6 src0_sel:WORD_1 src1_sel:DWORD
	v_or_b32_sdwa v1, v16, v11 dst_sel:DWORD dst_unused:UNUSED_PAD src0_sel:DWORD src1_sel:WORD_0
	v_or_b32_sdwa v33, v12, v3 dst_sel:DWORD dst_unused:UNUSED_PAD src0_sel:DWORD src1_sel:WORD_0
	;; [unrolled: 1-line block ×4, first 2 shown]
	v_cndmask_b32_e64 v8, v2, s28, s6
	v_mov_b32_e32 v24, v34
	v_mov_b32_e32 v21, v32
	;; [unrolled: 1-line block ×8, first 2 shown]
	s_mov_b32 s3, -1
.LBB676_63:
	v_mov_b32_e32 v11, 0
	s_and_saveexec_b32 s4, s3
	s_cbranch_execz .LBB676_65
; %bb.64:
	v_cndmask_b32_e64 v2, 0, 0x10000, s6
	v_mov_b32_e32 v17, v5
	v_mov_b32_e32 v18, v6
	;; [unrolled: 1-line block ×4, first 2 shown]
	v_or_b32_sdwa v11, v2, v8 dst_sel:DWORD dst_unused:UNUSED_PAD src0_sel:DWORD src1_sel:WORD_0
	v_mov_b32_e32 v21, v32
	v_mov_b32_e32 v22, v33
	;; [unrolled: 1-line block ×4, first 2 shown]
.LBB676_65:
	s_or_b32 exec_lo, exec_lo, s4
	v_or3_b32 v1, v18, v17, v19
	v_cmp_gt_u32_e64 s10, 0x10000, v25
	v_cmp_gt_u32_e64 s9, 0x10000, v24
	;; [unrolled: 1-line block ×8, first 2 shown]
	v_or3_b32 v15, v1, v20, v21
	v_cmp_gt_u32_e64 s11, 0x10000, v11
	v_lshrrev_b32_e32 v12, 16, v23
	v_lshrrev_b32_e32 v14, 3, v0
	s_cmp_lg_u32 s20, 0
	v_cmp_gt_u32_e32 vcc_lo, 32, v0
	s_barrier
	buffer_gl0_inv
	s_cbranch_scc0 .LBB676_115
; %bb.66:
	v_cndmask_b32_e64 v1, 0, v23, s10
	v_or3_b32 v2, v15, v22, v24
	v_and_b32_e32 v3, 4, v14
	v_add_nc_u16 v1, v1, v25
	v_or3_b32 v2, v2, v25, v11
	v_lshl_add_u32 v3, v0, 2, v3
	v_cndmask_b32_e64 v1, 0, v1, s9
	v_and_b32_e32 v2, 0xff0000, v2
	v_add_nc_u16 v1, v1, v24
	v_cndmask_b32_e64 v1, 0, v1, s8
	v_add_nc_u16 v1, v1, v22
	v_cndmask_b32_e64 v1, 0, v1, s7
	;; [unrolled: 2-line block ×7, first 2 shown]
	v_cmp_eq_u32_e64 s11, 0, v2
	v_add_nc_u16 v16, v1, v11
	v_cndmask_b32_e64 v26, 1, v12, s11
	ds_write_b8 v3, v26 offset:2
	ds_write_b16 v3, v16
	s_waitcnt lgkmcnt(0)
	s_barrier
	buffer_gl0_inv
	s_and_saveexec_b32 s12, vcc_lo
	s_cbranch_execz .LBB676_78
; %bb.67:
	v_lshrrev_b32_e32 v1, 2, v0
	v_lshlrev_b32_e32 v2, 3, v0
	s_mov_b32 s13, exec_lo
	v_and_b32_e32 v1, 12, v1
	v_add_nc_u32_e32 v1, v1, v2
	ds_read_u8 v3, v1 offset:6
	ds_read_b32 v2, v1
	ds_read_u16 v4, v1 offset:4
	s_waitcnt lgkmcnt(2)
	v_cmp_eq_u16_e64 s11, 0, v3
	v_and_b32_e32 v6, 1, v3
	s_waitcnt lgkmcnt(1)
	v_and_b32_e32 v3, 0x10000, v2
	v_cndmask_b32_e64 v5, 0, v2, s11
	v_cmp_eq_u32_e64 s11, 1, v6
	v_mbcnt_lo_u32_b32 v6, -1, 0
	s_waitcnt lgkmcnt(0)
	v_add_nc_u16 v5, v5, v4
	v_and_b32_e32 v4, 0xff000000, v2
	v_cndmask_b32_e64 v7, v3, 0x10000, s11
	v_and_b32_e32 v8, 0xffff, v5
	v_or_b32_e32 v27, v7, v4
	v_or3_b32 v28, v4, v8, v7
	v_and_b32_e32 v7, 15, v6
	v_lshrrev_b32_e32 v8, 16, v27
	v_mov_b32_dpp v29, v28 row_shr:1 row_mask:0xf bank_mask:0xf
	v_cmpx_ne_u32_e32 0, v7
	s_cbranch_execz .LBB676_69
; %bb.68:
	v_mov_b32_e32 v8, 0xff
	v_mov_b32_e32 v28, 1
	v_and_b32_sdwa v8, v27, v8 dst_sel:DWORD dst_unused:UNUSED_PAD src0_sel:WORD_1 src1_sel:DWORD
	v_and_b32_e32 v27, 0x10000, v27
	v_and_b32_sdwa v28, v29, v28 dst_sel:DWORD dst_unused:UNUSED_PAD src0_sel:WORD_1 src1_sel:DWORD
	v_cmp_eq_u16_e64 s11, 0, v8
	v_cndmask_b32_e64 v29, 0, v29, s11
	v_cmp_ne_u32_e64 s11, 0, v27
	v_add_nc_u16 v5, v29, v5
	v_cndmask_b32_e64 v8, v28, 1, s11
	v_and_b32_e32 v28, 0xffff, v5
	v_lshlrev_b32_e32 v27, 16, v8
	v_or3_b32 v28, v27, v28, v4
.LBB676_69:
	s_or_b32 exec_lo, exec_lo, s13
	v_lshrrev_b32_e32 v27, 16, v28
	v_mov_b32_dpp v29, v28 row_shr:2 row_mask:0xf bank_mask:0xf
	s_mov_b32 s13, exec_lo
	v_cmpx_lt_u32_e32 1, v7
	s_cbranch_execz .LBB676_71
; %bb.70:
	v_mov_b32_e32 v30, 0
	v_mov_b32_e32 v8, 1
	v_and_b32_e32 v28, 0x10000, v28
	v_cmp_eq_u16_sdwa s11, v27, v30 src0_sel:BYTE_0 src1_sel:DWORD
	v_and_b32_sdwa v8, v29, v8 dst_sel:DWORD dst_unused:UNUSED_PAD src0_sel:WORD_1 src1_sel:DWORD
	v_cndmask_b32_e64 v27, 0, v29, s11
	v_cmp_ne_u32_e64 s11, 0, v28
	v_add_nc_u16 v5, v27, v5
	v_cndmask_b32_e64 v8, v8, 1, s11
	v_and_b32_e32 v28, 0xffff, v5
	v_lshlrev_b32_e32 v27, 16, v8
	v_or3_b32 v28, v27, v28, v4
	v_mov_b32_e32 v27, v8
.LBB676_71:
	s_or_b32 exec_lo, exec_lo, s13
	v_mov_b32_dpp v29, v28 row_shr:4 row_mask:0xf bank_mask:0xf
	s_mov_b32 s13, exec_lo
	v_cmpx_lt_u32_e32 3, v7
	s_cbranch_execz .LBB676_73
; %bb.72:
	v_mov_b32_e32 v28, 0
	v_mov_b32_e32 v8, 1
	v_and_b32_e32 v30, 1, v27
	v_cmp_eq_u16_sdwa s11, v27, v28 src0_sel:BYTE_0 src1_sel:DWORD
	v_and_b32_sdwa v8, v29, v8 dst_sel:DWORD dst_unused:UNUSED_PAD src0_sel:WORD_1 src1_sel:DWORD
	v_cndmask_b32_e64 v27, 0, v29, s11
	v_cmp_eq_u32_e64 s11, 1, v30
	v_add_nc_u16 v5, v27, v5
	v_cndmask_b32_e64 v8, v8, 1, s11
	v_and_b32_e32 v28, 0xffff, v5
	v_lshlrev_b32_e32 v27, 16, v8
	v_or3_b32 v28, v27, v28, v4
	v_mov_b32_e32 v27, v8
.LBB676_73:
	s_or_b32 exec_lo, exec_lo, s13
	v_mov_b32_dpp v29, v28 row_shr:8 row_mask:0xf bank_mask:0xf
	s_mov_b32 s13, exec_lo
	v_cmpx_lt_u32_e32 7, v7
	s_cbranch_execz .LBB676_75
; %bb.74:
	v_mov_b32_e32 v8, 0
	v_mov_b32_e32 v7, 1
	v_and_b32_e32 v28, 1, v27
	v_cmp_eq_u16_sdwa s11, v27, v8 src0_sel:BYTE_0 src1_sel:DWORD
	v_and_b32_sdwa v7, v29, v7 dst_sel:DWORD dst_unused:UNUSED_PAD src0_sel:WORD_1 src1_sel:DWORD
	v_cndmask_b32_e64 v27, 0, v29, s11
	v_cmp_eq_u32_e64 s11, 1, v28
	v_add_nc_u16 v5, v27, v5
	v_cndmask_b32_e64 v8, v7, 1, s11
	v_and_b32_e32 v27, 0xffff, v5
	v_lshlrev_b32_e32 v7, 16, v8
	v_or3_b32 v28, v7, v27, v4
	v_mov_b32_e32 v27, v8
.LBB676_75:
	s_or_b32 exec_lo, exec_lo, s13
	ds_swizzle_b32 v7, v28 offset:swizzle(BROADCAST,32,15)
	v_and_b32_e32 v28, 16, v6
	s_mov_b32 s13, exec_lo
	v_cmpx_ne_u32_e32 0, v28
	s_cbranch_execz .LBB676_77
; %bb.76:
	v_mov_b32_e32 v8, 0
	v_mov_b32_e32 v28, 1
	v_cmp_eq_u16_sdwa s11, v27, v8 src0_sel:BYTE_0 src1_sel:DWORD
	v_and_b32_e32 v27, 1, v27
	s_waitcnt lgkmcnt(0)
	v_cndmask_b32_e64 v8, 0, v7, s11
	v_and_b32_sdwa v7, v7, v28 dst_sel:DWORD dst_unused:UNUSED_PAD src0_sel:WORD_1 src1_sel:DWORD
	v_cmp_eq_u32_e64 s11, 1, v27
	v_add_nc_u16 v5, v8, v5
	v_cndmask_b32_e64 v8, v7, 1, s11
.LBB676_77:
	s_or_b32 exec_lo, exec_lo, s13
	s_waitcnt lgkmcnt(0)
	v_and_b32_e32 v7, 0xff, v8
	v_add_nc_u32_e32 v8, -1, v6
	v_and_b32_e32 v5, 0xffff, v5
	; wave barrier
	v_lshlrev_b32_e32 v7, 16, v7
	v_cmp_gt_i32_e64 s11, 0, v8
	v_or3_b32 v4, v7, v5, v4
	v_cndmask_b32_e64 v6, v8, v6, s11
	v_lshlrev_b32_e32 v5, 2, v6
	v_mov_b32_e32 v6, 1
	ds_bpermute_b32 v4, v5, v4
	v_and_b32_e32 v5, 0xff0000, v2
	v_cmp_eq_u32_e64 s11, 0, v5
	s_waitcnt lgkmcnt(0)
	v_cndmask_b32_e64 v5, 0, v4, s11
	v_and_b32_sdwa v4, v4, v6 dst_sel:DWORD dst_unused:UNUSED_PAD src0_sel:WORD_1 src1_sel:DWORD
	v_cmp_eq_u32_e64 s11, 0, v3
	v_add_nc_u16 v2, v5, v2
	v_cndmask_b32_e64 v3, 1, v4, s11
	v_cndmask_b32_e64 v2, v2, v16, s0
	;; [unrolled: 1-line block ×3, first 2 shown]
	ds_write_b16 v1, v2
	ds_write_b8 v1, v3 offset:2
	; wave barrier
	ds_read_u8 v4, v1 offset:6
	ds_read_u16 v5, v1 offset:4
	s_waitcnt lgkmcnt(1)
	v_cmp_eq_u16_e64 s11, 0, v4
	v_and_b32_e32 v4, 1, v4
	v_cndmask_b32_e64 v2, 0, v2, s11
	v_cmp_eq_u32_e64 s11, 1, v4
	s_waitcnt lgkmcnt(0)
	v_add_nc_u16 v2, v2, v5
	v_cndmask_b32_e64 v3, v3, 1, s11
	ds_write_b16 v1, v2 offset:4
	ds_write_b8 v1, v3 offset:6
.LBB676_78:
	s_or_b32 exec_lo, exec_lo, s12
	s_waitcnt lgkmcnt(0)
	s_barrier
	buffer_gl0_inv
	s_and_saveexec_b32 s11, s1
	s_cbranch_execz .LBB676_80
; %bb.79:
	v_add_nc_u32_e32 v1, -1, v0
	v_lshrrev_b32_e32 v2, 3, v1
	v_and_b32_e32 v2, 0x1ffffffc, v2
	v_lshl_add_u32 v1, v1, 2, v2
	ds_read_u16 v16, v1
	ds_read_u8 v26, v1 offset:2
.LBB676_80:
	s_or_b32 exec_lo, exec_lo, s11
	s_and_saveexec_b32 s21, vcc_lo
	s_cbranch_execz .LBB676_120
; %bb.81:
	v_mov_b32_e32 v6, 0
	v_mbcnt_lo_u32_b32 v27, -1, 0
	s_mov_b32 s13, 0
	ds_read_b32 v1, v6 offset:256
	v_cmp_eq_u32_e64 s11, 0, v27
	s_and_saveexec_b32 s29, s11
	s_cbranch_execz .LBB676_83
; %bb.82:
	s_add_i32 s12, s20, 32
	v_mov_b32_e32 v2, 1
	s_lshl_b64 s[12:13], s[12:13], 3
	s_add_u32 s12, s16, s12
	s_addc_u32 s13, s17, s13
	s_waitcnt lgkmcnt(0)
	global_store_dwordx2 v6, v[1:2], s[12:13]
.LBB676_83:
	s_or_b32 exec_lo, exec_lo, s29
	v_xad_u32 v2, v27, -1, s20
	v_add_nc_u32_e32 v5, 32, v2
	v_lshlrev_b64 v[3:4], 3, v[5:6]
	v_add_co_u32 v7, vcc_lo, s16, v3
	v_add_co_ci_u32_e64 v8, null, s17, v4, vcc_lo
	global_load_dwordx2 v[4:5], v[7:8], off glc dlc
	s_waitcnt vmcnt(0)
	v_cmp_eq_u16_sdwa s13, v5, v6 src0_sel:BYTE_0 src1_sel:DWORD
	s_and_saveexec_b32 s12, s13
	s_cbranch_execz .LBB676_87
; %bb.84:
	v_mov_b32_e32 v3, 0
	s_mov_b32 s13, 0
.LBB676_85:                             ; =>This Inner Loop Header: Depth=1
	global_load_dwordx2 v[4:5], v[7:8], off glc dlc
	s_waitcnt vmcnt(0)
	v_cmp_ne_u16_sdwa s29, v5, v3 src0_sel:BYTE_0 src1_sel:DWORD
	s_or_b32 s13, s29, s13
	s_andn2_b32 exec_lo, exec_lo, s13
	s_cbranch_execnz .LBB676_85
; %bb.86:
	s_or_b32 exec_lo, exec_lo, s13
.LBB676_87:
	s_or_b32 exec_lo, exec_lo, s12
	v_cmp_ne_u32_e32 vcc_lo, 31, v27
	v_and_b32_e32 v35, 0xffffff, v4
	v_mov_b32_e32 v6, 2
	v_lshlrev_b32_e64 v28, v27, -1
	v_bfe_u32 v7, v4, 16, 8
	v_add_co_ci_u32_e64 v3, null, 0, v27, vcc_lo
	v_cmp_eq_u16_sdwa s12, v5, v6 src0_sel:BYTE_0 src1_sel:DWORD
	v_lshrrev_b32_e32 v6, 16, v4
	v_lshlrev_b32_e32 v8, 2, v3
	v_and_or_b32 v3, s12, v28, 0x80000000
	s_mov_b32 s12, exec_lo
	ds_bpermute_b32 v29, v8, v35
	v_ffbl_b32_e32 v3, v3
	v_cmpx_lt_u32_e64 v27, v3
	s_cbranch_execz .LBB676_89
; %bb.88:
	v_and_b32_e32 v6, 0xff0000, v4
	v_mov_b32_e32 v7, 1
	v_and_b32_e32 v30, 0x10000, v6
	v_cmp_eq_u32_e32 vcc_lo, 0, v6
	s_waitcnt lgkmcnt(0)
	v_and_b32_sdwa v7, v29, v7 dst_sel:DWORD dst_unused:UNUSED_PAD src0_sel:WORD_1 src1_sel:DWORD
	v_cndmask_b32_e32 v29, 0, v29, vcc_lo
	v_cmp_ne_u32_e32 vcc_lo, 0, v30
	v_add_nc_u16 v4, v29, v4
	v_cndmask_b32_e64 v6, v7, 1, vcc_lo
	v_lshlrev_b32_e32 v7, 16, v6
	v_or_b32_sdwa v35, v7, v4 dst_sel:DWORD dst_unused:UNUSED_PAD src0_sel:DWORD src1_sel:WORD_0
	v_mov_b32_e32 v7, v6
.LBB676_89:
	s_or_b32 exec_lo, exec_lo, s12
	v_cmp_gt_u32_e32 vcc_lo, 30, v27
	v_add_nc_u32_e32 v30, 2, v27
	s_mov_b32 s12, exec_lo
	s_waitcnt lgkmcnt(0)
	v_cndmask_b32_e64 v29, 0, 2, vcc_lo
	v_add_lshl_u32 v29, v29, v27, 2
	ds_bpermute_b32 v31, v29, v35
	v_cmpx_le_u32_e64 v30, v3
	s_cbranch_execz .LBB676_91
; %bb.90:
	v_mov_b32_e32 v6, 1
	v_and_b32_e32 v32, 1, v7
	v_cmp_eq_u16_e32 vcc_lo, 0, v7
	s_waitcnt lgkmcnt(0)
	v_and_b32_sdwa v6, v31, v6 dst_sel:DWORD dst_unused:UNUSED_PAD src0_sel:WORD_1 src1_sel:DWORD
	v_cndmask_b32_e32 v7, 0, v31, vcc_lo
	v_cmp_eq_u32_e32 vcc_lo, 1, v32
	v_add_nc_u16 v4, v7, v4
	v_cndmask_b32_e64 v6, v6, 1, vcc_lo
	v_lshlrev_b32_e32 v7, 16, v6
	v_or_b32_sdwa v35, v7, v4 dst_sel:DWORD dst_unused:UNUSED_PAD src0_sel:DWORD src1_sel:WORD_0
	v_mov_b32_e32 v7, v6
.LBB676_91:
	s_or_b32 exec_lo, exec_lo, s12
	v_cmp_gt_u32_e32 vcc_lo, 28, v27
	v_add_nc_u32_e32 v32, 4, v27
	s_mov_b32 s12, exec_lo
	s_waitcnt lgkmcnt(0)
	v_cndmask_b32_e64 v31, 0, 4, vcc_lo
	v_add_lshl_u32 v31, v31, v27, 2
	ds_bpermute_b32 v33, v31, v35
	v_cmpx_le_u32_e64 v32, v3
	s_cbranch_execz .LBB676_93
; %bb.92:
	v_mov_b32_e32 v6, 1
	v_and_b32_e32 v34, 1, v7
	v_cmp_eq_u16_e32 vcc_lo, 0, v7
	s_waitcnt lgkmcnt(0)
	v_and_b32_sdwa v6, v33, v6 dst_sel:DWORD dst_unused:UNUSED_PAD src0_sel:WORD_1 src1_sel:DWORD
	v_cndmask_b32_e32 v7, 0, v33, vcc_lo
	v_cmp_eq_u32_e32 vcc_lo, 1, v34
	v_add_nc_u16 v4, v7, v4
	v_cndmask_b32_e64 v6, v6, 1, vcc_lo
	v_lshlrev_b32_e32 v7, 16, v6
	v_or_b32_sdwa v35, v7, v4 dst_sel:DWORD dst_unused:UNUSED_PAD src0_sel:DWORD src1_sel:WORD_0
	v_mov_b32_e32 v7, v6
.LBB676_93:
	;; [unrolled: 24-line block ×3, first 2 shown]
	s_or_b32 exec_lo, exec_lo, s12
	v_lshl_or_b32 v37, v27, 2, 64
	v_add_nc_u32_e32 v38, 16, v27
	s_mov_b32 s12, exec_lo
	ds_bpermute_b32 v35, v37, v35
	v_cmpx_le_u32_e64 v38, v3
	s_cbranch_execz .LBB676_97
; %bb.96:
	v_mov_b32_e32 v3, 1
	v_cmp_eq_u16_e32 vcc_lo, 0, v7
	v_and_b32_e32 v7, 1, v7
	s_waitcnt lgkmcnt(0)
	v_and_b32_sdwa v3, v35, v3 dst_sel:DWORD dst_unused:UNUSED_PAD src0_sel:WORD_1 src1_sel:DWORD
	v_cndmask_b32_e32 v6, 0, v35, vcc_lo
	v_cmp_eq_u32_e32 vcc_lo, 1, v7
	v_add_nc_u16 v4, v6, v4
	v_cndmask_b32_e64 v6, v3, 1, vcc_lo
.LBB676_97:
	s_or_b32 exec_lo, exec_lo, s12
	v_mov_b32_e32 v3, 0
	v_mov_b32_e32 v39, 2
	;; [unrolled: 1-line block ×3, first 2 shown]
	s_branch .LBB676_100
.LBB676_98:                             ;   in Loop: Header=BB676_100 Depth=1
	s_or_b32 exec_lo, exec_lo, s12
	v_cmp_eq_u16_sdwa vcc_lo, v35, v3 src0_sel:BYTE_0 src1_sel:DWORD
	v_and_b32_e32 v6, 1, v35
	v_and_b32_e32 v7, 1, v7
	v_subrev_nc_u32_e32 v2, 32, v2
	s_mov_b32 s12, 0
	v_cndmask_b32_e32 v4, 0, v4, vcc_lo
	v_cmp_eq_u32_e32 vcc_lo, 1, v6
	v_add_nc_u16 v4, v4, v36
	v_cndmask_b32_e64 v6, v7, 1, vcc_lo
.LBB676_99:                             ;   in Loop: Header=BB676_100 Depth=1
	s_and_b32 vcc_lo, exec_lo, s12
	s_cbranch_vccnz .LBB676_116
.LBB676_100:                            ; =>This Loop Header: Depth=1
                                        ;     Child Loop BB676_103 Depth 2
	v_cmp_ne_u16_sdwa s12, v5, v39 src0_sel:BYTE_0 src1_sel:DWORD
	s_waitcnt lgkmcnt(0)
	v_mov_b32_e32 v35, v6
	v_mov_b32_e32 v36, v4
                                        ; implicit-def: $vgpr6
                                        ; implicit-def: $vgpr4
	s_cmp_lg_u32 s12, exec_lo
	s_mov_b32 s12, -1
	s_cbranch_scc1 .LBB676_99
; %bb.101:                              ;   in Loop: Header=BB676_100 Depth=1
	v_lshlrev_b64 v[4:5], 3, v[2:3]
	v_add_co_u32 v6, vcc_lo, s16, v4
	v_add_co_ci_u32_e64 v7, null, s17, v5, vcc_lo
	global_load_dwordx2 v[4:5], v[6:7], off glc dlc
	s_waitcnt vmcnt(0)
	v_cmp_eq_u16_sdwa s13, v5, v3 src0_sel:BYTE_0 src1_sel:DWORD
	s_and_saveexec_b32 s12, s13
	s_cbranch_execz .LBB676_105
; %bb.102:                              ;   in Loop: Header=BB676_100 Depth=1
	s_mov_b32 s13, 0
.LBB676_103:                            ;   Parent Loop BB676_100 Depth=1
                                        ; =>  This Inner Loop Header: Depth=2
	global_load_dwordx2 v[4:5], v[6:7], off glc dlc
	s_waitcnt vmcnt(0)
	v_cmp_ne_u16_sdwa s29, v5, v3 src0_sel:BYTE_0 src1_sel:DWORD
	s_or_b32 s13, s29, s13
	s_andn2_b32 exec_lo, exec_lo, s13
	s_cbranch_execnz .LBB676_103
; %bb.104:                              ;   in Loop: Header=BB676_100 Depth=1
	s_or_b32 exec_lo, exec_lo, s13
.LBB676_105:                            ;   in Loop: Header=BB676_100 Depth=1
	s_or_b32 exec_lo, exec_lo, s12
	v_and_b32_e32 v42, 0xffffff, v4
	v_cmp_eq_u16_sdwa s12, v5, v39 src0_sel:BYTE_0 src1_sel:DWORD
	v_lshrrev_b32_e32 v7, 16, v4
	v_bfe_u32 v41, v4, 16, 8
	ds_bpermute_b32 v43, v8, v42
	v_and_or_b32 v6, s12, v28, 0x80000000
	s_mov_b32 s12, exec_lo
	v_ffbl_b32_e32 v6, v6
	v_cmpx_lt_u32_e64 v27, v6
	s_cbranch_execz .LBB676_107
; %bb.106:                              ;   in Loop: Header=BB676_100 Depth=1
	v_and_b32_e32 v7, 0xff0000, v4
	s_waitcnt lgkmcnt(0)
	v_and_b32_sdwa v42, v43, v40 dst_sel:DWORD dst_unused:UNUSED_PAD src0_sel:WORD_1 src1_sel:DWORD
	v_and_b32_e32 v41, 0x10000, v7
	v_cmp_eq_u32_e32 vcc_lo, 0, v7
	v_cndmask_b32_e32 v43, 0, v43, vcc_lo
	v_cmp_ne_u32_e32 vcc_lo, 0, v41
	v_add_nc_u16 v4, v43, v4
	v_cndmask_b32_e64 v7, v42, 1, vcc_lo
	v_lshlrev_b32_e32 v41, 16, v7
	v_or_b32_sdwa v42, v41, v4 dst_sel:DWORD dst_unused:UNUSED_PAD src0_sel:DWORD src1_sel:WORD_0
	v_mov_b32_e32 v41, v7
.LBB676_107:                            ;   in Loop: Header=BB676_100 Depth=1
	s_or_b32 exec_lo, exec_lo, s12
	s_waitcnt lgkmcnt(0)
	ds_bpermute_b32 v43, v29, v42
	s_mov_b32 s12, exec_lo
	v_cmpx_le_u32_e64 v30, v6
	s_cbranch_execz .LBB676_109
; %bb.108:                              ;   in Loop: Header=BB676_100 Depth=1
	v_and_b32_e32 v7, 1, v41
	v_cmp_eq_u16_e32 vcc_lo, 0, v41
	s_waitcnt lgkmcnt(0)
	v_and_b32_sdwa v42, v43, v40 dst_sel:DWORD dst_unused:UNUSED_PAD src0_sel:WORD_1 src1_sel:DWORD
	v_cndmask_b32_e32 v41, 0, v43, vcc_lo
	v_cmp_eq_u32_e32 vcc_lo, 1, v7
	v_add_nc_u16 v4, v41, v4
	v_cndmask_b32_e64 v7, v42, 1, vcc_lo
	v_lshlrev_b32_e32 v41, 16, v7
	v_or_b32_sdwa v42, v41, v4 dst_sel:DWORD dst_unused:UNUSED_PAD src0_sel:DWORD src1_sel:WORD_0
	v_mov_b32_e32 v41, v7
.LBB676_109:                            ;   in Loop: Header=BB676_100 Depth=1
	s_or_b32 exec_lo, exec_lo, s12
	s_waitcnt lgkmcnt(0)
	ds_bpermute_b32 v43, v31, v42
	s_mov_b32 s12, exec_lo
	v_cmpx_le_u32_e64 v32, v6
	s_cbranch_execz .LBB676_111
; %bb.110:                              ;   in Loop: Header=BB676_100 Depth=1
	v_and_b32_e32 v7, 1, v41
	v_cmp_eq_u16_e32 vcc_lo, 0, v41
	s_waitcnt lgkmcnt(0)
	v_and_b32_sdwa v42, v43, v40 dst_sel:DWORD dst_unused:UNUSED_PAD src0_sel:WORD_1 src1_sel:DWORD
	v_cndmask_b32_e32 v41, 0, v43, vcc_lo
	v_cmp_eq_u32_e32 vcc_lo, 1, v7
	v_add_nc_u16 v4, v41, v4
	v_cndmask_b32_e64 v7, v42, 1, vcc_lo
	v_lshlrev_b32_e32 v41, 16, v7
	v_or_b32_sdwa v42, v41, v4 dst_sel:DWORD dst_unused:UNUSED_PAD src0_sel:DWORD src1_sel:WORD_0
	v_mov_b32_e32 v41, v7
.LBB676_111:                            ;   in Loop: Header=BB676_100 Depth=1
	;; [unrolled: 19-line block ×3, first 2 shown]
	s_or_b32 exec_lo, exec_lo, s12
	ds_bpermute_b32 v42, v37, v42
	s_mov_b32 s12, exec_lo
	v_cmpx_le_u32_e64 v38, v6
	s_cbranch_execz .LBB676_98
; %bb.114:                              ;   in Loop: Header=BB676_100 Depth=1
	v_cmp_eq_u16_e32 vcc_lo, 0, v41
	v_and_b32_e32 v7, 1, v41
	s_waitcnt lgkmcnt(0)
	v_lshrrev_b32_e32 v41, 16, v42
	v_cndmask_b32_e32 v6, 0, v42, vcc_lo
	v_cmp_eq_u32_e32 vcc_lo, 1, v7
	v_add_nc_u16 v4, v6, v4
	v_cndmask_b32_e64 v7, v41, 1, vcc_lo
	s_branch .LBB676_98
.LBB676_115:
                                        ; implicit-def: $vgpr3
                                        ; implicit-def: $vgpr4
                                        ; implicit-def: $vgpr5
                                        ; implicit-def: $vgpr6
                                        ; implicit-def: $vgpr7
                                        ; implicit-def: $vgpr8
                                        ; implicit-def: $vgpr16
                                        ; implicit-def: $vgpr27
                                        ; implicit-def: $vgpr26
                                        ; implicit-def: $vgpr28
	s_cbranch_execnz .LBB676_121
	s_branch .LBB676_140
.LBB676_116:
	s_and_saveexec_b32 s12, s11
	s_cbranch_execz .LBB676_118
; %bb.117:
	v_and_b32_e32 v2, 0xff0000, v1
	v_mov_b32_e32 v3, 1
	v_and_b32_e32 v4, 0x10000, v1
	s_mov_b32 s31, 0
	s_add_i32 s30, s20, 32
	v_cmp_eq_u32_e32 vcc_lo, 0, v2
	v_and_b32_sdwa v3, v35, v3 dst_sel:WORD_1 dst_unused:UNUSED_PAD src0_sel:DWORD src1_sel:DWORD
	s_lshl_b64 s[30:31], s[30:31], 3
	s_add_u32 s30, s16, s30
	v_cndmask_b32_e32 v2, 0, v36, vcc_lo
	v_cmp_eq_u32_e32 vcc_lo, 0, v4
	s_addc_u32 s31, s17, s31
	v_add_nc_u16 v1, v2, v1
	v_cndmask_b32_e32 v2, 0x10000, v3, vcc_lo
	v_mov_b32_e32 v3, 0
	v_or_b32_sdwa v1, v2, v1 dst_sel:DWORD dst_unused:UNUSED_PAD src0_sel:DWORD src1_sel:WORD_0
	v_mov_b32_e32 v2, 2
	global_store_dwordx2 v3, v[1:2], s[30:31]
.LBB676_118:
	s_or_b32 exec_lo, exec_lo, s12
	s_and_b32 exec_lo, exec_lo, s0
	s_cbranch_execz .LBB676_120
; %bb.119:
	v_mov_b32_e32 v1, 0
	ds_write_b16 v1, v36
	ds_write_b8 v1, v35 offset:2
.LBB676_120:
	s_or_b32 exec_lo, exec_lo, s21
	v_mov_b32_e32 v1, 0
	s_waitcnt lgkmcnt(0)
	s_waitcnt_vscnt null, 0x0
	s_barrier
	buffer_gl0_inv
	v_and_b32_e32 v4, 0xff0000, v23
	ds_read_b32 v2, v1
	v_cmp_eq_u16_sdwa vcc_lo, v26, v1 src0_sel:BYTE_0 src1_sel:DWORD
	s_waitcnt lgkmcnt(0)
	v_cndmask_b32_e32 v1, 0, v2, vcc_lo
	v_cmp_eq_u32_e32 vcc_lo, 0, v4
	v_add_nc_u16 v1, v1, v16
	v_cndmask_b32_e64 v3, v1, v2, s0
	v_cndmask_b32_e32 v1, 0, v3, vcc_lo
	v_add_nc_u16 v4, v1, v23
	v_cndmask_b32_e64 v1, 0, v4, s10
	v_add_nc_u16 v5, v1, v25
	v_cndmask_b32_e64 v1, 0, v5, s9
	;; [unrolled: 2-line block ×8, first 2 shown]
	v_add_nc_u16 v28, v1, v17
	s_branch .LBB676_140
.LBB676_121:
	s_cmp_eq_u64 s[26:27], 0
	v_mov_b32_e32 v1, s28
	s_cselect_b32 s3, -1, 0
	s_cmp_eq_u64 s[22:23], 0
	s_cselect_b32 s4, -1, 0
	s_or_b32 s3, s3, s4
	s_and_b32 vcc_lo, exec_lo, s3
	s_cbranch_vccnz .LBB676_123
; %bb.122:
	v_mov_b32_e32 v1, 0
	global_load_ushort v1, v1, s[22:23]
.LBB676_123:
	v_cmp_gt_u32_e32 vcc_lo, 0x10000, v25
	v_cmp_gt_u32_e64 s3, 0x10000, v24
	v_cmp_gt_u32_e64 s4, 0x10000, v22
	;; [unrolled: 1-line block ×4, first 2 shown]
	v_cndmask_b32_e32 v2, 0, v23, vcc_lo
	v_cmp_gt_u32_e64 s7, 0x10000, v19
	v_cmp_gt_u32_e64 s8, 0x10000, v18
	v_or3_b32 v3, v15, v22, v24
	v_cmp_gt_u32_e64 s9, 0x10000, v17
	v_add_nc_u16 v2, v2, v25
	v_cmp_gt_u32_e64 s10, 0x10000, v11
	v_and_b32_e32 v4, 4, v14
	v_or3_b32 v3, v3, v25, v11
	s_mov_b32 s11, exec_lo
	v_cndmask_b32_e64 v2, 0, v2, s3
	v_lshl_add_u32 v4, v0, 2, v4
	v_and_b32_e32 v3, 0xff0000, v3
	v_add_nc_u16 v2, v2, v24
	v_cndmask_b32_e64 v2, 0, v2, s4
	v_add_nc_u16 v2, v2, v22
	v_cndmask_b32_e64 v2, 0, v2, s5
	;; [unrolled: 2-line block ×7, first 2 shown]
	v_cmp_eq_u32_e64 s10, 0, v3
	v_add_nc_u16 v3, v5, v11
	v_cndmask_b32_e64 v2, 1, v12, s10
	ds_write_b8 v4, v2 offset:2
	ds_write_b16 v4, v3
	s_waitcnt vmcnt(0) lgkmcnt(0)
	s_barrier
	buffer_gl0_inv
	v_cmpx_gt_u32_e32 32, v0
	s_cbranch_execz .LBB676_135
; %bb.124:
	v_lshrrev_b32_e32 v4, 2, v0
	v_lshlrev_b32_e32 v5, 3, v0
	s_mov_b32 s12, exec_lo
	v_and_b32_e32 v4, 12, v4
	v_add_nc_u32_e32 v4, v4, v5
	ds_read_u8 v6, v4 offset:6
	ds_read_b32 v5, v4
	ds_read_u16 v7, v4 offset:4
	s_waitcnt lgkmcnt(2)
	v_cmp_eq_u16_e64 s10, 0, v6
	v_and_b32_e32 v11, 1, v6
	s_waitcnt lgkmcnt(1)
	v_and_b32_e32 v6, 0x10000, v5
	v_cndmask_b32_e64 v8, 0, v5, s10
	v_cmp_eq_u32_e64 s10, 1, v11
	v_mbcnt_lo_u32_b32 v11, -1, 0
	s_waitcnt lgkmcnt(0)
	v_add_nc_u16 v8, v8, v7
	v_and_b32_e32 v7, 0xff000000, v5
	v_cndmask_b32_e64 v12, v6, 0x10000, s10
	v_and_b32_e32 v14, 0xffff, v8
	v_or_b32_e32 v15, v12, v7
	v_or3_b32 v16, v7, v14, v12
	v_and_b32_e32 v12, 15, v11
	v_lshrrev_b32_e32 v14, 16, v15
	v_mov_b32_dpp v26, v16 row_shr:1 row_mask:0xf bank_mask:0xf
	v_cmpx_ne_u32_e32 0, v12
	s_cbranch_execz .LBB676_126
; %bb.125:
	v_mov_b32_e32 v14, 0xff
	v_mov_b32_e32 v16, 1
	v_and_b32_sdwa v14, v15, v14 dst_sel:DWORD dst_unused:UNUSED_PAD src0_sel:WORD_1 src1_sel:DWORD
	v_and_b32_e32 v15, 0x10000, v15
	v_and_b32_sdwa v16, v26, v16 dst_sel:DWORD dst_unused:UNUSED_PAD src0_sel:WORD_1 src1_sel:DWORD
	v_cmp_eq_u16_e64 s10, 0, v14
	v_cndmask_b32_e64 v26, 0, v26, s10
	v_cmp_ne_u32_e64 s10, 0, v15
	v_add_nc_u16 v8, v26, v8
	v_cndmask_b32_e64 v14, v16, 1, s10
	v_and_b32_e32 v16, 0xffff, v8
	v_lshlrev_b32_e32 v15, 16, v14
	v_or3_b32 v16, v15, v16, v7
.LBB676_126:
	s_or_b32 exec_lo, exec_lo, s12
	v_lshrrev_b32_e32 v15, 16, v16
	v_mov_b32_dpp v26, v16 row_shr:2 row_mask:0xf bank_mask:0xf
	s_mov_b32 s12, exec_lo
	v_cmpx_lt_u32_e32 1, v12
	s_cbranch_execz .LBB676_128
; %bb.127:
	v_mov_b32_e32 v27, 0
	v_mov_b32_e32 v14, 1
	v_and_b32_e32 v16, 0x10000, v16
	v_cmp_eq_u16_sdwa s10, v15, v27 src0_sel:BYTE_0 src1_sel:DWORD
	v_and_b32_sdwa v14, v26, v14 dst_sel:DWORD dst_unused:UNUSED_PAD src0_sel:WORD_1 src1_sel:DWORD
	v_cndmask_b32_e64 v15, 0, v26, s10
	v_cmp_ne_u32_e64 s10, 0, v16
	v_add_nc_u16 v8, v15, v8
	v_cndmask_b32_e64 v14, v14, 1, s10
	v_and_b32_e32 v16, 0xffff, v8
	v_lshlrev_b32_e32 v15, 16, v14
	v_or3_b32 v16, v15, v16, v7
	v_mov_b32_e32 v15, v14
.LBB676_128:
	s_or_b32 exec_lo, exec_lo, s12
	v_mov_b32_dpp v26, v16 row_shr:4 row_mask:0xf bank_mask:0xf
	s_mov_b32 s12, exec_lo
	v_cmpx_lt_u32_e32 3, v12
	s_cbranch_execz .LBB676_130
; %bb.129:
	v_mov_b32_e32 v16, 0
	v_mov_b32_e32 v14, 1
	v_and_b32_e32 v27, 1, v15
	v_cmp_eq_u16_sdwa s10, v15, v16 src0_sel:BYTE_0 src1_sel:DWORD
	v_and_b32_sdwa v14, v26, v14 dst_sel:DWORD dst_unused:UNUSED_PAD src0_sel:WORD_1 src1_sel:DWORD
	v_cndmask_b32_e64 v15, 0, v26, s10
	v_cmp_eq_u32_e64 s10, 1, v27
	v_add_nc_u16 v8, v15, v8
	v_cndmask_b32_e64 v14, v14, 1, s10
	v_and_b32_e32 v16, 0xffff, v8
	v_lshlrev_b32_e32 v15, 16, v14
	v_or3_b32 v16, v15, v16, v7
	v_mov_b32_e32 v15, v14
.LBB676_130:
	s_or_b32 exec_lo, exec_lo, s12
	v_mov_b32_dpp v26, v16 row_shr:8 row_mask:0xf bank_mask:0xf
	s_mov_b32 s12, exec_lo
	v_cmpx_lt_u32_e32 7, v12
	s_cbranch_execz .LBB676_132
; %bb.131:
	v_mov_b32_e32 v14, 0
	v_mov_b32_e32 v12, 1
	v_and_b32_e32 v16, 1, v15
	v_cmp_eq_u16_sdwa s10, v15, v14 src0_sel:BYTE_0 src1_sel:DWORD
	v_and_b32_sdwa v12, v26, v12 dst_sel:DWORD dst_unused:UNUSED_PAD src0_sel:WORD_1 src1_sel:DWORD
	v_cndmask_b32_e64 v15, 0, v26, s10
	v_cmp_eq_u32_e64 s10, 1, v16
	v_add_nc_u16 v8, v15, v8
	v_cndmask_b32_e64 v14, v12, 1, s10
	v_and_b32_e32 v15, 0xffff, v8
	v_lshlrev_b32_e32 v12, 16, v14
	v_or3_b32 v16, v12, v15, v7
	v_mov_b32_e32 v15, v14
.LBB676_132:
	s_or_b32 exec_lo, exec_lo, s12
	ds_swizzle_b32 v12, v16 offset:swizzle(BROADCAST,32,15)
	v_and_b32_e32 v16, 16, v11
	s_mov_b32 s12, exec_lo
	v_cmpx_ne_u32_e32 0, v16
	s_cbranch_execz .LBB676_134
; %bb.133:
	v_mov_b32_e32 v14, 0
	v_mov_b32_e32 v16, 1
	v_cmp_eq_u16_sdwa s10, v15, v14 src0_sel:BYTE_0 src1_sel:DWORD
	v_and_b32_e32 v15, 1, v15
	s_waitcnt lgkmcnt(0)
	v_cndmask_b32_e64 v14, 0, v12, s10
	v_and_b32_sdwa v12, v12, v16 dst_sel:DWORD dst_unused:UNUSED_PAD src0_sel:WORD_1 src1_sel:DWORD
	v_cmp_eq_u32_e64 s10, 1, v15
	v_add_nc_u16 v8, v14, v8
	v_cndmask_b32_e64 v14, v12, 1, s10
.LBB676_134:
	s_or_b32 exec_lo, exec_lo, s12
	s_waitcnt lgkmcnt(0)
	v_and_b32_e32 v12, 0xff, v14
	v_add_nc_u32_e32 v14, -1, v11
	v_and_b32_e32 v8, 0xffff, v8
	; wave barrier
	v_lshlrev_b32_e32 v12, 16, v12
	v_cmp_gt_i32_e64 s10, 0, v14
	v_or3_b32 v7, v12, v8, v7
	v_cndmask_b32_e64 v11, v14, v11, s10
	v_lshlrev_b32_e32 v8, 2, v11
	v_mov_b32_e32 v11, 1
	ds_bpermute_b32 v7, v8, v7
	v_and_b32_e32 v8, 0xff0000, v5
	v_cmp_eq_u32_e64 s10, 0, v8
	s_waitcnt lgkmcnt(0)
	v_cndmask_b32_e64 v8, 0, v7, s10
	v_and_b32_sdwa v7, v7, v11 dst_sel:DWORD dst_unused:UNUSED_PAD src0_sel:WORD_1 src1_sel:DWORD
	v_cmp_eq_u32_e64 s10, 0, v6
	v_add_nc_u16 v5, v8, v5
	v_cndmask_b32_e64 v6, 1, v7, s10
	v_cndmask_b32_e64 v3, v5, v3, s0
	;; [unrolled: 1-line block ×3, first 2 shown]
	ds_write_b16 v4, v3
	ds_write_b8 v4, v2 offset:2
	; wave barrier
	ds_read_u8 v5, v4 offset:6
	ds_read_u16 v6, v4 offset:4
	s_waitcnt lgkmcnt(1)
	v_cmp_eq_u16_e64 s10, 0, v5
	v_and_b32_e32 v5, 1, v5
	v_cndmask_b32_e64 v3, 0, v3, s10
	v_cmp_eq_u32_e64 s10, 1, v5
	s_waitcnt lgkmcnt(0)
	v_add_nc_u16 v3, v3, v6
	v_cndmask_b32_e64 v2, v2, 1, s10
	ds_write_b16 v4, v3 offset:4
	ds_write_b8 v4, v2 offset:6
.LBB676_135:
	s_or_b32 exec_lo, exec_lo, s11
	v_mov_b32_e32 v3, v1
	s_waitcnt lgkmcnt(0)
	s_barrier
	buffer_gl0_inv
	s_and_saveexec_b32 s10, s1
	s_cbranch_execz .LBB676_137
; %bb.136:
	v_add_nc_u32_e32 v2, -1, v0
	v_lshrrev_b32_e32 v3, 3, v2
	v_and_b32_e32 v3, 0x1ffffffc, v3
	v_lshl_add_u32 v2, v2, 2, v3
	ds_read_u8 v3, v2 offset:2
	ds_read_u16 v2, v2
	s_waitcnt lgkmcnt(1)
	v_cmp_eq_u16_e64 s1, 0, v3
	v_cndmask_b32_e64 v3, 0, v1, s1
	s_waitcnt lgkmcnt(0)
	v_add_nc_u16 v3, v3, v2
.LBB676_137:
	s_or_b32 exec_lo, exec_lo, s10
	v_and_b32_e32 v2, 0xff0000, v23
	v_cmp_eq_u32_e64 s1, 0, v2
	v_cndmask_b32_e64 v2, 0, v3, s1
	v_add_nc_u16 v4, v2, v23
	v_cndmask_b32_e32 v2, 0, v4, vcc_lo
	v_add_nc_u16 v5, v2, v25
	v_cndmask_b32_e64 v2, 0, v5, s3
	v_add_nc_u16 v6, v2, v24
	v_cndmask_b32_e64 v2, 0, v6, s4
	;; [unrolled: 2-line block ×7, first 2 shown]
	s_and_saveexec_b32 s1, s0
	s_cbranch_execz .LBB676_139
; %bb.138:
	v_mov_b32_e32 v14, 0
	ds_read_u8 v11, v14 offset:258
	ds_read_u16 v12, v14 offset:256
	s_waitcnt lgkmcnt(1)
	v_cmp_eq_u32_e32 vcc_lo, 0, v11
	v_lshlrev_b32_e32 v11, 16, v11
	v_cndmask_b32_e32 v1, 0, v1, vcc_lo
	s_waitcnt lgkmcnt(0)
	v_add_nc_u32_e32 v1, v1, v12
	v_mov_b32_e32 v12, 2
	v_or_b32_sdwa v11, v11, v1 dst_sel:DWORD dst_unused:UNUSED_PAD src0_sel:DWORD src1_sel:WORD_0
	global_store_dwordx2 v14, v[11:12], s[16:17] offset:256
.LBB676_139:
	s_or_b32 exec_lo, exec_lo, s1
	v_add_nc_u16 v28, v2, v17
.LBB676_140:
	s_add_u32 s0, s14, s24
	s_addc_u32 s1, s15, s25
	v_add_co_u32 v9, vcc_lo, s0, v9
	v_add_co_ci_u32_e64 v10, null, s1, v10, vcc_lo
	v_mov_b32_e32 v1, 0
	s_and_b32 vcc_lo, exec_lo, s2
	s_cbranch_vccz .LBB676_180
; %bb.141:
	v_mul_u32_u24_e32 v2, 10, v0
	v_mov_b32_e32 v11, 0
	v_mov_b32_e32 v12, 0
	;; [unrolled: 1-line block ×4, first 2 shown]
	s_add_i32 s19, s19, s18
	s_mov_b32 s0, exec_lo
	v_cmpx_gt_u32_e64 s19, v2
	s_cbranch_execz .LBB676_161
; %bb.142:
	v_or_b32_e32 v15, 1, v2
	v_and_b32_e32 v1, 0xffff, v3
	v_mov_b32_e32 v11, 0
	v_mov_b32_e32 v12, 0
	;; [unrolled: 1-line block ×3, first 2 shown]
	v_cmp_gt_u32_e32 vcc_lo, s19, v15
	v_mov_b32_e32 v15, 0
	s_and_saveexec_b32 s1, vcc_lo
	s_cbranch_execz .LBB676_160
; %bb.143:
	v_perm_b32 v1, v4, v1, 0x5040100
	v_add_nc_u32_e32 v17, 2, v2
	v_mov_b32_e32 v15, 0
	v_mov_b32_e32 v14, 0
	;; [unrolled: 1-line block ×4, first 2 shown]
	s_mov_b32 s2, exec_lo
	v_cmpx_gt_u32_e64 s19, v17
	s_cbranch_execz .LBB676_159
; %bb.144:
	v_add_nc_u32_e32 v17, 3, v2
	v_bfi_b32 v11, 0xffff, v5, 0
	v_mov_b32_e32 v15, 0
	v_mov_b32_e32 v14, 0
	;; [unrolled: 1-line block ×3, first 2 shown]
	s_mov_b32 s3, exec_lo
	v_cmpx_gt_u32_e64 s19, v17
	s_cbranch_execz .LBB676_158
; %bb.145:
	v_add_nc_u32_e32 v17, 4, v2
	v_perm_b32 v11, v6, v11, 0x5040100
	v_mov_b32_e32 v15, 0
	v_mov_b32_e32 v14, 0
	v_mov_b32_e32 v12, 0
	s_mov_b32 s4, exec_lo
	v_cmpx_gt_u32_e64 s19, v17
	s_cbranch_execz .LBB676_157
; %bb.146:
	v_add_nc_u32_e32 v17, 5, v2
	v_bfi_b32 v12, 0xffff, v7, 0
	v_mov_b32_e32 v15, 0
	v_mov_b32_e32 v14, 0
	s_mov_b32 s5, exec_lo
	v_cmpx_gt_u32_e64 s19, v17
	s_cbranch_execz .LBB676_156
; %bb.147:
	v_add_nc_u32_e32 v17, 6, v2
	v_perm_b32 v12, v8, v12, 0x5040100
	v_mov_b32_e32 v15, 0
	v_mov_b32_e32 v14, 0
	s_mov_b32 s6, exec_lo
	v_cmpx_gt_u32_e64 s19, v17
	s_cbranch_execz .LBB676_155
; %bb.148:
	v_add_nc_u32_e32 v17, 7, v2
	v_bfi_b32 v14, 0xffff, v16, 0
	v_mov_b32_e32 v15, 0
	s_mov_b32 s7, exec_lo
	v_cmpx_gt_u32_e64 s19, v17
	s_cbranch_execz .LBB676_154
; %bb.149:
	v_add_nc_u32_e32 v17, 8, v2
	v_perm_b32 v14, v27, v14, 0x5040100
	v_mov_b32_e32 v15, 0
	s_mov_b32 s8, exec_lo
	v_cmpx_gt_u32_e64 s19, v17
	s_cbranch_execz .LBB676_153
; %bb.150:
	v_add_nc_u32_e32 v17, 9, v2
	v_bfi_b32 v15, 0xffff, v26, 0
	s_mov_b32 s9, exec_lo
	v_cmpx_gt_u32_e64 s19, v17
; %bb.151:
	v_perm_b32 v15, v28, v15, 0x5040100
; %bb.152:
	s_or_b32 exec_lo, exec_lo, s9
.LBB676_153:
	s_or_b32 exec_lo, exec_lo, s8
.LBB676_154:
	s_or_b32 exec_lo, exec_lo, s7
.LBB676_155:
	s_or_b32 exec_lo, exec_lo, s6
.LBB676_156:
	s_or_b32 exec_lo, exec_lo, s5
.LBB676_157:
	s_or_b32 exec_lo, exec_lo, s4
.LBB676_158:
	s_or_b32 exec_lo, exec_lo, s3
.LBB676_159:
	s_or_b32 exec_lo, exec_lo, s2
.LBB676_160:
	s_or_b32 exec_lo, exec_lo, s1
.LBB676_161:
	s_or_b32 exec_lo, exec_lo, s0
	v_lshlrev_b32_e32 v21, 1, v2
	s_waitcnt_vscnt null, 0x0
	s_barrier
	buffer_gl0_inv
	s_mov_b32 s0, exec_lo
	ds_write2_b32 v21, v1, v11 offset1:1
	ds_write2_b32 v21, v12, v14 offset0:2 offset1:3
	v_mad_i32_i24 v1, 0xffffffee, v0, v21
	ds_write_b32 v21, v15 offset:16
	s_waitcnt lgkmcnt(0)
	s_barrier
	buffer_gl0_inv
	ds_read_u16 v22, v1 offset:128
	ds_read_u16 v20, v1 offset:256
	;; [unrolled: 1-line block ×9, first 2 shown]
	v_add_co_u32 v1, vcc_lo, v9, v13
	v_add_co_ci_u32_e64 v2, null, 0, v10, vcc_lo
	v_cmpx_gt_u32_e64 s19, v0
	s_cbranch_execz .LBB676_163
; %bb.162:
	v_mul_i32_i24_e32 v23, 0xffffffee, v0
	v_add_nc_u32_e32 v21, v21, v23
	ds_read_u16 v21, v21
	s_waitcnt lgkmcnt(0)
	flat_store_short v[1:2], v21
.LBB676_163:
	s_or_b32 exec_lo, exec_lo, s0
	v_or_b32_e32 v21, 64, v0
	s_mov_b32 s0, exec_lo
	v_cmpx_gt_u32_e64 s19, v21
	s_cbranch_execz .LBB676_165
; %bb.164:
	s_waitcnt lgkmcnt(8)
	flat_store_short v[1:2], v22 offset:128
.LBB676_165:
	s_or_b32 exec_lo, exec_lo, s0
	v_or_b32_e32 v21, 0x80, v0
	s_mov_b32 s0, exec_lo
	v_cmpx_gt_u32_e64 s19, v21
	s_cbranch_execz .LBB676_167
; %bb.166:
	s_waitcnt lgkmcnt(7)
	flat_store_short v[1:2], v20 offset:256
.LBB676_167:
	s_or_b32 exec_lo, exec_lo, s0
	s_waitcnt lgkmcnt(7)
	v_or_b32_e32 v20, 0xc0, v0
	s_mov_b32 s0, exec_lo
	v_cmpx_gt_u32_e64 s19, v20
	s_cbranch_execz .LBB676_169
; %bb.168:
	s_waitcnt lgkmcnt(6)
	flat_store_short v[1:2], v19 offset:384
.LBB676_169:
	s_or_b32 exec_lo, exec_lo, s0
	s_waitcnt lgkmcnt(6)
	;; [unrolled: 10-line block ×6, first 2 shown]
	v_or_b32_e32 v14, 0x200, v0
	s_mov_b32 s0, exec_lo
	v_cmpx_gt_u32_e64 s19, v14
	s_cbranch_execz .LBB676_179
; %bb.178:
	s_waitcnt lgkmcnt(1)
	flat_store_short v[1:2], v12 offset:1024
.LBB676_179:
	s_or_b32 exec_lo, exec_lo, s0
	v_or_b32_e32 v1, 0x240, v0
	v_cmp_gt_u32_e64 s0, s19, v1
	s_branch .LBB676_182
.LBB676_180:
	s_mov_b32 s0, 0
                                        ; implicit-def: $vgpr11
	s_cbranch_execz .LBB676_182
; %bb.181:
	v_mul_u32_u24_e32 v1, 20, v0
	v_perm_b32 v2, v6, v5, 0x5040100
	v_perm_b32 v3, v4, v3, 0x5040100
	v_mul_i32_i24_e32 v6, 0xffffffee, v0
	v_perm_b32 v4, v27, v16, 0x5040100
	v_perm_b32 v5, v8, v7, 0x5040100
	s_waitcnt lgkmcnt(0)
	s_waitcnt_vscnt null, 0x0
	s_barrier
	v_perm_b32 v7, v28, v26, 0x5040100
	buffer_gl0_inv
	ds_write2_b32 v1, v3, v2 offset1:1
	ds_write2_b32 v1, v5, v4 offset0:2 offset1:3
	v_mad_u32_u24 v2, v0, 20, v6
	s_or_b32 s0, s0, exec_lo
	ds_write_b32 v1, v7 offset:16
	s_waitcnt lgkmcnt(0)
	s_barrier
	buffer_gl0_inv
	ds_read_u16 v3, v2
	ds_read_u16 v4, v2 offset:128
	ds_read_u16 v5, v2 offset:256
	;; [unrolled: 1-line block ×9, first 2 shown]
	v_add_co_u32 v1, vcc_lo, v9, v13
	v_add_co_ci_u32_e64 v2, null, 0, v10, vcc_lo
	s_waitcnt lgkmcnt(9)
	flat_store_short v[1:2], v3
	s_waitcnt lgkmcnt(9)
	flat_store_short v[1:2], v4 offset:128
	s_waitcnt lgkmcnt(9)
	flat_store_short v[1:2], v5 offset:256
	s_waitcnt lgkmcnt(9)
	flat_store_short v[1:2], v6 offset:384
	s_waitcnt lgkmcnt(9)
	flat_store_short v[1:2], v7 offset:512
	s_waitcnt lgkmcnt(9)
	flat_store_short v[1:2], v8 offset:640
	s_waitcnt lgkmcnt(9)
	flat_store_short v[1:2], v12 offset:768
	s_waitcnt lgkmcnt(9)
	flat_store_short v[1:2], v14 offset:896
	s_waitcnt lgkmcnt(9)
	flat_store_short v[1:2], v15 offset:1024
.LBB676_182:
	s_and_saveexec_b32 s1, s0
	s_cbranch_execnz .LBB676_184
; %bb.183:
	s_endpgm
.LBB676_184:
	v_lshlrev_b32_e32 v0, 1, v0
	v_add_co_u32 v0, vcc_lo, v9, v0
	v_add_co_ci_u32_e64 v1, null, 0, v10, vcc_lo
	s_waitcnt lgkmcnt(0)
	flat_store_short v[0:1], v11 offset:1152
	s_endpgm
.LBB676_185:
	v_add_co_u32 v3, s11, v26, v18
	v_add_co_ci_u32_e64 v4, null, 0, v27, s11
	v_mov_b32_e32 v2, v1
	v_mov_b32_e32 v5, v1
	;; [unrolled: 1-line block ×3, first 2 shown]
	flat_load_short_d16 v2, v[3:4]
	v_mov_b32_e32 v3, v1
	v_mov_b32_e32 v4, v1
	s_waitcnt vmcnt(0) lgkmcnt(0)
	v_mov_b32_e32 v1, v2
	v_mov_b32_e32 v2, v3
	;; [unrolled: 1-line block ×8, first 2 shown]
	s_or_b32 exec_lo, exec_lo, s12
	s_and_saveexec_b32 s11, s10
	s_cbranch_execz .LBB676_29
.LBB676_186:
	v_add_co_u32 v6, s10, v26, v18
	v_add_co_ci_u32_e64 v7, null, 0, v27, s10
	flat_load_short_d16_hi v1, v[6:7] offset:128
	s_or_b32 exec_lo, exec_lo, s11
	s_and_saveexec_b32 s10, s9
	s_cbranch_execz .LBB676_30
.LBB676_187:
	v_add_co_u32 v6, s9, v26, v18
	v_add_co_ci_u32_e64 v7, null, 0, v27, s9
	flat_load_short_d16 v2, v[6:7] offset:256
	s_or_b32 exec_lo, exec_lo, s10
	s_and_saveexec_b32 s9, s8
	s_cbranch_execz .LBB676_31
.LBB676_188:
	v_add_co_u32 v6, s8, v26, v18
	v_add_co_ci_u32_e64 v7, null, 0, v27, s8
	s_waitcnt vmcnt(0) lgkmcnt(0)
	flat_load_short_d16_hi v2, v[6:7] offset:384
	s_or_b32 exec_lo, exec_lo, s9
	s_and_saveexec_b32 s8, s7
	s_cbranch_execz .LBB676_32
.LBB676_189:
	v_add_co_u32 v6, s7, v26, v18
	v_add_co_ci_u32_e64 v7, null, 0, v27, s7
	flat_load_short_d16 v3, v[6:7] offset:512
	s_or_b32 exec_lo, exec_lo, s8
	s_and_saveexec_b32 s7, s6
	s_cbranch_execz .LBB676_33
.LBB676_190:
	v_add_co_u32 v6, s6, v26, v18
	v_add_co_ci_u32_e64 v7, null, 0, v27, s6
	s_waitcnt vmcnt(0) lgkmcnt(0)
	flat_load_short_d16_hi v3, v[6:7] offset:640
	s_or_b32 exec_lo, exec_lo, s7
	s_and_saveexec_b32 s6, s5
	s_cbranch_execz .LBB676_34
.LBB676_191:
	v_add_co_u32 v6, s5, v26, v18
	v_add_co_ci_u32_e64 v7, null, 0, v27, s5
	flat_load_short_d16 v4, v[6:7] offset:768
	s_or_b32 exec_lo, exec_lo, s6
	s_and_saveexec_b32 s5, s4
	s_cbranch_execz .LBB676_35
.LBB676_192:
	v_add_co_u32 v6, s4, v26, v18
	v_add_co_ci_u32_e64 v7, null, 0, v27, s4
	s_waitcnt vmcnt(0) lgkmcnt(0)
	flat_load_short_d16_hi v4, v[6:7] offset:896
	s_or_b32 exec_lo, exec_lo, s5
	s_and_saveexec_b32 s4, s3
	s_cbranch_execz .LBB676_36
.LBB676_193:
	v_add_co_u32 v6, s3, v26, v18
	v_add_co_ci_u32_e64 v7, null, 0, v27, s3
	flat_load_short_d16 v5, v[6:7] offset:1024
	s_or_b32 exec_lo, exec_lo, s4
	v_mul_u32_u24_e32 v35, 10, v0
	s_and_saveexec_b32 s3, vcc_lo
	s_cbranch_execnz .LBB676_37
	s_branch .LBB676_38
	.section	.rodata,"a",@progbits
	.p2align	6, 0x0
	.amdhsa_kernel _ZN7rocprim17ROCPRIM_400000_NS6detail17trampoline_kernelINS0_14default_configENS1_27scan_by_key_config_selectorIssEEZZNS1_16scan_by_key_implILNS1_25lookback_scan_determinismE0ELb1ES3_N6thrust23THRUST_200600_302600_NS6detail15normal_iteratorINS9_10device_ptrIsEEEESE_SE_sNS9_4plusIvEENS9_8equal_toIsEEsEE10hipError_tPvRmT2_T3_T4_T5_mT6_T7_P12ihipStream_tbENKUlT_T0_E_clISt17integral_constantIbLb0EESY_IbLb1EEEEDaSU_SV_EUlSU_E_NS1_11comp_targetILNS1_3genE8ELNS1_11target_archE1030ELNS1_3gpuE2ELNS1_3repE0EEENS1_30default_config_static_selectorELNS0_4arch9wavefront6targetE0EEEvT1_
		.amdhsa_group_segment_fixed_size 1536
		.amdhsa_private_segment_fixed_size 0
		.amdhsa_kernarg_size 112
		.amdhsa_user_sgpr_count 6
		.amdhsa_user_sgpr_private_segment_buffer 1
		.amdhsa_user_sgpr_dispatch_ptr 0
		.amdhsa_user_sgpr_queue_ptr 0
		.amdhsa_user_sgpr_kernarg_segment_ptr 1
		.amdhsa_user_sgpr_dispatch_id 0
		.amdhsa_user_sgpr_flat_scratch_init 0
		.amdhsa_user_sgpr_private_segment_size 0
		.amdhsa_wavefront_size32 1
		.amdhsa_uses_dynamic_stack 0
		.amdhsa_system_sgpr_private_segment_wavefront_offset 0
		.amdhsa_system_sgpr_workgroup_id_x 1
		.amdhsa_system_sgpr_workgroup_id_y 0
		.amdhsa_system_sgpr_workgroup_id_z 0
		.amdhsa_system_sgpr_workgroup_info 0
		.amdhsa_system_vgpr_workitem_id 0
		.amdhsa_next_free_vgpr 44
		.amdhsa_next_free_sgpr 32
		.amdhsa_reserve_vcc 1
		.amdhsa_reserve_flat_scratch 1
		.amdhsa_float_round_mode_32 0
		.amdhsa_float_round_mode_16_64 0
		.amdhsa_float_denorm_mode_32 3
		.amdhsa_float_denorm_mode_16_64 3
		.amdhsa_dx10_clamp 1
		.amdhsa_ieee_mode 1
		.amdhsa_fp16_overflow 0
		.amdhsa_workgroup_processor_mode 1
		.amdhsa_memory_ordered 1
		.amdhsa_forward_progress 1
		.amdhsa_shared_vgpr_count 0
		.amdhsa_exception_fp_ieee_invalid_op 0
		.amdhsa_exception_fp_denorm_src 0
		.amdhsa_exception_fp_ieee_div_zero 0
		.amdhsa_exception_fp_ieee_overflow 0
		.amdhsa_exception_fp_ieee_underflow 0
		.amdhsa_exception_fp_ieee_inexact 0
		.amdhsa_exception_int_div_zero 0
	.end_amdhsa_kernel
	.section	.text._ZN7rocprim17ROCPRIM_400000_NS6detail17trampoline_kernelINS0_14default_configENS1_27scan_by_key_config_selectorIssEEZZNS1_16scan_by_key_implILNS1_25lookback_scan_determinismE0ELb1ES3_N6thrust23THRUST_200600_302600_NS6detail15normal_iteratorINS9_10device_ptrIsEEEESE_SE_sNS9_4plusIvEENS9_8equal_toIsEEsEE10hipError_tPvRmT2_T3_T4_T5_mT6_T7_P12ihipStream_tbENKUlT_T0_E_clISt17integral_constantIbLb0EESY_IbLb1EEEEDaSU_SV_EUlSU_E_NS1_11comp_targetILNS1_3genE8ELNS1_11target_archE1030ELNS1_3gpuE2ELNS1_3repE0EEENS1_30default_config_static_selectorELNS0_4arch9wavefront6targetE0EEEvT1_,"axG",@progbits,_ZN7rocprim17ROCPRIM_400000_NS6detail17trampoline_kernelINS0_14default_configENS1_27scan_by_key_config_selectorIssEEZZNS1_16scan_by_key_implILNS1_25lookback_scan_determinismE0ELb1ES3_N6thrust23THRUST_200600_302600_NS6detail15normal_iteratorINS9_10device_ptrIsEEEESE_SE_sNS9_4plusIvEENS9_8equal_toIsEEsEE10hipError_tPvRmT2_T3_T4_T5_mT6_T7_P12ihipStream_tbENKUlT_T0_E_clISt17integral_constantIbLb0EESY_IbLb1EEEEDaSU_SV_EUlSU_E_NS1_11comp_targetILNS1_3genE8ELNS1_11target_archE1030ELNS1_3gpuE2ELNS1_3repE0EEENS1_30default_config_static_selectorELNS0_4arch9wavefront6targetE0EEEvT1_,comdat
.Lfunc_end676:
	.size	_ZN7rocprim17ROCPRIM_400000_NS6detail17trampoline_kernelINS0_14default_configENS1_27scan_by_key_config_selectorIssEEZZNS1_16scan_by_key_implILNS1_25lookback_scan_determinismE0ELb1ES3_N6thrust23THRUST_200600_302600_NS6detail15normal_iteratorINS9_10device_ptrIsEEEESE_SE_sNS9_4plusIvEENS9_8equal_toIsEEsEE10hipError_tPvRmT2_T3_T4_T5_mT6_T7_P12ihipStream_tbENKUlT_T0_E_clISt17integral_constantIbLb0EESY_IbLb1EEEEDaSU_SV_EUlSU_E_NS1_11comp_targetILNS1_3genE8ELNS1_11target_archE1030ELNS1_3gpuE2ELNS1_3repE0EEENS1_30default_config_static_selectorELNS0_4arch9wavefront6targetE0EEEvT1_, .Lfunc_end676-_ZN7rocprim17ROCPRIM_400000_NS6detail17trampoline_kernelINS0_14default_configENS1_27scan_by_key_config_selectorIssEEZZNS1_16scan_by_key_implILNS1_25lookback_scan_determinismE0ELb1ES3_N6thrust23THRUST_200600_302600_NS6detail15normal_iteratorINS9_10device_ptrIsEEEESE_SE_sNS9_4plusIvEENS9_8equal_toIsEEsEE10hipError_tPvRmT2_T3_T4_T5_mT6_T7_P12ihipStream_tbENKUlT_T0_E_clISt17integral_constantIbLb0EESY_IbLb1EEEEDaSU_SV_EUlSU_E_NS1_11comp_targetILNS1_3genE8ELNS1_11target_archE1030ELNS1_3gpuE2ELNS1_3repE0EEENS1_30default_config_static_selectorELNS0_4arch9wavefront6targetE0EEEvT1_
                                        ; -- End function
	.set _ZN7rocprim17ROCPRIM_400000_NS6detail17trampoline_kernelINS0_14default_configENS1_27scan_by_key_config_selectorIssEEZZNS1_16scan_by_key_implILNS1_25lookback_scan_determinismE0ELb1ES3_N6thrust23THRUST_200600_302600_NS6detail15normal_iteratorINS9_10device_ptrIsEEEESE_SE_sNS9_4plusIvEENS9_8equal_toIsEEsEE10hipError_tPvRmT2_T3_T4_T5_mT6_T7_P12ihipStream_tbENKUlT_T0_E_clISt17integral_constantIbLb0EESY_IbLb1EEEEDaSU_SV_EUlSU_E_NS1_11comp_targetILNS1_3genE8ELNS1_11target_archE1030ELNS1_3gpuE2ELNS1_3repE0EEENS1_30default_config_static_selectorELNS0_4arch9wavefront6targetE0EEEvT1_.num_vgpr, 44
	.set _ZN7rocprim17ROCPRIM_400000_NS6detail17trampoline_kernelINS0_14default_configENS1_27scan_by_key_config_selectorIssEEZZNS1_16scan_by_key_implILNS1_25lookback_scan_determinismE0ELb1ES3_N6thrust23THRUST_200600_302600_NS6detail15normal_iteratorINS9_10device_ptrIsEEEESE_SE_sNS9_4plusIvEENS9_8equal_toIsEEsEE10hipError_tPvRmT2_T3_T4_T5_mT6_T7_P12ihipStream_tbENKUlT_T0_E_clISt17integral_constantIbLb0EESY_IbLb1EEEEDaSU_SV_EUlSU_E_NS1_11comp_targetILNS1_3genE8ELNS1_11target_archE1030ELNS1_3gpuE2ELNS1_3repE0EEENS1_30default_config_static_selectorELNS0_4arch9wavefront6targetE0EEEvT1_.num_agpr, 0
	.set _ZN7rocprim17ROCPRIM_400000_NS6detail17trampoline_kernelINS0_14default_configENS1_27scan_by_key_config_selectorIssEEZZNS1_16scan_by_key_implILNS1_25lookback_scan_determinismE0ELb1ES3_N6thrust23THRUST_200600_302600_NS6detail15normal_iteratorINS9_10device_ptrIsEEEESE_SE_sNS9_4plusIvEENS9_8equal_toIsEEsEE10hipError_tPvRmT2_T3_T4_T5_mT6_T7_P12ihipStream_tbENKUlT_T0_E_clISt17integral_constantIbLb0EESY_IbLb1EEEEDaSU_SV_EUlSU_E_NS1_11comp_targetILNS1_3genE8ELNS1_11target_archE1030ELNS1_3gpuE2ELNS1_3repE0EEENS1_30default_config_static_selectorELNS0_4arch9wavefront6targetE0EEEvT1_.numbered_sgpr, 32
	.set _ZN7rocprim17ROCPRIM_400000_NS6detail17trampoline_kernelINS0_14default_configENS1_27scan_by_key_config_selectorIssEEZZNS1_16scan_by_key_implILNS1_25lookback_scan_determinismE0ELb1ES3_N6thrust23THRUST_200600_302600_NS6detail15normal_iteratorINS9_10device_ptrIsEEEESE_SE_sNS9_4plusIvEENS9_8equal_toIsEEsEE10hipError_tPvRmT2_T3_T4_T5_mT6_T7_P12ihipStream_tbENKUlT_T0_E_clISt17integral_constantIbLb0EESY_IbLb1EEEEDaSU_SV_EUlSU_E_NS1_11comp_targetILNS1_3genE8ELNS1_11target_archE1030ELNS1_3gpuE2ELNS1_3repE0EEENS1_30default_config_static_selectorELNS0_4arch9wavefront6targetE0EEEvT1_.num_named_barrier, 0
	.set _ZN7rocprim17ROCPRIM_400000_NS6detail17trampoline_kernelINS0_14default_configENS1_27scan_by_key_config_selectorIssEEZZNS1_16scan_by_key_implILNS1_25lookback_scan_determinismE0ELb1ES3_N6thrust23THRUST_200600_302600_NS6detail15normal_iteratorINS9_10device_ptrIsEEEESE_SE_sNS9_4plusIvEENS9_8equal_toIsEEsEE10hipError_tPvRmT2_T3_T4_T5_mT6_T7_P12ihipStream_tbENKUlT_T0_E_clISt17integral_constantIbLb0EESY_IbLb1EEEEDaSU_SV_EUlSU_E_NS1_11comp_targetILNS1_3genE8ELNS1_11target_archE1030ELNS1_3gpuE2ELNS1_3repE0EEENS1_30default_config_static_selectorELNS0_4arch9wavefront6targetE0EEEvT1_.private_seg_size, 0
	.set _ZN7rocprim17ROCPRIM_400000_NS6detail17trampoline_kernelINS0_14default_configENS1_27scan_by_key_config_selectorIssEEZZNS1_16scan_by_key_implILNS1_25lookback_scan_determinismE0ELb1ES3_N6thrust23THRUST_200600_302600_NS6detail15normal_iteratorINS9_10device_ptrIsEEEESE_SE_sNS9_4plusIvEENS9_8equal_toIsEEsEE10hipError_tPvRmT2_T3_T4_T5_mT6_T7_P12ihipStream_tbENKUlT_T0_E_clISt17integral_constantIbLb0EESY_IbLb1EEEEDaSU_SV_EUlSU_E_NS1_11comp_targetILNS1_3genE8ELNS1_11target_archE1030ELNS1_3gpuE2ELNS1_3repE0EEENS1_30default_config_static_selectorELNS0_4arch9wavefront6targetE0EEEvT1_.uses_vcc, 1
	.set _ZN7rocprim17ROCPRIM_400000_NS6detail17trampoline_kernelINS0_14default_configENS1_27scan_by_key_config_selectorIssEEZZNS1_16scan_by_key_implILNS1_25lookback_scan_determinismE0ELb1ES3_N6thrust23THRUST_200600_302600_NS6detail15normal_iteratorINS9_10device_ptrIsEEEESE_SE_sNS9_4plusIvEENS9_8equal_toIsEEsEE10hipError_tPvRmT2_T3_T4_T5_mT6_T7_P12ihipStream_tbENKUlT_T0_E_clISt17integral_constantIbLb0EESY_IbLb1EEEEDaSU_SV_EUlSU_E_NS1_11comp_targetILNS1_3genE8ELNS1_11target_archE1030ELNS1_3gpuE2ELNS1_3repE0EEENS1_30default_config_static_selectorELNS0_4arch9wavefront6targetE0EEEvT1_.uses_flat_scratch, 1
	.set _ZN7rocprim17ROCPRIM_400000_NS6detail17trampoline_kernelINS0_14default_configENS1_27scan_by_key_config_selectorIssEEZZNS1_16scan_by_key_implILNS1_25lookback_scan_determinismE0ELb1ES3_N6thrust23THRUST_200600_302600_NS6detail15normal_iteratorINS9_10device_ptrIsEEEESE_SE_sNS9_4plusIvEENS9_8equal_toIsEEsEE10hipError_tPvRmT2_T3_T4_T5_mT6_T7_P12ihipStream_tbENKUlT_T0_E_clISt17integral_constantIbLb0EESY_IbLb1EEEEDaSU_SV_EUlSU_E_NS1_11comp_targetILNS1_3genE8ELNS1_11target_archE1030ELNS1_3gpuE2ELNS1_3repE0EEENS1_30default_config_static_selectorELNS0_4arch9wavefront6targetE0EEEvT1_.has_dyn_sized_stack, 0
	.set _ZN7rocprim17ROCPRIM_400000_NS6detail17trampoline_kernelINS0_14default_configENS1_27scan_by_key_config_selectorIssEEZZNS1_16scan_by_key_implILNS1_25lookback_scan_determinismE0ELb1ES3_N6thrust23THRUST_200600_302600_NS6detail15normal_iteratorINS9_10device_ptrIsEEEESE_SE_sNS9_4plusIvEENS9_8equal_toIsEEsEE10hipError_tPvRmT2_T3_T4_T5_mT6_T7_P12ihipStream_tbENKUlT_T0_E_clISt17integral_constantIbLb0EESY_IbLb1EEEEDaSU_SV_EUlSU_E_NS1_11comp_targetILNS1_3genE8ELNS1_11target_archE1030ELNS1_3gpuE2ELNS1_3repE0EEENS1_30default_config_static_selectorELNS0_4arch9wavefront6targetE0EEEvT1_.has_recursion, 0
	.set _ZN7rocprim17ROCPRIM_400000_NS6detail17trampoline_kernelINS0_14default_configENS1_27scan_by_key_config_selectorIssEEZZNS1_16scan_by_key_implILNS1_25lookback_scan_determinismE0ELb1ES3_N6thrust23THRUST_200600_302600_NS6detail15normal_iteratorINS9_10device_ptrIsEEEESE_SE_sNS9_4plusIvEENS9_8equal_toIsEEsEE10hipError_tPvRmT2_T3_T4_T5_mT6_T7_P12ihipStream_tbENKUlT_T0_E_clISt17integral_constantIbLb0EESY_IbLb1EEEEDaSU_SV_EUlSU_E_NS1_11comp_targetILNS1_3genE8ELNS1_11target_archE1030ELNS1_3gpuE2ELNS1_3repE0EEENS1_30default_config_static_selectorELNS0_4arch9wavefront6targetE0EEEvT1_.has_indirect_call, 0
	.section	.AMDGPU.csdata,"",@progbits
; Kernel info:
; codeLenInByte = 10432
; TotalNumSgprs: 34
; NumVgprs: 44
; ScratchSize: 0
; MemoryBound: 0
; FloatMode: 240
; IeeeMode: 1
; LDSByteSize: 1536 bytes/workgroup (compile time only)
; SGPRBlocks: 0
; VGPRBlocks: 5
; NumSGPRsForWavesPerEU: 34
; NumVGPRsForWavesPerEU: 44
; Occupancy: 16
; WaveLimiterHint : 1
; COMPUTE_PGM_RSRC2:SCRATCH_EN: 0
; COMPUTE_PGM_RSRC2:USER_SGPR: 6
; COMPUTE_PGM_RSRC2:TRAP_HANDLER: 0
; COMPUTE_PGM_RSRC2:TGID_X_EN: 1
; COMPUTE_PGM_RSRC2:TGID_Y_EN: 0
; COMPUTE_PGM_RSRC2:TGID_Z_EN: 0
; COMPUTE_PGM_RSRC2:TIDIG_COMP_CNT: 0
	.section	.text._ZN7rocprim17ROCPRIM_400000_NS6detail17trampoline_kernelINS0_14default_configENS1_27scan_by_key_config_selectorIxxEEZZNS1_16scan_by_key_implILNS1_25lookback_scan_determinismE0ELb0ES3_N6thrust23THRUST_200600_302600_NS6detail15normal_iteratorINS9_10device_ptrIxEEEESE_SE_xNS9_4plusIxEE19head_flag_predicatexEE10hipError_tPvRmT2_T3_T4_T5_mT6_T7_P12ihipStream_tbENKUlT_T0_E_clISt17integral_constantIbLb0EESY_EEDaST_SU_EUlST_E_NS1_11comp_targetILNS1_3genE0ELNS1_11target_archE4294967295ELNS1_3gpuE0ELNS1_3repE0EEENS1_30default_config_static_selectorELNS0_4arch9wavefront6targetE0EEEvT1_,"axG",@progbits,_ZN7rocprim17ROCPRIM_400000_NS6detail17trampoline_kernelINS0_14default_configENS1_27scan_by_key_config_selectorIxxEEZZNS1_16scan_by_key_implILNS1_25lookback_scan_determinismE0ELb0ES3_N6thrust23THRUST_200600_302600_NS6detail15normal_iteratorINS9_10device_ptrIxEEEESE_SE_xNS9_4plusIxEE19head_flag_predicatexEE10hipError_tPvRmT2_T3_T4_T5_mT6_T7_P12ihipStream_tbENKUlT_T0_E_clISt17integral_constantIbLb0EESY_EEDaST_SU_EUlST_E_NS1_11comp_targetILNS1_3genE0ELNS1_11target_archE4294967295ELNS1_3gpuE0ELNS1_3repE0EEENS1_30default_config_static_selectorELNS0_4arch9wavefront6targetE0EEEvT1_,comdat
	.protected	_ZN7rocprim17ROCPRIM_400000_NS6detail17trampoline_kernelINS0_14default_configENS1_27scan_by_key_config_selectorIxxEEZZNS1_16scan_by_key_implILNS1_25lookback_scan_determinismE0ELb0ES3_N6thrust23THRUST_200600_302600_NS6detail15normal_iteratorINS9_10device_ptrIxEEEESE_SE_xNS9_4plusIxEE19head_flag_predicatexEE10hipError_tPvRmT2_T3_T4_T5_mT6_T7_P12ihipStream_tbENKUlT_T0_E_clISt17integral_constantIbLb0EESY_EEDaST_SU_EUlST_E_NS1_11comp_targetILNS1_3genE0ELNS1_11target_archE4294967295ELNS1_3gpuE0ELNS1_3repE0EEENS1_30default_config_static_selectorELNS0_4arch9wavefront6targetE0EEEvT1_ ; -- Begin function _ZN7rocprim17ROCPRIM_400000_NS6detail17trampoline_kernelINS0_14default_configENS1_27scan_by_key_config_selectorIxxEEZZNS1_16scan_by_key_implILNS1_25lookback_scan_determinismE0ELb0ES3_N6thrust23THRUST_200600_302600_NS6detail15normal_iteratorINS9_10device_ptrIxEEEESE_SE_xNS9_4plusIxEE19head_flag_predicatexEE10hipError_tPvRmT2_T3_T4_T5_mT6_T7_P12ihipStream_tbENKUlT_T0_E_clISt17integral_constantIbLb0EESY_EEDaST_SU_EUlST_E_NS1_11comp_targetILNS1_3genE0ELNS1_11target_archE4294967295ELNS1_3gpuE0ELNS1_3repE0EEENS1_30default_config_static_selectorELNS0_4arch9wavefront6targetE0EEEvT1_
	.globl	_ZN7rocprim17ROCPRIM_400000_NS6detail17trampoline_kernelINS0_14default_configENS1_27scan_by_key_config_selectorIxxEEZZNS1_16scan_by_key_implILNS1_25lookback_scan_determinismE0ELb0ES3_N6thrust23THRUST_200600_302600_NS6detail15normal_iteratorINS9_10device_ptrIxEEEESE_SE_xNS9_4plusIxEE19head_flag_predicatexEE10hipError_tPvRmT2_T3_T4_T5_mT6_T7_P12ihipStream_tbENKUlT_T0_E_clISt17integral_constantIbLb0EESY_EEDaST_SU_EUlST_E_NS1_11comp_targetILNS1_3genE0ELNS1_11target_archE4294967295ELNS1_3gpuE0ELNS1_3repE0EEENS1_30default_config_static_selectorELNS0_4arch9wavefront6targetE0EEEvT1_
	.p2align	8
	.type	_ZN7rocprim17ROCPRIM_400000_NS6detail17trampoline_kernelINS0_14default_configENS1_27scan_by_key_config_selectorIxxEEZZNS1_16scan_by_key_implILNS1_25lookback_scan_determinismE0ELb0ES3_N6thrust23THRUST_200600_302600_NS6detail15normal_iteratorINS9_10device_ptrIxEEEESE_SE_xNS9_4plusIxEE19head_flag_predicatexEE10hipError_tPvRmT2_T3_T4_T5_mT6_T7_P12ihipStream_tbENKUlT_T0_E_clISt17integral_constantIbLb0EESY_EEDaST_SU_EUlST_E_NS1_11comp_targetILNS1_3genE0ELNS1_11target_archE4294967295ELNS1_3gpuE0ELNS1_3repE0EEENS1_30default_config_static_selectorELNS0_4arch9wavefront6targetE0EEEvT1_,@function
_ZN7rocprim17ROCPRIM_400000_NS6detail17trampoline_kernelINS0_14default_configENS1_27scan_by_key_config_selectorIxxEEZZNS1_16scan_by_key_implILNS1_25lookback_scan_determinismE0ELb0ES3_N6thrust23THRUST_200600_302600_NS6detail15normal_iteratorINS9_10device_ptrIxEEEESE_SE_xNS9_4plusIxEE19head_flag_predicatexEE10hipError_tPvRmT2_T3_T4_T5_mT6_T7_P12ihipStream_tbENKUlT_T0_E_clISt17integral_constantIbLb0EESY_EEDaST_SU_EUlST_E_NS1_11comp_targetILNS1_3genE0ELNS1_11target_archE4294967295ELNS1_3gpuE0ELNS1_3repE0EEENS1_30default_config_static_selectorELNS0_4arch9wavefront6targetE0EEEvT1_: ; @_ZN7rocprim17ROCPRIM_400000_NS6detail17trampoline_kernelINS0_14default_configENS1_27scan_by_key_config_selectorIxxEEZZNS1_16scan_by_key_implILNS1_25lookback_scan_determinismE0ELb0ES3_N6thrust23THRUST_200600_302600_NS6detail15normal_iteratorINS9_10device_ptrIxEEEESE_SE_xNS9_4plusIxEE19head_flag_predicatexEE10hipError_tPvRmT2_T3_T4_T5_mT6_T7_P12ihipStream_tbENKUlT_T0_E_clISt17integral_constantIbLb0EESY_EEDaST_SU_EUlST_E_NS1_11comp_targetILNS1_3genE0ELNS1_11target_archE4294967295ELNS1_3gpuE0ELNS1_3repE0EEENS1_30default_config_static_selectorELNS0_4arch9wavefront6targetE0EEEvT1_
; %bb.0:
	.section	.rodata,"a",@progbits
	.p2align	6, 0x0
	.amdhsa_kernel _ZN7rocprim17ROCPRIM_400000_NS6detail17trampoline_kernelINS0_14default_configENS1_27scan_by_key_config_selectorIxxEEZZNS1_16scan_by_key_implILNS1_25lookback_scan_determinismE0ELb0ES3_N6thrust23THRUST_200600_302600_NS6detail15normal_iteratorINS9_10device_ptrIxEEEESE_SE_xNS9_4plusIxEE19head_flag_predicatexEE10hipError_tPvRmT2_T3_T4_T5_mT6_T7_P12ihipStream_tbENKUlT_T0_E_clISt17integral_constantIbLb0EESY_EEDaST_SU_EUlST_E_NS1_11comp_targetILNS1_3genE0ELNS1_11target_archE4294967295ELNS1_3gpuE0ELNS1_3repE0EEENS1_30default_config_static_selectorELNS0_4arch9wavefront6targetE0EEEvT1_
		.amdhsa_group_segment_fixed_size 0
		.amdhsa_private_segment_fixed_size 0
		.amdhsa_kernarg_size 136
		.amdhsa_user_sgpr_count 6
		.amdhsa_user_sgpr_private_segment_buffer 1
		.amdhsa_user_sgpr_dispatch_ptr 0
		.amdhsa_user_sgpr_queue_ptr 0
		.amdhsa_user_sgpr_kernarg_segment_ptr 1
		.amdhsa_user_sgpr_dispatch_id 0
		.amdhsa_user_sgpr_flat_scratch_init 0
		.amdhsa_user_sgpr_private_segment_size 0
		.amdhsa_wavefront_size32 1
		.amdhsa_uses_dynamic_stack 0
		.amdhsa_system_sgpr_private_segment_wavefront_offset 0
		.amdhsa_system_sgpr_workgroup_id_x 1
		.amdhsa_system_sgpr_workgroup_id_y 0
		.amdhsa_system_sgpr_workgroup_id_z 0
		.amdhsa_system_sgpr_workgroup_info 0
		.amdhsa_system_vgpr_workitem_id 0
		.amdhsa_next_free_vgpr 1
		.amdhsa_next_free_sgpr 1
		.amdhsa_reserve_vcc 0
		.amdhsa_reserve_flat_scratch 0
		.amdhsa_float_round_mode_32 0
		.amdhsa_float_round_mode_16_64 0
		.amdhsa_float_denorm_mode_32 3
		.amdhsa_float_denorm_mode_16_64 3
		.amdhsa_dx10_clamp 1
		.amdhsa_ieee_mode 1
		.amdhsa_fp16_overflow 0
		.amdhsa_workgroup_processor_mode 1
		.amdhsa_memory_ordered 1
		.amdhsa_forward_progress 1
		.amdhsa_shared_vgpr_count 0
		.amdhsa_exception_fp_ieee_invalid_op 0
		.amdhsa_exception_fp_denorm_src 0
		.amdhsa_exception_fp_ieee_div_zero 0
		.amdhsa_exception_fp_ieee_overflow 0
		.amdhsa_exception_fp_ieee_underflow 0
		.amdhsa_exception_fp_ieee_inexact 0
		.amdhsa_exception_int_div_zero 0
	.end_amdhsa_kernel
	.section	.text._ZN7rocprim17ROCPRIM_400000_NS6detail17trampoline_kernelINS0_14default_configENS1_27scan_by_key_config_selectorIxxEEZZNS1_16scan_by_key_implILNS1_25lookback_scan_determinismE0ELb0ES3_N6thrust23THRUST_200600_302600_NS6detail15normal_iteratorINS9_10device_ptrIxEEEESE_SE_xNS9_4plusIxEE19head_flag_predicatexEE10hipError_tPvRmT2_T3_T4_T5_mT6_T7_P12ihipStream_tbENKUlT_T0_E_clISt17integral_constantIbLb0EESY_EEDaST_SU_EUlST_E_NS1_11comp_targetILNS1_3genE0ELNS1_11target_archE4294967295ELNS1_3gpuE0ELNS1_3repE0EEENS1_30default_config_static_selectorELNS0_4arch9wavefront6targetE0EEEvT1_,"axG",@progbits,_ZN7rocprim17ROCPRIM_400000_NS6detail17trampoline_kernelINS0_14default_configENS1_27scan_by_key_config_selectorIxxEEZZNS1_16scan_by_key_implILNS1_25lookback_scan_determinismE0ELb0ES3_N6thrust23THRUST_200600_302600_NS6detail15normal_iteratorINS9_10device_ptrIxEEEESE_SE_xNS9_4plusIxEE19head_flag_predicatexEE10hipError_tPvRmT2_T3_T4_T5_mT6_T7_P12ihipStream_tbENKUlT_T0_E_clISt17integral_constantIbLb0EESY_EEDaST_SU_EUlST_E_NS1_11comp_targetILNS1_3genE0ELNS1_11target_archE4294967295ELNS1_3gpuE0ELNS1_3repE0EEENS1_30default_config_static_selectorELNS0_4arch9wavefront6targetE0EEEvT1_,comdat
.Lfunc_end677:
	.size	_ZN7rocprim17ROCPRIM_400000_NS6detail17trampoline_kernelINS0_14default_configENS1_27scan_by_key_config_selectorIxxEEZZNS1_16scan_by_key_implILNS1_25lookback_scan_determinismE0ELb0ES3_N6thrust23THRUST_200600_302600_NS6detail15normal_iteratorINS9_10device_ptrIxEEEESE_SE_xNS9_4plusIxEE19head_flag_predicatexEE10hipError_tPvRmT2_T3_T4_T5_mT6_T7_P12ihipStream_tbENKUlT_T0_E_clISt17integral_constantIbLb0EESY_EEDaST_SU_EUlST_E_NS1_11comp_targetILNS1_3genE0ELNS1_11target_archE4294967295ELNS1_3gpuE0ELNS1_3repE0EEENS1_30default_config_static_selectorELNS0_4arch9wavefront6targetE0EEEvT1_, .Lfunc_end677-_ZN7rocprim17ROCPRIM_400000_NS6detail17trampoline_kernelINS0_14default_configENS1_27scan_by_key_config_selectorIxxEEZZNS1_16scan_by_key_implILNS1_25lookback_scan_determinismE0ELb0ES3_N6thrust23THRUST_200600_302600_NS6detail15normal_iteratorINS9_10device_ptrIxEEEESE_SE_xNS9_4plusIxEE19head_flag_predicatexEE10hipError_tPvRmT2_T3_T4_T5_mT6_T7_P12ihipStream_tbENKUlT_T0_E_clISt17integral_constantIbLb0EESY_EEDaST_SU_EUlST_E_NS1_11comp_targetILNS1_3genE0ELNS1_11target_archE4294967295ELNS1_3gpuE0ELNS1_3repE0EEENS1_30default_config_static_selectorELNS0_4arch9wavefront6targetE0EEEvT1_
                                        ; -- End function
	.set _ZN7rocprim17ROCPRIM_400000_NS6detail17trampoline_kernelINS0_14default_configENS1_27scan_by_key_config_selectorIxxEEZZNS1_16scan_by_key_implILNS1_25lookback_scan_determinismE0ELb0ES3_N6thrust23THRUST_200600_302600_NS6detail15normal_iteratorINS9_10device_ptrIxEEEESE_SE_xNS9_4plusIxEE19head_flag_predicatexEE10hipError_tPvRmT2_T3_T4_T5_mT6_T7_P12ihipStream_tbENKUlT_T0_E_clISt17integral_constantIbLb0EESY_EEDaST_SU_EUlST_E_NS1_11comp_targetILNS1_3genE0ELNS1_11target_archE4294967295ELNS1_3gpuE0ELNS1_3repE0EEENS1_30default_config_static_selectorELNS0_4arch9wavefront6targetE0EEEvT1_.num_vgpr, 0
	.set _ZN7rocprim17ROCPRIM_400000_NS6detail17trampoline_kernelINS0_14default_configENS1_27scan_by_key_config_selectorIxxEEZZNS1_16scan_by_key_implILNS1_25lookback_scan_determinismE0ELb0ES3_N6thrust23THRUST_200600_302600_NS6detail15normal_iteratorINS9_10device_ptrIxEEEESE_SE_xNS9_4plusIxEE19head_flag_predicatexEE10hipError_tPvRmT2_T3_T4_T5_mT6_T7_P12ihipStream_tbENKUlT_T0_E_clISt17integral_constantIbLb0EESY_EEDaST_SU_EUlST_E_NS1_11comp_targetILNS1_3genE0ELNS1_11target_archE4294967295ELNS1_3gpuE0ELNS1_3repE0EEENS1_30default_config_static_selectorELNS0_4arch9wavefront6targetE0EEEvT1_.num_agpr, 0
	.set _ZN7rocprim17ROCPRIM_400000_NS6detail17trampoline_kernelINS0_14default_configENS1_27scan_by_key_config_selectorIxxEEZZNS1_16scan_by_key_implILNS1_25lookback_scan_determinismE0ELb0ES3_N6thrust23THRUST_200600_302600_NS6detail15normal_iteratorINS9_10device_ptrIxEEEESE_SE_xNS9_4plusIxEE19head_flag_predicatexEE10hipError_tPvRmT2_T3_T4_T5_mT6_T7_P12ihipStream_tbENKUlT_T0_E_clISt17integral_constantIbLb0EESY_EEDaST_SU_EUlST_E_NS1_11comp_targetILNS1_3genE0ELNS1_11target_archE4294967295ELNS1_3gpuE0ELNS1_3repE0EEENS1_30default_config_static_selectorELNS0_4arch9wavefront6targetE0EEEvT1_.numbered_sgpr, 0
	.set _ZN7rocprim17ROCPRIM_400000_NS6detail17trampoline_kernelINS0_14default_configENS1_27scan_by_key_config_selectorIxxEEZZNS1_16scan_by_key_implILNS1_25lookback_scan_determinismE0ELb0ES3_N6thrust23THRUST_200600_302600_NS6detail15normal_iteratorINS9_10device_ptrIxEEEESE_SE_xNS9_4plusIxEE19head_flag_predicatexEE10hipError_tPvRmT2_T3_T4_T5_mT6_T7_P12ihipStream_tbENKUlT_T0_E_clISt17integral_constantIbLb0EESY_EEDaST_SU_EUlST_E_NS1_11comp_targetILNS1_3genE0ELNS1_11target_archE4294967295ELNS1_3gpuE0ELNS1_3repE0EEENS1_30default_config_static_selectorELNS0_4arch9wavefront6targetE0EEEvT1_.num_named_barrier, 0
	.set _ZN7rocprim17ROCPRIM_400000_NS6detail17trampoline_kernelINS0_14default_configENS1_27scan_by_key_config_selectorIxxEEZZNS1_16scan_by_key_implILNS1_25lookback_scan_determinismE0ELb0ES3_N6thrust23THRUST_200600_302600_NS6detail15normal_iteratorINS9_10device_ptrIxEEEESE_SE_xNS9_4plusIxEE19head_flag_predicatexEE10hipError_tPvRmT2_T3_T4_T5_mT6_T7_P12ihipStream_tbENKUlT_T0_E_clISt17integral_constantIbLb0EESY_EEDaST_SU_EUlST_E_NS1_11comp_targetILNS1_3genE0ELNS1_11target_archE4294967295ELNS1_3gpuE0ELNS1_3repE0EEENS1_30default_config_static_selectorELNS0_4arch9wavefront6targetE0EEEvT1_.private_seg_size, 0
	.set _ZN7rocprim17ROCPRIM_400000_NS6detail17trampoline_kernelINS0_14default_configENS1_27scan_by_key_config_selectorIxxEEZZNS1_16scan_by_key_implILNS1_25lookback_scan_determinismE0ELb0ES3_N6thrust23THRUST_200600_302600_NS6detail15normal_iteratorINS9_10device_ptrIxEEEESE_SE_xNS9_4plusIxEE19head_flag_predicatexEE10hipError_tPvRmT2_T3_T4_T5_mT6_T7_P12ihipStream_tbENKUlT_T0_E_clISt17integral_constantIbLb0EESY_EEDaST_SU_EUlST_E_NS1_11comp_targetILNS1_3genE0ELNS1_11target_archE4294967295ELNS1_3gpuE0ELNS1_3repE0EEENS1_30default_config_static_selectorELNS0_4arch9wavefront6targetE0EEEvT1_.uses_vcc, 0
	.set _ZN7rocprim17ROCPRIM_400000_NS6detail17trampoline_kernelINS0_14default_configENS1_27scan_by_key_config_selectorIxxEEZZNS1_16scan_by_key_implILNS1_25lookback_scan_determinismE0ELb0ES3_N6thrust23THRUST_200600_302600_NS6detail15normal_iteratorINS9_10device_ptrIxEEEESE_SE_xNS9_4plusIxEE19head_flag_predicatexEE10hipError_tPvRmT2_T3_T4_T5_mT6_T7_P12ihipStream_tbENKUlT_T0_E_clISt17integral_constantIbLb0EESY_EEDaST_SU_EUlST_E_NS1_11comp_targetILNS1_3genE0ELNS1_11target_archE4294967295ELNS1_3gpuE0ELNS1_3repE0EEENS1_30default_config_static_selectorELNS0_4arch9wavefront6targetE0EEEvT1_.uses_flat_scratch, 0
	.set _ZN7rocprim17ROCPRIM_400000_NS6detail17trampoline_kernelINS0_14default_configENS1_27scan_by_key_config_selectorIxxEEZZNS1_16scan_by_key_implILNS1_25lookback_scan_determinismE0ELb0ES3_N6thrust23THRUST_200600_302600_NS6detail15normal_iteratorINS9_10device_ptrIxEEEESE_SE_xNS9_4plusIxEE19head_flag_predicatexEE10hipError_tPvRmT2_T3_T4_T5_mT6_T7_P12ihipStream_tbENKUlT_T0_E_clISt17integral_constantIbLb0EESY_EEDaST_SU_EUlST_E_NS1_11comp_targetILNS1_3genE0ELNS1_11target_archE4294967295ELNS1_3gpuE0ELNS1_3repE0EEENS1_30default_config_static_selectorELNS0_4arch9wavefront6targetE0EEEvT1_.has_dyn_sized_stack, 0
	.set _ZN7rocprim17ROCPRIM_400000_NS6detail17trampoline_kernelINS0_14default_configENS1_27scan_by_key_config_selectorIxxEEZZNS1_16scan_by_key_implILNS1_25lookback_scan_determinismE0ELb0ES3_N6thrust23THRUST_200600_302600_NS6detail15normal_iteratorINS9_10device_ptrIxEEEESE_SE_xNS9_4plusIxEE19head_flag_predicatexEE10hipError_tPvRmT2_T3_T4_T5_mT6_T7_P12ihipStream_tbENKUlT_T0_E_clISt17integral_constantIbLb0EESY_EEDaST_SU_EUlST_E_NS1_11comp_targetILNS1_3genE0ELNS1_11target_archE4294967295ELNS1_3gpuE0ELNS1_3repE0EEENS1_30default_config_static_selectorELNS0_4arch9wavefront6targetE0EEEvT1_.has_recursion, 0
	.set _ZN7rocprim17ROCPRIM_400000_NS6detail17trampoline_kernelINS0_14default_configENS1_27scan_by_key_config_selectorIxxEEZZNS1_16scan_by_key_implILNS1_25lookback_scan_determinismE0ELb0ES3_N6thrust23THRUST_200600_302600_NS6detail15normal_iteratorINS9_10device_ptrIxEEEESE_SE_xNS9_4plusIxEE19head_flag_predicatexEE10hipError_tPvRmT2_T3_T4_T5_mT6_T7_P12ihipStream_tbENKUlT_T0_E_clISt17integral_constantIbLb0EESY_EEDaST_SU_EUlST_E_NS1_11comp_targetILNS1_3genE0ELNS1_11target_archE4294967295ELNS1_3gpuE0ELNS1_3repE0EEENS1_30default_config_static_selectorELNS0_4arch9wavefront6targetE0EEEvT1_.has_indirect_call, 0
	.section	.AMDGPU.csdata,"",@progbits
; Kernel info:
; codeLenInByte = 0
; TotalNumSgprs: 0
; NumVgprs: 0
; ScratchSize: 0
; MemoryBound: 0
; FloatMode: 240
; IeeeMode: 1
; LDSByteSize: 0 bytes/workgroup (compile time only)
; SGPRBlocks: 0
; VGPRBlocks: 0
; NumSGPRsForWavesPerEU: 1
; NumVGPRsForWavesPerEU: 1
; Occupancy: 16
; WaveLimiterHint : 0
; COMPUTE_PGM_RSRC2:SCRATCH_EN: 0
; COMPUTE_PGM_RSRC2:USER_SGPR: 6
; COMPUTE_PGM_RSRC2:TRAP_HANDLER: 0
; COMPUTE_PGM_RSRC2:TGID_X_EN: 1
; COMPUTE_PGM_RSRC2:TGID_Y_EN: 0
; COMPUTE_PGM_RSRC2:TGID_Z_EN: 0
; COMPUTE_PGM_RSRC2:TIDIG_COMP_CNT: 0
	.section	.text._ZN7rocprim17ROCPRIM_400000_NS6detail17trampoline_kernelINS0_14default_configENS1_27scan_by_key_config_selectorIxxEEZZNS1_16scan_by_key_implILNS1_25lookback_scan_determinismE0ELb0ES3_N6thrust23THRUST_200600_302600_NS6detail15normal_iteratorINS9_10device_ptrIxEEEESE_SE_xNS9_4plusIxEE19head_flag_predicatexEE10hipError_tPvRmT2_T3_T4_T5_mT6_T7_P12ihipStream_tbENKUlT_T0_E_clISt17integral_constantIbLb0EESY_EEDaST_SU_EUlST_E_NS1_11comp_targetILNS1_3genE10ELNS1_11target_archE1201ELNS1_3gpuE5ELNS1_3repE0EEENS1_30default_config_static_selectorELNS0_4arch9wavefront6targetE0EEEvT1_,"axG",@progbits,_ZN7rocprim17ROCPRIM_400000_NS6detail17trampoline_kernelINS0_14default_configENS1_27scan_by_key_config_selectorIxxEEZZNS1_16scan_by_key_implILNS1_25lookback_scan_determinismE0ELb0ES3_N6thrust23THRUST_200600_302600_NS6detail15normal_iteratorINS9_10device_ptrIxEEEESE_SE_xNS9_4plusIxEE19head_flag_predicatexEE10hipError_tPvRmT2_T3_T4_T5_mT6_T7_P12ihipStream_tbENKUlT_T0_E_clISt17integral_constantIbLb0EESY_EEDaST_SU_EUlST_E_NS1_11comp_targetILNS1_3genE10ELNS1_11target_archE1201ELNS1_3gpuE5ELNS1_3repE0EEENS1_30default_config_static_selectorELNS0_4arch9wavefront6targetE0EEEvT1_,comdat
	.protected	_ZN7rocprim17ROCPRIM_400000_NS6detail17trampoline_kernelINS0_14default_configENS1_27scan_by_key_config_selectorIxxEEZZNS1_16scan_by_key_implILNS1_25lookback_scan_determinismE0ELb0ES3_N6thrust23THRUST_200600_302600_NS6detail15normal_iteratorINS9_10device_ptrIxEEEESE_SE_xNS9_4plusIxEE19head_flag_predicatexEE10hipError_tPvRmT2_T3_T4_T5_mT6_T7_P12ihipStream_tbENKUlT_T0_E_clISt17integral_constantIbLb0EESY_EEDaST_SU_EUlST_E_NS1_11comp_targetILNS1_3genE10ELNS1_11target_archE1201ELNS1_3gpuE5ELNS1_3repE0EEENS1_30default_config_static_selectorELNS0_4arch9wavefront6targetE0EEEvT1_ ; -- Begin function _ZN7rocprim17ROCPRIM_400000_NS6detail17trampoline_kernelINS0_14default_configENS1_27scan_by_key_config_selectorIxxEEZZNS1_16scan_by_key_implILNS1_25lookback_scan_determinismE0ELb0ES3_N6thrust23THRUST_200600_302600_NS6detail15normal_iteratorINS9_10device_ptrIxEEEESE_SE_xNS9_4plusIxEE19head_flag_predicatexEE10hipError_tPvRmT2_T3_T4_T5_mT6_T7_P12ihipStream_tbENKUlT_T0_E_clISt17integral_constantIbLb0EESY_EEDaST_SU_EUlST_E_NS1_11comp_targetILNS1_3genE10ELNS1_11target_archE1201ELNS1_3gpuE5ELNS1_3repE0EEENS1_30default_config_static_selectorELNS0_4arch9wavefront6targetE0EEEvT1_
	.globl	_ZN7rocprim17ROCPRIM_400000_NS6detail17trampoline_kernelINS0_14default_configENS1_27scan_by_key_config_selectorIxxEEZZNS1_16scan_by_key_implILNS1_25lookback_scan_determinismE0ELb0ES3_N6thrust23THRUST_200600_302600_NS6detail15normal_iteratorINS9_10device_ptrIxEEEESE_SE_xNS9_4plusIxEE19head_flag_predicatexEE10hipError_tPvRmT2_T3_T4_T5_mT6_T7_P12ihipStream_tbENKUlT_T0_E_clISt17integral_constantIbLb0EESY_EEDaST_SU_EUlST_E_NS1_11comp_targetILNS1_3genE10ELNS1_11target_archE1201ELNS1_3gpuE5ELNS1_3repE0EEENS1_30default_config_static_selectorELNS0_4arch9wavefront6targetE0EEEvT1_
	.p2align	8
	.type	_ZN7rocprim17ROCPRIM_400000_NS6detail17trampoline_kernelINS0_14default_configENS1_27scan_by_key_config_selectorIxxEEZZNS1_16scan_by_key_implILNS1_25lookback_scan_determinismE0ELb0ES3_N6thrust23THRUST_200600_302600_NS6detail15normal_iteratorINS9_10device_ptrIxEEEESE_SE_xNS9_4plusIxEE19head_flag_predicatexEE10hipError_tPvRmT2_T3_T4_T5_mT6_T7_P12ihipStream_tbENKUlT_T0_E_clISt17integral_constantIbLb0EESY_EEDaST_SU_EUlST_E_NS1_11comp_targetILNS1_3genE10ELNS1_11target_archE1201ELNS1_3gpuE5ELNS1_3repE0EEENS1_30default_config_static_selectorELNS0_4arch9wavefront6targetE0EEEvT1_,@function
_ZN7rocprim17ROCPRIM_400000_NS6detail17trampoline_kernelINS0_14default_configENS1_27scan_by_key_config_selectorIxxEEZZNS1_16scan_by_key_implILNS1_25lookback_scan_determinismE0ELb0ES3_N6thrust23THRUST_200600_302600_NS6detail15normal_iteratorINS9_10device_ptrIxEEEESE_SE_xNS9_4plusIxEE19head_flag_predicatexEE10hipError_tPvRmT2_T3_T4_T5_mT6_T7_P12ihipStream_tbENKUlT_T0_E_clISt17integral_constantIbLb0EESY_EEDaST_SU_EUlST_E_NS1_11comp_targetILNS1_3genE10ELNS1_11target_archE1201ELNS1_3gpuE5ELNS1_3repE0EEENS1_30default_config_static_selectorELNS0_4arch9wavefront6targetE0EEEvT1_: ; @_ZN7rocprim17ROCPRIM_400000_NS6detail17trampoline_kernelINS0_14default_configENS1_27scan_by_key_config_selectorIxxEEZZNS1_16scan_by_key_implILNS1_25lookback_scan_determinismE0ELb0ES3_N6thrust23THRUST_200600_302600_NS6detail15normal_iteratorINS9_10device_ptrIxEEEESE_SE_xNS9_4plusIxEE19head_flag_predicatexEE10hipError_tPvRmT2_T3_T4_T5_mT6_T7_P12ihipStream_tbENKUlT_T0_E_clISt17integral_constantIbLb0EESY_EEDaST_SU_EUlST_E_NS1_11comp_targetILNS1_3genE10ELNS1_11target_archE1201ELNS1_3gpuE5ELNS1_3repE0EEENS1_30default_config_static_selectorELNS0_4arch9wavefront6targetE0EEEvT1_
; %bb.0:
	.section	.rodata,"a",@progbits
	.p2align	6, 0x0
	.amdhsa_kernel _ZN7rocprim17ROCPRIM_400000_NS6detail17trampoline_kernelINS0_14default_configENS1_27scan_by_key_config_selectorIxxEEZZNS1_16scan_by_key_implILNS1_25lookback_scan_determinismE0ELb0ES3_N6thrust23THRUST_200600_302600_NS6detail15normal_iteratorINS9_10device_ptrIxEEEESE_SE_xNS9_4plusIxEE19head_flag_predicatexEE10hipError_tPvRmT2_T3_T4_T5_mT6_T7_P12ihipStream_tbENKUlT_T0_E_clISt17integral_constantIbLb0EESY_EEDaST_SU_EUlST_E_NS1_11comp_targetILNS1_3genE10ELNS1_11target_archE1201ELNS1_3gpuE5ELNS1_3repE0EEENS1_30default_config_static_selectorELNS0_4arch9wavefront6targetE0EEEvT1_
		.amdhsa_group_segment_fixed_size 0
		.amdhsa_private_segment_fixed_size 0
		.amdhsa_kernarg_size 136
		.amdhsa_user_sgpr_count 6
		.amdhsa_user_sgpr_private_segment_buffer 1
		.amdhsa_user_sgpr_dispatch_ptr 0
		.amdhsa_user_sgpr_queue_ptr 0
		.amdhsa_user_sgpr_kernarg_segment_ptr 1
		.amdhsa_user_sgpr_dispatch_id 0
		.amdhsa_user_sgpr_flat_scratch_init 0
		.amdhsa_user_sgpr_private_segment_size 0
		.amdhsa_wavefront_size32 1
		.amdhsa_uses_dynamic_stack 0
		.amdhsa_system_sgpr_private_segment_wavefront_offset 0
		.amdhsa_system_sgpr_workgroup_id_x 1
		.amdhsa_system_sgpr_workgroup_id_y 0
		.amdhsa_system_sgpr_workgroup_id_z 0
		.amdhsa_system_sgpr_workgroup_info 0
		.amdhsa_system_vgpr_workitem_id 0
		.amdhsa_next_free_vgpr 1
		.amdhsa_next_free_sgpr 1
		.amdhsa_reserve_vcc 0
		.amdhsa_reserve_flat_scratch 0
		.amdhsa_float_round_mode_32 0
		.amdhsa_float_round_mode_16_64 0
		.amdhsa_float_denorm_mode_32 3
		.amdhsa_float_denorm_mode_16_64 3
		.amdhsa_dx10_clamp 1
		.amdhsa_ieee_mode 1
		.amdhsa_fp16_overflow 0
		.amdhsa_workgroup_processor_mode 1
		.amdhsa_memory_ordered 1
		.amdhsa_forward_progress 1
		.amdhsa_shared_vgpr_count 0
		.amdhsa_exception_fp_ieee_invalid_op 0
		.amdhsa_exception_fp_denorm_src 0
		.amdhsa_exception_fp_ieee_div_zero 0
		.amdhsa_exception_fp_ieee_overflow 0
		.amdhsa_exception_fp_ieee_underflow 0
		.amdhsa_exception_fp_ieee_inexact 0
		.amdhsa_exception_int_div_zero 0
	.end_amdhsa_kernel
	.section	.text._ZN7rocprim17ROCPRIM_400000_NS6detail17trampoline_kernelINS0_14default_configENS1_27scan_by_key_config_selectorIxxEEZZNS1_16scan_by_key_implILNS1_25lookback_scan_determinismE0ELb0ES3_N6thrust23THRUST_200600_302600_NS6detail15normal_iteratorINS9_10device_ptrIxEEEESE_SE_xNS9_4plusIxEE19head_flag_predicatexEE10hipError_tPvRmT2_T3_T4_T5_mT6_T7_P12ihipStream_tbENKUlT_T0_E_clISt17integral_constantIbLb0EESY_EEDaST_SU_EUlST_E_NS1_11comp_targetILNS1_3genE10ELNS1_11target_archE1201ELNS1_3gpuE5ELNS1_3repE0EEENS1_30default_config_static_selectorELNS0_4arch9wavefront6targetE0EEEvT1_,"axG",@progbits,_ZN7rocprim17ROCPRIM_400000_NS6detail17trampoline_kernelINS0_14default_configENS1_27scan_by_key_config_selectorIxxEEZZNS1_16scan_by_key_implILNS1_25lookback_scan_determinismE0ELb0ES3_N6thrust23THRUST_200600_302600_NS6detail15normal_iteratorINS9_10device_ptrIxEEEESE_SE_xNS9_4plusIxEE19head_flag_predicatexEE10hipError_tPvRmT2_T3_T4_T5_mT6_T7_P12ihipStream_tbENKUlT_T0_E_clISt17integral_constantIbLb0EESY_EEDaST_SU_EUlST_E_NS1_11comp_targetILNS1_3genE10ELNS1_11target_archE1201ELNS1_3gpuE5ELNS1_3repE0EEENS1_30default_config_static_selectorELNS0_4arch9wavefront6targetE0EEEvT1_,comdat
.Lfunc_end678:
	.size	_ZN7rocprim17ROCPRIM_400000_NS6detail17trampoline_kernelINS0_14default_configENS1_27scan_by_key_config_selectorIxxEEZZNS1_16scan_by_key_implILNS1_25lookback_scan_determinismE0ELb0ES3_N6thrust23THRUST_200600_302600_NS6detail15normal_iteratorINS9_10device_ptrIxEEEESE_SE_xNS9_4plusIxEE19head_flag_predicatexEE10hipError_tPvRmT2_T3_T4_T5_mT6_T7_P12ihipStream_tbENKUlT_T0_E_clISt17integral_constantIbLb0EESY_EEDaST_SU_EUlST_E_NS1_11comp_targetILNS1_3genE10ELNS1_11target_archE1201ELNS1_3gpuE5ELNS1_3repE0EEENS1_30default_config_static_selectorELNS0_4arch9wavefront6targetE0EEEvT1_, .Lfunc_end678-_ZN7rocprim17ROCPRIM_400000_NS6detail17trampoline_kernelINS0_14default_configENS1_27scan_by_key_config_selectorIxxEEZZNS1_16scan_by_key_implILNS1_25lookback_scan_determinismE0ELb0ES3_N6thrust23THRUST_200600_302600_NS6detail15normal_iteratorINS9_10device_ptrIxEEEESE_SE_xNS9_4plusIxEE19head_flag_predicatexEE10hipError_tPvRmT2_T3_T4_T5_mT6_T7_P12ihipStream_tbENKUlT_T0_E_clISt17integral_constantIbLb0EESY_EEDaST_SU_EUlST_E_NS1_11comp_targetILNS1_3genE10ELNS1_11target_archE1201ELNS1_3gpuE5ELNS1_3repE0EEENS1_30default_config_static_selectorELNS0_4arch9wavefront6targetE0EEEvT1_
                                        ; -- End function
	.set _ZN7rocprim17ROCPRIM_400000_NS6detail17trampoline_kernelINS0_14default_configENS1_27scan_by_key_config_selectorIxxEEZZNS1_16scan_by_key_implILNS1_25lookback_scan_determinismE0ELb0ES3_N6thrust23THRUST_200600_302600_NS6detail15normal_iteratorINS9_10device_ptrIxEEEESE_SE_xNS9_4plusIxEE19head_flag_predicatexEE10hipError_tPvRmT2_T3_T4_T5_mT6_T7_P12ihipStream_tbENKUlT_T0_E_clISt17integral_constantIbLb0EESY_EEDaST_SU_EUlST_E_NS1_11comp_targetILNS1_3genE10ELNS1_11target_archE1201ELNS1_3gpuE5ELNS1_3repE0EEENS1_30default_config_static_selectorELNS0_4arch9wavefront6targetE0EEEvT1_.num_vgpr, 0
	.set _ZN7rocprim17ROCPRIM_400000_NS6detail17trampoline_kernelINS0_14default_configENS1_27scan_by_key_config_selectorIxxEEZZNS1_16scan_by_key_implILNS1_25lookback_scan_determinismE0ELb0ES3_N6thrust23THRUST_200600_302600_NS6detail15normal_iteratorINS9_10device_ptrIxEEEESE_SE_xNS9_4plusIxEE19head_flag_predicatexEE10hipError_tPvRmT2_T3_T4_T5_mT6_T7_P12ihipStream_tbENKUlT_T0_E_clISt17integral_constantIbLb0EESY_EEDaST_SU_EUlST_E_NS1_11comp_targetILNS1_3genE10ELNS1_11target_archE1201ELNS1_3gpuE5ELNS1_3repE0EEENS1_30default_config_static_selectorELNS0_4arch9wavefront6targetE0EEEvT1_.num_agpr, 0
	.set _ZN7rocprim17ROCPRIM_400000_NS6detail17trampoline_kernelINS0_14default_configENS1_27scan_by_key_config_selectorIxxEEZZNS1_16scan_by_key_implILNS1_25lookback_scan_determinismE0ELb0ES3_N6thrust23THRUST_200600_302600_NS6detail15normal_iteratorINS9_10device_ptrIxEEEESE_SE_xNS9_4plusIxEE19head_flag_predicatexEE10hipError_tPvRmT2_T3_T4_T5_mT6_T7_P12ihipStream_tbENKUlT_T0_E_clISt17integral_constantIbLb0EESY_EEDaST_SU_EUlST_E_NS1_11comp_targetILNS1_3genE10ELNS1_11target_archE1201ELNS1_3gpuE5ELNS1_3repE0EEENS1_30default_config_static_selectorELNS0_4arch9wavefront6targetE0EEEvT1_.numbered_sgpr, 0
	.set _ZN7rocprim17ROCPRIM_400000_NS6detail17trampoline_kernelINS0_14default_configENS1_27scan_by_key_config_selectorIxxEEZZNS1_16scan_by_key_implILNS1_25lookback_scan_determinismE0ELb0ES3_N6thrust23THRUST_200600_302600_NS6detail15normal_iteratorINS9_10device_ptrIxEEEESE_SE_xNS9_4plusIxEE19head_flag_predicatexEE10hipError_tPvRmT2_T3_T4_T5_mT6_T7_P12ihipStream_tbENKUlT_T0_E_clISt17integral_constantIbLb0EESY_EEDaST_SU_EUlST_E_NS1_11comp_targetILNS1_3genE10ELNS1_11target_archE1201ELNS1_3gpuE5ELNS1_3repE0EEENS1_30default_config_static_selectorELNS0_4arch9wavefront6targetE0EEEvT1_.num_named_barrier, 0
	.set _ZN7rocprim17ROCPRIM_400000_NS6detail17trampoline_kernelINS0_14default_configENS1_27scan_by_key_config_selectorIxxEEZZNS1_16scan_by_key_implILNS1_25lookback_scan_determinismE0ELb0ES3_N6thrust23THRUST_200600_302600_NS6detail15normal_iteratorINS9_10device_ptrIxEEEESE_SE_xNS9_4plusIxEE19head_flag_predicatexEE10hipError_tPvRmT2_T3_T4_T5_mT6_T7_P12ihipStream_tbENKUlT_T0_E_clISt17integral_constantIbLb0EESY_EEDaST_SU_EUlST_E_NS1_11comp_targetILNS1_3genE10ELNS1_11target_archE1201ELNS1_3gpuE5ELNS1_3repE0EEENS1_30default_config_static_selectorELNS0_4arch9wavefront6targetE0EEEvT1_.private_seg_size, 0
	.set _ZN7rocprim17ROCPRIM_400000_NS6detail17trampoline_kernelINS0_14default_configENS1_27scan_by_key_config_selectorIxxEEZZNS1_16scan_by_key_implILNS1_25lookback_scan_determinismE0ELb0ES3_N6thrust23THRUST_200600_302600_NS6detail15normal_iteratorINS9_10device_ptrIxEEEESE_SE_xNS9_4plusIxEE19head_flag_predicatexEE10hipError_tPvRmT2_T3_T4_T5_mT6_T7_P12ihipStream_tbENKUlT_T0_E_clISt17integral_constantIbLb0EESY_EEDaST_SU_EUlST_E_NS1_11comp_targetILNS1_3genE10ELNS1_11target_archE1201ELNS1_3gpuE5ELNS1_3repE0EEENS1_30default_config_static_selectorELNS0_4arch9wavefront6targetE0EEEvT1_.uses_vcc, 0
	.set _ZN7rocprim17ROCPRIM_400000_NS6detail17trampoline_kernelINS0_14default_configENS1_27scan_by_key_config_selectorIxxEEZZNS1_16scan_by_key_implILNS1_25lookback_scan_determinismE0ELb0ES3_N6thrust23THRUST_200600_302600_NS6detail15normal_iteratorINS9_10device_ptrIxEEEESE_SE_xNS9_4plusIxEE19head_flag_predicatexEE10hipError_tPvRmT2_T3_T4_T5_mT6_T7_P12ihipStream_tbENKUlT_T0_E_clISt17integral_constantIbLb0EESY_EEDaST_SU_EUlST_E_NS1_11comp_targetILNS1_3genE10ELNS1_11target_archE1201ELNS1_3gpuE5ELNS1_3repE0EEENS1_30default_config_static_selectorELNS0_4arch9wavefront6targetE0EEEvT1_.uses_flat_scratch, 0
	.set _ZN7rocprim17ROCPRIM_400000_NS6detail17trampoline_kernelINS0_14default_configENS1_27scan_by_key_config_selectorIxxEEZZNS1_16scan_by_key_implILNS1_25lookback_scan_determinismE0ELb0ES3_N6thrust23THRUST_200600_302600_NS6detail15normal_iteratorINS9_10device_ptrIxEEEESE_SE_xNS9_4plusIxEE19head_flag_predicatexEE10hipError_tPvRmT2_T3_T4_T5_mT6_T7_P12ihipStream_tbENKUlT_T0_E_clISt17integral_constantIbLb0EESY_EEDaST_SU_EUlST_E_NS1_11comp_targetILNS1_3genE10ELNS1_11target_archE1201ELNS1_3gpuE5ELNS1_3repE0EEENS1_30default_config_static_selectorELNS0_4arch9wavefront6targetE0EEEvT1_.has_dyn_sized_stack, 0
	.set _ZN7rocprim17ROCPRIM_400000_NS6detail17trampoline_kernelINS0_14default_configENS1_27scan_by_key_config_selectorIxxEEZZNS1_16scan_by_key_implILNS1_25lookback_scan_determinismE0ELb0ES3_N6thrust23THRUST_200600_302600_NS6detail15normal_iteratorINS9_10device_ptrIxEEEESE_SE_xNS9_4plusIxEE19head_flag_predicatexEE10hipError_tPvRmT2_T3_T4_T5_mT6_T7_P12ihipStream_tbENKUlT_T0_E_clISt17integral_constantIbLb0EESY_EEDaST_SU_EUlST_E_NS1_11comp_targetILNS1_3genE10ELNS1_11target_archE1201ELNS1_3gpuE5ELNS1_3repE0EEENS1_30default_config_static_selectorELNS0_4arch9wavefront6targetE0EEEvT1_.has_recursion, 0
	.set _ZN7rocprim17ROCPRIM_400000_NS6detail17trampoline_kernelINS0_14default_configENS1_27scan_by_key_config_selectorIxxEEZZNS1_16scan_by_key_implILNS1_25lookback_scan_determinismE0ELb0ES3_N6thrust23THRUST_200600_302600_NS6detail15normal_iteratorINS9_10device_ptrIxEEEESE_SE_xNS9_4plusIxEE19head_flag_predicatexEE10hipError_tPvRmT2_T3_T4_T5_mT6_T7_P12ihipStream_tbENKUlT_T0_E_clISt17integral_constantIbLb0EESY_EEDaST_SU_EUlST_E_NS1_11comp_targetILNS1_3genE10ELNS1_11target_archE1201ELNS1_3gpuE5ELNS1_3repE0EEENS1_30default_config_static_selectorELNS0_4arch9wavefront6targetE0EEEvT1_.has_indirect_call, 0
	.section	.AMDGPU.csdata,"",@progbits
; Kernel info:
; codeLenInByte = 0
; TotalNumSgprs: 0
; NumVgprs: 0
; ScratchSize: 0
; MemoryBound: 0
; FloatMode: 240
; IeeeMode: 1
; LDSByteSize: 0 bytes/workgroup (compile time only)
; SGPRBlocks: 0
; VGPRBlocks: 0
; NumSGPRsForWavesPerEU: 1
; NumVGPRsForWavesPerEU: 1
; Occupancy: 16
; WaveLimiterHint : 0
; COMPUTE_PGM_RSRC2:SCRATCH_EN: 0
; COMPUTE_PGM_RSRC2:USER_SGPR: 6
; COMPUTE_PGM_RSRC2:TRAP_HANDLER: 0
; COMPUTE_PGM_RSRC2:TGID_X_EN: 1
; COMPUTE_PGM_RSRC2:TGID_Y_EN: 0
; COMPUTE_PGM_RSRC2:TGID_Z_EN: 0
; COMPUTE_PGM_RSRC2:TIDIG_COMP_CNT: 0
	.section	.text._ZN7rocprim17ROCPRIM_400000_NS6detail17trampoline_kernelINS0_14default_configENS1_27scan_by_key_config_selectorIxxEEZZNS1_16scan_by_key_implILNS1_25lookback_scan_determinismE0ELb0ES3_N6thrust23THRUST_200600_302600_NS6detail15normal_iteratorINS9_10device_ptrIxEEEESE_SE_xNS9_4plusIxEE19head_flag_predicatexEE10hipError_tPvRmT2_T3_T4_T5_mT6_T7_P12ihipStream_tbENKUlT_T0_E_clISt17integral_constantIbLb0EESY_EEDaST_SU_EUlST_E_NS1_11comp_targetILNS1_3genE5ELNS1_11target_archE942ELNS1_3gpuE9ELNS1_3repE0EEENS1_30default_config_static_selectorELNS0_4arch9wavefront6targetE0EEEvT1_,"axG",@progbits,_ZN7rocprim17ROCPRIM_400000_NS6detail17trampoline_kernelINS0_14default_configENS1_27scan_by_key_config_selectorIxxEEZZNS1_16scan_by_key_implILNS1_25lookback_scan_determinismE0ELb0ES3_N6thrust23THRUST_200600_302600_NS6detail15normal_iteratorINS9_10device_ptrIxEEEESE_SE_xNS9_4plusIxEE19head_flag_predicatexEE10hipError_tPvRmT2_T3_T4_T5_mT6_T7_P12ihipStream_tbENKUlT_T0_E_clISt17integral_constantIbLb0EESY_EEDaST_SU_EUlST_E_NS1_11comp_targetILNS1_3genE5ELNS1_11target_archE942ELNS1_3gpuE9ELNS1_3repE0EEENS1_30default_config_static_selectorELNS0_4arch9wavefront6targetE0EEEvT1_,comdat
	.protected	_ZN7rocprim17ROCPRIM_400000_NS6detail17trampoline_kernelINS0_14default_configENS1_27scan_by_key_config_selectorIxxEEZZNS1_16scan_by_key_implILNS1_25lookback_scan_determinismE0ELb0ES3_N6thrust23THRUST_200600_302600_NS6detail15normal_iteratorINS9_10device_ptrIxEEEESE_SE_xNS9_4plusIxEE19head_flag_predicatexEE10hipError_tPvRmT2_T3_T4_T5_mT6_T7_P12ihipStream_tbENKUlT_T0_E_clISt17integral_constantIbLb0EESY_EEDaST_SU_EUlST_E_NS1_11comp_targetILNS1_3genE5ELNS1_11target_archE942ELNS1_3gpuE9ELNS1_3repE0EEENS1_30default_config_static_selectorELNS0_4arch9wavefront6targetE0EEEvT1_ ; -- Begin function _ZN7rocprim17ROCPRIM_400000_NS6detail17trampoline_kernelINS0_14default_configENS1_27scan_by_key_config_selectorIxxEEZZNS1_16scan_by_key_implILNS1_25lookback_scan_determinismE0ELb0ES3_N6thrust23THRUST_200600_302600_NS6detail15normal_iteratorINS9_10device_ptrIxEEEESE_SE_xNS9_4plusIxEE19head_flag_predicatexEE10hipError_tPvRmT2_T3_T4_T5_mT6_T7_P12ihipStream_tbENKUlT_T0_E_clISt17integral_constantIbLb0EESY_EEDaST_SU_EUlST_E_NS1_11comp_targetILNS1_3genE5ELNS1_11target_archE942ELNS1_3gpuE9ELNS1_3repE0EEENS1_30default_config_static_selectorELNS0_4arch9wavefront6targetE0EEEvT1_
	.globl	_ZN7rocprim17ROCPRIM_400000_NS6detail17trampoline_kernelINS0_14default_configENS1_27scan_by_key_config_selectorIxxEEZZNS1_16scan_by_key_implILNS1_25lookback_scan_determinismE0ELb0ES3_N6thrust23THRUST_200600_302600_NS6detail15normal_iteratorINS9_10device_ptrIxEEEESE_SE_xNS9_4plusIxEE19head_flag_predicatexEE10hipError_tPvRmT2_T3_T4_T5_mT6_T7_P12ihipStream_tbENKUlT_T0_E_clISt17integral_constantIbLb0EESY_EEDaST_SU_EUlST_E_NS1_11comp_targetILNS1_3genE5ELNS1_11target_archE942ELNS1_3gpuE9ELNS1_3repE0EEENS1_30default_config_static_selectorELNS0_4arch9wavefront6targetE0EEEvT1_
	.p2align	8
	.type	_ZN7rocprim17ROCPRIM_400000_NS6detail17trampoline_kernelINS0_14default_configENS1_27scan_by_key_config_selectorIxxEEZZNS1_16scan_by_key_implILNS1_25lookback_scan_determinismE0ELb0ES3_N6thrust23THRUST_200600_302600_NS6detail15normal_iteratorINS9_10device_ptrIxEEEESE_SE_xNS9_4plusIxEE19head_flag_predicatexEE10hipError_tPvRmT2_T3_T4_T5_mT6_T7_P12ihipStream_tbENKUlT_T0_E_clISt17integral_constantIbLb0EESY_EEDaST_SU_EUlST_E_NS1_11comp_targetILNS1_3genE5ELNS1_11target_archE942ELNS1_3gpuE9ELNS1_3repE0EEENS1_30default_config_static_selectorELNS0_4arch9wavefront6targetE0EEEvT1_,@function
_ZN7rocprim17ROCPRIM_400000_NS6detail17trampoline_kernelINS0_14default_configENS1_27scan_by_key_config_selectorIxxEEZZNS1_16scan_by_key_implILNS1_25lookback_scan_determinismE0ELb0ES3_N6thrust23THRUST_200600_302600_NS6detail15normal_iteratorINS9_10device_ptrIxEEEESE_SE_xNS9_4plusIxEE19head_flag_predicatexEE10hipError_tPvRmT2_T3_T4_T5_mT6_T7_P12ihipStream_tbENKUlT_T0_E_clISt17integral_constantIbLb0EESY_EEDaST_SU_EUlST_E_NS1_11comp_targetILNS1_3genE5ELNS1_11target_archE942ELNS1_3gpuE9ELNS1_3repE0EEENS1_30default_config_static_selectorELNS0_4arch9wavefront6targetE0EEEvT1_: ; @_ZN7rocprim17ROCPRIM_400000_NS6detail17trampoline_kernelINS0_14default_configENS1_27scan_by_key_config_selectorIxxEEZZNS1_16scan_by_key_implILNS1_25lookback_scan_determinismE0ELb0ES3_N6thrust23THRUST_200600_302600_NS6detail15normal_iteratorINS9_10device_ptrIxEEEESE_SE_xNS9_4plusIxEE19head_flag_predicatexEE10hipError_tPvRmT2_T3_T4_T5_mT6_T7_P12ihipStream_tbENKUlT_T0_E_clISt17integral_constantIbLb0EESY_EEDaST_SU_EUlST_E_NS1_11comp_targetILNS1_3genE5ELNS1_11target_archE942ELNS1_3gpuE9ELNS1_3repE0EEENS1_30default_config_static_selectorELNS0_4arch9wavefront6targetE0EEEvT1_
; %bb.0:
	.section	.rodata,"a",@progbits
	.p2align	6, 0x0
	.amdhsa_kernel _ZN7rocprim17ROCPRIM_400000_NS6detail17trampoline_kernelINS0_14default_configENS1_27scan_by_key_config_selectorIxxEEZZNS1_16scan_by_key_implILNS1_25lookback_scan_determinismE0ELb0ES3_N6thrust23THRUST_200600_302600_NS6detail15normal_iteratorINS9_10device_ptrIxEEEESE_SE_xNS9_4plusIxEE19head_flag_predicatexEE10hipError_tPvRmT2_T3_T4_T5_mT6_T7_P12ihipStream_tbENKUlT_T0_E_clISt17integral_constantIbLb0EESY_EEDaST_SU_EUlST_E_NS1_11comp_targetILNS1_3genE5ELNS1_11target_archE942ELNS1_3gpuE9ELNS1_3repE0EEENS1_30default_config_static_selectorELNS0_4arch9wavefront6targetE0EEEvT1_
		.amdhsa_group_segment_fixed_size 0
		.amdhsa_private_segment_fixed_size 0
		.amdhsa_kernarg_size 136
		.amdhsa_user_sgpr_count 6
		.amdhsa_user_sgpr_private_segment_buffer 1
		.amdhsa_user_sgpr_dispatch_ptr 0
		.amdhsa_user_sgpr_queue_ptr 0
		.amdhsa_user_sgpr_kernarg_segment_ptr 1
		.amdhsa_user_sgpr_dispatch_id 0
		.amdhsa_user_sgpr_flat_scratch_init 0
		.amdhsa_user_sgpr_private_segment_size 0
		.amdhsa_wavefront_size32 1
		.amdhsa_uses_dynamic_stack 0
		.amdhsa_system_sgpr_private_segment_wavefront_offset 0
		.amdhsa_system_sgpr_workgroup_id_x 1
		.amdhsa_system_sgpr_workgroup_id_y 0
		.amdhsa_system_sgpr_workgroup_id_z 0
		.amdhsa_system_sgpr_workgroup_info 0
		.amdhsa_system_vgpr_workitem_id 0
		.amdhsa_next_free_vgpr 1
		.amdhsa_next_free_sgpr 1
		.amdhsa_reserve_vcc 0
		.amdhsa_reserve_flat_scratch 0
		.amdhsa_float_round_mode_32 0
		.amdhsa_float_round_mode_16_64 0
		.amdhsa_float_denorm_mode_32 3
		.amdhsa_float_denorm_mode_16_64 3
		.amdhsa_dx10_clamp 1
		.amdhsa_ieee_mode 1
		.amdhsa_fp16_overflow 0
		.amdhsa_workgroup_processor_mode 1
		.amdhsa_memory_ordered 1
		.amdhsa_forward_progress 1
		.amdhsa_shared_vgpr_count 0
		.amdhsa_exception_fp_ieee_invalid_op 0
		.amdhsa_exception_fp_denorm_src 0
		.amdhsa_exception_fp_ieee_div_zero 0
		.amdhsa_exception_fp_ieee_overflow 0
		.amdhsa_exception_fp_ieee_underflow 0
		.amdhsa_exception_fp_ieee_inexact 0
		.amdhsa_exception_int_div_zero 0
	.end_amdhsa_kernel
	.section	.text._ZN7rocprim17ROCPRIM_400000_NS6detail17trampoline_kernelINS0_14default_configENS1_27scan_by_key_config_selectorIxxEEZZNS1_16scan_by_key_implILNS1_25lookback_scan_determinismE0ELb0ES3_N6thrust23THRUST_200600_302600_NS6detail15normal_iteratorINS9_10device_ptrIxEEEESE_SE_xNS9_4plusIxEE19head_flag_predicatexEE10hipError_tPvRmT2_T3_T4_T5_mT6_T7_P12ihipStream_tbENKUlT_T0_E_clISt17integral_constantIbLb0EESY_EEDaST_SU_EUlST_E_NS1_11comp_targetILNS1_3genE5ELNS1_11target_archE942ELNS1_3gpuE9ELNS1_3repE0EEENS1_30default_config_static_selectorELNS0_4arch9wavefront6targetE0EEEvT1_,"axG",@progbits,_ZN7rocprim17ROCPRIM_400000_NS6detail17trampoline_kernelINS0_14default_configENS1_27scan_by_key_config_selectorIxxEEZZNS1_16scan_by_key_implILNS1_25lookback_scan_determinismE0ELb0ES3_N6thrust23THRUST_200600_302600_NS6detail15normal_iteratorINS9_10device_ptrIxEEEESE_SE_xNS9_4plusIxEE19head_flag_predicatexEE10hipError_tPvRmT2_T3_T4_T5_mT6_T7_P12ihipStream_tbENKUlT_T0_E_clISt17integral_constantIbLb0EESY_EEDaST_SU_EUlST_E_NS1_11comp_targetILNS1_3genE5ELNS1_11target_archE942ELNS1_3gpuE9ELNS1_3repE0EEENS1_30default_config_static_selectorELNS0_4arch9wavefront6targetE0EEEvT1_,comdat
.Lfunc_end679:
	.size	_ZN7rocprim17ROCPRIM_400000_NS6detail17trampoline_kernelINS0_14default_configENS1_27scan_by_key_config_selectorIxxEEZZNS1_16scan_by_key_implILNS1_25lookback_scan_determinismE0ELb0ES3_N6thrust23THRUST_200600_302600_NS6detail15normal_iteratorINS9_10device_ptrIxEEEESE_SE_xNS9_4plusIxEE19head_flag_predicatexEE10hipError_tPvRmT2_T3_T4_T5_mT6_T7_P12ihipStream_tbENKUlT_T0_E_clISt17integral_constantIbLb0EESY_EEDaST_SU_EUlST_E_NS1_11comp_targetILNS1_3genE5ELNS1_11target_archE942ELNS1_3gpuE9ELNS1_3repE0EEENS1_30default_config_static_selectorELNS0_4arch9wavefront6targetE0EEEvT1_, .Lfunc_end679-_ZN7rocprim17ROCPRIM_400000_NS6detail17trampoline_kernelINS0_14default_configENS1_27scan_by_key_config_selectorIxxEEZZNS1_16scan_by_key_implILNS1_25lookback_scan_determinismE0ELb0ES3_N6thrust23THRUST_200600_302600_NS6detail15normal_iteratorINS9_10device_ptrIxEEEESE_SE_xNS9_4plusIxEE19head_flag_predicatexEE10hipError_tPvRmT2_T3_T4_T5_mT6_T7_P12ihipStream_tbENKUlT_T0_E_clISt17integral_constantIbLb0EESY_EEDaST_SU_EUlST_E_NS1_11comp_targetILNS1_3genE5ELNS1_11target_archE942ELNS1_3gpuE9ELNS1_3repE0EEENS1_30default_config_static_selectorELNS0_4arch9wavefront6targetE0EEEvT1_
                                        ; -- End function
	.set _ZN7rocprim17ROCPRIM_400000_NS6detail17trampoline_kernelINS0_14default_configENS1_27scan_by_key_config_selectorIxxEEZZNS1_16scan_by_key_implILNS1_25lookback_scan_determinismE0ELb0ES3_N6thrust23THRUST_200600_302600_NS6detail15normal_iteratorINS9_10device_ptrIxEEEESE_SE_xNS9_4plusIxEE19head_flag_predicatexEE10hipError_tPvRmT2_T3_T4_T5_mT6_T7_P12ihipStream_tbENKUlT_T0_E_clISt17integral_constantIbLb0EESY_EEDaST_SU_EUlST_E_NS1_11comp_targetILNS1_3genE5ELNS1_11target_archE942ELNS1_3gpuE9ELNS1_3repE0EEENS1_30default_config_static_selectorELNS0_4arch9wavefront6targetE0EEEvT1_.num_vgpr, 0
	.set _ZN7rocprim17ROCPRIM_400000_NS6detail17trampoline_kernelINS0_14default_configENS1_27scan_by_key_config_selectorIxxEEZZNS1_16scan_by_key_implILNS1_25lookback_scan_determinismE0ELb0ES3_N6thrust23THRUST_200600_302600_NS6detail15normal_iteratorINS9_10device_ptrIxEEEESE_SE_xNS9_4plusIxEE19head_flag_predicatexEE10hipError_tPvRmT2_T3_T4_T5_mT6_T7_P12ihipStream_tbENKUlT_T0_E_clISt17integral_constantIbLb0EESY_EEDaST_SU_EUlST_E_NS1_11comp_targetILNS1_3genE5ELNS1_11target_archE942ELNS1_3gpuE9ELNS1_3repE0EEENS1_30default_config_static_selectorELNS0_4arch9wavefront6targetE0EEEvT1_.num_agpr, 0
	.set _ZN7rocprim17ROCPRIM_400000_NS6detail17trampoline_kernelINS0_14default_configENS1_27scan_by_key_config_selectorIxxEEZZNS1_16scan_by_key_implILNS1_25lookback_scan_determinismE0ELb0ES3_N6thrust23THRUST_200600_302600_NS6detail15normal_iteratorINS9_10device_ptrIxEEEESE_SE_xNS9_4plusIxEE19head_flag_predicatexEE10hipError_tPvRmT2_T3_T4_T5_mT6_T7_P12ihipStream_tbENKUlT_T0_E_clISt17integral_constantIbLb0EESY_EEDaST_SU_EUlST_E_NS1_11comp_targetILNS1_3genE5ELNS1_11target_archE942ELNS1_3gpuE9ELNS1_3repE0EEENS1_30default_config_static_selectorELNS0_4arch9wavefront6targetE0EEEvT1_.numbered_sgpr, 0
	.set _ZN7rocprim17ROCPRIM_400000_NS6detail17trampoline_kernelINS0_14default_configENS1_27scan_by_key_config_selectorIxxEEZZNS1_16scan_by_key_implILNS1_25lookback_scan_determinismE0ELb0ES3_N6thrust23THRUST_200600_302600_NS6detail15normal_iteratorINS9_10device_ptrIxEEEESE_SE_xNS9_4plusIxEE19head_flag_predicatexEE10hipError_tPvRmT2_T3_T4_T5_mT6_T7_P12ihipStream_tbENKUlT_T0_E_clISt17integral_constantIbLb0EESY_EEDaST_SU_EUlST_E_NS1_11comp_targetILNS1_3genE5ELNS1_11target_archE942ELNS1_3gpuE9ELNS1_3repE0EEENS1_30default_config_static_selectorELNS0_4arch9wavefront6targetE0EEEvT1_.num_named_barrier, 0
	.set _ZN7rocprim17ROCPRIM_400000_NS6detail17trampoline_kernelINS0_14default_configENS1_27scan_by_key_config_selectorIxxEEZZNS1_16scan_by_key_implILNS1_25lookback_scan_determinismE0ELb0ES3_N6thrust23THRUST_200600_302600_NS6detail15normal_iteratorINS9_10device_ptrIxEEEESE_SE_xNS9_4plusIxEE19head_flag_predicatexEE10hipError_tPvRmT2_T3_T4_T5_mT6_T7_P12ihipStream_tbENKUlT_T0_E_clISt17integral_constantIbLb0EESY_EEDaST_SU_EUlST_E_NS1_11comp_targetILNS1_3genE5ELNS1_11target_archE942ELNS1_3gpuE9ELNS1_3repE0EEENS1_30default_config_static_selectorELNS0_4arch9wavefront6targetE0EEEvT1_.private_seg_size, 0
	.set _ZN7rocprim17ROCPRIM_400000_NS6detail17trampoline_kernelINS0_14default_configENS1_27scan_by_key_config_selectorIxxEEZZNS1_16scan_by_key_implILNS1_25lookback_scan_determinismE0ELb0ES3_N6thrust23THRUST_200600_302600_NS6detail15normal_iteratorINS9_10device_ptrIxEEEESE_SE_xNS9_4plusIxEE19head_flag_predicatexEE10hipError_tPvRmT2_T3_T4_T5_mT6_T7_P12ihipStream_tbENKUlT_T0_E_clISt17integral_constantIbLb0EESY_EEDaST_SU_EUlST_E_NS1_11comp_targetILNS1_3genE5ELNS1_11target_archE942ELNS1_3gpuE9ELNS1_3repE0EEENS1_30default_config_static_selectorELNS0_4arch9wavefront6targetE0EEEvT1_.uses_vcc, 0
	.set _ZN7rocprim17ROCPRIM_400000_NS6detail17trampoline_kernelINS0_14default_configENS1_27scan_by_key_config_selectorIxxEEZZNS1_16scan_by_key_implILNS1_25lookback_scan_determinismE0ELb0ES3_N6thrust23THRUST_200600_302600_NS6detail15normal_iteratorINS9_10device_ptrIxEEEESE_SE_xNS9_4plusIxEE19head_flag_predicatexEE10hipError_tPvRmT2_T3_T4_T5_mT6_T7_P12ihipStream_tbENKUlT_T0_E_clISt17integral_constantIbLb0EESY_EEDaST_SU_EUlST_E_NS1_11comp_targetILNS1_3genE5ELNS1_11target_archE942ELNS1_3gpuE9ELNS1_3repE0EEENS1_30default_config_static_selectorELNS0_4arch9wavefront6targetE0EEEvT1_.uses_flat_scratch, 0
	.set _ZN7rocprim17ROCPRIM_400000_NS6detail17trampoline_kernelINS0_14default_configENS1_27scan_by_key_config_selectorIxxEEZZNS1_16scan_by_key_implILNS1_25lookback_scan_determinismE0ELb0ES3_N6thrust23THRUST_200600_302600_NS6detail15normal_iteratorINS9_10device_ptrIxEEEESE_SE_xNS9_4plusIxEE19head_flag_predicatexEE10hipError_tPvRmT2_T3_T4_T5_mT6_T7_P12ihipStream_tbENKUlT_T0_E_clISt17integral_constantIbLb0EESY_EEDaST_SU_EUlST_E_NS1_11comp_targetILNS1_3genE5ELNS1_11target_archE942ELNS1_3gpuE9ELNS1_3repE0EEENS1_30default_config_static_selectorELNS0_4arch9wavefront6targetE0EEEvT1_.has_dyn_sized_stack, 0
	.set _ZN7rocprim17ROCPRIM_400000_NS6detail17trampoline_kernelINS0_14default_configENS1_27scan_by_key_config_selectorIxxEEZZNS1_16scan_by_key_implILNS1_25lookback_scan_determinismE0ELb0ES3_N6thrust23THRUST_200600_302600_NS6detail15normal_iteratorINS9_10device_ptrIxEEEESE_SE_xNS9_4plusIxEE19head_flag_predicatexEE10hipError_tPvRmT2_T3_T4_T5_mT6_T7_P12ihipStream_tbENKUlT_T0_E_clISt17integral_constantIbLb0EESY_EEDaST_SU_EUlST_E_NS1_11comp_targetILNS1_3genE5ELNS1_11target_archE942ELNS1_3gpuE9ELNS1_3repE0EEENS1_30default_config_static_selectorELNS0_4arch9wavefront6targetE0EEEvT1_.has_recursion, 0
	.set _ZN7rocprim17ROCPRIM_400000_NS6detail17trampoline_kernelINS0_14default_configENS1_27scan_by_key_config_selectorIxxEEZZNS1_16scan_by_key_implILNS1_25lookback_scan_determinismE0ELb0ES3_N6thrust23THRUST_200600_302600_NS6detail15normal_iteratorINS9_10device_ptrIxEEEESE_SE_xNS9_4plusIxEE19head_flag_predicatexEE10hipError_tPvRmT2_T3_T4_T5_mT6_T7_P12ihipStream_tbENKUlT_T0_E_clISt17integral_constantIbLb0EESY_EEDaST_SU_EUlST_E_NS1_11comp_targetILNS1_3genE5ELNS1_11target_archE942ELNS1_3gpuE9ELNS1_3repE0EEENS1_30default_config_static_selectorELNS0_4arch9wavefront6targetE0EEEvT1_.has_indirect_call, 0
	.section	.AMDGPU.csdata,"",@progbits
; Kernel info:
; codeLenInByte = 0
; TotalNumSgprs: 0
; NumVgprs: 0
; ScratchSize: 0
; MemoryBound: 0
; FloatMode: 240
; IeeeMode: 1
; LDSByteSize: 0 bytes/workgroup (compile time only)
; SGPRBlocks: 0
; VGPRBlocks: 0
; NumSGPRsForWavesPerEU: 1
; NumVGPRsForWavesPerEU: 1
; Occupancy: 16
; WaveLimiterHint : 0
; COMPUTE_PGM_RSRC2:SCRATCH_EN: 0
; COMPUTE_PGM_RSRC2:USER_SGPR: 6
; COMPUTE_PGM_RSRC2:TRAP_HANDLER: 0
; COMPUTE_PGM_RSRC2:TGID_X_EN: 1
; COMPUTE_PGM_RSRC2:TGID_Y_EN: 0
; COMPUTE_PGM_RSRC2:TGID_Z_EN: 0
; COMPUTE_PGM_RSRC2:TIDIG_COMP_CNT: 0
	.section	.text._ZN7rocprim17ROCPRIM_400000_NS6detail17trampoline_kernelINS0_14default_configENS1_27scan_by_key_config_selectorIxxEEZZNS1_16scan_by_key_implILNS1_25lookback_scan_determinismE0ELb0ES3_N6thrust23THRUST_200600_302600_NS6detail15normal_iteratorINS9_10device_ptrIxEEEESE_SE_xNS9_4plusIxEE19head_flag_predicatexEE10hipError_tPvRmT2_T3_T4_T5_mT6_T7_P12ihipStream_tbENKUlT_T0_E_clISt17integral_constantIbLb0EESY_EEDaST_SU_EUlST_E_NS1_11comp_targetILNS1_3genE4ELNS1_11target_archE910ELNS1_3gpuE8ELNS1_3repE0EEENS1_30default_config_static_selectorELNS0_4arch9wavefront6targetE0EEEvT1_,"axG",@progbits,_ZN7rocprim17ROCPRIM_400000_NS6detail17trampoline_kernelINS0_14default_configENS1_27scan_by_key_config_selectorIxxEEZZNS1_16scan_by_key_implILNS1_25lookback_scan_determinismE0ELb0ES3_N6thrust23THRUST_200600_302600_NS6detail15normal_iteratorINS9_10device_ptrIxEEEESE_SE_xNS9_4plusIxEE19head_flag_predicatexEE10hipError_tPvRmT2_T3_T4_T5_mT6_T7_P12ihipStream_tbENKUlT_T0_E_clISt17integral_constantIbLb0EESY_EEDaST_SU_EUlST_E_NS1_11comp_targetILNS1_3genE4ELNS1_11target_archE910ELNS1_3gpuE8ELNS1_3repE0EEENS1_30default_config_static_selectorELNS0_4arch9wavefront6targetE0EEEvT1_,comdat
	.protected	_ZN7rocprim17ROCPRIM_400000_NS6detail17trampoline_kernelINS0_14default_configENS1_27scan_by_key_config_selectorIxxEEZZNS1_16scan_by_key_implILNS1_25lookback_scan_determinismE0ELb0ES3_N6thrust23THRUST_200600_302600_NS6detail15normal_iteratorINS9_10device_ptrIxEEEESE_SE_xNS9_4plusIxEE19head_flag_predicatexEE10hipError_tPvRmT2_T3_T4_T5_mT6_T7_P12ihipStream_tbENKUlT_T0_E_clISt17integral_constantIbLb0EESY_EEDaST_SU_EUlST_E_NS1_11comp_targetILNS1_3genE4ELNS1_11target_archE910ELNS1_3gpuE8ELNS1_3repE0EEENS1_30default_config_static_selectorELNS0_4arch9wavefront6targetE0EEEvT1_ ; -- Begin function _ZN7rocprim17ROCPRIM_400000_NS6detail17trampoline_kernelINS0_14default_configENS1_27scan_by_key_config_selectorIxxEEZZNS1_16scan_by_key_implILNS1_25lookback_scan_determinismE0ELb0ES3_N6thrust23THRUST_200600_302600_NS6detail15normal_iteratorINS9_10device_ptrIxEEEESE_SE_xNS9_4plusIxEE19head_flag_predicatexEE10hipError_tPvRmT2_T3_T4_T5_mT6_T7_P12ihipStream_tbENKUlT_T0_E_clISt17integral_constantIbLb0EESY_EEDaST_SU_EUlST_E_NS1_11comp_targetILNS1_3genE4ELNS1_11target_archE910ELNS1_3gpuE8ELNS1_3repE0EEENS1_30default_config_static_selectorELNS0_4arch9wavefront6targetE0EEEvT1_
	.globl	_ZN7rocprim17ROCPRIM_400000_NS6detail17trampoline_kernelINS0_14default_configENS1_27scan_by_key_config_selectorIxxEEZZNS1_16scan_by_key_implILNS1_25lookback_scan_determinismE0ELb0ES3_N6thrust23THRUST_200600_302600_NS6detail15normal_iteratorINS9_10device_ptrIxEEEESE_SE_xNS9_4plusIxEE19head_flag_predicatexEE10hipError_tPvRmT2_T3_T4_T5_mT6_T7_P12ihipStream_tbENKUlT_T0_E_clISt17integral_constantIbLb0EESY_EEDaST_SU_EUlST_E_NS1_11comp_targetILNS1_3genE4ELNS1_11target_archE910ELNS1_3gpuE8ELNS1_3repE0EEENS1_30default_config_static_selectorELNS0_4arch9wavefront6targetE0EEEvT1_
	.p2align	8
	.type	_ZN7rocprim17ROCPRIM_400000_NS6detail17trampoline_kernelINS0_14default_configENS1_27scan_by_key_config_selectorIxxEEZZNS1_16scan_by_key_implILNS1_25lookback_scan_determinismE0ELb0ES3_N6thrust23THRUST_200600_302600_NS6detail15normal_iteratorINS9_10device_ptrIxEEEESE_SE_xNS9_4plusIxEE19head_flag_predicatexEE10hipError_tPvRmT2_T3_T4_T5_mT6_T7_P12ihipStream_tbENKUlT_T0_E_clISt17integral_constantIbLb0EESY_EEDaST_SU_EUlST_E_NS1_11comp_targetILNS1_3genE4ELNS1_11target_archE910ELNS1_3gpuE8ELNS1_3repE0EEENS1_30default_config_static_selectorELNS0_4arch9wavefront6targetE0EEEvT1_,@function
_ZN7rocprim17ROCPRIM_400000_NS6detail17trampoline_kernelINS0_14default_configENS1_27scan_by_key_config_selectorIxxEEZZNS1_16scan_by_key_implILNS1_25lookback_scan_determinismE0ELb0ES3_N6thrust23THRUST_200600_302600_NS6detail15normal_iteratorINS9_10device_ptrIxEEEESE_SE_xNS9_4plusIxEE19head_flag_predicatexEE10hipError_tPvRmT2_T3_T4_T5_mT6_T7_P12ihipStream_tbENKUlT_T0_E_clISt17integral_constantIbLb0EESY_EEDaST_SU_EUlST_E_NS1_11comp_targetILNS1_3genE4ELNS1_11target_archE910ELNS1_3gpuE8ELNS1_3repE0EEENS1_30default_config_static_selectorELNS0_4arch9wavefront6targetE0EEEvT1_: ; @_ZN7rocprim17ROCPRIM_400000_NS6detail17trampoline_kernelINS0_14default_configENS1_27scan_by_key_config_selectorIxxEEZZNS1_16scan_by_key_implILNS1_25lookback_scan_determinismE0ELb0ES3_N6thrust23THRUST_200600_302600_NS6detail15normal_iteratorINS9_10device_ptrIxEEEESE_SE_xNS9_4plusIxEE19head_flag_predicatexEE10hipError_tPvRmT2_T3_T4_T5_mT6_T7_P12ihipStream_tbENKUlT_T0_E_clISt17integral_constantIbLb0EESY_EEDaST_SU_EUlST_E_NS1_11comp_targetILNS1_3genE4ELNS1_11target_archE910ELNS1_3gpuE8ELNS1_3repE0EEENS1_30default_config_static_selectorELNS0_4arch9wavefront6targetE0EEEvT1_
; %bb.0:
	.section	.rodata,"a",@progbits
	.p2align	6, 0x0
	.amdhsa_kernel _ZN7rocprim17ROCPRIM_400000_NS6detail17trampoline_kernelINS0_14default_configENS1_27scan_by_key_config_selectorIxxEEZZNS1_16scan_by_key_implILNS1_25lookback_scan_determinismE0ELb0ES3_N6thrust23THRUST_200600_302600_NS6detail15normal_iteratorINS9_10device_ptrIxEEEESE_SE_xNS9_4plusIxEE19head_flag_predicatexEE10hipError_tPvRmT2_T3_T4_T5_mT6_T7_P12ihipStream_tbENKUlT_T0_E_clISt17integral_constantIbLb0EESY_EEDaST_SU_EUlST_E_NS1_11comp_targetILNS1_3genE4ELNS1_11target_archE910ELNS1_3gpuE8ELNS1_3repE0EEENS1_30default_config_static_selectorELNS0_4arch9wavefront6targetE0EEEvT1_
		.amdhsa_group_segment_fixed_size 0
		.amdhsa_private_segment_fixed_size 0
		.amdhsa_kernarg_size 136
		.amdhsa_user_sgpr_count 6
		.amdhsa_user_sgpr_private_segment_buffer 1
		.amdhsa_user_sgpr_dispatch_ptr 0
		.amdhsa_user_sgpr_queue_ptr 0
		.amdhsa_user_sgpr_kernarg_segment_ptr 1
		.amdhsa_user_sgpr_dispatch_id 0
		.amdhsa_user_sgpr_flat_scratch_init 0
		.amdhsa_user_sgpr_private_segment_size 0
		.amdhsa_wavefront_size32 1
		.amdhsa_uses_dynamic_stack 0
		.amdhsa_system_sgpr_private_segment_wavefront_offset 0
		.amdhsa_system_sgpr_workgroup_id_x 1
		.amdhsa_system_sgpr_workgroup_id_y 0
		.amdhsa_system_sgpr_workgroup_id_z 0
		.amdhsa_system_sgpr_workgroup_info 0
		.amdhsa_system_vgpr_workitem_id 0
		.amdhsa_next_free_vgpr 1
		.amdhsa_next_free_sgpr 1
		.amdhsa_reserve_vcc 0
		.amdhsa_reserve_flat_scratch 0
		.amdhsa_float_round_mode_32 0
		.amdhsa_float_round_mode_16_64 0
		.amdhsa_float_denorm_mode_32 3
		.amdhsa_float_denorm_mode_16_64 3
		.amdhsa_dx10_clamp 1
		.amdhsa_ieee_mode 1
		.amdhsa_fp16_overflow 0
		.amdhsa_workgroup_processor_mode 1
		.amdhsa_memory_ordered 1
		.amdhsa_forward_progress 1
		.amdhsa_shared_vgpr_count 0
		.amdhsa_exception_fp_ieee_invalid_op 0
		.amdhsa_exception_fp_denorm_src 0
		.amdhsa_exception_fp_ieee_div_zero 0
		.amdhsa_exception_fp_ieee_overflow 0
		.amdhsa_exception_fp_ieee_underflow 0
		.amdhsa_exception_fp_ieee_inexact 0
		.amdhsa_exception_int_div_zero 0
	.end_amdhsa_kernel
	.section	.text._ZN7rocprim17ROCPRIM_400000_NS6detail17trampoline_kernelINS0_14default_configENS1_27scan_by_key_config_selectorIxxEEZZNS1_16scan_by_key_implILNS1_25lookback_scan_determinismE0ELb0ES3_N6thrust23THRUST_200600_302600_NS6detail15normal_iteratorINS9_10device_ptrIxEEEESE_SE_xNS9_4plusIxEE19head_flag_predicatexEE10hipError_tPvRmT2_T3_T4_T5_mT6_T7_P12ihipStream_tbENKUlT_T0_E_clISt17integral_constantIbLb0EESY_EEDaST_SU_EUlST_E_NS1_11comp_targetILNS1_3genE4ELNS1_11target_archE910ELNS1_3gpuE8ELNS1_3repE0EEENS1_30default_config_static_selectorELNS0_4arch9wavefront6targetE0EEEvT1_,"axG",@progbits,_ZN7rocprim17ROCPRIM_400000_NS6detail17trampoline_kernelINS0_14default_configENS1_27scan_by_key_config_selectorIxxEEZZNS1_16scan_by_key_implILNS1_25lookback_scan_determinismE0ELb0ES3_N6thrust23THRUST_200600_302600_NS6detail15normal_iteratorINS9_10device_ptrIxEEEESE_SE_xNS9_4plusIxEE19head_flag_predicatexEE10hipError_tPvRmT2_T3_T4_T5_mT6_T7_P12ihipStream_tbENKUlT_T0_E_clISt17integral_constantIbLb0EESY_EEDaST_SU_EUlST_E_NS1_11comp_targetILNS1_3genE4ELNS1_11target_archE910ELNS1_3gpuE8ELNS1_3repE0EEENS1_30default_config_static_selectorELNS0_4arch9wavefront6targetE0EEEvT1_,comdat
.Lfunc_end680:
	.size	_ZN7rocprim17ROCPRIM_400000_NS6detail17trampoline_kernelINS0_14default_configENS1_27scan_by_key_config_selectorIxxEEZZNS1_16scan_by_key_implILNS1_25lookback_scan_determinismE0ELb0ES3_N6thrust23THRUST_200600_302600_NS6detail15normal_iteratorINS9_10device_ptrIxEEEESE_SE_xNS9_4plusIxEE19head_flag_predicatexEE10hipError_tPvRmT2_T3_T4_T5_mT6_T7_P12ihipStream_tbENKUlT_T0_E_clISt17integral_constantIbLb0EESY_EEDaST_SU_EUlST_E_NS1_11comp_targetILNS1_3genE4ELNS1_11target_archE910ELNS1_3gpuE8ELNS1_3repE0EEENS1_30default_config_static_selectorELNS0_4arch9wavefront6targetE0EEEvT1_, .Lfunc_end680-_ZN7rocprim17ROCPRIM_400000_NS6detail17trampoline_kernelINS0_14default_configENS1_27scan_by_key_config_selectorIxxEEZZNS1_16scan_by_key_implILNS1_25lookback_scan_determinismE0ELb0ES3_N6thrust23THRUST_200600_302600_NS6detail15normal_iteratorINS9_10device_ptrIxEEEESE_SE_xNS9_4plusIxEE19head_flag_predicatexEE10hipError_tPvRmT2_T3_T4_T5_mT6_T7_P12ihipStream_tbENKUlT_T0_E_clISt17integral_constantIbLb0EESY_EEDaST_SU_EUlST_E_NS1_11comp_targetILNS1_3genE4ELNS1_11target_archE910ELNS1_3gpuE8ELNS1_3repE0EEENS1_30default_config_static_selectorELNS0_4arch9wavefront6targetE0EEEvT1_
                                        ; -- End function
	.set _ZN7rocprim17ROCPRIM_400000_NS6detail17trampoline_kernelINS0_14default_configENS1_27scan_by_key_config_selectorIxxEEZZNS1_16scan_by_key_implILNS1_25lookback_scan_determinismE0ELb0ES3_N6thrust23THRUST_200600_302600_NS6detail15normal_iteratorINS9_10device_ptrIxEEEESE_SE_xNS9_4plusIxEE19head_flag_predicatexEE10hipError_tPvRmT2_T3_T4_T5_mT6_T7_P12ihipStream_tbENKUlT_T0_E_clISt17integral_constantIbLb0EESY_EEDaST_SU_EUlST_E_NS1_11comp_targetILNS1_3genE4ELNS1_11target_archE910ELNS1_3gpuE8ELNS1_3repE0EEENS1_30default_config_static_selectorELNS0_4arch9wavefront6targetE0EEEvT1_.num_vgpr, 0
	.set _ZN7rocprim17ROCPRIM_400000_NS6detail17trampoline_kernelINS0_14default_configENS1_27scan_by_key_config_selectorIxxEEZZNS1_16scan_by_key_implILNS1_25lookback_scan_determinismE0ELb0ES3_N6thrust23THRUST_200600_302600_NS6detail15normal_iteratorINS9_10device_ptrIxEEEESE_SE_xNS9_4plusIxEE19head_flag_predicatexEE10hipError_tPvRmT2_T3_T4_T5_mT6_T7_P12ihipStream_tbENKUlT_T0_E_clISt17integral_constantIbLb0EESY_EEDaST_SU_EUlST_E_NS1_11comp_targetILNS1_3genE4ELNS1_11target_archE910ELNS1_3gpuE8ELNS1_3repE0EEENS1_30default_config_static_selectorELNS0_4arch9wavefront6targetE0EEEvT1_.num_agpr, 0
	.set _ZN7rocprim17ROCPRIM_400000_NS6detail17trampoline_kernelINS0_14default_configENS1_27scan_by_key_config_selectorIxxEEZZNS1_16scan_by_key_implILNS1_25lookback_scan_determinismE0ELb0ES3_N6thrust23THRUST_200600_302600_NS6detail15normal_iteratorINS9_10device_ptrIxEEEESE_SE_xNS9_4plusIxEE19head_flag_predicatexEE10hipError_tPvRmT2_T3_T4_T5_mT6_T7_P12ihipStream_tbENKUlT_T0_E_clISt17integral_constantIbLb0EESY_EEDaST_SU_EUlST_E_NS1_11comp_targetILNS1_3genE4ELNS1_11target_archE910ELNS1_3gpuE8ELNS1_3repE0EEENS1_30default_config_static_selectorELNS0_4arch9wavefront6targetE0EEEvT1_.numbered_sgpr, 0
	.set _ZN7rocprim17ROCPRIM_400000_NS6detail17trampoline_kernelINS0_14default_configENS1_27scan_by_key_config_selectorIxxEEZZNS1_16scan_by_key_implILNS1_25lookback_scan_determinismE0ELb0ES3_N6thrust23THRUST_200600_302600_NS6detail15normal_iteratorINS9_10device_ptrIxEEEESE_SE_xNS9_4plusIxEE19head_flag_predicatexEE10hipError_tPvRmT2_T3_T4_T5_mT6_T7_P12ihipStream_tbENKUlT_T0_E_clISt17integral_constantIbLb0EESY_EEDaST_SU_EUlST_E_NS1_11comp_targetILNS1_3genE4ELNS1_11target_archE910ELNS1_3gpuE8ELNS1_3repE0EEENS1_30default_config_static_selectorELNS0_4arch9wavefront6targetE0EEEvT1_.num_named_barrier, 0
	.set _ZN7rocprim17ROCPRIM_400000_NS6detail17trampoline_kernelINS0_14default_configENS1_27scan_by_key_config_selectorIxxEEZZNS1_16scan_by_key_implILNS1_25lookback_scan_determinismE0ELb0ES3_N6thrust23THRUST_200600_302600_NS6detail15normal_iteratorINS9_10device_ptrIxEEEESE_SE_xNS9_4plusIxEE19head_flag_predicatexEE10hipError_tPvRmT2_T3_T4_T5_mT6_T7_P12ihipStream_tbENKUlT_T0_E_clISt17integral_constantIbLb0EESY_EEDaST_SU_EUlST_E_NS1_11comp_targetILNS1_3genE4ELNS1_11target_archE910ELNS1_3gpuE8ELNS1_3repE0EEENS1_30default_config_static_selectorELNS0_4arch9wavefront6targetE0EEEvT1_.private_seg_size, 0
	.set _ZN7rocprim17ROCPRIM_400000_NS6detail17trampoline_kernelINS0_14default_configENS1_27scan_by_key_config_selectorIxxEEZZNS1_16scan_by_key_implILNS1_25lookback_scan_determinismE0ELb0ES3_N6thrust23THRUST_200600_302600_NS6detail15normal_iteratorINS9_10device_ptrIxEEEESE_SE_xNS9_4plusIxEE19head_flag_predicatexEE10hipError_tPvRmT2_T3_T4_T5_mT6_T7_P12ihipStream_tbENKUlT_T0_E_clISt17integral_constantIbLb0EESY_EEDaST_SU_EUlST_E_NS1_11comp_targetILNS1_3genE4ELNS1_11target_archE910ELNS1_3gpuE8ELNS1_3repE0EEENS1_30default_config_static_selectorELNS0_4arch9wavefront6targetE0EEEvT1_.uses_vcc, 0
	.set _ZN7rocprim17ROCPRIM_400000_NS6detail17trampoline_kernelINS0_14default_configENS1_27scan_by_key_config_selectorIxxEEZZNS1_16scan_by_key_implILNS1_25lookback_scan_determinismE0ELb0ES3_N6thrust23THRUST_200600_302600_NS6detail15normal_iteratorINS9_10device_ptrIxEEEESE_SE_xNS9_4plusIxEE19head_flag_predicatexEE10hipError_tPvRmT2_T3_T4_T5_mT6_T7_P12ihipStream_tbENKUlT_T0_E_clISt17integral_constantIbLb0EESY_EEDaST_SU_EUlST_E_NS1_11comp_targetILNS1_3genE4ELNS1_11target_archE910ELNS1_3gpuE8ELNS1_3repE0EEENS1_30default_config_static_selectorELNS0_4arch9wavefront6targetE0EEEvT1_.uses_flat_scratch, 0
	.set _ZN7rocprim17ROCPRIM_400000_NS6detail17trampoline_kernelINS0_14default_configENS1_27scan_by_key_config_selectorIxxEEZZNS1_16scan_by_key_implILNS1_25lookback_scan_determinismE0ELb0ES3_N6thrust23THRUST_200600_302600_NS6detail15normal_iteratorINS9_10device_ptrIxEEEESE_SE_xNS9_4plusIxEE19head_flag_predicatexEE10hipError_tPvRmT2_T3_T4_T5_mT6_T7_P12ihipStream_tbENKUlT_T0_E_clISt17integral_constantIbLb0EESY_EEDaST_SU_EUlST_E_NS1_11comp_targetILNS1_3genE4ELNS1_11target_archE910ELNS1_3gpuE8ELNS1_3repE0EEENS1_30default_config_static_selectorELNS0_4arch9wavefront6targetE0EEEvT1_.has_dyn_sized_stack, 0
	.set _ZN7rocprim17ROCPRIM_400000_NS6detail17trampoline_kernelINS0_14default_configENS1_27scan_by_key_config_selectorIxxEEZZNS1_16scan_by_key_implILNS1_25lookback_scan_determinismE0ELb0ES3_N6thrust23THRUST_200600_302600_NS6detail15normal_iteratorINS9_10device_ptrIxEEEESE_SE_xNS9_4plusIxEE19head_flag_predicatexEE10hipError_tPvRmT2_T3_T4_T5_mT6_T7_P12ihipStream_tbENKUlT_T0_E_clISt17integral_constantIbLb0EESY_EEDaST_SU_EUlST_E_NS1_11comp_targetILNS1_3genE4ELNS1_11target_archE910ELNS1_3gpuE8ELNS1_3repE0EEENS1_30default_config_static_selectorELNS0_4arch9wavefront6targetE0EEEvT1_.has_recursion, 0
	.set _ZN7rocprim17ROCPRIM_400000_NS6detail17trampoline_kernelINS0_14default_configENS1_27scan_by_key_config_selectorIxxEEZZNS1_16scan_by_key_implILNS1_25lookback_scan_determinismE0ELb0ES3_N6thrust23THRUST_200600_302600_NS6detail15normal_iteratorINS9_10device_ptrIxEEEESE_SE_xNS9_4plusIxEE19head_flag_predicatexEE10hipError_tPvRmT2_T3_T4_T5_mT6_T7_P12ihipStream_tbENKUlT_T0_E_clISt17integral_constantIbLb0EESY_EEDaST_SU_EUlST_E_NS1_11comp_targetILNS1_3genE4ELNS1_11target_archE910ELNS1_3gpuE8ELNS1_3repE0EEENS1_30default_config_static_selectorELNS0_4arch9wavefront6targetE0EEEvT1_.has_indirect_call, 0
	.section	.AMDGPU.csdata,"",@progbits
; Kernel info:
; codeLenInByte = 0
; TotalNumSgprs: 0
; NumVgprs: 0
; ScratchSize: 0
; MemoryBound: 0
; FloatMode: 240
; IeeeMode: 1
; LDSByteSize: 0 bytes/workgroup (compile time only)
; SGPRBlocks: 0
; VGPRBlocks: 0
; NumSGPRsForWavesPerEU: 1
; NumVGPRsForWavesPerEU: 1
; Occupancy: 16
; WaveLimiterHint : 0
; COMPUTE_PGM_RSRC2:SCRATCH_EN: 0
; COMPUTE_PGM_RSRC2:USER_SGPR: 6
; COMPUTE_PGM_RSRC2:TRAP_HANDLER: 0
; COMPUTE_PGM_RSRC2:TGID_X_EN: 1
; COMPUTE_PGM_RSRC2:TGID_Y_EN: 0
; COMPUTE_PGM_RSRC2:TGID_Z_EN: 0
; COMPUTE_PGM_RSRC2:TIDIG_COMP_CNT: 0
	.section	.text._ZN7rocprim17ROCPRIM_400000_NS6detail17trampoline_kernelINS0_14default_configENS1_27scan_by_key_config_selectorIxxEEZZNS1_16scan_by_key_implILNS1_25lookback_scan_determinismE0ELb0ES3_N6thrust23THRUST_200600_302600_NS6detail15normal_iteratorINS9_10device_ptrIxEEEESE_SE_xNS9_4plusIxEE19head_flag_predicatexEE10hipError_tPvRmT2_T3_T4_T5_mT6_T7_P12ihipStream_tbENKUlT_T0_E_clISt17integral_constantIbLb0EESY_EEDaST_SU_EUlST_E_NS1_11comp_targetILNS1_3genE3ELNS1_11target_archE908ELNS1_3gpuE7ELNS1_3repE0EEENS1_30default_config_static_selectorELNS0_4arch9wavefront6targetE0EEEvT1_,"axG",@progbits,_ZN7rocprim17ROCPRIM_400000_NS6detail17trampoline_kernelINS0_14default_configENS1_27scan_by_key_config_selectorIxxEEZZNS1_16scan_by_key_implILNS1_25lookback_scan_determinismE0ELb0ES3_N6thrust23THRUST_200600_302600_NS6detail15normal_iteratorINS9_10device_ptrIxEEEESE_SE_xNS9_4plusIxEE19head_flag_predicatexEE10hipError_tPvRmT2_T3_T4_T5_mT6_T7_P12ihipStream_tbENKUlT_T0_E_clISt17integral_constantIbLb0EESY_EEDaST_SU_EUlST_E_NS1_11comp_targetILNS1_3genE3ELNS1_11target_archE908ELNS1_3gpuE7ELNS1_3repE0EEENS1_30default_config_static_selectorELNS0_4arch9wavefront6targetE0EEEvT1_,comdat
	.protected	_ZN7rocprim17ROCPRIM_400000_NS6detail17trampoline_kernelINS0_14default_configENS1_27scan_by_key_config_selectorIxxEEZZNS1_16scan_by_key_implILNS1_25lookback_scan_determinismE0ELb0ES3_N6thrust23THRUST_200600_302600_NS6detail15normal_iteratorINS9_10device_ptrIxEEEESE_SE_xNS9_4plusIxEE19head_flag_predicatexEE10hipError_tPvRmT2_T3_T4_T5_mT6_T7_P12ihipStream_tbENKUlT_T0_E_clISt17integral_constantIbLb0EESY_EEDaST_SU_EUlST_E_NS1_11comp_targetILNS1_3genE3ELNS1_11target_archE908ELNS1_3gpuE7ELNS1_3repE0EEENS1_30default_config_static_selectorELNS0_4arch9wavefront6targetE0EEEvT1_ ; -- Begin function _ZN7rocprim17ROCPRIM_400000_NS6detail17trampoline_kernelINS0_14default_configENS1_27scan_by_key_config_selectorIxxEEZZNS1_16scan_by_key_implILNS1_25lookback_scan_determinismE0ELb0ES3_N6thrust23THRUST_200600_302600_NS6detail15normal_iteratorINS9_10device_ptrIxEEEESE_SE_xNS9_4plusIxEE19head_flag_predicatexEE10hipError_tPvRmT2_T3_T4_T5_mT6_T7_P12ihipStream_tbENKUlT_T0_E_clISt17integral_constantIbLb0EESY_EEDaST_SU_EUlST_E_NS1_11comp_targetILNS1_3genE3ELNS1_11target_archE908ELNS1_3gpuE7ELNS1_3repE0EEENS1_30default_config_static_selectorELNS0_4arch9wavefront6targetE0EEEvT1_
	.globl	_ZN7rocprim17ROCPRIM_400000_NS6detail17trampoline_kernelINS0_14default_configENS1_27scan_by_key_config_selectorIxxEEZZNS1_16scan_by_key_implILNS1_25lookback_scan_determinismE0ELb0ES3_N6thrust23THRUST_200600_302600_NS6detail15normal_iteratorINS9_10device_ptrIxEEEESE_SE_xNS9_4plusIxEE19head_flag_predicatexEE10hipError_tPvRmT2_T3_T4_T5_mT6_T7_P12ihipStream_tbENKUlT_T0_E_clISt17integral_constantIbLb0EESY_EEDaST_SU_EUlST_E_NS1_11comp_targetILNS1_3genE3ELNS1_11target_archE908ELNS1_3gpuE7ELNS1_3repE0EEENS1_30default_config_static_selectorELNS0_4arch9wavefront6targetE0EEEvT1_
	.p2align	8
	.type	_ZN7rocprim17ROCPRIM_400000_NS6detail17trampoline_kernelINS0_14default_configENS1_27scan_by_key_config_selectorIxxEEZZNS1_16scan_by_key_implILNS1_25lookback_scan_determinismE0ELb0ES3_N6thrust23THRUST_200600_302600_NS6detail15normal_iteratorINS9_10device_ptrIxEEEESE_SE_xNS9_4plusIxEE19head_flag_predicatexEE10hipError_tPvRmT2_T3_T4_T5_mT6_T7_P12ihipStream_tbENKUlT_T0_E_clISt17integral_constantIbLb0EESY_EEDaST_SU_EUlST_E_NS1_11comp_targetILNS1_3genE3ELNS1_11target_archE908ELNS1_3gpuE7ELNS1_3repE0EEENS1_30default_config_static_selectorELNS0_4arch9wavefront6targetE0EEEvT1_,@function
_ZN7rocprim17ROCPRIM_400000_NS6detail17trampoline_kernelINS0_14default_configENS1_27scan_by_key_config_selectorIxxEEZZNS1_16scan_by_key_implILNS1_25lookback_scan_determinismE0ELb0ES3_N6thrust23THRUST_200600_302600_NS6detail15normal_iteratorINS9_10device_ptrIxEEEESE_SE_xNS9_4plusIxEE19head_flag_predicatexEE10hipError_tPvRmT2_T3_T4_T5_mT6_T7_P12ihipStream_tbENKUlT_T0_E_clISt17integral_constantIbLb0EESY_EEDaST_SU_EUlST_E_NS1_11comp_targetILNS1_3genE3ELNS1_11target_archE908ELNS1_3gpuE7ELNS1_3repE0EEENS1_30default_config_static_selectorELNS0_4arch9wavefront6targetE0EEEvT1_: ; @_ZN7rocprim17ROCPRIM_400000_NS6detail17trampoline_kernelINS0_14default_configENS1_27scan_by_key_config_selectorIxxEEZZNS1_16scan_by_key_implILNS1_25lookback_scan_determinismE0ELb0ES3_N6thrust23THRUST_200600_302600_NS6detail15normal_iteratorINS9_10device_ptrIxEEEESE_SE_xNS9_4plusIxEE19head_flag_predicatexEE10hipError_tPvRmT2_T3_T4_T5_mT6_T7_P12ihipStream_tbENKUlT_T0_E_clISt17integral_constantIbLb0EESY_EEDaST_SU_EUlST_E_NS1_11comp_targetILNS1_3genE3ELNS1_11target_archE908ELNS1_3gpuE7ELNS1_3repE0EEENS1_30default_config_static_selectorELNS0_4arch9wavefront6targetE0EEEvT1_
; %bb.0:
	.section	.rodata,"a",@progbits
	.p2align	6, 0x0
	.amdhsa_kernel _ZN7rocprim17ROCPRIM_400000_NS6detail17trampoline_kernelINS0_14default_configENS1_27scan_by_key_config_selectorIxxEEZZNS1_16scan_by_key_implILNS1_25lookback_scan_determinismE0ELb0ES3_N6thrust23THRUST_200600_302600_NS6detail15normal_iteratorINS9_10device_ptrIxEEEESE_SE_xNS9_4plusIxEE19head_flag_predicatexEE10hipError_tPvRmT2_T3_T4_T5_mT6_T7_P12ihipStream_tbENKUlT_T0_E_clISt17integral_constantIbLb0EESY_EEDaST_SU_EUlST_E_NS1_11comp_targetILNS1_3genE3ELNS1_11target_archE908ELNS1_3gpuE7ELNS1_3repE0EEENS1_30default_config_static_selectorELNS0_4arch9wavefront6targetE0EEEvT1_
		.amdhsa_group_segment_fixed_size 0
		.amdhsa_private_segment_fixed_size 0
		.amdhsa_kernarg_size 136
		.amdhsa_user_sgpr_count 6
		.amdhsa_user_sgpr_private_segment_buffer 1
		.amdhsa_user_sgpr_dispatch_ptr 0
		.amdhsa_user_sgpr_queue_ptr 0
		.amdhsa_user_sgpr_kernarg_segment_ptr 1
		.amdhsa_user_sgpr_dispatch_id 0
		.amdhsa_user_sgpr_flat_scratch_init 0
		.amdhsa_user_sgpr_private_segment_size 0
		.amdhsa_wavefront_size32 1
		.amdhsa_uses_dynamic_stack 0
		.amdhsa_system_sgpr_private_segment_wavefront_offset 0
		.amdhsa_system_sgpr_workgroup_id_x 1
		.amdhsa_system_sgpr_workgroup_id_y 0
		.amdhsa_system_sgpr_workgroup_id_z 0
		.amdhsa_system_sgpr_workgroup_info 0
		.amdhsa_system_vgpr_workitem_id 0
		.amdhsa_next_free_vgpr 1
		.amdhsa_next_free_sgpr 1
		.amdhsa_reserve_vcc 0
		.amdhsa_reserve_flat_scratch 0
		.amdhsa_float_round_mode_32 0
		.amdhsa_float_round_mode_16_64 0
		.amdhsa_float_denorm_mode_32 3
		.amdhsa_float_denorm_mode_16_64 3
		.amdhsa_dx10_clamp 1
		.amdhsa_ieee_mode 1
		.amdhsa_fp16_overflow 0
		.amdhsa_workgroup_processor_mode 1
		.amdhsa_memory_ordered 1
		.amdhsa_forward_progress 1
		.amdhsa_shared_vgpr_count 0
		.amdhsa_exception_fp_ieee_invalid_op 0
		.amdhsa_exception_fp_denorm_src 0
		.amdhsa_exception_fp_ieee_div_zero 0
		.amdhsa_exception_fp_ieee_overflow 0
		.amdhsa_exception_fp_ieee_underflow 0
		.amdhsa_exception_fp_ieee_inexact 0
		.amdhsa_exception_int_div_zero 0
	.end_amdhsa_kernel
	.section	.text._ZN7rocprim17ROCPRIM_400000_NS6detail17trampoline_kernelINS0_14default_configENS1_27scan_by_key_config_selectorIxxEEZZNS1_16scan_by_key_implILNS1_25lookback_scan_determinismE0ELb0ES3_N6thrust23THRUST_200600_302600_NS6detail15normal_iteratorINS9_10device_ptrIxEEEESE_SE_xNS9_4plusIxEE19head_flag_predicatexEE10hipError_tPvRmT2_T3_T4_T5_mT6_T7_P12ihipStream_tbENKUlT_T0_E_clISt17integral_constantIbLb0EESY_EEDaST_SU_EUlST_E_NS1_11comp_targetILNS1_3genE3ELNS1_11target_archE908ELNS1_3gpuE7ELNS1_3repE0EEENS1_30default_config_static_selectorELNS0_4arch9wavefront6targetE0EEEvT1_,"axG",@progbits,_ZN7rocprim17ROCPRIM_400000_NS6detail17trampoline_kernelINS0_14default_configENS1_27scan_by_key_config_selectorIxxEEZZNS1_16scan_by_key_implILNS1_25lookback_scan_determinismE0ELb0ES3_N6thrust23THRUST_200600_302600_NS6detail15normal_iteratorINS9_10device_ptrIxEEEESE_SE_xNS9_4plusIxEE19head_flag_predicatexEE10hipError_tPvRmT2_T3_T4_T5_mT6_T7_P12ihipStream_tbENKUlT_T0_E_clISt17integral_constantIbLb0EESY_EEDaST_SU_EUlST_E_NS1_11comp_targetILNS1_3genE3ELNS1_11target_archE908ELNS1_3gpuE7ELNS1_3repE0EEENS1_30default_config_static_selectorELNS0_4arch9wavefront6targetE0EEEvT1_,comdat
.Lfunc_end681:
	.size	_ZN7rocprim17ROCPRIM_400000_NS6detail17trampoline_kernelINS0_14default_configENS1_27scan_by_key_config_selectorIxxEEZZNS1_16scan_by_key_implILNS1_25lookback_scan_determinismE0ELb0ES3_N6thrust23THRUST_200600_302600_NS6detail15normal_iteratorINS9_10device_ptrIxEEEESE_SE_xNS9_4plusIxEE19head_flag_predicatexEE10hipError_tPvRmT2_T3_T4_T5_mT6_T7_P12ihipStream_tbENKUlT_T0_E_clISt17integral_constantIbLb0EESY_EEDaST_SU_EUlST_E_NS1_11comp_targetILNS1_3genE3ELNS1_11target_archE908ELNS1_3gpuE7ELNS1_3repE0EEENS1_30default_config_static_selectorELNS0_4arch9wavefront6targetE0EEEvT1_, .Lfunc_end681-_ZN7rocprim17ROCPRIM_400000_NS6detail17trampoline_kernelINS0_14default_configENS1_27scan_by_key_config_selectorIxxEEZZNS1_16scan_by_key_implILNS1_25lookback_scan_determinismE0ELb0ES3_N6thrust23THRUST_200600_302600_NS6detail15normal_iteratorINS9_10device_ptrIxEEEESE_SE_xNS9_4plusIxEE19head_flag_predicatexEE10hipError_tPvRmT2_T3_T4_T5_mT6_T7_P12ihipStream_tbENKUlT_T0_E_clISt17integral_constantIbLb0EESY_EEDaST_SU_EUlST_E_NS1_11comp_targetILNS1_3genE3ELNS1_11target_archE908ELNS1_3gpuE7ELNS1_3repE0EEENS1_30default_config_static_selectorELNS0_4arch9wavefront6targetE0EEEvT1_
                                        ; -- End function
	.set _ZN7rocprim17ROCPRIM_400000_NS6detail17trampoline_kernelINS0_14default_configENS1_27scan_by_key_config_selectorIxxEEZZNS1_16scan_by_key_implILNS1_25lookback_scan_determinismE0ELb0ES3_N6thrust23THRUST_200600_302600_NS6detail15normal_iteratorINS9_10device_ptrIxEEEESE_SE_xNS9_4plusIxEE19head_flag_predicatexEE10hipError_tPvRmT2_T3_T4_T5_mT6_T7_P12ihipStream_tbENKUlT_T0_E_clISt17integral_constantIbLb0EESY_EEDaST_SU_EUlST_E_NS1_11comp_targetILNS1_3genE3ELNS1_11target_archE908ELNS1_3gpuE7ELNS1_3repE0EEENS1_30default_config_static_selectorELNS0_4arch9wavefront6targetE0EEEvT1_.num_vgpr, 0
	.set _ZN7rocprim17ROCPRIM_400000_NS6detail17trampoline_kernelINS0_14default_configENS1_27scan_by_key_config_selectorIxxEEZZNS1_16scan_by_key_implILNS1_25lookback_scan_determinismE0ELb0ES3_N6thrust23THRUST_200600_302600_NS6detail15normal_iteratorINS9_10device_ptrIxEEEESE_SE_xNS9_4plusIxEE19head_flag_predicatexEE10hipError_tPvRmT2_T3_T4_T5_mT6_T7_P12ihipStream_tbENKUlT_T0_E_clISt17integral_constantIbLb0EESY_EEDaST_SU_EUlST_E_NS1_11comp_targetILNS1_3genE3ELNS1_11target_archE908ELNS1_3gpuE7ELNS1_3repE0EEENS1_30default_config_static_selectorELNS0_4arch9wavefront6targetE0EEEvT1_.num_agpr, 0
	.set _ZN7rocprim17ROCPRIM_400000_NS6detail17trampoline_kernelINS0_14default_configENS1_27scan_by_key_config_selectorIxxEEZZNS1_16scan_by_key_implILNS1_25lookback_scan_determinismE0ELb0ES3_N6thrust23THRUST_200600_302600_NS6detail15normal_iteratorINS9_10device_ptrIxEEEESE_SE_xNS9_4plusIxEE19head_flag_predicatexEE10hipError_tPvRmT2_T3_T4_T5_mT6_T7_P12ihipStream_tbENKUlT_T0_E_clISt17integral_constantIbLb0EESY_EEDaST_SU_EUlST_E_NS1_11comp_targetILNS1_3genE3ELNS1_11target_archE908ELNS1_3gpuE7ELNS1_3repE0EEENS1_30default_config_static_selectorELNS0_4arch9wavefront6targetE0EEEvT1_.numbered_sgpr, 0
	.set _ZN7rocprim17ROCPRIM_400000_NS6detail17trampoline_kernelINS0_14default_configENS1_27scan_by_key_config_selectorIxxEEZZNS1_16scan_by_key_implILNS1_25lookback_scan_determinismE0ELb0ES3_N6thrust23THRUST_200600_302600_NS6detail15normal_iteratorINS9_10device_ptrIxEEEESE_SE_xNS9_4plusIxEE19head_flag_predicatexEE10hipError_tPvRmT2_T3_T4_T5_mT6_T7_P12ihipStream_tbENKUlT_T0_E_clISt17integral_constantIbLb0EESY_EEDaST_SU_EUlST_E_NS1_11comp_targetILNS1_3genE3ELNS1_11target_archE908ELNS1_3gpuE7ELNS1_3repE0EEENS1_30default_config_static_selectorELNS0_4arch9wavefront6targetE0EEEvT1_.num_named_barrier, 0
	.set _ZN7rocprim17ROCPRIM_400000_NS6detail17trampoline_kernelINS0_14default_configENS1_27scan_by_key_config_selectorIxxEEZZNS1_16scan_by_key_implILNS1_25lookback_scan_determinismE0ELb0ES3_N6thrust23THRUST_200600_302600_NS6detail15normal_iteratorINS9_10device_ptrIxEEEESE_SE_xNS9_4plusIxEE19head_flag_predicatexEE10hipError_tPvRmT2_T3_T4_T5_mT6_T7_P12ihipStream_tbENKUlT_T0_E_clISt17integral_constantIbLb0EESY_EEDaST_SU_EUlST_E_NS1_11comp_targetILNS1_3genE3ELNS1_11target_archE908ELNS1_3gpuE7ELNS1_3repE0EEENS1_30default_config_static_selectorELNS0_4arch9wavefront6targetE0EEEvT1_.private_seg_size, 0
	.set _ZN7rocprim17ROCPRIM_400000_NS6detail17trampoline_kernelINS0_14default_configENS1_27scan_by_key_config_selectorIxxEEZZNS1_16scan_by_key_implILNS1_25lookback_scan_determinismE0ELb0ES3_N6thrust23THRUST_200600_302600_NS6detail15normal_iteratorINS9_10device_ptrIxEEEESE_SE_xNS9_4plusIxEE19head_flag_predicatexEE10hipError_tPvRmT2_T3_T4_T5_mT6_T7_P12ihipStream_tbENKUlT_T0_E_clISt17integral_constantIbLb0EESY_EEDaST_SU_EUlST_E_NS1_11comp_targetILNS1_3genE3ELNS1_11target_archE908ELNS1_3gpuE7ELNS1_3repE0EEENS1_30default_config_static_selectorELNS0_4arch9wavefront6targetE0EEEvT1_.uses_vcc, 0
	.set _ZN7rocprim17ROCPRIM_400000_NS6detail17trampoline_kernelINS0_14default_configENS1_27scan_by_key_config_selectorIxxEEZZNS1_16scan_by_key_implILNS1_25lookback_scan_determinismE0ELb0ES3_N6thrust23THRUST_200600_302600_NS6detail15normal_iteratorINS9_10device_ptrIxEEEESE_SE_xNS9_4plusIxEE19head_flag_predicatexEE10hipError_tPvRmT2_T3_T4_T5_mT6_T7_P12ihipStream_tbENKUlT_T0_E_clISt17integral_constantIbLb0EESY_EEDaST_SU_EUlST_E_NS1_11comp_targetILNS1_3genE3ELNS1_11target_archE908ELNS1_3gpuE7ELNS1_3repE0EEENS1_30default_config_static_selectorELNS0_4arch9wavefront6targetE0EEEvT1_.uses_flat_scratch, 0
	.set _ZN7rocprim17ROCPRIM_400000_NS6detail17trampoline_kernelINS0_14default_configENS1_27scan_by_key_config_selectorIxxEEZZNS1_16scan_by_key_implILNS1_25lookback_scan_determinismE0ELb0ES3_N6thrust23THRUST_200600_302600_NS6detail15normal_iteratorINS9_10device_ptrIxEEEESE_SE_xNS9_4plusIxEE19head_flag_predicatexEE10hipError_tPvRmT2_T3_T4_T5_mT6_T7_P12ihipStream_tbENKUlT_T0_E_clISt17integral_constantIbLb0EESY_EEDaST_SU_EUlST_E_NS1_11comp_targetILNS1_3genE3ELNS1_11target_archE908ELNS1_3gpuE7ELNS1_3repE0EEENS1_30default_config_static_selectorELNS0_4arch9wavefront6targetE0EEEvT1_.has_dyn_sized_stack, 0
	.set _ZN7rocprim17ROCPRIM_400000_NS6detail17trampoline_kernelINS0_14default_configENS1_27scan_by_key_config_selectorIxxEEZZNS1_16scan_by_key_implILNS1_25lookback_scan_determinismE0ELb0ES3_N6thrust23THRUST_200600_302600_NS6detail15normal_iteratorINS9_10device_ptrIxEEEESE_SE_xNS9_4plusIxEE19head_flag_predicatexEE10hipError_tPvRmT2_T3_T4_T5_mT6_T7_P12ihipStream_tbENKUlT_T0_E_clISt17integral_constantIbLb0EESY_EEDaST_SU_EUlST_E_NS1_11comp_targetILNS1_3genE3ELNS1_11target_archE908ELNS1_3gpuE7ELNS1_3repE0EEENS1_30default_config_static_selectorELNS0_4arch9wavefront6targetE0EEEvT1_.has_recursion, 0
	.set _ZN7rocprim17ROCPRIM_400000_NS6detail17trampoline_kernelINS0_14default_configENS1_27scan_by_key_config_selectorIxxEEZZNS1_16scan_by_key_implILNS1_25lookback_scan_determinismE0ELb0ES3_N6thrust23THRUST_200600_302600_NS6detail15normal_iteratorINS9_10device_ptrIxEEEESE_SE_xNS9_4plusIxEE19head_flag_predicatexEE10hipError_tPvRmT2_T3_T4_T5_mT6_T7_P12ihipStream_tbENKUlT_T0_E_clISt17integral_constantIbLb0EESY_EEDaST_SU_EUlST_E_NS1_11comp_targetILNS1_3genE3ELNS1_11target_archE908ELNS1_3gpuE7ELNS1_3repE0EEENS1_30default_config_static_selectorELNS0_4arch9wavefront6targetE0EEEvT1_.has_indirect_call, 0
	.section	.AMDGPU.csdata,"",@progbits
; Kernel info:
; codeLenInByte = 0
; TotalNumSgprs: 0
; NumVgprs: 0
; ScratchSize: 0
; MemoryBound: 0
; FloatMode: 240
; IeeeMode: 1
; LDSByteSize: 0 bytes/workgroup (compile time only)
; SGPRBlocks: 0
; VGPRBlocks: 0
; NumSGPRsForWavesPerEU: 1
; NumVGPRsForWavesPerEU: 1
; Occupancy: 16
; WaveLimiterHint : 0
; COMPUTE_PGM_RSRC2:SCRATCH_EN: 0
; COMPUTE_PGM_RSRC2:USER_SGPR: 6
; COMPUTE_PGM_RSRC2:TRAP_HANDLER: 0
; COMPUTE_PGM_RSRC2:TGID_X_EN: 1
; COMPUTE_PGM_RSRC2:TGID_Y_EN: 0
; COMPUTE_PGM_RSRC2:TGID_Z_EN: 0
; COMPUTE_PGM_RSRC2:TIDIG_COMP_CNT: 0
	.section	.text._ZN7rocprim17ROCPRIM_400000_NS6detail17trampoline_kernelINS0_14default_configENS1_27scan_by_key_config_selectorIxxEEZZNS1_16scan_by_key_implILNS1_25lookback_scan_determinismE0ELb0ES3_N6thrust23THRUST_200600_302600_NS6detail15normal_iteratorINS9_10device_ptrIxEEEESE_SE_xNS9_4plusIxEE19head_flag_predicatexEE10hipError_tPvRmT2_T3_T4_T5_mT6_T7_P12ihipStream_tbENKUlT_T0_E_clISt17integral_constantIbLb0EESY_EEDaST_SU_EUlST_E_NS1_11comp_targetILNS1_3genE2ELNS1_11target_archE906ELNS1_3gpuE6ELNS1_3repE0EEENS1_30default_config_static_selectorELNS0_4arch9wavefront6targetE0EEEvT1_,"axG",@progbits,_ZN7rocprim17ROCPRIM_400000_NS6detail17trampoline_kernelINS0_14default_configENS1_27scan_by_key_config_selectorIxxEEZZNS1_16scan_by_key_implILNS1_25lookback_scan_determinismE0ELb0ES3_N6thrust23THRUST_200600_302600_NS6detail15normal_iteratorINS9_10device_ptrIxEEEESE_SE_xNS9_4plusIxEE19head_flag_predicatexEE10hipError_tPvRmT2_T3_T4_T5_mT6_T7_P12ihipStream_tbENKUlT_T0_E_clISt17integral_constantIbLb0EESY_EEDaST_SU_EUlST_E_NS1_11comp_targetILNS1_3genE2ELNS1_11target_archE906ELNS1_3gpuE6ELNS1_3repE0EEENS1_30default_config_static_selectorELNS0_4arch9wavefront6targetE0EEEvT1_,comdat
	.protected	_ZN7rocprim17ROCPRIM_400000_NS6detail17trampoline_kernelINS0_14default_configENS1_27scan_by_key_config_selectorIxxEEZZNS1_16scan_by_key_implILNS1_25lookback_scan_determinismE0ELb0ES3_N6thrust23THRUST_200600_302600_NS6detail15normal_iteratorINS9_10device_ptrIxEEEESE_SE_xNS9_4plusIxEE19head_flag_predicatexEE10hipError_tPvRmT2_T3_T4_T5_mT6_T7_P12ihipStream_tbENKUlT_T0_E_clISt17integral_constantIbLb0EESY_EEDaST_SU_EUlST_E_NS1_11comp_targetILNS1_3genE2ELNS1_11target_archE906ELNS1_3gpuE6ELNS1_3repE0EEENS1_30default_config_static_selectorELNS0_4arch9wavefront6targetE0EEEvT1_ ; -- Begin function _ZN7rocprim17ROCPRIM_400000_NS6detail17trampoline_kernelINS0_14default_configENS1_27scan_by_key_config_selectorIxxEEZZNS1_16scan_by_key_implILNS1_25lookback_scan_determinismE0ELb0ES3_N6thrust23THRUST_200600_302600_NS6detail15normal_iteratorINS9_10device_ptrIxEEEESE_SE_xNS9_4plusIxEE19head_flag_predicatexEE10hipError_tPvRmT2_T3_T4_T5_mT6_T7_P12ihipStream_tbENKUlT_T0_E_clISt17integral_constantIbLb0EESY_EEDaST_SU_EUlST_E_NS1_11comp_targetILNS1_3genE2ELNS1_11target_archE906ELNS1_3gpuE6ELNS1_3repE0EEENS1_30default_config_static_selectorELNS0_4arch9wavefront6targetE0EEEvT1_
	.globl	_ZN7rocprim17ROCPRIM_400000_NS6detail17trampoline_kernelINS0_14default_configENS1_27scan_by_key_config_selectorIxxEEZZNS1_16scan_by_key_implILNS1_25lookback_scan_determinismE0ELb0ES3_N6thrust23THRUST_200600_302600_NS6detail15normal_iteratorINS9_10device_ptrIxEEEESE_SE_xNS9_4plusIxEE19head_flag_predicatexEE10hipError_tPvRmT2_T3_T4_T5_mT6_T7_P12ihipStream_tbENKUlT_T0_E_clISt17integral_constantIbLb0EESY_EEDaST_SU_EUlST_E_NS1_11comp_targetILNS1_3genE2ELNS1_11target_archE906ELNS1_3gpuE6ELNS1_3repE0EEENS1_30default_config_static_selectorELNS0_4arch9wavefront6targetE0EEEvT1_
	.p2align	8
	.type	_ZN7rocprim17ROCPRIM_400000_NS6detail17trampoline_kernelINS0_14default_configENS1_27scan_by_key_config_selectorIxxEEZZNS1_16scan_by_key_implILNS1_25lookback_scan_determinismE0ELb0ES3_N6thrust23THRUST_200600_302600_NS6detail15normal_iteratorINS9_10device_ptrIxEEEESE_SE_xNS9_4plusIxEE19head_flag_predicatexEE10hipError_tPvRmT2_T3_T4_T5_mT6_T7_P12ihipStream_tbENKUlT_T0_E_clISt17integral_constantIbLb0EESY_EEDaST_SU_EUlST_E_NS1_11comp_targetILNS1_3genE2ELNS1_11target_archE906ELNS1_3gpuE6ELNS1_3repE0EEENS1_30default_config_static_selectorELNS0_4arch9wavefront6targetE0EEEvT1_,@function
_ZN7rocprim17ROCPRIM_400000_NS6detail17trampoline_kernelINS0_14default_configENS1_27scan_by_key_config_selectorIxxEEZZNS1_16scan_by_key_implILNS1_25lookback_scan_determinismE0ELb0ES3_N6thrust23THRUST_200600_302600_NS6detail15normal_iteratorINS9_10device_ptrIxEEEESE_SE_xNS9_4plusIxEE19head_flag_predicatexEE10hipError_tPvRmT2_T3_T4_T5_mT6_T7_P12ihipStream_tbENKUlT_T0_E_clISt17integral_constantIbLb0EESY_EEDaST_SU_EUlST_E_NS1_11comp_targetILNS1_3genE2ELNS1_11target_archE906ELNS1_3gpuE6ELNS1_3repE0EEENS1_30default_config_static_selectorELNS0_4arch9wavefront6targetE0EEEvT1_: ; @_ZN7rocprim17ROCPRIM_400000_NS6detail17trampoline_kernelINS0_14default_configENS1_27scan_by_key_config_selectorIxxEEZZNS1_16scan_by_key_implILNS1_25lookback_scan_determinismE0ELb0ES3_N6thrust23THRUST_200600_302600_NS6detail15normal_iteratorINS9_10device_ptrIxEEEESE_SE_xNS9_4plusIxEE19head_flag_predicatexEE10hipError_tPvRmT2_T3_T4_T5_mT6_T7_P12ihipStream_tbENKUlT_T0_E_clISt17integral_constantIbLb0EESY_EEDaST_SU_EUlST_E_NS1_11comp_targetILNS1_3genE2ELNS1_11target_archE906ELNS1_3gpuE6ELNS1_3repE0EEENS1_30default_config_static_selectorELNS0_4arch9wavefront6targetE0EEEvT1_
; %bb.0:
	.section	.rodata,"a",@progbits
	.p2align	6, 0x0
	.amdhsa_kernel _ZN7rocprim17ROCPRIM_400000_NS6detail17trampoline_kernelINS0_14default_configENS1_27scan_by_key_config_selectorIxxEEZZNS1_16scan_by_key_implILNS1_25lookback_scan_determinismE0ELb0ES3_N6thrust23THRUST_200600_302600_NS6detail15normal_iteratorINS9_10device_ptrIxEEEESE_SE_xNS9_4plusIxEE19head_flag_predicatexEE10hipError_tPvRmT2_T3_T4_T5_mT6_T7_P12ihipStream_tbENKUlT_T0_E_clISt17integral_constantIbLb0EESY_EEDaST_SU_EUlST_E_NS1_11comp_targetILNS1_3genE2ELNS1_11target_archE906ELNS1_3gpuE6ELNS1_3repE0EEENS1_30default_config_static_selectorELNS0_4arch9wavefront6targetE0EEEvT1_
		.amdhsa_group_segment_fixed_size 0
		.amdhsa_private_segment_fixed_size 0
		.amdhsa_kernarg_size 136
		.amdhsa_user_sgpr_count 6
		.amdhsa_user_sgpr_private_segment_buffer 1
		.amdhsa_user_sgpr_dispatch_ptr 0
		.amdhsa_user_sgpr_queue_ptr 0
		.amdhsa_user_sgpr_kernarg_segment_ptr 1
		.amdhsa_user_sgpr_dispatch_id 0
		.amdhsa_user_sgpr_flat_scratch_init 0
		.amdhsa_user_sgpr_private_segment_size 0
		.amdhsa_wavefront_size32 1
		.amdhsa_uses_dynamic_stack 0
		.amdhsa_system_sgpr_private_segment_wavefront_offset 0
		.amdhsa_system_sgpr_workgroup_id_x 1
		.amdhsa_system_sgpr_workgroup_id_y 0
		.amdhsa_system_sgpr_workgroup_id_z 0
		.amdhsa_system_sgpr_workgroup_info 0
		.amdhsa_system_vgpr_workitem_id 0
		.amdhsa_next_free_vgpr 1
		.amdhsa_next_free_sgpr 1
		.amdhsa_reserve_vcc 0
		.amdhsa_reserve_flat_scratch 0
		.amdhsa_float_round_mode_32 0
		.amdhsa_float_round_mode_16_64 0
		.amdhsa_float_denorm_mode_32 3
		.amdhsa_float_denorm_mode_16_64 3
		.amdhsa_dx10_clamp 1
		.amdhsa_ieee_mode 1
		.amdhsa_fp16_overflow 0
		.amdhsa_workgroup_processor_mode 1
		.amdhsa_memory_ordered 1
		.amdhsa_forward_progress 1
		.amdhsa_shared_vgpr_count 0
		.amdhsa_exception_fp_ieee_invalid_op 0
		.amdhsa_exception_fp_denorm_src 0
		.amdhsa_exception_fp_ieee_div_zero 0
		.amdhsa_exception_fp_ieee_overflow 0
		.amdhsa_exception_fp_ieee_underflow 0
		.amdhsa_exception_fp_ieee_inexact 0
		.amdhsa_exception_int_div_zero 0
	.end_amdhsa_kernel
	.section	.text._ZN7rocprim17ROCPRIM_400000_NS6detail17trampoline_kernelINS0_14default_configENS1_27scan_by_key_config_selectorIxxEEZZNS1_16scan_by_key_implILNS1_25lookback_scan_determinismE0ELb0ES3_N6thrust23THRUST_200600_302600_NS6detail15normal_iteratorINS9_10device_ptrIxEEEESE_SE_xNS9_4plusIxEE19head_flag_predicatexEE10hipError_tPvRmT2_T3_T4_T5_mT6_T7_P12ihipStream_tbENKUlT_T0_E_clISt17integral_constantIbLb0EESY_EEDaST_SU_EUlST_E_NS1_11comp_targetILNS1_3genE2ELNS1_11target_archE906ELNS1_3gpuE6ELNS1_3repE0EEENS1_30default_config_static_selectorELNS0_4arch9wavefront6targetE0EEEvT1_,"axG",@progbits,_ZN7rocprim17ROCPRIM_400000_NS6detail17trampoline_kernelINS0_14default_configENS1_27scan_by_key_config_selectorIxxEEZZNS1_16scan_by_key_implILNS1_25lookback_scan_determinismE0ELb0ES3_N6thrust23THRUST_200600_302600_NS6detail15normal_iteratorINS9_10device_ptrIxEEEESE_SE_xNS9_4plusIxEE19head_flag_predicatexEE10hipError_tPvRmT2_T3_T4_T5_mT6_T7_P12ihipStream_tbENKUlT_T0_E_clISt17integral_constantIbLb0EESY_EEDaST_SU_EUlST_E_NS1_11comp_targetILNS1_3genE2ELNS1_11target_archE906ELNS1_3gpuE6ELNS1_3repE0EEENS1_30default_config_static_selectorELNS0_4arch9wavefront6targetE0EEEvT1_,comdat
.Lfunc_end682:
	.size	_ZN7rocprim17ROCPRIM_400000_NS6detail17trampoline_kernelINS0_14default_configENS1_27scan_by_key_config_selectorIxxEEZZNS1_16scan_by_key_implILNS1_25lookback_scan_determinismE0ELb0ES3_N6thrust23THRUST_200600_302600_NS6detail15normal_iteratorINS9_10device_ptrIxEEEESE_SE_xNS9_4plusIxEE19head_flag_predicatexEE10hipError_tPvRmT2_T3_T4_T5_mT6_T7_P12ihipStream_tbENKUlT_T0_E_clISt17integral_constantIbLb0EESY_EEDaST_SU_EUlST_E_NS1_11comp_targetILNS1_3genE2ELNS1_11target_archE906ELNS1_3gpuE6ELNS1_3repE0EEENS1_30default_config_static_selectorELNS0_4arch9wavefront6targetE0EEEvT1_, .Lfunc_end682-_ZN7rocprim17ROCPRIM_400000_NS6detail17trampoline_kernelINS0_14default_configENS1_27scan_by_key_config_selectorIxxEEZZNS1_16scan_by_key_implILNS1_25lookback_scan_determinismE0ELb0ES3_N6thrust23THRUST_200600_302600_NS6detail15normal_iteratorINS9_10device_ptrIxEEEESE_SE_xNS9_4plusIxEE19head_flag_predicatexEE10hipError_tPvRmT2_T3_T4_T5_mT6_T7_P12ihipStream_tbENKUlT_T0_E_clISt17integral_constantIbLb0EESY_EEDaST_SU_EUlST_E_NS1_11comp_targetILNS1_3genE2ELNS1_11target_archE906ELNS1_3gpuE6ELNS1_3repE0EEENS1_30default_config_static_selectorELNS0_4arch9wavefront6targetE0EEEvT1_
                                        ; -- End function
	.set _ZN7rocprim17ROCPRIM_400000_NS6detail17trampoline_kernelINS0_14default_configENS1_27scan_by_key_config_selectorIxxEEZZNS1_16scan_by_key_implILNS1_25lookback_scan_determinismE0ELb0ES3_N6thrust23THRUST_200600_302600_NS6detail15normal_iteratorINS9_10device_ptrIxEEEESE_SE_xNS9_4plusIxEE19head_flag_predicatexEE10hipError_tPvRmT2_T3_T4_T5_mT6_T7_P12ihipStream_tbENKUlT_T0_E_clISt17integral_constantIbLb0EESY_EEDaST_SU_EUlST_E_NS1_11comp_targetILNS1_3genE2ELNS1_11target_archE906ELNS1_3gpuE6ELNS1_3repE0EEENS1_30default_config_static_selectorELNS0_4arch9wavefront6targetE0EEEvT1_.num_vgpr, 0
	.set _ZN7rocprim17ROCPRIM_400000_NS6detail17trampoline_kernelINS0_14default_configENS1_27scan_by_key_config_selectorIxxEEZZNS1_16scan_by_key_implILNS1_25lookback_scan_determinismE0ELb0ES3_N6thrust23THRUST_200600_302600_NS6detail15normal_iteratorINS9_10device_ptrIxEEEESE_SE_xNS9_4plusIxEE19head_flag_predicatexEE10hipError_tPvRmT2_T3_T4_T5_mT6_T7_P12ihipStream_tbENKUlT_T0_E_clISt17integral_constantIbLb0EESY_EEDaST_SU_EUlST_E_NS1_11comp_targetILNS1_3genE2ELNS1_11target_archE906ELNS1_3gpuE6ELNS1_3repE0EEENS1_30default_config_static_selectorELNS0_4arch9wavefront6targetE0EEEvT1_.num_agpr, 0
	.set _ZN7rocprim17ROCPRIM_400000_NS6detail17trampoline_kernelINS0_14default_configENS1_27scan_by_key_config_selectorIxxEEZZNS1_16scan_by_key_implILNS1_25lookback_scan_determinismE0ELb0ES3_N6thrust23THRUST_200600_302600_NS6detail15normal_iteratorINS9_10device_ptrIxEEEESE_SE_xNS9_4plusIxEE19head_flag_predicatexEE10hipError_tPvRmT2_T3_T4_T5_mT6_T7_P12ihipStream_tbENKUlT_T0_E_clISt17integral_constantIbLb0EESY_EEDaST_SU_EUlST_E_NS1_11comp_targetILNS1_3genE2ELNS1_11target_archE906ELNS1_3gpuE6ELNS1_3repE0EEENS1_30default_config_static_selectorELNS0_4arch9wavefront6targetE0EEEvT1_.numbered_sgpr, 0
	.set _ZN7rocprim17ROCPRIM_400000_NS6detail17trampoline_kernelINS0_14default_configENS1_27scan_by_key_config_selectorIxxEEZZNS1_16scan_by_key_implILNS1_25lookback_scan_determinismE0ELb0ES3_N6thrust23THRUST_200600_302600_NS6detail15normal_iteratorINS9_10device_ptrIxEEEESE_SE_xNS9_4plusIxEE19head_flag_predicatexEE10hipError_tPvRmT2_T3_T4_T5_mT6_T7_P12ihipStream_tbENKUlT_T0_E_clISt17integral_constantIbLb0EESY_EEDaST_SU_EUlST_E_NS1_11comp_targetILNS1_3genE2ELNS1_11target_archE906ELNS1_3gpuE6ELNS1_3repE0EEENS1_30default_config_static_selectorELNS0_4arch9wavefront6targetE0EEEvT1_.num_named_barrier, 0
	.set _ZN7rocprim17ROCPRIM_400000_NS6detail17trampoline_kernelINS0_14default_configENS1_27scan_by_key_config_selectorIxxEEZZNS1_16scan_by_key_implILNS1_25lookback_scan_determinismE0ELb0ES3_N6thrust23THRUST_200600_302600_NS6detail15normal_iteratorINS9_10device_ptrIxEEEESE_SE_xNS9_4plusIxEE19head_flag_predicatexEE10hipError_tPvRmT2_T3_T4_T5_mT6_T7_P12ihipStream_tbENKUlT_T0_E_clISt17integral_constantIbLb0EESY_EEDaST_SU_EUlST_E_NS1_11comp_targetILNS1_3genE2ELNS1_11target_archE906ELNS1_3gpuE6ELNS1_3repE0EEENS1_30default_config_static_selectorELNS0_4arch9wavefront6targetE0EEEvT1_.private_seg_size, 0
	.set _ZN7rocprim17ROCPRIM_400000_NS6detail17trampoline_kernelINS0_14default_configENS1_27scan_by_key_config_selectorIxxEEZZNS1_16scan_by_key_implILNS1_25lookback_scan_determinismE0ELb0ES3_N6thrust23THRUST_200600_302600_NS6detail15normal_iteratorINS9_10device_ptrIxEEEESE_SE_xNS9_4plusIxEE19head_flag_predicatexEE10hipError_tPvRmT2_T3_T4_T5_mT6_T7_P12ihipStream_tbENKUlT_T0_E_clISt17integral_constantIbLb0EESY_EEDaST_SU_EUlST_E_NS1_11comp_targetILNS1_3genE2ELNS1_11target_archE906ELNS1_3gpuE6ELNS1_3repE0EEENS1_30default_config_static_selectorELNS0_4arch9wavefront6targetE0EEEvT1_.uses_vcc, 0
	.set _ZN7rocprim17ROCPRIM_400000_NS6detail17trampoline_kernelINS0_14default_configENS1_27scan_by_key_config_selectorIxxEEZZNS1_16scan_by_key_implILNS1_25lookback_scan_determinismE0ELb0ES3_N6thrust23THRUST_200600_302600_NS6detail15normal_iteratorINS9_10device_ptrIxEEEESE_SE_xNS9_4plusIxEE19head_flag_predicatexEE10hipError_tPvRmT2_T3_T4_T5_mT6_T7_P12ihipStream_tbENKUlT_T0_E_clISt17integral_constantIbLb0EESY_EEDaST_SU_EUlST_E_NS1_11comp_targetILNS1_3genE2ELNS1_11target_archE906ELNS1_3gpuE6ELNS1_3repE0EEENS1_30default_config_static_selectorELNS0_4arch9wavefront6targetE0EEEvT1_.uses_flat_scratch, 0
	.set _ZN7rocprim17ROCPRIM_400000_NS6detail17trampoline_kernelINS0_14default_configENS1_27scan_by_key_config_selectorIxxEEZZNS1_16scan_by_key_implILNS1_25lookback_scan_determinismE0ELb0ES3_N6thrust23THRUST_200600_302600_NS6detail15normal_iteratorINS9_10device_ptrIxEEEESE_SE_xNS9_4plusIxEE19head_flag_predicatexEE10hipError_tPvRmT2_T3_T4_T5_mT6_T7_P12ihipStream_tbENKUlT_T0_E_clISt17integral_constantIbLb0EESY_EEDaST_SU_EUlST_E_NS1_11comp_targetILNS1_3genE2ELNS1_11target_archE906ELNS1_3gpuE6ELNS1_3repE0EEENS1_30default_config_static_selectorELNS0_4arch9wavefront6targetE0EEEvT1_.has_dyn_sized_stack, 0
	.set _ZN7rocprim17ROCPRIM_400000_NS6detail17trampoline_kernelINS0_14default_configENS1_27scan_by_key_config_selectorIxxEEZZNS1_16scan_by_key_implILNS1_25lookback_scan_determinismE0ELb0ES3_N6thrust23THRUST_200600_302600_NS6detail15normal_iteratorINS9_10device_ptrIxEEEESE_SE_xNS9_4plusIxEE19head_flag_predicatexEE10hipError_tPvRmT2_T3_T4_T5_mT6_T7_P12ihipStream_tbENKUlT_T0_E_clISt17integral_constantIbLb0EESY_EEDaST_SU_EUlST_E_NS1_11comp_targetILNS1_3genE2ELNS1_11target_archE906ELNS1_3gpuE6ELNS1_3repE0EEENS1_30default_config_static_selectorELNS0_4arch9wavefront6targetE0EEEvT1_.has_recursion, 0
	.set _ZN7rocprim17ROCPRIM_400000_NS6detail17trampoline_kernelINS0_14default_configENS1_27scan_by_key_config_selectorIxxEEZZNS1_16scan_by_key_implILNS1_25lookback_scan_determinismE0ELb0ES3_N6thrust23THRUST_200600_302600_NS6detail15normal_iteratorINS9_10device_ptrIxEEEESE_SE_xNS9_4plusIxEE19head_flag_predicatexEE10hipError_tPvRmT2_T3_T4_T5_mT6_T7_P12ihipStream_tbENKUlT_T0_E_clISt17integral_constantIbLb0EESY_EEDaST_SU_EUlST_E_NS1_11comp_targetILNS1_3genE2ELNS1_11target_archE906ELNS1_3gpuE6ELNS1_3repE0EEENS1_30default_config_static_selectorELNS0_4arch9wavefront6targetE0EEEvT1_.has_indirect_call, 0
	.section	.AMDGPU.csdata,"",@progbits
; Kernel info:
; codeLenInByte = 0
; TotalNumSgprs: 0
; NumVgprs: 0
; ScratchSize: 0
; MemoryBound: 0
; FloatMode: 240
; IeeeMode: 1
; LDSByteSize: 0 bytes/workgroup (compile time only)
; SGPRBlocks: 0
; VGPRBlocks: 0
; NumSGPRsForWavesPerEU: 1
; NumVGPRsForWavesPerEU: 1
; Occupancy: 16
; WaveLimiterHint : 0
; COMPUTE_PGM_RSRC2:SCRATCH_EN: 0
; COMPUTE_PGM_RSRC2:USER_SGPR: 6
; COMPUTE_PGM_RSRC2:TRAP_HANDLER: 0
; COMPUTE_PGM_RSRC2:TGID_X_EN: 1
; COMPUTE_PGM_RSRC2:TGID_Y_EN: 0
; COMPUTE_PGM_RSRC2:TGID_Z_EN: 0
; COMPUTE_PGM_RSRC2:TIDIG_COMP_CNT: 0
	.section	.text._ZN7rocprim17ROCPRIM_400000_NS6detail17trampoline_kernelINS0_14default_configENS1_27scan_by_key_config_selectorIxxEEZZNS1_16scan_by_key_implILNS1_25lookback_scan_determinismE0ELb0ES3_N6thrust23THRUST_200600_302600_NS6detail15normal_iteratorINS9_10device_ptrIxEEEESE_SE_xNS9_4plusIxEE19head_flag_predicatexEE10hipError_tPvRmT2_T3_T4_T5_mT6_T7_P12ihipStream_tbENKUlT_T0_E_clISt17integral_constantIbLb0EESY_EEDaST_SU_EUlST_E_NS1_11comp_targetILNS1_3genE10ELNS1_11target_archE1200ELNS1_3gpuE4ELNS1_3repE0EEENS1_30default_config_static_selectorELNS0_4arch9wavefront6targetE0EEEvT1_,"axG",@progbits,_ZN7rocprim17ROCPRIM_400000_NS6detail17trampoline_kernelINS0_14default_configENS1_27scan_by_key_config_selectorIxxEEZZNS1_16scan_by_key_implILNS1_25lookback_scan_determinismE0ELb0ES3_N6thrust23THRUST_200600_302600_NS6detail15normal_iteratorINS9_10device_ptrIxEEEESE_SE_xNS9_4plusIxEE19head_flag_predicatexEE10hipError_tPvRmT2_T3_T4_T5_mT6_T7_P12ihipStream_tbENKUlT_T0_E_clISt17integral_constantIbLb0EESY_EEDaST_SU_EUlST_E_NS1_11comp_targetILNS1_3genE10ELNS1_11target_archE1200ELNS1_3gpuE4ELNS1_3repE0EEENS1_30default_config_static_selectorELNS0_4arch9wavefront6targetE0EEEvT1_,comdat
	.protected	_ZN7rocprim17ROCPRIM_400000_NS6detail17trampoline_kernelINS0_14default_configENS1_27scan_by_key_config_selectorIxxEEZZNS1_16scan_by_key_implILNS1_25lookback_scan_determinismE0ELb0ES3_N6thrust23THRUST_200600_302600_NS6detail15normal_iteratorINS9_10device_ptrIxEEEESE_SE_xNS9_4plusIxEE19head_flag_predicatexEE10hipError_tPvRmT2_T3_T4_T5_mT6_T7_P12ihipStream_tbENKUlT_T0_E_clISt17integral_constantIbLb0EESY_EEDaST_SU_EUlST_E_NS1_11comp_targetILNS1_3genE10ELNS1_11target_archE1200ELNS1_3gpuE4ELNS1_3repE0EEENS1_30default_config_static_selectorELNS0_4arch9wavefront6targetE0EEEvT1_ ; -- Begin function _ZN7rocprim17ROCPRIM_400000_NS6detail17trampoline_kernelINS0_14default_configENS1_27scan_by_key_config_selectorIxxEEZZNS1_16scan_by_key_implILNS1_25lookback_scan_determinismE0ELb0ES3_N6thrust23THRUST_200600_302600_NS6detail15normal_iteratorINS9_10device_ptrIxEEEESE_SE_xNS9_4plusIxEE19head_flag_predicatexEE10hipError_tPvRmT2_T3_T4_T5_mT6_T7_P12ihipStream_tbENKUlT_T0_E_clISt17integral_constantIbLb0EESY_EEDaST_SU_EUlST_E_NS1_11comp_targetILNS1_3genE10ELNS1_11target_archE1200ELNS1_3gpuE4ELNS1_3repE0EEENS1_30default_config_static_selectorELNS0_4arch9wavefront6targetE0EEEvT1_
	.globl	_ZN7rocprim17ROCPRIM_400000_NS6detail17trampoline_kernelINS0_14default_configENS1_27scan_by_key_config_selectorIxxEEZZNS1_16scan_by_key_implILNS1_25lookback_scan_determinismE0ELb0ES3_N6thrust23THRUST_200600_302600_NS6detail15normal_iteratorINS9_10device_ptrIxEEEESE_SE_xNS9_4plusIxEE19head_flag_predicatexEE10hipError_tPvRmT2_T3_T4_T5_mT6_T7_P12ihipStream_tbENKUlT_T0_E_clISt17integral_constantIbLb0EESY_EEDaST_SU_EUlST_E_NS1_11comp_targetILNS1_3genE10ELNS1_11target_archE1200ELNS1_3gpuE4ELNS1_3repE0EEENS1_30default_config_static_selectorELNS0_4arch9wavefront6targetE0EEEvT1_
	.p2align	8
	.type	_ZN7rocprim17ROCPRIM_400000_NS6detail17trampoline_kernelINS0_14default_configENS1_27scan_by_key_config_selectorIxxEEZZNS1_16scan_by_key_implILNS1_25lookback_scan_determinismE0ELb0ES3_N6thrust23THRUST_200600_302600_NS6detail15normal_iteratorINS9_10device_ptrIxEEEESE_SE_xNS9_4plusIxEE19head_flag_predicatexEE10hipError_tPvRmT2_T3_T4_T5_mT6_T7_P12ihipStream_tbENKUlT_T0_E_clISt17integral_constantIbLb0EESY_EEDaST_SU_EUlST_E_NS1_11comp_targetILNS1_3genE10ELNS1_11target_archE1200ELNS1_3gpuE4ELNS1_3repE0EEENS1_30default_config_static_selectorELNS0_4arch9wavefront6targetE0EEEvT1_,@function
_ZN7rocprim17ROCPRIM_400000_NS6detail17trampoline_kernelINS0_14default_configENS1_27scan_by_key_config_selectorIxxEEZZNS1_16scan_by_key_implILNS1_25lookback_scan_determinismE0ELb0ES3_N6thrust23THRUST_200600_302600_NS6detail15normal_iteratorINS9_10device_ptrIxEEEESE_SE_xNS9_4plusIxEE19head_flag_predicatexEE10hipError_tPvRmT2_T3_T4_T5_mT6_T7_P12ihipStream_tbENKUlT_T0_E_clISt17integral_constantIbLb0EESY_EEDaST_SU_EUlST_E_NS1_11comp_targetILNS1_3genE10ELNS1_11target_archE1200ELNS1_3gpuE4ELNS1_3repE0EEENS1_30default_config_static_selectorELNS0_4arch9wavefront6targetE0EEEvT1_: ; @_ZN7rocprim17ROCPRIM_400000_NS6detail17trampoline_kernelINS0_14default_configENS1_27scan_by_key_config_selectorIxxEEZZNS1_16scan_by_key_implILNS1_25lookback_scan_determinismE0ELb0ES3_N6thrust23THRUST_200600_302600_NS6detail15normal_iteratorINS9_10device_ptrIxEEEESE_SE_xNS9_4plusIxEE19head_flag_predicatexEE10hipError_tPvRmT2_T3_T4_T5_mT6_T7_P12ihipStream_tbENKUlT_T0_E_clISt17integral_constantIbLb0EESY_EEDaST_SU_EUlST_E_NS1_11comp_targetILNS1_3genE10ELNS1_11target_archE1200ELNS1_3gpuE4ELNS1_3repE0EEENS1_30default_config_static_selectorELNS0_4arch9wavefront6targetE0EEEvT1_
; %bb.0:
	.section	.rodata,"a",@progbits
	.p2align	6, 0x0
	.amdhsa_kernel _ZN7rocprim17ROCPRIM_400000_NS6detail17trampoline_kernelINS0_14default_configENS1_27scan_by_key_config_selectorIxxEEZZNS1_16scan_by_key_implILNS1_25lookback_scan_determinismE0ELb0ES3_N6thrust23THRUST_200600_302600_NS6detail15normal_iteratorINS9_10device_ptrIxEEEESE_SE_xNS9_4plusIxEE19head_flag_predicatexEE10hipError_tPvRmT2_T3_T4_T5_mT6_T7_P12ihipStream_tbENKUlT_T0_E_clISt17integral_constantIbLb0EESY_EEDaST_SU_EUlST_E_NS1_11comp_targetILNS1_3genE10ELNS1_11target_archE1200ELNS1_3gpuE4ELNS1_3repE0EEENS1_30default_config_static_selectorELNS0_4arch9wavefront6targetE0EEEvT1_
		.amdhsa_group_segment_fixed_size 0
		.amdhsa_private_segment_fixed_size 0
		.amdhsa_kernarg_size 136
		.amdhsa_user_sgpr_count 6
		.amdhsa_user_sgpr_private_segment_buffer 1
		.amdhsa_user_sgpr_dispatch_ptr 0
		.amdhsa_user_sgpr_queue_ptr 0
		.amdhsa_user_sgpr_kernarg_segment_ptr 1
		.amdhsa_user_sgpr_dispatch_id 0
		.amdhsa_user_sgpr_flat_scratch_init 0
		.amdhsa_user_sgpr_private_segment_size 0
		.amdhsa_wavefront_size32 1
		.amdhsa_uses_dynamic_stack 0
		.amdhsa_system_sgpr_private_segment_wavefront_offset 0
		.amdhsa_system_sgpr_workgroup_id_x 1
		.amdhsa_system_sgpr_workgroup_id_y 0
		.amdhsa_system_sgpr_workgroup_id_z 0
		.amdhsa_system_sgpr_workgroup_info 0
		.amdhsa_system_vgpr_workitem_id 0
		.amdhsa_next_free_vgpr 1
		.amdhsa_next_free_sgpr 1
		.amdhsa_reserve_vcc 0
		.amdhsa_reserve_flat_scratch 0
		.amdhsa_float_round_mode_32 0
		.amdhsa_float_round_mode_16_64 0
		.amdhsa_float_denorm_mode_32 3
		.amdhsa_float_denorm_mode_16_64 3
		.amdhsa_dx10_clamp 1
		.amdhsa_ieee_mode 1
		.amdhsa_fp16_overflow 0
		.amdhsa_workgroup_processor_mode 1
		.amdhsa_memory_ordered 1
		.amdhsa_forward_progress 1
		.amdhsa_shared_vgpr_count 0
		.amdhsa_exception_fp_ieee_invalid_op 0
		.amdhsa_exception_fp_denorm_src 0
		.amdhsa_exception_fp_ieee_div_zero 0
		.amdhsa_exception_fp_ieee_overflow 0
		.amdhsa_exception_fp_ieee_underflow 0
		.amdhsa_exception_fp_ieee_inexact 0
		.amdhsa_exception_int_div_zero 0
	.end_amdhsa_kernel
	.section	.text._ZN7rocprim17ROCPRIM_400000_NS6detail17trampoline_kernelINS0_14default_configENS1_27scan_by_key_config_selectorIxxEEZZNS1_16scan_by_key_implILNS1_25lookback_scan_determinismE0ELb0ES3_N6thrust23THRUST_200600_302600_NS6detail15normal_iteratorINS9_10device_ptrIxEEEESE_SE_xNS9_4plusIxEE19head_flag_predicatexEE10hipError_tPvRmT2_T3_T4_T5_mT6_T7_P12ihipStream_tbENKUlT_T0_E_clISt17integral_constantIbLb0EESY_EEDaST_SU_EUlST_E_NS1_11comp_targetILNS1_3genE10ELNS1_11target_archE1200ELNS1_3gpuE4ELNS1_3repE0EEENS1_30default_config_static_selectorELNS0_4arch9wavefront6targetE0EEEvT1_,"axG",@progbits,_ZN7rocprim17ROCPRIM_400000_NS6detail17trampoline_kernelINS0_14default_configENS1_27scan_by_key_config_selectorIxxEEZZNS1_16scan_by_key_implILNS1_25lookback_scan_determinismE0ELb0ES3_N6thrust23THRUST_200600_302600_NS6detail15normal_iteratorINS9_10device_ptrIxEEEESE_SE_xNS9_4plusIxEE19head_flag_predicatexEE10hipError_tPvRmT2_T3_T4_T5_mT6_T7_P12ihipStream_tbENKUlT_T0_E_clISt17integral_constantIbLb0EESY_EEDaST_SU_EUlST_E_NS1_11comp_targetILNS1_3genE10ELNS1_11target_archE1200ELNS1_3gpuE4ELNS1_3repE0EEENS1_30default_config_static_selectorELNS0_4arch9wavefront6targetE0EEEvT1_,comdat
.Lfunc_end683:
	.size	_ZN7rocprim17ROCPRIM_400000_NS6detail17trampoline_kernelINS0_14default_configENS1_27scan_by_key_config_selectorIxxEEZZNS1_16scan_by_key_implILNS1_25lookback_scan_determinismE0ELb0ES3_N6thrust23THRUST_200600_302600_NS6detail15normal_iteratorINS9_10device_ptrIxEEEESE_SE_xNS9_4plusIxEE19head_flag_predicatexEE10hipError_tPvRmT2_T3_T4_T5_mT6_T7_P12ihipStream_tbENKUlT_T0_E_clISt17integral_constantIbLb0EESY_EEDaST_SU_EUlST_E_NS1_11comp_targetILNS1_3genE10ELNS1_11target_archE1200ELNS1_3gpuE4ELNS1_3repE0EEENS1_30default_config_static_selectorELNS0_4arch9wavefront6targetE0EEEvT1_, .Lfunc_end683-_ZN7rocprim17ROCPRIM_400000_NS6detail17trampoline_kernelINS0_14default_configENS1_27scan_by_key_config_selectorIxxEEZZNS1_16scan_by_key_implILNS1_25lookback_scan_determinismE0ELb0ES3_N6thrust23THRUST_200600_302600_NS6detail15normal_iteratorINS9_10device_ptrIxEEEESE_SE_xNS9_4plusIxEE19head_flag_predicatexEE10hipError_tPvRmT2_T3_T4_T5_mT6_T7_P12ihipStream_tbENKUlT_T0_E_clISt17integral_constantIbLb0EESY_EEDaST_SU_EUlST_E_NS1_11comp_targetILNS1_3genE10ELNS1_11target_archE1200ELNS1_3gpuE4ELNS1_3repE0EEENS1_30default_config_static_selectorELNS0_4arch9wavefront6targetE0EEEvT1_
                                        ; -- End function
	.set _ZN7rocprim17ROCPRIM_400000_NS6detail17trampoline_kernelINS0_14default_configENS1_27scan_by_key_config_selectorIxxEEZZNS1_16scan_by_key_implILNS1_25lookback_scan_determinismE0ELb0ES3_N6thrust23THRUST_200600_302600_NS6detail15normal_iteratorINS9_10device_ptrIxEEEESE_SE_xNS9_4plusIxEE19head_flag_predicatexEE10hipError_tPvRmT2_T3_T4_T5_mT6_T7_P12ihipStream_tbENKUlT_T0_E_clISt17integral_constantIbLb0EESY_EEDaST_SU_EUlST_E_NS1_11comp_targetILNS1_3genE10ELNS1_11target_archE1200ELNS1_3gpuE4ELNS1_3repE0EEENS1_30default_config_static_selectorELNS0_4arch9wavefront6targetE0EEEvT1_.num_vgpr, 0
	.set _ZN7rocprim17ROCPRIM_400000_NS6detail17trampoline_kernelINS0_14default_configENS1_27scan_by_key_config_selectorIxxEEZZNS1_16scan_by_key_implILNS1_25lookback_scan_determinismE0ELb0ES3_N6thrust23THRUST_200600_302600_NS6detail15normal_iteratorINS9_10device_ptrIxEEEESE_SE_xNS9_4plusIxEE19head_flag_predicatexEE10hipError_tPvRmT2_T3_T4_T5_mT6_T7_P12ihipStream_tbENKUlT_T0_E_clISt17integral_constantIbLb0EESY_EEDaST_SU_EUlST_E_NS1_11comp_targetILNS1_3genE10ELNS1_11target_archE1200ELNS1_3gpuE4ELNS1_3repE0EEENS1_30default_config_static_selectorELNS0_4arch9wavefront6targetE0EEEvT1_.num_agpr, 0
	.set _ZN7rocprim17ROCPRIM_400000_NS6detail17trampoline_kernelINS0_14default_configENS1_27scan_by_key_config_selectorIxxEEZZNS1_16scan_by_key_implILNS1_25lookback_scan_determinismE0ELb0ES3_N6thrust23THRUST_200600_302600_NS6detail15normal_iteratorINS9_10device_ptrIxEEEESE_SE_xNS9_4plusIxEE19head_flag_predicatexEE10hipError_tPvRmT2_T3_T4_T5_mT6_T7_P12ihipStream_tbENKUlT_T0_E_clISt17integral_constantIbLb0EESY_EEDaST_SU_EUlST_E_NS1_11comp_targetILNS1_3genE10ELNS1_11target_archE1200ELNS1_3gpuE4ELNS1_3repE0EEENS1_30default_config_static_selectorELNS0_4arch9wavefront6targetE0EEEvT1_.numbered_sgpr, 0
	.set _ZN7rocprim17ROCPRIM_400000_NS6detail17trampoline_kernelINS0_14default_configENS1_27scan_by_key_config_selectorIxxEEZZNS1_16scan_by_key_implILNS1_25lookback_scan_determinismE0ELb0ES3_N6thrust23THRUST_200600_302600_NS6detail15normal_iteratorINS9_10device_ptrIxEEEESE_SE_xNS9_4plusIxEE19head_flag_predicatexEE10hipError_tPvRmT2_T3_T4_T5_mT6_T7_P12ihipStream_tbENKUlT_T0_E_clISt17integral_constantIbLb0EESY_EEDaST_SU_EUlST_E_NS1_11comp_targetILNS1_3genE10ELNS1_11target_archE1200ELNS1_3gpuE4ELNS1_3repE0EEENS1_30default_config_static_selectorELNS0_4arch9wavefront6targetE0EEEvT1_.num_named_barrier, 0
	.set _ZN7rocprim17ROCPRIM_400000_NS6detail17trampoline_kernelINS0_14default_configENS1_27scan_by_key_config_selectorIxxEEZZNS1_16scan_by_key_implILNS1_25lookback_scan_determinismE0ELb0ES3_N6thrust23THRUST_200600_302600_NS6detail15normal_iteratorINS9_10device_ptrIxEEEESE_SE_xNS9_4plusIxEE19head_flag_predicatexEE10hipError_tPvRmT2_T3_T4_T5_mT6_T7_P12ihipStream_tbENKUlT_T0_E_clISt17integral_constantIbLb0EESY_EEDaST_SU_EUlST_E_NS1_11comp_targetILNS1_3genE10ELNS1_11target_archE1200ELNS1_3gpuE4ELNS1_3repE0EEENS1_30default_config_static_selectorELNS0_4arch9wavefront6targetE0EEEvT1_.private_seg_size, 0
	.set _ZN7rocprim17ROCPRIM_400000_NS6detail17trampoline_kernelINS0_14default_configENS1_27scan_by_key_config_selectorIxxEEZZNS1_16scan_by_key_implILNS1_25lookback_scan_determinismE0ELb0ES3_N6thrust23THRUST_200600_302600_NS6detail15normal_iteratorINS9_10device_ptrIxEEEESE_SE_xNS9_4plusIxEE19head_flag_predicatexEE10hipError_tPvRmT2_T3_T4_T5_mT6_T7_P12ihipStream_tbENKUlT_T0_E_clISt17integral_constantIbLb0EESY_EEDaST_SU_EUlST_E_NS1_11comp_targetILNS1_3genE10ELNS1_11target_archE1200ELNS1_3gpuE4ELNS1_3repE0EEENS1_30default_config_static_selectorELNS0_4arch9wavefront6targetE0EEEvT1_.uses_vcc, 0
	.set _ZN7rocprim17ROCPRIM_400000_NS6detail17trampoline_kernelINS0_14default_configENS1_27scan_by_key_config_selectorIxxEEZZNS1_16scan_by_key_implILNS1_25lookback_scan_determinismE0ELb0ES3_N6thrust23THRUST_200600_302600_NS6detail15normal_iteratorINS9_10device_ptrIxEEEESE_SE_xNS9_4plusIxEE19head_flag_predicatexEE10hipError_tPvRmT2_T3_T4_T5_mT6_T7_P12ihipStream_tbENKUlT_T0_E_clISt17integral_constantIbLb0EESY_EEDaST_SU_EUlST_E_NS1_11comp_targetILNS1_3genE10ELNS1_11target_archE1200ELNS1_3gpuE4ELNS1_3repE0EEENS1_30default_config_static_selectorELNS0_4arch9wavefront6targetE0EEEvT1_.uses_flat_scratch, 0
	.set _ZN7rocprim17ROCPRIM_400000_NS6detail17trampoline_kernelINS0_14default_configENS1_27scan_by_key_config_selectorIxxEEZZNS1_16scan_by_key_implILNS1_25lookback_scan_determinismE0ELb0ES3_N6thrust23THRUST_200600_302600_NS6detail15normal_iteratorINS9_10device_ptrIxEEEESE_SE_xNS9_4plusIxEE19head_flag_predicatexEE10hipError_tPvRmT2_T3_T4_T5_mT6_T7_P12ihipStream_tbENKUlT_T0_E_clISt17integral_constantIbLb0EESY_EEDaST_SU_EUlST_E_NS1_11comp_targetILNS1_3genE10ELNS1_11target_archE1200ELNS1_3gpuE4ELNS1_3repE0EEENS1_30default_config_static_selectorELNS0_4arch9wavefront6targetE0EEEvT1_.has_dyn_sized_stack, 0
	.set _ZN7rocprim17ROCPRIM_400000_NS6detail17trampoline_kernelINS0_14default_configENS1_27scan_by_key_config_selectorIxxEEZZNS1_16scan_by_key_implILNS1_25lookback_scan_determinismE0ELb0ES3_N6thrust23THRUST_200600_302600_NS6detail15normal_iteratorINS9_10device_ptrIxEEEESE_SE_xNS9_4plusIxEE19head_flag_predicatexEE10hipError_tPvRmT2_T3_T4_T5_mT6_T7_P12ihipStream_tbENKUlT_T0_E_clISt17integral_constantIbLb0EESY_EEDaST_SU_EUlST_E_NS1_11comp_targetILNS1_3genE10ELNS1_11target_archE1200ELNS1_3gpuE4ELNS1_3repE0EEENS1_30default_config_static_selectorELNS0_4arch9wavefront6targetE0EEEvT1_.has_recursion, 0
	.set _ZN7rocprim17ROCPRIM_400000_NS6detail17trampoline_kernelINS0_14default_configENS1_27scan_by_key_config_selectorIxxEEZZNS1_16scan_by_key_implILNS1_25lookback_scan_determinismE0ELb0ES3_N6thrust23THRUST_200600_302600_NS6detail15normal_iteratorINS9_10device_ptrIxEEEESE_SE_xNS9_4plusIxEE19head_flag_predicatexEE10hipError_tPvRmT2_T3_T4_T5_mT6_T7_P12ihipStream_tbENKUlT_T0_E_clISt17integral_constantIbLb0EESY_EEDaST_SU_EUlST_E_NS1_11comp_targetILNS1_3genE10ELNS1_11target_archE1200ELNS1_3gpuE4ELNS1_3repE0EEENS1_30default_config_static_selectorELNS0_4arch9wavefront6targetE0EEEvT1_.has_indirect_call, 0
	.section	.AMDGPU.csdata,"",@progbits
; Kernel info:
; codeLenInByte = 0
; TotalNumSgprs: 0
; NumVgprs: 0
; ScratchSize: 0
; MemoryBound: 0
; FloatMode: 240
; IeeeMode: 1
; LDSByteSize: 0 bytes/workgroup (compile time only)
; SGPRBlocks: 0
; VGPRBlocks: 0
; NumSGPRsForWavesPerEU: 1
; NumVGPRsForWavesPerEU: 1
; Occupancy: 16
; WaveLimiterHint : 0
; COMPUTE_PGM_RSRC2:SCRATCH_EN: 0
; COMPUTE_PGM_RSRC2:USER_SGPR: 6
; COMPUTE_PGM_RSRC2:TRAP_HANDLER: 0
; COMPUTE_PGM_RSRC2:TGID_X_EN: 1
; COMPUTE_PGM_RSRC2:TGID_Y_EN: 0
; COMPUTE_PGM_RSRC2:TGID_Z_EN: 0
; COMPUTE_PGM_RSRC2:TIDIG_COMP_CNT: 0
	.section	.text._ZN7rocprim17ROCPRIM_400000_NS6detail17trampoline_kernelINS0_14default_configENS1_27scan_by_key_config_selectorIxxEEZZNS1_16scan_by_key_implILNS1_25lookback_scan_determinismE0ELb0ES3_N6thrust23THRUST_200600_302600_NS6detail15normal_iteratorINS9_10device_ptrIxEEEESE_SE_xNS9_4plusIxEE19head_flag_predicatexEE10hipError_tPvRmT2_T3_T4_T5_mT6_T7_P12ihipStream_tbENKUlT_T0_E_clISt17integral_constantIbLb0EESY_EEDaST_SU_EUlST_E_NS1_11comp_targetILNS1_3genE9ELNS1_11target_archE1100ELNS1_3gpuE3ELNS1_3repE0EEENS1_30default_config_static_selectorELNS0_4arch9wavefront6targetE0EEEvT1_,"axG",@progbits,_ZN7rocprim17ROCPRIM_400000_NS6detail17trampoline_kernelINS0_14default_configENS1_27scan_by_key_config_selectorIxxEEZZNS1_16scan_by_key_implILNS1_25lookback_scan_determinismE0ELb0ES3_N6thrust23THRUST_200600_302600_NS6detail15normal_iteratorINS9_10device_ptrIxEEEESE_SE_xNS9_4plusIxEE19head_flag_predicatexEE10hipError_tPvRmT2_T3_T4_T5_mT6_T7_P12ihipStream_tbENKUlT_T0_E_clISt17integral_constantIbLb0EESY_EEDaST_SU_EUlST_E_NS1_11comp_targetILNS1_3genE9ELNS1_11target_archE1100ELNS1_3gpuE3ELNS1_3repE0EEENS1_30default_config_static_selectorELNS0_4arch9wavefront6targetE0EEEvT1_,comdat
	.protected	_ZN7rocprim17ROCPRIM_400000_NS6detail17trampoline_kernelINS0_14default_configENS1_27scan_by_key_config_selectorIxxEEZZNS1_16scan_by_key_implILNS1_25lookback_scan_determinismE0ELb0ES3_N6thrust23THRUST_200600_302600_NS6detail15normal_iteratorINS9_10device_ptrIxEEEESE_SE_xNS9_4plusIxEE19head_flag_predicatexEE10hipError_tPvRmT2_T3_T4_T5_mT6_T7_P12ihipStream_tbENKUlT_T0_E_clISt17integral_constantIbLb0EESY_EEDaST_SU_EUlST_E_NS1_11comp_targetILNS1_3genE9ELNS1_11target_archE1100ELNS1_3gpuE3ELNS1_3repE0EEENS1_30default_config_static_selectorELNS0_4arch9wavefront6targetE0EEEvT1_ ; -- Begin function _ZN7rocprim17ROCPRIM_400000_NS6detail17trampoline_kernelINS0_14default_configENS1_27scan_by_key_config_selectorIxxEEZZNS1_16scan_by_key_implILNS1_25lookback_scan_determinismE0ELb0ES3_N6thrust23THRUST_200600_302600_NS6detail15normal_iteratorINS9_10device_ptrIxEEEESE_SE_xNS9_4plusIxEE19head_flag_predicatexEE10hipError_tPvRmT2_T3_T4_T5_mT6_T7_P12ihipStream_tbENKUlT_T0_E_clISt17integral_constantIbLb0EESY_EEDaST_SU_EUlST_E_NS1_11comp_targetILNS1_3genE9ELNS1_11target_archE1100ELNS1_3gpuE3ELNS1_3repE0EEENS1_30default_config_static_selectorELNS0_4arch9wavefront6targetE0EEEvT1_
	.globl	_ZN7rocprim17ROCPRIM_400000_NS6detail17trampoline_kernelINS0_14default_configENS1_27scan_by_key_config_selectorIxxEEZZNS1_16scan_by_key_implILNS1_25lookback_scan_determinismE0ELb0ES3_N6thrust23THRUST_200600_302600_NS6detail15normal_iteratorINS9_10device_ptrIxEEEESE_SE_xNS9_4plusIxEE19head_flag_predicatexEE10hipError_tPvRmT2_T3_T4_T5_mT6_T7_P12ihipStream_tbENKUlT_T0_E_clISt17integral_constantIbLb0EESY_EEDaST_SU_EUlST_E_NS1_11comp_targetILNS1_3genE9ELNS1_11target_archE1100ELNS1_3gpuE3ELNS1_3repE0EEENS1_30default_config_static_selectorELNS0_4arch9wavefront6targetE0EEEvT1_
	.p2align	8
	.type	_ZN7rocprim17ROCPRIM_400000_NS6detail17trampoline_kernelINS0_14default_configENS1_27scan_by_key_config_selectorIxxEEZZNS1_16scan_by_key_implILNS1_25lookback_scan_determinismE0ELb0ES3_N6thrust23THRUST_200600_302600_NS6detail15normal_iteratorINS9_10device_ptrIxEEEESE_SE_xNS9_4plusIxEE19head_flag_predicatexEE10hipError_tPvRmT2_T3_T4_T5_mT6_T7_P12ihipStream_tbENKUlT_T0_E_clISt17integral_constantIbLb0EESY_EEDaST_SU_EUlST_E_NS1_11comp_targetILNS1_3genE9ELNS1_11target_archE1100ELNS1_3gpuE3ELNS1_3repE0EEENS1_30default_config_static_selectorELNS0_4arch9wavefront6targetE0EEEvT1_,@function
_ZN7rocprim17ROCPRIM_400000_NS6detail17trampoline_kernelINS0_14default_configENS1_27scan_by_key_config_selectorIxxEEZZNS1_16scan_by_key_implILNS1_25lookback_scan_determinismE0ELb0ES3_N6thrust23THRUST_200600_302600_NS6detail15normal_iteratorINS9_10device_ptrIxEEEESE_SE_xNS9_4plusIxEE19head_flag_predicatexEE10hipError_tPvRmT2_T3_T4_T5_mT6_T7_P12ihipStream_tbENKUlT_T0_E_clISt17integral_constantIbLb0EESY_EEDaST_SU_EUlST_E_NS1_11comp_targetILNS1_3genE9ELNS1_11target_archE1100ELNS1_3gpuE3ELNS1_3repE0EEENS1_30default_config_static_selectorELNS0_4arch9wavefront6targetE0EEEvT1_: ; @_ZN7rocprim17ROCPRIM_400000_NS6detail17trampoline_kernelINS0_14default_configENS1_27scan_by_key_config_selectorIxxEEZZNS1_16scan_by_key_implILNS1_25lookback_scan_determinismE0ELb0ES3_N6thrust23THRUST_200600_302600_NS6detail15normal_iteratorINS9_10device_ptrIxEEEESE_SE_xNS9_4plusIxEE19head_flag_predicatexEE10hipError_tPvRmT2_T3_T4_T5_mT6_T7_P12ihipStream_tbENKUlT_T0_E_clISt17integral_constantIbLb0EESY_EEDaST_SU_EUlST_E_NS1_11comp_targetILNS1_3genE9ELNS1_11target_archE1100ELNS1_3gpuE3ELNS1_3repE0EEENS1_30default_config_static_selectorELNS0_4arch9wavefront6targetE0EEEvT1_
; %bb.0:
	.section	.rodata,"a",@progbits
	.p2align	6, 0x0
	.amdhsa_kernel _ZN7rocprim17ROCPRIM_400000_NS6detail17trampoline_kernelINS0_14default_configENS1_27scan_by_key_config_selectorIxxEEZZNS1_16scan_by_key_implILNS1_25lookback_scan_determinismE0ELb0ES3_N6thrust23THRUST_200600_302600_NS6detail15normal_iteratorINS9_10device_ptrIxEEEESE_SE_xNS9_4plusIxEE19head_flag_predicatexEE10hipError_tPvRmT2_T3_T4_T5_mT6_T7_P12ihipStream_tbENKUlT_T0_E_clISt17integral_constantIbLb0EESY_EEDaST_SU_EUlST_E_NS1_11comp_targetILNS1_3genE9ELNS1_11target_archE1100ELNS1_3gpuE3ELNS1_3repE0EEENS1_30default_config_static_selectorELNS0_4arch9wavefront6targetE0EEEvT1_
		.amdhsa_group_segment_fixed_size 0
		.amdhsa_private_segment_fixed_size 0
		.amdhsa_kernarg_size 136
		.amdhsa_user_sgpr_count 6
		.amdhsa_user_sgpr_private_segment_buffer 1
		.amdhsa_user_sgpr_dispatch_ptr 0
		.amdhsa_user_sgpr_queue_ptr 0
		.amdhsa_user_sgpr_kernarg_segment_ptr 1
		.amdhsa_user_sgpr_dispatch_id 0
		.amdhsa_user_sgpr_flat_scratch_init 0
		.amdhsa_user_sgpr_private_segment_size 0
		.amdhsa_wavefront_size32 1
		.amdhsa_uses_dynamic_stack 0
		.amdhsa_system_sgpr_private_segment_wavefront_offset 0
		.amdhsa_system_sgpr_workgroup_id_x 1
		.amdhsa_system_sgpr_workgroup_id_y 0
		.amdhsa_system_sgpr_workgroup_id_z 0
		.amdhsa_system_sgpr_workgroup_info 0
		.amdhsa_system_vgpr_workitem_id 0
		.amdhsa_next_free_vgpr 1
		.amdhsa_next_free_sgpr 1
		.amdhsa_reserve_vcc 0
		.amdhsa_reserve_flat_scratch 0
		.amdhsa_float_round_mode_32 0
		.amdhsa_float_round_mode_16_64 0
		.amdhsa_float_denorm_mode_32 3
		.amdhsa_float_denorm_mode_16_64 3
		.amdhsa_dx10_clamp 1
		.amdhsa_ieee_mode 1
		.amdhsa_fp16_overflow 0
		.amdhsa_workgroup_processor_mode 1
		.amdhsa_memory_ordered 1
		.amdhsa_forward_progress 1
		.amdhsa_shared_vgpr_count 0
		.amdhsa_exception_fp_ieee_invalid_op 0
		.amdhsa_exception_fp_denorm_src 0
		.amdhsa_exception_fp_ieee_div_zero 0
		.amdhsa_exception_fp_ieee_overflow 0
		.amdhsa_exception_fp_ieee_underflow 0
		.amdhsa_exception_fp_ieee_inexact 0
		.amdhsa_exception_int_div_zero 0
	.end_amdhsa_kernel
	.section	.text._ZN7rocprim17ROCPRIM_400000_NS6detail17trampoline_kernelINS0_14default_configENS1_27scan_by_key_config_selectorIxxEEZZNS1_16scan_by_key_implILNS1_25lookback_scan_determinismE0ELb0ES3_N6thrust23THRUST_200600_302600_NS6detail15normal_iteratorINS9_10device_ptrIxEEEESE_SE_xNS9_4plusIxEE19head_flag_predicatexEE10hipError_tPvRmT2_T3_T4_T5_mT6_T7_P12ihipStream_tbENKUlT_T0_E_clISt17integral_constantIbLb0EESY_EEDaST_SU_EUlST_E_NS1_11comp_targetILNS1_3genE9ELNS1_11target_archE1100ELNS1_3gpuE3ELNS1_3repE0EEENS1_30default_config_static_selectorELNS0_4arch9wavefront6targetE0EEEvT1_,"axG",@progbits,_ZN7rocprim17ROCPRIM_400000_NS6detail17trampoline_kernelINS0_14default_configENS1_27scan_by_key_config_selectorIxxEEZZNS1_16scan_by_key_implILNS1_25lookback_scan_determinismE0ELb0ES3_N6thrust23THRUST_200600_302600_NS6detail15normal_iteratorINS9_10device_ptrIxEEEESE_SE_xNS9_4plusIxEE19head_flag_predicatexEE10hipError_tPvRmT2_T3_T4_T5_mT6_T7_P12ihipStream_tbENKUlT_T0_E_clISt17integral_constantIbLb0EESY_EEDaST_SU_EUlST_E_NS1_11comp_targetILNS1_3genE9ELNS1_11target_archE1100ELNS1_3gpuE3ELNS1_3repE0EEENS1_30default_config_static_selectorELNS0_4arch9wavefront6targetE0EEEvT1_,comdat
.Lfunc_end684:
	.size	_ZN7rocprim17ROCPRIM_400000_NS6detail17trampoline_kernelINS0_14default_configENS1_27scan_by_key_config_selectorIxxEEZZNS1_16scan_by_key_implILNS1_25lookback_scan_determinismE0ELb0ES3_N6thrust23THRUST_200600_302600_NS6detail15normal_iteratorINS9_10device_ptrIxEEEESE_SE_xNS9_4plusIxEE19head_flag_predicatexEE10hipError_tPvRmT2_T3_T4_T5_mT6_T7_P12ihipStream_tbENKUlT_T0_E_clISt17integral_constantIbLb0EESY_EEDaST_SU_EUlST_E_NS1_11comp_targetILNS1_3genE9ELNS1_11target_archE1100ELNS1_3gpuE3ELNS1_3repE0EEENS1_30default_config_static_selectorELNS0_4arch9wavefront6targetE0EEEvT1_, .Lfunc_end684-_ZN7rocprim17ROCPRIM_400000_NS6detail17trampoline_kernelINS0_14default_configENS1_27scan_by_key_config_selectorIxxEEZZNS1_16scan_by_key_implILNS1_25lookback_scan_determinismE0ELb0ES3_N6thrust23THRUST_200600_302600_NS6detail15normal_iteratorINS9_10device_ptrIxEEEESE_SE_xNS9_4plusIxEE19head_flag_predicatexEE10hipError_tPvRmT2_T3_T4_T5_mT6_T7_P12ihipStream_tbENKUlT_T0_E_clISt17integral_constantIbLb0EESY_EEDaST_SU_EUlST_E_NS1_11comp_targetILNS1_3genE9ELNS1_11target_archE1100ELNS1_3gpuE3ELNS1_3repE0EEENS1_30default_config_static_selectorELNS0_4arch9wavefront6targetE0EEEvT1_
                                        ; -- End function
	.set _ZN7rocprim17ROCPRIM_400000_NS6detail17trampoline_kernelINS0_14default_configENS1_27scan_by_key_config_selectorIxxEEZZNS1_16scan_by_key_implILNS1_25lookback_scan_determinismE0ELb0ES3_N6thrust23THRUST_200600_302600_NS6detail15normal_iteratorINS9_10device_ptrIxEEEESE_SE_xNS9_4plusIxEE19head_flag_predicatexEE10hipError_tPvRmT2_T3_T4_T5_mT6_T7_P12ihipStream_tbENKUlT_T0_E_clISt17integral_constantIbLb0EESY_EEDaST_SU_EUlST_E_NS1_11comp_targetILNS1_3genE9ELNS1_11target_archE1100ELNS1_3gpuE3ELNS1_3repE0EEENS1_30default_config_static_selectorELNS0_4arch9wavefront6targetE0EEEvT1_.num_vgpr, 0
	.set _ZN7rocprim17ROCPRIM_400000_NS6detail17trampoline_kernelINS0_14default_configENS1_27scan_by_key_config_selectorIxxEEZZNS1_16scan_by_key_implILNS1_25lookback_scan_determinismE0ELb0ES3_N6thrust23THRUST_200600_302600_NS6detail15normal_iteratorINS9_10device_ptrIxEEEESE_SE_xNS9_4plusIxEE19head_flag_predicatexEE10hipError_tPvRmT2_T3_T4_T5_mT6_T7_P12ihipStream_tbENKUlT_T0_E_clISt17integral_constantIbLb0EESY_EEDaST_SU_EUlST_E_NS1_11comp_targetILNS1_3genE9ELNS1_11target_archE1100ELNS1_3gpuE3ELNS1_3repE0EEENS1_30default_config_static_selectorELNS0_4arch9wavefront6targetE0EEEvT1_.num_agpr, 0
	.set _ZN7rocprim17ROCPRIM_400000_NS6detail17trampoline_kernelINS0_14default_configENS1_27scan_by_key_config_selectorIxxEEZZNS1_16scan_by_key_implILNS1_25lookback_scan_determinismE0ELb0ES3_N6thrust23THRUST_200600_302600_NS6detail15normal_iteratorINS9_10device_ptrIxEEEESE_SE_xNS9_4plusIxEE19head_flag_predicatexEE10hipError_tPvRmT2_T3_T4_T5_mT6_T7_P12ihipStream_tbENKUlT_T0_E_clISt17integral_constantIbLb0EESY_EEDaST_SU_EUlST_E_NS1_11comp_targetILNS1_3genE9ELNS1_11target_archE1100ELNS1_3gpuE3ELNS1_3repE0EEENS1_30default_config_static_selectorELNS0_4arch9wavefront6targetE0EEEvT1_.numbered_sgpr, 0
	.set _ZN7rocprim17ROCPRIM_400000_NS6detail17trampoline_kernelINS0_14default_configENS1_27scan_by_key_config_selectorIxxEEZZNS1_16scan_by_key_implILNS1_25lookback_scan_determinismE0ELb0ES3_N6thrust23THRUST_200600_302600_NS6detail15normal_iteratorINS9_10device_ptrIxEEEESE_SE_xNS9_4plusIxEE19head_flag_predicatexEE10hipError_tPvRmT2_T3_T4_T5_mT6_T7_P12ihipStream_tbENKUlT_T0_E_clISt17integral_constantIbLb0EESY_EEDaST_SU_EUlST_E_NS1_11comp_targetILNS1_3genE9ELNS1_11target_archE1100ELNS1_3gpuE3ELNS1_3repE0EEENS1_30default_config_static_selectorELNS0_4arch9wavefront6targetE0EEEvT1_.num_named_barrier, 0
	.set _ZN7rocprim17ROCPRIM_400000_NS6detail17trampoline_kernelINS0_14default_configENS1_27scan_by_key_config_selectorIxxEEZZNS1_16scan_by_key_implILNS1_25lookback_scan_determinismE0ELb0ES3_N6thrust23THRUST_200600_302600_NS6detail15normal_iteratorINS9_10device_ptrIxEEEESE_SE_xNS9_4plusIxEE19head_flag_predicatexEE10hipError_tPvRmT2_T3_T4_T5_mT6_T7_P12ihipStream_tbENKUlT_T0_E_clISt17integral_constantIbLb0EESY_EEDaST_SU_EUlST_E_NS1_11comp_targetILNS1_3genE9ELNS1_11target_archE1100ELNS1_3gpuE3ELNS1_3repE0EEENS1_30default_config_static_selectorELNS0_4arch9wavefront6targetE0EEEvT1_.private_seg_size, 0
	.set _ZN7rocprim17ROCPRIM_400000_NS6detail17trampoline_kernelINS0_14default_configENS1_27scan_by_key_config_selectorIxxEEZZNS1_16scan_by_key_implILNS1_25lookback_scan_determinismE0ELb0ES3_N6thrust23THRUST_200600_302600_NS6detail15normal_iteratorINS9_10device_ptrIxEEEESE_SE_xNS9_4plusIxEE19head_flag_predicatexEE10hipError_tPvRmT2_T3_T4_T5_mT6_T7_P12ihipStream_tbENKUlT_T0_E_clISt17integral_constantIbLb0EESY_EEDaST_SU_EUlST_E_NS1_11comp_targetILNS1_3genE9ELNS1_11target_archE1100ELNS1_3gpuE3ELNS1_3repE0EEENS1_30default_config_static_selectorELNS0_4arch9wavefront6targetE0EEEvT1_.uses_vcc, 0
	.set _ZN7rocprim17ROCPRIM_400000_NS6detail17trampoline_kernelINS0_14default_configENS1_27scan_by_key_config_selectorIxxEEZZNS1_16scan_by_key_implILNS1_25lookback_scan_determinismE0ELb0ES3_N6thrust23THRUST_200600_302600_NS6detail15normal_iteratorINS9_10device_ptrIxEEEESE_SE_xNS9_4plusIxEE19head_flag_predicatexEE10hipError_tPvRmT2_T3_T4_T5_mT6_T7_P12ihipStream_tbENKUlT_T0_E_clISt17integral_constantIbLb0EESY_EEDaST_SU_EUlST_E_NS1_11comp_targetILNS1_3genE9ELNS1_11target_archE1100ELNS1_3gpuE3ELNS1_3repE0EEENS1_30default_config_static_selectorELNS0_4arch9wavefront6targetE0EEEvT1_.uses_flat_scratch, 0
	.set _ZN7rocprim17ROCPRIM_400000_NS6detail17trampoline_kernelINS0_14default_configENS1_27scan_by_key_config_selectorIxxEEZZNS1_16scan_by_key_implILNS1_25lookback_scan_determinismE0ELb0ES3_N6thrust23THRUST_200600_302600_NS6detail15normal_iteratorINS9_10device_ptrIxEEEESE_SE_xNS9_4plusIxEE19head_flag_predicatexEE10hipError_tPvRmT2_T3_T4_T5_mT6_T7_P12ihipStream_tbENKUlT_T0_E_clISt17integral_constantIbLb0EESY_EEDaST_SU_EUlST_E_NS1_11comp_targetILNS1_3genE9ELNS1_11target_archE1100ELNS1_3gpuE3ELNS1_3repE0EEENS1_30default_config_static_selectorELNS0_4arch9wavefront6targetE0EEEvT1_.has_dyn_sized_stack, 0
	.set _ZN7rocprim17ROCPRIM_400000_NS6detail17trampoline_kernelINS0_14default_configENS1_27scan_by_key_config_selectorIxxEEZZNS1_16scan_by_key_implILNS1_25lookback_scan_determinismE0ELb0ES3_N6thrust23THRUST_200600_302600_NS6detail15normal_iteratorINS9_10device_ptrIxEEEESE_SE_xNS9_4plusIxEE19head_flag_predicatexEE10hipError_tPvRmT2_T3_T4_T5_mT6_T7_P12ihipStream_tbENKUlT_T0_E_clISt17integral_constantIbLb0EESY_EEDaST_SU_EUlST_E_NS1_11comp_targetILNS1_3genE9ELNS1_11target_archE1100ELNS1_3gpuE3ELNS1_3repE0EEENS1_30default_config_static_selectorELNS0_4arch9wavefront6targetE0EEEvT1_.has_recursion, 0
	.set _ZN7rocprim17ROCPRIM_400000_NS6detail17trampoline_kernelINS0_14default_configENS1_27scan_by_key_config_selectorIxxEEZZNS1_16scan_by_key_implILNS1_25lookback_scan_determinismE0ELb0ES3_N6thrust23THRUST_200600_302600_NS6detail15normal_iteratorINS9_10device_ptrIxEEEESE_SE_xNS9_4plusIxEE19head_flag_predicatexEE10hipError_tPvRmT2_T3_T4_T5_mT6_T7_P12ihipStream_tbENKUlT_T0_E_clISt17integral_constantIbLb0EESY_EEDaST_SU_EUlST_E_NS1_11comp_targetILNS1_3genE9ELNS1_11target_archE1100ELNS1_3gpuE3ELNS1_3repE0EEENS1_30default_config_static_selectorELNS0_4arch9wavefront6targetE0EEEvT1_.has_indirect_call, 0
	.section	.AMDGPU.csdata,"",@progbits
; Kernel info:
; codeLenInByte = 0
; TotalNumSgprs: 0
; NumVgprs: 0
; ScratchSize: 0
; MemoryBound: 0
; FloatMode: 240
; IeeeMode: 1
; LDSByteSize: 0 bytes/workgroup (compile time only)
; SGPRBlocks: 0
; VGPRBlocks: 0
; NumSGPRsForWavesPerEU: 1
; NumVGPRsForWavesPerEU: 1
; Occupancy: 16
; WaveLimiterHint : 0
; COMPUTE_PGM_RSRC2:SCRATCH_EN: 0
; COMPUTE_PGM_RSRC2:USER_SGPR: 6
; COMPUTE_PGM_RSRC2:TRAP_HANDLER: 0
; COMPUTE_PGM_RSRC2:TGID_X_EN: 1
; COMPUTE_PGM_RSRC2:TGID_Y_EN: 0
; COMPUTE_PGM_RSRC2:TGID_Z_EN: 0
; COMPUTE_PGM_RSRC2:TIDIG_COMP_CNT: 0
	.section	.text._ZN7rocprim17ROCPRIM_400000_NS6detail17trampoline_kernelINS0_14default_configENS1_27scan_by_key_config_selectorIxxEEZZNS1_16scan_by_key_implILNS1_25lookback_scan_determinismE0ELb0ES3_N6thrust23THRUST_200600_302600_NS6detail15normal_iteratorINS9_10device_ptrIxEEEESE_SE_xNS9_4plusIxEE19head_flag_predicatexEE10hipError_tPvRmT2_T3_T4_T5_mT6_T7_P12ihipStream_tbENKUlT_T0_E_clISt17integral_constantIbLb0EESY_EEDaST_SU_EUlST_E_NS1_11comp_targetILNS1_3genE8ELNS1_11target_archE1030ELNS1_3gpuE2ELNS1_3repE0EEENS1_30default_config_static_selectorELNS0_4arch9wavefront6targetE0EEEvT1_,"axG",@progbits,_ZN7rocprim17ROCPRIM_400000_NS6detail17trampoline_kernelINS0_14default_configENS1_27scan_by_key_config_selectorIxxEEZZNS1_16scan_by_key_implILNS1_25lookback_scan_determinismE0ELb0ES3_N6thrust23THRUST_200600_302600_NS6detail15normal_iteratorINS9_10device_ptrIxEEEESE_SE_xNS9_4plusIxEE19head_flag_predicatexEE10hipError_tPvRmT2_T3_T4_T5_mT6_T7_P12ihipStream_tbENKUlT_T0_E_clISt17integral_constantIbLb0EESY_EEDaST_SU_EUlST_E_NS1_11comp_targetILNS1_3genE8ELNS1_11target_archE1030ELNS1_3gpuE2ELNS1_3repE0EEENS1_30default_config_static_selectorELNS0_4arch9wavefront6targetE0EEEvT1_,comdat
	.protected	_ZN7rocprim17ROCPRIM_400000_NS6detail17trampoline_kernelINS0_14default_configENS1_27scan_by_key_config_selectorIxxEEZZNS1_16scan_by_key_implILNS1_25lookback_scan_determinismE0ELb0ES3_N6thrust23THRUST_200600_302600_NS6detail15normal_iteratorINS9_10device_ptrIxEEEESE_SE_xNS9_4plusIxEE19head_flag_predicatexEE10hipError_tPvRmT2_T3_T4_T5_mT6_T7_P12ihipStream_tbENKUlT_T0_E_clISt17integral_constantIbLb0EESY_EEDaST_SU_EUlST_E_NS1_11comp_targetILNS1_3genE8ELNS1_11target_archE1030ELNS1_3gpuE2ELNS1_3repE0EEENS1_30default_config_static_selectorELNS0_4arch9wavefront6targetE0EEEvT1_ ; -- Begin function _ZN7rocprim17ROCPRIM_400000_NS6detail17trampoline_kernelINS0_14default_configENS1_27scan_by_key_config_selectorIxxEEZZNS1_16scan_by_key_implILNS1_25lookback_scan_determinismE0ELb0ES3_N6thrust23THRUST_200600_302600_NS6detail15normal_iteratorINS9_10device_ptrIxEEEESE_SE_xNS9_4plusIxEE19head_flag_predicatexEE10hipError_tPvRmT2_T3_T4_T5_mT6_T7_P12ihipStream_tbENKUlT_T0_E_clISt17integral_constantIbLb0EESY_EEDaST_SU_EUlST_E_NS1_11comp_targetILNS1_3genE8ELNS1_11target_archE1030ELNS1_3gpuE2ELNS1_3repE0EEENS1_30default_config_static_selectorELNS0_4arch9wavefront6targetE0EEEvT1_
	.globl	_ZN7rocprim17ROCPRIM_400000_NS6detail17trampoline_kernelINS0_14default_configENS1_27scan_by_key_config_selectorIxxEEZZNS1_16scan_by_key_implILNS1_25lookback_scan_determinismE0ELb0ES3_N6thrust23THRUST_200600_302600_NS6detail15normal_iteratorINS9_10device_ptrIxEEEESE_SE_xNS9_4plusIxEE19head_flag_predicatexEE10hipError_tPvRmT2_T3_T4_T5_mT6_T7_P12ihipStream_tbENKUlT_T0_E_clISt17integral_constantIbLb0EESY_EEDaST_SU_EUlST_E_NS1_11comp_targetILNS1_3genE8ELNS1_11target_archE1030ELNS1_3gpuE2ELNS1_3repE0EEENS1_30default_config_static_selectorELNS0_4arch9wavefront6targetE0EEEvT1_
	.p2align	8
	.type	_ZN7rocprim17ROCPRIM_400000_NS6detail17trampoline_kernelINS0_14default_configENS1_27scan_by_key_config_selectorIxxEEZZNS1_16scan_by_key_implILNS1_25lookback_scan_determinismE0ELb0ES3_N6thrust23THRUST_200600_302600_NS6detail15normal_iteratorINS9_10device_ptrIxEEEESE_SE_xNS9_4plusIxEE19head_flag_predicatexEE10hipError_tPvRmT2_T3_T4_T5_mT6_T7_P12ihipStream_tbENKUlT_T0_E_clISt17integral_constantIbLb0EESY_EEDaST_SU_EUlST_E_NS1_11comp_targetILNS1_3genE8ELNS1_11target_archE1030ELNS1_3gpuE2ELNS1_3repE0EEENS1_30default_config_static_selectorELNS0_4arch9wavefront6targetE0EEEvT1_,@function
_ZN7rocprim17ROCPRIM_400000_NS6detail17trampoline_kernelINS0_14default_configENS1_27scan_by_key_config_selectorIxxEEZZNS1_16scan_by_key_implILNS1_25lookback_scan_determinismE0ELb0ES3_N6thrust23THRUST_200600_302600_NS6detail15normal_iteratorINS9_10device_ptrIxEEEESE_SE_xNS9_4plusIxEE19head_flag_predicatexEE10hipError_tPvRmT2_T3_T4_T5_mT6_T7_P12ihipStream_tbENKUlT_T0_E_clISt17integral_constantIbLb0EESY_EEDaST_SU_EUlST_E_NS1_11comp_targetILNS1_3genE8ELNS1_11target_archE1030ELNS1_3gpuE2ELNS1_3repE0EEENS1_30default_config_static_selectorELNS0_4arch9wavefront6targetE0EEEvT1_: ; @_ZN7rocprim17ROCPRIM_400000_NS6detail17trampoline_kernelINS0_14default_configENS1_27scan_by_key_config_selectorIxxEEZZNS1_16scan_by_key_implILNS1_25lookback_scan_determinismE0ELb0ES3_N6thrust23THRUST_200600_302600_NS6detail15normal_iteratorINS9_10device_ptrIxEEEESE_SE_xNS9_4plusIxEE19head_flag_predicatexEE10hipError_tPvRmT2_T3_T4_T5_mT6_T7_P12ihipStream_tbENKUlT_T0_E_clISt17integral_constantIbLb0EESY_EEDaST_SU_EUlST_E_NS1_11comp_targetILNS1_3genE8ELNS1_11target_archE1030ELNS1_3gpuE2ELNS1_3repE0EEENS1_30default_config_static_selectorELNS0_4arch9wavefront6targetE0EEEvT1_
; %bb.0:
	s_clause 0x4
	s_load_dwordx8 s[12:19], s[4:5], 0x0
	s_load_dwordx2 s[38:39], s[4:5], 0x50
	s_load_dword s2, s[4:5], 0x58
	s_load_dwordx4 s[28:31], s[4:5], 0x60
	s_load_dwordx8 s[20:27], s[4:5], 0x30
	s_mov_b32 s1, 0
	s_mul_i32 s0, s6, 0xd00
	s_waitcnt lgkmcnt(0)
	s_barrier
	buffer_gl0_inv
	s_lshl_b64 s[34:35], s[14:15], 3
	s_add_u32 s5, s12, s34
	s_addc_u32 s7, s13, s35
	s_mul_i32 s3, s39, s2
	s_mul_hi_u32 s4, s38, s2
	s_add_u32 s8, s16, s34
	s_addc_u32 s9, s17, s35
	s_lshl_b64 s[36:37], s[0:1], 3
	s_add_i32 s4, s4, s3
	s_add_u32 s14, s5, s36
	s_addc_u32 s15, s7, s37
	s_mul_i32 s0, s38, s2
	s_add_u32 s13, s8, s36
	s_addc_u32 s16, s9, s37
	s_add_u32 s2, s0, s6
	s_addc_u32 s3, s4, 0
	s_add_u32 s4, s28, -1
	s_addc_u32 s5, s29, -1
	s_mul_i32 s27, s4, 0xfffff300
	v_cmp_ge_u64_e64 s17, s[2:3], s[4:5]
	s_and_b32 vcc_lo, exec_lo, s17
	s_cbranch_vccz .LBB685_39
; %bb.1:
	v_mov_b32_e32 v1, s14
	v_mov_b32_e32 v2, s15
	s_add_i32 s33, s27, s26
	v_cmp_gt_u32_e32 vcc_lo, s33, v0
	flat_load_dwordx2 v[1:2], v[1:2]
	s_waitcnt vmcnt(0) lgkmcnt(0)
	v_mov_b32_e32 v4, v2
	v_mov_b32_e32 v3, v1
	s_and_saveexec_b32 s0, vcc_lo
	s_cbranch_execz .LBB685_3
; %bb.2:
	v_lshlrev_b32_e32 v3, 3, v0
	v_add_co_u32 v3, s1, s14, v3
	v_add_co_ci_u32_e64 v4, null, s15, 0, s1
	flat_load_dwordx2 v[3:4], v[3:4]
.LBB685_3:
	s_or_b32 exec_lo, exec_lo, s0
	v_or_b32_e32 v5, 0x100, v0
	v_cmp_gt_u32_e64 s0, s33, v5
	v_lshlrev_b32_e32 v27, 3, v5
	v_mov_b32_e32 v6, v2
	v_mov_b32_e32 v5, v1
	s_and_saveexec_b32 s1, s0
	s_cbranch_execz .LBB685_5
; %bb.4:
	v_add_co_u32 v5, s2, s14, v27
	v_add_co_ci_u32_e64 v6, null, s15, 0, s2
	flat_load_dwordx2 v[5:6], v[5:6]
.LBB685_5:
	s_or_b32 exec_lo, exec_lo, s1
	v_or_b32_e32 v7, 0x200, v0
	v_cmp_gt_u32_e64 s1, s33, v7
	v_lshlrev_b32_e32 v28, 3, v7
	v_mov_b32_e32 v8, v2
	v_mov_b32_e32 v7, v1
	s_and_saveexec_b32 s2, s1
	s_cbranch_execz .LBB685_7
; %bb.6:
	v_add_co_u32 v7, s3, s14, v28
	v_add_co_ci_u32_e64 v8, null, s15, 0, s3
	flat_load_dwordx2 v[7:8], v[7:8]
.LBB685_7:
	;; [unrolled: 13-line block ×11, first 2 shown]
	s_or_b32 exec_lo, exec_lo, s12
	v_or_b32_e32 v38, 0xc00, v0
	v_cmp_gt_u32_e64 s12, s33, v38
	v_lshlrev_b32_e32 v38, 3, v38
	s_and_saveexec_b32 s28, s12
	s_cbranch_execz .LBB685_27
; %bb.26:
	v_add_co_u32 v1, s29, s14, v38
	v_add_co_ci_u32_e64 v2, null, s15, 0, s29
	flat_load_dwordx2 v[1:2], v[1:2]
.LBB685_27:
	s_or_b32 exec_lo, exec_lo, s28
	v_lshlrev_b32_e32 v39, 3, v0
	s_waitcnt vmcnt(0) lgkmcnt(0)
	ds_write2st64_b64 v39, v[3:4], v[5:6] offset1:4
	ds_write2st64_b64 v39, v[7:8], v[9:10] offset0:8 offset1:12
	ds_write2st64_b64 v39, v[11:12], v[13:14] offset0:16 offset1:20
	;; [unrolled: 1-line block ×5, first 2 shown]
	v_mad_u32_u24 v95, 0x60, v0, v39
	ds_write_b64 v39, v[1:2] offset:24576
	s_waitcnt lgkmcnt(0)
	s_barrier
	buffer_gl0_inv
	ds_read_b64 v[73:74], v95 offset:96
	ds_read2_b64 v[65:68], v95 offset1:1
	ds_read2_b64 v[61:64], v95 offset0:2 offset1:3
	ds_read2_b64 v[57:60], v95 offset0:4 offset1:5
	ds_read2_b64 v[43:46], v95 offset0:6 offset1:7
	ds_read2_b64 v[53:56], v95 offset0:8 offset1:9
	ds_read2_b64 v[49:52], v95 offset0:10 offset1:11
	v_mad_i32_i24 v1, 0xffffffa0, v0, v95
	s_waitcnt lgkmcnt(6)
	ds_write_b64 v1, v[73:74] offset:26624
	s_waitcnt lgkmcnt(0)
	s_barrier
	buffer_gl0_inv
	s_barrier
	buffer_gl0_inv
                                        ; implicit-def: $vgpr1_vgpr2
	s_and_saveexec_b32 s28, vcc_lo
	s_cbranch_execz .LBB685_101
; %bb.28:
	v_add_co_u32 v1, s29, s13, v39
	v_add_co_ci_u32_e64 v2, null, s16, 0, s29
	flat_load_dwordx2 v[1:2], v[1:2]
	s_or_b32 exec_lo, exec_lo, s28
                                        ; implicit-def: $vgpr3_vgpr4
	s_and_saveexec_b32 s28, s0
	s_cbranch_execnz .LBB685_102
.LBB685_29:
	s_or_b32 exec_lo, exec_lo, s28
                                        ; implicit-def: $vgpr5_vgpr6
	s_and_saveexec_b32 s0, s1
	s_cbranch_execz .LBB685_103
.LBB685_30:
	v_add_co_u32 v5, s1, s13, v28
	v_add_co_ci_u32_e64 v6, null, s16, 0, s1
	flat_load_dwordx2 v[5:6], v[5:6]
	s_or_b32 exec_lo, exec_lo, s0
                                        ; implicit-def: $vgpr7_vgpr8
	s_and_saveexec_b32 s0, s2
	s_cbranch_execnz .LBB685_104
.LBB685_31:
	s_or_b32 exec_lo, exec_lo, s0
                                        ; implicit-def: $vgpr9_vgpr10
	s_and_saveexec_b32 s0, s3
	s_cbranch_execz .LBB685_105
.LBB685_32:
	v_add_co_u32 v9, s1, s13, v30
	v_add_co_ci_u32_e64 v10, null, s16, 0, s1
	flat_load_dwordx2 v[9:10], v[9:10]
	s_or_b32 exec_lo, exec_lo, s0
                                        ; implicit-def: $vgpr11_vgpr12
	s_and_saveexec_b32 s0, s4
	s_cbranch_execnz .LBB685_106
.LBB685_33:
	s_or_b32 exec_lo, exec_lo, s0
                                        ; implicit-def: $vgpr13_vgpr14
	s_and_saveexec_b32 s0, s5
	s_cbranch_execz .LBB685_107
.LBB685_34:
	v_add_co_u32 v13, s1, s13, v32
	v_add_co_ci_u32_e64 v14, null, s16, 0, s1
	flat_load_dwordx2 v[13:14], v[13:14]
	s_or_b32 exec_lo, exec_lo, s0
                                        ; implicit-def: $vgpr15_vgpr16
	s_and_saveexec_b32 s0, s7
	s_cbranch_execnz .LBB685_108
.LBB685_35:
	s_or_b32 exec_lo, exec_lo, s0
                                        ; implicit-def: $vgpr17_vgpr18
	s_and_saveexec_b32 s0, s8
	s_cbranch_execz .LBB685_109
.LBB685_36:
	v_add_co_u32 v17, s1, s13, v34
	v_add_co_ci_u32_e64 v18, null, s16, 0, s1
	flat_load_dwordx2 v[17:18], v[17:18]
	s_or_b32 exec_lo, exec_lo, s0
                                        ; implicit-def: $vgpr19_vgpr20
	s_and_saveexec_b32 s0, s9
	s_cbranch_execnz .LBB685_110
.LBB685_37:
	s_or_b32 exec_lo, exec_lo, s0
                                        ; implicit-def: $vgpr21_vgpr22
	s_and_saveexec_b32 s0, s10
	s_cbranch_execz .LBB685_111
.LBB685_38:
	v_add_co_u32 v21, s1, s13, v36
	v_add_co_ci_u32_e64 v22, null, s16, 0, s1
	flat_load_dwordx2 v[21:22], v[21:22]
	s_or_b32 exec_lo, exec_lo, s0
                                        ; implicit-def: $vgpr23_vgpr24
	s_and_saveexec_b32 s0, s11
	s_cbranch_execz .LBB685_113
	s_branch .LBB685_112
.LBB685_39:
                                        ; implicit-def: $vgpr73_vgpr74
                                        ; implicit-def: $vgpr47_vgpr48
                                        ; implicit-def: $vgpr87
                                        ; implicit-def: $vgpr5_vgpr6
                                        ; implicit-def: $vgpr88
                                        ; implicit-def: $vgpr37_vgpr38
                                        ; implicit-def: $vgpr89
                                        ; implicit-def: $vgpr9_vgpr10
                                        ; implicit-def: $vgpr90
                                        ; implicit-def: $vgpr41_vgpr42
                                        ; implicit-def: $vgpr91
                                        ; implicit-def: $vgpr13_vgpr14
                                        ; implicit-def: $vgpr92
                                        ; implicit-def: $vgpr33_vgpr34
                                        ; implicit-def: $vgpr93
                                        ; implicit-def: $vgpr17_vgpr18
                                        ; implicit-def: $vgpr94
                                        ; implicit-def: $vgpr29_vgpr30
                                        ; implicit-def: $vgpr96
                                        ; implicit-def: $vgpr21_vgpr22
                                        ; implicit-def: $vgpr97
                                        ; implicit-def: $vgpr25_vgpr26
                                        ; implicit-def: $vgpr99
                                        ; implicit-def: $vgpr1_vgpr2
                                        ; implicit-def: $vgpr75
                                        ; implicit-def: $vgpr77
                                        ; implicit-def: $vgpr69_vgpr70
                                        ; implicit-def: $vgpr76
                                        ; implicit-def: $vgpr78
                                        ; implicit-def: $vgpr39_vgpr40
                                        ; implicit-def: $vgpr79
                                        ; implicit-def: $vgpr80
                                        ; implicit-def: $vgpr71_vgpr72
                                        ; implicit-def: $vgpr82
                                        ; implicit-def: $vgpr83
                                        ; implicit-def: $vgpr35_vgpr36
                                        ; implicit-def: $vgpr84
                                        ; implicit-def: $vgpr85
                                        ; implicit-def: $vgpr31_vgpr32
                                        ; implicit-def: $vgpr86
                                        ; implicit-def: $vgpr81
	v_lshlrev_b32_e32 v59, 3, v0
	s_cbranch_execz .LBB685_41
.LBB685_40:
	s_waitcnt lgkmcnt(0)
	v_add_co_u32 v1, s0, s14, v59
	v_add_co_ci_u32_e64 v2, null, s15, 0, s0
	v_add_co_u32 v29, s0, s13, v59
	v_add_co_u32 v3, vcc_lo, 0x800, v1
	v_add_co_ci_u32_e64 v4, null, 0, v2, vcc_lo
	v_add_co_u32 v5, vcc_lo, 0x1000, v1
	v_add_co_ci_u32_e64 v6, null, 0, v2, vcc_lo
	;; [unrolled: 2-line block ×10, first 2 shown]
	v_add_co_u32 v25, vcc_lo, 0x5800, v1
	s_clause 0x7
	flat_load_dwordx2 v[17:18], v[1:2]
	flat_load_dwordx2 v[3:4], v[3:4]
	;; [unrolled: 1-line block ×8, first 2 shown]
	v_add_co_ci_u32_e64 v26, null, 0, v2, vcc_lo
	v_add_co_u32 v1, vcc_lo, 0x6000, v1
	v_add_co_ci_u32_e64 v2, null, 0, v2, vcc_lo
	s_clause 0x4
	flat_load_dwordx2 v[19:20], v[19:20]
	flat_load_dwordx2 v[21:22], v[21:22]
	;; [unrolled: 1-line block ×5, first 2 shown]
	v_add_co_ci_u32_e64 v30, null, s16, 0, s0
	v_mad_u32_u24 v51, 0x60, v0, v59
	v_add_co_u32 v31, vcc_lo, 0x800, v29
	v_add_co_ci_u32_e64 v32, null, 0, v30, vcc_lo
	v_add_co_u32 v33, vcc_lo, 0x1000, v29
	v_add_co_ci_u32_e64 v34, null, 0, v30, vcc_lo
	;; [unrolled: 2-line block ×8, first 2 shown]
	v_mad_i32_i24 v52, 0xffffffa0, v0, v51
	s_or_b32 s1, s1, exec_lo
	s_waitcnt vmcnt(11) lgkmcnt(11)
	ds_write2st64_b64 v59, v[17:18], v[3:4] offset1:4
	s_waitcnt vmcnt(9) lgkmcnt(10)
	ds_write2st64_b64 v59, v[5:6], v[7:8] offset0:8 offset1:12
	s_waitcnt vmcnt(7) lgkmcnt(9)
	ds_write2st64_b64 v59, v[9:10], v[11:12] offset0:16 offset1:20
	;; [unrolled: 2-line block ×5, first 2 shown]
	s_waitcnt vmcnt(0) lgkmcnt(6)
	ds_write_b64 v59, v[1:2] offset:24576
	s_waitcnt lgkmcnt(0)
	s_barrier
	buffer_gl0_inv
	ds_read_b64 v[73:74], v51 offset:96
	v_add_co_u32 v21, vcc_lo, 0x4800, v29
	v_add_co_ci_u32_e64 v22, null, 0, v30, vcc_lo
	v_add_co_u32 v23, vcc_lo, 0x5000, v29
	v_add_co_ci_u32_e64 v24, null, 0, v30, vcc_lo
	;; [unrolled: 2-line block ×4, first 2 shown]
	ds_read2_b64 v[25:28], v51 offset1:1
	ds_read2_b64 v[1:4], v51 offset0:2 offset1:3
	ds_read2_b64 v[5:8], v51 offset0:4 offset1:5
	;; [unrolled: 1-line block ×5, first 2 shown]
	s_waitcnt lgkmcnt(6)
	ds_write_b64 v52, v[73:74] offset:26624
	s_waitcnt lgkmcnt(0)
	s_barrier
	buffer_gl0_inv
	s_barrier
	buffer_gl0_inv
	s_clause 0xc
	flat_load_dwordx2 v[29:30], v[29:30]
	flat_load_dwordx2 v[31:32], v[31:32]
	;; [unrolled: 1-line block ×13, first 2 shown]
	s_waitcnt vmcnt(11) lgkmcnt(11)
	ds_write2st64_b64 v59, v[29:30], v[31:32] offset1:4
	s_waitcnt vmcnt(9) lgkmcnt(10)
	ds_write2st64_b64 v59, v[33:34], v[35:36] offset0:8 offset1:12
	s_waitcnt vmcnt(7) lgkmcnt(9)
	ds_write2st64_b64 v59, v[37:38], v[39:40] offset0:16 offset1:20
	;; [unrolled: 2-line block ×5, first 2 shown]
	s_waitcnt vmcnt(0) lgkmcnt(6)
	ds_write_b64 v59, v[49:50] offset:24576
	v_cmp_ne_u64_e32 vcc_lo, 0, v[19:20]
	s_waitcnt lgkmcnt(0)
	s_barrier
	buffer_gl0_inv
	v_cndmask_b32_e64 v75, 0, 1, vcc_lo
	v_cmp_ne_u64_e32 vcc_lo, 0, v[17:18]
	v_cndmask_b32_e64 v87, 0, 1, vcc_lo
	v_cmp_ne_u64_e32 vcc_lo, 0, v[15:16]
	v_mov_b32_e32 v77, v87
	v_cndmask_b32_e64 v88, 0, 1, vcc_lo
	v_cmp_ne_u64_e32 vcc_lo, 0, v[13:14]
	v_mov_b32_e32 v76, v88
	;; [unrolled: 3-line block ×7, first 2 shown]
	v_cndmask_b32_e64 v94, 0, 1, vcc_lo
	v_cmp_ne_u64_e32 vcc_lo, 0, v[1:2]
	ds_read2_b64 v[9:12], v51 offset0:8 offset1:9
	ds_read2_b64 v[17:20], v51 offset0:4 offset1:5
	;; [unrolled: 1-line block ×3, first 2 shown]
	ds_read2_b64 v[1:4], v51 offset1:1
	ds_read2_b64 v[21:24], v51 offset0:2 offset1:3
	ds_read2_b64 v[5:8], v51 offset0:10 offset1:11
	ds_read_b64 v[47:48], v51 offset:96
	v_mov_b32_e32 v84, v94
	v_cndmask_b32_e64 v96, 0, 1, vcc_lo
	v_cmp_ne_u64_e32 vcc_lo, 0, v[27:28]
	v_mov_b32_e32 v85, v96
	v_cndmask_b32_e64 v97, 0, 1, vcc_lo
	v_cmp_ne_u64_e32 vcc_lo, 0, v[25:26]
	s_waitcnt lgkmcnt(6)
	v_mov_b32_e32 v38, v12
	s_waitcnt lgkmcnt(5)
	v_mov_b32_e32 v34, v20
	s_waitcnt lgkmcnt(4)
	v_mov_b32_e32 v42, v16
	s_waitcnt lgkmcnt(3)
	v_mov_b32_e32 v26, v4
	v_cndmask_b32_e64 v99, 0, 1, vcc_lo
	s_waitcnt lgkmcnt(2)
	v_mov_b32_e32 v30, v24
	s_waitcnt lgkmcnt(1)
	v_mov_b32_e32 v70, v6
	v_mov_b32_e32 v40, v10
	;; [unrolled: 1-line block ×17, first 2 shown]
.LBB685_41:
	v_mov_b32_e32 v27, 0
	v_mov_b32_e32 v28, 0
	;; [unrolled: 1-line block ×3, first 2 shown]
	s_and_saveexec_b32 s0, s1
	s_cbranch_execz .LBB685_43
; %bb.42:
	v_cmp_ne_u64_e32 vcc_lo, 0, v[73:74]
	v_mov_b32_e32 v3, v25
	v_mov_b32_e32 v32, v22
	;; [unrolled: 1-line block ×10, first 2 shown]
	s_waitcnt lgkmcnt(0)
	v_mov_b32_e32 v27, v47
	v_cndmask_b32_e64 v61, 0, 1, vcc_lo
	v_mov_b32_e32 v81, v99
	v_mov_b32_e32 v4, v26
	;; [unrolled: 1-line block ×22, first 2 shown]
.LBB685_43:
	s_or_b32 exec_lo, exec_lo, s0
	v_and_b32_e32 v67, 1, v82
	v_and_b32_e32 v68, 1, v78
	;; [unrolled: 1-line block ×5, first 2 shown]
	v_or_b32_e32 v63, v83, v84
	v_or_b32_e32 v62, v79, v80
	;; [unrolled: 1-line block ×3, first 2 shown]
	v_cmp_eq_u32_e64 s16, 1, v67
	v_cmp_eq_u32_e64 s14, 1, v68
	;; [unrolled: 1-line block ×3, first 2 shown]
	v_cmp_eq_u16_e64 s0, 0, v61
	v_cmp_eq_u32_e64 s13, 1, v65
	v_mbcnt_lo_u32_b32 v60, -1, 0
	s_cmp_lg_u32 s6, 0
	v_cmp_eq_u32_e32 vcc_lo, 1, v73
	s_waitcnt lgkmcnt(0)
	s_barrier
	buffer_gl0_inv
	s_cbranch_scc0 .LBB685_140
; %bb.44:
	v_mov_b32_e32 v5, 0
	v_or_b32_e32 v10, v86, v81
	v_cmp_eq_u16_sdwa s11, v86, v5 src0_sel:BYTE_0 src1_sel:DWORD
	v_cmp_eq_u16_sdwa s12, v85, v5 src0_sel:BYTE_0 src1_sel:DWORD
	;; [unrolled: 1-line block ×5, first 2 shown]
	v_cndmask_b32_e64 v9, 0, v1, s11
	v_cndmask_b32_e64 v6, 0, v2, s11
	v_cmp_eq_u16_sdwa s7, v80, v5 src0_sel:BYTE_0 src1_sel:DWORD
	v_cmp_eq_u16_sdwa s5, v79, v5 src0_sel:BYTE_0 src1_sel:DWORD
	v_cmp_eq_u16_sdwa s4, v78, v5 src0_sel:BYTE_0 src1_sel:DWORD
	v_add_co_u32 v9, s1, v9, v3
	v_add_co_ci_u32_e64 v6, null, v6, v4, s1
	v_cmp_eq_u16_sdwa s2, v76, v5 src0_sel:BYTE_0 src1_sel:DWORD
	v_cndmask_b32_e64 v9, 0, v9, s12
	v_cmp_ne_u16_sdwa s33, v64, v5 src0_sel:BYTE_0 src1_sel:DWORD
	v_cndmask_b32_e64 v6, 0, v6, s12
	v_cmp_ne_u16_sdwa s28, v10, v5 src0_sel:BYTE_0 src1_sel:DWORD
	v_cmp_ne_u16_sdwa s29, v63, v5 src0_sel:BYTE_0 src1_sel:DWORD
	v_add_co_u32 v9, s1, v9, v31
	v_add_co_ci_u32_e64 v6, null, v6, v32, s1
	v_cmp_ne_u16_sdwa s40, v62, v5 src0_sel:BYTE_0 src1_sel:DWORD
	v_cndmask_b32_e64 v9, 0, v9, s10
	s_or_b32 s15, s33, s15
	v_cndmask_b32_e64 v6, 0, v6, s10
	s_or_b32 s15, s13, s15
	s_or_b32 s14, s40, s14
	v_add_co_u32 v9, s1, v9, v23
	v_add_co_ci_u32_e64 v6, null, v6, v24, s1
	s_or_b32 s16, s29, s16
	v_cndmask_b32_e64 v9, 0, v9, s9
	v_cndmask_b32_e64 v6, 0, v6, s9
	v_add_co_u32 v9, s1, v9, v35
	v_add_co_ci_u32_e64 v6, null, v6, v36, s1
	v_cndmask_b32_e64 v9, 0, v9, s8
	v_cndmask_b32_e64 v6, 0, v6, s8
	v_add_co_u32 v9, s1, v9, v19
	v_add_co_ci_u32_e64 v6, null, v6, v20, s1
	;; [unrolled: 4-line block ×6, first 2 shown]
	v_cmp_eq_u16_sdwa s1, v77, v5 src0_sel:BYTE_0 src1_sel:DWORD
	v_cndmask_b32_e64 v9, 0, v9, s1
	v_cndmask_b32_e64 v6, 0, v6, s1
	v_add_co_u32 v9, s3, v9, v69
	v_add_co_ci_u32_e64 v6, null, v6, v70, s3
	v_cmp_eq_u16_sdwa s3, v75, v5 src0_sel:BYTE_0 src1_sel:DWORD
	v_cndmask_b32_e64 v5, 0, v6, s3
	v_cndmask_b32_e64 v6, 0, v9, s3
	v_add_co_u32 v6, s13, v6, v7
	v_add_co_ci_u32_e64 v5, null, v5, v8, s13
	s_or_b32 s13, s15, s14
	v_cndmask_b32_e64 v6, 0, v6, s0
	s_or_b32 s14, s28, vcc_lo
	v_cndmask_b32_e64 v10, 0, v5, s0
	s_or_b32 s13, s13, s16
	s_or_b32 s13, s13, s14
	v_add_co_u32 v9, vcc_lo, v6, v27
	v_cndmask_b32_e64 v5, 0, 1, s13
	v_add_co_ci_u32_e64 v10, null, v10, v28, vcc_lo
	v_and_b32_e32 v6, 15, v60
	v_mov_b32_dpp v14, v9 row_shr:1 row_mask:0xf bank_mask:0xf
	v_mov_b32_dpp v13, v5 row_shr:1 row_mask:0xf bank_mask:0xf
	;; [unrolled: 1-line block ×3, first 2 shown]
	s_mov_b32 s14, exec_lo
	v_cmpx_ne_u32_e32 0, v6
; %bb.45:
	v_cndmask_b32_e64 v14, v14, 0, s13
	v_cndmask_b32_e64 v17, v17, 0, s13
	v_and_or_b32 v5, v13, 1, v5
	v_add_co_u32 v9, vcc_lo, v14, v9
	v_add_co_ci_u32_e64 v10, null, v17, v10, vcc_lo
; %bb.46:
	s_or_b32 exec_lo, exec_lo, s14
	v_mov_b32_dpp v14, v9 row_shr:2 row_mask:0xf bank_mask:0xf
	v_mov_b32_dpp v17, v10 row_shr:2 row_mask:0xf bank_mask:0xf
	v_mov_b32_dpp v13, v5 row_shr:2 row_mask:0xf bank_mask:0xf
	s_mov_b32 s13, exec_lo
	v_cmpx_lt_u32_e32 1, v6
	s_cbranch_execz .LBB685_48
; %bb.47:
	v_cmp_eq_u16_e32 vcc_lo, 0, v5
	v_or_b32_e32 v5, v13, v5
	v_cndmask_b32_e32 v14, 0, v14, vcc_lo
	v_cndmask_b32_e32 v17, 0, v17, vcc_lo
	v_and_b32_e32 v5, 1, v5
	v_add_co_u32 v9, vcc_lo, v14, v9
	v_add_co_ci_u32_e64 v10, null, v17, v10, vcc_lo
.LBB685_48:
	s_or_b32 exec_lo, exec_lo, s13
	v_mov_b32_dpp v14, v9 row_shr:4 row_mask:0xf bank_mask:0xf
	v_mov_b32_dpp v17, v10 row_shr:4 row_mask:0xf bank_mask:0xf
	v_mov_b32_dpp v13, v5 row_shr:4 row_mask:0xf bank_mask:0xf
	s_mov_b32 s13, exec_lo
	v_cmpx_lt_u32_e32 3, v6
	s_cbranch_execz .LBB685_50
; %bb.49:
	v_cmp_eq_u16_e32 vcc_lo, 0, v5
	v_or_b32_e32 v5, v13, v5
	v_cndmask_b32_e32 v14, 0, v14, vcc_lo
	v_cndmask_b32_e32 v17, 0, v17, vcc_lo
	v_and_b32_e32 v5, 1, v5
	v_add_co_u32 v9, vcc_lo, v14, v9
	v_add_co_ci_u32_e64 v10, null, v17, v10, vcc_lo
.LBB685_50:
	;; [unrolled: 16-line block ×3, first 2 shown]
	s_or_b32 exec_lo, exec_lo, s13
	ds_swizzle_b32 v6, v9 offset:swizzle(BROADCAST,32,15)
	ds_swizzle_b32 v14, v10 offset:swizzle(BROADCAST,32,15)
	;; [unrolled: 1-line block ×3, first 2 shown]
	v_and_b32_e32 v13, 16, v60
	v_cmp_ne_u32_e32 vcc_lo, 0, v13
	v_mov_b32_e32 v13, v5
	s_and_saveexec_b32 s15, vcc_lo
	s_cbranch_execz .LBB685_54
; %bb.53:
	v_cmp_eq_u16_e32 vcc_lo, 0, v5
	v_and_b32_e32 v5, 1, v5
	s_waitcnt lgkmcnt(0)
	v_and_b32_e32 v13, 1, v17
	v_cndmask_b32_e32 v14, 0, v14, vcc_lo
	v_cndmask_b32_e32 v6, 0, v6, vcc_lo
	v_cmp_eq_u32_e32 vcc_lo, 1, v5
	v_cmp_eq_u32_e64 s13, 1, v13
	v_add_co_u32 v9, s14, v6, v9
	s_or_b32 s13, vcc_lo, s13
	v_add_co_ci_u32_e64 v10, null, v14, v10, s14
	v_cndmask_b32_e64 v5, 0, 1, s13
	v_cndmask_b32_e64 v13, 0, 1, s13
.LBB685_54:
	s_or_b32 exec_lo, exec_lo, s15
	s_waitcnt lgkmcnt(1)
	v_lshrrev_b32_e32 v14, 5, v0
	v_or_b32_e32 v6, 31, v0
	s_mov_b32 s13, exec_lo
	v_lshlrev_b32_e32 v14, 4, v14
	v_cmpx_eq_u32_e64 v0, v6
	s_cbranch_execz .LBB685_56
; %bb.55:
	ds_write_b64 v14, v[9:10]
	ds_write_b8 v14, v5 offset:8
.LBB685_56:
	s_or_b32 exec_lo, exec_lo, s13
	s_mov_b32 s15, exec_lo
	s_waitcnt lgkmcnt(0)
	s_barrier
	buffer_gl0_inv
	v_cmpx_gt_u32_e32 8, v0
	s_cbranch_execz .LBB685_64
; %bb.57:
	v_lshlrev_b32_e32 v17, 4, v0
	v_and_b32_e32 v18, 7, v60
	s_mov_b32 s13, exec_lo
	ds_read_b64 v[5:6], v17
	ds_read_b32 v26, v17 offset:8
	s_waitcnt lgkmcnt(1)
	v_mov_b32_dpp v29, v5 row_shr:1 row_mask:0xf bank_mask:0xf
	v_mov_b32_dpp v30, v6 row_shr:1 row_mask:0xf bank_mask:0xf
	s_waitcnt lgkmcnt(0)
	v_and_b32_e32 v22, 0xffffff00, v26
	v_mov_b32_dpp v33, v26 row_shr:1 row_mask:0xf bank_mask:0xf
	v_mov_b32_e32 v25, v26
	v_mov_b32_e32 v21, v26
	v_cmpx_ne_u32_e32 0, v18
	s_cbranch_execz .LBB685_59
; %bb.58:
	v_mov_b32_e32 v21, 0
	v_cmp_eq_u16_sdwa vcc_lo, v26, v21 src0_sel:BYTE_0 src1_sel:DWORD
	v_or_b32_e32 v21, v33, v26
	v_cndmask_b32_e32 v29, 0, v29, vcc_lo
	v_cndmask_b32_e32 v26, 0, v30, vcc_lo
	v_and_b32_e32 v25, 1, v21
	v_and_b32_e32 v21, 1, v21
	v_add_co_u32 v5, vcc_lo, v29, v5
	v_add_co_ci_u32_e64 v6, null, v26, v6, vcc_lo
	v_or_b32_e32 v26, v21, v22
.LBB685_59:
	s_or_b32 exec_lo, exec_lo, s13
	v_mov_b32_dpp v29, v5 row_shr:2 row_mask:0xf bank_mask:0xf
	v_mov_b32_dpp v30, v6 row_shr:2 row_mask:0xf bank_mask:0xf
	;; [unrolled: 1-line block ×3, first 2 shown]
	s_mov_b32 s16, exec_lo
	v_cmpx_lt_u32_e32 1, v18
	s_cbranch_execz .LBB685_61
; %bb.60:
	v_mov_b32_e32 v25, 0
	v_and_b32_e32 v26, 1, v21
	v_and_b32_e32 v33, 1, v33
	v_cmp_eq_u16_sdwa vcc_lo, v21, v25 src0_sel:BYTE_0 src1_sel:DWORD
	v_cmp_eq_u32_e64 s13, 1, v26
	v_cmp_eq_u32_e64 s14, 1, v33
	v_cndmask_b32_e32 v26, 0, v29, vcc_lo
	v_cndmask_b32_e32 v21, 0, v30, vcc_lo
	s_or_b32 s13, s13, s14
	v_cndmask_b32_e64 v25, 0, 1, s13
	v_cndmask_b32_e64 v29, 0, 1, s13
	v_add_co_u32 v5, vcc_lo, v26, v5
	v_add_co_ci_u32_e64 v6, null, v21, v6, vcc_lo
	v_or_b32_e32 v26, v22, v29
	v_mov_b32_e32 v21, v25
.LBB685_61:
	s_or_b32 exec_lo, exec_lo, s16
	v_mov_b32_dpp v22, v5 row_shr:4 row_mask:0xf bank_mask:0xf
	v_mov_b32_dpp v29, v6 row_shr:4 row_mask:0xf bank_mask:0xf
	;; [unrolled: 1-line block ×3, first 2 shown]
	s_mov_b32 s16, exec_lo
	v_cmpx_lt_u32_e32 3, v18
	s_cbranch_execz .LBB685_63
; %bb.62:
	v_mov_b32_e32 v18, 0
	v_cmp_eq_u16_sdwa vcc_lo, v21, v18 src0_sel:BYTE_0 src1_sel:DWORD
	v_and_b32_e32 v18, 1, v21
	v_and_b32_e32 v21, 1, v26
	v_cndmask_b32_e32 v25, 0, v29, vcc_lo
	v_cndmask_b32_e32 v22, 0, v22, vcc_lo
	v_cmp_eq_u32_e32 vcc_lo, 1, v18
	v_cmp_eq_u32_e64 s13, 1, v21
	v_add_co_u32 v5, s14, v22, v5
	s_or_b32 s13, vcc_lo, s13
	v_add_co_ci_u32_e64 v6, null, v25, v6, s14
	v_cndmask_b32_e64 v25, 0, 1, s13
.LBB685_63:
	s_or_b32 exec_lo, exec_lo, s16
	ds_write_b64 v17, v[5:6]
	ds_write_b8 v17, v25 offset:8
.LBB685_64:
	s_or_b32 exec_lo, exec_lo, s15
	v_mov_b32_e32 v5, 0
	v_mov_b32_e32 v6, 0
	v_mov_b32_e32 v25, 0
	s_mov_b32 s14, exec_lo
	v_cmp_gt_u32_e32 vcc_lo, 32, v0
	s_waitcnt lgkmcnt(0)
	s_barrier
	buffer_gl0_inv
	v_cmpx_lt_u32_e32 31, v0
	s_cbranch_execz .LBB685_66
; %bb.65:
	v_add_nc_u32_e32 v5, -16, v14
	v_add_nc_u32_e32 v14, -8, v14
	v_cmp_eq_u32_e64 s13, 0, v13
	ds_read_b64 v[5:6], v5
	ds_read_u8 v14, v14
	s_waitcnt lgkmcnt(1)
	v_cndmask_b32_e64 v18, 0, v5, s13
	v_cndmask_b32_e64 v17, 0, v6, s13
	s_waitcnt lgkmcnt(0)
	v_or_b32_e32 v13, v14, v13
	v_and_b32_e32 v25, 1, v14
	v_add_co_u32 v9, s13, v18, v9
	v_add_co_ci_u32_e64 v10, null, v17, v10, s13
	v_and_b32_e32 v13, 1, v13
.LBB685_66:
	s_or_b32 exec_lo, exec_lo, s14
	v_sub_co_u32 v14, s13, v60, 1
	v_cmp_gt_i32_e64 s14, 0, v14
	v_cndmask_b32_e64 v14, v14, v60, s14
	v_lshlrev_b32_e32 v14, 2, v14
	ds_bpermute_b32 v26, v14, v9
	ds_bpermute_b32 v29, v14, v10
	;; [unrolled: 1-line block ×3, first 2 shown]
	s_and_saveexec_b32 s16, vcc_lo
	s_cbranch_execz .LBB685_145
; %bb.67:
	v_mov_b32_e32 v18, 0
	ds_read_b64 v[9:10], v18 offset:112
	ds_read_u8 v33, v18 offset:120
	s_and_saveexec_b32 s14, s13
	s_cbranch_execz .LBB685_69
; %bb.68:
	s_add_i32 s28, s6, 32
	s_mov_b32 s29, 0
	v_mov_b32_e32 v13, 1
	s_lshl_b64 s[40:41], s[28:29], 4
	v_mov_b32_e32 v14, s28
	s_add_u32 s40, s20, s40
	s_addc_u32 s41, s21, s41
	s_waitcnt lgkmcnt(1)
	global_store_dwordx2 v18, v[9:10], s[40:41]
	s_waitcnt lgkmcnt(0)
	global_store_byte v18, v33, s[40:41] offset:8
	s_waitcnt_vscnt null, 0x0
	buffer_gl1_inv
	buffer_gl0_inv
	global_store_byte v14, v13, s[24:25]
.LBB685_69:
	s_or_b32 exec_lo, exec_lo, s14
	v_xad_u32 v13, v60, -1, s6
	s_mov_b32 s15, 0
	s_mov_b32 s14, exec_lo
	v_add_nc_u32_e32 v17, 32, v13
	global_load_ubyte v34, v17, s[24:25] glc dlc
	s_waitcnt vmcnt(0)
	v_cmpx_eq_u16_e32 0, v34
	s_cbranch_execz .LBB685_73
; %bb.70:
	v_add_co_u32 v21, s28, s24, v17
	v_add_co_ci_u32_e64 v22, null, s25, 0, s28
.LBB685_71:                             ; =>This Inner Loop Header: Depth=1
	global_load_ubyte v34, v[21:22], off glc dlc
	s_waitcnt vmcnt(0)
	v_cmp_ne_u16_e32 vcc_lo, 0, v34
	s_or_b32 s15, vcc_lo, s15
	s_andn2_b32 exec_lo, exec_lo, s15
	s_cbranch_execnz .LBB685_71
; %bb.72:
	s_or_b32 exec_lo, exec_lo, s15
.LBB685_73:
	s_or_b32 exec_lo, exec_lo, s14
	v_cmp_eq_u16_e32 vcc_lo, 1, v34
	v_mov_b32_e32 v21, s20
	v_mov_b32_e32 v14, s21
	v_lshlrev_b64 v[17:18], 4, v[17:18]
	s_waitcnt lgkmcnt(0)
	s_waitcnt_vscnt null, 0x0
	buffer_gl1_inv
	buffer_gl0_inv
	v_lshlrev_b32_e64 v38, v60, -1
	v_cndmask_b32_e32 v21, s22, v21, vcc_lo
	v_cndmask_b32_e32 v14, s23, v14, vcc_lo
	s_mov_b32 s14, exec_lo
	v_add_co_u32 v17, vcc_lo, v21, v17
	v_add_co_ci_u32_e64 v18, null, v14, v18, vcc_lo
	v_cmp_ne_u32_e32 vcc_lo, 31, v60
	s_clause 0x1
	global_load_ubyte v51, v[17:18], off offset:8
	global_load_dwordx2 v[21:22], v[17:18], off
	v_add_co_ci_u32_e64 v14, null, 0, v60, vcc_lo
	v_cmp_eq_u16_e32 vcc_lo, 2, v34
	v_lshlrev_b32_e32 v37, 2, v14
	v_and_or_b32 v14, vcc_lo, v38, 0x80000000
	v_ffbl_b32_e32 v14, v14
	s_waitcnt vmcnt(1)
	v_and_b32_e32 v17, 1, v51
	s_waitcnt vmcnt(0)
	ds_bpermute_b32 v18, v37, v21
	ds_bpermute_b32 v41, v37, v22
	;; [unrolled: 1-line block ×3, first 2 shown]
	v_cmpx_lt_u32_e64 v60, v14
	s_cbranch_execz .LBB685_75
; %bb.74:
	v_mov_b32_e32 v17, 0
	v_cmp_eq_u16_sdwa vcc_lo, v51, v17 src0_sel:BYTE_0 src1_sel:DWORD
	s_waitcnt lgkmcnt(0)
	v_and_b32_e32 v17, 1, v42
	v_cndmask_b32_e32 v18, 0, v18, vcc_lo
	v_cndmask_b32_e32 v41, 0, v41, vcc_lo
	v_or_b32_e32 v51, v17, v51
	v_add_co_u32 v21, vcc_lo, v18, v21
	v_add_co_ci_u32_e64 v22, null, v41, v22, vcc_lo
	v_and_b32_e32 v17, 0xff, v51
.LBB685_75:
	s_or_b32 exec_lo, exec_lo, s14
	v_cmp_gt_u32_e32 vcc_lo, 30, v60
	s_waitcnt lgkmcnt(0)
	v_add_nc_u32_e32 v42, 2, v60
	s_mov_b32 s28, exec_lo
	v_cndmask_b32_e64 v18, 0, 2, vcc_lo
	v_add_lshl_u32 v41, v18, v60, 2
	ds_bpermute_b32 v18, v41, v21
	ds_bpermute_b32 v43, v41, v22
	ds_bpermute_b32 v44, v41, v17
	v_cmpx_le_u32_e64 v42, v14
	s_cbranch_execz .LBB685_77
; %bb.76:
	v_mov_b32_e32 v17, 0
	v_and_b32_e32 v45, 1, v51
	s_waitcnt lgkmcnt(0)
	v_and_b32_e32 v44, 1, v44
	v_cmp_eq_u16_sdwa vcc_lo, v51, v17 src0_sel:BYTE_0 src1_sel:DWORD
	v_cmp_eq_u32_e64 s14, 1, v45
	v_cmp_eq_u32_e64 s15, 1, v44
	v_cndmask_b32_e32 v18, 0, v18, vcc_lo
	v_cndmask_b32_e32 v17, 0, v43, vcc_lo
	s_or_b32 s14, s14, s15
	v_cndmask_b32_e64 v51, 0, 1, s14
	v_add_co_u32 v21, vcc_lo, v18, v21
	v_add_co_ci_u32_e64 v22, null, v17, v22, vcc_lo
	v_cndmask_b32_e64 v17, 0, 1, s14
.LBB685_77:
	s_or_b32 exec_lo, exec_lo, s28
	v_cmp_gt_u32_e32 vcc_lo, 28, v60
	s_waitcnt lgkmcnt(0)
	v_add_nc_u32_e32 v44, 4, v60
	s_mov_b32 s28, exec_lo
	v_cndmask_b32_e64 v18, 0, 4, vcc_lo
	v_add_lshl_u32 v43, v18, v60, 2
	ds_bpermute_b32 v18, v43, v21
	ds_bpermute_b32 v45, v43, v22
	ds_bpermute_b32 v46, v43, v17
	v_cmpx_le_u32_e64 v44, v14
	s_cbranch_execz .LBB685_79
; %bb.78:
	v_mov_b32_e32 v17, 0
	v_and_b32_e32 v47, 1, v51
	s_waitcnt lgkmcnt(0)
	v_and_b32_e32 v46, 1, v46
	v_cmp_eq_u16_sdwa vcc_lo, v51, v17 src0_sel:BYTE_0 src1_sel:DWORD
	v_cmp_eq_u32_e64 s14, 1, v47
	v_cmp_eq_u32_e64 s15, 1, v46
	v_cndmask_b32_e32 v18, 0, v18, vcc_lo
	v_cndmask_b32_e32 v17, 0, v45, vcc_lo
	s_or_b32 s14, s14, s15
	v_cndmask_b32_e64 v51, 0, 1, s14
	v_add_co_u32 v21, vcc_lo, v18, v21
	v_add_co_ci_u32_e64 v22, null, v17, v22, vcc_lo
	v_cndmask_b32_e64 v17, 0, 1, s14
.LBB685_79:
	;; [unrolled: 28-line block ×3, first 2 shown]
	s_or_b32 exec_lo, exec_lo, s28
	s_waitcnt lgkmcnt(0)
	v_lshl_or_b32 v48, v60, 2, 64
	v_add_nc_u32_e32 v49, 16, v60
	s_mov_b32 s28, exec_lo
	ds_bpermute_b32 v18, v48, v21
	ds_bpermute_b32 v47, v48, v22
	;; [unrolled: 1-line block ×3, first 2 shown]
	v_cmpx_le_u32_e64 v49, v14
	s_cbranch_execz .LBB685_83
; %bb.82:
	v_mov_b32_e32 v14, 0
	s_waitcnt lgkmcnt(0)
	v_and_b32_e32 v17, 1, v17
	v_cmp_eq_u16_sdwa vcc_lo, v51, v14 src0_sel:BYTE_0 src1_sel:DWORD
	v_and_b32_e32 v14, 1, v51
	v_cmp_eq_u32_e64 s14, 1, v17
	v_cndmask_b32_e32 v47, 0, v47, vcc_lo
	v_cndmask_b32_e32 v18, 0, v18, vcc_lo
	v_cmp_eq_u32_e32 vcc_lo, 1, v14
	v_add_co_u32 v21, s15, v18, v21
	s_or_b32 s14, vcc_lo, s14
	v_add_co_ci_u32_e64 v22, null, v47, v22, s15
	v_cndmask_b32_e64 v51, 0, 1, s14
.LBB685_83:
	s_or_b32 exec_lo, exec_lo, s28
	v_mov_b32_e32 v14, 0
	v_mov_b32_e32 v50, 2
	s_branch .LBB685_86
.LBB685_84:                             ;   in Loop: Header=BB685_86 Depth=1
	s_or_b32 exec_lo, exec_lo, s29
	v_cmp_eq_u16_sdwa vcc_lo, v47, v14 src0_sel:BYTE_0 src1_sel:DWORD
	v_and_b32_e32 v51, 1, v47
	v_subrev_nc_u32_e32 v13, 32, v13
	v_cndmask_b32_e32 v21, 0, v21, vcc_lo
	v_cndmask_b32_e32 v22, 0, v22, vcc_lo
	v_cmp_eq_u32_e32 vcc_lo, 1, v51
	v_add_co_u32 v21, s14, v21, v17
	v_add_co_ci_u32_e64 v22, null, v22, v18, s14
	s_or_b32 s14, vcc_lo, s28
	v_cndmask_b32_e64 v51, 0, 1, s14
	s_mov_b32 s14, 0
.LBB685_85:                             ;   in Loop: Header=BB685_86 Depth=1
	s_and_b32 vcc_lo, exec_lo, s14
	s_cbranch_vccnz .LBB685_141
.LBB685_86:                             ; =>This Loop Header: Depth=1
                                        ;     Child Loop BB685_89 Depth 2
	v_cmp_ne_u16_sdwa s14, v34, v50 src0_sel:BYTE_0 src1_sel:DWORD
	s_waitcnt lgkmcnt(0)
	v_mov_b32_e32 v17, v21
	v_mov_b32_e32 v47, v51
	;; [unrolled: 1-line block ×3, first 2 shown]
                                        ; implicit-def: $vgpr51
                                        ; implicit-def: $vgpr21_vgpr22
                                        ; implicit-def: $vgpr34
	s_cmp_lg_u32 s14, exec_lo
	s_mov_b32 s14, -1
	s_cbranch_scc1 .LBB685_85
; %bb.87:                               ;   in Loop: Header=BB685_86 Depth=1
	global_load_ubyte v34, v13, s[24:25] glc dlc
	s_mov_b32 s14, exec_lo
	s_waitcnt vmcnt(0)
	v_cmpx_eq_u16_e32 0, v34
	s_cbranch_execz .LBB685_91
; %bb.88:                               ;   in Loop: Header=BB685_86 Depth=1
	v_add_co_u32 v21, s15, s24, v13
	v_add_co_ci_u32_e64 v22, null, s25, 0, s15
	s_mov_b32 s15, 0
.LBB685_89:                             ;   Parent Loop BB685_86 Depth=1
                                        ; =>  This Inner Loop Header: Depth=2
	global_load_ubyte v34, v[21:22], off glc dlc
	s_waitcnt vmcnt(0)
	v_cmp_ne_u16_e32 vcc_lo, 0, v34
	s_or_b32 s15, vcc_lo, s15
	s_andn2_b32 exec_lo, exec_lo, s15
	s_cbranch_execnz .LBB685_89
; %bb.90:                               ;   in Loop: Header=BB685_86 Depth=1
	s_or_b32 exec_lo, exec_lo, s15
.LBB685_91:                             ;   in Loop: Header=BB685_86 Depth=1
	s_or_b32 exec_lo, exec_lo, s14
	v_cmp_eq_u16_e32 vcc_lo, 1, v34
	v_mov_b32_e32 v52, s20
	v_mov_b32_e32 v51, s21
	v_lshlrev_b64 v[21:22], 4, v[13:14]
	buffer_gl1_inv
	buffer_gl0_inv
	s_mov_b32 s14, exec_lo
	v_cndmask_b32_e32 v52, s22, v52, vcc_lo
	v_cndmask_b32_e32 v51, s23, v51, vcc_lo
	v_add_co_u32 v21, vcc_lo, v52, v21
	v_add_co_ci_u32_e64 v22, null, v51, v22, vcc_lo
	v_cmp_eq_u16_e32 vcc_lo, 2, v34
	s_clause 0x1
	global_load_ubyte v52, v[21:22], off offset:8
	global_load_dwordx2 v[21:22], v[21:22], off
	v_and_or_b32 v51, vcc_lo, v38, 0x80000000
	v_ffbl_b32_e32 v51, v51
	s_waitcnt vmcnt(1)
	v_and_b32_e32 v53, 1, v52
	s_waitcnt vmcnt(0)
	ds_bpermute_b32 v54, v37, v21
	ds_bpermute_b32 v55, v37, v22
	ds_bpermute_b32 v56, v37, v53
	v_cmpx_lt_u32_e64 v60, v51
	s_cbranch_execz .LBB685_93
; %bb.92:                               ;   in Loop: Header=BB685_86 Depth=1
	v_cmp_eq_u16_sdwa vcc_lo, v52, v14 src0_sel:BYTE_0 src1_sel:DWORD
	s_waitcnt lgkmcnt(0)
	v_and_b32_e32 v53, 1, v56
	v_cndmask_b32_e32 v54, 0, v54, vcc_lo
	v_cndmask_b32_e32 v55, 0, v55, vcc_lo
	v_or_b32_e32 v52, v53, v52
	v_add_co_u32 v21, vcc_lo, v54, v21
	v_add_co_ci_u32_e64 v22, null, v55, v22, vcc_lo
	v_and_b32_e32 v53, 0xff, v52
.LBB685_93:                             ;   in Loop: Header=BB685_86 Depth=1
	s_or_b32 exec_lo, exec_lo, s14
	s_waitcnt lgkmcnt(2)
	ds_bpermute_b32 v54, v41, v21
	s_waitcnt lgkmcnt(2)
	ds_bpermute_b32 v55, v41, v22
	;; [unrolled: 2-line block ×3, first 2 shown]
	v_and_b32_e32 v57, 1, v52
	s_mov_b32 s15, exec_lo
	v_cmp_eq_u32_e64 s28, 1, v57
	v_cmpx_le_u32_e64 v42, v51
	s_cbranch_execz .LBB685_95
; %bb.94:                               ;   in Loop: Header=BB685_86 Depth=1
	v_cmp_eq_u16_sdwa vcc_lo, v52, v14 src0_sel:BYTE_0 src1_sel:DWORD
	s_waitcnt lgkmcnt(0)
	v_and_b32_e32 v52, 1, v56
	v_cndmask_b32_e32 v54, 0, v54, vcc_lo
	v_cndmask_b32_e32 v53, 0, v55, vcc_lo
	v_cmp_eq_u32_e32 vcc_lo, 1, v52
	v_add_co_u32 v21, s14, v54, v21
	v_add_co_ci_u32_e64 v22, null, v53, v22, s14
	s_or_b32 s14, s28, vcc_lo
	s_andn2_b32 s28, s28, exec_lo
	v_cndmask_b32_e64 v52, 0, 1, s14
	v_cndmask_b32_e64 v53, 0, 1, s14
	s_and_b32 s14, s14, exec_lo
	s_or_b32 s28, s28, s14
.LBB685_95:                             ;   in Loop: Header=BB685_86 Depth=1
	s_or_b32 exec_lo, exec_lo, s15
	s_waitcnt lgkmcnt(2)
	ds_bpermute_b32 v54, v43, v21
	s_waitcnt lgkmcnt(2)
	ds_bpermute_b32 v55, v43, v22
	s_waitcnt lgkmcnt(2)
	ds_bpermute_b32 v56, v43, v53
	s_mov_b32 s29, exec_lo
	v_cmpx_le_u32_e64 v44, v51
	s_cbranch_execz .LBB685_97
; %bb.96:                               ;   in Loop: Header=BB685_86 Depth=1
	v_cmp_eq_u16_sdwa vcc_lo, v52, v14 src0_sel:BYTE_0 src1_sel:DWORD
	v_and_b32_e32 v52, 1, v52
	s_waitcnt lgkmcnt(0)
	v_and_b32_e32 v53, 1, v56
	v_cndmask_b32_e32 v55, 0, v55, vcc_lo
	v_cndmask_b32_e32 v54, 0, v54, vcc_lo
	v_cmp_eq_u32_e32 vcc_lo, 1, v52
	v_cmp_eq_u32_e64 s14, 1, v53
	v_add_co_u32 v21, s15, v54, v21
	s_or_b32 s14, vcc_lo, s14
	v_add_co_ci_u32_e64 v22, null, v55, v22, s15
	v_cndmask_b32_e64 v52, 0, 1, s14
	v_cndmask_b32_e64 v53, 0, 1, s14
	s_andn2_b32 s15, s28, exec_lo
	s_and_b32 s14, s14, exec_lo
	s_or_b32 s28, s15, s14
.LBB685_97:                             ;   in Loop: Header=BB685_86 Depth=1
	s_or_b32 exec_lo, exec_lo, s29
	s_waitcnt lgkmcnt(2)
	ds_bpermute_b32 v54, v45, v21
	s_waitcnt lgkmcnt(2)
	ds_bpermute_b32 v55, v45, v22
	;; [unrolled: 2-line block ×3, first 2 shown]
	s_mov_b32 s29, exec_lo
	v_cmpx_le_u32_e64 v46, v51
	s_cbranch_execz .LBB685_99
; %bb.98:                               ;   in Loop: Header=BB685_86 Depth=1
	v_cmp_eq_u16_sdwa vcc_lo, v52, v14 src0_sel:BYTE_0 src1_sel:DWORD
	v_and_b32_e32 v52, 1, v52
	s_waitcnt lgkmcnt(0)
	v_and_b32_e32 v53, 1, v56
	v_cndmask_b32_e32 v55, 0, v55, vcc_lo
	v_cndmask_b32_e32 v54, 0, v54, vcc_lo
	v_cmp_eq_u32_e32 vcc_lo, 1, v52
	v_cmp_eq_u32_e64 s14, 1, v53
	v_add_co_u32 v21, s15, v54, v21
	s_or_b32 s14, vcc_lo, s14
	v_add_co_ci_u32_e64 v22, null, v55, v22, s15
	v_cndmask_b32_e64 v52, 0, 1, s14
	v_cndmask_b32_e64 v53, 0, 1, s14
	s_andn2_b32 s15, s28, exec_lo
	s_and_b32 s14, s14, exec_lo
	s_or_b32 s28, s15, s14
.LBB685_99:                             ;   in Loop: Header=BB685_86 Depth=1
	s_or_b32 exec_lo, exec_lo, s29
	s_waitcnt lgkmcnt(2)
	ds_bpermute_b32 v54, v48, v21
	s_waitcnt lgkmcnt(2)
	ds_bpermute_b32 v55, v48, v22
	ds_bpermute_b32 v53, v48, v53
	s_mov_b32 s29, exec_lo
	v_cmpx_le_u32_e64 v49, v51
	s_cbranch_execz .LBB685_84
; %bb.100:                              ;   in Loop: Header=BB685_86 Depth=1
	v_cmp_eq_u16_sdwa vcc_lo, v52, v14 src0_sel:BYTE_0 src1_sel:DWORD
	v_and_b32_e32 v51, 1, v52
	s_waitcnt lgkmcnt(0)
	v_and_b32_e32 v52, 1, v53
	v_cndmask_b32_e32 v54, 0, v54, vcc_lo
	v_cndmask_b32_e32 v53, 0, v55, vcc_lo
	v_cmp_eq_u32_e32 vcc_lo, 1, v51
	v_cmp_eq_u32_e64 s14, 1, v52
	v_add_co_u32 v21, s15, v54, v21
	v_add_co_ci_u32_e64 v22, null, v53, v22, s15
	s_or_b32 s14, vcc_lo, s14
	s_andn2_b32 s15, s28, exec_lo
	s_and_b32 s14, s14, exec_lo
	s_or_b32 s28, s15, s14
	s_branch .LBB685_84
.LBB685_101:
	s_or_b32 exec_lo, exec_lo, s28
                                        ; implicit-def: $vgpr3_vgpr4
	s_and_saveexec_b32 s28, s0
	s_cbranch_execz .LBB685_29
.LBB685_102:
	v_add_co_u32 v3, s0, s13, v27
	v_add_co_ci_u32_e64 v4, null, s16, 0, s0
	flat_load_dwordx2 v[3:4], v[3:4]
	s_or_b32 exec_lo, exec_lo, s28
                                        ; implicit-def: $vgpr5_vgpr6
	s_and_saveexec_b32 s0, s1
	s_cbranch_execnz .LBB685_30
.LBB685_103:
	s_or_b32 exec_lo, exec_lo, s0
                                        ; implicit-def: $vgpr7_vgpr8
	s_and_saveexec_b32 s0, s2
	s_cbranch_execz .LBB685_31
.LBB685_104:
	v_add_co_u32 v7, s1, s13, v29
	v_add_co_ci_u32_e64 v8, null, s16, 0, s1
	flat_load_dwordx2 v[7:8], v[7:8]
	s_or_b32 exec_lo, exec_lo, s0
                                        ; implicit-def: $vgpr9_vgpr10
	s_and_saveexec_b32 s0, s3
	s_cbranch_execnz .LBB685_32
.LBB685_105:
	s_or_b32 exec_lo, exec_lo, s0
                                        ; implicit-def: $vgpr11_vgpr12
	s_and_saveexec_b32 s0, s4
	s_cbranch_execz .LBB685_33
.LBB685_106:
	v_add_co_u32 v11, s1, s13, v31
	v_add_co_ci_u32_e64 v12, null, s16, 0, s1
	flat_load_dwordx2 v[11:12], v[11:12]
	s_or_b32 exec_lo, exec_lo, s0
                                        ; implicit-def: $vgpr13_vgpr14
	s_and_saveexec_b32 s0, s5
	s_cbranch_execnz .LBB685_34
.LBB685_107:
	s_or_b32 exec_lo, exec_lo, s0
                                        ; implicit-def: $vgpr15_vgpr16
	s_and_saveexec_b32 s0, s7
	s_cbranch_execz .LBB685_35
.LBB685_108:
	v_add_co_u32 v15, s1, s13, v33
	v_add_co_ci_u32_e64 v16, null, s16, 0, s1
	flat_load_dwordx2 v[15:16], v[15:16]
	s_or_b32 exec_lo, exec_lo, s0
                                        ; implicit-def: $vgpr17_vgpr18
	s_and_saveexec_b32 s0, s8
	s_cbranch_execnz .LBB685_36
.LBB685_109:
	s_or_b32 exec_lo, exec_lo, s0
                                        ; implicit-def: $vgpr19_vgpr20
	s_and_saveexec_b32 s0, s9
	s_cbranch_execz .LBB685_37
.LBB685_110:
	v_add_co_u32 v19, s1, s13, v35
	v_add_co_ci_u32_e64 v20, null, s16, 0, s1
	flat_load_dwordx2 v[19:20], v[19:20]
	s_or_b32 exec_lo, exec_lo, s0
                                        ; implicit-def: $vgpr21_vgpr22
	s_and_saveexec_b32 s0, s10
	s_cbranch_execnz .LBB685_38
.LBB685_111:
	s_or_b32 exec_lo, exec_lo, s0
                                        ; implicit-def: $vgpr23_vgpr24
	s_and_saveexec_b32 s0, s11
	s_cbranch_execz .LBB685_113
.LBB685_112:
	v_add_co_u32 v23, s1, s13, v37
	v_add_co_ci_u32_e64 v24, null, s16, 0, s1
	flat_load_dwordx2 v[23:24], v[23:24]
.LBB685_113:
	s_or_b32 exec_lo, exec_lo, s0
	v_mul_u32_u24_e32 v98, 13, v0
                                        ; implicit-def: $vgpr25_vgpr26
	s_and_saveexec_b32 s0, s12
	s_cbranch_execz .LBB685_115
; %bb.114:
	v_add_co_u32 v25, s1, s13, v38
	v_add_co_ci_u32_e64 v26, null, s16, 0, s1
	flat_load_dwordx2 v[25:26], v[25:26]
.LBB685_115:
	s_or_b32 exec_lo, exec_lo, s0
	s_waitcnt vmcnt(0) lgkmcnt(0)
	ds_write2st64_b64 v39, v[1:2], v[3:4] offset1:4
	ds_write2st64_b64 v39, v[5:6], v[7:8] offset0:8 offset1:12
	ds_write2st64_b64 v39, v[9:10], v[11:12] offset0:16 offset1:20
	;; [unrolled: 1-line block ×5, first 2 shown]
	ds_write_b64 v39, v[25:26] offset:24576
	v_mov_b32_e32 v5, 0
	v_mov_b32_e32 v37, 0
	;; [unrolled: 1-line block ×22, first 2 shown]
	v_cmp_gt_u32_e32 vcc_lo, s33, v98
	v_mov_b32_e32 v6, 0
	v_mov_b32_e32 v87, 0
	;; [unrolled: 1-line block ×45, first 2 shown]
	s_mov_b32 s28, 0
	s_mov_b32 s1, 0
	s_waitcnt lgkmcnt(0)
	s_barrier
	buffer_gl0_inv
                                        ; implicit-def: $vgpr47_vgpr48
	s_and_saveexec_b32 s29, vcc_lo
	s_cbranch_execz .LBB685_139
; %bb.116:
	ds_read_b64 v[1:2], v95
	v_add_nc_u32_e32 v3, 1, v98
	v_mov_b32_e32 v5, 0
	v_mov_b32_e32 v37, 0
	;; [unrolled: 1-line block ×4, first 2 shown]
	v_cmp_gt_u32_e64 s0, s33, v3
	v_mov_b32_e32 v13, 0
	v_mov_b32_e32 v33, 0
	;; [unrolled: 1-line block ×59, first 2 shown]
	v_cmp_ne_u64_e32 vcc_lo, 0, v[65:66]
                                        ; implicit-def: $vgpr47_vgpr48
	s_and_saveexec_b32 s40, s0
	s_cbranch_execz .LBB685_138
; %bb.117:
	ds_read2_b64 v[25:28], v95 offset0:1 offset1:2
	v_add_nc_u32_e32 v3, 2, v98
	v_mov_b32_e32 v5, 0
	v_cmp_ne_u64_e64 s0, 0, v[67:68]
	v_mov_b32_e32 v37, 0
	v_mov_b32_e32 v9, 0
	;; [unrolled: 1-line block ×20, first 2 shown]
	v_cmp_gt_u32_e64 s1, s33, v3
	v_mov_b32_e32 v88, 0
	v_mov_b32_e32 v38, 0
	;; [unrolled: 1-line block ×36, first 2 shown]
	s_mov_b32 s2, 0
                                        ; implicit-def: $vgpr47_vgpr48
	s_and_saveexec_b32 s41, s1
	s_cbranch_execz .LBB685_137
; %bb.118:
	v_add_nc_u32_e32 v3, 3, v98
	v_mov_b32_e32 v5, 0
	v_cmp_ne_u64_e64 s1, 0, v[61:62]
	v_mov_b32_e32 v37, 0
	v_mov_b32_e32 v9, 0
	;; [unrolled: 1-line block ×19, first 2 shown]
	v_cmp_gt_u32_e64 s2, s33, v3
	v_mov_b32_e32 v38, 0
	v_mov_b32_e32 v89, 0
	;; [unrolled: 1-line block ×31, first 2 shown]
	s_mov_b32 s3, 0
                                        ; implicit-def: $vgpr47_vgpr48
	s_and_saveexec_b32 s42, s2
	s_cbranch_execz .LBB685_136
; %bb.119:
	ds_read2_b64 v[29:32], v95 offset0:3 offset1:4
	v_add_nc_u32_e32 v3, 4, v98
	v_mov_b32_e32 v5, 0
	v_cmp_ne_u64_e64 s2, 0, v[63:64]
	v_mov_b32_e32 v37, 0
	v_mov_b32_e32 v9, 0
	;; [unrolled: 1-line block ×16, first 2 shown]
	v_cmp_gt_u32_e64 s3, s33, v3
	v_mov_b32_e32 v88, 0
	v_mov_b32_e32 v38, 0
	;; [unrolled: 1-line block ×28, first 2 shown]
	s_mov_b32 s4, 0
                                        ; implicit-def: $vgpr47_vgpr48
	s_and_saveexec_b32 s43, s3
	s_cbranch_execz .LBB685_135
; %bb.120:
	v_add_nc_u32_e32 v3, 5, v98
	v_mov_b32_e32 v5, 0
	v_cmp_ne_u64_e64 s3, 0, v[57:58]
	v_mov_b32_e32 v37, 0
	v_mov_b32_e32 v9, 0
	;; [unrolled: 1-line block ×15, first 2 shown]
	v_cmp_gt_u32_e64 s4, s33, v3
	v_mov_b32_e32 v38, 0
	v_mov_b32_e32 v89, 0
	;; [unrolled: 1-line block ×23, first 2 shown]
	s_mov_b32 s5, 0
                                        ; implicit-def: $vgpr47_vgpr48
	s_and_saveexec_b32 s44, s4
	s_cbranch_execz .LBB685_134
; %bb.121:
	ds_read2_b64 v[33:36], v95 offset0:5 offset1:6
	v_add_nc_u32_e32 v3, 6, v98
	v_mov_b32_e32 v5, 0
	v_cmp_ne_u64_e64 s4, 0, v[59:60]
	v_mov_b32_e32 v37, 0
	v_mov_b32_e32 v9, 0
	;; [unrolled: 1-line block ×12, first 2 shown]
	v_cmp_gt_u32_e64 s5, s33, v3
	v_mov_b32_e32 v88, 0
	v_mov_b32_e32 v38, 0
	;; [unrolled: 1-line block ×20, first 2 shown]
	s_mov_b32 s7, 0
                                        ; implicit-def: $vgpr47_vgpr48
	s_and_saveexec_b32 s45, s5
	s_cbranch_execz .LBB685_133
; %bb.122:
	v_mov_b32_e32 v5, 0
	v_cmp_ne_u64_e64 s5, 0, v[43:44]
	v_mov_b32_e32 v37, 0
	v_mov_b32_e32 v9, 0
	;; [unrolled: 1-line block ×8, first 2 shown]
	v_add_nc_u32_e32 v3, 7, v98
	v_mov_b32_e32 v6, 0
	v_mov_b32_e32 v87, 0
	;; [unrolled: 1-line block ×18, first 2 shown]
	s_mov_b32 s8, 0
	s_mov_b32 s46, exec_lo
                                        ; implicit-def: $vgpr47_vgpr48
	v_cmpx_gt_u32_e64 s33, v3
	s_cbranch_execz .LBB685_132
; %bb.123:
	ds_read2_b64 v[41:44], v95 offset0:7 offset1:8
	v_mov_b32_e32 v5, 0
	v_cmp_ne_u64_e64 s7, 0, v[45:46]
	v_mov_b32_e32 v37, 0
	v_mov_b32_e32 v9, 0
	;; [unrolled: 1-line block ×6, first 2 shown]
	v_add_nc_u32_e32 v3, 8, v98
	v_mov_b32_e32 v6, 0
	v_mov_b32_e32 v87, 0
	;; [unrolled: 1-line block ×14, first 2 shown]
	s_mov_b32 s9, 0
	s_mov_b32 s47, exec_lo
                                        ; implicit-def: $vgpr47_vgpr48
	v_cmpx_gt_u32_e64 s33, v3
	s_cbranch_execz .LBB685_131
; %bb.124:
	v_mov_b32_e32 v5, 0
	v_cmp_ne_u64_e64 s8, 0, v[53:54]
	v_mov_b32_e32 v37, 0
	v_mov_b32_e32 v7, 0
	;; [unrolled: 1-line block ×4, first 2 shown]
	v_add_nc_u32_e32 v3, 9, v98
	v_mov_b32_e32 v6, 0
	v_mov_b32_e32 v87, 0
	;; [unrolled: 1-line block ×9, first 2 shown]
	s_mov_b32 s10, 0
	s_mov_b32 s48, exec_lo
                                        ; implicit-def: $vgpr47_vgpr48
	v_cmpx_gt_u32_e64 s33, v3
	s_cbranch_execz .LBB685_130
; %bb.125:
	ds_read2_b64 v[37:40], v95 offset0:9 offset1:10
	v_mov_b32_e32 v5, 0
	v_cmp_ne_u64_e64 s9, 0, v[55:56]
	v_mov_b32_e32 v7, 0
	v_mov_b32_e32 v69, 0
	v_add_nc_u32_e32 v3, 10, v98
	v_mov_b32_e32 v6, 0
	v_mov_b32_e32 v87, 0
	;; [unrolled: 1-line block ×5, first 2 shown]
	s_mov_b32 s11, 0
	s_mov_b32 s49, exec_lo
                                        ; implicit-def: $vgpr47_vgpr48
	v_cmpx_gt_u32_e64 s33, v3
	s_cbranch_execz .LBB685_129
; %bb.126:
	v_mov_b32_e32 v7, 0
	v_cmp_ne_u64_e64 s10, 0, v[49:50]
	v_add_nc_u32_e32 v3, 11, v98
	v_mov_b32_e32 v8, 0
	v_mov_b32_e32 v75, 0
	s_mov_b32 s12, 0
	s_mov_b32 s50, exec_lo
                                        ; implicit-def: $vgpr47_vgpr48
	v_cmpx_gt_u32_e64 s33, v3
	s_xor_b32 s50, exec_lo, s50
	s_cbranch_execz .LBB685_128
; %bb.127:
	ds_read2_b64 v[45:48], v95 offset0:11 offset1:12
	v_add_nc_u32_e32 v3, 12, v98
	v_cmp_ne_u64_e64 s12, 0, v[51:52]
	v_cmp_gt_u32_e64 s11, s33, v3
	v_cndmask_b32_e64 v75, 0, 1, s12
	s_and_b32 s12, s11, exec_lo
	s_waitcnt lgkmcnt(0)
	v_mov_b32_e32 v7, v45
	v_mov_b32_e32 v8, v46
.LBB685_128:
	s_or_b32 exec_lo, exec_lo, s50
	s_waitcnt lgkmcnt(0)
	v_mov_b32_e32 v5, v39
	v_mov_b32_e32 v70, v40
	v_cndmask_b32_e64 v87, 0, 1, s10
	v_mov_b32_e32 v6, v40
	v_mov_b32_e32 v69, v39
	s_and_b32 s11, s12, exec_lo
.LBB685_129:
	s_or_b32 exec_lo, exec_lo, s49
	v_cndmask_b32_e64 v88, 0, 1, s9
	s_waitcnt lgkmcnt(0)
	v_mov_b32_e32 v11, v37
	v_mov_b32_e32 v12, v38
	s_and_b32 s10, s11, exec_lo
	v_mov_b32_e32 v76, v88
.LBB685_130:
	s_or_b32 exec_lo, exec_lo, s48
	v_cndmask_b32_e64 v89, 0, 1, s8
	s_waitcnt lgkmcnt(0)
	v_mov_b32_e32 v9, v43
	v_mov_b32_e32 v39, v43
	;; [unrolled: 1-line block ×6, first 2 shown]
	s_and_b32 s9, s10, exec_lo
.LBB685_131:
	s_or_b32 exec_lo, exec_lo, s47
	v_cndmask_b32_e64 v90, 0, 1, s7
	s_waitcnt lgkmcnt(0)
	v_mov_b32_e32 v15, v41
	v_mov_b32_e32 v16, v42
	s_and_b32 s8, s9, exec_lo
	v_mov_b32_e32 v79, v90
.LBB685_132:
	s_or_b32 exec_lo, exec_lo, s46
	v_cndmask_b32_e64 v91, 0, 1, s5
	s_waitcnt lgkmcnt(0)
	v_mov_b32_e32 v13, v35
	v_mov_b32_e32 v72, v36
	;; [unrolled: 1-line block ×5, first 2 shown]
	s_and_b32 s7, s8, exec_lo
.LBB685_133:
	s_or_b32 exec_lo, exec_lo, s45
	v_cndmask_b32_e64 v92, 0, 1, s4
	s_waitcnt lgkmcnt(0)
	v_mov_b32_e32 v19, v33
	v_mov_b32_e32 v20, v34
	s_and_b32 s5, s7, exec_lo
	v_mov_b32_e32 v82, v92
.LBB685_134:
	s_or_b32 exec_lo, exec_lo, s44
	v_cndmask_b32_e64 v93, 0, 1, s3
	s_waitcnt lgkmcnt(0)
	v_mov_b32_e32 v17, v31
	v_mov_b32_e32 v36, v32
	;; [unrolled: 1-line block ×5, first 2 shown]
	s_and_b32 s4, s5, exec_lo
.LBB685_135:
	s_or_b32 exec_lo, exec_lo, s43
	v_cndmask_b32_e64 v94, 0, 1, s2
	s_waitcnt lgkmcnt(0)
	v_mov_b32_e32 v23, v29
	v_mov_b32_e32 v24, v30
	s_and_b32 s3, s4, exec_lo
	v_mov_b32_e32 v84, v94
.LBB685_136:
	s_or_b32 exec_lo, exec_lo, s42
	v_cndmask_b32_e64 v96, 0, 1, s1
	s_waitcnt lgkmcnt(0)
	v_mov_b32_e32 v21, v27
	v_mov_b32_e32 v32, v28
	;; [unrolled: 1-line block ×5, first 2 shown]
	s_and_b32 s2, s3, exec_lo
.LBB685_137:
	s_or_b32 exec_lo, exec_lo, s41
	v_cndmask_b32_e64 v97, 0, 1, s0
	s_waitcnt lgkmcnt(0)
	v_mov_b32_e32 v3, v25
	v_mov_b32_e32 v4, v26
	s_and_b32 s1, s2, exec_lo
	v_mov_b32_e32 v86, v97
.LBB685_138:
	s_or_b32 exec_lo, exec_lo, s40
	v_cndmask_b32_e64 v99, 0, 1, vcc_lo
	s_and_b32 s1, s1, exec_lo
	v_mov_b32_e32 v81, v99
.LBB685_139:
	s_or_b32 exec_lo, exec_lo, s29
	v_lshlrev_b32_e32 v59, 3, v0
	s_and_b32 vcc_lo, exec_lo, s28
	s_cbranch_vccnz .LBB685_40
	s_branch .LBB685_41
.LBB685_140:
                                        ; implicit-def: $vgpr55_vgpr56
                                        ; implicit-def: $vgpr53_vgpr54
                                        ; implicit-def: $vgpr49_vgpr50
                                        ; implicit-def: $vgpr45_vgpr46
                                        ; implicit-def: $vgpr41_vgpr42
                                        ; implicit-def: $vgpr33_vgpr34
                                        ; implicit-def: $vgpr25_vgpr26
                                        ; implicit-def: $vgpr51_vgpr52
                                        ; implicit-def: $vgpr47_vgpr48
                                        ; implicit-def: $vgpr43_vgpr44
                                        ; implicit-def: $vgpr37_vgpr38
                                        ; implicit-def: $vgpr29_vgpr30
                                        ; implicit-def: $vgpr57_vgpr58
	s_cbranch_execnz .LBB685_146
	s_branch .LBB685_175
.LBB685_141:
	s_and_saveexec_b32 s14, s13
	s_cbranch_execz .LBB685_143
; %bb.142:
	v_mov_b32_e32 v13, 0
	v_or_b32_e32 v14, v33, v47
	s_mov_b32 s21, 0
	s_add_i32 s20, s6, 32
	v_mov_b32_e32 v21, 2
	v_cmp_eq_u32_sdwa vcc_lo, v33, v13 src0_sel:BYTE_0 src1_sel:DWORD
	s_lshl_b64 s[28:29], s[20:21], 4
	v_mov_b32_e32 v34, s20
	v_and_b32_e32 v14, 1, v14
	s_add_u32 s20, s22, s28
	v_cndmask_b32_e32 v33, 0, v17, vcc_lo
	v_cndmask_b32_e32 v22, 0, v18, vcc_lo
	s_addc_u32 s21, s23, s29
	v_add_co_u32 v9, vcc_lo, v33, v9
	v_add_co_ci_u32_e64 v10, null, v22, v10, vcc_lo
	global_store_byte v13, v14, s[20:21] offset:8
	global_store_dwordx2 v13, v[9:10], s[20:21]
	s_waitcnt lgkmcnt(0)
	s_waitcnt_vscnt null, 0x0
	buffer_gl1_inv
	buffer_gl0_inv
	global_store_byte v34, v21, s[24:25]
.LBB685_143:
	s_or_b32 exec_lo, exec_lo, s14
	v_cmp_eq_u32_e32 vcc_lo, 0, v0
	s_and_b32 exec_lo, exec_lo, vcc_lo
	s_cbranch_execz .LBB685_145
; %bb.144:
	v_mov_b32_e32 v9, 0
	ds_write_b64 v9, v[17:18] offset:112
	ds_write_b8 v9, v47 offset:120
.LBB685_145:
	s_or_b32 exec_lo, exec_lo, s16
	s_waitcnt lgkmcnt(0)
	v_cndmask_b32_e64 v9, v30, v25, s13
	v_and_b32_e32 v14, 1, v81
	v_mov_b32_e32 v13, 0
	s_waitcnt_vscnt null, 0x0
	s_barrier
	v_and_b32_e32 v17, 1, v9
	v_cmp_eq_u32_e32 vcc_lo, 1, v14
	buffer_gl0_inv
	ds_read_b64 v[9:10], v13 offset:112
	v_cndmask_b32_e64 v5, v26, v5, s13
	v_cmp_eq_u32_e64 s6, 1, v17
	v_cndmask_b32_e64 v6, v29, v6, s13
	s_or_b32 s6, vcc_lo, s6
	v_cmp_eq_u16_sdwa vcc_lo, v81, v13 src0_sel:BYTE_0 src1_sel:DWORD
	v_cndmask_b32_e64 v14, 0, 1, s6
	v_cmp_eq_u32_e64 s6, 0, v0
	v_cndmask_b32_e32 v5, 0, v5, vcc_lo
	v_cndmask_b32_e32 v6, 0, v6, vcc_lo
	v_cndmask_b32_e64 v14, v14, v81, s6
	v_cndmask_b32_e64 v5, v5, 0, s6
	;; [unrolled: 1-line block ×3, first 2 shown]
	v_cmp_eq_u16_sdwa vcc_lo, v14, v13 src0_sel:BYTE_0 src1_sel:DWORD
	s_waitcnt lgkmcnt(0)
	v_cndmask_b32_e32 v10, 0, v10, vcc_lo
	v_cndmask_b32_e32 v9, 0, v9, vcc_lo
	v_add_co_u32 v5, vcc_lo, v5, v1
	v_add_co_ci_u32_e64 v6, null, v6, v2, vcc_lo
	v_add_co_u32 v57, vcc_lo, v5, v9
	v_add_co_ci_u32_e64 v58, null, v6, v10, vcc_lo
	v_cndmask_b32_e64 v5, 0, v57, s11
	v_cndmask_b32_e64 v6, 0, v58, s11
	v_add_co_u32 v25, vcc_lo, v5, v3
	v_add_co_ci_u32_e64 v26, null, v6, v4, vcc_lo
	v_cndmask_b32_e64 v5, 0, v25, s12
	v_cndmask_b32_e64 v6, 0, v26, s12
	;; [unrolled: 4-line block ×12, first 2 shown]
	v_add_co_u32 v55, vcc_lo, v5, v27
	v_add_co_ci_u32_e64 v56, null, v6, v28, vcc_lo
	s_branch .LBB685_175
.LBB685_146:
	s_cmp_lg_u64 s[38:39], 0
	v_cmp_eq_u32_e32 vcc_lo, 0, v0
	s_cselect_b32 s1, -1, 0
	s_cmp_lg_u64 s[30:31], 0
	v_cmp_ne_u32_e64 s0, 0, v0
	s_cselect_b32 s2, -1, 0
	s_and_b32 s1, s1, s2
	s_and_b32 s1, vcc_lo, s1
	s_and_saveexec_b32 s2, s1
	s_cbranch_execz .LBB685_148
; %bb.147:
	v_mov_b32_e32 v9, 0
	s_clause 0x1
	global_load_dwordx2 v[5:6], v9, s[30:31]
	global_load_ubyte v10, v9, s[30:31] offset:8
	v_cmp_eq_u16_sdwa s1, v81, v9 src0_sel:BYTE_0 src1_sel:DWORD
	s_waitcnt vmcnt(1)
	v_cndmask_b32_e64 v5, 0, v5, s1
	v_cndmask_b32_e64 v6, 0, v6, s1
	s_waitcnt vmcnt(0)
	v_or_b32_e32 v9, v81, v10
	v_add_co_u32 v1, s1, v5, v1
	v_add_co_ci_u32_e64 v2, null, v6, v2, s1
	v_and_b32_e32 v81, 1, v9
.LBB685_148:
	s_or_b32 exec_lo, exec_lo, s2
	v_mov_b32_e32 v5, 0
	v_or_b32_e32 v10, v81, v86
	v_cmp_eq_u32_e64 s12, 1, v67
	v_cmp_eq_u32_e64 s15, 1, v66
	v_cmp_eq_u32_e64 s16, 1, v65
	v_cmp_eq_u16_sdwa s1, v86, v5 src0_sel:BYTE_0 src1_sel:DWORD
	v_cmp_ne_u16_sdwa s21, v63, v5 src0_sel:BYTE_0 src1_sel:DWORD
	v_cmp_ne_u16_sdwa s28, v64, v5 src0_sel:BYTE_0 src1_sel:DWORD
	;; [unrolled: 1-line block ×4, first 2 shown]
	v_cndmask_b32_e64 v9, 0, v1, s1
	v_cndmask_b32_e64 v6, 0, v2, s1
	s_or_b32 s21, s21, s12
	s_or_b32 s12, s28, s15
	v_cmp_eq_u32_e64 s14, 1, v68
	v_add_co_u32 v25, s2, v9, v3
	v_add_co_ci_u32_e64 v26, null, v6, v4, s2
	v_cmp_eq_u16_sdwa s2, v85, v5 src0_sel:BYTE_0 src1_sel:DWORD
	s_or_b32 s15, s16, s12
	v_cmp_eq_u32_e64 s13, 1, v73
	s_or_b32 s14, s29, s14
	v_and_b32_e32 v13, 15, v60
	v_cndmask_b32_e64 v9, 0, v25, s2
	v_cndmask_b32_e64 v6, 0, v26, s2
	s_or_b32 s14, s15, s14
	s_or_b32 s13, s20, s13
	s_or_b32 s14, s14, s21
	v_add_co_u32 v29, s3, v9, v31
	v_add_co_ci_u32_e64 v30, null, v6, v32, s3
	v_cmp_eq_u16_sdwa s3, v84, v5 src0_sel:BYTE_0 src1_sel:DWORD
	s_or_b32 s14, s14, s13
	s_mov_b32 s15, exec_lo
	v_cndmask_b32_e64 v17, 0, 1, s14
	v_cndmask_b32_e64 v9, 0, v29, s3
	;; [unrolled: 1-line block ×3, first 2 shown]
	v_mov_b32_dpp v14, v17 row_shr:1 row_mask:0xf bank_mask:0xf
	v_add_co_u32 v33, s4, v9, v23
	v_add_co_ci_u32_e64 v34, null, v6, v24, s4
	v_cmp_eq_u16_sdwa s4, v83, v5 src0_sel:BYTE_0 src1_sel:DWORD
	v_cndmask_b32_e64 v9, 0, v33, s4
	v_cndmask_b32_e64 v6, 0, v34, s4
	v_add_co_u32 v37, s5, v9, v35
	v_add_co_ci_u32_e64 v38, null, v6, v36, s5
	v_cmp_eq_u16_sdwa s5, v82, v5 src0_sel:BYTE_0 src1_sel:DWORD
	v_cndmask_b32_e64 v9, 0, v37, s5
	v_cndmask_b32_e64 v6, 0, v38, s5
	;; [unrolled: 5-line block ×8, first 2 shown]
	v_add_co_u32 v53, s12, v6, v7
	v_add_co_ci_u32_e64 v54, null, v5, v8, s12
	v_cmp_eq_u16_e64 s12, 0, v61
	v_cndmask_b32_e64 v6, 0, v53, s12
	v_cndmask_b32_e64 v5, 0, v54, s12
	v_add_co_u32 v55, s13, v6, v27
	v_add_co_ci_u32_e64 v56, null, v5, v28, s13
	v_mov_b32_e32 v5, v55
	v_mov_b32_dpp v18, v55 row_shr:1 row_mask:0xf bank_mask:0xf
	v_mov_b32_dpp v21, v56 row_shr:1 row_mask:0xf bank_mask:0xf
	v_mov_b32_e32 v6, v56
	v_mov_b32_e32 v10, v56
	;; [unrolled: 1-line block ×3, first 2 shown]
	v_cmpx_ne_u32_e32 0, v13
	s_cbranch_execz .LBB685_150
; %bb.149:
	v_cndmask_b32_e64 v5, v18, 0, s14
	v_cndmask_b32_e64 v6, v21, 0, s14
	v_and_or_b32 v17, v14, 1, v17
	v_add_co_u32 v5, s13, v55, v5
	v_add_co_ci_u32_e64 v6, null, v56, v6, s13
	v_mov_b32_e32 v9, v5
	v_mov_b32_e32 v10, v6
.LBB685_150:
	s_or_b32 exec_lo, exec_lo, s15
	v_mov_b32_dpp v18, v9 row_shr:2 row_mask:0xf bank_mask:0xf
	v_mov_b32_dpp v21, v10 row_shr:2 row_mask:0xf bank_mask:0xf
	v_mov_b32_dpp v14, v17 row_shr:2 row_mask:0xf bank_mask:0xf
	s_mov_b32 s14, exec_lo
	v_cmpx_lt_u32_e32 1, v13
	s_cbranch_execz .LBB685_152
; %bb.151:
	v_cmp_eq_u16_e64 s13, 0, v17
	v_or_b32_e32 v14, v14, v17
	v_cndmask_b32_e64 v9, 0, v18, s13
	v_cndmask_b32_e64 v10, 0, v21, s13
	v_and_b32_e32 v17, 1, v14
	v_add_co_u32 v9, s13, v9, v5
	v_add_co_ci_u32_e64 v10, null, v10, v6, s13
	v_mov_b32_e32 v5, v9
	v_mov_b32_e32 v6, v10
.LBB685_152:
	s_or_b32 exec_lo, exec_lo, s14
	v_mov_b32_dpp v18, v9 row_shr:4 row_mask:0xf bank_mask:0xf
	v_mov_b32_dpp v21, v10 row_shr:4 row_mask:0xf bank_mask:0xf
	v_mov_b32_dpp v14, v17 row_shr:4 row_mask:0xf bank_mask:0xf
	s_mov_b32 s14, exec_lo
	v_cmpx_lt_u32_e32 3, v13
	s_cbranch_execz .LBB685_154
; %bb.153:
	v_cmp_eq_u16_e64 s13, 0, v17
	v_or_b32_e32 v14, v14, v17
	v_cndmask_b32_e64 v9, 0, v18, s13
	v_cndmask_b32_e64 v10, 0, v21, s13
	v_and_b32_e32 v17, 1, v14
	v_add_co_u32 v9, s13, v9, v5
	v_add_co_ci_u32_e64 v10, null, v10, v6, s13
	v_mov_b32_e32 v5, v9
	v_mov_b32_e32 v6, v10
.LBB685_154:
	;; [unrolled: 18-line block ×3, first 2 shown]
	s_or_b32 exec_lo, exec_lo, s14
	ds_swizzle_b32 v9, v9 offset:swizzle(BROADCAST,32,15)
	ds_swizzle_b32 v10, v10 offset:swizzle(BROADCAST,32,15)
	;; [unrolled: 1-line block ×3, first 2 shown]
	v_and_b32_e32 v13, 16, v60
	v_cmp_ne_u32_e64 s13, 0, v13
	v_mov_b32_e32 v13, v17
	s_and_saveexec_b32 s16, s13
	s_cbranch_execz .LBB685_158
; %bb.157:
	v_cmp_eq_u16_e64 s13, 0, v17
	v_and_b32_e32 v13, 1, v17
	s_waitcnt lgkmcnt(0)
	v_and_b32_e32 v14, 1, v14
	v_cndmask_b32_e64 v10, 0, v10, s13
	v_cndmask_b32_e64 v9, 0, v9, s13
	v_cmp_eq_u32_e64 s13, 1, v13
	v_cmp_eq_u32_e64 s14, 1, v14
	v_add_co_u32 v5, s15, v9, v5
	s_or_b32 s13, s13, s14
	v_add_co_ci_u32_e64 v6, null, v10, v6, s15
	v_cndmask_b32_e64 v17, 0, 1, s13
	v_cndmask_b32_e64 v13, 0, 1, s13
.LBB685_158:
	s_or_b32 exec_lo, exec_lo, s16
	s_waitcnt lgkmcnt(2)
	v_or_b32_e32 v9, 31, v0
	s_waitcnt lgkmcnt(0)
	v_lshrrev_b32_e32 v14, 5, v0
	s_mov_b32 s14, exec_lo
	v_cmpx_eq_u32_e64 v0, v9
	s_cbranch_execz .LBB685_160
; %bb.159:
	v_lshlrev_b32_e32 v9, 4, v14
	ds_write_b64 v9, v[5:6]
	ds_write_b8 v9, v17 offset:8
.LBB685_160:
	s_or_b32 exec_lo, exec_lo, s14
	s_mov_b32 s16, exec_lo
	s_waitcnt lgkmcnt(0)
	s_barrier
	buffer_gl0_inv
	v_cmpx_gt_u32_e32 8, v0
	s_cbranch_execz .LBB685_168
; %bb.161:
	v_lshlrev_b32_e32 v17, 4, v0
	v_and_b32_e32 v18, 7, v60
	s_mov_b32 s14, exec_lo
	ds_read_b64 v[9:10], v17
	ds_read_b32 v58, v17 offset:8
	s_waitcnt lgkmcnt(1)
	v_mov_b32_dpp v61, v9 row_shr:1 row_mask:0xf bank_mask:0xf
	v_mov_b32_dpp v62, v10 row_shr:1 row_mask:0xf bank_mask:0xf
	s_waitcnt lgkmcnt(0)
	v_and_b32_e32 v22, 0xffffff00, v58
	v_mov_b32_dpp v63, v58 row_shr:1 row_mask:0xf bank_mask:0xf
	v_mov_b32_e32 v57, v58
	v_mov_b32_e32 v21, v58
	v_cmpx_ne_u32_e32 0, v18
	s_cbranch_execz .LBB685_163
; %bb.162:
	v_mov_b32_e32 v21, 0
	v_cmp_eq_u16_sdwa s13, v58, v21 src0_sel:BYTE_0 src1_sel:DWORD
	v_or_b32_e32 v21, v63, v58
	v_cndmask_b32_e64 v61, 0, v61, s13
	v_cndmask_b32_e64 v58, 0, v62, s13
	v_and_b32_e32 v57, 1, v21
	v_and_b32_e32 v21, 1, v21
	v_add_co_u32 v9, s13, v61, v9
	v_add_co_ci_u32_e64 v10, null, v58, v10, s13
	v_or_b32_e32 v58, v21, v22
.LBB685_163:
	s_or_b32 exec_lo, exec_lo, s14
	v_mov_b32_dpp v61, v9 row_shr:2 row_mask:0xf bank_mask:0xf
	v_mov_b32_dpp v62, v10 row_shr:2 row_mask:0xf bank_mask:0xf
	;; [unrolled: 1-line block ×3, first 2 shown]
	s_mov_b32 s20, exec_lo
	v_cmpx_lt_u32_e32 1, v18
	s_cbranch_execz .LBB685_165
; %bb.164:
	v_mov_b32_e32 v57, 0
	v_and_b32_e32 v58, 1, v21
	v_and_b32_e32 v63, 1, v63
	v_cmp_eq_u16_sdwa s13, v21, v57 src0_sel:BYTE_0 src1_sel:DWORD
	v_cmp_eq_u32_e64 s14, 1, v58
	v_cmp_eq_u32_e64 s15, 1, v63
	v_cndmask_b32_e64 v21, 0, v62, s13
	v_cndmask_b32_e64 v58, 0, v61, s13
	s_or_b32 s13, s14, s15
	v_cndmask_b32_e64 v57, 0, 1, s13
	v_cndmask_b32_e64 v61, 0, 1, s13
	v_add_co_u32 v9, s13, v58, v9
	v_add_co_ci_u32_e64 v10, null, v21, v10, s13
	v_or_b32_e32 v58, v22, v61
	v_mov_b32_e32 v21, v57
.LBB685_165:
	s_or_b32 exec_lo, exec_lo, s20
	v_mov_b32_dpp v22, v9 row_shr:4 row_mask:0xf bank_mask:0xf
	v_mov_b32_dpp v61, v10 row_shr:4 row_mask:0xf bank_mask:0xf
	;; [unrolled: 1-line block ×3, first 2 shown]
	s_mov_b32 s20, exec_lo
	v_cmpx_lt_u32_e32 3, v18
	s_cbranch_execz .LBB685_167
; %bb.166:
	v_mov_b32_e32 v18, 0
	v_cmp_eq_u16_sdwa s13, v21, v18 src0_sel:BYTE_0 src1_sel:DWORD
	v_and_b32_e32 v18, 1, v21
	v_and_b32_e32 v21, 1, v58
	v_cndmask_b32_e64 v57, 0, v61, s13
	v_cndmask_b32_e64 v22, 0, v22, s13
	v_cmp_eq_u32_e64 s13, 1, v18
	v_cmp_eq_u32_e64 s14, 1, v21
	v_add_co_u32 v9, s15, v22, v9
	s_or_b32 s13, s13, s14
	v_add_co_ci_u32_e64 v10, null, v57, v10, s15
	v_cndmask_b32_e64 v57, 0, 1, s13
.LBB685_167:
	s_or_b32 exec_lo, exec_lo, s20
	ds_write_b64 v17, v[9:10]
	ds_write_b8 v17, v57 offset:8
.LBB685_168:
	s_or_b32 exec_lo, exec_lo, s16
	v_mov_b32_e32 v9, 0
	v_mov_b32_e32 v10, 0
	s_mov_b32 s14, exec_lo
	s_waitcnt lgkmcnt(0)
	s_barrier
	buffer_gl0_inv
	v_cmpx_lt_u32_e32 31, v0
	s_cbranch_execz .LBB685_170
; %bb.169:
	v_lshl_add_u32 v9, v14, 4, -16
	v_cmp_eq_u32_e64 s13, 0, v13
	ds_read_b64 v[9:10], v9
	s_waitcnt lgkmcnt(0)
	v_cndmask_b32_e64 v14, 0, v9, s13
	v_cndmask_b32_e64 v13, 0, v10, s13
	v_add_co_u32 v5, s13, v14, v5
	v_add_co_ci_u32_e64 v6, null, v13, v6, s13
.LBB685_170:
	s_or_b32 exec_lo, exec_lo, s14
	v_add_nc_u32_e32 v13, -1, v60
	v_cmp_gt_i32_e64 s13, 0, v13
	v_cndmask_b32_e64 v13, v13, v60, s13
	v_lshlrev_b32_e32 v13, 2, v13
	ds_bpermute_b32 v5, v13, v5
	ds_bpermute_b32 v6, v13, v6
	s_and_saveexec_b32 s13, s0
	s_cbranch_execz .LBB685_172
; %bb.171:
	v_cmp_eq_u32_e64 s0, 0, v60
	v_mov_b32_e32 v13, 0
	;;#ASMSTART
	;;#ASMEND
	s_waitcnt lgkmcnt(1)
	v_cndmask_b32_e64 v5, v5, v9, s0
	s_waitcnt lgkmcnt(0)
	v_cndmask_b32_e64 v6, v6, v10, s0
	v_cmp_eq_u16_sdwa s0, v81, v13 src0_sel:BYTE_0 src1_sel:DWORD
	v_cndmask_b32_e64 v5, 0, v5, s0
	v_cndmask_b32_e64 v6, 0, v6, s0
	v_add_co_u32 v1, s0, v5, v1
	v_add_co_ci_u32_e64 v2, null, v6, v2, s0
	v_cndmask_b32_e64 v5, 0, v1, s1
	v_cndmask_b32_e64 v6, 0, v2, s1
	v_add_co_u32 v25, s0, v5, v3
	v_add_co_ci_u32_e64 v26, null, v6, v4, s0
	v_cndmask_b32_e64 v3, 0, v25, s2
	v_cndmask_b32_e64 v4, 0, v26, s2
	v_add_co_u32 v29, s0, v3, v31
	v_add_co_ci_u32_e64 v30, null, v4, v32, s0
	v_cndmask_b32_e64 v3, 0, v29, s3
	v_cndmask_b32_e64 v4, 0, v30, s3
	v_add_co_u32 v33, s0, v3, v23
	v_add_co_ci_u32_e64 v34, null, v4, v24, s0
	v_cndmask_b32_e64 v3, 0, v33, s4
	v_cndmask_b32_e64 v4, 0, v34, s4
	v_add_co_u32 v37, s0, v3, v35
	v_add_co_ci_u32_e64 v38, null, v4, v36, s0
	v_cndmask_b32_e64 v3, 0, v37, s5
	v_cndmask_b32_e64 v4, 0, v38, s5
	v_add_co_u32 v41, s0, v3, v19
	v_add_co_ci_u32_e64 v42, null, v4, v20, s0
	v_cndmask_b32_e64 v3, 0, v41, s6
	v_cndmask_b32_e64 v4, 0, v42, s6
	v_add_co_u32 v43, s0, v3, v71
	v_add_co_ci_u32_e64 v44, null, v4, v72, s0
	v_cndmask_b32_e64 v3, 0, v43, s7
	v_cndmask_b32_e64 v4, 0, v44, s7
	v_add_co_u32 v45, s0, v3, v15
	v_add_co_ci_u32_e64 v46, null, v4, v16, s0
	v_cndmask_b32_e64 v3, 0, v45, s8
	v_cndmask_b32_e64 v4, 0, v46, s8
	v_add_co_u32 v47, s0, v3, v39
	v_add_co_ci_u32_e64 v48, null, v4, v40, s0
	v_cndmask_b32_e64 v3, 0, v47, s9
	v_cndmask_b32_e64 v4, 0, v48, s9
	v_add_co_u32 v49, s0, v3, v11
	v_add_co_ci_u32_e64 v50, null, v4, v12, s0
	v_cndmask_b32_e64 v3, 0, v49, s10
	v_cndmask_b32_e64 v4, 0, v50, s10
	v_add_co_u32 v51, s0, v3, v69
	v_add_co_ci_u32_e64 v52, null, v4, v70, s0
	v_cndmask_b32_e64 v3, 0, v51, s11
	v_cndmask_b32_e64 v4, 0, v52, s11
	v_add_co_u32 v53, s0, v3, v7
	v_add_co_ci_u32_e64 v54, null, v4, v8, s0
	v_cndmask_b32_e64 v3, 0, v53, s12
	v_cndmask_b32_e64 v4, 0, v54, s12
	v_add_co_u32 v55, s0, v3, v27
	v_add_co_ci_u32_e64 v56, null, v4, v28, s0
.LBB685_172:
	s_or_b32 exec_lo, exec_lo, s13
	s_and_saveexec_b32 s0, vcc_lo
	s_cbranch_execz .LBB685_174
; %bb.173:
	s_waitcnt lgkmcnt(1)
	v_mov_b32_e32 v5, 0
	v_mov_b32_e32 v7, 2
	ds_read_b64 v[3:4], v5 offset:112
	s_waitcnt lgkmcnt(1)
	ds_read_u8 v6, v5 offset:120
	s_waitcnt lgkmcnt(1)
	global_store_dwordx2 v5, v[3:4], s[22:23] offset:512
	s_waitcnt lgkmcnt(0)
	global_store_byte v5, v6, s[22:23] offset:520
	s_waitcnt_vscnt null, 0x0
	buffer_gl1_inv
	buffer_gl0_inv
	global_store_byte v5, v7, s[24:25] offset:32
.LBB685_174:
	s_or_b32 exec_lo, exec_lo, s0
	v_mov_b32_e32 v58, v2
	v_mov_b32_e32 v57, v1
.LBB685_175:
	s_add_u32 s0, s18, s34
	s_addc_u32 s1, s19, s35
	s_add_u32 s0, s0, s36
	s_addc_u32 s1, s1, s37
	s_and_b32 vcc_lo, exec_lo, s17
	s_cbranch_vccz .LBB685_219
; %bb.176:
	v_mul_u32_u24_e32 v1, 13, v0
	s_add_i32 s27, s27, s26
	s_mov_b32 s2, exec_lo
	v_cmpx_gt_u32_e64 s27, v1
	s_cbranch_execz .LBB685_194
; %bb.177:
	v_add_nc_u32_e32 v2, 1, v1
	s_mov_b32 s3, exec_lo
	v_cmpx_gt_u32_e64 s27, v2
	s_cbranch_execz .LBB685_193
; %bb.178:
	v_add_nc_u32_e32 v2, 2, v1
	;; [unrolled: 5-line block ×8, first 2 shown]
	s_mov_b32 s10, exec_lo
	v_cmpx_gt_u32_e64 s27, v2
; %bb.185:
	v_add_nc_u32_e32 v2, 9, v1
	s_mov_b32 s11, exec_lo
	v_cmpx_gt_u32_e64 s27, v2
	s_or_b32 exec_lo, exec_lo, s11
; %bb.186:
	s_or_b32 exec_lo, exec_lo, s10
.LBB685_187:
	s_or_b32 exec_lo, exec_lo, s9
.LBB685_188:
	s_or_b32 exec_lo, exec_lo, s8
.LBB685_189:
	s_or_b32 exec_lo, exec_lo, s7
.LBB685_190:
	s_or_b32 exec_lo, exec_lo, s6
.LBB685_191:
	s_or_b32 exec_lo, exec_lo, s5
.LBB685_192:
	s_or_b32 exec_lo, exec_lo, s4
.LBB685_193:
	s_or_b32 exec_lo, exec_lo, s3
.LBB685_194:
	s_or_b32 exec_lo, exec_lo, s2
	v_lshlrev_b32_e32 v31, 3, v1
	s_waitcnt lgkmcnt(0)
	s_waitcnt_vscnt null, 0x0
	s_barrier
	buffer_gl0_inv
	v_add_co_u32 v27, s2, s0, v59
	v_mad_i32_i24 v1, 0xffffffa0, v0, v31
	ds_write2_b64 v31, v[57:58], v[25:26] offset1:1
	ds_write2_b64 v31, v[29:30], v[33:34] offset0:2 offset1:3
	ds_write2_b64 v31, v[37:38], v[41:42] offset0:4 offset1:5
	;; [unrolled: 1-line block ×5, first 2 shown]
	ds_write_b64 v31, v[55:56] offset:96
	s_waitcnt lgkmcnt(0)
	s_barrier
	buffer_gl0_inv
	ds_read2st64_b64 v[21:24], v1 offset0:4 offset1:8
	ds_read2st64_b64 v[17:20], v1 offset0:12 offset1:16
	;; [unrolled: 1-line block ×6, first 2 shown]
	v_add_co_ci_u32_e64 v28, null, s1, 0, s2
	s_mov_b32 s2, exec_lo
	v_cmpx_gt_u32_e64 s27, v0
	s_cbranch_execz .LBB685_196
; %bb.195:
	v_mul_i32_i24_e32 v32, 0xffffffa0, v0
	v_add_nc_u32_e32 v31, v31, v32
	ds_read_b64 v[31:32], v31
	s_waitcnt lgkmcnt(0)
	flat_store_dwordx2 v[27:28], v[31:32]
.LBB685_196:
	s_or_b32 exec_lo, exec_lo, s2
	v_or_b32_e32 v31, 0x100, v0
	s_mov_b32 s2, exec_lo
	v_cmpx_gt_u32_e64 s27, v31
	s_cbranch_execz .LBB685_198
; %bb.197:
	v_add_co_u32 v31, vcc_lo, 0x800, v27
	v_add_co_ci_u32_e64 v32, null, 0, v28, vcc_lo
	s_waitcnt lgkmcnt(5)
	flat_store_dwordx2 v[31:32], v[21:22]
.LBB685_198:
	s_or_b32 exec_lo, exec_lo, s2
	s_waitcnt lgkmcnt(5)
	v_or_b32_e32 v21, 0x200, v0
	s_mov_b32 s2, exec_lo
	v_cmpx_gt_u32_e64 s27, v21
	s_cbranch_execz .LBB685_200
; %bb.199:
	v_add_co_u32 v21, vcc_lo, 0x1000, v27
	v_add_co_ci_u32_e64 v22, null, 0, v28, vcc_lo
	flat_store_dwordx2 v[21:22], v[23:24]
.LBB685_200:
	s_or_b32 exec_lo, exec_lo, s2
	v_or_b32_e32 v21, 0x300, v0
	s_mov_b32 s2, exec_lo
	v_cmpx_gt_u32_e64 s27, v21
	s_cbranch_execz .LBB685_202
; %bb.201:
	v_add_co_u32 v21, vcc_lo, 0x1800, v27
	v_add_co_ci_u32_e64 v22, null, 0, v28, vcc_lo
	s_waitcnt lgkmcnt(4)
	flat_store_dwordx2 v[21:22], v[17:18]
.LBB685_202:
	s_or_b32 exec_lo, exec_lo, s2
	s_waitcnt lgkmcnt(4)
	v_or_b32_e32 v17, 0x400, v0
	s_mov_b32 s2, exec_lo
	v_cmpx_gt_u32_e64 s27, v17
	s_cbranch_execz .LBB685_204
; %bb.203:
	v_add_co_u32 v17, vcc_lo, 0x2000, v27
	v_add_co_ci_u32_e64 v18, null, 0, v28, vcc_lo
	flat_store_dwordx2 v[17:18], v[19:20]
.LBB685_204:
	;; [unrolled: 22-line block ×5, first 2 shown]
	s_or_b32 exec_lo, exec_lo, s2
	v_or_b32_e32 v5, 0xb00, v0
	s_mov_b32 s2, exec_lo
	v_cmpx_gt_u32_e64 s27, v5
	s_cbranch_execz .LBB685_218
; %bb.217:
	v_add_co_u32 v5, vcc_lo, 0x5800, v27
	v_add_co_ci_u32_e64 v6, null, 0, v28, vcc_lo
	s_waitcnt lgkmcnt(0)
	flat_store_dwordx2 v[5:6], v[1:2]
.LBB685_218:
	s_or_b32 exec_lo, exec_lo, s2
	s_waitcnt lgkmcnt(0)
	v_or_b32_e32 v1, 0xc00, v0
	v_cmp_gt_u32_e64 s2, s27, v1
	s_branch .LBB685_221
.LBB685_219:
	s_mov_b32 s2, 0
                                        ; implicit-def: $vgpr3_vgpr4
	s_cbranch_execz .LBB685_221
; %bb.220:
	v_mul_i32_i24_e32 v2, 0xffffffa0, v0
	v_mul_u32_u24_e32 v1, 0x68, v0
	s_waitcnt lgkmcnt(0)
	s_waitcnt_vscnt null, 0x0
	s_barrier
	buffer_gl0_inv
	v_mad_u32_u24 v3, 0x68, v0, v2
	ds_write2_b64 v1, v[57:58], v[25:26] offset1:1
	ds_write2_b64 v1, v[29:30], v[33:34] offset0:2 offset1:3
	ds_write2_b64 v1, v[37:38], v[41:42] offset0:4 offset1:5
	;; [unrolled: 1-line block ×5, first 2 shown]
	ds_write_b64 v1, v[55:56] offset:96
	s_waitcnt lgkmcnt(0)
	s_barrier
	buffer_gl0_inv
	ds_read2st64_b64 v[5:8], v3 offset1:4
	ds_read2st64_b64 v[9:12], v3 offset0:8 offset1:12
	ds_read2st64_b64 v[13:16], v3 offset0:16 offset1:20
	ds_read2st64_b64 v[17:20], v3 offset0:24 offset1:28
	v_add_co_u32 v1, s3, s0, v59
	v_add_co_ci_u32_e64 v2, null, s1, 0, s3
	ds_read2st64_b64 v[21:24], v3 offset0:32 offset1:36
	v_add_co_u32 v29, vcc_lo, 0x800, v1
	v_add_co_ci_u32_e64 v30, null, 0, v2, vcc_lo
	v_add_co_u32 v31, vcc_lo, 0x1000, v1
	v_add_co_ci_u32_e64 v32, null, 0, v2, vcc_lo
	ds_read2st64_b64 v[25:28], v3 offset0:40 offset1:44
	ds_read_b64 v[3:4], v3 offset:24576
	s_or_b32 s2, s2, exec_lo
	s_waitcnt lgkmcnt(6)
	flat_store_dwordx2 v[1:2], v[5:6]
	flat_store_dwordx2 v[29:30], v[7:8]
	s_waitcnt lgkmcnt(7)
	flat_store_dwordx2 v[31:32], v[9:10]
	v_add_co_u32 v5, vcc_lo, 0x1800, v1
	v_add_co_ci_u32_e64 v6, null, 0, v2, vcc_lo
	v_add_co_u32 v7, vcc_lo, 0x2000, v1
	v_add_co_ci_u32_e64 v8, null, 0, v2, vcc_lo
	;; [unrolled: 2-line block ×5, first 2 shown]
	flat_store_dwordx2 v[5:6], v[11:12]
	s_waitcnt lgkmcnt(8)
	flat_store_dwordx2 v[7:8], v[13:14]
	flat_store_dwordx2 v[9:10], v[15:16]
	s_waitcnt lgkmcnt(9)
	flat_store_dwordx2 v[29:30], v[17:18]
	flat_store_dwordx2 v[31:32], v[19:20]
	v_add_co_u32 v5, vcc_lo, 0x4000, v1
	v_add_co_ci_u32_e64 v6, null, 0, v2, vcc_lo
	v_add_co_u32 v7, vcc_lo, 0x4800, v1
	v_add_co_ci_u32_e64 v8, null, 0, v2, vcc_lo
	;; [unrolled: 2-line block ×4, first 2 shown]
	s_waitcnt lgkmcnt(10)
	flat_store_dwordx2 v[5:6], v[21:22]
	flat_store_dwordx2 v[7:8], v[23:24]
	s_waitcnt lgkmcnt(11)
	flat_store_dwordx2 v[9:10], v[25:26]
	flat_store_dwordx2 v[1:2], v[27:28]
.LBB685_221:
	s_and_saveexec_b32 s3, s2
	s_cbranch_execz .LBB685_223
; %bb.222:
	v_lshlrev_b32_e32 v0, 3, v0
	v_add_co_u32 v0, s0, s0, v0
	v_add_co_ci_u32_e64 v1, null, s1, 0, s0
	v_add_co_u32 v0, vcc_lo, 0x6000, v0
	v_add_co_ci_u32_e64 v1, null, 0, v1, vcc_lo
	s_waitcnt lgkmcnt(12)
	flat_store_dwordx2 v[0:1], v[3:4]
	s_endpgm
.LBB685_223:
	s_endpgm
	.section	.rodata,"a",@progbits
	.p2align	6, 0x0
	.amdhsa_kernel _ZN7rocprim17ROCPRIM_400000_NS6detail17trampoline_kernelINS0_14default_configENS1_27scan_by_key_config_selectorIxxEEZZNS1_16scan_by_key_implILNS1_25lookback_scan_determinismE0ELb0ES3_N6thrust23THRUST_200600_302600_NS6detail15normal_iteratorINS9_10device_ptrIxEEEESE_SE_xNS9_4plusIxEE19head_flag_predicatexEE10hipError_tPvRmT2_T3_T4_T5_mT6_T7_P12ihipStream_tbENKUlT_T0_E_clISt17integral_constantIbLb0EESY_EEDaST_SU_EUlST_E_NS1_11comp_targetILNS1_3genE8ELNS1_11target_archE1030ELNS1_3gpuE2ELNS1_3repE0EEENS1_30default_config_static_selectorELNS0_4arch9wavefront6targetE0EEEvT1_
		.amdhsa_group_segment_fixed_size 30720
		.amdhsa_private_segment_fixed_size 0
		.amdhsa_kernarg_size 136
		.amdhsa_user_sgpr_count 6
		.amdhsa_user_sgpr_private_segment_buffer 1
		.amdhsa_user_sgpr_dispatch_ptr 0
		.amdhsa_user_sgpr_queue_ptr 0
		.amdhsa_user_sgpr_kernarg_segment_ptr 1
		.amdhsa_user_sgpr_dispatch_id 0
		.amdhsa_user_sgpr_flat_scratch_init 0
		.amdhsa_user_sgpr_private_segment_size 0
		.amdhsa_wavefront_size32 1
		.amdhsa_uses_dynamic_stack 0
		.amdhsa_system_sgpr_private_segment_wavefront_offset 0
		.amdhsa_system_sgpr_workgroup_id_x 1
		.amdhsa_system_sgpr_workgroup_id_y 0
		.amdhsa_system_sgpr_workgroup_id_z 0
		.amdhsa_system_sgpr_workgroup_info 0
		.amdhsa_system_vgpr_workitem_id 0
		.amdhsa_next_free_vgpr 113
		.amdhsa_next_free_sgpr 51
		.amdhsa_reserve_vcc 1
		.amdhsa_reserve_flat_scratch 1
		.amdhsa_float_round_mode_32 0
		.amdhsa_float_round_mode_16_64 0
		.amdhsa_float_denorm_mode_32 3
		.amdhsa_float_denorm_mode_16_64 3
		.amdhsa_dx10_clamp 1
		.amdhsa_ieee_mode 1
		.amdhsa_fp16_overflow 0
		.amdhsa_workgroup_processor_mode 1
		.amdhsa_memory_ordered 1
		.amdhsa_forward_progress 1
		.amdhsa_shared_vgpr_count 0
		.amdhsa_exception_fp_ieee_invalid_op 0
		.amdhsa_exception_fp_denorm_src 0
		.amdhsa_exception_fp_ieee_div_zero 0
		.amdhsa_exception_fp_ieee_overflow 0
		.amdhsa_exception_fp_ieee_underflow 0
		.amdhsa_exception_fp_ieee_inexact 0
		.amdhsa_exception_int_div_zero 0
	.end_amdhsa_kernel
	.section	.text._ZN7rocprim17ROCPRIM_400000_NS6detail17trampoline_kernelINS0_14default_configENS1_27scan_by_key_config_selectorIxxEEZZNS1_16scan_by_key_implILNS1_25lookback_scan_determinismE0ELb0ES3_N6thrust23THRUST_200600_302600_NS6detail15normal_iteratorINS9_10device_ptrIxEEEESE_SE_xNS9_4plusIxEE19head_flag_predicatexEE10hipError_tPvRmT2_T3_T4_T5_mT6_T7_P12ihipStream_tbENKUlT_T0_E_clISt17integral_constantIbLb0EESY_EEDaST_SU_EUlST_E_NS1_11comp_targetILNS1_3genE8ELNS1_11target_archE1030ELNS1_3gpuE2ELNS1_3repE0EEENS1_30default_config_static_selectorELNS0_4arch9wavefront6targetE0EEEvT1_,"axG",@progbits,_ZN7rocprim17ROCPRIM_400000_NS6detail17trampoline_kernelINS0_14default_configENS1_27scan_by_key_config_selectorIxxEEZZNS1_16scan_by_key_implILNS1_25lookback_scan_determinismE0ELb0ES3_N6thrust23THRUST_200600_302600_NS6detail15normal_iteratorINS9_10device_ptrIxEEEESE_SE_xNS9_4plusIxEE19head_flag_predicatexEE10hipError_tPvRmT2_T3_T4_T5_mT6_T7_P12ihipStream_tbENKUlT_T0_E_clISt17integral_constantIbLb0EESY_EEDaST_SU_EUlST_E_NS1_11comp_targetILNS1_3genE8ELNS1_11target_archE1030ELNS1_3gpuE2ELNS1_3repE0EEENS1_30default_config_static_selectorELNS0_4arch9wavefront6targetE0EEEvT1_,comdat
.Lfunc_end685:
	.size	_ZN7rocprim17ROCPRIM_400000_NS6detail17trampoline_kernelINS0_14default_configENS1_27scan_by_key_config_selectorIxxEEZZNS1_16scan_by_key_implILNS1_25lookback_scan_determinismE0ELb0ES3_N6thrust23THRUST_200600_302600_NS6detail15normal_iteratorINS9_10device_ptrIxEEEESE_SE_xNS9_4plusIxEE19head_flag_predicatexEE10hipError_tPvRmT2_T3_T4_T5_mT6_T7_P12ihipStream_tbENKUlT_T0_E_clISt17integral_constantIbLb0EESY_EEDaST_SU_EUlST_E_NS1_11comp_targetILNS1_3genE8ELNS1_11target_archE1030ELNS1_3gpuE2ELNS1_3repE0EEENS1_30default_config_static_selectorELNS0_4arch9wavefront6targetE0EEEvT1_, .Lfunc_end685-_ZN7rocprim17ROCPRIM_400000_NS6detail17trampoline_kernelINS0_14default_configENS1_27scan_by_key_config_selectorIxxEEZZNS1_16scan_by_key_implILNS1_25lookback_scan_determinismE0ELb0ES3_N6thrust23THRUST_200600_302600_NS6detail15normal_iteratorINS9_10device_ptrIxEEEESE_SE_xNS9_4plusIxEE19head_flag_predicatexEE10hipError_tPvRmT2_T3_T4_T5_mT6_T7_P12ihipStream_tbENKUlT_T0_E_clISt17integral_constantIbLb0EESY_EEDaST_SU_EUlST_E_NS1_11comp_targetILNS1_3genE8ELNS1_11target_archE1030ELNS1_3gpuE2ELNS1_3repE0EEENS1_30default_config_static_selectorELNS0_4arch9wavefront6targetE0EEEvT1_
                                        ; -- End function
	.set _ZN7rocprim17ROCPRIM_400000_NS6detail17trampoline_kernelINS0_14default_configENS1_27scan_by_key_config_selectorIxxEEZZNS1_16scan_by_key_implILNS1_25lookback_scan_determinismE0ELb0ES3_N6thrust23THRUST_200600_302600_NS6detail15normal_iteratorINS9_10device_ptrIxEEEESE_SE_xNS9_4plusIxEE19head_flag_predicatexEE10hipError_tPvRmT2_T3_T4_T5_mT6_T7_P12ihipStream_tbENKUlT_T0_E_clISt17integral_constantIbLb0EESY_EEDaST_SU_EUlST_E_NS1_11comp_targetILNS1_3genE8ELNS1_11target_archE1030ELNS1_3gpuE2ELNS1_3repE0EEENS1_30default_config_static_selectorELNS0_4arch9wavefront6targetE0EEEvT1_.num_vgpr, 100
	.set _ZN7rocprim17ROCPRIM_400000_NS6detail17trampoline_kernelINS0_14default_configENS1_27scan_by_key_config_selectorIxxEEZZNS1_16scan_by_key_implILNS1_25lookback_scan_determinismE0ELb0ES3_N6thrust23THRUST_200600_302600_NS6detail15normal_iteratorINS9_10device_ptrIxEEEESE_SE_xNS9_4plusIxEE19head_flag_predicatexEE10hipError_tPvRmT2_T3_T4_T5_mT6_T7_P12ihipStream_tbENKUlT_T0_E_clISt17integral_constantIbLb0EESY_EEDaST_SU_EUlST_E_NS1_11comp_targetILNS1_3genE8ELNS1_11target_archE1030ELNS1_3gpuE2ELNS1_3repE0EEENS1_30default_config_static_selectorELNS0_4arch9wavefront6targetE0EEEvT1_.num_agpr, 0
	.set _ZN7rocprim17ROCPRIM_400000_NS6detail17trampoline_kernelINS0_14default_configENS1_27scan_by_key_config_selectorIxxEEZZNS1_16scan_by_key_implILNS1_25lookback_scan_determinismE0ELb0ES3_N6thrust23THRUST_200600_302600_NS6detail15normal_iteratorINS9_10device_ptrIxEEEESE_SE_xNS9_4plusIxEE19head_flag_predicatexEE10hipError_tPvRmT2_T3_T4_T5_mT6_T7_P12ihipStream_tbENKUlT_T0_E_clISt17integral_constantIbLb0EESY_EEDaST_SU_EUlST_E_NS1_11comp_targetILNS1_3genE8ELNS1_11target_archE1030ELNS1_3gpuE2ELNS1_3repE0EEENS1_30default_config_static_selectorELNS0_4arch9wavefront6targetE0EEEvT1_.numbered_sgpr, 51
	.set _ZN7rocprim17ROCPRIM_400000_NS6detail17trampoline_kernelINS0_14default_configENS1_27scan_by_key_config_selectorIxxEEZZNS1_16scan_by_key_implILNS1_25lookback_scan_determinismE0ELb0ES3_N6thrust23THRUST_200600_302600_NS6detail15normal_iteratorINS9_10device_ptrIxEEEESE_SE_xNS9_4plusIxEE19head_flag_predicatexEE10hipError_tPvRmT2_T3_T4_T5_mT6_T7_P12ihipStream_tbENKUlT_T0_E_clISt17integral_constantIbLb0EESY_EEDaST_SU_EUlST_E_NS1_11comp_targetILNS1_3genE8ELNS1_11target_archE1030ELNS1_3gpuE2ELNS1_3repE0EEENS1_30default_config_static_selectorELNS0_4arch9wavefront6targetE0EEEvT1_.num_named_barrier, 0
	.set _ZN7rocprim17ROCPRIM_400000_NS6detail17trampoline_kernelINS0_14default_configENS1_27scan_by_key_config_selectorIxxEEZZNS1_16scan_by_key_implILNS1_25lookback_scan_determinismE0ELb0ES3_N6thrust23THRUST_200600_302600_NS6detail15normal_iteratorINS9_10device_ptrIxEEEESE_SE_xNS9_4plusIxEE19head_flag_predicatexEE10hipError_tPvRmT2_T3_T4_T5_mT6_T7_P12ihipStream_tbENKUlT_T0_E_clISt17integral_constantIbLb0EESY_EEDaST_SU_EUlST_E_NS1_11comp_targetILNS1_3genE8ELNS1_11target_archE1030ELNS1_3gpuE2ELNS1_3repE0EEENS1_30default_config_static_selectorELNS0_4arch9wavefront6targetE0EEEvT1_.private_seg_size, 0
	.set _ZN7rocprim17ROCPRIM_400000_NS6detail17trampoline_kernelINS0_14default_configENS1_27scan_by_key_config_selectorIxxEEZZNS1_16scan_by_key_implILNS1_25lookback_scan_determinismE0ELb0ES3_N6thrust23THRUST_200600_302600_NS6detail15normal_iteratorINS9_10device_ptrIxEEEESE_SE_xNS9_4plusIxEE19head_flag_predicatexEE10hipError_tPvRmT2_T3_T4_T5_mT6_T7_P12ihipStream_tbENKUlT_T0_E_clISt17integral_constantIbLb0EESY_EEDaST_SU_EUlST_E_NS1_11comp_targetILNS1_3genE8ELNS1_11target_archE1030ELNS1_3gpuE2ELNS1_3repE0EEENS1_30default_config_static_selectorELNS0_4arch9wavefront6targetE0EEEvT1_.uses_vcc, 1
	.set _ZN7rocprim17ROCPRIM_400000_NS6detail17trampoline_kernelINS0_14default_configENS1_27scan_by_key_config_selectorIxxEEZZNS1_16scan_by_key_implILNS1_25lookback_scan_determinismE0ELb0ES3_N6thrust23THRUST_200600_302600_NS6detail15normal_iteratorINS9_10device_ptrIxEEEESE_SE_xNS9_4plusIxEE19head_flag_predicatexEE10hipError_tPvRmT2_T3_T4_T5_mT6_T7_P12ihipStream_tbENKUlT_T0_E_clISt17integral_constantIbLb0EESY_EEDaST_SU_EUlST_E_NS1_11comp_targetILNS1_3genE8ELNS1_11target_archE1030ELNS1_3gpuE2ELNS1_3repE0EEENS1_30default_config_static_selectorELNS0_4arch9wavefront6targetE0EEEvT1_.uses_flat_scratch, 1
	.set _ZN7rocprim17ROCPRIM_400000_NS6detail17trampoline_kernelINS0_14default_configENS1_27scan_by_key_config_selectorIxxEEZZNS1_16scan_by_key_implILNS1_25lookback_scan_determinismE0ELb0ES3_N6thrust23THRUST_200600_302600_NS6detail15normal_iteratorINS9_10device_ptrIxEEEESE_SE_xNS9_4plusIxEE19head_flag_predicatexEE10hipError_tPvRmT2_T3_T4_T5_mT6_T7_P12ihipStream_tbENKUlT_T0_E_clISt17integral_constantIbLb0EESY_EEDaST_SU_EUlST_E_NS1_11comp_targetILNS1_3genE8ELNS1_11target_archE1030ELNS1_3gpuE2ELNS1_3repE0EEENS1_30default_config_static_selectorELNS0_4arch9wavefront6targetE0EEEvT1_.has_dyn_sized_stack, 0
	.set _ZN7rocprim17ROCPRIM_400000_NS6detail17trampoline_kernelINS0_14default_configENS1_27scan_by_key_config_selectorIxxEEZZNS1_16scan_by_key_implILNS1_25lookback_scan_determinismE0ELb0ES3_N6thrust23THRUST_200600_302600_NS6detail15normal_iteratorINS9_10device_ptrIxEEEESE_SE_xNS9_4plusIxEE19head_flag_predicatexEE10hipError_tPvRmT2_T3_T4_T5_mT6_T7_P12ihipStream_tbENKUlT_T0_E_clISt17integral_constantIbLb0EESY_EEDaST_SU_EUlST_E_NS1_11comp_targetILNS1_3genE8ELNS1_11target_archE1030ELNS1_3gpuE2ELNS1_3repE0EEENS1_30default_config_static_selectorELNS0_4arch9wavefront6targetE0EEEvT1_.has_recursion, 0
	.set _ZN7rocprim17ROCPRIM_400000_NS6detail17trampoline_kernelINS0_14default_configENS1_27scan_by_key_config_selectorIxxEEZZNS1_16scan_by_key_implILNS1_25lookback_scan_determinismE0ELb0ES3_N6thrust23THRUST_200600_302600_NS6detail15normal_iteratorINS9_10device_ptrIxEEEESE_SE_xNS9_4plusIxEE19head_flag_predicatexEE10hipError_tPvRmT2_T3_T4_T5_mT6_T7_P12ihipStream_tbENKUlT_T0_E_clISt17integral_constantIbLb0EESY_EEDaST_SU_EUlST_E_NS1_11comp_targetILNS1_3genE8ELNS1_11target_archE1030ELNS1_3gpuE2ELNS1_3repE0EEENS1_30default_config_static_selectorELNS0_4arch9wavefront6targetE0EEEvT1_.has_indirect_call, 0
	.section	.AMDGPU.csdata,"",@progbits
; Kernel info:
; codeLenInByte = 14844
; TotalNumSgprs: 53
; NumVgprs: 100
; ScratchSize: 0
; MemoryBound: 0
; FloatMode: 240
; IeeeMode: 1
; LDSByteSize: 30720 bytes/workgroup (compile time only)
; SGPRBlocks: 0
; VGPRBlocks: 14
; NumSGPRsForWavesPerEU: 53
; NumVGPRsForWavesPerEU: 113
; Occupancy: 8
; WaveLimiterHint : 1
; COMPUTE_PGM_RSRC2:SCRATCH_EN: 0
; COMPUTE_PGM_RSRC2:USER_SGPR: 6
; COMPUTE_PGM_RSRC2:TRAP_HANDLER: 0
; COMPUTE_PGM_RSRC2:TGID_X_EN: 1
; COMPUTE_PGM_RSRC2:TGID_Y_EN: 0
; COMPUTE_PGM_RSRC2:TGID_Z_EN: 0
; COMPUTE_PGM_RSRC2:TIDIG_COMP_CNT: 0
	.section	.text._ZN7rocprim17ROCPRIM_400000_NS6detail17trampoline_kernelINS0_14default_configENS1_27scan_by_key_config_selectorIxxEEZZNS1_16scan_by_key_implILNS1_25lookback_scan_determinismE0ELb0ES3_N6thrust23THRUST_200600_302600_NS6detail15normal_iteratorINS9_10device_ptrIxEEEESE_SE_xNS9_4plusIxEE19head_flag_predicatexEE10hipError_tPvRmT2_T3_T4_T5_mT6_T7_P12ihipStream_tbENKUlT_T0_E_clISt17integral_constantIbLb1EESY_EEDaST_SU_EUlST_E_NS1_11comp_targetILNS1_3genE0ELNS1_11target_archE4294967295ELNS1_3gpuE0ELNS1_3repE0EEENS1_30default_config_static_selectorELNS0_4arch9wavefront6targetE0EEEvT1_,"axG",@progbits,_ZN7rocprim17ROCPRIM_400000_NS6detail17trampoline_kernelINS0_14default_configENS1_27scan_by_key_config_selectorIxxEEZZNS1_16scan_by_key_implILNS1_25lookback_scan_determinismE0ELb0ES3_N6thrust23THRUST_200600_302600_NS6detail15normal_iteratorINS9_10device_ptrIxEEEESE_SE_xNS9_4plusIxEE19head_flag_predicatexEE10hipError_tPvRmT2_T3_T4_T5_mT6_T7_P12ihipStream_tbENKUlT_T0_E_clISt17integral_constantIbLb1EESY_EEDaST_SU_EUlST_E_NS1_11comp_targetILNS1_3genE0ELNS1_11target_archE4294967295ELNS1_3gpuE0ELNS1_3repE0EEENS1_30default_config_static_selectorELNS0_4arch9wavefront6targetE0EEEvT1_,comdat
	.protected	_ZN7rocprim17ROCPRIM_400000_NS6detail17trampoline_kernelINS0_14default_configENS1_27scan_by_key_config_selectorIxxEEZZNS1_16scan_by_key_implILNS1_25lookback_scan_determinismE0ELb0ES3_N6thrust23THRUST_200600_302600_NS6detail15normal_iteratorINS9_10device_ptrIxEEEESE_SE_xNS9_4plusIxEE19head_flag_predicatexEE10hipError_tPvRmT2_T3_T4_T5_mT6_T7_P12ihipStream_tbENKUlT_T0_E_clISt17integral_constantIbLb1EESY_EEDaST_SU_EUlST_E_NS1_11comp_targetILNS1_3genE0ELNS1_11target_archE4294967295ELNS1_3gpuE0ELNS1_3repE0EEENS1_30default_config_static_selectorELNS0_4arch9wavefront6targetE0EEEvT1_ ; -- Begin function _ZN7rocprim17ROCPRIM_400000_NS6detail17trampoline_kernelINS0_14default_configENS1_27scan_by_key_config_selectorIxxEEZZNS1_16scan_by_key_implILNS1_25lookback_scan_determinismE0ELb0ES3_N6thrust23THRUST_200600_302600_NS6detail15normal_iteratorINS9_10device_ptrIxEEEESE_SE_xNS9_4plusIxEE19head_flag_predicatexEE10hipError_tPvRmT2_T3_T4_T5_mT6_T7_P12ihipStream_tbENKUlT_T0_E_clISt17integral_constantIbLb1EESY_EEDaST_SU_EUlST_E_NS1_11comp_targetILNS1_3genE0ELNS1_11target_archE4294967295ELNS1_3gpuE0ELNS1_3repE0EEENS1_30default_config_static_selectorELNS0_4arch9wavefront6targetE0EEEvT1_
	.globl	_ZN7rocprim17ROCPRIM_400000_NS6detail17trampoline_kernelINS0_14default_configENS1_27scan_by_key_config_selectorIxxEEZZNS1_16scan_by_key_implILNS1_25lookback_scan_determinismE0ELb0ES3_N6thrust23THRUST_200600_302600_NS6detail15normal_iteratorINS9_10device_ptrIxEEEESE_SE_xNS9_4plusIxEE19head_flag_predicatexEE10hipError_tPvRmT2_T3_T4_T5_mT6_T7_P12ihipStream_tbENKUlT_T0_E_clISt17integral_constantIbLb1EESY_EEDaST_SU_EUlST_E_NS1_11comp_targetILNS1_3genE0ELNS1_11target_archE4294967295ELNS1_3gpuE0ELNS1_3repE0EEENS1_30default_config_static_selectorELNS0_4arch9wavefront6targetE0EEEvT1_
	.p2align	8
	.type	_ZN7rocprim17ROCPRIM_400000_NS6detail17trampoline_kernelINS0_14default_configENS1_27scan_by_key_config_selectorIxxEEZZNS1_16scan_by_key_implILNS1_25lookback_scan_determinismE0ELb0ES3_N6thrust23THRUST_200600_302600_NS6detail15normal_iteratorINS9_10device_ptrIxEEEESE_SE_xNS9_4plusIxEE19head_flag_predicatexEE10hipError_tPvRmT2_T3_T4_T5_mT6_T7_P12ihipStream_tbENKUlT_T0_E_clISt17integral_constantIbLb1EESY_EEDaST_SU_EUlST_E_NS1_11comp_targetILNS1_3genE0ELNS1_11target_archE4294967295ELNS1_3gpuE0ELNS1_3repE0EEENS1_30default_config_static_selectorELNS0_4arch9wavefront6targetE0EEEvT1_,@function
_ZN7rocprim17ROCPRIM_400000_NS6detail17trampoline_kernelINS0_14default_configENS1_27scan_by_key_config_selectorIxxEEZZNS1_16scan_by_key_implILNS1_25lookback_scan_determinismE0ELb0ES3_N6thrust23THRUST_200600_302600_NS6detail15normal_iteratorINS9_10device_ptrIxEEEESE_SE_xNS9_4plusIxEE19head_flag_predicatexEE10hipError_tPvRmT2_T3_T4_T5_mT6_T7_P12ihipStream_tbENKUlT_T0_E_clISt17integral_constantIbLb1EESY_EEDaST_SU_EUlST_E_NS1_11comp_targetILNS1_3genE0ELNS1_11target_archE4294967295ELNS1_3gpuE0ELNS1_3repE0EEENS1_30default_config_static_selectorELNS0_4arch9wavefront6targetE0EEEvT1_: ; @_ZN7rocprim17ROCPRIM_400000_NS6detail17trampoline_kernelINS0_14default_configENS1_27scan_by_key_config_selectorIxxEEZZNS1_16scan_by_key_implILNS1_25lookback_scan_determinismE0ELb0ES3_N6thrust23THRUST_200600_302600_NS6detail15normal_iteratorINS9_10device_ptrIxEEEESE_SE_xNS9_4plusIxEE19head_flag_predicatexEE10hipError_tPvRmT2_T3_T4_T5_mT6_T7_P12ihipStream_tbENKUlT_T0_E_clISt17integral_constantIbLb1EESY_EEDaST_SU_EUlST_E_NS1_11comp_targetILNS1_3genE0ELNS1_11target_archE4294967295ELNS1_3gpuE0ELNS1_3repE0EEENS1_30default_config_static_selectorELNS0_4arch9wavefront6targetE0EEEvT1_
; %bb.0:
	.section	.rodata,"a",@progbits
	.p2align	6, 0x0
	.amdhsa_kernel _ZN7rocprim17ROCPRIM_400000_NS6detail17trampoline_kernelINS0_14default_configENS1_27scan_by_key_config_selectorIxxEEZZNS1_16scan_by_key_implILNS1_25lookback_scan_determinismE0ELb0ES3_N6thrust23THRUST_200600_302600_NS6detail15normal_iteratorINS9_10device_ptrIxEEEESE_SE_xNS9_4plusIxEE19head_flag_predicatexEE10hipError_tPvRmT2_T3_T4_T5_mT6_T7_P12ihipStream_tbENKUlT_T0_E_clISt17integral_constantIbLb1EESY_EEDaST_SU_EUlST_E_NS1_11comp_targetILNS1_3genE0ELNS1_11target_archE4294967295ELNS1_3gpuE0ELNS1_3repE0EEENS1_30default_config_static_selectorELNS0_4arch9wavefront6targetE0EEEvT1_
		.amdhsa_group_segment_fixed_size 0
		.amdhsa_private_segment_fixed_size 0
		.amdhsa_kernarg_size 136
		.amdhsa_user_sgpr_count 6
		.amdhsa_user_sgpr_private_segment_buffer 1
		.amdhsa_user_sgpr_dispatch_ptr 0
		.amdhsa_user_sgpr_queue_ptr 0
		.amdhsa_user_sgpr_kernarg_segment_ptr 1
		.amdhsa_user_sgpr_dispatch_id 0
		.amdhsa_user_sgpr_flat_scratch_init 0
		.amdhsa_user_sgpr_private_segment_size 0
		.amdhsa_wavefront_size32 1
		.amdhsa_uses_dynamic_stack 0
		.amdhsa_system_sgpr_private_segment_wavefront_offset 0
		.amdhsa_system_sgpr_workgroup_id_x 1
		.amdhsa_system_sgpr_workgroup_id_y 0
		.amdhsa_system_sgpr_workgroup_id_z 0
		.amdhsa_system_sgpr_workgroup_info 0
		.amdhsa_system_vgpr_workitem_id 0
		.amdhsa_next_free_vgpr 1
		.amdhsa_next_free_sgpr 1
		.amdhsa_reserve_vcc 0
		.amdhsa_reserve_flat_scratch 0
		.amdhsa_float_round_mode_32 0
		.amdhsa_float_round_mode_16_64 0
		.amdhsa_float_denorm_mode_32 3
		.amdhsa_float_denorm_mode_16_64 3
		.amdhsa_dx10_clamp 1
		.amdhsa_ieee_mode 1
		.amdhsa_fp16_overflow 0
		.amdhsa_workgroup_processor_mode 1
		.amdhsa_memory_ordered 1
		.amdhsa_forward_progress 1
		.amdhsa_shared_vgpr_count 0
		.amdhsa_exception_fp_ieee_invalid_op 0
		.amdhsa_exception_fp_denorm_src 0
		.amdhsa_exception_fp_ieee_div_zero 0
		.amdhsa_exception_fp_ieee_overflow 0
		.amdhsa_exception_fp_ieee_underflow 0
		.amdhsa_exception_fp_ieee_inexact 0
		.amdhsa_exception_int_div_zero 0
	.end_amdhsa_kernel
	.section	.text._ZN7rocprim17ROCPRIM_400000_NS6detail17trampoline_kernelINS0_14default_configENS1_27scan_by_key_config_selectorIxxEEZZNS1_16scan_by_key_implILNS1_25lookback_scan_determinismE0ELb0ES3_N6thrust23THRUST_200600_302600_NS6detail15normal_iteratorINS9_10device_ptrIxEEEESE_SE_xNS9_4plusIxEE19head_flag_predicatexEE10hipError_tPvRmT2_T3_T4_T5_mT6_T7_P12ihipStream_tbENKUlT_T0_E_clISt17integral_constantIbLb1EESY_EEDaST_SU_EUlST_E_NS1_11comp_targetILNS1_3genE0ELNS1_11target_archE4294967295ELNS1_3gpuE0ELNS1_3repE0EEENS1_30default_config_static_selectorELNS0_4arch9wavefront6targetE0EEEvT1_,"axG",@progbits,_ZN7rocprim17ROCPRIM_400000_NS6detail17trampoline_kernelINS0_14default_configENS1_27scan_by_key_config_selectorIxxEEZZNS1_16scan_by_key_implILNS1_25lookback_scan_determinismE0ELb0ES3_N6thrust23THRUST_200600_302600_NS6detail15normal_iteratorINS9_10device_ptrIxEEEESE_SE_xNS9_4plusIxEE19head_flag_predicatexEE10hipError_tPvRmT2_T3_T4_T5_mT6_T7_P12ihipStream_tbENKUlT_T0_E_clISt17integral_constantIbLb1EESY_EEDaST_SU_EUlST_E_NS1_11comp_targetILNS1_3genE0ELNS1_11target_archE4294967295ELNS1_3gpuE0ELNS1_3repE0EEENS1_30default_config_static_selectorELNS0_4arch9wavefront6targetE0EEEvT1_,comdat
.Lfunc_end686:
	.size	_ZN7rocprim17ROCPRIM_400000_NS6detail17trampoline_kernelINS0_14default_configENS1_27scan_by_key_config_selectorIxxEEZZNS1_16scan_by_key_implILNS1_25lookback_scan_determinismE0ELb0ES3_N6thrust23THRUST_200600_302600_NS6detail15normal_iteratorINS9_10device_ptrIxEEEESE_SE_xNS9_4plusIxEE19head_flag_predicatexEE10hipError_tPvRmT2_T3_T4_T5_mT6_T7_P12ihipStream_tbENKUlT_T0_E_clISt17integral_constantIbLb1EESY_EEDaST_SU_EUlST_E_NS1_11comp_targetILNS1_3genE0ELNS1_11target_archE4294967295ELNS1_3gpuE0ELNS1_3repE0EEENS1_30default_config_static_selectorELNS0_4arch9wavefront6targetE0EEEvT1_, .Lfunc_end686-_ZN7rocprim17ROCPRIM_400000_NS6detail17trampoline_kernelINS0_14default_configENS1_27scan_by_key_config_selectorIxxEEZZNS1_16scan_by_key_implILNS1_25lookback_scan_determinismE0ELb0ES3_N6thrust23THRUST_200600_302600_NS6detail15normal_iteratorINS9_10device_ptrIxEEEESE_SE_xNS9_4plusIxEE19head_flag_predicatexEE10hipError_tPvRmT2_T3_T4_T5_mT6_T7_P12ihipStream_tbENKUlT_T0_E_clISt17integral_constantIbLb1EESY_EEDaST_SU_EUlST_E_NS1_11comp_targetILNS1_3genE0ELNS1_11target_archE4294967295ELNS1_3gpuE0ELNS1_3repE0EEENS1_30default_config_static_selectorELNS0_4arch9wavefront6targetE0EEEvT1_
                                        ; -- End function
	.set _ZN7rocprim17ROCPRIM_400000_NS6detail17trampoline_kernelINS0_14default_configENS1_27scan_by_key_config_selectorIxxEEZZNS1_16scan_by_key_implILNS1_25lookback_scan_determinismE0ELb0ES3_N6thrust23THRUST_200600_302600_NS6detail15normal_iteratorINS9_10device_ptrIxEEEESE_SE_xNS9_4plusIxEE19head_flag_predicatexEE10hipError_tPvRmT2_T3_T4_T5_mT6_T7_P12ihipStream_tbENKUlT_T0_E_clISt17integral_constantIbLb1EESY_EEDaST_SU_EUlST_E_NS1_11comp_targetILNS1_3genE0ELNS1_11target_archE4294967295ELNS1_3gpuE0ELNS1_3repE0EEENS1_30default_config_static_selectorELNS0_4arch9wavefront6targetE0EEEvT1_.num_vgpr, 0
	.set _ZN7rocprim17ROCPRIM_400000_NS6detail17trampoline_kernelINS0_14default_configENS1_27scan_by_key_config_selectorIxxEEZZNS1_16scan_by_key_implILNS1_25lookback_scan_determinismE0ELb0ES3_N6thrust23THRUST_200600_302600_NS6detail15normal_iteratorINS9_10device_ptrIxEEEESE_SE_xNS9_4plusIxEE19head_flag_predicatexEE10hipError_tPvRmT2_T3_T4_T5_mT6_T7_P12ihipStream_tbENKUlT_T0_E_clISt17integral_constantIbLb1EESY_EEDaST_SU_EUlST_E_NS1_11comp_targetILNS1_3genE0ELNS1_11target_archE4294967295ELNS1_3gpuE0ELNS1_3repE0EEENS1_30default_config_static_selectorELNS0_4arch9wavefront6targetE0EEEvT1_.num_agpr, 0
	.set _ZN7rocprim17ROCPRIM_400000_NS6detail17trampoline_kernelINS0_14default_configENS1_27scan_by_key_config_selectorIxxEEZZNS1_16scan_by_key_implILNS1_25lookback_scan_determinismE0ELb0ES3_N6thrust23THRUST_200600_302600_NS6detail15normal_iteratorINS9_10device_ptrIxEEEESE_SE_xNS9_4plusIxEE19head_flag_predicatexEE10hipError_tPvRmT2_T3_T4_T5_mT6_T7_P12ihipStream_tbENKUlT_T0_E_clISt17integral_constantIbLb1EESY_EEDaST_SU_EUlST_E_NS1_11comp_targetILNS1_3genE0ELNS1_11target_archE4294967295ELNS1_3gpuE0ELNS1_3repE0EEENS1_30default_config_static_selectorELNS0_4arch9wavefront6targetE0EEEvT1_.numbered_sgpr, 0
	.set _ZN7rocprim17ROCPRIM_400000_NS6detail17trampoline_kernelINS0_14default_configENS1_27scan_by_key_config_selectorIxxEEZZNS1_16scan_by_key_implILNS1_25lookback_scan_determinismE0ELb0ES3_N6thrust23THRUST_200600_302600_NS6detail15normal_iteratorINS9_10device_ptrIxEEEESE_SE_xNS9_4plusIxEE19head_flag_predicatexEE10hipError_tPvRmT2_T3_T4_T5_mT6_T7_P12ihipStream_tbENKUlT_T0_E_clISt17integral_constantIbLb1EESY_EEDaST_SU_EUlST_E_NS1_11comp_targetILNS1_3genE0ELNS1_11target_archE4294967295ELNS1_3gpuE0ELNS1_3repE0EEENS1_30default_config_static_selectorELNS0_4arch9wavefront6targetE0EEEvT1_.num_named_barrier, 0
	.set _ZN7rocprim17ROCPRIM_400000_NS6detail17trampoline_kernelINS0_14default_configENS1_27scan_by_key_config_selectorIxxEEZZNS1_16scan_by_key_implILNS1_25lookback_scan_determinismE0ELb0ES3_N6thrust23THRUST_200600_302600_NS6detail15normal_iteratorINS9_10device_ptrIxEEEESE_SE_xNS9_4plusIxEE19head_flag_predicatexEE10hipError_tPvRmT2_T3_T4_T5_mT6_T7_P12ihipStream_tbENKUlT_T0_E_clISt17integral_constantIbLb1EESY_EEDaST_SU_EUlST_E_NS1_11comp_targetILNS1_3genE0ELNS1_11target_archE4294967295ELNS1_3gpuE0ELNS1_3repE0EEENS1_30default_config_static_selectorELNS0_4arch9wavefront6targetE0EEEvT1_.private_seg_size, 0
	.set _ZN7rocprim17ROCPRIM_400000_NS6detail17trampoline_kernelINS0_14default_configENS1_27scan_by_key_config_selectorIxxEEZZNS1_16scan_by_key_implILNS1_25lookback_scan_determinismE0ELb0ES3_N6thrust23THRUST_200600_302600_NS6detail15normal_iteratorINS9_10device_ptrIxEEEESE_SE_xNS9_4plusIxEE19head_flag_predicatexEE10hipError_tPvRmT2_T3_T4_T5_mT6_T7_P12ihipStream_tbENKUlT_T0_E_clISt17integral_constantIbLb1EESY_EEDaST_SU_EUlST_E_NS1_11comp_targetILNS1_3genE0ELNS1_11target_archE4294967295ELNS1_3gpuE0ELNS1_3repE0EEENS1_30default_config_static_selectorELNS0_4arch9wavefront6targetE0EEEvT1_.uses_vcc, 0
	.set _ZN7rocprim17ROCPRIM_400000_NS6detail17trampoline_kernelINS0_14default_configENS1_27scan_by_key_config_selectorIxxEEZZNS1_16scan_by_key_implILNS1_25lookback_scan_determinismE0ELb0ES3_N6thrust23THRUST_200600_302600_NS6detail15normal_iteratorINS9_10device_ptrIxEEEESE_SE_xNS9_4plusIxEE19head_flag_predicatexEE10hipError_tPvRmT2_T3_T4_T5_mT6_T7_P12ihipStream_tbENKUlT_T0_E_clISt17integral_constantIbLb1EESY_EEDaST_SU_EUlST_E_NS1_11comp_targetILNS1_3genE0ELNS1_11target_archE4294967295ELNS1_3gpuE0ELNS1_3repE0EEENS1_30default_config_static_selectorELNS0_4arch9wavefront6targetE0EEEvT1_.uses_flat_scratch, 0
	.set _ZN7rocprim17ROCPRIM_400000_NS6detail17trampoline_kernelINS0_14default_configENS1_27scan_by_key_config_selectorIxxEEZZNS1_16scan_by_key_implILNS1_25lookback_scan_determinismE0ELb0ES3_N6thrust23THRUST_200600_302600_NS6detail15normal_iteratorINS9_10device_ptrIxEEEESE_SE_xNS9_4plusIxEE19head_flag_predicatexEE10hipError_tPvRmT2_T3_T4_T5_mT6_T7_P12ihipStream_tbENKUlT_T0_E_clISt17integral_constantIbLb1EESY_EEDaST_SU_EUlST_E_NS1_11comp_targetILNS1_3genE0ELNS1_11target_archE4294967295ELNS1_3gpuE0ELNS1_3repE0EEENS1_30default_config_static_selectorELNS0_4arch9wavefront6targetE0EEEvT1_.has_dyn_sized_stack, 0
	.set _ZN7rocprim17ROCPRIM_400000_NS6detail17trampoline_kernelINS0_14default_configENS1_27scan_by_key_config_selectorIxxEEZZNS1_16scan_by_key_implILNS1_25lookback_scan_determinismE0ELb0ES3_N6thrust23THRUST_200600_302600_NS6detail15normal_iteratorINS9_10device_ptrIxEEEESE_SE_xNS9_4plusIxEE19head_flag_predicatexEE10hipError_tPvRmT2_T3_T4_T5_mT6_T7_P12ihipStream_tbENKUlT_T0_E_clISt17integral_constantIbLb1EESY_EEDaST_SU_EUlST_E_NS1_11comp_targetILNS1_3genE0ELNS1_11target_archE4294967295ELNS1_3gpuE0ELNS1_3repE0EEENS1_30default_config_static_selectorELNS0_4arch9wavefront6targetE0EEEvT1_.has_recursion, 0
	.set _ZN7rocprim17ROCPRIM_400000_NS6detail17trampoline_kernelINS0_14default_configENS1_27scan_by_key_config_selectorIxxEEZZNS1_16scan_by_key_implILNS1_25lookback_scan_determinismE0ELb0ES3_N6thrust23THRUST_200600_302600_NS6detail15normal_iteratorINS9_10device_ptrIxEEEESE_SE_xNS9_4plusIxEE19head_flag_predicatexEE10hipError_tPvRmT2_T3_T4_T5_mT6_T7_P12ihipStream_tbENKUlT_T0_E_clISt17integral_constantIbLb1EESY_EEDaST_SU_EUlST_E_NS1_11comp_targetILNS1_3genE0ELNS1_11target_archE4294967295ELNS1_3gpuE0ELNS1_3repE0EEENS1_30default_config_static_selectorELNS0_4arch9wavefront6targetE0EEEvT1_.has_indirect_call, 0
	.section	.AMDGPU.csdata,"",@progbits
; Kernel info:
; codeLenInByte = 0
; TotalNumSgprs: 0
; NumVgprs: 0
; ScratchSize: 0
; MemoryBound: 0
; FloatMode: 240
; IeeeMode: 1
; LDSByteSize: 0 bytes/workgroup (compile time only)
; SGPRBlocks: 0
; VGPRBlocks: 0
; NumSGPRsForWavesPerEU: 1
; NumVGPRsForWavesPerEU: 1
; Occupancy: 16
; WaveLimiterHint : 0
; COMPUTE_PGM_RSRC2:SCRATCH_EN: 0
; COMPUTE_PGM_RSRC2:USER_SGPR: 6
; COMPUTE_PGM_RSRC2:TRAP_HANDLER: 0
; COMPUTE_PGM_RSRC2:TGID_X_EN: 1
; COMPUTE_PGM_RSRC2:TGID_Y_EN: 0
; COMPUTE_PGM_RSRC2:TGID_Z_EN: 0
; COMPUTE_PGM_RSRC2:TIDIG_COMP_CNT: 0
	.section	.text._ZN7rocprim17ROCPRIM_400000_NS6detail17trampoline_kernelINS0_14default_configENS1_27scan_by_key_config_selectorIxxEEZZNS1_16scan_by_key_implILNS1_25lookback_scan_determinismE0ELb0ES3_N6thrust23THRUST_200600_302600_NS6detail15normal_iteratorINS9_10device_ptrIxEEEESE_SE_xNS9_4plusIxEE19head_flag_predicatexEE10hipError_tPvRmT2_T3_T4_T5_mT6_T7_P12ihipStream_tbENKUlT_T0_E_clISt17integral_constantIbLb1EESY_EEDaST_SU_EUlST_E_NS1_11comp_targetILNS1_3genE10ELNS1_11target_archE1201ELNS1_3gpuE5ELNS1_3repE0EEENS1_30default_config_static_selectorELNS0_4arch9wavefront6targetE0EEEvT1_,"axG",@progbits,_ZN7rocprim17ROCPRIM_400000_NS6detail17trampoline_kernelINS0_14default_configENS1_27scan_by_key_config_selectorIxxEEZZNS1_16scan_by_key_implILNS1_25lookback_scan_determinismE0ELb0ES3_N6thrust23THRUST_200600_302600_NS6detail15normal_iteratorINS9_10device_ptrIxEEEESE_SE_xNS9_4plusIxEE19head_flag_predicatexEE10hipError_tPvRmT2_T3_T4_T5_mT6_T7_P12ihipStream_tbENKUlT_T0_E_clISt17integral_constantIbLb1EESY_EEDaST_SU_EUlST_E_NS1_11comp_targetILNS1_3genE10ELNS1_11target_archE1201ELNS1_3gpuE5ELNS1_3repE0EEENS1_30default_config_static_selectorELNS0_4arch9wavefront6targetE0EEEvT1_,comdat
	.protected	_ZN7rocprim17ROCPRIM_400000_NS6detail17trampoline_kernelINS0_14default_configENS1_27scan_by_key_config_selectorIxxEEZZNS1_16scan_by_key_implILNS1_25lookback_scan_determinismE0ELb0ES3_N6thrust23THRUST_200600_302600_NS6detail15normal_iteratorINS9_10device_ptrIxEEEESE_SE_xNS9_4plusIxEE19head_flag_predicatexEE10hipError_tPvRmT2_T3_T4_T5_mT6_T7_P12ihipStream_tbENKUlT_T0_E_clISt17integral_constantIbLb1EESY_EEDaST_SU_EUlST_E_NS1_11comp_targetILNS1_3genE10ELNS1_11target_archE1201ELNS1_3gpuE5ELNS1_3repE0EEENS1_30default_config_static_selectorELNS0_4arch9wavefront6targetE0EEEvT1_ ; -- Begin function _ZN7rocprim17ROCPRIM_400000_NS6detail17trampoline_kernelINS0_14default_configENS1_27scan_by_key_config_selectorIxxEEZZNS1_16scan_by_key_implILNS1_25lookback_scan_determinismE0ELb0ES3_N6thrust23THRUST_200600_302600_NS6detail15normal_iteratorINS9_10device_ptrIxEEEESE_SE_xNS9_4plusIxEE19head_flag_predicatexEE10hipError_tPvRmT2_T3_T4_T5_mT6_T7_P12ihipStream_tbENKUlT_T0_E_clISt17integral_constantIbLb1EESY_EEDaST_SU_EUlST_E_NS1_11comp_targetILNS1_3genE10ELNS1_11target_archE1201ELNS1_3gpuE5ELNS1_3repE0EEENS1_30default_config_static_selectorELNS0_4arch9wavefront6targetE0EEEvT1_
	.globl	_ZN7rocprim17ROCPRIM_400000_NS6detail17trampoline_kernelINS0_14default_configENS1_27scan_by_key_config_selectorIxxEEZZNS1_16scan_by_key_implILNS1_25lookback_scan_determinismE0ELb0ES3_N6thrust23THRUST_200600_302600_NS6detail15normal_iteratorINS9_10device_ptrIxEEEESE_SE_xNS9_4plusIxEE19head_flag_predicatexEE10hipError_tPvRmT2_T3_T4_T5_mT6_T7_P12ihipStream_tbENKUlT_T0_E_clISt17integral_constantIbLb1EESY_EEDaST_SU_EUlST_E_NS1_11comp_targetILNS1_3genE10ELNS1_11target_archE1201ELNS1_3gpuE5ELNS1_3repE0EEENS1_30default_config_static_selectorELNS0_4arch9wavefront6targetE0EEEvT1_
	.p2align	8
	.type	_ZN7rocprim17ROCPRIM_400000_NS6detail17trampoline_kernelINS0_14default_configENS1_27scan_by_key_config_selectorIxxEEZZNS1_16scan_by_key_implILNS1_25lookback_scan_determinismE0ELb0ES3_N6thrust23THRUST_200600_302600_NS6detail15normal_iteratorINS9_10device_ptrIxEEEESE_SE_xNS9_4plusIxEE19head_flag_predicatexEE10hipError_tPvRmT2_T3_T4_T5_mT6_T7_P12ihipStream_tbENKUlT_T0_E_clISt17integral_constantIbLb1EESY_EEDaST_SU_EUlST_E_NS1_11comp_targetILNS1_3genE10ELNS1_11target_archE1201ELNS1_3gpuE5ELNS1_3repE0EEENS1_30default_config_static_selectorELNS0_4arch9wavefront6targetE0EEEvT1_,@function
_ZN7rocprim17ROCPRIM_400000_NS6detail17trampoline_kernelINS0_14default_configENS1_27scan_by_key_config_selectorIxxEEZZNS1_16scan_by_key_implILNS1_25lookback_scan_determinismE0ELb0ES3_N6thrust23THRUST_200600_302600_NS6detail15normal_iteratorINS9_10device_ptrIxEEEESE_SE_xNS9_4plusIxEE19head_flag_predicatexEE10hipError_tPvRmT2_T3_T4_T5_mT6_T7_P12ihipStream_tbENKUlT_T0_E_clISt17integral_constantIbLb1EESY_EEDaST_SU_EUlST_E_NS1_11comp_targetILNS1_3genE10ELNS1_11target_archE1201ELNS1_3gpuE5ELNS1_3repE0EEENS1_30default_config_static_selectorELNS0_4arch9wavefront6targetE0EEEvT1_: ; @_ZN7rocprim17ROCPRIM_400000_NS6detail17trampoline_kernelINS0_14default_configENS1_27scan_by_key_config_selectorIxxEEZZNS1_16scan_by_key_implILNS1_25lookback_scan_determinismE0ELb0ES3_N6thrust23THRUST_200600_302600_NS6detail15normal_iteratorINS9_10device_ptrIxEEEESE_SE_xNS9_4plusIxEE19head_flag_predicatexEE10hipError_tPvRmT2_T3_T4_T5_mT6_T7_P12ihipStream_tbENKUlT_T0_E_clISt17integral_constantIbLb1EESY_EEDaST_SU_EUlST_E_NS1_11comp_targetILNS1_3genE10ELNS1_11target_archE1201ELNS1_3gpuE5ELNS1_3repE0EEENS1_30default_config_static_selectorELNS0_4arch9wavefront6targetE0EEEvT1_
; %bb.0:
	.section	.rodata,"a",@progbits
	.p2align	6, 0x0
	.amdhsa_kernel _ZN7rocprim17ROCPRIM_400000_NS6detail17trampoline_kernelINS0_14default_configENS1_27scan_by_key_config_selectorIxxEEZZNS1_16scan_by_key_implILNS1_25lookback_scan_determinismE0ELb0ES3_N6thrust23THRUST_200600_302600_NS6detail15normal_iteratorINS9_10device_ptrIxEEEESE_SE_xNS9_4plusIxEE19head_flag_predicatexEE10hipError_tPvRmT2_T3_T4_T5_mT6_T7_P12ihipStream_tbENKUlT_T0_E_clISt17integral_constantIbLb1EESY_EEDaST_SU_EUlST_E_NS1_11comp_targetILNS1_3genE10ELNS1_11target_archE1201ELNS1_3gpuE5ELNS1_3repE0EEENS1_30default_config_static_selectorELNS0_4arch9wavefront6targetE0EEEvT1_
		.amdhsa_group_segment_fixed_size 0
		.amdhsa_private_segment_fixed_size 0
		.amdhsa_kernarg_size 136
		.amdhsa_user_sgpr_count 6
		.amdhsa_user_sgpr_private_segment_buffer 1
		.amdhsa_user_sgpr_dispatch_ptr 0
		.amdhsa_user_sgpr_queue_ptr 0
		.amdhsa_user_sgpr_kernarg_segment_ptr 1
		.amdhsa_user_sgpr_dispatch_id 0
		.amdhsa_user_sgpr_flat_scratch_init 0
		.amdhsa_user_sgpr_private_segment_size 0
		.amdhsa_wavefront_size32 1
		.amdhsa_uses_dynamic_stack 0
		.amdhsa_system_sgpr_private_segment_wavefront_offset 0
		.amdhsa_system_sgpr_workgroup_id_x 1
		.amdhsa_system_sgpr_workgroup_id_y 0
		.amdhsa_system_sgpr_workgroup_id_z 0
		.amdhsa_system_sgpr_workgroup_info 0
		.amdhsa_system_vgpr_workitem_id 0
		.amdhsa_next_free_vgpr 1
		.amdhsa_next_free_sgpr 1
		.amdhsa_reserve_vcc 0
		.amdhsa_reserve_flat_scratch 0
		.amdhsa_float_round_mode_32 0
		.amdhsa_float_round_mode_16_64 0
		.amdhsa_float_denorm_mode_32 3
		.amdhsa_float_denorm_mode_16_64 3
		.amdhsa_dx10_clamp 1
		.amdhsa_ieee_mode 1
		.amdhsa_fp16_overflow 0
		.amdhsa_workgroup_processor_mode 1
		.amdhsa_memory_ordered 1
		.amdhsa_forward_progress 1
		.amdhsa_shared_vgpr_count 0
		.amdhsa_exception_fp_ieee_invalid_op 0
		.amdhsa_exception_fp_denorm_src 0
		.amdhsa_exception_fp_ieee_div_zero 0
		.amdhsa_exception_fp_ieee_overflow 0
		.amdhsa_exception_fp_ieee_underflow 0
		.amdhsa_exception_fp_ieee_inexact 0
		.amdhsa_exception_int_div_zero 0
	.end_amdhsa_kernel
	.section	.text._ZN7rocprim17ROCPRIM_400000_NS6detail17trampoline_kernelINS0_14default_configENS1_27scan_by_key_config_selectorIxxEEZZNS1_16scan_by_key_implILNS1_25lookback_scan_determinismE0ELb0ES3_N6thrust23THRUST_200600_302600_NS6detail15normal_iteratorINS9_10device_ptrIxEEEESE_SE_xNS9_4plusIxEE19head_flag_predicatexEE10hipError_tPvRmT2_T3_T4_T5_mT6_T7_P12ihipStream_tbENKUlT_T0_E_clISt17integral_constantIbLb1EESY_EEDaST_SU_EUlST_E_NS1_11comp_targetILNS1_3genE10ELNS1_11target_archE1201ELNS1_3gpuE5ELNS1_3repE0EEENS1_30default_config_static_selectorELNS0_4arch9wavefront6targetE0EEEvT1_,"axG",@progbits,_ZN7rocprim17ROCPRIM_400000_NS6detail17trampoline_kernelINS0_14default_configENS1_27scan_by_key_config_selectorIxxEEZZNS1_16scan_by_key_implILNS1_25lookback_scan_determinismE0ELb0ES3_N6thrust23THRUST_200600_302600_NS6detail15normal_iteratorINS9_10device_ptrIxEEEESE_SE_xNS9_4plusIxEE19head_flag_predicatexEE10hipError_tPvRmT2_T3_T4_T5_mT6_T7_P12ihipStream_tbENKUlT_T0_E_clISt17integral_constantIbLb1EESY_EEDaST_SU_EUlST_E_NS1_11comp_targetILNS1_3genE10ELNS1_11target_archE1201ELNS1_3gpuE5ELNS1_3repE0EEENS1_30default_config_static_selectorELNS0_4arch9wavefront6targetE0EEEvT1_,comdat
.Lfunc_end687:
	.size	_ZN7rocprim17ROCPRIM_400000_NS6detail17trampoline_kernelINS0_14default_configENS1_27scan_by_key_config_selectorIxxEEZZNS1_16scan_by_key_implILNS1_25lookback_scan_determinismE0ELb0ES3_N6thrust23THRUST_200600_302600_NS6detail15normal_iteratorINS9_10device_ptrIxEEEESE_SE_xNS9_4plusIxEE19head_flag_predicatexEE10hipError_tPvRmT2_T3_T4_T5_mT6_T7_P12ihipStream_tbENKUlT_T0_E_clISt17integral_constantIbLb1EESY_EEDaST_SU_EUlST_E_NS1_11comp_targetILNS1_3genE10ELNS1_11target_archE1201ELNS1_3gpuE5ELNS1_3repE0EEENS1_30default_config_static_selectorELNS0_4arch9wavefront6targetE0EEEvT1_, .Lfunc_end687-_ZN7rocprim17ROCPRIM_400000_NS6detail17trampoline_kernelINS0_14default_configENS1_27scan_by_key_config_selectorIxxEEZZNS1_16scan_by_key_implILNS1_25lookback_scan_determinismE0ELb0ES3_N6thrust23THRUST_200600_302600_NS6detail15normal_iteratorINS9_10device_ptrIxEEEESE_SE_xNS9_4plusIxEE19head_flag_predicatexEE10hipError_tPvRmT2_T3_T4_T5_mT6_T7_P12ihipStream_tbENKUlT_T0_E_clISt17integral_constantIbLb1EESY_EEDaST_SU_EUlST_E_NS1_11comp_targetILNS1_3genE10ELNS1_11target_archE1201ELNS1_3gpuE5ELNS1_3repE0EEENS1_30default_config_static_selectorELNS0_4arch9wavefront6targetE0EEEvT1_
                                        ; -- End function
	.set _ZN7rocprim17ROCPRIM_400000_NS6detail17trampoline_kernelINS0_14default_configENS1_27scan_by_key_config_selectorIxxEEZZNS1_16scan_by_key_implILNS1_25lookback_scan_determinismE0ELb0ES3_N6thrust23THRUST_200600_302600_NS6detail15normal_iteratorINS9_10device_ptrIxEEEESE_SE_xNS9_4plusIxEE19head_flag_predicatexEE10hipError_tPvRmT2_T3_T4_T5_mT6_T7_P12ihipStream_tbENKUlT_T0_E_clISt17integral_constantIbLb1EESY_EEDaST_SU_EUlST_E_NS1_11comp_targetILNS1_3genE10ELNS1_11target_archE1201ELNS1_3gpuE5ELNS1_3repE0EEENS1_30default_config_static_selectorELNS0_4arch9wavefront6targetE0EEEvT1_.num_vgpr, 0
	.set _ZN7rocprim17ROCPRIM_400000_NS6detail17trampoline_kernelINS0_14default_configENS1_27scan_by_key_config_selectorIxxEEZZNS1_16scan_by_key_implILNS1_25lookback_scan_determinismE0ELb0ES3_N6thrust23THRUST_200600_302600_NS6detail15normal_iteratorINS9_10device_ptrIxEEEESE_SE_xNS9_4plusIxEE19head_flag_predicatexEE10hipError_tPvRmT2_T3_T4_T5_mT6_T7_P12ihipStream_tbENKUlT_T0_E_clISt17integral_constantIbLb1EESY_EEDaST_SU_EUlST_E_NS1_11comp_targetILNS1_3genE10ELNS1_11target_archE1201ELNS1_3gpuE5ELNS1_3repE0EEENS1_30default_config_static_selectorELNS0_4arch9wavefront6targetE0EEEvT1_.num_agpr, 0
	.set _ZN7rocprim17ROCPRIM_400000_NS6detail17trampoline_kernelINS0_14default_configENS1_27scan_by_key_config_selectorIxxEEZZNS1_16scan_by_key_implILNS1_25lookback_scan_determinismE0ELb0ES3_N6thrust23THRUST_200600_302600_NS6detail15normal_iteratorINS9_10device_ptrIxEEEESE_SE_xNS9_4plusIxEE19head_flag_predicatexEE10hipError_tPvRmT2_T3_T4_T5_mT6_T7_P12ihipStream_tbENKUlT_T0_E_clISt17integral_constantIbLb1EESY_EEDaST_SU_EUlST_E_NS1_11comp_targetILNS1_3genE10ELNS1_11target_archE1201ELNS1_3gpuE5ELNS1_3repE0EEENS1_30default_config_static_selectorELNS0_4arch9wavefront6targetE0EEEvT1_.numbered_sgpr, 0
	.set _ZN7rocprim17ROCPRIM_400000_NS6detail17trampoline_kernelINS0_14default_configENS1_27scan_by_key_config_selectorIxxEEZZNS1_16scan_by_key_implILNS1_25lookback_scan_determinismE0ELb0ES3_N6thrust23THRUST_200600_302600_NS6detail15normal_iteratorINS9_10device_ptrIxEEEESE_SE_xNS9_4plusIxEE19head_flag_predicatexEE10hipError_tPvRmT2_T3_T4_T5_mT6_T7_P12ihipStream_tbENKUlT_T0_E_clISt17integral_constantIbLb1EESY_EEDaST_SU_EUlST_E_NS1_11comp_targetILNS1_3genE10ELNS1_11target_archE1201ELNS1_3gpuE5ELNS1_3repE0EEENS1_30default_config_static_selectorELNS0_4arch9wavefront6targetE0EEEvT1_.num_named_barrier, 0
	.set _ZN7rocprim17ROCPRIM_400000_NS6detail17trampoline_kernelINS0_14default_configENS1_27scan_by_key_config_selectorIxxEEZZNS1_16scan_by_key_implILNS1_25lookback_scan_determinismE0ELb0ES3_N6thrust23THRUST_200600_302600_NS6detail15normal_iteratorINS9_10device_ptrIxEEEESE_SE_xNS9_4plusIxEE19head_flag_predicatexEE10hipError_tPvRmT2_T3_T4_T5_mT6_T7_P12ihipStream_tbENKUlT_T0_E_clISt17integral_constantIbLb1EESY_EEDaST_SU_EUlST_E_NS1_11comp_targetILNS1_3genE10ELNS1_11target_archE1201ELNS1_3gpuE5ELNS1_3repE0EEENS1_30default_config_static_selectorELNS0_4arch9wavefront6targetE0EEEvT1_.private_seg_size, 0
	.set _ZN7rocprim17ROCPRIM_400000_NS6detail17trampoline_kernelINS0_14default_configENS1_27scan_by_key_config_selectorIxxEEZZNS1_16scan_by_key_implILNS1_25lookback_scan_determinismE0ELb0ES3_N6thrust23THRUST_200600_302600_NS6detail15normal_iteratorINS9_10device_ptrIxEEEESE_SE_xNS9_4plusIxEE19head_flag_predicatexEE10hipError_tPvRmT2_T3_T4_T5_mT6_T7_P12ihipStream_tbENKUlT_T0_E_clISt17integral_constantIbLb1EESY_EEDaST_SU_EUlST_E_NS1_11comp_targetILNS1_3genE10ELNS1_11target_archE1201ELNS1_3gpuE5ELNS1_3repE0EEENS1_30default_config_static_selectorELNS0_4arch9wavefront6targetE0EEEvT1_.uses_vcc, 0
	.set _ZN7rocprim17ROCPRIM_400000_NS6detail17trampoline_kernelINS0_14default_configENS1_27scan_by_key_config_selectorIxxEEZZNS1_16scan_by_key_implILNS1_25lookback_scan_determinismE0ELb0ES3_N6thrust23THRUST_200600_302600_NS6detail15normal_iteratorINS9_10device_ptrIxEEEESE_SE_xNS9_4plusIxEE19head_flag_predicatexEE10hipError_tPvRmT2_T3_T4_T5_mT6_T7_P12ihipStream_tbENKUlT_T0_E_clISt17integral_constantIbLb1EESY_EEDaST_SU_EUlST_E_NS1_11comp_targetILNS1_3genE10ELNS1_11target_archE1201ELNS1_3gpuE5ELNS1_3repE0EEENS1_30default_config_static_selectorELNS0_4arch9wavefront6targetE0EEEvT1_.uses_flat_scratch, 0
	.set _ZN7rocprim17ROCPRIM_400000_NS6detail17trampoline_kernelINS0_14default_configENS1_27scan_by_key_config_selectorIxxEEZZNS1_16scan_by_key_implILNS1_25lookback_scan_determinismE0ELb0ES3_N6thrust23THRUST_200600_302600_NS6detail15normal_iteratorINS9_10device_ptrIxEEEESE_SE_xNS9_4plusIxEE19head_flag_predicatexEE10hipError_tPvRmT2_T3_T4_T5_mT6_T7_P12ihipStream_tbENKUlT_T0_E_clISt17integral_constantIbLb1EESY_EEDaST_SU_EUlST_E_NS1_11comp_targetILNS1_3genE10ELNS1_11target_archE1201ELNS1_3gpuE5ELNS1_3repE0EEENS1_30default_config_static_selectorELNS0_4arch9wavefront6targetE0EEEvT1_.has_dyn_sized_stack, 0
	.set _ZN7rocprim17ROCPRIM_400000_NS6detail17trampoline_kernelINS0_14default_configENS1_27scan_by_key_config_selectorIxxEEZZNS1_16scan_by_key_implILNS1_25lookback_scan_determinismE0ELb0ES3_N6thrust23THRUST_200600_302600_NS6detail15normal_iteratorINS9_10device_ptrIxEEEESE_SE_xNS9_4plusIxEE19head_flag_predicatexEE10hipError_tPvRmT2_T3_T4_T5_mT6_T7_P12ihipStream_tbENKUlT_T0_E_clISt17integral_constantIbLb1EESY_EEDaST_SU_EUlST_E_NS1_11comp_targetILNS1_3genE10ELNS1_11target_archE1201ELNS1_3gpuE5ELNS1_3repE0EEENS1_30default_config_static_selectorELNS0_4arch9wavefront6targetE0EEEvT1_.has_recursion, 0
	.set _ZN7rocprim17ROCPRIM_400000_NS6detail17trampoline_kernelINS0_14default_configENS1_27scan_by_key_config_selectorIxxEEZZNS1_16scan_by_key_implILNS1_25lookback_scan_determinismE0ELb0ES3_N6thrust23THRUST_200600_302600_NS6detail15normal_iteratorINS9_10device_ptrIxEEEESE_SE_xNS9_4plusIxEE19head_flag_predicatexEE10hipError_tPvRmT2_T3_T4_T5_mT6_T7_P12ihipStream_tbENKUlT_T0_E_clISt17integral_constantIbLb1EESY_EEDaST_SU_EUlST_E_NS1_11comp_targetILNS1_3genE10ELNS1_11target_archE1201ELNS1_3gpuE5ELNS1_3repE0EEENS1_30default_config_static_selectorELNS0_4arch9wavefront6targetE0EEEvT1_.has_indirect_call, 0
	.section	.AMDGPU.csdata,"",@progbits
; Kernel info:
; codeLenInByte = 0
; TotalNumSgprs: 0
; NumVgprs: 0
; ScratchSize: 0
; MemoryBound: 0
; FloatMode: 240
; IeeeMode: 1
; LDSByteSize: 0 bytes/workgroup (compile time only)
; SGPRBlocks: 0
; VGPRBlocks: 0
; NumSGPRsForWavesPerEU: 1
; NumVGPRsForWavesPerEU: 1
; Occupancy: 16
; WaveLimiterHint : 0
; COMPUTE_PGM_RSRC2:SCRATCH_EN: 0
; COMPUTE_PGM_RSRC2:USER_SGPR: 6
; COMPUTE_PGM_RSRC2:TRAP_HANDLER: 0
; COMPUTE_PGM_RSRC2:TGID_X_EN: 1
; COMPUTE_PGM_RSRC2:TGID_Y_EN: 0
; COMPUTE_PGM_RSRC2:TGID_Z_EN: 0
; COMPUTE_PGM_RSRC2:TIDIG_COMP_CNT: 0
	.section	.text._ZN7rocprim17ROCPRIM_400000_NS6detail17trampoline_kernelINS0_14default_configENS1_27scan_by_key_config_selectorIxxEEZZNS1_16scan_by_key_implILNS1_25lookback_scan_determinismE0ELb0ES3_N6thrust23THRUST_200600_302600_NS6detail15normal_iteratorINS9_10device_ptrIxEEEESE_SE_xNS9_4plusIxEE19head_flag_predicatexEE10hipError_tPvRmT2_T3_T4_T5_mT6_T7_P12ihipStream_tbENKUlT_T0_E_clISt17integral_constantIbLb1EESY_EEDaST_SU_EUlST_E_NS1_11comp_targetILNS1_3genE5ELNS1_11target_archE942ELNS1_3gpuE9ELNS1_3repE0EEENS1_30default_config_static_selectorELNS0_4arch9wavefront6targetE0EEEvT1_,"axG",@progbits,_ZN7rocprim17ROCPRIM_400000_NS6detail17trampoline_kernelINS0_14default_configENS1_27scan_by_key_config_selectorIxxEEZZNS1_16scan_by_key_implILNS1_25lookback_scan_determinismE0ELb0ES3_N6thrust23THRUST_200600_302600_NS6detail15normal_iteratorINS9_10device_ptrIxEEEESE_SE_xNS9_4plusIxEE19head_flag_predicatexEE10hipError_tPvRmT2_T3_T4_T5_mT6_T7_P12ihipStream_tbENKUlT_T0_E_clISt17integral_constantIbLb1EESY_EEDaST_SU_EUlST_E_NS1_11comp_targetILNS1_3genE5ELNS1_11target_archE942ELNS1_3gpuE9ELNS1_3repE0EEENS1_30default_config_static_selectorELNS0_4arch9wavefront6targetE0EEEvT1_,comdat
	.protected	_ZN7rocprim17ROCPRIM_400000_NS6detail17trampoline_kernelINS0_14default_configENS1_27scan_by_key_config_selectorIxxEEZZNS1_16scan_by_key_implILNS1_25lookback_scan_determinismE0ELb0ES3_N6thrust23THRUST_200600_302600_NS6detail15normal_iteratorINS9_10device_ptrIxEEEESE_SE_xNS9_4plusIxEE19head_flag_predicatexEE10hipError_tPvRmT2_T3_T4_T5_mT6_T7_P12ihipStream_tbENKUlT_T0_E_clISt17integral_constantIbLb1EESY_EEDaST_SU_EUlST_E_NS1_11comp_targetILNS1_3genE5ELNS1_11target_archE942ELNS1_3gpuE9ELNS1_3repE0EEENS1_30default_config_static_selectorELNS0_4arch9wavefront6targetE0EEEvT1_ ; -- Begin function _ZN7rocprim17ROCPRIM_400000_NS6detail17trampoline_kernelINS0_14default_configENS1_27scan_by_key_config_selectorIxxEEZZNS1_16scan_by_key_implILNS1_25lookback_scan_determinismE0ELb0ES3_N6thrust23THRUST_200600_302600_NS6detail15normal_iteratorINS9_10device_ptrIxEEEESE_SE_xNS9_4plusIxEE19head_flag_predicatexEE10hipError_tPvRmT2_T3_T4_T5_mT6_T7_P12ihipStream_tbENKUlT_T0_E_clISt17integral_constantIbLb1EESY_EEDaST_SU_EUlST_E_NS1_11comp_targetILNS1_3genE5ELNS1_11target_archE942ELNS1_3gpuE9ELNS1_3repE0EEENS1_30default_config_static_selectorELNS0_4arch9wavefront6targetE0EEEvT1_
	.globl	_ZN7rocprim17ROCPRIM_400000_NS6detail17trampoline_kernelINS0_14default_configENS1_27scan_by_key_config_selectorIxxEEZZNS1_16scan_by_key_implILNS1_25lookback_scan_determinismE0ELb0ES3_N6thrust23THRUST_200600_302600_NS6detail15normal_iteratorINS9_10device_ptrIxEEEESE_SE_xNS9_4plusIxEE19head_flag_predicatexEE10hipError_tPvRmT2_T3_T4_T5_mT6_T7_P12ihipStream_tbENKUlT_T0_E_clISt17integral_constantIbLb1EESY_EEDaST_SU_EUlST_E_NS1_11comp_targetILNS1_3genE5ELNS1_11target_archE942ELNS1_3gpuE9ELNS1_3repE0EEENS1_30default_config_static_selectorELNS0_4arch9wavefront6targetE0EEEvT1_
	.p2align	8
	.type	_ZN7rocprim17ROCPRIM_400000_NS6detail17trampoline_kernelINS0_14default_configENS1_27scan_by_key_config_selectorIxxEEZZNS1_16scan_by_key_implILNS1_25lookback_scan_determinismE0ELb0ES3_N6thrust23THRUST_200600_302600_NS6detail15normal_iteratorINS9_10device_ptrIxEEEESE_SE_xNS9_4plusIxEE19head_flag_predicatexEE10hipError_tPvRmT2_T3_T4_T5_mT6_T7_P12ihipStream_tbENKUlT_T0_E_clISt17integral_constantIbLb1EESY_EEDaST_SU_EUlST_E_NS1_11comp_targetILNS1_3genE5ELNS1_11target_archE942ELNS1_3gpuE9ELNS1_3repE0EEENS1_30default_config_static_selectorELNS0_4arch9wavefront6targetE0EEEvT1_,@function
_ZN7rocprim17ROCPRIM_400000_NS6detail17trampoline_kernelINS0_14default_configENS1_27scan_by_key_config_selectorIxxEEZZNS1_16scan_by_key_implILNS1_25lookback_scan_determinismE0ELb0ES3_N6thrust23THRUST_200600_302600_NS6detail15normal_iteratorINS9_10device_ptrIxEEEESE_SE_xNS9_4plusIxEE19head_flag_predicatexEE10hipError_tPvRmT2_T3_T4_T5_mT6_T7_P12ihipStream_tbENKUlT_T0_E_clISt17integral_constantIbLb1EESY_EEDaST_SU_EUlST_E_NS1_11comp_targetILNS1_3genE5ELNS1_11target_archE942ELNS1_3gpuE9ELNS1_3repE0EEENS1_30default_config_static_selectorELNS0_4arch9wavefront6targetE0EEEvT1_: ; @_ZN7rocprim17ROCPRIM_400000_NS6detail17trampoline_kernelINS0_14default_configENS1_27scan_by_key_config_selectorIxxEEZZNS1_16scan_by_key_implILNS1_25lookback_scan_determinismE0ELb0ES3_N6thrust23THRUST_200600_302600_NS6detail15normal_iteratorINS9_10device_ptrIxEEEESE_SE_xNS9_4plusIxEE19head_flag_predicatexEE10hipError_tPvRmT2_T3_T4_T5_mT6_T7_P12ihipStream_tbENKUlT_T0_E_clISt17integral_constantIbLb1EESY_EEDaST_SU_EUlST_E_NS1_11comp_targetILNS1_3genE5ELNS1_11target_archE942ELNS1_3gpuE9ELNS1_3repE0EEENS1_30default_config_static_selectorELNS0_4arch9wavefront6targetE0EEEvT1_
; %bb.0:
	.section	.rodata,"a",@progbits
	.p2align	6, 0x0
	.amdhsa_kernel _ZN7rocprim17ROCPRIM_400000_NS6detail17trampoline_kernelINS0_14default_configENS1_27scan_by_key_config_selectorIxxEEZZNS1_16scan_by_key_implILNS1_25lookback_scan_determinismE0ELb0ES3_N6thrust23THRUST_200600_302600_NS6detail15normal_iteratorINS9_10device_ptrIxEEEESE_SE_xNS9_4plusIxEE19head_flag_predicatexEE10hipError_tPvRmT2_T3_T4_T5_mT6_T7_P12ihipStream_tbENKUlT_T0_E_clISt17integral_constantIbLb1EESY_EEDaST_SU_EUlST_E_NS1_11comp_targetILNS1_3genE5ELNS1_11target_archE942ELNS1_3gpuE9ELNS1_3repE0EEENS1_30default_config_static_selectorELNS0_4arch9wavefront6targetE0EEEvT1_
		.amdhsa_group_segment_fixed_size 0
		.amdhsa_private_segment_fixed_size 0
		.amdhsa_kernarg_size 136
		.amdhsa_user_sgpr_count 6
		.amdhsa_user_sgpr_private_segment_buffer 1
		.amdhsa_user_sgpr_dispatch_ptr 0
		.amdhsa_user_sgpr_queue_ptr 0
		.amdhsa_user_sgpr_kernarg_segment_ptr 1
		.amdhsa_user_sgpr_dispatch_id 0
		.amdhsa_user_sgpr_flat_scratch_init 0
		.amdhsa_user_sgpr_private_segment_size 0
		.amdhsa_wavefront_size32 1
		.amdhsa_uses_dynamic_stack 0
		.amdhsa_system_sgpr_private_segment_wavefront_offset 0
		.amdhsa_system_sgpr_workgroup_id_x 1
		.amdhsa_system_sgpr_workgroup_id_y 0
		.amdhsa_system_sgpr_workgroup_id_z 0
		.amdhsa_system_sgpr_workgroup_info 0
		.amdhsa_system_vgpr_workitem_id 0
		.amdhsa_next_free_vgpr 1
		.amdhsa_next_free_sgpr 1
		.amdhsa_reserve_vcc 0
		.amdhsa_reserve_flat_scratch 0
		.amdhsa_float_round_mode_32 0
		.amdhsa_float_round_mode_16_64 0
		.amdhsa_float_denorm_mode_32 3
		.amdhsa_float_denorm_mode_16_64 3
		.amdhsa_dx10_clamp 1
		.amdhsa_ieee_mode 1
		.amdhsa_fp16_overflow 0
		.amdhsa_workgroup_processor_mode 1
		.amdhsa_memory_ordered 1
		.amdhsa_forward_progress 1
		.amdhsa_shared_vgpr_count 0
		.amdhsa_exception_fp_ieee_invalid_op 0
		.amdhsa_exception_fp_denorm_src 0
		.amdhsa_exception_fp_ieee_div_zero 0
		.amdhsa_exception_fp_ieee_overflow 0
		.amdhsa_exception_fp_ieee_underflow 0
		.amdhsa_exception_fp_ieee_inexact 0
		.amdhsa_exception_int_div_zero 0
	.end_amdhsa_kernel
	.section	.text._ZN7rocprim17ROCPRIM_400000_NS6detail17trampoline_kernelINS0_14default_configENS1_27scan_by_key_config_selectorIxxEEZZNS1_16scan_by_key_implILNS1_25lookback_scan_determinismE0ELb0ES3_N6thrust23THRUST_200600_302600_NS6detail15normal_iteratorINS9_10device_ptrIxEEEESE_SE_xNS9_4plusIxEE19head_flag_predicatexEE10hipError_tPvRmT2_T3_T4_T5_mT6_T7_P12ihipStream_tbENKUlT_T0_E_clISt17integral_constantIbLb1EESY_EEDaST_SU_EUlST_E_NS1_11comp_targetILNS1_3genE5ELNS1_11target_archE942ELNS1_3gpuE9ELNS1_3repE0EEENS1_30default_config_static_selectorELNS0_4arch9wavefront6targetE0EEEvT1_,"axG",@progbits,_ZN7rocprim17ROCPRIM_400000_NS6detail17trampoline_kernelINS0_14default_configENS1_27scan_by_key_config_selectorIxxEEZZNS1_16scan_by_key_implILNS1_25lookback_scan_determinismE0ELb0ES3_N6thrust23THRUST_200600_302600_NS6detail15normal_iteratorINS9_10device_ptrIxEEEESE_SE_xNS9_4plusIxEE19head_flag_predicatexEE10hipError_tPvRmT2_T3_T4_T5_mT6_T7_P12ihipStream_tbENKUlT_T0_E_clISt17integral_constantIbLb1EESY_EEDaST_SU_EUlST_E_NS1_11comp_targetILNS1_3genE5ELNS1_11target_archE942ELNS1_3gpuE9ELNS1_3repE0EEENS1_30default_config_static_selectorELNS0_4arch9wavefront6targetE0EEEvT1_,comdat
.Lfunc_end688:
	.size	_ZN7rocprim17ROCPRIM_400000_NS6detail17trampoline_kernelINS0_14default_configENS1_27scan_by_key_config_selectorIxxEEZZNS1_16scan_by_key_implILNS1_25lookback_scan_determinismE0ELb0ES3_N6thrust23THRUST_200600_302600_NS6detail15normal_iteratorINS9_10device_ptrIxEEEESE_SE_xNS9_4plusIxEE19head_flag_predicatexEE10hipError_tPvRmT2_T3_T4_T5_mT6_T7_P12ihipStream_tbENKUlT_T0_E_clISt17integral_constantIbLb1EESY_EEDaST_SU_EUlST_E_NS1_11comp_targetILNS1_3genE5ELNS1_11target_archE942ELNS1_3gpuE9ELNS1_3repE0EEENS1_30default_config_static_selectorELNS0_4arch9wavefront6targetE0EEEvT1_, .Lfunc_end688-_ZN7rocprim17ROCPRIM_400000_NS6detail17trampoline_kernelINS0_14default_configENS1_27scan_by_key_config_selectorIxxEEZZNS1_16scan_by_key_implILNS1_25lookback_scan_determinismE0ELb0ES3_N6thrust23THRUST_200600_302600_NS6detail15normal_iteratorINS9_10device_ptrIxEEEESE_SE_xNS9_4plusIxEE19head_flag_predicatexEE10hipError_tPvRmT2_T3_T4_T5_mT6_T7_P12ihipStream_tbENKUlT_T0_E_clISt17integral_constantIbLb1EESY_EEDaST_SU_EUlST_E_NS1_11comp_targetILNS1_3genE5ELNS1_11target_archE942ELNS1_3gpuE9ELNS1_3repE0EEENS1_30default_config_static_selectorELNS0_4arch9wavefront6targetE0EEEvT1_
                                        ; -- End function
	.set _ZN7rocprim17ROCPRIM_400000_NS6detail17trampoline_kernelINS0_14default_configENS1_27scan_by_key_config_selectorIxxEEZZNS1_16scan_by_key_implILNS1_25lookback_scan_determinismE0ELb0ES3_N6thrust23THRUST_200600_302600_NS6detail15normal_iteratorINS9_10device_ptrIxEEEESE_SE_xNS9_4plusIxEE19head_flag_predicatexEE10hipError_tPvRmT2_T3_T4_T5_mT6_T7_P12ihipStream_tbENKUlT_T0_E_clISt17integral_constantIbLb1EESY_EEDaST_SU_EUlST_E_NS1_11comp_targetILNS1_3genE5ELNS1_11target_archE942ELNS1_3gpuE9ELNS1_3repE0EEENS1_30default_config_static_selectorELNS0_4arch9wavefront6targetE0EEEvT1_.num_vgpr, 0
	.set _ZN7rocprim17ROCPRIM_400000_NS6detail17trampoline_kernelINS0_14default_configENS1_27scan_by_key_config_selectorIxxEEZZNS1_16scan_by_key_implILNS1_25lookback_scan_determinismE0ELb0ES3_N6thrust23THRUST_200600_302600_NS6detail15normal_iteratorINS9_10device_ptrIxEEEESE_SE_xNS9_4plusIxEE19head_flag_predicatexEE10hipError_tPvRmT2_T3_T4_T5_mT6_T7_P12ihipStream_tbENKUlT_T0_E_clISt17integral_constantIbLb1EESY_EEDaST_SU_EUlST_E_NS1_11comp_targetILNS1_3genE5ELNS1_11target_archE942ELNS1_3gpuE9ELNS1_3repE0EEENS1_30default_config_static_selectorELNS0_4arch9wavefront6targetE0EEEvT1_.num_agpr, 0
	.set _ZN7rocprim17ROCPRIM_400000_NS6detail17trampoline_kernelINS0_14default_configENS1_27scan_by_key_config_selectorIxxEEZZNS1_16scan_by_key_implILNS1_25lookback_scan_determinismE0ELb0ES3_N6thrust23THRUST_200600_302600_NS6detail15normal_iteratorINS9_10device_ptrIxEEEESE_SE_xNS9_4plusIxEE19head_flag_predicatexEE10hipError_tPvRmT2_T3_T4_T5_mT6_T7_P12ihipStream_tbENKUlT_T0_E_clISt17integral_constantIbLb1EESY_EEDaST_SU_EUlST_E_NS1_11comp_targetILNS1_3genE5ELNS1_11target_archE942ELNS1_3gpuE9ELNS1_3repE0EEENS1_30default_config_static_selectorELNS0_4arch9wavefront6targetE0EEEvT1_.numbered_sgpr, 0
	.set _ZN7rocprim17ROCPRIM_400000_NS6detail17trampoline_kernelINS0_14default_configENS1_27scan_by_key_config_selectorIxxEEZZNS1_16scan_by_key_implILNS1_25lookback_scan_determinismE0ELb0ES3_N6thrust23THRUST_200600_302600_NS6detail15normal_iteratorINS9_10device_ptrIxEEEESE_SE_xNS9_4plusIxEE19head_flag_predicatexEE10hipError_tPvRmT2_T3_T4_T5_mT6_T7_P12ihipStream_tbENKUlT_T0_E_clISt17integral_constantIbLb1EESY_EEDaST_SU_EUlST_E_NS1_11comp_targetILNS1_3genE5ELNS1_11target_archE942ELNS1_3gpuE9ELNS1_3repE0EEENS1_30default_config_static_selectorELNS0_4arch9wavefront6targetE0EEEvT1_.num_named_barrier, 0
	.set _ZN7rocprim17ROCPRIM_400000_NS6detail17trampoline_kernelINS0_14default_configENS1_27scan_by_key_config_selectorIxxEEZZNS1_16scan_by_key_implILNS1_25lookback_scan_determinismE0ELb0ES3_N6thrust23THRUST_200600_302600_NS6detail15normal_iteratorINS9_10device_ptrIxEEEESE_SE_xNS9_4plusIxEE19head_flag_predicatexEE10hipError_tPvRmT2_T3_T4_T5_mT6_T7_P12ihipStream_tbENKUlT_T0_E_clISt17integral_constantIbLb1EESY_EEDaST_SU_EUlST_E_NS1_11comp_targetILNS1_3genE5ELNS1_11target_archE942ELNS1_3gpuE9ELNS1_3repE0EEENS1_30default_config_static_selectorELNS0_4arch9wavefront6targetE0EEEvT1_.private_seg_size, 0
	.set _ZN7rocprim17ROCPRIM_400000_NS6detail17trampoline_kernelINS0_14default_configENS1_27scan_by_key_config_selectorIxxEEZZNS1_16scan_by_key_implILNS1_25lookback_scan_determinismE0ELb0ES3_N6thrust23THRUST_200600_302600_NS6detail15normal_iteratorINS9_10device_ptrIxEEEESE_SE_xNS9_4plusIxEE19head_flag_predicatexEE10hipError_tPvRmT2_T3_T4_T5_mT6_T7_P12ihipStream_tbENKUlT_T0_E_clISt17integral_constantIbLb1EESY_EEDaST_SU_EUlST_E_NS1_11comp_targetILNS1_3genE5ELNS1_11target_archE942ELNS1_3gpuE9ELNS1_3repE0EEENS1_30default_config_static_selectorELNS0_4arch9wavefront6targetE0EEEvT1_.uses_vcc, 0
	.set _ZN7rocprim17ROCPRIM_400000_NS6detail17trampoline_kernelINS0_14default_configENS1_27scan_by_key_config_selectorIxxEEZZNS1_16scan_by_key_implILNS1_25lookback_scan_determinismE0ELb0ES3_N6thrust23THRUST_200600_302600_NS6detail15normal_iteratorINS9_10device_ptrIxEEEESE_SE_xNS9_4plusIxEE19head_flag_predicatexEE10hipError_tPvRmT2_T3_T4_T5_mT6_T7_P12ihipStream_tbENKUlT_T0_E_clISt17integral_constantIbLb1EESY_EEDaST_SU_EUlST_E_NS1_11comp_targetILNS1_3genE5ELNS1_11target_archE942ELNS1_3gpuE9ELNS1_3repE0EEENS1_30default_config_static_selectorELNS0_4arch9wavefront6targetE0EEEvT1_.uses_flat_scratch, 0
	.set _ZN7rocprim17ROCPRIM_400000_NS6detail17trampoline_kernelINS0_14default_configENS1_27scan_by_key_config_selectorIxxEEZZNS1_16scan_by_key_implILNS1_25lookback_scan_determinismE0ELb0ES3_N6thrust23THRUST_200600_302600_NS6detail15normal_iteratorINS9_10device_ptrIxEEEESE_SE_xNS9_4plusIxEE19head_flag_predicatexEE10hipError_tPvRmT2_T3_T4_T5_mT6_T7_P12ihipStream_tbENKUlT_T0_E_clISt17integral_constantIbLb1EESY_EEDaST_SU_EUlST_E_NS1_11comp_targetILNS1_3genE5ELNS1_11target_archE942ELNS1_3gpuE9ELNS1_3repE0EEENS1_30default_config_static_selectorELNS0_4arch9wavefront6targetE0EEEvT1_.has_dyn_sized_stack, 0
	.set _ZN7rocprim17ROCPRIM_400000_NS6detail17trampoline_kernelINS0_14default_configENS1_27scan_by_key_config_selectorIxxEEZZNS1_16scan_by_key_implILNS1_25lookback_scan_determinismE0ELb0ES3_N6thrust23THRUST_200600_302600_NS6detail15normal_iteratorINS9_10device_ptrIxEEEESE_SE_xNS9_4plusIxEE19head_flag_predicatexEE10hipError_tPvRmT2_T3_T4_T5_mT6_T7_P12ihipStream_tbENKUlT_T0_E_clISt17integral_constantIbLb1EESY_EEDaST_SU_EUlST_E_NS1_11comp_targetILNS1_3genE5ELNS1_11target_archE942ELNS1_3gpuE9ELNS1_3repE0EEENS1_30default_config_static_selectorELNS0_4arch9wavefront6targetE0EEEvT1_.has_recursion, 0
	.set _ZN7rocprim17ROCPRIM_400000_NS6detail17trampoline_kernelINS0_14default_configENS1_27scan_by_key_config_selectorIxxEEZZNS1_16scan_by_key_implILNS1_25lookback_scan_determinismE0ELb0ES3_N6thrust23THRUST_200600_302600_NS6detail15normal_iteratorINS9_10device_ptrIxEEEESE_SE_xNS9_4plusIxEE19head_flag_predicatexEE10hipError_tPvRmT2_T3_T4_T5_mT6_T7_P12ihipStream_tbENKUlT_T0_E_clISt17integral_constantIbLb1EESY_EEDaST_SU_EUlST_E_NS1_11comp_targetILNS1_3genE5ELNS1_11target_archE942ELNS1_3gpuE9ELNS1_3repE0EEENS1_30default_config_static_selectorELNS0_4arch9wavefront6targetE0EEEvT1_.has_indirect_call, 0
	.section	.AMDGPU.csdata,"",@progbits
; Kernel info:
; codeLenInByte = 0
; TotalNumSgprs: 0
; NumVgprs: 0
; ScratchSize: 0
; MemoryBound: 0
; FloatMode: 240
; IeeeMode: 1
; LDSByteSize: 0 bytes/workgroup (compile time only)
; SGPRBlocks: 0
; VGPRBlocks: 0
; NumSGPRsForWavesPerEU: 1
; NumVGPRsForWavesPerEU: 1
; Occupancy: 16
; WaveLimiterHint : 0
; COMPUTE_PGM_RSRC2:SCRATCH_EN: 0
; COMPUTE_PGM_RSRC2:USER_SGPR: 6
; COMPUTE_PGM_RSRC2:TRAP_HANDLER: 0
; COMPUTE_PGM_RSRC2:TGID_X_EN: 1
; COMPUTE_PGM_RSRC2:TGID_Y_EN: 0
; COMPUTE_PGM_RSRC2:TGID_Z_EN: 0
; COMPUTE_PGM_RSRC2:TIDIG_COMP_CNT: 0
	.section	.text._ZN7rocprim17ROCPRIM_400000_NS6detail17trampoline_kernelINS0_14default_configENS1_27scan_by_key_config_selectorIxxEEZZNS1_16scan_by_key_implILNS1_25lookback_scan_determinismE0ELb0ES3_N6thrust23THRUST_200600_302600_NS6detail15normal_iteratorINS9_10device_ptrIxEEEESE_SE_xNS9_4plusIxEE19head_flag_predicatexEE10hipError_tPvRmT2_T3_T4_T5_mT6_T7_P12ihipStream_tbENKUlT_T0_E_clISt17integral_constantIbLb1EESY_EEDaST_SU_EUlST_E_NS1_11comp_targetILNS1_3genE4ELNS1_11target_archE910ELNS1_3gpuE8ELNS1_3repE0EEENS1_30default_config_static_selectorELNS0_4arch9wavefront6targetE0EEEvT1_,"axG",@progbits,_ZN7rocprim17ROCPRIM_400000_NS6detail17trampoline_kernelINS0_14default_configENS1_27scan_by_key_config_selectorIxxEEZZNS1_16scan_by_key_implILNS1_25lookback_scan_determinismE0ELb0ES3_N6thrust23THRUST_200600_302600_NS6detail15normal_iteratorINS9_10device_ptrIxEEEESE_SE_xNS9_4plusIxEE19head_flag_predicatexEE10hipError_tPvRmT2_T3_T4_T5_mT6_T7_P12ihipStream_tbENKUlT_T0_E_clISt17integral_constantIbLb1EESY_EEDaST_SU_EUlST_E_NS1_11comp_targetILNS1_3genE4ELNS1_11target_archE910ELNS1_3gpuE8ELNS1_3repE0EEENS1_30default_config_static_selectorELNS0_4arch9wavefront6targetE0EEEvT1_,comdat
	.protected	_ZN7rocprim17ROCPRIM_400000_NS6detail17trampoline_kernelINS0_14default_configENS1_27scan_by_key_config_selectorIxxEEZZNS1_16scan_by_key_implILNS1_25lookback_scan_determinismE0ELb0ES3_N6thrust23THRUST_200600_302600_NS6detail15normal_iteratorINS9_10device_ptrIxEEEESE_SE_xNS9_4plusIxEE19head_flag_predicatexEE10hipError_tPvRmT2_T3_T4_T5_mT6_T7_P12ihipStream_tbENKUlT_T0_E_clISt17integral_constantIbLb1EESY_EEDaST_SU_EUlST_E_NS1_11comp_targetILNS1_3genE4ELNS1_11target_archE910ELNS1_3gpuE8ELNS1_3repE0EEENS1_30default_config_static_selectorELNS0_4arch9wavefront6targetE0EEEvT1_ ; -- Begin function _ZN7rocprim17ROCPRIM_400000_NS6detail17trampoline_kernelINS0_14default_configENS1_27scan_by_key_config_selectorIxxEEZZNS1_16scan_by_key_implILNS1_25lookback_scan_determinismE0ELb0ES3_N6thrust23THRUST_200600_302600_NS6detail15normal_iteratorINS9_10device_ptrIxEEEESE_SE_xNS9_4plusIxEE19head_flag_predicatexEE10hipError_tPvRmT2_T3_T4_T5_mT6_T7_P12ihipStream_tbENKUlT_T0_E_clISt17integral_constantIbLb1EESY_EEDaST_SU_EUlST_E_NS1_11comp_targetILNS1_3genE4ELNS1_11target_archE910ELNS1_3gpuE8ELNS1_3repE0EEENS1_30default_config_static_selectorELNS0_4arch9wavefront6targetE0EEEvT1_
	.globl	_ZN7rocprim17ROCPRIM_400000_NS6detail17trampoline_kernelINS0_14default_configENS1_27scan_by_key_config_selectorIxxEEZZNS1_16scan_by_key_implILNS1_25lookback_scan_determinismE0ELb0ES3_N6thrust23THRUST_200600_302600_NS6detail15normal_iteratorINS9_10device_ptrIxEEEESE_SE_xNS9_4plusIxEE19head_flag_predicatexEE10hipError_tPvRmT2_T3_T4_T5_mT6_T7_P12ihipStream_tbENKUlT_T0_E_clISt17integral_constantIbLb1EESY_EEDaST_SU_EUlST_E_NS1_11comp_targetILNS1_3genE4ELNS1_11target_archE910ELNS1_3gpuE8ELNS1_3repE0EEENS1_30default_config_static_selectorELNS0_4arch9wavefront6targetE0EEEvT1_
	.p2align	8
	.type	_ZN7rocprim17ROCPRIM_400000_NS6detail17trampoline_kernelINS0_14default_configENS1_27scan_by_key_config_selectorIxxEEZZNS1_16scan_by_key_implILNS1_25lookback_scan_determinismE0ELb0ES3_N6thrust23THRUST_200600_302600_NS6detail15normal_iteratorINS9_10device_ptrIxEEEESE_SE_xNS9_4plusIxEE19head_flag_predicatexEE10hipError_tPvRmT2_T3_T4_T5_mT6_T7_P12ihipStream_tbENKUlT_T0_E_clISt17integral_constantIbLb1EESY_EEDaST_SU_EUlST_E_NS1_11comp_targetILNS1_3genE4ELNS1_11target_archE910ELNS1_3gpuE8ELNS1_3repE0EEENS1_30default_config_static_selectorELNS0_4arch9wavefront6targetE0EEEvT1_,@function
_ZN7rocprim17ROCPRIM_400000_NS6detail17trampoline_kernelINS0_14default_configENS1_27scan_by_key_config_selectorIxxEEZZNS1_16scan_by_key_implILNS1_25lookback_scan_determinismE0ELb0ES3_N6thrust23THRUST_200600_302600_NS6detail15normal_iteratorINS9_10device_ptrIxEEEESE_SE_xNS9_4plusIxEE19head_flag_predicatexEE10hipError_tPvRmT2_T3_T4_T5_mT6_T7_P12ihipStream_tbENKUlT_T0_E_clISt17integral_constantIbLb1EESY_EEDaST_SU_EUlST_E_NS1_11comp_targetILNS1_3genE4ELNS1_11target_archE910ELNS1_3gpuE8ELNS1_3repE0EEENS1_30default_config_static_selectorELNS0_4arch9wavefront6targetE0EEEvT1_: ; @_ZN7rocprim17ROCPRIM_400000_NS6detail17trampoline_kernelINS0_14default_configENS1_27scan_by_key_config_selectorIxxEEZZNS1_16scan_by_key_implILNS1_25lookback_scan_determinismE0ELb0ES3_N6thrust23THRUST_200600_302600_NS6detail15normal_iteratorINS9_10device_ptrIxEEEESE_SE_xNS9_4plusIxEE19head_flag_predicatexEE10hipError_tPvRmT2_T3_T4_T5_mT6_T7_P12ihipStream_tbENKUlT_T0_E_clISt17integral_constantIbLb1EESY_EEDaST_SU_EUlST_E_NS1_11comp_targetILNS1_3genE4ELNS1_11target_archE910ELNS1_3gpuE8ELNS1_3repE0EEENS1_30default_config_static_selectorELNS0_4arch9wavefront6targetE0EEEvT1_
; %bb.0:
	.section	.rodata,"a",@progbits
	.p2align	6, 0x0
	.amdhsa_kernel _ZN7rocprim17ROCPRIM_400000_NS6detail17trampoline_kernelINS0_14default_configENS1_27scan_by_key_config_selectorIxxEEZZNS1_16scan_by_key_implILNS1_25lookback_scan_determinismE0ELb0ES3_N6thrust23THRUST_200600_302600_NS6detail15normal_iteratorINS9_10device_ptrIxEEEESE_SE_xNS9_4plusIxEE19head_flag_predicatexEE10hipError_tPvRmT2_T3_T4_T5_mT6_T7_P12ihipStream_tbENKUlT_T0_E_clISt17integral_constantIbLb1EESY_EEDaST_SU_EUlST_E_NS1_11comp_targetILNS1_3genE4ELNS1_11target_archE910ELNS1_3gpuE8ELNS1_3repE0EEENS1_30default_config_static_selectorELNS0_4arch9wavefront6targetE0EEEvT1_
		.amdhsa_group_segment_fixed_size 0
		.amdhsa_private_segment_fixed_size 0
		.amdhsa_kernarg_size 136
		.amdhsa_user_sgpr_count 6
		.amdhsa_user_sgpr_private_segment_buffer 1
		.amdhsa_user_sgpr_dispatch_ptr 0
		.amdhsa_user_sgpr_queue_ptr 0
		.amdhsa_user_sgpr_kernarg_segment_ptr 1
		.amdhsa_user_sgpr_dispatch_id 0
		.amdhsa_user_sgpr_flat_scratch_init 0
		.amdhsa_user_sgpr_private_segment_size 0
		.amdhsa_wavefront_size32 1
		.amdhsa_uses_dynamic_stack 0
		.amdhsa_system_sgpr_private_segment_wavefront_offset 0
		.amdhsa_system_sgpr_workgroup_id_x 1
		.amdhsa_system_sgpr_workgroup_id_y 0
		.amdhsa_system_sgpr_workgroup_id_z 0
		.amdhsa_system_sgpr_workgroup_info 0
		.amdhsa_system_vgpr_workitem_id 0
		.amdhsa_next_free_vgpr 1
		.amdhsa_next_free_sgpr 1
		.amdhsa_reserve_vcc 0
		.amdhsa_reserve_flat_scratch 0
		.amdhsa_float_round_mode_32 0
		.amdhsa_float_round_mode_16_64 0
		.amdhsa_float_denorm_mode_32 3
		.amdhsa_float_denorm_mode_16_64 3
		.amdhsa_dx10_clamp 1
		.amdhsa_ieee_mode 1
		.amdhsa_fp16_overflow 0
		.amdhsa_workgroup_processor_mode 1
		.amdhsa_memory_ordered 1
		.amdhsa_forward_progress 1
		.amdhsa_shared_vgpr_count 0
		.amdhsa_exception_fp_ieee_invalid_op 0
		.amdhsa_exception_fp_denorm_src 0
		.amdhsa_exception_fp_ieee_div_zero 0
		.amdhsa_exception_fp_ieee_overflow 0
		.amdhsa_exception_fp_ieee_underflow 0
		.amdhsa_exception_fp_ieee_inexact 0
		.amdhsa_exception_int_div_zero 0
	.end_amdhsa_kernel
	.section	.text._ZN7rocprim17ROCPRIM_400000_NS6detail17trampoline_kernelINS0_14default_configENS1_27scan_by_key_config_selectorIxxEEZZNS1_16scan_by_key_implILNS1_25lookback_scan_determinismE0ELb0ES3_N6thrust23THRUST_200600_302600_NS6detail15normal_iteratorINS9_10device_ptrIxEEEESE_SE_xNS9_4plusIxEE19head_flag_predicatexEE10hipError_tPvRmT2_T3_T4_T5_mT6_T7_P12ihipStream_tbENKUlT_T0_E_clISt17integral_constantIbLb1EESY_EEDaST_SU_EUlST_E_NS1_11comp_targetILNS1_3genE4ELNS1_11target_archE910ELNS1_3gpuE8ELNS1_3repE0EEENS1_30default_config_static_selectorELNS0_4arch9wavefront6targetE0EEEvT1_,"axG",@progbits,_ZN7rocprim17ROCPRIM_400000_NS6detail17trampoline_kernelINS0_14default_configENS1_27scan_by_key_config_selectorIxxEEZZNS1_16scan_by_key_implILNS1_25lookback_scan_determinismE0ELb0ES3_N6thrust23THRUST_200600_302600_NS6detail15normal_iteratorINS9_10device_ptrIxEEEESE_SE_xNS9_4plusIxEE19head_flag_predicatexEE10hipError_tPvRmT2_T3_T4_T5_mT6_T7_P12ihipStream_tbENKUlT_T0_E_clISt17integral_constantIbLb1EESY_EEDaST_SU_EUlST_E_NS1_11comp_targetILNS1_3genE4ELNS1_11target_archE910ELNS1_3gpuE8ELNS1_3repE0EEENS1_30default_config_static_selectorELNS0_4arch9wavefront6targetE0EEEvT1_,comdat
.Lfunc_end689:
	.size	_ZN7rocprim17ROCPRIM_400000_NS6detail17trampoline_kernelINS0_14default_configENS1_27scan_by_key_config_selectorIxxEEZZNS1_16scan_by_key_implILNS1_25lookback_scan_determinismE0ELb0ES3_N6thrust23THRUST_200600_302600_NS6detail15normal_iteratorINS9_10device_ptrIxEEEESE_SE_xNS9_4plusIxEE19head_flag_predicatexEE10hipError_tPvRmT2_T3_T4_T5_mT6_T7_P12ihipStream_tbENKUlT_T0_E_clISt17integral_constantIbLb1EESY_EEDaST_SU_EUlST_E_NS1_11comp_targetILNS1_3genE4ELNS1_11target_archE910ELNS1_3gpuE8ELNS1_3repE0EEENS1_30default_config_static_selectorELNS0_4arch9wavefront6targetE0EEEvT1_, .Lfunc_end689-_ZN7rocprim17ROCPRIM_400000_NS6detail17trampoline_kernelINS0_14default_configENS1_27scan_by_key_config_selectorIxxEEZZNS1_16scan_by_key_implILNS1_25lookback_scan_determinismE0ELb0ES3_N6thrust23THRUST_200600_302600_NS6detail15normal_iteratorINS9_10device_ptrIxEEEESE_SE_xNS9_4plusIxEE19head_flag_predicatexEE10hipError_tPvRmT2_T3_T4_T5_mT6_T7_P12ihipStream_tbENKUlT_T0_E_clISt17integral_constantIbLb1EESY_EEDaST_SU_EUlST_E_NS1_11comp_targetILNS1_3genE4ELNS1_11target_archE910ELNS1_3gpuE8ELNS1_3repE0EEENS1_30default_config_static_selectorELNS0_4arch9wavefront6targetE0EEEvT1_
                                        ; -- End function
	.set _ZN7rocprim17ROCPRIM_400000_NS6detail17trampoline_kernelINS0_14default_configENS1_27scan_by_key_config_selectorIxxEEZZNS1_16scan_by_key_implILNS1_25lookback_scan_determinismE0ELb0ES3_N6thrust23THRUST_200600_302600_NS6detail15normal_iteratorINS9_10device_ptrIxEEEESE_SE_xNS9_4plusIxEE19head_flag_predicatexEE10hipError_tPvRmT2_T3_T4_T5_mT6_T7_P12ihipStream_tbENKUlT_T0_E_clISt17integral_constantIbLb1EESY_EEDaST_SU_EUlST_E_NS1_11comp_targetILNS1_3genE4ELNS1_11target_archE910ELNS1_3gpuE8ELNS1_3repE0EEENS1_30default_config_static_selectorELNS0_4arch9wavefront6targetE0EEEvT1_.num_vgpr, 0
	.set _ZN7rocprim17ROCPRIM_400000_NS6detail17trampoline_kernelINS0_14default_configENS1_27scan_by_key_config_selectorIxxEEZZNS1_16scan_by_key_implILNS1_25lookback_scan_determinismE0ELb0ES3_N6thrust23THRUST_200600_302600_NS6detail15normal_iteratorINS9_10device_ptrIxEEEESE_SE_xNS9_4plusIxEE19head_flag_predicatexEE10hipError_tPvRmT2_T3_T4_T5_mT6_T7_P12ihipStream_tbENKUlT_T0_E_clISt17integral_constantIbLb1EESY_EEDaST_SU_EUlST_E_NS1_11comp_targetILNS1_3genE4ELNS1_11target_archE910ELNS1_3gpuE8ELNS1_3repE0EEENS1_30default_config_static_selectorELNS0_4arch9wavefront6targetE0EEEvT1_.num_agpr, 0
	.set _ZN7rocprim17ROCPRIM_400000_NS6detail17trampoline_kernelINS0_14default_configENS1_27scan_by_key_config_selectorIxxEEZZNS1_16scan_by_key_implILNS1_25lookback_scan_determinismE0ELb0ES3_N6thrust23THRUST_200600_302600_NS6detail15normal_iteratorINS9_10device_ptrIxEEEESE_SE_xNS9_4plusIxEE19head_flag_predicatexEE10hipError_tPvRmT2_T3_T4_T5_mT6_T7_P12ihipStream_tbENKUlT_T0_E_clISt17integral_constantIbLb1EESY_EEDaST_SU_EUlST_E_NS1_11comp_targetILNS1_3genE4ELNS1_11target_archE910ELNS1_3gpuE8ELNS1_3repE0EEENS1_30default_config_static_selectorELNS0_4arch9wavefront6targetE0EEEvT1_.numbered_sgpr, 0
	.set _ZN7rocprim17ROCPRIM_400000_NS6detail17trampoline_kernelINS0_14default_configENS1_27scan_by_key_config_selectorIxxEEZZNS1_16scan_by_key_implILNS1_25lookback_scan_determinismE0ELb0ES3_N6thrust23THRUST_200600_302600_NS6detail15normal_iteratorINS9_10device_ptrIxEEEESE_SE_xNS9_4plusIxEE19head_flag_predicatexEE10hipError_tPvRmT2_T3_T4_T5_mT6_T7_P12ihipStream_tbENKUlT_T0_E_clISt17integral_constantIbLb1EESY_EEDaST_SU_EUlST_E_NS1_11comp_targetILNS1_3genE4ELNS1_11target_archE910ELNS1_3gpuE8ELNS1_3repE0EEENS1_30default_config_static_selectorELNS0_4arch9wavefront6targetE0EEEvT1_.num_named_barrier, 0
	.set _ZN7rocprim17ROCPRIM_400000_NS6detail17trampoline_kernelINS0_14default_configENS1_27scan_by_key_config_selectorIxxEEZZNS1_16scan_by_key_implILNS1_25lookback_scan_determinismE0ELb0ES3_N6thrust23THRUST_200600_302600_NS6detail15normal_iteratorINS9_10device_ptrIxEEEESE_SE_xNS9_4plusIxEE19head_flag_predicatexEE10hipError_tPvRmT2_T3_T4_T5_mT6_T7_P12ihipStream_tbENKUlT_T0_E_clISt17integral_constantIbLb1EESY_EEDaST_SU_EUlST_E_NS1_11comp_targetILNS1_3genE4ELNS1_11target_archE910ELNS1_3gpuE8ELNS1_3repE0EEENS1_30default_config_static_selectorELNS0_4arch9wavefront6targetE0EEEvT1_.private_seg_size, 0
	.set _ZN7rocprim17ROCPRIM_400000_NS6detail17trampoline_kernelINS0_14default_configENS1_27scan_by_key_config_selectorIxxEEZZNS1_16scan_by_key_implILNS1_25lookback_scan_determinismE0ELb0ES3_N6thrust23THRUST_200600_302600_NS6detail15normal_iteratorINS9_10device_ptrIxEEEESE_SE_xNS9_4plusIxEE19head_flag_predicatexEE10hipError_tPvRmT2_T3_T4_T5_mT6_T7_P12ihipStream_tbENKUlT_T0_E_clISt17integral_constantIbLb1EESY_EEDaST_SU_EUlST_E_NS1_11comp_targetILNS1_3genE4ELNS1_11target_archE910ELNS1_3gpuE8ELNS1_3repE0EEENS1_30default_config_static_selectorELNS0_4arch9wavefront6targetE0EEEvT1_.uses_vcc, 0
	.set _ZN7rocprim17ROCPRIM_400000_NS6detail17trampoline_kernelINS0_14default_configENS1_27scan_by_key_config_selectorIxxEEZZNS1_16scan_by_key_implILNS1_25lookback_scan_determinismE0ELb0ES3_N6thrust23THRUST_200600_302600_NS6detail15normal_iteratorINS9_10device_ptrIxEEEESE_SE_xNS9_4plusIxEE19head_flag_predicatexEE10hipError_tPvRmT2_T3_T4_T5_mT6_T7_P12ihipStream_tbENKUlT_T0_E_clISt17integral_constantIbLb1EESY_EEDaST_SU_EUlST_E_NS1_11comp_targetILNS1_3genE4ELNS1_11target_archE910ELNS1_3gpuE8ELNS1_3repE0EEENS1_30default_config_static_selectorELNS0_4arch9wavefront6targetE0EEEvT1_.uses_flat_scratch, 0
	.set _ZN7rocprim17ROCPRIM_400000_NS6detail17trampoline_kernelINS0_14default_configENS1_27scan_by_key_config_selectorIxxEEZZNS1_16scan_by_key_implILNS1_25lookback_scan_determinismE0ELb0ES3_N6thrust23THRUST_200600_302600_NS6detail15normal_iteratorINS9_10device_ptrIxEEEESE_SE_xNS9_4plusIxEE19head_flag_predicatexEE10hipError_tPvRmT2_T3_T4_T5_mT6_T7_P12ihipStream_tbENKUlT_T0_E_clISt17integral_constantIbLb1EESY_EEDaST_SU_EUlST_E_NS1_11comp_targetILNS1_3genE4ELNS1_11target_archE910ELNS1_3gpuE8ELNS1_3repE0EEENS1_30default_config_static_selectorELNS0_4arch9wavefront6targetE0EEEvT1_.has_dyn_sized_stack, 0
	.set _ZN7rocprim17ROCPRIM_400000_NS6detail17trampoline_kernelINS0_14default_configENS1_27scan_by_key_config_selectorIxxEEZZNS1_16scan_by_key_implILNS1_25lookback_scan_determinismE0ELb0ES3_N6thrust23THRUST_200600_302600_NS6detail15normal_iteratorINS9_10device_ptrIxEEEESE_SE_xNS9_4plusIxEE19head_flag_predicatexEE10hipError_tPvRmT2_T3_T4_T5_mT6_T7_P12ihipStream_tbENKUlT_T0_E_clISt17integral_constantIbLb1EESY_EEDaST_SU_EUlST_E_NS1_11comp_targetILNS1_3genE4ELNS1_11target_archE910ELNS1_3gpuE8ELNS1_3repE0EEENS1_30default_config_static_selectorELNS0_4arch9wavefront6targetE0EEEvT1_.has_recursion, 0
	.set _ZN7rocprim17ROCPRIM_400000_NS6detail17trampoline_kernelINS0_14default_configENS1_27scan_by_key_config_selectorIxxEEZZNS1_16scan_by_key_implILNS1_25lookback_scan_determinismE0ELb0ES3_N6thrust23THRUST_200600_302600_NS6detail15normal_iteratorINS9_10device_ptrIxEEEESE_SE_xNS9_4plusIxEE19head_flag_predicatexEE10hipError_tPvRmT2_T3_T4_T5_mT6_T7_P12ihipStream_tbENKUlT_T0_E_clISt17integral_constantIbLb1EESY_EEDaST_SU_EUlST_E_NS1_11comp_targetILNS1_3genE4ELNS1_11target_archE910ELNS1_3gpuE8ELNS1_3repE0EEENS1_30default_config_static_selectorELNS0_4arch9wavefront6targetE0EEEvT1_.has_indirect_call, 0
	.section	.AMDGPU.csdata,"",@progbits
; Kernel info:
; codeLenInByte = 0
; TotalNumSgprs: 0
; NumVgprs: 0
; ScratchSize: 0
; MemoryBound: 0
; FloatMode: 240
; IeeeMode: 1
; LDSByteSize: 0 bytes/workgroup (compile time only)
; SGPRBlocks: 0
; VGPRBlocks: 0
; NumSGPRsForWavesPerEU: 1
; NumVGPRsForWavesPerEU: 1
; Occupancy: 16
; WaveLimiterHint : 0
; COMPUTE_PGM_RSRC2:SCRATCH_EN: 0
; COMPUTE_PGM_RSRC2:USER_SGPR: 6
; COMPUTE_PGM_RSRC2:TRAP_HANDLER: 0
; COMPUTE_PGM_RSRC2:TGID_X_EN: 1
; COMPUTE_PGM_RSRC2:TGID_Y_EN: 0
; COMPUTE_PGM_RSRC2:TGID_Z_EN: 0
; COMPUTE_PGM_RSRC2:TIDIG_COMP_CNT: 0
	.section	.text._ZN7rocprim17ROCPRIM_400000_NS6detail17trampoline_kernelINS0_14default_configENS1_27scan_by_key_config_selectorIxxEEZZNS1_16scan_by_key_implILNS1_25lookback_scan_determinismE0ELb0ES3_N6thrust23THRUST_200600_302600_NS6detail15normal_iteratorINS9_10device_ptrIxEEEESE_SE_xNS9_4plusIxEE19head_flag_predicatexEE10hipError_tPvRmT2_T3_T4_T5_mT6_T7_P12ihipStream_tbENKUlT_T0_E_clISt17integral_constantIbLb1EESY_EEDaST_SU_EUlST_E_NS1_11comp_targetILNS1_3genE3ELNS1_11target_archE908ELNS1_3gpuE7ELNS1_3repE0EEENS1_30default_config_static_selectorELNS0_4arch9wavefront6targetE0EEEvT1_,"axG",@progbits,_ZN7rocprim17ROCPRIM_400000_NS6detail17trampoline_kernelINS0_14default_configENS1_27scan_by_key_config_selectorIxxEEZZNS1_16scan_by_key_implILNS1_25lookback_scan_determinismE0ELb0ES3_N6thrust23THRUST_200600_302600_NS6detail15normal_iteratorINS9_10device_ptrIxEEEESE_SE_xNS9_4plusIxEE19head_flag_predicatexEE10hipError_tPvRmT2_T3_T4_T5_mT6_T7_P12ihipStream_tbENKUlT_T0_E_clISt17integral_constantIbLb1EESY_EEDaST_SU_EUlST_E_NS1_11comp_targetILNS1_3genE3ELNS1_11target_archE908ELNS1_3gpuE7ELNS1_3repE0EEENS1_30default_config_static_selectorELNS0_4arch9wavefront6targetE0EEEvT1_,comdat
	.protected	_ZN7rocprim17ROCPRIM_400000_NS6detail17trampoline_kernelINS0_14default_configENS1_27scan_by_key_config_selectorIxxEEZZNS1_16scan_by_key_implILNS1_25lookback_scan_determinismE0ELb0ES3_N6thrust23THRUST_200600_302600_NS6detail15normal_iteratorINS9_10device_ptrIxEEEESE_SE_xNS9_4plusIxEE19head_flag_predicatexEE10hipError_tPvRmT2_T3_T4_T5_mT6_T7_P12ihipStream_tbENKUlT_T0_E_clISt17integral_constantIbLb1EESY_EEDaST_SU_EUlST_E_NS1_11comp_targetILNS1_3genE3ELNS1_11target_archE908ELNS1_3gpuE7ELNS1_3repE0EEENS1_30default_config_static_selectorELNS0_4arch9wavefront6targetE0EEEvT1_ ; -- Begin function _ZN7rocprim17ROCPRIM_400000_NS6detail17trampoline_kernelINS0_14default_configENS1_27scan_by_key_config_selectorIxxEEZZNS1_16scan_by_key_implILNS1_25lookback_scan_determinismE0ELb0ES3_N6thrust23THRUST_200600_302600_NS6detail15normal_iteratorINS9_10device_ptrIxEEEESE_SE_xNS9_4plusIxEE19head_flag_predicatexEE10hipError_tPvRmT2_T3_T4_T5_mT6_T7_P12ihipStream_tbENKUlT_T0_E_clISt17integral_constantIbLb1EESY_EEDaST_SU_EUlST_E_NS1_11comp_targetILNS1_3genE3ELNS1_11target_archE908ELNS1_3gpuE7ELNS1_3repE0EEENS1_30default_config_static_selectorELNS0_4arch9wavefront6targetE0EEEvT1_
	.globl	_ZN7rocprim17ROCPRIM_400000_NS6detail17trampoline_kernelINS0_14default_configENS1_27scan_by_key_config_selectorIxxEEZZNS1_16scan_by_key_implILNS1_25lookback_scan_determinismE0ELb0ES3_N6thrust23THRUST_200600_302600_NS6detail15normal_iteratorINS9_10device_ptrIxEEEESE_SE_xNS9_4plusIxEE19head_flag_predicatexEE10hipError_tPvRmT2_T3_T4_T5_mT6_T7_P12ihipStream_tbENKUlT_T0_E_clISt17integral_constantIbLb1EESY_EEDaST_SU_EUlST_E_NS1_11comp_targetILNS1_3genE3ELNS1_11target_archE908ELNS1_3gpuE7ELNS1_3repE0EEENS1_30default_config_static_selectorELNS0_4arch9wavefront6targetE0EEEvT1_
	.p2align	8
	.type	_ZN7rocprim17ROCPRIM_400000_NS6detail17trampoline_kernelINS0_14default_configENS1_27scan_by_key_config_selectorIxxEEZZNS1_16scan_by_key_implILNS1_25lookback_scan_determinismE0ELb0ES3_N6thrust23THRUST_200600_302600_NS6detail15normal_iteratorINS9_10device_ptrIxEEEESE_SE_xNS9_4plusIxEE19head_flag_predicatexEE10hipError_tPvRmT2_T3_T4_T5_mT6_T7_P12ihipStream_tbENKUlT_T0_E_clISt17integral_constantIbLb1EESY_EEDaST_SU_EUlST_E_NS1_11comp_targetILNS1_3genE3ELNS1_11target_archE908ELNS1_3gpuE7ELNS1_3repE0EEENS1_30default_config_static_selectorELNS0_4arch9wavefront6targetE0EEEvT1_,@function
_ZN7rocprim17ROCPRIM_400000_NS6detail17trampoline_kernelINS0_14default_configENS1_27scan_by_key_config_selectorIxxEEZZNS1_16scan_by_key_implILNS1_25lookback_scan_determinismE0ELb0ES3_N6thrust23THRUST_200600_302600_NS6detail15normal_iteratorINS9_10device_ptrIxEEEESE_SE_xNS9_4plusIxEE19head_flag_predicatexEE10hipError_tPvRmT2_T3_T4_T5_mT6_T7_P12ihipStream_tbENKUlT_T0_E_clISt17integral_constantIbLb1EESY_EEDaST_SU_EUlST_E_NS1_11comp_targetILNS1_3genE3ELNS1_11target_archE908ELNS1_3gpuE7ELNS1_3repE0EEENS1_30default_config_static_selectorELNS0_4arch9wavefront6targetE0EEEvT1_: ; @_ZN7rocprim17ROCPRIM_400000_NS6detail17trampoline_kernelINS0_14default_configENS1_27scan_by_key_config_selectorIxxEEZZNS1_16scan_by_key_implILNS1_25lookback_scan_determinismE0ELb0ES3_N6thrust23THRUST_200600_302600_NS6detail15normal_iteratorINS9_10device_ptrIxEEEESE_SE_xNS9_4plusIxEE19head_flag_predicatexEE10hipError_tPvRmT2_T3_T4_T5_mT6_T7_P12ihipStream_tbENKUlT_T0_E_clISt17integral_constantIbLb1EESY_EEDaST_SU_EUlST_E_NS1_11comp_targetILNS1_3genE3ELNS1_11target_archE908ELNS1_3gpuE7ELNS1_3repE0EEENS1_30default_config_static_selectorELNS0_4arch9wavefront6targetE0EEEvT1_
; %bb.0:
	.section	.rodata,"a",@progbits
	.p2align	6, 0x0
	.amdhsa_kernel _ZN7rocprim17ROCPRIM_400000_NS6detail17trampoline_kernelINS0_14default_configENS1_27scan_by_key_config_selectorIxxEEZZNS1_16scan_by_key_implILNS1_25lookback_scan_determinismE0ELb0ES3_N6thrust23THRUST_200600_302600_NS6detail15normal_iteratorINS9_10device_ptrIxEEEESE_SE_xNS9_4plusIxEE19head_flag_predicatexEE10hipError_tPvRmT2_T3_T4_T5_mT6_T7_P12ihipStream_tbENKUlT_T0_E_clISt17integral_constantIbLb1EESY_EEDaST_SU_EUlST_E_NS1_11comp_targetILNS1_3genE3ELNS1_11target_archE908ELNS1_3gpuE7ELNS1_3repE0EEENS1_30default_config_static_selectorELNS0_4arch9wavefront6targetE0EEEvT1_
		.amdhsa_group_segment_fixed_size 0
		.amdhsa_private_segment_fixed_size 0
		.amdhsa_kernarg_size 136
		.amdhsa_user_sgpr_count 6
		.amdhsa_user_sgpr_private_segment_buffer 1
		.amdhsa_user_sgpr_dispatch_ptr 0
		.amdhsa_user_sgpr_queue_ptr 0
		.amdhsa_user_sgpr_kernarg_segment_ptr 1
		.amdhsa_user_sgpr_dispatch_id 0
		.amdhsa_user_sgpr_flat_scratch_init 0
		.amdhsa_user_sgpr_private_segment_size 0
		.amdhsa_wavefront_size32 1
		.amdhsa_uses_dynamic_stack 0
		.amdhsa_system_sgpr_private_segment_wavefront_offset 0
		.amdhsa_system_sgpr_workgroup_id_x 1
		.amdhsa_system_sgpr_workgroup_id_y 0
		.amdhsa_system_sgpr_workgroup_id_z 0
		.amdhsa_system_sgpr_workgroup_info 0
		.amdhsa_system_vgpr_workitem_id 0
		.amdhsa_next_free_vgpr 1
		.amdhsa_next_free_sgpr 1
		.amdhsa_reserve_vcc 0
		.amdhsa_reserve_flat_scratch 0
		.amdhsa_float_round_mode_32 0
		.amdhsa_float_round_mode_16_64 0
		.amdhsa_float_denorm_mode_32 3
		.amdhsa_float_denorm_mode_16_64 3
		.amdhsa_dx10_clamp 1
		.amdhsa_ieee_mode 1
		.amdhsa_fp16_overflow 0
		.amdhsa_workgroup_processor_mode 1
		.amdhsa_memory_ordered 1
		.amdhsa_forward_progress 1
		.amdhsa_shared_vgpr_count 0
		.amdhsa_exception_fp_ieee_invalid_op 0
		.amdhsa_exception_fp_denorm_src 0
		.amdhsa_exception_fp_ieee_div_zero 0
		.amdhsa_exception_fp_ieee_overflow 0
		.amdhsa_exception_fp_ieee_underflow 0
		.amdhsa_exception_fp_ieee_inexact 0
		.amdhsa_exception_int_div_zero 0
	.end_amdhsa_kernel
	.section	.text._ZN7rocprim17ROCPRIM_400000_NS6detail17trampoline_kernelINS0_14default_configENS1_27scan_by_key_config_selectorIxxEEZZNS1_16scan_by_key_implILNS1_25lookback_scan_determinismE0ELb0ES3_N6thrust23THRUST_200600_302600_NS6detail15normal_iteratorINS9_10device_ptrIxEEEESE_SE_xNS9_4plusIxEE19head_flag_predicatexEE10hipError_tPvRmT2_T3_T4_T5_mT6_T7_P12ihipStream_tbENKUlT_T0_E_clISt17integral_constantIbLb1EESY_EEDaST_SU_EUlST_E_NS1_11comp_targetILNS1_3genE3ELNS1_11target_archE908ELNS1_3gpuE7ELNS1_3repE0EEENS1_30default_config_static_selectorELNS0_4arch9wavefront6targetE0EEEvT1_,"axG",@progbits,_ZN7rocprim17ROCPRIM_400000_NS6detail17trampoline_kernelINS0_14default_configENS1_27scan_by_key_config_selectorIxxEEZZNS1_16scan_by_key_implILNS1_25lookback_scan_determinismE0ELb0ES3_N6thrust23THRUST_200600_302600_NS6detail15normal_iteratorINS9_10device_ptrIxEEEESE_SE_xNS9_4plusIxEE19head_flag_predicatexEE10hipError_tPvRmT2_T3_T4_T5_mT6_T7_P12ihipStream_tbENKUlT_T0_E_clISt17integral_constantIbLb1EESY_EEDaST_SU_EUlST_E_NS1_11comp_targetILNS1_3genE3ELNS1_11target_archE908ELNS1_3gpuE7ELNS1_3repE0EEENS1_30default_config_static_selectorELNS0_4arch9wavefront6targetE0EEEvT1_,comdat
.Lfunc_end690:
	.size	_ZN7rocprim17ROCPRIM_400000_NS6detail17trampoline_kernelINS0_14default_configENS1_27scan_by_key_config_selectorIxxEEZZNS1_16scan_by_key_implILNS1_25lookback_scan_determinismE0ELb0ES3_N6thrust23THRUST_200600_302600_NS6detail15normal_iteratorINS9_10device_ptrIxEEEESE_SE_xNS9_4plusIxEE19head_flag_predicatexEE10hipError_tPvRmT2_T3_T4_T5_mT6_T7_P12ihipStream_tbENKUlT_T0_E_clISt17integral_constantIbLb1EESY_EEDaST_SU_EUlST_E_NS1_11comp_targetILNS1_3genE3ELNS1_11target_archE908ELNS1_3gpuE7ELNS1_3repE0EEENS1_30default_config_static_selectorELNS0_4arch9wavefront6targetE0EEEvT1_, .Lfunc_end690-_ZN7rocprim17ROCPRIM_400000_NS6detail17trampoline_kernelINS0_14default_configENS1_27scan_by_key_config_selectorIxxEEZZNS1_16scan_by_key_implILNS1_25lookback_scan_determinismE0ELb0ES3_N6thrust23THRUST_200600_302600_NS6detail15normal_iteratorINS9_10device_ptrIxEEEESE_SE_xNS9_4plusIxEE19head_flag_predicatexEE10hipError_tPvRmT2_T3_T4_T5_mT6_T7_P12ihipStream_tbENKUlT_T0_E_clISt17integral_constantIbLb1EESY_EEDaST_SU_EUlST_E_NS1_11comp_targetILNS1_3genE3ELNS1_11target_archE908ELNS1_3gpuE7ELNS1_3repE0EEENS1_30default_config_static_selectorELNS0_4arch9wavefront6targetE0EEEvT1_
                                        ; -- End function
	.set _ZN7rocprim17ROCPRIM_400000_NS6detail17trampoline_kernelINS0_14default_configENS1_27scan_by_key_config_selectorIxxEEZZNS1_16scan_by_key_implILNS1_25lookback_scan_determinismE0ELb0ES3_N6thrust23THRUST_200600_302600_NS6detail15normal_iteratorINS9_10device_ptrIxEEEESE_SE_xNS9_4plusIxEE19head_flag_predicatexEE10hipError_tPvRmT2_T3_T4_T5_mT6_T7_P12ihipStream_tbENKUlT_T0_E_clISt17integral_constantIbLb1EESY_EEDaST_SU_EUlST_E_NS1_11comp_targetILNS1_3genE3ELNS1_11target_archE908ELNS1_3gpuE7ELNS1_3repE0EEENS1_30default_config_static_selectorELNS0_4arch9wavefront6targetE0EEEvT1_.num_vgpr, 0
	.set _ZN7rocprim17ROCPRIM_400000_NS6detail17trampoline_kernelINS0_14default_configENS1_27scan_by_key_config_selectorIxxEEZZNS1_16scan_by_key_implILNS1_25lookback_scan_determinismE0ELb0ES3_N6thrust23THRUST_200600_302600_NS6detail15normal_iteratorINS9_10device_ptrIxEEEESE_SE_xNS9_4plusIxEE19head_flag_predicatexEE10hipError_tPvRmT2_T3_T4_T5_mT6_T7_P12ihipStream_tbENKUlT_T0_E_clISt17integral_constantIbLb1EESY_EEDaST_SU_EUlST_E_NS1_11comp_targetILNS1_3genE3ELNS1_11target_archE908ELNS1_3gpuE7ELNS1_3repE0EEENS1_30default_config_static_selectorELNS0_4arch9wavefront6targetE0EEEvT1_.num_agpr, 0
	.set _ZN7rocprim17ROCPRIM_400000_NS6detail17trampoline_kernelINS0_14default_configENS1_27scan_by_key_config_selectorIxxEEZZNS1_16scan_by_key_implILNS1_25lookback_scan_determinismE0ELb0ES3_N6thrust23THRUST_200600_302600_NS6detail15normal_iteratorINS9_10device_ptrIxEEEESE_SE_xNS9_4plusIxEE19head_flag_predicatexEE10hipError_tPvRmT2_T3_T4_T5_mT6_T7_P12ihipStream_tbENKUlT_T0_E_clISt17integral_constantIbLb1EESY_EEDaST_SU_EUlST_E_NS1_11comp_targetILNS1_3genE3ELNS1_11target_archE908ELNS1_3gpuE7ELNS1_3repE0EEENS1_30default_config_static_selectorELNS0_4arch9wavefront6targetE0EEEvT1_.numbered_sgpr, 0
	.set _ZN7rocprim17ROCPRIM_400000_NS6detail17trampoline_kernelINS0_14default_configENS1_27scan_by_key_config_selectorIxxEEZZNS1_16scan_by_key_implILNS1_25lookback_scan_determinismE0ELb0ES3_N6thrust23THRUST_200600_302600_NS6detail15normal_iteratorINS9_10device_ptrIxEEEESE_SE_xNS9_4plusIxEE19head_flag_predicatexEE10hipError_tPvRmT2_T3_T4_T5_mT6_T7_P12ihipStream_tbENKUlT_T0_E_clISt17integral_constantIbLb1EESY_EEDaST_SU_EUlST_E_NS1_11comp_targetILNS1_3genE3ELNS1_11target_archE908ELNS1_3gpuE7ELNS1_3repE0EEENS1_30default_config_static_selectorELNS0_4arch9wavefront6targetE0EEEvT1_.num_named_barrier, 0
	.set _ZN7rocprim17ROCPRIM_400000_NS6detail17trampoline_kernelINS0_14default_configENS1_27scan_by_key_config_selectorIxxEEZZNS1_16scan_by_key_implILNS1_25lookback_scan_determinismE0ELb0ES3_N6thrust23THRUST_200600_302600_NS6detail15normal_iteratorINS9_10device_ptrIxEEEESE_SE_xNS9_4plusIxEE19head_flag_predicatexEE10hipError_tPvRmT2_T3_T4_T5_mT6_T7_P12ihipStream_tbENKUlT_T0_E_clISt17integral_constantIbLb1EESY_EEDaST_SU_EUlST_E_NS1_11comp_targetILNS1_3genE3ELNS1_11target_archE908ELNS1_3gpuE7ELNS1_3repE0EEENS1_30default_config_static_selectorELNS0_4arch9wavefront6targetE0EEEvT1_.private_seg_size, 0
	.set _ZN7rocprim17ROCPRIM_400000_NS6detail17trampoline_kernelINS0_14default_configENS1_27scan_by_key_config_selectorIxxEEZZNS1_16scan_by_key_implILNS1_25lookback_scan_determinismE0ELb0ES3_N6thrust23THRUST_200600_302600_NS6detail15normal_iteratorINS9_10device_ptrIxEEEESE_SE_xNS9_4plusIxEE19head_flag_predicatexEE10hipError_tPvRmT2_T3_T4_T5_mT6_T7_P12ihipStream_tbENKUlT_T0_E_clISt17integral_constantIbLb1EESY_EEDaST_SU_EUlST_E_NS1_11comp_targetILNS1_3genE3ELNS1_11target_archE908ELNS1_3gpuE7ELNS1_3repE0EEENS1_30default_config_static_selectorELNS0_4arch9wavefront6targetE0EEEvT1_.uses_vcc, 0
	.set _ZN7rocprim17ROCPRIM_400000_NS6detail17trampoline_kernelINS0_14default_configENS1_27scan_by_key_config_selectorIxxEEZZNS1_16scan_by_key_implILNS1_25lookback_scan_determinismE0ELb0ES3_N6thrust23THRUST_200600_302600_NS6detail15normal_iteratorINS9_10device_ptrIxEEEESE_SE_xNS9_4plusIxEE19head_flag_predicatexEE10hipError_tPvRmT2_T3_T4_T5_mT6_T7_P12ihipStream_tbENKUlT_T0_E_clISt17integral_constantIbLb1EESY_EEDaST_SU_EUlST_E_NS1_11comp_targetILNS1_3genE3ELNS1_11target_archE908ELNS1_3gpuE7ELNS1_3repE0EEENS1_30default_config_static_selectorELNS0_4arch9wavefront6targetE0EEEvT1_.uses_flat_scratch, 0
	.set _ZN7rocprim17ROCPRIM_400000_NS6detail17trampoline_kernelINS0_14default_configENS1_27scan_by_key_config_selectorIxxEEZZNS1_16scan_by_key_implILNS1_25lookback_scan_determinismE0ELb0ES3_N6thrust23THRUST_200600_302600_NS6detail15normal_iteratorINS9_10device_ptrIxEEEESE_SE_xNS9_4plusIxEE19head_flag_predicatexEE10hipError_tPvRmT2_T3_T4_T5_mT6_T7_P12ihipStream_tbENKUlT_T0_E_clISt17integral_constantIbLb1EESY_EEDaST_SU_EUlST_E_NS1_11comp_targetILNS1_3genE3ELNS1_11target_archE908ELNS1_3gpuE7ELNS1_3repE0EEENS1_30default_config_static_selectorELNS0_4arch9wavefront6targetE0EEEvT1_.has_dyn_sized_stack, 0
	.set _ZN7rocprim17ROCPRIM_400000_NS6detail17trampoline_kernelINS0_14default_configENS1_27scan_by_key_config_selectorIxxEEZZNS1_16scan_by_key_implILNS1_25lookback_scan_determinismE0ELb0ES3_N6thrust23THRUST_200600_302600_NS6detail15normal_iteratorINS9_10device_ptrIxEEEESE_SE_xNS9_4plusIxEE19head_flag_predicatexEE10hipError_tPvRmT2_T3_T4_T5_mT6_T7_P12ihipStream_tbENKUlT_T0_E_clISt17integral_constantIbLb1EESY_EEDaST_SU_EUlST_E_NS1_11comp_targetILNS1_3genE3ELNS1_11target_archE908ELNS1_3gpuE7ELNS1_3repE0EEENS1_30default_config_static_selectorELNS0_4arch9wavefront6targetE0EEEvT1_.has_recursion, 0
	.set _ZN7rocprim17ROCPRIM_400000_NS6detail17trampoline_kernelINS0_14default_configENS1_27scan_by_key_config_selectorIxxEEZZNS1_16scan_by_key_implILNS1_25lookback_scan_determinismE0ELb0ES3_N6thrust23THRUST_200600_302600_NS6detail15normal_iteratorINS9_10device_ptrIxEEEESE_SE_xNS9_4plusIxEE19head_flag_predicatexEE10hipError_tPvRmT2_T3_T4_T5_mT6_T7_P12ihipStream_tbENKUlT_T0_E_clISt17integral_constantIbLb1EESY_EEDaST_SU_EUlST_E_NS1_11comp_targetILNS1_3genE3ELNS1_11target_archE908ELNS1_3gpuE7ELNS1_3repE0EEENS1_30default_config_static_selectorELNS0_4arch9wavefront6targetE0EEEvT1_.has_indirect_call, 0
	.section	.AMDGPU.csdata,"",@progbits
; Kernel info:
; codeLenInByte = 0
; TotalNumSgprs: 0
; NumVgprs: 0
; ScratchSize: 0
; MemoryBound: 0
; FloatMode: 240
; IeeeMode: 1
; LDSByteSize: 0 bytes/workgroup (compile time only)
; SGPRBlocks: 0
; VGPRBlocks: 0
; NumSGPRsForWavesPerEU: 1
; NumVGPRsForWavesPerEU: 1
; Occupancy: 16
; WaveLimiterHint : 0
; COMPUTE_PGM_RSRC2:SCRATCH_EN: 0
; COMPUTE_PGM_RSRC2:USER_SGPR: 6
; COMPUTE_PGM_RSRC2:TRAP_HANDLER: 0
; COMPUTE_PGM_RSRC2:TGID_X_EN: 1
; COMPUTE_PGM_RSRC2:TGID_Y_EN: 0
; COMPUTE_PGM_RSRC2:TGID_Z_EN: 0
; COMPUTE_PGM_RSRC2:TIDIG_COMP_CNT: 0
	.section	.text._ZN7rocprim17ROCPRIM_400000_NS6detail17trampoline_kernelINS0_14default_configENS1_27scan_by_key_config_selectorIxxEEZZNS1_16scan_by_key_implILNS1_25lookback_scan_determinismE0ELb0ES3_N6thrust23THRUST_200600_302600_NS6detail15normal_iteratorINS9_10device_ptrIxEEEESE_SE_xNS9_4plusIxEE19head_flag_predicatexEE10hipError_tPvRmT2_T3_T4_T5_mT6_T7_P12ihipStream_tbENKUlT_T0_E_clISt17integral_constantIbLb1EESY_EEDaST_SU_EUlST_E_NS1_11comp_targetILNS1_3genE2ELNS1_11target_archE906ELNS1_3gpuE6ELNS1_3repE0EEENS1_30default_config_static_selectorELNS0_4arch9wavefront6targetE0EEEvT1_,"axG",@progbits,_ZN7rocprim17ROCPRIM_400000_NS6detail17trampoline_kernelINS0_14default_configENS1_27scan_by_key_config_selectorIxxEEZZNS1_16scan_by_key_implILNS1_25lookback_scan_determinismE0ELb0ES3_N6thrust23THRUST_200600_302600_NS6detail15normal_iteratorINS9_10device_ptrIxEEEESE_SE_xNS9_4plusIxEE19head_flag_predicatexEE10hipError_tPvRmT2_T3_T4_T5_mT6_T7_P12ihipStream_tbENKUlT_T0_E_clISt17integral_constantIbLb1EESY_EEDaST_SU_EUlST_E_NS1_11comp_targetILNS1_3genE2ELNS1_11target_archE906ELNS1_3gpuE6ELNS1_3repE0EEENS1_30default_config_static_selectorELNS0_4arch9wavefront6targetE0EEEvT1_,comdat
	.protected	_ZN7rocprim17ROCPRIM_400000_NS6detail17trampoline_kernelINS0_14default_configENS1_27scan_by_key_config_selectorIxxEEZZNS1_16scan_by_key_implILNS1_25lookback_scan_determinismE0ELb0ES3_N6thrust23THRUST_200600_302600_NS6detail15normal_iteratorINS9_10device_ptrIxEEEESE_SE_xNS9_4plusIxEE19head_flag_predicatexEE10hipError_tPvRmT2_T3_T4_T5_mT6_T7_P12ihipStream_tbENKUlT_T0_E_clISt17integral_constantIbLb1EESY_EEDaST_SU_EUlST_E_NS1_11comp_targetILNS1_3genE2ELNS1_11target_archE906ELNS1_3gpuE6ELNS1_3repE0EEENS1_30default_config_static_selectorELNS0_4arch9wavefront6targetE0EEEvT1_ ; -- Begin function _ZN7rocprim17ROCPRIM_400000_NS6detail17trampoline_kernelINS0_14default_configENS1_27scan_by_key_config_selectorIxxEEZZNS1_16scan_by_key_implILNS1_25lookback_scan_determinismE0ELb0ES3_N6thrust23THRUST_200600_302600_NS6detail15normal_iteratorINS9_10device_ptrIxEEEESE_SE_xNS9_4plusIxEE19head_flag_predicatexEE10hipError_tPvRmT2_T3_T4_T5_mT6_T7_P12ihipStream_tbENKUlT_T0_E_clISt17integral_constantIbLb1EESY_EEDaST_SU_EUlST_E_NS1_11comp_targetILNS1_3genE2ELNS1_11target_archE906ELNS1_3gpuE6ELNS1_3repE0EEENS1_30default_config_static_selectorELNS0_4arch9wavefront6targetE0EEEvT1_
	.globl	_ZN7rocprim17ROCPRIM_400000_NS6detail17trampoline_kernelINS0_14default_configENS1_27scan_by_key_config_selectorIxxEEZZNS1_16scan_by_key_implILNS1_25lookback_scan_determinismE0ELb0ES3_N6thrust23THRUST_200600_302600_NS6detail15normal_iteratorINS9_10device_ptrIxEEEESE_SE_xNS9_4plusIxEE19head_flag_predicatexEE10hipError_tPvRmT2_T3_T4_T5_mT6_T7_P12ihipStream_tbENKUlT_T0_E_clISt17integral_constantIbLb1EESY_EEDaST_SU_EUlST_E_NS1_11comp_targetILNS1_3genE2ELNS1_11target_archE906ELNS1_3gpuE6ELNS1_3repE0EEENS1_30default_config_static_selectorELNS0_4arch9wavefront6targetE0EEEvT1_
	.p2align	8
	.type	_ZN7rocprim17ROCPRIM_400000_NS6detail17trampoline_kernelINS0_14default_configENS1_27scan_by_key_config_selectorIxxEEZZNS1_16scan_by_key_implILNS1_25lookback_scan_determinismE0ELb0ES3_N6thrust23THRUST_200600_302600_NS6detail15normal_iteratorINS9_10device_ptrIxEEEESE_SE_xNS9_4plusIxEE19head_flag_predicatexEE10hipError_tPvRmT2_T3_T4_T5_mT6_T7_P12ihipStream_tbENKUlT_T0_E_clISt17integral_constantIbLb1EESY_EEDaST_SU_EUlST_E_NS1_11comp_targetILNS1_3genE2ELNS1_11target_archE906ELNS1_3gpuE6ELNS1_3repE0EEENS1_30default_config_static_selectorELNS0_4arch9wavefront6targetE0EEEvT1_,@function
_ZN7rocprim17ROCPRIM_400000_NS6detail17trampoline_kernelINS0_14default_configENS1_27scan_by_key_config_selectorIxxEEZZNS1_16scan_by_key_implILNS1_25lookback_scan_determinismE0ELb0ES3_N6thrust23THRUST_200600_302600_NS6detail15normal_iteratorINS9_10device_ptrIxEEEESE_SE_xNS9_4plusIxEE19head_flag_predicatexEE10hipError_tPvRmT2_T3_T4_T5_mT6_T7_P12ihipStream_tbENKUlT_T0_E_clISt17integral_constantIbLb1EESY_EEDaST_SU_EUlST_E_NS1_11comp_targetILNS1_3genE2ELNS1_11target_archE906ELNS1_3gpuE6ELNS1_3repE0EEENS1_30default_config_static_selectorELNS0_4arch9wavefront6targetE0EEEvT1_: ; @_ZN7rocprim17ROCPRIM_400000_NS6detail17trampoline_kernelINS0_14default_configENS1_27scan_by_key_config_selectorIxxEEZZNS1_16scan_by_key_implILNS1_25lookback_scan_determinismE0ELb0ES3_N6thrust23THRUST_200600_302600_NS6detail15normal_iteratorINS9_10device_ptrIxEEEESE_SE_xNS9_4plusIxEE19head_flag_predicatexEE10hipError_tPvRmT2_T3_T4_T5_mT6_T7_P12ihipStream_tbENKUlT_T0_E_clISt17integral_constantIbLb1EESY_EEDaST_SU_EUlST_E_NS1_11comp_targetILNS1_3genE2ELNS1_11target_archE906ELNS1_3gpuE6ELNS1_3repE0EEENS1_30default_config_static_selectorELNS0_4arch9wavefront6targetE0EEEvT1_
; %bb.0:
	.section	.rodata,"a",@progbits
	.p2align	6, 0x0
	.amdhsa_kernel _ZN7rocprim17ROCPRIM_400000_NS6detail17trampoline_kernelINS0_14default_configENS1_27scan_by_key_config_selectorIxxEEZZNS1_16scan_by_key_implILNS1_25lookback_scan_determinismE0ELb0ES3_N6thrust23THRUST_200600_302600_NS6detail15normal_iteratorINS9_10device_ptrIxEEEESE_SE_xNS9_4plusIxEE19head_flag_predicatexEE10hipError_tPvRmT2_T3_T4_T5_mT6_T7_P12ihipStream_tbENKUlT_T0_E_clISt17integral_constantIbLb1EESY_EEDaST_SU_EUlST_E_NS1_11comp_targetILNS1_3genE2ELNS1_11target_archE906ELNS1_3gpuE6ELNS1_3repE0EEENS1_30default_config_static_selectorELNS0_4arch9wavefront6targetE0EEEvT1_
		.amdhsa_group_segment_fixed_size 0
		.amdhsa_private_segment_fixed_size 0
		.amdhsa_kernarg_size 136
		.amdhsa_user_sgpr_count 6
		.amdhsa_user_sgpr_private_segment_buffer 1
		.amdhsa_user_sgpr_dispatch_ptr 0
		.amdhsa_user_sgpr_queue_ptr 0
		.amdhsa_user_sgpr_kernarg_segment_ptr 1
		.amdhsa_user_sgpr_dispatch_id 0
		.amdhsa_user_sgpr_flat_scratch_init 0
		.amdhsa_user_sgpr_private_segment_size 0
		.amdhsa_wavefront_size32 1
		.amdhsa_uses_dynamic_stack 0
		.amdhsa_system_sgpr_private_segment_wavefront_offset 0
		.amdhsa_system_sgpr_workgroup_id_x 1
		.amdhsa_system_sgpr_workgroup_id_y 0
		.amdhsa_system_sgpr_workgroup_id_z 0
		.amdhsa_system_sgpr_workgroup_info 0
		.amdhsa_system_vgpr_workitem_id 0
		.amdhsa_next_free_vgpr 1
		.amdhsa_next_free_sgpr 1
		.amdhsa_reserve_vcc 0
		.amdhsa_reserve_flat_scratch 0
		.amdhsa_float_round_mode_32 0
		.amdhsa_float_round_mode_16_64 0
		.amdhsa_float_denorm_mode_32 3
		.amdhsa_float_denorm_mode_16_64 3
		.amdhsa_dx10_clamp 1
		.amdhsa_ieee_mode 1
		.amdhsa_fp16_overflow 0
		.amdhsa_workgroup_processor_mode 1
		.amdhsa_memory_ordered 1
		.amdhsa_forward_progress 1
		.amdhsa_shared_vgpr_count 0
		.amdhsa_exception_fp_ieee_invalid_op 0
		.amdhsa_exception_fp_denorm_src 0
		.amdhsa_exception_fp_ieee_div_zero 0
		.amdhsa_exception_fp_ieee_overflow 0
		.amdhsa_exception_fp_ieee_underflow 0
		.amdhsa_exception_fp_ieee_inexact 0
		.amdhsa_exception_int_div_zero 0
	.end_amdhsa_kernel
	.section	.text._ZN7rocprim17ROCPRIM_400000_NS6detail17trampoline_kernelINS0_14default_configENS1_27scan_by_key_config_selectorIxxEEZZNS1_16scan_by_key_implILNS1_25lookback_scan_determinismE0ELb0ES3_N6thrust23THRUST_200600_302600_NS6detail15normal_iteratorINS9_10device_ptrIxEEEESE_SE_xNS9_4plusIxEE19head_flag_predicatexEE10hipError_tPvRmT2_T3_T4_T5_mT6_T7_P12ihipStream_tbENKUlT_T0_E_clISt17integral_constantIbLb1EESY_EEDaST_SU_EUlST_E_NS1_11comp_targetILNS1_3genE2ELNS1_11target_archE906ELNS1_3gpuE6ELNS1_3repE0EEENS1_30default_config_static_selectorELNS0_4arch9wavefront6targetE0EEEvT1_,"axG",@progbits,_ZN7rocprim17ROCPRIM_400000_NS6detail17trampoline_kernelINS0_14default_configENS1_27scan_by_key_config_selectorIxxEEZZNS1_16scan_by_key_implILNS1_25lookback_scan_determinismE0ELb0ES3_N6thrust23THRUST_200600_302600_NS6detail15normal_iteratorINS9_10device_ptrIxEEEESE_SE_xNS9_4plusIxEE19head_flag_predicatexEE10hipError_tPvRmT2_T3_T4_T5_mT6_T7_P12ihipStream_tbENKUlT_T0_E_clISt17integral_constantIbLb1EESY_EEDaST_SU_EUlST_E_NS1_11comp_targetILNS1_3genE2ELNS1_11target_archE906ELNS1_3gpuE6ELNS1_3repE0EEENS1_30default_config_static_selectorELNS0_4arch9wavefront6targetE0EEEvT1_,comdat
.Lfunc_end691:
	.size	_ZN7rocprim17ROCPRIM_400000_NS6detail17trampoline_kernelINS0_14default_configENS1_27scan_by_key_config_selectorIxxEEZZNS1_16scan_by_key_implILNS1_25lookback_scan_determinismE0ELb0ES3_N6thrust23THRUST_200600_302600_NS6detail15normal_iteratorINS9_10device_ptrIxEEEESE_SE_xNS9_4plusIxEE19head_flag_predicatexEE10hipError_tPvRmT2_T3_T4_T5_mT6_T7_P12ihipStream_tbENKUlT_T0_E_clISt17integral_constantIbLb1EESY_EEDaST_SU_EUlST_E_NS1_11comp_targetILNS1_3genE2ELNS1_11target_archE906ELNS1_3gpuE6ELNS1_3repE0EEENS1_30default_config_static_selectorELNS0_4arch9wavefront6targetE0EEEvT1_, .Lfunc_end691-_ZN7rocprim17ROCPRIM_400000_NS6detail17trampoline_kernelINS0_14default_configENS1_27scan_by_key_config_selectorIxxEEZZNS1_16scan_by_key_implILNS1_25lookback_scan_determinismE0ELb0ES3_N6thrust23THRUST_200600_302600_NS6detail15normal_iteratorINS9_10device_ptrIxEEEESE_SE_xNS9_4plusIxEE19head_flag_predicatexEE10hipError_tPvRmT2_T3_T4_T5_mT6_T7_P12ihipStream_tbENKUlT_T0_E_clISt17integral_constantIbLb1EESY_EEDaST_SU_EUlST_E_NS1_11comp_targetILNS1_3genE2ELNS1_11target_archE906ELNS1_3gpuE6ELNS1_3repE0EEENS1_30default_config_static_selectorELNS0_4arch9wavefront6targetE0EEEvT1_
                                        ; -- End function
	.set _ZN7rocprim17ROCPRIM_400000_NS6detail17trampoline_kernelINS0_14default_configENS1_27scan_by_key_config_selectorIxxEEZZNS1_16scan_by_key_implILNS1_25lookback_scan_determinismE0ELb0ES3_N6thrust23THRUST_200600_302600_NS6detail15normal_iteratorINS9_10device_ptrIxEEEESE_SE_xNS9_4plusIxEE19head_flag_predicatexEE10hipError_tPvRmT2_T3_T4_T5_mT6_T7_P12ihipStream_tbENKUlT_T0_E_clISt17integral_constantIbLb1EESY_EEDaST_SU_EUlST_E_NS1_11comp_targetILNS1_3genE2ELNS1_11target_archE906ELNS1_3gpuE6ELNS1_3repE0EEENS1_30default_config_static_selectorELNS0_4arch9wavefront6targetE0EEEvT1_.num_vgpr, 0
	.set _ZN7rocprim17ROCPRIM_400000_NS6detail17trampoline_kernelINS0_14default_configENS1_27scan_by_key_config_selectorIxxEEZZNS1_16scan_by_key_implILNS1_25lookback_scan_determinismE0ELb0ES3_N6thrust23THRUST_200600_302600_NS6detail15normal_iteratorINS9_10device_ptrIxEEEESE_SE_xNS9_4plusIxEE19head_flag_predicatexEE10hipError_tPvRmT2_T3_T4_T5_mT6_T7_P12ihipStream_tbENKUlT_T0_E_clISt17integral_constantIbLb1EESY_EEDaST_SU_EUlST_E_NS1_11comp_targetILNS1_3genE2ELNS1_11target_archE906ELNS1_3gpuE6ELNS1_3repE0EEENS1_30default_config_static_selectorELNS0_4arch9wavefront6targetE0EEEvT1_.num_agpr, 0
	.set _ZN7rocprim17ROCPRIM_400000_NS6detail17trampoline_kernelINS0_14default_configENS1_27scan_by_key_config_selectorIxxEEZZNS1_16scan_by_key_implILNS1_25lookback_scan_determinismE0ELb0ES3_N6thrust23THRUST_200600_302600_NS6detail15normal_iteratorINS9_10device_ptrIxEEEESE_SE_xNS9_4plusIxEE19head_flag_predicatexEE10hipError_tPvRmT2_T3_T4_T5_mT6_T7_P12ihipStream_tbENKUlT_T0_E_clISt17integral_constantIbLb1EESY_EEDaST_SU_EUlST_E_NS1_11comp_targetILNS1_3genE2ELNS1_11target_archE906ELNS1_3gpuE6ELNS1_3repE0EEENS1_30default_config_static_selectorELNS0_4arch9wavefront6targetE0EEEvT1_.numbered_sgpr, 0
	.set _ZN7rocprim17ROCPRIM_400000_NS6detail17trampoline_kernelINS0_14default_configENS1_27scan_by_key_config_selectorIxxEEZZNS1_16scan_by_key_implILNS1_25lookback_scan_determinismE0ELb0ES3_N6thrust23THRUST_200600_302600_NS6detail15normal_iteratorINS9_10device_ptrIxEEEESE_SE_xNS9_4plusIxEE19head_flag_predicatexEE10hipError_tPvRmT2_T3_T4_T5_mT6_T7_P12ihipStream_tbENKUlT_T0_E_clISt17integral_constantIbLb1EESY_EEDaST_SU_EUlST_E_NS1_11comp_targetILNS1_3genE2ELNS1_11target_archE906ELNS1_3gpuE6ELNS1_3repE0EEENS1_30default_config_static_selectorELNS0_4arch9wavefront6targetE0EEEvT1_.num_named_barrier, 0
	.set _ZN7rocprim17ROCPRIM_400000_NS6detail17trampoline_kernelINS0_14default_configENS1_27scan_by_key_config_selectorIxxEEZZNS1_16scan_by_key_implILNS1_25lookback_scan_determinismE0ELb0ES3_N6thrust23THRUST_200600_302600_NS6detail15normal_iteratorINS9_10device_ptrIxEEEESE_SE_xNS9_4plusIxEE19head_flag_predicatexEE10hipError_tPvRmT2_T3_T4_T5_mT6_T7_P12ihipStream_tbENKUlT_T0_E_clISt17integral_constantIbLb1EESY_EEDaST_SU_EUlST_E_NS1_11comp_targetILNS1_3genE2ELNS1_11target_archE906ELNS1_3gpuE6ELNS1_3repE0EEENS1_30default_config_static_selectorELNS0_4arch9wavefront6targetE0EEEvT1_.private_seg_size, 0
	.set _ZN7rocprim17ROCPRIM_400000_NS6detail17trampoline_kernelINS0_14default_configENS1_27scan_by_key_config_selectorIxxEEZZNS1_16scan_by_key_implILNS1_25lookback_scan_determinismE0ELb0ES3_N6thrust23THRUST_200600_302600_NS6detail15normal_iteratorINS9_10device_ptrIxEEEESE_SE_xNS9_4plusIxEE19head_flag_predicatexEE10hipError_tPvRmT2_T3_T4_T5_mT6_T7_P12ihipStream_tbENKUlT_T0_E_clISt17integral_constantIbLb1EESY_EEDaST_SU_EUlST_E_NS1_11comp_targetILNS1_3genE2ELNS1_11target_archE906ELNS1_3gpuE6ELNS1_3repE0EEENS1_30default_config_static_selectorELNS0_4arch9wavefront6targetE0EEEvT1_.uses_vcc, 0
	.set _ZN7rocprim17ROCPRIM_400000_NS6detail17trampoline_kernelINS0_14default_configENS1_27scan_by_key_config_selectorIxxEEZZNS1_16scan_by_key_implILNS1_25lookback_scan_determinismE0ELb0ES3_N6thrust23THRUST_200600_302600_NS6detail15normal_iteratorINS9_10device_ptrIxEEEESE_SE_xNS9_4plusIxEE19head_flag_predicatexEE10hipError_tPvRmT2_T3_T4_T5_mT6_T7_P12ihipStream_tbENKUlT_T0_E_clISt17integral_constantIbLb1EESY_EEDaST_SU_EUlST_E_NS1_11comp_targetILNS1_3genE2ELNS1_11target_archE906ELNS1_3gpuE6ELNS1_3repE0EEENS1_30default_config_static_selectorELNS0_4arch9wavefront6targetE0EEEvT1_.uses_flat_scratch, 0
	.set _ZN7rocprim17ROCPRIM_400000_NS6detail17trampoline_kernelINS0_14default_configENS1_27scan_by_key_config_selectorIxxEEZZNS1_16scan_by_key_implILNS1_25lookback_scan_determinismE0ELb0ES3_N6thrust23THRUST_200600_302600_NS6detail15normal_iteratorINS9_10device_ptrIxEEEESE_SE_xNS9_4plusIxEE19head_flag_predicatexEE10hipError_tPvRmT2_T3_T4_T5_mT6_T7_P12ihipStream_tbENKUlT_T0_E_clISt17integral_constantIbLb1EESY_EEDaST_SU_EUlST_E_NS1_11comp_targetILNS1_3genE2ELNS1_11target_archE906ELNS1_3gpuE6ELNS1_3repE0EEENS1_30default_config_static_selectorELNS0_4arch9wavefront6targetE0EEEvT1_.has_dyn_sized_stack, 0
	.set _ZN7rocprim17ROCPRIM_400000_NS6detail17trampoline_kernelINS0_14default_configENS1_27scan_by_key_config_selectorIxxEEZZNS1_16scan_by_key_implILNS1_25lookback_scan_determinismE0ELb0ES3_N6thrust23THRUST_200600_302600_NS6detail15normal_iteratorINS9_10device_ptrIxEEEESE_SE_xNS9_4plusIxEE19head_flag_predicatexEE10hipError_tPvRmT2_T3_T4_T5_mT6_T7_P12ihipStream_tbENKUlT_T0_E_clISt17integral_constantIbLb1EESY_EEDaST_SU_EUlST_E_NS1_11comp_targetILNS1_3genE2ELNS1_11target_archE906ELNS1_3gpuE6ELNS1_3repE0EEENS1_30default_config_static_selectorELNS0_4arch9wavefront6targetE0EEEvT1_.has_recursion, 0
	.set _ZN7rocprim17ROCPRIM_400000_NS6detail17trampoline_kernelINS0_14default_configENS1_27scan_by_key_config_selectorIxxEEZZNS1_16scan_by_key_implILNS1_25lookback_scan_determinismE0ELb0ES3_N6thrust23THRUST_200600_302600_NS6detail15normal_iteratorINS9_10device_ptrIxEEEESE_SE_xNS9_4plusIxEE19head_flag_predicatexEE10hipError_tPvRmT2_T3_T4_T5_mT6_T7_P12ihipStream_tbENKUlT_T0_E_clISt17integral_constantIbLb1EESY_EEDaST_SU_EUlST_E_NS1_11comp_targetILNS1_3genE2ELNS1_11target_archE906ELNS1_3gpuE6ELNS1_3repE0EEENS1_30default_config_static_selectorELNS0_4arch9wavefront6targetE0EEEvT1_.has_indirect_call, 0
	.section	.AMDGPU.csdata,"",@progbits
; Kernel info:
; codeLenInByte = 0
; TotalNumSgprs: 0
; NumVgprs: 0
; ScratchSize: 0
; MemoryBound: 0
; FloatMode: 240
; IeeeMode: 1
; LDSByteSize: 0 bytes/workgroup (compile time only)
; SGPRBlocks: 0
; VGPRBlocks: 0
; NumSGPRsForWavesPerEU: 1
; NumVGPRsForWavesPerEU: 1
; Occupancy: 16
; WaveLimiterHint : 0
; COMPUTE_PGM_RSRC2:SCRATCH_EN: 0
; COMPUTE_PGM_RSRC2:USER_SGPR: 6
; COMPUTE_PGM_RSRC2:TRAP_HANDLER: 0
; COMPUTE_PGM_RSRC2:TGID_X_EN: 1
; COMPUTE_PGM_RSRC2:TGID_Y_EN: 0
; COMPUTE_PGM_RSRC2:TGID_Z_EN: 0
; COMPUTE_PGM_RSRC2:TIDIG_COMP_CNT: 0
	.section	.text._ZN7rocprim17ROCPRIM_400000_NS6detail17trampoline_kernelINS0_14default_configENS1_27scan_by_key_config_selectorIxxEEZZNS1_16scan_by_key_implILNS1_25lookback_scan_determinismE0ELb0ES3_N6thrust23THRUST_200600_302600_NS6detail15normal_iteratorINS9_10device_ptrIxEEEESE_SE_xNS9_4plusIxEE19head_flag_predicatexEE10hipError_tPvRmT2_T3_T4_T5_mT6_T7_P12ihipStream_tbENKUlT_T0_E_clISt17integral_constantIbLb1EESY_EEDaST_SU_EUlST_E_NS1_11comp_targetILNS1_3genE10ELNS1_11target_archE1200ELNS1_3gpuE4ELNS1_3repE0EEENS1_30default_config_static_selectorELNS0_4arch9wavefront6targetE0EEEvT1_,"axG",@progbits,_ZN7rocprim17ROCPRIM_400000_NS6detail17trampoline_kernelINS0_14default_configENS1_27scan_by_key_config_selectorIxxEEZZNS1_16scan_by_key_implILNS1_25lookback_scan_determinismE0ELb0ES3_N6thrust23THRUST_200600_302600_NS6detail15normal_iteratorINS9_10device_ptrIxEEEESE_SE_xNS9_4plusIxEE19head_flag_predicatexEE10hipError_tPvRmT2_T3_T4_T5_mT6_T7_P12ihipStream_tbENKUlT_T0_E_clISt17integral_constantIbLb1EESY_EEDaST_SU_EUlST_E_NS1_11comp_targetILNS1_3genE10ELNS1_11target_archE1200ELNS1_3gpuE4ELNS1_3repE0EEENS1_30default_config_static_selectorELNS0_4arch9wavefront6targetE0EEEvT1_,comdat
	.protected	_ZN7rocprim17ROCPRIM_400000_NS6detail17trampoline_kernelINS0_14default_configENS1_27scan_by_key_config_selectorIxxEEZZNS1_16scan_by_key_implILNS1_25lookback_scan_determinismE0ELb0ES3_N6thrust23THRUST_200600_302600_NS6detail15normal_iteratorINS9_10device_ptrIxEEEESE_SE_xNS9_4plusIxEE19head_flag_predicatexEE10hipError_tPvRmT2_T3_T4_T5_mT6_T7_P12ihipStream_tbENKUlT_T0_E_clISt17integral_constantIbLb1EESY_EEDaST_SU_EUlST_E_NS1_11comp_targetILNS1_3genE10ELNS1_11target_archE1200ELNS1_3gpuE4ELNS1_3repE0EEENS1_30default_config_static_selectorELNS0_4arch9wavefront6targetE0EEEvT1_ ; -- Begin function _ZN7rocprim17ROCPRIM_400000_NS6detail17trampoline_kernelINS0_14default_configENS1_27scan_by_key_config_selectorIxxEEZZNS1_16scan_by_key_implILNS1_25lookback_scan_determinismE0ELb0ES3_N6thrust23THRUST_200600_302600_NS6detail15normal_iteratorINS9_10device_ptrIxEEEESE_SE_xNS9_4plusIxEE19head_flag_predicatexEE10hipError_tPvRmT2_T3_T4_T5_mT6_T7_P12ihipStream_tbENKUlT_T0_E_clISt17integral_constantIbLb1EESY_EEDaST_SU_EUlST_E_NS1_11comp_targetILNS1_3genE10ELNS1_11target_archE1200ELNS1_3gpuE4ELNS1_3repE0EEENS1_30default_config_static_selectorELNS0_4arch9wavefront6targetE0EEEvT1_
	.globl	_ZN7rocprim17ROCPRIM_400000_NS6detail17trampoline_kernelINS0_14default_configENS1_27scan_by_key_config_selectorIxxEEZZNS1_16scan_by_key_implILNS1_25lookback_scan_determinismE0ELb0ES3_N6thrust23THRUST_200600_302600_NS6detail15normal_iteratorINS9_10device_ptrIxEEEESE_SE_xNS9_4plusIxEE19head_flag_predicatexEE10hipError_tPvRmT2_T3_T4_T5_mT6_T7_P12ihipStream_tbENKUlT_T0_E_clISt17integral_constantIbLb1EESY_EEDaST_SU_EUlST_E_NS1_11comp_targetILNS1_3genE10ELNS1_11target_archE1200ELNS1_3gpuE4ELNS1_3repE0EEENS1_30default_config_static_selectorELNS0_4arch9wavefront6targetE0EEEvT1_
	.p2align	8
	.type	_ZN7rocprim17ROCPRIM_400000_NS6detail17trampoline_kernelINS0_14default_configENS1_27scan_by_key_config_selectorIxxEEZZNS1_16scan_by_key_implILNS1_25lookback_scan_determinismE0ELb0ES3_N6thrust23THRUST_200600_302600_NS6detail15normal_iteratorINS9_10device_ptrIxEEEESE_SE_xNS9_4plusIxEE19head_flag_predicatexEE10hipError_tPvRmT2_T3_T4_T5_mT6_T7_P12ihipStream_tbENKUlT_T0_E_clISt17integral_constantIbLb1EESY_EEDaST_SU_EUlST_E_NS1_11comp_targetILNS1_3genE10ELNS1_11target_archE1200ELNS1_3gpuE4ELNS1_3repE0EEENS1_30default_config_static_selectorELNS0_4arch9wavefront6targetE0EEEvT1_,@function
_ZN7rocprim17ROCPRIM_400000_NS6detail17trampoline_kernelINS0_14default_configENS1_27scan_by_key_config_selectorIxxEEZZNS1_16scan_by_key_implILNS1_25lookback_scan_determinismE0ELb0ES3_N6thrust23THRUST_200600_302600_NS6detail15normal_iteratorINS9_10device_ptrIxEEEESE_SE_xNS9_4plusIxEE19head_flag_predicatexEE10hipError_tPvRmT2_T3_T4_T5_mT6_T7_P12ihipStream_tbENKUlT_T0_E_clISt17integral_constantIbLb1EESY_EEDaST_SU_EUlST_E_NS1_11comp_targetILNS1_3genE10ELNS1_11target_archE1200ELNS1_3gpuE4ELNS1_3repE0EEENS1_30default_config_static_selectorELNS0_4arch9wavefront6targetE0EEEvT1_: ; @_ZN7rocprim17ROCPRIM_400000_NS6detail17trampoline_kernelINS0_14default_configENS1_27scan_by_key_config_selectorIxxEEZZNS1_16scan_by_key_implILNS1_25lookback_scan_determinismE0ELb0ES3_N6thrust23THRUST_200600_302600_NS6detail15normal_iteratorINS9_10device_ptrIxEEEESE_SE_xNS9_4plusIxEE19head_flag_predicatexEE10hipError_tPvRmT2_T3_T4_T5_mT6_T7_P12ihipStream_tbENKUlT_T0_E_clISt17integral_constantIbLb1EESY_EEDaST_SU_EUlST_E_NS1_11comp_targetILNS1_3genE10ELNS1_11target_archE1200ELNS1_3gpuE4ELNS1_3repE0EEENS1_30default_config_static_selectorELNS0_4arch9wavefront6targetE0EEEvT1_
; %bb.0:
	.section	.rodata,"a",@progbits
	.p2align	6, 0x0
	.amdhsa_kernel _ZN7rocprim17ROCPRIM_400000_NS6detail17trampoline_kernelINS0_14default_configENS1_27scan_by_key_config_selectorIxxEEZZNS1_16scan_by_key_implILNS1_25lookback_scan_determinismE0ELb0ES3_N6thrust23THRUST_200600_302600_NS6detail15normal_iteratorINS9_10device_ptrIxEEEESE_SE_xNS9_4plusIxEE19head_flag_predicatexEE10hipError_tPvRmT2_T3_T4_T5_mT6_T7_P12ihipStream_tbENKUlT_T0_E_clISt17integral_constantIbLb1EESY_EEDaST_SU_EUlST_E_NS1_11comp_targetILNS1_3genE10ELNS1_11target_archE1200ELNS1_3gpuE4ELNS1_3repE0EEENS1_30default_config_static_selectorELNS0_4arch9wavefront6targetE0EEEvT1_
		.amdhsa_group_segment_fixed_size 0
		.amdhsa_private_segment_fixed_size 0
		.amdhsa_kernarg_size 136
		.amdhsa_user_sgpr_count 6
		.amdhsa_user_sgpr_private_segment_buffer 1
		.amdhsa_user_sgpr_dispatch_ptr 0
		.amdhsa_user_sgpr_queue_ptr 0
		.amdhsa_user_sgpr_kernarg_segment_ptr 1
		.amdhsa_user_sgpr_dispatch_id 0
		.amdhsa_user_sgpr_flat_scratch_init 0
		.amdhsa_user_sgpr_private_segment_size 0
		.amdhsa_wavefront_size32 1
		.amdhsa_uses_dynamic_stack 0
		.amdhsa_system_sgpr_private_segment_wavefront_offset 0
		.amdhsa_system_sgpr_workgroup_id_x 1
		.amdhsa_system_sgpr_workgroup_id_y 0
		.amdhsa_system_sgpr_workgroup_id_z 0
		.amdhsa_system_sgpr_workgroup_info 0
		.amdhsa_system_vgpr_workitem_id 0
		.amdhsa_next_free_vgpr 1
		.amdhsa_next_free_sgpr 1
		.amdhsa_reserve_vcc 0
		.amdhsa_reserve_flat_scratch 0
		.amdhsa_float_round_mode_32 0
		.amdhsa_float_round_mode_16_64 0
		.amdhsa_float_denorm_mode_32 3
		.amdhsa_float_denorm_mode_16_64 3
		.amdhsa_dx10_clamp 1
		.amdhsa_ieee_mode 1
		.amdhsa_fp16_overflow 0
		.amdhsa_workgroup_processor_mode 1
		.amdhsa_memory_ordered 1
		.amdhsa_forward_progress 1
		.amdhsa_shared_vgpr_count 0
		.amdhsa_exception_fp_ieee_invalid_op 0
		.amdhsa_exception_fp_denorm_src 0
		.amdhsa_exception_fp_ieee_div_zero 0
		.amdhsa_exception_fp_ieee_overflow 0
		.amdhsa_exception_fp_ieee_underflow 0
		.amdhsa_exception_fp_ieee_inexact 0
		.amdhsa_exception_int_div_zero 0
	.end_amdhsa_kernel
	.section	.text._ZN7rocprim17ROCPRIM_400000_NS6detail17trampoline_kernelINS0_14default_configENS1_27scan_by_key_config_selectorIxxEEZZNS1_16scan_by_key_implILNS1_25lookback_scan_determinismE0ELb0ES3_N6thrust23THRUST_200600_302600_NS6detail15normal_iteratorINS9_10device_ptrIxEEEESE_SE_xNS9_4plusIxEE19head_flag_predicatexEE10hipError_tPvRmT2_T3_T4_T5_mT6_T7_P12ihipStream_tbENKUlT_T0_E_clISt17integral_constantIbLb1EESY_EEDaST_SU_EUlST_E_NS1_11comp_targetILNS1_3genE10ELNS1_11target_archE1200ELNS1_3gpuE4ELNS1_3repE0EEENS1_30default_config_static_selectorELNS0_4arch9wavefront6targetE0EEEvT1_,"axG",@progbits,_ZN7rocprim17ROCPRIM_400000_NS6detail17trampoline_kernelINS0_14default_configENS1_27scan_by_key_config_selectorIxxEEZZNS1_16scan_by_key_implILNS1_25lookback_scan_determinismE0ELb0ES3_N6thrust23THRUST_200600_302600_NS6detail15normal_iteratorINS9_10device_ptrIxEEEESE_SE_xNS9_4plusIxEE19head_flag_predicatexEE10hipError_tPvRmT2_T3_T4_T5_mT6_T7_P12ihipStream_tbENKUlT_T0_E_clISt17integral_constantIbLb1EESY_EEDaST_SU_EUlST_E_NS1_11comp_targetILNS1_3genE10ELNS1_11target_archE1200ELNS1_3gpuE4ELNS1_3repE0EEENS1_30default_config_static_selectorELNS0_4arch9wavefront6targetE0EEEvT1_,comdat
.Lfunc_end692:
	.size	_ZN7rocprim17ROCPRIM_400000_NS6detail17trampoline_kernelINS0_14default_configENS1_27scan_by_key_config_selectorIxxEEZZNS1_16scan_by_key_implILNS1_25lookback_scan_determinismE0ELb0ES3_N6thrust23THRUST_200600_302600_NS6detail15normal_iteratorINS9_10device_ptrIxEEEESE_SE_xNS9_4plusIxEE19head_flag_predicatexEE10hipError_tPvRmT2_T3_T4_T5_mT6_T7_P12ihipStream_tbENKUlT_T0_E_clISt17integral_constantIbLb1EESY_EEDaST_SU_EUlST_E_NS1_11comp_targetILNS1_3genE10ELNS1_11target_archE1200ELNS1_3gpuE4ELNS1_3repE0EEENS1_30default_config_static_selectorELNS0_4arch9wavefront6targetE0EEEvT1_, .Lfunc_end692-_ZN7rocprim17ROCPRIM_400000_NS6detail17trampoline_kernelINS0_14default_configENS1_27scan_by_key_config_selectorIxxEEZZNS1_16scan_by_key_implILNS1_25lookback_scan_determinismE0ELb0ES3_N6thrust23THRUST_200600_302600_NS6detail15normal_iteratorINS9_10device_ptrIxEEEESE_SE_xNS9_4plusIxEE19head_flag_predicatexEE10hipError_tPvRmT2_T3_T4_T5_mT6_T7_P12ihipStream_tbENKUlT_T0_E_clISt17integral_constantIbLb1EESY_EEDaST_SU_EUlST_E_NS1_11comp_targetILNS1_3genE10ELNS1_11target_archE1200ELNS1_3gpuE4ELNS1_3repE0EEENS1_30default_config_static_selectorELNS0_4arch9wavefront6targetE0EEEvT1_
                                        ; -- End function
	.set _ZN7rocprim17ROCPRIM_400000_NS6detail17trampoline_kernelINS0_14default_configENS1_27scan_by_key_config_selectorIxxEEZZNS1_16scan_by_key_implILNS1_25lookback_scan_determinismE0ELb0ES3_N6thrust23THRUST_200600_302600_NS6detail15normal_iteratorINS9_10device_ptrIxEEEESE_SE_xNS9_4plusIxEE19head_flag_predicatexEE10hipError_tPvRmT2_T3_T4_T5_mT6_T7_P12ihipStream_tbENKUlT_T0_E_clISt17integral_constantIbLb1EESY_EEDaST_SU_EUlST_E_NS1_11comp_targetILNS1_3genE10ELNS1_11target_archE1200ELNS1_3gpuE4ELNS1_3repE0EEENS1_30default_config_static_selectorELNS0_4arch9wavefront6targetE0EEEvT1_.num_vgpr, 0
	.set _ZN7rocprim17ROCPRIM_400000_NS6detail17trampoline_kernelINS0_14default_configENS1_27scan_by_key_config_selectorIxxEEZZNS1_16scan_by_key_implILNS1_25lookback_scan_determinismE0ELb0ES3_N6thrust23THRUST_200600_302600_NS6detail15normal_iteratorINS9_10device_ptrIxEEEESE_SE_xNS9_4plusIxEE19head_flag_predicatexEE10hipError_tPvRmT2_T3_T4_T5_mT6_T7_P12ihipStream_tbENKUlT_T0_E_clISt17integral_constantIbLb1EESY_EEDaST_SU_EUlST_E_NS1_11comp_targetILNS1_3genE10ELNS1_11target_archE1200ELNS1_3gpuE4ELNS1_3repE0EEENS1_30default_config_static_selectorELNS0_4arch9wavefront6targetE0EEEvT1_.num_agpr, 0
	.set _ZN7rocprim17ROCPRIM_400000_NS6detail17trampoline_kernelINS0_14default_configENS1_27scan_by_key_config_selectorIxxEEZZNS1_16scan_by_key_implILNS1_25lookback_scan_determinismE0ELb0ES3_N6thrust23THRUST_200600_302600_NS6detail15normal_iteratorINS9_10device_ptrIxEEEESE_SE_xNS9_4plusIxEE19head_flag_predicatexEE10hipError_tPvRmT2_T3_T4_T5_mT6_T7_P12ihipStream_tbENKUlT_T0_E_clISt17integral_constantIbLb1EESY_EEDaST_SU_EUlST_E_NS1_11comp_targetILNS1_3genE10ELNS1_11target_archE1200ELNS1_3gpuE4ELNS1_3repE0EEENS1_30default_config_static_selectorELNS0_4arch9wavefront6targetE0EEEvT1_.numbered_sgpr, 0
	.set _ZN7rocprim17ROCPRIM_400000_NS6detail17trampoline_kernelINS0_14default_configENS1_27scan_by_key_config_selectorIxxEEZZNS1_16scan_by_key_implILNS1_25lookback_scan_determinismE0ELb0ES3_N6thrust23THRUST_200600_302600_NS6detail15normal_iteratorINS9_10device_ptrIxEEEESE_SE_xNS9_4plusIxEE19head_flag_predicatexEE10hipError_tPvRmT2_T3_T4_T5_mT6_T7_P12ihipStream_tbENKUlT_T0_E_clISt17integral_constantIbLb1EESY_EEDaST_SU_EUlST_E_NS1_11comp_targetILNS1_3genE10ELNS1_11target_archE1200ELNS1_3gpuE4ELNS1_3repE0EEENS1_30default_config_static_selectorELNS0_4arch9wavefront6targetE0EEEvT1_.num_named_barrier, 0
	.set _ZN7rocprim17ROCPRIM_400000_NS6detail17trampoline_kernelINS0_14default_configENS1_27scan_by_key_config_selectorIxxEEZZNS1_16scan_by_key_implILNS1_25lookback_scan_determinismE0ELb0ES3_N6thrust23THRUST_200600_302600_NS6detail15normal_iteratorINS9_10device_ptrIxEEEESE_SE_xNS9_4plusIxEE19head_flag_predicatexEE10hipError_tPvRmT2_T3_T4_T5_mT6_T7_P12ihipStream_tbENKUlT_T0_E_clISt17integral_constantIbLb1EESY_EEDaST_SU_EUlST_E_NS1_11comp_targetILNS1_3genE10ELNS1_11target_archE1200ELNS1_3gpuE4ELNS1_3repE0EEENS1_30default_config_static_selectorELNS0_4arch9wavefront6targetE0EEEvT1_.private_seg_size, 0
	.set _ZN7rocprim17ROCPRIM_400000_NS6detail17trampoline_kernelINS0_14default_configENS1_27scan_by_key_config_selectorIxxEEZZNS1_16scan_by_key_implILNS1_25lookback_scan_determinismE0ELb0ES3_N6thrust23THRUST_200600_302600_NS6detail15normal_iteratorINS9_10device_ptrIxEEEESE_SE_xNS9_4plusIxEE19head_flag_predicatexEE10hipError_tPvRmT2_T3_T4_T5_mT6_T7_P12ihipStream_tbENKUlT_T0_E_clISt17integral_constantIbLb1EESY_EEDaST_SU_EUlST_E_NS1_11comp_targetILNS1_3genE10ELNS1_11target_archE1200ELNS1_3gpuE4ELNS1_3repE0EEENS1_30default_config_static_selectorELNS0_4arch9wavefront6targetE0EEEvT1_.uses_vcc, 0
	.set _ZN7rocprim17ROCPRIM_400000_NS6detail17trampoline_kernelINS0_14default_configENS1_27scan_by_key_config_selectorIxxEEZZNS1_16scan_by_key_implILNS1_25lookback_scan_determinismE0ELb0ES3_N6thrust23THRUST_200600_302600_NS6detail15normal_iteratorINS9_10device_ptrIxEEEESE_SE_xNS9_4plusIxEE19head_flag_predicatexEE10hipError_tPvRmT2_T3_T4_T5_mT6_T7_P12ihipStream_tbENKUlT_T0_E_clISt17integral_constantIbLb1EESY_EEDaST_SU_EUlST_E_NS1_11comp_targetILNS1_3genE10ELNS1_11target_archE1200ELNS1_3gpuE4ELNS1_3repE0EEENS1_30default_config_static_selectorELNS0_4arch9wavefront6targetE0EEEvT1_.uses_flat_scratch, 0
	.set _ZN7rocprim17ROCPRIM_400000_NS6detail17trampoline_kernelINS0_14default_configENS1_27scan_by_key_config_selectorIxxEEZZNS1_16scan_by_key_implILNS1_25lookback_scan_determinismE0ELb0ES3_N6thrust23THRUST_200600_302600_NS6detail15normal_iteratorINS9_10device_ptrIxEEEESE_SE_xNS9_4plusIxEE19head_flag_predicatexEE10hipError_tPvRmT2_T3_T4_T5_mT6_T7_P12ihipStream_tbENKUlT_T0_E_clISt17integral_constantIbLb1EESY_EEDaST_SU_EUlST_E_NS1_11comp_targetILNS1_3genE10ELNS1_11target_archE1200ELNS1_3gpuE4ELNS1_3repE0EEENS1_30default_config_static_selectorELNS0_4arch9wavefront6targetE0EEEvT1_.has_dyn_sized_stack, 0
	.set _ZN7rocprim17ROCPRIM_400000_NS6detail17trampoline_kernelINS0_14default_configENS1_27scan_by_key_config_selectorIxxEEZZNS1_16scan_by_key_implILNS1_25lookback_scan_determinismE0ELb0ES3_N6thrust23THRUST_200600_302600_NS6detail15normal_iteratorINS9_10device_ptrIxEEEESE_SE_xNS9_4plusIxEE19head_flag_predicatexEE10hipError_tPvRmT2_T3_T4_T5_mT6_T7_P12ihipStream_tbENKUlT_T0_E_clISt17integral_constantIbLb1EESY_EEDaST_SU_EUlST_E_NS1_11comp_targetILNS1_3genE10ELNS1_11target_archE1200ELNS1_3gpuE4ELNS1_3repE0EEENS1_30default_config_static_selectorELNS0_4arch9wavefront6targetE0EEEvT1_.has_recursion, 0
	.set _ZN7rocprim17ROCPRIM_400000_NS6detail17trampoline_kernelINS0_14default_configENS1_27scan_by_key_config_selectorIxxEEZZNS1_16scan_by_key_implILNS1_25lookback_scan_determinismE0ELb0ES3_N6thrust23THRUST_200600_302600_NS6detail15normal_iteratorINS9_10device_ptrIxEEEESE_SE_xNS9_4plusIxEE19head_flag_predicatexEE10hipError_tPvRmT2_T3_T4_T5_mT6_T7_P12ihipStream_tbENKUlT_T0_E_clISt17integral_constantIbLb1EESY_EEDaST_SU_EUlST_E_NS1_11comp_targetILNS1_3genE10ELNS1_11target_archE1200ELNS1_3gpuE4ELNS1_3repE0EEENS1_30default_config_static_selectorELNS0_4arch9wavefront6targetE0EEEvT1_.has_indirect_call, 0
	.section	.AMDGPU.csdata,"",@progbits
; Kernel info:
; codeLenInByte = 0
; TotalNumSgprs: 0
; NumVgprs: 0
; ScratchSize: 0
; MemoryBound: 0
; FloatMode: 240
; IeeeMode: 1
; LDSByteSize: 0 bytes/workgroup (compile time only)
; SGPRBlocks: 0
; VGPRBlocks: 0
; NumSGPRsForWavesPerEU: 1
; NumVGPRsForWavesPerEU: 1
; Occupancy: 16
; WaveLimiterHint : 0
; COMPUTE_PGM_RSRC2:SCRATCH_EN: 0
; COMPUTE_PGM_RSRC2:USER_SGPR: 6
; COMPUTE_PGM_RSRC2:TRAP_HANDLER: 0
; COMPUTE_PGM_RSRC2:TGID_X_EN: 1
; COMPUTE_PGM_RSRC2:TGID_Y_EN: 0
; COMPUTE_PGM_RSRC2:TGID_Z_EN: 0
; COMPUTE_PGM_RSRC2:TIDIG_COMP_CNT: 0
	.section	.text._ZN7rocprim17ROCPRIM_400000_NS6detail17trampoline_kernelINS0_14default_configENS1_27scan_by_key_config_selectorIxxEEZZNS1_16scan_by_key_implILNS1_25lookback_scan_determinismE0ELb0ES3_N6thrust23THRUST_200600_302600_NS6detail15normal_iteratorINS9_10device_ptrIxEEEESE_SE_xNS9_4plusIxEE19head_flag_predicatexEE10hipError_tPvRmT2_T3_T4_T5_mT6_T7_P12ihipStream_tbENKUlT_T0_E_clISt17integral_constantIbLb1EESY_EEDaST_SU_EUlST_E_NS1_11comp_targetILNS1_3genE9ELNS1_11target_archE1100ELNS1_3gpuE3ELNS1_3repE0EEENS1_30default_config_static_selectorELNS0_4arch9wavefront6targetE0EEEvT1_,"axG",@progbits,_ZN7rocprim17ROCPRIM_400000_NS6detail17trampoline_kernelINS0_14default_configENS1_27scan_by_key_config_selectorIxxEEZZNS1_16scan_by_key_implILNS1_25lookback_scan_determinismE0ELb0ES3_N6thrust23THRUST_200600_302600_NS6detail15normal_iteratorINS9_10device_ptrIxEEEESE_SE_xNS9_4plusIxEE19head_flag_predicatexEE10hipError_tPvRmT2_T3_T4_T5_mT6_T7_P12ihipStream_tbENKUlT_T0_E_clISt17integral_constantIbLb1EESY_EEDaST_SU_EUlST_E_NS1_11comp_targetILNS1_3genE9ELNS1_11target_archE1100ELNS1_3gpuE3ELNS1_3repE0EEENS1_30default_config_static_selectorELNS0_4arch9wavefront6targetE0EEEvT1_,comdat
	.protected	_ZN7rocprim17ROCPRIM_400000_NS6detail17trampoline_kernelINS0_14default_configENS1_27scan_by_key_config_selectorIxxEEZZNS1_16scan_by_key_implILNS1_25lookback_scan_determinismE0ELb0ES3_N6thrust23THRUST_200600_302600_NS6detail15normal_iteratorINS9_10device_ptrIxEEEESE_SE_xNS9_4plusIxEE19head_flag_predicatexEE10hipError_tPvRmT2_T3_T4_T5_mT6_T7_P12ihipStream_tbENKUlT_T0_E_clISt17integral_constantIbLb1EESY_EEDaST_SU_EUlST_E_NS1_11comp_targetILNS1_3genE9ELNS1_11target_archE1100ELNS1_3gpuE3ELNS1_3repE0EEENS1_30default_config_static_selectorELNS0_4arch9wavefront6targetE0EEEvT1_ ; -- Begin function _ZN7rocprim17ROCPRIM_400000_NS6detail17trampoline_kernelINS0_14default_configENS1_27scan_by_key_config_selectorIxxEEZZNS1_16scan_by_key_implILNS1_25lookback_scan_determinismE0ELb0ES3_N6thrust23THRUST_200600_302600_NS6detail15normal_iteratorINS9_10device_ptrIxEEEESE_SE_xNS9_4plusIxEE19head_flag_predicatexEE10hipError_tPvRmT2_T3_T4_T5_mT6_T7_P12ihipStream_tbENKUlT_T0_E_clISt17integral_constantIbLb1EESY_EEDaST_SU_EUlST_E_NS1_11comp_targetILNS1_3genE9ELNS1_11target_archE1100ELNS1_3gpuE3ELNS1_3repE0EEENS1_30default_config_static_selectorELNS0_4arch9wavefront6targetE0EEEvT1_
	.globl	_ZN7rocprim17ROCPRIM_400000_NS6detail17trampoline_kernelINS0_14default_configENS1_27scan_by_key_config_selectorIxxEEZZNS1_16scan_by_key_implILNS1_25lookback_scan_determinismE0ELb0ES3_N6thrust23THRUST_200600_302600_NS6detail15normal_iteratorINS9_10device_ptrIxEEEESE_SE_xNS9_4plusIxEE19head_flag_predicatexEE10hipError_tPvRmT2_T3_T4_T5_mT6_T7_P12ihipStream_tbENKUlT_T0_E_clISt17integral_constantIbLb1EESY_EEDaST_SU_EUlST_E_NS1_11comp_targetILNS1_3genE9ELNS1_11target_archE1100ELNS1_3gpuE3ELNS1_3repE0EEENS1_30default_config_static_selectorELNS0_4arch9wavefront6targetE0EEEvT1_
	.p2align	8
	.type	_ZN7rocprim17ROCPRIM_400000_NS6detail17trampoline_kernelINS0_14default_configENS1_27scan_by_key_config_selectorIxxEEZZNS1_16scan_by_key_implILNS1_25lookback_scan_determinismE0ELb0ES3_N6thrust23THRUST_200600_302600_NS6detail15normal_iteratorINS9_10device_ptrIxEEEESE_SE_xNS9_4plusIxEE19head_flag_predicatexEE10hipError_tPvRmT2_T3_T4_T5_mT6_T7_P12ihipStream_tbENKUlT_T0_E_clISt17integral_constantIbLb1EESY_EEDaST_SU_EUlST_E_NS1_11comp_targetILNS1_3genE9ELNS1_11target_archE1100ELNS1_3gpuE3ELNS1_3repE0EEENS1_30default_config_static_selectorELNS0_4arch9wavefront6targetE0EEEvT1_,@function
_ZN7rocprim17ROCPRIM_400000_NS6detail17trampoline_kernelINS0_14default_configENS1_27scan_by_key_config_selectorIxxEEZZNS1_16scan_by_key_implILNS1_25lookback_scan_determinismE0ELb0ES3_N6thrust23THRUST_200600_302600_NS6detail15normal_iteratorINS9_10device_ptrIxEEEESE_SE_xNS9_4plusIxEE19head_flag_predicatexEE10hipError_tPvRmT2_T3_T4_T5_mT6_T7_P12ihipStream_tbENKUlT_T0_E_clISt17integral_constantIbLb1EESY_EEDaST_SU_EUlST_E_NS1_11comp_targetILNS1_3genE9ELNS1_11target_archE1100ELNS1_3gpuE3ELNS1_3repE0EEENS1_30default_config_static_selectorELNS0_4arch9wavefront6targetE0EEEvT1_: ; @_ZN7rocprim17ROCPRIM_400000_NS6detail17trampoline_kernelINS0_14default_configENS1_27scan_by_key_config_selectorIxxEEZZNS1_16scan_by_key_implILNS1_25lookback_scan_determinismE0ELb0ES3_N6thrust23THRUST_200600_302600_NS6detail15normal_iteratorINS9_10device_ptrIxEEEESE_SE_xNS9_4plusIxEE19head_flag_predicatexEE10hipError_tPvRmT2_T3_T4_T5_mT6_T7_P12ihipStream_tbENKUlT_T0_E_clISt17integral_constantIbLb1EESY_EEDaST_SU_EUlST_E_NS1_11comp_targetILNS1_3genE9ELNS1_11target_archE1100ELNS1_3gpuE3ELNS1_3repE0EEENS1_30default_config_static_selectorELNS0_4arch9wavefront6targetE0EEEvT1_
; %bb.0:
	.section	.rodata,"a",@progbits
	.p2align	6, 0x0
	.amdhsa_kernel _ZN7rocprim17ROCPRIM_400000_NS6detail17trampoline_kernelINS0_14default_configENS1_27scan_by_key_config_selectorIxxEEZZNS1_16scan_by_key_implILNS1_25lookback_scan_determinismE0ELb0ES3_N6thrust23THRUST_200600_302600_NS6detail15normal_iteratorINS9_10device_ptrIxEEEESE_SE_xNS9_4plusIxEE19head_flag_predicatexEE10hipError_tPvRmT2_T3_T4_T5_mT6_T7_P12ihipStream_tbENKUlT_T0_E_clISt17integral_constantIbLb1EESY_EEDaST_SU_EUlST_E_NS1_11comp_targetILNS1_3genE9ELNS1_11target_archE1100ELNS1_3gpuE3ELNS1_3repE0EEENS1_30default_config_static_selectorELNS0_4arch9wavefront6targetE0EEEvT1_
		.amdhsa_group_segment_fixed_size 0
		.amdhsa_private_segment_fixed_size 0
		.amdhsa_kernarg_size 136
		.amdhsa_user_sgpr_count 6
		.amdhsa_user_sgpr_private_segment_buffer 1
		.amdhsa_user_sgpr_dispatch_ptr 0
		.amdhsa_user_sgpr_queue_ptr 0
		.amdhsa_user_sgpr_kernarg_segment_ptr 1
		.amdhsa_user_sgpr_dispatch_id 0
		.amdhsa_user_sgpr_flat_scratch_init 0
		.amdhsa_user_sgpr_private_segment_size 0
		.amdhsa_wavefront_size32 1
		.amdhsa_uses_dynamic_stack 0
		.amdhsa_system_sgpr_private_segment_wavefront_offset 0
		.amdhsa_system_sgpr_workgroup_id_x 1
		.amdhsa_system_sgpr_workgroup_id_y 0
		.amdhsa_system_sgpr_workgroup_id_z 0
		.amdhsa_system_sgpr_workgroup_info 0
		.amdhsa_system_vgpr_workitem_id 0
		.amdhsa_next_free_vgpr 1
		.amdhsa_next_free_sgpr 1
		.amdhsa_reserve_vcc 0
		.amdhsa_reserve_flat_scratch 0
		.amdhsa_float_round_mode_32 0
		.amdhsa_float_round_mode_16_64 0
		.amdhsa_float_denorm_mode_32 3
		.amdhsa_float_denorm_mode_16_64 3
		.amdhsa_dx10_clamp 1
		.amdhsa_ieee_mode 1
		.amdhsa_fp16_overflow 0
		.amdhsa_workgroup_processor_mode 1
		.amdhsa_memory_ordered 1
		.amdhsa_forward_progress 1
		.amdhsa_shared_vgpr_count 0
		.amdhsa_exception_fp_ieee_invalid_op 0
		.amdhsa_exception_fp_denorm_src 0
		.amdhsa_exception_fp_ieee_div_zero 0
		.amdhsa_exception_fp_ieee_overflow 0
		.amdhsa_exception_fp_ieee_underflow 0
		.amdhsa_exception_fp_ieee_inexact 0
		.amdhsa_exception_int_div_zero 0
	.end_amdhsa_kernel
	.section	.text._ZN7rocprim17ROCPRIM_400000_NS6detail17trampoline_kernelINS0_14default_configENS1_27scan_by_key_config_selectorIxxEEZZNS1_16scan_by_key_implILNS1_25lookback_scan_determinismE0ELb0ES3_N6thrust23THRUST_200600_302600_NS6detail15normal_iteratorINS9_10device_ptrIxEEEESE_SE_xNS9_4plusIxEE19head_flag_predicatexEE10hipError_tPvRmT2_T3_T4_T5_mT6_T7_P12ihipStream_tbENKUlT_T0_E_clISt17integral_constantIbLb1EESY_EEDaST_SU_EUlST_E_NS1_11comp_targetILNS1_3genE9ELNS1_11target_archE1100ELNS1_3gpuE3ELNS1_3repE0EEENS1_30default_config_static_selectorELNS0_4arch9wavefront6targetE0EEEvT1_,"axG",@progbits,_ZN7rocprim17ROCPRIM_400000_NS6detail17trampoline_kernelINS0_14default_configENS1_27scan_by_key_config_selectorIxxEEZZNS1_16scan_by_key_implILNS1_25lookback_scan_determinismE0ELb0ES3_N6thrust23THRUST_200600_302600_NS6detail15normal_iteratorINS9_10device_ptrIxEEEESE_SE_xNS9_4plusIxEE19head_flag_predicatexEE10hipError_tPvRmT2_T3_T4_T5_mT6_T7_P12ihipStream_tbENKUlT_T0_E_clISt17integral_constantIbLb1EESY_EEDaST_SU_EUlST_E_NS1_11comp_targetILNS1_3genE9ELNS1_11target_archE1100ELNS1_3gpuE3ELNS1_3repE0EEENS1_30default_config_static_selectorELNS0_4arch9wavefront6targetE0EEEvT1_,comdat
.Lfunc_end693:
	.size	_ZN7rocprim17ROCPRIM_400000_NS6detail17trampoline_kernelINS0_14default_configENS1_27scan_by_key_config_selectorIxxEEZZNS1_16scan_by_key_implILNS1_25lookback_scan_determinismE0ELb0ES3_N6thrust23THRUST_200600_302600_NS6detail15normal_iteratorINS9_10device_ptrIxEEEESE_SE_xNS9_4plusIxEE19head_flag_predicatexEE10hipError_tPvRmT2_T3_T4_T5_mT6_T7_P12ihipStream_tbENKUlT_T0_E_clISt17integral_constantIbLb1EESY_EEDaST_SU_EUlST_E_NS1_11comp_targetILNS1_3genE9ELNS1_11target_archE1100ELNS1_3gpuE3ELNS1_3repE0EEENS1_30default_config_static_selectorELNS0_4arch9wavefront6targetE0EEEvT1_, .Lfunc_end693-_ZN7rocprim17ROCPRIM_400000_NS6detail17trampoline_kernelINS0_14default_configENS1_27scan_by_key_config_selectorIxxEEZZNS1_16scan_by_key_implILNS1_25lookback_scan_determinismE0ELb0ES3_N6thrust23THRUST_200600_302600_NS6detail15normal_iteratorINS9_10device_ptrIxEEEESE_SE_xNS9_4plusIxEE19head_flag_predicatexEE10hipError_tPvRmT2_T3_T4_T5_mT6_T7_P12ihipStream_tbENKUlT_T0_E_clISt17integral_constantIbLb1EESY_EEDaST_SU_EUlST_E_NS1_11comp_targetILNS1_3genE9ELNS1_11target_archE1100ELNS1_3gpuE3ELNS1_3repE0EEENS1_30default_config_static_selectorELNS0_4arch9wavefront6targetE0EEEvT1_
                                        ; -- End function
	.set _ZN7rocprim17ROCPRIM_400000_NS6detail17trampoline_kernelINS0_14default_configENS1_27scan_by_key_config_selectorIxxEEZZNS1_16scan_by_key_implILNS1_25lookback_scan_determinismE0ELb0ES3_N6thrust23THRUST_200600_302600_NS6detail15normal_iteratorINS9_10device_ptrIxEEEESE_SE_xNS9_4plusIxEE19head_flag_predicatexEE10hipError_tPvRmT2_T3_T4_T5_mT6_T7_P12ihipStream_tbENKUlT_T0_E_clISt17integral_constantIbLb1EESY_EEDaST_SU_EUlST_E_NS1_11comp_targetILNS1_3genE9ELNS1_11target_archE1100ELNS1_3gpuE3ELNS1_3repE0EEENS1_30default_config_static_selectorELNS0_4arch9wavefront6targetE0EEEvT1_.num_vgpr, 0
	.set _ZN7rocprim17ROCPRIM_400000_NS6detail17trampoline_kernelINS0_14default_configENS1_27scan_by_key_config_selectorIxxEEZZNS1_16scan_by_key_implILNS1_25lookback_scan_determinismE0ELb0ES3_N6thrust23THRUST_200600_302600_NS6detail15normal_iteratorINS9_10device_ptrIxEEEESE_SE_xNS9_4plusIxEE19head_flag_predicatexEE10hipError_tPvRmT2_T3_T4_T5_mT6_T7_P12ihipStream_tbENKUlT_T0_E_clISt17integral_constantIbLb1EESY_EEDaST_SU_EUlST_E_NS1_11comp_targetILNS1_3genE9ELNS1_11target_archE1100ELNS1_3gpuE3ELNS1_3repE0EEENS1_30default_config_static_selectorELNS0_4arch9wavefront6targetE0EEEvT1_.num_agpr, 0
	.set _ZN7rocprim17ROCPRIM_400000_NS6detail17trampoline_kernelINS0_14default_configENS1_27scan_by_key_config_selectorIxxEEZZNS1_16scan_by_key_implILNS1_25lookback_scan_determinismE0ELb0ES3_N6thrust23THRUST_200600_302600_NS6detail15normal_iteratorINS9_10device_ptrIxEEEESE_SE_xNS9_4plusIxEE19head_flag_predicatexEE10hipError_tPvRmT2_T3_T4_T5_mT6_T7_P12ihipStream_tbENKUlT_T0_E_clISt17integral_constantIbLb1EESY_EEDaST_SU_EUlST_E_NS1_11comp_targetILNS1_3genE9ELNS1_11target_archE1100ELNS1_3gpuE3ELNS1_3repE0EEENS1_30default_config_static_selectorELNS0_4arch9wavefront6targetE0EEEvT1_.numbered_sgpr, 0
	.set _ZN7rocprim17ROCPRIM_400000_NS6detail17trampoline_kernelINS0_14default_configENS1_27scan_by_key_config_selectorIxxEEZZNS1_16scan_by_key_implILNS1_25lookback_scan_determinismE0ELb0ES3_N6thrust23THRUST_200600_302600_NS6detail15normal_iteratorINS9_10device_ptrIxEEEESE_SE_xNS9_4plusIxEE19head_flag_predicatexEE10hipError_tPvRmT2_T3_T4_T5_mT6_T7_P12ihipStream_tbENKUlT_T0_E_clISt17integral_constantIbLb1EESY_EEDaST_SU_EUlST_E_NS1_11comp_targetILNS1_3genE9ELNS1_11target_archE1100ELNS1_3gpuE3ELNS1_3repE0EEENS1_30default_config_static_selectorELNS0_4arch9wavefront6targetE0EEEvT1_.num_named_barrier, 0
	.set _ZN7rocprim17ROCPRIM_400000_NS6detail17trampoline_kernelINS0_14default_configENS1_27scan_by_key_config_selectorIxxEEZZNS1_16scan_by_key_implILNS1_25lookback_scan_determinismE0ELb0ES3_N6thrust23THRUST_200600_302600_NS6detail15normal_iteratorINS9_10device_ptrIxEEEESE_SE_xNS9_4plusIxEE19head_flag_predicatexEE10hipError_tPvRmT2_T3_T4_T5_mT6_T7_P12ihipStream_tbENKUlT_T0_E_clISt17integral_constantIbLb1EESY_EEDaST_SU_EUlST_E_NS1_11comp_targetILNS1_3genE9ELNS1_11target_archE1100ELNS1_3gpuE3ELNS1_3repE0EEENS1_30default_config_static_selectorELNS0_4arch9wavefront6targetE0EEEvT1_.private_seg_size, 0
	.set _ZN7rocprim17ROCPRIM_400000_NS6detail17trampoline_kernelINS0_14default_configENS1_27scan_by_key_config_selectorIxxEEZZNS1_16scan_by_key_implILNS1_25lookback_scan_determinismE0ELb0ES3_N6thrust23THRUST_200600_302600_NS6detail15normal_iteratorINS9_10device_ptrIxEEEESE_SE_xNS9_4plusIxEE19head_flag_predicatexEE10hipError_tPvRmT2_T3_T4_T5_mT6_T7_P12ihipStream_tbENKUlT_T0_E_clISt17integral_constantIbLb1EESY_EEDaST_SU_EUlST_E_NS1_11comp_targetILNS1_3genE9ELNS1_11target_archE1100ELNS1_3gpuE3ELNS1_3repE0EEENS1_30default_config_static_selectorELNS0_4arch9wavefront6targetE0EEEvT1_.uses_vcc, 0
	.set _ZN7rocprim17ROCPRIM_400000_NS6detail17trampoline_kernelINS0_14default_configENS1_27scan_by_key_config_selectorIxxEEZZNS1_16scan_by_key_implILNS1_25lookback_scan_determinismE0ELb0ES3_N6thrust23THRUST_200600_302600_NS6detail15normal_iteratorINS9_10device_ptrIxEEEESE_SE_xNS9_4plusIxEE19head_flag_predicatexEE10hipError_tPvRmT2_T3_T4_T5_mT6_T7_P12ihipStream_tbENKUlT_T0_E_clISt17integral_constantIbLb1EESY_EEDaST_SU_EUlST_E_NS1_11comp_targetILNS1_3genE9ELNS1_11target_archE1100ELNS1_3gpuE3ELNS1_3repE0EEENS1_30default_config_static_selectorELNS0_4arch9wavefront6targetE0EEEvT1_.uses_flat_scratch, 0
	.set _ZN7rocprim17ROCPRIM_400000_NS6detail17trampoline_kernelINS0_14default_configENS1_27scan_by_key_config_selectorIxxEEZZNS1_16scan_by_key_implILNS1_25lookback_scan_determinismE0ELb0ES3_N6thrust23THRUST_200600_302600_NS6detail15normal_iteratorINS9_10device_ptrIxEEEESE_SE_xNS9_4plusIxEE19head_flag_predicatexEE10hipError_tPvRmT2_T3_T4_T5_mT6_T7_P12ihipStream_tbENKUlT_T0_E_clISt17integral_constantIbLb1EESY_EEDaST_SU_EUlST_E_NS1_11comp_targetILNS1_3genE9ELNS1_11target_archE1100ELNS1_3gpuE3ELNS1_3repE0EEENS1_30default_config_static_selectorELNS0_4arch9wavefront6targetE0EEEvT1_.has_dyn_sized_stack, 0
	.set _ZN7rocprim17ROCPRIM_400000_NS6detail17trampoline_kernelINS0_14default_configENS1_27scan_by_key_config_selectorIxxEEZZNS1_16scan_by_key_implILNS1_25lookback_scan_determinismE0ELb0ES3_N6thrust23THRUST_200600_302600_NS6detail15normal_iteratorINS9_10device_ptrIxEEEESE_SE_xNS9_4plusIxEE19head_flag_predicatexEE10hipError_tPvRmT2_T3_T4_T5_mT6_T7_P12ihipStream_tbENKUlT_T0_E_clISt17integral_constantIbLb1EESY_EEDaST_SU_EUlST_E_NS1_11comp_targetILNS1_3genE9ELNS1_11target_archE1100ELNS1_3gpuE3ELNS1_3repE0EEENS1_30default_config_static_selectorELNS0_4arch9wavefront6targetE0EEEvT1_.has_recursion, 0
	.set _ZN7rocprim17ROCPRIM_400000_NS6detail17trampoline_kernelINS0_14default_configENS1_27scan_by_key_config_selectorIxxEEZZNS1_16scan_by_key_implILNS1_25lookback_scan_determinismE0ELb0ES3_N6thrust23THRUST_200600_302600_NS6detail15normal_iteratorINS9_10device_ptrIxEEEESE_SE_xNS9_4plusIxEE19head_flag_predicatexEE10hipError_tPvRmT2_T3_T4_T5_mT6_T7_P12ihipStream_tbENKUlT_T0_E_clISt17integral_constantIbLb1EESY_EEDaST_SU_EUlST_E_NS1_11comp_targetILNS1_3genE9ELNS1_11target_archE1100ELNS1_3gpuE3ELNS1_3repE0EEENS1_30default_config_static_selectorELNS0_4arch9wavefront6targetE0EEEvT1_.has_indirect_call, 0
	.section	.AMDGPU.csdata,"",@progbits
; Kernel info:
; codeLenInByte = 0
; TotalNumSgprs: 0
; NumVgprs: 0
; ScratchSize: 0
; MemoryBound: 0
; FloatMode: 240
; IeeeMode: 1
; LDSByteSize: 0 bytes/workgroup (compile time only)
; SGPRBlocks: 0
; VGPRBlocks: 0
; NumSGPRsForWavesPerEU: 1
; NumVGPRsForWavesPerEU: 1
; Occupancy: 16
; WaveLimiterHint : 0
; COMPUTE_PGM_RSRC2:SCRATCH_EN: 0
; COMPUTE_PGM_RSRC2:USER_SGPR: 6
; COMPUTE_PGM_RSRC2:TRAP_HANDLER: 0
; COMPUTE_PGM_RSRC2:TGID_X_EN: 1
; COMPUTE_PGM_RSRC2:TGID_Y_EN: 0
; COMPUTE_PGM_RSRC2:TGID_Z_EN: 0
; COMPUTE_PGM_RSRC2:TIDIG_COMP_CNT: 0
	.section	.text._ZN7rocprim17ROCPRIM_400000_NS6detail17trampoline_kernelINS0_14default_configENS1_27scan_by_key_config_selectorIxxEEZZNS1_16scan_by_key_implILNS1_25lookback_scan_determinismE0ELb0ES3_N6thrust23THRUST_200600_302600_NS6detail15normal_iteratorINS9_10device_ptrIxEEEESE_SE_xNS9_4plusIxEE19head_flag_predicatexEE10hipError_tPvRmT2_T3_T4_T5_mT6_T7_P12ihipStream_tbENKUlT_T0_E_clISt17integral_constantIbLb1EESY_EEDaST_SU_EUlST_E_NS1_11comp_targetILNS1_3genE8ELNS1_11target_archE1030ELNS1_3gpuE2ELNS1_3repE0EEENS1_30default_config_static_selectorELNS0_4arch9wavefront6targetE0EEEvT1_,"axG",@progbits,_ZN7rocprim17ROCPRIM_400000_NS6detail17trampoline_kernelINS0_14default_configENS1_27scan_by_key_config_selectorIxxEEZZNS1_16scan_by_key_implILNS1_25lookback_scan_determinismE0ELb0ES3_N6thrust23THRUST_200600_302600_NS6detail15normal_iteratorINS9_10device_ptrIxEEEESE_SE_xNS9_4plusIxEE19head_flag_predicatexEE10hipError_tPvRmT2_T3_T4_T5_mT6_T7_P12ihipStream_tbENKUlT_T0_E_clISt17integral_constantIbLb1EESY_EEDaST_SU_EUlST_E_NS1_11comp_targetILNS1_3genE8ELNS1_11target_archE1030ELNS1_3gpuE2ELNS1_3repE0EEENS1_30default_config_static_selectorELNS0_4arch9wavefront6targetE0EEEvT1_,comdat
	.protected	_ZN7rocprim17ROCPRIM_400000_NS6detail17trampoline_kernelINS0_14default_configENS1_27scan_by_key_config_selectorIxxEEZZNS1_16scan_by_key_implILNS1_25lookback_scan_determinismE0ELb0ES3_N6thrust23THRUST_200600_302600_NS6detail15normal_iteratorINS9_10device_ptrIxEEEESE_SE_xNS9_4plusIxEE19head_flag_predicatexEE10hipError_tPvRmT2_T3_T4_T5_mT6_T7_P12ihipStream_tbENKUlT_T0_E_clISt17integral_constantIbLb1EESY_EEDaST_SU_EUlST_E_NS1_11comp_targetILNS1_3genE8ELNS1_11target_archE1030ELNS1_3gpuE2ELNS1_3repE0EEENS1_30default_config_static_selectorELNS0_4arch9wavefront6targetE0EEEvT1_ ; -- Begin function _ZN7rocprim17ROCPRIM_400000_NS6detail17trampoline_kernelINS0_14default_configENS1_27scan_by_key_config_selectorIxxEEZZNS1_16scan_by_key_implILNS1_25lookback_scan_determinismE0ELb0ES3_N6thrust23THRUST_200600_302600_NS6detail15normal_iteratorINS9_10device_ptrIxEEEESE_SE_xNS9_4plusIxEE19head_flag_predicatexEE10hipError_tPvRmT2_T3_T4_T5_mT6_T7_P12ihipStream_tbENKUlT_T0_E_clISt17integral_constantIbLb1EESY_EEDaST_SU_EUlST_E_NS1_11comp_targetILNS1_3genE8ELNS1_11target_archE1030ELNS1_3gpuE2ELNS1_3repE0EEENS1_30default_config_static_selectorELNS0_4arch9wavefront6targetE0EEEvT1_
	.globl	_ZN7rocprim17ROCPRIM_400000_NS6detail17trampoline_kernelINS0_14default_configENS1_27scan_by_key_config_selectorIxxEEZZNS1_16scan_by_key_implILNS1_25lookback_scan_determinismE0ELb0ES3_N6thrust23THRUST_200600_302600_NS6detail15normal_iteratorINS9_10device_ptrIxEEEESE_SE_xNS9_4plusIxEE19head_flag_predicatexEE10hipError_tPvRmT2_T3_T4_T5_mT6_T7_P12ihipStream_tbENKUlT_T0_E_clISt17integral_constantIbLb1EESY_EEDaST_SU_EUlST_E_NS1_11comp_targetILNS1_3genE8ELNS1_11target_archE1030ELNS1_3gpuE2ELNS1_3repE0EEENS1_30default_config_static_selectorELNS0_4arch9wavefront6targetE0EEEvT1_
	.p2align	8
	.type	_ZN7rocprim17ROCPRIM_400000_NS6detail17trampoline_kernelINS0_14default_configENS1_27scan_by_key_config_selectorIxxEEZZNS1_16scan_by_key_implILNS1_25lookback_scan_determinismE0ELb0ES3_N6thrust23THRUST_200600_302600_NS6detail15normal_iteratorINS9_10device_ptrIxEEEESE_SE_xNS9_4plusIxEE19head_flag_predicatexEE10hipError_tPvRmT2_T3_T4_T5_mT6_T7_P12ihipStream_tbENKUlT_T0_E_clISt17integral_constantIbLb1EESY_EEDaST_SU_EUlST_E_NS1_11comp_targetILNS1_3genE8ELNS1_11target_archE1030ELNS1_3gpuE2ELNS1_3repE0EEENS1_30default_config_static_selectorELNS0_4arch9wavefront6targetE0EEEvT1_,@function
_ZN7rocprim17ROCPRIM_400000_NS6detail17trampoline_kernelINS0_14default_configENS1_27scan_by_key_config_selectorIxxEEZZNS1_16scan_by_key_implILNS1_25lookback_scan_determinismE0ELb0ES3_N6thrust23THRUST_200600_302600_NS6detail15normal_iteratorINS9_10device_ptrIxEEEESE_SE_xNS9_4plusIxEE19head_flag_predicatexEE10hipError_tPvRmT2_T3_T4_T5_mT6_T7_P12ihipStream_tbENKUlT_T0_E_clISt17integral_constantIbLb1EESY_EEDaST_SU_EUlST_E_NS1_11comp_targetILNS1_3genE8ELNS1_11target_archE1030ELNS1_3gpuE2ELNS1_3repE0EEENS1_30default_config_static_selectorELNS0_4arch9wavefront6targetE0EEEvT1_: ; @_ZN7rocprim17ROCPRIM_400000_NS6detail17trampoline_kernelINS0_14default_configENS1_27scan_by_key_config_selectorIxxEEZZNS1_16scan_by_key_implILNS1_25lookback_scan_determinismE0ELb0ES3_N6thrust23THRUST_200600_302600_NS6detail15normal_iteratorINS9_10device_ptrIxEEEESE_SE_xNS9_4plusIxEE19head_flag_predicatexEE10hipError_tPvRmT2_T3_T4_T5_mT6_T7_P12ihipStream_tbENKUlT_T0_E_clISt17integral_constantIbLb1EESY_EEDaST_SU_EUlST_E_NS1_11comp_targetILNS1_3genE8ELNS1_11target_archE1030ELNS1_3gpuE2ELNS1_3repE0EEENS1_30default_config_static_selectorELNS0_4arch9wavefront6targetE0EEEvT1_
; %bb.0:
	s_endpgm
	.section	.rodata,"a",@progbits
	.p2align	6, 0x0
	.amdhsa_kernel _ZN7rocprim17ROCPRIM_400000_NS6detail17trampoline_kernelINS0_14default_configENS1_27scan_by_key_config_selectorIxxEEZZNS1_16scan_by_key_implILNS1_25lookback_scan_determinismE0ELb0ES3_N6thrust23THRUST_200600_302600_NS6detail15normal_iteratorINS9_10device_ptrIxEEEESE_SE_xNS9_4plusIxEE19head_flag_predicatexEE10hipError_tPvRmT2_T3_T4_T5_mT6_T7_P12ihipStream_tbENKUlT_T0_E_clISt17integral_constantIbLb1EESY_EEDaST_SU_EUlST_E_NS1_11comp_targetILNS1_3genE8ELNS1_11target_archE1030ELNS1_3gpuE2ELNS1_3repE0EEENS1_30default_config_static_selectorELNS0_4arch9wavefront6targetE0EEEvT1_
		.amdhsa_group_segment_fixed_size 0
		.amdhsa_private_segment_fixed_size 0
		.amdhsa_kernarg_size 136
		.amdhsa_user_sgpr_count 6
		.amdhsa_user_sgpr_private_segment_buffer 1
		.amdhsa_user_sgpr_dispatch_ptr 0
		.amdhsa_user_sgpr_queue_ptr 0
		.amdhsa_user_sgpr_kernarg_segment_ptr 1
		.amdhsa_user_sgpr_dispatch_id 0
		.amdhsa_user_sgpr_flat_scratch_init 0
		.amdhsa_user_sgpr_private_segment_size 0
		.amdhsa_wavefront_size32 1
		.amdhsa_uses_dynamic_stack 0
		.amdhsa_system_sgpr_private_segment_wavefront_offset 0
		.amdhsa_system_sgpr_workgroup_id_x 1
		.amdhsa_system_sgpr_workgroup_id_y 0
		.amdhsa_system_sgpr_workgroup_id_z 0
		.amdhsa_system_sgpr_workgroup_info 0
		.amdhsa_system_vgpr_workitem_id 0
		.amdhsa_next_free_vgpr 1
		.amdhsa_next_free_sgpr 1
		.amdhsa_reserve_vcc 0
		.amdhsa_reserve_flat_scratch 0
		.amdhsa_float_round_mode_32 0
		.amdhsa_float_round_mode_16_64 0
		.amdhsa_float_denorm_mode_32 3
		.amdhsa_float_denorm_mode_16_64 3
		.amdhsa_dx10_clamp 1
		.amdhsa_ieee_mode 1
		.amdhsa_fp16_overflow 0
		.amdhsa_workgroup_processor_mode 1
		.amdhsa_memory_ordered 1
		.amdhsa_forward_progress 1
		.amdhsa_shared_vgpr_count 0
		.amdhsa_exception_fp_ieee_invalid_op 0
		.amdhsa_exception_fp_denorm_src 0
		.amdhsa_exception_fp_ieee_div_zero 0
		.amdhsa_exception_fp_ieee_overflow 0
		.amdhsa_exception_fp_ieee_underflow 0
		.amdhsa_exception_fp_ieee_inexact 0
		.amdhsa_exception_int_div_zero 0
	.end_amdhsa_kernel
	.section	.text._ZN7rocprim17ROCPRIM_400000_NS6detail17trampoline_kernelINS0_14default_configENS1_27scan_by_key_config_selectorIxxEEZZNS1_16scan_by_key_implILNS1_25lookback_scan_determinismE0ELb0ES3_N6thrust23THRUST_200600_302600_NS6detail15normal_iteratorINS9_10device_ptrIxEEEESE_SE_xNS9_4plusIxEE19head_flag_predicatexEE10hipError_tPvRmT2_T3_T4_T5_mT6_T7_P12ihipStream_tbENKUlT_T0_E_clISt17integral_constantIbLb1EESY_EEDaST_SU_EUlST_E_NS1_11comp_targetILNS1_3genE8ELNS1_11target_archE1030ELNS1_3gpuE2ELNS1_3repE0EEENS1_30default_config_static_selectorELNS0_4arch9wavefront6targetE0EEEvT1_,"axG",@progbits,_ZN7rocprim17ROCPRIM_400000_NS6detail17trampoline_kernelINS0_14default_configENS1_27scan_by_key_config_selectorIxxEEZZNS1_16scan_by_key_implILNS1_25lookback_scan_determinismE0ELb0ES3_N6thrust23THRUST_200600_302600_NS6detail15normal_iteratorINS9_10device_ptrIxEEEESE_SE_xNS9_4plusIxEE19head_flag_predicatexEE10hipError_tPvRmT2_T3_T4_T5_mT6_T7_P12ihipStream_tbENKUlT_T0_E_clISt17integral_constantIbLb1EESY_EEDaST_SU_EUlST_E_NS1_11comp_targetILNS1_3genE8ELNS1_11target_archE1030ELNS1_3gpuE2ELNS1_3repE0EEENS1_30default_config_static_selectorELNS0_4arch9wavefront6targetE0EEEvT1_,comdat
.Lfunc_end694:
	.size	_ZN7rocprim17ROCPRIM_400000_NS6detail17trampoline_kernelINS0_14default_configENS1_27scan_by_key_config_selectorIxxEEZZNS1_16scan_by_key_implILNS1_25lookback_scan_determinismE0ELb0ES3_N6thrust23THRUST_200600_302600_NS6detail15normal_iteratorINS9_10device_ptrIxEEEESE_SE_xNS9_4plusIxEE19head_flag_predicatexEE10hipError_tPvRmT2_T3_T4_T5_mT6_T7_P12ihipStream_tbENKUlT_T0_E_clISt17integral_constantIbLb1EESY_EEDaST_SU_EUlST_E_NS1_11comp_targetILNS1_3genE8ELNS1_11target_archE1030ELNS1_3gpuE2ELNS1_3repE0EEENS1_30default_config_static_selectorELNS0_4arch9wavefront6targetE0EEEvT1_, .Lfunc_end694-_ZN7rocprim17ROCPRIM_400000_NS6detail17trampoline_kernelINS0_14default_configENS1_27scan_by_key_config_selectorIxxEEZZNS1_16scan_by_key_implILNS1_25lookback_scan_determinismE0ELb0ES3_N6thrust23THRUST_200600_302600_NS6detail15normal_iteratorINS9_10device_ptrIxEEEESE_SE_xNS9_4plusIxEE19head_flag_predicatexEE10hipError_tPvRmT2_T3_T4_T5_mT6_T7_P12ihipStream_tbENKUlT_T0_E_clISt17integral_constantIbLb1EESY_EEDaST_SU_EUlST_E_NS1_11comp_targetILNS1_3genE8ELNS1_11target_archE1030ELNS1_3gpuE2ELNS1_3repE0EEENS1_30default_config_static_selectorELNS0_4arch9wavefront6targetE0EEEvT1_
                                        ; -- End function
	.set _ZN7rocprim17ROCPRIM_400000_NS6detail17trampoline_kernelINS0_14default_configENS1_27scan_by_key_config_selectorIxxEEZZNS1_16scan_by_key_implILNS1_25lookback_scan_determinismE0ELb0ES3_N6thrust23THRUST_200600_302600_NS6detail15normal_iteratorINS9_10device_ptrIxEEEESE_SE_xNS9_4plusIxEE19head_flag_predicatexEE10hipError_tPvRmT2_T3_T4_T5_mT6_T7_P12ihipStream_tbENKUlT_T0_E_clISt17integral_constantIbLb1EESY_EEDaST_SU_EUlST_E_NS1_11comp_targetILNS1_3genE8ELNS1_11target_archE1030ELNS1_3gpuE2ELNS1_3repE0EEENS1_30default_config_static_selectorELNS0_4arch9wavefront6targetE0EEEvT1_.num_vgpr, 0
	.set _ZN7rocprim17ROCPRIM_400000_NS6detail17trampoline_kernelINS0_14default_configENS1_27scan_by_key_config_selectorIxxEEZZNS1_16scan_by_key_implILNS1_25lookback_scan_determinismE0ELb0ES3_N6thrust23THRUST_200600_302600_NS6detail15normal_iteratorINS9_10device_ptrIxEEEESE_SE_xNS9_4plusIxEE19head_flag_predicatexEE10hipError_tPvRmT2_T3_T4_T5_mT6_T7_P12ihipStream_tbENKUlT_T0_E_clISt17integral_constantIbLb1EESY_EEDaST_SU_EUlST_E_NS1_11comp_targetILNS1_3genE8ELNS1_11target_archE1030ELNS1_3gpuE2ELNS1_3repE0EEENS1_30default_config_static_selectorELNS0_4arch9wavefront6targetE0EEEvT1_.num_agpr, 0
	.set _ZN7rocprim17ROCPRIM_400000_NS6detail17trampoline_kernelINS0_14default_configENS1_27scan_by_key_config_selectorIxxEEZZNS1_16scan_by_key_implILNS1_25lookback_scan_determinismE0ELb0ES3_N6thrust23THRUST_200600_302600_NS6detail15normal_iteratorINS9_10device_ptrIxEEEESE_SE_xNS9_4plusIxEE19head_flag_predicatexEE10hipError_tPvRmT2_T3_T4_T5_mT6_T7_P12ihipStream_tbENKUlT_T0_E_clISt17integral_constantIbLb1EESY_EEDaST_SU_EUlST_E_NS1_11comp_targetILNS1_3genE8ELNS1_11target_archE1030ELNS1_3gpuE2ELNS1_3repE0EEENS1_30default_config_static_selectorELNS0_4arch9wavefront6targetE0EEEvT1_.numbered_sgpr, 0
	.set _ZN7rocprim17ROCPRIM_400000_NS6detail17trampoline_kernelINS0_14default_configENS1_27scan_by_key_config_selectorIxxEEZZNS1_16scan_by_key_implILNS1_25lookback_scan_determinismE0ELb0ES3_N6thrust23THRUST_200600_302600_NS6detail15normal_iteratorINS9_10device_ptrIxEEEESE_SE_xNS9_4plusIxEE19head_flag_predicatexEE10hipError_tPvRmT2_T3_T4_T5_mT6_T7_P12ihipStream_tbENKUlT_T0_E_clISt17integral_constantIbLb1EESY_EEDaST_SU_EUlST_E_NS1_11comp_targetILNS1_3genE8ELNS1_11target_archE1030ELNS1_3gpuE2ELNS1_3repE0EEENS1_30default_config_static_selectorELNS0_4arch9wavefront6targetE0EEEvT1_.num_named_barrier, 0
	.set _ZN7rocprim17ROCPRIM_400000_NS6detail17trampoline_kernelINS0_14default_configENS1_27scan_by_key_config_selectorIxxEEZZNS1_16scan_by_key_implILNS1_25lookback_scan_determinismE0ELb0ES3_N6thrust23THRUST_200600_302600_NS6detail15normal_iteratorINS9_10device_ptrIxEEEESE_SE_xNS9_4plusIxEE19head_flag_predicatexEE10hipError_tPvRmT2_T3_T4_T5_mT6_T7_P12ihipStream_tbENKUlT_T0_E_clISt17integral_constantIbLb1EESY_EEDaST_SU_EUlST_E_NS1_11comp_targetILNS1_3genE8ELNS1_11target_archE1030ELNS1_3gpuE2ELNS1_3repE0EEENS1_30default_config_static_selectorELNS0_4arch9wavefront6targetE0EEEvT1_.private_seg_size, 0
	.set _ZN7rocprim17ROCPRIM_400000_NS6detail17trampoline_kernelINS0_14default_configENS1_27scan_by_key_config_selectorIxxEEZZNS1_16scan_by_key_implILNS1_25lookback_scan_determinismE0ELb0ES3_N6thrust23THRUST_200600_302600_NS6detail15normal_iteratorINS9_10device_ptrIxEEEESE_SE_xNS9_4plusIxEE19head_flag_predicatexEE10hipError_tPvRmT2_T3_T4_T5_mT6_T7_P12ihipStream_tbENKUlT_T0_E_clISt17integral_constantIbLb1EESY_EEDaST_SU_EUlST_E_NS1_11comp_targetILNS1_3genE8ELNS1_11target_archE1030ELNS1_3gpuE2ELNS1_3repE0EEENS1_30default_config_static_selectorELNS0_4arch9wavefront6targetE0EEEvT1_.uses_vcc, 0
	.set _ZN7rocprim17ROCPRIM_400000_NS6detail17trampoline_kernelINS0_14default_configENS1_27scan_by_key_config_selectorIxxEEZZNS1_16scan_by_key_implILNS1_25lookback_scan_determinismE0ELb0ES3_N6thrust23THRUST_200600_302600_NS6detail15normal_iteratorINS9_10device_ptrIxEEEESE_SE_xNS9_4plusIxEE19head_flag_predicatexEE10hipError_tPvRmT2_T3_T4_T5_mT6_T7_P12ihipStream_tbENKUlT_T0_E_clISt17integral_constantIbLb1EESY_EEDaST_SU_EUlST_E_NS1_11comp_targetILNS1_3genE8ELNS1_11target_archE1030ELNS1_3gpuE2ELNS1_3repE0EEENS1_30default_config_static_selectorELNS0_4arch9wavefront6targetE0EEEvT1_.uses_flat_scratch, 0
	.set _ZN7rocprim17ROCPRIM_400000_NS6detail17trampoline_kernelINS0_14default_configENS1_27scan_by_key_config_selectorIxxEEZZNS1_16scan_by_key_implILNS1_25lookback_scan_determinismE0ELb0ES3_N6thrust23THRUST_200600_302600_NS6detail15normal_iteratorINS9_10device_ptrIxEEEESE_SE_xNS9_4plusIxEE19head_flag_predicatexEE10hipError_tPvRmT2_T3_T4_T5_mT6_T7_P12ihipStream_tbENKUlT_T0_E_clISt17integral_constantIbLb1EESY_EEDaST_SU_EUlST_E_NS1_11comp_targetILNS1_3genE8ELNS1_11target_archE1030ELNS1_3gpuE2ELNS1_3repE0EEENS1_30default_config_static_selectorELNS0_4arch9wavefront6targetE0EEEvT1_.has_dyn_sized_stack, 0
	.set _ZN7rocprim17ROCPRIM_400000_NS6detail17trampoline_kernelINS0_14default_configENS1_27scan_by_key_config_selectorIxxEEZZNS1_16scan_by_key_implILNS1_25lookback_scan_determinismE0ELb0ES3_N6thrust23THRUST_200600_302600_NS6detail15normal_iteratorINS9_10device_ptrIxEEEESE_SE_xNS9_4plusIxEE19head_flag_predicatexEE10hipError_tPvRmT2_T3_T4_T5_mT6_T7_P12ihipStream_tbENKUlT_T0_E_clISt17integral_constantIbLb1EESY_EEDaST_SU_EUlST_E_NS1_11comp_targetILNS1_3genE8ELNS1_11target_archE1030ELNS1_3gpuE2ELNS1_3repE0EEENS1_30default_config_static_selectorELNS0_4arch9wavefront6targetE0EEEvT1_.has_recursion, 0
	.set _ZN7rocprim17ROCPRIM_400000_NS6detail17trampoline_kernelINS0_14default_configENS1_27scan_by_key_config_selectorIxxEEZZNS1_16scan_by_key_implILNS1_25lookback_scan_determinismE0ELb0ES3_N6thrust23THRUST_200600_302600_NS6detail15normal_iteratorINS9_10device_ptrIxEEEESE_SE_xNS9_4plusIxEE19head_flag_predicatexEE10hipError_tPvRmT2_T3_T4_T5_mT6_T7_P12ihipStream_tbENKUlT_T0_E_clISt17integral_constantIbLb1EESY_EEDaST_SU_EUlST_E_NS1_11comp_targetILNS1_3genE8ELNS1_11target_archE1030ELNS1_3gpuE2ELNS1_3repE0EEENS1_30default_config_static_selectorELNS0_4arch9wavefront6targetE0EEEvT1_.has_indirect_call, 0
	.section	.AMDGPU.csdata,"",@progbits
; Kernel info:
; codeLenInByte = 4
; TotalNumSgprs: 0
; NumVgprs: 0
; ScratchSize: 0
; MemoryBound: 0
; FloatMode: 240
; IeeeMode: 1
; LDSByteSize: 0 bytes/workgroup (compile time only)
; SGPRBlocks: 0
; VGPRBlocks: 0
; NumSGPRsForWavesPerEU: 1
; NumVGPRsForWavesPerEU: 1
; Occupancy: 16
; WaveLimiterHint : 0
; COMPUTE_PGM_RSRC2:SCRATCH_EN: 0
; COMPUTE_PGM_RSRC2:USER_SGPR: 6
; COMPUTE_PGM_RSRC2:TRAP_HANDLER: 0
; COMPUTE_PGM_RSRC2:TGID_X_EN: 1
; COMPUTE_PGM_RSRC2:TGID_Y_EN: 0
; COMPUTE_PGM_RSRC2:TGID_Z_EN: 0
; COMPUTE_PGM_RSRC2:TIDIG_COMP_CNT: 0
	.section	.text._ZN7rocprim17ROCPRIM_400000_NS6detail17trampoline_kernelINS0_14default_configENS1_27scan_by_key_config_selectorIxxEEZZNS1_16scan_by_key_implILNS1_25lookback_scan_determinismE0ELb0ES3_N6thrust23THRUST_200600_302600_NS6detail15normal_iteratorINS9_10device_ptrIxEEEESE_SE_xNS9_4plusIxEE19head_flag_predicatexEE10hipError_tPvRmT2_T3_T4_T5_mT6_T7_P12ihipStream_tbENKUlT_T0_E_clISt17integral_constantIbLb1EESX_IbLb0EEEEDaST_SU_EUlST_E_NS1_11comp_targetILNS1_3genE0ELNS1_11target_archE4294967295ELNS1_3gpuE0ELNS1_3repE0EEENS1_30default_config_static_selectorELNS0_4arch9wavefront6targetE0EEEvT1_,"axG",@progbits,_ZN7rocprim17ROCPRIM_400000_NS6detail17trampoline_kernelINS0_14default_configENS1_27scan_by_key_config_selectorIxxEEZZNS1_16scan_by_key_implILNS1_25lookback_scan_determinismE0ELb0ES3_N6thrust23THRUST_200600_302600_NS6detail15normal_iteratorINS9_10device_ptrIxEEEESE_SE_xNS9_4plusIxEE19head_flag_predicatexEE10hipError_tPvRmT2_T3_T4_T5_mT6_T7_P12ihipStream_tbENKUlT_T0_E_clISt17integral_constantIbLb1EESX_IbLb0EEEEDaST_SU_EUlST_E_NS1_11comp_targetILNS1_3genE0ELNS1_11target_archE4294967295ELNS1_3gpuE0ELNS1_3repE0EEENS1_30default_config_static_selectorELNS0_4arch9wavefront6targetE0EEEvT1_,comdat
	.protected	_ZN7rocprim17ROCPRIM_400000_NS6detail17trampoline_kernelINS0_14default_configENS1_27scan_by_key_config_selectorIxxEEZZNS1_16scan_by_key_implILNS1_25lookback_scan_determinismE0ELb0ES3_N6thrust23THRUST_200600_302600_NS6detail15normal_iteratorINS9_10device_ptrIxEEEESE_SE_xNS9_4plusIxEE19head_flag_predicatexEE10hipError_tPvRmT2_T3_T4_T5_mT6_T7_P12ihipStream_tbENKUlT_T0_E_clISt17integral_constantIbLb1EESX_IbLb0EEEEDaST_SU_EUlST_E_NS1_11comp_targetILNS1_3genE0ELNS1_11target_archE4294967295ELNS1_3gpuE0ELNS1_3repE0EEENS1_30default_config_static_selectorELNS0_4arch9wavefront6targetE0EEEvT1_ ; -- Begin function _ZN7rocprim17ROCPRIM_400000_NS6detail17trampoline_kernelINS0_14default_configENS1_27scan_by_key_config_selectorIxxEEZZNS1_16scan_by_key_implILNS1_25lookback_scan_determinismE0ELb0ES3_N6thrust23THRUST_200600_302600_NS6detail15normal_iteratorINS9_10device_ptrIxEEEESE_SE_xNS9_4plusIxEE19head_flag_predicatexEE10hipError_tPvRmT2_T3_T4_T5_mT6_T7_P12ihipStream_tbENKUlT_T0_E_clISt17integral_constantIbLb1EESX_IbLb0EEEEDaST_SU_EUlST_E_NS1_11comp_targetILNS1_3genE0ELNS1_11target_archE4294967295ELNS1_3gpuE0ELNS1_3repE0EEENS1_30default_config_static_selectorELNS0_4arch9wavefront6targetE0EEEvT1_
	.globl	_ZN7rocprim17ROCPRIM_400000_NS6detail17trampoline_kernelINS0_14default_configENS1_27scan_by_key_config_selectorIxxEEZZNS1_16scan_by_key_implILNS1_25lookback_scan_determinismE0ELb0ES3_N6thrust23THRUST_200600_302600_NS6detail15normal_iteratorINS9_10device_ptrIxEEEESE_SE_xNS9_4plusIxEE19head_flag_predicatexEE10hipError_tPvRmT2_T3_T4_T5_mT6_T7_P12ihipStream_tbENKUlT_T0_E_clISt17integral_constantIbLb1EESX_IbLb0EEEEDaST_SU_EUlST_E_NS1_11comp_targetILNS1_3genE0ELNS1_11target_archE4294967295ELNS1_3gpuE0ELNS1_3repE0EEENS1_30default_config_static_selectorELNS0_4arch9wavefront6targetE0EEEvT1_
	.p2align	8
	.type	_ZN7rocprim17ROCPRIM_400000_NS6detail17trampoline_kernelINS0_14default_configENS1_27scan_by_key_config_selectorIxxEEZZNS1_16scan_by_key_implILNS1_25lookback_scan_determinismE0ELb0ES3_N6thrust23THRUST_200600_302600_NS6detail15normal_iteratorINS9_10device_ptrIxEEEESE_SE_xNS9_4plusIxEE19head_flag_predicatexEE10hipError_tPvRmT2_T3_T4_T5_mT6_T7_P12ihipStream_tbENKUlT_T0_E_clISt17integral_constantIbLb1EESX_IbLb0EEEEDaST_SU_EUlST_E_NS1_11comp_targetILNS1_3genE0ELNS1_11target_archE4294967295ELNS1_3gpuE0ELNS1_3repE0EEENS1_30default_config_static_selectorELNS0_4arch9wavefront6targetE0EEEvT1_,@function
_ZN7rocprim17ROCPRIM_400000_NS6detail17trampoline_kernelINS0_14default_configENS1_27scan_by_key_config_selectorIxxEEZZNS1_16scan_by_key_implILNS1_25lookback_scan_determinismE0ELb0ES3_N6thrust23THRUST_200600_302600_NS6detail15normal_iteratorINS9_10device_ptrIxEEEESE_SE_xNS9_4plusIxEE19head_flag_predicatexEE10hipError_tPvRmT2_T3_T4_T5_mT6_T7_P12ihipStream_tbENKUlT_T0_E_clISt17integral_constantIbLb1EESX_IbLb0EEEEDaST_SU_EUlST_E_NS1_11comp_targetILNS1_3genE0ELNS1_11target_archE4294967295ELNS1_3gpuE0ELNS1_3repE0EEENS1_30default_config_static_selectorELNS0_4arch9wavefront6targetE0EEEvT1_: ; @_ZN7rocprim17ROCPRIM_400000_NS6detail17trampoline_kernelINS0_14default_configENS1_27scan_by_key_config_selectorIxxEEZZNS1_16scan_by_key_implILNS1_25lookback_scan_determinismE0ELb0ES3_N6thrust23THRUST_200600_302600_NS6detail15normal_iteratorINS9_10device_ptrIxEEEESE_SE_xNS9_4plusIxEE19head_flag_predicatexEE10hipError_tPvRmT2_T3_T4_T5_mT6_T7_P12ihipStream_tbENKUlT_T0_E_clISt17integral_constantIbLb1EESX_IbLb0EEEEDaST_SU_EUlST_E_NS1_11comp_targetILNS1_3genE0ELNS1_11target_archE4294967295ELNS1_3gpuE0ELNS1_3repE0EEENS1_30default_config_static_selectorELNS0_4arch9wavefront6targetE0EEEvT1_
; %bb.0:
	.section	.rodata,"a",@progbits
	.p2align	6, 0x0
	.amdhsa_kernel _ZN7rocprim17ROCPRIM_400000_NS6detail17trampoline_kernelINS0_14default_configENS1_27scan_by_key_config_selectorIxxEEZZNS1_16scan_by_key_implILNS1_25lookback_scan_determinismE0ELb0ES3_N6thrust23THRUST_200600_302600_NS6detail15normal_iteratorINS9_10device_ptrIxEEEESE_SE_xNS9_4plusIxEE19head_flag_predicatexEE10hipError_tPvRmT2_T3_T4_T5_mT6_T7_P12ihipStream_tbENKUlT_T0_E_clISt17integral_constantIbLb1EESX_IbLb0EEEEDaST_SU_EUlST_E_NS1_11comp_targetILNS1_3genE0ELNS1_11target_archE4294967295ELNS1_3gpuE0ELNS1_3repE0EEENS1_30default_config_static_selectorELNS0_4arch9wavefront6targetE0EEEvT1_
		.amdhsa_group_segment_fixed_size 0
		.amdhsa_private_segment_fixed_size 0
		.amdhsa_kernarg_size 136
		.amdhsa_user_sgpr_count 6
		.amdhsa_user_sgpr_private_segment_buffer 1
		.amdhsa_user_sgpr_dispatch_ptr 0
		.amdhsa_user_sgpr_queue_ptr 0
		.amdhsa_user_sgpr_kernarg_segment_ptr 1
		.amdhsa_user_sgpr_dispatch_id 0
		.amdhsa_user_sgpr_flat_scratch_init 0
		.amdhsa_user_sgpr_private_segment_size 0
		.amdhsa_wavefront_size32 1
		.amdhsa_uses_dynamic_stack 0
		.amdhsa_system_sgpr_private_segment_wavefront_offset 0
		.amdhsa_system_sgpr_workgroup_id_x 1
		.amdhsa_system_sgpr_workgroup_id_y 0
		.amdhsa_system_sgpr_workgroup_id_z 0
		.amdhsa_system_sgpr_workgroup_info 0
		.amdhsa_system_vgpr_workitem_id 0
		.amdhsa_next_free_vgpr 1
		.amdhsa_next_free_sgpr 1
		.amdhsa_reserve_vcc 0
		.amdhsa_reserve_flat_scratch 0
		.amdhsa_float_round_mode_32 0
		.amdhsa_float_round_mode_16_64 0
		.amdhsa_float_denorm_mode_32 3
		.amdhsa_float_denorm_mode_16_64 3
		.amdhsa_dx10_clamp 1
		.amdhsa_ieee_mode 1
		.amdhsa_fp16_overflow 0
		.amdhsa_workgroup_processor_mode 1
		.amdhsa_memory_ordered 1
		.amdhsa_forward_progress 1
		.amdhsa_shared_vgpr_count 0
		.amdhsa_exception_fp_ieee_invalid_op 0
		.amdhsa_exception_fp_denorm_src 0
		.amdhsa_exception_fp_ieee_div_zero 0
		.amdhsa_exception_fp_ieee_overflow 0
		.amdhsa_exception_fp_ieee_underflow 0
		.amdhsa_exception_fp_ieee_inexact 0
		.amdhsa_exception_int_div_zero 0
	.end_amdhsa_kernel
	.section	.text._ZN7rocprim17ROCPRIM_400000_NS6detail17trampoline_kernelINS0_14default_configENS1_27scan_by_key_config_selectorIxxEEZZNS1_16scan_by_key_implILNS1_25lookback_scan_determinismE0ELb0ES3_N6thrust23THRUST_200600_302600_NS6detail15normal_iteratorINS9_10device_ptrIxEEEESE_SE_xNS9_4plusIxEE19head_flag_predicatexEE10hipError_tPvRmT2_T3_T4_T5_mT6_T7_P12ihipStream_tbENKUlT_T0_E_clISt17integral_constantIbLb1EESX_IbLb0EEEEDaST_SU_EUlST_E_NS1_11comp_targetILNS1_3genE0ELNS1_11target_archE4294967295ELNS1_3gpuE0ELNS1_3repE0EEENS1_30default_config_static_selectorELNS0_4arch9wavefront6targetE0EEEvT1_,"axG",@progbits,_ZN7rocprim17ROCPRIM_400000_NS6detail17trampoline_kernelINS0_14default_configENS1_27scan_by_key_config_selectorIxxEEZZNS1_16scan_by_key_implILNS1_25lookback_scan_determinismE0ELb0ES3_N6thrust23THRUST_200600_302600_NS6detail15normal_iteratorINS9_10device_ptrIxEEEESE_SE_xNS9_4plusIxEE19head_flag_predicatexEE10hipError_tPvRmT2_T3_T4_T5_mT6_T7_P12ihipStream_tbENKUlT_T0_E_clISt17integral_constantIbLb1EESX_IbLb0EEEEDaST_SU_EUlST_E_NS1_11comp_targetILNS1_3genE0ELNS1_11target_archE4294967295ELNS1_3gpuE0ELNS1_3repE0EEENS1_30default_config_static_selectorELNS0_4arch9wavefront6targetE0EEEvT1_,comdat
.Lfunc_end695:
	.size	_ZN7rocprim17ROCPRIM_400000_NS6detail17trampoline_kernelINS0_14default_configENS1_27scan_by_key_config_selectorIxxEEZZNS1_16scan_by_key_implILNS1_25lookback_scan_determinismE0ELb0ES3_N6thrust23THRUST_200600_302600_NS6detail15normal_iteratorINS9_10device_ptrIxEEEESE_SE_xNS9_4plusIxEE19head_flag_predicatexEE10hipError_tPvRmT2_T3_T4_T5_mT6_T7_P12ihipStream_tbENKUlT_T0_E_clISt17integral_constantIbLb1EESX_IbLb0EEEEDaST_SU_EUlST_E_NS1_11comp_targetILNS1_3genE0ELNS1_11target_archE4294967295ELNS1_3gpuE0ELNS1_3repE0EEENS1_30default_config_static_selectorELNS0_4arch9wavefront6targetE0EEEvT1_, .Lfunc_end695-_ZN7rocprim17ROCPRIM_400000_NS6detail17trampoline_kernelINS0_14default_configENS1_27scan_by_key_config_selectorIxxEEZZNS1_16scan_by_key_implILNS1_25lookback_scan_determinismE0ELb0ES3_N6thrust23THRUST_200600_302600_NS6detail15normal_iteratorINS9_10device_ptrIxEEEESE_SE_xNS9_4plusIxEE19head_flag_predicatexEE10hipError_tPvRmT2_T3_T4_T5_mT6_T7_P12ihipStream_tbENKUlT_T0_E_clISt17integral_constantIbLb1EESX_IbLb0EEEEDaST_SU_EUlST_E_NS1_11comp_targetILNS1_3genE0ELNS1_11target_archE4294967295ELNS1_3gpuE0ELNS1_3repE0EEENS1_30default_config_static_selectorELNS0_4arch9wavefront6targetE0EEEvT1_
                                        ; -- End function
	.set _ZN7rocprim17ROCPRIM_400000_NS6detail17trampoline_kernelINS0_14default_configENS1_27scan_by_key_config_selectorIxxEEZZNS1_16scan_by_key_implILNS1_25lookback_scan_determinismE0ELb0ES3_N6thrust23THRUST_200600_302600_NS6detail15normal_iteratorINS9_10device_ptrIxEEEESE_SE_xNS9_4plusIxEE19head_flag_predicatexEE10hipError_tPvRmT2_T3_T4_T5_mT6_T7_P12ihipStream_tbENKUlT_T0_E_clISt17integral_constantIbLb1EESX_IbLb0EEEEDaST_SU_EUlST_E_NS1_11comp_targetILNS1_3genE0ELNS1_11target_archE4294967295ELNS1_3gpuE0ELNS1_3repE0EEENS1_30default_config_static_selectorELNS0_4arch9wavefront6targetE0EEEvT1_.num_vgpr, 0
	.set _ZN7rocprim17ROCPRIM_400000_NS6detail17trampoline_kernelINS0_14default_configENS1_27scan_by_key_config_selectorIxxEEZZNS1_16scan_by_key_implILNS1_25lookback_scan_determinismE0ELb0ES3_N6thrust23THRUST_200600_302600_NS6detail15normal_iteratorINS9_10device_ptrIxEEEESE_SE_xNS9_4plusIxEE19head_flag_predicatexEE10hipError_tPvRmT2_T3_T4_T5_mT6_T7_P12ihipStream_tbENKUlT_T0_E_clISt17integral_constantIbLb1EESX_IbLb0EEEEDaST_SU_EUlST_E_NS1_11comp_targetILNS1_3genE0ELNS1_11target_archE4294967295ELNS1_3gpuE0ELNS1_3repE0EEENS1_30default_config_static_selectorELNS0_4arch9wavefront6targetE0EEEvT1_.num_agpr, 0
	.set _ZN7rocprim17ROCPRIM_400000_NS6detail17trampoline_kernelINS0_14default_configENS1_27scan_by_key_config_selectorIxxEEZZNS1_16scan_by_key_implILNS1_25lookback_scan_determinismE0ELb0ES3_N6thrust23THRUST_200600_302600_NS6detail15normal_iteratorINS9_10device_ptrIxEEEESE_SE_xNS9_4plusIxEE19head_flag_predicatexEE10hipError_tPvRmT2_T3_T4_T5_mT6_T7_P12ihipStream_tbENKUlT_T0_E_clISt17integral_constantIbLb1EESX_IbLb0EEEEDaST_SU_EUlST_E_NS1_11comp_targetILNS1_3genE0ELNS1_11target_archE4294967295ELNS1_3gpuE0ELNS1_3repE0EEENS1_30default_config_static_selectorELNS0_4arch9wavefront6targetE0EEEvT1_.numbered_sgpr, 0
	.set _ZN7rocprim17ROCPRIM_400000_NS6detail17trampoline_kernelINS0_14default_configENS1_27scan_by_key_config_selectorIxxEEZZNS1_16scan_by_key_implILNS1_25lookback_scan_determinismE0ELb0ES3_N6thrust23THRUST_200600_302600_NS6detail15normal_iteratorINS9_10device_ptrIxEEEESE_SE_xNS9_4plusIxEE19head_flag_predicatexEE10hipError_tPvRmT2_T3_T4_T5_mT6_T7_P12ihipStream_tbENKUlT_T0_E_clISt17integral_constantIbLb1EESX_IbLb0EEEEDaST_SU_EUlST_E_NS1_11comp_targetILNS1_3genE0ELNS1_11target_archE4294967295ELNS1_3gpuE0ELNS1_3repE0EEENS1_30default_config_static_selectorELNS0_4arch9wavefront6targetE0EEEvT1_.num_named_barrier, 0
	.set _ZN7rocprim17ROCPRIM_400000_NS6detail17trampoline_kernelINS0_14default_configENS1_27scan_by_key_config_selectorIxxEEZZNS1_16scan_by_key_implILNS1_25lookback_scan_determinismE0ELb0ES3_N6thrust23THRUST_200600_302600_NS6detail15normal_iteratorINS9_10device_ptrIxEEEESE_SE_xNS9_4plusIxEE19head_flag_predicatexEE10hipError_tPvRmT2_T3_T4_T5_mT6_T7_P12ihipStream_tbENKUlT_T0_E_clISt17integral_constantIbLb1EESX_IbLb0EEEEDaST_SU_EUlST_E_NS1_11comp_targetILNS1_3genE0ELNS1_11target_archE4294967295ELNS1_3gpuE0ELNS1_3repE0EEENS1_30default_config_static_selectorELNS0_4arch9wavefront6targetE0EEEvT1_.private_seg_size, 0
	.set _ZN7rocprim17ROCPRIM_400000_NS6detail17trampoline_kernelINS0_14default_configENS1_27scan_by_key_config_selectorIxxEEZZNS1_16scan_by_key_implILNS1_25lookback_scan_determinismE0ELb0ES3_N6thrust23THRUST_200600_302600_NS6detail15normal_iteratorINS9_10device_ptrIxEEEESE_SE_xNS9_4plusIxEE19head_flag_predicatexEE10hipError_tPvRmT2_T3_T4_T5_mT6_T7_P12ihipStream_tbENKUlT_T0_E_clISt17integral_constantIbLb1EESX_IbLb0EEEEDaST_SU_EUlST_E_NS1_11comp_targetILNS1_3genE0ELNS1_11target_archE4294967295ELNS1_3gpuE0ELNS1_3repE0EEENS1_30default_config_static_selectorELNS0_4arch9wavefront6targetE0EEEvT1_.uses_vcc, 0
	.set _ZN7rocprim17ROCPRIM_400000_NS6detail17trampoline_kernelINS0_14default_configENS1_27scan_by_key_config_selectorIxxEEZZNS1_16scan_by_key_implILNS1_25lookback_scan_determinismE0ELb0ES3_N6thrust23THRUST_200600_302600_NS6detail15normal_iteratorINS9_10device_ptrIxEEEESE_SE_xNS9_4plusIxEE19head_flag_predicatexEE10hipError_tPvRmT2_T3_T4_T5_mT6_T7_P12ihipStream_tbENKUlT_T0_E_clISt17integral_constantIbLb1EESX_IbLb0EEEEDaST_SU_EUlST_E_NS1_11comp_targetILNS1_3genE0ELNS1_11target_archE4294967295ELNS1_3gpuE0ELNS1_3repE0EEENS1_30default_config_static_selectorELNS0_4arch9wavefront6targetE0EEEvT1_.uses_flat_scratch, 0
	.set _ZN7rocprim17ROCPRIM_400000_NS6detail17trampoline_kernelINS0_14default_configENS1_27scan_by_key_config_selectorIxxEEZZNS1_16scan_by_key_implILNS1_25lookback_scan_determinismE0ELb0ES3_N6thrust23THRUST_200600_302600_NS6detail15normal_iteratorINS9_10device_ptrIxEEEESE_SE_xNS9_4plusIxEE19head_flag_predicatexEE10hipError_tPvRmT2_T3_T4_T5_mT6_T7_P12ihipStream_tbENKUlT_T0_E_clISt17integral_constantIbLb1EESX_IbLb0EEEEDaST_SU_EUlST_E_NS1_11comp_targetILNS1_3genE0ELNS1_11target_archE4294967295ELNS1_3gpuE0ELNS1_3repE0EEENS1_30default_config_static_selectorELNS0_4arch9wavefront6targetE0EEEvT1_.has_dyn_sized_stack, 0
	.set _ZN7rocprim17ROCPRIM_400000_NS6detail17trampoline_kernelINS0_14default_configENS1_27scan_by_key_config_selectorIxxEEZZNS1_16scan_by_key_implILNS1_25lookback_scan_determinismE0ELb0ES3_N6thrust23THRUST_200600_302600_NS6detail15normal_iteratorINS9_10device_ptrIxEEEESE_SE_xNS9_4plusIxEE19head_flag_predicatexEE10hipError_tPvRmT2_T3_T4_T5_mT6_T7_P12ihipStream_tbENKUlT_T0_E_clISt17integral_constantIbLb1EESX_IbLb0EEEEDaST_SU_EUlST_E_NS1_11comp_targetILNS1_3genE0ELNS1_11target_archE4294967295ELNS1_3gpuE0ELNS1_3repE0EEENS1_30default_config_static_selectorELNS0_4arch9wavefront6targetE0EEEvT1_.has_recursion, 0
	.set _ZN7rocprim17ROCPRIM_400000_NS6detail17trampoline_kernelINS0_14default_configENS1_27scan_by_key_config_selectorIxxEEZZNS1_16scan_by_key_implILNS1_25lookback_scan_determinismE0ELb0ES3_N6thrust23THRUST_200600_302600_NS6detail15normal_iteratorINS9_10device_ptrIxEEEESE_SE_xNS9_4plusIxEE19head_flag_predicatexEE10hipError_tPvRmT2_T3_T4_T5_mT6_T7_P12ihipStream_tbENKUlT_T0_E_clISt17integral_constantIbLb1EESX_IbLb0EEEEDaST_SU_EUlST_E_NS1_11comp_targetILNS1_3genE0ELNS1_11target_archE4294967295ELNS1_3gpuE0ELNS1_3repE0EEENS1_30default_config_static_selectorELNS0_4arch9wavefront6targetE0EEEvT1_.has_indirect_call, 0
	.section	.AMDGPU.csdata,"",@progbits
; Kernel info:
; codeLenInByte = 0
; TotalNumSgprs: 0
; NumVgprs: 0
; ScratchSize: 0
; MemoryBound: 0
; FloatMode: 240
; IeeeMode: 1
; LDSByteSize: 0 bytes/workgroup (compile time only)
; SGPRBlocks: 0
; VGPRBlocks: 0
; NumSGPRsForWavesPerEU: 1
; NumVGPRsForWavesPerEU: 1
; Occupancy: 16
; WaveLimiterHint : 0
; COMPUTE_PGM_RSRC2:SCRATCH_EN: 0
; COMPUTE_PGM_RSRC2:USER_SGPR: 6
; COMPUTE_PGM_RSRC2:TRAP_HANDLER: 0
; COMPUTE_PGM_RSRC2:TGID_X_EN: 1
; COMPUTE_PGM_RSRC2:TGID_Y_EN: 0
; COMPUTE_PGM_RSRC2:TGID_Z_EN: 0
; COMPUTE_PGM_RSRC2:TIDIG_COMP_CNT: 0
	.section	.text._ZN7rocprim17ROCPRIM_400000_NS6detail17trampoline_kernelINS0_14default_configENS1_27scan_by_key_config_selectorIxxEEZZNS1_16scan_by_key_implILNS1_25lookback_scan_determinismE0ELb0ES3_N6thrust23THRUST_200600_302600_NS6detail15normal_iteratorINS9_10device_ptrIxEEEESE_SE_xNS9_4plusIxEE19head_flag_predicatexEE10hipError_tPvRmT2_T3_T4_T5_mT6_T7_P12ihipStream_tbENKUlT_T0_E_clISt17integral_constantIbLb1EESX_IbLb0EEEEDaST_SU_EUlST_E_NS1_11comp_targetILNS1_3genE10ELNS1_11target_archE1201ELNS1_3gpuE5ELNS1_3repE0EEENS1_30default_config_static_selectorELNS0_4arch9wavefront6targetE0EEEvT1_,"axG",@progbits,_ZN7rocprim17ROCPRIM_400000_NS6detail17trampoline_kernelINS0_14default_configENS1_27scan_by_key_config_selectorIxxEEZZNS1_16scan_by_key_implILNS1_25lookback_scan_determinismE0ELb0ES3_N6thrust23THRUST_200600_302600_NS6detail15normal_iteratorINS9_10device_ptrIxEEEESE_SE_xNS9_4plusIxEE19head_flag_predicatexEE10hipError_tPvRmT2_T3_T4_T5_mT6_T7_P12ihipStream_tbENKUlT_T0_E_clISt17integral_constantIbLb1EESX_IbLb0EEEEDaST_SU_EUlST_E_NS1_11comp_targetILNS1_3genE10ELNS1_11target_archE1201ELNS1_3gpuE5ELNS1_3repE0EEENS1_30default_config_static_selectorELNS0_4arch9wavefront6targetE0EEEvT1_,comdat
	.protected	_ZN7rocprim17ROCPRIM_400000_NS6detail17trampoline_kernelINS0_14default_configENS1_27scan_by_key_config_selectorIxxEEZZNS1_16scan_by_key_implILNS1_25lookback_scan_determinismE0ELb0ES3_N6thrust23THRUST_200600_302600_NS6detail15normal_iteratorINS9_10device_ptrIxEEEESE_SE_xNS9_4plusIxEE19head_flag_predicatexEE10hipError_tPvRmT2_T3_T4_T5_mT6_T7_P12ihipStream_tbENKUlT_T0_E_clISt17integral_constantIbLb1EESX_IbLb0EEEEDaST_SU_EUlST_E_NS1_11comp_targetILNS1_3genE10ELNS1_11target_archE1201ELNS1_3gpuE5ELNS1_3repE0EEENS1_30default_config_static_selectorELNS0_4arch9wavefront6targetE0EEEvT1_ ; -- Begin function _ZN7rocprim17ROCPRIM_400000_NS6detail17trampoline_kernelINS0_14default_configENS1_27scan_by_key_config_selectorIxxEEZZNS1_16scan_by_key_implILNS1_25lookback_scan_determinismE0ELb0ES3_N6thrust23THRUST_200600_302600_NS6detail15normal_iteratorINS9_10device_ptrIxEEEESE_SE_xNS9_4plusIxEE19head_flag_predicatexEE10hipError_tPvRmT2_T3_T4_T5_mT6_T7_P12ihipStream_tbENKUlT_T0_E_clISt17integral_constantIbLb1EESX_IbLb0EEEEDaST_SU_EUlST_E_NS1_11comp_targetILNS1_3genE10ELNS1_11target_archE1201ELNS1_3gpuE5ELNS1_3repE0EEENS1_30default_config_static_selectorELNS0_4arch9wavefront6targetE0EEEvT1_
	.globl	_ZN7rocprim17ROCPRIM_400000_NS6detail17trampoline_kernelINS0_14default_configENS1_27scan_by_key_config_selectorIxxEEZZNS1_16scan_by_key_implILNS1_25lookback_scan_determinismE0ELb0ES3_N6thrust23THRUST_200600_302600_NS6detail15normal_iteratorINS9_10device_ptrIxEEEESE_SE_xNS9_4plusIxEE19head_flag_predicatexEE10hipError_tPvRmT2_T3_T4_T5_mT6_T7_P12ihipStream_tbENKUlT_T0_E_clISt17integral_constantIbLb1EESX_IbLb0EEEEDaST_SU_EUlST_E_NS1_11comp_targetILNS1_3genE10ELNS1_11target_archE1201ELNS1_3gpuE5ELNS1_3repE0EEENS1_30default_config_static_selectorELNS0_4arch9wavefront6targetE0EEEvT1_
	.p2align	8
	.type	_ZN7rocprim17ROCPRIM_400000_NS6detail17trampoline_kernelINS0_14default_configENS1_27scan_by_key_config_selectorIxxEEZZNS1_16scan_by_key_implILNS1_25lookback_scan_determinismE0ELb0ES3_N6thrust23THRUST_200600_302600_NS6detail15normal_iteratorINS9_10device_ptrIxEEEESE_SE_xNS9_4plusIxEE19head_flag_predicatexEE10hipError_tPvRmT2_T3_T4_T5_mT6_T7_P12ihipStream_tbENKUlT_T0_E_clISt17integral_constantIbLb1EESX_IbLb0EEEEDaST_SU_EUlST_E_NS1_11comp_targetILNS1_3genE10ELNS1_11target_archE1201ELNS1_3gpuE5ELNS1_3repE0EEENS1_30default_config_static_selectorELNS0_4arch9wavefront6targetE0EEEvT1_,@function
_ZN7rocprim17ROCPRIM_400000_NS6detail17trampoline_kernelINS0_14default_configENS1_27scan_by_key_config_selectorIxxEEZZNS1_16scan_by_key_implILNS1_25lookback_scan_determinismE0ELb0ES3_N6thrust23THRUST_200600_302600_NS6detail15normal_iteratorINS9_10device_ptrIxEEEESE_SE_xNS9_4plusIxEE19head_flag_predicatexEE10hipError_tPvRmT2_T3_T4_T5_mT6_T7_P12ihipStream_tbENKUlT_T0_E_clISt17integral_constantIbLb1EESX_IbLb0EEEEDaST_SU_EUlST_E_NS1_11comp_targetILNS1_3genE10ELNS1_11target_archE1201ELNS1_3gpuE5ELNS1_3repE0EEENS1_30default_config_static_selectorELNS0_4arch9wavefront6targetE0EEEvT1_: ; @_ZN7rocprim17ROCPRIM_400000_NS6detail17trampoline_kernelINS0_14default_configENS1_27scan_by_key_config_selectorIxxEEZZNS1_16scan_by_key_implILNS1_25lookback_scan_determinismE0ELb0ES3_N6thrust23THRUST_200600_302600_NS6detail15normal_iteratorINS9_10device_ptrIxEEEESE_SE_xNS9_4plusIxEE19head_flag_predicatexEE10hipError_tPvRmT2_T3_T4_T5_mT6_T7_P12ihipStream_tbENKUlT_T0_E_clISt17integral_constantIbLb1EESX_IbLb0EEEEDaST_SU_EUlST_E_NS1_11comp_targetILNS1_3genE10ELNS1_11target_archE1201ELNS1_3gpuE5ELNS1_3repE0EEENS1_30default_config_static_selectorELNS0_4arch9wavefront6targetE0EEEvT1_
; %bb.0:
	.section	.rodata,"a",@progbits
	.p2align	6, 0x0
	.amdhsa_kernel _ZN7rocprim17ROCPRIM_400000_NS6detail17trampoline_kernelINS0_14default_configENS1_27scan_by_key_config_selectorIxxEEZZNS1_16scan_by_key_implILNS1_25lookback_scan_determinismE0ELb0ES3_N6thrust23THRUST_200600_302600_NS6detail15normal_iteratorINS9_10device_ptrIxEEEESE_SE_xNS9_4plusIxEE19head_flag_predicatexEE10hipError_tPvRmT2_T3_T4_T5_mT6_T7_P12ihipStream_tbENKUlT_T0_E_clISt17integral_constantIbLb1EESX_IbLb0EEEEDaST_SU_EUlST_E_NS1_11comp_targetILNS1_3genE10ELNS1_11target_archE1201ELNS1_3gpuE5ELNS1_3repE0EEENS1_30default_config_static_selectorELNS0_4arch9wavefront6targetE0EEEvT1_
		.amdhsa_group_segment_fixed_size 0
		.amdhsa_private_segment_fixed_size 0
		.amdhsa_kernarg_size 136
		.amdhsa_user_sgpr_count 6
		.amdhsa_user_sgpr_private_segment_buffer 1
		.amdhsa_user_sgpr_dispatch_ptr 0
		.amdhsa_user_sgpr_queue_ptr 0
		.amdhsa_user_sgpr_kernarg_segment_ptr 1
		.amdhsa_user_sgpr_dispatch_id 0
		.amdhsa_user_sgpr_flat_scratch_init 0
		.amdhsa_user_sgpr_private_segment_size 0
		.amdhsa_wavefront_size32 1
		.amdhsa_uses_dynamic_stack 0
		.amdhsa_system_sgpr_private_segment_wavefront_offset 0
		.amdhsa_system_sgpr_workgroup_id_x 1
		.amdhsa_system_sgpr_workgroup_id_y 0
		.amdhsa_system_sgpr_workgroup_id_z 0
		.amdhsa_system_sgpr_workgroup_info 0
		.amdhsa_system_vgpr_workitem_id 0
		.amdhsa_next_free_vgpr 1
		.amdhsa_next_free_sgpr 1
		.amdhsa_reserve_vcc 0
		.amdhsa_reserve_flat_scratch 0
		.amdhsa_float_round_mode_32 0
		.amdhsa_float_round_mode_16_64 0
		.amdhsa_float_denorm_mode_32 3
		.amdhsa_float_denorm_mode_16_64 3
		.amdhsa_dx10_clamp 1
		.amdhsa_ieee_mode 1
		.amdhsa_fp16_overflow 0
		.amdhsa_workgroup_processor_mode 1
		.amdhsa_memory_ordered 1
		.amdhsa_forward_progress 1
		.amdhsa_shared_vgpr_count 0
		.amdhsa_exception_fp_ieee_invalid_op 0
		.amdhsa_exception_fp_denorm_src 0
		.amdhsa_exception_fp_ieee_div_zero 0
		.amdhsa_exception_fp_ieee_overflow 0
		.amdhsa_exception_fp_ieee_underflow 0
		.amdhsa_exception_fp_ieee_inexact 0
		.amdhsa_exception_int_div_zero 0
	.end_amdhsa_kernel
	.section	.text._ZN7rocprim17ROCPRIM_400000_NS6detail17trampoline_kernelINS0_14default_configENS1_27scan_by_key_config_selectorIxxEEZZNS1_16scan_by_key_implILNS1_25lookback_scan_determinismE0ELb0ES3_N6thrust23THRUST_200600_302600_NS6detail15normal_iteratorINS9_10device_ptrIxEEEESE_SE_xNS9_4plusIxEE19head_flag_predicatexEE10hipError_tPvRmT2_T3_T4_T5_mT6_T7_P12ihipStream_tbENKUlT_T0_E_clISt17integral_constantIbLb1EESX_IbLb0EEEEDaST_SU_EUlST_E_NS1_11comp_targetILNS1_3genE10ELNS1_11target_archE1201ELNS1_3gpuE5ELNS1_3repE0EEENS1_30default_config_static_selectorELNS0_4arch9wavefront6targetE0EEEvT1_,"axG",@progbits,_ZN7rocprim17ROCPRIM_400000_NS6detail17trampoline_kernelINS0_14default_configENS1_27scan_by_key_config_selectorIxxEEZZNS1_16scan_by_key_implILNS1_25lookback_scan_determinismE0ELb0ES3_N6thrust23THRUST_200600_302600_NS6detail15normal_iteratorINS9_10device_ptrIxEEEESE_SE_xNS9_4plusIxEE19head_flag_predicatexEE10hipError_tPvRmT2_T3_T4_T5_mT6_T7_P12ihipStream_tbENKUlT_T0_E_clISt17integral_constantIbLb1EESX_IbLb0EEEEDaST_SU_EUlST_E_NS1_11comp_targetILNS1_3genE10ELNS1_11target_archE1201ELNS1_3gpuE5ELNS1_3repE0EEENS1_30default_config_static_selectorELNS0_4arch9wavefront6targetE0EEEvT1_,comdat
.Lfunc_end696:
	.size	_ZN7rocprim17ROCPRIM_400000_NS6detail17trampoline_kernelINS0_14default_configENS1_27scan_by_key_config_selectorIxxEEZZNS1_16scan_by_key_implILNS1_25lookback_scan_determinismE0ELb0ES3_N6thrust23THRUST_200600_302600_NS6detail15normal_iteratorINS9_10device_ptrIxEEEESE_SE_xNS9_4plusIxEE19head_flag_predicatexEE10hipError_tPvRmT2_T3_T4_T5_mT6_T7_P12ihipStream_tbENKUlT_T0_E_clISt17integral_constantIbLb1EESX_IbLb0EEEEDaST_SU_EUlST_E_NS1_11comp_targetILNS1_3genE10ELNS1_11target_archE1201ELNS1_3gpuE5ELNS1_3repE0EEENS1_30default_config_static_selectorELNS0_4arch9wavefront6targetE0EEEvT1_, .Lfunc_end696-_ZN7rocprim17ROCPRIM_400000_NS6detail17trampoline_kernelINS0_14default_configENS1_27scan_by_key_config_selectorIxxEEZZNS1_16scan_by_key_implILNS1_25lookback_scan_determinismE0ELb0ES3_N6thrust23THRUST_200600_302600_NS6detail15normal_iteratorINS9_10device_ptrIxEEEESE_SE_xNS9_4plusIxEE19head_flag_predicatexEE10hipError_tPvRmT2_T3_T4_T5_mT6_T7_P12ihipStream_tbENKUlT_T0_E_clISt17integral_constantIbLb1EESX_IbLb0EEEEDaST_SU_EUlST_E_NS1_11comp_targetILNS1_3genE10ELNS1_11target_archE1201ELNS1_3gpuE5ELNS1_3repE0EEENS1_30default_config_static_selectorELNS0_4arch9wavefront6targetE0EEEvT1_
                                        ; -- End function
	.set _ZN7rocprim17ROCPRIM_400000_NS6detail17trampoline_kernelINS0_14default_configENS1_27scan_by_key_config_selectorIxxEEZZNS1_16scan_by_key_implILNS1_25lookback_scan_determinismE0ELb0ES3_N6thrust23THRUST_200600_302600_NS6detail15normal_iteratorINS9_10device_ptrIxEEEESE_SE_xNS9_4plusIxEE19head_flag_predicatexEE10hipError_tPvRmT2_T3_T4_T5_mT6_T7_P12ihipStream_tbENKUlT_T0_E_clISt17integral_constantIbLb1EESX_IbLb0EEEEDaST_SU_EUlST_E_NS1_11comp_targetILNS1_3genE10ELNS1_11target_archE1201ELNS1_3gpuE5ELNS1_3repE0EEENS1_30default_config_static_selectorELNS0_4arch9wavefront6targetE0EEEvT1_.num_vgpr, 0
	.set _ZN7rocprim17ROCPRIM_400000_NS6detail17trampoline_kernelINS0_14default_configENS1_27scan_by_key_config_selectorIxxEEZZNS1_16scan_by_key_implILNS1_25lookback_scan_determinismE0ELb0ES3_N6thrust23THRUST_200600_302600_NS6detail15normal_iteratorINS9_10device_ptrIxEEEESE_SE_xNS9_4plusIxEE19head_flag_predicatexEE10hipError_tPvRmT2_T3_T4_T5_mT6_T7_P12ihipStream_tbENKUlT_T0_E_clISt17integral_constantIbLb1EESX_IbLb0EEEEDaST_SU_EUlST_E_NS1_11comp_targetILNS1_3genE10ELNS1_11target_archE1201ELNS1_3gpuE5ELNS1_3repE0EEENS1_30default_config_static_selectorELNS0_4arch9wavefront6targetE0EEEvT1_.num_agpr, 0
	.set _ZN7rocprim17ROCPRIM_400000_NS6detail17trampoline_kernelINS0_14default_configENS1_27scan_by_key_config_selectorIxxEEZZNS1_16scan_by_key_implILNS1_25lookback_scan_determinismE0ELb0ES3_N6thrust23THRUST_200600_302600_NS6detail15normal_iteratorINS9_10device_ptrIxEEEESE_SE_xNS9_4plusIxEE19head_flag_predicatexEE10hipError_tPvRmT2_T3_T4_T5_mT6_T7_P12ihipStream_tbENKUlT_T0_E_clISt17integral_constantIbLb1EESX_IbLb0EEEEDaST_SU_EUlST_E_NS1_11comp_targetILNS1_3genE10ELNS1_11target_archE1201ELNS1_3gpuE5ELNS1_3repE0EEENS1_30default_config_static_selectorELNS0_4arch9wavefront6targetE0EEEvT1_.numbered_sgpr, 0
	.set _ZN7rocprim17ROCPRIM_400000_NS6detail17trampoline_kernelINS0_14default_configENS1_27scan_by_key_config_selectorIxxEEZZNS1_16scan_by_key_implILNS1_25lookback_scan_determinismE0ELb0ES3_N6thrust23THRUST_200600_302600_NS6detail15normal_iteratorINS9_10device_ptrIxEEEESE_SE_xNS9_4plusIxEE19head_flag_predicatexEE10hipError_tPvRmT2_T3_T4_T5_mT6_T7_P12ihipStream_tbENKUlT_T0_E_clISt17integral_constantIbLb1EESX_IbLb0EEEEDaST_SU_EUlST_E_NS1_11comp_targetILNS1_3genE10ELNS1_11target_archE1201ELNS1_3gpuE5ELNS1_3repE0EEENS1_30default_config_static_selectorELNS0_4arch9wavefront6targetE0EEEvT1_.num_named_barrier, 0
	.set _ZN7rocprim17ROCPRIM_400000_NS6detail17trampoline_kernelINS0_14default_configENS1_27scan_by_key_config_selectorIxxEEZZNS1_16scan_by_key_implILNS1_25lookback_scan_determinismE0ELb0ES3_N6thrust23THRUST_200600_302600_NS6detail15normal_iteratorINS9_10device_ptrIxEEEESE_SE_xNS9_4plusIxEE19head_flag_predicatexEE10hipError_tPvRmT2_T3_T4_T5_mT6_T7_P12ihipStream_tbENKUlT_T0_E_clISt17integral_constantIbLb1EESX_IbLb0EEEEDaST_SU_EUlST_E_NS1_11comp_targetILNS1_3genE10ELNS1_11target_archE1201ELNS1_3gpuE5ELNS1_3repE0EEENS1_30default_config_static_selectorELNS0_4arch9wavefront6targetE0EEEvT1_.private_seg_size, 0
	.set _ZN7rocprim17ROCPRIM_400000_NS6detail17trampoline_kernelINS0_14default_configENS1_27scan_by_key_config_selectorIxxEEZZNS1_16scan_by_key_implILNS1_25lookback_scan_determinismE0ELb0ES3_N6thrust23THRUST_200600_302600_NS6detail15normal_iteratorINS9_10device_ptrIxEEEESE_SE_xNS9_4plusIxEE19head_flag_predicatexEE10hipError_tPvRmT2_T3_T4_T5_mT6_T7_P12ihipStream_tbENKUlT_T0_E_clISt17integral_constantIbLb1EESX_IbLb0EEEEDaST_SU_EUlST_E_NS1_11comp_targetILNS1_3genE10ELNS1_11target_archE1201ELNS1_3gpuE5ELNS1_3repE0EEENS1_30default_config_static_selectorELNS0_4arch9wavefront6targetE0EEEvT1_.uses_vcc, 0
	.set _ZN7rocprim17ROCPRIM_400000_NS6detail17trampoline_kernelINS0_14default_configENS1_27scan_by_key_config_selectorIxxEEZZNS1_16scan_by_key_implILNS1_25lookback_scan_determinismE0ELb0ES3_N6thrust23THRUST_200600_302600_NS6detail15normal_iteratorINS9_10device_ptrIxEEEESE_SE_xNS9_4plusIxEE19head_flag_predicatexEE10hipError_tPvRmT2_T3_T4_T5_mT6_T7_P12ihipStream_tbENKUlT_T0_E_clISt17integral_constantIbLb1EESX_IbLb0EEEEDaST_SU_EUlST_E_NS1_11comp_targetILNS1_3genE10ELNS1_11target_archE1201ELNS1_3gpuE5ELNS1_3repE0EEENS1_30default_config_static_selectorELNS0_4arch9wavefront6targetE0EEEvT1_.uses_flat_scratch, 0
	.set _ZN7rocprim17ROCPRIM_400000_NS6detail17trampoline_kernelINS0_14default_configENS1_27scan_by_key_config_selectorIxxEEZZNS1_16scan_by_key_implILNS1_25lookback_scan_determinismE0ELb0ES3_N6thrust23THRUST_200600_302600_NS6detail15normal_iteratorINS9_10device_ptrIxEEEESE_SE_xNS9_4plusIxEE19head_flag_predicatexEE10hipError_tPvRmT2_T3_T4_T5_mT6_T7_P12ihipStream_tbENKUlT_T0_E_clISt17integral_constantIbLb1EESX_IbLb0EEEEDaST_SU_EUlST_E_NS1_11comp_targetILNS1_3genE10ELNS1_11target_archE1201ELNS1_3gpuE5ELNS1_3repE0EEENS1_30default_config_static_selectorELNS0_4arch9wavefront6targetE0EEEvT1_.has_dyn_sized_stack, 0
	.set _ZN7rocprim17ROCPRIM_400000_NS6detail17trampoline_kernelINS0_14default_configENS1_27scan_by_key_config_selectorIxxEEZZNS1_16scan_by_key_implILNS1_25lookback_scan_determinismE0ELb0ES3_N6thrust23THRUST_200600_302600_NS6detail15normal_iteratorINS9_10device_ptrIxEEEESE_SE_xNS9_4plusIxEE19head_flag_predicatexEE10hipError_tPvRmT2_T3_T4_T5_mT6_T7_P12ihipStream_tbENKUlT_T0_E_clISt17integral_constantIbLb1EESX_IbLb0EEEEDaST_SU_EUlST_E_NS1_11comp_targetILNS1_3genE10ELNS1_11target_archE1201ELNS1_3gpuE5ELNS1_3repE0EEENS1_30default_config_static_selectorELNS0_4arch9wavefront6targetE0EEEvT1_.has_recursion, 0
	.set _ZN7rocprim17ROCPRIM_400000_NS6detail17trampoline_kernelINS0_14default_configENS1_27scan_by_key_config_selectorIxxEEZZNS1_16scan_by_key_implILNS1_25lookback_scan_determinismE0ELb0ES3_N6thrust23THRUST_200600_302600_NS6detail15normal_iteratorINS9_10device_ptrIxEEEESE_SE_xNS9_4plusIxEE19head_flag_predicatexEE10hipError_tPvRmT2_T3_T4_T5_mT6_T7_P12ihipStream_tbENKUlT_T0_E_clISt17integral_constantIbLb1EESX_IbLb0EEEEDaST_SU_EUlST_E_NS1_11comp_targetILNS1_3genE10ELNS1_11target_archE1201ELNS1_3gpuE5ELNS1_3repE0EEENS1_30default_config_static_selectorELNS0_4arch9wavefront6targetE0EEEvT1_.has_indirect_call, 0
	.section	.AMDGPU.csdata,"",@progbits
; Kernel info:
; codeLenInByte = 0
; TotalNumSgprs: 0
; NumVgprs: 0
; ScratchSize: 0
; MemoryBound: 0
; FloatMode: 240
; IeeeMode: 1
; LDSByteSize: 0 bytes/workgroup (compile time only)
; SGPRBlocks: 0
; VGPRBlocks: 0
; NumSGPRsForWavesPerEU: 1
; NumVGPRsForWavesPerEU: 1
; Occupancy: 16
; WaveLimiterHint : 0
; COMPUTE_PGM_RSRC2:SCRATCH_EN: 0
; COMPUTE_PGM_RSRC2:USER_SGPR: 6
; COMPUTE_PGM_RSRC2:TRAP_HANDLER: 0
; COMPUTE_PGM_RSRC2:TGID_X_EN: 1
; COMPUTE_PGM_RSRC2:TGID_Y_EN: 0
; COMPUTE_PGM_RSRC2:TGID_Z_EN: 0
; COMPUTE_PGM_RSRC2:TIDIG_COMP_CNT: 0
	.section	.text._ZN7rocprim17ROCPRIM_400000_NS6detail17trampoline_kernelINS0_14default_configENS1_27scan_by_key_config_selectorIxxEEZZNS1_16scan_by_key_implILNS1_25lookback_scan_determinismE0ELb0ES3_N6thrust23THRUST_200600_302600_NS6detail15normal_iteratorINS9_10device_ptrIxEEEESE_SE_xNS9_4plusIxEE19head_flag_predicatexEE10hipError_tPvRmT2_T3_T4_T5_mT6_T7_P12ihipStream_tbENKUlT_T0_E_clISt17integral_constantIbLb1EESX_IbLb0EEEEDaST_SU_EUlST_E_NS1_11comp_targetILNS1_3genE5ELNS1_11target_archE942ELNS1_3gpuE9ELNS1_3repE0EEENS1_30default_config_static_selectorELNS0_4arch9wavefront6targetE0EEEvT1_,"axG",@progbits,_ZN7rocprim17ROCPRIM_400000_NS6detail17trampoline_kernelINS0_14default_configENS1_27scan_by_key_config_selectorIxxEEZZNS1_16scan_by_key_implILNS1_25lookback_scan_determinismE0ELb0ES3_N6thrust23THRUST_200600_302600_NS6detail15normal_iteratorINS9_10device_ptrIxEEEESE_SE_xNS9_4plusIxEE19head_flag_predicatexEE10hipError_tPvRmT2_T3_T4_T5_mT6_T7_P12ihipStream_tbENKUlT_T0_E_clISt17integral_constantIbLb1EESX_IbLb0EEEEDaST_SU_EUlST_E_NS1_11comp_targetILNS1_3genE5ELNS1_11target_archE942ELNS1_3gpuE9ELNS1_3repE0EEENS1_30default_config_static_selectorELNS0_4arch9wavefront6targetE0EEEvT1_,comdat
	.protected	_ZN7rocprim17ROCPRIM_400000_NS6detail17trampoline_kernelINS0_14default_configENS1_27scan_by_key_config_selectorIxxEEZZNS1_16scan_by_key_implILNS1_25lookback_scan_determinismE0ELb0ES3_N6thrust23THRUST_200600_302600_NS6detail15normal_iteratorINS9_10device_ptrIxEEEESE_SE_xNS9_4plusIxEE19head_flag_predicatexEE10hipError_tPvRmT2_T3_T4_T5_mT6_T7_P12ihipStream_tbENKUlT_T0_E_clISt17integral_constantIbLb1EESX_IbLb0EEEEDaST_SU_EUlST_E_NS1_11comp_targetILNS1_3genE5ELNS1_11target_archE942ELNS1_3gpuE9ELNS1_3repE0EEENS1_30default_config_static_selectorELNS0_4arch9wavefront6targetE0EEEvT1_ ; -- Begin function _ZN7rocprim17ROCPRIM_400000_NS6detail17trampoline_kernelINS0_14default_configENS1_27scan_by_key_config_selectorIxxEEZZNS1_16scan_by_key_implILNS1_25lookback_scan_determinismE0ELb0ES3_N6thrust23THRUST_200600_302600_NS6detail15normal_iteratorINS9_10device_ptrIxEEEESE_SE_xNS9_4plusIxEE19head_flag_predicatexEE10hipError_tPvRmT2_T3_T4_T5_mT6_T7_P12ihipStream_tbENKUlT_T0_E_clISt17integral_constantIbLb1EESX_IbLb0EEEEDaST_SU_EUlST_E_NS1_11comp_targetILNS1_3genE5ELNS1_11target_archE942ELNS1_3gpuE9ELNS1_3repE0EEENS1_30default_config_static_selectorELNS0_4arch9wavefront6targetE0EEEvT1_
	.globl	_ZN7rocprim17ROCPRIM_400000_NS6detail17trampoline_kernelINS0_14default_configENS1_27scan_by_key_config_selectorIxxEEZZNS1_16scan_by_key_implILNS1_25lookback_scan_determinismE0ELb0ES3_N6thrust23THRUST_200600_302600_NS6detail15normal_iteratorINS9_10device_ptrIxEEEESE_SE_xNS9_4plusIxEE19head_flag_predicatexEE10hipError_tPvRmT2_T3_T4_T5_mT6_T7_P12ihipStream_tbENKUlT_T0_E_clISt17integral_constantIbLb1EESX_IbLb0EEEEDaST_SU_EUlST_E_NS1_11comp_targetILNS1_3genE5ELNS1_11target_archE942ELNS1_3gpuE9ELNS1_3repE0EEENS1_30default_config_static_selectorELNS0_4arch9wavefront6targetE0EEEvT1_
	.p2align	8
	.type	_ZN7rocprim17ROCPRIM_400000_NS6detail17trampoline_kernelINS0_14default_configENS1_27scan_by_key_config_selectorIxxEEZZNS1_16scan_by_key_implILNS1_25lookback_scan_determinismE0ELb0ES3_N6thrust23THRUST_200600_302600_NS6detail15normal_iteratorINS9_10device_ptrIxEEEESE_SE_xNS9_4plusIxEE19head_flag_predicatexEE10hipError_tPvRmT2_T3_T4_T5_mT6_T7_P12ihipStream_tbENKUlT_T0_E_clISt17integral_constantIbLb1EESX_IbLb0EEEEDaST_SU_EUlST_E_NS1_11comp_targetILNS1_3genE5ELNS1_11target_archE942ELNS1_3gpuE9ELNS1_3repE0EEENS1_30default_config_static_selectorELNS0_4arch9wavefront6targetE0EEEvT1_,@function
_ZN7rocprim17ROCPRIM_400000_NS6detail17trampoline_kernelINS0_14default_configENS1_27scan_by_key_config_selectorIxxEEZZNS1_16scan_by_key_implILNS1_25lookback_scan_determinismE0ELb0ES3_N6thrust23THRUST_200600_302600_NS6detail15normal_iteratorINS9_10device_ptrIxEEEESE_SE_xNS9_4plusIxEE19head_flag_predicatexEE10hipError_tPvRmT2_T3_T4_T5_mT6_T7_P12ihipStream_tbENKUlT_T0_E_clISt17integral_constantIbLb1EESX_IbLb0EEEEDaST_SU_EUlST_E_NS1_11comp_targetILNS1_3genE5ELNS1_11target_archE942ELNS1_3gpuE9ELNS1_3repE0EEENS1_30default_config_static_selectorELNS0_4arch9wavefront6targetE0EEEvT1_: ; @_ZN7rocprim17ROCPRIM_400000_NS6detail17trampoline_kernelINS0_14default_configENS1_27scan_by_key_config_selectorIxxEEZZNS1_16scan_by_key_implILNS1_25lookback_scan_determinismE0ELb0ES3_N6thrust23THRUST_200600_302600_NS6detail15normal_iteratorINS9_10device_ptrIxEEEESE_SE_xNS9_4plusIxEE19head_flag_predicatexEE10hipError_tPvRmT2_T3_T4_T5_mT6_T7_P12ihipStream_tbENKUlT_T0_E_clISt17integral_constantIbLb1EESX_IbLb0EEEEDaST_SU_EUlST_E_NS1_11comp_targetILNS1_3genE5ELNS1_11target_archE942ELNS1_3gpuE9ELNS1_3repE0EEENS1_30default_config_static_selectorELNS0_4arch9wavefront6targetE0EEEvT1_
; %bb.0:
	.section	.rodata,"a",@progbits
	.p2align	6, 0x0
	.amdhsa_kernel _ZN7rocprim17ROCPRIM_400000_NS6detail17trampoline_kernelINS0_14default_configENS1_27scan_by_key_config_selectorIxxEEZZNS1_16scan_by_key_implILNS1_25lookback_scan_determinismE0ELb0ES3_N6thrust23THRUST_200600_302600_NS6detail15normal_iteratorINS9_10device_ptrIxEEEESE_SE_xNS9_4plusIxEE19head_flag_predicatexEE10hipError_tPvRmT2_T3_T4_T5_mT6_T7_P12ihipStream_tbENKUlT_T0_E_clISt17integral_constantIbLb1EESX_IbLb0EEEEDaST_SU_EUlST_E_NS1_11comp_targetILNS1_3genE5ELNS1_11target_archE942ELNS1_3gpuE9ELNS1_3repE0EEENS1_30default_config_static_selectorELNS0_4arch9wavefront6targetE0EEEvT1_
		.amdhsa_group_segment_fixed_size 0
		.amdhsa_private_segment_fixed_size 0
		.amdhsa_kernarg_size 136
		.amdhsa_user_sgpr_count 6
		.amdhsa_user_sgpr_private_segment_buffer 1
		.amdhsa_user_sgpr_dispatch_ptr 0
		.amdhsa_user_sgpr_queue_ptr 0
		.amdhsa_user_sgpr_kernarg_segment_ptr 1
		.amdhsa_user_sgpr_dispatch_id 0
		.amdhsa_user_sgpr_flat_scratch_init 0
		.amdhsa_user_sgpr_private_segment_size 0
		.amdhsa_wavefront_size32 1
		.amdhsa_uses_dynamic_stack 0
		.amdhsa_system_sgpr_private_segment_wavefront_offset 0
		.amdhsa_system_sgpr_workgroup_id_x 1
		.amdhsa_system_sgpr_workgroup_id_y 0
		.amdhsa_system_sgpr_workgroup_id_z 0
		.amdhsa_system_sgpr_workgroup_info 0
		.amdhsa_system_vgpr_workitem_id 0
		.amdhsa_next_free_vgpr 1
		.amdhsa_next_free_sgpr 1
		.amdhsa_reserve_vcc 0
		.amdhsa_reserve_flat_scratch 0
		.amdhsa_float_round_mode_32 0
		.amdhsa_float_round_mode_16_64 0
		.amdhsa_float_denorm_mode_32 3
		.amdhsa_float_denorm_mode_16_64 3
		.amdhsa_dx10_clamp 1
		.amdhsa_ieee_mode 1
		.amdhsa_fp16_overflow 0
		.amdhsa_workgroup_processor_mode 1
		.amdhsa_memory_ordered 1
		.amdhsa_forward_progress 1
		.amdhsa_shared_vgpr_count 0
		.amdhsa_exception_fp_ieee_invalid_op 0
		.amdhsa_exception_fp_denorm_src 0
		.amdhsa_exception_fp_ieee_div_zero 0
		.amdhsa_exception_fp_ieee_overflow 0
		.amdhsa_exception_fp_ieee_underflow 0
		.amdhsa_exception_fp_ieee_inexact 0
		.amdhsa_exception_int_div_zero 0
	.end_amdhsa_kernel
	.section	.text._ZN7rocprim17ROCPRIM_400000_NS6detail17trampoline_kernelINS0_14default_configENS1_27scan_by_key_config_selectorIxxEEZZNS1_16scan_by_key_implILNS1_25lookback_scan_determinismE0ELb0ES3_N6thrust23THRUST_200600_302600_NS6detail15normal_iteratorINS9_10device_ptrIxEEEESE_SE_xNS9_4plusIxEE19head_flag_predicatexEE10hipError_tPvRmT2_T3_T4_T5_mT6_T7_P12ihipStream_tbENKUlT_T0_E_clISt17integral_constantIbLb1EESX_IbLb0EEEEDaST_SU_EUlST_E_NS1_11comp_targetILNS1_3genE5ELNS1_11target_archE942ELNS1_3gpuE9ELNS1_3repE0EEENS1_30default_config_static_selectorELNS0_4arch9wavefront6targetE0EEEvT1_,"axG",@progbits,_ZN7rocprim17ROCPRIM_400000_NS6detail17trampoline_kernelINS0_14default_configENS1_27scan_by_key_config_selectorIxxEEZZNS1_16scan_by_key_implILNS1_25lookback_scan_determinismE0ELb0ES3_N6thrust23THRUST_200600_302600_NS6detail15normal_iteratorINS9_10device_ptrIxEEEESE_SE_xNS9_4plusIxEE19head_flag_predicatexEE10hipError_tPvRmT2_T3_T4_T5_mT6_T7_P12ihipStream_tbENKUlT_T0_E_clISt17integral_constantIbLb1EESX_IbLb0EEEEDaST_SU_EUlST_E_NS1_11comp_targetILNS1_3genE5ELNS1_11target_archE942ELNS1_3gpuE9ELNS1_3repE0EEENS1_30default_config_static_selectorELNS0_4arch9wavefront6targetE0EEEvT1_,comdat
.Lfunc_end697:
	.size	_ZN7rocprim17ROCPRIM_400000_NS6detail17trampoline_kernelINS0_14default_configENS1_27scan_by_key_config_selectorIxxEEZZNS1_16scan_by_key_implILNS1_25lookback_scan_determinismE0ELb0ES3_N6thrust23THRUST_200600_302600_NS6detail15normal_iteratorINS9_10device_ptrIxEEEESE_SE_xNS9_4plusIxEE19head_flag_predicatexEE10hipError_tPvRmT2_T3_T4_T5_mT6_T7_P12ihipStream_tbENKUlT_T0_E_clISt17integral_constantIbLb1EESX_IbLb0EEEEDaST_SU_EUlST_E_NS1_11comp_targetILNS1_3genE5ELNS1_11target_archE942ELNS1_3gpuE9ELNS1_3repE0EEENS1_30default_config_static_selectorELNS0_4arch9wavefront6targetE0EEEvT1_, .Lfunc_end697-_ZN7rocprim17ROCPRIM_400000_NS6detail17trampoline_kernelINS0_14default_configENS1_27scan_by_key_config_selectorIxxEEZZNS1_16scan_by_key_implILNS1_25lookback_scan_determinismE0ELb0ES3_N6thrust23THRUST_200600_302600_NS6detail15normal_iteratorINS9_10device_ptrIxEEEESE_SE_xNS9_4plusIxEE19head_flag_predicatexEE10hipError_tPvRmT2_T3_T4_T5_mT6_T7_P12ihipStream_tbENKUlT_T0_E_clISt17integral_constantIbLb1EESX_IbLb0EEEEDaST_SU_EUlST_E_NS1_11comp_targetILNS1_3genE5ELNS1_11target_archE942ELNS1_3gpuE9ELNS1_3repE0EEENS1_30default_config_static_selectorELNS0_4arch9wavefront6targetE0EEEvT1_
                                        ; -- End function
	.set _ZN7rocprim17ROCPRIM_400000_NS6detail17trampoline_kernelINS0_14default_configENS1_27scan_by_key_config_selectorIxxEEZZNS1_16scan_by_key_implILNS1_25lookback_scan_determinismE0ELb0ES3_N6thrust23THRUST_200600_302600_NS6detail15normal_iteratorINS9_10device_ptrIxEEEESE_SE_xNS9_4plusIxEE19head_flag_predicatexEE10hipError_tPvRmT2_T3_T4_T5_mT6_T7_P12ihipStream_tbENKUlT_T0_E_clISt17integral_constantIbLb1EESX_IbLb0EEEEDaST_SU_EUlST_E_NS1_11comp_targetILNS1_3genE5ELNS1_11target_archE942ELNS1_3gpuE9ELNS1_3repE0EEENS1_30default_config_static_selectorELNS0_4arch9wavefront6targetE0EEEvT1_.num_vgpr, 0
	.set _ZN7rocprim17ROCPRIM_400000_NS6detail17trampoline_kernelINS0_14default_configENS1_27scan_by_key_config_selectorIxxEEZZNS1_16scan_by_key_implILNS1_25lookback_scan_determinismE0ELb0ES3_N6thrust23THRUST_200600_302600_NS6detail15normal_iteratorINS9_10device_ptrIxEEEESE_SE_xNS9_4plusIxEE19head_flag_predicatexEE10hipError_tPvRmT2_T3_T4_T5_mT6_T7_P12ihipStream_tbENKUlT_T0_E_clISt17integral_constantIbLb1EESX_IbLb0EEEEDaST_SU_EUlST_E_NS1_11comp_targetILNS1_3genE5ELNS1_11target_archE942ELNS1_3gpuE9ELNS1_3repE0EEENS1_30default_config_static_selectorELNS0_4arch9wavefront6targetE0EEEvT1_.num_agpr, 0
	.set _ZN7rocprim17ROCPRIM_400000_NS6detail17trampoline_kernelINS0_14default_configENS1_27scan_by_key_config_selectorIxxEEZZNS1_16scan_by_key_implILNS1_25lookback_scan_determinismE0ELb0ES3_N6thrust23THRUST_200600_302600_NS6detail15normal_iteratorINS9_10device_ptrIxEEEESE_SE_xNS9_4plusIxEE19head_flag_predicatexEE10hipError_tPvRmT2_T3_T4_T5_mT6_T7_P12ihipStream_tbENKUlT_T0_E_clISt17integral_constantIbLb1EESX_IbLb0EEEEDaST_SU_EUlST_E_NS1_11comp_targetILNS1_3genE5ELNS1_11target_archE942ELNS1_3gpuE9ELNS1_3repE0EEENS1_30default_config_static_selectorELNS0_4arch9wavefront6targetE0EEEvT1_.numbered_sgpr, 0
	.set _ZN7rocprim17ROCPRIM_400000_NS6detail17trampoline_kernelINS0_14default_configENS1_27scan_by_key_config_selectorIxxEEZZNS1_16scan_by_key_implILNS1_25lookback_scan_determinismE0ELb0ES3_N6thrust23THRUST_200600_302600_NS6detail15normal_iteratorINS9_10device_ptrIxEEEESE_SE_xNS9_4plusIxEE19head_flag_predicatexEE10hipError_tPvRmT2_T3_T4_T5_mT6_T7_P12ihipStream_tbENKUlT_T0_E_clISt17integral_constantIbLb1EESX_IbLb0EEEEDaST_SU_EUlST_E_NS1_11comp_targetILNS1_3genE5ELNS1_11target_archE942ELNS1_3gpuE9ELNS1_3repE0EEENS1_30default_config_static_selectorELNS0_4arch9wavefront6targetE0EEEvT1_.num_named_barrier, 0
	.set _ZN7rocprim17ROCPRIM_400000_NS6detail17trampoline_kernelINS0_14default_configENS1_27scan_by_key_config_selectorIxxEEZZNS1_16scan_by_key_implILNS1_25lookback_scan_determinismE0ELb0ES3_N6thrust23THRUST_200600_302600_NS6detail15normal_iteratorINS9_10device_ptrIxEEEESE_SE_xNS9_4plusIxEE19head_flag_predicatexEE10hipError_tPvRmT2_T3_T4_T5_mT6_T7_P12ihipStream_tbENKUlT_T0_E_clISt17integral_constantIbLb1EESX_IbLb0EEEEDaST_SU_EUlST_E_NS1_11comp_targetILNS1_3genE5ELNS1_11target_archE942ELNS1_3gpuE9ELNS1_3repE0EEENS1_30default_config_static_selectorELNS0_4arch9wavefront6targetE0EEEvT1_.private_seg_size, 0
	.set _ZN7rocprim17ROCPRIM_400000_NS6detail17trampoline_kernelINS0_14default_configENS1_27scan_by_key_config_selectorIxxEEZZNS1_16scan_by_key_implILNS1_25lookback_scan_determinismE0ELb0ES3_N6thrust23THRUST_200600_302600_NS6detail15normal_iteratorINS9_10device_ptrIxEEEESE_SE_xNS9_4plusIxEE19head_flag_predicatexEE10hipError_tPvRmT2_T3_T4_T5_mT6_T7_P12ihipStream_tbENKUlT_T0_E_clISt17integral_constantIbLb1EESX_IbLb0EEEEDaST_SU_EUlST_E_NS1_11comp_targetILNS1_3genE5ELNS1_11target_archE942ELNS1_3gpuE9ELNS1_3repE0EEENS1_30default_config_static_selectorELNS0_4arch9wavefront6targetE0EEEvT1_.uses_vcc, 0
	.set _ZN7rocprim17ROCPRIM_400000_NS6detail17trampoline_kernelINS0_14default_configENS1_27scan_by_key_config_selectorIxxEEZZNS1_16scan_by_key_implILNS1_25lookback_scan_determinismE0ELb0ES3_N6thrust23THRUST_200600_302600_NS6detail15normal_iteratorINS9_10device_ptrIxEEEESE_SE_xNS9_4plusIxEE19head_flag_predicatexEE10hipError_tPvRmT2_T3_T4_T5_mT6_T7_P12ihipStream_tbENKUlT_T0_E_clISt17integral_constantIbLb1EESX_IbLb0EEEEDaST_SU_EUlST_E_NS1_11comp_targetILNS1_3genE5ELNS1_11target_archE942ELNS1_3gpuE9ELNS1_3repE0EEENS1_30default_config_static_selectorELNS0_4arch9wavefront6targetE0EEEvT1_.uses_flat_scratch, 0
	.set _ZN7rocprim17ROCPRIM_400000_NS6detail17trampoline_kernelINS0_14default_configENS1_27scan_by_key_config_selectorIxxEEZZNS1_16scan_by_key_implILNS1_25lookback_scan_determinismE0ELb0ES3_N6thrust23THRUST_200600_302600_NS6detail15normal_iteratorINS9_10device_ptrIxEEEESE_SE_xNS9_4plusIxEE19head_flag_predicatexEE10hipError_tPvRmT2_T3_T4_T5_mT6_T7_P12ihipStream_tbENKUlT_T0_E_clISt17integral_constantIbLb1EESX_IbLb0EEEEDaST_SU_EUlST_E_NS1_11comp_targetILNS1_3genE5ELNS1_11target_archE942ELNS1_3gpuE9ELNS1_3repE0EEENS1_30default_config_static_selectorELNS0_4arch9wavefront6targetE0EEEvT1_.has_dyn_sized_stack, 0
	.set _ZN7rocprim17ROCPRIM_400000_NS6detail17trampoline_kernelINS0_14default_configENS1_27scan_by_key_config_selectorIxxEEZZNS1_16scan_by_key_implILNS1_25lookback_scan_determinismE0ELb0ES3_N6thrust23THRUST_200600_302600_NS6detail15normal_iteratorINS9_10device_ptrIxEEEESE_SE_xNS9_4plusIxEE19head_flag_predicatexEE10hipError_tPvRmT2_T3_T4_T5_mT6_T7_P12ihipStream_tbENKUlT_T0_E_clISt17integral_constantIbLb1EESX_IbLb0EEEEDaST_SU_EUlST_E_NS1_11comp_targetILNS1_3genE5ELNS1_11target_archE942ELNS1_3gpuE9ELNS1_3repE0EEENS1_30default_config_static_selectorELNS0_4arch9wavefront6targetE0EEEvT1_.has_recursion, 0
	.set _ZN7rocprim17ROCPRIM_400000_NS6detail17trampoline_kernelINS0_14default_configENS1_27scan_by_key_config_selectorIxxEEZZNS1_16scan_by_key_implILNS1_25lookback_scan_determinismE0ELb0ES3_N6thrust23THRUST_200600_302600_NS6detail15normal_iteratorINS9_10device_ptrIxEEEESE_SE_xNS9_4plusIxEE19head_flag_predicatexEE10hipError_tPvRmT2_T3_T4_T5_mT6_T7_P12ihipStream_tbENKUlT_T0_E_clISt17integral_constantIbLb1EESX_IbLb0EEEEDaST_SU_EUlST_E_NS1_11comp_targetILNS1_3genE5ELNS1_11target_archE942ELNS1_3gpuE9ELNS1_3repE0EEENS1_30default_config_static_selectorELNS0_4arch9wavefront6targetE0EEEvT1_.has_indirect_call, 0
	.section	.AMDGPU.csdata,"",@progbits
; Kernel info:
; codeLenInByte = 0
; TotalNumSgprs: 0
; NumVgprs: 0
; ScratchSize: 0
; MemoryBound: 0
; FloatMode: 240
; IeeeMode: 1
; LDSByteSize: 0 bytes/workgroup (compile time only)
; SGPRBlocks: 0
; VGPRBlocks: 0
; NumSGPRsForWavesPerEU: 1
; NumVGPRsForWavesPerEU: 1
; Occupancy: 16
; WaveLimiterHint : 0
; COMPUTE_PGM_RSRC2:SCRATCH_EN: 0
; COMPUTE_PGM_RSRC2:USER_SGPR: 6
; COMPUTE_PGM_RSRC2:TRAP_HANDLER: 0
; COMPUTE_PGM_RSRC2:TGID_X_EN: 1
; COMPUTE_PGM_RSRC2:TGID_Y_EN: 0
; COMPUTE_PGM_RSRC2:TGID_Z_EN: 0
; COMPUTE_PGM_RSRC2:TIDIG_COMP_CNT: 0
	.section	.text._ZN7rocprim17ROCPRIM_400000_NS6detail17trampoline_kernelINS0_14default_configENS1_27scan_by_key_config_selectorIxxEEZZNS1_16scan_by_key_implILNS1_25lookback_scan_determinismE0ELb0ES3_N6thrust23THRUST_200600_302600_NS6detail15normal_iteratorINS9_10device_ptrIxEEEESE_SE_xNS9_4plusIxEE19head_flag_predicatexEE10hipError_tPvRmT2_T3_T4_T5_mT6_T7_P12ihipStream_tbENKUlT_T0_E_clISt17integral_constantIbLb1EESX_IbLb0EEEEDaST_SU_EUlST_E_NS1_11comp_targetILNS1_3genE4ELNS1_11target_archE910ELNS1_3gpuE8ELNS1_3repE0EEENS1_30default_config_static_selectorELNS0_4arch9wavefront6targetE0EEEvT1_,"axG",@progbits,_ZN7rocprim17ROCPRIM_400000_NS6detail17trampoline_kernelINS0_14default_configENS1_27scan_by_key_config_selectorIxxEEZZNS1_16scan_by_key_implILNS1_25lookback_scan_determinismE0ELb0ES3_N6thrust23THRUST_200600_302600_NS6detail15normal_iteratorINS9_10device_ptrIxEEEESE_SE_xNS9_4plusIxEE19head_flag_predicatexEE10hipError_tPvRmT2_T3_T4_T5_mT6_T7_P12ihipStream_tbENKUlT_T0_E_clISt17integral_constantIbLb1EESX_IbLb0EEEEDaST_SU_EUlST_E_NS1_11comp_targetILNS1_3genE4ELNS1_11target_archE910ELNS1_3gpuE8ELNS1_3repE0EEENS1_30default_config_static_selectorELNS0_4arch9wavefront6targetE0EEEvT1_,comdat
	.protected	_ZN7rocprim17ROCPRIM_400000_NS6detail17trampoline_kernelINS0_14default_configENS1_27scan_by_key_config_selectorIxxEEZZNS1_16scan_by_key_implILNS1_25lookback_scan_determinismE0ELb0ES3_N6thrust23THRUST_200600_302600_NS6detail15normal_iteratorINS9_10device_ptrIxEEEESE_SE_xNS9_4plusIxEE19head_flag_predicatexEE10hipError_tPvRmT2_T3_T4_T5_mT6_T7_P12ihipStream_tbENKUlT_T0_E_clISt17integral_constantIbLb1EESX_IbLb0EEEEDaST_SU_EUlST_E_NS1_11comp_targetILNS1_3genE4ELNS1_11target_archE910ELNS1_3gpuE8ELNS1_3repE0EEENS1_30default_config_static_selectorELNS0_4arch9wavefront6targetE0EEEvT1_ ; -- Begin function _ZN7rocprim17ROCPRIM_400000_NS6detail17trampoline_kernelINS0_14default_configENS1_27scan_by_key_config_selectorIxxEEZZNS1_16scan_by_key_implILNS1_25lookback_scan_determinismE0ELb0ES3_N6thrust23THRUST_200600_302600_NS6detail15normal_iteratorINS9_10device_ptrIxEEEESE_SE_xNS9_4plusIxEE19head_flag_predicatexEE10hipError_tPvRmT2_T3_T4_T5_mT6_T7_P12ihipStream_tbENKUlT_T0_E_clISt17integral_constantIbLb1EESX_IbLb0EEEEDaST_SU_EUlST_E_NS1_11comp_targetILNS1_3genE4ELNS1_11target_archE910ELNS1_3gpuE8ELNS1_3repE0EEENS1_30default_config_static_selectorELNS0_4arch9wavefront6targetE0EEEvT1_
	.globl	_ZN7rocprim17ROCPRIM_400000_NS6detail17trampoline_kernelINS0_14default_configENS1_27scan_by_key_config_selectorIxxEEZZNS1_16scan_by_key_implILNS1_25lookback_scan_determinismE0ELb0ES3_N6thrust23THRUST_200600_302600_NS6detail15normal_iteratorINS9_10device_ptrIxEEEESE_SE_xNS9_4plusIxEE19head_flag_predicatexEE10hipError_tPvRmT2_T3_T4_T5_mT6_T7_P12ihipStream_tbENKUlT_T0_E_clISt17integral_constantIbLb1EESX_IbLb0EEEEDaST_SU_EUlST_E_NS1_11comp_targetILNS1_3genE4ELNS1_11target_archE910ELNS1_3gpuE8ELNS1_3repE0EEENS1_30default_config_static_selectorELNS0_4arch9wavefront6targetE0EEEvT1_
	.p2align	8
	.type	_ZN7rocprim17ROCPRIM_400000_NS6detail17trampoline_kernelINS0_14default_configENS1_27scan_by_key_config_selectorIxxEEZZNS1_16scan_by_key_implILNS1_25lookback_scan_determinismE0ELb0ES3_N6thrust23THRUST_200600_302600_NS6detail15normal_iteratorINS9_10device_ptrIxEEEESE_SE_xNS9_4plusIxEE19head_flag_predicatexEE10hipError_tPvRmT2_T3_T4_T5_mT6_T7_P12ihipStream_tbENKUlT_T0_E_clISt17integral_constantIbLb1EESX_IbLb0EEEEDaST_SU_EUlST_E_NS1_11comp_targetILNS1_3genE4ELNS1_11target_archE910ELNS1_3gpuE8ELNS1_3repE0EEENS1_30default_config_static_selectorELNS0_4arch9wavefront6targetE0EEEvT1_,@function
_ZN7rocprim17ROCPRIM_400000_NS6detail17trampoline_kernelINS0_14default_configENS1_27scan_by_key_config_selectorIxxEEZZNS1_16scan_by_key_implILNS1_25lookback_scan_determinismE0ELb0ES3_N6thrust23THRUST_200600_302600_NS6detail15normal_iteratorINS9_10device_ptrIxEEEESE_SE_xNS9_4plusIxEE19head_flag_predicatexEE10hipError_tPvRmT2_T3_T4_T5_mT6_T7_P12ihipStream_tbENKUlT_T0_E_clISt17integral_constantIbLb1EESX_IbLb0EEEEDaST_SU_EUlST_E_NS1_11comp_targetILNS1_3genE4ELNS1_11target_archE910ELNS1_3gpuE8ELNS1_3repE0EEENS1_30default_config_static_selectorELNS0_4arch9wavefront6targetE0EEEvT1_: ; @_ZN7rocprim17ROCPRIM_400000_NS6detail17trampoline_kernelINS0_14default_configENS1_27scan_by_key_config_selectorIxxEEZZNS1_16scan_by_key_implILNS1_25lookback_scan_determinismE0ELb0ES3_N6thrust23THRUST_200600_302600_NS6detail15normal_iteratorINS9_10device_ptrIxEEEESE_SE_xNS9_4plusIxEE19head_flag_predicatexEE10hipError_tPvRmT2_T3_T4_T5_mT6_T7_P12ihipStream_tbENKUlT_T0_E_clISt17integral_constantIbLb1EESX_IbLb0EEEEDaST_SU_EUlST_E_NS1_11comp_targetILNS1_3genE4ELNS1_11target_archE910ELNS1_3gpuE8ELNS1_3repE0EEENS1_30default_config_static_selectorELNS0_4arch9wavefront6targetE0EEEvT1_
; %bb.0:
	.section	.rodata,"a",@progbits
	.p2align	6, 0x0
	.amdhsa_kernel _ZN7rocprim17ROCPRIM_400000_NS6detail17trampoline_kernelINS0_14default_configENS1_27scan_by_key_config_selectorIxxEEZZNS1_16scan_by_key_implILNS1_25lookback_scan_determinismE0ELb0ES3_N6thrust23THRUST_200600_302600_NS6detail15normal_iteratorINS9_10device_ptrIxEEEESE_SE_xNS9_4plusIxEE19head_flag_predicatexEE10hipError_tPvRmT2_T3_T4_T5_mT6_T7_P12ihipStream_tbENKUlT_T0_E_clISt17integral_constantIbLb1EESX_IbLb0EEEEDaST_SU_EUlST_E_NS1_11comp_targetILNS1_3genE4ELNS1_11target_archE910ELNS1_3gpuE8ELNS1_3repE0EEENS1_30default_config_static_selectorELNS0_4arch9wavefront6targetE0EEEvT1_
		.amdhsa_group_segment_fixed_size 0
		.amdhsa_private_segment_fixed_size 0
		.amdhsa_kernarg_size 136
		.amdhsa_user_sgpr_count 6
		.amdhsa_user_sgpr_private_segment_buffer 1
		.amdhsa_user_sgpr_dispatch_ptr 0
		.amdhsa_user_sgpr_queue_ptr 0
		.amdhsa_user_sgpr_kernarg_segment_ptr 1
		.amdhsa_user_sgpr_dispatch_id 0
		.amdhsa_user_sgpr_flat_scratch_init 0
		.amdhsa_user_sgpr_private_segment_size 0
		.amdhsa_wavefront_size32 1
		.amdhsa_uses_dynamic_stack 0
		.amdhsa_system_sgpr_private_segment_wavefront_offset 0
		.amdhsa_system_sgpr_workgroup_id_x 1
		.amdhsa_system_sgpr_workgroup_id_y 0
		.amdhsa_system_sgpr_workgroup_id_z 0
		.amdhsa_system_sgpr_workgroup_info 0
		.amdhsa_system_vgpr_workitem_id 0
		.amdhsa_next_free_vgpr 1
		.amdhsa_next_free_sgpr 1
		.amdhsa_reserve_vcc 0
		.amdhsa_reserve_flat_scratch 0
		.amdhsa_float_round_mode_32 0
		.amdhsa_float_round_mode_16_64 0
		.amdhsa_float_denorm_mode_32 3
		.amdhsa_float_denorm_mode_16_64 3
		.amdhsa_dx10_clamp 1
		.amdhsa_ieee_mode 1
		.amdhsa_fp16_overflow 0
		.amdhsa_workgroup_processor_mode 1
		.amdhsa_memory_ordered 1
		.amdhsa_forward_progress 1
		.amdhsa_shared_vgpr_count 0
		.amdhsa_exception_fp_ieee_invalid_op 0
		.amdhsa_exception_fp_denorm_src 0
		.amdhsa_exception_fp_ieee_div_zero 0
		.amdhsa_exception_fp_ieee_overflow 0
		.amdhsa_exception_fp_ieee_underflow 0
		.amdhsa_exception_fp_ieee_inexact 0
		.amdhsa_exception_int_div_zero 0
	.end_amdhsa_kernel
	.section	.text._ZN7rocprim17ROCPRIM_400000_NS6detail17trampoline_kernelINS0_14default_configENS1_27scan_by_key_config_selectorIxxEEZZNS1_16scan_by_key_implILNS1_25lookback_scan_determinismE0ELb0ES3_N6thrust23THRUST_200600_302600_NS6detail15normal_iteratorINS9_10device_ptrIxEEEESE_SE_xNS9_4plusIxEE19head_flag_predicatexEE10hipError_tPvRmT2_T3_T4_T5_mT6_T7_P12ihipStream_tbENKUlT_T0_E_clISt17integral_constantIbLb1EESX_IbLb0EEEEDaST_SU_EUlST_E_NS1_11comp_targetILNS1_3genE4ELNS1_11target_archE910ELNS1_3gpuE8ELNS1_3repE0EEENS1_30default_config_static_selectorELNS0_4arch9wavefront6targetE0EEEvT1_,"axG",@progbits,_ZN7rocprim17ROCPRIM_400000_NS6detail17trampoline_kernelINS0_14default_configENS1_27scan_by_key_config_selectorIxxEEZZNS1_16scan_by_key_implILNS1_25lookback_scan_determinismE0ELb0ES3_N6thrust23THRUST_200600_302600_NS6detail15normal_iteratorINS9_10device_ptrIxEEEESE_SE_xNS9_4plusIxEE19head_flag_predicatexEE10hipError_tPvRmT2_T3_T4_T5_mT6_T7_P12ihipStream_tbENKUlT_T0_E_clISt17integral_constantIbLb1EESX_IbLb0EEEEDaST_SU_EUlST_E_NS1_11comp_targetILNS1_3genE4ELNS1_11target_archE910ELNS1_3gpuE8ELNS1_3repE0EEENS1_30default_config_static_selectorELNS0_4arch9wavefront6targetE0EEEvT1_,comdat
.Lfunc_end698:
	.size	_ZN7rocprim17ROCPRIM_400000_NS6detail17trampoline_kernelINS0_14default_configENS1_27scan_by_key_config_selectorIxxEEZZNS1_16scan_by_key_implILNS1_25lookback_scan_determinismE0ELb0ES3_N6thrust23THRUST_200600_302600_NS6detail15normal_iteratorINS9_10device_ptrIxEEEESE_SE_xNS9_4plusIxEE19head_flag_predicatexEE10hipError_tPvRmT2_T3_T4_T5_mT6_T7_P12ihipStream_tbENKUlT_T0_E_clISt17integral_constantIbLb1EESX_IbLb0EEEEDaST_SU_EUlST_E_NS1_11comp_targetILNS1_3genE4ELNS1_11target_archE910ELNS1_3gpuE8ELNS1_3repE0EEENS1_30default_config_static_selectorELNS0_4arch9wavefront6targetE0EEEvT1_, .Lfunc_end698-_ZN7rocprim17ROCPRIM_400000_NS6detail17trampoline_kernelINS0_14default_configENS1_27scan_by_key_config_selectorIxxEEZZNS1_16scan_by_key_implILNS1_25lookback_scan_determinismE0ELb0ES3_N6thrust23THRUST_200600_302600_NS6detail15normal_iteratorINS9_10device_ptrIxEEEESE_SE_xNS9_4plusIxEE19head_flag_predicatexEE10hipError_tPvRmT2_T3_T4_T5_mT6_T7_P12ihipStream_tbENKUlT_T0_E_clISt17integral_constantIbLb1EESX_IbLb0EEEEDaST_SU_EUlST_E_NS1_11comp_targetILNS1_3genE4ELNS1_11target_archE910ELNS1_3gpuE8ELNS1_3repE0EEENS1_30default_config_static_selectorELNS0_4arch9wavefront6targetE0EEEvT1_
                                        ; -- End function
	.set _ZN7rocprim17ROCPRIM_400000_NS6detail17trampoline_kernelINS0_14default_configENS1_27scan_by_key_config_selectorIxxEEZZNS1_16scan_by_key_implILNS1_25lookback_scan_determinismE0ELb0ES3_N6thrust23THRUST_200600_302600_NS6detail15normal_iteratorINS9_10device_ptrIxEEEESE_SE_xNS9_4plusIxEE19head_flag_predicatexEE10hipError_tPvRmT2_T3_T4_T5_mT6_T7_P12ihipStream_tbENKUlT_T0_E_clISt17integral_constantIbLb1EESX_IbLb0EEEEDaST_SU_EUlST_E_NS1_11comp_targetILNS1_3genE4ELNS1_11target_archE910ELNS1_3gpuE8ELNS1_3repE0EEENS1_30default_config_static_selectorELNS0_4arch9wavefront6targetE0EEEvT1_.num_vgpr, 0
	.set _ZN7rocprim17ROCPRIM_400000_NS6detail17trampoline_kernelINS0_14default_configENS1_27scan_by_key_config_selectorIxxEEZZNS1_16scan_by_key_implILNS1_25lookback_scan_determinismE0ELb0ES3_N6thrust23THRUST_200600_302600_NS6detail15normal_iteratorINS9_10device_ptrIxEEEESE_SE_xNS9_4plusIxEE19head_flag_predicatexEE10hipError_tPvRmT2_T3_T4_T5_mT6_T7_P12ihipStream_tbENKUlT_T0_E_clISt17integral_constantIbLb1EESX_IbLb0EEEEDaST_SU_EUlST_E_NS1_11comp_targetILNS1_3genE4ELNS1_11target_archE910ELNS1_3gpuE8ELNS1_3repE0EEENS1_30default_config_static_selectorELNS0_4arch9wavefront6targetE0EEEvT1_.num_agpr, 0
	.set _ZN7rocprim17ROCPRIM_400000_NS6detail17trampoline_kernelINS0_14default_configENS1_27scan_by_key_config_selectorIxxEEZZNS1_16scan_by_key_implILNS1_25lookback_scan_determinismE0ELb0ES3_N6thrust23THRUST_200600_302600_NS6detail15normal_iteratorINS9_10device_ptrIxEEEESE_SE_xNS9_4plusIxEE19head_flag_predicatexEE10hipError_tPvRmT2_T3_T4_T5_mT6_T7_P12ihipStream_tbENKUlT_T0_E_clISt17integral_constantIbLb1EESX_IbLb0EEEEDaST_SU_EUlST_E_NS1_11comp_targetILNS1_3genE4ELNS1_11target_archE910ELNS1_3gpuE8ELNS1_3repE0EEENS1_30default_config_static_selectorELNS0_4arch9wavefront6targetE0EEEvT1_.numbered_sgpr, 0
	.set _ZN7rocprim17ROCPRIM_400000_NS6detail17trampoline_kernelINS0_14default_configENS1_27scan_by_key_config_selectorIxxEEZZNS1_16scan_by_key_implILNS1_25lookback_scan_determinismE0ELb0ES3_N6thrust23THRUST_200600_302600_NS6detail15normal_iteratorINS9_10device_ptrIxEEEESE_SE_xNS9_4plusIxEE19head_flag_predicatexEE10hipError_tPvRmT2_T3_T4_T5_mT6_T7_P12ihipStream_tbENKUlT_T0_E_clISt17integral_constantIbLb1EESX_IbLb0EEEEDaST_SU_EUlST_E_NS1_11comp_targetILNS1_3genE4ELNS1_11target_archE910ELNS1_3gpuE8ELNS1_3repE0EEENS1_30default_config_static_selectorELNS0_4arch9wavefront6targetE0EEEvT1_.num_named_barrier, 0
	.set _ZN7rocprim17ROCPRIM_400000_NS6detail17trampoline_kernelINS0_14default_configENS1_27scan_by_key_config_selectorIxxEEZZNS1_16scan_by_key_implILNS1_25lookback_scan_determinismE0ELb0ES3_N6thrust23THRUST_200600_302600_NS6detail15normal_iteratorINS9_10device_ptrIxEEEESE_SE_xNS9_4plusIxEE19head_flag_predicatexEE10hipError_tPvRmT2_T3_T4_T5_mT6_T7_P12ihipStream_tbENKUlT_T0_E_clISt17integral_constantIbLb1EESX_IbLb0EEEEDaST_SU_EUlST_E_NS1_11comp_targetILNS1_3genE4ELNS1_11target_archE910ELNS1_3gpuE8ELNS1_3repE0EEENS1_30default_config_static_selectorELNS0_4arch9wavefront6targetE0EEEvT1_.private_seg_size, 0
	.set _ZN7rocprim17ROCPRIM_400000_NS6detail17trampoline_kernelINS0_14default_configENS1_27scan_by_key_config_selectorIxxEEZZNS1_16scan_by_key_implILNS1_25lookback_scan_determinismE0ELb0ES3_N6thrust23THRUST_200600_302600_NS6detail15normal_iteratorINS9_10device_ptrIxEEEESE_SE_xNS9_4plusIxEE19head_flag_predicatexEE10hipError_tPvRmT2_T3_T4_T5_mT6_T7_P12ihipStream_tbENKUlT_T0_E_clISt17integral_constantIbLb1EESX_IbLb0EEEEDaST_SU_EUlST_E_NS1_11comp_targetILNS1_3genE4ELNS1_11target_archE910ELNS1_3gpuE8ELNS1_3repE0EEENS1_30default_config_static_selectorELNS0_4arch9wavefront6targetE0EEEvT1_.uses_vcc, 0
	.set _ZN7rocprim17ROCPRIM_400000_NS6detail17trampoline_kernelINS0_14default_configENS1_27scan_by_key_config_selectorIxxEEZZNS1_16scan_by_key_implILNS1_25lookback_scan_determinismE0ELb0ES3_N6thrust23THRUST_200600_302600_NS6detail15normal_iteratorINS9_10device_ptrIxEEEESE_SE_xNS9_4plusIxEE19head_flag_predicatexEE10hipError_tPvRmT2_T3_T4_T5_mT6_T7_P12ihipStream_tbENKUlT_T0_E_clISt17integral_constantIbLb1EESX_IbLb0EEEEDaST_SU_EUlST_E_NS1_11comp_targetILNS1_3genE4ELNS1_11target_archE910ELNS1_3gpuE8ELNS1_3repE0EEENS1_30default_config_static_selectorELNS0_4arch9wavefront6targetE0EEEvT1_.uses_flat_scratch, 0
	.set _ZN7rocprim17ROCPRIM_400000_NS6detail17trampoline_kernelINS0_14default_configENS1_27scan_by_key_config_selectorIxxEEZZNS1_16scan_by_key_implILNS1_25lookback_scan_determinismE0ELb0ES3_N6thrust23THRUST_200600_302600_NS6detail15normal_iteratorINS9_10device_ptrIxEEEESE_SE_xNS9_4plusIxEE19head_flag_predicatexEE10hipError_tPvRmT2_T3_T4_T5_mT6_T7_P12ihipStream_tbENKUlT_T0_E_clISt17integral_constantIbLb1EESX_IbLb0EEEEDaST_SU_EUlST_E_NS1_11comp_targetILNS1_3genE4ELNS1_11target_archE910ELNS1_3gpuE8ELNS1_3repE0EEENS1_30default_config_static_selectorELNS0_4arch9wavefront6targetE0EEEvT1_.has_dyn_sized_stack, 0
	.set _ZN7rocprim17ROCPRIM_400000_NS6detail17trampoline_kernelINS0_14default_configENS1_27scan_by_key_config_selectorIxxEEZZNS1_16scan_by_key_implILNS1_25lookback_scan_determinismE0ELb0ES3_N6thrust23THRUST_200600_302600_NS6detail15normal_iteratorINS9_10device_ptrIxEEEESE_SE_xNS9_4plusIxEE19head_flag_predicatexEE10hipError_tPvRmT2_T3_T4_T5_mT6_T7_P12ihipStream_tbENKUlT_T0_E_clISt17integral_constantIbLb1EESX_IbLb0EEEEDaST_SU_EUlST_E_NS1_11comp_targetILNS1_3genE4ELNS1_11target_archE910ELNS1_3gpuE8ELNS1_3repE0EEENS1_30default_config_static_selectorELNS0_4arch9wavefront6targetE0EEEvT1_.has_recursion, 0
	.set _ZN7rocprim17ROCPRIM_400000_NS6detail17trampoline_kernelINS0_14default_configENS1_27scan_by_key_config_selectorIxxEEZZNS1_16scan_by_key_implILNS1_25lookback_scan_determinismE0ELb0ES3_N6thrust23THRUST_200600_302600_NS6detail15normal_iteratorINS9_10device_ptrIxEEEESE_SE_xNS9_4plusIxEE19head_flag_predicatexEE10hipError_tPvRmT2_T3_T4_T5_mT6_T7_P12ihipStream_tbENKUlT_T0_E_clISt17integral_constantIbLb1EESX_IbLb0EEEEDaST_SU_EUlST_E_NS1_11comp_targetILNS1_3genE4ELNS1_11target_archE910ELNS1_3gpuE8ELNS1_3repE0EEENS1_30default_config_static_selectorELNS0_4arch9wavefront6targetE0EEEvT1_.has_indirect_call, 0
	.section	.AMDGPU.csdata,"",@progbits
; Kernel info:
; codeLenInByte = 0
; TotalNumSgprs: 0
; NumVgprs: 0
; ScratchSize: 0
; MemoryBound: 0
; FloatMode: 240
; IeeeMode: 1
; LDSByteSize: 0 bytes/workgroup (compile time only)
; SGPRBlocks: 0
; VGPRBlocks: 0
; NumSGPRsForWavesPerEU: 1
; NumVGPRsForWavesPerEU: 1
; Occupancy: 16
; WaveLimiterHint : 0
; COMPUTE_PGM_RSRC2:SCRATCH_EN: 0
; COMPUTE_PGM_RSRC2:USER_SGPR: 6
; COMPUTE_PGM_RSRC2:TRAP_HANDLER: 0
; COMPUTE_PGM_RSRC2:TGID_X_EN: 1
; COMPUTE_PGM_RSRC2:TGID_Y_EN: 0
; COMPUTE_PGM_RSRC2:TGID_Z_EN: 0
; COMPUTE_PGM_RSRC2:TIDIG_COMP_CNT: 0
	.section	.text._ZN7rocprim17ROCPRIM_400000_NS6detail17trampoline_kernelINS0_14default_configENS1_27scan_by_key_config_selectorIxxEEZZNS1_16scan_by_key_implILNS1_25lookback_scan_determinismE0ELb0ES3_N6thrust23THRUST_200600_302600_NS6detail15normal_iteratorINS9_10device_ptrIxEEEESE_SE_xNS9_4plusIxEE19head_flag_predicatexEE10hipError_tPvRmT2_T3_T4_T5_mT6_T7_P12ihipStream_tbENKUlT_T0_E_clISt17integral_constantIbLb1EESX_IbLb0EEEEDaST_SU_EUlST_E_NS1_11comp_targetILNS1_3genE3ELNS1_11target_archE908ELNS1_3gpuE7ELNS1_3repE0EEENS1_30default_config_static_selectorELNS0_4arch9wavefront6targetE0EEEvT1_,"axG",@progbits,_ZN7rocprim17ROCPRIM_400000_NS6detail17trampoline_kernelINS0_14default_configENS1_27scan_by_key_config_selectorIxxEEZZNS1_16scan_by_key_implILNS1_25lookback_scan_determinismE0ELb0ES3_N6thrust23THRUST_200600_302600_NS6detail15normal_iteratorINS9_10device_ptrIxEEEESE_SE_xNS9_4plusIxEE19head_flag_predicatexEE10hipError_tPvRmT2_T3_T4_T5_mT6_T7_P12ihipStream_tbENKUlT_T0_E_clISt17integral_constantIbLb1EESX_IbLb0EEEEDaST_SU_EUlST_E_NS1_11comp_targetILNS1_3genE3ELNS1_11target_archE908ELNS1_3gpuE7ELNS1_3repE0EEENS1_30default_config_static_selectorELNS0_4arch9wavefront6targetE0EEEvT1_,comdat
	.protected	_ZN7rocprim17ROCPRIM_400000_NS6detail17trampoline_kernelINS0_14default_configENS1_27scan_by_key_config_selectorIxxEEZZNS1_16scan_by_key_implILNS1_25lookback_scan_determinismE0ELb0ES3_N6thrust23THRUST_200600_302600_NS6detail15normal_iteratorINS9_10device_ptrIxEEEESE_SE_xNS9_4plusIxEE19head_flag_predicatexEE10hipError_tPvRmT2_T3_T4_T5_mT6_T7_P12ihipStream_tbENKUlT_T0_E_clISt17integral_constantIbLb1EESX_IbLb0EEEEDaST_SU_EUlST_E_NS1_11comp_targetILNS1_3genE3ELNS1_11target_archE908ELNS1_3gpuE7ELNS1_3repE0EEENS1_30default_config_static_selectorELNS0_4arch9wavefront6targetE0EEEvT1_ ; -- Begin function _ZN7rocprim17ROCPRIM_400000_NS6detail17trampoline_kernelINS0_14default_configENS1_27scan_by_key_config_selectorIxxEEZZNS1_16scan_by_key_implILNS1_25lookback_scan_determinismE0ELb0ES3_N6thrust23THRUST_200600_302600_NS6detail15normal_iteratorINS9_10device_ptrIxEEEESE_SE_xNS9_4plusIxEE19head_flag_predicatexEE10hipError_tPvRmT2_T3_T4_T5_mT6_T7_P12ihipStream_tbENKUlT_T0_E_clISt17integral_constantIbLb1EESX_IbLb0EEEEDaST_SU_EUlST_E_NS1_11comp_targetILNS1_3genE3ELNS1_11target_archE908ELNS1_3gpuE7ELNS1_3repE0EEENS1_30default_config_static_selectorELNS0_4arch9wavefront6targetE0EEEvT1_
	.globl	_ZN7rocprim17ROCPRIM_400000_NS6detail17trampoline_kernelINS0_14default_configENS1_27scan_by_key_config_selectorIxxEEZZNS1_16scan_by_key_implILNS1_25lookback_scan_determinismE0ELb0ES3_N6thrust23THRUST_200600_302600_NS6detail15normal_iteratorINS9_10device_ptrIxEEEESE_SE_xNS9_4plusIxEE19head_flag_predicatexEE10hipError_tPvRmT2_T3_T4_T5_mT6_T7_P12ihipStream_tbENKUlT_T0_E_clISt17integral_constantIbLb1EESX_IbLb0EEEEDaST_SU_EUlST_E_NS1_11comp_targetILNS1_3genE3ELNS1_11target_archE908ELNS1_3gpuE7ELNS1_3repE0EEENS1_30default_config_static_selectorELNS0_4arch9wavefront6targetE0EEEvT1_
	.p2align	8
	.type	_ZN7rocprim17ROCPRIM_400000_NS6detail17trampoline_kernelINS0_14default_configENS1_27scan_by_key_config_selectorIxxEEZZNS1_16scan_by_key_implILNS1_25lookback_scan_determinismE0ELb0ES3_N6thrust23THRUST_200600_302600_NS6detail15normal_iteratorINS9_10device_ptrIxEEEESE_SE_xNS9_4plusIxEE19head_flag_predicatexEE10hipError_tPvRmT2_T3_T4_T5_mT6_T7_P12ihipStream_tbENKUlT_T0_E_clISt17integral_constantIbLb1EESX_IbLb0EEEEDaST_SU_EUlST_E_NS1_11comp_targetILNS1_3genE3ELNS1_11target_archE908ELNS1_3gpuE7ELNS1_3repE0EEENS1_30default_config_static_selectorELNS0_4arch9wavefront6targetE0EEEvT1_,@function
_ZN7rocprim17ROCPRIM_400000_NS6detail17trampoline_kernelINS0_14default_configENS1_27scan_by_key_config_selectorIxxEEZZNS1_16scan_by_key_implILNS1_25lookback_scan_determinismE0ELb0ES3_N6thrust23THRUST_200600_302600_NS6detail15normal_iteratorINS9_10device_ptrIxEEEESE_SE_xNS9_4plusIxEE19head_flag_predicatexEE10hipError_tPvRmT2_T3_T4_T5_mT6_T7_P12ihipStream_tbENKUlT_T0_E_clISt17integral_constantIbLb1EESX_IbLb0EEEEDaST_SU_EUlST_E_NS1_11comp_targetILNS1_3genE3ELNS1_11target_archE908ELNS1_3gpuE7ELNS1_3repE0EEENS1_30default_config_static_selectorELNS0_4arch9wavefront6targetE0EEEvT1_: ; @_ZN7rocprim17ROCPRIM_400000_NS6detail17trampoline_kernelINS0_14default_configENS1_27scan_by_key_config_selectorIxxEEZZNS1_16scan_by_key_implILNS1_25lookback_scan_determinismE0ELb0ES3_N6thrust23THRUST_200600_302600_NS6detail15normal_iteratorINS9_10device_ptrIxEEEESE_SE_xNS9_4plusIxEE19head_flag_predicatexEE10hipError_tPvRmT2_T3_T4_T5_mT6_T7_P12ihipStream_tbENKUlT_T0_E_clISt17integral_constantIbLb1EESX_IbLb0EEEEDaST_SU_EUlST_E_NS1_11comp_targetILNS1_3genE3ELNS1_11target_archE908ELNS1_3gpuE7ELNS1_3repE0EEENS1_30default_config_static_selectorELNS0_4arch9wavefront6targetE0EEEvT1_
; %bb.0:
	.section	.rodata,"a",@progbits
	.p2align	6, 0x0
	.amdhsa_kernel _ZN7rocprim17ROCPRIM_400000_NS6detail17trampoline_kernelINS0_14default_configENS1_27scan_by_key_config_selectorIxxEEZZNS1_16scan_by_key_implILNS1_25lookback_scan_determinismE0ELb0ES3_N6thrust23THRUST_200600_302600_NS6detail15normal_iteratorINS9_10device_ptrIxEEEESE_SE_xNS9_4plusIxEE19head_flag_predicatexEE10hipError_tPvRmT2_T3_T4_T5_mT6_T7_P12ihipStream_tbENKUlT_T0_E_clISt17integral_constantIbLb1EESX_IbLb0EEEEDaST_SU_EUlST_E_NS1_11comp_targetILNS1_3genE3ELNS1_11target_archE908ELNS1_3gpuE7ELNS1_3repE0EEENS1_30default_config_static_selectorELNS0_4arch9wavefront6targetE0EEEvT1_
		.amdhsa_group_segment_fixed_size 0
		.amdhsa_private_segment_fixed_size 0
		.amdhsa_kernarg_size 136
		.amdhsa_user_sgpr_count 6
		.amdhsa_user_sgpr_private_segment_buffer 1
		.amdhsa_user_sgpr_dispatch_ptr 0
		.amdhsa_user_sgpr_queue_ptr 0
		.amdhsa_user_sgpr_kernarg_segment_ptr 1
		.amdhsa_user_sgpr_dispatch_id 0
		.amdhsa_user_sgpr_flat_scratch_init 0
		.amdhsa_user_sgpr_private_segment_size 0
		.amdhsa_wavefront_size32 1
		.amdhsa_uses_dynamic_stack 0
		.amdhsa_system_sgpr_private_segment_wavefront_offset 0
		.amdhsa_system_sgpr_workgroup_id_x 1
		.amdhsa_system_sgpr_workgroup_id_y 0
		.amdhsa_system_sgpr_workgroup_id_z 0
		.amdhsa_system_sgpr_workgroup_info 0
		.amdhsa_system_vgpr_workitem_id 0
		.amdhsa_next_free_vgpr 1
		.amdhsa_next_free_sgpr 1
		.amdhsa_reserve_vcc 0
		.amdhsa_reserve_flat_scratch 0
		.amdhsa_float_round_mode_32 0
		.amdhsa_float_round_mode_16_64 0
		.amdhsa_float_denorm_mode_32 3
		.amdhsa_float_denorm_mode_16_64 3
		.amdhsa_dx10_clamp 1
		.amdhsa_ieee_mode 1
		.amdhsa_fp16_overflow 0
		.amdhsa_workgroup_processor_mode 1
		.amdhsa_memory_ordered 1
		.amdhsa_forward_progress 1
		.amdhsa_shared_vgpr_count 0
		.amdhsa_exception_fp_ieee_invalid_op 0
		.amdhsa_exception_fp_denorm_src 0
		.amdhsa_exception_fp_ieee_div_zero 0
		.amdhsa_exception_fp_ieee_overflow 0
		.amdhsa_exception_fp_ieee_underflow 0
		.amdhsa_exception_fp_ieee_inexact 0
		.amdhsa_exception_int_div_zero 0
	.end_amdhsa_kernel
	.section	.text._ZN7rocprim17ROCPRIM_400000_NS6detail17trampoline_kernelINS0_14default_configENS1_27scan_by_key_config_selectorIxxEEZZNS1_16scan_by_key_implILNS1_25lookback_scan_determinismE0ELb0ES3_N6thrust23THRUST_200600_302600_NS6detail15normal_iteratorINS9_10device_ptrIxEEEESE_SE_xNS9_4plusIxEE19head_flag_predicatexEE10hipError_tPvRmT2_T3_T4_T5_mT6_T7_P12ihipStream_tbENKUlT_T0_E_clISt17integral_constantIbLb1EESX_IbLb0EEEEDaST_SU_EUlST_E_NS1_11comp_targetILNS1_3genE3ELNS1_11target_archE908ELNS1_3gpuE7ELNS1_3repE0EEENS1_30default_config_static_selectorELNS0_4arch9wavefront6targetE0EEEvT1_,"axG",@progbits,_ZN7rocprim17ROCPRIM_400000_NS6detail17trampoline_kernelINS0_14default_configENS1_27scan_by_key_config_selectorIxxEEZZNS1_16scan_by_key_implILNS1_25lookback_scan_determinismE0ELb0ES3_N6thrust23THRUST_200600_302600_NS6detail15normal_iteratorINS9_10device_ptrIxEEEESE_SE_xNS9_4plusIxEE19head_flag_predicatexEE10hipError_tPvRmT2_T3_T4_T5_mT6_T7_P12ihipStream_tbENKUlT_T0_E_clISt17integral_constantIbLb1EESX_IbLb0EEEEDaST_SU_EUlST_E_NS1_11comp_targetILNS1_3genE3ELNS1_11target_archE908ELNS1_3gpuE7ELNS1_3repE0EEENS1_30default_config_static_selectorELNS0_4arch9wavefront6targetE0EEEvT1_,comdat
.Lfunc_end699:
	.size	_ZN7rocprim17ROCPRIM_400000_NS6detail17trampoline_kernelINS0_14default_configENS1_27scan_by_key_config_selectorIxxEEZZNS1_16scan_by_key_implILNS1_25lookback_scan_determinismE0ELb0ES3_N6thrust23THRUST_200600_302600_NS6detail15normal_iteratorINS9_10device_ptrIxEEEESE_SE_xNS9_4plusIxEE19head_flag_predicatexEE10hipError_tPvRmT2_T3_T4_T5_mT6_T7_P12ihipStream_tbENKUlT_T0_E_clISt17integral_constantIbLb1EESX_IbLb0EEEEDaST_SU_EUlST_E_NS1_11comp_targetILNS1_3genE3ELNS1_11target_archE908ELNS1_3gpuE7ELNS1_3repE0EEENS1_30default_config_static_selectorELNS0_4arch9wavefront6targetE0EEEvT1_, .Lfunc_end699-_ZN7rocprim17ROCPRIM_400000_NS6detail17trampoline_kernelINS0_14default_configENS1_27scan_by_key_config_selectorIxxEEZZNS1_16scan_by_key_implILNS1_25lookback_scan_determinismE0ELb0ES3_N6thrust23THRUST_200600_302600_NS6detail15normal_iteratorINS9_10device_ptrIxEEEESE_SE_xNS9_4plusIxEE19head_flag_predicatexEE10hipError_tPvRmT2_T3_T4_T5_mT6_T7_P12ihipStream_tbENKUlT_T0_E_clISt17integral_constantIbLb1EESX_IbLb0EEEEDaST_SU_EUlST_E_NS1_11comp_targetILNS1_3genE3ELNS1_11target_archE908ELNS1_3gpuE7ELNS1_3repE0EEENS1_30default_config_static_selectorELNS0_4arch9wavefront6targetE0EEEvT1_
                                        ; -- End function
	.set _ZN7rocprim17ROCPRIM_400000_NS6detail17trampoline_kernelINS0_14default_configENS1_27scan_by_key_config_selectorIxxEEZZNS1_16scan_by_key_implILNS1_25lookback_scan_determinismE0ELb0ES3_N6thrust23THRUST_200600_302600_NS6detail15normal_iteratorINS9_10device_ptrIxEEEESE_SE_xNS9_4plusIxEE19head_flag_predicatexEE10hipError_tPvRmT2_T3_T4_T5_mT6_T7_P12ihipStream_tbENKUlT_T0_E_clISt17integral_constantIbLb1EESX_IbLb0EEEEDaST_SU_EUlST_E_NS1_11comp_targetILNS1_3genE3ELNS1_11target_archE908ELNS1_3gpuE7ELNS1_3repE0EEENS1_30default_config_static_selectorELNS0_4arch9wavefront6targetE0EEEvT1_.num_vgpr, 0
	.set _ZN7rocprim17ROCPRIM_400000_NS6detail17trampoline_kernelINS0_14default_configENS1_27scan_by_key_config_selectorIxxEEZZNS1_16scan_by_key_implILNS1_25lookback_scan_determinismE0ELb0ES3_N6thrust23THRUST_200600_302600_NS6detail15normal_iteratorINS9_10device_ptrIxEEEESE_SE_xNS9_4plusIxEE19head_flag_predicatexEE10hipError_tPvRmT2_T3_T4_T5_mT6_T7_P12ihipStream_tbENKUlT_T0_E_clISt17integral_constantIbLb1EESX_IbLb0EEEEDaST_SU_EUlST_E_NS1_11comp_targetILNS1_3genE3ELNS1_11target_archE908ELNS1_3gpuE7ELNS1_3repE0EEENS1_30default_config_static_selectorELNS0_4arch9wavefront6targetE0EEEvT1_.num_agpr, 0
	.set _ZN7rocprim17ROCPRIM_400000_NS6detail17trampoline_kernelINS0_14default_configENS1_27scan_by_key_config_selectorIxxEEZZNS1_16scan_by_key_implILNS1_25lookback_scan_determinismE0ELb0ES3_N6thrust23THRUST_200600_302600_NS6detail15normal_iteratorINS9_10device_ptrIxEEEESE_SE_xNS9_4plusIxEE19head_flag_predicatexEE10hipError_tPvRmT2_T3_T4_T5_mT6_T7_P12ihipStream_tbENKUlT_T0_E_clISt17integral_constantIbLb1EESX_IbLb0EEEEDaST_SU_EUlST_E_NS1_11comp_targetILNS1_3genE3ELNS1_11target_archE908ELNS1_3gpuE7ELNS1_3repE0EEENS1_30default_config_static_selectorELNS0_4arch9wavefront6targetE0EEEvT1_.numbered_sgpr, 0
	.set _ZN7rocprim17ROCPRIM_400000_NS6detail17trampoline_kernelINS0_14default_configENS1_27scan_by_key_config_selectorIxxEEZZNS1_16scan_by_key_implILNS1_25lookback_scan_determinismE0ELb0ES3_N6thrust23THRUST_200600_302600_NS6detail15normal_iteratorINS9_10device_ptrIxEEEESE_SE_xNS9_4plusIxEE19head_flag_predicatexEE10hipError_tPvRmT2_T3_T4_T5_mT6_T7_P12ihipStream_tbENKUlT_T0_E_clISt17integral_constantIbLb1EESX_IbLb0EEEEDaST_SU_EUlST_E_NS1_11comp_targetILNS1_3genE3ELNS1_11target_archE908ELNS1_3gpuE7ELNS1_3repE0EEENS1_30default_config_static_selectorELNS0_4arch9wavefront6targetE0EEEvT1_.num_named_barrier, 0
	.set _ZN7rocprim17ROCPRIM_400000_NS6detail17trampoline_kernelINS0_14default_configENS1_27scan_by_key_config_selectorIxxEEZZNS1_16scan_by_key_implILNS1_25lookback_scan_determinismE0ELb0ES3_N6thrust23THRUST_200600_302600_NS6detail15normal_iteratorINS9_10device_ptrIxEEEESE_SE_xNS9_4plusIxEE19head_flag_predicatexEE10hipError_tPvRmT2_T3_T4_T5_mT6_T7_P12ihipStream_tbENKUlT_T0_E_clISt17integral_constantIbLb1EESX_IbLb0EEEEDaST_SU_EUlST_E_NS1_11comp_targetILNS1_3genE3ELNS1_11target_archE908ELNS1_3gpuE7ELNS1_3repE0EEENS1_30default_config_static_selectorELNS0_4arch9wavefront6targetE0EEEvT1_.private_seg_size, 0
	.set _ZN7rocprim17ROCPRIM_400000_NS6detail17trampoline_kernelINS0_14default_configENS1_27scan_by_key_config_selectorIxxEEZZNS1_16scan_by_key_implILNS1_25lookback_scan_determinismE0ELb0ES3_N6thrust23THRUST_200600_302600_NS6detail15normal_iteratorINS9_10device_ptrIxEEEESE_SE_xNS9_4plusIxEE19head_flag_predicatexEE10hipError_tPvRmT2_T3_T4_T5_mT6_T7_P12ihipStream_tbENKUlT_T0_E_clISt17integral_constantIbLb1EESX_IbLb0EEEEDaST_SU_EUlST_E_NS1_11comp_targetILNS1_3genE3ELNS1_11target_archE908ELNS1_3gpuE7ELNS1_3repE0EEENS1_30default_config_static_selectorELNS0_4arch9wavefront6targetE0EEEvT1_.uses_vcc, 0
	.set _ZN7rocprim17ROCPRIM_400000_NS6detail17trampoline_kernelINS0_14default_configENS1_27scan_by_key_config_selectorIxxEEZZNS1_16scan_by_key_implILNS1_25lookback_scan_determinismE0ELb0ES3_N6thrust23THRUST_200600_302600_NS6detail15normal_iteratorINS9_10device_ptrIxEEEESE_SE_xNS9_4plusIxEE19head_flag_predicatexEE10hipError_tPvRmT2_T3_T4_T5_mT6_T7_P12ihipStream_tbENKUlT_T0_E_clISt17integral_constantIbLb1EESX_IbLb0EEEEDaST_SU_EUlST_E_NS1_11comp_targetILNS1_3genE3ELNS1_11target_archE908ELNS1_3gpuE7ELNS1_3repE0EEENS1_30default_config_static_selectorELNS0_4arch9wavefront6targetE0EEEvT1_.uses_flat_scratch, 0
	.set _ZN7rocprim17ROCPRIM_400000_NS6detail17trampoline_kernelINS0_14default_configENS1_27scan_by_key_config_selectorIxxEEZZNS1_16scan_by_key_implILNS1_25lookback_scan_determinismE0ELb0ES3_N6thrust23THRUST_200600_302600_NS6detail15normal_iteratorINS9_10device_ptrIxEEEESE_SE_xNS9_4plusIxEE19head_flag_predicatexEE10hipError_tPvRmT2_T3_T4_T5_mT6_T7_P12ihipStream_tbENKUlT_T0_E_clISt17integral_constantIbLb1EESX_IbLb0EEEEDaST_SU_EUlST_E_NS1_11comp_targetILNS1_3genE3ELNS1_11target_archE908ELNS1_3gpuE7ELNS1_3repE0EEENS1_30default_config_static_selectorELNS0_4arch9wavefront6targetE0EEEvT1_.has_dyn_sized_stack, 0
	.set _ZN7rocprim17ROCPRIM_400000_NS6detail17trampoline_kernelINS0_14default_configENS1_27scan_by_key_config_selectorIxxEEZZNS1_16scan_by_key_implILNS1_25lookback_scan_determinismE0ELb0ES3_N6thrust23THRUST_200600_302600_NS6detail15normal_iteratorINS9_10device_ptrIxEEEESE_SE_xNS9_4plusIxEE19head_flag_predicatexEE10hipError_tPvRmT2_T3_T4_T5_mT6_T7_P12ihipStream_tbENKUlT_T0_E_clISt17integral_constantIbLb1EESX_IbLb0EEEEDaST_SU_EUlST_E_NS1_11comp_targetILNS1_3genE3ELNS1_11target_archE908ELNS1_3gpuE7ELNS1_3repE0EEENS1_30default_config_static_selectorELNS0_4arch9wavefront6targetE0EEEvT1_.has_recursion, 0
	.set _ZN7rocprim17ROCPRIM_400000_NS6detail17trampoline_kernelINS0_14default_configENS1_27scan_by_key_config_selectorIxxEEZZNS1_16scan_by_key_implILNS1_25lookback_scan_determinismE0ELb0ES3_N6thrust23THRUST_200600_302600_NS6detail15normal_iteratorINS9_10device_ptrIxEEEESE_SE_xNS9_4plusIxEE19head_flag_predicatexEE10hipError_tPvRmT2_T3_T4_T5_mT6_T7_P12ihipStream_tbENKUlT_T0_E_clISt17integral_constantIbLb1EESX_IbLb0EEEEDaST_SU_EUlST_E_NS1_11comp_targetILNS1_3genE3ELNS1_11target_archE908ELNS1_3gpuE7ELNS1_3repE0EEENS1_30default_config_static_selectorELNS0_4arch9wavefront6targetE0EEEvT1_.has_indirect_call, 0
	.section	.AMDGPU.csdata,"",@progbits
; Kernel info:
; codeLenInByte = 0
; TotalNumSgprs: 0
; NumVgprs: 0
; ScratchSize: 0
; MemoryBound: 0
; FloatMode: 240
; IeeeMode: 1
; LDSByteSize: 0 bytes/workgroup (compile time only)
; SGPRBlocks: 0
; VGPRBlocks: 0
; NumSGPRsForWavesPerEU: 1
; NumVGPRsForWavesPerEU: 1
; Occupancy: 16
; WaveLimiterHint : 0
; COMPUTE_PGM_RSRC2:SCRATCH_EN: 0
; COMPUTE_PGM_RSRC2:USER_SGPR: 6
; COMPUTE_PGM_RSRC2:TRAP_HANDLER: 0
; COMPUTE_PGM_RSRC2:TGID_X_EN: 1
; COMPUTE_PGM_RSRC2:TGID_Y_EN: 0
; COMPUTE_PGM_RSRC2:TGID_Z_EN: 0
; COMPUTE_PGM_RSRC2:TIDIG_COMP_CNT: 0
	.section	.text._ZN7rocprim17ROCPRIM_400000_NS6detail17trampoline_kernelINS0_14default_configENS1_27scan_by_key_config_selectorIxxEEZZNS1_16scan_by_key_implILNS1_25lookback_scan_determinismE0ELb0ES3_N6thrust23THRUST_200600_302600_NS6detail15normal_iteratorINS9_10device_ptrIxEEEESE_SE_xNS9_4plusIxEE19head_flag_predicatexEE10hipError_tPvRmT2_T3_T4_T5_mT6_T7_P12ihipStream_tbENKUlT_T0_E_clISt17integral_constantIbLb1EESX_IbLb0EEEEDaST_SU_EUlST_E_NS1_11comp_targetILNS1_3genE2ELNS1_11target_archE906ELNS1_3gpuE6ELNS1_3repE0EEENS1_30default_config_static_selectorELNS0_4arch9wavefront6targetE0EEEvT1_,"axG",@progbits,_ZN7rocprim17ROCPRIM_400000_NS6detail17trampoline_kernelINS0_14default_configENS1_27scan_by_key_config_selectorIxxEEZZNS1_16scan_by_key_implILNS1_25lookback_scan_determinismE0ELb0ES3_N6thrust23THRUST_200600_302600_NS6detail15normal_iteratorINS9_10device_ptrIxEEEESE_SE_xNS9_4plusIxEE19head_flag_predicatexEE10hipError_tPvRmT2_T3_T4_T5_mT6_T7_P12ihipStream_tbENKUlT_T0_E_clISt17integral_constantIbLb1EESX_IbLb0EEEEDaST_SU_EUlST_E_NS1_11comp_targetILNS1_3genE2ELNS1_11target_archE906ELNS1_3gpuE6ELNS1_3repE0EEENS1_30default_config_static_selectorELNS0_4arch9wavefront6targetE0EEEvT1_,comdat
	.protected	_ZN7rocprim17ROCPRIM_400000_NS6detail17trampoline_kernelINS0_14default_configENS1_27scan_by_key_config_selectorIxxEEZZNS1_16scan_by_key_implILNS1_25lookback_scan_determinismE0ELb0ES3_N6thrust23THRUST_200600_302600_NS6detail15normal_iteratorINS9_10device_ptrIxEEEESE_SE_xNS9_4plusIxEE19head_flag_predicatexEE10hipError_tPvRmT2_T3_T4_T5_mT6_T7_P12ihipStream_tbENKUlT_T0_E_clISt17integral_constantIbLb1EESX_IbLb0EEEEDaST_SU_EUlST_E_NS1_11comp_targetILNS1_3genE2ELNS1_11target_archE906ELNS1_3gpuE6ELNS1_3repE0EEENS1_30default_config_static_selectorELNS0_4arch9wavefront6targetE0EEEvT1_ ; -- Begin function _ZN7rocprim17ROCPRIM_400000_NS6detail17trampoline_kernelINS0_14default_configENS1_27scan_by_key_config_selectorIxxEEZZNS1_16scan_by_key_implILNS1_25lookback_scan_determinismE0ELb0ES3_N6thrust23THRUST_200600_302600_NS6detail15normal_iteratorINS9_10device_ptrIxEEEESE_SE_xNS9_4plusIxEE19head_flag_predicatexEE10hipError_tPvRmT2_T3_T4_T5_mT6_T7_P12ihipStream_tbENKUlT_T0_E_clISt17integral_constantIbLb1EESX_IbLb0EEEEDaST_SU_EUlST_E_NS1_11comp_targetILNS1_3genE2ELNS1_11target_archE906ELNS1_3gpuE6ELNS1_3repE0EEENS1_30default_config_static_selectorELNS0_4arch9wavefront6targetE0EEEvT1_
	.globl	_ZN7rocprim17ROCPRIM_400000_NS6detail17trampoline_kernelINS0_14default_configENS1_27scan_by_key_config_selectorIxxEEZZNS1_16scan_by_key_implILNS1_25lookback_scan_determinismE0ELb0ES3_N6thrust23THRUST_200600_302600_NS6detail15normal_iteratorINS9_10device_ptrIxEEEESE_SE_xNS9_4plusIxEE19head_flag_predicatexEE10hipError_tPvRmT2_T3_T4_T5_mT6_T7_P12ihipStream_tbENKUlT_T0_E_clISt17integral_constantIbLb1EESX_IbLb0EEEEDaST_SU_EUlST_E_NS1_11comp_targetILNS1_3genE2ELNS1_11target_archE906ELNS1_3gpuE6ELNS1_3repE0EEENS1_30default_config_static_selectorELNS0_4arch9wavefront6targetE0EEEvT1_
	.p2align	8
	.type	_ZN7rocprim17ROCPRIM_400000_NS6detail17trampoline_kernelINS0_14default_configENS1_27scan_by_key_config_selectorIxxEEZZNS1_16scan_by_key_implILNS1_25lookback_scan_determinismE0ELb0ES3_N6thrust23THRUST_200600_302600_NS6detail15normal_iteratorINS9_10device_ptrIxEEEESE_SE_xNS9_4plusIxEE19head_flag_predicatexEE10hipError_tPvRmT2_T3_T4_T5_mT6_T7_P12ihipStream_tbENKUlT_T0_E_clISt17integral_constantIbLb1EESX_IbLb0EEEEDaST_SU_EUlST_E_NS1_11comp_targetILNS1_3genE2ELNS1_11target_archE906ELNS1_3gpuE6ELNS1_3repE0EEENS1_30default_config_static_selectorELNS0_4arch9wavefront6targetE0EEEvT1_,@function
_ZN7rocprim17ROCPRIM_400000_NS6detail17trampoline_kernelINS0_14default_configENS1_27scan_by_key_config_selectorIxxEEZZNS1_16scan_by_key_implILNS1_25lookback_scan_determinismE0ELb0ES3_N6thrust23THRUST_200600_302600_NS6detail15normal_iteratorINS9_10device_ptrIxEEEESE_SE_xNS9_4plusIxEE19head_flag_predicatexEE10hipError_tPvRmT2_T3_T4_T5_mT6_T7_P12ihipStream_tbENKUlT_T0_E_clISt17integral_constantIbLb1EESX_IbLb0EEEEDaST_SU_EUlST_E_NS1_11comp_targetILNS1_3genE2ELNS1_11target_archE906ELNS1_3gpuE6ELNS1_3repE0EEENS1_30default_config_static_selectorELNS0_4arch9wavefront6targetE0EEEvT1_: ; @_ZN7rocprim17ROCPRIM_400000_NS6detail17trampoline_kernelINS0_14default_configENS1_27scan_by_key_config_selectorIxxEEZZNS1_16scan_by_key_implILNS1_25lookback_scan_determinismE0ELb0ES3_N6thrust23THRUST_200600_302600_NS6detail15normal_iteratorINS9_10device_ptrIxEEEESE_SE_xNS9_4plusIxEE19head_flag_predicatexEE10hipError_tPvRmT2_T3_T4_T5_mT6_T7_P12ihipStream_tbENKUlT_T0_E_clISt17integral_constantIbLb1EESX_IbLb0EEEEDaST_SU_EUlST_E_NS1_11comp_targetILNS1_3genE2ELNS1_11target_archE906ELNS1_3gpuE6ELNS1_3repE0EEENS1_30default_config_static_selectorELNS0_4arch9wavefront6targetE0EEEvT1_
; %bb.0:
	.section	.rodata,"a",@progbits
	.p2align	6, 0x0
	.amdhsa_kernel _ZN7rocprim17ROCPRIM_400000_NS6detail17trampoline_kernelINS0_14default_configENS1_27scan_by_key_config_selectorIxxEEZZNS1_16scan_by_key_implILNS1_25lookback_scan_determinismE0ELb0ES3_N6thrust23THRUST_200600_302600_NS6detail15normal_iteratorINS9_10device_ptrIxEEEESE_SE_xNS9_4plusIxEE19head_flag_predicatexEE10hipError_tPvRmT2_T3_T4_T5_mT6_T7_P12ihipStream_tbENKUlT_T0_E_clISt17integral_constantIbLb1EESX_IbLb0EEEEDaST_SU_EUlST_E_NS1_11comp_targetILNS1_3genE2ELNS1_11target_archE906ELNS1_3gpuE6ELNS1_3repE0EEENS1_30default_config_static_selectorELNS0_4arch9wavefront6targetE0EEEvT1_
		.amdhsa_group_segment_fixed_size 0
		.amdhsa_private_segment_fixed_size 0
		.amdhsa_kernarg_size 136
		.amdhsa_user_sgpr_count 6
		.amdhsa_user_sgpr_private_segment_buffer 1
		.amdhsa_user_sgpr_dispatch_ptr 0
		.amdhsa_user_sgpr_queue_ptr 0
		.amdhsa_user_sgpr_kernarg_segment_ptr 1
		.amdhsa_user_sgpr_dispatch_id 0
		.amdhsa_user_sgpr_flat_scratch_init 0
		.amdhsa_user_sgpr_private_segment_size 0
		.amdhsa_wavefront_size32 1
		.amdhsa_uses_dynamic_stack 0
		.amdhsa_system_sgpr_private_segment_wavefront_offset 0
		.amdhsa_system_sgpr_workgroup_id_x 1
		.amdhsa_system_sgpr_workgroup_id_y 0
		.amdhsa_system_sgpr_workgroup_id_z 0
		.amdhsa_system_sgpr_workgroup_info 0
		.amdhsa_system_vgpr_workitem_id 0
		.amdhsa_next_free_vgpr 1
		.amdhsa_next_free_sgpr 1
		.amdhsa_reserve_vcc 0
		.amdhsa_reserve_flat_scratch 0
		.amdhsa_float_round_mode_32 0
		.amdhsa_float_round_mode_16_64 0
		.amdhsa_float_denorm_mode_32 3
		.amdhsa_float_denorm_mode_16_64 3
		.amdhsa_dx10_clamp 1
		.amdhsa_ieee_mode 1
		.amdhsa_fp16_overflow 0
		.amdhsa_workgroup_processor_mode 1
		.amdhsa_memory_ordered 1
		.amdhsa_forward_progress 1
		.amdhsa_shared_vgpr_count 0
		.amdhsa_exception_fp_ieee_invalid_op 0
		.amdhsa_exception_fp_denorm_src 0
		.amdhsa_exception_fp_ieee_div_zero 0
		.amdhsa_exception_fp_ieee_overflow 0
		.amdhsa_exception_fp_ieee_underflow 0
		.amdhsa_exception_fp_ieee_inexact 0
		.amdhsa_exception_int_div_zero 0
	.end_amdhsa_kernel
	.section	.text._ZN7rocprim17ROCPRIM_400000_NS6detail17trampoline_kernelINS0_14default_configENS1_27scan_by_key_config_selectorIxxEEZZNS1_16scan_by_key_implILNS1_25lookback_scan_determinismE0ELb0ES3_N6thrust23THRUST_200600_302600_NS6detail15normal_iteratorINS9_10device_ptrIxEEEESE_SE_xNS9_4plusIxEE19head_flag_predicatexEE10hipError_tPvRmT2_T3_T4_T5_mT6_T7_P12ihipStream_tbENKUlT_T0_E_clISt17integral_constantIbLb1EESX_IbLb0EEEEDaST_SU_EUlST_E_NS1_11comp_targetILNS1_3genE2ELNS1_11target_archE906ELNS1_3gpuE6ELNS1_3repE0EEENS1_30default_config_static_selectorELNS0_4arch9wavefront6targetE0EEEvT1_,"axG",@progbits,_ZN7rocprim17ROCPRIM_400000_NS6detail17trampoline_kernelINS0_14default_configENS1_27scan_by_key_config_selectorIxxEEZZNS1_16scan_by_key_implILNS1_25lookback_scan_determinismE0ELb0ES3_N6thrust23THRUST_200600_302600_NS6detail15normal_iteratorINS9_10device_ptrIxEEEESE_SE_xNS9_4plusIxEE19head_flag_predicatexEE10hipError_tPvRmT2_T3_T4_T5_mT6_T7_P12ihipStream_tbENKUlT_T0_E_clISt17integral_constantIbLb1EESX_IbLb0EEEEDaST_SU_EUlST_E_NS1_11comp_targetILNS1_3genE2ELNS1_11target_archE906ELNS1_3gpuE6ELNS1_3repE0EEENS1_30default_config_static_selectorELNS0_4arch9wavefront6targetE0EEEvT1_,comdat
.Lfunc_end700:
	.size	_ZN7rocprim17ROCPRIM_400000_NS6detail17trampoline_kernelINS0_14default_configENS1_27scan_by_key_config_selectorIxxEEZZNS1_16scan_by_key_implILNS1_25lookback_scan_determinismE0ELb0ES3_N6thrust23THRUST_200600_302600_NS6detail15normal_iteratorINS9_10device_ptrIxEEEESE_SE_xNS9_4plusIxEE19head_flag_predicatexEE10hipError_tPvRmT2_T3_T4_T5_mT6_T7_P12ihipStream_tbENKUlT_T0_E_clISt17integral_constantIbLb1EESX_IbLb0EEEEDaST_SU_EUlST_E_NS1_11comp_targetILNS1_3genE2ELNS1_11target_archE906ELNS1_3gpuE6ELNS1_3repE0EEENS1_30default_config_static_selectorELNS0_4arch9wavefront6targetE0EEEvT1_, .Lfunc_end700-_ZN7rocprim17ROCPRIM_400000_NS6detail17trampoline_kernelINS0_14default_configENS1_27scan_by_key_config_selectorIxxEEZZNS1_16scan_by_key_implILNS1_25lookback_scan_determinismE0ELb0ES3_N6thrust23THRUST_200600_302600_NS6detail15normal_iteratorINS9_10device_ptrIxEEEESE_SE_xNS9_4plusIxEE19head_flag_predicatexEE10hipError_tPvRmT2_T3_T4_T5_mT6_T7_P12ihipStream_tbENKUlT_T0_E_clISt17integral_constantIbLb1EESX_IbLb0EEEEDaST_SU_EUlST_E_NS1_11comp_targetILNS1_3genE2ELNS1_11target_archE906ELNS1_3gpuE6ELNS1_3repE0EEENS1_30default_config_static_selectorELNS0_4arch9wavefront6targetE0EEEvT1_
                                        ; -- End function
	.set _ZN7rocprim17ROCPRIM_400000_NS6detail17trampoline_kernelINS0_14default_configENS1_27scan_by_key_config_selectorIxxEEZZNS1_16scan_by_key_implILNS1_25lookback_scan_determinismE0ELb0ES3_N6thrust23THRUST_200600_302600_NS6detail15normal_iteratorINS9_10device_ptrIxEEEESE_SE_xNS9_4plusIxEE19head_flag_predicatexEE10hipError_tPvRmT2_T3_T4_T5_mT6_T7_P12ihipStream_tbENKUlT_T0_E_clISt17integral_constantIbLb1EESX_IbLb0EEEEDaST_SU_EUlST_E_NS1_11comp_targetILNS1_3genE2ELNS1_11target_archE906ELNS1_3gpuE6ELNS1_3repE0EEENS1_30default_config_static_selectorELNS0_4arch9wavefront6targetE0EEEvT1_.num_vgpr, 0
	.set _ZN7rocprim17ROCPRIM_400000_NS6detail17trampoline_kernelINS0_14default_configENS1_27scan_by_key_config_selectorIxxEEZZNS1_16scan_by_key_implILNS1_25lookback_scan_determinismE0ELb0ES3_N6thrust23THRUST_200600_302600_NS6detail15normal_iteratorINS9_10device_ptrIxEEEESE_SE_xNS9_4plusIxEE19head_flag_predicatexEE10hipError_tPvRmT2_T3_T4_T5_mT6_T7_P12ihipStream_tbENKUlT_T0_E_clISt17integral_constantIbLb1EESX_IbLb0EEEEDaST_SU_EUlST_E_NS1_11comp_targetILNS1_3genE2ELNS1_11target_archE906ELNS1_3gpuE6ELNS1_3repE0EEENS1_30default_config_static_selectorELNS0_4arch9wavefront6targetE0EEEvT1_.num_agpr, 0
	.set _ZN7rocprim17ROCPRIM_400000_NS6detail17trampoline_kernelINS0_14default_configENS1_27scan_by_key_config_selectorIxxEEZZNS1_16scan_by_key_implILNS1_25lookback_scan_determinismE0ELb0ES3_N6thrust23THRUST_200600_302600_NS6detail15normal_iteratorINS9_10device_ptrIxEEEESE_SE_xNS9_4plusIxEE19head_flag_predicatexEE10hipError_tPvRmT2_T3_T4_T5_mT6_T7_P12ihipStream_tbENKUlT_T0_E_clISt17integral_constantIbLb1EESX_IbLb0EEEEDaST_SU_EUlST_E_NS1_11comp_targetILNS1_3genE2ELNS1_11target_archE906ELNS1_3gpuE6ELNS1_3repE0EEENS1_30default_config_static_selectorELNS0_4arch9wavefront6targetE0EEEvT1_.numbered_sgpr, 0
	.set _ZN7rocprim17ROCPRIM_400000_NS6detail17trampoline_kernelINS0_14default_configENS1_27scan_by_key_config_selectorIxxEEZZNS1_16scan_by_key_implILNS1_25lookback_scan_determinismE0ELb0ES3_N6thrust23THRUST_200600_302600_NS6detail15normal_iteratorINS9_10device_ptrIxEEEESE_SE_xNS9_4plusIxEE19head_flag_predicatexEE10hipError_tPvRmT2_T3_T4_T5_mT6_T7_P12ihipStream_tbENKUlT_T0_E_clISt17integral_constantIbLb1EESX_IbLb0EEEEDaST_SU_EUlST_E_NS1_11comp_targetILNS1_3genE2ELNS1_11target_archE906ELNS1_3gpuE6ELNS1_3repE0EEENS1_30default_config_static_selectorELNS0_4arch9wavefront6targetE0EEEvT1_.num_named_barrier, 0
	.set _ZN7rocprim17ROCPRIM_400000_NS6detail17trampoline_kernelINS0_14default_configENS1_27scan_by_key_config_selectorIxxEEZZNS1_16scan_by_key_implILNS1_25lookback_scan_determinismE0ELb0ES3_N6thrust23THRUST_200600_302600_NS6detail15normal_iteratorINS9_10device_ptrIxEEEESE_SE_xNS9_4plusIxEE19head_flag_predicatexEE10hipError_tPvRmT2_T3_T4_T5_mT6_T7_P12ihipStream_tbENKUlT_T0_E_clISt17integral_constantIbLb1EESX_IbLb0EEEEDaST_SU_EUlST_E_NS1_11comp_targetILNS1_3genE2ELNS1_11target_archE906ELNS1_3gpuE6ELNS1_3repE0EEENS1_30default_config_static_selectorELNS0_4arch9wavefront6targetE0EEEvT1_.private_seg_size, 0
	.set _ZN7rocprim17ROCPRIM_400000_NS6detail17trampoline_kernelINS0_14default_configENS1_27scan_by_key_config_selectorIxxEEZZNS1_16scan_by_key_implILNS1_25lookback_scan_determinismE0ELb0ES3_N6thrust23THRUST_200600_302600_NS6detail15normal_iteratorINS9_10device_ptrIxEEEESE_SE_xNS9_4plusIxEE19head_flag_predicatexEE10hipError_tPvRmT2_T3_T4_T5_mT6_T7_P12ihipStream_tbENKUlT_T0_E_clISt17integral_constantIbLb1EESX_IbLb0EEEEDaST_SU_EUlST_E_NS1_11comp_targetILNS1_3genE2ELNS1_11target_archE906ELNS1_3gpuE6ELNS1_3repE0EEENS1_30default_config_static_selectorELNS0_4arch9wavefront6targetE0EEEvT1_.uses_vcc, 0
	.set _ZN7rocprim17ROCPRIM_400000_NS6detail17trampoline_kernelINS0_14default_configENS1_27scan_by_key_config_selectorIxxEEZZNS1_16scan_by_key_implILNS1_25lookback_scan_determinismE0ELb0ES3_N6thrust23THRUST_200600_302600_NS6detail15normal_iteratorINS9_10device_ptrIxEEEESE_SE_xNS9_4plusIxEE19head_flag_predicatexEE10hipError_tPvRmT2_T3_T4_T5_mT6_T7_P12ihipStream_tbENKUlT_T0_E_clISt17integral_constantIbLb1EESX_IbLb0EEEEDaST_SU_EUlST_E_NS1_11comp_targetILNS1_3genE2ELNS1_11target_archE906ELNS1_3gpuE6ELNS1_3repE0EEENS1_30default_config_static_selectorELNS0_4arch9wavefront6targetE0EEEvT1_.uses_flat_scratch, 0
	.set _ZN7rocprim17ROCPRIM_400000_NS6detail17trampoline_kernelINS0_14default_configENS1_27scan_by_key_config_selectorIxxEEZZNS1_16scan_by_key_implILNS1_25lookback_scan_determinismE0ELb0ES3_N6thrust23THRUST_200600_302600_NS6detail15normal_iteratorINS9_10device_ptrIxEEEESE_SE_xNS9_4plusIxEE19head_flag_predicatexEE10hipError_tPvRmT2_T3_T4_T5_mT6_T7_P12ihipStream_tbENKUlT_T0_E_clISt17integral_constantIbLb1EESX_IbLb0EEEEDaST_SU_EUlST_E_NS1_11comp_targetILNS1_3genE2ELNS1_11target_archE906ELNS1_3gpuE6ELNS1_3repE0EEENS1_30default_config_static_selectorELNS0_4arch9wavefront6targetE0EEEvT1_.has_dyn_sized_stack, 0
	.set _ZN7rocprim17ROCPRIM_400000_NS6detail17trampoline_kernelINS0_14default_configENS1_27scan_by_key_config_selectorIxxEEZZNS1_16scan_by_key_implILNS1_25lookback_scan_determinismE0ELb0ES3_N6thrust23THRUST_200600_302600_NS6detail15normal_iteratorINS9_10device_ptrIxEEEESE_SE_xNS9_4plusIxEE19head_flag_predicatexEE10hipError_tPvRmT2_T3_T4_T5_mT6_T7_P12ihipStream_tbENKUlT_T0_E_clISt17integral_constantIbLb1EESX_IbLb0EEEEDaST_SU_EUlST_E_NS1_11comp_targetILNS1_3genE2ELNS1_11target_archE906ELNS1_3gpuE6ELNS1_3repE0EEENS1_30default_config_static_selectorELNS0_4arch9wavefront6targetE0EEEvT1_.has_recursion, 0
	.set _ZN7rocprim17ROCPRIM_400000_NS6detail17trampoline_kernelINS0_14default_configENS1_27scan_by_key_config_selectorIxxEEZZNS1_16scan_by_key_implILNS1_25lookback_scan_determinismE0ELb0ES3_N6thrust23THRUST_200600_302600_NS6detail15normal_iteratorINS9_10device_ptrIxEEEESE_SE_xNS9_4plusIxEE19head_flag_predicatexEE10hipError_tPvRmT2_T3_T4_T5_mT6_T7_P12ihipStream_tbENKUlT_T0_E_clISt17integral_constantIbLb1EESX_IbLb0EEEEDaST_SU_EUlST_E_NS1_11comp_targetILNS1_3genE2ELNS1_11target_archE906ELNS1_3gpuE6ELNS1_3repE0EEENS1_30default_config_static_selectorELNS0_4arch9wavefront6targetE0EEEvT1_.has_indirect_call, 0
	.section	.AMDGPU.csdata,"",@progbits
; Kernel info:
; codeLenInByte = 0
; TotalNumSgprs: 0
; NumVgprs: 0
; ScratchSize: 0
; MemoryBound: 0
; FloatMode: 240
; IeeeMode: 1
; LDSByteSize: 0 bytes/workgroup (compile time only)
; SGPRBlocks: 0
; VGPRBlocks: 0
; NumSGPRsForWavesPerEU: 1
; NumVGPRsForWavesPerEU: 1
; Occupancy: 16
; WaveLimiterHint : 0
; COMPUTE_PGM_RSRC2:SCRATCH_EN: 0
; COMPUTE_PGM_RSRC2:USER_SGPR: 6
; COMPUTE_PGM_RSRC2:TRAP_HANDLER: 0
; COMPUTE_PGM_RSRC2:TGID_X_EN: 1
; COMPUTE_PGM_RSRC2:TGID_Y_EN: 0
; COMPUTE_PGM_RSRC2:TGID_Z_EN: 0
; COMPUTE_PGM_RSRC2:TIDIG_COMP_CNT: 0
	.section	.text._ZN7rocprim17ROCPRIM_400000_NS6detail17trampoline_kernelINS0_14default_configENS1_27scan_by_key_config_selectorIxxEEZZNS1_16scan_by_key_implILNS1_25lookback_scan_determinismE0ELb0ES3_N6thrust23THRUST_200600_302600_NS6detail15normal_iteratorINS9_10device_ptrIxEEEESE_SE_xNS9_4plusIxEE19head_flag_predicatexEE10hipError_tPvRmT2_T3_T4_T5_mT6_T7_P12ihipStream_tbENKUlT_T0_E_clISt17integral_constantIbLb1EESX_IbLb0EEEEDaST_SU_EUlST_E_NS1_11comp_targetILNS1_3genE10ELNS1_11target_archE1200ELNS1_3gpuE4ELNS1_3repE0EEENS1_30default_config_static_selectorELNS0_4arch9wavefront6targetE0EEEvT1_,"axG",@progbits,_ZN7rocprim17ROCPRIM_400000_NS6detail17trampoline_kernelINS0_14default_configENS1_27scan_by_key_config_selectorIxxEEZZNS1_16scan_by_key_implILNS1_25lookback_scan_determinismE0ELb0ES3_N6thrust23THRUST_200600_302600_NS6detail15normal_iteratorINS9_10device_ptrIxEEEESE_SE_xNS9_4plusIxEE19head_flag_predicatexEE10hipError_tPvRmT2_T3_T4_T5_mT6_T7_P12ihipStream_tbENKUlT_T0_E_clISt17integral_constantIbLb1EESX_IbLb0EEEEDaST_SU_EUlST_E_NS1_11comp_targetILNS1_3genE10ELNS1_11target_archE1200ELNS1_3gpuE4ELNS1_3repE0EEENS1_30default_config_static_selectorELNS0_4arch9wavefront6targetE0EEEvT1_,comdat
	.protected	_ZN7rocprim17ROCPRIM_400000_NS6detail17trampoline_kernelINS0_14default_configENS1_27scan_by_key_config_selectorIxxEEZZNS1_16scan_by_key_implILNS1_25lookback_scan_determinismE0ELb0ES3_N6thrust23THRUST_200600_302600_NS6detail15normal_iteratorINS9_10device_ptrIxEEEESE_SE_xNS9_4plusIxEE19head_flag_predicatexEE10hipError_tPvRmT2_T3_T4_T5_mT6_T7_P12ihipStream_tbENKUlT_T0_E_clISt17integral_constantIbLb1EESX_IbLb0EEEEDaST_SU_EUlST_E_NS1_11comp_targetILNS1_3genE10ELNS1_11target_archE1200ELNS1_3gpuE4ELNS1_3repE0EEENS1_30default_config_static_selectorELNS0_4arch9wavefront6targetE0EEEvT1_ ; -- Begin function _ZN7rocprim17ROCPRIM_400000_NS6detail17trampoline_kernelINS0_14default_configENS1_27scan_by_key_config_selectorIxxEEZZNS1_16scan_by_key_implILNS1_25lookback_scan_determinismE0ELb0ES3_N6thrust23THRUST_200600_302600_NS6detail15normal_iteratorINS9_10device_ptrIxEEEESE_SE_xNS9_4plusIxEE19head_flag_predicatexEE10hipError_tPvRmT2_T3_T4_T5_mT6_T7_P12ihipStream_tbENKUlT_T0_E_clISt17integral_constantIbLb1EESX_IbLb0EEEEDaST_SU_EUlST_E_NS1_11comp_targetILNS1_3genE10ELNS1_11target_archE1200ELNS1_3gpuE4ELNS1_3repE0EEENS1_30default_config_static_selectorELNS0_4arch9wavefront6targetE0EEEvT1_
	.globl	_ZN7rocprim17ROCPRIM_400000_NS6detail17trampoline_kernelINS0_14default_configENS1_27scan_by_key_config_selectorIxxEEZZNS1_16scan_by_key_implILNS1_25lookback_scan_determinismE0ELb0ES3_N6thrust23THRUST_200600_302600_NS6detail15normal_iteratorINS9_10device_ptrIxEEEESE_SE_xNS9_4plusIxEE19head_flag_predicatexEE10hipError_tPvRmT2_T3_T4_T5_mT6_T7_P12ihipStream_tbENKUlT_T0_E_clISt17integral_constantIbLb1EESX_IbLb0EEEEDaST_SU_EUlST_E_NS1_11comp_targetILNS1_3genE10ELNS1_11target_archE1200ELNS1_3gpuE4ELNS1_3repE0EEENS1_30default_config_static_selectorELNS0_4arch9wavefront6targetE0EEEvT1_
	.p2align	8
	.type	_ZN7rocprim17ROCPRIM_400000_NS6detail17trampoline_kernelINS0_14default_configENS1_27scan_by_key_config_selectorIxxEEZZNS1_16scan_by_key_implILNS1_25lookback_scan_determinismE0ELb0ES3_N6thrust23THRUST_200600_302600_NS6detail15normal_iteratorINS9_10device_ptrIxEEEESE_SE_xNS9_4plusIxEE19head_flag_predicatexEE10hipError_tPvRmT2_T3_T4_T5_mT6_T7_P12ihipStream_tbENKUlT_T0_E_clISt17integral_constantIbLb1EESX_IbLb0EEEEDaST_SU_EUlST_E_NS1_11comp_targetILNS1_3genE10ELNS1_11target_archE1200ELNS1_3gpuE4ELNS1_3repE0EEENS1_30default_config_static_selectorELNS0_4arch9wavefront6targetE0EEEvT1_,@function
_ZN7rocprim17ROCPRIM_400000_NS6detail17trampoline_kernelINS0_14default_configENS1_27scan_by_key_config_selectorIxxEEZZNS1_16scan_by_key_implILNS1_25lookback_scan_determinismE0ELb0ES3_N6thrust23THRUST_200600_302600_NS6detail15normal_iteratorINS9_10device_ptrIxEEEESE_SE_xNS9_4plusIxEE19head_flag_predicatexEE10hipError_tPvRmT2_T3_T4_T5_mT6_T7_P12ihipStream_tbENKUlT_T0_E_clISt17integral_constantIbLb1EESX_IbLb0EEEEDaST_SU_EUlST_E_NS1_11comp_targetILNS1_3genE10ELNS1_11target_archE1200ELNS1_3gpuE4ELNS1_3repE0EEENS1_30default_config_static_selectorELNS0_4arch9wavefront6targetE0EEEvT1_: ; @_ZN7rocprim17ROCPRIM_400000_NS6detail17trampoline_kernelINS0_14default_configENS1_27scan_by_key_config_selectorIxxEEZZNS1_16scan_by_key_implILNS1_25lookback_scan_determinismE0ELb0ES3_N6thrust23THRUST_200600_302600_NS6detail15normal_iteratorINS9_10device_ptrIxEEEESE_SE_xNS9_4plusIxEE19head_flag_predicatexEE10hipError_tPvRmT2_T3_T4_T5_mT6_T7_P12ihipStream_tbENKUlT_T0_E_clISt17integral_constantIbLb1EESX_IbLb0EEEEDaST_SU_EUlST_E_NS1_11comp_targetILNS1_3genE10ELNS1_11target_archE1200ELNS1_3gpuE4ELNS1_3repE0EEENS1_30default_config_static_selectorELNS0_4arch9wavefront6targetE0EEEvT1_
; %bb.0:
	.section	.rodata,"a",@progbits
	.p2align	6, 0x0
	.amdhsa_kernel _ZN7rocprim17ROCPRIM_400000_NS6detail17trampoline_kernelINS0_14default_configENS1_27scan_by_key_config_selectorIxxEEZZNS1_16scan_by_key_implILNS1_25lookback_scan_determinismE0ELb0ES3_N6thrust23THRUST_200600_302600_NS6detail15normal_iteratorINS9_10device_ptrIxEEEESE_SE_xNS9_4plusIxEE19head_flag_predicatexEE10hipError_tPvRmT2_T3_T4_T5_mT6_T7_P12ihipStream_tbENKUlT_T0_E_clISt17integral_constantIbLb1EESX_IbLb0EEEEDaST_SU_EUlST_E_NS1_11comp_targetILNS1_3genE10ELNS1_11target_archE1200ELNS1_3gpuE4ELNS1_3repE0EEENS1_30default_config_static_selectorELNS0_4arch9wavefront6targetE0EEEvT1_
		.amdhsa_group_segment_fixed_size 0
		.amdhsa_private_segment_fixed_size 0
		.amdhsa_kernarg_size 136
		.amdhsa_user_sgpr_count 6
		.amdhsa_user_sgpr_private_segment_buffer 1
		.amdhsa_user_sgpr_dispatch_ptr 0
		.amdhsa_user_sgpr_queue_ptr 0
		.amdhsa_user_sgpr_kernarg_segment_ptr 1
		.amdhsa_user_sgpr_dispatch_id 0
		.amdhsa_user_sgpr_flat_scratch_init 0
		.amdhsa_user_sgpr_private_segment_size 0
		.amdhsa_wavefront_size32 1
		.amdhsa_uses_dynamic_stack 0
		.amdhsa_system_sgpr_private_segment_wavefront_offset 0
		.amdhsa_system_sgpr_workgroup_id_x 1
		.amdhsa_system_sgpr_workgroup_id_y 0
		.amdhsa_system_sgpr_workgroup_id_z 0
		.amdhsa_system_sgpr_workgroup_info 0
		.amdhsa_system_vgpr_workitem_id 0
		.amdhsa_next_free_vgpr 1
		.amdhsa_next_free_sgpr 1
		.amdhsa_reserve_vcc 0
		.amdhsa_reserve_flat_scratch 0
		.amdhsa_float_round_mode_32 0
		.amdhsa_float_round_mode_16_64 0
		.amdhsa_float_denorm_mode_32 3
		.amdhsa_float_denorm_mode_16_64 3
		.amdhsa_dx10_clamp 1
		.amdhsa_ieee_mode 1
		.amdhsa_fp16_overflow 0
		.amdhsa_workgroup_processor_mode 1
		.amdhsa_memory_ordered 1
		.amdhsa_forward_progress 1
		.amdhsa_shared_vgpr_count 0
		.amdhsa_exception_fp_ieee_invalid_op 0
		.amdhsa_exception_fp_denorm_src 0
		.amdhsa_exception_fp_ieee_div_zero 0
		.amdhsa_exception_fp_ieee_overflow 0
		.amdhsa_exception_fp_ieee_underflow 0
		.amdhsa_exception_fp_ieee_inexact 0
		.amdhsa_exception_int_div_zero 0
	.end_amdhsa_kernel
	.section	.text._ZN7rocprim17ROCPRIM_400000_NS6detail17trampoline_kernelINS0_14default_configENS1_27scan_by_key_config_selectorIxxEEZZNS1_16scan_by_key_implILNS1_25lookback_scan_determinismE0ELb0ES3_N6thrust23THRUST_200600_302600_NS6detail15normal_iteratorINS9_10device_ptrIxEEEESE_SE_xNS9_4plusIxEE19head_flag_predicatexEE10hipError_tPvRmT2_T3_T4_T5_mT6_T7_P12ihipStream_tbENKUlT_T0_E_clISt17integral_constantIbLb1EESX_IbLb0EEEEDaST_SU_EUlST_E_NS1_11comp_targetILNS1_3genE10ELNS1_11target_archE1200ELNS1_3gpuE4ELNS1_3repE0EEENS1_30default_config_static_selectorELNS0_4arch9wavefront6targetE0EEEvT1_,"axG",@progbits,_ZN7rocprim17ROCPRIM_400000_NS6detail17trampoline_kernelINS0_14default_configENS1_27scan_by_key_config_selectorIxxEEZZNS1_16scan_by_key_implILNS1_25lookback_scan_determinismE0ELb0ES3_N6thrust23THRUST_200600_302600_NS6detail15normal_iteratorINS9_10device_ptrIxEEEESE_SE_xNS9_4plusIxEE19head_flag_predicatexEE10hipError_tPvRmT2_T3_T4_T5_mT6_T7_P12ihipStream_tbENKUlT_T0_E_clISt17integral_constantIbLb1EESX_IbLb0EEEEDaST_SU_EUlST_E_NS1_11comp_targetILNS1_3genE10ELNS1_11target_archE1200ELNS1_3gpuE4ELNS1_3repE0EEENS1_30default_config_static_selectorELNS0_4arch9wavefront6targetE0EEEvT1_,comdat
.Lfunc_end701:
	.size	_ZN7rocprim17ROCPRIM_400000_NS6detail17trampoline_kernelINS0_14default_configENS1_27scan_by_key_config_selectorIxxEEZZNS1_16scan_by_key_implILNS1_25lookback_scan_determinismE0ELb0ES3_N6thrust23THRUST_200600_302600_NS6detail15normal_iteratorINS9_10device_ptrIxEEEESE_SE_xNS9_4plusIxEE19head_flag_predicatexEE10hipError_tPvRmT2_T3_T4_T5_mT6_T7_P12ihipStream_tbENKUlT_T0_E_clISt17integral_constantIbLb1EESX_IbLb0EEEEDaST_SU_EUlST_E_NS1_11comp_targetILNS1_3genE10ELNS1_11target_archE1200ELNS1_3gpuE4ELNS1_3repE0EEENS1_30default_config_static_selectorELNS0_4arch9wavefront6targetE0EEEvT1_, .Lfunc_end701-_ZN7rocprim17ROCPRIM_400000_NS6detail17trampoline_kernelINS0_14default_configENS1_27scan_by_key_config_selectorIxxEEZZNS1_16scan_by_key_implILNS1_25lookback_scan_determinismE0ELb0ES3_N6thrust23THRUST_200600_302600_NS6detail15normal_iteratorINS9_10device_ptrIxEEEESE_SE_xNS9_4plusIxEE19head_flag_predicatexEE10hipError_tPvRmT2_T3_T4_T5_mT6_T7_P12ihipStream_tbENKUlT_T0_E_clISt17integral_constantIbLb1EESX_IbLb0EEEEDaST_SU_EUlST_E_NS1_11comp_targetILNS1_3genE10ELNS1_11target_archE1200ELNS1_3gpuE4ELNS1_3repE0EEENS1_30default_config_static_selectorELNS0_4arch9wavefront6targetE0EEEvT1_
                                        ; -- End function
	.set _ZN7rocprim17ROCPRIM_400000_NS6detail17trampoline_kernelINS0_14default_configENS1_27scan_by_key_config_selectorIxxEEZZNS1_16scan_by_key_implILNS1_25lookback_scan_determinismE0ELb0ES3_N6thrust23THRUST_200600_302600_NS6detail15normal_iteratorINS9_10device_ptrIxEEEESE_SE_xNS9_4plusIxEE19head_flag_predicatexEE10hipError_tPvRmT2_T3_T4_T5_mT6_T7_P12ihipStream_tbENKUlT_T0_E_clISt17integral_constantIbLb1EESX_IbLb0EEEEDaST_SU_EUlST_E_NS1_11comp_targetILNS1_3genE10ELNS1_11target_archE1200ELNS1_3gpuE4ELNS1_3repE0EEENS1_30default_config_static_selectorELNS0_4arch9wavefront6targetE0EEEvT1_.num_vgpr, 0
	.set _ZN7rocprim17ROCPRIM_400000_NS6detail17trampoline_kernelINS0_14default_configENS1_27scan_by_key_config_selectorIxxEEZZNS1_16scan_by_key_implILNS1_25lookback_scan_determinismE0ELb0ES3_N6thrust23THRUST_200600_302600_NS6detail15normal_iteratorINS9_10device_ptrIxEEEESE_SE_xNS9_4plusIxEE19head_flag_predicatexEE10hipError_tPvRmT2_T3_T4_T5_mT6_T7_P12ihipStream_tbENKUlT_T0_E_clISt17integral_constantIbLb1EESX_IbLb0EEEEDaST_SU_EUlST_E_NS1_11comp_targetILNS1_3genE10ELNS1_11target_archE1200ELNS1_3gpuE4ELNS1_3repE0EEENS1_30default_config_static_selectorELNS0_4arch9wavefront6targetE0EEEvT1_.num_agpr, 0
	.set _ZN7rocprim17ROCPRIM_400000_NS6detail17trampoline_kernelINS0_14default_configENS1_27scan_by_key_config_selectorIxxEEZZNS1_16scan_by_key_implILNS1_25lookback_scan_determinismE0ELb0ES3_N6thrust23THRUST_200600_302600_NS6detail15normal_iteratorINS9_10device_ptrIxEEEESE_SE_xNS9_4plusIxEE19head_flag_predicatexEE10hipError_tPvRmT2_T3_T4_T5_mT6_T7_P12ihipStream_tbENKUlT_T0_E_clISt17integral_constantIbLb1EESX_IbLb0EEEEDaST_SU_EUlST_E_NS1_11comp_targetILNS1_3genE10ELNS1_11target_archE1200ELNS1_3gpuE4ELNS1_3repE0EEENS1_30default_config_static_selectorELNS0_4arch9wavefront6targetE0EEEvT1_.numbered_sgpr, 0
	.set _ZN7rocprim17ROCPRIM_400000_NS6detail17trampoline_kernelINS0_14default_configENS1_27scan_by_key_config_selectorIxxEEZZNS1_16scan_by_key_implILNS1_25lookback_scan_determinismE0ELb0ES3_N6thrust23THRUST_200600_302600_NS6detail15normal_iteratorINS9_10device_ptrIxEEEESE_SE_xNS9_4plusIxEE19head_flag_predicatexEE10hipError_tPvRmT2_T3_T4_T5_mT6_T7_P12ihipStream_tbENKUlT_T0_E_clISt17integral_constantIbLb1EESX_IbLb0EEEEDaST_SU_EUlST_E_NS1_11comp_targetILNS1_3genE10ELNS1_11target_archE1200ELNS1_3gpuE4ELNS1_3repE0EEENS1_30default_config_static_selectorELNS0_4arch9wavefront6targetE0EEEvT1_.num_named_barrier, 0
	.set _ZN7rocprim17ROCPRIM_400000_NS6detail17trampoline_kernelINS0_14default_configENS1_27scan_by_key_config_selectorIxxEEZZNS1_16scan_by_key_implILNS1_25lookback_scan_determinismE0ELb0ES3_N6thrust23THRUST_200600_302600_NS6detail15normal_iteratorINS9_10device_ptrIxEEEESE_SE_xNS9_4plusIxEE19head_flag_predicatexEE10hipError_tPvRmT2_T3_T4_T5_mT6_T7_P12ihipStream_tbENKUlT_T0_E_clISt17integral_constantIbLb1EESX_IbLb0EEEEDaST_SU_EUlST_E_NS1_11comp_targetILNS1_3genE10ELNS1_11target_archE1200ELNS1_3gpuE4ELNS1_3repE0EEENS1_30default_config_static_selectorELNS0_4arch9wavefront6targetE0EEEvT1_.private_seg_size, 0
	.set _ZN7rocprim17ROCPRIM_400000_NS6detail17trampoline_kernelINS0_14default_configENS1_27scan_by_key_config_selectorIxxEEZZNS1_16scan_by_key_implILNS1_25lookback_scan_determinismE0ELb0ES3_N6thrust23THRUST_200600_302600_NS6detail15normal_iteratorINS9_10device_ptrIxEEEESE_SE_xNS9_4plusIxEE19head_flag_predicatexEE10hipError_tPvRmT2_T3_T4_T5_mT6_T7_P12ihipStream_tbENKUlT_T0_E_clISt17integral_constantIbLb1EESX_IbLb0EEEEDaST_SU_EUlST_E_NS1_11comp_targetILNS1_3genE10ELNS1_11target_archE1200ELNS1_3gpuE4ELNS1_3repE0EEENS1_30default_config_static_selectorELNS0_4arch9wavefront6targetE0EEEvT1_.uses_vcc, 0
	.set _ZN7rocprim17ROCPRIM_400000_NS6detail17trampoline_kernelINS0_14default_configENS1_27scan_by_key_config_selectorIxxEEZZNS1_16scan_by_key_implILNS1_25lookback_scan_determinismE0ELb0ES3_N6thrust23THRUST_200600_302600_NS6detail15normal_iteratorINS9_10device_ptrIxEEEESE_SE_xNS9_4plusIxEE19head_flag_predicatexEE10hipError_tPvRmT2_T3_T4_T5_mT6_T7_P12ihipStream_tbENKUlT_T0_E_clISt17integral_constantIbLb1EESX_IbLb0EEEEDaST_SU_EUlST_E_NS1_11comp_targetILNS1_3genE10ELNS1_11target_archE1200ELNS1_3gpuE4ELNS1_3repE0EEENS1_30default_config_static_selectorELNS0_4arch9wavefront6targetE0EEEvT1_.uses_flat_scratch, 0
	.set _ZN7rocprim17ROCPRIM_400000_NS6detail17trampoline_kernelINS0_14default_configENS1_27scan_by_key_config_selectorIxxEEZZNS1_16scan_by_key_implILNS1_25lookback_scan_determinismE0ELb0ES3_N6thrust23THRUST_200600_302600_NS6detail15normal_iteratorINS9_10device_ptrIxEEEESE_SE_xNS9_4plusIxEE19head_flag_predicatexEE10hipError_tPvRmT2_T3_T4_T5_mT6_T7_P12ihipStream_tbENKUlT_T0_E_clISt17integral_constantIbLb1EESX_IbLb0EEEEDaST_SU_EUlST_E_NS1_11comp_targetILNS1_3genE10ELNS1_11target_archE1200ELNS1_3gpuE4ELNS1_3repE0EEENS1_30default_config_static_selectorELNS0_4arch9wavefront6targetE0EEEvT1_.has_dyn_sized_stack, 0
	.set _ZN7rocprim17ROCPRIM_400000_NS6detail17trampoline_kernelINS0_14default_configENS1_27scan_by_key_config_selectorIxxEEZZNS1_16scan_by_key_implILNS1_25lookback_scan_determinismE0ELb0ES3_N6thrust23THRUST_200600_302600_NS6detail15normal_iteratorINS9_10device_ptrIxEEEESE_SE_xNS9_4plusIxEE19head_flag_predicatexEE10hipError_tPvRmT2_T3_T4_T5_mT6_T7_P12ihipStream_tbENKUlT_T0_E_clISt17integral_constantIbLb1EESX_IbLb0EEEEDaST_SU_EUlST_E_NS1_11comp_targetILNS1_3genE10ELNS1_11target_archE1200ELNS1_3gpuE4ELNS1_3repE0EEENS1_30default_config_static_selectorELNS0_4arch9wavefront6targetE0EEEvT1_.has_recursion, 0
	.set _ZN7rocprim17ROCPRIM_400000_NS6detail17trampoline_kernelINS0_14default_configENS1_27scan_by_key_config_selectorIxxEEZZNS1_16scan_by_key_implILNS1_25lookback_scan_determinismE0ELb0ES3_N6thrust23THRUST_200600_302600_NS6detail15normal_iteratorINS9_10device_ptrIxEEEESE_SE_xNS9_4plusIxEE19head_flag_predicatexEE10hipError_tPvRmT2_T3_T4_T5_mT6_T7_P12ihipStream_tbENKUlT_T0_E_clISt17integral_constantIbLb1EESX_IbLb0EEEEDaST_SU_EUlST_E_NS1_11comp_targetILNS1_3genE10ELNS1_11target_archE1200ELNS1_3gpuE4ELNS1_3repE0EEENS1_30default_config_static_selectorELNS0_4arch9wavefront6targetE0EEEvT1_.has_indirect_call, 0
	.section	.AMDGPU.csdata,"",@progbits
; Kernel info:
; codeLenInByte = 0
; TotalNumSgprs: 0
; NumVgprs: 0
; ScratchSize: 0
; MemoryBound: 0
; FloatMode: 240
; IeeeMode: 1
; LDSByteSize: 0 bytes/workgroup (compile time only)
; SGPRBlocks: 0
; VGPRBlocks: 0
; NumSGPRsForWavesPerEU: 1
; NumVGPRsForWavesPerEU: 1
; Occupancy: 16
; WaveLimiterHint : 0
; COMPUTE_PGM_RSRC2:SCRATCH_EN: 0
; COMPUTE_PGM_RSRC2:USER_SGPR: 6
; COMPUTE_PGM_RSRC2:TRAP_HANDLER: 0
; COMPUTE_PGM_RSRC2:TGID_X_EN: 1
; COMPUTE_PGM_RSRC2:TGID_Y_EN: 0
; COMPUTE_PGM_RSRC2:TGID_Z_EN: 0
; COMPUTE_PGM_RSRC2:TIDIG_COMP_CNT: 0
	.section	.text._ZN7rocprim17ROCPRIM_400000_NS6detail17trampoline_kernelINS0_14default_configENS1_27scan_by_key_config_selectorIxxEEZZNS1_16scan_by_key_implILNS1_25lookback_scan_determinismE0ELb0ES3_N6thrust23THRUST_200600_302600_NS6detail15normal_iteratorINS9_10device_ptrIxEEEESE_SE_xNS9_4plusIxEE19head_flag_predicatexEE10hipError_tPvRmT2_T3_T4_T5_mT6_T7_P12ihipStream_tbENKUlT_T0_E_clISt17integral_constantIbLb1EESX_IbLb0EEEEDaST_SU_EUlST_E_NS1_11comp_targetILNS1_3genE9ELNS1_11target_archE1100ELNS1_3gpuE3ELNS1_3repE0EEENS1_30default_config_static_selectorELNS0_4arch9wavefront6targetE0EEEvT1_,"axG",@progbits,_ZN7rocprim17ROCPRIM_400000_NS6detail17trampoline_kernelINS0_14default_configENS1_27scan_by_key_config_selectorIxxEEZZNS1_16scan_by_key_implILNS1_25lookback_scan_determinismE0ELb0ES3_N6thrust23THRUST_200600_302600_NS6detail15normal_iteratorINS9_10device_ptrIxEEEESE_SE_xNS9_4plusIxEE19head_flag_predicatexEE10hipError_tPvRmT2_T3_T4_T5_mT6_T7_P12ihipStream_tbENKUlT_T0_E_clISt17integral_constantIbLb1EESX_IbLb0EEEEDaST_SU_EUlST_E_NS1_11comp_targetILNS1_3genE9ELNS1_11target_archE1100ELNS1_3gpuE3ELNS1_3repE0EEENS1_30default_config_static_selectorELNS0_4arch9wavefront6targetE0EEEvT1_,comdat
	.protected	_ZN7rocprim17ROCPRIM_400000_NS6detail17trampoline_kernelINS0_14default_configENS1_27scan_by_key_config_selectorIxxEEZZNS1_16scan_by_key_implILNS1_25lookback_scan_determinismE0ELb0ES3_N6thrust23THRUST_200600_302600_NS6detail15normal_iteratorINS9_10device_ptrIxEEEESE_SE_xNS9_4plusIxEE19head_flag_predicatexEE10hipError_tPvRmT2_T3_T4_T5_mT6_T7_P12ihipStream_tbENKUlT_T0_E_clISt17integral_constantIbLb1EESX_IbLb0EEEEDaST_SU_EUlST_E_NS1_11comp_targetILNS1_3genE9ELNS1_11target_archE1100ELNS1_3gpuE3ELNS1_3repE0EEENS1_30default_config_static_selectorELNS0_4arch9wavefront6targetE0EEEvT1_ ; -- Begin function _ZN7rocprim17ROCPRIM_400000_NS6detail17trampoline_kernelINS0_14default_configENS1_27scan_by_key_config_selectorIxxEEZZNS1_16scan_by_key_implILNS1_25lookback_scan_determinismE0ELb0ES3_N6thrust23THRUST_200600_302600_NS6detail15normal_iteratorINS9_10device_ptrIxEEEESE_SE_xNS9_4plusIxEE19head_flag_predicatexEE10hipError_tPvRmT2_T3_T4_T5_mT6_T7_P12ihipStream_tbENKUlT_T0_E_clISt17integral_constantIbLb1EESX_IbLb0EEEEDaST_SU_EUlST_E_NS1_11comp_targetILNS1_3genE9ELNS1_11target_archE1100ELNS1_3gpuE3ELNS1_3repE0EEENS1_30default_config_static_selectorELNS0_4arch9wavefront6targetE0EEEvT1_
	.globl	_ZN7rocprim17ROCPRIM_400000_NS6detail17trampoline_kernelINS0_14default_configENS1_27scan_by_key_config_selectorIxxEEZZNS1_16scan_by_key_implILNS1_25lookback_scan_determinismE0ELb0ES3_N6thrust23THRUST_200600_302600_NS6detail15normal_iteratorINS9_10device_ptrIxEEEESE_SE_xNS9_4plusIxEE19head_flag_predicatexEE10hipError_tPvRmT2_T3_T4_T5_mT6_T7_P12ihipStream_tbENKUlT_T0_E_clISt17integral_constantIbLb1EESX_IbLb0EEEEDaST_SU_EUlST_E_NS1_11comp_targetILNS1_3genE9ELNS1_11target_archE1100ELNS1_3gpuE3ELNS1_3repE0EEENS1_30default_config_static_selectorELNS0_4arch9wavefront6targetE0EEEvT1_
	.p2align	8
	.type	_ZN7rocprim17ROCPRIM_400000_NS6detail17trampoline_kernelINS0_14default_configENS1_27scan_by_key_config_selectorIxxEEZZNS1_16scan_by_key_implILNS1_25lookback_scan_determinismE0ELb0ES3_N6thrust23THRUST_200600_302600_NS6detail15normal_iteratorINS9_10device_ptrIxEEEESE_SE_xNS9_4plusIxEE19head_flag_predicatexEE10hipError_tPvRmT2_T3_T4_T5_mT6_T7_P12ihipStream_tbENKUlT_T0_E_clISt17integral_constantIbLb1EESX_IbLb0EEEEDaST_SU_EUlST_E_NS1_11comp_targetILNS1_3genE9ELNS1_11target_archE1100ELNS1_3gpuE3ELNS1_3repE0EEENS1_30default_config_static_selectorELNS0_4arch9wavefront6targetE0EEEvT1_,@function
_ZN7rocprim17ROCPRIM_400000_NS6detail17trampoline_kernelINS0_14default_configENS1_27scan_by_key_config_selectorIxxEEZZNS1_16scan_by_key_implILNS1_25lookback_scan_determinismE0ELb0ES3_N6thrust23THRUST_200600_302600_NS6detail15normal_iteratorINS9_10device_ptrIxEEEESE_SE_xNS9_4plusIxEE19head_flag_predicatexEE10hipError_tPvRmT2_T3_T4_T5_mT6_T7_P12ihipStream_tbENKUlT_T0_E_clISt17integral_constantIbLb1EESX_IbLb0EEEEDaST_SU_EUlST_E_NS1_11comp_targetILNS1_3genE9ELNS1_11target_archE1100ELNS1_3gpuE3ELNS1_3repE0EEENS1_30default_config_static_selectorELNS0_4arch9wavefront6targetE0EEEvT1_: ; @_ZN7rocprim17ROCPRIM_400000_NS6detail17trampoline_kernelINS0_14default_configENS1_27scan_by_key_config_selectorIxxEEZZNS1_16scan_by_key_implILNS1_25lookback_scan_determinismE0ELb0ES3_N6thrust23THRUST_200600_302600_NS6detail15normal_iteratorINS9_10device_ptrIxEEEESE_SE_xNS9_4plusIxEE19head_flag_predicatexEE10hipError_tPvRmT2_T3_T4_T5_mT6_T7_P12ihipStream_tbENKUlT_T0_E_clISt17integral_constantIbLb1EESX_IbLb0EEEEDaST_SU_EUlST_E_NS1_11comp_targetILNS1_3genE9ELNS1_11target_archE1100ELNS1_3gpuE3ELNS1_3repE0EEENS1_30default_config_static_selectorELNS0_4arch9wavefront6targetE0EEEvT1_
; %bb.0:
	.section	.rodata,"a",@progbits
	.p2align	6, 0x0
	.amdhsa_kernel _ZN7rocprim17ROCPRIM_400000_NS6detail17trampoline_kernelINS0_14default_configENS1_27scan_by_key_config_selectorIxxEEZZNS1_16scan_by_key_implILNS1_25lookback_scan_determinismE0ELb0ES3_N6thrust23THRUST_200600_302600_NS6detail15normal_iteratorINS9_10device_ptrIxEEEESE_SE_xNS9_4plusIxEE19head_flag_predicatexEE10hipError_tPvRmT2_T3_T4_T5_mT6_T7_P12ihipStream_tbENKUlT_T0_E_clISt17integral_constantIbLb1EESX_IbLb0EEEEDaST_SU_EUlST_E_NS1_11comp_targetILNS1_3genE9ELNS1_11target_archE1100ELNS1_3gpuE3ELNS1_3repE0EEENS1_30default_config_static_selectorELNS0_4arch9wavefront6targetE0EEEvT1_
		.amdhsa_group_segment_fixed_size 0
		.amdhsa_private_segment_fixed_size 0
		.amdhsa_kernarg_size 136
		.amdhsa_user_sgpr_count 6
		.amdhsa_user_sgpr_private_segment_buffer 1
		.amdhsa_user_sgpr_dispatch_ptr 0
		.amdhsa_user_sgpr_queue_ptr 0
		.amdhsa_user_sgpr_kernarg_segment_ptr 1
		.amdhsa_user_sgpr_dispatch_id 0
		.amdhsa_user_sgpr_flat_scratch_init 0
		.amdhsa_user_sgpr_private_segment_size 0
		.amdhsa_wavefront_size32 1
		.amdhsa_uses_dynamic_stack 0
		.amdhsa_system_sgpr_private_segment_wavefront_offset 0
		.amdhsa_system_sgpr_workgroup_id_x 1
		.amdhsa_system_sgpr_workgroup_id_y 0
		.amdhsa_system_sgpr_workgroup_id_z 0
		.amdhsa_system_sgpr_workgroup_info 0
		.amdhsa_system_vgpr_workitem_id 0
		.amdhsa_next_free_vgpr 1
		.amdhsa_next_free_sgpr 1
		.amdhsa_reserve_vcc 0
		.amdhsa_reserve_flat_scratch 0
		.amdhsa_float_round_mode_32 0
		.amdhsa_float_round_mode_16_64 0
		.amdhsa_float_denorm_mode_32 3
		.amdhsa_float_denorm_mode_16_64 3
		.amdhsa_dx10_clamp 1
		.amdhsa_ieee_mode 1
		.amdhsa_fp16_overflow 0
		.amdhsa_workgroup_processor_mode 1
		.amdhsa_memory_ordered 1
		.amdhsa_forward_progress 1
		.amdhsa_shared_vgpr_count 0
		.amdhsa_exception_fp_ieee_invalid_op 0
		.amdhsa_exception_fp_denorm_src 0
		.amdhsa_exception_fp_ieee_div_zero 0
		.amdhsa_exception_fp_ieee_overflow 0
		.amdhsa_exception_fp_ieee_underflow 0
		.amdhsa_exception_fp_ieee_inexact 0
		.amdhsa_exception_int_div_zero 0
	.end_amdhsa_kernel
	.section	.text._ZN7rocprim17ROCPRIM_400000_NS6detail17trampoline_kernelINS0_14default_configENS1_27scan_by_key_config_selectorIxxEEZZNS1_16scan_by_key_implILNS1_25lookback_scan_determinismE0ELb0ES3_N6thrust23THRUST_200600_302600_NS6detail15normal_iteratorINS9_10device_ptrIxEEEESE_SE_xNS9_4plusIxEE19head_flag_predicatexEE10hipError_tPvRmT2_T3_T4_T5_mT6_T7_P12ihipStream_tbENKUlT_T0_E_clISt17integral_constantIbLb1EESX_IbLb0EEEEDaST_SU_EUlST_E_NS1_11comp_targetILNS1_3genE9ELNS1_11target_archE1100ELNS1_3gpuE3ELNS1_3repE0EEENS1_30default_config_static_selectorELNS0_4arch9wavefront6targetE0EEEvT1_,"axG",@progbits,_ZN7rocprim17ROCPRIM_400000_NS6detail17trampoline_kernelINS0_14default_configENS1_27scan_by_key_config_selectorIxxEEZZNS1_16scan_by_key_implILNS1_25lookback_scan_determinismE0ELb0ES3_N6thrust23THRUST_200600_302600_NS6detail15normal_iteratorINS9_10device_ptrIxEEEESE_SE_xNS9_4plusIxEE19head_flag_predicatexEE10hipError_tPvRmT2_T3_T4_T5_mT6_T7_P12ihipStream_tbENKUlT_T0_E_clISt17integral_constantIbLb1EESX_IbLb0EEEEDaST_SU_EUlST_E_NS1_11comp_targetILNS1_3genE9ELNS1_11target_archE1100ELNS1_3gpuE3ELNS1_3repE0EEENS1_30default_config_static_selectorELNS0_4arch9wavefront6targetE0EEEvT1_,comdat
.Lfunc_end702:
	.size	_ZN7rocprim17ROCPRIM_400000_NS6detail17trampoline_kernelINS0_14default_configENS1_27scan_by_key_config_selectorIxxEEZZNS1_16scan_by_key_implILNS1_25lookback_scan_determinismE0ELb0ES3_N6thrust23THRUST_200600_302600_NS6detail15normal_iteratorINS9_10device_ptrIxEEEESE_SE_xNS9_4plusIxEE19head_flag_predicatexEE10hipError_tPvRmT2_T3_T4_T5_mT6_T7_P12ihipStream_tbENKUlT_T0_E_clISt17integral_constantIbLb1EESX_IbLb0EEEEDaST_SU_EUlST_E_NS1_11comp_targetILNS1_3genE9ELNS1_11target_archE1100ELNS1_3gpuE3ELNS1_3repE0EEENS1_30default_config_static_selectorELNS0_4arch9wavefront6targetE0EEEvT1_, .Lfunc_end702-_ZN7rocprim17ROCPRIM_400000_NS6detail17trampoline_kernelINS0_14default_configENS1_27scan_by_key_config_selectorIxxEEZZNS1_16scan_by_key_implILNS1_25lookback_scan_determinismE0ELb0ES3_N6thrust23THRUST_200600_302600_NS6detail15normal_iteratorINS9_10device_ptrIxEEEESE_SE_xNS9_4plusIxEE19head_flag_predicatexEE10hipError_tPvRmT2_T3_T4_T5_mT6_T7_P12ihipStream_tbENKUlT_T0_E_clISt17integral_constantIbLb1EESX_IbLb0EEEEDaST_SU_EUlST_E_NS1_11comp_targetILNS1_3genE9ELNS1_11target_archE1100ELNS1_3gpuE3ELNS1_3repE0EEENS1_30default_config_static_selectorELNS0_4arch9wavefront6targetE0EEEvT1_
                                        ; -- End function
	.set _ZN7rocprim17ROCPRIM_400000_NS6detail17trampoline_kernelINS0_14default_configENS1_27scan_by_key_config_selectorIxxEEZZNS1_16scan_by_key_implILNS1_25lookback_scan_determinismE0ELb0ES3_N6thrust23THRUST_200600_302600_NS6detail15normal_iteratorINS9_10device_ptrIxEEEESE_SE_xNS9_4plusIxEE19head_flag_predicatexEE10hipError_tPvRmT2_T3_T4_T5_mT6_T7_P12ihipStream_tbENKUlT_T0_E_clISt17integral_constantIbLb1EESX_IbLb0EEEEDaST_SU_EUlST_E_NS1_11comp_targetILNS1_3genE9ELNS1_11target_archE1100ELNS1_3gpuE3ELNS1_3repE0EEENS1_30default_config_static_selectorELNS0_4arch9wavefront6targetE0EEEvT1_.num_vgpr, 0
	.set _ZN7rocprim17ROCPRIM_400000_NS6detail17trampoline_kernelINS0_14default_configENS1_27scan_by_key_config_selectorIxxEEZZNS1_16scan_by_key_implILNS1_25lookback_scan_determinismE0ELb0ES3_N6thrust23THRUST_200600_302600_NS6detail15normal_iteratorINS9_10device_ptrIxEEEESE_SE_xNS9_4plusIxEE19head_flag_predicatexEE10hipError_tPvRmT2_T3_T4_T5_mT6_T7_P12ihipStream_tbENKUlT_T0_E_clISt17integral_constantIbLb1EESX_IbLb0EEEEDaST_SU_EUlST_E_NS1_11comp_targetILNS1_3genE9ELNS1_11target_archE1100ELNS1_3gpuE3ELNS1_3repE0EEENS1_30default_config_static_selectorELNS0_4arch9wavefront6targetE0EEEvT1_.num_agpr, 0
	.set _ZN7rocprim17ROCPRIM_400000_NS6detail17trampoline_kernelINS0_14default_configENS1_27scan_by_key_config_selectorIxxEEZZNS1_16scan_by_key_implILNS1_25lookback_scan_determinismE0ELb0ES3_N6thrust23THRUST_200600_302600_NS6detail15normal_iteratorINS9_10device_ptrIxEEEESE_SE_xNS9_4plusIxEE19head_flag_predicatexEE10hipError_tPvRmT2_T3_T4_T5_mT6_T7_P12ihipStream_tbENKUlT_T0_E_clISt17integral_constantIbLb1EESX_IbLb0EEEEDaST_SU_EUlST_E_NS1_11comp_targetILNS1_3genE9ELNS1_11target_archE1100ELNS1_3gpuE3ELNS1_3repE0EEENS1_30default_config_static_selectorELNS0_4arch9wavefront6targetE0EEEvT1_.numbered_sgpr, 0
	.set _ZN7rocprim17ROCPRIM_400000_NS6detail17trampoline_kernelINS0_14default_configENS1_27scan_by_key_config_selectorIxxEEZZNS1_16scan_by_key_implILNS1_25lookback_scan_determinismE0ELb0ES3_N6thrust23THRUST_200600_302600_NS6detail15normal_iteratorINS9_10device_ptrIxEEEESE_SE_xNS9_4plusIxEE19head_flag_predicatexEE10hipError_tPvRmT2_T3_T4_T5_mT6_T7_P12ihipStream_tbENKUlT_T0_E_clISt17integral_constantIbLb1EESX_IbLb0EEEEDaST_SU_EUlST_E_NS1_11comp_targetILNS1_3genE9ELNS1_11target_archE1100ELNS1_3gpuE3ELNS1_3repE0EEENS1_30default_config_static_selectorELNS0_4arch9wavefront6targetE0EEEvT1_.num_named_barrier, 0
	.set _ZN7rocprim17ROCPRIM_400000_NS6detail17trampoline_kernelINS0_14default_configENS1_27scan_by_key_config_selectorIxxEEZZNS1_16scan_by_key_implILNS1_25lookback_scan_determinismE0ELb0ES3_N6thrust23THRUST_200600_302600_NS6detail15normal_iteratorINS9_10device_ptrIxEEEESE_SE_xNS9_4plusIxEE19head_flag_predicatexEE10hipError_tPvRmT2_T3_T4_T5_mT6_T7_P12ihipStream_tbENKUlT_T0_E_clISt17integral_constantIbLb1EESX_IbLb0EEEEDaST_SU_EUlST_E_NS1_11comp_targetILNS1_3genE9ELNS1_11target_archE1100ELNS1_3gpuE3ELNS1_3repE0EEENS1_30default_config_static_selectorELNS0_4arch9wavefront6targetE0EEEvT1_.private_seg_size, 0
	.set _ZN7rocprim17ROCPRIM_400000_NS6detail17trampoline_kernelINS0_14default_configENS1_27scan_by_key_config_selectorIxxEEZZNS1_16scan_by_key_implILNS1_25lookback_scan_determinismE0ELb0ES3_N6thrust23THRUST_200600_302600_NS6detail15normal_iteratorINS9_10device_ptrIxEEEESE_SE_xNS9_4plusIxEE19head_flag_predicatexEE10hipError_tPvRmT2_T3_T4_T5_mT6_T7_P12ihipStream_tbENKUlT_T0_E_clISt17integral_constantIbLb1EESX_IbLb0EEEEDaST_SU_EUlST_E_NS1_11comp_targetILNS1_3genE9ELNS1_11target_archE1100ELNS1_3gpuE3ELNS1_3repE0EEENS1_30default_config_static_selectorELNS0_4arch9wavefront6targetE0EEEvT1_.uses_vcc, 0
	.set _ZN7rocprim17ROCPRIM_400000_NS6detail17trampoline_kernelINS0_14default_configENS1_27scan_by_key_config_selectorIxxEEZZNS1_16scan_by_key_implILNS1_25lookback_scan_determinismE0ELb0ES3_N6thrust23THRUST_200600_302600_NS6detail15normal_iteratorINS9_10device_ptrIxEEEESE_SE_xNS9_4plusIxEE19head_flag_predicatexEE10hipError_tPvRmT2_T3_T4_T5_mT6_T7_P12ihipStream_tbENKUlT_T0_E_clISt17integral_constantIbLb1EESX_IbLb0EEEEDaST_SU_EUlST_E_NS1_11comp_targetILNS1_3genE9ELNS1_11target_archE1100ELNS1_3gpuE3ELNS1_3repE0EEENS1_30default_config_static_selectorELNS0_4arch9wavefront6targetE0EEEvT1_.uses_flat_scratch, 0
	.set _ZN7rocprim17ROCPRIM_400000_NS6detail17trampoline_kernelINS0_14default_configENS1_27scan_by_key_config_selectorIxxEEZZNS1_16scan_by_key_implILNS1_25lookback_scan_determinismE0ELb0ES3_N6thrust23THRUST_200600_302600_NS6detail15normal_iteratorINS9_10device_ptrIxEEEESE_SE_xNS9_4plusIxEE19head_flag_predicatexEE10hipError_tPvRmT2_T3_T4_T5_mT6_T7_P12ihipStream_tbENKUlT_T0_E_clISt17integral_constantIbLb1EESX_IbLb0EEEEDaST_SU_EUlST_E_NS1_11comp_targetILNS1_3genE9ELNS1_11target_archE1100ELNS1_3gpuE3ELNS1_3repE0EEENS1_30default_config_static_selectorELNS0_4arch9wavefront6targetE0EEEvT1_.has_dyn_sized_stack, 0
	.set _ZN7rocprim17ROCPRIM_400000_NS6detail17trampoline_kernelINS0_14default_configENS1_27scan_by_key_config_selectorIxxEEZZNS1_16scan_by_key_implILNS1_25lookback_scan_determinismE0ELb0ES3_N6thrust23THRUST_200600_302600_NS6detail15normal_iteratorINS9_10device_ptrIxEEEESE_SE_xNS9_4plusIxEE19head_flag_predicatexEE10hipError_tPvRmT2_T3_T4_T5_mT6_T7_P12ihipStream_tbENKUlT_T0_E_clISt17integral_constantIbLb1EESX_IbLb0EEEEDaST_SU_EUlST_E_NS1_11comp_targetILNS1_3genE9ELNS1_11target_archE1100ELNS1_3gpuE3ELNS1_3repE0EEENS1_30default_config_static_selectorELNS0_4arch9wavefront6targetE0EEEvT1_.has_recursion, 0
	.set _ZN7rocprim17ROCPRIM_400000_NS6detail17trampoline_kernelINS0_14default_configENS1_27scan_by_key_config_selectorIxxEEZZNS1_16scan_by_key_implILNS1_25lookback_scan_determinismE0ELb0ES3_N6thrust23THRUST_200600_302600_NS6detail15normal_iteratorINS9_10device_ptrIxEEEESE_SE_xNS9_4plusIxEE19head_flag_predicatexEE10hipError_tPvRmT2_T3_T4_T5_mT6_T7_P12ihipStream_tbENKUlT_T0_E_clISt17integral_constantIbLb1EESX_IbLb0EEEEDaST_SU_EUlST_E_NS1_11comp_targetILNS1_3genE9ELNS1_11target_archE1100ELNS1_3gpuE3ELNS1_3repE0EEENS1_30default_config_static_selectorELNS0_4arch9wavefront6targetE0EEEvT1_.has_indirect_call, 0
	.section	.AMDGPU.csdata,"",@progbits
; Kernel info:
; codeLenInByte = 0
; TotalNumSgprs: 0
; NumVgprs: 0
; ScratchSize: 0
; MemoryBound: 0
; FloatMode: 240
; IeeeMode: 1
; LDSByteSize: 0 bytes/workgroup (compile time only)
; SGPRBlocks: 0
; VGPRBlocks: 0
; NumSGPRsForWavesPerEU: 1
; NumVGPRsForWavesPerEU: 1
; Occupancy: 16
; WaveLimiterHint : 0
; COMPUTE_PGM_RSRC2:SCRATCH_EN: 0
; COMPUTE_PGM_RSRC2:USER_SGPR: 6
; COMPUTE_PGM_RSRC2:TRAP_HANDLER: 0
; COMPUTE_PGM_RSRC2:TGID_X_EN: 1
; COMPUTE_PGM_RSRC2:TGID_Y_EN: 0
; COMPUTE_PGM_RSRC2:TGID_Z_EN: 0
; COMPUTE_PGM_RSRC2:TIDIG_COMP_CNT: 0
	.section	.text._ZN7rocprim17ROCPRIM_400000_NS6detail17trampoline_kernelINS0_14default_configENS1_27scan_by_key_config_selectorIxxEEZZNS1_16scan_by_key_implILNS1_25lookback_scan_determinismE0ELb0ES3_N6thrust23THRUST_200600_302600_NS6detail15normal_iteratorINS9_10device_ptrIxEEEESE_SE_xNS9_4plusIxEE19head_flag_predicatexEE10hipError_tPvRmT2_T3_T4_T5_mT6_T7_P12ihipStream_tbENKUlT_T0_E_clISt17integral_constantIbLb1EESX_IbLb0EEEEDaST_SU_EUlST_E_NS1_11comp_targetILNS1_3genE8ELNS1_11target_archE1030ELNS1_3gpuE2ELNS1_3repE0EEENS1_30default_config_static_selectorELNS0_4arch9wavefront6targetE0EEEvT1_,"axG",@progbits,_ZN7rocprim17ROCPRIM_400000_NS6detail17trampoline_kernelINS0_14default_configENS1_27scan_by_key_config_selectorIxxEEZZNS1_16scan_by_key_implILNS1_25lookback_scan_determinismE0ELb0ES3_N6thrust23THRUST_200600_302600_NS6detail15normal_iteratorINS9_10device_ptrIxEEEESE_SE_xNS9_4plusIxEE19head_flag_predicatexEE10hipError_tPvRmT2_T3_T4_T5_mT6_T7_P12ihipStream_tbENKUlT_T0_E_clISt17integral_constantIbLb1EESX_IbLb0EEEEDaST_SU_EUlST_E_NS1_11comp_targetILNS1_3genE8ELNS1_11target_archE1030ELNS1_3gpuE2ELNS1_3repE0EEENS1_30default_config_static_selectorELNS0_4arch9wavefront6targetE0EEEvT1_,comdat
	.protected	_ZN7rocprim17ROCPRIM_400000_NS6detail17trampoline_kernelINS0_14default_configENS1_27scan_by_key_config_selectorIxxEEZZNS1_16scan_by_key_implILNS1_25lookback_scan_determinismE0ELb0ES3_N6thrust23THRUST_200600_302600_NS6detail15normal_iteratorINS9_10device_ptrIxEEEESE_SE_xNS9_4plusIxEE19head_flag_predicatexEE10hipError_tPvRmT2_T3_T4_T5_mT6_T7_P12ihipStream_tbENKUlT_T0_E_clISt17integral_constantIbLb1EESX_IbLb0EEEEDaST_SU_EUlST_E_NS1_11comp_targetILNS1_3genE8ELNS1_11target_archE1030ELNS1_3gpuE2ELNS1_3repE0EEENS1_30default_config_static_selectorELNS0_4arch9wavefront6targetE0EEEvT1_ ; -- Begin function _ZN7rocprim17ROCPRIM_400000_NS6detail17trampoline_kernelINS0_14default_configENS1_27scan_by_key_config_selectorIxxEEZZNS1_16scan_by_key_implILNS1_25lookback_scan_determinismE0ELb0ES3_N6thrust23THRUST_200600_302600_NS6detail15normal_iteratorINS9_10device_ptrIxEEEESE_SE_xNS9_4plusIxEE19head_flag_predicatexEE10hipError_tPvRmT2_T3_T4_T5_mT6_T7_P12ihipStream_tbENKUlT_T0_E_clISt17integral_constantIbLb1EESX_IbLb0EEEEDaST_SU_EUlST_E_NS1_11comp_targetILNS1_3genE8ELNS1_11target_archE1030ELNS1_3gpuE2ELNS1_3repE0EEENS1_30default_config_static_selectorELNS0_4arch9wavefront6targetE0EEEvT1_
	.globl	_ZN7rocprim17ROCPRIM_400000_NS6detail17trampoline_kernelINS0_14default_configENS1_27scan_by_key_config_selectorIxxEEZZNS1_16scan_by_key_implILNS1_25lookback_scan_determinismE0ELb0ES3_N6thrust23THRUST_200600_302600_NS6detail15normal_iteratorINS9_10device_ptrIxEEEESE_SE_xNS9_4plusIxEE19head_flag_predicatexEE10hipError_tPvRmT2_T3_T4_T5_mT6_T7_P12ihipStream_tbENKUlT_T0_E_clISt17integral_constantIbLb1EESX_IbLb0EEEEDaST_SU_EUlST_E_NS1_11comp_targetILNS1_3genE8ELNS1_11target_archE1030ELNS1_3gpuE2ELNS1_3repE0EEENS1_30default_config_static_selectorELNS0_4arch9wavefront6targetE0EEEvT1_
	.p2align	8
	.type	_ZN7rocprim17ROCPRIM_400000_NS6detail17trampoline_kernelINS0_14default_configENS1_27scan_by_key_config_selectorIxxEEZZNS1_16scan_by_key_implILNS1_25lookback_scan_determinismE0ELb0ES3_N6thrust23THRUST_200600_302600_NS6detail15normal_iteratorINS9_10device_ptrIxEEEESE_SE_xNS9_4plusIxEE19head_flag_predicatexEE10hipError_tPvRmT2_T3_T4_T5_mT6_T7_P12ihipStream_tbENKUlT_T0_E_clISt17integral_constantIbLb1EESX_IbLb0EEEEDaST_SU_EUlST_E_NS1_11comp_targetILNS1_3genE8ELNS1_11target_archE1030ELNS1_3gpuE2ELNS1_3repE0EEENS1_30default_config_static_selectorELNS0_4arch9wavefront6targetE0EEEvT1_,@function
_ZN7rocprim17ROCPRIM_400000_NS6detail17trampoline_kernelINS0_14default_configENS1_27scan_by_key_config_selectorIxxEEZZNS1_16scan_by_key_implILNS1_25lookback_scan_determinismE0ELb0ES3_N6thrust23THRUST_200600_302600_NS6detail15normal_iteratorINS9_10device_ptrIxEEEESE_SE_xNS9_4plusIxEE19head_flag_predicatexEE10hipError_tPvRmT2_T3_T4_T5_mT6_T7_P12ihipStream_tbENKUlT_T0_E_clISt17integral_constantIbLb1EESX_IbLb0EEEEDaST_SU_EUlST_E_NS1_11comp_targetILNS1_3genE8ELNS1_11target_archE1030ELNS1_3gpuE2ELNS1_3repE0EEENS1_30default_config_static_selectorELNS0_4arch9wavefront6targetE0EEEvT1_: ; @_ZN7rocprim17ROCPRIM_400000_NS6detail17trampoline_kernelINS0_14default_configENS1_27scan_by_key_config_selectorIxxEEZZNS1_16scan_by_key_implILNS1_25lookback_scan_determinismE0ELb0ES3_N6thrust23THRUST_200600_302600_NS6detail15normal_iteratorINS9_10device_ptrIxEEEESE_SE_xNS9_4plusIxEE19head_flag_predicatexEE10hipError_tPvRmT2_T3_T4_T5_mT6_T7_P12ihipStream_tbENKUlT_T0_E_clISt17integral_constantIbLb1EESX_IbLb0EEEEDaST_SU_EUlST_E_NS1_11comp_targetILNS1_3genE8ELNS1_11target_archE1030ELNS1_3gpuE2ELNS1_3repE0EEENS1_30default_config_static_selectorELNS0_4arch9wavefront6targetE0EEEvT1_
; %bb.0:
	s_endpgm
	.section	.rodata,"a",@progbits
	.p2align	6, 0x0
	.amdhsa_kernel _ZN7rocprim17ROCPRIM_400000_NS6detail17trampoline_kernelINS0_14default_configENS1_27scan_by_key_config_selectorIxxEEZZNS1_16scan_by_key_implILNS1_25lookback_scan_determinismE0ELb0ES3_N6thrust23THRUST_200600_302600_NS6detail15normal_iteratorINS9_10device_ptrIxEEEESE_SE_xNS9_4plusIxEE19head_flag_predicatexEE10hipError_tPvRmT2_T3_T4_T5_mT6_T7_P12ihipStream_tbENKUlT_T0_E_clISt17integral_constantIbLb1EESX_IbLb0EEEEDaST_SU_EUlST_E_NS1_11comp_targetILNS1_3genE8ELNS1_11target_archE1030ELNS1_3gpuE2ELNS1_3repE0EEENS1_30default_config_static_selectorELNS0_4arch9wavefront6targetE0EEEvT1_
		.amdhsa_group_segment_fixed_size 0
		.amdhsa_private_segment_fixed_size 0
		.amdhsa_kernarg_size 136
		.amdhsa_user_sgpr_count 6
		.amdhsa_user_sgpr_private_segment_buffer 1
		.amdhsa_user_sgpr_dispatch_ptr 0
		.amdhsa_user_sgpr_queue_ptr 0
		.amdhsa_user_sgpr_kernarg_segment_ptr 1
		.amdhsa_user_sgpr_dispatch_id 0
		.amdhsa_user_sgpr_flat_scratch_init 0
		.amdhsa_user_sgpr_private_segment_size 0
		.amdhsa_wavefront_size32 1
		.amdhsa_uses_dynamic_stack 0
		.amdhsa_system_sgpr_private_segment_wavefront_offset 0
		.amdhsa_system_sgpr_workgroup_id_x 1
		.amdhsa_system_sgpr_workgroup_id_y 0
		.amdhsa_system_sgpr_workgroup_id_z 0
		.amdhsa_system_sgpr_workgroup_info 0
		.amdhsa_system_vgpr_workitem_id 0
		.amdhsa_next_free_vgpr 1
		.amdhsa_next_free_sgpr 1
		.amdhsa_reserve_vcc 0
		.amdhsa_reserve_flat_scratch 0
		.amdhsa_float_round_mode_32 0
		.amdhsa_float_round_mode_16_64 0
		.amdhsa_float_denorm_mode_32 3
		.amdhsa_float_denorm_mode_16_64 3
		.amdhsa_dx10_clamp 1
		.amdhsa_ieee_mode 1
		.amdhsa_fp16_overflow 0
		.amdhsa_workgroup_processor_mode 1
		.amdhsa_memory_ordered 1
		.amdhsa_forward_progress 1
		.amdhsa_shared_vgpr_count 0
		.amdhsa_exception_fp_ieee_invalid_op 0
		.amdhsa_exception_fp_denorm_src 0
		.amdhsa_exception_fp_ieee_div_zero 0
		.amdhsa_exception_fp_ieee_overflow 0
		.amdhsa_exception_fp_ieee_underflow 0
		.amdhsa_exception_fp_ieee_inexact 0
		.amdhsa_exception_int_div_zero 0
	.end_amdhsa_kernel
	.section	.text._ZN7rocprim17ROCPRIM_400000_NS6detail17trampoline_kernelINS0_14default_configENS1_27scan_by_key_config_selectorIxxEEZZNS1_16scan_by_key_implILNS1_25lookback_scan_determinismE0ELb0ES3_N6thrust23THRUST_200600_302600_NS6detail15normal_iteratorINS9_10device_ptrIxEEEESE_SE_xNS9_4plusIxEE19head_flag_predicatexEE10hipError_tPvRmT2_T3_T4_T5_mT6_T7_P12ihipStream_tbENKUlT_T0_E_clISt17integral_constantIbLb1EESX_IbLb0EEEEDaST_SU_EUlST_E_NS1_11comp_targetILNS1_3genE8ELNS1_11target_archE1030ELNS1_3gpuE2ELNS1_3repE0EEENS1_30default_config_static_selectorELNS0_4arch9wavefront6targetE0EEEvT1_,"axG",@progbits,_ZN7rocprim17ROCPRIM_400000_NS6detail17trampoline_kernelINS0_14default_configENS1_27scan_by_key_config_selectorIxxEEZZNS1_16scan_by_key_implILNS1_25lookback_scan_determinismE0ELb0ES3_N6thrust23THRUST_200600_302600_NS6detail15normal_iteratorINS9_10device_ptrIxEEEESE_SE_xNS9_4plusIxEE19head_flag_predicatexEE10hipError_tPvRmT2_T3_T4_T5_mT6_T7_P12ihipStream_tbENKUlT_T0_E_clISt17integral_constantIbLb1EESX_IbLb0EEEEDaST_SU_EUlST_E_NS1_11comp_targetILNS1_3genE8ELNS1_11target_archE1030ELNS1_3gpuE2ELNS1_3repE0EEENS1_30default_config_static_selectorELNS0_4arch9wavefront6targetE0EEEvT1_,comdat
.Lfunc_end703:
	.size	_ZN7rocprim17ROCPRIM_400000_NS6detail17trampoline_kernelINS0_14default_configENS1_27scan_by_key_config_selectorIxxEEZZNS1_16scan_by_key_implILNS1_25lookback_scan_determinismE0ELb0ES3_N6thrust23THRUST_200600_302600_NS6detail15normal_iteratorINS9_10device_ptrIxEEEESE_SE_xNS9_4plusIxEE19head_flag_predicatexEE10hipError_tPvRmT2_T3_T4_T5_mT6_T7_P12ihipStream_tbENKUlT_T0_E_clISt17integral_constantIbLb1EESX_IbLb0EEEEDaST_SU_EUlST_E_NS1_11comp_targetILNS1_3genE8ELNS1_11target_archE1030ELNS1_3gpuE2ELNS1_3repE0EEENS1_30default_config_static_selectorELNS0_4arch9wavefront6targetE0EEEvT1_, .Lfunc_end703-_ZN7rocprim17ROCPRIM_400000_NS6detail17trampoline_kernelINS0_14default_configENS1_27scan_by_key_config_selectorIxxEEZZNS1_16scan_by_key_implILNS1_25lookback_scan_determinismE0ELb0ES3_N6thrust23THRUST_200600_302600_NS6detail15normal_iteratorINS9_10device_ptrIxEEEESE_SE_xNS9_4plusIxEE19head_flag_predicatexEE10hipError_tPvRmT2_T3_T4_T5_mT6_T7_P12ihipStream_tbENKUlT_T0_E_clISt17integral_constantIbLb1EESX_IbLb0EEEEDaST_SU_EUlST_E_NS1_11comp_targetILNS1_3genE8ELNS1_11target_archE1030ELNS1_3gpuE2ELNS1_3repE0EEENS1_30default_config_static_selectorELNS0_4arch9wavefront6targetE0EEEvT1_
                                        ; -- End function
	.set _ZN7rocprim17ROCPRIM_400000_NS6detail17trampoline_kernelINS0_14default_configENS1_27scan_by_key_config_selectorIxxEEZZNS1_16scan_by_key_implILNS1_25lookback_scan_determinismE0ELb0ES3_N6thrust23THRUST_200600_302600_NS6detail15normal_iteratorINS9_10device_ptrIxEEEESE_SE_xNS9_4plusIxEE19head_flag_predicatexEE10hipError_tPvRmT2_T3_T4_T5_mT6_T7_P12ihipStream_tbENKUlT_T0_E_clISt17integral_constantIbLb1EESX_IbLb0EEEEDaST_SU_EUlST_E_NS1_11comp_targetILNS1_3genE8ELNS1_11target_archE1030ELNS1_3gpuE2ELNS1_3repE0EEENS1_30default_config_static_selectorELNS0_4arch9wavefront6targetE0EEEvT1_.num_vgpr, 0
	.set _ZN7rocprim17ROCPRIM_400000_NS6detail17trampoline_kernelINS0_14default_configENS1_27scan_by_key_config_selectorIxxEEZZNS1_16scan_by_key_implILNS1_25lookback_scan_determinismE0ELb0ES3_N6thrust23THRUST_200600_302600_NS6detail15normal_iteratorINS9_10device_ptrIxEEEESE_SE_xNS9_4plusIxEE19head_flag_predicatexEE10hipError_tPvRmT2_T3_T4_T5_mT6_T7_P12ihipStream_tbENKUlT_T0_E_clISt17integral_constantIbLb1EESX_IbLb0EEEEDaST_SU_EUlST_E_NS1_11comp_targetILNS1_3genE8ELNS1_11target_archE1030ELNS1_3gpuE2ELNS1_3repE0EEENS1_30default_config_static_selectorELNS0_4arch9wavefront6targetE0EEEvT1_.num_agpr, 0
	.set _ZN7rocprim17ROCPRIM_400000_NS6detail17trampoline_kernelINS0_14default_configENS1_27scan_by_key_config_selectorIxxEEZZNS1_16scan_by_key_implILNS1_25lookback_scan_determinismE0ELb0ES3_N6thrust23THRUST_200600_302600_NS6detail15normal_iteratorINS9_10device_ptrIxEEEESE_SE_xNS9_4plusIxEE19head_flag_predicatexEE10hipError_tPvRmT2_T3_T4_T5_mT6_T7_P12ihipStream_tbENKUlT_T0_E_clISt17integral_constantIbLb1EESX_IbLb0EEEEDaST_SU_EUlST_E_NS1_11comp_targetILNS1_3genE8ELNS1_11target_archE1030ELNS1_3gpuE2ELNS1_3repE0EEENS1_30default_config_static_selectorELNS0_4arch9wavefront6targetE0EEEvT1_.numbered_sgpr, 0
	.set _ZN7rocprim17ROCPRIM_400000_NS6detail17trampoline_kernelINS0_14default_configENS1_27scan_by_key_config_selectorIxxEEZZNS1_16scan_by_key_implILNS1_25lookback_scan_determinismE0ELb0ES3_N6thrust23THRUST_200600_302600_NS6detail15normal_iteratorINS9_10device_ptrIxEEEESE_SE_xNS9_4plusIxEE19head_flag_predicatexEE10hipError_tPvRmT2_T3_T4_T5_mT6_T7_P12ihipStream_tbENKUlT_T0_E_clISt17integral_constantIbLb1EESX_IbLb0EEEEDaST_SU_EUlST_E_NS1_11comp_targetILNS1_3genE8ELNS1_11target_archE1030ELNS1_3gpuE2ELNS1_3repE0EEENS1_30default_config_static_selectorELNS0_4arch9wavefront6targetE0EEEvT1_.num_named_barrier, 0
	.set _ZN7rocprim17ROCPRIM_400000_NS6detail17trampoline_kernelINS0_14default_configENS1_27scan_by_key_config_selectorIxxEEZZNS1_16scan_by_key_implILNS1_25lookback_scan_determinismE0ELb0ES3_N6thrust23THRUST_200600_302600_NS6detail15normal_iteratorINS9_10device_ptrIxEEEESE_SE_xNS9_4plusIxEE19head_flag_predicatexEE10hipError_tPvRmT2_T3_T4_T5_mT6_T7_P12ihipStream_tbENKUlT_T0_E_clISt17integral_constantIbLb1EESX_IbLb0EEEEDaST_SU_EUlST_E_NS1_11comp_targetILNS1_3genE8ELNS1_11target_archE1030ELNS1_3gpuE2ELNS1_3repE0EEENS1_30default_config_static_selectorELNS0_4arch9wavefront6targetE0EEEvT1_.private_seg_size, 0
	.set _ZN7rocprim17ROCPRIM_400000_NS6detail17trampoline_kernelINS0_14default_configENS1_27scan_by_key_config_selectorIxxEEZZNS1_16scan_by_key_implILNS1_25lookback_scan_determinismE0ELb0ES3_N6thrust23THRUST_200600_302600_NS6detail15normal_iteratorINS9_10device_ptrIxEEEESE_SE_xNS9_4plusIxEE19head_flag_predicatexEE10hipError_tPvRmT2_T3_T4_T5_mT6_T7_P12ihipStream_tbENKUlT_T0_E_clISt17integral_constantIbLb1EESX_IbLb0EEEEDaST_SU_EUlST_E_NS1_11comp_targetILNS1_3genE8ELNS1_11target_archE1030ELNS1_3gpuE2ELNS1_3repE0EEENS1_30default_config_static_selectorELNS0_4arch9wavefront6targetE0EEEvT1_.uses_vcc, 0
	.set _ZN7rocprim17ROCPRIM_400000_NS6detail17trampoline_kernelINS0_14default_configENS1_27scan_by_key_config_selectorIxxEEZZNS1_16scan_by_key_implILNS1_25lookback_scan_determinismE0ELb0ES3_N6thrust23THRUST_200600_302600_NS6detail15normal_iteratorINS9_10device_ptrIxEEEESE_SE_xNS9_4plusIxEE19head_flag_predicatexEE10hipError_tPvRmT2_T3_T4_T5_mT6_T7_P12ihipStream_tbENKUlT_T0_E_clISt17integral_constantIbLb1EESX_IbLb0EEEEDaST_SU_EUlST_E_NS1_11comp_targetILNS1_3genE8ELNS1_11target_archE1030ELNS1_3gpuE2ELNS1_3repE0EEENS1_30default_config_static_selectorELNS0_4arch9wavefront6targetE0EEEvT1_.uses_flat_scratch, 0
	.set _ZN7rocprim17ROCPRIM_400000_NS6detail17trampoline_kernelINS0_14default_configENS1_27scan_by_key_config_selectorIxxEEZZNS1_16scan_by_key_implILNS1_25lookback_scan_determinismE0ELb0ES3_N6thrust23THRUST_200600_302600_NS6detail15normal_iteratorINS9_10device_ptrIxEEEESE_SE_xNS9_4plusIxEE19head_flag_predicatexEE10hipError_tPvRmT2_T3_T4_T5_mT6_T7_P12ihipStream_tbENKUlT_T0_E_clISt17integral_constantIbLb1EESX_IbLb0EEEEDaST_SU_EUlST_E_NS1_11comp_targetILNS1_3genE8ELNS1_11target_archE1030ELNS1_3gpuE2ELNS1_3repE0EEENS1_30default_config_static_selectorELNS0_4arch9wavefront6targetE0EEEvT1_.has_dyn_sized_stack, 0
	.set _ZN7rocprim17ROCPRIM_400000_NS6detail17trampoline_kernelINS0_14default_configENS1_27scan_by_key_config_selectorIxxEEZZNS1_16scan_by_key_implILNS1_25lookback_scan_determinismE0ELb0ES3_N6thrust23THRUST_200600_302600_NS6detail15normal_iteratorINS9_10device_ptrIxEEEESE_SE_xNS9_4plusIxEE19head_flag_predicatexEE10hipError_tPvRmT2_T3_T4_T5_mT6_T7_P12ihipStream_tbENKUlT_T0_E_clISt17integral_constantIbLb1EESX_IbLb0EEEEDaST_SU_EUlST_E_NS1_11comp_targetILNS1_3genE8ELNS1_11target_archE1030ELNS1_3gpuE2ELNS1_3repE0EEENS1_30default_config_static_selectorELNS0_4arch9wavefront6targetE0EEEvT1_.has_recursion, 0
	.set _ZN7rocprim17ROCPRIM_400000_NS6detail17trampoline_kernelINS0_14default_configENS1_27scan_by_key_config_selectorIxxEEZZNS1_16scan_by_key_implILNS1_25lookback_scan_determinismE0ELb0ES3_N6thrust23THRUST_200600_302600_NS6detail15normal_iteratorINS9_10device_ptrIxEEEESE_SE_xNS9_4plusIxEE19head_flag_predicatexEE10hipError_tPvRmT2_T3_T4_T5_mT6_T7_P12ihipStream_tbENKUlT_T0_E_clISt17integral_constantIbLb1EESX_IbLb0EEEEDaST_SU_EUlST_E_NS1_11comp_targetILNS1_3genE8ELNS1_11target_archE1030ELNS1_3gpuE2ELNS1_3repE0EEENS1_30default_config_static_selectorELNS0_4arch9wavefront6targetE0EEEvT1_.has_indirect_call, 0
	.section	.AMDGPU.csdata,"",@progbits
; Kernel info:
; codeLenInByte = 4
; TotalNumSgprs: 0
; NumVgprs: 0
; ScratchSize: 0
; MemoryBound: 0
; FloatMode: 240
; IeeeMode: 1
; LDSByteSize: 0 bytes/workgroup (compile time only)
; SGPRBlocks: 0
; VGPRBlocks: 0
; NumSGPRsForWavesPerEU: 1
; NumVGPRsForWavesPerEU: 1
; Occupancy: 16
; WaveLimiterHint : 0
; COMPUTE_PGM_RSRC2:SCRATCH_EN: 0
; COMPUTE_PGM_RSRC2:USER_SGPR: 6
; COMPUTE_PGM_RSRC2:TRAP_HANDLER: 0
; COMPUTE_PGM_RSRC2:TGID_X_EN: 1
; COMPUTE_PGM_RSRC2:TGID_Y_EN: 0
; COMPUTE_PGM_RSRC2:TGID_Z_EN: 0
; COMPUTE_PGM_RSRC2:TIDIG_COMP_CNT: 0
	.section	.text._ZN7rocprim17ROCPRIM_400000_NS6detail17trampoline_kernelINS0_14default_configENS1_27scan_by_key_config_selectorIxxEEZZNS1_16scan_by_key_implILNS1_25lookback_scan_determinismE0ELb0ES3_N6thrust23THRUST_200600_302600_NS6detail15normal_iteratorINS9_10device_ptrIxEEEESE_SE_xNS9_4plusIxEE19head_flag_predicatexEE10hipError_tPvRmT2_T3_T4_T5_mT6_T7_P12ihipStream_tbENKUlT_T0_E_clISt17integral_constantIbLb0EESX_IbLb1EEEEDaST_SU_EUlST_E_NS1_11comp_targetILNS1_3genE0ELNS1_11target_archE4294967295ELNS1_3gpuE0ELNS1_3repE0EEENS1_30default_config_static_selectorELNS0_4arch9wavefront6targetE0EEEvT1_,"axG",@progbits,_ZN7rocprim17ROCPRIM_400000_NS6detail17trampoline_kernelINS0_14default_configENS1_27scan_by_key_config_selectorIxxEEZZNS1_16scan_by_key_implILNS1_25lookback_scan_determinismE0ELb0ES3_N6thrust23THRUST_200600_302600_NS6detail15normal_iteratorINS9_10device_ptrIxEEEESE_SE_xNS9_4plusIxEE19head_flag_predicatexEE10hipError_tPvRmT2_T3_T4_T5_mT6_T7_P12ihipStream_tbENKUlT_T0_E_clISt17integral_constantIbLb0EESX_IbLb1EEEEDaST_SU_EUlST_E_NS1_11comp_targetILNS1_3genE0ELNS1_11target_archE4294967295ELNS1_3gpuE0ELNS1_3repE0EEENS1_30default_config_static_selectorELNS0_4arch9wavefront6targetE0EEEvT1_,comdat
	.protected	_ZN7rocprim17ROCPRIM_400000_NS6detail17trampoline_kernelINS0_14default_configENS1_27scan_by_key_config_selectorIxxEEZZNS1_16scan_by_key_implILNS1_25lookback_scan_determinismE0ELb0ES3_N6thrust23THRUST_200600_302600_NS6detail15normal_iteratorINS9_10device_ptrIxEEEESE_SE_xNS9_4plusIxEE19head_flag_predicatexEE10hipError_tPvRmT2_T3_T4_T5_mT6_T7_P12ihipStream_tbENKUlT_T0_E_clISt17integral_constantIbLb0EESX_IbLb1EEEEDaST_SU_EUlST_E_NS1_11comp_targetILNS1_3genE0ELNS1_11target_archE4294967295ELNS1_3gpuE0ELNS1_3repE0EEENS1_30default_config_static_selectorELNS0_4arch9wavefront6targetE0EEEvT1_ ; -- Begin function _ZN7rocprim17ROCPRIM_400000_NS6detail17trampoline_kernelINS0_14default_configENS1_27scan_by_key_config_selectorIxxEEZZNS1_16scan_by_key_implILNS1_25lookback_scan_determinismE0ELb0ES3_N6thrust23THRUST_200600_302600_NS6detail15normal_iteratorINS9_10device_ptrIxEEEESE_SE_xNS9_4plusIxEE19head_flag_predicatexEE10hipError_tPvRmT2_T3_T4_T5_mT6_T7_P12ihipStream_tbENKUlT_T0_E_clISt17integral_constantIbLb0EESX_IbLb1EEEEDaST_SU_EUlST_E_NS1_11comp_targetILNS1_3genE0ELNS1_11target_archE4294967295ELNS1_3gpuE0ELNS1_3repE0EEENS1_30default_config_static_selectorELNS0_4arch9wavefront6targetE0EEEvT1_
	.globl	_ZN7rocprim17ROCPRIM_400000_NS6detail17trampoline_kernelINS0_14default_configENS1_27scan_by_key_config_selectorIxxEEZZNS1_16scan_by_key_implILNS1_25lookback_scan_determinismE0ELb0ES3_N6thrust23THRUST_200600_302600_NS6detail15normal_iteratorINS9_10device_ptrIxEEEESE_SE_xNS9_4plusIxEE19head_flag_predicatexEE10hipError_tPvRmT2_T3_T4_T5_mT6_T7_P12ihipStream_tbENKUlT_T0_E_clISt17integral_constantIbLb0EESX_IbLb1EEEEDaST_SU_EUlST_E_NS1_11comp_targetILNS1_3genE0ELNS1_11target_archE4294967295ELNS1_3gpuE0ELNS1_3repE0EEENS1_30default_config_static_selectorELNS0_4arch9wavefront6targetE0EEEvT1_
	.p2align	8
	.type	_ZN7rocprim17ROCPRIM_400000_NS6detail17trampoline_kernelINS0_14default_configENS1_27scan_by_key_config_selectorIxxEEZZNS1_16scan_by_key_implILNS1_25lookback_scan_determinismE0ELb0ES3_N6thrust23THRUST_200600_302600_NS6detail15normal_iteratorINS9_10device_ptrIxEEEESE_SE_xNS9_4plusIxEE19head_flag_predicatexEE10hipError_tPvRmT2_T3_T4_T5_mT6_T7_P12ihipStream_tbENKUlT_T0_E_clISt17integral_constantIbLb0EESX_IbLb1EEEEDaST_SU_EUlST_E_NS1_11comp_targetILNS1_3genE0ELNS1_11target_archE4294967295ELNS1_3gpuE0ELNS1_3repE0EEENS1_30default_config_static_selectorELNS0_4arch9wavefront6targetE0EEEvT1_,@function
_ZN7rocprim17ROCPRIM_400000_NS6detail17trampoline_kernelINS0_14default_configENS1_27scan_by_key_config_selectorIxxEEZZNS1_16scan_by_key_implILNS1_25lookback_scan_determinismE0ELb0ES3_N6thrust23THRUST_200600_302600_NS6detail15normal_iteratorINS9_10device_ptrIxEEEESE_SE_xNS9_4plusIxEE19head_flag_predicatexEE10hipError_tPvRmT2_T3_T4_T5_mT6_T7_P12ihipStream_tbENKUlT_T0_E_clISt17integral_constantIbLb0EESX_IbLb1EEEEDaST_SU_EUlST_E_NS1_11comp_targetILNS1_3genE0ELNS1_11target_archE4294967295ELNS1_3gpuE0ELNS1_3repE0EEENS1_30default_config_static_selectorELNS0_4arch9wavefront6targetE0EEEvT1_: ; @_ZN7rocprim17ROCPRIM_400000_NS6detail17trampoline_kernelINS0_14default_configENS1_27scan_by_key_config_selectorIxxEEZZNS1_16scan_by_key_implILNS1_25lookback_scan_determinismE0ELb0ES3_N6thrust23THRUST_200600_302600_NS6detail15normal_iteratorINS9_10device_ptrIxEEEESE_SE_xNS9_4plusIxEE19head_flag_predicatexEE10hipError_tPvRmT2_T3_T4_T5_mT6_T7_P12ihipStream_tbENKUlT_T0_E_clISt17integral_constantIbLb0EESX_IbLb1EEEEDaST_SU_EUlST_E_NS1_11comp_targetILNS1_3genE0ELNS1_11target_archE4294967295ELNS1_3gpuE0ELNS1_3repE0EEENS1_30default_config_static_selectorELNS0_4arch9wavefront6targetE0EEEvT1_
; %bb.0:
	.section	.rodata,"a",@progbits
	.p2align	6, 0x0
	.amdhsa_kernel _ZN7rocprim17ROCPRIM_400000_NS6detail17trampoline_kernelINS0_14default_configENS1_27scan_by_key_config_selectorIxxEEZZNS1_16scan_by_key_implILNS1_25lookback_scan_determinismE0ELb0ES3_N6thrust23THRUST_200600_302600_NS6detail15normal_iteratorINS9_10device_ptrIxEEEESE_SE_xNS9_4plusIxEE19head_flag_predicatexEE10hipError_tPvRmT2_T3_T4_T5_mT6_T7_P12ihipStream_tbENKUlT_T0_E_clISt17integral_constantIbLb0EESX_IbLb1EEEEDaST_SU_EUlST_E_NS1_11comp_targetILNS1_3genE0ELNS1_11target_archE4294967295ELNS1_3gpuE0ELNS1_3repE0EEENS1_30default_config_static_selectorELNS0_4arch9wavefront6targetE0EEEvT1_
		.amdhsa_group_segment_fixed_size 0
		.amdhsa_private_segment_fixed_size 0
		.amdhsa_kernarg_size 136
		.amdhsa_user_sgpr_count 6
		.amdhsa_user_sgpr_private_segment_buffer 1
		.amdhsa_user_sgpr_dispatch_ptr 0
		.amdhsa_user_sgpr_queue_ptr 0
		.amdhsa_user_sgpr_kernarg_segment_ptr 1
		.amdhsa_user_sgpr_dispatch_id 0
		.amdhsa_user_sgpr_flat_scratch_init 0
		.amdhsa_user_sgpr_private_segment_size 0
		.amdhsa_wavefront_size32 1
		.amdhsa_uses_dynamic_stack 0
		.amdhsa_system_sgpr_private_segment_wavefront_offset 0
		.amdhsa_system_sgpr_workgroup_id_x 1
		.amdhsa_system_sgpr_workgroup_id_y 0
		.amdhsa_system_sgpr_workgroup_id_z 0
		.amdhsa_system_sgpr_workgroup_info 0
		.amdhsa_system_vgpr_workitem_id 0
		.amdhsa_next_free_vgpr 1
		.amdhsa_next_free_sgpr 1
		.amdhsa_reserve_vcc 0
		.amdhsa_reserve_flat_scratch 0
		.amdhsa_float_round_mode_32 0
		.amdhsa_float_round_mode_16_64 0
		.amdhsa_float_denorm_mode_32 3
		.amdhsa_float_denorm_mode_16_64 3
		.amdhsa_dx10_clamp 1
		.amdhsa_ieee_mode 1
		.amdhsa_fp16_overflow 0
		.amdhsa_workgroup_processor_mode 1
		.amdhsa_memory_ordered 1
		.amdhsa_forward_progress 1
		.amdhsa_shared_vgpr_count 0
		.amdhsa_exception_fp_ieee_invalid_op 0
		.amdhsa_exception_fp_denorm_src 0
		.amdhsa_exception_fp_ieee_div_zero 0
		.amdhsa_exception_fp_ieee_overflow 0
		.amdhsa_exception_fp_ieee_underflow 0
		.amdhsa_exception_fp_ieee_inexact 0
		.amdhsa_exception_int_div_zero 0
	.end_amdhsa_kernel
	.section	.text._ZN7rocprim17ROCPRIM_400000_NS6detail17trampoline_kernelINS0_14default_configENS1_27scan_by_key_config_selectorIxxEEZZNS1_16scan_by_key_implILNS1_25lookback_scan_determinismE0ELb0ES3_N6thrust23THRUST_200600_302600_NS6detail15normal_iteratorINS9_10device_ptrIxEEEESE_SE_xNS9_4plusIxEE19head_flag_predicatexEE10hipError_tPvRmT2_T3_T4_T5_mT6_T7_P12ihipStream_tbENKUlT_T0_E_clISt17integral_constantIbLb0EESX_IbLb1EEEEDaST_SU_EUlST_E_NS1_11comp_targetILNS1_3genE0ELNS1_11target_archE4294967295ELNS1_3gpuE0ELNS1_3repE0EEENS1_30default_config_static_selectorELNS0_4arch9wavefront6targetE0EEEvT1_,"axG",@progbits,_ZN7rocprim17ROCPRIM_400000_NS6detail17trampoline_kernelINS0_14default_configENS1_27scan_by_key_config_selectorIxxEEZZNS1_16scan_by_key_implILNS1_25lookback_scan_determinismE0ELb0ES3_N6thrust23THRUST_200600_302600_NS6detail15normal_iteratorINS9_10device_ptrIxEEEESE_SE_xNS9_4plusIxEE19head_flag_predicatexEE10hipError_tPvRmT2_T3_T4_T5_mT6_T7_P12ihipStream_tbENKUlT_T0_E_clISt17integral_constantIbLb0EESX_IbLb1EEEEDaST_SU_EUlST_E_NS1_11comp_targetILNS1_3genE0ELNS1_11target_archE4294967295ELNS1_3gpuE0ELNS1_3repE0EEENS1_30default_config_static_selectorELNS0_4arch9wavefront6targetE0EEEvT1_,comdat
.Lfunc_end704:
	.size	_ZN7rocprim17ROCPRIM_400000_NS6detail17trampoline_kernelINS0_14default_configENS1_27scan_by_key_config_selectorIxxEEZZNS1_16scan_by_key_implILNS1_25lookback_scan_determinismE0ELb0ES3_N6thrust23THRUST_200600_302600_NS6detail15normal_iteratorINS9_10device_ptrIxEEEESE_SE_xNS9_4plusIxEE19head_flag_predicatexEE10hipError_tPvRmT2_T3_T4_T5_mT6_T7_P12ihipStream_tbENKUlT_T0_E_clISt17integral_constantIbLb0EESX_IbLb1EEEEDaST_SU_EUlST_E_NS1_11comp_targetILNS1_3genE0ELNS1_11target_archE4294967295ELNS1_3gpuE0ELNS1_3repE0EEENS1_30default_config_static_selectorELNS0_4arch9wavefront6targetE0EEEvT1_, .Lfunc_end704-_ZN7rocprim17ROCPRIM_400000_NS6detail17trampoline_kernelINS0_14default_configENS1_27scan_by_key_config_selectorIxxEEZZNS1_16scan_by_key_implILNS1_25lookback_scan_determinismE0ELb0ES3_N6thrust23THRUST_200600_302600_NS6detail15normal_iteratorINS9_10device_ptrIxEEEESE_SE_xNS9_4plusIxEE19head_flag_predicatexEE10hipError_tPvRmT2_T3_T4_T5_mT6_T7_P12ihipStream_tbENKUlT_T0_E_clISt17integral_constantIbLb0EESX_IbLb1EEEEDaST_SU_EUlST_E_NS1_11comp_targetILNS1_3genE0ELNS1_11target_archE4294967295ELNS1_3gpuE0ELNS1_3repE0EEENS1_30default_config_static_selectorELNS0_4arch9wavefront6targetE0EEEvT1_
                                        ; -- End function
	.set _ZN7rocprim17ROCPRIM_400000_NS6detail17trampoline_kernelINS0_14default_configENS1_27scan_by_key_config_selectorIxxEEZZNS1_16scan_by_key_implILNS1_25lookback_scan_determinismE0ELb0ES3_N6thrust23THRUST_200600_302600_NS6detail15normal_iteratorINS9_10device_ptrIxEEEESE_SE_xNS9_4plusIxEE19head_flag_predicatexEE10hipError_tPvRmT2_T3_T4_T5_mT6_T7_P12ihipStream_tbENKUlT_T0_E_clISt17integral_constantIbLb0EESX_IbLb1EEEEDaST_SU_EUlST_E_NS1_11comp_targetILNS1_3genE0ELNS1_11target_archE4294967295ELNS1_3gpuE0ELNS1_3repE0EEENS1_30default_config_static_selectorELNS0_4arch9wavefront6targetE0EEEvT1_.num_vgpr, 0
	.set _ZN7rocprim17ROCPRIM_400000_NS6detail17trampoline_kernelINS0_14default_configENS1_27scan_by_key_config_selectorIxxEEZZNS1_16scan_by_key_implILNS1_25lookback_scan_determinismE0ELb0ES3_N6thrust23THRUST_200600_302600_NS6detail15normal_iteratorINS9_10device_ptrIxEEEESE_SE_xNS9_4plusIxEE19head_flag_predicatexEE10hipError_tPvRmT2_T3_T4_T5_mT6_T7_P12ihipStream_tbENKUlT_T0_E_clISt17integral_constantIbLb0EESX_IbLb1EEEEDaST_SU_EUlST_E_NS1_11comp_targetILNS1_3genE0ELNS1_11target_archE4294967295ELNS1_3gpuE0ELNS1_3repE0EEENS1_30default_config_static_selectorELNS0_4arch9wavefront6targetE0EEEvT1_.num_agpr, 0
	.set _ZN7rocprim17ROCPRIM_400000_NS6detail17trampoline_kernelINS0_14default_configENS1_27scan_by_key_config_selectorIxxEEZZNS1_16scan_by_key_implILNS1_25lookback_scan_determinismE0ELb0ES3_N6thrust23THRUST_200600_302600_NS6detail15normal_iteratorINS9_10device_ptrIxEEEESE_SE_xNS9_4plusIxEE19head_flag_predicatexEE10hipError_tPvRmT2_T3_T4_T5_mT6_T7_P12ihipStream_tbENKUlT_T0_E_clISt17integral_constantIbLb0EESX_IbLb1EEEEDaST_SU_EUlST_E_NS1_11comp_targetILNS1_3genE0ELNS1_11target_archE4294967295ELNS1_3gpuE0ELNS1_3repE0EEENS1_30default_config_static_selectorELNS0_4arch9wavefront6targetE0EEEvT1_.numbered_sgpr, 0
	.set _ZN7rocprim17ROCPRIM_400000_NS6detail17trampoline_kernelINS0_14default_configENS1_27scan_by_key_config_selectorIxxEEZZNS1_16scan_by_key_implILNS1_25lookback_scan_determinismE0ELb0ES3_N6thrust23THRUST_200600_302600_NS6detail15normal_iteratorINS9_10device_ptrIxEEEESE_SE_xNS9_4plusIxEE19head_flag_predicatexEE10hipError_tPvRmT2_T3_T4_T5_mT6_T7_P12ihipStream_tbENKUlT_T0_E_clISt17integral_constantIbLb0EESX_IbLb1EEEEDaST_SU_EUlST_E_NS1_11comp_targetILNS1_3genE0ELNS1_11target_archE4294967295ELNS1_3gpuE0ELNS1_3repE0EEENS1_30default_config_static_selectorELNS0_4arch9wavefront6targetE0EEEvT1_.num_named_barrier, 0
	.set _ZN7rocprim17ROCPRIM_400000_NS6detail17trampoline_kernelINS0_14default_configENS1_27scan_by_key_config_selectorIxxEEZZNS1_16scan_by_key_implILNS1_25lookback_scan_determinismE0ELb0ES3_N6thrust23THRUST_200600_302600_NS6detail15normal_iteratorINS9_10device_ptrIxEEEESE_SE_xNS9_4plusIxEE19head_flag_predicatexEE10hipError_tPvRmT2_T3_T4_T5_mT6_T7_P12ihipStream_tbENKUlT_T0_E_clISt17integral_constantIbLb0EESX_IbLb1EEEEDaST_SU_EUlST_E_NS1_11comp_targetILNS1_3genE0ELNS1_11target_archE4294967295ELNS1_3gpuE0ELNS1_3repE0EEENS1_30default_config_static_selectorELNS0_4arch9wavefront6targetE0EEEvT1_.private_seg_size, 0
	.set _ZN7rocprim17ROCPRIM_400000_NS6detail17trampoline_kernelINS0_14default_configENS1_27scan_by_key_config_selectorIxxEEZZNS1_16scan_by_key_implILNS1_25lookback_scan_determinismE0ELb0ES3_N6thrust23THRUST_200600_302600_NS6detail15normal_iteratorINS9_10device_ptrIxEEEESE_SE_xNS9_4plusIxEE19head_flag_predicatexEE10hipError_tPvRmT2_T3_T4_T5_mT6_T7_P12ihipStream_tbENKUlT_T0_E_clISt17integral_constantIbLb0EESX_IbLb1EEEEDaST_SU_EUlST_E_NS1_11comp_targetILNS1_3genE0ELNS1_11target_archE4294967295ELNS1_3gpuE0ELNS1_3repE0EEENS1_30default_config_static_selectorELNS0_4arch9wavefront6targetE0EEEvT1_.uses_vcc, 0
	.set _ZN7rocprim17ROCPRIM_400000_NS6detail17trampoline_kernelINS0_14default_configENS1_27scan_by_key_config_selectorIxxEEZZNS1_16scan_by_key_implILNS1_25lookback_scan_determinismE0ELb0ES3_N6thrust23THRUST_200600_302600_NS6detail15normal_iteratorINS9_10device_ptrIxEEEESE_SE_xNS9_4plusIxEE19head_flag_predicatexEE10hipError_tPvRmT2_T3_T4_T5_mT6_T7_P12ihipStream_tbENKUlT_T0_E_clISt17integral_constantIbLb0EESX_IbLb1EEEEDaST_SU_EUlST_E_NS1_11comp_targetILNS1_3genE0ELNS1_11target_archE4294967295ELNS1_3gpuE0ELNS1_3repE0EEENS1_30default_config_static_selectorELNS0_4arch9wavefront6targetE0EEEvT1_.uses_flat_scratch, 0
	.set _ZN7rocprim17ROCPRIM_400000_NS6detail17trampoline_kernelINS0_14default_configENS1_27scan_by_key_config_selectorIxxEEZZNS1_16scan_by_key_implILNS1_25lookback_scan_determinismE0ELb0ES3_N6thrust23THRUST_200600_302600_NS6detail15normal_iteratorINS9_10device_ptrIxEEEESE_SE_xNS9_4plusIxEE19head_flag_predicatexEE10hipError_tPvRmT2_T3_T4_T5_mT6_T7_P12ihipStream_tbENKUlT_T0_E_clISt17integral_constantIbLb0EESX_IbLb1EEEEDaST_SU_EUlST_E_NS1_11comp_targetILNS1_3genE0ELNS1_11target_archE4294967295ELNS1_3gpuE0ELNS1_3repE0EEENS1_30default_config_static_selectorELNS0_4arch9wavefront6targetE0EEEvT1_.has_dyn_sized_stack, 0
	.set _ZN7rocprim17ROCPRIM_400000_NS6detail17trampoline_kernelINS0_14default_configENS1_27scan_by_key_config_selectorIxxEEZZNS1_16scan_by_key_implILNS1_25lookback_scan_determinismE0ELb0ES3_N6thrust23THRUST_200600_302600_NS6detail15normal_iteratorINS9_10device_ptrIxEEEESE_SE_xNS9_4plusIxEE19head_flag_predicatexEE10hipError_tPvRmT2_T3_T4_T5_mT6_T7_P12ihipStream_tbENKUlT_T0_E_clISt17integral_constantIbLb0EESX_IbLb1EEEEDaST_SU_EUlST_E_NS1_11comp_targetILNS1_3genE0ELNS1_11target_archE4294967295ELNS1_3gpuE0ELNS1_3repE0EEENS1_30default_config_static_selectorELNS0_4arch9wavefront6targetE0EEEvT1_.has_recursion, 0
	.set _ZN7rocprim17ROCPRIM_400000_NS6detail17trampoline_kernelINS0_14default_configENS1_27scan_by_key_config_selectorIxxEEZZNS1_16scan_by_key_implILNS1_25lookback_scan_determinismE0ELb0ES3_N6thrust23THRUST_200600_302600_NS6detail15normal_iteratorINS9_10device_ptrIxEEEESE_SE_xNS9_4plusIxEE19head_flag_predicatexEE10hipError_tPvRmT2_T3_T4_T5_mT6_T7_P12ihipStream_tbENKUlT_T0_E_clISt17integral_constantIbLb0EESX_IbLb1EEEEDaST_SU_EUlST_E_NS1_11comp_targetILNS1_3genE0ELNS1_11target_archE4294967295ELNS1_3gpuE0ELNS1_3repE0EEENS1_30default_config_static_selectorELNS0_4arch9wavefront6targetE0EEEvT1_.has_indirect_call, 0
	.section	.AMDGPU.csdata,"",@progbits
; Kernel info:
; codeLenInByte = 0
; TotalNumSgprs: 0
; NumVgprs: 0
; ScratchSize: 0
; MemoryBound: 0
; FloatMode: 240
; IeeeMode: 1
; LDSByteSize: 0 bytes/workgroup (compile time only)
; SGPRBlocks: 0
; VGPRBlocks: 0
; NumSGPRsForWavesPerEU: 1
; NumVGPRsForWavesPerEU: 1
; Occupancy: 16
; WaveLimiterHint : 0
; COMPUTE_PGM_RSRC2:SCRATCH_EN: 0
; COMPUTE_PGM_RSRC2:USER_SGPR: 6
; COMPUTE_PGM_RSRC2:TRAP_HANDLER: 0
; COMPUTE_PGM_RSRC2:TGID_X_EN: 1
; COMPUTE_PGM_RSRC2:TGID_Y_EN: 0
; COMPUTE_PGM_RSRC2:TGID_Z_EN: 0
; COMPUTE_PGM_RSRC2:TIDIG_COMP_CNT: 0
	.section	.text._ZN7rocprim17ROCPRIM_400000_NS6detail17trampoline_kernelINS0_14default_configENS1_27scan_by_key_config_selectorIxxEEZZNS1_16scan_by_key_implILNS1_25lookback_scan_determinismE0ELb0ES3_N6thrust23THRUST_200600_302600_NS6detail15normal_iteratorINS9_10device_ptrIxEEEESE_SE_xNS9_4plusIxEE19head_flag_predicatexEE10hipError_tPvRmT2_T3_T4_T5_mT6_T7_P12ihipStream_tbENKUlT_T0_E_clISt17integral_constantIbLb0EESX_IbLb1EEEEDaST_SU_EUlST_E_NS1_11comp_targetILNS1_3genE10ELNS1_11target_archE1201ELNS1_3gpuE5ELNS1_3repE0EEENS1_30default_config_static_selectorELNS0_4arch9wavefront6targetE0EEEvT1_,"axG",@progbits,_ZN7rocprim17ROCPRIM_400000_NS6detail17trampoline_kernelINS0_14default_configENS1_27scan_by_key_config_selectorIxxEEZZNS1_16scan_by_key_implILNS1_25lookback_scan_determinismE0ELb0ES3_N6thrust23THRUST_200600_302600_NS6detail15normal_iteratorINS9_10device_ptrIxEEEESE_SE_xNS9_4plusIxEE19head_flag_predicatexEE10hipError_tPvRmT2_T3_T4_T5_mT6_T7_P12ihipStream_tbENKUlT_T0_E_clISt17integral_constantIbLb0EESX_IbLb1EEEEDaST_SU_EUlST_E_NS1_11comp_targetILNS1_3genE10ELNS1_11target_archE1201ELNS1_3gpuE5ELNS1_3repE0EEENS1_30default_config_static_selectorELNS0_4arch9wavefront6targetE0EEEvT1_,comdat
	.protected	_ZN7rocprim17ROCPRIM_400000_NS6detail17trampoline_kernelINS0_14default_configENS1_27scan_by_key_config_selectorIxxEEZZNS1_16scan_by_key_implILNS1_25lookback_scan_determinismE0ELb0ES3_N6thrust23THRUST_200600_302600_NS6detail15normal_iteratorINS9_10device_ptrIxEEEESE_SE_xNS9_4plusIxEE19head_flag_predicatexEE10hipError_tPvRmT2_T3_T4_T5_mT6_T7_P12ihipStream_tbENKUlT_T0_E_clISt17integral_constantIbLb0EESX_IbLb1EEEEDaST_SU_EUlST_E_NS1_11comp_targetILNS1_3genE10ELNS1_11target_archE1201ELNS1_3gpuE5ELNS1_3repE0EEENS1_30default_config_static_selectorELNS0_4arch9wavefront6targetE0EEEvT1_ ; -- Begin function _ZN7rocprim17ROCPRIM_400000_NS6detail17trampoline_kernelINS0_14default_configENS1_27scan_by_key_config_selectorIxxEEZZNS1_16scan_by_key_implILNS1_25lookback_scan_determinismE0ELb0ES3_N6thrust23THRUST_200600_302600_NS6detail15normal_iteratorINS9_10device_ptrIxEEEESE_SE_xNS9_4plusIxEE19head_flag_predicatexEE10hipError_tPvRmT2_T3_T4_T5_mT6_T7_P12ihipStream_tbENKUlT_T0_E_clISt17integral_constantIbLb0EESX_IbLb1EEEEDaST_SU_EUlST_E_NS1_11comp_targetILNS1_3genE10ELNS1_11target_archE1201ELNS1_3gpuE5ELNS1_3repE0EEENS1_30default_config_static_selectorELNS0_4arch9wavefront6targetE0EEEvT1_
	.globl	_ZN7rocprim17ROCPRIM_400000_NS6detail17trampoline_kernelINS0_14default_configENS1_27scan_by_key_config_selectorIxxEEZZNS1_16scan_by_key_implILNS1_25lookback_scan_determinismE0ELb0ES3_N6thrust23THRUST_200600_302600_NS6detail15normal_iteratorINS9_10device_ptrIxEEEESE_SE_xNS9_4plusIxEE19head_flag_predicatexEE10hipError_tPvRmT2_T3_T4_T5_mT6_T7_P12ihipStream_tbENKUlT_T0_E_clISt17integral_constantIbLb0EESX_IbLb1EEEEDaST_SU_EUlST_E_NS1_11comp_targetILNS1_3genE10ELNS1_11target_archE1201ELNS1_3gpuE5ELNS1_3repE0EEENS1_30default_config_static_selectorELNS0_4arch9wavefront6targetE0EEEvT1_
	.p2align	8
	.type	_ZN7rocprim17ROCPRIM_400000_NS6detail17trampoline_kernelINS0_14default_configENS1_27scan_by_key_config_selectorIxxEEZZNS1_16scan_by_key_implILNS1_25lookback_scan_determinismE0ELb0ES3_N6thrust23THRUST_200600_302600_NS6detail15normal_iteratorINS9_10device_ptrIxEEEESE_SE_xNS9_4plusIxEE19head_flag_predicatexEE10hipError_tPvRmT2_T3_T4_T5_mT6_T7_P12ihipStream_tbENKUlT_T0_E_clISt17integral_constantIbLb0EESX_IbLb1EEEEDaST_SU_EUlST_E_NS1_11comp_targetILNS1_3genE10ELNS1_11target_archE1201ELNS1_3gpuE5ELNS1_3repE0EEENS1_30default_config_static_selectorELNS0_4arch9wavefront6targetE0EEEvT1_,@function
_ZN7rocprim17ROCPRIM_400000_NS6detail17trampoline_kernelINS0_14default_configENS1_27scan_by_key_config_selectorIxxEEZZNS1_16scan_by_key_implILNS1_25lookback_scan_determinismE0ELb0ES3_N6thrust23THRUST_200600_302600_NS6detail15normal_iteratorINS9_10device_ptrIxEEEESE_SE_xNS9_4plusIxEE19head_flag_predicatexEE10hipError_tPvRmT2_T3_T4_T5_mT6_T7_P12ihipStream_tbENKUlT_T0_E_clISt17integral_constantIbLb0EESX_IbLb1EEEEDaST_SU_EUlST_E_NS1_11comp_targetILNS1_3genE10ELNS1_11target_archE1201ELNS1_3gpuE5ELNS1_3repE0EEENS1_30default_config_static_selectorELNS0_4arch9wavefront6targetE0EEEvT1_: ; @_ZN7rocprim17ROCPRIM_400000_NS6detail17trampoline_kernelINS0_14default_configENS1_27scan_by_key_config_selectorIxxEEZZNS1_16scan_by_key_implILNS1_25lookback_scan_determinismE0ELb0ES3_N6thrust23THRUST_200600_302600_NS6detail15normal_iteratorINS9_10device_ptrIxEEEESE_SE_xNS9_4plusIxEE19head_flag_predicatexEE10hipError_tPvRmT2_T3_T4_T5_mT6_T7_P12ihipStream_tbENKUlT_T0_E_clISt17integral_constantIbLb0EESX_IbLb1EEEEDaST_SU_EUlST_E_NS1_11comp_targetILNS1_3genE10ELNS1_11target_archE1201ELNS1_3gpuE5ELNS1_3repE0EEENS1_30default_config_static_selectorELNS0_4arch9wavefront6targetE0EEEvT1_
; %bb.0:
	.section	.rodata,"a",@progbits
	.p2align	6, 0x0
	.amdhsa_kernel _ZN7rocprim17ROCPRIM_400000_NS6detail17trampoline_kernelINS0_14default_configENS1_27scan_by_key_config_selectorIxxEEZZNS1_16scan_by_key_implILNS1_25lookback_scan_determinismE0ELb0ES3_N6thrust23THRUST_200600_302600_NS6detail15normal_iteratorINS9_10device_ptrIxEEEESE_SE_xNS9_4plusIxEE19head_flag_predicatexEE10hipError_tPvRmT2_T3_T4_T5_mT6_T7_P12ihipStream_tbENKUlT_T0_E_clISt17integral_constantIbLb0EESX_IbLb1EEEEDaST_SU_EUlST_E_NS1_11comp_targetILNS1_3genE10ELNS1_11target_archE1201ELNS1_3gpuE5ELNS1_3repE0EEENS1_30default_config_static_selectorELNS0_4arch9wavefront6targetE0EEEvT1_
		.amdhsa_group_segment_fixed_size 0
		.amdhsa_private_segment_fixed_size 0
		.amdhsa_kernarg_size 136
		.amdhsa_user_sgpr_count 6
		.amdhsa_user_sgpr_private_segment_buffer 1
		.amdhsa_user_sgpr_dispatch_ptr 0
		.amdhsa_user_sgpr_queue_ptr 0
		.amdhsa_user_sgpr_kernarg_segment_ptr 1
		.amdhsa_user_sgpr_dispatch_id 0
		.amdhsa_user_sgpr_flat_scratch_init 0
		.amdhsa_user_sgpr_private_segment_size 0
		.amdhsa_wavefront_size32 1
		.amdhsa_uses_dynamic_stack 0
		.amdhsa_system_sgpr_private_segment_wavefront_offset 0
		.amdhsa_system_sgpr_workgroup_id_x 1
		.amdhsa_system_sgpr_workgroup_id_y 0
		.amdhsa_system_sgpr_workgroup_id_z 0
		.amdhsa_system_sgpr_workgroup_info 0
		.amdhsa_system_vgpr_workitem_id 0
		.amdhsa_next_free_vgpr 1
		.amdhsa_next_free_sgpr 1
		.amdhsa_reserve_vcc 0
		.amdhsa_reserve_flat_scratch 0
		.amdhsa_float_round_mode_32 0
		.amdhsa_float_round_mode_16_64 0
		.amdhsa_float_denorm_mode_32 3
		.amdhsa_float_denorm_mode_16_64 3
		.amdhsa_dx10_clamp 1
		.amdhsa_ieee_mode 1
		.amdhsa_fp16_overflow 0
		.amdhsa_workgroup_processor_mode 1
		.amdhsa_memory_ordered 1
		.amdhsa_forward_progress 1
		.amdhsa_shared_vgpr_count 0
		.amdhsa_exception_fp_ieee_invalid_op 0
		.amdhsa_exception_fp_denorm_src 0
		.amdhsa_exception_fp_ieee_div_zero 0
		.amdhsa_exception_fp_ieee_overflow 0
		.amdhsa_exception_fp_ieee_underflow 0
		.amdhsa_exception_fp_ieee_inexact 0
		.amdhsa_exception_int_div_zero 0
	.end_amdhsa_kernel
	.section	.text._ZN7rocprim17ROCPRIM_400000_NS6detail17trampoline_kernelINS0_14default_configENS1_27scan_by_key_config_selectorIxxEEZZNS1_16scan_by_key_implILNS1_25lookback_scan_determinismE0ELb0ES3_N6thrust23THRUST_200600_302600_NS6detail15normal_iteratorINS9_10device_ptrIxEEEESE_SE_xNS9_4plusIxEE19head_flag_predicatexEE10hipError_tPvRmT2_T3_T4_T5_mT6_T7_P12ihipStream_tbENKUlT_T0_E_clISt17integral_constantIbLb0EESX_IbLb1EEEEDaST_SU_EUlST_E_NS1_11comp_targetILNS1_3genE10ELNS1_11target_archE1201ELNS1_3gpuE5ELNS1_3repE0EEENS1_30default_config_static_selectorELNS0_4arch9wavefront6targetE0EEEvT1_,"axG",@progbits,_ZN7rocprim17ROCPRIM_400000_NS6detail17trampoline_kernelINS0_14default_configENS1_27scan_by_key_config_selectorIxxEEZZNS1_16scan_by_key_implILNS1_25lookback_scan_determinismE0ELb0ES3_N6thrust23THRUST_200600_302600_NS6detail15normal_iteratorINS9_10device_ptrIxEEEESE_SE_xNS9_4plusIxEE19head_flag_predicatexEE10hipError_tPvRmT2_T3_T4_T5_mT6_T7_P12ihipStream_tbENKUlT_T0_E_clISt17integral_constantIbLb0EESX_IbLb1EEEEDaST_SU_EUlST_E_NS1_11comp_targetILNS1_3genE10ELNS1_11target_archE1201ELNS1_3gpuE5ELNS1_3repE0EEENS1_30default_config_static_selectorELNS0_4arch9wavefront6targetE0EEEvT1_,comdat
.Lfunc_end705:
	.size	_ZN7rocprim17ROCPRIM_400000_NS6detail17trampoline_kernelINS0_14default_configENS1_27scan_by_key_config_selectorIxxEEZZNS1_16scan_by_key_implILNS1_25lookback_scan_determinismE0ELb0ES3_N6thrust23THRUST_200600_302600_NS6detail15normal_iteratorINS9_10device_ptrIxEEEESE_SE_xNS9_4plusIxEE19head_flag_predicatexEE10hipError_tPvRmT2_T3_T4_T5_mT6_T7_P12ihipStream_tbENKUlT_T0_E_clISt17integral_constantIbLb0EESX_IbLb1EEEEDaST_SU_EUlST_E_NS1_11comp_targetILNS1_3genE10ELNS1_11target_archE1201ELNS1_3gpuE5ELNS1_3repE0EEENS1_30default_config_static_selectorELNS0_4arch9wavefront6targetE0EEEvT1_, .Lfunc_end705-_ZN7rocprim17ROCPRIM_400000_NS6detail17trampoline_kernelINS0_14default_configENS1_27scan_by_key_config_selectorIxxEEZZNS1_16scan_by_key_implILNS1_25lookback_scan_determinismE0ELb0ES3_N6thrust23THRUST_200600_302600_NS6detail15normal_iteratorINS9_10device_ptrIxEEEESE_SE_xNS9_4plusIxEE19head_flag_predicatexEE10hipError_tPvRmT2_T3_T4_T5_mT6_T7_P12ihipStream_tbENKUlT_T0_E_clISt17integral_constantIbLb0EESX_IbLb1EEEEDaST_SU_EUlST_E_NS1_11comp_targetILNS1_3genE10ELNS1_11target_archE1201ELNS1_3gpuE5ELNS1_3repE0EEENS1_30default_config_static_selectorELNS0_4arch9wavefront6targetE0EEEvT1_
                                        ; -- End function
	.set _ZN7rocprim17ROCPRIM_400000_NS6detail17trampoline_kernelINS0_14default_configENS1_27scan_by_key_config_selectorIxxEEZZNS1_16scan_by_key_implILNS1_25lookback_scan_determinismE0ELb0ES3_N6thrust23THRUST_200600_302600_NS6detail15normal_iteratorINS9_10device_ptrIxEEEESE_SE_xNS9_4plusIxEE19head_flag_predicatexEE10hipError_tPvRmT2_T3_T4_T5_mT6_T7_P12ihipStream_tbENKUlT_T0_E_clISt17integral_constantIbLb0EESX_IbLb1EEEEDaST_SU_EUlST_E_NS1_11comp_targetILNS1_3genE10ELNS1_11target_archE1201ELNS1_3gpuE5ELNS1_3repE0EEENS1_30default_config_static_selectorELNS0_4arch9wavefront6targetE0EEEvT1_.num_vgpr, 0
	.set _ZN7rocprim17ROCPRIM_400000_NS6detail17trampoline_kernelINS0_14default_configENS1_27scan_by_key_config_selectorIxxEEZZNS1_16scan_by_key_implILNS1_25lookback_scan_determinismE0ELb0ES3_N6thrust23THRUST_200600_302600_NS6detail15normal_iteratorINS9_10device_ptrIxEEEESE_SE_xNS9_4plusIxEE19head_flag_predicatexEE10hipError_tPvRmT2_T3_T4_T5_mT6_T7_P12ihipStream_tbENKUlT_T0_E_clISt17integral_constantIbLb0EESX_IbLb1EEEEDaST_SU_EUlST_E_NS1_11comp_targetILNS1_3genE10ELNS1_11target_archE1201ELNS1_3gpuE5ELNS1_3repE0EEENS1_30default_config_static_selectorELNS0_4arch9wavefront6targetE0EEEvT1_.num_agpr, 0
	.set _ZN7rocprim17ROCPRIM_400000_NS6detail17trampoline_kernelINS0_14default_configENS1_27scan_by_key_config_selectorIxxEEZZNS1_16scan_by_key_implILNS1_25lookback_scan_determinismE0ELb0ES3_N6thrust23THRUST_200600_302600_NS6detail15normal_iteratorINS9_10device_ptrIxEEEESE_SE_xNS9_4plusIxEE19head_flag_predicatexEE10hipError_tPvRmT2_T3_T4_T5_mT6_T7_P12ihipStream_tbENKUlT_T0_E_clISt17integral_constantIbLb0EESX_IbLb1EEEEDaST_SU_EUlST_E_NS1_11comp_targetILNS1_3genE10ELNS1_11target_archE1201ELNS1_3gpuE5ELNS1_3repE0EEENS1_30default_config_static_selectorELNS0_4arch9wavefront6targetE0EEEvT1_.numbered_sgpr, 0
	.set _ZN7rocprim17ROCPRIM_400000_NS6detail17trampoline_kernelINS0_14default_configENS1_27scan_by_key_config_selectorIxxEEZZNS1_16scan_by_key_implILNS1_25lookback_scan_determinismE0ELb0ES3_N6thrust23THRUST_200600_302600_NS6detail15normal_iteratorINS9_10device_ptrIxEEEESE_SE_xNS9_4plusIxEE19head_flag_predicatexEE10hipError_tPvRmT2_T3_T4_T5_mT6_T7_P12ihipStream_tbENKUlT_T0_E_clISt17integral_constantIbLb0EESX_IbLb1EEEEDaST_SU_EUlST_E_NS1_11comp_targetILNS1_3genE10ELNS1_11target_archE1201ELNS1_3gpuE5ELNS1_3repE0EEENS1_30default_config_static_selectorELNS0_4arch9wavefront6targetE0EEEvT1_.num_named_barrier, 0
	.set _ZN7rocprim17ROCPRIM_400000_NS6detail17trampoline_kernelINS0_14default_configENS1_27scan_by_key_config_selectorIxxEEZZNS1_16scan_by_key_implILNS1_25lookback_scan_determinismE0ELb0ES3_N6thrust23THRUST_200600_302600_NS6detail15normal_iteratorINS9_10device_ptrIxEEEESE_SE_xNS9_4plusIxEE19head_flag_predicatexEE10hipError_tPvRmT2_T3_T4_T5_mT6_T7_P12ihipStream_tbENKUlT_T0_E_clISt17integral_constantIbLb0EESX_IbLb1EEEEDaST_SU_EUlST_E_NS1_11comp_targetILNS1_3genE10ELNS1_11target_archE1201ELNS1_3gpuE5ELNS1_3repE0EEENS1_30default_config_static_selectorELNS0_4arch9wavefront6targetE0EEEvT1_.private_seg_size, 0
	.set _ZN7rocprim17ROCPRIM_400000_NS6detail17trampoline_kernelINS0_14default_configENS1_27scan_by_key_config_selectorIxxEEZZNS1_16scan_by_key_implILNS1_25lookback_scan_determinismE0ELb0ES3_N6thrust23THRUST_200600_302600_NS6detail15normal_iteratorINS9_10device_ptrIxEEEESE_SE_xNS9_4plusIxEE19head_flag_predicatexEE10hipError_tPvRmT2_T3_T4_T5_mT6_T7_P12ihipStream_tbENKUlT_T0_E_clISt17integral_constantIbLb0EESX_IbLb1EEEEDaST_SU_EUlST_E_NS1_11comp_targetILNS1_3genE10ELNS1_11target_archE1201ELNS1_3gpuE5ELNS1_3repE0EEENS1_30default_config_static_selectorELNS0_4arch9wavefront6targetE0EEEvT1_.uses_vcc, 0
	.set _ZN7rocprim17ROCPRIM_400000_NS6detail17trampoline_kernelINS0_14default_configENS1_27scan_by_key_config_selectorIxxEEZZNS1_16scan_by_key_implILNS1_25lookback_scan_determinismE0ELb0ES3_N6thrust23THRUST_200600_302600_NS6detail15normal_iteratorINS9_10device_ptrIxEEEESE_SE_xNS9_4plusIxEE19head_flag_predicatexEE10hipError_tPvRmT2_T3_T4_T5_mT6_T7_P12ihipStream_tbENKUlT_T0_E_clISt17integral_constantIbLb0EESX_IbLb1EEEEDaST_SU_EUlST_E_NS1_11comp_targetILNS1_3genE10ELNS1_11target_archE1201ELNS1_3gpuE5ELNS1_3repE0EEENS1_30default_config_static_selectorELNS0_4arch9wavefront6targetE0EEEvT1_.uses_flat_scratch, 0
	.set _ZN7rocprim17ROCPRIM_400000_NS6detail17trampoline_kernelINS0_14default_configENS1_27scan_by_key_config_selectorIxxEEZZNS1_16scan_by_key_implILNS1_25lookback_scan_determinismE0ELb0ES3_N6thrust23THRUST_200600_302600_NS6detail15normal_iteratorINS9_10device_ptrIxEEEESE_SE_xNS9_4plusIxEE19head_flag_predicatexEE10hipError_tPvRmT2_T3_T4_T5_mT6_T7_P12ihipStream_tbENKUlT_T0_E_clISt17integral_constantIbLb0EESX_IbLb1EEEEDaST_SU_EUlST_E_NS1_11comp_targetILNS1_3genE10ELNS1_11target_archE1201ELNS1_3gpuE5ELNS1_3repE0EEENS1_30default_config_static_selectorELNS0_4arch9wavefront6targetE0EEEvT1_.has_dyn_sized_stack, 0
	.set _ZN7rocprim17ROCPRIM_400000_NS6detail17trampoline_kernelINS0_14default_configENS1_27scan_by_key_config_selectorIxxEEZZNS1_16scan_by_key_implILNS1_25lookback_scan_determinismE0ELb0ES3_N6thrust23THRUST_200600_302600_NS6detail15normal_iteratorINS9_10device_ptrIxEEEESE_SE_xNS9_4plusIxEE19head_flag_predicatexEE10hipError_tPvRmT2_T3_T4_T5_mT6_T7_P12ihipStream_tbENKUlT_T0_E_clISt17integral_constantIbLb0EESX_IbLb1EEEEDaST_SU_EUlST_E_NS1_11comp_targetILNS1_3genE10ELNS1_11target_archE1201ELNS1_3gpuE5ELNS1_3repE0EEENS1_30default_config_static_selectorELNS0_4arch9wavefront6targetE0EEEvT1_.has_recursion, 0
	.set _ZN7rocprim17ROCPRIM_400000_NS6detail17trampoline_kernelINS0_14default_configENS1_27scan_by_key_config_selectorIxxEEZZNS1_16scan_by_key_implILNS1_25lookback_scan_determinismE0ELb0ES3_N6thrust23THRUST_200600_302600_NS6detail15normal_iteratorINS9_10device_ptrIxEEEESE_SE_xNS9_4plusIxEE19head_flag_predicatexEE10hipError_tPvRmT2_T3_T4_T5_mT6_T7_P12ihipStream_tbENKUlT_T0_E_clISt17integral_constantIbLb0EESX_IbLb1EEEEDaST_SU_EUlST_E_NS1_11comp_targetILNS1_3genE10ELNS1_11target_archE1201ELNS1_3gpuE5ELNS1_3repE0EEENS1_30default_config_static_selectorELNS0_4arch9wavefront6targetE0EEEvT1_.has_indirect_call, 0
	.section	.AMDGPU.csdata,"",@progbits
; Kernel info:
; codeLenInByte = 0
; TotalNumSgprs: 0
; NumVgprs: 0
; ScratchSize: 0
; MemoryBound: 0
; FloatMode: 240
; IeeeMode: 1
; LDSByteSize: 0 bytes/workgroup (compile time only)
; SGPRBlocks: 0
; VGPRBlocks: 0
; NumSGPRsForWavesPerEU: 1
; NumVGPRsForWavesPerEU: 1
; Occupancy: 16
; WaveLimiterHint : 0
; COMPUTE_PGM_RSRC2:SCRATCH_EN: 0
; COMPUTE_PGM_RSRC2:USER_SGPR: 6
; COMPUTE_PGM_RSRC2:TRAP_HANDLER: 0
; COMPUTE_PGM_RSRC2:TGID_X_EN: 1
; COMPUTE_PGM_RSRC2:TGID_Y_EN: 0
; COMPUTE_PGM_RSRC2:TGID_Z_EN: 0
; COMPUTE_PGM_RSRC2:TIDIG_COMP_CNT: 0
	.section	.text._ZN7rocprim17ROCPRIM_400000_NS6detail17trampoline_kernelINS0_14default_configENS1_27scan_by_key_config_selectorIxxEEZZNS1_16scan_by_key_implILNS1_25lookback_scan_determinismE0ELb0ES3_N6thrust23THRUST_200600_302600_NS6detail15normal_iteratorINS9_10device_ptrIxEEEESE_SE_xNS9_4plusIxEE19head_flag_predicatexEE10hipError_tPvRmT2_T3_T4_T5_mT6_T7_P12ihipStream_tbENKUlT_T0_E_clISt17integral_constantIbLb0EESX_IbLb1EEEEDaST_SU_EUlST_E_NS1_11comp_targetILNS1_3genE5ELNS1_11target_archE942ELNS1_3gpuE9ELNS1_3repE0EEENS1_30default_config_static_selectorELNS0_4arch9wavefront6targetE0EEEvT1_,"axG",@progbits,_ZN7rocprim17ROCPRIM_400000_NS6detail17trampoline_kernelINS0_14default_configENS1_27scan_by_key_config_selectorIxxEEZZNS1_16scan_by_key_implILNS1_25lookback_scan_determinismE0ELb0ES3_N6thrust23THRUST_200600_302600_NS6detail15normal_iteratorINS9_10device_ptrIxEEEESE_SE_xNS9_4plusIxEE19head_flag_predicatexEE10hipError_tPvRmT2_T3_T4_T5_mT6_T7_P12ihipStream_tbENKUlT_T0_E_clISt17integral_constantIbLb0EESX_IbLb1EEEEDaST_SU_EUlST_E_NS1_11comp_targetILNS1_3genE5ELNS1_11target_archE942ELNS1_3gpuE9ELNS1_3repE0EEENS1_30default_config_static_selectorELNS0_4arch9wavefront6targetE0EEEvT1_,comdat
	.protected	_ZN7rocprim17ROCPRIM_400000_NS6detail17trampoline_kernelINS0_14default_configENS1_27scan_by_key_config_selectorIxxEEZZNS1_16scan_by_key_implILNS1_25lookback_scan_determinismE0ELb0ES3_N6thrust23THRUST_200600_302600_NS6detail15normal_iteratorINS9_10device_ptrIxEEEESE_SE_xNS9_4plusIxEE19head_flag_predicatexEE10hipError_tPvRmT2_T3_T4_T5_mT6_T7_P12ihipStream_tbENKUlT_T0_E_clISt17integral_constantIbLb0EESX_IbLb1EEEEDaST_SU_EUlST_E_NS1_11comp_targetILNS1_3genE5ELNS1_11target_archE942ELNS1_3gpuE9ELNS1_3repE0EEENS1_30default_config_static_selectorELNS0_4arch9wavefront6targetE0EEEvT1_ ; -- Begin function _ZN7rocprim17ROCPRIM_400000_NS6detail17trampoline_kernelINS0_14default_configENS1_27scan_by_key_config_selectorIxxEEZZNS1_16scan_by_key_implILNS1_25lookback_scan_determinismE0ELb0ES3_N6thrust23THRUST_200600_302600_NS6detail15normal_iteratorINS9_10device_ptrIxEEEESE_SE_xNS9_4plusIxEE19head_flag_predicatexEE10hipError_tPvRmT2_T3_T4_T5_mT6_T7_P12ihipStream_tbENKUlT_T0_E_clISt17integral_constantIbLb0EESX_IbLb1EEEEDaST_SU_EUlST_E_NS1_11comp_targetILNS1_3genE5ELNS1_11target_archE942ELNS1_3gpuE9ELNS1_3repE0EEENS1_30default_config_static_selectorELNS0_4arch9wavefront6targetE0EEEvT1_
	.globl	_ZN7rocprim17ROCPRIM_400000_NS6detail17trampoline_kernelINS0_14default_configENS1_27scan_by_key_config_selectorIxxEEZZNS1_16scan_by_key_implILNS1_25lookback_scan_determinismE0ELb0ES3_N6thrust23THRUST_200600_302600_NS6detail15normal_iteratorINS9_10device_ptrIxEEEESE_SE_xNS9_4plusIxEE19head_flag_predicatexEE10hipError_tPvRmT2_T3_T4_T5_mT6_T7_P12ihipStream_tbENKUlT_T0_E_clISt17integral_constantIbLb0EESX_IbLb1EEEEDaST_SU_EUlST_E_NS1_11comp_targetILNS1_3genE5ELNS1_11target_archE942ELNS1_3gpuE9ELNS1_3repE0EEENS1_30default_config_static_selectorELNS0_4arch9wavefront6targetE0EEEvT1_
	.p2align	8
	.type	_ZN7rocprim17ROCPRIM_400000_NS6detail17trampoline_kernelINS0_14default_configENS1_27scan_by_key_config_selectorIxxEEZZNS1_16scan_by_key_implILNS1_25lookback_scan_determinismE0ELb0ES3_N6thrust23THRUST_200600_302600_NS6detail15normal_iteratorINS9_10device_ptrIxEEEESE_SE_xNS9_4plusIxEE19head_flag_predicatexEE10hipError_tPvRmT2_T3_T4_T5_mT6_T7_P12ihipStream_tbENKUlT_T0_E_clISt17integral_constantIbLb0EESX_IbLb1EEEEDaST_SU_EUlST_E_NS1_11comp_targetILNS1_3genE5ELNS1_11target_archE942ELNS1_3gpuE9ELNS1_3repE0EEENS1_30default_config_static_selectorELNS0_4arch9wavefront6targetE0EEEvT1_,@function
_ZN7rocprim17ROCPRIM_400000_NS6detail17trampoline_kernelINS0_14default_configENS1_27scan_by_key_config_selectorIxxEEZZNS1_16scan_by_key_implILNS1_25lookback_scan_determinismE0ELb0ES3_N6thrust23THRUST_200600_302600_NS6detail15normal_iteratorINS9_10device_ptrIxEEEESE_SE_xNS9_4plusIxEE19head_flag_predicatexEE10hipError_tPvRmT2_T3_T4_T5_mT6_T7_P12ihipStream_tbENKUlT_T0_E_clISt17integral_constantIbLb0EESX_IbLb1EEEEDaST_SU_EUlST_E_NS1_11comp_targetILNS1_3genE5ELNS1_11target_archE942ELNS1_3gpuE9ELNS1_3repE0EEENS1_30default_config_static_selectorELNS0_4arch9wavefront6targetE0EEEvT1_: ; @_ZN7rocprim17ROCPRIM_400000_NS6detail17trampoline_kernelINS0_14default_configENS1_27scan_by_key_config_selectorIxxEEZZNS1_16scan_by_key_implILNS1_25lookback_scan_determinismE0ELb0ES3_N6thrust23THRUST_200600_302600_NS6detail15normal_iteratorINS9_10device_ptrIxEEEESE_SE_xNS9_4plusIxEE19head_flag_predicatexEE10hipError_tPvRmT2_T3_T4_T5_mT6_T7_P12ihipStream_tbENKUlT_T0_E_clISt17integral_constantIbLb0EESX_IbLb1EEEEDaST_SU_EUlST_E_NS1_11comp_targetILNS1_3genE5ELNS1_11target_archE942ELNS1_3gpuE9ELNS1_3repE0EEENS1_30default_config_static_selectorELNS0_4arch9wavefront6targetE0EEEvT1_
; %bb.0:
	.section	.rodata,"a",@progbits
	.p2align	6, 0x0
	.amdhsa_kernel _ZN7rocprim17ROCPRIM_400000_NS6detail17trampoline_kernelINS0_14default_configENS1_27scan_by_key_config_selectorIxxEEZZNS1_16scan_by_key_implILNS1_25lookback_scan_determinismE0ELb0ES3_N6thrust23THRUST_200600_302600_NS6detail15normal_iteratorINS9_10device_ptrIxEEEESE_SE_xNS9_4plusIxEE19head_flag_predicatexEE10hipError_tPvRmT2_T3_T4_T5_mT6_T7_P12ihipStream_tbENKUlT_T0_E_clISt17integral_constantIbLb0EESX_IbLb1EEEEDaST_SU_EUlST_E_NS1_11comp_targetILNS1_3genE5ELNS1_11target_archE942ELNS1_3gpuE9ELNS1_3repE0EEENS1_30default_config_static_selectorELNS0_4arch9wavefront6targetE0EEEvT1_
		.amdhsa_group_segment_fixed_size 0
		.amdhsa_private_segment_fixed_size 0
		.amdhsa_kernarg_size 136
		.amdhsa_user_sgpr_count 6
		.amdhsa_user_sgpr_private_segment_buffer 1
		.amdhsa_user_sgpr_dispatch_ptr 0
		.amdhsa_user_sgpr_queue_ptr 0
		.amdhsa_user_sgpr_kernarg_segment_ptr 1
		.amdhsa_user_sgpr_dispatch_id 0
		.amdhsa_user_sgpr_flat_scratch_init 0
		.amdhsa_user_sgpr_private_segment_size 0
		.amdhsa_wavefront_size32 1
		.amdhsa_uses_dynamic_stack 0
		.amdhsa_system_sgpr_private_segment_wavefront_offset 0
		.amdhsa_system_sgpr_workgroup_id_x 1
		.amdhsa_system_sgpr_workgroup_id_y 0
		.amdhsa_system_sgpr_workgroup_id_z 0
		.amdhsa_system_sgpr_workgroup_info 0
		.amdhsa_system_vgpr_workitem_id 0
		.amdhsa_next_free_vgpr 1
		.amdhsa_next_free_sgpr 1
		.amdhsa_reserve_vcc 0
		.amdhsa_reserve_flat_scratch 0
		.amdhsa_float_round_mode_32 0
		.amdhsa_float_round_mode_16_64 0
		.amdhsa_float_denorm_mode_32 3
		.amdhsa_float_denorm_mode_16_64 3
		.amdhsa_dx10_clamp 1
		.amdhsa_ieee_mode 1
		.amdhsa_fp16_overflow 0
		.amdhsa_workgroup_processor_mode 1
		.amdhsa_memory_ordered 1
		.amdhsa_forward_progress 1
		.amdhsa_shared_vgpr_count 0
		.amdhsa_exception_fp_ieee_invalid_op 0
		.amdhsa_exception_fp_denorm_src 0
		.amdhsa_exception_fp_ieee_div_zero 0
		.amdhsa_exception_fp_ieee_overflow 0
		.amdhsa_exception_fp_ieee_underflow 0
		.amdhsa_exception_fp_ieee_inexact 0
		.amdhsa_exception_int_div_zero 0
	.end_amdhsa_kernel
	.section	.text._ZN7rocprim17ROCPRIM_400000_NS6detail17trampoline_kernelINS0_14default_configENS1_27scan_by_key_config_selectorIxxEEZZNS1_16scan_by_key_implILNS1_25lookback_scan_determinismE0ELb0ES3_N6thrust23THRUST_200600_302600_NS6detail15normal_iteratorINS9_10device_ptrIxEEEESE_SE_xNS9_4plusIxEE19head_flag_predicatexEE10hipError_tPvRmT2_T3_T4_T5_mT6_T7_P12ihipStream_tbENKUlT_T0_E_clISt17integral_constantIbLb0EESX_IbLb1EEEEDaST_SU_EUlST_E_NS1_11comp_targetILNS1_3genE5ELNS1_11target_archE942ELNS1_3gpuE9ELNS1_3repE0EEENS1_30default_config_static_selectorELNS0_4arch9wavefront6targetE0EEEvT1_,"axG",@progbits,_ZN7rocprim17ROCPRIM_400000_NS6detail17trampoline_kernelINS0_14default_configENS1_27scan_by_key_config_selectorIxxEEZZNS1_16scan_by_key_implILNS1_25lookback_scan_determinismE0ELb0ES3_N6thrust23THRUST_200600_302600_NS6detail15normal_iteratorINS9_10device_ptrIxEEEESE_SE_xNS9_4plusIxEE19head_flag_predicatexEE10hipError_tPvRmT2_T3_T4_T5_mT6_T7_P12ihipStream_tbENKUlT_T0_E_clISt17integral_constantIbLb0EESX_IbLb1EEEEDaST_SU_EUlST_E_NS1_11comp_targetILNS1_3genE5ELNS1_11target_archE942ELNS1_3gpuE9ELNS1_3repE0EEENS1_30default_config_static_selectorELNS0_4arch9wavefront6targetE0EEEvT1_,comdat
.Lfunc_end706:
	.size	_ZN7rocprim17ROCPRIM_400000_NS6detail17trampoline_kernelINS0_14default_configENS1_27scan_by_key_config_selectorIxxEEZZNS1_16scan_by_key_implILNS1_25lookback_scan_determinismE0ELb0ES3_N6thrust23THRUST_200600_302600_NS6detail15normal_iteratorINS9_10device_ptrIxEEEESE_SE_xNS9_4plusIxEE19head_flag_predicatexEE10hipError_tPvRmT2_T3_T4_T5_mT6_T7_P12ihipStream_tbENKUlT_T0_E_clISt17integral_constantIbLb0EESX_IbLb1EEEEDaST_SU_EUlST_E_NS1_11comp_targetILNS1_3genE5ELNS1_11target_archE942ELNS1_3gpuE9ELNS1_3repE0EEENS1_30default_config_static_selectorELNS0_4arch9wavefront6targetE0EEEvT1_, .Lfunc_end706-_ZN7rocprim17ROCPRIM_400000_NS6detail17trampoline_kernelINS0_14default_configENS1_27scan_by_key_config_selectorIxxEEZZNS1_16scan_by_key_implILNS1_25lookback_scan_determinismE0ELb0ES3_N6thrust23THRUST_200600_302600_NS6detail15normal_iteratorINS9_10device_ptrIxEEEESE_SE_xNS9_4plusIxEE19head_flag_predicatexEE10hipError_tPvRmT2_T3_T4_T5_mT6_T7_P12ihipStream_tbENKUlT_T0_E_clISt17integral_constantIbLb0EESX_IbLb1EEEEDaST_SU_EUlST_E_NS1_11comp_targetILNS1_3genE5ELNS1_11target_archE942ELNS1_3gpuE9ELNS1_3repE0EEENS1_30default_config_static_selectorELNS0_4arch9wavefront6targetE0EEEvT1_
                                        ; -- End function
	.set _ZN7rocprim17ROCPRIM_400000_NS6detail17trampoline_kernelINS0_14default_configENS1_27scan_by_key_config_selectorIxxEEZZNS1_16scan_by_key_implILNS1_25lookback_scan_determinismE0ELb0ES3_N6thrust23THRUST_200600_302600_NS6detail15normal_iteratorINS9_10device_ptrIxEEEESE_SE_xNS9_4plusIxEE19head_flag_predicatexEE10hipError_tPvRmT2_T3_T4_T5_mT6_T7_P12ihipStream_tbENKUlT_T0_E_clISt17integral_constantIbLb0EESX_IbLb1EEEEDaST_SU_EUlST_E_NS1_11comp_targetILNS1_3genE5ELNS1_11target_archE942ELNS1_3gpuE9ELNS1_3repE0EEENS1_30default_config_static_selectorELNS0_4arch9wavefront6targetE0EEEvT1_.num_vgpr, 0
	.set _ZN7rocprim17ROCPRIM_400000_NS6detail17trampoline_kernelINS0_14default_configENS1_27scan_by_key_config_selectorIxxEEZZNS1_16scan_by_key_implILNS1_25lookback_scan_determinismE0ELb0ES3_N6thrust23THRUST_200600_302600_NS6detail15normal_iteratorINS9_10device_ptrIxEEEESE_SE_xNS9_4plusIxEE19head_flag_predicatexEE10hipError_tPvRmT2_T3_T4_T5_mT6_T7_P12ihipStream_tbENKUlT_T0_E_clISt17integral_constantIbLb0EESX_IbLb1EEEEDaST_SU_EUlST_E_NS1_11comp_targetILNS1_3genE5ELNS1_11target_archE942ELNS1_3gpuE9ELNS1_3repE0EEENS1_30default_config_static_selectorELNS0_4arch9wavefront6targetE0EEEvT1_.num_agpr, 0
	.set _ZN7rocprim17ROCPRIM_400000_NS6detail17trampoline_kernelINS0_14default_configENS1_27scan_by_key_config_selectorIxxEEZZNS1_16scan_by_key_implILNS1_25lookback_scan_determinismE0ELb0ES3_N6thrust23THRUST_200600_302600_NS6detail15normal_iteratorINS9_10device_ptrIxEEEESE_SE_xNS9_4plusIxEE19head_flag_predicatexEE10hipError_tPvRmT2_T3_T4_T5_mT6_T7_P12ihipStream_tbENKUlT_T0_E_clISt17integral_constantIbLb0EESX_IbLb1EEEEDaST_SU_EUlST_E_NS1_11comp_targetILNS1_3genE5ELNS1_11target_archE942ELNS1_3gpuE9ELNS1_3repE0EEENS1_30default_config_static_selectorELNS0_4arch9wavefront6targetE0EEEvT1_.numbered_sgpr, 0
	.set _ZN7rocprim17ROCPRIM_400000_NS6detail17trampoline_kernelINS0_14default_configENS1_27scan_by_key_config_selectorIxxEEZZNS1_16scan_by_key_implILNS1_25lookback_scan_determinismE0ELb0ES3_N6thrust23THRUST_200600_302600_NS6detail15normal_iteratorINS9_10device_ptrIxEEEESE_SE_xNS9_4plusIxEE19head_flag_predicatexEE10hipError_tPvRmT2_T3_T4_T5_mT6_T7_P12ihipStream_tbENKUlT_T0_E_clISt17integral_constantIbLb0EESX_IbLb1EEEEDaST_SU_EUlST_E_NS1_11comp_targetILNS1_3genE5ELNS1_11target_archE942ELNS1_3gpuE9ELNS1_3repE0EEENS1_30default_config_static_selectorELNS0_4arch9wavefront6targetE0EEEvT1_.num_named_barrier, 0
	.set _ZN7rocprim17ROCPRIM_400000_NS6detail17trampoline_kernelINS0_14default_configENS1_27scan_by_key_config_selectorIxxEEZZNS1_16scan_by_key_implILNS1_25lookback_scan_determinismE0ELb0ES3_N6thrust23THRUST_200600_302600_NS6detail15normal_iteratorINS9_10device_ptrIxEEEESE_SE_xNS9_4plusIxEE19head_flag_predicatexEE10hipError_tPvRmT2_T3_T4_T5_mT6_T7_P12ihipStream_tbENKUlT_T0_E_clISt17integral_constantIbLb0EESX_IbLb1EEEEDaST_SU_EUlST_E_NS1_11comp_targetILNS1_3genE5ELNS1_11target_archE942ELNS1_3gpuE9ELNS1_3repE0EEENS1_30default_config_static_selectorELNS0_4arch9wavefront6targetE0EEEvT1_.private_seg_size, 0
	.set _ZN7rocprim17ROCPRIM_400000_NS6detail17trampoline_kernelINS0_14default_configENS1_27scan_by_key_config_selectorIxxEEZZNS1_16scan_by_key_implILNS1_25lookback_scan_determinismE0ELb0ES3_N6thrust23THRUST_200600_302600_NS6detail15normal_iteratorINS9_10device_ptrIxEEEESE_SE_xNS9_4plusIxEE19head_flag_predicatexEE10hipError_tPvRmT2_T3_T4_T5_mT6_T7_P12ihipStream_tbENKUlT_T0_E_clISt17integral_constantIbLb0EESX_IbLb1EEEEDaST_SU_EUlST_E_NS1_11comp_targetILNS1_3genE5ELNS1_11target_archE942ELNS1_3gpuE9ELNS1_3repE0EEENS1_30default_config_static_selectorELNS0_4arch9wavefront6targetE0EEEvT1_.uses_vcc, 0
	.set _ZN7rocprim17ROCPRIM_400000_NS6detail17trampoline_kernelINS0_14default_configENS1_27scan_by_key_config_selectorIxxEEZZNS1_16scan_by_key_implILNS1_25lookback_scan_determinismE0ELb0ES3_N6thrust23THRUST_200600_302600_NS6detail15normal_iteratorINS9_10device_ptrIxEEEESE_SE_xNS9_4plusIxEE19head_flag_predicatexEE10hipError_tPvRmT2_T3_T4_T5_mT6_T7_P12ihipStream_tbENKUlT_T0_E_clISt17integral_constantIbLb0EESX_IbLb1EEEEDaST_SU_EUlST_E_NS1_11comp_targetILNS1_3genE5ELNS1_11target_archE942ELNS1_3gpuE9ELNS1_3repE0EEENS1_30default_config_static_selectorELNS0_4arch9wavefront6targetE0EEEvT1_.uses_flat_scratch, 0
	.set _ZN7rocprim17ROCPRIM_400000_NS6detail17trampoline_kernelINS0_14default_configENS1_27scan_by_key_config_selectorIxxEEZZNS1_16scan_by_key_implILNS1_25lookback_scan_determinismE0ELb0ES3_N6thrust23THRUST_200600_302600_NS6detail15normal_iteratorINS9_10device_ptrIxEEEESE_SE_xNS9_4plusIxEE19head_flag_predicatexEE10hipError_tPvRmT2_T3_T4_T5_mT6_T7_P12ihipStream_tbENKUlT_T0_E_clISt17integral_constantIbLb0EESX_IbLb1EEEEDaST_SU_EUlST_E_NS1_11comp_targetILNS1_3genE5ELNS1_11target_archE942ELNS1_3gpuE9ELNS1_3repE0EEENS1_30default_config_static_selectorELNS0_4arch9wavefront6targetE0EEEvT1_.has_dyn_sized_stack, 0
	.set _ZN7rocprim17ROCPRIM_400000_NS6detail17trampoline_kernelINS0_14default_configENS1_27scan_by_key_config_selectorIxxEEZZNS1_16scan_by_key_implILNS1_25lookback_scan_determinismE0ELb0ES3_N6thrust23THRUST_200600_302600_NS6detail15normal_iteratorINS9_10device_ptrIxEEEESE_SE_xNS9_4plusIxEE19head_flag_predicatexEE10hipError_tPvRmT2_T3_T4_T5_mT6_T7_P12ihipStream_tbENKUlT_T0_E_clISt17integral_constantIbLb0EESX_IbLb1EEEEDaST_SU_EUlST_E_NS1_11comp_targetILNS1_3genE5ELNS1_11target_archE942ELNS1_3gpuE9ELNS1_3repE0EEENS1_30default_config_static_selectorELNS0_4arch9wavefront6targetE0EEEvT1_.has_recursion, 0
	.set _ZN7rocprim17ROCPRIM_400000_NS6detail17trampoline_kernelINS0_14default_configENS1_27scan_by_key_config_selectorIxxEEZZNS1_16scan_by_key_implILNS1_25lookback_scan_determinismE0ELb0ES3_N6thrust23THRUST_200600_302600_NS6detail15normal_iteratorINS9_10device_ptrIxEEEESE_SE_xNS9_4plusIxEE19head_flag_predicatexEE10hipError_tPvRmT2_T3_T4_T5_mT6_T7_P12ihipStream_tbENKUlT_T0_E_clISt17integral_constantIbLb0EESX_IbLb1EEEEDaST_SU_EUlST_E_NS1_11comp_targetILNS1_3genE5ELNS1_11target_archE942ELNS1_3gpuE9ELNS1_3repE0EEENS1_30default_config_static_selectorELNS0_4arch9wavefront6targetE0EEEvT1_.has_indirect_call, 0
	.section	.AMDGPU.csdata,"",@progbits
; Kernel info:
; codeLenInByte = 0
; TotalNumSgprs: 0
; NumVgprs: 0
; ScratchSize: 0
; MemoryBound: 0
; FloatMode: 240
; IeeeMode: 1
; LDSByteSize: 0 bytes/workgroup (compile time only)
; SGPRBlocks: 0
; VGPRBlocks: 0
; NumSGPRsForWavesPerEU: 1
; NumVGPRsForWavesPerEU: 1
; Occupancy: 16
; WaveLimiterHint : 0
; COMPUTE_PGM_RSRC2:SCRATCH_EN: 0
; COMPUTE_PGM_RSRC2:USER_SGPR: 6
; COMPUTE_PGM_RSRC2:TRAP_HANDLER: 0
; COMPUTE_PGM_RSRC2:TGID_X_EN: 1
; COMPUTE_PGM_RSRC2:TGID_Y_EN: 0
; COMPUTE_PGM_RSRC2:TGID_Z_EN: 0
; COMPUTE_PGM_RSRC2:TIDIG_COMP_CNT: 0
	.section	.text._ZN7rocprim17ROCPRIM_400000_NS6detail17trampoline_kernelINS0_14default_configENS1_27scan_by_key_config_selectorIxxEEZZNS1_16scan_by_key_implILNS1_25lookback_scan_determinismE0ELb0ES3_N6thrust23THRUST_200600_302600_NS6detail15normal_iteratorINS9_10device_ptrIxEEEESE_SE_xNS9_4plusIxEE19head_flag_predicatexEE10hipError_tPvRmT2_T3_T4_T5_mT6_T7_P12ihipStream_tbENKUlT_T0_E_clISt17integral_constantIbLb0EESX_IbLb1EEEEDaST_SU_EUlST_E_NS1_11comp_targetILNS1_3genE4ELNS1_11target_archE910ELNS1_3gpuE8ELNS1_3repE0EEENS1_30default_config_static_selectorELNS0_4arch9wavefront6targetE0EEEvT1_,"axG",@progbits,_ZN7rocprim17ROCPRIM_400000_NS6detail17trampoline_kernelINS0_14default_configENS1_27scan_by_key_config_selectorIxxEEZZNS1_16scan_by_key_implILNS1_25lookback_scan_determinismE0ELb0ES3_N6thrust23THRUST_200600_302600_NS6detail15normal_iteratorINS9_10device_ptrIxEEEESE_SE_xNS9_4plusIxEE19head_flag_predicatexEE10hipError_tPvRmT2_T3_T4_T5_mT6_T7_P12ihipStream_tbENKUlT_T0_E_clISt17integral_constantIbLb0EESX_IbLb1EEEEDaST_SU_EUlST_E_NS1_11comp_targetILNS1_3genE4ELNS1_11target_archE910ELNS1_3gpuE8ELNS1_3repE0EEENS1_30default_config_static_selectorELNS0_4arch9wavefront6targetE0EEEvT1_,comdat
	.protected	_ZN7rocprim17ROCPRIM_400000_NS6detail17trampoline_kernelINS0_14default_configENS1_27scan_by_key_config_selectorIxxEEZZNS1_16scan_by_key_implILNS1_25lookback_scan_determinismE0ELb0ES3_N6thrust23THRUST_200600_302600_NS6detail15normal_iteratorINS9_10device_ptrIxEEEESE_SE_xNS9_4plusIxEE19head_flag_predicatexEE10hipError_tPvRmT2_T3_T4_T5_mT6_T7_P12ihipStream_tbENKUlT_T0_E_clISt17integral_constantIbLb0EESX_IbLb1EEEEDaST_SU_EUlST_E_NS1_11comp_targetILNS1_3genE4ELNS1_11target_archE910ELNS1_3gpuE8ELNS1_3repE0EEENS1_30default_config_static_selectorELNS0_4arch9wavefront6targetE0EEEvT1_ ; -- Begin function _ZN7rocprim17ROCPRIM_400000_NS6detail17trampoline_kernelINS0_14default_configENS1_27scan_by_key_config_selectorIxxEEZZNS1_16scan_by_key_implILNS1_25lookback_scan_determinismE0ELb0ES3_N6thrust23THRUST_200600_302600_NS6detail15normal_iteratorINS9_10device_ptrIxEEEESE_SE_xNS9_4plusIxEE19head_flag_predicatexEE10hipError_tPvRmT2_T3_T4_T5_mT6_T7_P12ihipStream_tbENKUlT_T0_E_clISt17integral_constantIbLb0EESX_IbLb1EEEEDaST_SU_EUlST_E_NS1_11comp_targetILNS1_3genE4ELNS1_11target_archE910ELNS1_3gpuE8ELNS1_3repE0EEENS1_30default_config_static_selectorELNS0_4arch9wavefront6targetE0EEEvT1_
	.globl	_ZN7rocprim17ROCPRIM_400000_NS6detail17trampoline_kernelINS0_14default_configENS1_27scan_by_key_config_selectorIxxEEZZNS1_16scan_by_key_implILNS1_25lookback_scan_determinismE0ELb0ES3_N6thrust23THRUST_200600_302600_NS6detail15normal_iteratorINS9_10device_ptrIxEEEESE_SE_xNS9_4plusIxEE19head_flag_predicatexEE10hipError_tPvRmT2_T3_T4_T5_mT6_T7_P12ihipStream_tbENKUlT_T0_E_clISt17integral_constantIbLb0EESX_IbLb1EEEEDaST_SU_EUlST_E_NS1_11comp_targetILNS1_3genE4ELNS1_11target_archE910ELNS1_3gpuE8ELNS1_3repE0EEENS1_30default_config_static_selectorELNS0_4arch9wavefront6targetE0EEEvT1_
	.p2align	8
	.type	_ZN7rocprim17ROCPRIM_400000_NS6detail17trampoline_kernelINS0_14default_configENS1_27scan_by_key_config_selectorIxxEEZZNS1_16scan_by_key_implILNS1_25lookback_scan_determinismE0ELb0ES3_N6thrust23THRUST_200600_302600_NS6detail15normal_iteratorINS9_10device_ptrIxEEEESE_SE_xNS9_4plusIxEE19head_flag_predicatexEE10hipError_tPvRmT2_T3_T4_T5_mT6_T7_P12ihipStream_tbENKUlT_T0_E_clISt17integral_constantIbLb0EESX_IbLb1EEEEDaST_SU_EUlST_E_NS1_11comp_targetILNS1_3genE4ELNS1_11target_archE910ELNS1_3gpuE8ELNS1_3repE0EEENS1_30default_config_static_selectorELNS0_4arch9wavefront6targetE0EEEvT1_,@function
_ZN7rocprim17ROCPRIM_400000_NS6detail17trampoline_kernelINS0_14default_configENS1_27scan_by_key_config_selectorIxxEEZZNS1_16scan_by_key_implILNS1_25lookback_scan_determinismE0ELb0ES3_N6thrust23THRUST_200600_302600_NS6detail15normal_iteratorINS9_10device_ptrIxEEEESE_SE_xNS9_4plusIxEE19head_flag_predicatexEE10hipError_tPvRmT2_T3_T4_T5_mT6_T7_P12ihipStream_tbENKUlT_T0_E_clISt17integral_constantIbLb0EESX_IbLb1EEEEDaST_SU_EUlST_E_NS1_11comp_targetILNS1_3genE4ELNS1_11target_archE910ELNS1_3gpuE8ELNS1_3repE0EEENS1_30default_config_static_selectorELNS0_4arch9wavefront6targetE0EEEvT1_: ; @_ZN7rocprim17ROCPRIM_400000_NS6detail17trampoline_kernelINS0_14default_configENS1_27scan_by_key_config_selectorIxxEEZZNS1_16scan_by_key_implILNS1_25lookback_scan_determinismE0ELb0ES3_N6thrust23THRUST_200600_302600_NS6detail15normal_iteratorINS9_10device_ptrIxEEEESE_SE_xNS9_4plusIxEE19head_flag_predicatexEE10hipError_tPvRmT2_T3_T4_T5_mT6_T7_P12ihipStream_tbENKUlT_T0_E_clISt17integral_constantIbLb0EESX_IbLb1EEEEDaST_SU_EUlST_E_NS1_11comp_targetILNS1_3genE4ELNS1_11target_archE910ELNS1_3gpuE8ELNS1_3repE0EEENS1_30default_config_static_selectorELNS0_4arch9wavefront6targetE0EEEvT1_
; %bb.0:
	.section	.rodata,"a",@progbits
	.p2align	6, 0x0
	.amdhsa_kernel _ZN7rocprim17ROCPRIM_400000_NS6detail17trampoline_kernelINS0_14default_configENS1_27scan_by_key_config_selectorIxxEEZZNS1_16scan_by_key_implILNS1_25lookback_scan_determinismE0ELb0ES3_N6thrust23THRUST_200600_302600_NS6detail15normal_iteratorINS9_10device_ptrIxEEEESE_SE_xNS9_4plusIxEE19head_flag_predicatexEE10hipError_tPvRmT2_T3_T4_T5_mT6_T7_P12ihipStream_tbENKUlT_T0_E_clISt17integral_constantIbLb0EESX_IbLb1EEEEDaST_SU_EUlST_E_NS1_11comp_targetILNS1_3genE4ELNS1_11target_archE910ELNS1_3gpuE8ELNS1_3repE0EEENS1_30default_config_static_selectorELNS0_4arch9wavefront6targetE0EEEvT1_
		.amdhsa_group_segment_fixed_size 0
		.amdhsa_private_segment_fixed_size 0
		.amdhsa_kernarg_size 136
		.amdhsa_user_sgpr_count 6
		.amdhsa_user_sgpr_private_segment_buffer 1
		.amdhsa_user_sgpr_dispatch_ptr 0
		.amdhsa_user_sgpr_queue_ptr 0
		.amdhsa_user_sgpr_kernarg_segment_ptr 1
		.amdhsa_user_sgpr_dispatch_id 0
		.amdhsa_user_sgpr_flat_scratch_init 0
		.amdhsa_user_sgpr_private_segment_size 0
		.amdhsa_wavefront_size32 1
		.amdhsa_uses_dynamic_stack 0
		.amdhsa_system_sgpr_private_segment_wavefront_offset 0
		.amdhsa_system_sgpr_workgroup_id_x 1
		.amdhsa_system_sgpr_workgroup_id_y 0
		.amdhsa_system_sgpr_workgroup_id_z 0
		.amdhsa_system_sgpr_workgroup_info 0
		.amdhsa_system_vgpr_workitem_id 0
		.amdhsa_next_free_vgpr 1
		.amdhsa_next_free_sgpr 1
		.amdhsa_reserve_vcc 0
		.amdhsa_reserve_flat_scratch 0
		.amdhsa_float_round_mode_32 0
		.amdhsa_float_round_mode_16_64 0
		.amdhsa_float_denorm_mode_32 3
		.amdhsa_float_denorm_mode_16_64 3
		.amdhsa_dx10_clamp 1
		.amdhsa_ieee_mode 1
		.amdhsa_fp16_overflow 0
		.amdhsa_workgroup_processor_mode 1
		.amdhsa_memory_ordered 1
		.amdhsa_forward_progress 1
		.amdhsa_shared_vgpr_count 0
		.amdhsa_exception_fp_ieee_invalid_op 0
		.amdhsa_exception_fp_denorm_src 0
		.amdhsa_exception_fp_ieee_div_zero 0
		.amdhsa_exception_fp_ieee_overflow 0
		.amdhsa_exception_fp_ieee_underflow 0
		.amdhsa_exception_fp_ieee_inexact 0
		.amdhsa_exception_int_div_zero 0
	.end_amdhsa_kernel
	.section	.text._ZN7rocprim17ROCPRIM_400000_NS6detail17trampoline_kernelINS0_14default_configENS1_27scan_by_key_config_selectorIxxEEZZNS1_16scan_by_key_implILNS1_25lookback_scan_determinismE0ELb0ES3_N6thrust23THRUST_200600_302600_NS6detail15normal_iteratorINS9_10device_ptrIxEEEESE_SE_xNS9_4plusIxEE19head_flag_predicatexEE10hipError_tPvRmT2_T3_T4_T5_mT6_T7_P12ihipStream_tbENKUlT_T0_E_clISt17integral_constantIbLb0EESX_IbLb1EEEEDaST_SU_EUlST_E_NS1_11comp_targetILNS1_3genE4ELNS1_11target_archE910ELNS1_3gpuE8ELNS1_3repE0EEENS1_30default_config_static_selectorELNS0_4arch9wavefront6targetE0EEEvT1_,"axG",@progbits,_ZN7rocprim17ROCPRIM_400000_NS6detail17trampoline_kernelINS0_14default_configENS1_27scan_by_key_config_selectorIxxEEZZNS1_16scan_by_key_implILNS1_25lookback_scan_determinismE0ELb0ES3_N6thrust23THRUST_200600_302600_NS6detail15normal_iteratorINS9_10device_ptrIxEEEESE_SE_xNS9_4plusIxEE19head_flag_predicatexEE10hipError_tPvRmT2_T3_T4_T5_mT6_T7_P12ihipStream_tbENKUlT_T0_E_clISt17integral_constantIbLb0EESX_IbLb1EEEEDaST_SU_EUlST_E_NS1_11comp_targetILNS1_3genE4ELNS1_11target_archE910ELNS1_3gpuE8ELNS1_3repE0EEENS1_30default_config_static_selectorELNS0_4arch9wavefront6targetE0EEEvT1_,comdat
.Lfunc_end707:
	.size	_ZN7rocprim17ROCPRIM_400000_NS6detail17trampoline_kernelINS0_14default_configENS1_27scan_by_key_config_selectorIxxEEZZNS1_16scan_by_key_implILNS1_25lookback_scan_determinismE0ELb0ES3_N6thrust23THRUST_200600_302600_NS6detail15normal_iteratorINS9_10device_ptrIxEEEESE_SE_xNS9_4plusIxEE19head_flag_predicatexEE10hipError_tPvRmT2_T3_T4_T5_mT6_T7_P12ihipStream_tbENKUlT_T0_E_clISt17integral_constantIbLb0EESX_IbLb1EEEEDaST_SU_EUlST_E_NS1_11comp_targetILNS1_3genE4ELNS1_11target_archE910ELNS1_3gpuE8ELNS1_3repE0EEENS1_30default_config_static_selectorELNS0_4arch9wavefront6targetE0EEEvT1_, .Lfunc_end707-_ZN7rocprim17ROCPRIM_400000_NS6detail17trampoline_kernelINS0_14default_configENS1_27scan_by_key_config_selectorIxxEEZZNS1_16scan_by_key_implILNS1_25lookback_scan_determinismE0ELb0ES3_N6thrust23THRUST_200600_302600_NS6detail15normal_iteratorINS9_10device_ptrIxEEEESE_SE_xNS9_4plusIxEE19head_flag_predicatexEE10hipError_tPvRmT2_T3_T4_T5_mT6_T7_P12ihipStream_tbENKUlT_T0_E_clISt17integral_constantIbLb0EESX_IbLb1EEEEDaST_SU_EUlST_E_NS1_11comp_targetILNS1_3genE4ELNS1_11target_archE910ELNS1_3gpuE8ELNS1_3repE0EEENS1_30default_config_static_selectorELNS0_4arch9wavefront6targetE0EEEvT1_
                                        ; -- End function
	.set _ZN7rocprim17ROCPRIM_400000_NS6detail17trampoline_kernelINS0_14default_configENS1_27scan_by_key_config_selectorIxxEEZZNS1_16scan_by_key_implILNS1_25lookback_scan_determinismE0ELb0ES3_N6thrust23THRUST_200600_302600_NS6detail15normal_iteratorINS9_10device_ptrIxEEEESE_SE_xNS9_4plusIxEE19head_flag_predicatexEE10hipError_tPvRmT2_T3_T4_T5_mT6_T7_P12ihipStream_tbENKUlT_T0_E_clISt17integral_constantIbLb0EESX_IbLb1EEEEDaST_SU_EUlST_E_NS1_11comp_targetILNS1_3genE4ELNS1_11target_archE910ELNS1_3gpuE8ELNS1_3repE0EEENS1_30default_config_static_selectorELNS0_4arch9wavefront6targetE0EEEvT1_.num_vgpr, 0
	.set _ZN7rocprim17ROCPRIM_400000_NS6detail17trampoline_kernelINS0_14default_configENS1_27scan_by_key_config_selectorIxxEEZZNS1_16scan_by_key_implILNS1_25lookback_scan_determinismE0ELb0ES3_N6thrust23THRUST_200600_302600_NS6detail15normal_iteratorINS9_10device_ptrIxEEEESE_SE_xNS9_4plusIxEE19head_flag_predicatexEE10hipError_tPvRmT2_T3_T4_T5_mT6_T7_P12ihipStream_tbENKUlT_T0_E_clISt17integral_constantIbLb0EESX_IbLb1EEEEDaST_SU_EUlST_E_NS1_11comp_targetILNS1_3genE4ELNS1_11target_archE910ELNS1_3gpuE8ELNS1_3repE0EEENS1_30default_config_static_selectorELNS0_4arch9wavefront6targetE0EEEvT1_.num_agpr, 0
	.set _ZN7rocprim17ROCPRIM_400000_NS6detail17trampoline_kernelINS0_14default_configENS1_27scan_by_key_config_selectorIxxEEZZNS1_16scan_by_key_implILNS1_25lookback_scan_determinismE0ELb0ES3_N6thrust23THRUST_200600_302600_NS6detail15normal_iteratorINS9_10device_ptrIxEEEESE_SE_xNS9_4plusIxEE19head_flag_predicatexEE10hipError_tPvRmT2_T3_T4_T5_mT6_T7_P12ihipStream_tbENKUlT_T0_E_clISt17integral_constantIbLb0EESX_IbLb1EEEEDaST_SU_EUlST_E_NS1_11comp_targetILNS1_3genE4ELNS1_11target_archE910ELNS1_3gpuE8ELNS1_3repE0EEENS1_30default_config_static_selectorELNS0_4arch9wavefront6targetE0EEEvT1_.numbered_sgpr, 0
	.set _ZN7rocprim17ROCPRIM_400000_NS6detail17trampoline_kernelINS0_14default_configENS1_27scan_by_key_config_selectorIxxEEZZNS1_16scan_by_key_implILNS1_25lookback_scan_determinismE0ELb0ES3_N6thrust23THRUST_200600_302600_NS6detail15normal_iteratorINS9_10device_ptrIxEEEESE_SE_xNS9_4plusIxEE19head_flag_predicatexEE10hipError_tPvRmT2_T3_T4_T5_mT6_T7_P12ihipStream_tbENKUlT_T0_E_clISt17integral_constantIbLb0EESX_IbLb1EEEEDaST_SU_EUlST_E_NS1_11comp_targetILNS1_3genE4ELNS1_11target_archE910ELNS1_3gpuE8ELNS1_3repE0EEENS1_30default_config_static_selectorELNS0_4arch9wavefront6targetE0EEEvT1_.num_named_barrier, 0
	.set _ZN7rocprim17ROCPRIM_400000_NS6detail17trampoline_kernelINS0_14default_configENS1_27scan_by_key_config_selectorIxxEEZZNS1_16scan_by_key_implILNS1_25lookback_scan_determinismE0ELb0ES3_N6thrust23THRUST_200600_302600_NS6detail15normal_iteratorINS9_10device_ptrIxEEEESE_SE_xNS9_4plusIxEE19head_flag_predicatexEE10hipError_tPvRmT2_T3_T4_T5_mT6_T7_P12ihipStream_tbENKUlT_T0_E_clISt17integral_constantIbLb0EESX_IbLb1EEEEDaST_SU_EUlST_E_NS1_11comp_targetILNS1_3genE4ELNS1_11target_archE910ELNS1_3gpuE8ELNS1_3repE0EEENS1_30default_config_static_selectorELNS0_4arch9wavefront6targetE0EEEvT1_.private_seg_size, 0
	.set _ZN7rocprim17ROCPRIM_400000_NS6detail17trampoline_kernelINS0_14default_configENS1_27scan_by_key_config_selectorIxxEEZZNS1_16scan_by_key_implILNS1_25lookback_scan_determinismE0ELb0ES3_N6thrust23THRUST_200600_302600_NS6detail15normal_iteratorINS9_10device_ptrIxEEEESE_SE_xNS9_4plusIxEE19head_flag_predicatexEE10hipError_tPvRmT2_T3_T4_T5_mT6_T7_P12ihipStream_tbENKUlT_T0_E_clISt17integral_constantIbLb0EESX_IbLb1EEEEDaST_SU_EUlST_E_NS1_11comp_targetILNS1_3genE4ELNS1_11target_archE910ELNS1_3gpuE8ELNS1_3repE0EEENS1_30default_config_static_selectorELNS0_4arch9wavefront6targetE0EEEvT1_.uses_vcc, 0
	.set _ZN7rocprim17ROCPRIM_400000_NS6detail17trampoline_kernelINS0_14default_configENS1_27scan_by_key_config_selectorIxxEEZZNS1_16scan_by_key_implILNS1_25lookback_scan_determinismE0ELb0ES3_N6thrust23THRUST_200600_302600_NS6detail15normal_iteratorINS9_10device_ptrIxEEEESE_SE_xNS9_4plusIxEE19head_flag_predicatexEE10hipError_tPvRmT2_T3_T4_T5_mT6_T7_P12ihipStream_tbENKUlT_T0_E_clISt17integral_constantIbLb0EESX_IbLb1EEEEDaST_SU_EUlST_E_NS1_11comp_targetILNS1_3genE4ELNS1_11target_archE910ELNS1_3gpuE8ELNS1_3repE0EEENS1_30default_config_static_selectorELNS0_4arch9wavefront6targetE0EEEvT1_.uses_flat_scratch, 0
	.set _ZN7rocprim17ROCPRIM_400000_NS6detail17trampoline_kernelINS0_14default_configENS1_27scan_by_key_config_selectorIxxEEZZNS1_16scan_by_key_implILNS1_25lookback_scan_determinismE0ELb0ES3_N6thrust23THRUST_200600_302600_NS6detail15normal_iteratorINS9_10device_ptrIxEEEESE_SE_xNS9_4plusIxEE19head_flag_predicatexEE10hipError_tPvRmT2_T3_T4_T5_mT6_T7_P12ihipStream_tbENKUlT_T0_E_clISt17integral_constantIbLb0EESX_IbLb1EEEEDaST_SU_EUlST_E_NS1_11comp_targetILNS1_3genE4ELNS1_11target_archE910ELNS1_3gpuE8ELNS1_3repE0EEENS1_30default_config_static_selectorELNS0_4arch9wavefront6targetE0EEEvT1_.has_dyn_sized_stack, 0
	.set _ZN7rocprim17ROCPRIM_400000_NS6detail17trampoline_kernelINS0_14default_configENS1_27scan_by_key_config_selectorIxxEEZZNS1_16scan_by_key_implILNS1_25lookback_scan_determinismE0ELb0ES3_N6thrust23THRUST_200600_302600_NS6detail15normal_iteratorINS9_10device_ptrIxEEEESE_SE_xNS9_4plusIxEE19head_flag_predicatexEE10hipError_tPvRmT2_T3_T4_T5_mT6_T7_P12ihipStream_tbENKUlT_T0_E_clISt17integral_constantIbLb0EESX_IbLb1EEEEDaST_SU_EUlST_E_NS1_11comp_targetILNS1_3genE4ELNS1_11target_archE910ELNS1_3gpuE8ELNS1_3repE0EEENS1_30default_config_static_selectorELNS0_4arch9wavefront6targetE0EEEvT1_.has_recursion, 0
	.set _ZN7rocprim17ROCPRIM_400000_NS6detail17trampoline_kernelINS0_14default_configENS1_27scan_by_key_config_selectorIxxEEZZNS1_16scan_by_key_implILNS1_25lookback_scan_determinismE0ELb0ES3_N6thrust23THRUST_200600_302600_NS6detail15normal_iteratorINS9_10device_ptrIxEEEESE_SE_xNS9_4plusIxEE19head_flag_predicatexEE10hipError_tPvRmT2_T3_T4_T5_mT6_T7_P12ihipStream_tbENKUlT_T0_E_clISt17integral_constantIbLb0EESX_IbLb1EEEEDaST_SU_EUlST_E_NS1_11comp_targetILNS1_3genE4ELNS1_11target_archE910ELNS1_3gpuE8ELNS1_3repE0EEENS1_30default_config_static_selectorELNS0_4arch9wavefront6targetE0EEEvT1_.has_indirect_call, 0
	.section	.AMDGPU.csdata,"",@progbits
; Kernel info:
; codeLenInByte = 0
; TotalNumSgprs: 0
; NumVgprs: 0
; ScratchSize: 0
; MemoryBound: 0
; FloatMode: 240
; IeeeMode: 1
; LDSByteSize: 0 bytes/workgroup (compile time only)
; SGPRBlocks: 0
; VGPRBlocks: 0
; NumSGPRsForWavesPerEU: 1
; NumVGPRsForWavesPerEU: 1
; Occupancy: 16
; WaveLimiterHint : 0
; COMPUTE_PGM_RSRC2:SCRATCH_EN: 0
; COMPUTE_PGM_RSRC2:USER_SGPR: 6
; COMPUTE_PGM_RSRC2:TRAP_HANDLER: 0
; COMPUTE_PGM_RSRC2:TGID_X_EN: 1
; COMPUTE_PGM_RSRC2:TGID_Y_EN: 0
; COMPUTE_PGM_RSRC2:TGID_Z_EN: 0
; COMPUTE_PGM_RSRC2:TIDIG_COMP_CNT: 0
	.section	.text._ZN7rocprim17ROCPRIM_400000_NS6detail17trampoline_kernelINS0_14default_configENS1_27scan_by_key_config_selectorIxxEEZZNS1_16scan_by_key_implILNS1_25lookback_scan_determinismE0ELb0ES3_N6thrust23THRUST_200600_302600_NS6detail15normal_iteratorINS9_10device_ptrIxEEEESE_SE_xNS9_4plusIxEE19head_flag_predicatexEE10hipError_tPvRmT2_T3_T4_T5_mT6_T7_P12ihipStream_tbENKUlT_T0_E_clISt17integral_constantIbLb0EESX_IbLb1EEEEDaST_SU_EUlST_E_NS1_11comp_targetILNS1_3genE3ELNS1_11target_archE908ELNS1_3gpuE7ELNS1_3repE0EEENS1_30default_config_static_selectorELNS0_4arch9wavefront6targetE0EEEvT1_,"axG",@progbits,_ZN7rocprim17ROCPRIM_400000_NS6detail17trampoline_kernelINS0_14default_configENS1_27scan_by_key_config_selectorIxxEEZZNS1_16scan_by_key_implILNS1_25lookback_scan_determinismE0ELb0ES3_N6thrust23THRUST_200600_302600_NS6detail15normal_iteratorINS9_10device_ptrIxEEEESE_SE_xNS9_4plusIxEE19head_flag_predicatexEE10hipError_tPvRmT2_T3_T4_T5_mT6_T7_P12ihipStream_tbENKUlT_T0_E_clISt17integral_constantIbLb0EESX_IbLb1EEEEDaST_SU_EUlST_E_NS1_11comp_targetILNS1_3genE3ELNS1_11target_archE908ELNS1_3gpuE7ELNS1_3repE0EEENS1_30default_config_static_selectorELNS0_4arch9wavefront6targetE0EEEvT1_,comdat
	.protected	_ZN7rocprim17ROCPRIM_400000_NS6detail17trampoline_kernelINS0_14default_configENS1_27scan_by_key_config_selectorIxxEEZZNS1_16scan_by_key_implILNS1_25lookback_scan_determinismE0ELb0ES3_N6thrust23THRUST_200600_302600_NS6detail15normal_iteratorINS9_10device_ptrIxEEEESE_SE_xNS9_4plusIxEE19head_flag_predicatexEE10hipError_tPvRmT2_T3_T4_T5_mT6_T7_P12ihipStream_tbENKUlT_T0_E_clISt17integral_constantIbLb0EESX_IbLb1EEEEDaST_SU_EUlST_E_NS1_11comp_targetILNS1_3genE3ELNS1_11target_archE908ELNS1_3gpuE7ELNS1_3repE0EEENS1_30default_config_static_selectorELNS0_4arch9wavefront6targetE0EEEvT1_ ; -- Begin function _ZN7rocprim17ROCPRIM_400000_NS6detail17trampoline_kernelINS0_14default_configENS1_27scan_by_key_config_selectorIxxEEZZNS1_16scan_by_key_implILNS1_25lookback_scan_determinismE0ELb0ES3_N6thrust23THRUST_200600_302600_NS6detail15normal_iteratorINS9_10device_ptrIxEEEESE_SE_xNS9_4plusIxEE19head_flag_predicatexEE10hipError_tPvRmT2_T3_T4_T5_mT6_T7_P12ihipStream_tbENKUlT_T0_E_clISt17integral_constantIbLb0EESX_IbLb1EEEEDaST_SU_EUlST_E_NS1_11comp_targetILNS1_3genE3ELNS1_11target_archE908ELNS1_3gpuE7ELNS1_3repE0EEENS1_30default_config_static_selectorELNS0_4arch9wavefront6targetE0EEEvT1_
	.globl	_ZN7rocprim17ROCPRIM_400000_NS6detail17trampoline_kernelINS0_14default_configENS1_27scan_by_key_config_selectorIxxEEZZNS1_16scan_by_key_implILNS1_25lookback_scan_determinismE0ELb0ES3_N6thrust23THRUST_200600_302600_NS6detail15normal_iteratorINS9_10device_ptrIxEEEESE_SE_xNS9_4plusIxEE19head_flag_predicatexEE10hipError_tPvRmT2_T3_T4_T5_mT6_T7_P12ihipStream_tbENKUlT_T0_E_clISt17integral_constantIbLb0EESX_IbLb1EEEEDaST_SU_EUlST_E_NS1_11comp_targetILNS1_3genE3ELNS1_11target_archE908ELNS1_3gpuE7ELNS1_3repE0EEENS1_30default_config_static_selectorELNS0_4arch9wavefront6targetE0EEEvT1_
	.p2align	8
	.type	_ZN7rocprim17ROCPRIM_400000_NS6detail17trampoline_kernelINS0_14default_configENS1_27scan_by_key_config_selectorIxxEEZZNS1_16scan_by_key_implILNS1_25lookback_scan_determinismE0ELb0ES3_N6thrust23THRUST_200600_302600_NS6detail15normal_iteratorINS9_10device_ptrIxEEEESE_SE_xNS9_4plusIxEE19head_flag_predicatexEE10hipError_tPvRmT2_T3_T4_T5_mT6_T7_P12ihipStream_tbENKUlT_T0_E_clISt17integral_constantIbLb0EESX_IbLb1EEEEDaST_SU_EUlST_E_NS1_11comp_targetILNS1_3genE3ELNS1_11target_archE908ELNS1_3gpuE7ELNS1_3repE0EEENS1_30default_config_static_selectorELNS0_4arch9wavefront6targetE0EEEvT1_,@function
_ZN7rocprim17ROCPRIM_400000_NS6detail17trampoline_kernelINS0_14default_configENS1_27scan_by_key_config_selectorIxxEEZZNS1_16scan_by_key_implILNS1_25lookback_scan_determinismE0ELb0ES3_N6thrust23THRUST_200600_302600_NS6detail15normal_iteratorINS9_10device_ptrIxEEEESE_SE_xNS9_4plusIxEE19head_flag_predicatexEE10hipError_tPvRmT2_T3_T4_T5_mT6_T7_P12ihipStream_tbENKUlT_T0_E_clISt17integral_constantIbLb0EESX_IbLb1EEEEDaST_SU_EUlST_E_NS1_11comp_targetILNS1_3genE3ELNS1_11target_archE908ELNS1_3gpuE7ELNS1_3repE0EEENS1_30default_config_static_selectorELNS0_4arch9wavefront6targetE0EEEvT1_: ; @_ZN7rocprim17ROCPRIM_400000_NS6detail17trampoline_kernelINS0_14default_configENS1_27scan_by_key_config_selectorIxxEEZZNS1_16scan_by_key_implILNS1_25lookback_scan_determinismE0ELb0ES3_N6thrust23THRUST_200600_302600_NS6detail15normal_iteratorINS9_10device_ptrIxEEEESE_SE_xNS9_4plusIxEE19head_flag_predicatexEE10hipError_tPvRmT2_T3_T4_T5_mT6_T7_P12ihipStream_tbENKUlT_T0_E_clISt17integral_constantIbLb0EESX_IbLb1EEEEDaST_SU_EUlST_E_NS1_11comp_targetILNS1_3genE3ELNS1_11target_archE908ELNS1_3gpuE7ELNS1_3repE0EEENS1_30default_config_static_selectorELNS0_4arch9wavefront6targetE0EEEvT1_
; %bb.0:
	.section	.rodata,"a",@progbits
	.p2align	6, 0x0
	.amdhsa_kernel _ZN7rocprim17ROCPRIM_400000_NS6detail17trampoline_kernelINS0_14default_configENS1_27scan_by_key_config_selectorIxxEEZZNS1_16scan_by_key_implILNS1_25lookback_scan_determinismE0ELb0ES3_N6thrust23THRUST_200600_302600_NS6detail15normal_iteratorINS9_10device_ptrIxEEEESE_SE_xNS9_4plusIxEE19head_flag_predicatexEE10hipError_tPvRmT2_T3_T4_T5_mT6_T7_P12ihipStream_tbENKUlT_T0_E_clISt17integral_constantIbLb0EESX_IbLb1EEEEDaST_SU_EUlST_E_NS1_11comp_targetILNS1_3genE3ELNS1_11target_archE908ELNS1_3gpuE7ELNS1_3repE0EEENS1_30default_config_static_selectorELNS0_4arch9wavefront6targetE0EEEvT1_
		.amdhsa_group_segment_fixed_size 0
		.amdhsa_private_segment_fixed_size 0
		.amdhsa_kernarg_size 136
		.amdhsa_user_sgpr_count 6
		.amdhsa_user_sgpr_private_segment_buffer 1
		.amdhsa_user_sgpr_dispatch_ptr 0
		.amdhsa_user_sgpr_queue_ptr 0
		.amdhsa_user_sgpr_kernarg_segment_ptr 1
		.amdhsa_user_sgpr_dispatch_id 0
		.amdhsa_user_sgpr_flat_scratch_init 0
		.amdhsa_user_sgpr_private_segment_size 0
		.amdhsa_wavefront_size32 1
		.amdhsa_uses_dynamic_stack 0
		.amdhsa_system_sgpr_private_segment_wavefront_offset 0
		.amdhsa_system_sgpr_workgroup_id_x 1
		.amdhsa_system_sgpr_workgroup_id_y 0
		.amdhsa_system_sgpr_workgroup_id_z 0
		.amdhsa_system_sgpr_workgroup_info 0
		.amdhsa_system_vgpr_workitem_id 0
		.amdhsa_next_free_vgpr 1
		.amdhsa_next_free_sgpr 1
		.amdhsa_reserve_vcc 0
		.amdhsa_reserve_flat_scratch 0
		.amdhsa_float_round_mode_32 0
		.amdhsa_float_round_mode_16_64 0
		.amdhsa_float_denorm_mode_32 3
		.amdhsa_float_denorm_mode_16_64 3
		.amdhsa_dx10_clamp 1
		.amdhsa_ieee_mode 1
		.amdhsa_fp16_overflow 0
		.amdhsa_workgroup_processor_mode 1
		.amdhsa_memory_ordered 1
		.amdhsa_forward_progress 1
		.amdhsa_shared_vgpr_count 0
		.amdhsa_exception_fp_ieee_invalid_op 0
		.amdhsa_exception_fp_denorm_src 0
		.amdhsa_exception_fp_ieee_div_zero 0
		.amdhsa_exception_fp_ieee_overflow 0
		.amdhsa_exception_fp_ieee_underflow 0
		.amdhsa_exception_fp_ieee_inexact 0
		.amdhsa_exception_int_div_zero 0
	.end_amdhsa_kernel
	.section	.text._ZN7rocprim17ROCPRIM_400000_NS6detail17trampoline_kernelINS0_14default_configENS1_27scan_by_key_config_selectorIxxEEZZNS1_16scan_by_key_implILNS1_25lookback_scan_determinismE0ELb0ES3_N6thrust23THRUST_200600_302600_NS6detail15normal_iteratorINS9_10device_ptrIxEEEESE_SE_xNS9_4plusIxEE19head_flag_predicatexEE10hipError_tPvRmT2_T3_T4_T5_mT6_T7_P12ihipStream_tbENKUlT_T0_E_clISt17integral_constantIbLb0EESX_IbLb1EEEEDaST_SU_EUlST_E_NS1_11comp_targetILNS1_3genE3ELNS1_11target_archE908ELNS1_3gpuE7ELNS1_3repE0EEENS1_30default_config_static_selectorELNS0_4arch9wavefront6targetE0EEEvT1_,"axG",@progbits,_ZN7rocprim17ROCPRIM_400000_NS6detail17trampoline_kernelINS0_14default_configENS1_27scan_by_key_config_selectorIxxEEZZNS1_16scan_by_key_implILNS1_25lookback_scan_determinismE0ELb0ES3_N6thrust23THRUST_200600_302600_NS6detail15normal_iteratorINS9_10device_ptrIxEEEESE_SE_xNS9_4plusIxEE19head_flag_predicatexEE10hipError_tPvRmT2_T3_T4_T5_mT6_T7_P12ihipStream_tbENKUlT_T0_E_clISt17integral_constantIbLb0EESX_IbLb1EEEEDaST_SU_EUlST_E_NS1_11comp_targetILNS1_3genE3ELNS1_11target_archE908ELNS1_3gpuE7ELNS1_3repE0EEENS1_30default_config_static_selectorELNS0_4arch9wavefront6targetE0EEEvT1_,comdat
.Lfunc_end708:
	.size	_ZN7rocprim17ROCPRIM_400000_NS6detail17trampoline_kernelINS0_14default_configENS1_27scan_by_key_config_selectorIxxEEZZNS1_16scan_by_key_implILNS1_25lookback_scan_determinismE0ELb0ES3_N6thrust23THRUST_200600_302600_NS6detail15normal_iteratorINS9_10device_ptrIxEEEESE_SE_xNS9_4plusIxEE19head_flag_predicatexEE10hipError_tPvRmT2_T3_T4_T5_mT6_T7_P12ihipStream_tbENKUlT_T0_E_clISt17integral_constantIbLb0EESX_IbLb1EEEEDaST_SU_EUlST_E_NS1_11comp_targetILNS1_3genE3ELNS1_11target_archE908ELNS1_3gpuE7ELNS1_3repE0EEENS1_30default_config_static_selectorELNS0_4arch9wavefront6targetE0EEEvT1_, .Lfunc_end708-_ZN7rocprim17ROCPRIM_400000_NS6detail17trampoline_kernelINS0_14default_configENS1_27scan_by_key_config_selectorIxxEEZZNS1_16scan_by_key_implILNS1_25lookback_scan_determinismE0ELb0ES3_N6thrust23THRUST_200600_302600_NS6detail15normal_iteratorINS9_10device_ptrIxEEEESE_SE_xNS9_4plusIxEE19head_flag_predicatexEE10hipError_tPvRmT2_T3_T4_T5_mT6_T7_P12ihipStream_tbENKUlT_T0_E_clISt17integral_constantIbLb0EESX_IbLb1EEEEDaST_SU_EUlST_E_NS1_11comp_targetILNS1_3genE3ELNS1_11target_archE908ELNS1_3gpuE7ELNS1_3repE0EEENS1_30default_config_static_selectorELNS0_4arch9wavefront6targetE0EEEvT1_
                                        ; -- End function
	.set _ZN7rocprim17ROCPRIM_400000_NS6detail17trampoline_kernelINS0_14default_configENS1_27scan_by_key_config_selectorIxxEEZZNS1_16scan_by_key_implILNS1_25lookback_scan_determinismE0ELb0ES3_N6thrust23THRUST_200600_302600_NS6detail15normal_iteratorINS9_10device_ptrIxEEEESE_SE_xNS9_4plusIxEE19head_flag_predicatexEE10hipError_tPvRmT2_T3_T4_T5_mT6_T7_P12ihipStream_tbENKUlT_T0_E_clISt17integral_constantIbLb0EESX_IbLb1EEEEDaST_SU_EUlST_E_NS1_11comp_targetILNS1_3genE3ELNS1_11target_archE908ELNS1_3gpuE7ELNS1_3repE0EEENS1_30default_config_static_selectorELNS0_4arch9wavefront6targetE0EEEvT1_.num_vgpr, 0
	.set _ZN7rocprim17ROCPRIM_400000_NS6detail17trampoline_kernelINS0_14default_configENS1_27scan_by_key_config_selectorIxxEEZZNS1_16scan_by_key_implILNS1_25lookback_scan_determinismE0ELb0ES3_N6thrust23THRUST_200600_302600_NS6detail15normal_iteratorINS9_10device_ptrIxEEEESE_SE_xNS9_4plusIxEE19head_flag_predicatexEE10hipError_tPvRmT2_T3_T4_T5_mT6_T7_P12ihipStream_tbENKUlT_T0_E_clISt17integral_constantIbLb0EESX_IbLb1EEEEDaST_SU_EUlST_E_NS1_11comp_targetILNS1_3genE3ELNS1_11target_archE908ELNS1_3gpuE7ELNS1_3repE0EEENS1_30default_config_static_selectorELNS0_4arch9wavefront6targetE0EEEvT1_.num_agpr, 0
	.set _ZN7rocprim17ROCPRIM_400000_NS6detail17trampoline_kernelINS0_14default_configENS1_27scan_by_key_config_selectorIxxEEZZNS1_16scan_by_key_implILNS1_25lookback_scan_determinismE0ELb0ES3_N6thrust23THRUST_200600_302600_NS6detail15normal_iteratorINS9_10device_ptrIxEEEESE_SE_xNS9_4plusIxEE19head_flag_predicatexEE10hipError_tPvRmT2_T3_T4_T5_mT6_T7_P12ihipStream_tbENKUlT_T0_E_clISt17integral_constantIbLb0EESX_IbLb1EEEEDaST_SU_EUlST_E_NS1_11comp_targetILNS1_3genE3ELNS1_11target_archE908ELNS1_3gpuE7ELNS1_3repE0EEENS1_30default_config_static_selectorELNS0_4arch9wavefront6targetE0EEEvT1_.numbered_sgpr, 0
	.set _ZN7rocprim17ROCPRIM_400000_NS6detail17trampoline_kernelINS0_14default_configENS1_27scan_by_key_config_selectorIxxEEZZNS1_16scan_by_key_implILNS1_25lookback_scan_determinismE0ELb0ES3_N6thrust23THRUST_200600_302600_NS6detail15normal_iteratorINS9_10device_ptrIxEEEESE_SE_xNS9_4plusIxEE19head_flag_predicatexEE10hipError_tPvRmT2_T3_T4_T5_mT6_T7_P12ihipStream_tbENKUlT_T0_E_clISt17integral_constantIbLb0EESX_IbLb1EEEEDaST_SU_EUlST_E_NS1_11comp_targetILNS1_3genE3ELNS1_11target_archE908ELNS1_3gpuE7ELNS1_3repE0EEENS1_30default_config_static_selectorELNS0_4arch9wavefront6targetE0EEEvT1_.num_named_barrier, 0
	.set _ZN7rocprim17ROCPRIM_400000_NS6detail17trampoline_kernelINS0_14default_configENS1_27scan_by_key_config_selectorIxxEEZZNS1_16scan_by_key_implILNS1_25lookback_scan_determinismE0ELb0ES3_N6thrust23THRUST_200600_302600_NS6detail15normal_iteratorINS9_10device_ptrIxEEEESE_SE_xNS9_4plusIxEE19head_flag_predicatexEE10hipError_tPvRmT2_T3_T4_T5_mT6_T7_P12ihipStream_tbENKUlT_T0_E_clISt17integral_constantIbLb0EESX_IbLb1EEEEDaST_SU_EUlST_E_NS1_11comp_targetILNS1_3genE3ELNS1_11target_archE908ELNS1_3gpuE7ELNS1_3repE0EEENS1_30default_config_static_selectorELNS0_4arch9wavefront6targetE0EEEvT1_.private_seg_size, 0
	.set _ZN7rocprim17ROCPRIM_400000_NS6detail17trampoline_kernelINS0_14default_configENS1_27scan_by_key_config_selectorIxxEEZZNS1_16scan_by_key_implILNS1_25lookback_scan_determinismE0ELb0ES3_N6thrust23THRUST_200600_302600_NS6detail15normal_iteratorINS9_10device_ptrIxEEEESE_SE_xNS9_4plusIxEE19head_flag_predicatexEE10hipError_tPvRmT2_T3_T4_T5_mT6_T7_P12ihipStream_tbENKUlT_T0_E_clISt17integral_constantIbLb0EESX_IbLb1EEEEDaST_SU_EUlST_E_NS1_11comp_targetILNS1_3genE3ELNS1_11target_archE908ELNS1_3gpuE7ELNS1_3repE0EEENS1_30default_config_static_selectorELNS0_4arch9wavefront6targetE0EEEvT1_.uses_vcc, 0
	.set _ZN7rocprim17ROCPRIM_400000_NS6detail17trampoline_kernelINS0_14default_configENS1_27scan_by_key_config_selectorIxxEEZZNS1_16scan_by_key_implILNS1_25lookback_scan_determinismE0ELb0ES3_N6thrust23THRUST_200600_302600_NS6detail15normal_iteratorINS9_10device_ptrIxEEEESE_SE_xNS9_4plusIxEE19head_flag_predicatexEE10hipError_tPvRmT2_T3_T4_T5_mT6_T7_P12ihipStream_tbENKUlT_T0_E_clISt17integral_constantIbLb0EESX_IbLb1EEEEDaST_SU_EUlST_E_NS1_11comp_targetILNS1_3genE3ELNS1_11target_archE908ELNS1_3gpuE7ELNS1_3repE0EEENS1_30default_config_static_selectorELNS0_4arch9wavefront6targetE0EEEvT1_.uses_flat_scratch, 0
	.set _ZN7rocprim17ROCPRIM_400000_NS6detail17trampoline_kernelINS0_14default_configENS1_27scan_by_key_config_selectorIxxEEZZNS1_16scan_by_key_implILNS1_25lookback_scan_determinismE0ELb0ES3_N6thrust23THRUST_200600_302600_NS6detail15normal_iteratorINS9_10device_ptrIxEEEESE_SE_xNS9_4plusIxEE19head_flag_predicatexEE10hipError_tPvRmT2_T3_T4_T5_mT6_T7_P12ihipStream_tbENKUlT_T0_E_clISt17integral_constantIbLb0EESX_IbLb1EEEEDaST_SU_EUlST_E_NS1_11comp_targetILNS1_3genE3ELNS1_11target_archE908ELNS1_3gpuE7ELNS1_3repE0EEENS1_30default_config_static_selectorELNS0_4arch9wavefront6targetE0EEEvT1_.has_dyn_sized_stack, 0
	.set _ZN7rocprim17ROCPRIM_400000_NS6detail17trampoline_kernelINS0_14default_configENS1_27scan_by_key_config_selectorIxxEEZZNS1_16scan_by_key_implILNS1_25lookback_scan_determinismE0ELb0ES3_N6thrust23THRUST_200600_302600_NS6detail15normal_iteratorINS9_10device_ptrIxEEEESE_SE_xNS9_4plusIxEE19head_flag_predicatexEE10hipError_tPvRmT2_T3_T4_T5_mT6_T7_P12ihipStream_tbENKUlT_T0_E_clISt17integral_constantIbLb0EESX_IbLb1EEEEDaST_SU_EUlST_E_NS1_11comp_targetILNS1_3genE3ELNS1_11target_archE908ELNS1_3gpuE7ELNS1_3repE0EEENS1_30default_config_static_selectorELNS0_4arch9wavefront6targetE0EEEvT1_.has_recursion, 0
	.set _ZN7rocprim17ROCPRIM_400000_NS6detail17trampoline_kernelINS0_14default_configENS1_27scan_by_key_config_selectorIxxEEZZNS1_16scan_by_key_implILNS1_25lookback_scan_determinismE0ELb0ES3_N6thrust23THRUST_200600_302600_NS6detail15normal_iteratorINS9_10device_ptrIxEEEESE_SE_xNS9_4plusIxEE19head_flag_predicatexEE10hipError_tPvRmT2_T3_T4_T5_mT6_T7_P12ihipStream_tbENKUlT_T0_E_clISt17integral_constantIbLb0EESX_IbLb1EEEEDaST_SU_EUlST_E_NS1_11comp_targetILNS1_3genE3ELNS1_11target_archE908ELNS1_3gpuE7ELNS1_3repE0EEENS1_30default_config_static_selectorELNS0_4arch9wavefront6targetE0EEEvT1_.has_indirect_call, 0
	.section	.AMDGPU.csdata,"",@progbits
; Kernel info:
; codeLenInByte = 0
; TotalNumSgprs: 0
; NumVgprs: 0
; ScratchSize: 0
; MemoryBound: 0
; FloatMode: 240
; IeeeMode: 1
; LDSByteSize: 0 bytes/workgroup (compile time only)
; SGPRBlocks: 0
; VGPRBlocks: 0
; NumSGPRsForWavesPerEU: 1
; NumVGPRsForWavesPerEU: 1
; Occupancy: 16
; WaveLimiterHint : 0
; COMPUTE_PGM_RSRC2:SCRATCH_EN: 0
; COMPUTE_PGM_RSRC2:USER_SGPR: 6
; COMPUTE_PGM_RSRC2:TRAP_HANDLER: 0
; COMPUTE_PGM_RSRC2:TGID_X_EN: 1
; COMPUTE_PGM_RSRC2:TGID_Y_EN: 0
; COMPUTE_PGM_RSRC2:TGID_Z_EN: 0
; COMPUTE_PGM_RSRC2:TIDIG_COMP_CNT: 0
	.section	.text._ZN7rocprim17ROCPRIM_400000_NS6detail17trampoline_kernelINS0_14default_configENS1_27scan_by_key_config_selectorIxxEEZZNS1_16scan_by_key_implILNS1_25lookback_scan_determinismE0ELb0ES3_N6thrust23THRUST_200600_302600_NS6detail15normal_iteratorINS9_10device_ptrIxEEEESE_SE_xNS9_4plusIxEE19head_flag_predicatexEE10hipError_tPvRmT2_T3_T4_T5_mT6_T7_P12ihipStream_tbENKUlT_T0_E_clISt17integral_constantIbLb0EESX_IbLb1EEEEDaST_SU_EUlST_E_NS1_11comp_targetILNS1_3genE2ELNS1_11target_archE906ELNS1_3gpuE6ELNS1_3repE0EEENS1_30default_config_static_selectorELNS0_4arch9wavefront6targetE0EEEvT1_,"axG",@progbits,_ZN7rocprim17ROCPRIM_400000_NS6detail17trampoline_kernelINS0_14default_configENS1_27scan_by_key_config_selectorIxxEEZZNS1_16scan_by_key_implILNS1_25lookback_scan_determinismE0ELb0ES3_N6thrust23THRUST_200600_302600_NS6detail15normal_iteratorINS9_10device_ptrIxEEEESE_SE_xNS9_4plusIxEE19head_flag_predicatexEE10hipError_tPvRmT2_T3_T4_T5_mT6_T7_P12ihipStream_tbENKUlT_T0_E_clISt17integral_constantIbLb0EESX_IbLb1EEEEDaST_SU_EUlST_E_NS1_11comp_targetILNS1_3genE2ELNS1_11target_archE906ELNS1_3gpuE6ELNS1_3repE0EEENS1_30default_config_static_selectorELNS0_4arch9wavefront6targetE0EEEvT1_,comdat
	.protected	_ZN7rocprim17ROCPRIM_400000_NS6detail17trampoline_kernelINS0_14default_configENS1_27scan_by_key_config_selectorIxxEEZZNS1_16scan_by_key_implILNS1_25lookback_scan_determinismE0ELb0ES3_N6thrust23THRUST_200600_302600_NS6detail15normal_iteratorINS9_10device_ptrIxEEEESE_SE_xNS9_4plusIxEE19head_flag_predicatexEE10hipError_tPvRmT2_T3_T4_T5_mT6_T7_P12ihipStream_tbENKUlT_T0_E_clISt17integral_constantIbLb0EESX_IbLb1EEEEDaST_SU_EUlST_E_NS1_11comp_targetILNS1_3genE2ELNS1_11target_archE906ELNS1_3gpuE6ELNS1_3repE0EEENS1_30default_config_static_selectorELNS0_4arch9wavefront6targetE0EEEvT1_ ; -- Begin function _ZN7rocprim17ROCPRIM_400000_NS6detail17trampoline_kernelINS0_14default_configENS1_27scan_by_key_config_selectorIxxEEZZNS1_16scan_by_key_implILNS1_25lookback_scan_determinismE0ELb0ES3_N6thrust23THRUST_200600_302600_NS6detail15normal_iteratorINS9_10device_ptrIxEEEESE_SE_xNS9_4plusIxEE19head_flag_predicatexEE10hipError_tPvRmT2_T3_T4_T5_mT6_T7_P12ihipStream_tbENKUlT_T0_E_clISt17integral_constantIbLb0EESX_IbLb1EEEEDaST_SU_EUlST_E_NS1_11comp_targetILNS1_3genE2ELNS1_11target_archE906ELNS1_3gpuE6ELNS1_3repE0EEENS1_30default_config_static_selectorELNS0_4arch9wavefront6targetE0EEEvT1_
	.globl	_ZN7rocprim17ROCPRIM_400000_NS6detail17trampoline_kernelINS0_14default_configENS1_27scan_by_key_config_selectorIxxEEZZNS1_16scan_by_key_implILNS1_25lookback_scan_determinismE0ELb0ES3_N6thrust23THRUST_200600_302600_NS6detail15normal_iteratorINS9_10device_ptrIxEEEESE_SE_xNS9_4plusIxEE19head_flag_predicatexEE10hipError_tPvRmT2_T3_T4_T5_mT6_T7_P12ihipStream_tbENKUlT_T0_E_clISt17integral_constantIbLb0EESX_IbLb1EEEEDaST_SU_EUlST_E_NS1_11comp_targetILNS1_3genE2ELNS1_11target_archE906ELNS1_3gpuE6ELNS1_3repE0EEENS1_30default_config_static_selectorELNS0_4arch9wavefront6targetE0EEEvT1_
	.p2align	8
	.type	_ZN7rocprim17ROCPRIM_400000_NS6detail17trampoline_kernelINS0_14default_configENS1_27scan_by_key_config_selectorIxxEEZZNS1_16scan_by_key_implILNS1_25lookback_scan_determinismE0ELb0ES3_N6thrust23THRUST_200600_302600_NS6detail15normal_iteratorINS9_10device_ptrIxEEEESE_SE_xNS9_4plusIxEE19head_flag_predicatexEE10hipError_tPvRmT2_T3_T4_T5_mT6_T7_P12ihipStream_tbENKUlT_T0_E_clISt17integral_constantIbLb0EESX_IbLb1EEEEDaST_SU_EUlST_E_NS1_11comp_targetILNS1_3genE2ELNS1_11target_archE906ELNS1_3gpuE6ELNS1_3repE0EEENS1_30default_config_static_selectorELNS0_4arch9wavefront6targetE0EEEvT1_,@function
_ZN7rocprim17ROCPRIM_400000_NS6detail17trampoline_kernelINS0_14default_configENS1_27scan_by_key_config_selectorIxxEEZZNS1_16scan_by_key_implILNS1_25lookback_scan_determinismE0ELb0ES3_N6thrust23THRUST_200600_302600_NS6detail15normal_iteratorINS9_10device_ptrIxEEEESE_SE_xNS9_4plusIxEE19head_flag_predicatexEE10hipError_tPvRmT2_T3_T4_T5_mT6_T7_P12ihipStream_tbENKUlT_T0_E_clISt17integral_constantIbLb0EESX_IbLb1EEEEDaST_SU_EUlST_E_NS1_11comp_targetILNS1_3genE2ELNS1_11target_archE906ELNS1_3gpuE6ELNS1_3repE0EEENS1_30default_config_static_selectorELNS0_4arch9wavefront6targetE0EEEvT1_: ; @_ZN7rocprim17ROCPRIM_400000_NS6detail17trampoline_kernelINS0_14default_configENS1_27scan_by_key_config_selectorIxxEEZZNS1_16scan_by_key_implILNS1_25lookback_scan_determinismE0ELb0ES3_N6thrust23THRUST_200600_302600_NS6detail15normal_iteratorINS9_10device_ptrIxEEEESE_SE_xNS9_4plusIxEE19head_flag_predicatexEE10hipError_tPvRmT2_T3_T4_T5_mT6_T7_P12ihipStream_tbENKUlT_T0_E_clISt17integral_constantIbLb0EESX_IbLb1EEEEDaST_SU_EUlST_E_NS1_11comp_targetILNS1_3genE2ELNS1_11target_archE906ELNS1_3gpuE6ELNS1_3repE0EEENS1_30default_config_static_selectorELNS0_4arch9wavefront6targetE0EEEvT1_
; %bb.0:
	.section	.rodata,"a",@progbits
	.p2align	6, 0x0
	.amdhsa_kernel _ZN7rocprim17ROCPRIM_400000_NS6detail17trampoline_kernelINS0_14default_configENS1_27scan_by_key_config_selectorIxxEEZZNS1_16scan_by_key_implILNS1_25lookback_scan_determinismE0ELb0ES3_N6thrust23THRUST_200600_302600_NS6detail15normal_iteratorINS9_10device_ptrIxEEEESE_SE_xNS9_4plusIxEE19head_flag_predicatexEE10hipError_tPvRmT2_T3_T4_T5_mT6_T7_P12ihipStream_tbENKUlT_T0_E_clISt17integral_constantIbLb0EESX_IbLb1EEEEDaST_SU_EUlST_E_NS1_11comp_targetILNS1_3genE2ELNS1_11target_archE906ELNS1_3gpuE6ELNS1_3repE0EEENS1_30default_config_static_selectorELNS0_4arch9wavefront6targetE0EEEvT1_
		.amdhsa_group_segment_fixed_size 0
		.amdhsa_private_segment_fixed_size 0
		.amdhsa_kernarg_size 136
		.amdhsa_user_sgpr_count 6
		.amdhsa_user_sgpr_private_segment_buffer 1
		.amdhsa_user_sgpr_dispatch_ptr 0
		.amdhsa_user_sgpr_queue_ptr 0
		.amdhsa_user_sgpr_kernarg_segment_ptr 1
		.amdhsa_user_sgpr_dispatch_id 0
		.amdhsa_user_sgpr_flat_scratch_init 0
		.amdhsa_user_sgpr_private_segment_size 0
		.amdhsa_wavefront_size32 1
		.amdhsa_uses_dynamic_stack 0
		.amdhsa_system_sgpr_private_segment_wavefront_offset 0
		.amdhsa_system_sgpr_workgroup_id_x 1
		.amdhsa_system_sgpr_workgroup_id_y 0
		.amdhsa_system_sgpr_workgroup_id_z 0
		.amdhsa_system_sgpr_workgroup_info 0
		.amdhsa_system_vgpr_workitem_id 0
		.amdhsa_next_free_vgpr 1
		.amdhsa_next_free_sgpr 1
		.amdhsa_reserve_vcc 0
		.amdhsa_reserve_flat_scratch 0
		.amdhsa_float_round_mode_32 0
		.amdhsa_float_round_mode_16_64 0
		.amdhsa_float_denorm_mode_32 3
		.amdhsa_float_denorm_mode_16_64 3
		.amdhsa_dx10_clamp 1
		.amdhsa_ieee_mode 1
		.amdhsa_fp16_overflow 0
		.amdhsa_workgroup_processor_mode 1
		.amdhsa_memory_ordered 1
		.amdhsa_forward_progress 1
		.amdhsa_shared_vgpr_count 0
		.amdhsa_exception_fp_ieee_invalid_op 0
		.amdhsa_exception_fp_denorm_src 0
		.amdhsa_exception_fp_ieee_div_zero 0
		.amdhsa_exception_fp_ieee_overflow 0
		.amdhsa_exception_fp_ieee_underflow 0
		.amdhsa_exception_fp_ieee_inexact 0
		.amdhsa_exception_int_div_zero 0
	.end_amdhsa_kernel
	.section	.text._ZN7rocprim17ROCPRIM_400000_NS6detail17trampoline_kernelINS0_14default_configENS1_27scan_by_key_config_selectorIxxEEZZNS1_16scan_by_key_implILNS1_25lookback_scan_determinismE0ELb0ES3_N6thrust23THRUST_200600_302600_NS6detail15normal_iteratorINS9_10device_ptrIxEEEESE_SE_xNS9_4plusIxEE19head_flag_predicatexEE10hipError_tPvRmT2_T3_T4_T5_mT6_T7_P12ihipStream_tbENKUlT_T0_E_clISt17integral_constantIbLb0EESX_IbLb1EEEEDaST_SU_EUlST_E_NS1_11comp_targetILNS1_3genE2ELNS1_11target_archE906ELNS1_3gpuE6ELNS1_3repE0EEENS1_30default_config_static_selectorELNS0_4arch9wavefront6targetE0EEEvT1_,"axG",@progbits,_ZN7rocprim17ROCPRIM_400000_NS6detail17trampoline_kernelINS0_14default_configENS1_27scan_by_key_config_selectorIxxEEZZNS1_16scan_by_key_implILNS1_25lookback_scan_determinismE0ELb0ES3_N6thrust23THRUST_200600_302600_NS6detail15normal_iteratorINS9_10device_ptrIxEEEESE_SE_xNS9_4plusIxEE19head_flag_predicatexEE10hipError_tPvRmT2_T3_T4_T5_mT6_T7_P12ihipStream_tbENKUlT_T0_E_clISt17integral_constantIbLb0EESX_IbLb1EEEEDaST_SU_EUlST_E_NS1_11comp_targetILNS1_3genE2ELNS1_11target_archE906ELNS1_3gpuE6ELNS1_3repE0EEENS1_30default_config_static_selectorELNS0_4arch9wavefront6targetE0EEEvT1_,comdat
.Lfunc_end709:
	.size	_ZN7rocprim17ROCPRIM_400000_NS6detail17trampoline_kernelINS0_14default_configENS1_27scan_by_key_config_selectorIxxEEZZNS1_16scan_by_key_implILNS1_25lookback_scan_determinismE0ELb0ES3_N6thrust23THRUST_200600_302600_NS6detail15normal_iteratorINS9_10device_ptrIxEEEESE_SE_xNS9_4plusIxEE19head_flag_predicatexEE10hipError_tPvRmT2_T3_T4_T5_mT6_T7_P12ihipStream_tbENKUlT_T0_E_clISt17integral_constantIbLb0EESX_IbLb1EEEEDaST_SU_EUlST_E_NS1_11comp_targetILNS1_3genE2ELNS1_11target_archE906ELNS1_3gpuE6ELNS1_3repE0EEENS1_30default_config_static_selectorELNS0_4arch9wavefront6targetE0EEEvT1_, .Lfunc_end709-_ZN7rocprim17ROCPRIM_400000_NS6detail17trampoline_kernelINS0_14default_configENS1_27scan_by_key_config_selectorIxxEEZZNS1_16scan_by_key_implILNS1_25lookback_scan_determinismE0ELb0ES3_N6thrust23THRUST_200600_302600_NS6detail15normal_iteratorINS9_10device_ptrIxEEEESE_SE_xNS9_4plusIxEE19head_flag_predicatexEE10hipError_tPvRmT2_T3_T4_T5_mT6_T7_P12ihipStream_tbENKUlT_T0_E_clISt17integral_constantIbLb0EESX_IbLb1EEEEDaST_SU_EUlST_E_NS1_11comp_targetILNS1_3genE2ELNS1_11target_archE906ELNS1_3gpuE6ELNS1_3repE0EEENS1_30default_config_static_selectorELNS0_4arch9wavefront6targetE0EEEvT1_
                                        ; -- End function
	.set _ZN7rocprim17ROCPRIM_400000_NS6detail17trampoline_kernelINS0_14default_configENS1_27scan_by_key_config_selectorIxxEEZZNS1_16scan_by_key_implILNS1_25lookback_scan_determinismE0ELb0ES3_N6thrust23THRUST_200600_302600_NS6detail15normal_iteratorINS9_10device_ptrIxEEEESE_SE_xNS9_4plusIxEE19head_flag_predicatexEE10hipError_tPvRmT2_T3_T4_T5_mT6_T7_P12ihipStream_tbENKUlT_T0_E_clISt17integral_constantIbLb0EESX_IbLb1EEEEDaST_SU_EUlST_E_NS1_11comp_targetILNS1_3genE2ELNS1_11target_archE906ELNS1_3gpuE6ELNS1_3repE0EEENS1_30default_config_static_selectorELNS0_4arch9wavefront6targetE0EEEvT1_.num_vgpr, 0
	.set _ZN7rocprim17ROCPRIM_400000_NS6detail17trampoline_kernelINS0_14default_configENS1_27scan_by_key_config_selectorIxxEEZZNS1_16scan_by_key_implILNS1_25lookback_scan_determinismE0ELb0ES3_N6thrust23THRUST_200600_302600_NS6detail15normal_iteratorINS9_10device_ptrIxEEEESE_SE_xNS9_4plusIxEE19head_flag_predicatexEE10hipError_tPvRmT2_T3_T4_T5_mT6_T7_P12ihipStream_tbENKUlT_T0_E_clISt17integral_constantIbLb0EESX_IbLb1EEEEDaST_SU_EUlST_E_NS1_11comp_targetILNS1_3genE2ELNS1_11target_archE906ELNS1_3gpuE6ELNS1_3repE0EEENS1_30default_config_static_selectorELNS0_4arch9wavefront6targetE0EEEvT1_.num_agpr, 0
	.set _ZN7rocprim17ROCPRIM_400000_NS6detail17trampoline_kernelINS0_14default_configENS1_27scan_by_key_config_selectorIxxEEZZNS1_16scan_by_key_implILNS1_25lookback_scan_determinismE0ELb0ES3_N6thrust23THRUST_200600_302600_NS6detail15normal_iteratorINS9_10device_ptrIxEEEESE_SE_xNS9_4plusIxEE19head_flag_predicatexEE10hipError_tPvRmT2_T3_T4_T5_mT6_T7_P12ihipStream_tbENKUlT_T0_E_clISt17integral_constantIbLb0EESX_IbLb1EEEEDaST_SU_EUlST_E_NS1_11comp_targetILNS1_3genE2ELNS1_11target_archE906ELNS1_3gpuE6ELNS1_3repE0EEENS1_30default_config_static_selectorELNS0_4arch9wavefront6targetE0EEEvT1_.numbered_sgpr, 0
	.set _ZN7rocprim17ROCPRIM_400000_NS6detail17trampoline_kernelINS0_14default_configENS1_27scan_by_key_config_selectorIxxEEZZNS1_16scan_by_key_implILNS1_25lookback_scan_determinismE0ELb0ES3_N6thrust23THRUST_200600_302600_NS6detail15normal_iteratorINS9_10device_ptrIxEEEESE_SE_xNS9_4plusIxEE19head_flag_predicatexEE10hipError_tPvRmT2_T3_T4_T5_mT6_T7_P12ihipStream_tbENKUlT_T0_E_clISt17integral_constantIbLb0EESX_IbLb1EEEEDaST_SU_EUlST_E_NS1_11comp_targetILNS1_3genE2ELNS1_11target_archE906ELNS1_3gpuE6ELNS1_3repE0EEENS1_30default_config_static_selectorELNS0_4arch9wavefront6targetE0EEEvT1_.num_named_barrier, 0
	.set _ZN7rocprim17ROCPRIM_400000_NS6detail17trampoline_kernelINS0_14default_configENS1_27scan_by_key_config_selectorIxxEEZZNS1_16scan_by_key_implILNS1_25lookback_scan_determinismE0ELb0ES3_N6thrust23THRUST_200600_302600_NS6detail15normal_iteratorINS9_10device_ptrIxEEEESE_SE_xNS9_4plusIxEE19head_flag_predicatexEE10hipError_tPvRmT2_T3_T4_T5_mT6_T7_P12ihipStream_tbENKUlT_T0_E_clISt17integral_constantIbLb0EESX_IbLb1EEEEDaST_SU_EUlST_E_NS1_11comp_targetILNS1_3genE2ELNS1_11target_archE906ELNS1_3gpuE6ELNS1_3repE0EEENS1_30default_config_static_selectorELNS0_4arch9wavefront6targetE0EEEvT1_.private_seg_size, 0
	.set _ZN7rocprim17ROCPRIM_400000_NS6detail17trampoline_kernelINS0_14default_configENS1_27scan_by_key_config_selectorIxxEEZZNS1_16scan_by_key_implILNS1_25lookback_scan_determinismE0ELb0ES3_N6thrust23THRUST_200600_302600_NS6detail15normal_iteratorINS9_10device_ptrIxEEEESE_SE_xNS9_4plusIxEE19head_flag_predicatexEE10hipError_tPvRmT2_T3_T4_T5_mT6_T7_P12ihipStream_tbENKUlT_T0_E_clISt17integral_constantIbLb0EESX_IbLb1EEEEDaST_SU_EUlST_E_NS1_11comp_targetILNS1_3genE2ELNS1_11target_archE906ELNS1_3gpuE6ELNS1_3repE0EEENS1_30default_config_static_selectorELNS0_4arch9wavefront6targetE0EEEvT1_.uses_vcc, 0
	.set _ZN7rocprim17ROCPRIM_400000_NS6detail17trampoline_kernelINS0_14default_configENS1_27scan_by_key_config_selectorIxxEEZZNS1_16scan_by_key_implILNS1_25lookback_scan_determinismE0ELb0ES3_N6thrust23THRUST_200600_302600_NS6detail15normal_iteratorINS9_10device_ptrIxEEEESE_SE_xNS9_4plusIxEE19head_flag_predicatexEE10hipError_tPvRmT2_T3_T4_T5_mT6_T7_P12ihipStream_tbENKUlT_T0_E_clISt17integral_constantIbLb0EESX_IbLb1EEEEDaST_SU_EUlST_E_NS1_11comp_targetILNS1_3genE2ELNS1_11target_archE906ELNS1_3gpuE6ELNS1_3repE0EEENS1_30default_config_static_selectorELNS0_4arch9wavefront6targetE0EEEvT1_.uses_flat_scratch, 0
	.set _ZN7rocprim17ROCPRIM_400000_NS6detail17trampoline_kernelINS0_14default_configENS1_27scan_by_key_config_selectorIxxEEZZNS1_16scan_by_key_implILNS1_25lookback_scan_determinismE0ELb0ES3_N6thrust23THRUST_200600_302600_NS6detail15normal_iteratorINS9_10device_ptrIxEEEESE_SE_xNS9_4plusIxEE19head_flag_predicatexEE10hipError_tPvRmT2_T3_T4_T5_mT6_T7_P12ihipStream_tbENKUlT_T0_E_clISt17integral_constantIbLb0EESX_IbLb1EEEEDaST_SU_EUlST_E_NS1_11comp_targetILNS1_3genE2ELNS1_11target_archE906ELNS1_3gpuE6ELNS1_3repE0EEENS1_30default_config_static_selectorELNS0_4arch9wavefront6targetE0EEEvT1_.has_dyn_sized_stack, 0
	.set _ZN7rocprim17ROCPRIM_400000_NS6detail17trampoline_kernelINS0_14default_configENS1_27scan_by_key_config_selectorIxxEEZZNS1_16scan_by_key_implILNS1_25lookback_scan_determinismE0ELb0ES3_N6thrust23THRUST_200600_302600_NS6detail15normal_iteratorINS9_10device_ptrIxEEEESE_SE_xNS9_4plusIxEE19head_flag_predicatexEE10hipError_tPvRmT2_T3_T4_T5_mT6_T7_P12ihipStream_tbENKUlT_T0_E_clISt17integral_constantIbLb0EESX_IbLb1EEEEDaST_SU_EUlST_E_NS1_11comp_targetILNS1_3genE2ELNS1_11target_archE906ELNS1_3gpuE6ELNS1_3repE0EEENS1_30default_config_static_selectorELNS0_4arch9wavefront6targetE0EEEvT1_.has_recursion, 0
	.set _ZN7rocprim17ROCPRIM_400000_NS6detail17trampoline_kernelINS0_14default_configENS1_27scan_by_key_config_selectorIxxEEZZNS1_16scan_by_key_implILNS1_25lookback_scan_determinismE0ELb0ES3_N6thrust23THRUST_200600_302600_NS6detail15normal_iteratorINS9_10device_ptrIxEEEESE_SE_xNS9_4plusIxEE19head_flag_predicatexEE10hipError_tPvRmT2_T3_T4_T5_mT6_T7_P12ihipStream_tbENKUlT_T0_E_clISt17integral_constantIbLb0EESX_IbLb1EEEEDaST_SU_EUlST_E_NS1_11comp_targetILNS1_3genE2ELNS1_11target_archE906ELNS1_3gpuE6ELNS1_3repE0EEENS1_30default_config_static_selectorELNS0_4arch9wavefront6targetE0EEEvT1_.has_indirect_call, 0
	.section	.AMDGPU.csdata,"",@progbits
; Kernel info:
; codeLenInByte = 0
; TotalNumSgprs: 0
; NumVgprs: 0
; ScratchSize: 0
; MemoryBound: 0
; FloatMode: 240
; IeeeMode: 1
; LDSByteSize: 0 bytes/workgroup (compile time only)
; SGPRBlocks: 0
; VGPRBlocks: 0
; NumSGPRsForWavesPerEU: 1
; NumVGPRsForWavesPerEU: 1
; Occupancy: 16
; WaveLimiterHint : 0
; COMPUTE_PGM_RSRC2:SCRATCH_EN: 0
; COMPUTE_PGM_RSRC2:USER_SGPR: 6
; COMPUTE_PGM_RSRC2:TRAP_HANDLER: 0
; COMPUTE_PGM_RSRC2:TGID_X_EN: 1
; COMPUTE_PGM_RSRC2:TGID_Y_EN: 0
; COMPUTE_PGM_RSRC2:TGID_Z_EN: 0
; COMPUTE_PGM_RSRC2:TIDIG_COMP_CNT: 0
	.section	.text._ZN7rocprim17ROCPRIM_400000_NS6detail17trampoline_kernelINS0_14default_configENS1_27scan_by_key_config_selectorIxxEEZZNS1_16scan_by_key_implILNS1_25lookback_scan_determinismE0ELb0ES3_N6thrust23THRUST_200600_302600_NS6detail15normal_iteratorINS9_10device_ptrIxEEEESE_SE_xNS9_4plusIxEE19head_flag_predicatexEE10hipError_tPvRmT2_T3_T4_T5_mT6_T7_P12ihipStream_tbENKUlT_T0_E_clISt17integral_constantIbLb0EESX_IbLb1EEEEDaST_SU_EUlST_E_NS1_11comp_targetILNS1_3genE10ELNS1_11target_archE1200ELNS1_3gpuE4ELNS1_3repE0EEENS1_30default_config_static_selectorELNS0_4arch9wavefront6targetE0EEEvT1_,"axG",@progbits,_ZN7rocprim17ROCPRIM_400000_NS6detail17trampoline_kernelINS0_14default_configENS1_27scan_by_key_config_selectorIxxEEZZNS1_16scan_by_key_implILNS1_25lookback_scan_determinismE0ELb0ES3_N6thrust23THRUST_200600_302600_NS6detail15normal_iteratorINS9_10device_ptrIxEEEESE_SE_xNS9_4plusIxEE19head_flag_predicatexEE10hipError_tPvRmT2_T3_T4_T5_mT6_T7_P12ihipStream_tbENKUlT_T0_E_clISt17integral_constantIbLb0EESX_IbLb1EEEEDaST_SU_EUlST_E_NS1_11comp_targetILNS1_3genE10ELNS1_11target_archE1200ELNS1_3gpuE4ELNS1_3repE0EEENS1_30default_config_static_selectorELNS0_4arch9wavefront6targetE0EEEvT1_,comdat
	.protected	_ZN7rocprim17ROCPRIM_400000_NS6detail17trampoline_kernelINS0_14default_configENS1_27scan_by_key_config_selectorIxxEEZZNS1_16scan_by_key_implILNS1_25lookback_scan_determinismE0ELb0ES3_N6thrust23THRUST_200600_302600_NS6detail15normal_iteratorINS9_10device_ptrIxEEEESE_SE_xNS9_4plusIxEE19head_flag_predicatexEE10hipError_tPvRmT2_T3_T4_T5_mT6_T7_P12ihipStream_tbENKUlT_T0_E_clISt17integral_constantIbLb0EESX_IbLb1EEEEDaST_SU_EUlST_E_NS1_11comp_targetILNS1_3genE10ELNS1_11target_archE1200ELNS1_3gpuE4ELNS1_3repE0EEENS1_30default_config_static_selectorELNS0_4arch9wavefront6targetE0EEEvT1_ ; -- Begin function _ZN7rocprim17ROCPRIM_400000_NS6detail17trampoline_kernelINS0_14default_configENS1_27scan_by_key_config_selectorIxxEEZZNS1_16scan_by_key_implILNS1_25lookback_scan_determinismE0ELb0ES3_N6thrust23THRUST_200600_302600_NS6detail15normal_iteratorINS9_10device_ptrIxEEEESE_SE_xNS9_4plusIxEE19head_flag_predicatexEE10hipError_tPvRmT2_T3_T4_T5_mT6_T7_P12ihipStream_tbENKUlT_T0_E_clISt17integral_constantIbLb0EESX_IbLb1EEEEDaST_SU_EUlST_E_NS1_11comp_targetILNS1_3genE10ELNS1_11target_archE1200ELNS1_3gpuE4ELNS1_3repE0EEENS1_30default_config_static_selectorELNS0_4arch9wavefront6targetE0EEEvT1_
	.globl	_ZN7rocprim17ROCPRIM_400000_NS6detail17trampoline_kernelINS0_14default_configENS1_27scan_by_key_config_selectorIxxEEZZNS1_16scan_by_key_implILNS1_25lookback_scan_determinismE0ELb0ES3_N6thrust23THRUST_200600_302600_NS6detail15normal_iteratorINS9_10device_ptrIxEEEESE_SE_xNS9_4plusIxEE19head_flag_predicatexEE10hipError_tPvRmT2_T3_T4_T5_mT6_T7_P12ihipStream_tbENKUlT_T0_E_clISt17integral_constantIbLb0EESX_IbLb1EEEEDaST_SU_EUlST_E_NS1_11comp_targetILNS1_3genE10ELNS1_11target_archE1200ELNS1_3gpuE4ELNS1_3repE0EEENS1_30default_config_static_selectorELNS0_4arch9wavefront6targetE0EEEvT1_
	.p2align	8
	.type	_ZN7rocprim17ROCPRIM_400000_NS6detail17trampoline_kernelINS0_14default_configENS1_27scan_by_key_config_selectorIxxEEZZNS1_16scan_by_key_implILNS1_25lookback_scan_determinismE0ELb0ES3_N6thrust23THRUST_200600_302600_NS6detail15normal_iteratorINS9_10device_ptrIxEEEESE_SE_xNS9_4plusIxEE19head_flag_predicatexEE10hipError_tPvRmT2_T3_T4_T5_mT6_T7_P12ihipStream_tbENKUlT_T0_E_clISt17integral_constantIbLb0EESX_IbLb1EEEEDaST_SU_EUlST_E_NS1_11comp_targetILNS1_3genE10ELNS1_11target_archE1200ELNS1_3gpuE4ELNS1_3repE0EEENS1_30default_config_static_selectorELNS0_4arch9wavefront6targetE0EEEvT1_,@function
_ZN7rocprim17ROCPRIM_400000_NS6detail17trampoline_kernelINS0_14default_configENS1_27scan_by_key_config_selectorIxxEEZZNS1_16scan_by_key_implILNS1_25lookback_scan_determinismE0ELb0ES3_N6thrust23THRUST_200600_302600_NS6detail15normal_iteratorINS9_10device_ptrIxEEEESE_SE_xNS9_4plusIxEE19head_flag_predicatexEE10hipError_tPvRmT2_T3_T4_T5_mT6_T7_P12ihipStream_tbENKUlT_T0_E_clISt17integral_constantIbLb0EESX_IbLb1EEEEDaST_SU_EUlST_E_NS1_11comp_targetILNS1_3genE10ELNS1_11target_archE1200ELNS1_3gpuE4ELNS1_3repE0EEENS1_30default_config_static_selectorELNS0_4arch9wavefront6targetE0EEEvT1_: ; @_ZN7rocprim17ROCPRIM_400000_NS6detail17trampoline_kernelINS0_14default_configENS1_27scan_by_key_config_selectorIxxEEZZNS1_16scan_by_key_implILNS1_25lookback_scan_determinismE0ELb0ES3_N6thrust23THRUST_200600_302600_NS6detail15normal_iteratorINS9_10device_ptrIxEEEESE_SE_xNS9_4plusIxEE19head_flag_predicatexEE10hipError_tPvRmT2_T3_T4_T5_mT6_T7_P12ihipStream_tbENKUlT_T0_E_clISt17integral_constantIbLb0EESX_IbLb1EEEEDaST_SU_EUlST_E_NS1_11comp_targetILNS1_3genE10ELNS1_11target_archE1200ELNS1_3gpuE4ELNS1_3repE0EEENS1_30default_config_static_selectorELNS0_4arch9wavefront6targetE0EEEvT1_
; %bb.0:
	.section	.rodata,"a",@progbits
	.p2align	6, 0x0
	.amdhsa_kernel _ZN7rocprim17ROCPRIM_400000_NS6detail17trampoline_kernelINS0_14default_configENS1_27scan_by_key_config_selectorIxxEEZZNS1_16scan_by_key_implILNS1_25lookback_scan_determinismE0ELb0ES3_N6thrust23THRUST_200600_302600_NS6detail15normal_iteratorINS9_10device_ptrIxEEEESE_SE_xNS9_4plusIxEE19head_flag_predicatexEE10hipError_tPvRmT2_T3_T4_T5_mT6_T7_P12ihipStream_tbENKUlT_T0_E_clISt17integral_constantIbLb0EESX_IbLb1EEEEDaST_SU_EUlST_E_NS1_11comp_targetILNS1_3genE10ELNS1_11target_archE1200ELNS1_3gpuE4ELNS1_3repE0EEENS1_30default_config_static_selectorELNS0_4arch9wavefront6targetE0EEEvT1_
		.amdhsa_group_segment_fixed_size 0
		.amdhsa_private_segment_fixed_size 0
		.amdhsa_kernarg_size 136
		.amdhsa_user_sgpr_count 6
		.amdhsa_user_sgpr_private_segment_buffer 1
		.amdhsa_user_sgpr_dispatch_ptr 0
		.amdhsa_user_sgpr_queue_ptr 0
		.amdhsa_user_sgpr_kernarg_segment_ptr 1
		.amdhsa_user_sgpr_dispatch_id 0
		.amdhsa_user_sgpr_flat_scratch_init 0
		.amdhsa_user_sgpr_private_segment_size 0
		.amdhsa_wavefront_size32 1
		.amdhsa_uses_dynamic_stack 0
		.amdhsa_system_sgpr_private_segment_wavefront_offset 0
		.amdhsa_system_sgpr_workgroup_id_x 1
		.amdhsa_system_sgpr_workgroup_id_y 0
		.amdhsa_system_sgpr_workgroup_id_z 0
		.amdhsa_system_sgpr_workgroup_info 0
		.amdhsa_system_vgpr_workitem_id 0
		.amdhsa_next_free_vgpr 1
		.amdhsa_next_free_sgpr 1
		.amdhsa_reserve_vcc 0
		.amdhsa_reserve_flat_scratch 0
		.amdhsa_float_round_mode_32 0
		.amdhsa_float_round_mode_16_64 0
		.amdhsa_float_denorm_mode_32 3
		.amdhsa_float_denorm_mode_16_64 3
		.amdhsa_dx10_clamp 1
		.amdhsa_ieee_mode 1
		.amdhsa_fp16_overflow 0
		.amdhsa_workgroup_processor_mode 1
		.amdhsa_memory_ordered 1
		.amdhsa_forward_progress 1
		.amdhsa_shared_vgpr_count 0
		.amdhsa_exception_fp_ieee_invalid_op 0
		.amdhsa_exception_fp_denorm_src 0
		.amdhsa_exception_fp_ieee_div_zero 0
		.amdhsa_exception_fp_ieee_overflow 0
		.amdhsa_exception_fp_ieee_underflow 0
		.amdhsa_exception_fp_ieee_inexact 0
		.amdhsa_exception_int_div_zero 0
	.end_amdhsa_kernel
	.section	.text._ZN7rocprim17ROCPRIM_400000_NS6detail17trampoline_kernelINS0_14default_configENS1_27scan_by_key_config_selectorIxxEEZZNS1_16scan_by_key_implILNS1_25lookback_scan_determinismE0ELb0ES3_N6thrust23THRUST_200600_302600_NS6detail15normal_iteratorINS9_10device_ptrIxEEEESE_SE_xNS9_4plusIxEE19head_flag_predicatexEE10hipError_tPvRmT2_T3_T4_T5_mT6_T7_P12ihipStream_tbENKUlT_T0_E_clISt17integral_constantIbLb0EESX_IbLb1EEEEDaST_SU_EUlST_E_NS1_11comp_targetILNS1_3genE10ELNS1_11target_archE1200ELNS1_3gpuE4ELNS1_3repE0EEENS1_30default_config_static_selectorELNS0_4arch9wavefront6targetE0EEEvT1_,"axG",@progbits,_ZN7rocprim17ROCPRIM_400000_NS6detail17trampoline_kernelINS0_14default_configENS1_27scan_by_key_config_selectorIxxEEZZNS1_16scan_by_key_implILNS1_25lookback_scan_determinismE0ELb0ES3_N6thrust23THRUST_200600_302600_NS6detail15normal_iteratorINS9_10device_ptrIxEEEESE_SE_xNS9_4plusIxEE19head_flag_predicatexEE10hipError_tPvRmT2_T3_T4_T5_mT6_T7_P12ihipStream_tbENKUlT_T0_E_clISt17integral_constantIbLb0EESX_IbLb1EEEEDaST_SU_EUlST_E_NS1_11comp_targetILNS1_3genE10ELNS1_11target_archE1200ELNS1_3gpuE4ELNS1_3repE0EEENS1_30default_config_static_selectorELNS0_4arch9wavefront6targetE0EEEvT1_,comdat
.Lfunc_end710:
	.size	_ZN7rocprim17ROCPRIM_400000_NS6detail17trampoline_kernelINS0_14default_configENS1_27scan_by_key_config_selectorIxxEEZZNS1_16scan_by_key_implILNS1_25lookback_scan_determinismE0ELb0ES3_N6thrust23THRUST_200600_302600_NS6detail15normal_iteratorINS9_10device_ptrIxEEEESE_SE_xNS9_4plusIxEE19head_flag_predicatexEE10hipError_tPvRmT2_T3_T4_T5_mT6_T7_P12ihipStream_tbENKUlT_T0_E_clISt17integral_constantIbLb0EESX_IbLb1EEEEDaST_SU_EUlST_E_NS1_11comp_targetILNS1_3genE10ELNS1_11target_archE1200ELNS1_3gpuE4ELNS1_3repE0EEENS1_30default_config_static_selectorELNS0_4arch9wavefront6targetE0EEEvT1_, .Lfunc_end710-_ZN7rocprim17ROCPRIM_400000_NS6detail17trampoline_kernelINS0_14default_configENS1_27scan_by_key_config_selectorIxxEEZZNS1_16scan_by_key_implILNS1_25lookback_scan_determinismE0ELb0ES3_N6thrust23THRUST_200600_302600_NS6detail15normal_iteratorINS9_10device_ptrIxEEEESE_SE_xNS9_4plusIxEE19head_flag_predicatexEE10hipError_tPvRmT2_T3_T4_T5_mT6_T7_P12ihipStream_tbENKUlT_T0_E_clISt17integral_constantIbLb0EESX_IbLb1EEEEDaST_SU_EUlST_E_NS1_11comp_targetILNS1_3genE10ELNS1_11target_archE1200ELNS1_3gpuE4ELNS1_3repE0EEENS1_30default_config_static_selectorELNS0_4arch9wavefront6targetE0EEEvT1_
                                        ; -- End function
	.set _ZN7rocprim17ROCPRIM_400000_NS6detail17trampoline_kernelINS0_14default_configENS1_27scan_by_key_config_selectorIxxEEZZNS1_16scan_by_key_implILNS1_25lookback_scan_determinismE0ELb0ES3_N6thrust23THRUST_200600_302600_NS6detail15normal_iteratorINS9_10device_ptrIxEEEESE_SE_xNS9_4plusIxEE19head_flag_predicatexEE10hipError_tPvRmT2_T3_T4_T5_mT6_T7_P12ihipStream_tbENKUlT_T0_E_clISt17integral_constantIbLb0EESX_IbLb1EEEEDaST_SU_EUlST_E_NS1_11comp_targetILNS1_3genE10ELNS1_11target_archE1200ELNS1_3gpuE4ELNS1_3repE0EEENS1_30default_config_static_selectorELNS0_4arch9wavefront6targetE0EEEvT1_.num_vgpr, 0
	.set _ZN7rocprim17ROCPRIM_400000_NS6detail17trampoline_kernelINS0_14default_configENS1_27scan_by_key_config_selectorIxxEEZZNS1_16scan_by_key_implILNS1_25lookback_scan_determinismE0ELb0ES3_N6thrust23THRUST_200600_302600_NS6detail15normal_iteratorINS9_10device_ptrIxEEEESE_SE_xNS9_4plusIxEE19head_flag_predicatexEE10hipError_tPvRmT2_T3_T4_T5_mT6_T7_P12ihipStream_tbENKUlT_T0_E_clISt17integral_constantIbLb0EESX_IbLb1EEEEDaST_SU_EUlST_E_NS1_11comp_targetILNS1_3genE10ELNS1_11target_archE1200ELNS1_3gpuE4ELNS1_3repE0EEENS1_30default_config_static_selectorELNS0_4arch9wavefront6targetE0EEEvT1_.num_agpr, 0
	.set _ZN7rocprim17ROCPRIM_400000_NS6detail17trampoline_kernelINS0_14default_configENS1_27scan_by_key_config_selectorIxxEEZZNS1_16scan_by_key_implILNS1_25lookback_scan_determinismE0ELb0ES3_N6thrust23THRUST_200600_302600_NS6detail15normal_iteratorINS9_10device_ptrIxEEEESE_SE_xNS9_4plusIxEE19head_flag_predicatexEE10hipError_tPvRmT2_T3_T4_T5_mT6_T7_P12ihipStream_tbENKUlT_T0_E_clISt17integral_constantIbLb0EESX_IbLb1EEEEDaST_SU_EUlST_E_NS1_11comp_targetILNS1_3genE10ELNS1_11target_archE1200ELNS1_3gpuE4ELNS1_3repE0EEENS1_30default_config_static_selectorELNS0_4arch9wavefront6targetE0EEEvT1_.numbered_sgpr, 0
	.set _ZN7rocprim17ROCPRIM_400000_NS6detail17trampoline_kernelINS0_14default_configENS1_27scan_by_key_config_selectorIxxEEZZNS1_16scan_by_key_implILNS1_25lookback_scan_determinismE0ELb0ES3_N6thrust23THRUST_200600_302600_NS6detail15normal_iteratorINS9_10device_ptrIxEEEESE_SE_xNS9_4plusIxEE19head_flag_predicatexEE10hipError_tPvRmT2_T3_T4_T5_mT6_T7_P12ihipStream_tbENKUlT_T0_E_clISt17integral_constantIbLb0EESX_IbLb1EEEEDaST_SU_EUlST_E_NS1_11comp_targetILNS1_3genE10ELNS1_11target_archE1200ELNS1_3gpuE4ELNS1_3repE0EEENS1_30default_config_static_selectorELNS0_4arch9wavefront6targetE0EEEvT1_.num_named_barrier, 0
	.set _ZN7rocprim17ROCPRIM_400000_NS6detail17trampoline_kernelINS0_14default_configENS1_27scan_by_key_config_selectorIxxEEZZNS1_16scan_by_key_implILNS1_25lookback_scan_determinismE0ELb0ES3_N6thrust23THRUST_200600_302600_NS6detail15normal_iteratorINS9_10device_ptrIxEEEESE_SE_xNS9_4plusIxEE19head_flag_predicatexEE10hipError_tPvRmT2_T3_T4_T5_mT6_T7_P12ihipStream_tbENKUlT_T0_E_clISt17integral_constantIbLb0EESX_IbLb1EEEEDaST_SU_EUlST_E_NS1_11comp_targetILNS1_3genE10ELNS1_11target_archE1200ELNS1_3gpuE4ELNS1_3repE0EEENS1_30default_config_static_selectorELNS0_4arch9wavefront6targetE0EEEvT1_.private_seg_size, 0
	.set _ZN7rocprim17ROCPRIM_400000_NS6detail17trampoline_kernelINS0_14default_configENS1_27scan_by_key_config_selectorIxxEEZZNS1_16scan_by_key_implILNS1_25lookback_scan_determinismE0ELb0ES3_N6thrust23THRUST_200600_302600_NS6detail15normal_iteratorINS9_10device_ptrIxEEEESE_SE_xNS9_4plusIxEE19head_flag_predicatexEE10hipError_tPvRmT2_T3_T4_T5_mT6_T7_P12ihipStream_tbENKUlT_T0_E_clISt17integral_constantIbLb0EESX_IbLb1EEEEDaST_SU_EUlST_E_NS1_11comp_targetILNS1_3genE10ELNS1_11target_archE1200ELNS1_3gpuE4ELNS1_3repE0EEENS1_30default_config_static_selectorELNS0_4arch9wavefront6targetE0EEEvT1_.uses_vcc, 0
	.set _ZN7rocprim17ROCPRIM_400000_NS6detail17trampoline_kernelINS0_14default_configENS1_27scan_by_key_config_selectorIxxEEZZNS1_16scan_by_key_implILNS1_25lookback_scan_determinismE0ELb0ES3_N6thrust23THRUST_200600_302600_NS6detail15normal_iteratorINS9_10device_ptrIxEEEESE_SE_xNS9_4plusIxEE19head_flag_predicatexEE10hipError_tPvRmT2_T3_T4_T5_mT6_T7_P12ihipStream_tbENKUlT_T0_E_clISt17integral_constantIbLb0EESX_IbLb1EEEEDaST_SU_EUlST_E_NS1_11comp_targetILNS1_3genE10ELNS1_11target_archE1200ELNS1_3gpuE4ELNS1_3repE0EEENS1_30default_config_static_selectorELNS0_4arch9wavefront6targetE0EEEvT1_.uses_flat_scratch, 0
	.set _ZN7rocprim17ROCPRIM_400000_NS6detail17trampoline_kernelINS0_14default_configENS1_27scan_by_key_config_selectorIxxEEZZNS1_16scan_by_key_implILNS1_25lookback_scan_determinismE0ELb0ES3_N6thrust23THRUST_200600_302600_NS6detail15normal_iteratorINS9_10device_ptrIxEEEESE_SE_xNS9_4plusIxEE19head_flag_predicatexEE10hipError_tPvRmT2_T3_T4_T5_mT6_T7_P12ihipStream_tbENKUlT_T0_E_clISt17integral_constantIbLb0EESX_IbLb1EEEEDaST_SU_EUlST_E_NS1_11comp_targetILNS1_3genE10ELNS1_11target_archE1200ELNS1_3gpuE4ELNS1_3repE0EEENS1_30default_config_static_selectorELNS0_4arch9wavefront6targetE0EEEvT1_.has_dyn_sized_stack, 0
	.set _ZN7rocprim17ROCPRIM_400000_NS6detail17trampoline_kernelINS0_14default_configENS1_27scan_by_key_config_selectorIxxEEZZNS1_16scan_by_key_implILNS1_25lookback_scan_determinismE0ELb0ES3_N6thrust23THRUST_200600_302600_NS6detail15normal_iteratorINS9_10device_ptrIxEEEESE_SE_xNS9_4plusIxEE19head_flag_predicatexEE10hipError_tPvRmT2_T3_T4_T5_mT6_T7_P12ihipStream_tbENKUlT_T0_E_clISt17integral_constantIbLb0EESX_IbLb1EEEEDaST_SU_EUlST_E_NS1_11comp_targetILNS1_3genE10ELNS1_11target_archE1200ELNS1_3gpuE4ELNS1_3repE0EEENS1_30default_config_static_selectorELNS0_4arch9wavefront6targetE0EEEvT1_.has_recursion, 0
	.set _ZN7rocprim17ROCPRIM_400000_NS6detail17trampoline_kernelINS0_14default_configENS1_27scan_by_key_config_selectorIxxEEZZNS1_16scan_by_key_implILNS1_25lookback_scan_determinismE0ELb0ES3_N6thrust23THRUST_200600_302600_NS6detail15normal_iteratorINS9_10device_ptrIxEEEESE_SE_xNS9_4plusIxEE19head_flag_predicatexEE10hipError_tPvRmT2_T3_T4_T5_mT6_T7_P12ihipStream_tbENKUlT_T0_E_clISt17integral_constantIbLb0EESX_IbLb1EEEEDaST_SU_EUlST_E_NS1_11comp_targetILNS1_3genE10ELNS1_11target_archE1200ELNS1_3gpuE4ELNS1_3repE0EEENS1_30default_config_static_selectorELNS0_4arch9wavefront6targetE0EEEvT1_.has_indirect_call, 0
	.section	.AMDGPU.csdata,"",@progbits
; Kernel info:
; codeLenInByte = 0
; TotalNumSgprs: 0
; NumVgprs: 0
; ScratchSize: 0
; MemoryBound: 0
; FloatMode: 240
; IeeeMode: 1
; LDSByteSize: 0 bytes/workgroup (compile time only)
; SGPRBlocks: 0
; VGPRBlocks: 0
; NumSGPRsForWavesPerEU: 1
; NumVGPRsForWavesPerEU: 1
; Occupancy: 16
; WaveLimiterHint : 0
; COMPUTE_PGM_RSRC2:SCRATCH_EN: 0
; COMPUTE_PGM_RSRC2:USER_SGPR: 6
; COMPUTE_PGM_RSRC2:TRAP_HANDLER: 0
; COMPUTE_PGM_RSRC2:TGID_X_EN: 1
; COMPUTE_PGM_RSRC2:TGID_Y_EN: 0
; COMPUTE_PGM_RSRC2:TGID_Z_EN: 0
; COMPUTE_PGM_RSRC2:TIDIG_COMP_CNT: 0
	.section	.text._ZN7rocprim17ROCPRIM_400000_NS6detail17trampoline_kernelINS0_14default_configENS1_27scan_by_key_config_selectorIxxEEZZNS1_16scan_by_key_implILNS1_25lookback_scan_determinismE0ELb0ES3_N6thrust23THRUST_200600_302600_NS6detail15normal_iteratorINS9_10device_ptrIxEEEESE_SE_xNS9_4plusIxEE19head_flag_predicatexEE10hipError_tPvRmT2_T3_T4_T5_mT6_T7_P12ihipStream_tbENKUlT_T0_E_clISt17integral_constantIbLb0EESX_IbLb1EEEEDaST_SU_EUlST_E_NS1_11comp_targetILNS1_3genE9ELNS1_11target_archE1100ELNS1_3gpuE3ELNS1_3repE0EEENS1_30default_config_static_selectorELNS0_4arch9wavefront6targetE0EEEvT1_,"axG",@progbits,_ZN7rocprim17ROCPRIM_400000_NS6detail17trampoline_kernelINS0_14default_configENS1_27scan_by_key_config_selectorIxxEEZZNS1_16scan_by_key_implILNS1_25lookback_scan_determinismE0ELb0ES3_N6thrust23THRUST_200600_302600_NS6detail15normal_iteratorINS9_10device_ptrIxEEEESE_SE_xNS9_4plusIxEE19head_flag_predicatexEE10hipError_tPvRmT2_T3_T4_T5_mT6_T7_P12ihipStream_tbENKUlT_T0_E_clISt17integral_constantIbLb0EESX_IbLb1EEEEDaST_SU_EUlST_E_NS1_11comp_targetILNS1_3genE9ELNS1_11target_archE1100ELNS1_3gpuE3ELNS1_3repE0EEENS1_30default_config_static_selectorELNS0_4arch9wavefront6targetE0EEEvT1_,comdat
	.protected	_ZN7rocprim17ROCPRIM_400000_NS6detail17trampoline_kernelINS0_14default_configENS1_27scan_by_key_config_selectorIxxEEZZNS1_16scan_by_key_implILNS1_25lookback_scan_determinismE0ELb0ES3_N6thrust23THRUST_200600_302600_NS6detail15normal_iteratorINS9_10device_ptrIxEEEESE_SE_xNS9_4plusIxEE19head_flag_predicatexEE10hipError_tPvRmT2_T3_T4_T5_mT6_T7_P12ihipStream_tbENKUlT_T0_E_clISt17integral_constantIbLb0EESX_IbLb1EEEEDaST_SU_EUlST_E_NS1_11comp_targetILNS1_3genE9ELNS1_11target_archE1100ELNS1_3gpuE3ELNS1_3repE0EEENS1_30default_config_static_selectorELNS0_4arch9wavefront6targetE0EEEvT1_ ; -- Begin function _ZN7rocprim17ROCPRIM_400000_NS6detail17trampoline_kernelINS0_14default_configENS1_27scan_by_key_config_selectorIxxEEZZNS1_16scan_by_key_implILNS1_25lookback_scan_determinismE0ELb0ES3_N6thrust23THRUST_200600_302600_NS6detail15normal_iteratorINS9_10device_ptrIxEEEESE_SE_xNS9_4plusIxEE19head_flag_predicatexEE10hipError_tPvRmT2_T3_T4_T5_mT6_T7_P12ihipStream_tbENKUlT_T0_E_clISt17integral_constantIbLb0EESX_IbLb1EEEEDaST_SU_EUlST_E_NS1_11comp_targetILNS1_3genE9ELNS1_11target_archE1100ELNS1_3gpuE3ELNS1_3repE0EEENS1_30default_config_static_selectorELNS0_4arch9wavefront6targetE0EEEvT1_
	.globl	_ZN7rocprim17ROCPRIM_400000_NS6detail17trampoline_kernelINS0_14default_configENS1_27scan_by_key_config_selectorIxxEEZZNS1_16scan_by_key_implILNS1_25lookback_scan_determinismE0ELb0ES3_N6thrust23THRUST_200600_302600_NS6detail15normal_iteratorINS9_10device_ptrIxEEEESE_SE_xNS9_4plusIxEE19head_flag_predicatexEE10hipError_tPvRmT2_T3_T4_T5_mT6_T7_P12ihipStream_tbENKUlT_T0_E_clISt17integral_constantIbLb0EESX_IbLb1EEEEDaST_SU_EUlST_E_NS1_11comp_targetILNS1_3genE9ELNS1_11target_archE1100ELNS1_3gpuE3ELNS1_3repE0EEENS1_30default_config_static_selectorELNS0_4arch9wavefront6targetE0EEEvT1_
	.p2align	8
	.type	_ZN7rocprim17ROCPRIM_400000_NS6detail17trampoline_kernelINS0_14default_configENS1_27scan_by_key_config_selectorIxxEEZZNS1_16scan_by_key_implILNS1_25lookback_scan_determinismE0ELb0ES3_N6thrust23THRUST_200600_302600_NS6detail15normal_iteratorINS9_10device_ptrIxEEEESE_SE_xNS9_4plusIxEE19head_flag_predicatexEE10hipError_tPvRmT2_T3_T4_T5_mT6_T7_P12ihipStream_tbENKUlT_T0_E_clISt17integral_constantIbLb0EESX_IbLb1EEEEDaST_SU_EUlST_E_NS1_11comp_targetILNS1_3genE9ELNS1_11target_archE1100ELNS1_3gpuE3ELNS1_3repE0EEENS1_30default_config_static_selectorELNS0_4arch9wavefront6targetE0EEEvT1_,@function
_ZN7rocprim17ROCPRIM_400000_NS6detail17trampoline_kernelINS0_14default_configENS1_27scan_by_key_config_selectorIxxEEZZNS1_16scan_by_key_implILNS1_25lookback_scan_determinismE0ELb0ES3_N6thrust23THRUST_200600_302600_NS6detail15normal_iteratorINS9_10device_ptrIxEEEESE_SE_xNS9_4plusIxEE19head_flag_predicatexEE10hipError_tPvRmT2_T3_T4_T5_mT6_T7_P12ihipStream_tbENKUlT_T0_E_clISt17integral_constantIbLb0EESX_IbLb1EEEEDaST_SU_EUlST_E_NS1_11comp_targetILNS1_3genE9ELNS1_11target_archE1100ELNS1_3gpuE3ELNS1_3repE0EEENS1_30default_config_static_selectorELNS0_4arch9wavefront6targetE0EEEvT1_: ; @_ZN7rocprim17ROCPRIM_400000_NS6detail17trampoline_kernelINS0_14default_configENS1_27scan_by_key_config_selectorIxxEEZZNS1_16scan_by_key_implILNS1_25lookback_scan_determinismE0ELb0ES3_N6thrust23THRUST_200600_302600_NS6detail15normal_iteratorINS9_10device_ptrIxEEEESE_SE_xNS9_4plusIxEE19head_flag_predicatexEE10hipError_tPvRmT2_T3_T4_T5_mT6_T7_P12ihipStream_tbENKUlT_T0_E_clISt17integral_constantIbLb0EESX_IbLb1EEEEDaST_SU_EUlST_E_NS1_11comp_targetILNS1_3genE9ELNS1_11target_archE1100ELNS1_3gpuE3ELNS1_3repE0EEENS1_30default_config_static_selectorELNS0_4arch9wavefront6targetE0EEEvT1_
; %bb.0:
	.section	.rodata,"a",@progbits
	.p2align	6, 0x0
	.amdhsa_kernel _ZN7rocprim17ROCPRIM_400000_NS6detail17trampoline_kernelINS0_14default_configENS1_27scan_by_key_config_selectorIxxEEZZNS1_16scan_by_key_implILNS1_25lookback_scan_determinismE0ELb0ES3_N6thrust23THRUST_200600_302600_NS6detail15normal_iteratorINS9_10device_ptrIxEEEESE_SE_xNS9_4plusIxEE19head_flag_predicatexEE10hipError_tPvRmT2_T3_T4_T5_mT6_T7_P12ihipStream_tbENKUlT_T0_E_clISt17integral_constantIbLb0EESX_IbLb1EEEEDaST_SU_EUlST_E_NS1_11comp_targetILNS1_3genE9ELNS1_11target_archE1100ELNS1_3gpuE3ELNS1_3repE0EEENS1_30default_config_static_selectorELNS0_4arch9wavefront6targetE0EEEvT1_
		.amdhsa_group_segment_fixed_size 0
		.amdhsa_private_segment_fixed_size 0
		.amdhsa_kernarg_size 136
		.amdhsa_user_sgpr_count 6
		.amdhsa_user_sgpr_private_segment_buffer 1
		.amdhsa_user_sgpr_dispatch_ptr 0
		.amdhsa_user_sgpr_queue_ptr 0
		.amdhsa_user_sgpr_kernarg_segment_ptr 1
		.amdhsa_user_sgpr_dispatch_id 0
		.amdhsa_user_sgpr_flat_scratch_init 0
		.amdhsa_user_sgpr_private_segment_size 0
		.amdhsa_wavefront_size32 1
		.amdhsa_uses_dynamic_stack 0
		.amdhsa_system_sgpr_private_segment_wavefront_offset 0
		.amdhsa_system_sgpr_workgroup_id_x 1
		.amdhsa_system_sgpr_workgroup_id_y 0
		.amdhsa_system_sgpr_workgroup_id_z 0
		.amdhsa_system_sgpr_workgroup_info 0
		.amdhsa_system_vgpr_workitem_id 0
		.amdhsa_next_free_vgpr 1
		.amdhsa_next_free_sgpr 1
		.amdhsa_reserve_vcc 0
		.amdhsa_reserve_flat_scratch 0
		.amdhsa_float_round_mode_32 0
		.amdhsa_float_round_mode_16_64 0
		.amdhsa_float_denorm_mode_32 3
		.amdhsa_float_denorm_mode_16_64 3
		.amdhsa_dx10_clamp 1
		.amdhsa_ieee_mode 1
		.amdhsa_fp16_overflow 0
		.amdhsa_workgroup_processor_mode 1
		.amdhsa_memory_ordered 1
		.amdhsa_forward_progress 1
		.amdhsa_shared_vgpr_count 0
		.amdhsa_exception_fp_ieee_invalid_op 0
		.amdhsa_exception_fp_denorm_src 0
		.amdhsa_exception_fp_ieee_div_zero 0
		.amdhsa_exception_fp_ieee_overflow 0
		.amdhsa_exception_fp_ieee_underflow 0
		.amdhsa_exception_fp_ieee_inexact 0
		.amdhsa_exception_int_div_zero 0
	.end_amdhsa_kernel
	.section	.text._ZN7rocprim17ROCPRIM_400000_NS6detail17trampoline_kernelINS0_14default_configENS1_27scan_by_key_config_selectorIxxEEZZNS1_16scan_by_key_implILNS1_25lookback_scan_determinismE0ELb0ES3_N6thrust23THRUST_200600_302600_NS6detail15normal_iteratorINS9_10device_ptrIxEEEESE_SE_xNS9_4plusIxEE19head_flag_predicatexEE10hipError_tPvRmT2_T3_T4_T5_mT6_T7_P12ihipStream_tbENKUlT_T0_E_clISt17integral_constantIbLb0EESX_IbLb1EEEEDaST_SU_EUlST_E_NS1_11comp_targetILNS1_3genE9ELNS1_11target_archE1100ELNS1_3gpuE3ELNS1_3repE0EEENS1_30default_config_static_selectorELNS0_4arch9wavefront6targetE0EEEvT1_,"axG",@progbits,_ZN7rocprim17ROCPRIM_400000_NS6detail17trampoline_kernelINS0_14default_configENS1_27scan_by_key_config_selectorIxxEEZZNS1_16scan_by_key_implILNS1_25lookback_scan_determinismE0ELb0ES3_N6thrust23THRUST_200600_302600_NS6detail15normal_iteratorINS9_10device_ptrIxEEEESE_SE_xNS9_4plusIxEE19head_flag_predicatexEE10hipError_tPvRmT2_T3_T4_T5_mT6_T7_P12ihipStream_tbENKUlT_T0_E_clISt17integral_constantIbLb0EESX_IbLb1EEEEDaST_SU_EUlST_E_NS1_11comp_targetILNS1_3genE9ELNS1_11target_archE1100ELNS1_3gpuE3ELNS1_3repE0EEENS1_30default_config_static_selectorELNS0_4arch9wavefront6targetE0EEEvT1_,comdat
.Lfunc_end711:
	.size	_ZN7rocprim17ROCPRIM_400000_NS6detail17trampoline_kernelINS0_14default_configENS1_27scan_by_key_config_selectorIxxEEZZNS1_16scan_by_key_implILNS1_25lookback_scan_determinismE0ELb0ES3_N6thrust23THRUST_200600_302600_NS6detail15normal_iteratorINS9_10device_ptrIxEEEESE_SE_xNS9_4plusIxEE19head_flag_predicatexEE10hipError_tPvRmT2_T3_T4_T5_mT6_T7_P12ihipStream_tbENKUlT_T0_E_clISt17integral_constantIbLb0EESX_IbLb1EEEEDaST_SU_EUlST_E_NS1_11comp_targetILNS1_3genE9ELNS1_11target_archE1100ELNS1_3gpuE3ELNS1_3repE0EEENS1_30default_config_static_selectorELNS0_4arch9wavefront6targetE0EEEvT1_, .Lfunc_end711-_ZN7rocprim17ROCPRIM_400000_NS6detail17trampoline_kernelINS0_14default_configENS1_27scan_by_key_config_selectorIxxEEZZNS1_16scan_by_key_implILNS1_25lookback_scan_determinismE0ELb0ES3_N6thrust23THRUST_200600_302600_NS6detail15normal_iteratorINS9_10device_ptrIxEEEESE_SE_xNS9_4plusIxEE19head_flag_predicatexEE10hipError_tPvRmT2_T3_T4_T5_mT6_T7_P12ihipStream_tbENKUlT_T0_E_clISt17integral_constantIbLb0EESX_IbLb1EEEEDaST_SU_EUlST_E_NS1_11comp_targetILNS1_3genE9ELNS1_11target_archE1100ELNS1_3gpuE3ELNS1_3repE0EEENS1_30default_config_static_selectorELNS0_4arch9wavefront6targetE0EEEvT1_
                                        ; -- End function
	.set _ZN7rocprim17ROCPRIM_400000_NS6detail17trampoline_kernelINS0_14default_configENS1_27scan_by_key_config_selectorIxxEEZZNS1_16scan_by_key_implILNS1_25lookback_scan_determinismE0ELb0ES3_N6thrust23THRUST_200600_302600_NS6detail15normal_iteratorINS9_10device_ptrIxEEEESE_SE_xNS9_4plusIxEE19head_flag_predicatexEE10hipError_tPvRmT2_T3_T4_T5_mT6_T7_P12ihipStream_tbENKUlT_T0_E_clISt17integral_constantIbLb0EESX_IbLb1EEEEDaST_SU_EUlST_E_NS1_11comp_targetILNS1_3genE9ELNS1_11target_archE1100ELNS1_3gpuE3ELNS1_3repE0EEENS1_30default_config_static_selectorELNS0_4arch9wavefront6targetE0EEEvT1_.num_vgpr, 0
	.set _ZN7rocprim17ROCPRIM_400000_NS6detail17trampoline_kernelINS0_14default_configENS1_27scan_by_key_config_selectorIxxEEZZNS1_16scan_by_key_implILNS1_25lookback_scan_determinismE0ELb0ES3_N6thrust23THRUST_200600_302600_NS6detail15normal_iteratorINS9_10device_ptrIxEEEESE_SE_xNS9_4plusIxEE19head_flag_predicatexEE10hipError_tPvRmT2_T3_T4_T5_mT6_T7_P12ihipStream_tbENKUlT_T0_E_clISt17integral_constantIbLb0EESX_IbLb1EEEEDaST_SU_EUlST_E_NS1_11comp_targetILNS1_3genE9ELNS1_11target_archE1100ELNS1_3gpuE3ELNS1_3repE0EEENS1_30default_config_static_selectorELNS0_4arch9wavefront6targetE0EEEvT1_.num_agpr, 0
	.set _ZN7rocprim17ROCPRIM_400000_NS6detail17trampoline_kernelINS0_14default_configENS1_27scan_by_key_config_selectorIxxEEZZNS1_16scan_by_key_implILNS1_25lookback_scan_determinismE0ELb0ES3_N6thrust23THRUST_200600_302600_NS6detail15normal_iteratorINS9_10device_ptrIxEEEESE_SE_xNS9_4plusIxEE19head_flag_predicatexEE10hipError_tPvRmT2_T3_T4_T5_mT6_T7_P12ihipStream_tbENKUlT_T0_E_clISt17integral_constantIbLb0EESX_IbLb1EEEEDaST_SU_EUlST_E_NS1_11comp_targetILNS1_3genE9ELNS1_11target_archE1100ELNS1_3gpuE3ELNS1_3repE0EEENS1_30default_config_static_selectorELNS0_4arch9wavefront6targetE0EEEvT1_.numbered_sgpr, 0
	.set _ZN7rocprim17ROCPRIM_400000_NS6detail17trampoline_kernelINS0_14default_configENS1_27scan_by_key_config_selectorIxxEEZZNS1_16scan_by_key_implILNS1_25lookback_scan_determinismE0ELb0ES3_N6thrust23THRUST_200600_302600_NS6detail15normal_iteratorINS9_10device_ptrIxEEEESE_SE_xNS9_4plusIxEE19head_flag_predicatexEE10hipError_tPvRmT2_T3_T4_T5_mT6_T7_P12ihipStream_tbENKUlT_T0_E_clISt17integral_constantIbLb0EESX_IbLb1EEEEDaST_SU_EUlST_E_NS1_11comp_targetILNS1_3genE9ELNS1_11target_archE1100ELNS1_3gpuE3ELNS1_3repE0EEENS1_30default_config_static_selectorELNS0_4arch9wavefront6targetE0EEEvT1_.num_named_barrier, 0
	.set _ZN7rocprim17ROCPRIM_400000_NS6detail17trampoline_kernelINS0_14default_configENS1_27scan_by_key_config_selectorIxxEEZZNS1_16scan_by_key_implILNS1_25lookback_scan_determinismE0ELb0ES3_N6thrust23THRUST_200600_302600_NS6detail15normal_iteratorINS9_10device_ptrIxEEEESE_SE_xNS9_4plusIxEE19head_flag_predicatexEE10hipError_tPvRmT2_T3_T4_T5_mT6_T7_P12ihipStream_tbENKUlT_T0_E_clISt17integral_constantIbLb0EESX_IbLb1EEEEDaST_SU_EUlST_E_NS1_11comp_targetILNS1_3genE9ELNS1_11target_archE1100ELNS1_3gpuE3ELNS1_3repE0EEENS1_30default_config_static_selectorELNS0_4arch9wavefront6targetE0EEEvT1_.private_seg_size, 0
	.set _ZN7rocprim17ROCPRIM_400000_NS6detail17trampoline_kernelINS0_14default_configENS1_27scan_by_key_config_selectorIxxEEZZNS1_16scan_by_key_implILNS1_25lookback_scan_determinismE0ELb0ES3_N6thrust23THRUST_200600_302600_NS6detail15normal_iteratorINS9_10device_ptrIxEEEESE_SE_xNS9_4plusIxEE19head_flag_predicatexEE10hipError_tPvRmT2_T3_T4_T5_mT6_T7_P12ihipStream_tbENKUlT_T0_E_clISt17integral_constantIbLb0EESX_IbLb1EEEEDaST_SU_EUlST_E_NS1_11comp_targetILNS1_3genE9ELNS1_11target_archE1100ELNS1_3gpuE3ELNS1_3repE0EEENS1_30default_config_static_selectorELNS0_4arch9wavefront6targetE0EEEvT1_.uses_vcc, 0
	.set _ZN7rocprim17ROCPRIM_400000_NS6detail17trampoline_kernelINS0_14default_configENS1_27scan_by_key_config_selectorIxxEEZZNS1_16scan_by_key_implILNS1_25lookback_scan_determinismE0ELb0ES3_N6thrust23THRUST_200600_302600_NS6detail15normal_iteratorINS9_10device_ptrIxEEEESE_SE_xNS9_4plusIxEE19head_flag_predicatexEE10hipError_tPvRmT2_T3_T4_T5_mT6_T7_P12ihipStream_tbENKUlT_T0_E_clISt17integral_constantIbLb0EESX_IbLb1EEEEDaST_SU_EUlST_E_NS1_11comp_targetILNS1_3genE9ELNS1_11target_archE1100ELNS1_3gpuE3ELNS1_3repE0EEENS1_30default_config_static_selectorELNS0_4arch9wavefront6targetE0EEEvT1_.uses_flat_scratch, 0
	.set _ZN7rocprim17ROCPRIM_400000_NS6detail17trampoline_kernelINS0_14default_configENS1_27scan_by_key_config_selectorIxxEEZZNS1_16scan_by_key_implILNS1_25lookback_scan_determinismE0ELb0ES3_N6thrust23THRUST_200600_302600_NS6detail15normal_iteratorINS9_10device_ptrIxEEEESE_SE_xNS9_4plusIxEE19head_flag_predicatexEE10hipError_tPvRmT2_T3_T4_T5_mT6_T7_P12ihipStream_tbENKUlT_T0_E_clISt17integral_constantIbLb0EESX_IbLb1EEEEDaST_SU_EUlST_E_NS1_11comp_targetILNS1_3genE9ELNS1_11target_archE1100ELNS1_3gpuE3ELNS1_3repE0EEENS1_30default_config_static_selectorELNS0_4arch9wavefront6targetE0EEEvT1_.has_dyn_sized_stack, 0
	.set _ZN7rocprim17ROCPRIM_400000_NS6detail17trampoline_kernelINS0_14default_configENS1_27scan_by_key_config_selectorIxxEEZZNS1_16scan_by_key_implILNS1_25lookback_scan_determinismE0ELb0ES3_N6thrust23THRUST_200600_302600_NS6detail15normal_iteratorINS9_10device_ptrIxEEEESE_SE_xNS9_4plusIxEE19head_flag_predicatexEE10hipError_tPvRmT2_T3_T4_T5_mT6_T7_P12ihipStream_tbENKUlT_T0_E_clISt17integral_constantIbLb0EESX_IbLb1EEEEDaST_SU_EUlST_E_NS1_11comp_targetILNS1_3genE9ELNS1_11target_archE1100ELNS1_3gpuE3ELNS1_3repE0EEENS1_30default_config_static_selectorELNS0_4arch9wavefront6targetE0EEEvT1_.has_recursion, 0
	.set _ZN7rocprim17ROCPRIM_400000_NS6detail17trampoline_kernelINS0_14default_configENS1_27scan_by_key_config_selectorIxxEEZZNS1_16scan_by_key_implILNS1_25lookback_scan_determinismE0ELb0ES3_N6thrust23THRUST_200600_302600_NS6detail15normal_iteratorINS9_10device_ptrIxEEEESE_SE_xNS9_4plusIxEE19head_flag_predicatexEE10hipError_tPvRmT2_T3_T4_T5_mT6_T7_P12ihipStream_tbENKUlT_T0_E_clISt17integral_constantIbLb0EESX_IbLb1EEEEDaST_SU_EUlST_E_NS1_11comp_targetILNS1_3genE9ELNS1_11target_archE1100ELNS1_3gpuE3ELNS1_3repE0EEENS1_30default_config_static_selectorELNS0_4arch9wavefront6targetE0EEEvT1_.has_indirect_call, 0
	.section	.AMDGPU.csdata,"",@progbits
; Kernel info:
; codeLenInByte = 0
; TotalNumSgprs: 0
; NumVgprs: 0
; ScratchSize: 0
; MemoryBound: 0
; FloatMode: 240
; IeeeMode: 1
; LDSByteSize: 0 bytes/workgroup (compile time only)
; SGPRBlocks: 0
; VGPRBlocks: 0
; NumSGPRsForWavesPerEU: 1
; NumVGPRsForWavesPerEU: 1
; Occupancy: 16
; WaveLimiterHint : 0
; COMPUTE_PGM_RSRC2:SCRATCH_EN: 0
; COMPUTE_PGM_RSRC2:USER_SGPR: 6
; COMPUTE_PGM_RSRC2:TRAP_HANDLER: 0
; COMPUTE_PGM_RSRC2:TGID_X_EN: 1
; COMPUTE_PGM_RSRC2:TGID_Y_EN: 0
; COMPUTE_PGM_RSRC2:TGID_Z_EN: 0
; COMPUTE_PGM_RSRC2:TIDIG_COMP_CNT: 0
	.section	.text._ZN7rocprim17ROCPRIM_400000_NS6detail17trampoline_kernelINS0_14default_configENS1_27scan_by_key_config_selectorIxxEEZZNS1_16scan_by_key_implILNS1_25lookback_scan_determinismE0ELb0ES3_N6thrust23THRUST_200600_302600_NS6detail15normal_iteratorINS9_10device_ptrIxEEEESE_SE_xNS9_4plusIxEE19head_flag_predicatexEE10hipError_tPvRmT2_T3_T4_T5_mT6_T7_P12ihipStream_tbENKUlT_T0_E_clISt17integral_constantIbLb0EESX_IbLb1EEEEDaST_SU_EUlST_E_NS1_11comp_targetILNS1_3genE8ELNS1_11target_archE1030ELNS1_3gpuE2ELNS1_3repE0EEENS1_30default_config_static_selectorELNS0_4arch9wavefront6targetE0EEEvT1_,"axG",@progbits,_ZN7rocprim17ROCPRIM_400000_NS6detail17trampoline_kernelINS0_14default_configENS1_27scan_by_key_config_selectorIxxEEZZNS1_16scan_by_key_implILNS1_25lookback_scan_determinismE0ELb0ES3_N6thrust23THRUST_200600_302600_NS6detail15normal_iteratorINS9_10device_ptrIxEEEESE_SE_xNS9_4plusIxEE19head_flag_predicatexEE10hipError_tPvRmT2_T3_T4_T5_mT6_T7_P12ihipStream_tbENKUlT_T0_E_clISt17integral_constantIbLb0EESX_IbLb1EEEEDaST_SU_EUlST_E_NS1_11comp_targetILNS1_3genE8ELNS1_11target_archE1030ELNS1_3gpuE2ELNS1_3repE0EEENS1_30default_config_static_selectorELNS0_4arch9wavefront6targetE0EEEvT1_,comdat
	.protected	_ZN7rocprim17ROCPRIM_400000_NS6detail17trampoline_kernelINS0_14default_configENS1_27scan_by_key_config_selectorIxxEEZZNS1_16scan_by_key_implILNS1_25lookback_scan_determinismE0ELb0ES3_N6thrust23THRUST_200600_302600_NS6detail15normal_iteratorINS9_10device_ptrIxEEEESE_SE_xNS9_4plusIxEE19head_flag_predicatexEE10hipError_tPvRmT2_T3_T4_T5_mT6_T7_P12ihipStream_tbENKUlT_T0_E_clISt17integral_constantIbLb0EESX_IbLb1EEEEDaST_SU_EUlST_E_NS1_11comp_targetILNS1_3genE8ELNS1_11target_archE1030ELNS1_3gpuE2ELNS1_3repE0EEENS1_30default_config_static_selectorELNS0_4arch9wavefront6targetE0EEEvT1_ ; -- Begin function _ZN7rocprim17ROCPRIM_400000_NS6detail17trampoline_kernelINS0_14default_configENS1_27scan_by_key_config_selectorIxxEEZZNS1_16scan_by_key_implILNS1_25lookback_scan_determinismE0ELb0ES3_N6thrust23THRUST_200600_302600_NS6detail15normal_iteratorINS9_10device_ptrIxEEEESE_SE_xNS9_4plusIxEE19head_flag_predicatexEE10hipError_tPvRmT2_T3_T4_T5_mT6_T7_P12ihipStream_tbENKUlT_T0_E_clISt17integral_constantIbLb0EESX_IbLb1EEEEDaST_SU_EUlST_E_NS1_11comp_targetILNS1_3genE8ELNS1_11target_archE1030ELNS1_3gpuE2ELNS1_3repE0EEENS1_30default_config_static_selectorELNS0_4arch9wavefront6targetE0EEEvT1_
	.globl	_ZN7rocprim17ROCPRIM_400000_NS6detail17trampoline_kernelINS0_14default_configENS1_27scan_by_key_config_selectorIxxEEZZNS1_16scan_by_key_implILNS1_25lookback_scan_determinismE0ELb0ES3_N6thrust23THRUST_200600_302600_NS6detail15normal_iteratorINS9_10device_ptrIxEEEESE_SE_xNS9_4plusIxEE19head_flag_predicatexEE10hipError_tPvRmT2_T3_T4_T5_mT6_T7_P12ihipStream_tbENKUlT_T0_E_clISt17integral_constantIbLb0EESX_IbLb1EEEEDaST_SU_EUlST_E_NS1_11comp_targetILNS1_3genE8ELNS1_11target_archE1030ELNS1_3gpuE2ELNS1_3repE0EEENS1_30default_config_static_selectorELNS0_4arch9wavefront6targetE0EEEvT1_
	.p2align	8
	.type	_ZN7rocprim17ROCPRIM_400000_NS6detail17trampoline_kernelINS0_14default_configENS1_27scan_by_key_config_selectorIxxEEZZNS1_16scan_by_key_implILNS1_25lookback_scan_determinismE0ELb0ES3_N6thrust23THRUST_200600_302600_NS6detail15normal_iteratorINS9_10device_ptrIxEEEESE_SE_xNS9_4plusIxEE19head_flag_predicatexEE10hipError_tPvRmT2_T3_T4_T5_mT6_T7_P12ihipStream_tbENKUlT_T0_E_clISt17integral_constantIbLb0EESX_IbLb1EEEEDaST_SU_EUlST_E_NS1_11comp_targetILNS1_3genE8ELNS1_11target_archE1030ELNS1_3gpuE2ELNS1_3repE0EEENS1_30default_config_static_selectorELNS0_4arch9wavefront6targetE0EEEvT1_,@function
_ZN7rocprim17ROCPRIM_400000_NS6detail17trampoline_kernelINS0_14default_configENS1_27scan_by_key_config_selectorIxxEEZZNS1_16scan_by_key_implILNS1_25lookback_scan_determinismE0ELb0ES3_N6thrust23THRUST_200600_302600_NS6detail15normal_iteratorINS9_10device_ptrIxEEEESE_SE_xNS9_4plusIxEE19head_flag_predicatexEE10hipError_tPvRmT2_T3_T4_T5_mT6_T7_P12ihipStream_tbENKUlT_T0_E_clISt17integral_constantIbLb0EESX_IbLb1EEEEDaST_SU_EUlST_E_NS1_11comp_targetILNS1_3genE8ELNS1_11target_archE1030ELNS1_3gpuE2ELNS1_3repE0EEENS1_30default_config_static_selectorELNS0_4arch9wavefront6targetE0EEEvT1_: ; @_ZN7rocprim17ROCPRIM_400000_NS6detail17trampoline_kernelINS0_14default_configENS1_27scan_by_key_config_selectorIxxEEZZNS1_16scan_by_key_implILNS1_25lookback_scan_determinismE0ELb0ES3_N6thrust23THRUST_200600_302600_NS6detail15normal_iteratorINS9_10device_ptrIxEEEESE_SE_xNS9_4plusIxEE19head_flag_predicatexEE10hipError_tPvRmT2_T3_T4_T5_mT6_T7_P12ihipStream_tbENKUlT_T0_E_clISt17integral_constantIbLb0EESX_IbLb1EEEEDaST_SU_EUlST_E_NS1_11comp_targetILNS1_3genE8ELNS1_11target_archE1030ELNS1_3gpuE2ELNS1_3repE0EEENS1_30default_config_static_selectorELNS0_4arch9wavefront6targetE0EEEvT1_
; %bb.0:
	s_clause 0x1
	s_load_dwordx8 s[20:27], s[4:5], 0x30
	s_load_dwordx2 s[44:45], s[4:5], 0x50
	v_cmp_ne_u32_e64 s2, 0, v0
	v_cmp_eq_u32_e64 s0, 0, v0
	s_and_saveexec_b32 s1, s0
	s_cbranch_execz .LBB712_4
; %bb.1:
	s_mov_b32 s6, exec_lo
	s_mov_b32 s3, exec_lo
	v_mbcnt_lo_u32_b32 v1, s6, 0
                                        ; implicit-def: $vgpr2
	v_cmpx_eq_u32_e32 0, v1
	s_cbranch_execz .LBB712_3
; %bb.2:
	s_load_dwordx2 s[8:9], s[4:5], 0x80
	s_bcnt1_i32_b32 s6, s6
	v_mov_b32_e32 v2, 0
	v_mov_b32_e32 v3, s6
	s_waitcnt lgkmcnt(0)
	global_atomic_add v2, v2, v3, s[8:9] glc
.LBB712_3:
	s_or_b32 exec_lo, exec_lo, s3
	s_waitcnt vmcnt(0)
	v_readfirstlane_b32 s3, v2
	v_mov_b32_e32 v2, 0
	v_add_nc_u32_e32 v1, s3, v1
	ds_write_b32 v2, v1
.LBB712_4:
	s_or_b32 exec_lo, exec_lo, s1
	v_mov_b32_e32 v1, 0
	s_clause 0x2
	s_load_dwordx8 s[36:43], s[4:5], 0x0
	s_load_dword s1, s[4:5], 0x58
	s_load_dwordx4 s[28:31], s[4:5], 0x60
	s_waitcnt lgkmcnt(0)
	s_barrier
	buffer_gl0_inv
	ds_read_b32 v1, v1
	s_mov_b32 s5, 0
	s_waitcnt lgkmcnt(0)
	s_barrier
	buffer_gl0_inv
	s_barrier
	buffer_gl0_inv
	s_lshl_b64 s[34:35], s[38:39], 3
	s_mul_i32 s3, s45, s1
	s_add_u32 s7, s36, s34
	s_addc_u32 s8, s37, s35
	s_mul_hi_u32 s6, s44, s1
	s_add_u32 s9, s40, s34
	v_readfirstlane_b32 s27, v1
	s_mul_i32 s1, s44, s1
	s_addc_u32 s10, s41, s35
	s_add_i32 s6, s6, s3
	v_add_co_u32 v1, s1, s1, v1
	s_mul_i32 s4, s27, 0xd00
	v_add_co_ci_u32_e64 v2, null, s6, 0, s1
	s_lshl_b64 s[36:37], s[4:5], 3
	s_add_u32 s16, s7, s36
	s_addc_u32 s17, s8, s37
	s_add_u32 s15, s9, s36
	s_addc_u32 s18, s10, s37
	s_add_u32 s6, s28, -1
	s_addc_u32 s7, s29, -1
	s_mul_i32 s19, s6, 0xfffff300
	v_cmp_le_u64_e64 s1, s[6:7], v[1:2]
	s_and_b32 vcc_lo, exec_lo, s1
	s_cbranch_vccz .LBB712_43
; %bb.5:
	v_mov_b32_e32 v1, s16
	v_mov_b32_e32 v2, s17
	s_add_i32 s33, s19, s26
	v_cmp_gt_u32_e32 vcc_lo, s33, v0
	flat_load_dwordx2 v[1:2], v[1:2]
	s_waitcnt vmcnt(0) lgkmcnt(0)
	v_mov_b32_e32 v4, v2
	v_mov_b32_e32 v3, v1
	s_and_saveexec_b32 s3, vcc_lo
	s_cbranch_execz .LBB712_7
; %bb.6:
	v_lshlrev_b32_e32 v3, 3, v0
	v_add_co_u32 v3, s4, s16, v3
	v_add_co_ci_u32_e64 v4, null, s17, 0, s4
	flat_load_dwordx2 v[3:4], v[3:4]
.LBB712_7:
	s_or_b32 exec_lo, exec_lo, s3
	v_or_b32_e32 v5, 0x100, v0
	v_cmp_gt_u32_e64 s3, s33, v5
	v_lshlrev_b32_e32 v27, 3, v5
	v_mov_b32_e32 v6, v2
	v_mov_b32_e32 v5, v1
	s_and_saveexec_b32 s4, s3
	s_cbranch_execz .LBB712_9
; %bb.8:
	v_add_co_u32 v5, s5, s16, v27
	v_add_co_ci_u32_e64 v6, null, s17, 0, s5
	flat_load_dwordx2 v[5:6], v[5:6]
.LBB712_9:
	s_or_b32 exec_lo, exec_lo, s4
	v_or_b32_e32 v7, 0x200, v0
	v_cmp_gt_u32_e64 s4, s33, v7
	v_lshlrev_b32_e32 v28, 3, v7
	v_mov_b32_e32 v8, v2
	v_mov_b32_e32 v7, v1
	s_and_saveexec_b32 s5, s4
	s_cbranch_execz .LBB712_11
; %bb.10:
	v_add_co_u32 v7, s6, s16, v28
	v_add_co_ci_u32_e64 v8, null, s17, 0, s6
	flat_load_dwordx2 v[7:8], v[7:8]
.LBB712_11:
	;; [unrolled: 13-line block ×11, first 2 shown]
	s_or_b32 exec_lo, exec_lo, s14
	v_or_b32_e32 v38, 0xc00, v0
	v_cmp_gt_u32_e64 s14, s33, v38
	v_lshlrev_b32_e32 v38, 3, v38
	s_and_saveexec_b32 s28, s14
	s_cbranch_execz .LBB712_31
; %bb.30:
	v_add_co_u32 v1, s29, s16, v38
	v_add_co_ci_u32_e64 v2, null, s17, 0, s29
	flat_load_dwordx2 v[1:2], v[1:2]
.LBB712_31:
	s_or_b32 exec_lo, exec_lo, s28
	v_lshlrev_b32_e32 v39, 3, v0
	s_waitcnt vmcnt(0) lgkmcnt(0)
	ds_write2st64_b64 v39, v[3:4], v[5:6] offset1:4
	ds_write2st64_b64 v39, v[7:8], v[9:10] offset0:8 offset1:12
	ds_write2st64_b64 v39, v[11:12], v[13:14] offset0:16 offset1:20
	;; [unrolled: 1-line block ×5, first 2 shown]
	v_mad_u32_u24 v95, 0x60, v0, v39
	ds_write_b64 v39, v[1:2] offset:24576
	s_waitcnt lgkmcnt(0)
	s_barrier
	buffer_gl0_inv
	ds_read_b64 v[73:74], v95 offset:96
	ds_read2_b64 v[65:68], v95 offset1:1
	ds_read2_b64 v[61:64], v95 offset0:2 offset1:3
	ds_read2_b64 v[57:60], v95 offset0:4 offset1:5
	;; [unrolled: 1-line block ×5, first 2 shown]
	v_mad_i32_i24 v1, 0xffffffa0, v0, v95
	s_waitcnt lgkmcnt(6)
	ds_write_b64 v1, v[73:74] offset:26624
	s_waitcnt lgkmcnt(0)
	s_barrier
	buffer_gl0_inv
	s_barrier
	buffer_gl0_inv
                                        ; implicit-def: $vgpr1_vgpr2
	s_and_saveexec_b32 s28, vcc_lo
	s_cbranch_execz .LBB712_105
; %bb.32:
	v_add_co_u32 v1, s29, s15, v39
	v_add_co_ci_u32_e64 v2, null, s18, 0, s29
	flat_load_dwordx2 v[1:2], v[1:2]
	s_or_b32 exec_lo, exec_lo, s28
                                        ; implicit-def: $vgpr3_vgpr4
	s_and_saveexec_b32 s28, s3
	s_cbranch_execnz .LBB712_106
.LBB712_33:
	s_or_b32 exec_lo, exec_lo, s28
                                        ; implicit-def: $vgpr5_vgpr6
	s_and_saveexec_b32 s3, s4
	s_cbranch_execz .LBB712_107
.LBB712_34:
	v_add_co_u32 v5, s4, s15, v28
	v_add_co_ci_u32_e64 v6, null, s18, 0, s4
	flat_load_dwordx2 v[5:6], v[5:6]
	s_or_b32 exec_lo, exec_lo, s3
                                        ; implicit-def: $vgpr7_vgpr8
	s_and_saveexec_b32 s3, s5
	s_cbranch_execnz .LBB712_108
.LBB712_35:
	s_or_b32 exec_lo, exec_lo, s3
                                        ; implicit-def: $vgpr9_vgpr10
	s_and_saveexec_b32 s3, s6
	s_cbranch_execz .LBB712_109
.LBB712_36:
	v_add_co_u32 v9, s4, s15, v30
	v_add_co_ci_u32_e64 v10, null, s18, 0, s4
	flat_load_dwordx2 v[9:10], v[9:10]
	s_or_b32 exec_lo, exec_lo, s3
                                        ; implicit-def: $vgpr11_vgpr12
	s_and_saveexec_b32 s3, s7
	s_cbranch_execnz .LBB712_110
.LBB712_37:
	s_or_b32 exec_lo, exec_lo, s3
                                        ; implicit-def: $vgpr13_vgpr14
	s_and_saveexec_b32 s3, s8
	s_cbranch_execz .LBB712_111
.LBB712_38:
	v_add_co_u32 v13, s4, s15, v32
	v_add_co_ci_u32_e64 v14, null, s18, 0, s4
	flat_load_dwordx2 v[13:14], v[13:14]
	s_or_b32 exec_lo, exec_lo, s3
                                        ; implicit-def: $vgpr15_vgpr16
	s_and_saveexec_b32 s3, s9
	s_cbranch_execnz .LBB712_112
.LBB712_39:
	s_or_b32 exec_lo, exec_lo, s3
                                        ; implicit-def: $vgpr17_vgpr18
	s_and_saveexec_b32 s3, s10
	s_cbranch_execz .LBB712_113
.LBB712_40:
	v_add_co_u32 v17, s4, s15, v34
	v_add_co_ci_u32_e64 v18, null, s18, 0, s4
	flat_load_dwordx2 v[17:18], v[17:18]
	s_or_b32 exec_lo, exec_lo, s3
                                        ; implicit-def: $vgpr19_vgpr20
	s_and_saveexec_b32 s3, s11
	s_cbranch_execnz .LBB712_114
.LBB712_41:
	s_or_b32 exec_lo, exec_lo, s3
                                        ; implicit-def: $vgpr21_vgpr22
	s_and_saveexec_b32 s3, s12
	s_cbranch_execz .LBB712_115
.LBB712_42:
	v_add_co_u32 v21, s4, s15, v36
	v_add_co_ci_u32_e64 v22, null, s18, 0, s4
	flat_load_dwordx2 v[21:22], v[21:22]
	s_or_b32 exec_lo, exec_lo, s3
                                        ; implicit-def: $vgpr23_vgpr24
	s_and_saveexec_b32 s3, s13
	s_cbranch_execz .LBB712_117
	s_branch .LBB712_116
.LBB712_43:
                                        ; implicit-def: $vgpr73_vgpr74
                                        ; implicit-def: $vgpr47_vgpr48
                                        ; implicit-def: $vgpr87
                                        ; implicit-def: $vgpr5_vgpr6
                                        ; implicit-def: $vgpr88
                                        ; implicit-def: $vgpr37_vgpr38
                                        ; implicit-def: $vgpr89
                                        ; implicit-def: $vgpr9_vgpr10
                                        ; implicit-def: $vgpr90
                                        ; implicit-def: $vgpr41_vgpr42
                                        ; implicit-def: $vgpr91
                                        ; implicit-def: $vgpr13_vgpr14
                                        ; implicit-def: $vgpr92
                                        ; implicit-def: $vgpr33_vgpr34
                                        ; implicit-def: $vgpr93
                                        ; implicit-def: $vgpr17_vgpr18
                                        ; implicit-def: $vgpr94
                                        ; implicit-def: $vgpr29_vgpr30
                                        ; implicit-def: $vgpr96
                                        ; implicit-def: $vgpr21_vgpr22
                                        ; implicit-def: $vgpr97
                                        ; implicit-def: $vgpr25_vgpr26
                                        ; implicit-def: $vgpr99
                                        ; implicit-def: $vgpr1_vgpr2
                                        ; implicit-def: $vgpr75
                                        ; implicit-def: $vgpr77
                                        ; implicit-def: $vgpr69_vgpr70
                                        ; implicit-def: $vgpr76
                                        ; implicit-def: $vgpr78
                                        ; implicit-def: $vgpr39_vgpr40
                                        ; implicit-def: $vgpr79
                                        ; implicit-def: $vgpr80
                                        ; implicit-def: $vgpr71_vgpr72
                                        ; implicit-def: $vgpr82
                                        ; implicit-def: $vgpr83
                                        ; implicit-def: $vgpr35_vgpr36
                                        ; implicit-def: $vgpr84
                                        ; implicit-def: $vgpr85
                                        ; implicit-def: $vgpr31_vgpr32
                                        ; implicit-def: $vgpr86
                                        ; implicit-def: $vgpr81
	v_lshlrev_b32_e32 v59, 3, v0
	s_cbranch_execz .LBB712_45
.LBB712_44:
	s_waitcnt lgkmcnt(0)
	v_add_co_u32 v1, s3, s16, v59
	v_add_co_ci_u32_e64 v2, null, s17, 0, s3
	v_add_co_u32 v29, s3, s15, v59
	v_add_co_u32 v3, vcc_lo, 0x800, v1
	v_add_co_ci_u32_e64 v4, null, 0, v2, vcc_lo
	v_add_co_u32 v5, vcc_lo, 0x1000, v1
	v_add_co_ci_u32_e64 v6, null, 0, v2, vcc_lo
	;; [unrolled: 2-line block ×10, first 2 shown]
	v_add_co_u32 v25, vcc_lo, 0x5800, v1
	s_clause 0x7
	flat_load_dwordx2 v[17:18], v[1:2]
	flat_load_dwordx2 v[3:4], v[3:4]
	;; [unrolled: 1-line block ×8, first 2 shown]
	v_add_co_ci_u32_e64 v26, null, 0, v2, vcc_lo
	v_add_co_u32 v1, vcc_lo, 0x6000, v1
	v_add_co_ci_u32_e64 v2, null, 0, v2, vcc_lo
	s_clause 0x4
	flat_load_dwordx2 v[19:20], v[19:20]
	flat_load_dwordx2 v[21:22], v[21:22]
	;; [unrolled: 1-line block ×5, first 2 shown]
	v_add_co_ci_u32_e64 v30, null, s18, 0, s3
	v_mad_u32_u24 v51, 0x60, v0, v59
	v_add_co_u32 v31, vcc_lo, 0x800, v29
	v_add_co_ci_u32_e64 v32, null, 0, v30, vcc_lo
	v_add_co_u32 v33, vcc_lo, 0x1000, v29
	v_add_co_ci_u32_e64 v34, null, 0, v30, vcc_lo
	;; [unrolled: 2-line block ×8, first 2 shown]
	v_mad_i32_i24 v52, 0xffffffa0, v0, v51
	s_or_b32 s5, s5, exec_lo
	s_waitcnt vmcnt(11) lgkmcnt(11)
	ds_write2st64_b64 v59, v[17:18], v[3:4] offset1:4
	s_waitcnt vmcnt(9) lgkmcnt(10)
	ds_write2st64_b64 v59, v[5:6], v[7:8] offset0:8 offset1:12
	s_waitcnt vmcnt(7) lgkmcnt(9)
	ds_write2st64_b64 v59, v[9:10], v[11:12] offset0:16 offset1:20
	s_waitcnt vmcnt(5) lgkmcnt(8)
	ds_write2st64_b64 v59, v[13:14], v[15:16] offset0:24 offset1:28
	s_waitcnt vmcnt(3) lgkmcnt(7)
	ds_write2st64_b64 v59, v[19:20], v[21:22] offset0:32 offset1:36
	s_waitcnt vmcnt(1) lgkmcnt(6)
	ds_write2st64_b64 v59, v[23:24], v[25:26] offset0:40 offset1:44
	s_waitcnt vmcnt(0) lgkmcnt(6)
	ds_write_b64 v59, v[1:2] offset:24576
	s_waitcnt lgkmcnt(0)
	s_barrier
	buffer_gl0_inv
	ds_read_b64 v[73:74], v51 offset:96
	v_add_co_u32 v21, vcc_lo, 0x4800, v29
	v_add_co_ci_u32_e64 v22, null, 0, v30, vcc_lo
	v_add_co_u32 v23, vcc_lo, 0x5000, v29
	v_add_co_ci_u32_e64 v24, null, 0, v30, vcc_lo
	;; [unrolled: 2-line block ×4, first 2 shown]
	ds_read2_b64 v[25:28], v51 offset1:1
	ds_read2_b64 v[1:4], v51 offset0:2 offset1:3
	ds_read2_b64 v[5:8], v51 offset0:4 offset1:5
	;; [unrolled: 1-line block ×5, first 2 shown]
	s_waitcnt lgkmcnt(6)
	ds_write_b64 v52, v[73:74] offset:26624
	s_waitcnt lgkmcnt(0)
	s_barrier
	buffer_gl0_inv
	s_barrier
	buffer_gl0_inv
	s_clause 0xc
	flat_load_dwordx2 v[29:30], v[29:30]
	flat_load_dwordx2 v[31:32], v[31:32]
	;; [unrolled: 1-line block ×13, first 2 shown]
	s_waitcnt vmcnt(11) lgkmcnt(11)
	ds_write2st64_b64 v59, v[29:30], v[31:32] offset1:4
	s_waitcnt vmcnt(9) lgkmcnt(10)
	ds_write2st64_b64 v59, v[33:34], v[35:36] offset0:8 offset1:12
	s_waitcnt vmcnt(7) lgkmcnt(9)
	ds_write2st64_b64 v59, v[37:38], v[39:40] offset0:16 offset1:20
	;; [unrolled: 2-line block ×5, first 2 shown]
	s_waitcnt vmcnt(0) lgkmcnt(6)
	ds_write_b64 v59, v[49:50] offset:24576
	v_cmp_ne_u64_e32 vcc_lo, 0, v[19:20]
	s_waitcnt lgkmcnt(0)
	s_barrier
	buffer_gl0_inv
	v_cndmask_b32_e64 v75, 0, 1, vcc_lo
	v_cmp_ne_u64_e32 vcc_lo, 0, v[17:18]
	v_cndmask_b32_e64 v87, 0, 1, vcc_lo
	v_cmp_ne_u64_e32 vcc_lo, 0, v[15:16]
	v_mov_b32_e32 v77, v87
	v_cndmask_b32_e64 v88, 0, 1, vcc_lo
	v_cmp_ne_u64_e32 vcc_lo, 0, v[13:14]
	v_mov_b32_e32 v76, v88
	;; [unrolled: 3-line block ×7, first 2 shown]
	v_cndmask_b32_e64 v94, 0, 1, vcc_lo
	v_cmp_ne_u64_e32 vcc_lo, 0, v[1:2]
	ds_read2_b64 v[9:12], v51 offset0:8 offset1:9
	ds_read2_b64 v[17:20], v51 offset0:4 offset1:5
	;; [unrolled: 1-line block ×3, first 2 shown]
	ds_read2_b64 v[1:4], v51 offset1:1
	ds_read2_b64 v[21:24], v51 offset0:2 offset1:3
	ds_read2_b64 v[5:8], v51 offset0:10 offset1:11
	ds_read_b64 v[47:48], v51 offset:96
	v_mov_b32_e32 v84, v94
	v_cndmask_b32_e64 v96, 0, 1, vcc_lo
	v_cmp_ne_u64_e32 vcc_lo, 0, v[27:28]
	v_mov_b32_e32 v85, v96
	v_cndmask_b32_e64 v97, 0, 1, vcc_lo
	v_cmp_ne_u64_e32 vcc_lo, 0, v[25:26]
	s_waitcnt lgkmcnt(6)
	v_mov_b32_e32 v38, v12
	s_waitcnt lgkmcnt(5)
	v_mov_b32_e32 v34, v20
	s_waitcnt lgkmcnt(4)
	v_mov_b32_e32 v42, v16
	s_waitcnt lgkmcnt(3)
	v_mov_b32_e32 v26, v4
	v_cndmask_b32_e64 v99, 0, 1, vcc_lo
	s_waitcnt lgkmcnt(2)
	v_mov_b32_e32 v30, v24
	s_waitcnt lgkmcnt(1)
	v_mov_b32_e32 v70, v6
	v_mov_b32_e32 v40, v10
	;; [unrolled: 1-line block ×17, first 2 shown]
.LBB712_45:
	v_mov_b32_e32 v27, 0
	v_mov_b32_e32 v28, 0
	v_mov_b32_e32 v61, 0
	s_and_saveexec_b32 s3, s5
	s_cbranch_execz .LBB712_47
; %bb.46:
	v_cmp_ne_u64_e32 vcc_lo, 0, v[73:74]
	v_mov_b32_e32 v3, v25
	v_mov_b32_e32 v32, v22
	;; [unrolled: 1-line block ×10, first 2 shown]
	s_waitcnt lgkmcnt(0)
	v_mov_b32_e32 v27, v47
	v_cndmask_b32_e64 v61, 0, 1, vcc_lo
	v_mov_b32_e32 v81, v99
	v_mov_b32_e32 v4, v26
	;; [unrolled: 1-line block ×22, first 2 shown]
.LBB712_47:
	s_or_b32 exec_lo, exec_lo, s3
	v_and_b32_e32 v67, 1, v82
	v_and_b32_e32 v68, 1, v78
	;; [unrolled: 1-line block ×5, first 2 shown]
	v_or_b32_e32 v63, v83, v84
	v_or_b32_e32 v62, v79, v80
	;; [unrolled: 1-line block ×3, first 2 shown]
	v_cmp_eq_u32_e64 s18, 1, v67
	v_cmp_eq_u32_e64 s16, 1, v68
	;; [unrolled: 1-line block ×3, first 2 shown]
	v_cmp_eq_u16_e64 s3, 0, v61
	v_cmp_eq_u32_e64 s15, 1, v65
	v_mbcnt_lo_u32_b32 v60, -1, 0
	s_cmp_lg_u32 s27, 0
	v_cmp_eq_u32_e32 vcc_lo, 1, v73
	s_waitcnt lgkmcnt(0)
	s_barrier
	buffer_gl0_inv
	s_cbranch_scc0 .LBB712_144
; %bb.48:
	v_mov_b32_e32 v5, 0
	v_or_b32_e32 v10, v86, v81
	v_cmp_eq_u16_sdwa s13, v86, v5 src0_sel:BYTE_0 src1_sel:DWORD
	v_cmp_eq_u16_sdwa s14, v85, v5 src0_sel:BYTE_0 src1_sel:DWORD
	;; [unrolled: 1-line block ×5, first 2 shown]
	v_cndmask_b32_e64 v9, 0, v1, s13
	v_cndmask_b32_e64 v6, 0, v2, s13
	v_cmp_eq_u16_sdwa s9, v80, v5 src0_sel:BYTE_0 src1_sel:DWORD
	v_cmp_eq_u16_sdwa s8, v79, v5 src0_sel:BYTE_0 src1_sel:DWORD
	;; [unrolled: 1-line block ×3, first 2 shown]
	v_add_co_u32 v9, s4, v9, v3
	v_add_co_ci_u32_e64 v6, null, v6, v4, s4
	v_cmp_eq_u16_sdwa s5, v76, v5 src0_sel:BYTE_0 src1_sel:DWORD
	v_cndmask_b32_e64 v9, 0, v9, s14
	v_cmp_ne_u16_sdwa s33, v64, v5 src0_sel:BYTE_0 src1_sel:DWORD
	v_cndmask_b32_e64 v6, 0, v6, s14
	v_cmp_ne_u16_sdwa s28, v10, v5 src0_sel:BYTE_0 src1_sel:DWORD
	v_cmp_ne_u16_sdwa s29, v63, v5 src0_sel:BYTE_0 src1_sel:DWORD
	v_add_co_u32 v9, s4, v9, v31
	v_add_co_ci_u32_e64 v6, null, v6, v32, s4
	v_cmp_ne_u16_sdwa s38, v62, v5 src0_sel:BYTE_0 src1_sel:DWORD
	v_cndmask_b32_e64 v9, 0, v9, s12
	s_or_b32 s17, s33, s17
	v_cndmask_b32_e64 v6, 0, v6, s12
	s_or_b32 s17, s15, s17
	s_or_b32 s16, s38, s16
	v_add_co_u32 v9, s4, v9, v23
	v_add_co_ci_u32_e64 v6, null, v6, v24, s4
	s_or_b32 s18, s29, s18
	v_cndmask_b32_e64 v9, 0, v9, s11
	v_cndmask_b32_e64 v6, 0, v6, s11
	v_add_co_u32 v9, s4, v9, v35
	v_add_co_ci_u32_e64 v6, null, v6, v36, s4
	v_cndmask_b32_e64 v9, 0, v9, s10
	v_cndmask_b32_e64 v6, 0, v6, s10
	v_add_co_u32 v9, s4, v9, v19
	v_add_co_ci_u32_e64 v6, null, v6, v20, s4
	;; [unrolled: 4-line block ×6, first 2 shown]
	v_cmp_eq_u16_sdwa s4, v77, v5 src0_sel:BYTE_0 src1_sel:DWORD
	v_cndmask_b32_e64 v9, 0, v9, s4
	v_cndmask_b32_e64 v6, 0, v6, s4
	v_add_co_u32 v9, s6, v9, v69
	v_add_co_ci_u32_e64 v6, null, v6, v70, s6
	v_cmp_eq_u16_sdwa s6, v75, v5 src0_sel:BYTE_0 src1_sel:DWORD
	v_cndmask_b32_e64 v5, 0, v6, s6
	v_cndmask_b32_e64 v6, 0, v9, s6
	v_add_co_u32 v6, s15, v6, v7
	v_add_co_ci_u32_e64 v5, null, v5, v8, s15
	s_or_b32 s15, s17, s16
	v_cndmask_b32_e64 v6, 0, v6, s3
	s_or_b32 s16, s28, vcc_lo
	v_cndmask_b32_e64 v10, 0, v5, s3
	s_or_b32 s15, s15, s18
	s_or_b32 s15, s15, s16
	v_add_co_u32 v9, vcc_lo, v6, v27
	v_cndmask_b32_e64 v5, 0, 1, s15
	v_add_co_ci_u32_e64 v10, null, v10, v28, vcc_lo
	v_and_b32_e32 v6, 15, v60
	v_mov_b32_dpp v14, v9 row_shr:1 row_mask:0xf bank_mask:0xf
	v_mov_b32_dpp v13, v5 row_shr:1 row_mask:0xf bank_mask:0xf
	;; [unrolled: 1-line block ×3, first 2 shown]
	s_mov_b32 s16, exec_lo
	v_cmpx_ne_u32_e32 0, v6
; %bb.49:
	v_cndmask_b32_e64 v14, v14, 0, s15
	v_cndmask_b32_e64 v17, v17, 0, s15
	v_and_or_b32 v5, v13, 1, v5
	v_add_co_u32 v9, vcc_lo, v14, v9
	v_add_co_ci_u32_e64 v10, null, v17, v10, vcc_lo
; %bb.50:
	s_or_b32 exec_lo, exec_lo, s16
	v_mov_b32_dpp v14, v9 row_shr:2 row_mask:0xf bank_mask:0xf
	v_mov_b32_dpp v17, v10 row_shr:2 row_mask:0xf bank_mask:0xf
	v_mov_b32_dpp v13, v5 row_shr:2 row_mask:0xf bank_mask:0xf
	s_mov_b32 s15, exec_lo
	v_cmpx_lt_u32_e32 1, v6
	s_cbranch_execz .LBB712_52
; %bb.51:
	v_cmp_eq_u16_e32 vcc_lo, 0, v5
	v_or_b32_e32 v5, v13, v5
	v_cndmask_b32_e32 v14, 0, v14, vcc_lo
	v_cndmask_b32_e32 v17, 0, v17, vcc_lo
	v_and_b32_e32 v5, 1, v5
	v_add_co_u32 v9, vcc_lo, v14, v9
	v_add_co_ci_u32_e64 v10, null, v17, v10, vcc_lo
.LBB712_52:
	s_or_b32 exec_lo, exec_lo, s15
	v_mov_b32_dpp v14, v9 row_shr:4 row_mask:0xf bank_mask:0xf
	v_mov_b32_dpp v17, v10 row_shr:4 row_mask:0xf bank_mask:0xf
	v_mov_b32_dpp v13, v5 row_shr:4 row_mask:0xf bank_mask:0xf
	s_mov_b32 s15, exec_lo
	v_cmpx_lt_u32_e32 3, v6
	s_cbranch_execz .LBB712_54
; %bb.53:
	v_cmp_eq_u16_e32 vcc_lo, 0, v5
	v_or_b32_e32 v5, v13, v5
	v_cndmask_b32_e32 v14, 0, v14, vcc_lo
	v_cndmask_b32_e32 v17, 0, v17, vcc_lo
	v_and_b32_e32 v5, 1, v5
	v_add_co_u32 v9, vcc_lo, v14, v9
	v_add_co_ci_u32_e64 v10, null, v17, v10, vcc_lo
.LBB712_54:
	;; [unrolled: 16-line block ×3, first 2 shown]
	s_or_b32 exec_lo, exec_lo, s15
	ds_swizzle_b32 v6, v9 offset:swizzle(BROADCAST,32,15)
	ds_swizzle_b32 v14, v10 offset:swizzle(BROADCAST,32,15)
	;; [unrolled: 1-line block ×3, first 2 shown]
	v_and_b32_e32 v13, 16, v60
	v_cmp_ne_u32_e32 vcc_lo, 0, v13
	v_mov_b32_e32 v13, v5
	s_and_saveexec_b32 s17, vcc_lo
	s_cbranch_execz .LBB712_58
; %bb.57:
	v_cmp_eq_u16_e32 vcc_lo, 0, v5
	v_and_b32_e32 v5, 1, v5
	s_waitcnt lgkmcnt(0)
	v_and_b32_e32 v13, 1, v17
	v_cndmask_b32_e32 v14, 0, v14, vcc_lo
	v_cndmask_b32_e32 v6, 0, v6, vcc_lo
	v_cmp_eq_u32_e32 vcc_lo, 1, v5
	v_cmp_eq_u32_e64 s15, 1, v13
	v_add_co_u32 v9, s16, v6, v9
	s_or_b32 s15, vcc_lo, s15
	v_add_co_ci_u32_e64 v10, null, v14, v10, s16
	v_cndmask_b32_e64 v5, 0, 1, s15
	v_cndmask_b32_e64 v13, 0, 1, s15
.LBB712_58:
	s_or_b32 exec_lo, exec_lo, s17
	s_waitcnt lgkmcnt(1)
	v_lshrrev_b32_e32 v14, 5, v0
	v_or_b32_e32 v6, 31, v0
	s_mov_b32 s15, exec_lo
	v_lshlrev_b32_e32 v14, 4, v14
	v_cmpx_eq_u32_e64 v0, v6
	s_cbranch_execz .LBB712_60
; %bb.59:
	ds_write_b64 v14, v[9:10]
	ds_write_b8 v14, v5 offset:8
.LBB712_60:
	s_or_b32 exec_lo, exec_lo, s15
	s_mov_b32 s17, exec_lo
	s_waitcnt lgkmcnt(0)
	s_barrier
	buffer_gl0_inv
	v_cmpx_gt_u32_e32 8, v0
	s_cbranch_execz .LBB712_68
; %bb.61:
	v_lshlrev_b32_e32 v17, 4, v0
	v_and_b32_e32 v18, 7, v60
	s_mov_b32 s15, exec_lo
	ds_read_b64 v[5:6], v17
	ds_read_b32 v26, v17 offset:8
	s_waitcnt lgkmcnt(1)
	v_mov_b32_dpp v29, v5 row_shr:1 row_mask:0xf bank_mask:0xf
	v_mov_b32_dpp v30, v6 row_shr:1 row_mask:0xf bank_mask:0xf
	s_waitcnt lgkmcnt(0)
	v_and_b32_e32 v22, 0xffffff00, v26
	v_mov_b32_dpp v33, v26 row_shr:1 row_mask:0xf bank_mask:0xf
	v_mov_b32_e32 v25, v26
	v_mov_b32_e32 v21, v26
	v_cmpx_ne_u32_e32 0, v18
	s_cbranch_execz .LBB712_63
; %bb.62:
	v_mov_b32_e32 v21, 0
	v_cmp_eq_u16_sdwa vcc_lo, v26, v21 src0_sel:BYTE_0 src1_sel:DWORD
	v_or_b32_e32 v21, v33, v26
	v_cndmask_b32_e32 v29, 0, v29, vcc_lo
	v_cndmask_b32_e32 v26, 0, v30, vcc_lo
	v_and_b32_e32 v25, 1, v21
	v_and_b32_e32 v21, 1, v21
	v_add_co_u32 v5, vcc_lo, v29, v5
	v_add_co_ci_u32_e64 v6, null, v26, v6, vcc_lo
	v_or_b32_e32 v26, v21, v22
.LBB712_63:
	s_or_b32 exec_lo, exec_lo, s15
	v_mov_b32_dpp v29, v5 row_shr:2 row_mask:0xf bank_mask:0xf
	v_mov_b32_dpp v30, v6 row_shr:2 row_mask:0xf bank_mask:0xf
	;; [unrolled: 1-line block ×3, first 2 shown]
	s_mov_b32 s18, exec_lo
	v_cmpx_lt_u32_e32 1, v18
	s_cbranch_execz .LBB712_65
; %bb.64:
	v_mov_b32_e32 v25, 0
	v_and_b32_e32 v26, 1, v21
	v_and_b32_e32 v33, 1, v33
	v_cmp_eq_u16_sdwa vcc_lo, v21, v25 src0_sel:BYTE_0 src1_sel:DWORD
	v_cmp_eq_u32_e64 s15, 1, v26
	v_cmp_eq_u32_e64 s16, 1, v33
	v_cndmask_b32_e32 v26, 0, v29, vcc_lo
	v_cndmask_b32_e32 v21, 0, v30, vcc_lo
	s_or_b32 s15, s15, s16
	v_cndmask_b32_e64 v25, 0, 1, s15
	v_cndmask_b32_e64 v29, 0, 1, s15
	v_add_co_u32 v5, vcc_lo, v26, v5
	v_add_co_ci_u32_e64 v6, null, v21, v6, vcc_lo
	v_or_b32_e32 v26, v22, v29
	v_mov_b32_e32 v21, v25
.LBB712_65:
	s_or_b32 exec_lo, exec_lo, s18
	v_mov_b32_dpp v22, v5 row_shr:4 row_mask:0xf bank_mask:0xf
	v_mov_b32_dpp v29, v6 row_shr:4 row_mask:0xf bank_mask:0xf
	;; [unrolled: 1-line block ×3, first 2 shown]
	s_mov_b32 s18, exec_lo
	v_cmpx_lt_u32_e32 3, v18
	s_cbranch_execz .LBB712_67
; %bb.66:
	v_mov_b32_e32 v18, 0
	v_cmp_eq_u16_sdwa vcc_lo, v21, v18 src0_sel:BYTE_0 src1_sel:DWORD
	v_and_b32_e32 v18, 1, v21
	v_and_b32_e32 v21, 1, v26
	v_cndmask_b32_e32 v25, 0, v29, vcc_lo
	v_cndmask_b32_e32 v22, 0, v22, vcc_lo
	v_cmp_eq_u32_e32 vcc_lo, 1, v18
	v_cmp_eq_u32_e64 s15, 1, v21
	v_add_co_u32 v5, s16, v22, v5
	s_or_b32 s15, vcc_lo, s15
	v_add_co_ci_u32_e64 v6, null, v25, v6, s16
	v_cndmask_b32_e64 v25, 0, 1, s15
.LBB712_67:
	s_or_b32 exec_lo, exec_lo, s18
	ds_write_b64 v17, v[5:6]
	ds_write_b8 v17, v25 offset:8
.LBB712_68:
	s_or_b32 exec_lo, exec_lo, s17
	v_mov_b32_e32 v5, 0
	v_mov_b32_e32 v6, 0
	;; [unrolled: 1-line block ×3, first 2 shown]
	s_mov_b32 s16, exec_lo
	v_cmp_gt_u32_e32 vcc_lo, 32, v0
	s_waitcnt lgkmcnt(0)
	s_barrier
	buffer_gl0_inv
	v_cmpx_lt_u32_e32 31, v0
	s_cbranch_execz .LBB712_70
; %bb.69:
	v_add_nc_u32_e32 v5, -16, v14
	v_add_nc_u32_e32 v14, -8, v14
	v_cmp_eq_u32_e64 s15, 0, v13
	ds_read_b64 v[5:6], v5
	ds_read_u8 v14, v14
	s_waitcnt lgkmcnt(1)
	v_cndmask_b32_e64 v18, 0, v5, s15
	v_cndmask_b32_e64 v17, 0, v6, s15
	s_waitcnt lgkmcnt(0)
	v_or_b32_e32 v13, v14, v13
	v_and_b32_e32 v25, 1, v14
	v_add_co_u32 v9, s15, v18, v9
	v_add_co_ci_u32_e64 v10, null, v17, v10, s15
	v_and_b32_e32 v13, 1, v13
.LBB712_70:
	s_or_b32 exec_lo, exec_lo, s16
	v_sub_co_u32 v14, s15, v60, 1
	v_cmp_gt_i32_e64 s16, 0, v14
	v_cndmask_b32_e64 v14, v14, v60, s16
	v_lshlrev_b32_e32 v14, 2, v14
	ds_bpermute_b32 v26, v14, v9
	ds_bpermute_b32 v29, v14, v10
	;; [unrolled: 1-line block ×3, first 2 shown]
	s_and_saveexec_b32 s18, vcc_lo
	s_cbranch_execz .LBB712_149
; %bb.71:
	v_mov_b32_e32 v18, 0
	ds_read_b64 v[9:10], v18 offset:112
	ds_read_u8 v33, v18 offset:120
	s_and_saveexec_b32 s16, s15
	s_cbranch_execz .LBB712_73
; %bb.72:
	s_add_i32 s28, s27, 32
	s_mov_b32 s29, 0
	v_mov_b32_e32 v13, 1
	s_lshl_b64 s[38:39], s[28:29], 4
	v_mov_b32_e32 v14, s28
	s_add_u32 s38, s20, s38
	s_addc_u32 s39, s21, s39
	s_waitcnt lgkmcnt(1)
	global_store_dwordx2 v18, v[9:10], s[38:39]
	s_waitcnt lgkmcnt(0)
	global_store_byte v18, v33, s[38:39] offset:8
	s_waitcnt_vscnt null, 0x0
	buffer_gl1_inv
	buffer_gl0_inv
	global_store_byte v14, v13, s[24:25]
.LBB712_73:
	s_or_b32 exec_lo, exec_lo, s16
	v_xad_u32 v13, v60, -1, s27
	s_mov_b32 s17, 0
	s_mov_b32 s16, exec_lo
	v_add_nc_u32_e32 v17, 32, v13
	global_load_ubyte v34, v17, s[24:25] glc dlc
	s_waitcnt vmcnt(0)
	v_cmpx_eq_u16_e32 0, v34
	s_cbranch_execz .LBB712_77
; %bb.74:
	v_add_co_u32 v21, s28, s24, v17
	v_add_co_ci_u32_e64 v22, null, s25, 0, s28
.LBB712_75:                             ; =>This Inner Loop Header: Depth=1
	global_load_ubyte v34, v[21:22], off glc dlc
	s_waitcnt vmcnt(0)
	v_cmp_ne_u16_e32 vcc_lo, 0, v34
	s_or_b32 s17, vcc_lo, s17
	s_andn2_b32 exec_lo, exec_lo, s17
	s_cbranch_execnz .LBB712_75
; %bb.76:
	s_or_b32 exec_lo, exec_lo, s17
.LBB712_77:
	s_or_b32 exec_lo, exec_lo, s16
	v_cmp_eq_u16_e32 vcc_lo, 1, v34
	v_mov_b32_e32 v21, s20
	v_mov_b32_e32 v14, s21
	v_lshlrev_b64 v[17:18], 4, v[17:18]
	s_waitcnt lgkmcnt(0)
	s_waitcnt_vscnt null, 0x0
	buffer_gl1_inv
	buffer_gl0_inv
	v_lshlrev_b32_e64 v38, v60, -1
	v_cndmask_b32_e32 v21, s22, v21, vcc_lo
	v_cndmask_b32_e32 v14, s23, v14, vcc_lo
	s_mov_b32 s16, exec_lo
	v_add_co_u32 v17, vcc_lo, v21, v17
	v_add_co_ci_u32_e64 v18, null, v14, v18, vcc_lo
	v_cmp_ne_u32_e32 vcc_lo, 31, v60
	s_clause 0x1
	global_load_ubyte v51, v[17:18], off offset:8
	global_load_dwordx2 v[21:22], v[17:18], off
	v_add_co_ci_u32_e64 v14, null, 0, v60, vcc_lo
	v_cmp_eq_u16_e32 vcc_lo, 2, v34
	v_lshlrev_b32_e32 v37, 2, v14
	v_and_or_b32 v14, vcc_lo, v38, 0x80000000
	v_ffbl_b32_e32 v14, v14
	s_waitcnt vmcnt(1)
	v_and_b32_e32 v17, 1, v51
	s_waitcnt vmcnt(0)
	ds_bpermute_b32 v18, v37, v21
	ds_bpermute_b32 v41, v37, v22
	;; [unrolled: 1-line block ×3, first 2 shown]
	v_cmpx_lt_u32_e64 v60, v14
	s_cbranch_execz .LBB712_79
; %bb.78:
	v_mov_b32_e32 v17, 0
	v_cmp_eq_u16_sdwa vcc_lo, v51, v17 src0_sel:BYTE_0 src1_sel:DWORD
	s_waitcnt lgkmcnt(0)
	v_and_b32_e32 v17, 1, v42
	v_cndmask_b32_e32 v18, 0, v18, vcc_lo
	v_cndmask_b32_e32 v41, 0, v41, vcc_lo
	v_or_b32_e32 v51, v17, v51
	v_add_co_u32 v21, vcc_lo, v18, v21
	v_add_co_ci_u32_e64 v22, null, v41, v22, vcc_lo
	v_and_b32_e32 v17, 0xff, v51
.LBB712_79:
	s_or_b32 exec_lo, exec_lo, s16
	v_cmp_gt_u32_e32 vcc_lo, 30, v60
	s_waitcnt lgkmcnt(0)
	v_add_nc_u32_e32 v42, 2, v60
	s_mov_b32 s28, exec_lo
	v_cndmask_b32_e64 v18, 0, 2, vcc_lo
	v_add_lshl_u32 v41, v18, v60, 2
	ds_bpermute_b32 v18, v41, v21
	ds_bpermute_b32 v43, v41, v22
	ds_bpermute_b32 v44, v41, v17
	v_cmpx_le_u32_e64 v42, v14
	s_cbranch_execz .LBB712_81
; %bb.80:
	v_mov_b32_e32 v17, 0
	v_and_b32_e32 v45, 1, v51
	s_waitcnt lgkmcnt(0)
	v_and_b32_e32 v44, 1, v44
	v_cmp_eq_u16_sdwa vcc_lo, v51, v17 src0_sel:BYTE_0 src1_sel:DWORD
	v_cmp_eq_u32_e64 s16, 1, v45
	v_cmp_eq_u32_e64 s17, 1, v44
	v_cndmask_b32_e32 v18, 0, v18, vcc_lo
	v_cndmask_b32_e32 v17, 0, v43, vcc_lo
	s_or_b32 s16, s16, s17
	v_cndmask_b32_e64 v51, 0, 1, s16
	v_add_co_u32 v21, vcc_lo, v18, v21
	v_add_co_ci_u32_e64 v22, null, v17, v22, vcc_lo
	v_cndmask_b32_e64 v17, 0, 1, s16
.LBB712_81:
	s_or_b32 exec_lo, exec_lo, s28
	v_cmp_gt_u32_e32 vcc_lo, 28, v60
	s_waitcnt lgkmcnt(0)
	v_add_nc_u32_e32 v44, 4, v60
	s_mov_b32 s28, exec_lo
	v_cndmask_b32_e64 v18, 0, 4, vcc_lo
	v_add_lshl_u32 v43, v18, v60, 2
	ds_bpermute_b32 v18, v43, v21
	ds_bpermute_b32 v45, v43, v22
	ds_bpermute_b32 v46, v43, v17
	v_cmpx_le_u32_e64 v44, v14
	s_cbranch_execz .LBB712_83
; %bb.82:
	v_mov_b32_e32 v17, 0
	v_and_b32_e32 v47, 1, v51
	s_waitcnt lgkmcnt(0)
	v_and_b32_e32 v46, 1, v46
	v_cmp_eq_u16_sdwa vcc_lo, v51, v17 src0_sel:BYTE_0 src1_sel:DWORD
	v_cmp_eq_u32_e64 s16, 1, v47
	v_cmp_eq_u32_e64 s17, 1, v46
	v_cndmask_b32_e32 v18, 0, v18, vcc_lo
	v_cndmask_b32_e32 v17, 0, v45, vcc_lo
	s_or_b32 s16, s16, s17
	v_cndmask_b32_e64 v51, 0, 1, s16
	v_add_co_u32 v21, vcc_lo, v18, v21
	v_add_co_ci_u32_e64 v22, null, v17, v22, vcc_lo
	v_cndmask_b32_e64 v17, 0, 1, s16
.LBB712_83:
	s_or_b32 exec_lo, exec_lo, s28
	v_cmp_gt_u32_e32 vcc_lo, 24, v60
	s_waitcnt lgkmcnt(0)
	v_add_nc_u32_e32 v46, 8, v60
	s_mov_b32 s28, exec_lo
	v_cndmask_b32_e64 v18, 0, 8, vcc_lo
	v_add_lshl_u32 v45, v18, v60, 2
	ds_bpermute_b32 v18, v45, v21
	ds_bpermute_b32 v47, v45, v22
	ds_bpermute_b32 v48, v45, v17
	v_cmpx_le_u32_e64 v46, v14
	s_cbranch_execz .LBB712_85
; %bb.84:
	v_mov_b32_e32 v17, 0
	v_and_b32_e32 v49, 1, v51
	s_waitcnt lgkmcnt(0)
	v_and_b32_e32 v48, 1, v48
	v_cmp_eq_u16_sdwa vcc_lo, v51, v17 src0_sel:BYTE_0 src1_sel:DWORD
	v_cmp_eq_u32_e64 s16, 1, v49
	v_cmp_eq_u32_e64 s17, 1, v48
	v_cndmask_b32_e32 v18, 0, v18, vcc_lo
	v_cndmask_b32_e32 v17, 0, v47, vcc_lo
	s_or_b32 s16, s16, s17
	v_cndmask_b32_e64 v51, 0, 1, s16
	v_add_co_u32 v21, vcc_lo, v18, v21
	v_add_co_ci_u32_e64 v22, null, v17, v22, vcc_lo
	v_cndmask_b32_e64 v17, 0, 1, s16
.LBB712_85:
	s_or_b32 exec_lo, exec_lo, s28
	s_waitcnt lgkmcnt(0)
	v_lshl_or_b32 v48, v60, 2, 64
	v_add_nc_u32_e32 v49, 16, v60
	s_mov_b32 s28, exec_lo
	ds_bpermute_b32 v18, v48, v21
	ds_bpermute_b32 v47, v48, v22
	;; [unrolled: 1-line block ×3, first 2 shown]
	v_cmpx_le_u32_e64 v49, v14
	s_cbranch_execz .LBB712_87
; %bb.86:
	v_mov_b32_e32 v14, 0
	s_waitcnt lgkmcnt(0)
	v_and_b32_e32 v17, 1, v17
	v_cmp_eq_u16_sdwa vcc_lo, v51, v14 src0_sel:BYTE_0 src1_sel:DWORD
	v_and_b32_e32 v14, 1, v51
	v_cmp_eq_u32_e64 s16, 1, v17
	v_cndmask_b32_e32 v47, 0, v47, vcc_lo
	v_cndmask_b32_e32 v18, 0, v18, vcc_lo
	v_cmp_eq_u32_e32 vcc_lo, 1, v14
	v_add_co_u32 v21, s17, v18, v21
	s_or_b32 s16, vcc_lo, s16
	v_add_co_ci_u32_e64 v22, null, v47, v22, s17
	v_cndmask_b32_e64 v51, 0, 1, s16
.LBB712_87:
	s_or_b32 exec_lo, exec_lo, s28
	v_mov_b32_e32 v14, 0
	v_mov_b32_e32 v50, 2
	s_branch .LBB712_90
.LBB712_88:                             ;   in Loop: Header=BB712_90 Depth=1
	s_or_b32 exec_lo, exec_lo, s29
	v_cmp_eq_u16_sdwa vcc_lo, v47, v14 src0_sel:BYTE_0 src1_sel:DWORD
	v_and_b32_e32 v51, 1, v47
	v_subrev_nc_u32_e32 v13, 32, v13
	v_cndmask_b32_e32 v21, 0, v21, vcc_lo
	v_cndmask_b32_e32 v22, 0, v22, vcc_lo
	v_cmp_eq_u32_e32 vcc_lo, 1, v51
	v_add_co_u32 v21, s16, v21, v17
	v_add_co_ci_u32_e64 v22, null, v22, v18, s16
	s_or_b32 s16, vcc_lo, s28
	v_cndmask_b32_e64 v51, 0, 1, s16
	s_mov_b32 s16, 0
.LBB712_89:                             ;   in Loop: Header=BB712_90 Depth=1
	s_and_b32 vcc_lo, exec_lo, s16
	s_cbranch_vccnz .LBB712_145
.LBB712_90:                             ; =>This Loop Header: Depth=1
                                        ;     Child Loop BB712_93 Depth 2
	v_cmp_ne_u16_sdwa s16, v34, v50 src0_sel:BYTE_0 src1_sel:DWORD
	s_waitcnt lgkmcnt(0)
	v_mov_b32_e32 v17, v21
	v_mov_b32_e32 v47, v51
	;; [unrolled: 1-line block ×3, first 2 shown]
                                        ; implicit-def: $vgpr51
                                        ; implicit-def: $vgpr21_vgpr22
                                        ; implicit-def: $vgpr34
	s_cmp_lg_u32 s16, exec_lo
	s_mov_b32 s16, -1
	s_cbranch_scc1 .LBB712_89
; %bb.91:                               ;   in Loop: Header=BB712_90 Depth=1
	global_load_ubyte v34, v13, s[24:25] glc dlc
	s_mov_b32 s16, exec_lo
	s_waitcnt vmcnt(0)
	v_cmpx_eq_u16_e32 0, v34
	s_cbranch_execz .LBB712_95
; %bb.92:                               ;   in Loop: Header=BB712_90 Depth=1
	v_add_co_u32 v21, s17, s24, v13
	v_add_co_ci_u32_e64 v22, null, s25, 0, s17
	s_mov_b32 s17, 0
.LBB712_93:                             ;   Parent Loop BB712_90 Depth=1
                                        ; =>  This Inner Loop Header: Depth=2
	global_load_ubyte v34, v[21:22], off glc dlc
	s_waitcnt vmcnt(0)
	v_cmp_ne_u16_e32 vcc_lo, 0, v34
	s_or_b32 s17, vcc_lo, s17
	s_andn2_b32 exec_lo, exec_lo, s17
	s_cbranch_execnz .LBB712_93
; %bb.94:                               ;   in Loop: Header=BB712_90 Depth=1
	s_or_b32 exec_lo, exec_lo, s17
.LBB712_95:                             ;   in Loop: Header=BB712_90 Depth=1
	s_or_b32 exec_lo, exec_lo, s16
	v_cmp_eq_u16_e32 vcc_lo, 1, v34
	v_mov_b32_e32 v52, s20
	v_mov_b32_e32 v51, s21
	v_lshlrev_b64 v[21:22], 4, v[13:14]
	buffer_gl1_inv
	buffer_gl0_inv
	s_mov_b32 s16, exec_lo
	v_cndmask_b32_e32 v52, s22, v52, vcc_lo
	v_cndmask_b32_e32 v51, s23, v51, vcc_lo
	v_add_co_u32 v21, vcc_lo, v52, v21
	v_add_co_ci_u32_e64 v22, null, v51, v22, vcc_lo
	v_cmp_eq_u16_e32 vcc_lo, 2, v34
	s_clause 0x1
	global_load_ubyte v52, v[21:22], off offset:8
	global_load_dwordx2 v[21:22], v[21:22], off
	v_and_or_b32 v51, vcc_lo, v38, 0x80000000
	v_ffbl_b32_e32 v51, v51
	s_waitcnt vmcnt(1)
	v_and_b32_e32 v53, 1, v52
	s_waitcnt vmcnt(0)
	ds_bpermute_b32 v54, v37, v21
	ds_bpermute_b32 v55, v37, v22
	;; [unrolled: 1-line block ×3, first 2 shown]
	v_cmpx_lt_u32_e64 v60, v51
	s_cbranch_execz .LBB712_97
; %bb.96:                               ;   in Loop: Header=BB712_90 Depth=1
	v_cmp_eq_u16_sdwa vcc_lo, v52, v14 src0_sel:BYTE_0 src1_sel:DWORD
	s_waitcnt lgkmcnt(0)
	v_and_b32_e32 v53, 1, v56
	v_cndmask_b32_e32 v54, 0, v54, vcc_lo
	v_cndmask_b32_e32 v55, 0, v55, vcc_lo
	v_or_b32_e32 v52, v53, v52
	v_add_co_u32 v21, vcc_lo, v54, v21
	v_add_co_ci_u32_e64 v22, null, v55, v22, vcc_lo
	v_and_b32_e32 v53, 0xff, v52
.LBB712_97:                             ;   in Loop: Header=BB712_90 Depth=1
	s_or_b32 exec_lo, exec_lo, s16
	s_waitcnt lgkmcnt(2)
	ds_bpermute_b32 v54, v41, v21
	s_waitcnt lgkmcnt(2)
	ds_bpermute_b32 v55, v41, v22
	;; [unrolled: 2-line block ×3, first 2 shown]
	v_and_b32_e32 v57, 1, v52
	s_mov_b32 s17, exec_lo
	v_cmp_eq_u32_e64 s28, 1, v57
	v_cmpx_le_u32_e64 v42, v51
	s_cbranch_execz .LBB712_99
; %bb.98:                               ;   in Loop: Header=BB712_90 Depth=1
	v_cmp_eq_u16_sdwa vcc_lo, v52, v14 src0_sel:BYTE_0 src1_sel:DWORD
	s_waitcnt lgkmcnt(0)
	v_and_b32_e32 v52, 1, v56
	v_cndmask_b32_e32 v54, 0, v54, vcc_lo
	v_cndmask_b32_e32 v53, 0, v55, vcc_lo
	v_cmp_eq_u32_e32 vcc_lo, 1, v52
	v_add_co_u32 v21, s16, v54, v21
	v_add_co_ci_u32_e64 v22, null, v53, v22, s16
	s_or_b32 s16, s28, vcc_lo
	s_andn2_b32 s28, s28, exec_lo
	v_cndmask_b32_e64 v52, 0, 1, s16
	v_cndmask_b32_e64 v53, 0, 1, s16
	s_and_b32 s16, s16, exec_lo
	s_or_b32 s28, s28, s16
.LBB712_99:                             ;   in Loop: Header=BB712_90 Depth=1
	s_or_b32 exec_lo, exec_lo, s17
	s_waitcnt lgkmcnt(2)
	ds_bpermute_b32 v54, v43, v21
	s_waitcnt lgkmcnt(2)
	ds_bpermute_b32 v55, v43, v22
	s_waitcnt lgkmcnt(2)
	ds_bpermute_b32 v56, v43, v53
	s_mov_b32 s29, exec_lo
	v_cmpx_le_u32_e64 v44, v51
	s_cbranch_execz .LBB712_101
; %bb.100:                              ;   in Loop: Header=BB712_90 Depth=1
	v_cmp_eq_u16_sdwa vcc_lo, v52, v14 src0_sel:BYTE_0 src1_sel:DWORD
	v_and_b32_e32 v52, 1, v52
	s_waitcnt lgkmcnt(0)
	v_and_b32_e32 v53, 1, v56
	v_cndmask_b32_e32 v55, 0, v55, vcc_lo
	v_cndmask_b32_e32 v54, 0, v54, vcc_lo
	v_cmp_eq_u32_e32 vcc_lo, 1, v52
	v_cmp_eq_u32_e64 s16, 1, v53
	v_add_co_u32 v21, s17, v54, v21
	s_or_b32 s16, vcc_lo, s16
	v_add_co_ci_u32_e64 v22, null, v55, v22, s17
	v_cndmask_b32_e64 v52, 0, 1, s16
	v_cndmask_b32_e64 v53, 0, 1, s16
	s_andn2_b32 s17, s28, exec_lo
	s_and_b32 s16, s16, exec_lo
	s_or_b32 s28, s17, s16
.LBB712_101:                            ;   in Loop: Header=BB712_90 Depth=1
	s_or_b32 exec_lo, exec_lo, s29
	s_waitcnt lgkmcnt(2)
	ds_bpermute_b32 v54, v45, v21
	s_waitcnt lgkmcnt(2)
	ds_bpermute_b32 v55, v45, v22
	;; [unrolled: 2-line block ×3, first 2 shown]
	s_mov_b32 s29, exec_lo
	v_cmpx_le_u32_e64 v46, v51
	s_cbranch_execz .LBB712_103
; %bb.102:                              ;   in Loop: Header=BB712_90 Depth=1
	v_cmp_eq_u16_sdwa vcc_lo, v52, v14 src0_sel:BYTE_0 src1_sel:DWORD
	v_and_b32_e32 v52, 1, v52
	s_waitcnt lgkmcnt(0)
	v_and_b32_e32 v53, 1, v56
	v_cndmask_b32_e32 v55, 0, v55, vcc_lo
	v_cndmask_b32_e32 v54, 0, v54, vcc_lo
	v_cmp_eq_u32_e32 vcc_lo, 1, v52
	v_cmp_eq_u32_e64 s16, 1, v53
	v_add_co_u32 v21, s17, v54, v21
	s_or_b32 s16, vcc_lo, s16
	v_add_co_ci_u32_e64 v22, null, v55, v22, s17
	v_cndmask_b32_e64 v52, 0, 1, s16
	v_cndmask_b32_e64 v53, 0, 1, s16
	s_andn2_b32 s17, s28, exec_lo
	s_and_b32 s16, s16, exec_lo
	s_or_b32 s28, s17, s16
.LBB712_103:                            ;   in Loop: Header=BB712_90 Depth=1
	s_or_b32 exec_lo, exec_lo, s29
	s_waitcnt lgkmcnt(2)
	ds_bpermute_b32 v54, v48, v21
	s_waitcnt lgkmcnt(2)
	ds_bpermute_b32 v55, v48, v22
	ds_bpermute_b32 v53, v48, v53
	s_mov_b32 s29, exec_lo
	v_cmpx_le_u32_e64 v49, v51
	s_cbranch_execz .LBB712_88
; %bb.104:                              ;   in Loop: Header=BB712_90 Depth=1
	v_cmp_eq_u16_sdwa vcc_lo, v52, v14 src0_sel:BYTE_0 src1_sel:DWORD
	v_and_b32_e32 v51, 1, v52
	s_waitcnt lgkmcnt(0)
	v_and_b32_e32 v52, 1, v53
	v_cndmask_b32_e32 v54, 0, v54, vcc_lo
	v_cndmask_b32_e32 v53, 0, v55, vcc_lo
	v_cmp_eq_u32_e32 vcc_lo, 1, v51
	v_cmp_eq_u32_e64 s16, 1, v52
	v_add_co_u32 v21, s17, v54, v21
	v_add_co_ci_u32_e64 v22, null, v53, v22, s17
	s_or_b32 s16, vcc_lo, s16
	s_andn2_b32 s17, s28, exec_lo
	s_and_b32 s16, s16, exec_lo
	s_or_b32 s28, s17, s16
	s_branch .LBB712_88
.LBB712_105:
	s_or_b32 exec_lo, exec_lo, s28
                                        ; implicit-def: $vgpr3_vgpr4
	s_and_saveexec_b32 s28, s3
	s_cbranch_execz .LBB712_33
.LBB712_106:
	v_add_co_u32 v3, s3, s15, v27
	v_add_co_ci_u32_e64 v4, null, s18, 0, s3
	flat_load_dwordx2 v[3:4], v[3:4]
	s_or_b32 exec_lo, exec_lo, s28
                                        ; implicit-def: $vgpr5_vgpr6
	s_and_saveexec_b32 s3, s4
	s_cbranch_execnz .LBB712_34
.LBB712_107:
	s_or_b32 exec_lo, exec_lo, s3
                                        ; implicit-def: $vgpr7_vgpr8
	s_and_saveexec_b32 s3, s5
	s_cbranch_execz .LBB712_35
.LBB712_108:
	v_add_co_u32 v7, s4, s15, v29
	v_add_co_ci_u32_e64 v8, null, s18, 0, s4
	flat_load_dwordx2 v[7:8], v[7:8]
	s_or_b32 exec_lo, exec_lo, s3
                                        ; implicit-def: $vgpr9_vgpr10
	s_and_saveexec_b32 s3, s6
	s_cbranch_execnz .LBB712_36
.LBB712_109:
	s_or_b32 exec_lo, exec_lo, s3
                                        ; implicit-def: $vgpr11_vgpr12
	s_and_saveexec_b32 s3, s7
	s_cbranch_execz .LBB712_37
.LBB712_110:
	v_add_co_u32 v11, s4, s15, v31
	v_add_co_ci_u32_e64 v12, null, s18, 0, s4
	flat_load_dwordx2 v[11:12], v[11:12]
	s_or_b32 exec_lo, exec_lo, s3
                                        ; implicit-def: $vgpr13_vgpr14
	s_and_saveexec_b32 s3, s8
	s_cbranch_execnz .LBB712_38
.LBB712_111:
	s_or_b32 exec_lo, exec_lo, s3
                                        ; implicit-def: $vgpr15_vgpr16
	s_and_saveexec_b32 s3, s9
	s_cbranch_execz .LBB712_39
.LBB712_112:
	v_add_co_u32 v15, s4, s15, v33
	v_add_co_ci_u32_e64 v16, null, s18, 0, s4
	flat_load_dwordx2 v[15:16], v[15:16]
	s_or_b32 exec_lo, exec_lo, s3
                                        ; implicit-def: $vgpr17_vgpr18
	s_and_saveexec_b32 s3, s10
	s_cbranch_execnz .LBB712_40
.LBB712_113:
	s_or_b32 exec_lo, exec_lo, s3
                                        ; implicit-def: $vgpr19_vgpr20
	s_and_saveexec_b32 s3, s11
	s_cbranch_execz .LBB712_41
.LBB712_114:
	v_add_co_u32 v19, s4, s15, v35
	v_add_co_ci_u32_e64 v20, null, s18, 0, s4
	flat_load_dwordx2 v[19:20], v[19:20]
	s_or_b32 exec_lo, exec_lo, s3
                                        ; implicit-def: $vgpr21_vgpr22
	s_and_saveexec_b32 s3, s12
	s_cbranch_execnz .LBB712_42
.LBB712_115:
	s_or_b32 exec_lo, exec_lo, s3
                                        ; implicit-def: $vgpr23_vgpr24
	s_and_saveexec_b32 s3, s13
	s_cbranch_execz .LBB712_117
.LBB712_116:
	v_add_co_u32 v23, s4, s15, v37
	v_add_co_ci_u32_e64 v24, null, s18, 0, s4
	flat_load_dwordx2 v[23:24], v[23:24]
.LBB712_117:
	s_or_b32 exec_lo, exec_lo, s3
	v_mul_u32_u24_e32 v98, 13, v0
                                        ; implicit-def: $vgpr25_vgpr26
	s_and_saveexec_b32 s3, s14
	s_cbranch_execz .LBB712_119
; %bb.118:
	v_add_co_u32 v25, s4, s15, v38
	v_add_co_ci_u32_e64 v26, null, s18, 0, s4
	flat_load_dwordx2 v[25:26], v[25:26]
.LBB712_119:
	s_or_b32 exec_lo, exec_lo, s3
	s_waitcnt vmcnt(0) lgkmcnt(0)
	ds_write2st64_b64 v39, v[1:2], v[3:4] offset1:4
	ds_write2st64_b64 v39, v[5:6], v[7:8] offset0:8 offset1:12
	ds_write2st64_b64 v39, v[9:10], v[11:12] offset0:16 offset1:20
	;; [unrolled: 1-line block ×5, first 2 shown]
	ds_write_b64 v39, v[25:26] offset:24576
	v_mov_b32_e32 v5, 0
	v_mov_b32_e32 v37, 0
	v_mov_b32_e32 v9, 0
	v_mov_b32_e32 v41, 0
	v_mov_b32_e32 v13, 0
	v_mov_b32_e32 v33, 0
	v_mov_b32_e32 v17, 0
	v_mov_b32_e32 v29, 0
	v_mov_b32_e32 v21, 0
	v_mov_b32_e32 v25, 0
	v_mov_b32_e32 v1, 0
	v_mov_b32_e32 v7, 0
	v_mov_b32_e32 v69, 0
	v_mov_b32_e32 v11, 0
	v_mov_b32_e32 v39, 0
	v_mov_b32_e32 v15, 0
	v_mov_b32_e32 v71, 0
	v_mov_b32_e32 v19, 0
	v_mov_b32_e32 v35, 0
	v_mov_b32_e32 v23, 0
	v_mov_b32_e32 v31, 0
	v_mov_b32_e32 v3, 0
	v_cmp_gt_u32_e32 vcc_lo, s33, v98
	v_mov_b32_e32 v6, 0
	v_mov_b32_e32 v87, 0
	;; [unrolled: 1-line block ×45, first 2 shown]
	s_mov_b32 s28, 0
	s_mov_b32 s5, 0
	s_waitcnt lgkmcnt(0)
	s_barrier
	buffer_gl0_inv
                                        ; implicit-def: $vgpr47_vgpr48
	s_and_saveexec_b32 s29, vcc_lo
	s_cbranch_execz .LBB712_143
; %bb.120:
	ds_read_b64 v[1:2], v95
	v_add_nc_u32_e32 v3, 1, v98
	v_mov_b32_e32 v5, 0
	v_mov_b32_e32 v37, 0
	;; [unrolled: 1-line block ×4, first 2 shown]
	v_cmp_gt_u32_e64 s3, s33, v3
	v_mov_b32_e32 v13, 0
	v_mov_b32_e32 v33, 0
	;; [unrolled: 1-line block ×59, first 2 shown]
	s_mov_b32 s4, 0
	v_cmp_ne_u64_e32 vcc_lo, 0, v[65:66]
                                        ; implicit-def: $vgpr47_vgpr48
	s_and_saveexec_b32 s38, s3
	s_cbranch_execz .LBB712_142
; %bb.121:
	ds_read2_b64 v[25:28], v95 offset0:1 offset1:2
	v_add_nc_u32_e32 v3, 2, v98
	v_mov_b32_e32 v5, 0
	v_cmp_ne_u64_e64 s3, 0, v[67:68]
	v_mov_b32_e32 v37, 0
	v_mov_b32_e32 v9, 0
	;; [unrolled: 1-line block ×20, first 2 shown]
	v_cmp_gt_u32_e64 s4, s33, v3
	v_mov_b32_e32 v88, 0
	v_mov_b32_e32 v38, 0
	;; [unrolled: 1-line block ×36, first 2 shown]
                                        ; implicit-def: $vgpr47_vgpr48
	s_and_saveexec_b32 s39, s4
	s_cbranch_execz .LBB712_141
; %bb.122:
	v_add_nc_u32_e32 v3, 3, v98
	v_mov_b32_e32 v5, 0
	v_cmp_ne_u64_e64 s4, 0, v[61:62]
	v_mov_b32_e32 v37, 0
	v_mov_b32_e32 v9, 0
	;; [unrolled: 1-line block ×19, first 2 shown]
	v_cmp_gt_u32_e64 s5, s33, v3
	v_mov_b32_e32 v38, 0
	v_mov_b32_e32 v89, 0
	;; [unrolled: 1-line block ×31, first 2 shown]
	s_mov_b32 s6, 0
                                        ; implicit-def: $vgpr47_vgpr48
	s_and_saveexec_b32 s40, s5
	s_cbranch_execz .LBB712_140
; %bb.123:
	ds_read2_b64 v[29:32], v95 offset0:3 offset1:4
	v_add_nc_u32_e32 v3, 4, v98
	v_mov_b32_e32 v5, 0
	v_cmp_ne_u64_e64 s5, 0, v[63:64]
	v_mov_b32_e32 v37, 0
	v_mov_b32_e32 v9, 0
	;; [unrolled: 1-line block ×16, first 2 shown]
	v_cmp_gt_u32_e64 s6, s33, v3
	v_mov_b32_e32 v88, 0
	v_mov_b32_e32 v38, 0
	;; [unrolled: 1-line block ×28, first 2 shown]
	s_mov_b32 s7, 0
                                        ; implicit-def: $vgpr47_vgpr48
	s_and_saveexec_b32 s41, s6
	s_cbranch_execz .LBB712_139
; %bb.124:
	v_add_nc_u32_e32 v3, 5, v98
	v_mov_b32_e32 v5, 0
	v_cmp_ne_u64_e64 s6, 0, v[57:58]
	v_mov_b32_e32 v37, 0
	v_mov_b32_e32 v9, 0
	;; [unrolled: 1-line block ×15, first 2 shown]
	v_cmp_gt_u32_e64 s7, s33, v3
	v_mov_b32_e32 v38, 0
	v_mov_b32_e32 v89, 0
	;; [unrolled: 1-line block ×23, first 2 shown]
	s_mov_b32 s8, 0
                                        ; implicit-def: $vgpr47_vgpr48
	s_and_saveexec_b32 s46, s7
	s_cbranch_execz .LBB712_138
; %bb.125:
	ds_read2_b64 v[33:36], v95 offset0:5 offset1:6
	v_add_nc_u32_e32 v3, 6, v98
	v_mov_b32_e32 v5, 0
	v_cmp_ne_u64_e64 s7, 0, v[59:60]
	v_mov_b32_e32 v37, 0
	v_mov_b32_e32 v9, 0
	;; [unrolled: 1-line block ×12, first 2 shown]
	v_cmp_gt_u32_e64 s8, s33, v3
	v_mov_b32_e32 v88, 0
	v_mov_b32_e32 v38, 0
	;; [unrolled: 1-line block ×20, first 2 shown]
	s_mov_b32 s9, 0
                                        ; implicit-def: $vgpr47_vgpr48
	s_and_saveexec_b32 s47, s8
	s_cbranch_execz .LBB712_137
; %bb.126:
	v_mov_b32_e32 v5, 0
	v_cmp_ne_u64_e64 s8, 0, v[43:44]
	v_mov_b32_e32 v37, 0
	v_mov_b32_e32 v9, 0
	;; [unrolled: 1-line block ×8, first 2 shown]
	v_add_nc_u32_e32 v3, 7, v98
	v_mov_b32_e32 v6, 0
	v_mov_b32_e32 v87, 0
	;; [unrolled: 1-line block ×18, first 2 shown]
	s_mov_b32 s10, 0
	s_mov_b32 s48, exec_lo
                                        ; implicit-def: $vgpr47_vgpr48
	v_cmpx_gt_u32_e64 s33, v3
	s_cbranch_execz .LBB712_136
; %bb.127:
	ds_read2_b64 v[41:44], v95 offset0:7 offset1:8
	v_mov_b32_e32 v5, 0
	v_cmp_ne_u64_e64 s9, 0, v[45:46]
	v_mov_b32_e32 v37, 0
	v_mov_b32_e32 v9, 0
	;; [unrolled: 1-line block ×6, first 2 shown]
	v_add_nc_u32_e32 v3, 8, v98
	v_mov_b32_e32 v6, 0
	v_mov_b32_e32 v87, 0
	;; [unrolled: 1-line block ×14, first 2 shown]
	s_mov_b32 s11, 0
	s_mov_b32 s49, exec_lo
                                        ; implicit-def: $vgpr47_vgpr48
	v_cmpx_gt_u32_e64 s33, v3
	s_cbranch_execz .LBB712_135
; %bb.128:
	v_mov_b32_e32 v5, 0
	v_cmp_ne_u64_e64 s10, 0, v[53:54]
	v_mov_b32_e32 v37, 0
	v_mov_b32_e32 v7, 0
	;; [unrolled: 1-line block ×4, first 2 shown]
	v_add_nc_u32_e32 v3, 9, v98
	v_mov_b32_e32 v6, 0
	v_mov_b32_e32 v87, 0
	;; [unrolled: 1-line block ×9, first 2 shown]
	s_mov_b32 s12, 0
	s_mov_b32 s50, exec_lo
                                        ; implicit-def: $vgpr47_vgpr48
	v_cmpx_gt_u32_e64 s33, v3
	s_cbranch_execz .LBB712_134
; %bb.129:
	ds_read2_b64 v[37:40], v95 offset0:9 offset1:10
	v_mov_b32_e32 v5, 0
	v_cmp_ne_u64_e64 s11, 0, v[55:56]
	v_mov_b32_e32 v7, 0
	v_mov_b32_e32 v69, 0
	v_add_nc_u32_e32 v3, 10, v98
	v_mov_b32_e32 v6, 0
	v_mov_b32_e32 v87, 0
	;; [unrolled: 1-line block ×5, first 2 shown]
	s_mov_b32 s13, 0
	s_mov_b32 s51, exec_lo
                                        ; implicit-def: $vgpr47_vgpr48
	v_cmpx_gt_u32_e64 s33, v3
	s_cbranch_execz .LBB712_133
; %bb.130:
	v_mov_b32_e32 v7, 0
	v_cmp_ne_u64_e64 s12, 0, v[49:50]
	v_add_nc_u32_e32 v3, 11, v98
	v_mov_b32_e32 v8, 0
	v_mov_b32_e32 v75, 0
	s_mov_b32 s14, 0
	s_mov_b32 s52, exec_lo
                                        ; implicit-def: $vgpr47_vgpr48
	v_cmpx_gt_u32_e64 s33, v3
	s_xor_b32 s52, exec_lo, s52
	s_cbranch_execz .LBB712_132
; %bb.131:
	ds_read2_b64 v[45:48], v95 offset0:11 offset1:12
	v_add_nc_u32_e32 v3, 12, v98
	v_cmp_ne_u64_e64 s14, 0, v[51:52]
	v_cmp_gt_u32_e64 s13, s33, v3
	v_cndmask_b32_e64 v75, 0, 1, s14
	s_and_b32 s14, s13, exec_lo
	s_waitcnt lgkmcnt(0)
	v_mov_b32_e32 v7, v45
	v_mov_b32_e32 v8, v46
.LBB712_132:
	s_or_b32 exec_lo, exec_lo, s52
	s_waitcnt lgkmcnt(0)
	v_mov_b32_e32 v5, v39
	v_mov_b32_e32 v70, v40
	v_cndmask_b32_e64 v87, 0, 1, s12
	v_mov_b32_e32 v6, v40
	v_mov_b32_e32 v69, v39
	s_and_b32 s13, s14, exec_lo
.LBB712_133:
	s_or_b32 exec_lo, exec_lo, s51
	v_cndmask_b32_e64 v88, 0, 1, s11
	s_waitcnt lgkmcnt(0)
	v_mov_b32_e32 v11, v37
	v_mov_b32_e32 v12, v38
	s_and_b32 s12, s13, exec_lo
	v_mov_b32_e32 v76, v88
.LBB712_134:
	s_or_b32 exec_lo, exec_lo, s50
	v_cndmask_b32_e64 v89, 0, 1, s10
	s_waitcnt lgkmcnt(0)
	v_mov_b32_e32 v9, v43
	v_mov_b32_e32 v39, v43
	;; [unrolled: 1-line block ×6, first 2 shown]
	s_and_b32 s11, s12, exec_lo
.LBB712_135:
	s_or_b32 exec_lo, exec_lo, s49
	v_cndmask_b32_e64 v90, 0, 1, s9
	s_waitcnt lgkmcnt(0)
	v_mov_b32_e32 v15, v41
	v_mov_b32_e32 v16, v42
	s_and_b32 s10, s11, exec_lo
	v_mov_b32_e32 v79, v90
.LBB712_136:
	s_or_b32 exec_lo, exec_lo, s48
	v_cndmask_b32_e64 v91, 0, 1, s8
	s_waitcnt lgkmcnt(0)
	v_mov_b32_e32 v13, v35
	v_mov_b32_e32 v72, v36
	;; [unrolled: 1-line block ×5, first 2 shown]
	s_and_b32 s9, s10, exec_lo
.LBB712_137:
	s_or_b32 exec_lo, exec_lo, s47
	v_cndmask_b32_e64 v92, 0, 1, s7
	s_waitcnt lgkmcnt(0)
	v_mov_b32_e32 v19, v33
	v_mov_b32_e32 v20, v34
	s_and_b32 s8, s9, exec_lo
	v_mov_b32_e32 v82, v92
.LBB712_138:
	s_or_b32 exec_lo, exec_lo, s46
	v_cndmask_b32_e64 v93, 0, 1, s6
	s_waitcnt lgkmcnt(0)
	v_mov_b32_e32 v17, v31
	v_mov_b32_e32 v36, v32
	;; [unrolled: 1-line block ×5, first 2 shown]
	s_and_b32 s7, s8, exec_lo
.LBB712_139:
	s_or_b32 exec_lo, exec_lo, s41
	v_cndmask_b32_e64 v94, 0, 1, s5
	s_waitcnt lgkmcnt(0)
	v_mov_b32_e32 v23, v29
	v_mov_b32_e32 v24, v30
	s_and_b32 s6, s7, exec_lo
	v_mov_b32_e32 v84, v94
.LBB712_140:
	s_or_b32 exec_lo, exec_lo, s40
	v_cndmask_b32_e64 v96, 0, 1, s4
	s_waitcnt lgkmcnt(0)
	v_mov_b32_e32 v21, v27
	v_mov_b32_e32 v32, v28
	;; [unrolled: 1-line block ×5, first 2 shown]
	s_and_b32 s5, s6, exec_lo
.LBB712_141:
	s_or_b32 exec_lo, exec_lo, s39
	v_cndmask_b32_e64 v97, 0, 1, s3
	s_waitcnt lgkmcnt(0)
	v_mov_b32_e32 v3, v25
	v_mov_b32_e32 v4, v26
	s_and_b32 s4, s5, exec_lo
	v_mov_b32_e32 v86, v97
.LBB712_142:
	s_or_b32 exec_lo, exec_lo, s38
	v_cndmask_b32_e64 v99, 0, 1, vcc_lo
	s_and_b32 s5, s4, exec_lo
	v_mov_b32_e32 v81, v99
.LBB712_143:
	s_or_b32 exec_lo, exec_lo, s29
	v_lshlrev_b32_e32 v59, 3, v0
	s_and_b32 vcc_lo, exec_lo, s28
	s_cbranch_vccnz .LBB712_44
	s_branch .LBB712_45
.LBB712_144:
                                        ; implicit-def: $vgpr55_vgpr56
                                        ; implicit-def: $vgpr53_vgpr54
                                        ; implicit-def: $vgpr49_vgpr50
                                        ; implicit-def: $vgpr45_vgpr46
                                        ; implicit-def: $vgpr41_vgpr42
                                        ; implicit-def: $vgpr33_vgpr34
                                        ; implicit-def: $vgpr25_vgpr26
                                        ; implicit-def: $vgpr51_vgpr52
                                        ; implicit-def: $vgpr47_vgpr48
                                        ; implicit-def: $vgpr43_vgpr44
                                        ; implicit-def: $vgpr37_vgpr38
                                        ; implicit-def: $vgpr29_vgpr30
                                        ; implicit-def: $vgpr57_vgpr58
	s_cbranch_execnz .LBB712_150
	s_branch .LBB712_179
.LBB712_145:
	s_and_saveexec_b32 s16, s15
	s_cbranch_execz .LBB712_147
; %bb.146:
	v_mov_b32_e32 v13, 0
	v_or_b32_e32 v14, v33, v47
	s_mov_b32 s21, 0
	s_add_i32 s20, s27, 32
	v_mov_b32_e32 v21, 2
	v_cmp_eq_u32_sdwa vcc_lo, v33, v13 src0_sel:BYTE_0 src1_sel:DWORD
	s_lshl_b64 s[28:29], s[20:21], 4
	v_mov_b32_e32 v34, s20
	v_and_b32_e32 v14, 1, v14
	s_add_u32 s20, s22, s28
	v_cndmask_b32_e32 v33, 0, v17, vcc_lo
	v_cndmask_b32_e32 v22, 0, v18, vcc_lo
	s_addc_u32 s21, s23, s29
	v_add_co_u32 v9, vcc_lo, v33, v9
	v_add_co_ci_u32_e64 v10, null, v22, v10, vcc_lo
	global_store_byte v13, v14, s[20:21] offset:8
	global_store_dwordx2 v13, v[9:10], s[20:21]
	s_waitcnt lgkmcnt(0)
	s_waitcnt_vscnt null, 0x0
	buffer_gl1_inv
	buffer_gl0_inv
	global_store_byte v34, v21, s[24:25]
.LBB712_147:
	s_or_b32 exec_lo, exec_lo, s16
	s_and_b32 exec_lo, exec_lo, s0
	s_cbranch_execz .LBB712_149
; %bb.148:
	v_mov_b32_e32 v9, 0
	ds_write_b64 v9, v[17:18] offset:112
	ds_write_b8 v9, v47 offset:120
.LBB712_149:
	s_or_b32 exec_lo, exec_lo, s18
	s_waitcnt lgkmcnt(0)
	v_cndmask_b32_e64 v9, v30, v25, s15
	v_and_b32_e32 v14, 1, v81
	v_mov_b32_e32 v13, 0
	s_waitcnt_vscnt null, 0x0
	s_barrier
	v_and_b32_e32 v17, 1, v9
	v_cmp_eq_u32_e32 vcc_lo, 1, v14
	buffer_gl0_inv
	ds_read_b64 v[9:10], v13 offset:112
	v_cndmask_b32_e64 v5, v26, v5, s15
	v_cmp_eq_u32_e64 s16, 1, v17
	v_cndmask_b32_e64 v6, v29, v6, s15
	s_or_b32 s16, vcc_lo, s16
	v_cmp_eq_u16_sdwa vcc_lo, v81, v13 src0_sel:BYTE_0 src1_sel:DWORD
	v_cndmask_b32_e64 v14, 0, 1, s16
	v_cndmask_b32_e32 v5, 0, v5, vcc_lo
	v_cndmask_b32_e64 v14, v14, v81, s0
	v_cndmask_b32_e32 v6, 0, v6, vcc_lo
	v_cndmask_b32_e64 v5, v5, 0, s0
	v_cmp_eq_u16_sdwa vcc_lo, v14, v13 src0_sel:BYTE_0 src1_sel:DWORD
	v_cndmask_b32_e64 v6, v6, 0, s0
	s_waitcnt lgkmcnt(0)
	v_cndmask_b32_e32 v10, 0, v10, vcc_lo
	v_cndmask_b32_e32 v9, 0, v9, vcc_lo
	v_add_co_u32 v5, vcc_lo, v5, v1
	v_add_co_ci_u32_e64 v6, null, v6, v2, vcc_lo
	v_add_co_u32 v57, vcc_lo, v5, v9
	v_add_co_ci_u32_e64 v58, null, v6, v10, vcc_lo
	v_cndmask_b32_e64 v5, 0, v57, s13
	v_cndmask_b32_e64 v6, 0, v58, s13
	v_add_co_u32 v25, vcc_lo, v5, v3
	v_add_co_ci_u32_e64 v26, null, v6, v4, vcc_lo
	v_cndmask_b32_e64 v5, 0, v25, s14
	v_cndmask_b32_e64 v6, 0, v26, s14
	;; [unrolled: 4-line block ×12, first 2 shown]
	v_add_co_u32 v55, vcc_lo, v5, v27
	v_add_co_ci_u32_e64 v56, null, v6, v28, vcc_lo
	s_branch .LBB712_179
.LBB712_150:
	s_cmp_lg_u64 s[44:45], 0
	s_cselect_b32 s3, -1, 0
	s_cmp_lg_u64 s[30:31], 0
	s_cselect_b32 s4, -1, 0
	s_and_b32 s3, s3, s4
	s_and_b32 s4, s0, s3
	s_and_saveexec_b32 s3, s4
	s_cbranch_execz .LBB712_152
; %bb.151:
	v_mov_b32_e32 v9, 0
	s_clause 0x1
	global_load_dwordx2 v[5:6], v9, s[30:31]
	global_load_ubyte v10, v9, s[30:31] offset:8
	v_cmp_eq_u16_sdwa vcc_lo, v81, v9 src0_sel:BYTE_0 src1_sel:DWORD
	s_waitcnt vmcnt(1)
	v_cndmask_b32_e32 v5, 0, v5, vcc_lo
	v_cndmask_b32_e32 v6, 0, v6, vcc_lo
	s_waitcnt vmcnt(0)
	v_or_b32_e32 v9, v81, v10
	v_add_co_u32 v1, vcc_lo, v5, v1
	v_add_co_ci_u32_e64 v2, null, v6, v2, vcc_lo
	v_and_b32_e32 v81, 1, v9
.LBB712_152:
	s_or_b32 exec_lo, exec_lo, s3
	v_mov_b32_e32 v5, 0
	v_or_b32_e32 v10, v81, v86
	v_cmp_eq_u32_e64 s13, 1, v67
	v_cmp_eq_u32_e64 s16, 1, v66
	;; [unrolled: 1-line block ×3, first 2 shown]
	v_cmp_eq_u16_sdwa vcc_lo, v86, v5 src0_sel:BYTE_0 src1_sel:DWORD
	v_cmp_ne_u16_sdwa s20, v63, v5 src0_sel:BYTE_0 src1_sel:DWORD
	v_cmp_ne_u16_sdwa s21, v64, v5 src0_sel:BYTE_0 src1_sel:DWORD
	;; [unrolled: 1-line block ×4, first 2 shown]
	v_cndmask_b32_e32 v9, 0, v1, vcc_lo
	v_cndmask_b32_e32 v6, 0, v2, vcc_lo
	s_or_b32 s20, s20, s13
	s_or_b32 s13, s21, s16
	v_cmp_eq_u32_e64 s15, 1, v68
	v_add_co_u32 v25, s3, v9, v3
	v_add_co_ci_u32_e64 v26, null, v6, v4, s3
	v_cmp_eq_u16_sdwa s3, v85, v5 src0_sel:BYTE_0 src1_sel:DWORD
	s_or_b32 s16, s17, s13
	v_cmp_eq_u32_e64 s14, 1, v73
	s_or_b32 s15, s27, s15
	v_and_b32_e32 v13, 15, v60
	v_cndmask_b32_e64 v9, 0, v25, s3
	v_cndmask_b32_e64 v6, 0, v26, s3
	s_or_b32 s15, s16, s15
	s_or_b32 s14, s18, s14
	;; [unrolled: 1-line block ×3, first 2 shown]
	v_add_co_u32 v29, s4, v9, v31
	v_add_co_ci_u32_e64 v30, null, v6, v32, s4
	v_cmp_eq_u16_sdwa s4, v84, v5 src0_sel:BYTE_0 src1_sel:DWORD
	s_or_b32 s15, s15, s14
	s_mov_b32 s16, exec_lo
	v_cndmask_b32_e64 v17, 0, 1, s15
	v_cndmask_b32_e64 v9, 0, v29, s4
	;; [unrolled: 1-line block ×3, first 2 shown]
	v_mov_b32_dpp v14, v17 row_shr:1 row_mask:0xf bank_mask:0xf
	v_add_co_u32 v33, s5, v9, v23
	v_add_co_ci_u32_e64 v34, null, v6, v24, s5
	v_cmp_eq_u16_sdwa s5, v83, v5 src0_sel:BYTE_0 src1_sel:DWORD
	v_cndmask_b32_e64 v9, 0, v33, s5
	v_cndmask_b32_e64 v6, 0, v34, s5
	v_add_co_u32 v37, s6, v9, v35
	v_add_co_ci_u32_e64 v38, null, v6, v36, s6
	v_cmp_eq_u16_sdwa s6, v82, v5 src0_sel:BYTE_0 src1_sel:DWORD
	v_cndmask_b32_e64 v9, 0, v37, s6
	v_cndmask_b32_e64 v6, 0, v38, s6
	;; [unrolled: 5-line block ×8, first 2 shown]
	v_add_co_u32 v53, s13, v6, v7
	v_add_co_ci_u32_e64 v54, null, v5, v8, s13
	v_cmp_eq_u16_e64 s13, 0, v61
	v_cndmask_b32_e64 v6, 0, v53, s13
	v_cndmask_b32_e64 v5, 0, v54, s13
	v_add_co_u32 v55, s14, v6, v27
	v_add_co_ci_u32_e64 v56, null, v5, v28, s14
	v_mov_b32_e32 v5, v55
	v_mov_b32_dpp v18, v55 row_shr:1 row_mask:0xf bank_mask:0xf
	v_mov_b32_dpp v21, v56 row_shr:1 row_mask:0xf bank_mask:0xf
	v_mov_b32_e32 v6, v56
	v_mov_b32_e32 v10, v56
	;; [unrolled: 1-line block ×3, first 2 shown]
	v_cmpx_ne_u32_e32 0, v13
	s_cbranch_execz .LBB712_154
; %bb.153:
	v_cndmask_b32_e64 v5, v18, 0, s15
	v_cndmask_b32_e64 v6, v21, 0, s15
	v_and_or_b32 v17, v14, 1, v17
	v_add_co_u32 v5, s14, v55, v5
	v_add_co_ci_u32_e64 v6, null, v56, v6, s14
	v_mov_b32_e32 v9, v5
	v_mov_b32_e32 v10, v6
.LBB712_154:
	s_or_b32 exec_lo, exec_lo, s16
	v_mov_b32_dpp v18, v9 row_shr:2 row_mask:0xf bank_mask:0xf
	v_mov_b32_dpp v21, v10 row_shr:2 row_mask:0xf bank_mask:0xf
	v_mov_b32_dpp v14, v17 row_shr:2 row_mask:0xf bank_mask:0xf
	s_mov_b32 s15, exec_lo
	v_cmpx_lt_u32_e32 1, v13
	s_cbranch_execz .LBB712_156
; %bb.155:
	v_cmp_eq_u16_e64 s14, 0, v17
	v_or_b32_e32 v14, v14, v17
	v_cndmask_b32_e64 v9, 0, v18, s14
	v_cndmask_b32_e64 v10, 0, v21, s14
	v_and_b32_e32 v17, 1, v14
	v_add_co_u32 v9, s14, v9, v5
	v_add_co_ci_u32_e64 v10, null, v10, v6, s14
	v_mov_b32_e32 v5, v9
	v_mov_b32_e32 v6, v10
.LBB712_156:
	s_or_b32 exec_lo, exec_lo, s15
	v_mov_b32_dpp v18, v9 row_shr:4 row_mask:0xf bank_mask:0xf
	v_mov_b32_dpp v21, v10 row_shr:4 row_mask:0xf bank_mask:0xf
	v_mov_b32_dpp v14, v17 row_shr:4 row_mask:0xf bank_mask:0xf
	s_mov_b32 s15, exec_lo
	v_cmpx_lt_u32_e32 3, v13
	s_cbranch_execz .LBB712_158
; %bb.157:
	v_cmp_eq_u16_e64 s14, 0, v17
	v_or_b32_e32 v14, v14, v17
	v_cndmask_b32_e64 v9, 0, v18, s14
	v_cndmask_b32_e64 v10, 0, v21, s14
	v_and_b32_e32 v17, 1, v14
	v_add_co_u32 v9, s14, v9, v5
	v_add_co_ci_u32_e64 v10, null, v10, v6, s14
	v_mov_b32_e32 v5, v9
	v_mov_b32_e32 v6, v10
.LBB712_158:
	;; [unrolled: 18-line block ×3, first 2 shown]
	s_or_b32 exec_lo, exec_lo, s15
	ds_swizzle_b32 v9, v9 offset:swizzle(BROADCAST,32,15)
	ds_swizzle_b32 v10, v10 offset:swizzle(BROADCAST,32,15)
	;; [unrolled: 1-line block ×3, first 2 shown]
	v_and_b32_e32 v13, 16, v60
	v_cmp_ne_u32_e64 s14, 0, v13
	v_mov_b32_e32 v13, v17
	s_and_saveexec_b32 s17, s14
	s_cbranch_execz .LBB712_162
; %bb.161:
	v_cmp_eq_u16_e64 s14, 0, v17
	v_and_b32_e32 v13, 1, v17
	s_waitcnt lgkmcnt(0)
	v_and_b32_e32 v14, 1, v14
	v_cndmask_b32_e64 v10, 0, v10, s14
	v_cndmask_b32_e64 v9, 0, v9, s14
	v_cmp_eq_u32_e64 s14, 1, v13
	v_cmp_eq_u32_e64 s15, 1, v14
	v_add_co_u32 v5, s16, v9, v5
	s_or_b32 s14, s14, s15
	v_add_co_ci_u32_e64 v6, null, v10, v6, s16
	v_cndmask_b32_e64 v17, 0, 1, s14
	v_cndmask_b32_e64 v13, 0, 1, s14
.LBB712_162:
	s_or_b32 exec_lo, exec_lo, s17
	s_waitcnt lgkmcnt(2)
	v_or_b32_e32 v9, 31, v0
	s_waitcnt lgkmcnt(0)
	v_lshrrev_b32_e32 v14, 5, v0
	s_mov_b32 s15, exec_lo
	v_cmpx_eq_u32_e64 v0, v9
	s_cbranch_execz .LBB712_164
; %bb.163:
	v_lshlrev_b32_e32 v9, 4, v14
	ds_write_b64 v9, v[5:6]
	ds_write_b8 v9, v17 offset:8
.LBB712_164:
	s_or_b32 exec_lo, exec_lo, s15
	s_mov_b32 s17, exec_lo
	s_waitcnt lgkmcnt(0)
	s_barrier
	buffer_gl0_inv
	v_cmpx_gt_u32_e32 8, v0
	s_cbranch_execz .LBB712_172
; %bb.165:
	v_lshlrev_b32_e32 v17, 4, v0
	v_and_b32_e32 v18, 7, v60
	s_mov_b32 s15, exec_lo
	ds_read_b64 v[9:10], v17
	ds_read_b32 v58, v17 offset:8
	s_waitcnt lgkmcnt(1)
	v_mov_b32_dpp v61, v9 row_shr:1 row_mask:0xf bank_mask:0xf
	v_mov_b32_dpp v62, v10 row_shr:1 row_mask:0xf bank_mask:0xf
	s_waitcnt lgkmcnt(0)
	v_and_b32_e32 v22, 0xffffff00, v58
	v_mov_b32_dpp v63, v58 row_shr:1 row_mask:0xf bank_mask:0xf
	v_mov_b32_e32 v57, v58
	v_mov_b32_e32 v21, v58
	v_cmpx_ne_u32_e32 0, v18
	s_cbranch_execz .LBB712_167
; %bb.166:
	v_mov_b32_e32 v21, 0
	v_cmp_eq_u16_sdwa s14, v58, v21 src0_sel:BYTE_0 src1_sel:DWORD
	v_or_b32_e32 v21, v63, v58
	v_cndmask_b32_e64 v61, 0, v61, s14
	v_cndmask_b32_e64 v58, 0, v62, s14
	v_and_b32_e32 v57, 1, v21
	v_and_b32_e32 v21, 1, v21
	v_add_co_u32 v9, s14, v61, v9
	v_add_co_ci_u32_e64 v10, null, v58, v10, s14
	v_or_b32_e32 v58, v21, v22
.LBB712_167:
	s_or_b32 exec_lo, exec_lo, s15
	v_mov_b32_dpp v61, v9 row_shr:2 row_mask:0xf bank_mask:0xf
	v_mov_b32_dpp v62, v10 row_shr:2 row_mask:0xf bank_mask:0xf
	;; [unrolled: 1-line block ×3, first 2 shown]
	s_mov_b32 s18, exec_lo
	v_cmpx_lt_u32_e32 1, v18
	s_cbranch_execz .LBB712_169
; %bb.168:
	v_mov_b32_e32 v57, 0
	v_and_b32_e32 v58, 1, v21
	v_and_b32_e32 v63, 1, v63
	v_cmp_eq_u16_sdwa s14, v21, v57 src0_sel:BYTE_0 src1_sel:DWORD
	v_cmp_eq_u32_e64 s15, 1, v58
	v_cmp_eq_u32_e64 s16, 1, v63
	v_cndmask_b32_e64 v21, 0, v62, s14
	v_cndmask_b32_e64 v58, 0, v61, s14
	s_or_b32 s14, s15, s16
	v_cndmask_b32_e64 v57, 0, 1, s14
	v_cndmask_b32_e64 v61, 0, 1, s14
	v_add_co_u32 v9, s14, v58, v9
	v_add_co_ci_u32_e64 v10, null, v21, v10, s14
	v_or_b32_e32 v58, v22, v61
	v_mov_b32_e32 v21, v57
.LBB712_169:
	s_or_b32 exec_lo, exec_lo, s18
	v_mov_b32_dpp v22, v9 row_shr:4 row_mask:0xf bank_mask:0xf
	v_mov_b32_dpp v61, v10 row_shr:4 row_mask:0xf bank_mask:0xf
	;; [unrolled: 1-line block ×3, first 2 shown]
	s_mov_b32 s18, exec_lo
	v_cmpx_lt_u32_e32 3, v18
	s_cbranch_execz .LBB712_171
; %bb.170:
	v_mov_b32_e32 v18, 0
	v_cmp_eq_u16_sdwa s14, v21, v18 src0_sel:BYTE_0 src1_sel:DWORD
	v_and_b32_e32 v18, 1, v21
	v_and_b32_e32 v21, 1, v58
	v_cndmask_b32_e64 v57, 0, v61, s14
	v_cndmask_b32_e64 v22, 0, v22, s14
	v_cmp_eq_u32_e64 s14, 1, v18
	v_cmp_eq_u32_e64 s15, 1, v21
	v_add_co_u32 v9, s16, v22, v9
	s_or_b32 s14, s14, s15
	v_add_co_ci_u32_e64 v10, null, v57, v10, s16
	v_cndmask_b32_e64 v57, 0, 1, s14
.LBB712_171:
	s_or_b32 exec_lo, exec_lo, s18
	ds_write_b64 v17, v[9:10]
	ds_write_b8 v17, v57 offset:8
.LBB712_172:
	s_or_b32 exec_lo, exec_lo, s17
	v_mov_b32_e32 v9, 0
	v_mov_b32_e32 v10, 0
	s_mov_b32 s15, exec_lo
	s_waitcnt lgkmcnt(0)
	s_barrier
	buffer_gl0_inv
	v_cmpx_lt_u32_e32 31, v0
	s_cbranch_execz .LBB712_174
; %bb.173:
	v_lshl_add_u32 v9, v14, 4, -16
	v_cmp_eq_u32_e64 s14, 0, v13
	ds_read_b64 v[9:10], v9
	s_waitcnt lgkmcnt(0)
	v_cndmask_b32_e64 v14, 0, v9, s14
	v_cndmask_b32_e64 v13, 0, v10, s14
	v_add_co_u32 v5, s14, v14, v5
	v_add_co_ci_u32_e64 v6, null, v13, v6, s14
.LBB712_174:
	s_or_b32 exec_lo, exec_lo, s15
	v_add_nc_u32_e32 v13, -1, v60
	v_cmp_gt_i32_e64 s14, 0, v13
	v_cndmask_b32_e64 v13, v13, v60, s14
	v_lshlrev_b32_e32 v13, 2, v13
	ds_bpermute_b32 v5, v13, v5
	ds_bpermute_b32 v6, v13, v6
	s_and_saveexec_b32 s14, s2
	s_cbranch_execz .LBB712_176
; %bb.175:
	v_cmp_eq_u32_e64 s2, 0, v60
	v_mov_b32_e32 v13, 0
	;;#ASMSTART
	;;#ASMEND
	s_waitcnt lgkmcnt(1)
	v_cndmask_b32_e64 v5, v5, v9, s2
	s_waitcnt lgkmcnt(0)
	v_cndmask_b32_e64 v6, v6, v10, s2
	v_cmp_eq_u16_sdwa s2, v81, v13 src0_sel:BYTE_0 src1_sel:DWORD
	v_cndmask_b32_e64 v5, 0, v5, s2
	v_cndmask_b32_e64 v6, 0, v6, s2
	v_add_co_u32 v1, s2, v5, v1
	v_add_co_ci_u32_e64 v2, null, v6, v2, s2
	v_cndmask_b32_e32 v5, 0, v1, vcc_lo
	v_cndmask_b32_e32 v6, 0, v2, vcc_lo
	v_add_co_u32 v25, vcc_lo, v5, v3
	v_add_co_ci_u32_e64 v26, null, v6, v4, vcc_lo
	v_cndmask_b32_e64 v3, 0, v25, s3
	v_cndmask_b32_e64 v4, 0, v26, s3
	v_add_co_u32 v29, vcc_lo, v3, v31
	v_add_co_ci_u32_e64 v30, null, v4, v32, vcc_lo
	v_cndmask_b32_e64 v3, 0, v29, s4
	v_cndmask_b32_e64 v4, 0, v30, s4
	v_add_co_u32 v33, vcc_lo, v3, v23
	v_add_co_ci_u32_e64 v34, null, v4, v24, vcc_lo
	v_cndmask_b32_e64 v3, 0, v33, s5
	v_cndmask_b32_e64 v4, 0, v34, s5
	v_add_co_u32 v37, vcc_lo, v3, v35
	v_add_co_ci_u32_e64 v38, null, v4, v36, vcc_lo
	v_cndmask_b32_e64 v3, 0, v37, s6
	v_cndmask_b32_e64 v4, 0, v38, s6
	v_add_co_u32 v41, vcc_lo, v3, v19
	v_add_co_ci_u32_e64 v42, null, v4, v20, vcc_lo
	v_cndmask_b32_e64 v3, 0, v41, s7
	v_cndmask_b32_e64 v4, 0, v42, s7
	v_add_co_u32 v43, vcc_lo, v3, v71
	v_add_co_ci_u32_e64 v44, null, v4, v72, vcc_lo
	v_cndmask_b32_e64 v3, 0, v43, s8
	v_cndmask_b32_e64 v4, 0, v44, s8
	v_add_co_u32 v45, vcc_lo, v3, v15
	v_add_co_ci_u32_e64 v46, null, v4, v16, vcc_lo
	v_cndmask_b32_e64 v3, 0, v45, s9
	v_cndmask_b32_e64 v4, 0, v46, s9
	v_add_co_u32 v47, vcc_lo, v3, v39
	v_add_co_ci_u32_e64 v48, null, v4, v40, vcc_lo
	v_cndmask_b32_e64 v3, 0, v47, s10
	v_cndmask_b32_e64 v4, 0, v48, s10
	v_add_co_u32 v49, vcc_lo, v3, v11
	v_add_co_ci_u32_e64 v50, null, v4, v12, vcc_lo
	v_cndmask_b32_e64 v3, 0, v49, s11
	v_cndmask_b32_e64 v4, 0, v50, s11
	v_add_co_u32 v51, vcc_lo, v3, v69
	v_add_co_ci_u32_e64 v52, null, v4, v70, vcc_lo
	v_cndmask_b32_e64 v3, 0, v51, s12
	v_cndmask_b32_e64 v4, 0, v52, s12
	v_add_co_u32 v53, vcc_lo, v3, v7
	v_add_co_ci_u32_e64 v54, null, v4, v8, vcc_lo
	v_cndmask_b32_e64 v3, 0, v53, s13
	v_cndmask_b32_e64 v4, 0, v54, s13
	v_add_co_u32 v55, vcc_lo, v3, v27
	v_add_co_ci_u32_e64 v56, null, v4, v28, vcc_lo
.LBB712_176:
	s_or_b32 exec_lo, exec_lo, s14
	s_and_saveexec_b32 s2, s0
	s_cbranch_execz .LBB712_178
; %bb.177:
	s_waitcnt lgkmcnt(1)
	v_mov_b32_e32 v5, 0
	v_mov_b32_e32 v7, 2
	ds_read_b64 v[3:4], v5 offset:112
	s_waitcnt lgkmcnt(1)
	ds_read_u8 v6, v5 offset:120
	s_waitcnt lgkmcnt(1)
	global_store_dwordx2 v5, v[3:4], s[22:23] offset:512
	s_waitcnt lgkmcnt(0)
	global_store_byte v5, v6, s[22:23] offset:520
	s_waitcnt_vscnt null, 0x0
	buffer_gl1_inv
	buffer_gl0_inv
	global_store_byte v5, v7, s[24:25] offset:32
.LBB712_178:
	s_or_b32 exec_lo, exec_lo, s2
	v_mov_b32_e32 v58, v2
	v_mov_b32_e32 v57, v1
.LBB712_179:
	s_add_u32 s0, s42, s34
	s_addc_u32 s2, s43, s35
	s_add_u32 s0, s0, s36
	s_addc_u32 s2, s2, s37
	s_and_b32 vcc_lo, exec_lo, s1
	s_cbranch_vccz .LBB712_223
; %bb.180:
	v_mul_u32_u24_e32 v1, 13, v0
	s_add_i32 s19, s19, s26
	s_mov_b32 s1, exec_lo
	v_cmpx_gt_u32_e64 s19, v1
	s_cbranch_execz .LBB712_198
; %bb.181:
	v_add_nc_u32_e32 v2, 1, v1
	s_mov_b32 s3, exec_lo
	v_cmpx_gt_u32_e64 s19, v2
	s_cbranch_execz .LBB712_197
; %bb.182:
	v_add_nc_u32_e32 v2, 2, v1
	;; [unrolled: 5-line block ×8, first 2 shown]
	s_mov_b32 s10, exec_lo
	v_cmpx_gt_u32_e64 s19, v2
; %bb.189:
	v_add_nc_u32_e32 v2, 9, v1
	s_mov_b32 s11, exec_lo
	v_cmpx_gt_u32_e64 s19, v2
	s_or_b32 exec_lo, exec_lo, s11
; %bb.190:
	s_or_b32 exec_lo, exec_lo, s10
.LBB712_191:
	s_or_b32 exec_lo, exec_lo, s9
.LBB712_192:
	s_or_b32 exec_lo, exec_lo, s8
.LBB712_193:
	s_or_b32 exec_lo, exec_lo, s7
.LBB712_194:
	s_or_b32 exec_lo, exec_lo, s6
.LBB712_195:
	s_or_b32 exec_lo, exec_lo, s5
.LBB712_196:
	s_or_b32 exec_lo, exec_lo, s4
.LBB712_197:
	s_or_b32 exec_lo, exec_lo, s3
.LBB712_198:
	s_or_b32 exec_lo, exec_lo, s1
	v_lshlrev_b32_e32 v31, 3, v1
	s_waitcnt lgkmcnt(0)
	s_waitcnt_vscnt null, 0x0
	s_barrier
	buffer_gl0_inv
	v_add_co_u32 v27, s1, s0, v59
	v_mad_i32_i24 v1, 0xffffffa0, v0, v31
	ds_write2_b64 v31, v[57:58], v[25:26] offset1:1
	ds_write2_b64 v31, v[29:30], v[33:34] offset0:2 offset1:3
	ds_write2_b64 v31, v[37:38], v[41:42] offset0:4 offset1:5
	ds_write2_b64 v31, v[43:44], v[45:46] offset0:6 offset1:7
	ds_write2_b64 v31, v[47:48], v[49:50] offset0:8 offset1:9
	ds_write2_b64 v31, v[51:52], v[53:54] offset0:10 offset1:11
	ds_write_b64 v31, v[55:56] offset:96
	s_waitcnt lgkmcnt(0)
	s_barrier
	buffer_gl0_inv
	ds_read2st64_b64 v[21:24], v1 offset0:4 offset1:8
	ds_read2st64_b64 v[17:20], v1 offset0:12 offset1:16
	;; [unrolled: 1-line block ×6, first 2 shown]
	v_add_co_ci_u32_e64 v28, null, s2, 0, s1
	s_mov_b32 s1, exec_lo
	v_cmpx_gt_u32_e64 s19, v0
	s_cbranch_execz .LBB712_200
; %bb.199:
	v_mul_i32_i24_e32 v32, 0xffffffa0, v0
	v_add_nc_u32_e32 v31, v31, v32
	ds_read_b64 v[31:32], v31
	s_waitcnt lgkmcnt(0)
	flat_store_dwordx2 v[27:28], v[31:32]
.LBB712_200:
	s_or_b32 exec_lo, exec_lo, s1
	v_or_b32_e32 v31, 0x100, v0
	s_mov_b32 s1, exec_lo
	v_cmpx_gt_u32_e64 s19, v31
	s_cbranch_execz .LBB712_202
; %bb.201:
	v_add_co_u32 v31, vcc_lo, 0x800, v27
	v_add_co_ci_u32_e64 v32, null, 0, v28, vcc_lo
	s_waitcnt lgkmcnt(5)
	flat_store_dwordx2 v[31:32], v[21:22]
.LBB712_202:
	s_or_b32 exec_lo, exec_lo, s1
	s_waitcnt lgkmcnt(5)
	v_or_b32_e32 v21, 0x200, v0
	s_mov_b32 s1, exec_lo
	v_cmpx_gt_u32_e64 s19, v21
	s_cbranch_execz .LBB712_204
; %bb.203:
	v_add_co_u32 v21, vcc_lo, 0x1000, v27
	v_add_co_ci_u32_e64 v22, null, 0, v28, vcc_lo
	flat_store_dwordx2 v[21:22], v[23:24]
.LBB712_204:
	s_or_b32 exec_lo, exec_lo, s1
	v_or_b32_e32 v21, 0x300, v0
	s_mov_b32 s1, exec_lo
	v_cmpx_gt_u32_e64 s19, v21
	s_cbranch_execz .LBB712_206
; %bb.205:
	v_add_co_u32 v21, vcc_lo, 0x1800, v27
	v_add_co_ci_u32_e64 v22, null, 0, v28, vcc_lo
	s_waitcnt lgkmcnt(4)
	flat_store_dwordx2 v[21:22], v[17:18]
.LBB712_206:
	s_or_b32 exec_lo, exec_lo, s1
	s_waitcnt lgkmcnt(4)
	v_or_b32_e32 v17, 0x400, v0
	s_mov_b32 s1, exec_lo
	v_cmpx_gt_u32_e64 s19, v17
	s_cbranch_execz .LBB712_208
; %bb.207:
	v_add_co_u32 v17, vcc_lo, 0x2000, v27
	v_add_co_ci_u32_e64 v18, null, 0, v28, vcc_lo
	flat_store_dwordx2 v[17:18], v[19:20]
.LBB712_208:
	s_or_b32 exec_lo, exec_lo, s1
	v_or_b32_e32 v17, 0x500, v0
	s_mov_b32 s1, exec_lo
	v_cmpx_gt_u32_e64 s19, v17
	s_cbranch_execz .LBB712_210
; %bb.209:
	v_add_co_u32 v17, vcc_lo, 0x2800, v27
	v_add_co_ci_u32_e64 v18, null, 0, v28, vcc_lo
	s_waitcnt lgkmcnt(3)
	flat_store_dwordx2 v[17:18], v[13:14]
.LBB712_210:
	s_or_b32 exec_lo, exec_lo, s1
	s_waitcnt lgkmcnt(3)
	v_or_b32_e32 v13, 0x600, v0
	s_mov_b32 s1, exec_lo
	v_cmpx_gt_u32_e64 s19, v13
	s_cbranch_execz .LBB712_212
; %bb.211:
	v_add_co_u32 v13, vcc_lo, 0x3000, v27
	v_add_co_ci_u32_e64 v14, null, 0, v28, vcc_lo
	flat_store_dwordx2 v[13:14], v[15:16]
.LBB712_212:
	s_or_b32 exec_lo, exec_lo, s1
	v_or_b32_e32 v13, 0x700, v0
	s_mov_b32 s1, exec_lo
	v_cmpx_gt_u32_e64 s19, v13
	s_cbranch_execz .LBB712_214
; %bb.213:
	v_add_co_u32 v13, vcc_lo, 0x3800, v27
	v_add_co_ci_u32_e64 v14, null, 0, v28, vcc_lo
	s_waitcnt lgkmcnt(2)
	flat_store_dwordx2 v[13:14], v[9:10]
.LBB712_214:
	s_or_b32 exec_lo, exec_lo, s1
	s_waitcnt lgkmcnt(2)
	v_or_b32_e32 v9, 0x800, v0
	s_mov_b32 s1, exec_lo
	v_cmpx_gt_u32_e64 s19, v9
	s_cbranch_execz .LBB712_216
; %bb.215:
	v_add_co_u32 v9, vcc_lo, 0x4000, v27
	v_add_co_ci_u32_e64 v10, null, 0, v28, vcc_lo
	flat_store_dwordx2 v[9:10], v[11:12]
.LBB712_216:
	s_or_b32 exec_lo, exec_lo, s1
	v_or_b32_e32 v9, 0x900, v0
	s_mov_b32 s1, exec_lo
	v_cmpx_gt_u32_e64 s19, v9
	s_cbranch_execz .LBB712_218
; %bb.217:
	v_add_co_u32 v9, vcc_lo, 0x4800, v27
	v_add_co_ci_u32_e64 v10, null, 0, v28, vcc_lo
	s_waitcnt lgkmcnt(1)
	flat_store_dwordx2 v[9:10], v[5:6]
.LBB712_218:
	s_or_b32 exec_lo, exec_lo, s1
	s_waitcnt lgkmcnt(1)
	v_or_b32_e32 v5, 0xa00, v0
	s_mov_b32 s1, exec_lo
	v_cmpx_gt_u32_e64 s19, v5
	s_cbranch_execz .LBB712_220
; %bb.219:
	v_add_co_u32 v5, vcc_lo, 0x5000, v27
	v_add_co_ci_u32_e64 v6, null, 0, v28, vcc_lo
	flat_store_dwordx2 v[5:6], v[7:8]
.LBB712_220:
	s_or_b32 exec_lo, exec_lo, s1
	v_or_b32_e32 v5, 0xb00, v0
	s_mov_b32 s1, exec_lo
	v_cmpx_gt_u32_e64 s19, v5
	s_cbranch_execz .LBB712_222
; %bb.221:
	v_add_co_u32 v5, vcc_lo, 0x5800, v27
	v_add_co_ci_u32_e64 v6, null, 0, v28, vcc_lo
	s_waitcnt lgkmcnt(0)
	flat_store_dwordx2 v[5:6], v[1:2]
.LBB712_222:
	s_or_b32 exec_lo, exec_lo, s1
	s_waitcnt lgkmcnt(0)
	v_or_b32_e32 v1, 0xc00, v0
	v_cmp_gt_u32_e64 s1, s19, v1
	s_branch .LBB712_225
.LBB712_223:
	s_mov_b32 s1, 0
                                        ; implicit-def: $vgpr3_vgpr4
	s_cbranch_execz .LBB712_225
; %bb.224:
	v_mul_i32_i24_e32 v2, 0xffffffa0, v0
	v_mul_u32_u24_e32 v1, 0x68, v0
	s_waitcnt lgkmcnt(0)
	s_waitcnt_vscnt null, 0x0
	s_barrier
	buffer_gl0_inv
	v_mad_u32_u24 v3, 0x68, v0, v2
	ds_write2_b64 v1, v[57:58], v[25:26] offset1:1
	ds_write2_b64 v1, v[29:30], v[33:34] offset0:2 offset1:3
	ds_write2_b64 v1, v[37:38], v[41:42] offset0:4 offset1:5
	;; [unrolled: 1-line block ×5, first 2 shown]
	ds_write_b64 v1, v[55:56] offset:96
	s_waitcnt lgkmcnt(0)
	s_barrier
	buffer_gl0_inv
	ds_read2st64_b64 v[5:8], v3 offset1:4
	ds_read2st64_b64 v[9:12], v3 offset0:8 offset1:12
	ds_read2st64_b64 v[13:16], v3 offset0:16 offset1:20
	;; [unrolled: 1-line block ×3, first 2 shown]
	v_add_co_u32 v1, s3, s0, v59
	v_add_co_ci_u32_e64 v2, null, s2, 0, s3
	ds_read2st64_b64 v[21:24], v3 offset0:32 offset1:36
	v_add_co_u32 v29, vcc_lo, 0x800, v1
	v_add_co_ci_u32_e64 v30, null, 0, v2, vcc_lo
	v_add_co_u32 v31, vcc_lo, 0x1000, v1
	v_add_co_ci_u32_e64 v32, null, 0, v2, vcc_lo
	ds_read2st64_b64 v[25:28], v3 offset0:40 offset1:44
	ds_read_b64 v[3:4], v3 offset:24576
	s_or_b32 s1, s1, exec_lo
	s_waitcnt lgkmcnt(6)
	flat_store_dwordx2 v[1:2], v[5:6]
	flat_store_dwordx2 v[29:30], v[7:8]
	s_waitcnt lgkmcnt(7)
	flat_store_dwordx2 v[31:32], v[9:10]
	v_add_co_u32 v5, vcc_lo, 0x1800, v1
	v_add_co_ci_u32_e64 v6, null, 0, v2, vcc_lo
	v_add_co_u32 v7, vcc_lo, 0x2000, v1
	v_add_co_ci_u32_e64 v8, null, 0, v2, vcc_lo
	;; [unrolled: 2-line block ×5, first 2 shown]
	flat_store_dwordx2 v[5:6], v[11:12]
	s_waitcnt lgkmcnt(8)
	flat_store_dwordx2 v[7:8], v[13:14]
	flat_store_dwordx2 v[9:10], v[15:16]
	s_waitcnt lgkmcnt(9)
	flat_store_dwordx2 v[29:30], v[17:18]
	flat_store_dwordx2 v[31:32], v[19:20]
	v_add_co_u32 v5, vcc_lo, 0x4000, v1
	v_add_co_ci_u32_e64 v6, null, 0, v2, vcc_lo
	v_add_co_u32 v7, vcc_lo, 0x4800, v1
	v_add_co_ci_u32_e64 v8, null, 0, v2, vcc_lo
	;; [unrolled: 2-line block ×4, first 2 shown]
	s_waitcnt lgkmcnt(10)
	flat_store_dwordx2 v[5:6], v[21:22]
	flat_store_dwordx2 v[7:8], v[23:24]
	s_waitcnt lgkmcnt(11)
	flat_store_dwordx2 v[9:10], v[25:26]
	flat_store_dwordx2 v[1:2], v[27:28]
.LBB712_225:
	s_and_saveexec_b32 s3, s1
	s_cbranch_execz .LBB712_227
; %bb.226:
	v_lshlrev_b32_e32 v0, 3, v0
	v_add_co_u32 v0, s0, s0, v0
	v_add_co_ci_u32_e64 v1, null, s2, 0, s0
	v_add_co_u32 v0, vcc_lo, 0x6000, v0
	v_add_co_ci_u32_e64 v1, null, 0, v1, vcc_lo
	s_waitcnt lgkmcnt(12)
	flat_store_dwordx2 v[0:1], v[3:4]
	s_endpgm
.LBB712_227:
	s_endpgm
	.section	.rodata,"a",@progbits
	.p2align	6, 0x0
	.amdhsa_kernel _ZN7rocprim17ROCPRIM_400000_NS6detail17trampoline_kernelINS0_14default_configENS1_27scan_by_key_config_selectorIxxEEZZNS1_16scan_by_key_implILNS1_25lookback_scan_determinismE0ELb0ES3_N6thrust23THRUST_200600_302600_NS6detail15normal_iteratorINS9_10device_ptrIxEEEESE_SE_xNS9_4plusIxEE19head_flag_predicatexEE10hipError_tPvRmT2_T3_T4_T5_mT6_T7_P12ihipStream_tbENKUlT_T0_E_clISt17integral_constantIbLb0EESX_IbLb1EEEEDaST_SU_EUlST_E_NS1_11comp_targetILNS1_3genE8ELNS1_11target_archE1030ELNS1_3gpuE2ELNS1_3repE0EEENS1_30default_config_static_selectorELNS0_4arch9wavefront6targetE0EEEvT1_
		.amdhsa_group_segment_fixed_size 30720
		.amdhsa_private_segment_fixed_size 0
		.amdhsa_kernarg_size 136
		.amdhsa_user_sgpr_count 6
		.amdhsa_user_sgpr_private_segment_buffer 1
		.amdhsa_user_sgpr_dispatch_ptr 0
		.amdhsa_user_sgpr_queue_ptr 0
		.amdhsa_user_sgpr_kernarg_segment_ptr 1
		.amdhsa_user_sgpr_dispatch_id 0
		.amdhsa_user_sgpr_flat_scratch_init 0
		.amdhsa_user_sgpr_private_segment_size 0
		.amdhsa_wavefront_size32 1
		.amdhsa_uses_dynamic_stack 0
		.amdhsa_system_sgpr_private_segment_wavefront_offset 0
		.amdhsa_system_sgpr_workgroup_id_x 1
		.amdhsa_system_sgpr_workgroup_id_y 0
		.amdhsa_system_sgpr_workgroup_id_z 0
		.amdhsa_system_sgpr_workgroup_info 0
		.amdhsa_system_vgpr_workitem_id 0
		.amdhsa_next_free_vgpr 113
		.amdhsa_next_free_sgpr 53
		.amdhsa_reserve_vcc 1
		.amdhsa_reserve_flat_scratch 1
		.amdhsa_float_round_mode_32 0
		.amdhsa_float_round_mode_16_64 0
		.amdhsa_float_denorm_mode_32 3
		.amdhsa_float_denorm_mode_16_64 3
		.amdhsa_dx10_clamp 1
		.amdhsa_ieee_mode 1
		.amdhsa_fp16_overflow 0
		.amdhsa_workgroup_processor_mode 1
		.amdhsa_memory_ordered 1
		.amdhsa_forward_progress 1
		.amdhsa_shared_vgpr_count 0
		.amdhsa_exception_fp_ieee_invalid_op 0
		.amdhsa_exception_fp_denorm_src 0
		.amdhsa_exception_fp_ieee_div_zero 0
		.amdhsa_exception_fp_ieee_overflow 0
		.amdhsa_exception_fp_ieee_underflow 0
		.amdhsa_exception_fp_ieee_inexact 0
		.amdhsa_exception_int_div_zero 0
	.end_amdhsa_kernel
	.section	.text._ZN7rocprim17ROCPRIM_400000_NS6detail17trampoline_kernelINS0_14default_configENS1_27scan_by_key_config_selectorIxxEEZZNS1_16scan_by_key_implILNS1_25lookback_scan_determinismE0ELb0ES3_N6thrust23THRUST_200600_302600_NS6detail15normal_iteratorINS9_10device_ptrIxEEEESE_SE_xNS9_4plusIxEE19head_flag_predicatexEE10hipError_tPvRmT2_T3_T4_T5_mT6_T7_P12ihipStream_tbENKUlT_T0_E_clISt17integral_constantIbLb0EESX_IbLb1EEEEDaST_SU_EUlST_E_NS1_11comp_targetILNS1_3genE8ELNS1_11target_archE1030ELNS1_3gpuE2ELNS1_3repE0EEENS1_30default_config_static_selectorELNS0_4arch9wavefront6targetE0EEEvT1_,"axG",@progbits,_ZN7rocprim17ROCPRIM_400000_NS6detail17trampoline_kernelINS0_14default_configENS1_27scan_by_key_config_selectorIxxEEZZNS1_16scan_by_key_implILNS1_25lookback_scan_determinismE0ELb0ES3_N6thrust23THRUST_200600_302600_NS6detail15normal_iteratorINS9_10device_ptrIxEEEESE_SE_xNS9_4plusIxEE19head_flag_predicatexEE10hipError_tPvRmT2_T3_T4_T5_mT6_T7_P12ihipStream_tbENKUlT_T0_E_clISt17integral_constantIbLb0EESX_IbLb1EEEEDaST_SU_EUlST_E_NS1_11comp_targetILNS1_3genE8ELNS1_11target_archE1030ELNS1_3gpuE2ELNS1_3repE0EEENS1_30default_config_static_selectorELNS0_4arch9wavefront6targetE0EEEvT1_,comdat
.Lfunc_end712:
	.size	_ZN7rocprim17ROCPRIM_400000_NS6detail17trampoline_kernelINS0_14default_configENS1_27scan_by_key_config_selectorIxxEEZZNS1_16scan_by_key_implILNS1_25lookback_scan_determinismE0ELb0ES3_N6thrust23THRUST_200600_302600_NS6detail15normal_iteratorINS9_10device_ptrIxEEEESE_SE_xNS9_4plusIxEE19head_flag_predicatexEE10hipError_tPvRmT2_T3_T4_T5_mT6_T7_P12ihipStream_tbENKUlT_T0_E_clISt17integral_constantIbLb0EESX_IbLb1EEEEDaST_SU_EUlST_E_NS1_11comp_targetILNS1_3genE8ELNS1_11target_archE1030ELNS1_3gpuE2ELNS1_3repE0EEENS1_30default_config_static_selectorELNS0_4arch9wavefront6targetE0EEEvT1_, .Lfunc_end712-_ZN7rocprim17ROCPRIM_400000_NS6detail17trampoline_kernelINS0_14default_configENS1_27scan_by_key_config_selectorIxxEEZZNS1_16scan_by_key_implILNS1_25lookback_scan_determinismE0ELb0ES3_N6thrust23THRUST_200600_302600_NS6detail15normal_iteratorINS9_10device_ptrIxEEEESE_SE_xNS9_4plusIxEE19head_flag_predicatexEE10hipError_tPvRmT2_T3_T4_T5_mT6_T7_P12ihipStream_tbENKUlT_T0_E_clISt17integral_constantIbLb0EESX_IbLb1EEEEDaST_SU_EUlST_E_NS1_11comp_targetILNS1_3genE8ELNS1_11target_archE1030ELNS1_3gpuE2ELNS1_3repE0EEENS1_30default_config_static_selectorELNS0_4arch9wavefront6targetE0EEEvT1_
                                        ; -- End function
	.set _ZN7rocprim17ROCPRIM_400000_NS6detail17trampoline_kernelINS0_14default_configENS1_27scan_by_key_config_selectorIxxEEZZNS1_16scan_by_key_implILNS1_25lookback_scan_determinismE0ELb0ES3_N6thrust23THRUST_200600_302600_NS6detail15normal_iteratorINS9_10device_ptrIxEEEESE_SE_xNS9_4plusIxEE19head_flag_predicatexEE10hipError_tPvRmT2_T3_T4_T5_mT6_T7_P12ihipStream_tbENKUlT_T0_E_clISt17integral_constantIbLb0EESX_IbLb1EEEEDaST_SU_EUlST_E_NS1_11comp_targetILNS1_3genE8ELNS1_11target_archE1030ELNS1_3gpuE2ELNS1_3repE0EEENS1_30default_config_static_selectorELNS0_4arch9wavefront6targetE0EEEvT1_.num_vgpr, 100
	.set _ZN7rocprim17ROCPRIM_400000_NS6detail17trampoline_kernelINS0_14default_configENS1_27scan_by_key_config_selectorIxxEEZZNS1_16scan_by_key_implILNS1_25lookback_scan_determinismE0ELb0ES3_N6thrust23THRUST_200600_302600_NS6detail15normal_iteratorINS9_10device_ptrIxEEEESE_SE_xNS9_4plusIxEE19head_flag_predicatexEE10hipError_tPvRmT2_T3_T4_T5_mT6_T7_P12ihipStream_tbENKUlT_T0_E_clISt17integral_constantIbLb0EESX_IbLb1EEEEDaST_SU_EUlST_E_NS1_11comp_targetILNS1_3genE8ELNS1_11target_archE1030ELNS1_3gpuE2ELNS1_3repE0EEENS1_30default_config_static_selectorELNS0_4arch9wavefront6targetE0EEEvT1_.num_agpr, 0
	.set _ZN7rocprim17ROCPRIM_400000_NS6detail17trampoline_kernelINS0_14default_configENS1_27scan_by_key_config_selectorIxxEEZZNS1_16scan_by_key_implILNS1_25lookback_scan_determinismE0ELb0ES3_N6thrust23THRUST_200600_302600_NS6detail15normal_iteratorINS9_10device_ptrIxEEEESE_SE_xNS9_4plusIxEE19head_flag_predicatexEE10hipError_tPvRmT2_T3_T4_T5_mT6_T7_P12ihipStream_tbENKUlT_T0_E_clISt17integral_constantIbLb0EESX_IbLb1EEEEDaST_SU_EUlST_E_NS1_11comp_targetILNS1_3genE8ELNS1_11target_archE1030ELNS1_3gpuE2ELNS1_3repE0EEENS1_30default_config_static_selectorELNS0_4arch9wavefront6targetE0EEEvT1_.numbered_sgpr, 53
	.set _ZN7rocprim17ROCPRIM_400000_NS6detail17trampoline_kernelINS0_14default_configENS1_27scan_by_key_config_selectorIxxEEZZNS1_16scan_by_key_implILNS1_25lookback_scan_determinismE0ELb0ES3_N6thrust23THRUST_200600_302600_NS6detail15normal_iteratorINS9_10device_ptrIxEEEESE_SE_xNS9_4plusIxEE19head_flag_predicatexEE10hipError_tPvRmT2_T3_T4_T5_mT6_T7_P12ihipStream_tbENKUlT_T0_E_clISt17integral_constantIbLb0EESX_IbLb1EEEEDaST_SU_EUlST_E_NS1_11comp_targetILNS1_3genE8ELNS1_11target_archE1030ELNS1_3gpuE2ELNS1_3repE0EEENS1_30default_config_static_selectorELNS0_4arch9wavefront6targetE0EEEvT1_.num_named_barrier, 0
	.set _ZN7rocprim17ROCPRIM_400000_NS6detail17trampoline_kernelINS0_14default_configENS1_27scan_by_key_config_selectorIxxEEZZNS1_16scan_by_key_implILNS1_25lookback_scan_determinismE0ELb0ES3_N6thrust23THRUST_200600_302600_NS6detail15normal_iteratorINS9_10device_ptrIxEEEESE_SE_xNS9_4plusIxEE19head_flag_predicatexEE10hipError_tPvRmT2_T3_T4_T5_mT6_T7_P12ihipStream_tbENKUlT_T0_E_clISt17integral_constantIbLb0EESX_IbLb1EEEEDaST_SU_EUlST_E_NS1_11comp_targetILNS1_3genE8ELNS1_11target_archE1030ELNS1_3gpuE2ELNS1_3repE0EEENS1_30default_config_static_selectorELNS0_4arch9wavefront6targetE0EEEvT1_.private_seg_size, 0
	.set _ZN7rocprim17ROCPRIM_400000_NS6detail17trampoline_kernelINS0_14default_configENS1_27scan_by_key_config_selectorIxxEEZZNS1_16scan_by_key_implILNS1_25lookback_scan_determinismE0ELb0ES3_N6thrust23THRUST_200600_302600_NS6detail15normal_iteratorINS9_10device_ptrIxEEEESE_SE_xNS9_4plusIxEE19head_flag_predicatexEE10hipError_tPvRmT2_T3_T4_T5_mT6_T7_P12ihipStream_tbENKUlT_T0_E_clISt17integral_constantIbLb0EESX_IbLb1EEEEDaST_SU_EUlST_E_NS1_11comp_targetILNS1_3genE8ELNS1_11target_archE1030ELNS1_3gpuE2ELNS1_3repE0EEENS1_30default_config_static_selectorELNS0_4arch9wavefront6targetE0EEEvT1_.uses_vcc, 1
	.set _ZN7rocprim17ROCPRIM_400000_NS6detail17trampoline_kernelINS0_14default_configENS1_27scan_by_key_config_selectorIxxEEZZNS1_16scan_by_key_implILNS1_25lookback_scan_determinismE0ELb0ES3_N6thrust23THRUST_200600_302600_NS6detail15normal_iteratorINS9_10device_ptrIxEEEESE_SE_xNS9_4plusIxEE19head_flag_predicatexEE10hipError_tPvRmT2_T3_T4_T5_mT6_T7_P12ihipStream_tbENKUlT_T0_E_clISt17integral_constantIbLb0EESX_IbLb1EEEEDaST_SU_EUlST_E_NS1_11comp_targetILNS1_3genE8ELNS1_11target_archE1030ELNS1_3gpuE2ELNS1_3repE0EEENS1_30default_config_static_selectorELNS0_4arch9wavefront6targetE0EEEvT1_.uses_flat_scratch, 1
	.set _ZN7rocprim17ROCPRIM_400000_NS6detail17trampoline_kernelINS0_14default_configENS1_27scan_by_key_config_selectorIxxEEZZNS1_16scan_by_key_implILNS1_25lookback_scan_determinismE0ELb0ES3_N6thrust23THRUST_200600_302600_NS6detail15normal_iteratorINS9_10device_ptrIxEEEESE_SE_xNS9_4plusIxEE19head_flag_predicatexEE10hipError_tPvRmT2_T3_T4_T5_mT6_T7_P12ihipStream_tbENKUlT_T0_E_clISt17integral_constantIbLb0EESX_IbLb1EEEEDaST_SU_EUlST_E_NS1_11comp_targetILNS1_3genE8ELNS1_11target_archE1030ELNS1_3gpuE2ELNS1_3repE0EEENS1_30default_config_static_selectorELNS0_4arch9wavefront6targetE0EEEvT1_.has_dyn_sized_stack, 0
	.set _ZN7rocprim17ROCPRIM_400000_NS6detail17trampoline_kernelINS0_14default_configENS1_27scan_by_key_config_selectorIxxEEZZNS1_16scan_by_key_implILNS1_25lookback_scan_determinismE0ELb0ES3_N6thrust23THRUST_200600_302600_NS6detail15normal_iteratorINS9_10device_ptrIxEEEESE_SE_xNS9_4plusIxEE19head_flag_predicatexEE10hipError_tPvRmT2_T3_T4_T5_mT6_T7_P12ihipStream_tbENKUlT_T0_E_clISt17integral_constantIbLb0EESX_IbLb1EEEEDaST_SU_EUlST_E_NS1_11comp_targetILNS1_3genE8ELNS1_11target_archE1030ELNS1_3gpuE2ELNS1_3repE0EEENS1_30default_config_static_selectorELNS0_4arch9wavefront6targetE0EEEvT1_.has_recursion, 0
	.set _ZN7rocprim17ROCPRIM_400000_NS6detail17trampoline_kernelINS0_14default_configENS1_27scan_by_key_config_selectorIxxEEZZNS1_16scan_by_key_implILNS1_25lookback_scan_determinismE0ELb0ES3_N6thrust23THRUST_200600_302600_NS6detail15normal_iteratorINS9_10device_ptrIxEEEESE_SE_xNS9_4plusIxEE19head_flag_predicatexEE10hipError_tPvRmT2_T3_T4_T5_mT6_T7_P12ihipStream_tbENKUlT_T0_E_clISt17integral_constantIbLb0EESX_IbLb1EEEEDaST_SU_EUlST_E_NS1_11comp_targetILNS1_3genE8ELNS1_11target_archE1030ELNS1_3gpuE2ELNS1_3repE0EEENS1_30default_config_static_selectorELNS0_4arch9wavefront6targetE0EEEvT1_.has_indirect_call, 0
	.section	.AMDGPU.csdata,"",@progbits
; Kernel info:
; codeLenInByte = 14964
; TotalNumSgprs: 55
; NumVgprs: 100
; ScratchSize: 0
; MemoryBound: 0
; FloatMode: 240
; IeeeMode: 1
; LDSByteSize: 30720 bytes/workgroup (compile time only)
; SGPRBlocks: 0
; VGPRBlocks: 14
; NumSGPRsForWavesPerEU: 55
; NumVGPRsForWavesPerEU: 113
; Occupancy: 8
; WaveLimiterHint : 1
; COMPUTE_PGM_RSRC2:SCRATCH_EN: 0
; COMPUTE_PGM_RSRC2:USER_SGPR: 6
; COMPUTE_PGM_RSRC2:TRAP_HANDLER: 0
; COMPUTE_PGM_RSRC2:TGID_X_EN: 1
; COMPUTE_PGM_RSRC2:TGID_Y_EN: 0
; COMPUTE_PGM_RSRC2:TGID_Z_EN: 0
; COMPUTE_PGM_RSRC2:TIDIG_COMP_CNT: 0
	.section	.text._ZN7rocprim17ROCPRIM_400000_NS6detail17trampoline_kernelINS0_14default_configENS1_27scan_by_key_config_selectorIxxEEZZNS1_16scan_by_key_implILNS1_25lookback_scan_determinismE0ELb1ES3_N6thrust23THRUST_200600_302600_NS6detail15normal_iteratorINS9_10device_ptrIxEEEESE_SE_xNS9_4plusIxEE19head_flag_predicatexEE10hipError_tPvRmT2_T3_T4_T5_mT6_T7_P12ihipStream_tbENKUlT_T0_E_clISt17integral_constantIbLb0EESY_EEDaST_SU_EUlST_E_NS1_11comp_targetILNS1_3genE0ELNS1_11target_archE4294967295ELNS1_3gpuE0ELNS1_3repE0EEENS1_30default_config_static_selectorELNS0_4arch9wavefront6targetE0EEEvT1_,"axG",@progbits,_ZN7rocprim17ROCPRIM_400000_NS6detail17trampoline_kernelINS0_14default_configENS1_27scan_by_key_config_selectorIxxEEZZNS1_16scan_by_key_implILNS1_25lookback_scan_determinismE0ELb1ES3_N6thrust23THRUST_200600_302600_NS6detail15normal_iteratorINS9_10device_ptrIxEEEESE_SE_xNS9_4plusIxEE19head_flag_predicatexEE10hipError_tPvRmT2_T3_T4_T5_mT6_T7_P12ihipStream_tbENKUlT_T0_E_clISt17integral_constantIbLb0EESY_EEDaST_SU_EUlST_E_NS1_11comp_targetILNS1_3genE0ELNS1_11target_archE4294967295ELNS1_3gpuE0ELNS1_3repE0EEENS1_30default_config_static_selectorELNS0_4arch9wavefront6targetE0EEEvT1_,comdat
	.protected	_ZN7rocprim17ROCPRIM_400000_NS6detail17trampoline_kernelINS0_14default_configENS1_27scan_by_key_config_selectorIxxEEZZNS1_16scan_by_key_implILNS1_25lookback_scan_determinismE0ELb1ES3_N6thrust23THRUST_200600_302600_NS6detail15normal_iteratorINS9_10device_ptrIxEEEESE_SE_xNS9_4plusIxEE19head_flag_predicatexEE10hipError_tPvRmT2_T3_T4_T5_mT6_T7_P12ihipStream_tbENKUlT_T0_E_clISt17integral_constantIbLb0EESY_EEDaST_SU_EUlST_E_NS1_11comp_targetILNS1_3genE0ELNS1_11target_archE4294967295ELNS1_3gpuE0ELNS1_3repE0EEENS1_30default_config_static_selectorELNS0_4arch9wavefront6targetE0EEEvT1_ ; -- Begin function _ZN7rocprim17ROCPRIM_400000_NS6detail17trampoline_kernelINS0_14default_configENS1_27scan_by_key_config_selectorIxxEEZZNS1_16scan_by_key_implILNS1_25lookback_scan_determinismE0ELb1ES3_N6thrust23THRUST_200600_302600_NS6detail15normal_iteratorINS9_10device_ptrIxEEEESE_SE_xNS9_4plusIxEE19head_flag_predicatexEE10hipError_tPvRmT2_T3_T4_T5_mT6_T7_P12ihipStream_tbENKUlT_T0_E_clISt17integral_constantIbLb0EESY_EEDaST_SU_EUlST_E_NS1_11comp_targetILNS1_3genE0ELNS1_11target_archE4294967295ELNS1_3gpuE0ELNS1_3repE0EEENS1_30default_config_static_selectorELNS0_4arch9wavefront6targetE0EEEvT1_
	.globl	_ZN7rocprim17ROCPRIM_400000_NS6detail17trampoline_kernelINS0_14default_configENS1_27scan_by_key_config_selectorIxxEEZZNS1_16scan_by_key_implILNS1_25lookback_scan_determinismE0ELb1ES3_N6thrust23THRUST_200600_302600_NS6detail15normal_iteratorINS9_10device_ptrIxEEEESE_SE_xNS9_4plusIxEE19head_flag_predicatexEE10hipError_tPvRmT2_T3_T4_T5_mT6_T7_P12ihipStream_tbENKUlT_T0_E_clISt17integral_constantIbLb0EESY_EEDaST_SU_EUlST_E_NS1_11comp_targetILNS1_3genE0ELNS1_11target_archE4294967295ELNS1_3gpuE0ELNS1_3repE0EEENS1_30default_config_static_selectorELNS0_4arch9wavefront6targetE0EEEvT1_
	.p2align	8
	.type	_ZN7rocprim17ROCPRIM_400000_NS6detail17trampoline_kernelINS0_14default_configENS1_27scan_by_key_config_selectorIxxEEZZNS1_16scan_by_key_implILNS1_25lookback_scan_determinismE0ELb1ES3_N6thrust23THRUST_200600_302600_NS6detail15normal_iteratorINS9_10device_ptrIxEEEESE_SE_xNS9_4plusIxEE19head_flag_predicatexEE10hipError_tPvRmT2_T3_T4_T5_mT6_T7_P12ihipStream_tbENKUlT_T0_E_clISt17integral_constantIbLb0EESY_EEDaST_SU_EUlST_E_NS1_11comp_targetILNS1_3genE0ELNS1_11target_archE4294967295ELNS1_3gpuE0ELNS1_3repE0EEENS1_30default_config_static_selectorELNS0_4arch9wavefront6targetE0EEEvT1_,@function
_ZN7rocprim17ROCPRIM_400000_NS6detail17trampoline_kernelINS0_14default_configENS1_27scan_by_key_config_selectorIxxEEZZNS1_16scan_by_key_implILNS1_25lookback_scan_determinismE0ELb1ES3_N6thrust23THRUST_200600_302600_NS6detail15normal_iteratorINS9_10device_ptrIxEEEESE_SE_xNS9_4plusIxEE19head_flag_predicatexEE10hipError_tPvRmT2_T3_T4_T5_mT6_T7_P12ihipStream_tbENKUlT_T0_E_clISt17integral_constantIbLb0EESY_EEDaST_SU_EUlST_E_NS1_11comp_targetILNS1_3genE0ELNS1_11target_archE4294967295ELNS1_3gpuE0ELNS1_3repE0EEENS1_30default_config_static_selectorELNS0_4arch9wavefront6targetE0EEEvT1_: ; @_ZN7rocprim17ROCPRIM_400000_NS6detail17trampoline_kernelINS0_14default_configENS1_27scan_by_key_config_selectorIxxEEZZNS1_16scan_by_key_implILNS1_25lookback_scan_determinismE0ELb1ES3_N6thrust23THRUST_200600_302600_NS6detail15normal_iteratorINS9_10device_ptrIxEEEESE_SE_xNS9_4plusIxEE19head_flag_predicatexEE10hipError_tPvRmT2_T3_T4_T5_mT6_T7_P12ihipStream_tbENKUlT_T0_E_clISt17integral_constantIbLb0EESY_EEDaST_SU_EUlST_E_NS1_11comp_targetILNS1_3genE0ELNS1_11target_archE4294967295ELNS1_3gpuE0ELNS1_3repE0EEENS1_30default_config_static_selectorELNS0_4arch9wavefront6targetE0EEEvT1_
; %bb.0:
	.section	.rodata,"a",@progbits
	.p2align	6, 0x0
	.amdhsa_kernel _ZN7rocprim17ROCPRIM_400000_NS6detail17trampoline_kernelINS0_14default_configENS1_27scan_by_key_config_selectorIxxEEZZNS1_16scan_by_key_implILNS1_25lookback_scan_determinismE0ELb1ES3_N6thrust23THRUST_200600_302600_NS6detail15normal_iteratorINS9_10device_ptrIxEEEESE_SE_xNS9_4plusIxEE19head_flag_predicatexEE10hipError_tPvRmT2_T3_T4_T5_mT6_T7_P12ihipStream_tbENKUlT_T0_E_clISt17integral_constantIbLb0EESY_EEDaST_SU_EUlST_E_NS1_11comp_targetILNS1_3genE0ELNS1_11target_archE4294967295ELNS1_3gpuE0ELNS1_3repE0EEENS1_30default_config_static_selectorELNS0_4arch9wavefront6targetE0EEEvT1_
		.amdhsa_group_segment_fixed_size 0
		.amdhsa_private_segment_fixed_size 0
		.amdhsa_kernarg_size 136
		.amdhsa_user_sgpr_count 6
		.amdhsa_user_sgpr_private_segment_buffer 1
		.amdhsa_user_sgpr_dispatch_ptr 0
		.amdhsa_user_sgpr_queue_ptr 0
		.amdhsa_user_sgpr_kernarg_segment_ptr 1
		.amdhsa_user_sgpr_dispatch_id 0
		.amdhsa_user_sgpr_flat_scratch_init 0
		.amdhsa_user_sgpr_private_segment_size 0
		.amdhsa_wavefront_size32 1
		.amdhsa_uses_dynamic_stack 0
		.amdhsa_system_sgpr_private_segment_wavefront_offset 0
		.amdhsa_system_sgpr_workgroup_id_x 1
		.amdhsa_system_sgpr_workgroup_id_y 0
		.amdhsa_system_sgpr_workgroup_id_z 0
		.amdhsa_system_sgpr_workgroup_info 0
		.amdhsa_system_vgpr_workitem_id 0
		.amdhsa_next_free_vgpr 1
		.amdhsa_next_free_sgpr 1
		.amdhsa_reserve_vcc 0
		.amdhsa_reserve_flat_scratch 0
		.amdhsa_float_round_mode_32 0
		.amdhsa_float_round_mode_16_64 0
		.amdhsa_float_denorm_mode_32 3
		.amdhsa_float_denorm_mode_16_64 3
		.amdhsa_dx10_clamp 1
		.amdhsa_ieee_mode 1
		.amdhsa_fp16_overflow 0
		.amdhsa_workgroup_processor_mode 1
		.amdhsa_memory_ordered 1
		.amdhsa_forward_progress 1
		.amdhsa_shared_vgpr_count 0
		.amdhsa_exception_fp_ieee_invalid_op 0
		.amdhsa_exception_fp_denorm_src 0
		.amdhsa_exception_fp_ieee_div_zero 0
		.amdhsa_exception_fp_ieee_overflow 0
		.amdhsa_exception_fp_ieee_underflow 0
		.amdhsa_exception_fp_ieee_inexact 0
		.amdhsa_exception_int_div_zero 0
	.end_amdhsa_kernel
	.section	.text._ZN7rocprim17ROCPRIM_400000_NS6detail17trampoline_kernelINS0_14default_configENS1_27scan_by_key_config_selectorIxxEEZZNS1_16scan_by_key_implILNS1_25lookback_scan_determinismE0ELb1ES3_N6thrust23THRUST_200600_302600_NS6detail15normal_iteratorINS9_10device_ptrIxEEEESE_SE_xNS9_4plusIxEE19head_flag_predicatexEE10hipError_tPvRmT2_T3_T4_T5_mT6_T7_P12ihipStream_tbENKUlT_T0_E_clISt17integral_constantIbLb0EESY_EEDaST_SU_EUlST_E_NS1_11comp_targetILNS1_3genE0ELNS1_11target_archE4294967295ELNS1_3gpuE0ELNS1_3repE0EEENS1_30default_config_static_selectorELNS0_4arch9wavefront6targetE0EEEvT1_,"axG",@progbits,_ZN7rocprim17ROCPRIM_400000_NS6detail17trampoline_kernelINS0_14default_configENS1_27scan_by_key_config_selectorIxxEEZZNS1_16scan_by_key_implILNS1_25lookback_scan_determinismE0ELb1ES3_N6thrust23THRUST_200600_302600_NS6detail15normal_iteratorINS9_10device_ptrIxEEEESE_SE_xNS9_4plusIxEE19head_flag_predicatexEE10hipError_tPvRmT2_T3_T4_T5_mT6_T7_P12ihipStream_tbENKUlT_T0_E_clISt17integral_constantIbLb0EESY_EEDaST_SU_EUlST_E_NS1_11comp_targetILNS1_3genE0ELNS1_11target_archE4294967295ELNS1_3gpuE0ELNS1_3repE0EEENS1_30default_config_static_selectorELNS0_4arch9wavefront6targetE0EEEvT1_,comdat
.Lfunc_end713:
	.size	_ZN7rocprim17ROCPRIM_400000_NS6detail17trampoline_kernelINS0_14default_configENS1_27scan_by_key_config_selectorIxxEEZZNS1_16scan_by_key_implILNS1_25lookback_scan_determinismE0ELb1ES3_N6thrust23THRUST_200600_302600_NS6detail15normal_iteratorINS9_10device_ptrIxEEEESE_SE_xNS9_4plusIxEE19head_flag_predicatexEE10hipError_tPvRmT2_T3_T4_T5_mT6_T7_P12ihipStream_tbENKUlT_T0_E_clISt17integral_constantIbLb0EESY_EEDaST_SU_EUlST_E_NS1_11comp_targetILNS1_3genE0ELNS1_11target_archE4294967295ELNS1_3gpuE0ELNS1_3repE0EEENS1_30default_config_static_selectorELNS0_4arch9wavefront6targetE0EEEvT1_, .Lfunc_end713-_ZN7rocprim17ROCPRIM_400000_NS6detail17trampoline_kernelINS0_14default_configENS1_27scan_by_key_config_selectorIxxEEZZNS1_16scan_by_key_implILNS1_25lookback_scan_determinismE0ELb1ES3_N6thrust23THRUST_200600_302600_NS6detail15normal_iteratorINS9_10device_ptrIxEEEESE_SE_xNS9_4plusIxEE19head_flag_predicatexEE10hipError_tPvRmT2_T3_T4_T5_mT6_T7_P12ihipStream_tbENKUlT_T0_E_clISt17integral_constantIbLb0EESY_EEDaST_SU_EUlST_E_NS1_11comp_targetILNS1_3genE0ELNS1_11target_archE4294967295ELNS1_3gpuE0ELNS1_3repE0EEENS1_30default_config_static_selectorELNS0_4arch9wavefront6targetE0EEEvT1_
                                        ; -- End function
	.set _ZN7rocprim17ROCPRIM_400000_NS6detail17trampoline_kernelINS0_14default_configENS1_27scan_by_key_config_selectorIxxEEZZNS1_16scan_by_key_implILNS1_25lookback_scan_determinismE0ELb1ES3_N6thrust23THRUST_200600_302600_NS6detail15normal_iteratorINS9_10device_ptrIxEEEESE_SE_xNS9_4plusIxEE19head_flag_predicatexEE10hipError_tPvRmT2_T3_T4_T5_mT6_T7_P12ihipStream_tbENKUlT_T0_E_clISt17integral_constantIbLb0EESY_EEDaST_SU_EUlST_E_NS1_11comp_targetILNS1_3genE0ELNS1_11target_archE4294967295ELNS1_3gpuE0ELNS1_3repE0EEENS1_30default_config_static_selectorELNS0_4arch9wavefront6targetE0EEEvT1_.num_vgpr, 0
	.set _ZN7rocprim17ROCPRIM_400000_NS6detail17trampoline_kernelINS0_14default_configENS1_27scan_by_key_config_selectorIxxEEZZNS1_16scan_by_key_implILNS1_25lookback_scan_determinismE0ELb1ES3_N6thrust23THRUST_200600_302600_NS6detail15normal_iteratorINS9_10device_ptrIxEEEESE_SE_xNS9_4plusIxEE19head_flag_predicatexEE10hipError_tPvRmT2_T3_T4_T5_mT6_T7_P12ihipStream_tbENKUlT_T0_E_clISt17integral_constantIbLb0EESY_EEDaST_SU_EUlST_E_NS1_11comp_targetILNS1_3genE0ELNS1_11target_archE4294967295ELNS1_3gpuE0ELNS1_3repE0EEENS1_30default_config_static_selectorELNS0_4arch9wavefront6targetE0EEEvT1_.num_agpr, 0
	.set _ZN7rocprim17ROCPRIM_400000_NS6detail17trampoline_kernelINS0_14default_configENS1_27scan_by_key_config_selectorIxxEEZZNS1_16scan_by_key_implILNS1_25lookback_scan_determinismE0ELb1ES3_N6thrust23THRUST_200600_302600_NS6detail15normal_iteratorINS9_10device_ptrIxEEEESE_SE_xNS9_4plusIxEE19head_flag_predicatexEE10hipError_tPvRmT2_T3_T4_T5_mT6_T7_P12ihipStream_tbENKUlT_T0_E_clISt17integral_constantIbLb0EESY_EEDaST_SU_EUlST_E_NS1_11comp_targetILNS1_3genE0ELNS1_11target_archE4294967295ELNS1_3gpuE0ELNS1_3repE0EEENS1_30default_config_static_selectorELNS0_4arch9wavefront6targetE0EEEvT1_.numbered_sgpr, 0
	.set _ZN7rocprim17ROCPRIM_400000_NS6detail17trampoline_kernelINS0_14default_configENS1_27scan_by_key_config_selectorIxxEEZZNS1_16scan_by_key_implILNS1_25lookback_scan_determinismE0ELb1ES3_N6thrust23THRUST_200600_302600_NS6detail15normal_iteratorINS9_10device_ptrIxEEEESE_SE_xNS9_4plusIxEE19head_flag_predicatexEE10hipError_tPvRmT2_T3_T4_T5_mT6_T7_P12ihipStream_tbENKUlT_T0_E_clISt17integral_constantIbLb0EESY_EEDaST_SU_EUlST_E_NS1_11comp_targetILNS1_3genE0ELNS1_11target_archE4294967295ELNS1_3gpuE0ELNS1_3repE0EEENS1_30default_config_static_selectorELNS0_4arch9wavefront6targetE0EEEvT1_.num_named_barrier, 0
	.set _ZN7rocprim17ROCPRIM_400000_NS6detail17trampoline_kernelINS0_14default_configENS1_27scan_by_key_config_selectorIxxEEZZNS1_16scan_by_key_implILNS1_25lookback_scan_determinismE0ELb1ES3_N6thrust23THRUST_200600_302600_NS6detail15normal_iteratorINS9_10device_ptrIxEEEESE_SE_xNS9_4plusIxEE19head_flag_predicatexEE10hipError_tPvRmT2_T3_T4_T5_mT6_T7_P12ihipStream_tbENKUlT_T0_E_clISt17integral_constantIbLb0EESY_EEDaST_SU_EUlST_E_NS1_11comp_targetILNS1_3genE0ELNS1_11target_archE4294967295ELNS1_3gpuE0ELNS1_3repE0EEENS1_30default_config_static_selectorELNS0_4arch9wavefront6targetE0EEEvT1_.private_seg_size, 0
	.set _ZN7rocprim17ROCPRIM_400000_NS6detail17trampoline_kernelINS0_14default_configENS1_27scan_by_key_config_selectorIxxEEZZNS1_16scan_by_key_implILNS1_25lookback_scan_determinismE0ELb1ES3_N6thrust23THRUST_200600_302600_NS6detail15normal_iteratorINS9_10device_ptrIxEEEESE_SE_xNS9_4plusIxEE19head_flag_predicatexEE10hipError_tPvRmT2_T3_T4_T5_mT6_T7_P12ihipStream_tbENKUlT_T0_E_clISt17integral_constantIbLb0EESY_EEDaST_SU_EUlST_E_NS1_11comp_targetILNS1_3genE0ELNS1_11target_archE4294967295ELNS1_3gpuE0ELNS1_3repE0EEENS1_30default_config_static_selectorELNS0_4arch9wavefront6targetE0EEEvT1_.uses_vcc, 0
	.set _ZN7rocprim17ROCPRIM_400000_NS6detail17trampoline_kernelINS0_14default_configENS1_27scan_by_key_config_selectorIxxEEZZNS1_16scan_by_key_implILNS1_25lookback_scan_determinismE0ELb1ES3_N6thrust23THRUST_200600_302600_NS6detail15normal_iteratorINS9_10device_ptrIxEEEESE_SE_xNS9_4plusIxEE19head_flag_predicatexEE10hipError_tPvRmT2_T3_T4_T5_mT6_T7_P12ihipStream_tbENKUlT_T0_E_clISt17integral_constantIbLb0EESY_EEDaST_SU_EUlST_E_NS1_11comp_targetILNS1_3genE0ELNS1_11target_archE4294967295ELNS1_3gpuE0ELNS1_3repE0EEENS1_30default_config_static_selectorELNS0_4arch9wavefront6targetE0EEEvT1_.uses_flat_scratch, 0
	.set _ZN7rocprim17ROCPRIM_400000_NS6detail17trampoline_kernelINS0_14default_configENS1_27scan_by_key_config_selectorIxxEEZZNS1_16scan_by_key_implILNS1_25lookback_scan_determinismE0ELb1ES3_N6thrust23THRUST_200600_302600_NS6detail15normal_iteratorINS9_10device_ptrIxEEEESE_SE_xNS9_4plusIxEE19head_flag_predicatexEE10hipError_tPvRmT2_T3_T4_T5_mT6_T7_P12ihipStream_tbENKUlT_T0_E_clISt17integral_constantIbLb0EESY_EEDaST_SU_EUlST_E_NS1_11comp_targetILNS1_3genE0ELNS1_11target_archE4294967295ELNS1_3gpuE0ELNS1_3repE0EEENS1_30default_config_static_selectorELNS0_4arch9wavefront6targetE0EEEvT1_.has_dyn_sized_stack, 0
	.set _ZN7rocprim17ROCPRIM_400000_NS6detail17trampoline_kernelINS0_14default_configENS1_27scan_by_key_config_selectorIxxEEZZNS1_16scan_by_key_implILNS1_25lookback_scan_determinismE0ELb1ES3_N6thrust23THRUST_200600_302600_NS6detail15normal_iteratorINS9_10device_ptrIxEEEESE_SE_xNS9_4plusIxEE19head_flag_predicatexEE10hipError_tPvRmT2_T3_T4_T5_mT6_T7_P12ihipStream_tbENKUlT_T0_E_clISt17integral_constantIbLb0EESY_EEDaST_SU_EUlST_E_NS1_11comp_targetILNS1_3genE0ELNS1_11target_archE4294967295ELNS1_3gpuE0ELNS1_3repE0EEENS1_30default_config_static_selectorELNS0_4arch9wavefront6targetE0EEEvT1_.has_recursion, 0
	.set _ZN7rocprim17ROCPRIM_400000_NS6detail17trampoline_kernelINS0_14default_configENS1_27scan_by_key_config_selectorIxxEEZZNS1_16scan_by_key_implILNS1_25lookback_scan_determinismE0ELb1ES3_N6thrust23THRUST_200600_302600_NS6detail15normal_iteratorINS9_10device_ptrIxEEEESE_SE_xNS9_4plusIxEE19head_flag_predicatexEE10hipError_tPvRmT2_T3_T4_T5_mT6_T7_P12ihipStream_tbENKUlT_T0_E_clISt17integral_constantIbLb0EESY_EEDaST_SU_EUlST_E_NS1_11comp_targetILNS1_3genE0ELNS1_11target_archE4294967295ELNS1_3gpuE0ELNS1_3repE0EEENS1_30default_config_static_selectorELNS0_4arch9wavefront6targetE0EEEvT1_.has_indirect_call, 0
	.section	.AMDGPU.csdata,"",@progbits
; Kernel info:
; codeLenInByte = 0
; TotalNumSgprs: 0
; NumVgprs: 0
; ScratchSize: 0
; MemoryBound: 0
; FloatMode: 240
; IeeeMode: 1
; LDSByteSize: 0 bytes/workgroup (compile time only)
; SGPRBlocks: 0
; VGPRBlocks: 0
; NumSGPRsForWavesPerEU: 1
; NumVGPRsForWavesPerEU: 1
; Occupancy: 16
; WaveLimiterHint : 0
; COMPUTE_PGM_RSRC2:SCRATCH_EN: 0
; COMPUTE_PGM_RSRC2:USER_SGPR: 6
; COMPUTE_PGM_RSRC2:TRAP_HANDLER: 0
; COMPUTE_PGM_RSRC2:TGID_X_EN: 1
; COMPUTE_PGM_RSRC2:TGID_Y_EN: 0
; COMPUTE_PGM_RSRC2:TGID_Z_EN: 0
; COMPUTE_PGM_RSRC2:TIDIG_COMP_CNT: 0
	.section	.text._ZN7rocprim17ROCPRIM_400000_NS6detail17trampoline_kernelINS0_14default_configENS1_27scan_by_key_config_selectorIxxEEZZNS1_16scan_by_key_implILNS1_25lookback_scan_determinismE0ELb1ES3_N6thrust23THRUST_200600_302600_NS6detail15normal_iteratorINS9_10device_ptrIxEEEESE_SE_xNS9_4plusIxEE19head_flag_predicatexEE10hipError_tPvRmT2_T3_T4_T5_mT6_T7_P12ihipStream_tbENKUlT_T0_E_clISt17integral_constantIbLb0EESY_EEDaST_SU_EUlST_E_NS1_11comp_targetILNS1_3genE10ELNS1_11target_archE1201ELNS1_3gpuE5ELNS1_3repE0EEENS1_30default_config_static_selectorELNS0_4arch9wavefront6targetE0EEEvT1_,"axG",@progbits,_ZN7rocprim17ROCPRIM_400000_NS6detail17trampoline_kernelINS0_14default_configENS1_27scan_by_key_config_selectorIxxEEZZNS1_16scan_by_key_implILNS1_25lookback_scan_determinismE0ELb1ES3_N6thrust23THRUST_200600_302600_NS6detail15normal_iteratorINS9_10device_ptrIxEEEESE_SE_xNS9_4plusIxEE19head_flag_predicatexEE10hipError_tPvRmT2_T3_T4_T5_mT6_T7_P12ihipStream_tbENKUlT_T0_E_clISt17integral_constantIbLb0EESY_EEDaST_SU_EUlST_E_NS1_11comp_targetILNS1_3genE10ELNS1_11target_archE1201ELNS1_3gpuE5ELNS1_3repE0EEENS1_30default_config_static_selectorELNS0_4arch9wavefront6targetE0EEEvT1_,comdat
	.protected	_ZN7rocprim17ROCPRIM_400000_NS6detail17trampoline_kernelINS0_14default_configENS1_27scan_by_key_config_selectorIxxEEZZNS1_16scan_by_key_implILNS1_25lookback_scan_determinismE0ELb1ES3_N6thrust23THRUST_200600_302600_NS6detail15normal_iteratorINS9_10device_ptrIxEEEESE_SE_xNS9_4plusIxEE19head_flag_predicatexEE10hipError_tPvRmT2_T3_T4_T5_mT6_T7_P12ihipStream_tbENKUlT_T0_E_clISt17integral_constantIbLb0EESY_EEDaST_SU_EUlST_E_NS1_11comp_targetILNS1_3genE10ELNS1_11target_archE1201ELNS1_3gpuE5ELNS1_3repE0EEENS1_30default_config_static_selectorELNS0_4arch9wavefront6targetE0EEEvT1_ ; -- Begin function _ZN7rocprim17ROCPRIM_400000_NS6detail17trampoline_kernelINS0_14default_configENS1_27scan_by_key_config_selectorIxxEEZZNS1_16scan_by_key_implILNS1_25lookback_scan_determinismE0ELb1ES3_N6thrust23THRUST_200600_302600_NS6detail15normal_iteratorINS9_10device_ptrIxEEEESE_SE_xNS9_4plusIxEE19head_flag_predicatexEE10hipError_tPvRmT2_T3_T4_T5_mT6_T7_P12ihipStream_tbENKUlT_T0_E_clISt17integral_constantIbLb0EESY_EEDaST_SU_EUlST_E_NS1_11comp_targetILNS1_3genE10ELNS1_11target_archE1201ELNS1_3gpuE5ELNS1_3repE0EEENS1_30default_config_static_selectorELNS0_4arch9wavefront6targetE0EEEvT1_
	.globl	_ZN7rocprim17ROCPRIM_400000_NS6detail17trampoline_kernelINS0_14default_configENS1_27scan_by_key_config_selectorIxxEEZZNS1_16scan_by_key_implILNS1_25lookback_scan_determinismE0ELb1ES3_N6thrust23THRUST_200600_302600_NS6detail15normal_iteratorINS9_10device_ptrIxEEEESE_SE_xNS9_4plusIxEE19head_flag_predicatexEE10hipError_tPvRmT2_T3_T4_T5_mT6_T7_P12ihipStream_tbENKUlT_T0_E_clISt17integral_constantIbLb0EESY_EEDaST_SU_EUlST_E_NS1_11comp_targetILNS1_3genE10ELNS1_11target_archE1201ELNS1_3gpuE5ELNS1_3repE0EEENS1_30default_config_static_selectorELNS0_4arch9wavefront6targetE0EEEvT1_
	.p2align	8
	.type	_ZN7rocprim17ROCPRIM_400000_NS6detail17trampoline_kernelINS0_14default_configENS1_27scan_by_key_config_selectorIxxEEZZNS1_16scan_by_key_implILNS1_25lookback_scan_determinismE0ELb1ES3_N6thrust23THRUST_200600_302600_NS6detail15normal_iteratorINS9_10device_ptrIxEEEESE_SE_xNS9_4plusIxEE19head_flag_predicatexEE10hipError_tPvRmT2_T3_T4_T5_mT6_T7_P12ihipStream_tbENKUlT_T0_E_clISt17integral_constantIbLb0EESY_EEDaST_SU_EUlST_E_NS1_11comp_targetILNS1_3genE10ELNS1_11target_archE1201ELNS1_3gpuE5ELNS1_3repE0EEENS1_30default_config_static_selectorELNS0_4arch9wavefront6targetE0EEEvT1_,@function
_ZN7rocprim17ROCPRIM_400000_NS6detail17trampoline_kernelINS0_14default_configENS1_27scan_by_key_config_selectorIxxEEZZNS1_16scan_by_key_implILNS1_25lookback_scan_determinismE0ELb1ES3_N6thrust23THRUST_200600_302600_NS6detail15normal_iteratorINS9_10device_ptrIxEEEESE_SE_xNS9_4plusIxEE19head_flag_predicatexEE10hipError_tPvRmT2_T3_T4_T5_mT6_T7_P12ihipStream_tbENKUlT_T0_E_clISt17integral_constantIbLb0EESY_EEDaST_SU_EUlST_E_NS1_11comp_targetILNS1_3genE10ELNS1_11target_archE1201ELNS1_3gpuE5ELNS1_3repE0EEENS1_30default_config_static_selectorELNS0_4arch9wavefront6targetE0EEEvT1_: ; @_ZN7rocprim17ROCPRIM_400000_NS6detail17trampoline_kernelINS0_14default_configENS1_27scan_by_key_config_selectorIxxEEZZNS1_16scan_by_key_implILNS1_25lookback_scan_determinismE0ELb1ES3_N6thrust23THRUST_200600_302600_NS6detail15normal_iteratorINS9_10device_ptrIxEEEESE_SE_xNS9_4plusIxEE19head_flag_predicatexEE10hipError_tPvRmT2_T3_T4_T5_mT6_T7_P12ihipStream_tbENKUlT_T0_E_clISt17integral_constantIbLb0EESY_EEDaST_SU_EUlST_E_NS1_11comp_targetILNS1_3genE10ELNS1_11target_archE1201ELNS1_3gpuE5ELNS1_3repE0EEENS1_30default_config_static_selectorELNS0_4arch9wavefront6targetE0EEEvT1_
; %bb.0:
	.section	.rodata,"a",@progbits
	.p2align	6, 0x0
	.amdhsa_kernel _ZN7rocprim17ROCPRIM_400000_NS6detail17trampoline_kernelINS0_14default_configENS1_27scan_by_key_config_selectorIxxEEZZNS1_16scan_by_key_implILNS1_25lookback_scan_determinismE0ELb1ES3_N6thrust23THRUST_200600_302600_NS6detail15normal_iteratorINS9_10device_ptrIxEEEESE_SE_xNS9_4plusIxEE19head_flag_predicatexEE10hipError_tPvRmT2_T3_T4_T5_mT6_T7_P12ihipStream_tbENKUlT_T0_E_clISt17integral_constantIbLb0EESY_EEDaST_SU_EUlST_E_NS1_11comp_targetILNS1_3genE10ELNS1_11target_archE1201ELNS1_3gpuE5ELNS1_3repE0EEENS1_30default_config_static_selectorELNS0_4arch9wavefront6targetE0EEEvT1_
		.amdhsa_group_segment_fixed_size 0
		.amdhsa_private_segment_fixed_size 0
		.amdhsa_kernarg_size 136
		.amdhsa_user_sgpr_count 6
		.amdhsa_user_sgpr_private_segment_buffer 1
		.amdhsa_user_sgpr_dispatch_ptr 0
		.amdhsa_user_sgpr_queue_ptr 0
		.amdhsa_user_sgpr_kernarg_segment_ptr 1
		.amdhsa_user_sgpr_dispatch_id 0
		.amdhsa_user_sgpr_flat_scratch_init 0
		.amdhsa_user_sgpr_private_segment_size 0
		.amdhsa_wavefront_size32 1
		.amdhsa_uses_dynamic_stack 0
		.amdhsa_system_sgpr_private_segment_wavefront_offset 0
		.amdhsa_system_sgpr_workgroup_id_x 1
		.amdhsa_system_sgpr_workgroup_id_y 0
		.amdhsa_system_sgpr_workgroup_id_z 0
		.amdhsa_system_sgpr_workgroup_info 0
		.amdhsa_system_vgpr_workitem_id 0
		.amdhsa_next_free_vgpr 1
		.amdhsa_next_free_sgpr 1
		.amdhsa_reserve_vcc 0
		.amdhsa_reserve_flat_scratch 0
		.amdhsa_float_round_mode_32 0
		.amdhsa_float_round_mode_16_64 0
		.amdhsa_float_denorm_mode_32 3
		.amdhsa_float_denorm_mode_16_64 3
		.amdhsa_dx10_clamp 1
		.amdhsa_ieee_mode 1
		.amdhsa_fp16_overflow 0
		.amdhsa_workgroup_processor_mode 1
		.amdhsa_memory_ordered 1
		.amdhsa_forward_progress 1
		.amdhsa_shared_vgpr_count 0
		.amdhsa_exception_fp_ieee_invalid_op 0
		.amdhsa_exception_fp_denorm_src 0
		.amdhsa_exception_fp_ieee_div_zero 0
		.amdhsa_exception_fp_ieee_overflow 0
		.amdhsa_exception_fp_ieee_underflow 0
		.amdhsa_exception_fp_ieee_inexact 0
		.amdhsa_exception_int_div_zero 0
	.end_amdhsa_kernel
	.section	.text._ZN7rocprim17ROCPRIM_400000_NS6detail17trampoline_kernelINS0_14default_configENS1_27scan_by_key_config_selectorIxxEEZZNS1_16scan_by_key_implILNS1_25lookback_scan_determinismE0ELb1ES3_N6thrust23THRUST_200600_302600_NS6detail15normal_iteratorINS9_10device_ptrIxEEEESE_SE_xNS9_4plusIxEE19head_flag_predicatexEE10hipError_tPvRmT2_T3_T4_T5_mT6_T7_P12ihipStream_tbENKUlT_T0_E_clISt17integral_constantIbLb0EESY_EEDaST_SU_EUlST_E_NS1_11comp_targetILNS1_3genE10ELNS1_11target_archE1201ELNS1_3gpuE5ELNS1_3repE0EEENS1_30default_config_static_selectorELNS0_4arch9wavefront6targetE0EEEvT1_,"axG",@progbits,_ZN7rocprim17ROCPRIM_400000_NS6detail17trampoline_kernelINS0_14default_configENS1_27scan_by_key_config_selectorIxxEEZZNS1_16scan_by_key_implILNS1_25lookback_scan_determinismE0ELb1ES3_N6thrust23THRUST_200600_302600_NS6detail15normal_iteratorINS9_10device_ptrIxEEEESE_SE_xNS9_4plusIxEE19head_flag_predicatexEE10hipError_tPvRmT2_T3_T4_T5_mT6_T7_P12ihipStream_tbENKUlT_T0_E_clISt17integral_constantIbLb0EESY_EEDaST_SU_EUlST_E_NS1_11comp_targetILNS1_3genE10ELNS1_11target_archE1201ELNS1_3gpuE5ELNS1_3repE0EEENS1_30default_config_static_selectorELNS0_4arch9wavefront6targetE0EEEvT1_,comdat
.Lfunc_end714:
	.size	_ZN7rocprim17ROCPRIM_400000_NS6detail17trampoline_kernelINS0_14default_configENS1_27scan_by_key_config_selectorIxxEEZZNS1_16scan_by_key_implILNS1_25lookback_scan_determinismE0ELb1ES3_N6thrust23THRUST_200600_302600_NS6detail15normal_iteratorINS9_10device_ptrIxEEEESE_SE_xNS9_4plusIxEE19head_flag_predicatexEE10hipError_tPvRmT2_T3_T4_T5_mT6_T7_P12ihipStream_tbENKUlT_T0_E_clISt17integral_constantIbLb0EESY_EEDaST_SU_EUlST_E_NS1_11comp_targetILNS1_3genE10ELNS1_11target_archE1201ELNS1_3gpuE5ELNS1_3repE0EEENS1_30default_config_static_selectorELNS0_4arch9wavefront6targetE0EEEvT1_, .Lfunc_end714-_ZN7rocprim17ROCPRIM_400000_NS6detail17trampoline_kernelINS0_14default_configENS1_27scan_by_key_config_selectorIxxEEZZNS1_16scan_by_key_implILNS1_25lookback_scan_determinismE0ELb1ES3_N6thrust23THRUST_200600_302600_NS6detail15normal_iteratorINS9_10device_ptrIxEEEESE_SE_xNS9_4plusIxEE19head_flag_predicatexEE10hipError_tPvRmT2_T3_T4_T5_mT6_T7_P12ihipStream_tbENKUlT_T0_E_clISt17integral_constantIbLb0EESY_EEDaST_SU_EUlST_E_NS1_11comp_targetILNS1_3genE10ELNS1_11target_archE1201ELNS1_3gpuE5ELNS1_3repE0EEENS1_30default_config_static_selectorELNS0_4arch9wavefront6targetE0EEEvT1_
                                        ; -- End function
	.set _ZN7rocprim17ROCPRIM_400000_NS6detail17trampoline_kernelINS0_14default_configENS1_27scan_by_key_config_selectorIxxEEZZNS1_16scan_by_key_implILNS1_25lookback_scan_determinismE0ELb1ES3_N6thrust23THRUST_200600_302600_NS6detail15normal_iteratorINS9_10device_ptrIxEEEESE_SE_xNS9_4plusIxEE19head_flag_predicatexEE10hipError_tPvRmT2_T3_T4_T5_mT6_T7_P12ihipStream_tbENKUlT_T0_E_clISt17integral_constantIbLb0EESY_EEDaST_SU_EUlST_E_NS1_11comp_targetILNS1_3genE10ELNS1_11target_archE1201ELNS1_3gpuE5ELNS1_3repE0EEENS1_30default_config_static_selectorELNS0_4arch9wavefront6targetE0EEEvT1_.num_vgpr, 0
	.set _ZN7rocprim17ROCPRIM_400000_NS6detail17trampoline_kernelINS0_14default_configENS1_27scan_by_key_config_selectorIxxEEZZNS1_16scan_by_key_implILNS1_25lookback_scan_determinismE0ELb1ES3_N6thrust23THRUST_200600_302600_NS6detail15normal_iteratorINS9_10device_ptrIxEEEESE_SE_xNS9_4plusIxEE19head_flag_predicatexEE10hipError_tPvRmT2_T3_T4_T5_mT6_T7_P12ihipStream_tbENKUlT_T0_E_clISt17integral_constantIbLb0EESY_EEDaST_SU_EUlST_E_NS1_11comp_targetILNS1_3genE10ELNS1_11target_archE1201ELNS1_3gpuE5ELNS1_3repE0EEENS1_30default_config_static_selectorELNS0_4arch9wavefront6targetE0EEEvT1_.num_agpr, 0
	.set _ZN7rocprim17ROCPRIM_400000_NS6detail17trampoline_kernelINS0_14default_configENS1_27scan_by_key_config_selectorIxxEEZZNS1_16scan_by_key_implILNS1_25lookback_scan_determinismE0ELb1ES3_N6thrust23THRUST_200600_302600_NS6detail15normal_iteratorINS9_10device_ptrIxEEEESE_SE_xNS9_4plusIxEE19head_flag_predicatexEE10hipError_tPvRmT2_T3_T4_T5_mT6_T7_P12ihipStream_tbENKUlT_T0_E_clISt17integral_constantIbLb0EESY_EEDaST_SU_EUlST_E_NS1_11comp_targetILNS1_3genE10ELNS1_11target_archE1201ELNS1_3gpuE5ELNS1_3repE0EEENS1_30default_config_static_selectorELNS0_4arch9wavefront6targetE0EEEvT1_.numbered_sgpr, 0
	.set _ZN7rocprim17ROCPRIM_400000_NS6detail17trampoline_kernelINS0_14default_configENS1_27scan_by_key_config_selectorIxxEEZZNS1_16scan_by_key_implILNS1_25lookback_scan_determinismE0ELb1ES3_N6thrust23THRUST_200600_302600_NS6detail15normal_iteratorINS9_10device_ptrIxEEEESE_SE_xNS9_4plusIxEE19head_flag_predicatexEE10hipError_tPvRmT2_T3_T4_T5_mT6_T7_P12ihipStream_tbENKUlT_T0_E_clISt17integral_constantIbLb0EESY_EEDaST_SU_EUlST_E_NS1_11comp_targetILNS1_3genE10ELNS1_11target_archE1201ELNS1_3gpuE5ELNS1_3repE0EEENS1_30default_config_static_selectorELNS0_4arch9wavefront6targetE0EEEvT1_.num_named_barrier, 0
	.set _ZN7rocprim17ROCPRIM_400000_NS6detail17trampoline_kernelINS0_14default_configENS1_27scan_by_key_config_selectorIxxEEZZNS1_16scan_by_key_implILNS1_25lookback_scan_determinismE0ELb1ES3_N6thrust23THRUST_200600_302600_NS6detail15normal_iteratorINS9_10device_ptrIxEEEESE_SE_xNS9_4plusIxEE19head_flag_predicatexEE10hipError_tPvRmT2_T3_T4_T5_mT6_T7_P12ihipStream_tbENKUlT_T0_E_clISt17integral_constantIbLb0EESY_EEDaST_SU_EUlST_E_NS1_11comp_targetILNS1_3genE10ELNS1_11target_archE1201ELNS1_3gpuE5ELNS1_3repE0EEENS1_30default_config_static_selectorELNS0_4arch9wavefront6targetE0EEEvT1_.private_seg_size, 0
	.set _ZN7rocprim17ROCPRIM_400000_NS6detail17trampoline_kernelINS0_14default_configENS1_27scan_by_key_config_selectorIxxEEZZNS1_16scan_by_key_implILNS1_25lookback_scan_determinismE0ELb1ES3_N6thrust23THRUST_200600_302600_NS6detail15normal_iteratorINS9_10device_ptrIxEEEESE_SE_xNS9_4plusIxEE19head_flag_predicatexEE10hipError_tPvRmT2_T3_T4_T5_mT6_T7_P12ihipStream_tbENKUlT_T0_E_clISt17integral_constantIbLb0EESY_EEDaST_SU_EUlST_E_NS1_11comp_targetILNS1_3genE10ELNS1_11target_archE1201ELNS1_3gpuE5ELNS1_3repE0EEENS1_30default_config_static_selectorELNS0_4arch9wavefront6targetE0EEEvT1_.uses_vcc, 0
	.set _ZN7rocprim17ROCPRIM_400000_NS6detail17trampoline_kernelINS0_14default_configENS1_27scan_by_key_config_selectorIxxEEZZNS1_16scan_by_key_implILNS1_25lookback_scan_determinismE0ELb1ES3_N6thrust23THRUST_200600_302600_NS6detail15normal_iteratorINS9_10device_ptrIxEEEESE_SE_xNS9_4plusIxEE19head_flag_predicatexEE10hipError_tPvRmT2_T3_T4_T5_mT6_T7_P12ihipStream_tbENKUlT_T0_E_clISt17integral_constantIbLb0EESY_EEDaST_SU_EUlST_E_NS1_11comp_targetILNS1_3genE10ELNS1_11target_archE1201ELNS1_3gpuE5ELNS1_3repE0EEENS1_30default_config_static_selectorELNS0_4arch9wavefront6targetE0EEEvT1_.uses_flat_scratch, 0
	.set _ZN7rocprim17ROCPRIM_400000_NS6detail17trampoline_kernelINS0_14default_configENS1_27scan_by_key_config_selectorIxxEEZZNS1_16scan_by_key_implILNS1_25lookback_scan_determinismE0ELb1ES3_N6thrust23THRUST_200600_302600_NS6detail15normal_iteratorINS9_10device_ptrIxEEEESE_SE_xNS9_4plusIxEE19head_flag_predicatexEE10hipError_tPvRmT2_T3_T4_T5_mT6_T7_P12ihipStream_tbENKUlT_T0_E_clISt17integral_constantIbLb0EESY_EEDaST_SU_EUlST_E_NS1_11comp_targetILNS1_3genE10ELNS1_11target_archE1201ELNS1_3gpuE5ELNS1_3repE0EEENS1_30default_config_static_selectorELNS0_4arch9wavefront6targetE0EEEvT1_.has_dyn_sized_stack, 0
	.set _ZN7rocprim17ROCPRIM_400000_NS6detail17trampoline_kernelINS0_14default_configENS1_27scan_by_key_config_selectorIxxEEZZNS1_16scan_by_key_implILNS1_25lookback_scan_determinismE0ELb1ES3_N6thrust23THRUST_200600_302600_NS6detail15normal_iteratorINS9_10device_ptrIxEEEESE_SE_xNS9_4plusIxEE19head_flag_predicatexEE10hipError_tPvRmT2_T3_T4_T5_mT6_T7_P12ihipStream_tbENKUlT_T0_E_clISt17integral_constantIbLb0EESY_EEDaST_SU_EUlST_E_NS1_11comp_targetILNS1_3genE10ELNS1_11target_archE1201ELNS1_3gpuE5ELNS1_3repE0EEENS1_30default_config_static_selectorELNS0_4arch9wavefront6targetE0EEEvT1_.has_recursion, 0
	.set _ZN7rocprim17ROCPRIM_400000_NS6detail17trampoline_kernelINS0_14default_configENS1_27scan_by_key_config_selectorIxxEEZZNS1_16scan_by_key_implILNS1_25lookback_scan_determinismE0ELb1ES3_N6thrust23THRUST_200600_302600_NS6detail15normal_iteratorINS9_10device_ptrIxEEEESE_SE_xNS9_4plusIxEE19head_flag_predicatexEE10hipError_tPvRmT2_T3_T4_T5_mT6_T7_P12ihipStream_tbENKUlT_T0_E_clISt17integral_constantIbLb0EESY_EEDaST_SU_EUlST_E_NS1_11comp_targetILNS1_3genE10ELNS1_11target_archE1201ELNS1_3gpuE5ELNS1_3repE0EEENS1_30default_config_static_selectorELNS0_4arch9wavefront6targetE0EEEvT1_.has_indirect_call, 0
	.section	.AMDGPU.csdata,"",@progbits
; Kernel info:
; codeLenInByte = 0
; TotalNumSgprs: 0
; NumVgprs: 0
; ScratchSize: 0
; MemoryBound: 0
; FloatMode: 240
; IeeeMode: 1
; LDSByteSize: 0 bytes/workgroup (compile time only)
; SGPRBlocks: 0
; VGPRBlocks: 0
; NumSGPRsForWavesPerEU: 1
; NumVGPRsForWavesPerEU: 1
; Occupancy: 16
; WaveLimiterHint : 0
; COMPUTE_PGM_RSRC2:SCRATCH_EN: 0
; COMPUTE_PGM_RSRC2:USER_SGPR: 6
; COMPUTE_PGM_RSRC2:TRAP_HANDLER: 0
; COMPUTE_PGM_RSRC2:TGID_X_EN: 1
; COMPUTE_PGM_RSRC2:TGID_Y_EN: 0
; COMPUTE_PGM_RSRC2:TGID_Z_EN: 0
; COMPUTE_PGM_RSRC2:TIDIG_COMP_CNT: 0
	.section	.text._ZN7rocprim17ROCPRIM_400000_NS6detail17trampoline_kernelINS0_14default_configENS1_27scan_by_key_config_selectorIxxEEZZNS1_16scan_by_key_implILNS1_25lookback_scan_determinismE0ELb1ES3_N6thrust23THRUST_200600_302600_NS6detail15normal_iteratorINS9_10device_ptrIxEEEESE_SE_xNS9_4plusIxEE19head_flag_predicatexEE10hipError_tPvRmT2_T3_T4_T5_mT6_T7_P12ihipStream_tbENKUlT_T0_E_clISt17integral_constantIbLb0EESY_EEDaST_SU_EUlST_E_NS1_11comp_targetILNS1_3genE5ELNS1_11target_archE942ELNS1_3gpuE9ELNS1_3repE0EEENS1_30default_config_static_selectorELNS0_4arch9wavefront6targetE0EEEvT1_,"axG",@progbits,_ZN7rocprim17ROCPRIM_400000_NS6detail17trampoline_kernelINS0_14default_configENS1_27scan_by_key_config_selectorIxxEEZZNS1_16scan_by_key_implILNS1_25lookback_scan_determinismE0ELb1ES3_N6thrust23THRUST_200600_302600_NS6detail15normal_iteratorINS9_10device_ptrIxEEEESE_SE_xNS9_4plusIxEE19head_flag_predicatexEE10hipError_tPvRmT2_T3_T4_T5_mT6_T7_P12ihipStream_tbENKUlT_T0_E_clISt17integral_constantIbLb0EESY_EEDaST_SU_EUlST_E_NS1_11comp_targetILNS1_3genE5ELNS1_11target_archE942ELNS1_3gpuE9ELNS1_3repE0EEENS1_30default_config_static_selectorELNS0_4arch9wavefront6targetE0EEEvT1_,comdat
	.protected	_ZN7rocprim17ROCPRIM_400000_NS6detail17trampoline_kernelINS0_14default_configENS1_27scan_by_key_config_selectorIxxEEZZNS1_16scan_by_key_implILNS1_25lookback_scan_determinismE0ELb1ES3_N6thrust23THRUST_200600_302600_NS6detail15normal_iteratorINS9_10device_ptrIxEEEESE_SE_xNS9_4plusIxEE19head_flag_predicatexEE10hipError_tPvRmT2_T3_T4_T5_mT6_T7_P12ihipStream_tbENKUlT_T0_E_clISt17integral_constantIbLb0EESY_EEDaST_SU_EUlST_E_NS1_11comp_targetILNS1_3genE5ELNS1_11target_archE942ELNS1_3gpuE9ELNS1_3repE0EEENS1_30default_config_static_selectorELNS0_4arch9wavefront6targetE0EEEvT1_ ; -- Begin function _ZN7rocprim17ROCPRIM_400000_NS6detail17trampoline_kernelINS0_14default_configENS1_27scan_by_key_config_selectorIxxEEZZNS1_16scan_by_key_implILNS1_25lookback_scan_determinismE0ELb1ES3_N6thrust23THRUST_200600_302600_NS6detail15normal_iteratorINS9_10device_ptrIxEEEESE_SE_xNS9_4plusIxEE19head_flag_predicatexEE10hipError_tPvRmT2_T3_T4_T5_mT6_T7_P12ihipStream_tbENKUlT_T0_E_clISt17integral_constantIbLb0EESY_EEDaST_SU_EUlST_E_NS1_11comp_targetILNS1_3genE5ELNS1_11target_archE942ELNS1_3gpuE9ELNS1_3repE0EEENS1_30default_config_static_selectorELNS0_4arch9wavefront6targetE0EEEvT1_
	.globl	_ZN7rocprim17ROCPRIM_400000_NS6detail17trampoline_kernelINS0_14default_configENS1_27scan_by_key_config_selectorIxxEEZZNS1_16scan_by_key_implILNS1_25lookback_scan_determinismE0ELb1ES3_N6thrust23THRUST_200600_302600_NS6detail15normal_iteratorINS9_10device_ptrIxEEEESE_SE_xNS9_4plusIxEE19head_flag_predicatexEE10hipError_tPvRmT2_T3_T4_T5_mT6_T7_P12ihipStream_tbENKUlT_T0_E_clISt17integral_constantIbLb0EESY_EEDaST_SU_EUlST_E_NS1_11comp_targetILNS1_3genE5ELNS1_11target_archE942ELNS1_3gpuE9ELNS1_3repE0EEENS1_30default_config_static_selectorELNS0_4arch9wavefront6targetE0EEEvT1_
	.p2align	8
	.type	_ZN7rocprim17ROCPRIM_400000_NS6detail17trampoline_kernelINS0_14default_configENS1_27scan_by_key_config_selectorIxxEEZZNS1_16scan_by_key_implILNS1_25lookback_scan_determinismE0ELb1ES3_N6thrust23THRUST_200600_302600_NS6detail15normal_iteratorINS9_10device_ptrIxEEEESE_SE_xNS9_4plusIxEE19head_flag_predicatexEE10hipError_tPvRmT2_T3_T4_T5_mT6_T7_P12ihipStream_tbENKUlT_T0_E_clISt17integral_constantIbLb0EESY_EEDaST_SU_EUlST_E_NS1_11comp_targetILNS1_3genE5ELNS1_11target_archE942ELNS1_3gpuE9ELNS1_3repE0EEENS1_30default_config_static_selectorELNS0_4arch9wavefront6targetE0EEEvT1_,@function
_ZN7rocprim17ROCPRIM_400000_NS6detail17trampoline_kernelINS0_14default_configENS1_27scan_by_key_config_selectorIxxEEZZNS1_16scan_by_key_implILNS1_25lookback_scan_determinismE0ELb1ES3_N6thrust23THRUST_200600_302600_NS6detail15normal_iteratorINS9_10device_ptrIxEEEESE_SE_xNS9_4plusIxEE19head_flag_predicatexEE10hipError_tPvRmT2_T3_T4_T5_mT6_T7_P12ihipStream_tbENKUlT_T0_E_clISt17integral_constantIbLb0EESY_EEDaST_SU_EUlST_E_NS1_11comp_targetILNS1_3genE5ELNS1_11target_archE942ELNS1_3gpuE9ELNS1_3repE0EEENS1_30default_config_static_selectorELNS0_4arch9wavefront6targetE0EEEvT1_: ; @_ZN7rocprim17ROCPRIM_400000_NS6detail17trampoline_kernelINS0_14default_configENS1_27scan_by_key_config_selectorIxxEEZZNS1_16scan_by_key_implILNS1_25lookback_scan_determinismE0ELb1ES3_N6thrust23THRUST_200600_302600_NS6detail15normal_iteratorINS9_10device_ptrIxEEEESE_SE_xNS9_4plusIxEE19head_flag_predicatexEE10hipError_tPvRmT2_T3_T4_T5_mT6_T7_P12ihipStream_tbENKUlT_T0_E_clISt17integral_constantIbLb0EESY_EEDaST_SU_EUlST_E_NS1_11comp_targetILNS1_3genE5ELNS1_11target_archE942ELNS1_3gpuE9ELNS1_3repE0EEENS1_30default_config_static_selectorELNS0_4arch9wavefront6targetE0EEEvT1_
; %bb.0:
	.section	.rodata,"a",@progbits
	.p2align	6, 0x0
	.amdhsa_kernel _ZN7rocprim17ROCPRIM_400000_NS6detail17trampoline_kernelINS0_14default_configENS1_27scan_by_key_config_selectorIxxEEZZNS1_16scan_by_key_implILNS1_25lookback_scan_determinismE0ELb1ES3_N6thrust23THRUST_200600_302600_NS6detail15normal_iteratorINS9_10device_ptrIxEEEESE_SE_xNS9_4plusIxEE19head_flag_predicatexEE10hipError_tPvRmT2_T3_T4_T5_mT6_T7_P12ihipStream_tbENKUlT_T0_E_clISt17integral_constantIbLb0EESY_EEDaST_SU_EUlST_E_NS1_11comp_targetILNS1_3genE5ELNS1_11target_archE942ELNS1_3gpuE9ELNS1_3repE0EEENS1_30default_config_static_selectorELNS0_4arch9wavefront6targetE0EEEvT1_
		.amdhsa_group_segment_fixed_size 0
		.amdhsa_private_segment_fixed_size 0
		.amdhsa_kernarg_size 136
		.amdhsa_user_sgpr_count 6
		.amdhsa_user_sgpr_private_segment_buffer 1
		.amdhsa_user_sgpr_dispatch_ptr 0
		.amdhsa_user_sgpr_queue_ptr 0
		.amdhsa_user_sgpr_kernarg_segment_ptr 1
		.amdhsa_user_sgpr_dispatch_id 0
		.amdhsa_user_sgpr_flat_scratch_init 0
		.amdhsa_user_sgpr_private_segment_size 0
		.amdhsa_wavefront_size32 1
		.amdhsa_uses_dynamic_stack 0
		.amdhsa_system_sgpr_private_segment_wavefront_offset 0
		.amdhsa_system_sgpr_workgroup_id_x 1
		.amdhsa_system_sgpr_workgroup_id_y 0
		.amdhsa_system_sgpr_workgroup_id_z 0
		.amdhsa_system_sgpr_workgroup_info 0
		.amdhsa_system_vgpr_workitem_id 0
		.amdhsa_next_free_vgpr 1
		.amdhsa_next_free_sgpr 1
		.amdhsa_reserve_vcc 0
		.amdhsa_reserve_flat_scratch 0
		.amdhsa_float_round_mode_32 0
		.amdhsa_float_round_mode_16_64 0
		.amdhsa_float_denorm_mode_32 3
		.amdhsa_float_denorm_mode_16_64 3
		.amdhsa_dx10_clamp 1
		.amdhsa_ieee_mode 1
		.amdhsa_fp16_overflow 0
		.amdhsa_workgroup_processor_mode 1
		.amdhsa_memory_ordered 1
		.amdhsa_forward_progress 1
		.amdhsa_shared_vgpr_count 0
		.amdhsa_exception_fp_ieee_invalid_op 0
		.amdhsa_exception_fp_denorm_src 0
		.amdhsa_exception_fp_ieee_div_zero 0
		.amdhsa_exception_fp_ieee_overflow 0
		.amdhsa_exception_fp_ieee_underflow 0
		.amdhsa_exception_fp_ieee_inexact 0
		.amdhsa_exception_int_div_zero 0
	.end_amdhsa_kernel
	.section	.text._ZN7rocprim17ROCPRIM_400000_NS6detail17trampoline_kernelINS0_14default_configENS1_27scan_by_key_config_selectorIxxEEZZNS1_16scan_by_key_implILNS1_25lookback_scan_determinismE0ELb1ES3_N6thrust23THRUST_200600_302600_NS6detail15normal_iteratorINS9_10device_ptrIxEEEESE_SE_xNS9_4plusIxEE19head_flag_predicatexEE10hipError_tPvRmT2_T3_T4_T5_mT6_T7_P12ihipStream_tbENKUlT_T0_E_clISt17integral_constantIbLb0EESY_EEDaST_SU_EUlST_E_NS1_11comp_targetILNS1_3genE5ELNS1_11target_archE942ELNS1_3gpuE9ELNS1_3repE0EEENS1_30default_config_static_selectorELNS0_4arch9wavefront6targetE0EEEvT1_,"axG",@progbits,_ZN7rocprim17ROCPRIM_400000_NS6detail17trampoline_kernelINS0_14default_configENS1_27scan_by_key_config_selectorIxxEEZZNS1_16scan_by_key_implILNS1_25lookback_scan_determinismE0ELb1ES3_N6thrust23THRUST_200600_302600_NS6detail15normal_iteratorINS9_10device_ptrIxEEEESE_SE_xNS9_4plusIxEE19head_flag_predicatexEE10hipError_tPvRmT2_T3_T4_T5_mT6_T7_P12ihipStream_tbENKUlT_T0_E_clISt17integral_constantIbLb0EESY_EEDaST_SU_EUlST_E_NS1_11comp_targetILNS1_3genE5ELNS1_11target_archE942ELNS1_3gpuE9ELNS1_3repE0EEENS1_30default_config_static_selectorELNS0_4arch9wavefront6targetE0EEEvT1_,comdat
.Lfunc_end715:
	.size	_ZN7rocprim17ROCPRIM_400000_NS6detail17trampoline_kernelINS0_14default_configENS1_27scan_by_key_config_selectorIxxEEZZNS1_16scan_by_key_implILNS1_25lookback_scan_determinismE0ELb1ES3_N6thrust23THRUST_200600_302600_NS6detail15normal_iteratorINS9_10device_ptrIxEEEESE_SE_xNS9_4plusIxEE19head_flag_predicatexEE10hipError_tPvRmT2_T3_T4_T5_mT6_T7_P12ihipStream_tbENKUlT_T0_E_clISt17integral_constantIbLb0EESY_EEDaST_SU_EUlST_E_NS1_11comp_targetILNS1_3genE5ELNS1_11target_archE942ELNS1_3gpuE9ELNS1_3repE0EEENS1_30default_config_static_selectorELNS0_4arch9wavefront6targetE0EEEvT1_, .Lfunc_end715-_ZN7rocprim17ROCPRIM_400000_NS6detail17trampoline_kernelINS0_14default_configENS1_27scan_by_key_config_selectorIxxEEZZNS1_16scan_by_key_implILNS1_25lookback_scan_determinismE0ELb1ES3_N6thrust23THRUST_200600_302600_NS6detail15normal_iteratorINS9_10device_ptrIxEEEESE_SE_xNS9_4plusIxEE19head_flag_predicatexEE10hipError_tPvRmT2_T3_T4_T5_mT6_T7_P12ihipStream_tbENKUlT_T0_E_clISt17integral_constantIbLb0EESY_EEDaST_SU_EUlST_E_NS1_11comp_targetILNS1_3genE5ELNS1_11target_archE942ELNS1_3gpuE9ELNS1_3repE0EEENS1_30default_config_static_selectorELNS0_4arch9wavefront6targetE0EEEvT1_
                                        ; -- End function
	.set _ZN7rocprim17ROCPRIM_400000_NS6detail17trampoline_kernelINS0_14default_configENS1_27scan_by_key_config_selectorIxxEEZZNS1_16scan_by_key_implILNS1_25lookback_scan_determinismE0ELb1ES3_N6thrust23THRUST_200600_302600_NS6detail15normal_iteratorINS9_10device_ptrIxEEEESE_SE_xNS9_4plusIxEE19head_flag_predicatexEE10hipError_tPvRmT2_T3_T4_T5_mT6_T7_P12ihipStream_tbENKUlT_T0_E_clISt17integral_constantIbLb0EESY_EEDaST_SU_EUlST_E_NS1_11comp_targetILNS1_3genE5ELNS1_11target_archE942ELNS1_3gpuE9ELNS1_3repE0EEENS1_30default_config_static_selectorELNS0_4arch9wavefront6targetE0EEEvT1_.num_vgpr, 0
	.set _ZN7rocprim17ROCPRIM_400000_NS6detail17trampoline_kernelINS0_14default_configENS1_27scan_by_key_config_selectorIxxEEZZNS1_16scan_by_key_implILNS1_25lookback_scan_determinismE0ELb1ES3_N6thrust23THRUST_200600_302600_NS6detail15normal_iteratorINS9_10device_ptrIxEEEESE_SE_xNS9_4plusIxEE19head_flag_predicatexEE10hipError_tPvRmT2_T3_T4_T5_mT6_T7_P12ihipStream_tbENKUlT_T0_E_clISt17integral_constantIbLb0EESY_EEDaST_SU_EUlST_E_NS1_11comp_targetILNS1_3genE5ELNS1_11target_archE942ELNS1_3gpuE9ELNS1_3repE0EEENS1_30default_config_static_selectorELNS0_4arch9wavefront6targetE0EEEvT1_.num_agpr, 0
	.set _ZN7rocprim17ROCPRIM_400000_NS6detail17trampoline_kernelINS0_14default_configENS1_27scan_by_key_config_selectorIxxEEZZNS1_16scan_by_key_implILNS1_25lookback_scan_determinismE0ELb1ES3_N6thrust23THRUST_200600_302600_NS6detail15normal_iteratorINS9_10device_ptrIxEEEESE_SE_xNS9_4plusIxEE19head_flag_predicatexEE10hipError_tPvRmT2_T3_T4_T5_mT6_T7_P12ihipStream_tbENKUlT_T0_E_clISt17integral_constantIbLb0EESY_EEDaST_SU_EUlST_E_NS1_11comp_targetILNS1_3genE5ELNS1_11target_archE942ELNS1_3gpuE9ELNS1_3repE0EEENS1_30default_config_static_selectorELNS0_4arch9wavefront6targetE0EEEvT1_.numbered_sgpr, 0
	.set _ZN7rocprim17ROCPRIM_400000_NS6detail17trampoline_kernelINS0_14default_configENS1_27scan_by_key_config_selectorIxxEEZZNS1_16scan_by_key_implILNS1_25lookback_scan_determinismE0ELb1ES3_N6thrust23THRUST_200600_302600_NS6detail15normal_iteratorINS9_10device_ptrIxEEEESE_SE_xNS9_4plusIxEE19head_flag_predicatexEE10hipError_tPvRmT2_T3_T4_T5_mT6_T7_P12ihipStream_tbENKUlT_T0_E_clISt17integral_constantIbLb0EESY_EEDaST_SU_EUlST_E_NS1_11comp_targetILNS1_3genE5ELNS1_11target_archE942ELNS1_3gpuE9ELNS1_3repE0EEENS1_30default_config_static_selectorELNS0_4arch9wavefront6targetE0EEEvT1_.num_named_barrier, 0
	.set _ZN7rocprim17ROCPRIM_400000_NS6detail17trampoline_kernelINS0_14default_configENS1_27scan_by_key_config_selectorIxxEEZZNS1_16scan_by_key_implILNS1_25lookback_scan_determinismE0ELb1ES3_N6thrust23THRUST_200600_302600_NS6detail15normal_iteratorINS9_10device_ptrIxEEEESE_SE_xNS9_4plusIxEE19head_flag_predicatexEE10hipError_tPvRmT2_T3_T4_T5_mT6_T7_P12ihipStream_tbENKUlT_T0_E_clISt17integral_constantIbLb0EESY_EEDaST_SU_EUlST_E_NS1_11comp_targetILNS1_3genE5ELNS1_11target_archE942ELNS1_3gpuE9ELNS1_3repE0EEENS1_30default_config_static_selectorELNS0_4arch9wavefront6targetE0EEEvT1_.private_seg_size, 0
	.set _ZN7rocprim17ROCPRIM_400000_NS6detail17trampoline_kernelINS0_14default_configENS1_27scan_by_key_config_selectorIxxEEZZNS1_16scan_by_key_implILNS1_25lookback_scan_determinismE0ELb1ES3_N6thrust23THRUST_200600_302600_NS6detail15normal_iteratorINS9_10device_ptrIxEEEESE_SE_xNS9_4plusIxEE19head_flag_predicatexEE10hipError_tPvRmT2_T3_T4_T5_mT6_T7_P12ihipStream_tbENKUlT_T0_E_clISt17integral_constantIbLb0EESY_EEDaST_SU_EUlST_E_NS1_11comp_targetILNS1_3genE5ELNS1_11target_archE942ELNS1_3gpuE9ELNS1_3repE0EEENS1_30default_config_static_selectorELNS0_4arch9wavefront6targetE0EEEvT1_.uses_vcc, 0
	.set _ZN7rocprim17ROCPRIM_400000_NS6detail17trampoline_kernelINS0_14default_configENS1_27scan_by_key_config_selectorIxxEEZZNS1_16scan_by_key_implILNS1_25lookback_scan_determinismE0ELb1ES3_N6thrust23THRUST_200600_302600_NS6detail15normal_iteratorINS9_10device_ptrIxEEEESE_SE_xNS9_4plusIxEE19head_flag_predicatexEE10hipError_tPvRmT2_T3_T4_T5_mT6_T7_P12ihipStream_tbENKUlT_T0_E_clISt17integral_constantIbLb0EESY_EEDaST_SU_EUlST_E_NS1_11comp_targetILNS1_3genE5ELNS1_11target_archE942ELNS1_3gpuE9ELNS1_3repE0EEENS1_30default_config_static_selectorELNS0_4arch9wavefront6targetE0EEEvT1_.uses_flat_scratch, 0
	.set _ZN7rocprim17ROCPRIM_400000_NS6detail17trampoline_kernelINS0_14default_configENS1_27scan_by_key_config_selectorIxxEEZZNS1_16scan_by_key_implILNS1_25lookback_scan_determinismE0ELb1ES3_N6thrust23THRUST_200600_302600_NS6detail15normal_iteratorINS9_10device_ptrIxEEEESE_SE_xNS9_4plusIxEE19head_flag_predicatexEE10hipError_tPvRmT2_T3_T4_T5_mT6_T7_P12ihipStream_tbENKUlT_T0_E_clISt17integral_constantIbLb0EESY_EEDaST_SU_EUlST_E_NS1_11comp_targetILNS1_3genE5ELNS1_11target_archE942ELNS1_3gpuE9ELNS1_3repE0EEENS1_30default_config_static_selectorELNS0_4arch9wavefront6targetE0EEEvT1_.has_dyn_sized_stack, 0
	.set _ZN7rocprim17ROCPRIM_400000_NS6detail17trampoline_kernelINS0_14default_configENS1_27scan_by_key_config_selectorIxxEEZZNS1_16scan_by_key_implILNS1_25lookback_scan_determinismE0ELb1ES3_N6thrust23THRUST_200600_302600_NS6detail15normal_iteratorINS9_10device_ptrIxEEEESE_SE_xNS9_4plusIxEE19head_flag_predicatexEE10hipError_tPvRmT2_T3_T4_T5_mT6_T7_P12ihipStream_tbENKUlT_T0_E_clISt17integral_constantIbLb0EESY_EEDaST_SU_EUlST_E_NS1_11comp_targetILNS1_3genE5ELNS1_11target_archE942ELNS1_3gpuE9ELNS1_3repE0EEENS1_30default_config_static_selectorELNS0_4arch9wavefront6targetE0EEEvT1_.has_recursion, 0
	.set _ZN7rocprim17ROCPRIM_400000_NS6detail17trampoline_kernelINS0_14default_configENS1_27scan_by_key_config_selectorIxxEEZZNS1_16scan_by_key_implILNS1_25lookback_scan_determinismE0ELb1ES3_N6thrust23THRUST_200600_302600_NS6detail15normal_iteratorINS9_10device_ptrIxEEEESE_SE_xNS9_4plusIxEE19head_flag_predicatexEE10hipError_tPvRmT2_T3_T4_T5_mT6_T7_P12ihipStream_tbENKUlT_T0_E_clISt17integral_constantIbLb0EESY_EEDaST_SU_EUlST_E_NS1_11comp_targetILNS1_3genE5ELNS1_11target_archE942ELNS1_3gpuE9ELNS1_3repE0EEENS1_30default_config_static_selectorELNS0_4arch9wavefront6targetE0EEEvT1_.has_indirect_call, 0
	.section	.AMDGPU.csdata,"",@progbits
; Kernel info:
; codeLenInByte = 0
; TotalNumSgprs: 0
; NumVgprs: 0
; ScratchSize: 0
; MemoryBound: 0
; FloatMode: 240
; IeeeMode: 1
; LDSByteSize: 0 bytes/workgroup (compile time only)
; SGPRBlocks: 0
; VGPRBlocks: 0
; NumSGPRsForWavesPerEU: 1
; NumVGPRsForWavesPerEU: 1
; Occupancy: 16
; WaveLimiterHint : 0
; COMPUTE_PGM_RSRC2:SCRATCH_EN: 0
; COMPUTE_PGM_RSRC2:USER_SGPR: 6
; COMPUTE_PGM_RSRC2:TRAP_HANDLER: 0
; COMPUTE_PGM_RSRC2:TGID_X_EN: 1
; COMPUTE_PGM_RSRC2:TGID_Y_EN: 0
; COMPUTE_PGM_RSRC2:TGID_Z_EN: 0
; COMPUTE_PGM_RSRC2:TIDIG_COMP_CNT: 0
	.section	.text._ZN7rocprim17ROCPRIM_400000_NS6detail17trampoline_kernelINS0_14default_configENS1_27scan_by_key_config_selectorIxxEEZZNS1_16scan_by_key_implILNS1_25lookback_scan_determinismE0ELb1ES3_N6thrust23THRUST_200600_302600_NS6detail15normal_iteratorINS9_10device_ptrIxEEEESE_SE_xNS9_4plusIxEE19head_flag_predicatexEE10hipError_tPvRmT2_T3_T4_T5_mT6_T7_P12ihipStream_tbENKUlT_T0_E_clISt17integral_constantIbLb0EESY_EEDaST_SU_EUlST_E_NS1_11comp_targetILNS1_3genE4ELNS1_11target_archE910ELNS1_3gpuE8ELNS1_3repE0EEENS1_30default_config_static_selectorELNS0_4arch9wavefront6targetE0EEEvT1_,"axG",@progbits,_ZN7rocprim17ROCPRIM_400000_NS6detail17trampoline_kernelINS0_14default_configENS1_27scan_by_key_config_selectorIxxEEZZNS1_16scan_by_key_implILNS1_25lookback_scan_determinismE0ELb1ES3_N6thrust23THRUST_200600_302600_NS6detail15normal_iteratorINS9_10device_ptrIxEEEESE_SE_xNS9_4plusIxEE19head_flag_predicatexEE10hipError_tPvRmT2_T3_T4_T5_mT6_T7_P12ihipStream_tbENKUlT_T0_E_clISt17integral_constantIbLb0EESY_EEDaST_SU_EUlST_E_NS1_11comp_targetILNS1_3genE4ELNS1_11target_archE910ELNS1_3gpuE8ELNS1_3repE0EEENS1_30default_config_static_selectorELNS0_4arch9wavefront6targetE0EEEvT1_,comdat
	.protected	_ZN7rocprim17ROCPRIM_400000_NS6detail17trampoline_kernelINS0_14default_configENS1_27scan_by_key_config_selectorIxxEEZZNS1_16scan_by_key_implILNS1_25lookback_scan_determinismE0ELb1ES3_N6thrust23THRUST_200600_302600_NS6detail15normal_iteratorINS9_10device_ptrIxEEEESE_SE_xNS9_4plusIxEE19head_flag_predicatexEE10hipError_tPvRmT2_T3_T4_T5_mT6_T7_P12ihipStream_tbENKUlT_T0_E_clISt17integral_constantIbLb0EESY_EEDaST_SU_EUlST_E_NS1_11comp_targetILNS1_3genE4ELNS1_11target_archE910ELNS1_3gpuE8ELNS1_3repE0EEENS1_30default_config_static_selectorELNS0_4arch9wavefront6targetE0EEEvT1_ ; -- Begin function _ZN7rocprim17ROCPRIM_400000_NS6detail17trampoline_kernelINS0_14default_configENS1_27scan_by_key_config_selectorIxxEEZZNS1_16scan_by_key_implILNS1_25lookback_scan_determinismE0ELb1ES3_N6thrust23THRUST_200600_302600_NS6detail15normal_iteratorINS9_10device_ptrIxEEEESE_SE_xNS9_4plusIxEE19head_flag_predicatexEE10hipError_tPvRmT2_T3_T4_T5_mT6_T7_P12ihipStream_tbENKUlT_T0_E_clISt17integral_constantIbLb0EESY_EEDaST_SU_EUlST_E_NS1_11comp_targetILNS1_3genE4ELNS1_11target_archE910ELNS1_3gpuE8ELNS1_3repE0EEENS1_30default_config_static_selectorELNS0_4arch9wavefront6targetE0EEEvT1_
	.globl	_ZN7rocprim17ROCPRIM_400000_NS6detail17trampoline_kernelINS0_14default_configENS1_27scan_by_key_config_selectorIxxEEZZNS1_16scan_by_key_implILNS1_25lookback_scan_determinismE0ELb1ES3_N6thrust23THRUST_200600_302600_NS6detail15normal_iteratorINS9_10device_ptrIxEEEESE_SE_xNS9_4plusIxEE19head_flag_predicatexEE10hipError_tPvRmT2_T3_T4_T5_mT6_T7_P12ihipStream_tbENKUlT_T0_E_clISt17integral_constantIbLb0EESY_EEDaST_SU_EUlST_E_NS1_11comp_targetILNS1_3genE4ELNS1_11target_archE910ELNS1_3gpuE8ELNS1_3repE0EEENS1_30default_config_static_selectorELNS0_4arch9wavefront6targetE0EEEvT1_
	.p2align	8
	.type	_ZN7rocprim17ROCPRIM_400000_NS6detail17trampoline_kernelINS0_14default_configENS1_27scan_by_key_config_selectorIxxEEZZNS1_16scan_by_key_implILNS1_25lookback_scan_determinismE0ELb1ES3_N6thrust23THRUST_200600_302600_NS6detail15normal_iteratorINS9_10device_ptrIxEEEESE_SE_xNS9_4plusIxEE19head_flag_predicatexEE10hipError_tPvRmT2_T3_T4_T5_mT6_T7_P12ihipStream_tbENKUlT_T0_E_clISt17integral_constantIbLb0EESY_EEDaST_SU_EUlST_E_NS1_11comp_targetILNS1_3genE4ELNS1_11target_archE910ELNS1_3gpuE8ELNS1_3repE0EEENS1_30default_config_static_selectorELNS0_4arch9wavefront6targetE0EEEvT1_,@function
_ZN7rocprim17ROCPRIM_400000_NS6detail17trampoline_kernelINS0_14default_configENS1_27scan_by_key_config_selectorIxxEEZZNS1_16scan_by_key_implILNS1_25lookback_scan_determinismE0ELb1ES3_N6thrust23THRUST_200600_302600_NS6detail15normal_iteratorINS9_10device_ptrIxEEEESE_SE_xNS9_4plusIxEE19head_flag_predicatexEE10hipError_tPvRmT2_T3_T4_T5_mT6_T7_P12ihipStream_tbENKUlT_T0_E_clISt17integral_constantIbLb0EESY_EEDaST_SU_EUlST_E_NS1_11comp_targetILNS1_3genE4ELNS1_11target_archE910ELNS1_3gpuE8ELNS1_3repE0EEENS1_30default_config_static_selectorELNS0_4arch9wavefront6targetE0EEEvT1_: ; @_ZN7rocprim17ROCPRIM_400000_NS6detail17trampoline_kernelINS0_14default_configENS1_27scan_by_key_config_selectorIxxEEZZNS1_16scan_by_key_implILNS1_25lookback_scan_determinismE0ELb1ES3_N6thrust23THRUST_200600_302600_NS6detail15normal_iteratorINS9_10device_ptrIxEEEESE_SE_xNS9_4plusIxEE19head_flag_predicatexEE10hipError_tPvRmT2_T3_T4_T5_mT6_T7_P12ihipStream_tbENKUlT_T0_E_clISt17integral_constantIbLb0EESY_EEDaST_SU_EUlST_E_NS1_11comp_targetILNS1_3genE4ELNS1_11target_archE910ELNS1_3gpuE8ELNS1_3repE0EEENS1_30default_config_static_selectorELNS0_4arch9wavefront6targetE0EEEvT1_
; %bb.0:
	.section	.rodata,"a",@progbits
	.p2align	6, 0x0
	.amdhsa_kernel _ZN7rocprim17ROCPRIM_400000_NS6detail17trampoline_kernelINS0_14default_configENS1_27scan_by_key_config_selectorIxxEEZZNS1_16scan_by_key_implILNS1_25lookback_scan_determinismE0ELb1ES3_N6thrust23THRUST_200600_302600_NS6detail15normal_iteratorINS9_10device_ptrIxEEEESE_SE_xNS9_4plusIxEE19head_flag_predicatexEE10hipError_tPvRmT2_T3_T4_T5_mT6_T7_P12ihipStream_tbENKUlT_T0_E_clISt17integral_constantIbLb0EESY_EEDaST_SU_EUlST_E_NS1_11comp_targetILNS1_3genE4ELNS1_11target_archE910ELNS1_3gpuE8ELNS1_3repE0EEENS1_30default_config_static_selectorELNS0_4arch9wavefront6targetE0EEEvT1_
		.amdhsa_group_segment_fixed_size 0
		.amdhsa_private_segment_fixed_size 0
		.amdhsa_kernarg_size 136
		.amdhsa_user_sgpr_count 6
		.amdhsa_user_sgpr_private_segment_buffer 1
		.amdhsa_user_sgpr_dispatch_ptr 0
		.amdhsa_user_sgpr_queue_ptr 0
		.amdhsa_user_sgpr_kernarg_segment_ptr 1
		.amdhsa_user_sgpr_dispatch_id 0
		.amdhsa_user_sgpr_flat_scratch_init 0
		.amdhsa_user_sgpr_private_segment_size 0
		.amdhsa_wavefront_size32 1
		.amdhsa_uses_dynamic_stack 0
		.amdhsa_system_sgpr_private_segment_wavefront_offset 0
		.amdhsa_system_sgpr_workgroup_id_x 1
		.amdhsa_system_sgpr_workgroup_id_y 0
		.amdhsa_system_sgpr_workgroup_id_z 0
		.amdhsa_system_sgpr_workgroup_info 0
		.amdhsa_system_vgpr_workitem_id 0
		.amdhsa_next_free_vgpr 1
		.amdhsa_next_free_sgpr 1
		.amdhsa_reserve_vcc 0
		.amdhsa_reserve_flat_scratch 0
		.amdhsa_float_round_mode_32 0
		.amdhsa_float_round_mode_16_64 0
		.amdhsa_float_denorm_mode_32 3
		.amdhsa_float_denorm_mode_16_64 3
		.amdhsa_dx10_clamp 1
		.amdhsa_ieee_mode 1
		.amdhsa_fp16_overflow 0
		.amdhsa_workgroup_processor_mode 1
		.amdhsa_memory_ordered 1
		.amdhsa_forward_progress 1
		.amdhsa_shared_vgpr_count 0
		.amdhsa_exception_fp_ieee_invalid_op 0
		.amdhsa_exception_fp_denorm_src 0
		.amdhsa_exception_fp_ieee_div_zero 0
		.amdhsa_exception_fp_ieee_overflow 0
		.amdhsa_exception_fp_ieee_underflow 0
		.amdhsa_exception_fp_ieee_inexact 0
		.amdhsa_exception_int_div_zero 0
	.end_amdhsa_kernel
	.section	.text._ZN7rocprim17ROCPRIM_400000_NS6detail17trampoline_kernelINS0_14default_configENS1_27scan_by_key_config_selectorIxxEEZZNS1_16scan_by_key_implILNS1_25lookback_scan_determinismE0ELb1ES3_N6thrust23THRUST_200600_302600_NS6detail15normal_iteratorINS9_10device_ptrIxEEEESE_SE_xNS9_4plusIxEE19head_flag_predicatexEE10hipError_tPvRmT2_T3_T4_T5_mT6_T7_P12ihipStream_tbENKUlT_T0_E_clISt17integral_constantIbLb0EESY_EEDaST_SU_EUlST_E_NS1_11comp_targetILNS1_3genE4ELNS1_11target_archE910ELNS1_3gpuE8ELNS1_3repE0EEENS1_30default_config_static_selectorELNS0_4arch9wavefront6targetE0EEEvT1_,"axG",@progbits,_ZN7rocprim17ROCPRIM_400000_NS6detail17trampoline_kernelINS0_14default_configENS1_27scan_by_key_config_selectorIxxEEZZNS1_16scan_by_key_implILNS1_25lookback_scan_determinismE0ELb1ES3_N6thrust23THRUST_200600_302600_NS6detail15normal_iteratorINS9_10device_ptrIxEEEESE_SE_xNS9_4plusIxEE19head_flag_predicatexEE10hipError_tPvRmT2_T3_T4_T5_mT6_T7_P12ihipStream_tbENKUlT_T0_E_clISt17integral_constantIbLb0EESY_EEDaST_SU_EUlST_E_NS1_11comp_targetILNS1_3genE4ELNS1_11target_archE910ELNS1_3gpuE8ELNS1_3repE0EEENS1_30default_config_static_selectorELNS0_4arch9wavefront6targetE0EEEvT1_,comdat
.Lfunc_end716:
	.size	_ZN7rocprim17ROCPRIM_400000_NS6detail17trampoline_kernelINS0_14default_configENS1_27scan_by_key_config_selectorIxxEEZZNS1_16scan_by_key_implILNS1_25lookback_scan_determinismE0ELb1ES3_N6thrust23THRUST_200600_302600_NS6detail15normal_iteratorINS9_10device_ptrIxEEEESE_SE_xNS9_4plusIxEE19head_flag_predicatexEE10hipError_tPvRmT2_T3_T4_T5_mT6_T7_P12ihipStream_tbENKUlT_T0_E_clISt17integral_constantIbLb0EESY_EEDaST_SU_EUlST_E_NS1_11comp_targetILNS1_3genE4ELNS1_11target_archE910ELNS1_3gpuE8ELNS1_3repE0EEENS1_30default_config_static_selectorELNS0_4arch9wavefront6targetE0EEEvT1_, .Lfunc_end716-_ZN7rocprim17ROCPRIM_400000_NS6detail17trampoline_kernelINS0_14default_configENS1_27scan_by_key_config_selectorIxxEEZZNS1_16scan_by_key_implILNS1_25lookback_scan_determinismE0ELb1ES3_N6thrust23THRUST_200600_302600_NS6detail15normal_iteratorINS9_10device_ptrIxEEEESE_SE_xNS9_4plusIxEE19head_flag_predicatexEE10hipError_tPvRmT2_T3_T4_T5_mT6_T7_P12ihipStream_tbENKUlT_T0_E_clISt17integral_constantIbLb0EESY_EEDaST_SU_EUlST_E_NS1_11comp_targetILNS1_3genE4ELNS1_11target_archE910ELNS1_3gpuE8ELNS1_3repE0EEENS1_30default_config_static_selectorELNS0_4arch9wavefront6targetE0EEEvT1_
                                        ; -- End function
	.set _ZN7rocprim17ROCPRIM_400000_NS6detail17trampoline_kernelINS0_14default_configENS1_27scan_by_key_config_selectorIxxEEZZNS1_16scan_by_key_implILNS1_25lookback_scan_determinismE0ELb1ES3_N6thrust23THRUST_200600_302600_NS6detail15normal_iteratorINS9_10device_ptrIxEEEESE_SE_xNS9_4plusIxEE19head_flag_predicatexEE10hipError_tPvRmT2_T3_T4_T5_mT6_T7_P12ihipStream_tbENKUlT_T0_E_clISt17integral_constantIbLb0EESY_EEDaST_SU_EUlST_E_NS1_11comp_targetILNS1_3genE4ELNS1_11target_archE910ELNS1_3gpuE8ELNS1_3repE0EEENS1_30default_config_static_selectorELNS0_4arch9wavefront6targetE0EEEvT1_.num_vgpr, 0
	.set _ZN7rocprim17ROCPRIM_400000_NS6detail17trampoline_kernelINS0_14default_configENS1_27scan_by_key_config_selectorIxxEEZZNS1_16scan_by_key_implILNS1_25lookback_scan_determinismE0ELb1ES3_N6thrust23THRUST_200600_302600_NS6detail15normal_iteratorINS9_10device_ptrIxEEEESE_SE_xNS9_4plusIxEE19head_flag_predicatexEE10hipError_tPvRmT2_T3_T4_T5_mT6_T7_P12ihipStream_tbENKUlT_T0_E_clISt17integral_constantIbLb0EESY_EEDaST_SU_EUlST_E_NS1_11comp_targetILNS1_3genE4ELNS1_11target_archE910ELNS1_3gpuE8ELNS1_3repE0EEENS1_30default_config_static_selectorELNS0_4arch9wavefront6targetE0EEEvT1_.num_agpr, 0
	.set _ZN7rocprim17ROCPRIM_400000_NS6detail17trampoline_kernelINS0_14default_configENS1_27scan_by_key_config_selectorIxxEEZZNS1_16scan_by_key_implILNS1_25lookback_scan_determinismE0ELb1ES3_N6thrust23THRUST_200600_302600_NS6detail15normal_iteratorINS9_10device_ptrIxEEEESE_SE_xNS9_4plusIxEE19head_flag_predicatexEE10hipError_tPvRmT2_T3_T4_T5_mT6_T7_P12ihipStream_tbENKUlT_T0_E_clISt17integral_constantIbLb0EESY_EEDaST_SU_EUlST_E_NS1_11comp_targetILNS1_3genE4ELNS1_11target_archE910ELNS1_3gpuE8ELNS1_3repE0EEENS1_30default_config_static_selectorELNS0_4arch9wavefront6targetE0EEEvT1_.numbered_sgpr, 0
	.set _ZN7rocprim17ROCPRIM_400000_NS6detail17trampoline_kernelINS0_14default_configENS1_27scan_by_key_config_selectorIxxEEZZNS1_16scan_by_key_implILNS1_25lookback_scan_determinismE0ELb1ES3_N6thrust23THRUST_200600_302600_NS6detail15normal_iteratorINS9_10device_ptrIxEEEESE_SE_xNS9_4plusIxEE19head_flag_predicatexEE10hipError_tPvRmT2_T3_T4_T5_mT6_T7_P12ihipStream_tbENKUlT_T0_E_clISt17integral_constantIbLb0EESY_EEDaST_SU_EUlST_E_NS1_11comp_targetILNS1_3genE4ELNS1_11target_archE910ELNS1_3gpuE8ELNS1_3repE0EEENS1_30default_config_static_selectorELNS0_4arch9wavefront6targetE0EEEvT1_.num_named_barrier, 0
	.set _ZN7rocprim17ROCPRIM_400000_NS6detail17trampoline_kernelINS0_14default_configENS1_27scan_by_key_config_selectorIxxEEZZNS1_16scan_by_key_implILNS1_25lookback_scan_determinismE0ELb1ES3_N6thrust23THRUST_200600_302600_NS6detail15normal_iteratorINS9_10device_ptrIxEEEESE_SE_xNS9_4plusIxEE19head_flag_predicatexEE10hipError_tPvRmT2_T3_T4_T5_mT6_T7_P12ihipStream_tbENKUlT_T0_E_clISt17integral_constantIbLb0EESY_EEDaST_SU_EUlST_E_NS1_11comp_targetILNS1_3genE4ELNS1_11target_archE910ELNS1_3gpuE8ELNS1_3repE0EEENS1_30default_config_static_selectorELNS0_4arch9wavefront6targetE0EEEvT1_.private_seg_size, 0
	.set _ZN7rocprim17ROCPRIM_400000_NS6detail17trampoline_kernelINS0_14default_configENS1_27scan_by_key_config_selectorIxxEEZZNS1_16scan_by_key_implILNS1_25lookback_scan_determinismE0ELb1ES3_N6thrust23THRUST_200600_302600_NS6detail15normal_iteratorINS9_10device_ptrIxEEEESE_SE_xNS9_4plusIxEE19head_flag_predicatexEE10hipError_tPvRmT2_T3_T4_T5_mT6_T7_P12ihipStream_tbENKUlT_T0_E_clISt17integral_constantIbLb0EESY_EEDaST_SU_EUlST_E_NS1_11comp_targetILNS1_3genE4ELNS1_11target_archE910ELNS1_3gpuE8ELNS1_3repE0EEENS1_30default_config_static_selectorELNS0_4arch9wavefront6targetE0EEEvT1_.uses_vcc, 0
	.set _ZN7rocprim17ROCPRIM_400000_NS6detail17trampoline_kernelINS0_14default_configENS1_27scan_by_key_config_selectorIxxEEZZNS1_16scan_by_key_implILNS1_25lookback_scan_determinismE0ELb1ES3_N6thrust23THRUST_200600_302600_NS6detail15normal_iteratorINS9_10device_ptrIxEEEESE_SE_xNS9_4plusIxEE19head_flag_predicatexEE10hipError_tPvRmT2_T3_T4_T5_mT6_T7_P12ihipStream_tbENKUlT_T0_E_clISt17integral_constantIbLb0EESY_EEDaST_SU_EUlST_E_NS1_11comp_targetILNS1_3genE4ELNS1_11target_archE910ELNS1_3gpuE8ELNS1_3repE0EEENS1_30default_config_static_selectorELNS0_4arch9wavefront6targetE0EEEvT1_.uses_flat_scratch, 0
	.set _ZN7rocprim17ROCPRIM_400000_NS6detail17trampoline_kernelINS0_14default_configENS1_27scan_by_key_config_selectorIxxEEZZNS1_16scan_by_key_implILNS1_25lookback_scan_determinismE0ELb1ES3_N6thrust23THRUST_200600_302600_NS6detail15normal_iteratorINS9_10device_ptrIxEEEESE_SE_xNS9_4plusIxEE19head_flag_predicatexEE10hipError_tPvRmT2_T3_T4_T5_mT6_T7_P12ihipStream_tbENKUlT_T0_E_clISt17integral_constantIbLb0EESY_EEDaST_SU_EUlST_E_NS1_11comp_targetILNS1_3genE4ELNS1_11target_archE910ELNS1_3gpuE8ELNS1_3repE0EEENS1_30default_config_static_selectorELNS0_4arch9wavefront6targetE0EEEvT1_.has_dyn_sized_stack, 0
	.set _ZN7rocprim17ROCPRIM_400000_NS6detail17trampoline_kernelINS0_14default_configENS1_27scan_by_key_config_selectorIxxEEZZNS1_16scan_by_key_implILNS1_25lookback_scan_determinismE0ELb1ES3_N6thrust23THRUST_200600_302600_NS6detail15normal_iteratorINS9_10device_ptrIxEEEESE_SE_xNS9_4plusIxEE19head_flag_predicatexEE10hipError_tPvRmT2_T3_T4_T5_mT6_T7_P12ihipStream_tbENKUlT_T0_E_clISt17integral_constantIbLb0EESY_EEDaST_SU_EUlST_E_NS1_11comp_targetILNS1_3genE4ELNS1_11target_archE910ELNS1_3gpuE8ELNS1_3repE0EEENS1_30default_config_static_selectorELNS0_4arch9wavefront6targetE0EEEvT1_.has_recursion, 0
	.set _ZN7rocprim17ROCPRIM_400000_NS6detail17trampoline_kernelINS0_14default_configENS1_27scan_by_key_config_selectorIxxEEZZNS1_16scan_by_key_implILNS1_25lookback_scan_determinismE0ELb1ES3_N6thrust23THRUST_200600_302600_NS6detail15normal_iteratorINS9_10device_ptrIxEEEESE_SE_xNS9_4plusIxEE19head_flag_predicatexEE10hipError_tPvRmT2_T3_T4_T5_mT6_T7_P12ihipStream_tbENKUlT_T0_E_clISt17integral_constantIbLb0EESY_EEDaST_SU_EUlST_E_NS1_11comp_targetILNS1_3genE4ELNS1_11target_archE910ELNS1_3gpuE8ELNS1_3repE0EEENS1_30default_config_static_selectorELNS0_4arch9wavefront6targetE0EEEvT1_.has_indirect_call, 0
	.section	.AMDGPU.csdata,"",@progbits
; Kernel info:
; codeLenInByte = 0
; TotalNumSgprs: 0
; NumVgprs: 0
; ScratchSize: 0
; MemoryBound: 0
; FloatMode: 240
; IeeeMode: 1
; LDSByteSize: 0 bytes/workgroup (compile time only)
; SGPRBlocks: 0
; VGPRBlocks: 0
; NumSGPRsForWavesPerEU: 1
; NumVGPRsForWavesPerEU: 1
; Occupancy: 16
; WaveLimiterHint : 0
; COMPUTE_PGM_RSRC2:SCRATCH_EN: 0
; COMPUTE_PGM_RSRC2:USER_SGPR: 6
; COMPUTE_PGM_RSRC2:TRAP_HANDLER: 0
; COMPUTE_PGM_RSRC2:TGID_X_EN: 1
; COMPUTE_PGM_RSRC2:TGID_Y_EN: 0
; COMPUTE_PGM_RSRC2:TGID_Z_EN: 0
; COMPUTE_PGM_RSRC2:TIDIG_COMP_CNT: 0
	.section	.text._ZN7rocprim17ROCPRIM_400000_NS6detail17trampoline_kernelINS0_14default_configENS1_27scan_by_key_config_selectorIxxEEZZNS1_16scan_by_key_implILNS1_25lookback_scan_determinismE0ELb1ES3_N6thrust23THRUST_200600_302600_NS6detail15normal_iteratorINS9_10device_ptrIxEEEESE_SE_xNS9_4plusIxEE19head_flag_predicatexEE10hipError_tPvRmT2_T3_T4_T5_mT6_T7_P12ihipStream_tbENKUlT_T0_E_clISt17integral_constantIbLb0EESY_EEDaST_SU_EUlST_E_NS1_11comp_targetILNS1_3genE3ELNS1_11target_archE908ELNS1_3gpuE7ELNS1_3repE0EEENS1_30default_config_static_selectorELNS0_4arch9wavefront6targetE0EEEvT1_,"axG",@progbits,_ZN7rocprim17ROCPRIM_400000_NS6detail17trampoline_kernelINS0_14default_configENS1_27scan_by_key_config_selectorIxxEEZZNS1_16scan_by_key_implILNS1_25lookback_scan_determinismE0ELb1ES3_N6thrust23THRUST_200600_302600_NS6detail15normal_iteratorINS9_10device_ptrIxEEEESE_SE_xNS9_4plusIxEE19head_flag_predicatexEE10hipError_tPvRmT2_T3_T4_T5_mT6_T7_P12ihipStream_tbENKUlT_T0_E_clISt17integral_constantIbLb0EESY_EEDaST_SU_EUlST_E_NS1_11comp_targetILNS1_3genE3ELNS1_11target_archE908ELNS1_3gpuE7ELNS1_3repE0EEENS1_30default_config_static_selectorELNS0_4arch9wavefront6targetE0EEEvT1_,comdat
	.protected	_ZN7rocprim17ROCPRIM_400000_NS6detail17trampoline_kernelINS0_14default_configENS1_27scan_by_key_config_selectorIxxEEZZNS1_16scan_by_key_implILNS1_25lookback_scan_determinismE0ELb1ES3_N6thrust23THRUST_200600_302600_NS6detail15normal_iteratorINS9_10device_ptrIxEEEESE_SE_xNS9_4plusIxEE19head_flag_predicatexEE10hipError_tPvRmT2_T3_T4_T5_mT6_T7_P12ihipStream_tbENKUlT_T0_E_clISt17integral_constantIbLb0EESY_EEDaST_SU_EUlST_E_NS1_11comp_targetILNS1_3genE3ELNS1_11target_archE908ELNS1_3gpuE7ELNS1_3repE0EEENS1_30default_config_static_selectorELNS0_4arch9wavefront6targetE0EEEvT1_ ; -- Begin function _ZN7rocprim17ROCPRIM_400000_NS6detail17trampoline_kernelINS0_14default_configENS1_27scan_by_key_config_selectorIxxEEZZNS1_16scan_by_key_implILNS1_25lookback_scan_determinismE0ELb1ES3_N6thrust23THRUST_200600_302600_NS6detail15normal_iteratorINS9_10device_ptrIxEEEESE_SE_xNS9_4plusIxEE19head_flag_predicatexEE10hipError_tPvRmT2_T3_T4_T5_mT6_T7_P12ihipStream_tbENKUlT_T0_E_clISt17integral_constantIbLb0EESY_EEDaST_SU_EUlST_E_NS1_11comp_targetILNS1_3genE3ELNS1_11target_archE908ELNS1_3gpuE7ELNS1_3repE0EEENS1_30default_config_static_selectorELNS0_4arch9wavefront6targetE0EEEvT1_
	.globl	_ZN7rocprim17ROCPRIM_400000_NS6detail17trampoline_kernelINS0_14default_configENS1_27scan_by_key_config_selectorIxxEEZZNS1_16scan_by_key_implILNS1_25lookback_scan_determinismE0ELb1ES3_N6thrust23THRUST_200600_302600_NS6detail15normal_iteratorINS9_10device_ptrIxEEEESE_SE_xNS9_4plusIxEE19head_flag_predicatexEE10hipError_tPvRmT2_T3_T4_T5_mT6_T7_P12ihipStream_tbENKUlT_T0_E_clISt17integral_constantIbLb0EESY_EEDaST_SU_EUlST_E_NS1_11comp_targetILNS1_3genE3ELNS1_11target_archE908ELNS1_3gpuE7ELNS1_3repE0EEENS1_30default_config_static_selectorELNS0_4arch9wavefront6targetE0EEEvT1_
	.p2align	8
	.type	_ZN7rocprim17ROCPRIM_400000_NS6detail17trampoline_kernelINS0_14default_configENS1_27scan_by_key_config_selectorIxxEEZZNS1_16scan_by_key_implILNS1_25lookback_scan_determinismE0ELb1ES3_N6thrust23THRUST_200600_302600_NS6detail15normal_iteratorINS9_10device_ptrIxEEEESE_SE_xNS9_4plusIxEE19head_flag_predicatexEE10hipError_tPvRmT2_T3_T4_T5_mT6_T7_P12ihipStream_tbENKUlT_T0_E_clISt17integral_constantIbLb0EESY_EEDaST_SU_EUlST_E_NS1_11comp_targetILNS1_3genE3ELNS1_11target_archE908ELNS1_3gpuE7ELNS1_3repE0EEENS1_30default_config_static_selectorELNS0_4arch9wavefront6targetE0EEEvT1_,@function
_ZN7rocprim17ROCPRIM_400000_NS6detail17trampoline_kernelINS0_14default_configENS1_27scan_by_key_config_selectorIxxEEZZNS1_16scan_by_key_implILNS1_25lookback_scan_determinismE0ELb1ES3_N6thrust23THRUST_200600_302600_NS6detail15normal_iteratorINS9_10device_ptrIxEEEESE_SE_xNS9_4plusIxEE19head_flag_predicatexEE10hipError_tPvRmT2_T3_T4_T5_mT6_T7_P12ihipStream_tbENKUlT_T0_E_clISt17integral_constantIbLb0EESY_EEDaST_SU_EUlST_E_NS1_11comp_targetILNS1_3genE3ELNS1_11target_archE908ELNS1_3gpuE7ELNS1_3repE0EEENS1_30default_config_static_selectorELNS0_4arch9wavefront6targetE0EEEvT1_: ; @_ZN7rocprim17ROCPRIM_400000_NS6detail17trampoline_kernelINS0_14default_configENS1_27scan_by_key_config_selectorIxxEEZZNS1_16scan_by_key_implILNS1_25lookback_scan_determinismE0ELb1ES3_N6thrust23THRUST_200600_302600_NS6detail15normal_iteratorINS9_10device_ptrIxEEEESE_SE_xNS9_4plusIxEE19head_flag_predicatexEE10hipError_tPvRmT2_T3_T4_T5_mT6_T7_P12ihipStream_tbENKUlT_T0_E_clISt17integral_constantIbLb0EESY_EEDaST_SU_EUlST_E_NS1_11comp_targetILNS1_3genE3ELNS1_11target_archE908ELNS1_3gpuE7ELNS1_3repE0EEENS1_30default_config_static_selectorELNS0_4arch9wavefront6targetE0EEEvT1_
; %bb.0:
	.section	.rodata,"a",@progbits
	.p2align	6, 0x0
	.amdhsa_kernel _ZN7rocprim17ROCPRIM_400000_NS6detail17trampoline_kernelINS0_14default_configENS1_27scan_by_key_config_selectorIxxEEZZNS1_16scan_by_key_implILNS1_25lookback_scan_determinismE0ELb1ES3_N6thrust23THRUST_200600_302600_NS6detail15normal_iteratorINS9_10device_ptrIxEEEESE_SE_xNS9_4plusIxEE19head_flag_predicatexEE10hipError_tPvRmT2_T3_T4_T5_mT6_T7_P12ihipStream_tbENKUlT_T0_E_clISt17integral_constantIbLb0EESY_EEDaST_SU_EUlST_E_NS1_11comp_targetILNS1_3genE3ELNS1_11target_archE908ELNS1_3gpuE7ELNS1_3repE0EEENS1_30default_config_static_selectorELNS0_4arch9wavefront6targetE0EEEvT1_
		.amdhsa_group_segment_fixed_size 0
		.amdhsa_private_segment_fixed_size 0
		.amdhsa_kernarg_size 136
		.amdhsa_user_sgpr_count 6
		.amdhsa_user_sgpr_private_segment_buffer 1
		.amdhsa_user_sgpr_dispatch_ptr 0
		.amdhsa_user_sgpr_queue_ptr 0
		.amdhsa_user_sgpr_kernarg_segment_ptr 1
		.amdhsa_user_sgpr_dispatch_id 0
		.amdhsa_user_sgpr_flat_scratch_init 0
		.amdhsa_user_sgpr_private_segment_size 0
		.amdhsa_wavefront_size32 1
		.amdhsa_uses_dynamic_stack 0
		.amdhsa_system_sgpr_private_segment_wavefront_offset 0
		.amdhsa_system_sgpr_workgroup_id_x 1
		.amdhsa_system_sgpr_workgroup_id_y 0
		.amdhsa_system_sgpr_workgroup_id_z 0
		.amdhsa_system_sgpr_workgroup_info 0
		.amdhsa_system_vgpr_workitem_id 0
		.amdhsa_next_free_vgpr 1
		.amdhsa_next_free_sgpr 1
		.amdhsa_reserve_vcc 0
		.amdhsa_reserve_flat_scratch 0
		.amdhsa_float_round_mode_32 0
		.amdhsa_float_round_mode_16_64 0
		.amdhsa_float_denorm_mode_32 3
		.amdhsa_float_denorm_mode_16_64 3
		.amdhsa_dx10_clamp 1
		.amdhsa_ieee_mode 1
		.amdhsa_fp16_overflow 0
		.amdhsa_workgroup_processor_mode 1
		.amdhsa_memory_ordered 1
		.amdhsa_forward_progress 1
		.amdhsa_shared_vgpr_count 0
		.amdhsa_exception_fp_ieee_invalid_op 0
		.amdhsa_exception_fp_denorm_src 0
		.amdhsa_exception_fp_ieee_div_zero 0
		.amdhsa_exception_fp_ieee_overflow 0
		.amdhsa_exception_fp_ieee_underflow 0
		.amdhsa_exception_fp_ieee_inexact 0
		.amdhsa_exception_int_div_zero 0
	.end_amdhsa_kernel
	.section	.text._ZN7rocprim17ROCPRIM_400000_NS6detail17trampoline_kernelINS0_14default_configENS1_27scan_by_key_config_selectorIxxEEZZNS1_16scan_by_key_implILNS1_25lookback_scan_determinismE0ELb1ES3_N6thrust23THRUST_200600_302600_NS6detail15normal_iteratorINS9_10device_ptrIxEEEESE_SE_xNS9_4plusIxEE19head_flag_predicatexEE10hipError_tPvRmT2_T3_T4_T5_mT6_T7_P12ihipStream_tbENKUlT_T0_E_clISt17integral_constantIbLb0EESY_EEDaST_SU_EUlST_E_NS1_11comp_targetILNS1_3genE3ELNS1_11target_archE908ELNS1_3gpuE7ELNS1_3repE0EEENS1_30default_config_static_selectorELNS0_4arch9wavefront6targetE0EEEvT1_,"axG",@progbits,_ZN7rocprim17ROCPRIM_400000_NS6detail17trampoline_kernelINS0_14default_configENS1_27scan_by_key_config_selectorIxxEEZZNS1_16scan_by_key_implILNS1_25lookback_scan_determinismE0ELb1ES3_N6thrust23THRUST_200600_302600_NS6detail15normal_iteratorINS9_10device_ptrIxEEEESE_SE_xNS9_4plusIxEE19head_flag_predicatexEE10hipError_tPvRmT2_T3_T4_T5_mT6_T7_P12ihipStream_tbENKUlT_T0_E_clISt17integral_constantIbLb0EESY_EEDaST_SU_EUlST_E_NS1_11comp_targetILNS1_3genE3ELNS1_11target_archE908ELNS1_3gpuE7ELNS1_3repE0EEENS1_30default_config_static_selectorELNS0_4arch9wavefront6targetE0EEEvT1_,comdat
.Lfunc_end717:
	.size	_ZN7rocprim17ROCPRIM_400000_NS6detail17trampoline_kernelINS0_14default_configENS1_27scan_by_key_config_selectorIxxEEZZNS1_16scan_by_key_implILNS1_25lookback_scan_determinismE0ELb1ES3_N6thrust23THRUST_200600_302600_NS6detail15normal_iteratorINS9_10device_ptrIxEEEESE_SE_xNS9_4plusIxEE19head_flag_predicatexEE10hipError_tPvRmT2_T3_T4_T5_mT6_T7_P12ihipStream_tbENKUlT_T0_E_clISt17integral_constantIbLb0EESY_EEDaST_SU_EUlST_E_NS1_11comp_targetILNS1_3genE3ELNS1_11target_archE908ELNS1_3gpuE7ELNS1_3repE0EEENS1_30default_config_static_selectorELNS0_4arch9wavefront6targetE0EEEvT1_, .Lfunc_end717-_ZN7rocprim17ROCPRIM_400000_NS6detail17trampoline_kernelINS0_14default_configENS1_27scan_by_key_config_selectorIxxEEZZNS1_16scan_by_key_implILNS1_25lookback_scan_determinismE0ELb1ES3_N6thrust23THRUST_200600_302600_NS6detail15normal_iteratorINS9_10device_ptrIxEEEESE_SE_xNS9_4plusIxEE19head_flag_predicatexEE10hipError_tPvRmT2_T3_T4_T5_mT6_T7_P12ihipStream_tbENKUlT_T0_E_clISt17integral_constantIbLb0EESY_EEDaST_SU_EUlST_E_NS1_11comp_targetILNS1_3genE3ELNS1_11target_archE908ELNS1_3gpuE7ELNS1_3repE0EEENS1_30default_config_static_selectorELNS0_4arch9wavefront6targetE0EEEvT1_
                                        ; -- End function
	.set _ZN7rocprim17ROCPRIM_400000_NS6detail17trampoline_kernelINS0_14default_configENS1_27scan_by_key_config_selectorIxxEEZZNS1_16scan_by_key_implILNS1_25lookback_scan_determinismE0ELb1ES3_N6thrust23THRUST_200600_302600_NS6detail15normal_iteratorINS9_10device_ptrIxEEEESE_SE_xNS9_4plusIxEE19head_flag_predicatexEE10hipError_tPvRmT2_T3_T4_T5_mT6_T7_P12ihipStream_tbENKUlT_T0_E_clISt17integral_constantIbLb0EESY_EEDaST_SU_EUlST_E_NS1_11comp_targetILNS1_3genE3ELNS1_11target_archE908ELNS1_3gpuE7ELNS1_3repE0EEENS1_30default_config_static_selectorELNS0_4arch9wavefront6targetE0EEEvT1_.num_vgpr, 0
	.set _ZN7rocprim17ROCPRIM_400000_NS6detail17trampoline_kernelINS0_14default_configENS1_27scan_by_key_config_selectorIxxEEZZNS1_16scan_by_key_implILNS1_25lookback_scan_determinismE0ELb1ES3_N6thrust23THRUST_200600_302600_NS6detail15normal_iteratorINS9_10device_ptrIxEEEESE_SE_xNS9_4plusIxEE19head_flag_predicatexEE10hipError_tPvRmT2_T3_T4_T5_mT6_T7_P12ihipStream_tbENKUlT_T0_E_clISt17integral_constantIbLb0EESY_EEDaST_SU_EUlST_E_NS1_11comp_targetILNS1_3genE3ELNS1_11target_archE908ELNS1_3gpuE7ELNS1_3repE0EEENS1_30default_config_static_selectorELNS0_4arch9wavefront6targetE0EEEvT1_.num_agpr, 0
	.set _ZN7rocprim17ROCPRIM_400000_NS6detail17trampoline_kernelINS0_14default_configENS1_27scan_by_key_config_selectorIxxEEZZNS1_16scan_by_key_implILNS1_25lookback_scan_determinismE0ELb1ES3_N6thrust23THRUST_200600_302600_NS6detail15normal_iteratorINS9_10device_ptrIxEEEESE_SE_xNS9_4plusIxEE19head_flag_predicatexEE10hipError_tPvRmT2_T3_T4_T5_mT6_T7_P12ihipStream_tbENKUlT_T0_E_clISt17integral_constantIbLb0EESY_EEDaST_SU_EUlST_E_NS1_11comp_targetILNS1_3genE3ELNS1_11target_archE908ELNS1_3gpuE7ELNS1_3repE0EEENS1_30default_config_static_selectorELNS0_4arch9wavefront6targetE0EEEvT1_.numbered_sgpr, 0
	.set _ZN7rocprim17ROCPRIM_400000_NS6detail17trampoline_kernelINS0_14default_configENS1_27scan_by_key_config_selectorIxxEEZZNS1_16scan_by_key_implILNS1_25lookback_scan_determinismE0ELb1ES3_N6thrust23THRUST_200600_302600_NS6detail15normal_iteratorINS9_10device_ptrIxEEEESE_SE_xNS9_4plusIxEE19head_flag_predicatexEE10hipError_tPvRmT2_T3_T4_T5_mT6_T7_P12ihipStream_tbENKUlT_T0_E_clISt17integral_constantIbLb0EESY_EEDaST_SU_EUlST_E_NS1_11comp_targetILNS1_3genE3ELNS1_11target_archE908ELNS1_3gpuE7ELNS1_3repE0EEENS1_30default_config_static_selectorELNS0_4arch9wavefront6targetE0EEEvT1_.num_named_barrier, 0
	.set _ZN7rocprim17ROCPRIM_400000_NS6detail17trampoline_kernelINS0_14default_configENS1_27scan_by_key_config_selectorIxxEEZZNS1_16scan_by_key_implILNS1_25lookback_scan_determinismE0ELb1ES3_N6thrust23THRUST_200600_302600_NS6detail15normal_iteratorINS9_10device_ptrIxEEEESE_SE_xNS9_4plusIxEE19head_flag_predicatexEE10hipError_tPvRmT2_T3_T4_T5_mT6_T7_P12ihipStream_tbENKUlT_T0_E_clISt17integral_constantIbLb0EESY_EEDaST_SU_EUlST_E_NS1_11comp_targetILNS1_3genE3ELNS1_11target_archE908ELNS1_3gpuE7ELNS1_3repE0EEENS1_30default_config_static_selectorELNS0_4arch9wavefront6targetE0EEEvT1_.private_seg_size, 0
	.set _ZN7rocprim17ROCPRIM_400000_NS6detail17trampoline_kernelINS0_14default_configENS1_27scan_by_key_config_selectorIxxEEZZNS1_16scan_by_key_implILNS1_25lookback_scan_determinismE0ELb1ES3_N6thrust23THRUST_200600_302600_NS6detail15normal_iteratorINS9_10device_ptrIxEEEESE_SE_xNS9_4plusIxEE19head_flag_predicatexEE10hipError_tPvRmT2_T3_T4_T5_mT6_T7_P12ihipStream_tbENKUlT_T0_E_clISt17integral_constantIbLb0EESY_EEDaST_SU_EUlST_E_NS1_11comp_targetILNS1_3genE3ELNS1_11target_archE908ELNS1_3gpuE7ELNS1_3repE0EEENS1_30default_config_static_selectorELNS0_4arch9wavefront6targetE0EEEvT1_.uses_vcc, 0
	.set _ZN7rocprim17ROCPRIM_400000_NS6detail17trampoline_kernelINS0_14default_configENS1_27scan_by_key_config_selectorIxxEEZZNS1_16scan_by_key_implILNS1_25lookback_scan_determinismE0ELb1ES3_N6thrust23THRUST_200600_302600_NS6detail15normal_iteratorINS9_10device_ptrIxEEEESE_SE_xNS9_4plusIxEE19head_flag_predicatexEE10hipError_tPvRmT2_T3_T4_T5_mT6_T7_P12ihipStream_tbENKUlT_T0_E_clISt17integral_constantIbLb0EESY_EEDaST_SU_EUlST_E_NS1_11comp_targetILNS1_3genE3ELNS1_11target_archE908ELNS1_3gpuE7ELNS1_3repE0EEENS1_30default_config_static_selectorELNS0_4arch9wavefront6targetE0EEEvT1_.uses_flat_scratch, 0
	.set _ZN7rocprim17ROCPRIM_400000_NS6detail17trampoline_kernelINS0_14default_configENS1_27scan_by_key_config_selectorIxxEEZZNS1_16scan_by_key_implILNS1_25lookback_scan_determinismE0ELb1ES3_N6thrust23THRUST_200600_302600_NS6detail15normal_iteratorINS9_10device_ptrIxEEEESE_SE_xNS9_4plusIxEE19head_flag_predicatexEE10hipError_tPvRmT2_T3_T4_T5_mT6_T7_P12ihipStream_tbENKUlT_T0_E_clISt17integral_constantIbLb0EESY_EEDaST_SU_EUlST_E_NS1_11comp_targetILNS1_3genE3ELNS1_11target_archE908ELNS1_3gpuE7ELNS1_3repE0EEENS1_30default_config_static_selectorELNS0_4arch9wavefront6targetE0EEEvT1_.has_dyn_sized_stack, 0
	.set _ZN7rocprim17ROCPRIM_400000_NS6detail17trampoline_kernelINS0_14default_configENS1_27scan_by_key_config_selectorIxxEEZZNS1_16scan_by_key_implILNS1_25lookback_scan_determinismE0ELb1ES3_N6thrust23THRUST_200600_302600_NS6detail15normal_iteratorINS9_10device_ptrIxEEEESE_SE_xNS9_4plusIxEE19head_flag_predicatexEE10hipError_tPvRmT2_T3_T4_T5_mT6_T7_P12ihipStream_tbENKUlT_T0_E_clISt17integral_constantIbLb0EESY_EEDaST_SU_EUlST_E_NS1_11comp_targetILNS1_3genE3ELNS1_11target_archE908ELNS1_3gpuE7ELNS1_3repE0EEENS1_30default_config_static_selectorELNS0_4arch9wavefront6targetE0EEEvT1_.has_recursion, 0
	.set _ZN7rocprim17ROCPRIM_400000_NS6detail17trampoline_kernelINS0_14default_configENS1_27scan_by_key_config_selectorIxxEEZZNS1_16scan_by_key_implILNS1_25lookback_scan_determinismE0ELb1ES3_N6thrust23THRUST_200600_302600_NS6detail15normal_iteratorINS9_10device_ptrIxEEEESE_SE_xNS9_4plusIxEE19head_flag_predicatexEE10hipError_tPvRmT2_T3_T4_T5_mT6_T7_P12ihipStream_tbENKUlT_T0_E_clISt17integral_constantIbLb0EESY_EEDaST_SU_EUlST_E_NS1_11comp_targetILNS1_3genE3ELNS1_11target_archE908ELNS1_3gpuE7ELNS1_3repE0EEENS1_30default_config_static_selectorELNS0_4arch9wavefront6targetE0EEEvT1_.has_indirect_call, 0
	.section	.AMDGPU.csdata,"",@progbits
; Kernel info:
; codeLenInByte = 0
; TotalNumSgprs: 0
; NumVgprs: 0
; ScratchSize: 0
; MemoryBound: 0
; FloatMode: 240
; IeeeMode: 1
; LDSByteSize: 0 bytes/workgroup (compile time only)
; SGPRBlocks: 0
; VGPRBlocks: 0
; NumSGPRsForWavesPerEU: 1
; NumVGPRsForWavesPerEU: 1
; Occupancy: 16
; WaveLimiterHint : 0
; COMPUTE_PGM_RSRC2:SCRATCH_EN: 0
; COMPUTE_PGM_RSRC2:USER_SGPR: 6
; COMPUTE_PGM_RSRC2:TRAP_HANDLER: 0
; COMPUTE_PGM_RSRC2:TGID_X_EN: 1
; COMPUTE_PGM_RSRC2:TGID_Y_EN: 0
; COMPUTE_PGM_RSRC2:TGID_Z_EN: 0
; COMPUTE_PGM_RSRC2:TIDIG_COMP_CNT: 0
	.section	.text._ZN7rocprim17ROCPRIM_400000_NS6detail17trampoline_kernelINS0_14default_configENS1_27scan_by_key_config_selectorIxxEEZZNS1_16scan_by_key_implILNS1_25lookback_scan_determinismE0ELb1ES3_N6thrust23THRUST_200600_302600_NS6detail15normal_iteratorINS9_10device_ptrIxEEEESE_SE_xNS9_4plusIxEE19head_flag_predicatexEE10hipError_tPvRmT2_T3_T4_T5_mT6_T7_P12ihipStream_tbENKUlT_T0_E_clISt17integral_constantIbLb0EESY_EEDaST_SU_EUlST_E_NS1_11comp_targetILNS1_3genE2ELNS1_11target_archE906ELNS1_3gpuE6ELNS1_3repE0EEENS1_30default_config_static_selectorELNS0_4arch9wavefront6targetE0EEEvT1_,"axG",@progbits,_ZN7rocprim17ROCPRIM_400000_NS6detail17trampoline_kernelINS0_14default_configENS1_27scan_by_key_config_selectorIxxEEZZNS1_16scan_by_key_implILNS1_25lookback_scan_determinismE0ELb1ES3_N6thrust23THRUST_200600_302600_NS6detail15normal_iteratorINS9_10device_ptrIxEEEESE_SE_xNS9_4plusIxEE19head_flag_predicatexEE10hipError_tPvRmT2_T3_T4_T5_mT6_T7_P12ihipStream_tbENKUlT_T0_E_clISt17integral_constantIbLb0EESY_EEDaST_SU_EUlST_E_NS1_11comp_targetILNS1_3genE2ELNS1_11target_archE906ELNS1_3gpuE6ELNS1_3repE0EEENS1_30default_config_static_selectorELNS0_4arch9wavefront6targetE0EEEvT1_,comdat
	.protected	_ZN7rocprim17ROCPRIM_400000_NS6detail17trampoline_kernelINS0_14default_configENS1_27scan_by_key_config_selectorIxxEEZZNS1_16scan_by_key_implILNS1_25lookback_scan_determinismE0ELb1ES3_N6thrust23THRUST_200600_302600_NS6detail15normal_iteratorINS9_10device_ptrIxEEEESE_SE_xNS9_4plusIxEE19head_flag_predicatexEE10hipError_tPvRmT2_T3_T4_T5_mT6_T7_P12ihipStream_tbENKUlT_T0_E_clISt17integral_constantIbLb0EESY_EEDaST_SU_EUlST_E_NS1_11comp_targetILNS1_3genE2ELNS1_11target_archE906ELNS1_3gpuE6ELNS1_3repE0EEENS1_30default_config_static_selectorELNS0_4arch9wavefront6targetE0EEEvT1_ ; -- Begin function _ZN7rocprim17ROCPRIM_400000_NS6detail17trampoline_kernelINS0_14default_configENS1_27scan_by_key_config_selectorIxxEEZZNS1_16scan_by_key_implILNS1_25lookback_scan_determinismE0ELb1ES3_N6thrust23THRUST_200600_302600_NS6detail15normal_iteratorINS9_10device_ptrIxEEEESE_SE_xNS9_4plusIxEE19head_flag_predicatexEE10hipError_tPvRmT2_T3_T4_T5_mT6_T7_P12ihipStream_tbENKUlT_T0_E_clISt17integral_constantIbLb0EESY_EEDaST_SU_EUlST_E_NS1_11comp_targetILNS1_3genE2ELNS1_11target_archE906ELNS1_3gpuE6ELNS1_3repE0EEENS1_30default_config_static_selectorELNS0_4arch9wavefront6targetE0EEEvT1_
	.globl	_ZN7rocprim17ROCPRIM_400000_NS6detail17trampoline_kernelINS0_14default_configENS1_27scan_by_key_config_selectorIxxEEZZNS1_16scan_by_key_implILNS1_25lookback_scan_determinismE0ELb1ES3_N6thrust23THRUST_200600_302600_NS6detail15normal_iteratorINS9_10device_ptrIxEEEESE_SE_xNS9_4plusIxEE19head_flag_predicatexEE10hipError_tPvRmT2_T3_T4_T5_mT6_T7_P12ihipStream_tbENKUlT_T0_E_clISt17integral_constantIbLb0EESY_EEDaST_SU_EUlST_E_NS1_11comp_targetILNS1_3genE2ELNS1_11target_archE906ELNS1_3gpuE6ELNS1_3repE0EEENS1_30default_config_static_selectorELNS0_4arch9wavefront6targetE0EEEvT1_
	.p2align	8
	.type	_ZN7rocprim17ROCPRIM_400000_NS6detail17trampoline_kernelINS0_14default_configENS1_27scan_by_key_config_selectorIxxEEZZNS1_16scan_by_key_implILNS1_25lookback_scan_determinismE0ELb1ES3_N6thrust23THRUST_200600_302600_NS6detail15normal_iteratorINS9_10device_ptrIxEEEESE_SE_xNS9_4plusIxEE19head_flag_predicatexEE10hipError_tPvRmT2_T3_T4_T5_mT6_T7_P12ihipStream_tbENKUlT_T0_E_clISt17integral_constantIbLb0EESY_EEDaST_SU_EUlST_E_NS1_11comp_targetILNS1_3genE2ELNS1_11target_archE906ELNS1_3gpuE6ELNS1_3repE0EEENS1_30default_config_static_selectorELNS0_4arch9wavefront6targetE0EEEvT1_,@function
_ZN7rocprim17ROCPRIM_400000_NS6detail17trampoline_kernelINS0_14default_configENS1_27scan_by_key_config_selectorIxxEEZZNS1_16scan_by_key_implILNS1_25lookback_scan_determinismE0ELb1ES3_N6thrust23THRUST_200600_302600_NS6detail15normal_iteratorINS9_10device_ptrIxEEEESE_SE_xNS9_4plusIxEE19head_flag_predicatexEE10hipError_tPvRmT2_T3_T4_T5_mT6_T7_P12ihipStream_tbENKUlT_T0_E_clISt17integral_constantIbLb0EESY_EEDaST_SU_EUlST_E_NS1_11comp_targetILNS1_3genE2ELNS1_11target_archE906ELNS1_3gpuE6ELNS1_3repE0EEENS1_30default_config_static_selectorELNS0_4arch9wavefront6targetE0EEEvT1_: ; @_ZN7rocprim17ROCPRIM_400000_NS6detail17trampoline_kernelINS0_14default_configENS1_27scan_by_key_config_selectorIxxEEZZNS1_16scan_by_key_implILNS1_25lookback_scan_determinismE0ELb1ES3_N6thrust23THRUST_200600_302600_NS6detail15normal_iteratorINS9_10device_ptrIxEEEESE_SE_xNS9_4plusIxEE19head_flag_predicatexEE10hipError_tPvRmT2_T3_T4_T5_mT6_T7_P12ihipStream_tbENKUlT_T0_E_clISt17integral_constantIbLb0EESY_EEDaST_SU_EUlST_E_NS1_11comp_targetILNS1_3genE2ELNS1_11target_archE906ELNS1_3gpuE6ELNS1_3repE0EEENS1_30default_config_static_selectorELNS0_4arch9wavefront6targetE0EEEvT1_
; %bb.0:
	.section	.rodata,"a",@progbits
	.p2align	6, 0x0
	.amdhsa_kernel _ZN7rocprim17ROCPRIM_400000_NS6detail17trampoline_kernelINS0_14default_configENS1_27scan_by_key_config_selectorIxxEEZZNS1_16scan_by_key_implILNS1_25lookback_scan_determinismE0ELb1ES3_N6thrust23THRUST_200600_302600_NS6detail15normal_iteratorINS9_10device_ptrIxEEEESE_SE_xNS9_4plusIxEE19head_flag_predicatexEE10hipError_tPvRmT2_T3_T4_T5_mT6_T7_P12ihipStream_tbENKUlT_T0_E_clISt17integral_constantIbLb0EESY_EEDaST_SU_EUlST_E_NS1_11comp_targetILNS1_3genE2ELNS1_11target_archE906ELNS1_3gpuE6ELNS1_3repE0EEENS1_30default_config_static_selectorELNS0_4arch9wavefront6targetE0EEEvT1_
		.amdhsa_group_segment_fixed_size 0
		.amdhsa_private_segment_fixed_size 0
		.amdhsa_kernarg_size 136
		.amdhsa_user_sgpr_count 6
		.amdhsa_user_sgpr_private_segment_buffer 1
		.amdhsa_user_sgpr_dispatch_ptr 0
		.amdhsa_user_sgpr_queue_ptr 0
		.amdhsa_user_sgpr_kernarg_segment_ptr 1
		.amdhsa_user_sgpr_dispatch_id 0
		.amdhsa_user_sgpr_flat_scratch_init 0
		.amdhsa_user_sgpr_private_segment_size 0
		.amdhsa_wavefront_size32 1
		.amdhsa_uses_dynamic_stack 0
		.amdhsa_system_sgpr_private_segment_wavefront_offset 0
		.amdhsa_system_sgpr_workgroup_id_x 1
		.amdhsa_system_sgpr_workgroup_id_y 0
		.amdhsa_system_sgpr_workgroup_id_z 0
		.amdhsa_system_sgpr_workgroup_info 0
		.amdhsa_system_vgpr_workitem_id 0
		.amdhsa_next_free_vgpr 1
		.amdhsa_next_free_sgpr 1
		.amdhsa_reserve_vcc 0
		.amdhsa_reserve_flat_scratch 0
		.amdhsa_float_round_mode_32 0
		.amdhsa_float_round_mode_16_64 0
		.amdhsa_float_denorm_mode_32 3
		.amdhsa_float_denorm_mode_16_64 3
		.amdhsa_dx10_clamp 1
		.amdhsa_ieee_mode 1
		.amdhsa_fp16_overflow 0
		.amdhsa_workgroup_processor_mode 1
		.amdhsa_memory_ordered 1
		.amdhsa_forward_progress 1
		.amdhsa_shared_vgpr_count 0
		.amdhsa_exception_fp_ieee_invalid_op 0
		.amdhsa_exception_fp_denorm_src 0
		.amdhsa_exception_fp_ieee_div_zero 0
		.amdhsa_exception_fp_ieee_overflow 0
		.amdhsa_exception_fp_ieee_underflow 0
		.amdhsa_exception_fp_ieee_inexact 0
		.amdhsa_exception_int_div_zero 0
	.end_amdhsa_kernel
	.section	.text._ZN7rocprim17ROCPRIM_400000_NS6detail17trampoline_kernelINS0_14default_configENS1_27scan_by_key_config_selectorIxxEEZZNS1_16scan_by_key_implILNS1_25lookback_scan_determinismE0ELb1ES3_N6thrust23THRUST_200600_302600_NS6detail15normal_iteratorINS9_10device_ptrIxEEEESE_SE_xNS9_4plusIxEE19head_flag_predicatexEE10hipError_tPvRmT2_T3_T4_T5_mT6_T7_P12ihipStream_tbENKUlT_T0_E_clISt17integral_constantIbLb0EESY_EEDaST_SU_EUlST_E_NS1_11comp_targetILNS1_3genE2ELNS1_11target_archE906ELNS1_3gpuE6ELNS1_3repE0EEENS1_30default_config_static_selectorELNS0_4arch9wavefront6targetE0EEEvT1_,"axG",@progbits,_ZN7rocprim17ROCPRIM_400000_NS6detail17trampoline_kernelINS0_14default_configENS1_27scan_by_key_config_selectorIxxEEZZNS1_16scan_by_key_implILNS1_25lookback_scan_determinismE0ELb1ES3_N6thrust23THRUST_200600_302600_NS6detail15normal_iteratorINS9_10device_ptrIxEEEESE_SE_xNS9_4plusIxEE19head_flag_predicatexEE10hipError_tPvRmT2_T3_T4_T5_mT6_T7_P12ihipStream_tbENKUlT_T0_E_clISt17integral_constantIbLb0EESY_EEDaST_SU_EUlST_E_NS1_11comp_targetILNS1_3genE2ELNS1_11target_archE906ELNS1_3gpuE6ELNS1_3repE0EEENS1_30default_config_static_selectorELNS0_4arch9wavefront6targetE0EEEvT1_,comdat
.Lfunc_end718:
	.size	_ZN7rocprim17ROCPRIM_400000_NS6detail17trampoline_kernelINS0_14default_configENS1_27scan_by_key_config_selectorIxxEEZZNS1_16scan_by_key_implILNS1_25lookback_scan_determinismE0ELb1ES3_N6thrust23THRUST_200600_302600_NS6detail15normal_iteratorINS9_10device_ptrIxEEEESE_SE_xNS9_4plusIxEE19head_flag_predicatexEE10hipError_tPvRmT2_T3_T4_T5_mT6_T7_P12ihipStream_tbENKUlT_T0_E_clISt17integral_constantIbLb0EESY_EEDaST_SU_EUlST_E_NS1_11comp_targetILNS1_3genE2ELNS1_11target_archE906ELNS1_3gpuE6ELNS1_3repE0EEENS1_30default_config_static_selectorELNS0_4arch9wavefront6targetE0EEEvT1_, .Lfunc_end718-_ZN7rocprim17ROCPRIM_400000_NS6detail17trampoline_kernelINS0_14default_configENS1_27scan_by_key_config_selectorIxxEEZZNS1_16scan_by_key_implILNS1_25lookback_scan_determinismE0ELb1ES3_N6thrust23THRUST_200600_302600_NS6detail15normal_iteratorINS9_10device_ptrIxEEEESE_SE_xNS9_4plusIxEE19head_flag_predicatexEE10hipError_tPvRmT2_T3_T4_T5_mT6_T7_P12ihipStream_tbENKUlT_T0_E_clISt17integral_constantIbLb0EESY_EEDaST_SU_EUlST_E_NS1_11comp_targetILNS1_3genE2ELNS1_11target_archE906ELNS1_3gpuE6ELNS1_3repE0EEENS1_30default_config_static_selectorELNS0_4arch9wavefront6targetE0EEEvT1_
                                        ; -- End function
	.set _ZN7rocprim17ROCPRIM_400000_NS6detail17trampoline_kernelINS0_14default_configENS1_27scan_by_key_config_selectorIxxEEZZNS1_16scan_by_key_implILNS1_25lookback_scan_determinismE0ELb1ES3_N6thrust23THRUST_200600_302600_NS6detail15normal_iteratorINS9_10device_ptrIxEEEESE_SE_xNS9_4plusIxEE19head_flag_predicatexEE10hipError_tPvRmT2_T3_T4_T5_mT6_T7_P12ihipStream_tbENKUlT_T0_E_clISt17integral_constantIbLb0EESY_EEDaST_SU_EUlST_E_NS1_11comp_targetILNS1_3genE2ELNS1_11target_archE906ELNS1_3gpuE6ELNS1_3repE0EEENS1_30default_config_static_selectorELNS0_4arch9wavefront6targetE0EEEvT1_.num_vgpr, 0
	.set _ZN7rocprim17ROCPRIM_400000_NS6detail17trampoline_kernelINS0_14default_configENS1_27scan_by_key_config_selectorIxxEEZZNS1_16scan_by_key_implILNS1_25lookback_scan_determinismE0ELb1ES3_N6thrust23THRUST_200600_302600_NS6detail15normal_iteratorINS9_10device_ptrIxEEEESE_SE_xNS9_4plusIxEE19head_flag_predicatexEE10hipError_tPvRmT2_T3_T4_T5_mT6_T7_P12ihipStream_tbENKUlT_T0_E_clISt17integral_constantIbLb0EESY_EEDaST_SU_EUlST_E_NS1_11comp_targetILNS1_3genE2ELNS1_11target_archE906ELNS1_3gpuE6ELNS1_3repE0EEENS1_30default_config_static_selectorELNS0_4arch9wavefront6targetE0EEEvT1_.num_agpr, 0
	.set _ZN7rocprim17ROCPRIM_400000_NS6detail17trampoline_kernelINS0_14default_configENS1_27scan_by_key_config_selectorIxxEEZZNS1_16scan_by_key_implILNS1_25lookback_scan_determinismE0ELb1ES3_N6thrust23THRUST_200600_302600_NS6detail15normal_iteratorINS9_10device_ptrIxEEEESE_SE_xNS9_4plusIxEE19head_flag_predicatexEE10hipError_tPvRmT2_T3_T4_T5_mT6_T7_P12ihipStream_tbENKUlT_T0_E_clISt17integral_constantIbLb0EESY_EEDaST_SU_EUlST_E_NS1_11comp_targetILNS1_3genE2ELNS1_11target_archE906ELNS1_3gpuE6ELNS1_3repE0EEENS1_30default_config_static_selectorELNS0_4arch9wavefront6targetE0EEEvT1_.numbered_sgpr, 0
	.set _ZN7rocprim17ROCPRIM_400000_NS6detail17trampoline_kernelINS0_14default_configENS1_27scan_by_key_config_selectorIxxEEZZNS1_16scan_by_key_implILNS1_25lookback_scan_determinismE0ELb1ES3_N6thrust23THRUST_200600_302600_NS6detail15normal_iteratorINS9_10device_ptrIxEEEESE_SE_xNS9_4plusIxEE19head_flag_predicatexEE10hipError_tPvRmT2_T3_T4_T5_mT6_T7_P12ihipStream_tbENKUlT_T0_E_clISt17integral_constantIbLb0EESY_EEDaST_SU_EUlST_E_NS1_11comp_targetILNS1_3genE2ELNS1_11target_archE906ELNS1_3gpuE6ELNS1_3repE0EEENS1_30default_config_static_selectorELNS0_4arch9wavefront6targetE0EEEvT1_.num_named_barrier, 0
	.set _ZN7rocprim17ROCPRIM_400000_NS6detail17trampoline_kernelINS0_14default_configENS1_27scan_by_key_config_selectorIxxEEZZNS1_16scan_by_key_implILNS1_25lookback_scan_determinismE0ELb1ES3_N6thrust23THRUST_200600_302600_NS6detail15normal_iteratorINS9_10device_ptrIxEEEESE_SE_xNS9_4plusIxEE19head_flag_predicatexEE10hipError_tPvRmT2_T3_T4_T5_mT6_T7_P12ihipStream_tbENKUlT_T0_E_clISt17integral_constantIbLb0EESY_EEDaST_SU_EUlST_E_NS1_11comp_targetILNS1_3genE2ELNS1_11target_archE906ELNS1_3gpuE6ELNS1_3repE0EEENS1_30default_config_static_selectorELNS0_4arch9wavefront6targetE0EEEvT1_.private_seg_size, 0
	.set _ZN7rocprim17ROCPRIM_400000_NS6detail17trampoline_kernelINS0_14default_configENS1_27scan_by_key_config_selectorIxxEEZZNS1_16scan_by_key_implILNS1_25lookback_scan_determinismE0ELb1ES3_N6thrust23THRUST_200600_302600_NS6detail15normal_iteratorINS9_10device_ptrIxEEEESE_SE_xNS9_4plusIxEE19head_flag_predicatexEE10hipError_tPvRmT2_T3_T4_T5_mT6_T7_P12ihipStream_tbENKUlT_T0_E_clISt17integral_constantIbLb0EESY_EEDaST_SU_EUlST_E_NS1_11comp_targetILNS1_3genE2ELNS1_11target_archE906ELNS1_3gpuE6ELNS1_3repE0EEENS1_30default_config_static_selectorELNS0_4arch9wavefront6targetE0EEEvT1_.uses_vcc, 0
	.set _ZN7rocprim17ROCPRIM_400000_NS6detail17trampoline_kernelINS0_14default_configENS1_27scan_by_key_config_selectorIxxEEZZNS1_16scan_by_key_implILNS1_25lookback_scan_determinismE0ELb1ES3_N6thrust23THRUST_200600_302600_NS6detail15normal_iteratorINS9_10device_ptrIxEEEESE_SE_xNS9_4plusIxEE19head_flag_predicatexEE10hipError_tPvRmT2_T3_T4_T5_mT6_T7_P12ihipStream_tbENKUlT_T0_E_clISt17integral_constantIbLb0EESY_EEDaST_SU_EUlST_E_NS1_11comp_targetILNS1_3genE2ELNS1_11target_archE906ELNS1_3gpuE6ELNS1_3repE0EEENS1_30default_config_static_selectorELNS0_4arch9wavefront6targetE0EEEvT1_.uses_flat_scratch, 0
	.set _ZN7rocprim17ROCPRIM_400000_NS6detail17trampoline_kernelINS0_14default_configENS1_27scan_by_key_config_selectorIxxEEZZNS1_16scan_by_key_implILNS1_25lookback_scan_determinismE0ELb1ES3_N6thrust23THRUST_200600_302600_NS6detail15normal_iteratorINS9_10device_ptrIxEEEESE_SE_xNS9_4plusIxEE19head_flag_predicatexEE10hipError_tPvRmT2_T3_T4_T5_mT6_T7_P12ihipStream_tbENKUlT_T0_E_clISt17integral_constantIbLb0EESY_EEDaST_SU_EUlST_E_NS1_11comp_targetILNS1_3genE2ELNS1_11target_archE906ELNS1_3gpuE6ELNS1_3repE0EEENS1_30default_config_static_selectorELNS0_4arch9wavefront6targetE0EEEvT1_.has_dyn_sized_stack, 0
	.set _ZN7rocprim17ROCPRIM_400000_NS6detail17trampoline_kernelINS0_14default_configENS1_27scan_by_key_config_selectorIxxEEZZNS1_16scan_by_key_implILNS1_25lookback_scan_determinismE0ELb1ES3_N6thrust23THRUST_200600_302600_NS6detail15normal_iteratorINS9_10device_ptrIxEEEESE_SE_xNS9_4plusIxEE19head_flag_predicatexEE10hipError_tPvRmT2_T3_T4_T5_mT6_T7_P12ihipStream_tbENKUlT_T0_E_clISt17integral_constantIbLb0EESY_EEDaST_SU_EUlST_E_NS1_11comp_targetILNS1_3genE2ELNS1_11target_archE906ELNS1_3gpuE6ELNS1_3repE0EEENS1_30default_config_static_selectorELNS0_4arch9wavefront6targetE0EEEvT1_.has_recursion, 0
	.set _ZN7rocprim17ROCPRIM_400000_NS6detail17trampoline_kernelINS0_14default_configENS1_27scan_by_key_config_selectorIxxEEZZNS1_16scan_by_key_implILNS1_25lookback_scan_determinismE0ELb1ES3_N6thrust23THRUST_200600_302600_NS6detail15normal_iteratorINS9_10device_ptrIxEEEESE_SE_xNS9_4plusIxEE19head_flag_predicatexEE10hipError_tPvRmT2_T3_T4_T5_mT6_T7_P12ihipStream_tbENKUlT_T0_E_clISt17integral_constantIbLb0EESY_EEDaST_SU_EUlST_E_NS1_11comp_targetILNS1_3genE2ELNS1_11target_archE906ELNS1_3gpuE6ELNS1_3repE0EEENS1_30default_config_static_selectorELNS0_4arch9wavefront6targetE0EEEvT1_.has_indirect_call, 0
	.section	.AMDGPU.csdata,"",@progbits
; Kernel info:
; codeLenInByte = 0
; TotalNumSgprs: 0
; NumVgprs: 0
; ScratchSize: 0
; MemoryBound: 0
; FloatMode: 240
; IeeeMode: 1
; LDSByteSize: 0 bytes/workgroup (compile time only)
; SGPRBlocks: 0
; VGPRBlocks: 0
; NumSGPRsForWavesPerEU: 1
; NumVGPRsForWavesPerEU: 1
; Occupancy: 16
; WaveLimiterHint : 0
; COMPUTE_PGM_RSRC2:SCRATCH_EN: 0
; COMPUTE_PGM_RSRC2:USER_SGPR: 6
; COMPUTE_PGM_RSRC2:TRAP_HANDLER: 0
; COMPUTE_PGM_RSRC2:TGID_X_EN: 1
; COMPUTE_PGM_RSRC2:TGID_Y_EN: 0
; COMPUTE_PGM_RSRC2:TGID_Z_EN: 0
; COMPUTE_PGM_RSRC2:TIDIG_COMP_CNT: 0
	.section	.text._ZN7rocprim17ROCPRIM_400000_NS6detail17trampoline_kernelINS0_14default_configENS1_27scan_by_key_config_selectorIxxEEZZNS1_16scan_by_key_implILNS1_25lookback_scan_determinismE0ELb1ES3_N6thrust23THRUST_200600_302600_NS6detail15normal_iteratorINS9_10device_ptrIxEEEESE_SE_xNS9_4plusIxEE19head_flag_predicatexEE10hipError_tPvRmT2_T3_T4_T5_mT6_T7_P12ihipStream_tbENKUlT_T0_E_clISt17integral_constantIbLb0EESY_EEDaST_SU_EUlST_E_NS1_11comp_targetILNS1_3genE10ELNS1_11target_archE1200ELNS1_3gpuE4ELNS1_3repE0EEENS1_30default_config_static_selectorELNS0_4arch9wavefront6targetE0EEEvT1_,"axG",@progbits,_ZN7rocprim17ROCPRIM_400000_NS6detail17trampoline_kernelINS0_14default_configENS1_27scan_by_key_config_selectorIxxEEZZNS1_16scan_by_key_implILNS1_25lookback_scan_determinismE0ELb1ES3_N6thrust23THRUST_200600_302600_NS6detail15normal_iteratorINS9_10device_ptrIxEEEESE_SE_xNS9_4plusIxEE19head_flag_predicatexEE10hipError_tPvRmT2_T3_T4_T5_mT6_T7_P12ihipStream_tbENKUlT_T0_E_clISt17integral_constantIbLb0EESY_EEDaST_SU_EUlST_E_NS1_11comp_targetILNS1_3genE10ELNS1_11target_archE1200ELNS1_3gpuE4ELNS1_3repE0EEENS1_30default_config_static_selectorELNS0_4arch9wavefront6targetE0EEEvT1_,comdat
	.protected	_ZN7rocprim17ROCPRIM_400000_NS6detail17trampoline_kernelINS0_14default_configENS1_27scan_by_key_config_selectorIxxEEZZNS1_16scan_by_key_implILNS1_25lookback_scan_determinismE0ELb1ES3_N6thrust23THRUST_200600_302600_NS6detail15normal_iteratorINS9_10device_ptrIxEEEESE_SE_xNS9_4plusIxEE19head_flag_predicatexEE10hipError_tPvRmT2_T3_T4_T5_mT6_T7_P12ihipStream_tbENKUlT_T0_E_clISt17integral_constantIbLb0EESY_EEDaST_SU_EUlST_E_NS1_11comp_targetILNS1_3genE10ELNS1_11target_archE1200ELNS1_3gpuE4ELNS1_3repE0EEENS1_30default_config_static_selectorELNS0_4arch9wavefront6targetE0EEEvT1_ ; -- Begin function _ZN7rocprim17ROCPRIM_400000_NS6detail17trampoline_kernelINS0_14default_configENS1_27scan_by_key_config_selectorIxxEEZZNS1_16scan_by_key_implILNS1_25lookback_scan_determinismE0ELb1ES3_N6thrust23THRUST_200600_302600_NS6detail15normal_iteratorINS9_10device_ptrIxEEEESE_SE_xNS9_4plusIxEE19head_flag_predicatexEE10hipError_tPvRmT2_T3_T4_T5_mT6_T7_P12ihipStream_tbENKUlT_T0_E_clISt17integral_constantIbLb0EESY_EEDaST_SU_EUlST_E_NS1_11comp_targetILNS1_3genE10ELNS1_11target_archE1200ELNS1_3gpuE4ELNS1_3repE0EEENS1_30default_config_static_selectorELNS0_4arch9wavefront6targetE0EEEvT1_
	.globl	_ZN7rocprim17ROCPRIM_400000_NS6detail17trampoline_kernelINS0_14default_configENS1_27scan_by_key_config_selectorIxxEEZZNS1_16scan_by_key_implILNS1_25lookback_scan_determinismE0ELb1ES3_N6thrust23THRUST_200600_302600_NS6detail15normal_iteratorINS9_10device_ptrIxEEEESE_SE_xNS9_4plusIxEE19head_flag_predicatexEE10hipError_tPvRmT2_T3_T4_T5_mT6_T7_P12ihipStream_tbENKUlT_T0_E_clISt17integral_constantIbLb0EESY_EEDaST_SU_EUlST_E_NS1_11comp_targetILNS1_3genE10ELNS1_11target_archE1200ELNS1_3gpuE4ELNS1_3repE0EEENS1_30default_config_static_selectorELNS0_4arch9wavefront6targetE0EEEvT1_
	.p2align	8
	.type	_ZN7rocprim17ROCPRIM_400000_NS6detail17trampoline_kernelINS0_14default_configENS1_27scan_by_key_config_selectorIxxEEZZNS1_16scan_by_key_implILNS1_25lookback_scan_determinismE0ELb1ES3_N6thrust23THRUST_200600_302600_NS6detail15normal_iteratorINS9_10device_ptrIxEEEESE_SE_xNS9_4plusIxEE19head_flag_predicatexEE10hipError_tPvRmT2_T3_T4_T5_mT6_T7_P12ihipStream_tbENKUlT_T0_E_clISt17integral_constantIbLb0EESY_EEDaST_SU_EUlST_E_NS1_11comp_targetILNS1_3genE10ELNS1_11target_archE1200ELNS1_3gpuE4ELNS1_3repE0EEENS1_30default_config_static_selectorELNS0_4arch9wavefront6targetE0EEEvT1_,@function
_ZN7rocprim17ROCPRIM_400000_NS6detail17trampoline_kernelINS0_14default_configENS1_27scan_by_key_config_selectorIxxEEZZNS1_16scan_by_key_implILNS1_25lookback_scan_determinismE0ELb1ES3_N6thrust23THRUST_200600_302600_NS6detail15normal_iteratorINS9_10device_ptrIxEEEESE_SE_xNS9_4plusIxEE19head_flag_predicatexEE10hipError_tPvRmT2_T3_T4_T5_mT6_T7_P12ihipStream_tbENKUlT_T0_E_clISt17integral_constantIbLb0EESY_EEDaST_SU_EUlST_E_NS1_11comp_targetILNS1_3genE10ELNS1_11target_archE1200ELNS1_3gpuE4ELNS1_3repE0EEENS1_30default_config_static_selectorELNS0_4arch9wavefront6targetE0EEEvT1_: ; @_ZN7rocprim17ROCPRIM_400000_NS6detail17trampoline_kernelINS0_14default_configENS1_27scan_by_key_config_selectorIxxEEZZNS1_16scan_by_key_implILNS1_25lookback_scan_determinismE0ELb1ES3_N6thrust23THRUST_200600_302600_NS6detail15normal_iteratorINS9_10device_ptrIxEEEESE_SE_xNS9_4plusIxEE19head_flag_predicatexEE10hipError_tPvRmT2_T3_T4_T5_mT6_T7_P12ihipStream_tbENKUlT_T0_E_clISt17integral_constantIbLb0EESY_EEDaST_SU_EUlST_E_NS1_11comp_targetILNS1_3genE10ELNS1_11target_archE1200ELNS1_3gpuE4ELNS1_3repE0EEENS1_30default_config_static_selectorELNS0_4arch9wavefront6targetE0EEEvT1_
; %bb.0:
	.section	.rodata,"a",@progbits
	.p2align	6, 0x0
	.amdhsa_kernel _ZN7rocprim17ROCPRIM_400000_NS6detail17trampoline_kernelINS0_14default_configENS1_27scan_by_key_config_selectorIxxEEZZNS1_16scan_by_key_implILNS1_25lookback_scan_determinismE0ELb1ES3_N6thrust23THRUST_200600_302600_NS6detail15normal_iteratorINS9_10device_ptrIxEEEESE_SE_xNS9_4plusIxEE19head_flag_predicatexEE10hipError_tPvRmT2_T3_T4_T5_mT6_T7_P12ihipStream_tbENKUlT_T0_E_clISt17integral_constantIbLb0EESY_EEDaST_SU_EUlST_E_NS1_11comp_targetILNS1_3genE10ELNS1_11target_archE1200ELNS1_3gpuE4ELNS1_3repE0EEENS1_30default_config_static_selectorELNS0_4arch9wavefront6targetE0EEEvT1_
		.amdhsa_group_segment_fixed_size 0
		.amdhsa_private_segment_fixed_size 0
		.amdhsa_kernarg_size 136
		.amdhsa_user_sgpr_count 6
		.amdhsa_user_sgpr_private_segment_buffer 1
		.amdhsa_user_sgpr_dispatch_ptr 0
		.amdhsa_user_sgpr_queue_ptr 0
		.amdhsa_user_sgpr_kernarg_segment_ptr 1
		.amdhsa_user_sgpr_dispatch_id 0
		.amdhsa_user_sgpr_flat_scratch_init 0
		.amdhsa_user_sgpr_private_segment_size 0
		.amdhsa_wavefront_size32 1
		.amdhsa_uses_dynamic_stack 0
		.amdhsa_system_sgpr_private_segment_wavefront_offset 0
		.amdhsa_system_sgpr_workgroup_id_x 1
		.amdhsa_system_sgpr_workgroup_id_y 0
		.amdhsa_system_sgpr_workgroup_id_z 0
		.amdhsa_system_sgpr_workgroup_info 0
		.amdhsa_system_vgpr_workitem_id 0
		.amdhsa_next_free_vgpr 1
		.amdhsa_next_free_sgpr 1
		.amdhsa_reserve_vcc 0
		.amdhsa_reserve_flat_scratch 0
		.amdhsa_float_round_mode_32 0
		.amdhsa_float_round_mode_16_64 0
		.amdhsa_float_denorm_mode_32 3
		.amdhsa_float_denorm_mode_16_64 3
		.amdhsa_dx10_clamp 1
		.amdhsa_ieee_mode 1
		.amdhsa_fp16_overflow 0
		.amdhsa_workgroup_processor_mode 1
		.amdhsa_memory_ordered 1
		.amdhsa_forward_progress 1
		.amdhsa_shared_vgpr_count 0
		.amdhsa_exception_fp_ieee_invalid_op 0
		.amdhsa_exception_fp_denorm_src 0
		.amdhsa_exception_fp_ieee_div_zero 0
		.amdhsa_exception_fp_ieee_overflow 0
		.amdhsa_exception_fp_ieee_underflow 0
		.amdhsa_exception_fp_ieee_inexact 0
		.amdhsa_exception_int_div_zero 0
	.end_amdhsa_kernel
	.section	.text._ZN7rocprim17ROCPRIM_400000_NS6detail17trampoline_kernelINS0_14default_configENS1_27scan_by_key_config_selectorIxxEEZZNS1_16scan_by_key_implILNS1_25lookback_scan_determinismE0ELb1ES3_N6thrust23THRUST_200600_302600_NS6detail15normal_iteratorINS9_10device_ptrIxEEEESE_SE_xNS9_4plusIxEE19head_flag_predicatexEE10hipError_tPvRmT2_T3_T4_T5_mT6_T7_P12ihipStream_tbENKUlT_T0_E_clISt17integral_constantIbLb0EESY_EEDaST_SU_EUlST_E_NS1_11comp_targetILNS1_3genE10ELNS1_11target_archE1200ELNS1_3gpuE4ELNS1_3repE0EEENS1_30default_config_static_selectorELNS0_4arch9wavefront6targetE0EEEvT1_,"axG",@progbits,_ZN7rocprim17ROCPRIM_400000_NS6detail17trampoline_kernelINS0_14default_configENS1_27scan_by_key_config_selectorIxxEEZZNS1_16scan_by_key_implILNS1_25lookback_scan_determinismE0ELb1ES3_N6thrust23THRUST_200600_302600_NS6detail15normal_iteratorINS9_10device_ptrIxEEEESE_SE_xNS9_4plusIxEE19head_flag_predicatexEE10hipError_tPvRmT2_T3_T4_T5_mT6_T7_P12ihipStream_tbENKUlT_T0_E_clISt17integral_constantIbLb0EESY_EEDaST_SU_EUlST_E_NS1_11comp_targetILNS1_3genE10ELNS1_11target_archE1200ELNS1_3gpuE4ELNS1_3repE0EEENS1_30default_config_static_selectorELNS0_4arch9wavefront6targetE0EEEvT1_,comdat
.Lfunc_end719:
	.size	_ZN7rocprim17ROCPRIM_400000_NS6detail17trampoline_kernelINS0_14default_configENS1_27scan_by_key_config_selectorIxxEEZZNS1_16scan_by_key_implILNS1_25lookback_scan_determinismE0ELb1ES3_N6thrust23THRUST_200600_302600_NS6detail15normal_iteratorINS9_10device_ptrIxEEEESE_SE_xNS9_4plusIxEE19head_flag_predicatexEE10hipError_tPvRmT2_T3_T4_T5_mT6_T7_P12ihipStream_tbENKUlT_T0_E_clISt17integral_constantIbLb0EESY_EEDaST_SU_EUlST_E_NS1_11comp_targetILNS1_3genE10ELNS1_11target_archE1200ELNS1_3gpuE4ELNS1_3repE0EEENS1_30default_config_static_selectorELNS0_4arch9wavefront6targetE0EEEvT1_, .Lfunc_end719-_ZN7rocprim17ROCPRIM_400000_NS6detail17trampoline_kernelINS0_14default_configENS1_27scan_by_key_config_selectorIxxEEZZNS1_16scan_by_key_implILNS1_25lookback_scan_determinismE0ELb1ES3_N6thrust23THRUST_200600_302600_NS6detail15normal_iteratorINS9_10device_ptrIxEEEESE_SE_xNS9_4plusIxEE19head_flag_predicatexEE10hipError_tPvRmT2_T3_T4_T5_mT6_T7_P12ihipStream_tbENKUlT_T0_E_clISt17integral_constantIbLb0EESY_EEDaST_SU_EUlST_E_NS1_11comp_targetILNS1_3genE10ELNS1_11target_archE1200ELNS1_3gpuE4ELNS1_3repE0EEENS1_30default_config_static_selectorELNS0_4arch9wavefront6targetE0EEEvT1_
                                        ; -- End function
	.set _ZN7rocprim17ROCPRIM_400000_NS6detail17trampoline_kernelINS0_14default_configENS1_27scan_by_key_config_selectorIxxEEZZNS1_16scan_by_key_implILNS1_25lookback_scan_determinismE0ELb1ES3_N6thrust23THRUST_200600_302600_NS6detail15normal_iteratorINS9_10device_ptrIxEEEESE_SE_xNS9_4plusIxEE19head_flag_predicatexEE10hipError_tPvRmT2_T3_T4_T5_mT6_T7_P12ihipStream_tbENKUlT_T0_E_clISt17integral_constantIbLb0EESY_EEDaST_SU_EUlST_E_NS1_11comp_targetILNS1_3genE10ELNS1_11target_archE1200ELNS1_3gpuE4ELNS1_3repE0EEENS1_30default_config_static_selectorELNS0_4arch9wavefront6targetE0EEEvT1_.num_vgpr, 0
	.set _ZN7rocprim17ROCPRIM_400000_NS6detail17trampoline_kernelINS0_14default_configENS1_27scan_by_key_config_selectorIxxEEZZNS1_16scan_by_key_implILNS1_25lookback_scan_determinismE0ELb1ES3_N6thrust23THRUST_200600_302600_NS6detail15normal_iteratorINS9_10device_ptrIxEEEESE_SE_xNS9_4plusIxEE19head_flag_predicatexEE10hipError_tPvRmT2_T3_T4_T5_mT6_T7_P12ihipStream_tbENKUlT_T0_E_clISt17integral_constantIbLb0EESY_EEDaST_SU_EUlST_E_NS1_11comp_targetILNS1_3genE10ELNS1_11target_archE1200ELNS1_3gpuE4ELNS1_3repE0EEENS1_30default_config_static_selectorELNS0_4arch9wavefront6targetE0EEEvT1_.num_agpr, 0
	.set _ZN7rocprim17ROCPRIM_400000_NS6detail17trampoline_kernelINS0_14default_configENS1_27scan_by_key_config_selectorIxxEEZZNS1_16scan_by_key_implILNS1_25lookback_scan_determinismE0ELb1ES3_N6thrust23THRUST_200600_302600_NS6detail15normal_iteratorINS9_10device_ptrIxEEEESE_SE_xNS9_4plusIxEE19head_flag_predicatexEE10hipError_tPvRmT2_T3_T4_T5_mT6_T7_P12ihipStream_tbENKUlT_T0_E_clISt17integral_constantIbLb0EESY_EEDaST_SU_EUlST_E_NS1_11comp_targetILNS1_3genE10ELNS1_11target_archE1200ELNS1_3gpuE4ELNS1_3repE0EEENS1_30default_config_static_selectorELNS0_4arch9wavefront6targetE0EEEvT1_.numbered_sgpr, 0
	.set _ZN7rocprim17ROCPRIM_400000_NS6detail17trampoline_kernelINS0_14default_configENS1_27scan_by_key_config_selectorIxxEEZZNS1_16scan_by_key_implILNS1_25lookback_scan_determinismE0ELb1ES3_N6thrust23THRUST_200600_302600_NS6detail15normal_iteratorINS9_10device_ptrIxEEEESE_SE_xNS9_4plusIxEE19head_flag_predicatexEE10hipError_tPvRmT2_T3_T4_T5_mT6_T7_P12ihipStream_tbENKUlT_T0_E_clISt17integral_constantIbLb0EESY_EEDaST_SU_EUlST_E_NS1_11comp_targetILNS1_3genE10ELNS1_11target_archE1200ELNS1_3gpuE4ELNS1_3repE0EEENS1_30default_config_static_selectorELNS0_4arch9wavefront6targetE0EEEvT1_.num_named_barrier, 0
	.set _ZN7rocprim17ROCPRIM_400000_NS6detail17trampoline_kernelINS0_14default_configENS1_27scan_by_key_config_selectorIxxEEZZNS1_16scan_by_key_implILNS1_25lookback_scan_determinismE0ELb1ES3_N6thrust23THRUST_200600_302600_NS6detail15normal_iteratorINS9_10device_ptrIxEEEESE_SE_xNS9_4plusIxEE19head_flag_predicatexEE10hipError_tPvRmT2_T3_T4_T5_mT6_T7_P12ihipStream_tbENKUlT_T0_E_clISt17integral_constantIbLb0EESY_EEDaST_SU_EUlST_E_NS1_11comp_targetILNS1_3genE10ELNS1_11target_archE1200ELNS1_3gpuE4ELNS1_3repE0EEENS1_30default_config_static_selectorELNS0_4arch9wavefront6targetE0EEEvT1_.private_seg_size, 0
	.set _ZN7rocprim17ROCPRIM_400000_NS6detail17trampoline_kernelINS0_14default_configENS1_27scan_by_key_config_selectorIxxEEZZNS1_16scan_by_key_implILNS1_25lookback_scan_determinismE0ELb1ES3_N6thrust23THRUST_200600_302600_NS6detail15normal_iteratorINS9_10device_ptrIxEEEESE_SE_xNS9_4plusIxEE19head_flag_predicatexEE10hipError_tPvRmT2_T3_T4_T5_mT6_T7_P12ihipStream_tbENKUlT_T0_E_clISt17integral_constantIbLb0EESY_EEDaST_SU_EUlST_E_NS1_11comp_targetILNS1_3genE10ELNS1_11target_archE1200ELNS1_3gpuE4ELNS1_3repE0EEENS1_30default_config_static_selectorELNS0_4arch9wavefront6targetE0EEEvT1_.uses_vcc, 0
	.set _ZN7rocprim17ROCPRIM_400000_NS6detail17trampoline_kernelINS0_14default_configENS1_27scan_by_key_config_selectorIxxEEZZNS1_16scan_by_key_implILNS1_25lookback_scan_determinismE0ELb1ES3_N6thrust23THRUST_200600_302600_NS6detail15normal_iteratorINS9_10device_ptrIxEEEESE_SE_xNS9_4plusIxEE19head_flag_predicatexEE10hipError_tPvRmT2_T3_T4_T5_mT6_T7_P12ihipStream_tbENKUlT_T0_E_clISt17integral_constantIbLb0EESY_EEDaST_SU_EUlST_E_NS1_11comp_targetILNS1_3genE10ELNS1_11target_archE1200ELNS1_3gpuE4ELNS1_3repE0EEENS1_30default_config_static_selectorELNS0_4arch9wavefront6targetE0EEEvT1_.uses_flat_scratch, 0
	.set _ZN7rocprim17ROCPRIM_400000_NS6detail17trampoline_kernelINS0_14default_configENS1_27scan_by_key_config_selectorIxxEEZZNS1_16scan_by_key_implILNS1_25lookback_scan_determinismE0ELb1ES3_N6thrust23THRUST_200600_302600_NS6detail15normal_iteratorINS9_10device_ptrIxEEEESE_SE_xNS9_4plusIxEE19head_flag_predicatexEE10hipError_tPvRmT2_T3_T4_T5_mT6_T7_P12ihipStream_tbENKUlT_T0_E_clISt17integral_constantIbLb0EESY_EEDaST_SU_EUlST_E_NS1_11comp_targetILNS1_3genE10ELNS1_11target_archE1200ELNS1_3gpuE4ELNS1_3repE0EEENS1_30default_config_static_selectorELNS0_4arch9wavefront6targetE0EEEvT1_.has_dyn_sized_stack, 0
	.set _ZN7rocprim17ROCPRIM_400000_NS6detail17trampoline_kernelINS0_14default_configENS1_27scan_by_key_config_selectorIxxEEZZNS1_16scan_by_key_implILNS1_25lookback_scan_determinismE0ELb1ES3_N6thrust23THRUST_200600_302600_NS6detail15normal_iteratorINS9_10device_ptrIxEEEESE_SE_xNS9_4plusIxEE19head_flag_predicatexEE10hipError_tPvRmT2_T3_T4_T5_mT6_T7_P12ihipStream_tbENKUlT_T0_E_clISt17integral_constantIbLb0EESY_EEDaST_SU_EUlST_E_NS1_11comp_targetILNS1_3genE10ELNS1_11target_archE1200ELNS1_3gpuE4ELNS1_3repE0EEENS1_30default_config_static_selectorELNS0_4arch9wavefront6targetE0EEEvT1_.has_recursion, 0
	.set _ZN7rocprim17ROCPRIM_400000_NS6detail17trampoline_kernelINS0_14default_configENS1_27scan_by_key_config_selectorIxxEEZZNS1_16scan_by_key_implILNS1_25lookback_scan_determinismE0ELb1ES3_N6thrust23THRUST_200600_302600_NS6detail15normal_iteratorINS9_10device_ptrIxEEEESE_SE_xNS9_4plusIxEE19head_flag_predicatexEE10hipError_tPvRmT2_T3_T4_T5_mT6_T7_P12ihipStream_tbENKUlT_T0_E_clISt17integral_constantIbLb0EESY_EEDaST_SU_EUlST_E_NS1_11comp_targetILNS1_3genE10ELNS1_11target_archE1200ELNS1_3gpuE4ELNS1_3repE0EEENS1_30default_config_static_selectorELNS0_4arch9wavefront6targetE0EEEvT1_.has_indirect_call, 0
	.section	.AMDGPU.csdata,"",@progbits
; Kernel info:
; codeLenInByte = 0
; TotalNumSgprs: 0
; NumVgprs: 0
; ScratchSize: 0
; MemoryBound: 0
; FloatMode: 240
; IeeeMode: 1
; LDSByteSize: 0 bytes/workgroup (compile time only)
; SGPRBlocks: 0
; VGPRBlocks: 0
; NumSGPRsForWavesPerEU: 1
; NumVGPRsForWavesPerEU: 1
; Occupancy: 16
; WaveLimiterHint : 0
; COMPUTE_PGM_RSRC2:SCRATCH_EN: 0
; COMPUTE_PGM_RSRC2:USER_SGPR: 6
; COMPUTE_PGM_RSRC2:TRAP_HANDLER: 0
; COMPUTE_PGM_RSRC2:TGID_X_EN: 1
; COMPUTE_PGM_RSRC2:TGID_Y_EN: 0
; COMPUTE_PGM_RSRC2:TGID_Z_EN: 0
; COMPUTE_PGM_RSRC2:TIDIG_COMP_CNT: 0
	.section	.text._ZN7rocprim17ROCPRIM_400000_NS6detail17trampoline_kernelINS0_14default_configENS1_27scan_by_key_config_selectorIxxEEZZNS1_16scan_by_key_implILNS1_25lookback_scan_determinismE0ELb1ES3_N6thrust23THRUST_200600_302600_NS6detail15normal_iteratorINS9_10device_ptrIxEEEESE_SE_xNS9_4plusIxEE19head_flag_predicatexEE10hipError_tPvRmT2_T3_T4_T5_mT6_T7_P12ihipStream_tbENKUlT_T0_E_clISt17integral_constantIbLb0EESY_EEDaST_SU_EUlST_E_NS1_11comp_targetILNS1_3genE9ELNS1_11target_archE1100ELNS1_3gpuE3ELNS1_3repE0EEENS1_30default_config_static_selectorELNS0_4arch9wavefront6targetE0EEEvT1_,"axG",@progbits,_ZN7rocprim17ROCPRIM_400000_NS6detail17trampoline_kernelINS0_14default_configENS1_27scan_by_key_config_selectorIxxEEZZNS1_16scan_by_key_implILNS1_25lookback_scan_determinismE0ELb1ES3_N6thrust23THRUST_200600_302600_NS6detail15normal_iteratorINS9_10device_ptrIxEEEESE_SE_xNS9_4plusIxEE19head_flag_predicatexEE10hipError_tPvRmT2_T3_T4_T5_mT6_T7_P12ihipStream_tbENKUlT_T0_E_clISt17integral_constantIbLb0EESY_EEDaST_SU_EUlST_E_NS1_11comp_targetILNS1_3genE9ELNS1_11target_archE1100ELNS1_3gpuE3ELNS1_3repE0EEENS1_30default_config_static_selectorELNS0_4arch9wavefront6targetE0EEEvT1_,comdat
	.protected	_ZN7rocprim17ROCPRIM_400000_NS6detail17trampoline_kernelINS0_14default_configENS1_27scan_by_key_config_selectorIxxEEZZNS1_16scan_by_key_implILNS1_25lookback_scan_determinismE0ELb1ES3_N6thrust23THRUST_200600_302600_NS6detail15normal_iteratorINS9_10device_ptrIxEEEESE_SE_xNS9_4plusIxEE19head_flag_predicatexEE10hipError_tPvRmT2_T3_T4_T5_mT6_T7_P12ihipStream_tbENKUlT_T0_E_clISt17integral_constantIbLb0EESY_EEDaST_SU_EUlST_E_NS1_11comp_targetILNS1_3genE9ELNS1_11target_archE1100ELNS1_3gpuE3ELNS1_3repE0EEENS1_30default_config_static_selectorELNS0_4arch9wavefront6targetE0EEEvT1_ ; -- Begin function _ZN7rocprim17ROCPRIM_400000_NS6detail17trampoline_kernelINS0_14default_configENS1_27scan_by_key_config_selectorIxxEEZZNS1_16scan_by_key_implILNS1_25lookback_scan_determinismE0ELb1ES3_N6thrust23THRUST_200600_302600_NS6detail15normal_iteratorINS9_10device_ptrIxEEEESE_SE_xNS9_4plusIxEE19head_flag_predicatexEE10hipError_tPvRmT2_T3_T4_T5_mT6_T7_P12ihipStream_tbENKUlT_T0_E_clISt17integral_constantIbLb0EESY_EEDaST_SU_EUlST_E_NS1_11comp_targetILNS1_3genE9ELNS1_11target_archE1100ELNS1_3gpuE3ELNS1_3repE0EEENS1_30default_config_static_selectorELNS0_4arch9wavefront6targetE0EEEvT1_
	.globl	_ZN7rocprim17ROCPRIM_400000_NS6detail17trampoline_kernelINS0_14default_configENS1_27scan_by_key_config_selectorIxxEEZZNS1_16scan_by_key_implILNS1_25lookback_scan_determinismE0ELb1ES3_N6thrust23THRUST_200600_302600_NS6detail15normal_iteratorINS9_10device_ptrIxEEEESE_SE_xNS9_4plusIxEE19head_flag_predicatexEE10hipError_tPvRmT2_T3_T4_T5_mT6_T7_P12ihipStream_tbENKUlT_T0_E_clISt17integral_constantIbLb0EESY_EEDaST_SU_EUlST_E_NS1_11comp_targetILNS1_3genE9ELNS1_11target_archE1100ELNS1_3gpuE3ELNS1_3repE0EEENS1_30default_config_static_selectorELNS0_4arch9wavefront6targetE0EEEvT1_
	.p2align	8
	.type	_ZN7rocprim17ROCPRIM_400000_NS6detail17trampoline_kernelINS0_14default_configENS1_27scan_by_key_config_selectorIxxEEZZNS1_16scan_by_key_implILNS1_25lookback_scan_determinismE0ELb1ES3_N6thrust23THRUST_200600_302600_NS6detail15normal_iteratorINS9_10device_ptrIxEEEESE_SE_xNS9_4plusIxEE19head_flag_predicatexEE10hipError_tPvRmT2_T3_T4_T5_mT6_T7_P12ihipStream_tbENKUlT_T0_E_clISt17integral_constantIbLb0EESY_EEDaST_SU_EUlST_E_NS1_11comp_targetILNS1_3genE9ELNS1_11target_archE1100ELNS1_3gpuE3ELNS1_3repE0EEENS1_30default_config_static_selectorELNS0_4arch9wavefront6targetE0EEEvT1_,@function
_ZN7rocprim17ROCPRIM_400000_NS6detail17trampoline_kernelINS0_14default_configENS1_27scan_by_key_config_selectorIxxEEZZNS1_16scan_by_key_implILNS1_25lookback_scan_determinismE0ELb1ES3_N6thrust23THRUST_200600_302600_NS6detail15normal_iteratorINS9_10device_ptrIxEEEESE_SE_xNS9_4plusIxEE19head_flag_predicatexEE10hipError_tPvRmT2_T3_T4_T5_mT6_T7_P12ihipStream_tbENKUlT_T0_E_clISt17integral_constantIbLb0EESY_EEDaST_SU_EUlST_E_NS1_11comp_targetILNS1_3genE9ELNS1_11target_archE1100ELNS1_3gpuE3ELNS1_3repE0EEENS1_30default_config_static_selectorELNS0_4arch9wavefront6targetE0EEEvT1_: ; @_ZN7rocprim17ROCPRIM_400000_NS6detail17trampoline_kernelINS0_14default_configENS1_27scan_by_key_config_selectorIxxEEZZNS1_16scan_by_key_implILNS1_25lookback_scan_determinismE0ELb1ES3_N6thrust23THRUST_200600_302600_NS6detail15normal_iteratorINS9_10device_ptrIxEEEESE_SE_xNS9_4plusIxEE19head_flag_predicatexEE10hipError_tPvRmT2_T3_T4_T5_mT6_T7_P12ihipStream_tbENKUlT_T0_E_clISt17integral_constantIbLb0EESY_EEDaST_SU_EUlST_E_NS1_11comp_targetILNS1_3genE9ELNS1_11target_archE1100ELNS1_3gpuE3ELNS1_3repE0EEENS1_30default_config_static_selectorELNS0_4arch9wavefront6targetE0EEEvT1_
; %bb.0:
	.section	.rodata,"a",@progbits
	.p2align	6, 0x0
	.amdhsa_kernel _ZN7rocprim17ROCPRIM_400000_NS6detail17trampoline_kernelINS0_14default_configENS1_27scan_by_key_config_selectorIxxEEZZNS1_16scan_by_key_implILNS1_25lookback_scan_determinismE0ELb1ES3_N6thrust23THRUST_200600_302600_NS6detail15normal_iteratorINS9_10device_ptrIxEEEESE_SE_xNS9_4plusIxEE19head_flag_predicatexEE10hipError_tPvRmT2_T3_T4_T5_mT6_T7_P12ihipStream_tbENKUlT_T0_E_clISt17integral_constantIbLb0EESY_EEDaST_SU_EUlST_E_NS1_11comp_targetILNS1_3genE9ELNS1_11target_archE1100ELNS1_3gpuE3ELNS1_3repE0EEENS1_30default_config_static_selectorELNS0_4arch9wavefront6targetE0EEEvT1_
		.amdhsa_group_segment_fixed_size 0
		.amdhsa_private_segment_fixed_size 0
		.amdhsa_kernarg_size 136
		.amdhsa_user_sgpr_count 6
		.amdhsa_user_sgpr_private_segment_buffer 1
		.amdhsa_user_sgpr_dispatch_ptr 0
		.amdhsa_user_sgpr_queue_ptr 0
		.amdhsa_user_sgpr_kernarg_segment_ptr 1
		.amdhsa_user_sgpr_dispatch_id 0
		.amdhsa_user_sgpr_flat_scratch_init 0
		.amdhsa_user_sgpr_private_segment_size 0
		.amdhsa_wavefront_size32 1
		.amdhsa_uses_dynamic_stack 0
		.amdhsa_system_sgpr_private_segment_wavefront_offset 0
		.amdhsa_system_sgpr_workgroup_id_x 1
		.amdhsa_system_sgpr_workgroup_id_y 0
		.amdhsa_system_sgpr_workgroup_id_z 0
		.amdhsa_system_sgpr_workgroup_info 0
		.amdhsa_system_vgpr_workitem_id 0
		.amdhsa_next_free_vgpr 1
		.amdhsa_next_free_sgpr 1
		.amdhsa_reserve_vcc 0
		.amdhsa_reserve_flat_scratch 0
		.amdhsa_float_round_mode_32 0
		.amdhsa_float_round_mode_16_64 0
		.amdhsa_float_denorm_mode_32 3
		.amdhsa_float_denorm_mode_16_64 3
		.amdhsa_dx10_clamp 1
		.amdhsa_ieee_mode 1
		.amdhsa_fp16_overflow 0
		.amdhsa_workgroup_processor_mode 1
		.amdhsa_memory_ordered 1
		.amdhsa_forward_progress 1
		.amdhsa_shared_vgpr_count 0
		.amdhsa_exception_fp_ieee_invalid_op 0
		.amdhsa_exception_fp_denorm_src 0
		.amdhsa_exception_fp_ieee_div_zero 0
		.amdhsa_exception_fp_ieee_overflow 0
		.amdhsa_exception_fp_ieee_underflow 0
		.amdhsa_exception_fp_ieee_inexact 0
		.amdhsa_exception_int_div_zero 0
	.end_amdhsa_kernel
	.section	.text._ZN7rocprim17ROCPRIM_400000_NS6detail17trampoline_kernelINS0_14default_configENS1_27scan_by_key_config_selectorIxxEEZZNS1_16scan_by_key_implILNS1_25lookback_scan_determinismE0ELb1ES3_N6thrust23THRUST_200600_302600_NS6detail15normal_iteratorINS9_10device_ptrIxEEEESE_SE_xNS9_4plusIxEE19head_flag_predicatexEE10hipError_tPvRmT2_T3_T4_T5_mT6_T7_P12ihipStream_tbENKUlT_T0_E_clISt17integral_constantIbLb0EESY_EEDaST_SU_EUlST_E_NS1_11comp_targetILNS1_3genE9ELNS1_11target_archE1100ELNS1_3gpuE3ELNS1_3repE0EEENS1_30default_config_static_selectorELNS0_4arch9wavefront6targetE0EEEvT1_,"axG",@progbits,_ZN7rocprim17ROCPRIM_400000_NS6detail17trampoline_kernelINS0_14default_configENS1_27scan_by_key_config_selectorIxxEEZZNS1_16scan_by_key_implILNS1_25lookback_scan_determinismE0ELb1ES3_N6thrust23THRUST_200600_302600_NS6detail15normal_iteratorINS9_10device_ptrIxEEEESE_SE_xNS9_4plusIxEE19head_flag_predicatexEE10hipError_tPvRmT2_T3_T4_T5_mT6_T7_P12ihipStream_tbENKUlT_T0_E_clISt17integral_constantIbLb0EESY_EEDaST_SU_EUlST_E_NS1_11comp_targetILNS1_3genE9ELNS1_11target_archE1100ELNS1_3gpuE3ELNS1_3repE0EEENS1_30default_config_static_selectorELNS0_4arch9wavefront6targetE0EEEvT1_,comdat
.Lfunc_end720:
	.size	_ZN7rocprim17ROCPRIM_400000_NS6detail17trampoline_kernelINS0_14default_configENS1_27scan_by_key_config_selectorIxxEEZZNS1_16scan_by_key_implILNS1_25lookback_scan_determinismE0ELb1ES3_N6thrust23THRUST_200600_302600_NS6detail15normal_iteratorINS9_10device_ptrIxEEEESE_SE_xNS9_4plusIxEE19head_flag_predicatexEE10hipError_tPvRmT2_T3_T4_T5_mT6_T7_P12ihipStream_tbENKUlT_T0_E_clISt17integral_constantIbLb0EESY_EEDaST_SU_EUlST_E_NS1_11comp_targetILNS1_3genE9ELNS1_11target_archE1100ELNS1_3gpuE3ELNS1_3repE0EEENS1_30default_config_static_selectorELNS0_4arch9wavefront6targetE0EEEvT1_, .Lfunc_end720-_ZN7rocprim17ROCPRIM_400000_NS6detail17trampoline_kernelINS0_14default_configENS1_27scan_by_key_config_selectorIxxEEZZNS1_16scan_by_key_implILNS1_25lookback_scan_determinismE0ELb1ES3_N6thrust23THRUST_200600_302600_NS6detail15normal_iteratorINS9_10device_ptrIxEEEESE_SE_xNS9_4plusIxEE19head_flag_predicatexEE10hipError_tPvRmT2_T3_T4_T5_mT6_T7_P12ihipStream_tbENKUlT_T0_E_clISt17integral_constantIbLb0EESY_EEDaST_SU_EUlST_E_NS1_11comp_targetILNS1_3genE9ELNS1_11target_archE1100ELNS1_3gpuE3ELNS1_3repE0EEENS1_30default_config_static_selectorELNS0_4arch9wavefront6targetE0EEEvT1_
                                        ; -- End function
	.set _ZN7rocprim17ROCPRIM_400000_NS6detail17trampoline_kernelINS0_14default_configENS1_27scan_by_key_config_selectorIxxEEZZNS1_16scan_by_key_implILNS1_25lookback_scan_determinismE0ELb1ES3_N6thrust23THRUST_200600_302600_NS6detail15normal_iteratorINS9_10device_ptrIxEEEESE_SE_xNS9_4plusIxEE19head_flag_predicatexEE10hipError_tPvRmT2_T3_T4_T5_mT6_T7_P12ihipStream_tbENKUlT_T0_E_clISt17integral_constantIbLb0EESY_EEDaST_SU_EUlST_E_NS1_11comp_targetILNS1_3genE9ELNS1_11target_archE1100ELNS1_3gpuE3ELNS1_3repE0EEENS1_30default_config_static_selectorELNS0_4arch9wavefront6targetE0EEEvT1_.num_vgpr, 0
	.set _ZN7rocprim17ROCPRIM_400000_NS6detail17trampoline_kernelINS0_14default_configENS1_27scan_by_key_config_selectorIxxEEZZNS1_16scan_by_key_implILNS1_25lookback_scan_determinismE0ELb1ES3_N6thrust23THRUST_200600_302600_NS6detail15normal_iteratorINS9_10device_ptrIxEEEESE_SE_xNS9_4plusIxEE19head_flag_predicatexEE10hipError_tPvRmT2_T3_T4_T5_mT6_T7_P12ihipStream_tbENKUlT_T0_E_clISt17integral_constantIbLb0EESY_EEDaST_SU_EUlST_E_NS1_11comp_targetILNS1_3genE9ELNS1_11target_archE1100ELNS1_3gpuE3ELNS1_3repE0EEENS1_30default_config_static_selectorELNS0_4arch9wavefront6targetE0EEEvT1_.num_agpr, 0
	.set _ZN7rocprim17ROCPRIM_400000_NS6detail17trampoline_kernelINS0_14default_configENS1_27scan_by_key_config_selectorIxxEEZZNS1_16scan_by_key_implILNS1_25lookback_scan_determinismE0ELb1ES3_N6thrust23THRUST_200600_302600_NS6detail15normal_iteratorINS9_10device_ptrIxEEEESE_SE_xNS9_4plusIxEE19head_flag_predicatexEE10hipError_tPvRmT2_T3_T4_T5_mT6_T7_P12ihipStream_tbENKUlT_T0_E_clISt17integral_constantIbLb0EESY_EEDaST_SU_EUlST_E_NS1_11comp_targetILNS1_3genE9ELNS1_11target_archE1100ELNS1_3gpuE3ELNS1_3repE0EEENS1_30default_config_static_selectorELNS0_4arch9wavefront6targetE0EEEvT1_.numbered_sgpr, 0
	.set _ZN7rocprim17ROCPRIM_400000_NS6detail17trampoline_kernelINS0_14default_configENS1_27scan_by_key_config_selectorIxxEEZZNS1_16scan_by_key_implILNS1_25lookback_scan_determinismE0ELb1ES3_N6thrust23THRUST_200600_302600_NS6detail15normal_iteratorINS9_10device_ptrIxEEEESE_SE_xNS9_4plusIxEE19head_flag_predicatexEE10hipError_tPvRmT2_T3_T4_T5_mT6_T7_P12ihipStream_tbENKUlT_T0_E_clISt17integral_constantIbLb0EESY_EEDaST_SU_EUlST_E_NS1_11comp_targetILNS1_3genE9ELNS1_11target_archE1100ELNS1_3gpuE3ELNS1_3repE0EEENS1_30default_config_static_selectorELNS0_4arch9wavefront6targetE0EEEvT1_.num_named_barrier, 0
	.set _ZN7rocprim17ROCPRIM_400000_NS6detail17trampoline_kernelINS0_14default_configENS1_27scan_by_key_config_selectorIxxEEZZNS1_16scan_by_key_implILNS1_25lookback_scan_determinismE0ELb1ES3_N6thrust23THRUST_200600_302600_NS6detail15normal_iteratorINS9_10device_ptrIxEEEESE_SE_xNS9_4plusIxEE19head_flag_predicatexEE10hipError_tPvRmT2_T3_T4_T5_mT6_T7_P12ihipStream_tbENKUlT_T0_E_clISt17integral_constantIbLb0EESY_EEDaST_SU_EUlST_E_NS1_11comp_targetILNS1_3genE9ELNS1_11target_archE1100ELNS1_3gpuE3ELNS1_3repE0EEENS1_30default_config_static_selectorELNS0_4arch9wavefront6targetE0EEEvT1_.private_seg_size, 0
	.set _ZN7rocprim17ROCPRIM_400000_NS6detail17trampoline_kernelINS0_14default_configENS1_27scan_by_key_config_selectorIxxEEZZNS1_16scan_by_key_implILNS1_25lookback_scan_determinismE0ELb1ES3_N6thrust23THRUST_200600_302600_NS6detail15normal_iteratorINS9_10device_ptrIxEEEESE_SE_xNS9_4plusIxEE19head_flag_predicatexEE10hipError_tPvRmT2_T3_T4_T5_mT6_T7_P12ihipStream_tbENKUlT_T0_E_clISt17integral_constantIbLb0EESY_EEDaST_SU_EUlST_E_NS1_11comp_targetILNS1_3genE9ELNS1_11target_archE1100ELNS1_3gpuE3ELNS1_3repE0EEENS1_30default_config_static_selectorELNS0_4arch9wavefront6targetE0EEEvT1_.uses_vcc, 0
	.set _ZN7rocprim17ROCPRIM_400000_NS6detail17trampoline_kernelINS0_14default_configENS1_27scan_by_key_config_selectorIxxEEZZNS1_16scan_by_key_implILNS1_25lookback_scan_determinismE0ELb1ES3_N6thrust23THRUST_200600_302600_NS6detail15normal_iteratorINS9_10device_ptrIxEEEESE_SE_xNS9_4plusIxEE19head_flag_predicatexEE10hipError_tPvRmT2_T3_T4_T5_mT6_T7_P12ihipStream_tbENKUlT_T0_E_clISt17integral_constantIbLb0EESY_EEDaST_SU_EUlST_E_NS1_11comp_targetILNS1_3genE9ELNS1_11target_archE1100ELNS1_3gpuE3ELNS1_3repE0EEENS1_30default_config_static_selectorELNS0_4arch9wavefront6targetE0EEEvT1_.uses_flat_scratch, 0
	.set _ZN7rocprim17ROCPRIM_400000_NS6detail17trampoline_kernelINS0_14default_configENS1_27scan_by_key_config_selectorIxxEEZZNS1_16scan_by_key_implILNS1_25lookback_scan_determinismE0ELb1ES3_N6thrust23THRUST_200600_302600_NS6detail15normal_iteratorINS9_10device_ptrIxEEEESE_SE_xNS9_4plusIxEE19head_flag_predicatexEE10hipError_tPvRmT2_T3_T4_T5_mT6_T7_P12ihipStream_tbENKUlT_T0_E_clISt17integral_constantIbLb0EESY_EEDaST_SU_EUlST_E_NS1_11comp_targetILNS1_3genE9ELNS1_11target_archE1100ELNS1_3gpuE3ELNS1_3repE0EEENS1_30default_config_static_selectorELNS0_4arch9wavefront6targetE0EEEvT1_.has_dyn_sized_stack, 0
	.set _ZN7rocprim17ROCPRIM_400000_NS6detail17trampoline_kernelINS0_14default_configENS1_27scan_by_key_config_selectorIxxEEZZNS1_16scan_by_key_implILNS1_25lookback_scan_determinismE0ELb1ES3_N6thrust23THRUST_200600_302600_NS6detail15normal_iteratorINS9_10device_ptrIxEEEESE_SE_xNS9_4plusIxEE19head_flag_predicatexEE10hipError_tPvRmT2_T3_T4_T5_mT6_T7_P12ihipStream_tbENKUlT_T0_E_clISt17integral_constantIbLb0EESY_EEDaST_SU_EUlST_E_NS1_11comp_targetILNS1_3genE9ELNS1_11target_archE1100ELNS1_3gpuE3ELNS1_3repE0EEENS1_30default_config_static_selectorELNS0_4arch9wavefront6targetE0EEEvT1_.has_recursion, 0
	.set _ZN7rocprim17ROCPRIM_400000_NS6detail17trampoline_kernelINS0_14default_configENS1_27scan_by_key_config_selectorIxxEEZZNS1_16scan_by_key_implILNS1_25lookback_scan_determinismE0ELb1ES3_N6thrust23THRUST_200600_302600_NS6detail15normal_iteratorINS9_10device_ptrIxEEEESE_SE_xNS9_4plusIxEE19head_flag_predicatexEE10hipError_tPvRmT2_T3_T4_T5_mT6_T7_P12ihipStream_tbENKUlT_T0_E_clISt17integral_constantIbLb0EESY_EEDaST_SU_EUlST_E_NS1_11comp_targetILNS1_3genE9ELNS1_11target_archE1100ELNS1_3gpuE3ELNS1_3repE0EEENS1_30default_config_static_selectorELNS0_4arch9wavefront6targetE0EEEvT1_.has_indirect_call, 0
	.section	.AMDGPU.csdata,"",@progbits
; Kernel info:
; codeLenInByte = 0
; TotalNumSgprs: 0
; NumVgprs: 0
; ScratchSize: 0
; MemoryBound: 0
; FloatMode: 240
; IeeeMode: 1
; LDSByteSize: 0 bytes/workgroup (compile time only)
; SGPRBlocks: 0
; VGPRBlocks: 0
; NumSGPRsForWavesPerEU: 1
; NumVGPRsForWavesPerEU: 1
; Occupancy: 16
; WaveLimiterHint : 0
; COMPUTE_PGM_RSRC2:SCRATCH_EN: 0
; COMPUTE_PGM_RSRC2:USER_SGPR: 6
; COMPUTE_PGM_RSRC2:TRAP_HANDLER: 0
; COMPUTE_PGM_RSRC2:TGID_X_EN: 1
; COMPUTE_PGM_RSRC2:TGID_Y_EN: 0
; COMPUTE_PGM_RSRC2:TGID_Z_EN: 0
; COMPUTE_PGM_RSRC2:TIDIG_COMP_CNT: 0
	.section	.text._ZN7rocprim17ROCPRIM_400000_NS6detail17trampoline_kernelINS0_14default_configENS1_27scan_by_key_config_selectorIxxEEZZNS1_16scan_by_key_implILNS1_25lookback_scan_determinismE0ELb1ES3_N6thrust23THRUST_200600_302600_NS6detail15normal_iteratorINS9_10device_ptrIxEEEESE_SE_xNS9_4plusIxEE19head_flag_predicatexEE10hipError_tPvRmT2_T3_T4_T5_mT6_T7_P12ihipStream_tbENKUlT_T0_E_clISt17integral_constantIbLb0EESY_EEDaST_SU_EUlST_E_NS1_11comp_targetILNS1_3genE8ELNS1_11target_archE1030ELNS1_3gpuE2ELNS1_3repE0EEENS1_30default_config_static_selectorELNS0_4arch9wavefront6targetE0EEEvT1_,"axG",@progbits,_ZN7rocprim17ROCPRIM_400000_NS6detail17trampoline_kernelINS0_14default_configENS1_27scan_by_key_config_selectorIxxEEZZNS1_16scan_by_key_implILNS1_25lookback_scan_determinismE0ELb1ES3_N6thrust23THRUST_200600_302600_NS6detail15normal_iteratorINS9_10device_ptrIxEEEESE_SE_xNS9_4plusIxEE19head_flag_predicatexEE10hipError_tPvRmT2_T3_T4_T5_mT6_T7_P12ihipStream_tbENKUlT_T0_E_clISt17integral_constantIbLb0EESY_EEDaST_SU_EUlST_E_NS1_11comp_targetILNS1_3genE8ELNS1_11target_archE1030ELNS1_3gpuE2ELNS1_3repE0EEENS1_30default_config_static_selectorELNS0_4arch9wavefront6targetE0EEEvT1_,comdat
	.protected	_ZN7rocprim17ROCPRIM_400000_NS6detail17trampoline_kernelINS0_14default_configENS1_27scan_by_key_config_selectorIxxEEZZNS1_16scan_by_key_implILNS1_25lookback_scan_determinismE0ELb1ES3_N6thrust23THRUST_200600_302600_NS6detail15normal_iteratorINS9_10device_ptrIxEEEESE_SE_xNS9_4plusIxEE19head_flag_predicatexEE10hipError_tPvRmT2_T3_T4_T5_mT6_T7_P12ihipStream_tbENKUlT_T0_E_clISt17integral_constantIbLb0EESY_EEDaST_SU_EUlST_E_NS1_11comp_targetILNS1_3genE8ELNS1_11target_archE1030ELNS1_3gpuE2ELNS1_3repE0EEENS1_30default_config_static_selectorELNS0_4arch9wavefront6targetE0EEEvT1_ ; -- Begin function _ZN7rocprim17ROCPRIM_400000_NS6detail17trampoline_kernelINS0_14default_configENS1_27scan_by_key_config_selectorIxxEEZZNS1_16scan_by_key_implILNS1_25lookback_scan_determinismE0ELb1ES3_N6thrust23THRUST_200600_302600_NS6detail15normal_iteratorINS9_10device_ptrIxEEEESE_SE_xNS9_4plusIxEE19head_flag_predicatexEE10hipError_tPvRmT2_T3_T4_T5_mT6_T7_P12ihipStream_tbENKUlT_T0_E_clISt17integral_constantIbLb0EESY_EEDaST_SU_EUlST_E_NS1_11comp_targetILNS1_3genE8ELNS1_11target_archE1030ELNS1_3gpuE2ELNS1_3repE0EEENS1_30default_config_static_selectorELNS0_4arch9wavefront6targetE0EEEvT1_
	.globl	_ZN7rocprim17ROCPRIM_400000_NS6detail17trampoline_kernelINS0_14default_configENS1_27scan_by_key_config_selectorIxxEEZZNS1_16scan_by_key_implILNS1_25lookback_scan_determinismE0ELb1ES3_N6thrust23THRUST_200600_302600_NS6detail15normal_iteratorINS9_10device_ptrIxEEEESE_SE_xNS9_4plusIxEE19head_flag_predicatexEE10hipError_tPvRmT2_T3_T4_T5_mT6_T7_P12ihipStream_tbENKUlT_T0_E_clISt17integral_constantIbLb0EESY_EEDaST_SU_EUlST_E_NS1_11comp_targetILNS1_3genE8ELNS1_11target_archE1030ELNS1_3gpuE2ELNS1_3repE0EEENS1_30default_config_static_selectorELNS0_4arch9wavefront6targetE0EEEvT1_
	.p2align	8
	.type	_ZN7rocprim17ROCPRIM_400000_NS6detail17trampoline_kernelINS0_14default_configENS1_27scan_by_key_config_selectorIxxEEZZNS1_16scan_by_key_implILNS1_25lookback_scan_determinismE0ELb1ES3_N6thrust23THRUST_200600_302600_NS6detail15normal_iteratorINS9_10device_ptrIxEEEESE_SE_xNS9_4plusIxEE19head_flag_predicatexEE10hipError_tPvRmT2_T3_T4_T5_mT6_T7_P12ihipStream_tbENKUlT_T0_E_clISt17integral_constantIbLb0EESY_EEDaST_SU_EUlST_E_NS1_11comp_targetILNS1_3genE8ELNS1_11target_archE1030ELNS1_3gpuE2ELNS1_3repE0EEENS1_30default_config_static_selectorELNS0_4arch9wavefront6targetE0EEEvT1_,@function
_ZN7rocprim17ROCPRIM_400000_NS6detail17trampoline_kernelINS0_14default_configENS1_27scan_by_key_config_selectorIxxEEZZNS1_16scan_by_key_implILNS1_25lookback_scan_determinismE0ELb1ES3_N6thrust23THRUST_200600_302600_NS6detail15normal_iteratorINS9_10device_ptrIxEEEESE_SE_xNS9_4plusIxEE19head_flag_predicatexEE10hipError_tPvRmT2_T3_T4_T5_mT6_T7_P12ihipStream_tbENKUlT_T0_E_clISt17integral_constantIbLb0EESY_EEDaST_SU_EUlST_E_NS1_11comp_targetILNS1_3genE8ELNS1_11target_archE1030ELNS1_3gpuE2ELNS1_3repE0EEENS1_30default_config_static_selectorELNS0_4arch9wavefront6targetE0EEEvT1_: ; @_ZN7rocprim17ROCPRIM_400000_NS6detail17trampoline_kernelINS0_14default_configENS1_27scan_by_key_config_selectorIxxEEZZNS1_16scan_by_key_implILNS1_25lookback_scan_determinismE0ELb1ES3_N6thrust23THRUST_200600_302600_NS6detail15normal_iteratorINS9_10device_ptrIxEEEESE_SE_xNS9_4plusIxEE19head_flag_predicatexEE10hipError_tPvRmT2_T3_T4_T5_mT6_T7_P12ihipStream_tbENKUlT_T0_E_clISt17integral_constantIbLb0EESY_EEDaST_SU_EUlST_E_NS1_11comp_targetILNS1_3genE8ELNS1_11target_archE1030ELNS1_3gpuE2ELNS1_3repE0EEENS1_30default_config_static_selectorELNS0_4arch9wavefront6targetE0EEEvT1_
; %bb.0:
	s_clause 0x5
	s_load_dwordx8 s[12:19], s[4:5], 0x0
	s_load_dwordx2 s[38:39], s[4:5], 0x50
	s_load_dword s2, s[4:5], 0x58
	s_load_dwordx4 s[28:31], s[4:5], 0x60
	s_load_dwordx2 s[40:41], s[4:5], 0x20
	s_load_dwordx8 s[20:27], s[4:5], 0x30
	s_mov_b32 s1, 0
	s_mul_i32 s0, s6, 0xd00
	s_waitcnt lgkmcnt(0)
	s_barrier
	buffer_gl0_inv
	s_lshl_b64 s[34:35], s[14:15], 3
	s_add_u32 s5, s12, s34
	s_addc_u32 s7, s13, s35
	s_mul_i32 s3, s39, s2
	s_mul_hi_u32 s4, s38, s2
	s_add_u32 s8, s16, s34
	s_addc_u32 s9, s17, s35
	s_lshl_b64 s[36:37], s[0:1], 3
	s_add_i32 s4, s4, s3
	s_add_u32 s14, s5, s36
	s_addc_u32 s15, s7, s37
	s_mul_i32 s0, s38, s2
	s_add_u32 s16, s8, s36
	s_addc_u32 s33, s9, s37
	s_add_u32 s2, s0, s6
	s_addc_u32 s3, s4, 0
	s_add_u32 s4, s28, -1
	s_addc_u32 s5, s29, -1
	s_mul_i32 s27, s4, 0xfffff300
	v_cmp_ge_u64_e64 s17, s[2:3], s[4:5]
	s_and_b32 vcc_lo, exec_lo, s17
	s_cbranch_vccz .LBB721_41
; %bb.1:
	v_mov_b32_e32 v1, s14
	v_mov_b32_e32 v2, s15
	s_add_i32 s43, s27, s26
	v_cmp_gt_u32_e32 vcc_lo, s43, v0
	flat_load_dwordx2 v[1:2], v[1:2]
	s_waitcnt vmcnt(0) lgkmcnt(0)
	v_mov_b32_e32 v4, v2
	v_mov_b32_e32 v3, v1
	s_and_saveexec_b32 s0, vcc_lo
	s_cbranch_execz .LBB721_3
; %bb.2:
	v_lshlrev_b32_e32 v3, 3, v0
	v_add_co_u32 v3, s1, s14, v3
	v_add_co_ci_u32_e64 v4, null, s15, 0, s1
	flat_load_dwordx2 v[3:4], v[3:4]
.LBB721_3:
	s_or_b32 exec_lo, exec_lo, s0
	v_or_b32_e32 v5, 0x100, v0
	v_cmp_gt_u32_e64 s0, s43, v5
	v_lshlrev_b32_e32 v27, 3, v5
	v_mov_b32_e32 v6, v2
	v_mov_b32_e32 v5, v1
	s_and_saveexec_b32 s1, s0
	s_cbranch_execz .LBB721_5
; %bb.4:
	v_add_co_u32 v5, s2, s14, v27
	v_add_co_ci_u32_e64 v6, null, s15, 0, s2
	flat_load_dwordx2 v[5:6], v[5:6]
.LBB721_5:
	s_or_b32 exec_lo, exec_lo, s1
	v_or_b32_e32 v7, 0x200, v0
	v_cmp_gt_u32_e64 s1, s43, v7
	v_lshlrev_b32_e32 v29, 3, v7
	v_mov_b32_e32 v8, v2
	v_mov_b32_e32 v7, v1
	s_and_saveexec_b32 s2, s1
	s_cbranch_execz .LBB721_7
; %bb.6:
	v_add_co_u32 v7, s3, s14, v29
	v_add_co_ci_u32_e64 v8, null, s15, 0, s3
	flat_load_dwordx2 v[7:8], v[7:8]
.LBB721_7:
	;; [unrolled: 13-line block ×11, first 2 shown]
	s_or_b32 exec_lo, exec_lo, s12
	v_or_b32_e32 v28, 0xc00, v0
	v_cmp_gt_u32_e64 s12, s43, v28
	v_lshlrev_b32_e32 v49, 3, v28
	s_and_saveexec_b32 s13, s12
	s_cbranch_execz .LBB721_27
; %bb.26:
	v_add_co_u32 v1, s28, s14, v49
	v_add_co_ci_u32_e64 v2, null, s15, 0, s28
	flat_load_dwordx2 v[1:2], v[1:2]
.LBB721_27:
	s_or_b32 exec_lo, exec_lo, s13
	v_lshlrev_b32_e32 v50, 3, v0
	s_mov_b32 s28, exec_lo
	s_waitcnt vmcnt(0) lgkmcnt(0)
	ds_write2st64_b64 v50, v[3:4], v[5:6] offset1:4
	ds_write2st64_b64 v50, v[7:8], v[9:10] offset0:8 offset1:12
	ds_write2st64_b64 v50, v[11:12], v[13:14] offset0:16 offset1:20
	;; [unrolled: 1-line block ×5, first 2 shown]
	v_mov_b32_e32 v3, s14
	v_mov_b32_e32 v4, s15
	ds_write_b64 v50, v[1:2] offset:24576
	s_waitcnt lgkmcnt(0)
	s_barrier
	buffer_gl0_inv
	flat_load_dwordx2 v[71:72], v[3:4]
	v_mad_u32_u24 v96, 0x60, v0, v50
	ds_read2_b64 v[21:24], v96 offset1:1
	ds_read2_b64 v[17:20], v96 offset0:2 offset1:3
	ds_read2_b64 v[13:16], v96 offset0:4 offset1:5
	;; [unrolled: 1-line block ×5, first 2 shown]
	ds_read_b64 v[73:74], v96 offset:96
	v_mad_i32_i24 v25, 0xffffffa0, v0, v96
	s_waitcnt lgkmcnt(6)
	ds_write_b64 v25, v[21:22] offset:28672
	s_waitcnt vmcnt(0) lgkmcnt(0)
	s_barrier
	buffer_gl0_inv
	v_cmpx_ne_u32_e32 0xff, v0
; %bb.28:
	v_mul_i32_i24_e32 v21, 0xffffffa0, v0
	v_add_nc_u32_e32 v21, v96, v21
	ds_read_b64 v[71:72], v21 offset:28680
; %bb.29:
	s_or_b32 exec_lo, exec_lo, s28
	s_waitcnt lgkmcnt(0)
	s_barrier
	buffer_gl0_inv
                                        ; implicit-def: $vgpr21_vgpr22
	s_and_saveexec_b32 s13, vcc_lo
	s_cbranch_execz .LBB721_42
; %bb.30:
	v_add_co_u32 v21, s28, s16, v50
	v_add_co_ci_u32_e64 v22, null, s33, 0, s28
	flat_load_dwordx2 v[21:22], v[21:22]
	s_or_b32 exec_lo, exec_lo, s13
                                        ; implicit-def: $vgpr25_vgpr26
	s_and_saveexec_b32 s13, s0
	s_cbranch_execnz .LBB721_43
.LBB721_31:
	s_or_b32 exec_lo, exec_lo, s13
                                        ; implicit-def: $vgpr27_vgpr28
	s_and_saveexec_b32 s0, s1
	s_cbranch_execz .LBB721_44
.LBB721_32:
	v_add_co_u32 v27, s1, s16, v29
	v_add_co_ci_u32_e64 v28, null, s33, 0, s1
	flat_load_dwordx2 v[27:28], v[27:28]
	s_or_b32 exec_lo, exec_lo, s0
                                        ; implicit-def: $vgpr29_vgpr30
	s_and_saveexec_b32 s0, s2
	s_cbranch_execnz .LBB721_45
.LBB721_33:
	s_or_b32 exec_lo, exec_lo, s0
                                        ; implicit-def: $vgpr31_vgpr32
	s_and_saveexec_b32 s0, s3
	s_cbranch_execz .LBB721_46
.LBB721_34:
	v_add_co_u32 v31, s1, s16, v33
	v_add_co_ci_u32_e64 v32, null, s33, 0, s1
	flat_load_dwordx2 v[31:32], v[31:32]
	s_or_b32 exec_lo, exec_lo, s0
                                        ; implicit-def: $vgpr33_vgpr34
	s_and_saveexec_b32 s0, s4
	s_cbranch_execnz .LBB721_47
.LBB721_35:
	s_or_b32 exec_lo, exec_lo, s0
                                        ; implicit-def: $vgpr35_vgpr36
	s_and_saveexec_b32 s0, s5
	s_cbranch_execz .LBB721_48
.LBB721_36:
	v_add_co_u32 v35, s1, s16, v37
	v_add_co_ci_u32_e64 v36, null, s33, 0, s1
	flat_load_dwordx2 v[35:36], v[35:36]
	s_or_b32 exec_lo, exec_lo, s0
                                        ; implicit-def: $vgpr37_vgpr38
	s_and_saveexec_b32 s0, s7
	s_cbranch_execnz .LBB721_49
.LBB721_37:
	s_or_b32 exec_lo, exec_lo, s0
                                        ; implicit-def: $vgpr39_vgpr40
	s_and_saveexec_b32 s0, s8
	s_cbranch_execz .LBB721_50
.LBB721_38:
	v_add_co_u32 v39, s1, s16, v41
	v_add_co_ci_u32_e64 v40, null, s33, 0, s1
	flat_load_dwordx2 v[39:40], v[39:40]
	s_or_b32 exec_lo, exec_lo, s0
                                        ; implicit-def: $vgpr41_vgpr42
	s_and_saveexec_b32 s0, s9
	s_cbranch_execnz .LBB721_51
.LBB721_39:
	s_or_b32 exec_lo, exec_lo, s0
                                        ; implicit-def: $vgpr43_vgpr44
	s_and_saveexec_b32 s0, s10
	s_cbranch_execz .LBB721_52
.LBB721_40:
	v_add_co_u32 v43, s1, s16, v45
	v_add_co_ci_u32_e64 v44, null, s33, 0, s1
	flat_load_dwordx2 v[43:44], v[43:44]
	s_or_b32 exec_lo, exec_lo, s0
                                        ; implicit-def: $vgpr45_vgpr46
	s_and_saveexec_b32 s0, s11
	s_cbranch_execz .LBB721_54
	s_branch .LBB721_53
.LBB721_41:
                                        ; implicit-def: $sgpr28
                                        ; implicit-def: $vgpr49_vgpr50
                                        ; implicit-def: $vgpr87
                                        ; implicit-def: $vgpr47_vgpr48
                                        ; implicit-def: $vgpr88
                                        ; implicit-def: $vgpr65_vgpr66
                                        ; implicit-def: $vgpr89
                                        ; implicit-def: $vgpr69_vgpr70
                                        ; implicit-def: $vgpr90
                                        ; implicit-def: $vgpr63_vgpr64
                                        ; implicit-def: $vgpr91
                                        ; implicit-def: $vgpr67_vgpr68
                                        ; implicit-def: $vgpr92
                                        ; implicit-def: $vgpr59_vgpr60
                                        ; implicit-def: $vgpr93
                                        ; implicit-def: $vgpr61_vgpr62
                                        ; implicit-def: $vgpr94
                                        ; implicit-def: $vgpr57_vgpr58
                                        ; implicit-def: $vgpr95
                                        ; implicit-def: $vgpr55_vgpr56
                                        ; implicit-def: $vgpr97
                                        ; implicit-def: $vgpr53_vgpr54
                                        ; implicit-def: $vgpr98
                                        ; implicit-def: $vgpr51_vgpr52
                                        ; implicit-def: $vgpr100
                                        ; implicit-def: $vgpr35_vgpr36
                                        ; implicit-def: $vgpr75
                                        ; implicit-def: $vgpr21_vgpr22
                                        ; implicit-def: $vgpr76
                                        ; implicit-def: $vgpr25_vgpr26
                                        ; implicit-def: $vgpr77
                                        ; implicit-def: $vgpr27_vgpr28
                                        ; implicit-def: $vgpr78
                                        ; implicit-def: $vgpr29_vgpr30
                                        ; implicit-def: $vgpr79
                                        ; implicit-def: $vgpr31_vgpr32
                                        ; implicit-def: $vgpr80
                                        ; implicit-def: $vgpr33_vgpr34
                                        ; implicit-def: $vgpr82
                                        ; implicit-def: $vgpr37_vgpr38
                                        ; implicit-def: $vgpr83
                                        ; implicit-def: $vgpr39_vgpr40
                                        ; implicit-def: $vgpr84
                                        ; implicit-def: $vgpr41_vgpr42
                                        ; implicit-def: $vgpr85
                                        ; implicit-def: $vgpr43_vgpr44
                                        ; implicit-def: $vgpr86
                                        ; implicit-def: $vgpr45_vgpr46
                                        ; implicit-def: $vgpr81
	v_lshlrev_b32_e32 v73, 3, v0
	s_cbranch_execz .LBB721_88
	s_branch .LBB721_83
.LBB721_42:
	s_or_b32 exec_lo, exec_lo, s13
                                        ; implicit-def: $vgpr25_vgpr26
	s_and_saveexec_b32 s13, s0
	s_cbranch_execz .LBB721_31
.LBB721_43:
	v_add_co_u32 v25, s0, s16, v27
	v_add_co_ci_u32_e64 v26, null, s33, 0, s0
	flat_load_dwordx2 v[25:26], v[25:26]
	s_or_b32 exec_lo, exec_lo, s13
                                        ; implicit-def: $vgpr27_vgpr28
	s_and_saveexec_b32 s0, s1
	s_cbranch_execnz .LBB721_32
.LBB721_44:
	s_or_b32 exec_lo, exec_lo, s0
                                        ; implicit-def: $vgpr29_vgpr30
	s_and_saveexec_b32 s0, s2
	s_cbranch_execz .LBB721_33
.LBB721_45:
	v_add_co_u32 v29, s1, s16, v31
	v_add_co_ci_u32_e64 v30, null, s33, 0, s1
	flat_load_dwordx2 v[29:30], v[29:30]
	s_or_b32 exec_lo, exec_lo, s0
                                        ; implicit-def: $vgpr31_vgpr32
	s_and_saveexec_b32 s0, s3
	s_cbranch_execnz .LBB721_34
.LBB721_46:
	s_or_b32 exec_lo, exec_lo, s0
                                        ; implicit-def: $vgpr33_vgpr34
	s_and_saveexec_b32 s0, s4
	s_cbranch_execz .LBB721_35
.LBB721_47:
	v_add_co_u32 v33, s1, s16, v35
	v_add_co_ci_u32_e64 v34, null, s33, 0, s1
	flat_load_dwordx2 v[33:34], v[33:34]
	s_or_b32 exec_lo, exec_lo, s0
                                        ; implicit-def: $vgpr35_vgpr36
	s_and_saveexec_b32 s0, s5
	s_cbranch_execnz .LBB721_36
.LBB721_48:
	s_or_b32 exec_lo, exec_lo, s0
                                        ; implicit-def: $vgpr37_vgpr38
	s_and_saveexec_b32 s0, s7
	s_cbranch_execz .LBB721_37
.LBB721_49:
	v_add_co_u32 v37, s1, s16, v39
	v_add_co_ci_u32_e64 v38, null, s33, 0, s1
	flat_load_dwordx2 v[37:38], v[37:38]
	s_or_b32 exec_lo, exec_lo, s0
                                        ; implicit-def: $vgpr39_vgpr40
	s_and_saveexec_b32 s0, s8
	s_cbranch_execnz .LBB721_38
.LBB721_50:
	s_or_b32 exec_lo, exec_lo, s0
                                        ; implicit-def: $vgpr41_vgpr42
	s_and_saveexec_b32 s0, s9
	s_cbranch_execz .LBB721_39
.LBB721_51:
	v_add_co_u32 v41, s1, s16, v43
	v_add_co_ci_u32_e64 v42, null, s33, 0, s1
	flat_load_dwordx2 v[41:42], v[41:42]
	s_or_b32 exec_lo, exec_lo, s0
                                        ; implicit-def: $vgpr43_vgpr44
	s_and_saveexec_b32 s0, s10
	s_cbranch_execnz .LBB721_40
.LBB721_52:
	s_or_b32 exec_lo, exec_lo, s0
                                        ; implicit-def: $vgpr45_vgpr46
	s_and_saveexec_b32 s0, s11
	s_cbranch_execz .LBB721_54
.LBB721_53:
	v_add_co_u32 v45, s1, s16, v47
	v_add_co_ci_u32_e64 v46, null, s33, 0, s1
	flat_load_dwordx2 v[45:46], v[45:46]
.LBB721_54:
	s_or_b32 exec_lo, exec_lo, s0
	v_mul_u32_u24_e32 v99, 13, v0
                                        ; implicit-def: $vgpr47_vgpr48
	s_and_saveexec_b32 s0, s12
	s_cbranch_execz .LBB721_56
; %bb.55:
	v_add_co_u32 v47, s1, s16, v49
	v_add_co_ci_u32_e64 v48, null, s33, 0, s1
	flat_load_dwordx2 v[47:48], v[47:48]
.LBB721_56:
	s_or_b32 exec_lo, exec_lo, s0
	s_waitcnt vmcnt(0) lgkmcnt(0)
	ds_write2st64_b64 v50, v[21:22], v[25:26] offset1:4
	ds_write2st64_b64 v50, v[27:28], v[29:30] offset0:8 offset1:12
	ds_write2st64_b64 v50, v[31:32], v[33:34] offset0:16 offset1:20
	;; [unrolled: 1-line block ×5, first 2 shown]
	ds_write_b64 v50, v[47:48] offset:24576
	v_mov_b32_e32 v49, 0
	v_mov_b32_e32 v47, 0
	;; [unrolled: 1-line block ×24, first 2 shown]
	v_cmp_gt_u32_e32 vcc_lo, s43, v99
	v_mov_b32_e32 v87, 0
	v_mov_b32_e32 v50, 0
	;; [unrolled: 1-line block ×48, first 2 shown]
	s_mov_b32 s13, 0
	s_mov_b32 s1, 0
	s_waitcnt lgkmcnt(0)
	s_barrier
	buffer_gl0_inv
                                        ; implicit-def: $sgpr28
	s_and_saveexec_b32 s29, vcc_lo
	s_cbranch_execz .LBB721_82
; %bb.57:
	ds_read_b64 v[21:22], v96
	v_cmp_ne_u64_e32 vcc_lo, 0, v[23:24]
	v_add_nc_u32_e32 v23, 1, v99
	v_mov_b32_e32 v47, 0
	v_mov_b32_e32 v65, 0
	;; [unrolled: 1-line block ×17, first 2 shown]
	s_waitcnt lgkmcnt(0)
	v_cndmask_b32_e64 v50, v22, s41, vcc_lo
	v_cndmask_b32_e64 v49, v21, s40, vcc_lo
	v_mov_b32_e32 v21, 0
	v_mov_b32_e32 v37, 0
	;; [unrolled: 1-line block ×21, first 2 shown]
	v_cmp_gt_u32_e64 s0, s43, v23
	v_mov_b32_e32 v58, 0
	v_mov_b32_e32 v95, 0
	;; [unrolled: 1-line block ×30, first 2 shown]
                                        ; implicit-def: $sgpr28
	s_and_saveexec_b32 s42, s0
	s_cbranch_execz .LBB721_81
; %bb.58:
	ds_read2_b64 v[21:24], v96 offset0:1 offset1:2
	v_cmp_ne_u64_e64 s0, 0, v[17:18]
	v_add_nc_u32_e32 v17, 2, v99
	v_mov_b32_e32 v47, 0
	v_mov_b32_e32 v65, 0
	;; [unrolled: 1-line block ×17, first 2 shown]
	s_waitcnt lgkmcnt(0)
	v_cndmask_b32_e64 v52, v22, s41, s0
	v_cndmask_b32_e64 v51, v21, s40, s0
	v_mov_b32_e32 v21, 0
	v_mov_b32_e32 v39, 0
	;; [unrolled: 1-line block ×19, first 2 shown]
	v_cmp_gt_u32_e64 s1, s43, v17
	v_mov_b32_e32 v58, 0
	v_mov_b32_e32 v95, 0
	;; [unrolled: 1-line block ×26, first 2 shown]
	s_mov_b32 s2, 0
                                        ; implicit-def: $sgpr28
	s_and_saveexec_b32 s44, s1
	s_cbranch_execz .LBB721_80
; %bb.59:
	v_cmp_ne_u64_e64 s1, 0, v[19:20]
	v_add_nc_u32_e32 v17, 3, v99
	v_mov_b32_e32 v47, 0
	v_mov_b32_e32 v65, 0
	;; [unrolled: 1-line block ×20, first 2 shown]
	v_cndmask_b32_e64 v54, v24, s41, s1
	v_mov_b32_e32 v87, 0
	v_cmp_gt_u32_e64 s2, s43, v17
	v_cndmask_b32_e64 v53, v23, s40, s1
	v_mov_b32_e32 v88, 0
	v_mov_b32_e32 v66, 0
	;; [unrolled: 1-line block ×35, first 2 shown]
	s_mov_b32 s3, 0
                                        ; implicit-def: $sgpr28
	s_and_saveexec_b32 s45, s2
	s_cbranch_execz .LBB721_79
; %bb.60:
	ds_read2_b64 v[17:20], v96 offset0:3 offset1:4
	v_cmp_ne_u64_e64 s2, 0, v[13:14]
	v_add_nc_u32_e32 v13, 4, v99
	v_mov_b32_e32 v47, 0
	v_mov_b32_e32 v65, 0
	;; [unrolled: 1-line block ×32, first 2 shown]
	v_cmp_gt_u32_e64 s3, s43, v13
	s_waitcnt lgkmcnt(0)
	v_cndmask_b32_e64 v56, v18, s41, s2
	v_cndmask_b32_e64 v55, v17, s40, s2
	v_mov_b32_e32 v58, 0
	v_mov_b32_e32 v36, 0
	;; [unrolled: 1-line block ×18, first 2 shown]
	s_mov_b32 s4, 0
                                        ; implicit-def: $sgpr28
	s_and_saveexec_b32 s46, s3
	s_cbranch_execz .LBB721_78
; %bb.61:
	v_cmp_ne_u64_e64 s3, 0, v[15:16]
	v_add_nc_u32_e32 v13, 5, v99
	v_mov_b32_e32 v47, 0
	v_mov_b32_e32 v65, 0
	;; [unrolled: 1-line block ×16, first 2 shown]
	v_cndmask_b32_e64 v58, v20, s41, s3
	v_mov_b32_e32 v87, 0
	v_cmp_gt_u32_e64 s4, s43, v13
	v_cndmask_b32_e64 v57, v19, s40, s3
	v_mov_b32_e32 v88, 0
	v_mov_b32_e32 v66, 0
	v_mov_b32_e32 v89, 0
	v_mov_b32_e32 v70, 0
	v_mov_b32_e32 v90, 0
	v_mov_b32_e32 v64, 0
	v_mov_b32_e32 v91, 0
	v_mov_b32_e32 v68, 0
	v_mov_b32_e32 v92, 0
	v_mov_b32_e32 v60, 0
	v_mov_b32_e32 v93, 0
	v_mov_b32_e32 v62, 0
	v_mov_b32_e32 v36, 0
	v_mov_b32_e32 v75, 0
	v_mov_b32_e32 v22, 0
	v_mov_b32_e32 v76, 0
	v_mov_b32_e32 v26, 0
	v_mov_b32_e32 v77, 0
	v_mov_b32_e32 v28, 0
	v_mov_b32_e32 v78, 0
	v_mov_b32_e32 v30, 0
	v_mov_b32_e32 v79, 0
	v_mov_b32_e32 v32, 0
	v_mov_b32_e32 v80, 0
	v_mov_b32_e32 v34, 0
	v_mov_b32_e32 v38, 0
	v_mov_b32_e32 v82, 0
	s_mov_b32 s5, 0
                                        ; implicit-def: $sgpr28
	s_and_saveexec_b32 s47, s4
	s_cbranch_execz .LBB721_77
; %bb.62:
	ds_read2_b64 v[13:16], v96 offset0:5 offset1:6
	v_cmp_ne_u64_e64 s4, 0, v[9:10]
	v_mov_b32_e32 v47, 0
	v_mov_b32_e32 v65, 0
	;; [unrolled: 1-line block ×14, first 2 shown]
	v_add_nc_u32_e32 v9, 6, v99
	v_mov_b32_e32 v87, 0
	v_mov_b32_e32 v88, 0
	;; [unrolled: 1-line block ×14, first 2 shown]
	s_waitcnt lgkmcnt(0)
	v_cndmask_b32_e64 v62, v14, s41, s4
	v_cndmask_b32_e64 v61, v13, s40, s4
	v_mov_b32_e32 v76, 0
	v_mov_b32_e32 v26, 0
	;; [unrolled: 1-line block ×10, first 2 shown]
	s_mov_b32 s7, 0
	s_mov_b32 s48, exec_lo
                                        ; implicit-def: $sgpr28
	v_cmpx_gt_u32_e64 s43, v9
	s_cbranch_execz .LBB721_76
; %bb.63:
	v_cmp_ne_u64_e64 s5, 0, v[11:12]
	v_add_nc_u32_e32 v9, 7, v99
	v_mov_b32_e32 v47, 0
	v_mov_b32_e32 v65, 0
	v_mov_b32_e32 v69, 0
	v_mov_b32_e32 v63, 0
	v_mov_b32_e32 v67, 0
	v_mov_b32_e32 v35, 0
	v_mov_b32_e32 v21, 0
	v_mov_b32_e32 v25, 0
	v_mov_b32_e32 v27, 0
	v_mov_b32_e32 v29, 0
	v_mov_b32_e32 v31, 0
	v_mov_b32_e32 v48, 0
	v_cndmask_b32_e64 v60, v16, s41, s5
	v_mov_b32_e32 v87, 0
	v_cmp_gt_u32_e64 s7, s43, v9
	v_cndmask_b32_e64 v59, v15, s40, s5
	v_mov_b32_e32 v88, 0
	v_mov_b32_e32 v66, 0
	;; [unrolled: 1-line block ×19, first 2 shown]
	s_mov_b32 s8, 0
                                        ; implicit-def: $sgpr28
	s_and_saveexec_b32 s49, s7
	s_cbranch_execz .LBB721_75
; %bb.64:
	ds_read2_b64 v[9:12], v96 offset0:7 offset1:8
	v_cmp_ne_u64_e64 s7, 0, v[5:6]
	v_mov_b32_e32 v47, 0
	v_mov_b32_e32 v65, 0
	;; [unrolled: 1-line block ×10, first 2 shown]
	v_add_nc_u32_e32 v5, 8, v99
	v_mov_b32_e32 v87, 0
	v_mov_b32_e32 v88, 0
	;; [unrolled: 1-line block ×14, first 2 shown]
	s_waitcnt lgkmcnt(0)
	v_cndmask_b32_e64 v68, v10, s41, s7
	v_cndmask_b32_e64 v67, v9, s40, s7
	v_mov_b32_e32 v30, 0
	v_mov_b32_e32 v78, 0
	s_mov_b32 s9, 0
	s_mov_b32 s50, exec_lo
                                        ; implicit-def: $sgpr28
	v_cmpx_gt_u32_e64 s43, v5
	s_cbranch_execz .LBB721_74
; %bb.65:
	v_cmp_ne_u64_e64 s8, 0, v[7:8]
	v_mov_b32_e32 v47, 0
	v_mov_b32_e32 v65, 0
	;; [unrolled: 1-line block ×7, first 2 shown]
	v_add_nc_u32_e32 v5, 9, v99
	v_mov_b32_e32 v48, 0
	v_cndmask_b32_e64 v64, v12, s41, s8
	v_mov_b32_e32 v87, 0
	v_cndmask_b32_e64 v63, v11, s40, s8
	v_mov_b32_e32 v88, 0
	v_mov_b32_e32 v66, 0
	;; [unrolled: 1-line block ×11, first 2 shown]
	s_mov_b32 s10, 0
	s_mov_b32 s51, exec_lo
                                        ; implicit-def: $sgpr28
	v_cmpx_gt_u32_e64 s43, v5
	s_cbranch_execz .LBB721_73
; %bb.66:
	ds_read2_b64 v[5:8], v96 offset0:9 offset1:10
	v_cmp_ne_u64_e64 s9, 0, v[1:2]
	v_mov_b32_e32 v47, 0
	v_mov_b32_e32 v65, 0
	;; [unrolled: 1-line block ×5, first 2 shown]
	v_add_nc_u32_e32 v1, 10, v99
	v_mov_b32_e32 v87, 0
	v_mov_b32_e32 v88, 0
	;; [unrolled: 1-line block ×6, first 2 shown]
	s_mov_b32 s11, 0
	s_mov_b32 s52, exec_lo
                                        ; implicit-def: $sgpr28
	s_waitcnt lgkmcnt(0)
	v_cndmask_b32_e64 v70, v6, s41, s9
	v_cndmask_b32_e64 v69, v5, s40, s9
	v_cmpx_gt_u32_e64 s43, v1
	s_cbranch_execz .LBB721_72
; %bb.67:
	v_cmp_ne_u64_e64 s10, 0, v[3:4]
	v_mov_b32_e32 v47, 0
	v_mov_b32_e32 v35, 0
	v_add_nc_u32_e32 v1, 11, v99
	v_mov_b32_e32 v48, 0
	v_mov_b32_e32 v36, 0
	v_cndmask_b32_e64 v66, v8, s41, s10
	v_cndmask_b32_e64 v65, v7, s40, s10
	v_mov_b32_e32 v87, 0
	s_mov_b32 s12, 0
	s_mov_b32 s53, exec_lo
                                        ; implicit-def: $sgpr28
	v_cmpx_gt_u32_e64 s43, v1
	s_cbranch_execz .LBB721_71
; %bb.68:
	ds_read2_b64 v[1:4], v96 offset0:11 offset1:12
	v_cmp_ne_u64_e64 s11, 0, v[73:74]
	v_add_nc_u32_e32 v5, 12, v99
	v_mov_b32_e32 v35, 0
	v_mov_b32_e32 v36, 0
                                        ; implicit-def: $sgpr28
	v_cmp_gt_u32_e64 s12, s43, v5
	s_mov_b32 s43, 0
	s_waitcnt lgkmcnt(0)
	v_cndmask_b32_e64 v48, v2, s41, s11
	v_cndmask_b32_e64 v47, v1, s40, s11
	s_and_saveexec_b32 s54, s12
	s_xor_b32 s12, exec_lo, s54
; %bb.69:
	v_cmp_ne_u64_e64 s28, 0, v[71:72]
	s_mov_b32 s43, exec_lo
	v_cndmask_b32_e64 v36, v4, s41, s28
	v_cndmask_b32_e64 v35, v3, s40, s28
; %bb.70:
	s_or_b32 exec_lo, exec_lo, s12
	v_cndmask_b32_e64 v87, 0, 1, s11
	s_and_b32 s12, s43, exec_lo
.LBB721_71:
	s_or_b32 exec_lo, exec_lo, s53
	v_cndmask_b32_e64 v88, 0, 1, s10
	v_mov_b32_e32 v25, v65
	v_mov_b32_e32 v26, v66
	s_and_b32 s11, s12, exec_lo
	v_mov_b32_e32 v76, v88
.LBB721_72:
	s_or_b32 exec_lo, exec_lo, s52
	v_cndmask_b32_e64 v89, 0, 1, s9
	v_mov_b32_e32 v21, v47
	v_mov_b32_e32 v27, v69
	;; [unrolled: 1-line block ×6, first 2 shown]
	s_and_b32 s10, s11, exec_lo
.LBB721_73:
	s_or_b32 exec_lo, exec_lo, s51
	v_cndmask_b32_e64 v90, 0, 1, s8
	v_mov_b32_e32 v29, v63
	v_mov_b32_e32 v30, v64
	s_and_b32 s9, s10, exec_lo
	v_mov_b32_e32 v78, v90
.LBB721_74:
	s_or_b32 exec_lo, exec_lo, s50
	v_cndmask_b32_e64 v91, 0, 1, s7
	v_mov_b32_e32 v31, v67
	v_mov_b32_e32 v32, v68
	s_and_b32 s8, s9, exec_lo
	v_mov_b32_e32 v79, v91
.LBB721_75:
	s_or_b32 exec_lo, exec_lo, s49
	v_cndmask_b32_e64 v92, 0, 1, s5
	v_mov_b32_e32 v33, v59
	v_mov_b32_e32 v34, v60
	s_and_b32 s7, s8, exec_lo
	v_mov_b32_e32 v80, v92
.LBB721_76:
	s_or_b32 exec_lo, exec_lo, s48
	v_cndmask_b32_e64 v93, 0, 1, s4
	v_mov_b32_e32 v37, v61
	v_mov_b32_e32 v38, v62
	s_and_b32 s5, s7, exec_lo
	v_mov_b32_e32 v82, v93
.LBB721_77:
	s_or_b32 exec_lo, exec_lo, s47
	v_cndmask_b32_e64 v94, 0, 1, s3
	v_mov_b32_e32 v39, v57
	v_mov_b32_e32 v40, v58
	s_and_b32 s4, s5, exec_lo
	v_mov_b32_e32 v83, v94
.LBB721_78:
	s_or_b32 exec_lo, exec_lo, s46
	v_cndmask_b32_e64 v95, 0, 1, s2
	v_mov_b32_e32 v41, v55
	v_mov_b32_e32 v42, v56
	s_and_b32 s3, s4, exec_lo
	v_mov_b32_e32 v84, v95
.LBB721_79:
	s_or_b32 exec_lo, exec_lo, s45
	v_cndmask_b32_e64 v97, 0, 1, s1
	v_mov_b32_e32 v43, v53
	v_mov_b32_e32 v44, v54
	s_and_b32 s2, s3, exec_lo
	v_mov_b32_e32 v85, v97
.LBB721_80:
	s_or_b32 exec_lo, exec_lo, s44
	v_cndmask_b32_e64 v98, 0, 1, s0
	v_mov_b32_e32 v45, v51
	v_mov_b32_e32 v46, v52
	s_and_b32 s1, s2, exec_lo
	v_mov_b32_e32 v86, v98
.LBB721_81:
	s_or_b32 exec_lo, exec_lo, s42
	v_cndmask_b32_e64 v100, 0, 1, vcc_lo
	s_and_b32 s1, s1, exec_lo
	v_mov_b32_e32 v81, v100
.LBB721_82:
	s_or_b32 exec_lo, exec_lo, s29
	v_lshlrev_b32_e32 v73, 3, v0
	s_and_b32 vcc_lo, exec_lo, s13
	s_cbranch_vccz .LBB721_88
.LBB721_83:
	v_add_co_u32 v1, s0, s14, v73
	v_add_co_ci_u32_e64 v2, null, s15, 0, s0
	v_add_co_u32 v27, s0, 0x6800, s14
	v_add_co_u32 v3, vcc_lo, 0x800, v1
	v_add_co_ci_u32_e64 v4, null, 0, v2, vcc_lo
	v_add_co_u32 v5, vcc_lo, 0x1000, v1
	v_add_co_ci_u32_e64 v6, null, 0, v2, vcc_lo
	;; [unrolled: 2-line block ×10, first 2 shown]
	v_add_co_u32 v25, vcc_lo, 0x5800, v1
	s_clause 0x7
	flat_load_dwordx2 v[17:18], v[1:2]
	flat_load_dwordx2 v[3:4], v[3:4]
	flat_load_dwordx2 v[5:6], v[5:6]
	flat_load_dwordx2 v[7:8], v[7:8]
	flat_load_dwordx2 v[9:10], v[9:10]
	flat_load_dwordx2 v[11:12], v[11:12]
	flat_load_dwordx2 v[13:14], v[13:14]
	flat_load_dwordx2 v[15:16], v[15:16]
	v_add_co_ci_u32_e64 v26, null, 0, v2, vcc_lo
	v_add_co_u32 v1, vcc_lo, 0x6000, v1
	v_add_co_ci_u32_e64 v2, null, 0, v2, vcc_lo
	s_clause 0x4
	flat_load_dwordx2 v[19:20], v[19:20]
	flat_load_dwordx2 v[21:22], v[21:22]
	;; [unrolled: 1-line block ×5, first 2 shown]
	v_add_co_ci_u32_e64 v28, null, 0, s15, s0
	v_mad_u32_u24 v55, 0x60, v0, v73
	s_mov_b32 s0, exec_lo
	s_waitcnt vmcnt(11) lgkmcnt(11)
	ds_write2st64_b64 v73, v[17:18], v[3:4] offset1:4
	s_waitcnt vmcnt(9) lgkmcnt(10)
	ds_write2st64_b64 v73, v[5:6], v[7:8] offset0:8 offset1:12
	s_waitcnt vmcnt(7) lgkmcnt(9)
	ds_write2st64_b64 v73, v[9:10], v[11:12] offset0:16 offset1:20
	;; [unrolled: 2-line block ×5, first 2 shown]
	s_waitcnt vmcnt(0) lgkmcnt(6)
	ds_write_b64 v73, v[1:2] offset:24576
	s_waitcnt lgkmcnt(0)
	s_barrier
	buffer_gl0_inv
	flat_load_dwordx2 v[53:54], v[27:28]
	ds_read2_b64 v[21:24], v55 offset1:1
	ds_read2_b64 v[17:20], v55 offset0:2 offset1:3
	ds_read2_b64 v[13:16], v55 offset0:4 offset1:5
	;; [unrolled: 1-line block ×5, first 2 shown]
	ds_read_b64 v[51:52], v55 offset:96
	v_mad_i32_i24 v25, 0xffffffa0, v0, v55
	s_waitcnt lgkmcnt(6)
	ds_write_b64 v25, v[21:22] offset:28672
	s_waitcnt vmcnt(0) lgkmcnt(0)
	s_barrier
	buffer_gl0_inv
	v_cmpx_ne_u32_e32 0xff, v0
; %bb.84:
	v_mul_i32_i24_e32 v21, 0xffffffa0, v0
	v_add_nc_u32_e32 v21, v55, v21
	ds_read_b64 v[53:54], v21 offset:28680
; %bb.85:
	s_or_b32 exec_lo, exec_lo, s0
	v_add_co_u32 v21, s0, s16, v73
	v_add_co_ci_u32_e64 v22, null, s33, 0, s0
	s_waitcnt lgkmcnt(0)
	v_add_co_u32 v25, vcc_lo, 0x800, v21
	v_add_co_ci_u32_e64 v26, null, 0, v22, vcc_lo
	v_add_co_u32 v27, vcc_lo, 0x1000, v21
	v_add_co_ci_u32_e64 v28, null, 0, v22, vcc_lo
	;; [unrolled: 2-line block ×10, first 2 shown]
	v_add_co_u32 v47, vcc_lo, 0x5800, v21
	s_barrier
	buffer_gl0_inv
	s_clause 0x7
	flat_load_dwordx2 v[39:40], v[21:22]
	flat_load_dwordx2 v[25:26], v[25:26]
	;; [unrolled: 1-line block ×8, first 2 shown]
	v_add_co_ci_u32_e64 v48, null, 0, v22, vcc_lo
	v_add_co_u32 v21, vcc_lo, 0x6000, v21
	v_add_co_ci_u32_e64 v22, null, 0, v22, vcc_lo
	s_clause 0x4
	flat_load_dwordx2 v[41:42], v[41:42]
	flat_load_dwordx2 v[43:44], v[43:44]
	;; [unrolled: 1-line block ×5, first 2 shown]
	v_mov_b32_e32 v50, s41
	v_mov_b32_e32 v49, s40
	s_mov_b32 s1, exec_lo
	v_cmp_ne_u64_e32 vcc_lo, 0, v[23:24]
	s_waitcnt vmcnt(11) lgkmcnt(11)
	ds_write2st64_b64 v73, v[39:40], v[25:26] offset1:4
	s_waitcnt vmcnt(9) lgkmcnt(10)
	ds_write2st64_b64 v73, v[27:28], v[29:30] offset0:8 offset1:12
	s_waitcnt vmcnt(7) lgkmcnt(9)
	ds_write2st64_b64 v73, v[31:32], v[33:34] offset0:16 offset1:20
	s_waitcnt vmcnt(5) lgkmcnt(8)
	ds_write2st64_b64 v73, v[35:36], v[37:38] offset0:24 offset1:28
	s_waitcnt vmcnt(3) lgkmcnt(7)
	ds_write2st64_b64 v73, v[41:42], v[43:44] offset0:32 offset1:36
	s_waitcnt vmcnt(1) lgkmcnt(6)
	ds_write2st64_b64 v73, v[45:46], v[47:48] offset0:40 offset1:44
	s_waitcnt vmcnt(0) lgkmcnt(6)
	ds_write_b64 v73, v[21:22] offset:24576
	s_waitcnt lgkmcnt(0)
	s_barrier
	buffer_gl0_inv
	ds_read2_b64 v[45:48], v55 offset0:1 offset1:2
	ds_read2_b64 v[41:44], v55 offset0:3 offset1:4
	;; [unrolled: 1-line block ×6, first 2 shown]
	v_cmpx_eq_u64_e32 0, v[23:24]
; %bb.86:
	ds_read_b64 v[49:50], v55
; %bb.87:
	s_or_b32 exec_lo, exec_lo, s1
	v_cndmask_b32_e64 v100, 0, 1, vcc_lo
	v_cmp_ne_u64_e32 vcc_lo, 0, v[17:18]
	v_cmp_ne_u64_e64 s0, 0, v[19:20]
	v_cmp_ne_u64_e64 s1, 0, v[13:14]
	;; [unrolled: 1-line block ×11, first 2 shown]
	s_waitcnt lgkmcnt(5)
	v_cndmask_b32_e64 v51, v45, s40, vcc_lo
	v_cndmask_b32_e64 v53, v47, s40, s0
	s_waitcnt lgkmcnt(4)
	v_cndmask_b32_e64 v55, v41, s40, s1
	v_cndmask_b32_e64 v57, v43, s40, s2
	s_waitcnt lgkmcnt(3)
	v_cndmask_b32_e64 v61, v37, s40, s3
	;; [unrolled: 3-line block ×4, first 2 shown]
	s_waitcnt lgkmcnt(0)
	v_cndmask_b32_e64 v47, v25, s40, s10
	v_cndmask_b32_e64 v65, v31, s40, s9
	v_cndmask_b32_e64 v98, 0, 1, vcc_lo
	v_cndmask_b32_e64 v97, 0, 1, s0
	v_cndmask_b32_e64 v95, 0, 1, s1
	;; [unrolled: 1-line block ×10, first 2 shown]
	v_cndmask_b32_e64 v52, v46, s41, vcc_lo
	v_cndmask_b32_e64 v54, v48, s41, s0
	v_cndmask_b32_e64 v56, v42, s41, s1
	;; [unrolled: 1-line block ×12, first 2 shown]
	v_mov_b32_e32 v21, v47
	v_mov_b32_e32 v25, v65
	;; [unrolled: 1-line block ×34, first 2 shown]
	s_mov_b32 s1, -1
.LBB721_88:
	v_mov_b32_e32 v12, 0
	s_and_saveexec_b32 s0, s1
	s_cbranch_execz .LBB721_90
; %bb.89:
	v_mov_b32_e32 v45, v51
	v_mov_b32_e32 v43, v53
	;; [unrolled: 1-line block ×11, first 2 shown]
	v_cndmask_b32_e64 v12, 0, 1, s28
	v_mov_b32_e32 v81, v100
	v_mov_b32_e32 v46, v52
	;; [unrolled: 1-line block ×23, first 2 shown]
.LBB721_90:
	s_or_b32 exec_lo, exec_lo, s0
	v_and_b32_e32 v23, 1, v84
	v_and_b32_e32 v18, 1, v80
	v_and_b32_e32 v19, 1, v77
	v_and_b32_e32 v20, 1, v81
	v_or_b32_e32 v13, v85, v86
	v_or_b32_e32 v15, v82, v83
	;; [unrolled: 1-line block ×4, first 2 shown]
	v_cmp_eq_u32_e64 s14, 1, v23
	v_cmp_eq_u32_e64 s13, 1, v18
	v_cmp_eq_u32_e64 s15, 1, v19
	v_cmp_eq_u16_e64 s12, 0, v12
	v_and_b32_e32 v17, 1, v12
	v_mbcnt_lo_u32_b32 v11, -1, 0
	s_cmp_lg_u32 s6, 0
	v_cmp_eq_u32_e32 vcc_lo, 1, v20
	s_barrier
	buffer_gl0_inv
	s_cbranch_scc0 .LBB721_148
; %bb.91:
	v_mov_b32_e32 v1, 0
	v_cmp_eq_u32_e64 s16, 1, v17
	v_cmp_eq_u16_sdwa s10, v86, v1 src0_sel:BYTE_0 src1_sel:DWORD
	v_cmp_eq_u16_sdwa s9, v85, v1 src0_sel:BYTE_0 src1_sel:DWORD
	;; [unrolled: 1-line block ×5, first 2 shown]
	v_cndmask_b32_e64 v3, 0, v49, s10
	v_cndmask_b32_e64 v2, 0, v50, s10
	v_cmp_eq_u16_sdwa s4, v80, v1 src0_sel:BYTE_0 src1_sel:DWORD
	v_cmp_eq_u16_sdwa s3, v79, v1 src0_sel:BYTE_0 src1_sel:DWORD
	;; [unrolled: 1-line block ×3, first 2 shown]
	v_add_co_u32 v3, s0, v3, v45
	v_add_co_ci_u32_e64 v2, null, v2, v46, s0
	v_cmp_eq_u16_sdwa s1, v77, v1 src0_sel:BYTE_0 src1_sel:DWORD
	v_cndmask_b32_e64 v3, 0, v3, s9
	v_cmp_ne_u16_sdwa s28, v13, v1 src0_sel:BYTE_0 src1_sel:DWORD
	v_cndmask_b32_e64 v2, 0, v2, s9
	v_cmp_ne_u16_sdwa s29, v15, v1 src0_sel:BYTE_0 src1_sel:DWORD
	v_cmp_ne_u16_sdwa s33, v16, v1 src0_sel:BYTE_0 src1_sel:DWORD
	v_add_co_u32 v3, s0, v3, v43
	v_add_co_ci_u32_e64 v2, null, v2, v44, s0
	v_cmp_ne_u16_sdwa s42, v14, v1 src0_sel:BYTE_0 src1_sel:DWORD
	v_cndmask_b32_e64 v3, 0, v3, s8
	s_or_b32 s14, s28, s14
	v_cndmask_b32_e64 v2, 0, v2, s8
	s_or_b32 s28, s29, s13
	s_or_b32 s15, s33, s15
	v_add_co_u32 v3, s0, v3, v41
	v_add_co_ci_u32_e64 v2, null, v2, v42, s0
	s_or_b32 s16, s42, s16
	v_cndmask_b32_e64 v3, 0, v3, s7
	s_or_b32 s15, s16, s15
	v_cndmask_b32_e64 v2, 0, v2, s7
	s_or_b32 s15, s15, s28
	v_add_co_u32 v3, s0, v3, v39
	v_add_co_ci_u32_e64 v2, null, v2, v40, s0
	v_cndmask_b32_e64 v3, 0, v3, s5
	v_cndmask_b32_e64 v2, 0, v2, s5
	v_add_co_u32 v3, s0, v3, v37
	v_add_co_ci_u32_e64 v2, null, v2, v38, s0
	v_cndmask_b32_e64 v3, 0, v3, s4
	v_cndmask_b32_e64 v2, 0, v2, s4
	;; [unrolled: 4-line block ×5, first 2 shown]
	v_add_co_u32 v3, s0, v3, v27
	v_add_co_ci_u32_e64 v2, null, v2, v28, s0
	v_cmp_eq_u16_sdwa s0, v76, v1 src0_sel:BYTE_0 src1_sel:DWORD
	v_cndmask_b32_e64 v3, 0, v3, s0
	v_cndmask_b32_e64 v2, 0, v2, s0
	v_add_co_u32 v3, s11, v3, v25
	v_add_co_ci_u32_e64 v2, null, v2, v26, s11
	v_cmp_eq_u16_sdwa s11, v75, v1 src0_sel:BYTE_0 src1_sel:DWORD
	v_cndmask_b32_e64 v1, 0, v2, s11
	v_cndmask_b32_e64 v2, 0, v3, s11
	v_add_co_u32 v2, s13, v2, v21
	v_add_co_ci_u32_e64 v1, null, v1, v22, s13
	s_or_b32 s13, s15, s14
	v_cndmask_b32_e64 v3, 0, v2, s12
	s_or_b32 s13, s13, vcc_lo
	v_cndmask_b32_e64 v1, 0, v1, s12
	v_cndmask_b32_e64 v2, 0, 1, s13
	;; [unrolled: 1-line block ×3, first 2 shown]
	v_add_co_u32 v3, vcc_lo, v3, v35
	v_add_co_ci_u32_e64 v4, null, v1, v36, vcc_lo
	v_and_b32_e32 v1, 15, v11
	v_mov_b32_dpp v8, v2 row_shr:1 row_mask:0xf bank_mask:0xf
	v_mov_b32_dpp v6, v3 row_shr:1 row_mask:0xf bank_mask:0xf
	;; [unrolled: 1-line block ×3, first 2 shown]
	s_mov_b32 s12, exec_lo
	v_cmpx_ne_u32_e32 0, v1
	s_cbranch_execz .LBB721_93
; %bb.92:
	v_and_b32_e32 v2, 1, v8
	v_cndmask_b32_e64 v6, v6, 0, s13
	v_cndmask_b32_e64 v7, v7, 0, s13
	v_or_b32_e32 v5, v2, v5
	v_add_co_u32 v3, vcc_lo, v6, v3
	v_add_co_ci_u32_e64 v4, null, v7, v4, vcc_lo
	v_and_b32_e32 v2, 0xffff, v5
.LBB721_93:
	s_or_b32 exec_lo, exec_lo, s12
	v_mov_b32_dpp v6, v3 row_shr:2 row_mask:0xf bank_mask:0xf
	v_mov_b32_dpp v7, v4 row_shr:2 row_mask:0xf bank_mask:0xf
	v_mov_b32_dpp v8, v2 row_shr:2 row_mask:0xf bank_mask:0xf
	s_mov_b32 s14, exec_lo
	v_cmpx_lt_u32_e32 1, v1
	s_cbranch_execz .LBB721_95
; %bb.94:
	v_cmp_eq_u16_e32 vcc_lo, 0, v5
	v_and_b32_e32 v2, 1, v5
	v_and_b32_e32 v5, 1, v8
	v_cndmask_b32_e32 v7, 0, v7, vcc_lo
	v_cndmask_b32_e32 v6, 0, v6, vcc_lo
	v_cmp_eq_u32_e32 vcc_lo, 1, v2
	v_cmp_eq_u32_e64 s12, 1, v5
	v_add_co_u32 v3, s13, v6, v3
	s_or_b32 s12, vcc_lo, s12
	v_add_co_ci_u32_e64 v4, null, v7, v4, s13
	v_cndmask_b32_e64 v5, 0, 1, s12
	v_cndmask_b32_e64 v2, 0, 1, s12
.LBB721_95:
	s_or_b32 exec_lo, exec_lo, s14
	v_mov_b32_dpp v6, v3 row_shr:4 row_mask:0xf bank_mask:0xf
	v_mov_b32_dpp v7, v4 row_shr:4 row_mask:0xf bank_mask:0xf
	v_mov_b32_dpp v8, v2 row_shr:4 row_mask:0xf bank_mask:0xf
	s_mov_b32 s14, exec_lo
	v_cmpx_lt_u32_e32 3, v1
	s_cbranch_execz .LBB721_97
; %bb.96:
	v_cmp_eq_u16_e32 vcc_lo, 0, v5
	v_and_b32_e32 v2, 1, v5
	v_and_b32_e32 v5, 1, v8
	v_cndmask_b32_e32 v7, 0, v7, vcc_lo
	v_cndmask_b32_e32 v6, 0, v6, vcc_lo
	v_cmp_eq_u32_e32 vcc_lo, 1, v2
	v_cmp_eq_u32_e64 s12, 1, v5
	v_add_co_u32 v3, s13, v6, v3
	s_or_b32 s12, vcc_lo, s12
	v_add_co_ci_u32_e64 v4, null, v7, v4, s13
	v_cndmask_b32_e64 v5, 0, 1, s12
	v_cndmask_b32_e64 v2, 0, 1, s12
.LBB721_97:
	;; [unrolled: 21-line block ×3, first 2 shown]
	s_or_b32 exec_lo, exec_lo, s14
	ds_swizzle_b32 v1, v3 offset:swizzle(BROADCAST,32,15)
	ds_swizzle_b32 v6, v4 offset:swizzle(BROADCAST,32,15)
	;; [unrolled: 1-line block ×3, first 2 shown]
	v_and_b32_e32 v7, 16, v11
	s_mov_b32 s14, exec_lo
	v_cmpx_ne_u32_e32 0, v7
	s_cbranch_execz .LBB721_101
; %bb.100:
	v_cmp_eq_u16_e32 vcc_lo, 0, v5
	v_and_b32_e32 v5, 1, v5
	s_waitcnt lgkmcnt(0)
	v_and_b32_e32 v2, 1, v2
	v_cndmask_b32_e32 v6, 0, v6, vcc_lo
	v_cndmask_b32_e32 v1, 0, v1, vcc_lo
	v_cmp_eq_u32_e32 vcc_lo, 1, v5
	v_cmp_eq_u32_e64 s12, 1, v2
	v_add_co_u32 v3, s13, v1, v3
	s_or_b32 s12, vcc_lo, s12
	v_add_co_ci_u32_e64 v4, null, v6, v4, s13
	v_cndmask_b32_e64 v5, 0, 1, s12
.LBB721_101:
	s_or_b32 exec_lo, exec_lo, s14
	s_waitcnt lgkmcnt(0)
	v_lshrrev_b32_e32 v2, 5, v0
	v_or_b32_e32 v1, 31, v0
	s_mov_b32 s12, exec_lo
	v_lshlrev_b32_e32 v6, 4, v2
	v_cmpx_eq_u32_e64 v0, v1
	s_cbranch_execz .LBB721_103
; %bb.102:
	ds_write_b64 v6, v[3:4]
	ds_write_b8 v6, v5 offset:8
.LBB721_103:
	s_or_b32 exec_lo, exec_lo, s12
	s_mov_b32 s14, exec_lo
	s_waitcnt lgkmcnt(0)
	s_barrier
	buffer_gl0_inv
	v_cmpx_gt_u32_e32 8, v0
	s_cbranch_execz .LBB721_111
; %bb.104:
	v_lshlrev_b32_e32 v7, 4, v0
	v_and_b32_e32 v8, 7, v11
	s_mov_b32 s12, exec_lo
	ds_read_b64 v[1:2], v7
	ds_read_b32 v47, v7 offset:8
	s_waitcnt lgkmcnt(1)
	v_mov_b32_dpp v48, v1 row_shr:1 row_mask:0xf bank_mask:0xf
	v_mov_b32_dpp v51, v2 row_shr:1 row_mask:0xf bank_mask:0xf
	s_waitcnt lgkmcnt(0)
	v_and_b32_e32 v10, 0xffffff00, v47
	v_mov_b32_dpp v52, v47 row_shr:1 row_mask:0xf bank_mask:0xf
	v_mov_b32_e32 v24, v47
	v_mov_b32_e32 v9, v47
	v_cmpx_ne_u32_e32 0, v8
	s_cbranch_execz .LBB721_106
; %bb.105:
	v_mov_b32_e32 v9, 0
	v_cmp_eq_u16_sdwa vcc_lo, v47, v9 src0_sel:BYTE_0 src1_sel:DWORD
	v_or_b32_e32 v9, v52, v47
	v_cndmask_b32_e32 v48, 0, v48, vcc_lo
	v_cndmask_b32_e32 v47, 0, v51, vcc_lo
	v_and_b32_e32 v24, 1, v9
	v_and_b32_e32 v9, 1, v9
	v_add_co_u32 v1, vcc_lo, v48, v1
	v_add_co_ci_u32_e64 v2, null, v47, v2, vcc_lo
	v_or_b32_e32 v47, v9, v10
.LBB721_106:
	s_or_b32 exec_lo, exec_lo, s12
	v_mov_b32_dpp v48, v1 row_shr:2 row_mask:0xf bank_mask:0xf
	v_mov_b32_dpp v51, v2 row_shr:2 row_mask:0xf bank_mask:0xf
	;; [unrolled: 1-line block ×3, first 2 shown]
	s_mov_b32 s15, exec_lo
	v_cmpx_lt_u32_e32 1, v8
	s_cbranch_execz .LBB721_108
; %bb.107:
	v_mov_b32_e32 v24, 0
	v_and_b32_e32 v47, 1, v9
	v_and_b32_e32 v52, 1, v52
	v_cmp_eq_u16_sdwa vcc_lo, v9, v24 src0_sel:BYTE_0 src1_sel:DWORD
	v_cmp_eq_u32_e64 s12, 1, v47
	v_cmp_eq_u32_e64 s13, 1, v52
	v_cndmask_b32_e32 v47, 0, v48, vcc_lo
	v_cndmask_b32_e32 v9, 0, v51, vcc_lo
	s_or_b32 s12, s12, s13
	v_cndmask_b32_e64 v24, 0, 1, s12
	v_cndmask_b32_e64 v48, 0, 1, s12
	v_add_co_u32 v1, vcc_lo, v47, v1
	v_add_co_ci_u32_e64 v2, null, v9, v2, vcc_lo
	v_or_b32_e32 v47, v10, v48
	v_mov_b32_e32 v9, v24
.LBB721_108:
	s_or_b32 exec_lo, exec_lo, s15
	v_mov_b32_dpp v10, v1 row_shr:4 row_mask:0xf bank_mask:0xf
	v_mov_b32_dpp v48, v2 row_shr:4 row_mask:0xf bank_mask:0xf
	v_mov_b32_dpp v47, v47 row_shr:4 row_mask:0xf bank_mask:0xf
	s_mov_b32 s15, exec_lo
	v_cmpx_lt_u32_e32 3, v8
	s_cbranch_execz .LBB721_110
; %bb.109:
	v_mov_b32_e32 v8, 0
	v_cmp_eq_u16_sdwa vcc_lo, v9, v8 src0_sel:BYTE_0 src1_sel:DWORD
	v_and_b32_e32 v8, 1, v9
	v_and_b32_e32 v9, 1, v47
	v_cndmask_b32_e32 v24, 0, v48, vcc_lo
	v_cndmask_b32_e32 v10, 0, v10, vcc_lo
	v_cmp_eq_u32_e32 vcc_lo, 1, v8
	v_cmp_eq_u32_e64 s12, 1, v9
	v_add_co_u32 v1, s13, v10, v1
	s_or_b32 s12, vcc_lo, s12
	v_add_co_ci_u32_e64 v2, null, v24, v2, s13
	v_cndmask_b32_e64 v24, 0, 1, s12
.LBB721_110:
	s_or_b32 exec_lo, exec_lo, s15
	ds_write_b64 v7, v[1:2]
	ds_write_b8 v7, v24 offset:8
.LBB721_111:
	s_or_b32 exec_lo, exec_lo, s14
	v_mov_b32_e32 v1, 0
	v_mov_b32_e32 v2, 0
	v_mov_b32_e32 v24, 0
	s_mov_b32 s13, exec_lo
	v_cmp_gt_u32_e32 vcc_lo, 32, v0
	s_waitcnt lgkmcnt(0)
	s_barrier
	buffer_gl0_inv
	v_cmpx_lt_u32_e32 31, v0
	s_cbranch_execz .LBB721_113
; %bb.112:
	v_add_nc_u32_e32 v1, -16, v6
	v_add_nc_u32_e32 v6, -8, v6
	v_cmp_eq_u16_e64 s12, 0, v5
	ds_read_b64 v[1:2], v1
	ds_read_u8 v24, v6
	s_waitcnt lgkmcnt(1)
	v_cndmask_b32_e64 v7, 0, v1, s12
	v_cndmask_b32_e64 v6, 0, v2, s12
	s_waitcnt lgkmcnt(0)
	v_or_b32_e32 v5, v24, v5
	v_add_co_u32 v3, s12, v3, v7
	v_add_co_ci_u32_e64 v4, null, v4, v6, s12
.LBB721_113:
	s_or_b32 exec_lo, exec_lo, s13
	v_sub_co_u32 v6, s12, v11, 1
	v_and_b32_e32 v5, 0xff, v5
	v_cmp_gt_i32_e64 s13, 0, v6
	v_cndmask_b32_e64 v6, v6, v11, s13
	v_lshlrev_b32_e32 v6, 2, v6
	ds_bpermute_b32 v52, v6, v3
	ds_bpermute_b32 v51, v6, v4
	;; [unrolled: 1-line block ×3, first 2 shown]
	s_and_saveexec_b32 s15, vcc_lo
	s_cbranch_execz .LBB721_153
; %bb.114:
	v_mov_b32_e32 v7, 0
	ds_read_b64 v[3:4], v7 offset:112
	ds_read_u8 v47, v7 offset:120
	s_and_saveexec_b32 s13, s12
	s_cbranch_execz .LBB721_116
; %bb.115:
	s_add_i32 s28, s6, 32
	s_mov_b32 s29, 0
	v_mov_b32_e32 v5, 1
	s_lshl_b64 s[42:43], s[28:29], 4
	v_mov_b32_e32 v6, s28
	s_add_u32 s42, s20, s42
	s_addc_u32 s43, s21, s43
	s_waitcnt lgkmcnt(1)
	global_store_dwordx2 v7, v[3:4], s[42:43]
	s_waitcnt lgkmcnt(0)
	global_store_byte v7, v47, s[42:43] offset:8
	s_waitcnt_vscnt null, 0x0
	buffer_gl1_inv
	buffer_gl0_inv
	global_store_byte v6, v5, s[24:25]
.LBB721_116:
	s_or_b32 exec_lo, exec_lo, s13
	v_xad_u32 v5, v11, -1, s6
	s_mov_b32 s14, 0
	s_mov_b32 s13, exec_lo
	v_add_nc_u32_e32 v6, 32, v5
	global_load_ubyte v48, v6, s[24:25] glc dlc
	s_waitcnt vmcnt(0)
	v_cmpx_eq_u16_e32 0, v48
	s_cbranch_execz .LBB721_120
; %bb.117:
	v_add_co_u32 v8, s16, s24, v6
	v_add_co_ci_u32_e64 v9, null, s25, 0, s16
.LBB721_118:                            ; =>This Inner Loop Header: Depth=1
	global_load_ubyte v48, v[8:9], off glc dlc
	s_waitcnt vmcnt(0)
	v_cmp_ne_u16_e32 vcc_lo, 0, v48
	s_or_b32 s14, vcc_lo, s14
	s_andn2_b32 exec_lo, exec_lo, s14
	s_cbranch_execnz .LBB721_118
; %bb.119:
	s_or_b32 exec_lo, exec_lo, s14
.LBB721_120:
	s_or_b32 exec_lo, exec_lo, s13
	v_cmp_eq_u16_e32 vcc_lo, 1, v48
	v_mov_b32_e32 v9, s20
	v_mov_b32_e32 v8, s21
	v_lshlrev_b64 v[6:7], 4, v[6:7]
	s_waitcnt lgkmcnt(0)
	s_waitcnt_vscnt null, 0x0
	buffer_gl1_inv
	buffer_gl0_inv
	v_lshlrev_b32_e64 v55, v11, -1
	v_cndmask_b32_e32 v9, s22, v9, vcc_lo
	v_cndmask_b32_e32 v8, s23, v8, vcc_lo
	s_mov_b32 s13, exec_lo
	v_add_co_u32 v6, vcc_lo, v9, v6
	v_add_co_ci_u32_e64 v7, null, v8, v7, vcc_lo
	v_cmp_ne_u32_e32 vcc_lo, 31, v11
	s_clause 0x1
	global_load_ubyte v66, v[6:7], off offset:8
	global_load_dwordx2 v[9:10], v[6:7], off
	v_add_co_ci_u32_e64 v6, null, 0, v11, vcc_lo
	v_cmp_eq_u16_e32 vcc_lo, 2, v48
	v_lshlrev_b32_e32 v54, 2, v6
	v_and_or_b32 v6, vcc_lo, v55, 0x80000000
	v_ffbl_b32_e32 v6, v6
	s_waitcnt vmcnt(1)
	v_and_b32_e32 v7, 1, v66
	s_waitcnt vmcnt(0)
	ds_bpermute_b32 v8, v54, v9
	ds_bpermute_b32 v56, v54, v10
	;; [unrolled: 1-line block ×3, first 2 shown]
	v_cmpx_lt_u32_e64 v11, v6
	s_cbranch_execz .LBB721_122
; %bb.121:
	v_mov_b32_e32 v7, 0
	v_cmp_eq_u16_sdwa vcc_lo, v66, v7 src0_sel:BYTE_0 src1_sel:DWORD
	s_waitcnt lgkmcnt(0)
	v_and_b32_e32 v7, 1, v57
	v_cndmask_b32_e32 v8, 0, v8, vcc_lo
	v_cndmask_b32_e32 v56, 0, v56, vcc_lo
	v_or_b32_e32 v66, v7, v66
	v_add_co_u32 v9, vcc_lo, v8, v9
	v_add_co_ci_u32_e64 v10, null, v56, v10, vcc_lo
	v_and_b32_e32 v7, 0xff, v66
.LBB721_122:
	s_or_b32 exec_lo, exec_lo, s13
	v_cmp_gt_u32_e32 vcc_lo, 30, v11
	s_waitcnt lgkmcnt(0)
	v_add_nc_u32_e32 v57, 2, v11
	s_mov_b32 s16, exec_lo
	v_cndmask_b32_e64 v8, 0, 2, vcc_lo
	v_add_lshl_u32 v56, v8, v11, 2
	ds_bpermute_b32 v8, v56, v9
	ds_bpermute_b32 v58, v56, v10
	ds_bpermute_b32 v59, v56, v7
	v_cmpx_le_u32_e64 v57, v6
	s_cbranch_execz .LBB721_124
; %bb.123:
	v_mov_b32_e32 v7, 0
	v_and_b32_e32 v60, 1, v66
	s_waitcnt lgkmcnt(0)
	v_and_b32_e32 v59, 1, v59
	v_cmp_eq_u16_sdwa vcc_lo, v66, v7 src0_sel:BYTE_0 src1_sel:DWORD
	v_cmp_eq_u32_e64 s13, 1, v60
	v_cmp_eq_u32_e64 s14, 1, v59
	v_cndmask_b32_e32 v8, 0, v8, vcc_lo
	v_cndmask_b32_e32 v7, 0, v58, vcc_lo
	s_or_b32 s13, s13, s14
	v_cndmask_b32_e64 v66, 0, 1, s13
	v_add_co_u32 v9, vcc_lo, v8, v9
	v_add_co_ci_u32_e64 v10, null, v7, v10, vcc_lo
	v_cndmask_b32_e64 v7, 0, 1, s13
.LBB721_124:
	s_or_b32 exec_lo, exec_lo, s16
	v_cmp_gt_u32_e32 vcc_lo, 28, v11
	s_waitcnt lgkmcnt(0)
	v_add_nc_u32_e32 v59, 4, v11
	s_mov_b32 s16, exec_lo
	v_cndmask_b32_e64 v8, 0, 4, vcc_lo
	v_add_lshl_u32 v58, v8, v11, 2
	ds_bpermute_b32 v8, v58, v9
	ds_bpermute_b32 v60, v58, v10
	ds_bpermute_b32 v61, v58, v7
	v_cmpx_le_u32_e64 v59, v6
	s_cbranch_execz .LBB721_126
; %bb.125:
	v_mov_b32_e32 v7, 0
	v_and_b32_e32 v62, 1, v66
	s_waitcnt lgkmcnt(0)
	v_and_b32_e32 v61, 1, v61
	v_cmp_eq_u16_sdwa vcc_lo, v66, v7 src0_sel:BYTE_0 src1_sel:DWORD
	v_cmp_eq_u32_e64 s13, 1, v62
	v_cmp_eq_u32_e64 s14, 1, v61
	v_cndmask_b32_e32 v8, 0, v8, vcc_lo
	v_cndmask_b32_e32 v7, 0, v60, vcc_lo
	s_or_b32 s13, s13, s14
	v_cndmask_b32_e64 v66, 0, 1, s13
	v_add_co_u32 v9, vcc_lo, v8, v9
	v_add_co_ci_u32_e64 v10, null, v7, v10, vcc_lo
	v_cndmask_b32_e64 v7, 0, 1, s13
.LBB721_126:
	s_or_b32 exec_lo, exec_lo, s16
	v_cmp_gt_u32_e32 vcc_lo, 24, v11
	s_waitcnt lgkmcnt(0)
	v_add_nc_u32_e32 v61, 8, v11
	s_mov_b32 s16, exec_lo
	v_cndmask_b32_e64 v8, 0, 8, vcc_lo
	v_add_lshl_u32 v60, v8, v11, 2
	ds_bpermute_b32 v8, v60, v9
	ds_bpermute_b32 v62, v60, v10
	ds_bpermute_b32 v63, v60, v7
	v_cmpx_le_u32_e64 v61, v6
	s_cbranch_execz .LBB721_128
; %bb.127:
	v_mov_b32_e32 v7, 0
	v_and_b32_e32 v64, 1, v66
	s_waitcnt lgkmcnt(0)
	v_and_b32_e32 v63, 1, v63
	v_cmp_eq_u16_sdwa vcc_lo, v66, v7 src0_sel:BYTE_0 src1_sel:DWORD
	v_cmp_eq_u32_e64 s13, 1, v64
	v_cmp_eq_u32_e64 s14, 1, v63
	v_cndmask_b32_e32 v8, 0, v8, vcc_lo
	v_cndmask_b32_e32 v7, 0, v62, vcc_lo
	s_or_b32 s13, s13, s14
	v_cndmask_b32_e64 v66, 0, 1, s13
	v_add_co_u32 v9, vcc_lo, v8, v9
	v_add_co_ci_u32_e64 v10, null, v7, v10, vcc_lo
	v_cndmask_b32_e64 v7, 0, 1, s13
.LBB721_128:
	s_or_b32 exec_lo, exec_lo, s16
	s_waitcnt lgkmcnt(0)
	v_lshl_or_b32 v63, v11, 2, 64
	v_add_nc_u32_e32 v64, 16, v11
	s_mov_b32 s16, exec_lo
	ds_bpermute_b32 v8, v63, v9
	ds_bpermute_b32 v62, v63, v10
	;; [unrolled: 1-line block ×3, first 2 shown]
	v_cmpx_le_u32_e64 v64, v6
	s_cbranch_execz .LBB721_130
; %bb.129:
	v_mov_b32_e32 v6, 0
	s_waitcnt lgkmcnt(0)
	v_and_b32_e32 v7, 1, v7
	v_cmp_eq_u16_sdwa vcc_lo, v66, v6 src0_sel:BYTE_0 src1_sel:DWORD
	v_and_b32_e32 v6, 1, v66
	v_cmp_eq_u32_e64 s13, 1, v7
	v_cndmask_b32_e32 v62, 0, v62, vcc_lo
	v_cndmask_b32_e32 v8, 0, v8, vcc_lo
	v_cmp_eq_u32_e32 vcc_lo, 1, v6
	v_add_co_u32 v9, s14, v8, v9
	s_or_b32 s13, vcc_lo, s13
	v_add_co_ci_u32_e64 v10, null, v62, v10, s14
	v_cndmask_b32_e64 v66, 0, 1, s13
.LBB721_130:
	s_or_b32 exec_lo, exec_lo, s16
	v_mov_b32_e32 v6, 0
	v_mov_b32_e32 v65, 2
	s_branch .LBB721_133
.LBB721_131:                            ;   in Loop: Header=BB721_133 Depth=1
	s_or_b32 exec_lo, exec_lo, s28
	v_cmp_eq_u16_sdwa vcc_lo, v62, v6 src0_sel:BYTE_0 src1_sel:DWORD
	v_and_b32_e32 v66, 1, v62
	v_subrev_nc_u32_e32 v5, 32, v5
	v_cndmask_b32_e32 v9, 0, v9, vcc_lo
	v_cndmask_b32_e32 v10, 0, v10, vcc_lo
	v_cmp_eq_u32_e32 vcc_lo, 1, v66
	v_add_co_u32 v9, s13, v9, v7
	v_add_co_ci_u32_e64 v10, null, v10, v8, s13
	s_or_b32 s13, vcc_lo, s16
	v_cndmask_b32_e64 v66, 0, 1, s13
	s_mov_b32 s13, 0
.LBB721_132:                            ;   in Loop: Header=BB721_133 Depth=1
	s_and_b32 vcc_lo, exec_lo, s13
	s_cbranch_vccnz .LBB721_149
.LBB721_133:                            ; =>This Loop Header: Depth=1
                                        ;     Child Loop BB721_136 Depth 2
	v_cmp_ne_u16_sdwa s13, v48, v65 src0_sel:BYTE_0 src1_sel:DWORD
	s_waitcnt lgkmcnt(0)
	v_mov_b32_e32 v7, v9
	v_mov_b32_e32 v62, v66
	;; [unrolled: 1-line block ×3, first 2 shown]
                                        ; implicit-def: $vgpr66
                                        ; implicit-def: $vgpr9_vgpr10
                                        ; implicit-def: $vgpr48
	s_cmp_lg_u32 s13, exec_lo
	s_mov_b32 s13, -1
	s_cbranch_scc1 .LBB721_132
; %bb.134:                              ;   in Loop: Header=BB721_133 Depth=1
	global_load_ubyte v48, v5, s[24:25] glc dlc
	s_mov_b32 s13, exec_lo
	s_waitcnt vmcnt(0)
	v_cmpx_eq_u16_e32 0, v48
	s_cbranch_execz .LBB721_138
; %bb.135:                              ;   in Loop: Header=BB721_133 Depth=1
	v_add_co_u32 v9, s14, s24, v5
	v_add_co_ci_u32_e64 v10, null, s25, 0, s14
	s_mov_b32 s14, 0
.LBB721_136:                            ;   Parent Loop BB721_133 Depth=1
                                        ; =>  This Inner Loop Header: Depth=2
	global_load_ubyte v48, v[9:10], off glc dlc
	s_waitcnt vmcnt(0)
	v_cmp_ne_u16_e32 vcc_lo, 0, v48
	s_or_b32 s14, vcc_lo, s14
	s_andn2_b32 exec_lo, exec_lo, s14
	s_cbranch_execnz .LBB721_136
; %bb.137:                              ;   in Loop: Header=BB721_133 Depth=1
	s_or_b32 exec_lo, exec_lo, s14
.LBB721_138:                            ;   in Loop: Header=BB721_133 Depth=1
	s_or_b32 exec_lo, exec_lo, s13
	v_cmp_eq_u16_e32 vcc_lo, 1, v48
	v_mov_b32_e32 v67, s20
	v_mov_b32_e32 v66, s21
	v_lshlrev_b64 v[9:10], 4, v[5:6]
	buffer_gl1_inv
	buffer_gl0_inv
	s_mov_b32 s13, exec_lo
	v_cndmask_b32_e32 v67, s22, v67, vcc_lo
	v_cndmask_b32_e32 v66, s23, v66, vcc_lo
	v_add_co_u32 v9, vcc_lo, v67, v9
	v_add_co_ci_u32_e64 v10, null, v66, v10, vcc_lo
	v_cmp_eq_u16_e32 vcc_lo, 2, v48
	s_clause 0x1
	global_load_ubyte v67, v[9:10], off offset:8
	global_load_dwordx2 v[9:10], v[9:10], off
	v_and_or_b32 v66, vcc_lo, v55, 0x80000000
	v_ffbl_b32_e32 v66, v66
	s_waitcnt vmcnt(1)
	v_and_b32_e32 v68, 1, v67
	s_waitcnt vmcnt(0)
	ds_bpermute_b32 v69, v54, v9
	ds_bpermute_b32 v70, v54, v10
	;; [unrolled: 1-line block ×3, first 2 shown]
	v_cmpx_lt_u32_e64 v11, v66
	s_cbranch_execz .LBB721_140
; %bb.139:                              ;   in Loop: Header=BB721_133 Depth=1
	v_cmp_eq_u16_sdwa vcc_lo, v67, v6 src0_sel:BYTE_0 src1_sel:DWORD
	s_waitcnt lgkmcnt(0)
	v_and_b32_e32 v68, 1, v71
	v_cndmask_b32_e32 v69, 0, v69, vcc_lo
	v_cndmask_b32_e32 v70, 0, v70, vcc_lo
	v_or_b32_e32 v67, v68, v67
	v_add_co_u32 v9, vcc_lo, v69, v9
	v_add_co_ci_u32_e64 v10, null, v70, v10, vcc_lo
	v_and_b32_e32 v68, 0xff, v67
.LBB721_140:                            ;   in Loop: Header=BB721_133 Depth=1
	s_or_b32 exec_lo, exec_lo, s13
	s_waitcnt lgkmcnt(2)
	ds_bpermute_b32 v69, v56, v9
	s_waitcnt lgkmcnt(2)
	ds_bpermute_b32 v70, v56, v10
	;; [unrolled: 2-line block ×3, first 2 shown]
	v_and_b32_e32 v72, 1, v67
	s_mov_b32 s14, exec_lo
	v_cmp_eq_u32_e64 s16, 1, v72
	v_cmpx_le_u32_e64 v57, v66
	s_cbranch_execz .LBB721_142
; %bb.141:                              ;   in Loop: Header=BB721_133 Depth=1
	v_cmp_eq_u16_sdwa vcc_lo, v67, v6 src0_sel:BYTE_0 src1_sel:DWORD
	s_waitcnt lgkmcnt(0)
	v_and_b32_e32 v67, 1, v71
	v_cndmask_b32_e32 v69, 0, v69, vcc_lo
	v_cndmask_b32_e32 v68, 0, v70, vcc_lo
	v_cmp_eq_u32_e32 vcc_lo, 1, v67
	v_add_co_u32 v9, s13, v69, v9
	v_add_co_ci_u32_e64 v10, null, v68, v10, s13
	s_or_b32 s13, s16, vcc_lo
	s_andn2_b32 s16, s16, exec_lo
	v_cndmask_b32_e64 v67, 0, 1, s13
	v_cndmask_b32_e64 v68, 0, 1, s13
	s_and_b32 s13, s13, exec_lo
	s_or_b32 s16, s16, s13
.LBB721_142:                            ;   in Loop: Header=BB721_133 Depth=1
	s_or_b32 exec_lo, exec_lo, s14
	s_waitcnt lgkmcnt(2)
	ds_bpermute_b32 v69, v58, v9
	s_waitcnt lgkmcnt(2)
	ds_bpermute_b32 v70, v58, v10
	;; [unrolled: 2-line block ×3, first 2 shown]
	s_mov_b32 s28, exec_lo
	v_cmpx_le_u32_e64 v59, v66
	s_cbranch_execz .LBB721_144
; %bb.143:                              ;   in Loop: Header=BB721_133 Depth=1
	v_cmp_eq_u16_sdwa vcc_lo, v67, v6 src0_sel:BYTE_0 src1_sel:DWORD
	v_and_b32_e32 v67, 1, v67
	s_waitcnt lgkmcnt(0)
	v_and_b32_e32 v68, 1, v71
	v_cndmask_b32_e32 v70, 0, v70, vcc_lo
	v_cndmask_b32_e32 v69, 0, v69, vcc_lo
	v_cmp_eq_u32_e32 vcc_lo, 1, v67
	v_cmp_eq_u32_e64 s13, 1, v68
	v_add_co_u32 v9, s14, v69, v9
	s_or_b32 s13, vcc_lo, s13
	v_add_co_ci_u32_e64 v10, null, v70, v10, s14
	v_cndmask_b32_e64 v67, 0, 1, s13
	v_cndmask_b32_e64 v68, 0, 1, s13
	s_andn2_b32 s14, s16, exec_lo
	s_and_b32 s13, s13, exec_lo
	s_or_b32 s16, s14, s13
.LBB721_144:                            ;   in Loop: Header=BB721_133 Depth=1
	s_or_b32 exec_lo, exec_lo, s28
	s_waitcnt lgkmcnt(2)
	ds_bpermute_b32 v69, v60, v9
	s_waitcnt lgkmcnt(2)
	ds_bpermute_b32 v70, v60, v10
	;; [unrolled: 2-line block ×3, first 2 shown]
	s_mov_b32 s28, exec_lo
	v_cmpx_le_u32_e64 v61, v66
	s_cbranch_execz .LBB721_146
; %bb.145:                              ;   in Loop: Header=BB721_133 Depth=1
	v_cmp_eq_u16_sdwa vcc_lo, v67, v6 src0_sel:BYTE_0 src1_sel:DWORD
	v_and_b32_e32 v67, 1, v67
	s_waitcnt lgkmcnt(0)
	v_and_b32_e32 v68, 1, v71
	v_cndmask_b32_e32 v70, 0, v70, vcc_lo
	v_cndmask_b32_e32 v69, 0, v69, vcc_lo
	v_cmp_eq_u32_e32 vcc_lo, 1, v67
	v_cmp_eq_u32_e64 s13, 1, v68
	v_add_co_u32 v9, s14, v69, v9
	s_or_b32 s13, vcc_lo, s13
	v_add_co_ci_u32_e64 v10, null, v70, v10, s14
	v_cndmask_b32_e64 v67, 0, 1, s13
	v_cndmask_b32_e64 v68, 0, 1, s13
	s_andn2_b32 s14, s16, exec_lo
	s_and_b32 s13, s13, exec_lo
	s_or_b32 s16, s14, s13
.LBB721_146:                            ;   in Loop: Header=BB721_133 Depth=1
	s_or_b32 exec_lo, exec_lo, s28
	s_waitcnt lgkmcnt(2)
	ds_bpermute_b32 v69, v63, v9
	s_waitcnt lgkmcnt(2)
	ds_bpermute_b32 v70, v63, v10
	ds_bpermute_b32 v68, v63, v68
	s_mov_b32 s28, exec_lo
	v_cmpx_le_u32_e64 v64, v66
	s_cbranch_execz .LBB721_131
; %bb.147:                              ;   in Loop: Header=BB721_133 Depth=1
	v_cmp_eq_u16_sdwa vcc_lo, v67, v6 src0_sel:BYTE_0 src1_sel:DWORD
	v_and_b32_e32 v66, 1, v67
	s_waitcnt lgkmcnt(0)
	v_and_b32_e32 v67, 1, v68
	v_cndmask_b32_e32 v69, 0, v69, vcc_lo
	v_cndmask_b32_e32 v68, 0, v70, vcc_lo
	v_cmp_eq_u32_e32 vcc_lo, 1, v66
	v_cmp_eq_u32_e64 s13, 1, v67
	v_add_co_u32 v9, s14, v69, v9
	v_add_co_ci_u32_e64 v10, null, v68, v10, s14
	s_or_b32 s13, vcc_lo, s13
	s_andn2_b32 s14, s16, exec_lo
	s_and_b32 s13, s13, exec_lo
	s_or_b32 s16, s14, s13
	s_branch .LBB721_131
.LBB721_148:
                                        ; implicit-def: $vgpr47_vgpr48
                                        ; implicit-def: $vgpr3_vgpr4
                                        ; implicit-def: $vgpr71_vgpr72
                                        ; implicit-def: $vgpr67_vgpr68
                                        ; implicit-def: $vgpr63_vgpr64
                                        ; implicit-def: $vgpr57_vgpr58
                                        ; implicit-def: $vgpr59_vgpr60
                                        ; implicit-def: $vgpr69_vgpr70
                                        ; implicit-def: $vgpr65_vgpr66
                                        ; implicit-def: $vgpr61_vgpr62
                                        ; implicit-def: $vgpr55_vgpr56
                                        ; implicit-def: $vgpr53_vgpr54
                                        ; implicit-def: $vgpr51_vgpr52
	s_cbranch_execnz .LBB721_156
	s_branch .LBB721_183
.LBB721_149:
	s_and_saveexec_b32 s13, s12
	s_cbranch_execz .LBB721_151
; %bb.150:
	v_mov_b32_e32 v5, 0
	v_or_b32_e32 v6, v47, v62
	s_mov_b32 s21, 0
	s_add_i32 s20, s6, 32
	v_mov_b32_e32 v9, 2
	v_cmp_eq_u32_sdwa vcc_lo, v47, v5 src0_sel:BYTE_0 src1_sel:DWORD
	s_lshl_b64 s[28:29], s[20:21], 4
	v_mov_b32_e32 v48, s20
	v_and_b32_e32 v6, 1, v6
	s_add_u32 s20, s22, s28
	v_cndmask_b32_e32 v47, 0, v7, vcc_lo
	v_cndmask_b32_e32 v10, 0, v8, vcc_lo
	s_addc_u32 s21, s23, s29
	v_add_co_u32 v3, vcc_lo, v47, v3
	v_add_co_ci_u32_e64 v4, null, v10, v4, vcc_lo
	global_store_byte v5, v6, s[20:21] offset:8
	global_store_dwordx2 v5, v[3:4], s[20:21]
	s_waitcnt lgkmcnt(0)
	s_waitcnt_vscnt null, 0x0
	buffer_gl1_inv
	buffer_gl0_inv
	global_store_byte v48, v9, s[24:25]
.LBB721_151:
	s_or_b32 exec_lo, exec_lo, s13
	v_cmp_eq_u32_e32 vcc_lo, 0, v0
	s_and_b32 exec_lo, exec_lo, vcc_lo
	s_cbranch_execz .LBB721_153
; %bb.152:
	v_mov_b32_e32 v3, 0
	ds_write_b64 v3, v[7:8] offset:112
	ds_write_b8 v3, v62 offset:120
.LBB721_153:
	s_or_b32 exec_lo, exec_lo, s15
	v_mov_b32_e32 v3, 0
	s_waitcnt lgkmcnt(0)
	s_waitcnt_vscnt null, 0x0
	s_barrier
	buffer_gl0_inv
	s_mov_b32 s6, 0
	ds_read_b64 v[47:48], v3 offset:112
	s_mov_b32 s13, exec_lo
	v_cmpx_ne_u32_e32 0, v0
	s_cbranch_execz .LBB721_155
; %bb.154:
	v_cndmask_b32_e64 v4, v53, v24, s12
	v_cndmask_b32_e64 v1, v52, v1, s12
	;; [unrolled: 1-line block ×3, first 2 shown]
	v_cmp_eq_u16_sdwa vcc_lo, v4, v3 src0_sel:BYTE_0 src1_sel:DWORD
	s_waitcnt lgkmcnt(0)
	v_cndmask_b32_e32 v5, 0, v47, vcc_lo
	v_cndmask_b32_e32 v4, 0, v48, vcc_lo
	v_add_co_u32 v47, vcc_lo, v1, v5
	v_add_co_ci_u32_e64 v48, null, v2, v4, vcc_lo
.LBB721_155:
	s_or_b32 exec_lo, exec_lo, s13
	v_cmp_eq_u16_sdwa vcc_lo, v81, v3 src0_sel:BYTE_0 src1_sel:DWORD
	s_waitcnt lgkmcnt(0)
	v_cndmask_b32_e32 v2, 0, v47, vcc_lo
	v_cndmask_b32_e32 v1, 0, v48, vcc_lo
	v_add_co_u32 v51, vcc_lo, v2, v49
	v_add_co_ci_u32_e64 v52, null, v1, v50, vcc_lo
	v_cndmask_b32_e64 v1, 0, v51, s10
	v_cndmask_b32_e64 v2, 0, v52, s10
	v_add_co_u32 v53, vcc_lo, v1, v45
	v_add_co_ci_u32_e64 v54, null, v2, v46, vcc_lo
	v_cndmask_b32_e64 v1, 0, v53, s9
	v_cndmask_b32_e64 v2, 0, v54, s9
	;; [unrolled: 4-line block ×11, first 2 shown]
	s_and_b32 vcc_lo, exec_lo, s6
	s_cbranch_vccz .LBB721_183
.LBB721_156:
	s_cmp_eq_u64 s[38:39], 0
	v_mov_b32_e32 v1, s40
	s_cselect_b32 s0, -1, 0
	s_cmp_eq_u64 s[30:31], 0
	v_mov_b32_e32 v2, s41
	s_cselect_b32 s1, -1, 0
	s_or_b32 s0, s0, s1
	s_and_b32 vcc_lo, exec_lo, s0
	s_cbranch_vccnz .LBB721_158
; %bb.157:
	v_mov_b32_e32 v1, 0
	global_load_dwordx2 v[1:2], v1, s[30:31]
.LBB721_158:
	v_mov_b32_e32 v3, 0
	v_cmp_eq_u32_e64 s11, 1, v23
	v_cmp_eq_u32_e64 s13, 1, v19
	;; [unrolled: 1-line block ×4, first 2 shown]
	v_cmp_eq_u16_sdwa s8, v86, v3 src0_sel:BYTE_0 src1_sel:DWORD
	v_cmp_eq_u16_sdwa s7, v85, v3 src0_sel:BYTE_0 src1_sel:DWORD
	;; [unrolled: 1-line block ×5, first 2 shown]
	v_cndmask_b32_e64 v5, 0, v49, s8
	v_cndmask_b32_e64 v4, 0, v50, s8
	v_cmp_eq_u16_sdwa s2, v80, v3 src0_sel:BYTE_0 src1_sel:DWORD
	v_cmp_eq_u16_sdwa s3, v79, v3 src0_sel:BYTE_0 src1_sel:DWORD
	;; [unrolled: 1-line block ×3, first 2 shown]
	v_add_co_u32 v5, vcc_lo, v5, v45
	v_add_co_ci_u32_e64 v4, null, v4, v46, vcc_lo
	v_cmp_ne_u16_sdwa s15, v13, v3 src0_sel:BYTE_0 src1_sel:DWORD
	v_cndmask_b32_e64 v5, 0, v5, s7
	v_cmp_ne_u16_sdwa s20, v16, v3 src0_sel:BYTE_0 src1_sel:DWORD
	v_cndmask_b32_e64 v4, 0, v4, s7
	v_cmp_ne_u16_sdwa s21, v14, v3 src0_sel:BYTE_0 src1_sel:DWORD
	v_cmp_ne_u16_sdwa s16, v15, v3 src0_sel:BYTE_0 src1_sel:DWORD
	v_add_co_u32 v5, vcc_lo, v5, v43
	v_add_co_ci_u32_e64 v4, null, v4, v44, vcc_lo
	s_or_b32 s15, s15, s11
	v_cndmask_b32_e64 v5, 0, v5, s5
	s_or_b32 s11, s20, s13
	v_cndmask_b32_e64 v4, 0, v4, s5
	s_or_b32 s13, s21, s14
	s_or_b32 s12, s16, s12
	v_add_co_u32 v5, vcc_lo, v5, v41
	v_add_co_ci_u32_e64 v4, null, v4, v42, vcc_lo
	s_or_b32 s13, s13, s11
	v_cndmask_b32_e64 v5, 0, v5, s6
	v_cmp_eq_u32_e64 s10, 1, v20
	v_cndmask_b32_e64 v4, 0, v4, s6
	s_or_b32 s12, s13, s12
	s_or_b32 s12, s12, s15
	v_add_co_u32 v5, vcc_lo, v5, v39
	v_add_co_ci_u32_e64 v4, null, v4, v40, vcc_lo
	v_cndmask_b32_e64 v5, 0, v5, s4
	v_cndmask_b32_e64 v4, 0, v4, s4
	v_add_co_u32 v5, vcc_lo, v5, v37
	v_add_co_ci_u32_e64 v4, null, v4, v38, vcc_lo
	v_cndmask_b32_e64 v5, 0, v5, s2
	v_cndmask_b32_e64 v4, 0, v4, s2
	;; [unrolled: 4-line block ×4, first 2 shown]
	v_add_co_u32 v5, vcc_lo, v5, v29
	v_add_co_ci_u32_e64 v4, null, v4, v30, vcc_lo
	v_cmp_eq_u16_sdwa vcc_lo, v77, v3 src0_sel:BYTE_0 src1_sel:DWORD
	v_cndmask_b32_e32 v5, 0, v5, vcc_lo
	v_cndmask_b32_e32 v4, 0, v4, vcc_lo
	v_add_co_u32 v5, s1, v5, v27
	v_add_co_ci_u32_e64 v4, null, v4, v28, s1
	v_cmp_eq_u16_sdwa s1, v76, v3 src0_sel:BYTE_0 src1_sel:DWORD
	v_cndmask_b32_e64 v5, 0, v5, s1
	v_cndmask_b32_e64 v4, 0, v4, s1
	v_add_co_u32 v5, s9, v5, v25
	v_add_co_ci_u32_e64 v4, null, v4, v26, s9
	v_cmp_eq_u16_sdwa s9, v75, v3 src0_sel:BYTE_0 src1_sel:DWORD
	v_cndmask_b32_e64 v3, 0, v4, s9
	v_cndmask_b32_e64 v4, 0, v5, s9
	v_add_co_u32 v4, s11, v4, v21
	v_add_co_ci_u32_e64 v3, null, v3, v22, s11
	v_cmp_eq_u16_e64 s11, 0, v12
	v_cndmask_b32_e64 v5, 0, v3, s11
	v_cndmask_b32_e64 v3, 0, v4, s11
	s_or_b32 s11, s12, s10
	s_mov_b32 s12, exec_lo
	v_cndmask_b32_e64 v6, 0, 1, s11
	v_cndmask_b32_e64 v7, 0, 1, s11
	v_add_co_u32 v3, s10, v3, v35
	v_add_co_ci_u32_e64 v4, null, v5, v36, s10
	v_and_b32_e32 v5, 15, v11
	v_mov_b32_dpp v10, v6 row_shr:1 row_mask:0xf bank_mask:0xf
	v_mov_b32_dpp v8, v3 row_shr:1 row_mask:0xf bank_mask:0xf
	;; [unrolled: 1-line block ×3, first 2 shown]
	v_cmpx_ne_u32_e32 0, v5
	s_cbranch_execz .LBB721_160
; %bb.159:
	v_and_b32_e32 v6, 1, v10
	v_cndmask_b32_e64 v8, v8, 0, s11
	v_cndmask_b32_e64 v9, v9, 0, s11
	v_or_b32_e32 v7, v6, v7
	v_add_co_u32 v3, s10, v8, v3
	v_add_co_ci_u32_e64 v4, null, v9, v4, s10
	v_and_b32_e32 v6, 0xffff, v7
.LBB721_160:
	s_or_b32 exec_lo, exec_lo, s12
	v_mov_b32_dpp v8, v3 row_shr:2 row_mask:0xf bank_mask:0xf
	v_mov_b32_dpp v9, v4 row_shr:2 row_mask:0xf bank_mask:0xf
	v_mov_b32_dpp v10, v6 row_shr:2 row_mask:0xf bank_mask:0xf
	s_mov_b32 s13, exec_lo
	v_cmpx_lt_u32_e32 1, v5
	s_cbranch_execz .LBB721_162
; %bb.161:
	v_cmp_eq_u16_e64 s10, 0, v7
	v_and_b32_e32 v6, 1, v7
	v_and_b32_e32 v7, 1, v10
	v_cndmask_b32_e64 v9, 0, v9, s10
	v_cndmask_b32_e64 v8, 0, v8, s10
	v_cmp_eq_u32_e64 s10, 1, v6
	v_cmp_eq_u32_e64 s11, 1, v7
	v_add_co_u32 v3, s12, v8, v3
	s_or_b32 s10, s10, s11
	v_add_co_ci_u32_e64 v4, null, v9, v4, s12
	v_cndmask_b32_e64 v7, 0, 1, s10
	v_cndmask_b32_e64 v6, 0, 1, s10
.LBB721_162:
	s_or_b32 exec_lo, exec_lo, s13
	v_mov_b32_dpp v8, v3 row_shr:4 row_mask:0xf bank_mask:0xf
	v_mov_b32_dpp v9, v4 row_shr:4 row_mask:0xf bank_mask:0xf
	v_mov_b32_dpp v10, v6 row_shr:4 row_mask:0xf bank_mask:0xf
	s_mov_b32 s13, exec_lo
	v_cmpx_lt_u32_e32 3, v5
	s_cbranch_execz .LBB721_164
; %bb.163:
	v_cmp_eq_u16_e64 s10, 0, v7
	v_and_b32_e32 v6, 1, v7
	v_and_b32_e32 v7, 1, v10
	v_cndmask_b32_e64 v9, 0, v9, s10
	v_cndmask_b32_e64 v8, 0, v8, s10
	v_cmp_eq_u32_e64 s10, 1, v6
	v_cmp_eq_u32_e64 s11, 1, v7
	v_add_co_u32 v3, s12, v8, v3
	s_or_b32 s10, s10, s11
	v_add_co_ci_u32_e64 v4, null, v9, v4, s12
	v_cndmask_b32_e64 v7, 0, 1, s10
	v_cndmask_b32_e64 v6, 0, 1, s10
.LBB721_164:
	;; [unrolled: 21-line block ×3, first 2 shown]
	s_or_b32 exec_lo, exec_lo, s13
	ds_swizzle_b32 v5, v3 offset:swizzle(BROADCAST,32,15)
	ds_swizzle_b32 v8, v4 offset:swizzle(BROADCAST,32,15)
	ds_swizzle_b32 v6, v6 offset:swizzle(BROADCAST,32,15)
	v_and_b32_e32 v9, 16, v11
	s_mov_b32 s13, exec_lo
	v_cmpx_ne_u32_e32 0, v9
	s_cbranch_execz .LBB721_168
; %bb.167:
	v_cmp_eq_u16_e64 s10, 0, v7
	v_and_b32_e32 v7, 1, v7
	s_waitcnt lgkmcnt(0)
	v_and_b32_e32 v6, 1, v6
	v_cndmask_b32_e64 v8, 0, v8, s10
	v_cndmask_b32_e64 v5, 0, v5, s10
	v_cmp_eq_u32_e64 s10, 1, v7
	v_cmp_eq_u32_e64 s11, 1, v6
	v_add_co_u32 v3, s12, v5, v3
	s_or_b32 s10, s10, s11
	v_add_co_ci_u32_e64 v4, null, v8, v4, s12
	v_cndmask_b32_e64 v7, 0, 1, s10
.LBB721_168:
	s_or_b32 exec_lo, exec_lo, s13
	s_waitcnt lgkmcnt(0)
	v_lshrrev_b32_e32 v6, 5, v0
	v_or_b32_e32 v5, 31, v0
	s_mov_b32 s11, exec_lo
	v_lshlrev_b32_e32 v8, 4, v6
	v_cmpx_eq_u32_e64 v0, v5
	s_cbranch_execz .LBB721_170
; %bb.169:
	ds_write_b64 v8, v[3:4]
	ds_write_b8 v8, v7 offset:8
.LBB721_170:
	s_or_b32 exec_lo, exec_lo, s11
	s_mov_b32 s13, exec_lo
	s_waitcnt vmcnt(0) lgkmcnt(0)
	s_barrier
	buffer_gl0_inv
	v_cmpx_gt_u32_e32 8, v0
	s_cbranch_execz .LBB721_178
; %bb.171:
	v_lshlrev_b32_e32 v9, 4, v0
	v_and_b32_e32 v10, 7, v11
	s_mov_b32 s11, exec_lo
	ds_read_b64 v[5:6], v9
	ds_read_b32 v15, v9 offset:8
	s_waitcnt lgkmcnt(1)
	v_mov_b32_dpp v16, v5 row_shr:1 row_mask:0xf bank_mask:0xf
	v_mov_b32_dpp v17, v6 row_shr:1 row_mask:0xf bank_mask:0xf
	s_waitcnt lgkmcnt(0)
	v_and_b32_e32 v13, 0xffffff00, v15
	v_mov_b32_dpp v18, v15 row_shr:1 row_mask:0xf bank_mask:0xf
	v_mov_b32_e32 v14, v15
	v_mov_b32_e32 v12, v15
	v_cmpx_ne_u32_e32 0, v10
	s_cbranch_execz .LBB721_173
; %bb.172:
	v_mov_b32_e32 v12, 0
	v_cmp_eq_u16_sdwa s10, v15, v12 src0_sel:BYTE_0 src1_sel:DWORD
	v_or_b32_e32 v12, v18, v15
	v_cndmask_b32_e64 v16, 0, v16, s10
	v_cndmask_b32_e64 v15, 0, v17, s10
	v_and_b32_e32 v14, 1, v12
	v_and_b32_e32 v12, 1, v12
	v_add_co_u32 v5, s10, v16, v5
	v_add_co_ci_u32_e64 v6, null, v15, v6, s10
	v_or_b32_e32 v15, v12, v13
.LBB721_173:
	s_or_b32 exec_lo, exec_lo, s11
	v_mov_b32_dpp v16, v5 row_shr:2 row_mask:0xf bank_mask:0xf
	v_mov_b32_dpp v17, v6 row_shr:2 row_mask:0xf bank_mask:0xf
	;; [unrolled: 1-line block ×3, first 2 shown]
	s_mov_b32 s14, exec_lo
	v_cmpx_lt_u32_e32 1, v10
	s_cbranch_execz .LBB721_175
; %bb.174:
	v_mov_b32_e32 v14, 0
	v_and_b32_e32 v15, 1, v12
	v_and_b32_e32 v18, 1, v18
	v_cmp_eq_u16_sdwa s10, v12, v14 src0_sel:BYTE_0 src1_sel:DWORD
	v_cmp_eq_u32_e64 s11, 1, v15
	v_cmp_eq_u32_e64 s12, 1, v18
	v_cndmask_b32_e64 v12, 0, v17, s10
	v_cndmask_b32_e64 v15, 0, v16, s10
	s_or_b32 s10, s11, s12
	v_cndmask_b32_e64 v14, 0, 1, s10
	v_cndmask_b32_e64 v16, 0, 1, s10
	v_add_co_u32 v5, s10, v15, v5
	v_add_co_ci_u32_e64 v6, null, v12, v6, s10
	v_or_b32_e32 v15, v13, v16
	v_mov_b32_e32 v12, v14
.LBB721_175:
	s_or_b32 exec_lo, exec_lo, s14
	v_mov_b32_dpp v13, v5 row_shr:4 row_mask:0xf bank_mask:0xf
	v_mov_b32_dpp v16, v6 row_shr:4 row_mask:0xf bank_mask:0xf
	;; [unrolled: 1-line block ×3, first 2 shown]
	s_mov_b32 s14, exec_lo
	v_cmpx_lt_u32_e32 3, v10
	s_cbranch_execz .LBB721_177
; %bb.176:
	v_mov_b32_e32 v10, 0
	v_cmp_eq_u16_sdwa s10, v12, v10 src0_sel:BYTE_0 src1_sel:DWORD
	v_and_b32_e32 v10, 1, v12
	v_and_b32_e32 v12, 1, v15
	v_cndmask_b32_e64 v14, 0, v16, s10
	v_cndmask_b32_e64 v13, 0, v13, s10
	v_cmp_eq_u32_e64 s10, 1, v10
	v_cmp_eq_u32_e64 s11, 1, v12
	v_add_co_u32 v5, s12, v13, v5
	s_or_b32 s10, s10, s11
	v_add_co_ci_u32_e64 v6, null, v14, v6, s12
	v_cndmask_b32_e64 v14, 0, 1, s10
.LBB721_177:
	s_or_b32 exec_lo, exec_lo, s14
	ds_write_b64 v9, v[5:6]
	ds_write_b8 v9, v14 offset:8
.LBB721_178:
	s_or_b32 exec_lo, exec_lo, s13
	v_mov_b32_e32 v6, v2
	v_mov_b32_e32 v5, v1
	s_mov_b32 s11, exec_lo
	s_waitcnt lgkmcnt(0)
	s_barrier
	buffer_gl0_inv
	v_cmpx_lt_u32_e32 31, v0
	s_cbranch_execz .LBB721_180
; %bb.179:
	v_add_nc_u32_e32 v5, -8, v8
	ds_read_u8 v9, v5
	v_add_nc_u32_e32 v5, -16, v8
	ds_read_b64 v[5:6], v5
	s_waitcnt lgkmcnt(1)
	v_cmp_eq_u16_e64 s10, 0, v9
	v_cndmask_b32_e64 v9, 0, v1, s10
	v_cndmask_b32_e64 v8, 0, v2, s10
	s_waitcnt lgkmcnt(0)
	v_add_co_u32 v5, s10, v9, v5
	v_add_co_ci_u32_e64 v6, null, v8, v6, s10
.LBB721_180:
	s_or_b32 exec_lo, exec_lo, s11
	v_cmp_eq_u16_e64 s10, 0, v7
	v_sub_co_u32 v7, s11, v11, 1
	v_cndmask_b32_e64 v8, 0, v6, s10
	v_cndmask_b32_e64 v9, 0, v5, s10
	v_cmp_gt_i32_e64 s10, 0, v7
	v_cndmask_b32_e64 v7, v7, v11, s10
	v_add_co_u32 v3, s10, v9, v3
	v_add_co_ci_u32_e64 v4, null, v8, v4, s10
	v_lshlrev_b32_e32 v7, 2, v7
	v_cmp_eq_u32_e64 s10, 0, v0
	ds_bpermute_b32 v3, v7, v3
	ds_bpermute_b32 v4, v7, v4
	s_waitcnt lgkmcnt(1)
	v_cndmask_b32_e64 v47, v3, v5, s11
	v_mov_b32_e32 v5, 0
	s_waitcnt lgkmcnt(0)
	v_cndmask_b32_e64 v48, v4, v6, s11
	v_cndmask_b32_e64 v3, v47, v1, s10
	v_cmp_eq_u16_sdwa s11, v81, v5 src0_sel:BYTE_0 src1_sel:DWORD
	v_cndmask_b32_e64 v4, v48, v2, s10
	v_cndmask_b32_e64 v3, 0, v3, s11
	v_cndmask_b32_e64 v4, 0, v4, s11
	v_add_co_u32 v51, s11, v3, v49
	v_add_co_ci_u32_e64 v52, null, v4, v50, s11
	v_cndmask_b32_e64 v3, 0, v51, s8
	v_cndmask_b32_e64 v4, 0, v52, s8
	v_add_co_u32 v53, s8, v3, v45
	v_add_co_ci_u32_e64 v54, null, v4, v46, s8
	v_cndmask_b32_e64 v3, 0, v53, s7
	v_cndmask_b32_e64 v4, 0, v54, s7
	;; [unrolled: 4-line block ×8, first 2 shown]
	v_add_co_u32 v67, s0, v3, v29
	v_add_co_ci_u32_e64 v68, null, v4, v30, s0
	v_cndmask_b32_e32 v3, 0, v67, vcc_lo
	v_cndmask_b32_e32 v4, 0, v68, vcc_lo
	v_add_co_u32 v69, vcc_lo, v3, v27
	v_add_co_ci_u32_e64 v70, null, v4, v28, vcc_lo
	v_cndmask_b32_e64 v3, 0, v69, s1
	v_cndmask_b32_e64 v4, 0, v70, s1
	v_add_co_u32 v71, vcc_lo, v3, v25
	v_add_co_ci_u32_e64 v72, null, v4, v26, vcc_lo
	v_cndmask_b32_e64 v3, 0, v71, s9
	v_cndmask_b32_e64 v4, 0, v72, s9
	s_and_saveexec_b32 s0, s10
	s_cbranch_execz .LBB721_182
; %bb.181:
	ds_read_u8 v8, v5 offset:120
	ds_read_b64 v[6:7], v5 offset:112
	v_mov_b32_e32 v48, v2
	v_mov_b32_e32 v47, v1
	s_waitcnt lgkmcnt(1)
	v_cmp_eq_u32_sdwa vcc_lo, v8, v5 src0_sel:WORD_0 src1_sel:DWORD
	v_cndmask_b32_e32 v10, 0, v1, vcc_lo
	v_cndmask_b32_e32 v9, 0, v2, vcc_lo
	s_waitcnt lgkmcnt(0)
	v_add_co_u32 v6, vcc_lo, v10, v6
	v_add_co_ci_u32_e64 v7, null, v9, v7, vcc_lo
	v_mov_b32_e32 v9, 2
	global_store_byte v5, v8, s[22:23] offset:520
	global_store_dwordx2 v5, v[6:7], s[22:23] offset:512
	s_waitcnt_vscnt null, 0x0
	buffer_gl1_inv
	buffer_gl0_inv
	global_store_byte v5, v9, s[24:25] offset:32
.LBB721_182:
	s_or_b32 exec_lo, exec_lo, s0
.LBB721_183:
	v_add_co_u32 v25, vcc_lo, v3, v21
	s_add_u32 s0, s18, s34
	v_add_co_ci_u32_e64 v26, null, v4, v22, vcc_lo
	s_addc_u32 s1, s19, s35
	s_add_u32 s0, s0, s36
	s_addc_u32 s1, s1, s37
	s_and_b32 vcc_lo, exec_lo, s17
	s_cbranch_vccz .LBB721_227
; %bb.184:
	v_mul_u32_u24_e32 v1, 13, v0
	s_add_i32 s27, s27, s26
	s_mov_b32 s2, exec_lo
	v_cmpx_gt_u32_e64 s27, v1
	s_cbranch_execz .LBB721_202
; %bb.185:
	v_add_nc_u32_e32 v2, 1, v1
	s_mov_b32 s3, exec_lo
	v_cmpx_gt_u32_e64 s27, v2
	s_cbranch_execz .LBB721_201
; %bb.186:
	v_add_nc_u32_e32 v2, 2, v1
	;; [unrolled: 5-line block ×8, first 2 shown]
	s_mov_b32 s10, exec_lo
	v_cmpx_gt_u32_e64 s27, v2
; %bb.193:
	v_add_nc_u32_e32 v2, 9, v1
	s_mov_b32 s11, exec_lo
	v_cmpx_gt_u32_e64 s27, v2
	s_or_b32 exec_lo, exec_lo, s11
; %bb.194:
	s_or_b32 exec_lo, exec_lo, s10
.LBB721_195:
	s_or_b32 exec_lo, exec_lo, s9
.LBB721_196:
	s_or_b32 exec_lo, exec_lo, s8
.LBB721_197:
	s_or_b32 exec_lo, exec_lo, s7
.LBB721_198:
	s_or_b32 exec_lo, exec_lo, s6
.LBB721_199:
	s_or_b32 exec_lo, exec_lo, s5
.LBB721_200:
	s_or_b32 exec_lo, exec_lo, s4
.LBB721_201:
	s_or_b32 exec_lo, exec_lo, s3
.LBB721_202:
	s_or_b32 exec_lo, exec_lo, s2
	v_lshlrev_b32_e32 v29, 3, v1
	s_waitcnt_vscnt null, 0x0
	s_barrier
	buffer_gl0_inv
	v_add_co_u32 v27, s2, s0, v73
	v_mad_i32_i24 v1, 0xffffffa0, v0, v29
	ds_write2_b64 v29, v[47:48], v[51:52] offset1:1
	ds_write2_b64 v29, v[53:54], v[59:60] offset0:2 offset1:3
	ds_write2_b64 v29, v[55:56], v[57:58] offset0:4 offset1:5
	;; [unrolled: 1-line block ×5, first 2 shown]
	ds_write_b64 v29, v[25:26] offset:96
	s_waitcnt lgkmcnt(0)
	s_barrier
	buffer_gl0_inv
	ds_read2st64_b64 v[21:24], v1 offset0:4 offset1:8
	ds_read2st64_b64 v[17:20], v1 offset0:12 offset1:16
	;; [unrolled: 1-line block ×6, first 2 shown]
	v_add_co_ci_u32_e64 v28, null, s1, 0, s2
	s_mov_b32 s2, exec_lo
	v_cmpx_gt_u32_e64 s27, v0
	s_cbranch_execz .LBB721_204
; %bb.203:
	v_mul_i32_i24_e32 v30, 0xffffffa0, v0
	v_add_nc_u32_e32 v29, v29, v30
	ds_read_b64 v[29:30], v29
	s_waitcnt lgkmcnt(0)
	flat_store_dwordx2 v[27:28], v[29:30]
.LBB721_204:
	s_or_b32 exec_lo, exec_lo, s2
	v_or_b32_e32 v29, 0x100, v0
	s_mov_b32 s2, exec_lo
	v_cmpx_gt_u32_e64 s27, v29
	s_cbranch_execz .LBB721_206
; %bb.205:
	v_add_co_u32 v29, vcc_lo, 0x800, v27
	v_add_co_ci_u32_e64 v30, null, 0, v28, vcc_lo
	s_waitcnt lgkmcnt(5)
	flat_store_dwordx2 v[29:30], v[21:22]
.LBB721_206:
	s_or_b32 exec_lo, exec_lo, s2
	s_waitcnt lgkmcnt(5)
	v_or_b32_e32 v21, 0x200, v0
	s_mov_b32 s2, exec_lo
	v_cmpx_gt_u32_e64 s27, v21
	s_cbranch_execz .LBB721_208
; %bb.207:
	v_add_co_u32 v21, vcc_lo, 0x1000, v27
	v_add_co_ci_u32_e64 v22, null, 0, v28, vcc_lo
	flat_store_dwordx2 v[21:22], v[23:24]
.LBB721_208:
	s_or_b32 exec_lo, exec_lo, s2
	v_or_b32_e32 v21, 0x300, v0
	s_mov_b32 s2, exec_lo
	v_cmpx_gt_u32_e64 s27, v21
	s_cbranch_execz .LBB721_210
; %bb.209:
	v_add_co_u32 v21, vcc_lo, 0x1800, v27
	v_add_co_ci_u32_e64 v22, null, 0, v28, vcc_lo
	s_waitcnt lgkmcnt(4)
	flat_store_dwordx2 v[21:22], v[17:18]
.LBB721_210:
	s_or_b32 exec_lo, exec_lo, s2
	s_waitcnt lgkmcnt(4)
	v_or_b32_e32 v17, 0x400, v0
	s_mov_b32 s2, exec_lo
	v_cmpx_gt_u32_e64 s27, v17
	s_cbranch_execz .LBB721_212
; %bb.211:
	v_add_co_u32 v17, vcc_lo, 0x2000, v27
	v_add_co_ci_u32_e64 v18, null, 0, v28, vcc_lo
	flat_store_dwordx2 v[17:18], v[19:20]
.LBB721_212:
	;; [unrolled: 22-line block ×5, first 2 shown]
	s_or_b32 exec_lo, exec_lo, s2
	v_or_b32_e32 v5, 0xb00, v0
	s_mov_b32 s2, exec_lo
	v_cmpx_gt_u32_e64 s27, v5
	s_cbranch_execz .LBB721_226
; %bb.225:
	v_add_co_u32 v5, vcc_lo, 0x5800, v27
	v_add_co_ci_u32_e64 v6, null, 0, v28, vcc_lo
	s_waitcnt lgkmcnt(0)
	flat_store_dwordx2 v[5:6], v[1:2]
.LBB721_226:
	s_or_b32 exec_lo, exec_lo, s2
	s_waitcnt lgkmcnt(0)
	v_or_b32_e32 v1, 0xc00, v0
	v_cmp_gt_u32_e64 s2, s27, v1
	s_branch .LBB721_229
.LBB721_227:
	s_mov_b32 s2, 0
                                        ; implicit-def: $vgpr3_vgpr4
	s_cbranch_execz .LBB721_229
; %bb.228:
	v_mul_i32_i24_e32 v2, 0xffffffa0, v0
	v_mul_u32_u24_e32 v1, 0x68, v0
	s_waitcnt_vscnt null, 0x0
	s_barrier
	buffer_gl0_inv
	v_mad_u32_u24 v3, 0x68, v0, v2
	ds_write2_b64 v1, v[47:48], v[51:52] offset1:1
	ds_write2_b64 v1, v[53:54], v[59:60] offset0:2 offset1:3
	ds_write2_b64 v1, v[55:56], v[57:58] offset0:4 offset1:5
	;; [unrolled: 1-line block ×5, first 2 shown]
	ds_write_b64 v1, v[25:26] offset:96
	s_waitcnt lgkmcnt(0)
	s_barrier
	buffer_gl0_inv
	ds_read2st64_b64 v[5:8], v3 offset1:4
	ds_read2st64_b64 v[9:12], v3 offset0:8 offset1:12
	ds_read2st64_b64 v[13:16], v3 offset0:16 offset1:20
	;; [unrolled: 1-line block ×3, first 2 shown]
	v_add_co_u32 v1, s3, s0, v73
	v_add_co_ci_u32_e64 v2, null, s1, 0, s3
	ds_read2st64_b64 v[21:24], v3 offset0:32 offset1:36
	v_add_co_u32 v29, vcc_lo, 0x800, v1
	v_add_co_ci_u32_e64 v30, null, 0, v2, vcc_lo
	v_add_co_u32 v31, vcc_lo, 0x1000, v1
	v_add_co_ci_u32_e64 v32, null, 0, v2, vcc_lo
	ds_read2st64_b64 v[25:28], v3 offset0:40 offset1:44
	ds_read_b64 v[3:4], v3 offset:24576
	s_or_b32 s2, s2, exec_lo
	s_waitcnt lgkmcnt(6)
	flat_store_dwordx2 v[1:2], v[5:6]
	flat_store_dwordx2 v[29:30], v[7:8]
	s_waitcnt lgkmcnt(7)
	flat_store_dwordx2 v[31:32], v[9:10]
	v_add_co_u32 v5, vcc_lo, 0x1800, v1
	v_add_co_ci_u32_e64 v6, null, 0, v2, vcc_lo
	v_add_co_u32 v7, vcc_lo, 0x2000, v1
	v_add_co_ci_u32_e64 v8, null, 0, v2, vcc_lo
	;; [unrolled: 2-line block ×5, first 2 shown]
	flat_store_dwordx2 v[5:6], v[11:12]
	s_waitcnt lgkmcnt(8)
	flat_store_dwordx2 v[7:8], v[13:14]
	flat_store_dwordx2 v[9:10], v[15:16]
	s_waitcnt lgkmcnt(9)
	flat_store_dwordx2 v[29:30], v[17:18]
	flat_store_dwordx2 v[31:32], v[19:20]
	v_add_co_u32 v5, vcc_lo, 0x4000, v1
	v_add_co_ci_u32_e64 v6, null, 0, v2, vcc_lo
	v_add_co_u32 v7, vcc_lo, 0x4800, v1
	v_add_co_ci_u32_e64 v8, null, 0, v2, vcc_lo
	;; [unrolled: 2-line block ×4, first 2 shown]
	s_waitcnt lgkmcnt(10)
	flat_store_dwordx2 v[5:6], v[21:22]
	flat_store_dwordx2 v[7:8], v[23:24]
	s_waitcnt lgkmcnt(11)
	flat_store_dwordx2 v[9:10], v[25:26]
	flat_store_dwordx2 v[1:2], v[27:28]
.LBB721_229:
	s_and_saveexec_b32 s3, s2
	s_cbranch_execz .LBB721_231
; %bb.230:
	v_lshlrev_b32_e32 v0, 3, v0
	v_add_co_u32 v0, s0, s0, v0
	v_add_co_ci_u32_e64 v1, null, s1, 0, s0
	v_add_co_u32 v0, vcc_lo, 0x6000, v0
	v_add_co_ci_u32_e64 v1, null, 0, v1, vcc_lo
	s_waitcnt lgkmcnt(12)
	flat_store_dwordx2 v[0:1], v[3:4]
	s_endpgm
.LBB721_231:
	s_endpgm
	.section	.rodata,"a",@progbits
	.p2align	6, 0x0
	.amdhsa_kernel _ZN7rocprim17ROCPRIM_400000_NS6detail17trampoline_kernelINS0_14default_configENS1_27scan_by_key_config_selectorIxxEEZZNS1_16scan_by_key_implILNS1_25lookback_scan_determinismE0ELb1ES3_N6thrust23THRUST_200600_302600_NS6detail15normal_iteratorINS9_10device_ptrIxEEEESE_SE_xNS9_4plusIxEE19head_flag_predicatexEE10hipError_tPvRmT2_T3_T4_T5_mT6_T7_P12ihipStream_tbENKUlT_T0_E_clISt17integral_constantIbLb0EESY_EEDaST_SU_EUlST_E_NS1_11comp_targetILNS1_3genE8ELNS1_11target_archE1030ELNS1_3gpuE2ELNS1_3repE0EEENS1_30default_config_static_selectorELNS0_4arch9wavefront6targetE0EEEvT1_
		.amdhsa_group_segment_fixed_size 30720
		.amdhsa_private_segment_fixed_size 0
		.amdhsa_kernarg_size 136
		.amdhsa_user_sgpr_count 6
		.amdhsa_user_sgpr_private_segment_buffer 1
		.amdhsa_user_sgpr_dispatch_ptr 0
		.amdhsa_user_sgpr_queue_ptr 0
		.amdhsa_user_sgpr_kernarg_segment_ptr 1
		.amdhsa_user_sgpr_dispatch_id 0
		.amdhsa_user_sgpr_flat_scratch_init 0
		.amdhsa_user_sgpr_private_segment_size 0
		.amdhsa_wavefront_size32 1
		.amdhsa_uses_dynamic_stack 0
		.amdhsa_system_sgpr_private_segment_wavefront_offset 0
		.amdhsa_system_sgpr_workgroup_id_x 1
		.amdhsa_system_sgpr_workgroup_id_y 0
		.amdhsa_system_sgpr_workgroup_id_z 0
		.amdhsa_system_sgpr_workgroup_info 0
		.amdhsa_system_vgpr_workitem_id 0
		.amdhsa_next_free_vgpr 113
		.amdhsa_next_free_sgpr 55
		.amdhsa_reserve_vcc 1
		.amdhsa_reserve_flat_scratch 1
		.amdhsa_float_round_mode_32 0
		.amdhsa_float_round_mode_16_64 0
		.amdhsa_float_denorm_mode_32 3
		.amdhsa_float_denorm_mode_16_64 3
		.amdhsa_dx10_clamp 1
		.amdhsa_ieee_mode 1
		.amdhsa_fp16_overflow 0
		.amdhsa_workgroup_processor_mode 1
		.amdhsa_memory_ordered 1
		.amdhsa_forward_progress 1
		.amdhsa_shared_vgpr_count 0
		.amdhsa_exception_fp_ieee_invalid_op 0
		.amdhsa_exception_fp_denorm_src 0
		.amdhsa_exception_fp_ieee_div_zero 0
		.amdhsa_exception_fp_ieee_overflow 0
		.amdhsa_exception_fp_ieee_underflow 0
		.amdhsa_exception_fp_ieee_inexact 0
		.amdhsa_exception_int_div_zero 0
	.end_amdhsa_kernel
	.section	.text._ZN7rocprim17ROCPRIM_400000_NS6detail17trampoline_kernelINS0_14default_configENS1_27scan_by_key_config_selectorIxxEEZZNS1_16scan_by_key_implILNS1_25lookback_scan_determinismE0ELb1ES3_N6thrust23THRUST_200600_302600_NS6detail15normal_iteratorINS9_10device_ptrIxEEEESE_SE_xNS9_4plusIxEE19head_flag_predicatexEE10hipError_tPvRmT2_T3_T4_T5_mT6_T7_P12ihipStream_tbENKUlT_T0_E_clISt17integral_constantIbLb0EESY_EEDaST_SU_EUlST_E_NS1_11comp_targetILNS1_3genE8ELNS1_11target_archE1030ELNS1_3gpuE2ELNS1_3repE0EEENS1_30default_config_static_selectorELNS0_4arch9wavefront6targetE0EEEvT1_,"axG",@progbits,_ZN7rocprim17ROCPRIM_400000_NS6detail17trampoline_kernelINS0_14default_configENS1_27scan_by_key_config_selectorIxxEEZZNS1_16scan_by_key_implILNS1_25lookback_scan_determinismE0ELb1ES3_N6thrust23THRUST_200600_302600_NS6detail15normal_iteratorINS9_10device_ptrIxEEEESE_SE_xNS9_4plusIxEE19head_flag_predicatexEE10hipError_tPvRmT2_T3_T4_T5_mT6_T7_P12ihipStream_tbENKUlT_T0_E_clISt17integral_constantIbLb0EESY_EEDaST_SU_EUlST_E_NS1_11comp_targetILNS1_3genE8ELNS1_11target_archE1030ELNS1_3gpuE2ELNS1_3repE0EEENS1_30default_config_static_selectorELNS0_4arch9wavefront6targetE0EEEvT1_,comdat
.Lfunc_end721:
	.size	_ZN7rocprim17ROCPRIM_400000_NS6detail17trampoline_kernelINS0_14default_configENS1_27scan_by_key_config_selectorIxxEEZZNS1_16scan_by_key_implILNS1_25lookback_scan_determinismE0ELb1ES3_N6thrust23THRUST_200600_302600_NS6detail15normal_iteratorINS9_10device_ptrIxEEEESE_SE_xNS9_4plusIxEE19head_flag_predicatexEE10hipError_tPvRmT2_T3_T4_T5_mT6_T7_P12ihipStream_tbENKUlT_T0_E_clISt17integral_constantIbLb0EESY_EEDaST_SU_EUlST_E_NS1_11comp_targetILNS1_3genE8ELNS1_11target_archE1030ELNS1_3gpuE2ELNS1_3repE0EEENS1_30default_config_static_selectorELNS0_4arch9wavefront6targetE0EEEvT1_, .Lfunc_end721-_ZN7rocprim17ROCPRIM_400000_NS6detail17trampoline_kernelINS0_14default_configENS1_27scan_by_key_config_selectorIxxEEZZNS1_16scan_by_key_implILNS1_25lookback_scan_determinismE0ELb1ES3_N6thrust23THRUST_200600_302600_NS6detail15normal_iteratorINS9_10device_ptrIxEEEESE_SE_xNS9_4plusIxEE19head_flag_predicatexEE10hipError_tPvRmT2_T3_T4_T5_mT6_T7_P12ihipStream_tbENKUlT_T0_E_clISt17integral_constantIbLb0EESY_EEDaST_SU_EUlST_E_NS1_11comp_targetILNS1_3genE8ELNS1_11target_archE1030ELNS1_3gpuE2ELNS1_3repE0EEENS1_30default_config_static_selectorELNS0_4arch9wavefront6targetE0EEEvT1_
                                        ; -- End function
	.set _ZN7rocprim17ROCPRIM_400000_NS6detail17trampoline_kernelINS0_14default_configENS1_27scan_by_key_config_selectorIxxEEZZNS1_16scan_by_key_implILNS1_25lookback_scan_determinismE0ELb1ES3_N6thrust23THRUST_200600_302600_NS6detail15normal_iteratorINS9_10device_ptrIxEEEESE_SE_xNS9_4plusIxEE19head_flag_predicatexEE10hipError_tPvRmT2_T3_T4_T5_mT6_T7_P12ihipStream_tbENKUlT_T0_E_clISt17integral_constantIbLb0EESY_EEDaST_SU_EUlST_E_NS1_11comp_targetILNS1_3genE8ELNS1_11target_archE1030ELNS1_3gpuE2ELNS1_3repE0EEENS1_30default_config_static_selectorELNS0_4arch9wavefront6targetE0EEEvT1_.num_vgpr, 101
	.set _ZN7rocprim17ROCPRIM_400000_NS6detail17trampoline_kernelINS0_14default_configENS1_27scan_by_key_config_selectorIxxEEZZNS1_16scan_by_key_implILNS1_25lookback_scan_determinismE0ELb1ES3_N6thrust23THRUST_200600_302600_NS6detail15normal_iteratorINS9_10device_ptrIxEEEESE_SE_xNS9_4plusIxEE19head_flag_predicatexEE10hipError_tPvRmT2_T3_T4_T5_mT6_T7_P12ihipStream_tbENKUlT_T0_E_clISt17integral_constantIbLb0EESY_EEDaST_SU_EUlST_E_NS1_11comp_targetILNS1_3genE8ELNS1_11target_archE1030ELNS1_3gpuE2ELNS1_3repE0EEENS1_30default_config_static_selectorELNS0_4arch9wavefront6targetE0EEEvT1_.num_agpr, 0
	.set _ZN7rocprim17ROCPRIM_400000_NS6detail17trampoline_kernelINS0_14default_configENS1_27scan_by_key_config_selectorIxxEEZZNS1_16scan_by_key_implILNS1_25lookback_scan_determinismE0ELb1ES3_N6thrust23THRUST_200600_302600_NS6detail15normal_iteratorINS9_10device_ptrIxEEEESE_SE_xNS9_4plusIxEE19head_flag_predicatexEE10hipError_tPvRmT2_T3_T4_T5_mT6_T7_P12ihipStream_tbENKUlT_T0_E_clISt17integral_constantIbLb0EESY_EEDaST_SU_EUlST_E_NS1_11comp_targetILNS1_3genE8ELNS1_11target_archE1030ELNS1_3gpuE2ELNS1_3repE0EEENS1_30default_config_static_selectorELNS0_4arch9wavefront6targetE0EEEvT1_.numbered_sgpr, 55
	.set _ZN7rocprim17ROCPRIM_400000_NS6detail17trampoline_kernelINS0_14default_configENS1_27scan_by_key_config_selectorIxxEEZZNS1_16scan_by_key_implILNS1_25lookback_scan_determinismE0ELb1ES3_N6thrust23THRUST_200600_302600_NS6detail15normal_iteratorINS9_10device_ptrIxEEEESE_SE_xNS9_4plusIxEE19head_flag_predicatexEE10hipError_tPvRmT2_T3_T4_T5_mT6_T7_P12ihipStream_tbENKUlT_T0_E_clISt17integral_constantIbLb0EESY_EEDaST_SU_EUlST_E_NS1_11comp_targetILNS1_3genE8ELNS1_11target_archE1030ELNS1_3gpuE2ELNS1_3repE0EEENS1_30default_config_static_selectorELNS0_4arch9wavefront6targetE0EEEvT1_.num_named_barrier, 0
	.set _ZN7rocprim17ROCPRIM_400000_NS6detail17trampoline_kernelINS0_14default_configENS1_27scan_by_key_config_selectorIxxEEZZNS1_16scan_by_key_implILNS1_25lookback_scan_determinismE0ELb1ES3_N6thrust23THRUST_200600_302600_NS6detail15normal_iteratorINS9_10device_ptrIxEEEESE_SE_xNS9_4plusIxEE19head_flag_predicatexEE10hipError_tPvRmT2_T3_T4_T5_mT6_T7_P12ihipStream_tbENKUlT_T0_E_clISt17integral_constantIbLb0EESY_EEDaST_SU_EUlST_E_NS1_11comp_targetILNS1_3genE8ELNS1_11target_archE1030ELNS1_3gpuE2ELNS1_3repE0EEENS1_30default_config_static_selectorELNS0_4arch9wavefront6targetE0EEEvT1_.private_seg_size, 0
	.set _ZN7rocprim17ROCPRIM_400000_NS6detail17trampoline_kernelINS0_14default_configENS1_27scan_by_key_config_selectorIxxEEZZNS1_16scan_by_key_implILNS1_25lookback_scan_determinismE0ELb1ES3_N6thrust23THRUST_200600_302600_NS6detail15normal_iteratorINS9_10device_ptrIxEEEESE_SE_xNS9_4plusIxEE19head_flag_predicatexEE10hipError_tPvRmT2_T3_T4_T5_mT6_T7_P12ihipStream_tbENKUlT_T0_E_clISt17integral_constantIbLb0EESY_EEDaST_SU_EUlST_E_NS1_11comp_targetILNS1_3genE8ELNS1_11target_archE1030ELNS1_3gpuE2ELNS1_3repE0EEENS1_30default_config_static_selectorELNS0_4arch9wavefront6targetE0EEEvT1_.uses_vcc, 1
	.set _ZN7rocprim17ROCPRIM_400000_NS6detail17trampoline_kernelINS0_14default_configENS1_27scan_by_key_config_selectorIxxEEZZNS1_16scan_by_key_implILNS1_25lookback_scan_determinismE0ELb1ES3_N6thrust23THRUST_200600_302600_NS6detail15normal_iteratorINS9_10device_ptrIxEEEESE_SE_xNS9_4plusIxEE19head_flag_predicatexEE10hipError_tPvRmT2_T3_T4_T5_mT6_T7_P12ihipStream_tbENKUlT_T0_E_clISt17integral_constantIbLb0EESY_EEDaST_SU_EUlST_E_NS1_11comp_targetILNS1_3genE8ELNS1_11target_archE1030ELNS1_3gpuE2ELNS1_3repE0EEENS1_30default_config_static_selectorELNS0_4arch9wavefront6targetE0EEEvT1_.uses_flat_scratch, 1
	.set _ZN7rocprim17ROCPRIM_400000_NS6detail17trampoline_kernelINS0_14default_configENS1_27scan_by_key_config_selectorIxxEEZZNS1_16scan_by_key_implILNS1_25lookback_scan_determinismE0ELb1ES3_N6thrust23THRUST_200600_302600_NS6detail15normal_iteratorINS9_10device_ptrIxEEEESE_SE_xNS9_4plusIxEE19head_flag_predicatexEE10hipError_tPvRmT2_T3_T4_T5_mT6_T7_P12ihipStream_tbENKUlT_T0_E_clISt17integral_constantIbLb0EESY_EEDaST_SU_EUlST_E_NS1_11comp_targetILNS1_3genE8ELNS1_11target_archE1030ELNS1_3gpuE2ELNS1_3repE0EEENS1_30default_config_static_selectorELNS0_4arch9wavefront6targetE0EEEvT1_.has_dyn_sized_stack, 0
	.set _ZN7rocprim17ROCPRIM_400000_NS6detail17trampoline_kernelINS0_14default_configENS1_27scan_by_key_config_selectorIxxEEZZNS1_16scan_by_key_implILNS1_25lookback_scan_determinismE0ELb1ES3_N6thrust23THRUST_200600_302600_NS6detail15normal_iteratorINS9_10device_ptrIxEEEESE_SE_xNS9_4plusIxEE19head_flag_predicatexEE10hipError_tPvRmT2_T3_T4_T5_mT6_T7_P12ihipStream_tbENKUlT_T0_E_clISt17integral_constantIbLb0EESY_EEDaST_SU_EUlST_E_NS1_11comp_targetILNS1_3genE8ELNS1_11target_archE1030ELNS1_3gpuE2ELNS1_3repE0EEENS1_30default_config_static_selectorELNS0_4arch9wavefront6targetE0EEEvT1_.has_recursion, 0
	.set _ZN7rocprim17ROCPRIM_400000_NS6detail17trampoline_kernelINS0_14default_configENS1_27scan_by_key_config_selectorIxxEEZZNS1_16scan_by_key_implILNS1_25lookback_scan_determinismE0ELb1ES3_N6thrust23THRUST_200600_302600_NS6detail15normal_iteratorINS9_10device_ptrIxEEEESE_SE_xNS9_4plusIxEE19head_flag_predicatexEE10hipError_tPvRmT2_T3_T4_T5_mT6_T7_P12ihipStream_tbENKUlT_T0_E_clISt17integral_constantIbLb0EESY_EEDaST_SU_EUlST_E_NS1_11comp_targetILNS1_3genE8ELNS1_11target_archE1030ELNS1_3gpuE2ELNS1_3repE0EEENS1_30default_config_static_selectorELNS0_4arch9wavefront6targetE0EEEvT1_.has_indirect_call, 0
	.section	.AMDGPU.csdata,"",@progbits
; Kernel info:
; codeLenInByte = 15660
; TotalNumSgprs: 57
; NumVgprs: 101
; ScratchSize: 0
; MemoryBound: 0
; FloatMode: 240
; IeeeMode: 1
; LDSByteSize: 30720 bytes/workgroup (compile time only)
; SGPRBlocks: 0
; VGPRBlocks: 14
; NumSGPRsForWavesPerEU: 57
; NumVGPRsForWavesPerEU: 113
; Occupancy: 8
; WaveLimiterHint : 1
; COMPUTE_PGM_RSRC2:SCRATCH_EN: 0
; COMPUTE_PGM_RSRC2:USER_SGPR: 6
; COMPUTE_PGM_RSRC2:TRAP_HANDLER: 0
; COMPUTE_PGM_RSRC2:TGID_X_EN: 1
; COMPUTE_PGM_RSRC2:TGID_Y_EN: 0
; COMPUTE_PGM_RSRC2:TGID_Z_EN: 0
; COMPUTE_PGM_RSRC2:TIDIG_COMP_CNT: 0
	.section	.text._ZN7rocprim17ROCPRIM_400000_NS6detail17trampoline_kernelINS0_14default_configENS1_27scan_by_key_config_selectorIxxEEZZNS1_16scan_by_key_implILNS1_25lookback_scan_determinismE0ELb1ES3_N6thrust23THRUST_200600_302600_NS6detail15normal_iteratorINS9_10device_ptrIxEEEESE_SE_xNS9_4plusIxEE19head_flag_predicatexEE10hipError_tPvRmT2_T3_T4_T5_mT6_T7_P12ihipStream_tbENKUlT_T0_E_clISt17integral_constantIbLb1EESY_EEDaST_SU_EUlST_E_NS1_11comp_targetILNS1_3genE0ELNS1_11target_archE4294967295ELNS1_3gpuE0ELNS1_3repE0EEENS1_30default_config_static_selectorELNS0_4arch9wavefront6targetE0EEEvT1_,"axG",@progbits,_ZN7rocprim17ROCPRIM_400000_NS6detail17trampoline_kernelINS0_14default_configENS1_27scan_by_key_config_selectorIxxEEZZNS1_16scan_by_key_implILNS1_25lookback_scan_determinismE0ELb1ES3_N6thrust23THRUST_200600_302600_NS6detail15normal_iteratorINS9_10device_ptrIxEEEESE_SE_xNS9_4plusIxEE19head_flag_predicatexEE10hipError_tPvRmT2_T3_T4_T5_mT6_T7_P12ihipStream_tbENKUlT_T0_E_clISt17integral_constantIbLb1EESY_EEDaST_SU_EUlST_E_NS1_11comp_targetILNS1_3genE0ELNS1_11target_archE4294967295ELNS1_3gpuE0ELNS1_3repE0EEENS1_30default_config_static_selectorELNS0_4arch9wavefront6targetE0EEEvT1_,comdat
	.protected	_ZN7rocprim17ROCPRIM_400000_NS6detail17trampoline_kernelINS0_14default_configENS1_27scan_by_key_config_selectorIxxEEZZNS1_16scan_by_key_implILNS1_25lookback_scan_determinismE0ELb1ES3_N6thrust23THRUST_200600_302600_NS6detail15normal_iteratorINS9_10device_ptrIxEEEESE_SE_xNS9_4plusIxEE19head_flag_predicatexEE10hipError_tPvRmT2_T3_T4_T5_mT6_T7_P12ihipStream_tbENKUlT_T0_E_clISt17integral_constantIbLb1EESY_EEDaST_SU_EUlST_E_NS1_11comp_targetILNS1_3genE0ELNS1_11target_archE4294967295ELNS1_3gpuE0ELNS1_3repE0EEENS1_30default_config_static_selectorELNS0_4arch9wavefront6targetE0EEEvT1_ ; -- Begin function _ZN7rocprim17ROCPRIM_400000_NS6detail17trampoline_kernelINS0_14default_configENS1_27scan_by_key_config_selectorIxxEEZZNS1_16scan_by_key_implILNS1_25lookback_scan_determinismE0ELb1ES3_N6thrust23THRUST_200600_302600_NS6detail15normal_iteratorINS9_10device_ptrIxEEEESE_SE_xNS9_4plusIxEE19head_flag_predicatexEE10hipError_tPvRmT2_T3_T4_T5_mT6_T7_P12ihipStream_tbENKUlT_T0_E_clISt17integral_constantIbLb1EESY_EEDaST_SU_EUlST_E_NS1_11comp_targetILNS1_3genE0ELNS1_11target_archE4294967295ELNS1_3gpuE0ELNS1_3repE0EEENS1_30default_config_static_selectorELNS0_4arch9wavefront6targetE0EEEvT1_
	.globl	_ZN7rocprim17ROCPRIM_400000_NS6detail17trampoline_kernelINS0_14default_configENS1_27scan_by_key_config_selectorIxxEEZZNS1_16scan_by_key_implILNS1_25lookback_scan_determinismE0ELb1ES3_N6thrust23THRUST_200600_302600_NS6detail15normal_iteratorINS9_10device_ptrIxEEEESE_SE_xNS9_4plusIxEE19head_flag_predicatexEE10hipError_tPvRmT2_T3_T4_T5_mT6_T7_P12ihipStream_tbENKUlT_T0_E_clISt17integral_constantIbLb1EESY_EEDaST_SU_EUlST_E_NS1_11comp_targetILNS1_3genE0ELNS1_11target_archE4294967295ELNS1_3gpuE0ELNS1_3repE0EEENS1_30default_config_static_selectorELNS0_4arch9wavefront6targetE0EEEvT1_
	.p2align	8
	.type	_ZN7rocprim17ROCPRIM_400000_NS6detail17trampoline_kernelINS0_14default_configENS1_27scan_by_key_config_selectorIxxEEZZNS1_16scan_by_key_implILNS1_25lookback_scan_determinismE0ELb1ES3_N6thrust23THRUST_200600_302600_NS6detail15normal_iteratorINS9_10device_ptrIxEEEESE_SE_xNS9_4plusIxEE19head_flag_predicatexEE10hipError_tPvRmT2_T3_T4_T5_mT6_T7_P12ihipStream_tbENKUlT_T0_E_clISt17integral_constantIbLb1EESY_EEDaST_SU_EUlST_E_NS1_11comp_targetILNS1_3genE0ELNS1_11target_archE4294967295ELNS1_3gpuE0ELNS1_3repE0EEENS1_30default_config_static_selectorELNS0_4arch9wavefront6targetE0EEEvT1_,@function
_ZN7rocprim17ROCPRIM_400000_NS6detail17trampoline_kernelINS0_14default_configENS1_27scan_by_key_config_selectorIxxEEZZNS1_16scan_by_key_implILNS1_25lookback_scan_determinismE0ELb1ES3_N6thrust23THRUST_200600_302600_NS6detail15normal_iteratorINS9_10device_ptrIxEEEESE_SE_xNS9_4plusIxEE19head_flag_predicatexEE10hipError_tPvRmT2_T3_T4_T5_mT6_T7_P12ihipStream_tbENKUlT_T0_E_clISt17integral_constantIbLb1EESY_EEDaST_SU_EUlST_E_NS1_11comp_targetILNS1_3genE0ELNS1_11target_archE4294967295ELNS1_3gpuE0ELNS1_3repE0EEENS1_30default_config_static_selectorELNS0_4arch9wavefront6targetE0EEEvT1_: ; @_ZN7rocprim17ROCPRIM_400000_NS6detail17trampoline_kernelINS0_14default_configENS1_27scan_by_key_config_selectorIxxEEZZNS1_16scan_by_key_implILNS1_25lookback_scan_determinismE0ELb1ES3_N6thrust23THRUST_200600_302600_NS6detail15normal_iteratorINS9_10device_ptrIxEEEESE_SE_xNS9_4plusIxEE19head_flag_predicatexEE10hipError_tPvRmT2_T3_T4_T5_mT6_T7_P12ihipStream_tbENKUlT_T0_E_clISt17integral_constantIbLb1EESY_EEDaST_SU_EUlST_E_NS1_11comp_targetILNS1_3genE0ELNS1_11target_archE4294967295ELNS1_3gpuE0ELNS1_3repE0EEENS1_30default_config_static_selectorELNS0_4arch9wavefront6targetE0EEEvT1_
; %bb.0:
	.section	.rodata,"a",@progbits
	.p2align	6, 0x0
	.amdhsa_kernel _ZN7rocprim17ROCPRIM_400000_NS6detail17trampoline_kernelINS0_14default_configENS1_27scan_by_key_config_selectorIxxEEZZNS1_16scan_by_key_implILNS1_25lookback_scan_determinismE0ELb1ES3_N6thrust23THRUST_200600_302600_NS6detail15normal_iteratorINS9_10device_ptrIxEEEESE_SE_xNS9_4plusIxEE19head_flag_predicatexEE10hipError_tPvRmT2_T3_T4_T5_mT6_T7_P12ihipStream_tbENKUlT_T0_E_clISt17integral_constantIbLb1EESY_EEDaST_SU_EUlST_E_NS1_11comp_targetILNS1_3genE0ELNS1_11target_archE4294967295ELNS1_3gpuE0ELNS1_3repE0EEENS1_30default_config_static_selectorELNS0_4arch9wavefront6targetE0EEEvT1_
		.amdhsa_group_segment_fixed_size 0
		.amdhsa_private_segment_fixed_size 0
		.amdhsa_kernarg_size 136
		.amdhsa_user_sgpr_count 6
		.amdhsa_user_sgpr_private_segment_buffer 1
		.amdhsa_user_sgpr_dispatch_ptr 0
		.amdhsa_user_sgpr_queue_ptr 0
		.amdhsa_user_sgpr_kernarg_segment_ptr 1
		.amdhsa_user_sgpr_dispatch_id 0
		.amdhsa_user_sgpr_flat_scratch_init 0
		.amdhsa_user_sgpr_private_segment_size 0
		.amdhsa_wavefront_size32 1
		.amdhsa_uses_dynamic_stack 0
		.amdhsa_system_sgpr_private_segment_wavefront_offset 0
		.amdhsa_system_sgpr_workgroup_id_x 1
		.amdhsa_system_sgpr_workgroup_id_y 0
		.amdhsa_system_sgpr_workgroup_id_z 0
		.amdhsa_system_sgpr_workgroup_info 0
		.amdhsa_system_vgpr_workitem_id 0
		.amdhsa_next_free_vgpr 1
		.amdhsa_next_free_sgpr 1
		.amdhsa_reserve_vcc 0
		.amdhsa_reserve_flat_scratch 0
		.amdhsa_float_round_mode_32 0
		.amdhsa_float_round_mode_16_64 0
		.amdhsa_float_denorm_mode_32 3
		.amdhsa_float_denorm_mode_16_64 3
		.amdhsa_dx10_clamp 1
		.amdhsa_ieee_mode 1
		.amdhsa_fp16_overflow 0
		.amdhsa_workgroup_processor_mode 1
		.amdhsa_memory_ordered 1
		.amdhsa_forward_progress 1
		.amdhsa_shared_vgpr_count 0
		.amdhsa_exception_fp_ieee_invalid_op 0
		.amdhsa_exception_fp_denorm_src 0
		.amdhsa_exception_fp_ieee_div_zero 0
		.amdhsa_exception_fp_ieee_overflow 0
		.amdhsa_exception_fp_ieee_underflow 0
		.amdhsa_exception_fp_ieee_inexact 0
		.amdhsa_exception_int_div_zero 0
	.end_amdhsa_kernel
	.section	.text._ZN7rocprim17ROCPRIM_400000_NS6detail17trampoline_kernelINS0_14default_configENS1_27scan_by_key_config_selectorIxxEEZZNS1_16scan_by_key_implILNS1_25lookback_scan_determinismE0ELb1ES3_N6thrust23THRUST_200600_302600_NS6detail15normal_iteratorINS9_10device_ptrIxEEEESE_SE_xNS9_4plusIxEE19head_flag_predicatexEE10hipError_tPvRmT2_T3_T4_T5_mT6_T7_P12ihipStream_tbENKUlT_T0_E_clISt17integral_constantIbLb1EESY_EEDaST_SU_EUlST_E_NS1_11comp_targetILNS1_3genE0ELNS1_11target_archE4294967295ELNS1_3gpuE0ELNS1_3repE0EEENS1_30default_config_static_selectorELNS0_4arch9wavefront6targetE0EEEvT1_,"axG",@progbits,_ZN7rocprim17ROCPRIM_400000_NS6detail17trampoline_kernelINS0_14default_configENS1_27scan_by_key_config_selectorIxxEEZZNS1_16scan_by_key_implILNS1_25lookback_scan_determinismE0ELb1ES3_N6thrust23THRUST_200600_302600_NS6detail15normal_iteratorINS9_10device_ptrIxEEEESE_SE_xNS9_4plusIxEE19head_flag_predicatexEE10hipError_tPvRmT2_T3_T4_T5_mT6_T7_P12ihipStream_tbENKUlT_T0_E_clISt17integral_constantIbLb1EESY_EEDaST_SU_EUlST_E_NS1_11comp_targetILNS1_3genE0ELNS1_11target_archE4294967295ELNS1_3gpuE0ELNS1_3repE0EEENS1_30default_config_static_selectorELNS0_4arch9wavefront6targetE0EEEvT1_,comdat
.Lfunc_end722:
	.size	_ZN7rocprim17ROCPRIM_400000_NS6detail17trampoline_kernelINS0_14default_configENS1_27scan_by_key_config_selectorIxxEEZZNS1_16scan_by_key_implILNS1_25lookback_scan_determinismE0ELb1ES3_N6thrust23THRUST_200600_302600_NS6detail15normal_iteratorINS9_10device_ptrIxEEEESE_SE_xNS9_4plusIxEE19head_flag_predicatexEE10hipError_tPvRmT2_T3_T4_T5_mT6_T7_P12ihipStream_tbENKUlT_T0_E_clISt17integral_constantIbLb1EESY_EEDaST_SU_EUlST_E_NS1_11comp_targetILNS1_3genE0ELNS1_11target_archE4294967295ELNS1_3gpuE0ELNS1_3repE0EEENS1_30default_config_static_selectorELNS0_4arch9wavefront6targetE0EEEvT1_, .Lfunc_end722-_ZN7rocprim17ROCPRIM_400000_NS6detail17trampoline_kernelINS0_14default_configENS1_27scan_by_key_config_selectorIxxEEZZNS1_16scan_by_key_implILNS1_25lookback_scan_determinismE0ELb1ES3_N6thrust23THRUST_200600_302600_NS6detail15normal_iteratorINS9_10device_ptrIxEEEESE_SE_xNS9_4plusIxEE19head_flag_predicatexEE10hipError_tPvRmT2_T3_T4_T5_mT6_T7_P12ihipStream_tbENKUlT_T0_E_clISt17integral_constantIbLb1EESY_EEDaST_SU_EUlST_E_NS1_11comp_targetILNS1_3genE0ELNS1_11target_archE4294967295ELNS1_3gpuE0ELNS1_3repE0EEENS1_30default_config_static_selectorELNS0_4arch9wavefront6targetE0EEEvT1_
                                        ; -- End function
	.set _ZN7rocprim17ROCPRIM_400000_NS6detail17trampoline_kernelINS0_14default_configENS1_27scan_by_key_config_selectorIxxEEZZNS1_16scan_by_key_implILNS1_25lookback_scan_determinismE0ELb1ES3_N6thrust23THRUST_200600_302600_NS6detail15normal_iteratorINS9_10device_ptrIxEEEESE_SE_xNS9_4plusIxEE19head_flag_predicatexEE10hipError_tPvRmT2_T3_T4_T5_mT6_T7_P12ihipStream_tbENKUlT_T0_E_clISt17integral_constantIbLb1EESY_EEDaST_SU_EUlST_E_NS1_11comp_targetILNS1_3genE0ELNS1_11target_archE4294967295ELNS1_3gpuE0ELNS1_3repE0EEENS1_30default_config_static_selectorELNS0_4arch9wavefront6targetE0EEEvT1_.num_vgpr, 0
	.set _ZN7rocprim17ROCPRIM_400000_NS6detail17trampoline_kernelINS0_14default_configENS1_27scan_by_key_config_selectorIxxEEZZNS1_16scan_by_key_implILNS1_25lookback_scan_determinismE0ELb1ES3_N6thrust23THRUST_200600_302600_NS6detail15normal_iteratorINS9_10device_ptrIxEEEESE_SE_xNS9_4plusIxEE19head_flag_predicatexEE10hipError_tPvRmT2_T3_T4_T5_mT6_T7_P12ihipStream_tbENKUlT_T0_E_clISt17integral_constantIbLb1EESY_EEDaST_SU_EUlST_E_NS1_11comp_targetILNS1_3genE0ELNS1_11target_archE4294967295ELNS1_3gpuE0ELNS1_3repE0EEENS1_30default_config_static_selectorELNS0_4arch9wavefront6targetE0EEEvT1_.num_agpr, 0
	.set _ZN7rocprim17ROCPRIM_400000_NS6detail17trampoline_kernelINS0_14default_configENS1_27scan_by_key_config_selectorIxxEEZZNS1_16scan_by_key_implILNS1_25lookback_scan_determinismE0ELb1ES3_N6thrust23THRUST_200600_302600_NS6detail15normal_iteratorINS9_10device_ptrIxEEEESE_SE_xNS9_4plusIxEE19head_flag_predicatexEE10hipError_tPvRmT2_T3_T4_T5_mT6_T7_P12ihipStream_tbENKUlT_T0_E_clISt17integral_constantIbLb1EESY_EEDaST_SU_EUlST_E_NS1_11comp_targetILNS1_3genE0ELNS1_11target_archE4294967295ELNS1_3gpuE0ELNS1_3repE0EEENS1_30default_config_static_selectorELNS0_4arch9wavefront6targetE0EEEvT1_.numbered_sgpr, 0
	.set _ZN7rocprim17ROCPRIM_400000_NS6detail17trampoline_kernelINS0_14default_configENS1_27scan_by_key_config_selectorIxxEEZZNS1_16scan_by_key_implILNS1_25lookback_scan_determinismE0ELb1ES3_N6thrust23THRUST_200600_302600_NS6detail15normal_iteratorINS9_10device_ptrIxEEEESE_SE_xNS9_4plusIxEE19head_flag_predicatexEE10hipError_tPvRmT2_T3_T4_T5_mT6_T7_P12ihipStream_tbENKUlT_T0_E_clISt17integral_constantIbLb1EESY_EEDaST_SU_EUlST_E_NS1_11comp_targetILNS1_3genE0ELNS1_11target_archE4294967295ELNS1_3gpuE0ELNS1_3repE0EEENS1_30default_config_static_selectorELNS0_4arch9wavefront6targetE0EEEvT1_.num_named_barrier, 0
	.set _ZN7rocprim17ROCPRIM_400000_NS6detail17trampoline_kernelINS0_14default_configENS1_27scan_by_key_config_selectorIxxEEZZNS1_16scan_by_key_implILNS1_25lookback_scan_determinismE0ELb1ES3_N6thrust23THRUST_200600_302600_NS6detail15normal_iteratorINS9_10device_ptrIxEEEESE_SE_xNS9_4plusIxEE19head_flag_predicatexEE10hipError_tPvRmT2_T3_T4_T5_mT6_T7_P12ihipStream_tbENKUlT_T0_E_clISt17integral_constantIbLb1EESY_EEDaST_SU_EUlST_E_NS1_11comp_targetILNS1_3genE0ELNS1_11target_archE4294967295ELNS1_3gpuE0ELNS1_3repE0EEENS1_30default_config_static_selectorELNS0_4arch9wavefront6targetE0EEEvT1_.private_seg_size, 0
	.set _ZN7rocprim17ROCPRIM_400000_NS6detail17trampoline_kernelINS0_14default_configENS1_27scan_by_key_config_selectorIxxEEZZNS1_16scan_by_key_implILNS1_25lookback_scan_determinismE0ELb1ES3_N6thrust23THRUST_200600_302600_NS6detail15normal_iteratorINS9_10device_ptrIxEEEESE_SE_xNS9_4plusIxEE19head_flag_predicatexEE10hipError_tPvRmT2_T3_T4_T5_mT6_T7_P12ihipStream_tbENKUlT_T0_E_clISt17integral_constantIbLb1EESY_EEDaST_SU_EUlST_E_NS1_11comp_targetILNS1_3genE0ELNS1_11target_archE4294967295ELNS1_3gpuE0ELNS1_3repE0EEENS1_30default_config_static_selectorELNS0_4arch9wavefront6targetE0EEEvT1_.uses_vcc, 0
	.set _ZN7rocprim17ROCPRIM_400000_NS6detail17trampoline_kernelINS0_14default_configENS1_27scan_by_key_config_selectorIxxEEZZNS1_16scan_by_key_implILNS1_25lookback_scan_determinismE0ELb1ES3_N6thrust23THRUST_200600_302600_NS6detail15normal_iteratorINS9_10device_ptrIxEEEESE_SE_xNS9_4plusIxEE19head_flag_predicatexEE10hipError_tPvRmT2_T3_T4_T5_mT6_T7_P12ihipStream_tbENKUlT_T0_E_clISt17integral_constantIbLb1EESY_EEDaST_SU_EUlST_E_NS1_11comp_targetILNS1_3genE0ELNS1_11target_archE4294967295ELNS1_3gpuE0ELNS1_3repE0EEENS1_30default_config_static_selectorELNS0_4arch9wavefront6targetE0EEEvT1_.uses_flat_scratch, 0
	.set _ZN7rocprim17ROCPRIM_400000_NS6detail17trampoline_kernelINS0_14default_configENS1_27scan_by_key_config_selectorIxxEEZZNS1_16scan_by_key_implILNS1_25lookback_scan_determinismE0ELb1ES3_N6thrust23THRUST_200600_302600_NS6detail15normal_iteratorINS9_10device_ptrIxEEEESE_SE_xNS9_4plusIxEE19head_flag_predicatexEE10hipError_tPvRmT2_T3_T4_T5_mT6_T7_P12ihipStream_tbENKUlT_T0_E_clISt17integral_constantIbLb1EESY_EEDaST_SU_EUlST_E_NS1_11comp_targetILNS1_3genE0ELNS1_11target_archE4294967295ELNS1_3gpuE0ELNS1_3repE0EEENS1_30default_config_static_selectorELNS0_4arch9wavefront6targetE0EEEvT1_.has_dyn_sized_stack, 0
	.set _ZN7rocprim17ROCPRIM_400000_NS6detail17trampoline_kernelINS0_14default_configENS1_27scan_by_key_config_selectorIxxEEZZNS1_16scan_by_key_implILNS1_25lookback_scan_determinismE0ELb1ES3_N6thrust23THRUST_200600_302600_NS6detail15normal_iteratorINS9_10device_ptrIxEEEESE_SE_xNS9_4plusIxEE19head_flag_predicatexEE10hipError_tPvRmT2_T3_T4_T5_mT6_T7_P12ihipStream_tbENKUlT_T0_E_clISt17integral_constantIbLb1EESY_EEDaST_SU_EUlST_E_NS1_11comp_targetILNS1_3genE0ELNS1_11target_archE4294967295ELNS1_3gpuE0ELNS1_3repE0EEENS1_30default_config_static_selectorELNS0_4arch9wavefront6targetE0EEEvT1_.has_recursion, 0
	.set _ZN7rocprim17ROCPRIM_400000_NS6detail17trampoline_kernelINS0_14default_configENS1_27scan_by_key_config_selectorIxxEEZZNS1_16scan_by_key_implILNS1_25lookback_scan_determinismE0ELb1ES3_N6thrust23THRUST_200600_302600_NS6detail15normal_iteratorINS9_10device_ptrIxEEEESE_SE_xNS9_4plusIxEE19head_flag_predicatexEE10hipError_tPvRmT2_T3_T4_T5_mT6_T7_P12ihipStream_tbENKUlT_T0_E_clISt17integral_constantIbLb1EESY_EEDaST_SU_EUlST_E_NS1_11comp_targetILNS1_3genE0ELNS1_11target_archE4294967295ELNS1_3gpuE0ELNS1_3repE0EEENS1_30default_config_static_selectorELNS0_4arch9wavefront6targetE0EEEvT1_.has_indirect_call, 0
	.section	.AMDGPU.csdata,"",@progbits
; Kernel info:
; codeLenInByte = 0
; TotalNumSgprs: 0
; NumVgprs: 0
; ScratchSize: 0
; MemoryBound: 0
; FloatMode: 240
; IeeeMode: 1
; LDSByteSize: 0 bytes/workgroup (compile time only)
; SGPRBlocks: 0
; VGPRBlocks: 0
; NumSGPRsForWavesPerEU: 1
; NumVGPRsForWavesPerEU: 1
; Occupancy: 16
; WaveLimiterHint : 0
; COMPUTE_PGM_RSRC2:SCRATCH_EN: 0
; COMPUTE_PGM_RSRC2:USER_SGPR: 6
; COMPUTE_PGM_RSRC2:TRAP_HANDLER: 0
; COMPUTE_PGM_RSRC2:TGID_X_EN: 1
; COMPUTE_PGM_RSRC2:TGID_Y_EN: 0
; COMPUTE_PGM_RSRC2:TGID_Z_EN: 0
; COMPUTE_PGM_RSRC2:TIDIG_COMP_CNT: 0
	.section	.text._ZN7rocprim17ROCPRIM_400000_NS6detail17trampoline_kernelINS0_14default_configENS1_27scan_by_key_config_selectorIxxEEZZNS1_16scan_by_key_implILNS1_25lookback_scan_determinismE0ELb1ES3_N6thrust23THRUST_200600_302600_NS6detail15normal_iteratorINS9_10device_ptrIxEEEESE_SE_xNS9_4plusIxEE19head_flag_predicatexEE10hipError_tPvRmT2_T3_T4_T5_mT6_T7_P12ihipStream_tbENKUlT_T0_E_clISt17integral_constantIbLb1EESY_EEDaST_SU_EUlST_E_NS1_11comp_targetILNS1_3genE10ELNS1_11target_archE1201ELNS1_3gpuE5ELNS1_3repE0EEENS1_30default_config_static_selectorELNS0_4arch9wavefront6targetE0EEEvT1_,"axG",@progbits,_ZN7rocprim17ROCPRIM_400000_NS6detail17trampoline_kernelINS0_14default_configENS1_27scan_by_key_config_selectorIxxEEZZNS1_16scan_by_key_implILNS1_25lookback_scan_determinismE0ELb1ES3_N6thrust23THRUST_200600_302600_NS6detail15normal_iteratorINS9_10device_ptrIxEEEESE_SE_xNS9_4plusIxEE19head_flag_predicatexEE10hipError_tPvRmT2_T3_T4_T5_mT6_T7_P12ihipStream_tbENKUlT_T0_E_clISt17integral_constantIbLb1EESY_EEDaST_SU_EUlST_E_NS1_11comp_targetILNS1_3genE10ELNS1_11target_archE1201ELNS1_3gpuE5ELNS1_3repE0EEENS1_30default_config_static_selectorELNS0_4arch9wavefront6targetE0EEEvT1_,comdat
	.protected	_ZN7rocprim17ROCPRIM_400000_NS6detail17trampoline_kernelINS0_14default_configENS1_27scan_by_key_config_selectorIxxEEZZNS1_16scan_by_key_implILNS1_25lookback_scan_determinismE0ELb1ES3_N6thrust23THRUST_200600_302600_NS6detail15normal_iteratorINS9_10device_ptrIxEEEESE_SE_xNS9_4plusIxEE19head_flag_predicatexEE10hipError_tPvRmT2_T3_T4_T5_mT6_T7_P12ihipStream_tbENKUlT_T0_E_clISt17integral_constantIbLb1EESY_EEDaST_SU_EUlST_E_NS1_11comp_targetILNS1_3genE10ELNS1_11target_archE1201ELNS1_3gpuE5ELNS1_3repE0EEENS1_30default_config_static_selectorELNS0_4arch9wavefront6targetE0EEEvT1_ ; -- Begin function _ZN7rocprim17ROCPRIM_400000_NS6detail17trampoline_kernelINS0_14default_configENS1_27scan_by_key_config_selectorIxxEEZZNS1_16scan_by_key_implILNS1_25lookback_scan_determinismE0ELb1ES3_N6thrust23THRUST_200600_302600_NS6detail15normal_iteratorINS9_10device_ptrIxEEEESE_SE_xNS9_4plusIxEE19head_flag_predicatexEE10hipError_tPvRmT2_T3_T4_T5_mT6_T7_P12ihipStream_tbENKUlT_T0_E_clISt17integral_constantIbLb1EESY_EEDaST_SU_EUlST_E_NS1_11comp_targetILNS1_3genE10ELNS1_11target_archE1201ELNS1_3gpuE5ELNS1_3repE0EEENS1_30default_config_static_selectorELNS0_4arch9wavefront6targetE0EEEvT1_
	.globl	_ZN7rocprim17ROCPRIM_400000_NS6detail17trampoline_kernelINS0_14default_configENS1_27scan_by_key_config_selectorIxxEEZZNS1_16scan_by_key_implILNS1_25lookback_scan_determinismE0ELb1ES3_N6thrust23THRUST_200600_302600_NS6detail15normal_iteratorINS9_10device_ptrIxEEEESE_SE_xNS9_4plusIxEE19head_flag_predicatexEE10hipError_tPvRmT2_T3_T4_T5_mT6_T7_P12ihipStream_tbENKUlT_T0_E_clISt17integral_constantIbLb1EESY_EEDaST_SU_EUlST_E_NS1_11comp_targetILNS1_3genE10ELNS1_11target_archE1201ELNS1_3gpuE5ELNS1_3repE0EEENS1_30default_config_static_selectorELNS0_4arch9wavefront6targetE0EEEvT1_
	.p2align	8
	.type	_ZN7rocprim17ROCPRIM_400000_NS6detail17trampoline_kernelINS0_14default_configENS1_27scan_by_key_config_selectorIxxEEZZNS1_16scan_by_key_implILNS1_25lookback_scan_determinismE0ELb1ES3_N6thrust23THRUST_200600_302600_NS6detail15normal_iteratorINS9_10device_ptrIxEEEESE_SE_xNS9_4plusIxEE19head_flag_predicatexEE10hipError_tPvRmT2_T3_T4_T5_mT6_T7_P12ihipStream_tbENKUlT_T0_E_clISt17integral_constantIbLb1EESY_EEDaST_SU_EUlST_E_NS1_11comp_targetILNS1_3genE10ELNS1_11target_archE1201ELNS1_3gpuE5ELNS1_3repE0EEENS1_30default_config_static_selectorELNS0_4arch9wavefront6targetE0EEEvT1_,@function
_ZN7rocprim17ROCPRIM_400000_NS6detail17trampoline_kernelINS0_14default_configENS1_27scan_by_key_config_selectorIxxEEZZNS1_16scan_by_key_implILNS1_25lookback_scan_determinismE0ELb1ES3_N6thrust23THRUST_200600_302600_NS6detail15normal_iteratorINS9_10device_ptrIxEEEESE_SE_xNS9_4plusIxEE19head_flag_predicatexEE10hipError_tPvRmT2_T3_T4_T5_mT6_T7_P12ihipStream_tbENKUlT_T0_E_clISt17integral_constantIbLb1EESY_EEDaST_SU_EUlST_E_NS1_11comp_targetILNS1_3genE10ELNS1_11target_archE1201ELNS1_3gpuE5ELNS1_3repE0EEENS1_30default_config_static_selectorELNS0_4arch9wavefront6targetE0EEEvT1_: ; @_ZN7rocprim17ROCPRIM_400000_NS6detail17trampoline_kernelINS0_14default_configENS1_27scan_by_key_config_selectorIxxEEZZNS1_16scan_by_key_implILNS1_25lookback_scan_determinismE0ELb1ES3_N6thrust23THRUST_200600_302600_NS6detail15normal_iteratorINS9_10device_ptrIxEEEESE_SE_xNS9_4plusIxEE19head_flag_predicatexEE10hipError_tPvRmT2_T3_T4_T5_mT6_T7_P12ihipStream_tbENKUlT_T0_E_clISt17integral_constantIbLb1EESY_EEDaST_SU_EUlST_E_NS1_11comp_targetILNS1_3genE10ELNS1_11target_archE1201ELNS1_3gpuE5ELNS1_3repE0EEENS1_30default_config_static_selectorELNS0_4arch9wavefront6targetE0EEEvT1_
; %bb.0:
	.section	.rodata,"a",@progbits
	.p2align	6, 0x0
	.amdhsa_kernel _ZN7rocprim17ROCPRIM_400000_NS6detail17trampoline_kernelINS0_14default_configENS1_27scan_by_key_config_selectorIxxEEZZNS1_16scan_by_key_implILNS1_25lookback_scan_determinismE0ELb1ES3_N6thrust23THRUST_200600_302600_NS6detail15normal_iteratorINS9_10device_ptrIxEEEESE_SE_xNS9_4plusIxEE19head_flag_predicatexEE10hipError_tPvRmT2_T3_T4_T5_mT6_T7_P12ihipStream_tbENKUlT_T0_E_clISt17integral_constantIbLb1EESY_EEDaST_SU_EUlST_E_NS1_11comp_targetILNS1_3genE10ELNS1_11target_archE1201ELNS1_3gpuE5ELNS1_3repE0EEENS1_30default_config_static_selectorELNS0_4arch9wavefront6targetE0EEEvT1_
		.amdhsa_group_segment_fixed_size 0
		.amdhsa_private_segment_fixed_size 0
		.amdhsa_kernarg_size 136
		.amdhsa_user_sgpr_count 6
		.amdhsa_user_sgpr_private_segment_buffer 1
		.amdhsa_user_sgpr_dispatch_ptr 0
		.amdhsa_user_sgpr_queue_ptr 0
		.amdhsa_user_sgpr_kernarg_segment_ptr 1
		.amdhsa_user_sgpr_dispatch_id 0
		.amdhsa_user_sgpr_flat_scratch_init 0
		.amdhsa_user_sgpr_private_segment_size 0
		.amdhsa_wavefront_size32 1
		.amdhsa_uses_dynamic_stack 0
		.amdhsa_system_sgpr_private_segment_wavefront_offset 0
		.amdhsa_system_sgpr_workgroup_id_x 1
		.amdhsa_system_sgpr_workgroup_id_y 0
		.amdhsa_system_sgpr_workgroup_id_z 0
		.amdhsa_system_sgpr_workgroup_info 0
		.amdhsa_system_vgpr_workitem_id 0
		.amdhsa_next_free_vgpr 1
		.amdhsa_next_free_sgpr 1
		.amdhsa_reserve_vcc 0
		.amdhsa_reserve_flat_scratch 0
		.amdhsa_float_round_mode_32 0
		.amdhsa_float_round_mode_16_64 0
		.amdhsa_float_denorm_mode_32 3
		.amdhsa_float_denorm_mode_16_64 3
		.amdhsa_dx10_clamp 1
		.amdhsa_ieee_mode 1
		.amdhsa_fp16_overflow 0
		.amdhsa_workgroup_processor_mode 1
		.amdhsa_memory_ordered 1
		.amdhsa_forward_progress 1
		.amdhsa_shared_vgpr_count 0
		.amdhsa_exception_fp_ieee_invalid_op 0
		.amdhsa_exception_fp_denorm_src 0
		.amdhsa_exception_fp_ieee_div_zero 0
		.amdhsa_exception_fp_ieee_overflow 0
		.amdhsa_exception_fp_ieee_underflow 0
		.amdhsa_exception_fp_ieee_inexact 0
		.amdhsa_exception_int_div_zero 0
	.end_amdhsa_kernel
	.section	.text._ZN7rocprim17ROCPRIM_400000_NS6detail17trampoline_kernelINS0_14default_configENS1_27scan_by_key_config_selectorIxxEEZZNS1_16scan_by_key_implILNS1_25lookback_scan_determinismE0ELb1ES3_N6thrust23THRUST_200600_302600_NS6detail15normal_iteratorINS9_10device_ptrIxEEEESE_SE_xNS9_4plusIxEE19head_flag_predicatexEE10hipError_tPvRmT2_T3_T4_T5_mT6_T7_P12ihipStream_tbENKUlT_T0_E_clISt17integral_constantIbLb1EESY_EEDaST_SU_EUlST_E_NS1_11comp_targetILNS1_3genE10ELNS1_11target_archE1201ELNS1_3gpuE5ELNS1_3repE0EEENS1_30default_config_static_selectorELNS0_4arch9wavefront6targetE0EEEvT1_,"axG",@progbits,_ZN7rocprim17ROCPRIM_400000_NS6detail17trampoline_kernelINS0_14default_configENS1_27scan_by_key_config_selectorIxxEEZZNS1_16scan_by_key_implILNS1_25lookback_scan_determinismE0ELb1ES3_N6thrust23THRUST_200600_302600_NS6detail15normal_iteratorINS9_10device_ptrIxEEEESE_SE_xNS9_4plusIxEE19head_flag_predicatexEE10hipError_tPvRmT2_T3_T4_T5_mT6_T7_P12ihipStream_tbENKUlT_T0_E_clISt17integral_constantIbLb1EESY_EEDaST_SU_EUlST_E_NS1_11comp_targetILNS1_3genE10ELNS1_11target_archE1201ELNS1_3gpuE5ELNS1_3repE0EEENS1_30default_config_static_selectorELNS0_4arch9wavefront6targetE0EEEvT1_,comdat
.Lfunc_end723:
	.size	_ZN7rocprim17ROCPRIM_400000_NS6detail17trampoline_kernelINS0_14default_configENS1_27scan_by_key_config_selectorIxxEEZZNS1_16scan_by_key_implILNS1_25lookback_scan_determinismE0ELb1ES3_N6thrust23THRUST_200600_302600_NS6detail15normal_iteratorINS9_10device_ptrIxEEEESE_SE_xNS9_4plusIxEE19head_flag_predicatexEE10hipError_tPvRmT2_T3_T4_T5_mT6_T7_P12ihipStream_tbENKUlT_T0_E_clISt17integral_constantIbLb1EESY_EEDaST_SU_EUlST_E_NS1_11comp_targetILNS1_3genE10ELNS1_11target_archE1201ELNS1_3gpuE5ELNS1_3repE0EEENS1_30default_config_static_selectorELNS0_4arch9wavefront6targetE0EEEvT1_, .Lfunc_end723-_ZN7rocprim17ROCPRIM_400000_NS6detail17trampoline_kernelINS0_14default_configENS1_27scan_by_key_config_selectorIxxEEZZNS1_16scan_by_key_implILNS1_25lookback_scan_determinismE0ELb1ES3_N6thrust23THRUST_200600_302600_NS6detail15normal_iteratorINS9_10device_ptrIxEEEESE_SE_xNS9_4plusIxEE19head_flag_predicatexEE10hipError_tPvRmT2_T3_T4_T5_mT6_T7_P12ihipStream_tbENKUlT_T0_E_clISt17integral_constantIbLb1EESY_EEDaST_SU_EUlST_E_NS1_11comp_targetILNS1_3genE10ELNS1_11target_archE1201ELNS1_3gpuE5ELNS1_3repE0EEENS1_30default_config_static_selectorELNS0_4arch9wavefront6targetE0EEEvT1_
                                        ; -- End function
	.set _ZN7rocprim17ROCPRIM_400000_NS6detail17trampoline_kernelINS0_14default_configENS1_27scan_by_key_config_selectorIxxEEZZNS1_16scan_by_key_implILNS1_25lookback_scan_determinismE0ELb1ES3_N6thrust23THRUST_200600_302600_NS6detail15normal_iteratorINS9_10device_ptrIxEEEESE_SE_xNS9_4plusIxEE19head_flag_predicatexEE10hipError_tPvRmT2_T3_T4_T5_mT6_T7_P12ihipStream_tbENKUlT_T0_E_clISt17integral_constantIbLb1EESY_EEDaST_SU_EUlST_E_NS1_11comp_targetILNS1_3genE10ELNS1_11target_archE1201ELNS1_3gpuE5ELNS1_3repE0EEENS1_30default_config_static_selectorELNS0_4arch9wavefront6targetE0EEEvT1_.num_vgpr, 0
	.set _ZN7rocprim17ROCPRIM_400000_NS6detail17trampoline_kernelINS0_14default_configENS1_27scan_by_key_config_selectorIxxEEZZNS1_16scan_by_key_implILNS1_25lookback_scan_determinismE0ELb1ES3_N6thrust23THRUST_200600_302600_NS6detail15normal_iteratorINS9_10device_ptrIxEEEESE_SE_xNS9_4plusIxEE19head_flag_predicatexEE10hipError_tPvRmT2_T3_T4_T5_mT6_T7_P12ihipStream_tbENKUlT_T0_E_clISt17integral_constantIbLb1EESY_EEDaST_SU_EUlST_E_NS1_11comp_targetILNS1_3genE10ELNS1_11target_archE1201ELNS1_3gpuE5ELNS1_3repE0EEENS1_30default_config_static_selectorELNS0_4arch9wavefront6targetE0EEEvT1_.num_agpr, 0
	.set _ZN7rocprim17ROCPRIM_400000_NS6detail17trampoline_kernelINS0_14default_configENS1_27scan_by_key_config_selectorIxxEEZZNS1_16scan_by_key_implILNS1_25lookback_scan_determinismE0ELb1ES3_N6thrust23THRUST_200600_302600_NS6detail15normal_iteratorINS9_10device_ptrIxEEEESE_SE_xNS9_4plusIxEE19head_flag_predicatexEE10hipError_tPvRmT2_T3_T4_T5_mT6_T7_P12ihipStream_tbENKUlT_T0_E_clISt17integral_constantIbLb1EESY_EEDaST_SU_EUlST_E_NS1_11comp_targetILNS1_3genE10ELNS1_11target_archE1201ELNS1_3gpuE5ELNS1_3repE0EEENS1_30default_config_static_selectorELNS0_4arch9wavefront6targetE0EEEvT1_.numbered_sgpr, 0
	.set _ZN7rocprim17ROCPRIM_400000_NS6detail17trampoline_kernelINS0_14default_configENS1_27scan_by_key_config_selectorIxxEEZZNS1_16scan_by_key_implILNS1_25lookback_scan_determinismE0ELb1ES3_N6thrust23THRUST_200600_302600_NS6detail15normal_iteratorINS9_10device_ptrIxEEEESE_SE_xNS9_4plusIxEE19head_flag_predicatexEE10hipError_tPvRmT2_T3_T4_T5_mT6_T7_P12ihipStream_tbENKUlT_T0_E_clISt17integral_constantIbLb1EESY_EEDaST_SU_EUlST_E_NS1_11comp_targetILNS1_3genE10ELNS1_11target_archE1201ELNS1_3gpuE5ELNS1_3repE0EEENS1_30default_config_static_selectorELNS0_4arch9wavefront6targetE0EEEvT1_.num_named_barrier, 0
	.set _ZN7rocprim17ROCPRIM_400000_NS6detail17trampoline_kernelINS0_14default_configENS1_27scan_by_key_config_selectorIxxEEZZNS1_16scan_by_key_implILNS1_25lookback_scan_determinismE0ELb1ES3_N6thrust23THRUST_200600_302600_NS6detail15normal_iteratorINS9_10device_ptrIxEEEESE_SE_xNS9_4plusIxEE19head_flag_predicatexEE10hipError_tPvRmT2_T3_T4_T5_mT6_T7_P12ihipStream_tbENKUlT_T0_E_clISt17integral_constantIbLb1EESY_EEDaST_SU_EUlST_E_NS1_11comp_targetILNS1_3genE10ELNS1_11target_archE1201ELNS1_3gpuE5ELNS1_3repE0EEENS1_30default_config_static_selectorELNS0_4arch9wavefront6targetE0EEEvT1_.private_seg_size, 0
	.set _ZN7rocprim17ROCPRIM_400000_NS6detail17trampoline_kernelINS0_14default_configENS1_27scan_by_key_config_selectorIxxEEZZNS1_16scan_by_key_implILNS1_25lookback_scan_determinismE0ELb1ES3_N6thrust23THRUST_200600_302600_NS6detail15normal_iteratorINS9_10device_ptrIxEEEESE_SE_xNS9_4plusIxEE19head_flag_predicatexEE10hipError_tPvRmT2_T3_T4_T5_mT6_T7_P12ihipStream_tbENKUlT_T0_E_clISt17integral_constantIbLb1EESY_EEDaST_SU_EUlST_E_NS1_11comp_targetILNS1_3genE10ELNS1_11target_archE1201ELNS1_3gpuE5ELNS1_3repE0EEENS1_30default_config_static_selectorELNS0_4arch9wavefront6targetE0EEEvT1_.uses_vcc, 0
	.set _ZN7rocprim17ROCPRIM_400000_NS6detail17trampoline_kernelINS0_14default_configENS1_27scan_by_key_config_selectorIxxEEZZNS1_16scan_by_key_implILNS1_25lookback_scan_determinismE0ELb1ES3_N6thrust23THRUST_200600_302600_NS6detail15normal_iteratorINS9_10device_ptrIxEEEESE_SE_xNS9_4plusIxEE19head_flag_predicatexEE10hipError_tPvRmT2_T3_T4_T5_mT6_T7_P12ihipStream_tbENKUlT_T0_E_clISt17integral_constantIbLb1EESY_EEDaST_SU_EUlST_E_NS1_11comp_targetILNS1_3genE10ELNS1_11target_archE1201ELNS1_3gpuE5ELNS1_3repE0EEENS1_30default_config_static_selectorELNS0_4arch9wavefront6targetE0EEEvT1_.uses_flat_scratch, 0
	.set _ZN7rocprim17ROCPRIM_400000_NS6detail17trampoline_kernelINS0_14default_configENS1_27scan_by_key_config_selectorIxxEEZZNS1_16scan_by_key_implILNS1_25lookback_scan_determinismE0ELb1ES3_N6thrust23THRUST_200600_302600_NS6detail15normal_iteratorINS9_10device_ptrIxEEEESE_SE_xNS9_4plusIxEE19head_flag_predicatexEE10hipError_tPvRmT2_T3_T4_T5_mT6_T7_P12ihipStream_tbENKUlT_T0_E_clISt17integral_constantIbLb1EESY_EEDaST_SU_EUlST_E_NS1_11comp_targetILNS1_3genE10ELNS1_11target_archE1201ELNS1_3gpuE5ELNS1_3repE0EEENS1_30default_config_static_selectorELNS0_4arch9wavefront6targetE0EEEvT1_.has_dyn_sized_stack, 0
	.set _ZN7rocprim17ROCPRIM_400000_NS6detail17trampoline_kernelINS0_14default_configENS1_27scan_by_key_config_selectorIxxEEZZNS1_16scan_by_key_implILNS1_25lookback_scan_determinismE0ELb1ES3_N6thrust23THRUST_200600_302600_NS6detail15normal_iteratorINS9_10device_ptrIxEEEESE_SE_xNS9_4plusIxEE19head_flag_predicatexEE10hipError_tPvRmT2_T3_T4_T5_mT6_T7_P12ihipStream_tbENKUlT_T0_E_clISt17integral_constantIbLb1EESY_EEDaST_SU_EUlST_E_NS1_11comp_targetILNS1_3genE10ELNS1_11target_archE1201ELNS1_3gpuE5ELNS1_3repE0EEENS1_30default_config_static_selectorELNS0_4arch9wavefront6targetE0EEEvT1_.has_recursion, 0
	.set _ZN7rocprim17ROCPRIM_400000_NS6detail17trampoline_kernelINS0_14default_configENS1_27scan_by_key_config_selectorIxxEEZZNS1_16scan_by_key_implILNS1_25lookback_scan_determinismE0ELb1ES3_N6thrust23THRUST_200600_302600_NS6detail15normal_iteratorINS9_10device_ptrIxEEEESE_SE_xNS9_4plusIxEE19head_flag_predicatexEE10hipError_tPvRmT2_T3_T4_T5_mT6_T7_P12ihipStream_tbENKUlT_T0_E_clISt17integral_constantIbLb1EESY_EEDaST_SU_EUlST_E_NS1_11comp_targetILNS1_3genE10ELNS1_11target_archE1201ELNS1_3gpuE5ELNS1_3repE0EEENS1_30default_config_static_selectorELNS0_4arch9wavefront6targetE0EEEvT1_.has_indirect_call, 0
	.section	.AMDGPU.csdata,"",@progbits
; Kernel info:
; codeLenInByte = 0
; TotalNumSgprs: 0
; NumVgprs: 0
; ScratchSize: 0
; MemoryBound: 0
; FloatMode: 240
; IeeeMode: 1
; LDSByteSize: 0 bytes/workgroup (compile time only)
; SGPRBlocks: 0
; VGPRBlocks: 0
; NumSGPRsForWavesPerEU: 1
; NumVGPRsForWavesPerEU: 1
; Occupancy: 16
; WaveLimiterHint : 0
; COMPUTE_PGM_RSRC2:SCRATCH_EN: 0
; COMPUTE_PGM_RSRC2:USER_SGPR: 6
; COMPUTE_PGM_RSRC2:TRAP_HANDLER: 0
; COMPUTE_PGM_RSRC2:TGID_X_EN: 1
; COMPUTE_PGM_RSRC2:TGID_Y_EN: 0
; COMPUTE_PGM_RSRC2:TGID_Z_EN: 0
; COMPUTE_PGM_RSRC2:TIDIG_COMP_CNT: 0
	.section	.text._ZN7rocprim17ROCPRIM_400000_NS6detail17trampoline_kernelINS0_14default_configENS1_27scan_by_key_config_selectorIxxEEZZNS1_16scan_by_key_implILNS1_25lookback_scan_determinismE0ELb1ES3_N6thrust23THRUST_200600_302600_NS6detail15normal_iteratorINS9_10device_ptrIxEEEESE_SE_xNS9_4plusIxEE19head_flag_predicatexEE10hipError_tPvRmT2_T3_T4_T5_mT6_T7_P12ihipStream_tbENKUlT_T0_E_clISt17integral_constantIbLb1EESY_EEDaST_SU_EUlST_E_NS1_11comp_targetILNS1_3genE5ELNS1_11target_archE942ELNS1_3gpuE9ELNS1_3repE0EEENS1_30default_config_static_selectorELNS0_4arch9wavefront6targetE0EEEvT1_,"axG",@progbits,_ZN7rocprim17ROCPRIM_400000_NS6detail17trampoline_kernelINS0_14default_configENS1_27scan_by_key_config_selectorIxxEEZZNS1_16scan_by_key_implILNS1_25lookback_scan_determinismE0ELb1ES3_N6thrust23THRUST_200600_302600_NS6detail15normal_iteratorINS9_10device_ptrIxEEEESE_SE_xNS9_4plusIxEE19head_flag_predicatexEE10hipError_tPvRmT2_T3_T4_T5_mT6_T7_P12ihipStream_tbENKUlT_T0_E_clISt17integral_constantIbLb1EESY_EEDaST_SU_EUlST_E_NS1_11comp_targetILNS1_3genE5ELNS1_11target_archE942ELNS1_3gpuE9ELNS1_3repE0EEENS1_30default_config_static_selectorELNS0_4arch9wavefront6targetE0EEEvT1_,comdat
	.protected	_ZN7rocprim17ROCPRIM_400000_NS6detail17trampoline_kernelINS0_14default_configENS1_27scan_by_key_config_selectorIxxEEZZNS1_16scan_by_key_implILNS1_25lookback_scan_determinismE0ELb1ES3_N6thrust23THRUST_200600_302600_NS6detail15normal_iteratorINS9_10device_ptrIxEEEESE_SE_xNS9_4plusIxEE19head_flag_predicatexEE10hipError_tPvRmT2_T3_T4_T5_mT6_T7_P12ihipStream_tbENKUlT_T0_E_clISt17integral_constantIbLb1EESY_EEDaST_SU_EUlST_E_NS1_11comp_targetILNS1_3genE5ELNS1_11target_archE942ELNS1_3gpuE9ELNS1_3repE0EEENS1_30default_config_static_selectorELNS0_4arch9wavefront6targetE0EEEvT1_ ; -- Begin function _ZN7rocprim17ROCPRIM_400000_NS6detail17trampoline_kernelINS0_14default_configENS1_27scan_by_key_config_selectorIxxEEZZNS1_16scan_by_key_implILNS1_25lookback_scan_determinismE0ELb1ES3_N6thrust23THRUST_200600_302600_NS6detail15normal_iteratorINS9_10device_ptrIxEEEESE_SE_xNS9_4plusIxEE19head_flag_predicatexEE10hipError_tPvRmT2_T3_T4_T5_mT6_T7_P12ihipStream_tbENKUlT_T0_E_clISt17integral_constantIbLb1EESY_EEDaST_SU_EUlST_E_NS1_11comp_targetILNS1_3genE5ELNS1_11target_archE942ELNS1_3gpuE9ELNS1_3repE0EEENS1_30default_config_static_selectorELNS0_4arch9wavefront6targetE0EEEvT1_
	.globl	_ZN7rocprim17ROCPRIM_400000_NS6detail17trampoline_kernelINS0_14default_configENS1_27scan_by_key_config_selectorIxxEEZZNS1_16scan_by_key_implILNS1_25lookback_scan_determinismE0ELb1ES3_N6thrust23THRUST_200600_302600_NS6detail15normal_iteratorINS9_10device_ptrIxEEEESE_SE_xNS9_4plusIxEE19head_flag_predicatexEE10hipError_tPvRmT2_T3_T4_T5_mT6_T7_P12ihipStream_tbENKUlT_T0_E_clISt17integral_constantIbLb1EESY_EEDaST_SU_EUlST_E_NS1_11comp_targetILNS1_3genE5ELNS1_11target_archE942ELNS1_3gpuE9ELNS1_3repE0EEENS1_30default_config_static_selectorELNS0_4arch9wavefront6targetE0EEEvT1_
	.p2align	8
	.type	_ZN7rocprim17ROCPRIM_400000_NS6detail17trampoline_kernelINS0_14default_configENS1_27scan_by_key_config_selectorIxxEEZZNS1_16scan_by_key_implILNS1_25lookback_scan_determinismE0ELb1ES3_N6thrust23THRUST_200600_302600_NS6detail15normal_iteratorINS9_10device_ptrIxEEEESE_SE_xNS9_4plusIxEE19head_flag_predicatexEE10hipError_tPvRmT2_T3_T4_T5_mT6_T7_P12ihipStream_tbENKUlT_T0_E_clISt17integral_constantIbLb1EESY_EEDaST_SU_EUlST_E_NS1_11comp_targetILNS1_3genE5ELNS1_11target_archE942ELNS1_3gpuE9ELNS1_3repE0EEENS1_30default_config_static_selectorELNS0_4arch9wavefront6targetE0EEEvT1_,@function
_ZN7rocprim17ROCPRIM_400000_NS6detail17trampoline_kernelINS0_14default_configENS1_27scan_by_key_config_selectorIxxEEZZNS1_16scan_by_key_implILNS1_25lookback_scan_determinismE0ELb1ES3_N6thrust23THRUST_200600_302600_NS6detail15normal_iteratorINS9_10device_ptrIxEEEESE_SE_xNS9_4plusIxEE19head_flag_predicatexEE10hipError_tPvRmT2_T3_T4_T5_mT6_T7_P12ihipStream_tbENKUlT_T0_E_clISt17integral_constantIbLb1EESY_EEDaST_SU_EUlST_E_NS1_11comp_targetILNS1_3genE5ELNS1_11target_archE942ELNS1_3gpuE9ELNS1_3repE0EEENS1_30default_config_static_selectorELNS0_4arch9wavefront6targetE0EEEvT1_: ; @_ZN7rocprim17ROCPRIM_400000_NS6detail17trampoline_kernelINS0_14default_configENS1_27scan_by_key_config_selectorIxxEEZZNS1_16scan_by_key_implILNS1_25lookback_scan_determinismE0ELb1ES3_N6thrust23THRUST_200600_302600_NS6detail15normal_iteratorINS9_10device_ptrIxEEEESE_SE_xNS9_4plusIxEE19head_flag_predicatexEE10hipError_tPvRmT2_T3_T4_T5_mT6_T7_P12ihipStream_tbENKUlT_T0_E_clISt17integral_constantIbLb1EESY_EEDaST_SU_EUlST_E_NS1_11comp_targetILNS1_3genE5ELNS1_11target_archE942ELNS1_3gpuE9ELNS1_3repE0EEENS1_30default_config_static_selectorELNS0_4arch9wavefront6targetE0EEEvT1_
; %bb.0:
	.section	.rodata,"a",@progbits
	.p2align	6, 0x0
	.amdhsa_kernel _ZN7rocprim17ROCPRIM_400000_NS6detail17trampoline_kernelINS0_14default_configENS1_27scan_by_key_config_selectorIxxEEZZNS1_16scan_by_key_implILNS1_25lookback_scan_determinismE0ELb1ES3_N6thrust23THRUST_200600_302600_NS6detail15normal_iteratorINS9_10device_ptrIxEEEESE_SE_xNS9_4plusIxEE19head_flag_predicatexEE10hipError_tPvRmT2_T3_T4_T5_mT6_T7_P12ihipStream_tbENKUlT_T0_E_clISt17integral_constantIbLb1EESY_EEDaST_SU_EUlST_E_NS1_11comp_targetILNS1_3genE5ELNS1_11target_archE942ELNS1_3gpuE9ELNS1_3repE0EEENS1_30default_config_static_selectorELNS0_4arch9wavefront6targetE0EEEvT1_
		.amdhsa_group_segment_fixed_size 0
		.amdhsa_private_segment_fixed_size 0
		.amdhsa_kernarg_size 136
		.amdhsa_user_sgpr_count 6
		.amdhsa_user_sgpr_private_segment_buffer 1
		.amdhsa_user_sgpr_dispatch_ptr 0
		.amdhsa_user_sgpr_queue_ptr 0
		.amdhsa_user_sgpr_kernarg_segment_ptr 1
		.amdhsa_user_sgpr_dispatch_id 0
		.amdhsa_user_sgpr_flat_scratch_init 0
		.amdhsa_user_sgpr_private_segment_size 0
		.amdhsa_wavefront_size32 1
		.amdhsa_uses_dynamic_stack 0
		.amdhsa_system_sgpr_private_segment_wavefront_offset 0
		.amdhsa_system_sgpr_workgroup_id_x 1
		.amdhsa_system_sgpr_workgroup_id_y 0
		.amdhsa_system_sgpr_workgroup_id_z 0
		.amdhsa_system_sgpr_workgroup_info 0
		.amdhsa_system_vgpr_workitem_id 0
		.amdhsa_next_free_vgpr 1
		.amdhsa_next_free_sgpr 1
		.amdhsa_reserve_vcc 0
		.amdhsa_reserve_flat_scratch 0
		.amdhsa_float_round_mode_32 0
		.amdhsa_float_round_mode_16_64 0
		.amdhsa_float_denorm_mode_32 3
		.amdhsa_float_denorm_mode_16_64 3
		.amdhsa_dx10_clamp 1
		.amdhsa_ieee_mode 1
		.amdhsa_fp16_overflow 0
		.amdhsa_workgroup_processor_mode 1
		.amdhsa_memory_ordered 1
		.amdhsa_forward_progress 1
		.amdhsa_shared_vgpr_count 0
		.amdhsa_exception_fp_ieee_invalid_op 0
		.amdhsa_exception_fp_denorm_src 0
		.amdhsa_exception_fp_ieee_div_zero 0
		.amdhsa_exception_fp_ieee_overflow 0
		.amdhsa_exception_fp_ieee_underflow 0
		.amdhsa_exception_fp_ieee_inexact 0
		.amdhsa_exception_int_div_zero 0
	.end_amdhsa_kernel
	.section	.text._ZN7rocprim17ROCPRIM_400000_NS6detail17trampoline_kernelINS0_14default_configENS1_27scan_by_key_config_selectorIxxEEZZNS1_16scan_by_key_implILNS1_25lookback_scan_determinismE0ELb1ES3_N6thrust23THRUST_200600_302600_NS6detail15normal_iteratorINS9_10device_ptrIxEEEESE_SE_xNS9_4plusIxEE19head_flag_predicatexEE10hipError_tPvRmT2_T3_T4_T5_mT6_T7_P12ihipStream_tbENKUlT_T0_E_clISt17integral_constantIbLb1EESY_EEDaST_SU_EUlST_E_NS1_11comp_targetILNS1_3genE5ELNS1_11target_archE942ELNS1_3gpuE9ELNS1_3repE0EEENS1_30default_config_static_selectorELNS0_4arch9wavefront6targetE0EEEvT1_,"axG",@progbits,_ZN7rocprim17ROCPRIM_400000_NS6detail17trampoline_kernelINS0_14default_configENS1_27scan_by_key_config_selectorIxxEEZZNS1_16scan_by_key_implILNS1_25lookback_scan_determinismE0ELb1ES3_N6thrust23THRUST_200600_302600_NS6detail15normal_iteratorINS9_10device_ptrIxEEEESE_SE_xNS9_4plusIxEE19head_flag_predicatexEE10hipError_tPvRmT2_T3_T4_T5_mT6_T7_P12ihipStream_tbENKUlT_T0_E_clISt17integral_constantIbLb1EESY_EEDaST_SU_EUlST_E_NS1_11comp_targetILNS1_3genE5ELNS1_11target_archE942ELNS1_3gpuE9ELNS1_3repE0EEENS1_30default_config_static_selectorELNS0_4arch9wavefront6targetE0EEEvT1_,comdat
.Lfunc_end724:
	.size	_ZN7rocprim17ROCPRIM_400000_NS6detail17trampoline_kernelINS0_14default_configENS1_27scan_by_key_config_selectorIxxEEZZNS1_16scan_by_key_implILNS1_25lookback_scan_determinismE0ELb1ES3_N6thrust23THRUST_200600_302600_NS6detail15normal_iteratorINS9_10device_ptrIxEEEESE_SE_xNS9_4plusIxEE19head_flag_predicatexEE10hipError_tPvRmT2_T3_T4_T5_mT6_T7_P12ihipStream_tbENKUlT_T0_E_clISt17integral_constantIbLb1EESY_EEDaST_SU_EUlST_E_NS1_11comp_targetILNS1_3genE5ELNS1_11target_archE942ELNS1_3gpuE9ELNS1_3repE0EEENS1_30default_config_static_selectorELNS0_4arch9wavefront6targetE0EEEvT1_, .Lfunc_end724-_ZN7rocprim17ROCPRIM_400000_NS6detail17trampoline_kernelINS0_14default_configENS1_27scan_by_key_config_selectorIxxEEZZNS1_16scan_by_key_implILNS1_25lookback_scan_determinismE0ELb1ES3_N6thrust23THRUST_200600_302600_NS6detail15normal_iteratorINS9_10device_ptrIxEEEESE_SE_xNS9_4plusIxEE19head_flag_predicatexEE10hipError_tPvRmT2_T3_T4_T5_mT6_T7_P12ihipStream_tbENKUlT_T0_E_clISt17integral_constantIbLb1EESY_EEDaST_SU_EUlST_E_NS1_11comp_targetILNS1_3genE5ELNS1_11target_archE942ELNS1_3gpuE9ELNS1_3repE0EEENS1_30default_config_static_selectorELNS0_4arch9wavefront6targetE0EEEvT1_
                                        ; -- End function
	.set _ZN7rocprim17ROCPRIM_400000_NS6detail17trampoline_kernelINS0_14default_configENS1_27scan_by_key_config_selectorIxxEEZZNS1_16scan_by_key_implILNS1_25lookback_scan_determinismE0ELb1ES3_N6thrust23THRUST_200600_302600_NS6detail15normal_iteratorINS9_10device_ptrIxEEEESE_SE_xNS9_4plusIxEE19head_flag_predicatexEE10hipError_tPvRmT2_T3_T4_T5_mT6_T7_P12ihipStream_tbENKUlT_T0_E_clISt17integral_constantIbLb1EESY_EEDaST_SU_EUlST_E_NS1_11comp_targetILNS1_3genE5ELNS1_11target_archE942ELNS1_3gpuE9ELNS1_3repE0EEENS1_30default_config_static_selectorELNS0_4arch9wavefront6targetE0EEEvT1_.num_vgpr, 0
	.set _ZN7rocprim17ROCPRIM_400000_NS6detail17trampoline_kernelINS0_14default_configENS1_27scan_by_key_config_selectorIxxEEZZNS1_16scan_by_key_implILNS1_25lookback_scan_determinismE0ELb1ES3_N6thrust23THRUST_200600_302600_NS6detail15normal_iteratorINS9_10device_ptrIxEEEESE_SE_xNS9_4plusIxEE19head_flag_predicatexEE10hipError_tPvRmT2_T3_T4_T5_mT6_T7_P12ihipStream_tbENKUlT_T0_E_clISt17integral_constantIbLb1EESY_EEDaST_SU_EUlST_E_NS1_11comp_targetILNS1_3genE5ELNS1_11target_archE942ELNS1_3gpuE9ELNS1_3repE0EEENS1_30default_config_static_selectorELNS0_4arch9wavefront6targetE0EEEvT1_.num_agpr, 0
	.set _ZN7rocprim17ROCPRIM_400000_NS6detail17trampoline_kernelINS0_14default_configENS1_27scan_by_key_config_selectorIxxEEZZNS1_16scan_by_key_implILNS1_25lookback_scan_determinismE0ELb1ES3_N6thrust23THRUST_200600_302600_NS6detail15normal_iteratorINS9_10device_ptrIxEEEESE_SE_xNS9_4plusIxEE19head_flag_predicatexEE10hipError_tPvRmT2_T3_T4_T5_mT6_T7_P12ihipStream_tbENKUlT_T0_E_clISt17integral_constantIbLb1EESY_EEDaST_SU_EUlST_E_NS1_11comp_targetILNS1_3genE5ELNS1_11target_archE942ELNS1_3gpuE9ELNS1_3repE0EEENS1_30default_config_static_selectorELNS0_4arch9wavefront6targetE0EEEvT1_.numbered_sgpr, 0
	.set _ZN7rocprim17ROCPRIM_400000_NS6detail17trampoline_kernelINS0_14default_configENS1_27scan_by_key_config_selectorIxxEEZZNS1_16scan_by_key_implILNS1_25lookback_scan_determinismE0ELb1ES3_N6thrust23THRUST_200600_302600_NS6detail15normal_iteratorINS9_10device_ptrIxEEEESE_SE_xNS9_4plusIxEE19head_flag_predicatexEE10hipError_tPvRmT2_T3_T4_T5_mT6_T7_P12ihipStream_tbENKUlT_T0_E_clISt17integral_constantIbLb1EESY_EEDaST_SU_EUlST_E_NS1_11comp_targetILNS1_3genE5ELNS1_11target_archE942ELNS1_3gpuE9ELNS1_3repE0EEENS1_30default_config_static_selectorELNS0_4arch9wavefront6targetE0EEEvT1_.num_named_barrier, 0
	.set _ZN7rocprim17ROCPRIM_400000_NS6detail17trampoline_kernelINS0_14default_configENS1_27scan_by_key_config_selectorIxxEEZZNS1_16scan_by_key_implILNS1_25lookback_scan_determinismE0ELb1ES3_N6thrust23THRUST_200600_302600_NS6detail15normal_iteratorINS9_10device_ptrIxEEEESE_SE_xNS9_4plusIxEE19head_flag_predicatexEE10hipError_tPvRmT2_T3_T4_T5_mT6_T7_P12ihipStream_tbENKUlT_T0_E_clISt17integral_constantIbLb1EESY_EEDaST_SU_EUlST_E_NS1_11comp_targetILNS1_3genE5ELNS1_11target_archE942ELNS1_3gpuE9ELNS1_3repE0EEENS1_30default_config_static_selectorELNS0_4arch9wavefront6targetE0EEEvT1_.private_seg_size, 0
	.set _ZN7rocprim17ROCPRIM_400000_NS6detail17trampoline_kernelINS0_14default_configENS1_27scan_by_key_config_selectorIxxEEZZNS1_16scan_by_key_implILNS1_25lookback_scan_determinismE0ELb1ES3_N6thrust23THRUST_200600_302600_NS6detail15normal_iteratorINS9_10device_ptrIxEEEESE_SE_xNS9_4plusIxEE19head_flag_predicatexEE10hipError_tPvRmT2_T3_T4_T5_mT6_T7_P12ihipStream_tbENKUlT_T0_E_clISt17integral_constantIbLb1EESY_EEDaST_SU_EUlST_E_NS1_11comp_targetILNS1_3genE5ELNS1_11target_archE942ELNS1_3gpuE9ELNS1_3repE0EEENS1_30default_config_static_selectorELNS0_4arch9wavefront6targetE0EEEvT1_.uses_vcc, 0
	.set _ZN7rocprim17ROCPRIM_400000_NS6detail17trampoline_kernelINS0_14default_configENS1_27scan_by_key_config_selectorIxxEEZZNS1_16scan_by_key_implILNS1_25lookback_scan_determinismE0ELb1ES3_N6thrust23THRUST_200600_302600_NS6detail15normal_iteratorINS9_10device_ptrIxEEEESE_SE_xNS9_4plusIxEE19head_flag_predicatexEE10hipError_tPvRmT2_T3_T4_T5_mT6_T7_P12ihipStream_tbENKUlT_T0_E_clISt17integral_constantIbLb1EESY_EEDaST_SU_EUlST_E_NS1_11comp_targetILNS1_3genE5ELNS1_11target_archE942ELNS1_3gpuE9ELNS1_3repE0EEENS1_30default_config_static_selectorELNS0_4arch9wavefront6targetE0EEEvT1_.uses_flat_scratch, 0
	.set _ZN7rocprim17ROCPRIM_400000_NS6detail17trampoline_kernelINS0_14default_configENS1_27scan_by_key_config_selectorIxxEEZZNS1_16scan_by_key_implILNS1_25lookback_scan_determinismE0ELb1ES3_N6thrust23THRUST_200600_302600_NS6detail15normal_iteratorINS9_10device_ptrIxEEEESE_SE_xNS9_4plusIxEE19head_flag_predicatexEE10hipError_tPvRmT2_T3_T4_T5_mT6_T7_P12ihipStream_tbENKUlT_T0_E_clISt17integral_constantIbLb1EESY_EEDaST_SU_EUlST_E_NS1_11comp_targetILNS1_3genE5ELNS1_11target_archE942ELNS1_3gpuE9ELNS1_3repE0EEENS1_30default_config_static_selectorELNS0_4arch9wavefront6targetE0EEEvT1_.has_dyn_sized_stack, 0
	.set _ZN7rocprim17ROCPRIM_400000_NS6detail17trampoline_kernelINS0_14default_configENS1_27scan_by_key_config_selectorIxxEEZZNS1_16scan_by_key_implILNS1_25lookback_scan_determinismE0ELb1ES3_N6thrust23THRUST_200600_302600_NS6detail15normal_iteratorINS9_10device_ptrIxEEEESE_SE_xNS9_4plusIxEE19head_flag_predicatexEE10hipError_tPvRmT2_T3_T4_T5_mT6_T7_P12ihipStream_tbENKUlT_T0_E_clISt17integral_constantIbLb1EESY_EEDaST_SU_EUlST_E_NS1_11comp_targetILNS1_3genE5ELNS1_11target_archE942ELNS1_3gpuE9ELNS1_3repE0EEENS1_30default_config_static_selectorELNS0_4arch9wavefront6targetE0EEEvT1_.has_recursion, 0
	.set _ZN7rocprim17ROCPRIM_400000_NS6detail17trampoline_kernelINS0_14default_configENS1_27scan_by_key_config_selectorIxxEEZZNS1_16scan_by_key_implILNS1_25lookback_scan_determinismE0ELb1ES3_N6thrust23THRUST_200600_302600_NS6detail15normal_iteratorINS9_10device_ptrIxEEEESE_SE_xNS9_4plusIxEE19head_flag_predicatexEE10hipError_tPvRmT2_T3_T4_T5_mT6_T7_P12ihipStream_tbENKUlT_T0_E_clISt17integral_constantIbLb1EESY_EEDaST_SU_EUlST_E_NS1_11comp_targetILNS1_3genE5ELNS1_11target_archE942ELNS1_3gpuE9ELNS1_3repE0EEENS1_30default_config_static_selectorELNS0_4arch9wavefront6targetE0EEEvT1_.has_indirect_call, 0
	.section	.AMDGPU.csdata,"",@progbits
; Kernel info:
; codeLenInByte = 0
; TotalNumSgprs: 0
; NumVgprs: 0
; ScratchSize: 0
; MemoryBound: 0
; FloatMode: 240
; IeeeMode: 1
; LDSByteSize: 0 bytes/workgroup (compile time only)
; SGPRBlocks: 0
; VGPRBlocks: 0
; NumSGPRsForWavesPerEU: 1
; NumVGPRsForWavesPerEU: 1
; Occupancy: 16
; WaveLimiterHint : 0
; COMPUTE_PGM_RSRC2:SCRATCH_EN: 0
; COMPUTE_PGM_RSRC2:USER_SGPR: 6
; COMPUTE_PGM_RSRC2:TRAP_HANDLER: 0
; COMPUTE_PGM_RSRC2:TGID_X_EN: 1
; COMPUTE_PGM_RSRC2:TGID_Y_EN: 0
; COMPUTE_PGM_RSRC2:TGID_Z_EN: 0
; COMPUTE_PGM_RSRC2:TIDIG_COMP_CNT: 0
	.section	.text._ZN7rocprim17ROCPRIM_400000_NS6detail17trampoline_kernelINS0_14default_configENS1_27scan_by_key_config_selectorIxxEEZZNS1_16scan_by_key_implILNS1_25lookback_scan_determinismE0ELb1ES3_N6thrust23THRUST_200600_302600_NS6detail15normal_iteratorINS9_10device_ptrIxEEEESE_SE_xNS9_4plusIxEE19head_flag_predicatexEE10hipError_tPvRmT2_T3_T4_T5_mT6_T7_P12ihipStream_tbENKUlT_T0_E_clISt17integral_constantIbLb1EESY_EEDaST_SU_EUlST_E_NS1_11comp_targetILNS1_3genE4ELNS1_11target_archE910ELNS1_3gpuE8ELNS1_3repE0EEENS1_30default_config_static_selectorELNS0_4arch9wavefront6targetE0EEEvT1_,"axG",@progbits,_ZN7rocprim17ROCPRIM_400000_NS6detail17trampoline_kernelINS0_14default_configENS1_27scan_by_key_config_selectorIxxEEZZNS1_16scan_by_key_implILNS1_25lookback_scan_determinismE0ELb1ES3_N6thrust23THRUST_200600_302600_NS6detail15normal_iteratorINS9_10device_ptrIxEEEESE_SE_xNS9_4plusIxEE19head_flag_predicatexEE10hipError_tPvRmT2_T3_T4_T5_mT6_T7_P12ihipStream_tbENKUlT_T0_E_clISt17integral_constantIbLb1EESY_EEDaST_SU_EUlST_E_NS1_11comp_targetILNS1_3genE4ELNS1_11target_archE910ELNS1_3gpuE8ELNS1_3repE0EEENS1_30default_config_static_selectorELNS0_4arch9wavefront6targetE0EEEvT1_,comdat
	.protected	_ZN7rocprim17ROCPRIM_400000_NS6detail17trampoline_kernelINS0_14default_configENS1_27scan_by_key_config_selectorIxxEEZZNS1_16scan_by_key_implILNS1_25lookback_scan_determinismE0ELb1ES3_N6thrust23THRUST_200600_302600_NS6detail15normal_iteratorINS9_10device_ptrIxEEEESE_SE_xNS9_4plusIxEE19head_flag_predicatexEE10hipError_tPvRmT2_T3_T4_T5_mT6_T7_P12ihipStream_tbENKUlT_T0_E_clISt17integral_constantIbLb1EESY_EEDaST_SU_EUlST_E_NS1_11comp_targetILNS1_3genE4ELNS1_11target_archE910ELNS1_3gpuE8ELNS1_3repE0EEENS1_30default_config_static_selectorELNS0_4arch9wavefront6targetE0EEEvT1_ ; -- Begin function _ZN7rocprim17ROCPRIM_400000_NS6detail17trampoline_kernelINS0_14default_configENS1_27scan_by_key_config_selectorIxxEEZZNS1_16scan_by_key_implILNS1_25lookback_scan_determinismE0ELb1ES3_N6thrust23THRUST_200600_302600_NS6detail15normal_iteratorINS9_10device_ptrIxEEEESE_SE_xNS9_4plusIxEE19head_flag_predicatexEE10hipError_tPvRmT2_T3_T4_T5_mT6_T7_P12ihipStream_tbENKUlT_T0_E_clISt17integral_constantIbLb1EESY_EEDaST_SU_EUlST_E_NS1_11comp_targetILNS1_3genE4ELNS1_11target_archE910ELNS1_3gpuE8ELNS1_3repE0EEENS1_30default_config_static_selectorELNS0_4arch9wavefront6targetE0EEEvT1_
	.globl	_ZN7rocprim17ROCPRIM_400000_NS6detail17trampoline_kernelINS0_14default_configENS1_27scan_by_key_config_selectorIxxEEZZNS1_16scan_by_key_implILNS1_25lookback_scan_determinismE0ELb1ES3_N6thrust23THRUST_200600_302600_NS6detail15normal_iteratorINS9_10device_ptrIxEEEESE_SE_xNS9_4plusIxEE19head_flag_predicatexEE10hipError_tPvRmT2_T3_T4_T5_mT6_T7_P12ihipStream_tbENKUlT_T0_E_clISt17integral_constantIbLb1EESY_EEDaST_SU_EUlST_E_NS1_11comp_targetILNS1_3genE4ELNS1_11target_archE910ELNS1_3gpuE8ELNS1_3repE0EEENS1_30default_config_static_selectorELNS0_4arch9wavefront6targetE0EEEvT1_
	.p2align	8
	.type	_ZN7rocprim17ROCPRIM_400000_NS6detail17trampoline_kernelINS0_14default_configENS1_27scan_by_key_config_selectorIxxEEZZNS1_16scan_by_key_implILNS1_25lookback_scan_determinismE0ELb1ES3_N6thrust23THRUST_200600_302600_NS6detail15normal_iteratorINS9_10device_ptrIxEEEESE_SE_xNS9_4plusIxEE19head_flag_predicatexEE10hipError_tPvRmT2_T3_T4_T5_mT6_T7_P12ihipStream_tbENKUlT_T0_E_clISt17integral_constantIbLb1EESY_EEDaST_SU_EUlST_E_NS1_11comp_targetILNS1_3genE4ELNS1_11target_archE910ELNS1_3gpuE8ELNS1_3repE0EEENS1_30default_config_static_selectorELNS0_4arch9wavefront6targetE0EEEvT1_,@function
_ZN7rocprim17ROCPRIM_400000_NS6detail17trampoline_kernelINS0_14default_configENS1_27scan_by_key_config_selectorIxxEEZZNS1_16scan_by_key_implILNS1_25lookback_scan_determinismE0ELb1ES3_N6thrust23THRUST_200600_302600_NS6detail15normal_iteratorINS9_10device_ptrIxEEEESE_SE_xNS9_4plusIxEE19head_flag_predicatexEE10hipError_tPvRmT2_T3_T4_T5_mT6_T7_P12ihipStream_tbENKUlT_T0_E_clISt17integral_constantIbLb1EESY_EEDaST_SU_EUlST_E_NS1_11comp_targetILNS1_3genE4ELNS1_11target_archE910ELNS1_3gpuE8ELNS1_3repE0EEENS1_30default_config_static_selectorELNS0_4arch9wavefront6targetE0EEEvT1_: ; @_ZN7rocprim17ROCPRIM_400000_NS6detail17trampoline_kernelINS0_14default_configENS1_27scan_by_key_config_selectorIxxEEZZNS1_16scan_by_key_implILNS1_25lookback_scan_determinismE0ELb1ES3_N6thrust23THRUST_200600_302600_NS6detail15normal_iteratorINS9_10device_ptrIxEEEESE_SE_xNS9_4plusIxEE19head_flag_predicatexEE10hipError_tPvRmT2_T3_T4_T5_mT6_T7_P12ihipStream_tbENKUlT_T0_E_clISt17integral_constantIbLb1EESY_EEDaST_SU_EUlST_E_NS1_11comp_targetILNS1_3genE4ELNS1_11target_archE910ELNS1_3gpuE8ELNS1_3repE0EEENS1_30default_config_static_selectorELNS0_4arch9wavefront6targetE0EEEvT1_
; %bb.0:
	.section	.rodata,"a",@progbits
	.p2align	6, 0x0
	.amdhsa_kernel _ZN7rocprim17ROCPRIM_400000_NS6detail17trampoline_kernelINS0_14default_configENS1_27scan_by_key_config_selectorIxxEEZZNS1_16scan_by_key_implILNS1_25lookback_scan_determinismE0ELb1ES3_N6thrust23THRUST_200600_302600_NS6detail15normal_iteratorINS9_10device_ptrIxEEEESE_SE_xNS9_4plusIxEE19head_flag_predicatexEE10hipError_tPvRmT2_T3_T4_T5_mT6_T7_P12ihipStream_tbENKUlT_T0_E_clISt17integral_constantIbLb1EESY_EEDaST_SU_EUlST_E_NS1_11comp_targetILNS1_3genE4ELNS1_11target_archE910ELNS1_3gpuE8ELNS1_3repE0EEENS1_30default_config_static_selectorELNS0_4arch9wavefront6targetE0EEEvT1_
		.amdhsa_group_segment_fixed_size 0
		.amdhsa_private_segment_fixed_size 0
		.amdhsa_kernarg_size 136
		.amdhsa_user_sgpr_count 6
		.amdhsa_user_sgpr_private_segment_buffer 1
		.amdhsa_user_sgpr_dispatch_ptr 0
		.amdhsa_user_sgpr_queue_ptr 0
		.amdhsa_user_sgpr_kernarg_segment_ptr 1
		.amdhsa_user_sgpr_dispatch_id 0
		.amdhsa_user_sgpr_flat_scratch_init 0
		.amdhsa_user_sgpr_private_segment_size 0
		.amdhsa_wavefront_size32 1
		.amdhsa_uses_dynamic_stack 0
		.amdhsa_system_sgpr_private_segment_wavefront_offset 0
		.amdhsa_system_sgpr_workgroup_id_x 1
		.amdhsa_system_sgpr_workgroup_id_y 0
		.amdhsa_system_sgpr_workgroup_id_z 0
		.amdhsa_system_sgpr_workgroup_info 0
		.amdhsa_system_vgpr_workitem_id 0
		.amdhsa_next_free_vgpr 1
		.amdhsa_next_free_sgpr 1
		.amdhsa_reserve_vcc 0
		.amdhsa_reserve_flat_scratch 0
		.amdhsa_float_round_mode_32 0
		.amdhsa_float_round_mode_16_64 0
		.amdhsa_float_denorm_mode_32 3
		.amdhsa_float_denorm_mode_16_64 3
		.amdhsa_dx10_clamp 1
		.amdhsa_ieee_mode 1
		.amdhsa_fp16_overflow 0
		.amdhsa_workgroup_processor_mode 1
		.amdhsa_memory_ordered 1
		.amdhsa_forward_progress 1
		.amdhsa_shared_vgpr_count 0
		.amdhsa_exception_fp_ieee_invalid_op 0
		.amdhsa_exception_fp_denorm_src 0
		.amdhsa_exception_fp_ieee_div_zero 0
		.amdhsa_exception_fp_ieee_overflow 0
		.amdhsa_exception_fp_ieee_underflow 0
		.amdhsa_exception_fp_ieee_inexact 0
		.amdhsa_exception_int_div_zero 0
	.end_amdhsa_kernel
	.section	.text._ZN7rocprim17ROCPRIM_400000_NS6detail17trampoline_kernelINS0_14default_configENS1_27scan_by_key_config_selectorIxxEEZZNS1_16scan_by_key_implILNS1_25lookback_scan_determinismE0ELb1ES3_N6thrust23THRUST_200600_302600_NS6detail15normal_iteratorINS9_10device_ptrIxEEEESE_SE_xNS9_4plusIxEE19head_flag_predicatexEE10hipError_tPvRmT2_T3_T4_T5_mT6_T7_P12ihipStream_tbENKUlT_T0_E_clISt17integral_constantIbLb1EESY_EEDaST_SU_EUlST_E_NS1_11comp_targetILNS1_3genE4ELNS1_11target_archE910ELNS1_3gpuE8ELNS1_3repE0EEENS1_30default_config_static_selectorELNS0_4arch9wavefront6targetE0EEEvT1_,"axG",@progbits,_ZN7rocprim17ROCPRIM_400000_NS6detail17trampoline_kernelINS0_14default_configENS1_27scan_by_key_config_selectorIxxEEZZNS1_16scan_by_key_implILNS1_25lookback_scan_determinismE0ELb1ES3_N6thrust23THRUST_200600_302600_NS6detail15normal_iteratorINS9_10device_ptrIxEEEESE_SE_xNS9_4plusIxEE19head_flag_predicatexEE10hipError_tPvRmT2_T3_T4_T5_mT6_T7_P12ihipStream_tbENKUlT_T0_E_clISt17integral_constantIbLb1EESY_EEDaST_SU_EUlST_E_NS1_11comp_targetILNS1_3genE4ELNS1_11target_archE910ELNS1_3gpuE8ELNS1_3repE0EEENS1_30default_config_static_selectorELNS0_4arch9wavefront6targetE0EEEvT1_,comdat
.Lfunc_end725:
	.size	_ZN7rocprim17ROCPRIM_400000_NS6detail17trampoline_kernelINS0_14default_configENS1_27scan_by_key_config_selectorIxxEEZZNS1_16scan_by_key_implILNS1_25lookback_scan_determinismE0ELb1ES3_N6thrust23THRUST_200600_302600_NS6detail15normal_iteratorINS9_10device_ptrIxEEEESE_SE_xNS9_4plusIxEE19head_flag_predicatexEE10hipError_tPvRmT2_T3_T4_T5_mT6_T7_P12ihipStream_tbENKUlT_T0_E_clISt17integral_constantIbLb1EESY_EEDaST_SU_EUlST_E_NS1_11comp_targetILNS1_3genE4ELNS1_11target_archE910ELNS1_3gpuE8ELNS1_3repE0EEENS1_30default_config_static_selectorELNS0_4arch9wavefront6targetE0EEEvT1_, .Lfunc_end725-_ZN7rocprim17ROCPRIM_400000_NS6detail17trampoline_kernelINS0_14default_configENS1_27scan_by_key_config_selectorIxxEEZZNS1_16scan_by_key_implILNS1_25lookback_scan_determinismE0ELb1ES3_N6thrust23THRUST_200600_302600_NS6detail15normal_iteratorINS9_10device_ptrIxEEEESE_SE_xNS9_4plusIxEE19head_flag_predicatexEE10hipError_tPvRmT2_T3_T4_T5_mT6_T7_P12ihipStream_tbENKUlT_T0_E_clISt17integral_constantIbLb1EESY_EEDaST_SU_EUlST_E_NS1_11comp_targetILNS1_3genE4ELNS1_11target_archE910ELNS1_3gpuE8ELNS1_3repE0EEENS1_30default_config_static_selectorELNS0_4arch9wavefront6targetE0EEEvT1_
                                        ; -- End function
	.set _ZN7rocprim17ROCPRIM_400000_NS6detail17trampoline_kernelINS0_14default_configENS1_27scan_by_key_config_selectorIxxEEZZNS1_16scan_by_key_implILNS1_25lookback_scan_determinismE0ELb1ES3_N6thrust23THRUST_200600_302600_NS6detail15normal_iteratorINS9_10device_ptrIxEEEESE_SE_xNS9_4plusIxEE19head_flag_predicatexEE10hipError_tPvRmT2_T3_T4_T5_mT6_T7_P12ihipStream_tbENKUlT_T0_E_clISt17integral_constantIbLb1EESY_EEDaST_SU_EUlST_E_NS1_11comp_targetILNS1_3genE4ELNS1_11target_archE910ELNS1_3gpuE8ELNS1_3repE0EEENS1_30default_config_static_selectorELNS0_4arch9wavefront6targetE0EEEvT1_.num_vgpr, 0
	.set _ZN7rocprim17ROCPRIM_400000_NS6detail17trampoline_kernelINS0_14default_configENS1_27scan_by_key_config_selectorIxxEEZZNS1_16scan_by_key_implILNS1_25lookback_scan_determinismE0ELb1ES3_N6thrust23THRUST_200600_302600_NS6detail15normal_iteratorINS9_10device_ptrIxEEEESE_SE_xNS9_4plusIxEE19head_flag_predicatexEE10hipError_tPvRmT2_T3_T4_T5_mT6_T7_P12ihipStream_tbENKUlT_T0_E_clISt17integral_constantIbLb1EESY_EEDaST_SU_EUlST_E_NS1_11comp_targetILNS1_3genE4ELNS1_11target_archE910ELNS1_3gpuE8ELNS1_3repE0EEENS1_30default_config_static_selectorELNS0_4arch9wavefront6targetE0EEEvT1_.num_agpr, 0
	.set _ZN7rocprim17ROCPRIM_400000_NS6detail17trampoline_kernelINS0_14default_configENS1_27scan_by_key_config_selectorIxxEEZZNS1_16scan_by_key_implILNS1_25lookback_scan_determinismE0ELb1ES3_N6thrust23THRUST_200600_302600_NS6detail15normal_iteratorINS9_10device_ptrIxEEEESE_SE_xNS9_4plusIxEE19head_flag_predicatexEE10hipError_tPvRmT2_T3_T4_T5_mT6_T7_P12ihipStream_tbENKUlT_T0_E_clISt17integral_constantIbLb1EESY_EEDaST_SU_EUlST_E_NS1_11comp_targetILNS1_3genE4ELNS1_11target_archE910ELNS1_3gpuE8ELNS1_3repE0EEENS1_30default_config_static_selectorELNS0_4arch9wavefront6targetE0EEEvT1_.numbered_sgpr, 0
	.set _ZN7rocprim17ROCPRIM_400000_NS6detail17trampoline_kernelINS0_14default_configENS1_27scan_by_key_config_selectorIxxEEZZNS1_16scan_by_key_implILNS1_25lookback_scan_determinismE0ELb1ES3_N6thrust23THRUST_200600_302600_NS6detail15normal_iteratorINS9_10device_ptrIxEEEESE_SE_xNS9_4plusIxEE19head_flag_predicatexEE10hipError_tPvRmT2_T3_T4_T5_mT6_T7_P12ihipStream_tbENKUlT_T0_E_clISt17integral_constantIbLb1EESY_EEDaST_SU_EUlST_E_NS1_11comp_targetILNS1_3genE4ELNS1_11target_archE910ELNS1_3gpuE8ELNS1_3repE0EEENS1_30default_config_static_selectorELNS0_4arch9wavefront6targetE0EEEvT1_.num_named_barrier, 0
	.set _ZN7rocprim17ROCPRIM_400000_NS6detail17trampoline_kernelINS0_14default_configENS1_27scan_by_key_config_selectorIxxEEZZNS1_16scan_by_key_implILNS1_25lookback_scan_determinismE0ELb1ES3_N6thrust23THRUST_200600_302600_NS6detail15normal_iteratorINS9_10device_ptrIxEEEESE_SE_xNS9_4plusIxEE19head_flag_predicatexEE10hipError_tPvRmT2_T3_T4_T5_mT6_T7_P12ihipStream_tbENKUlT_T0_E_clISt17integral_constantIbLb1EESY_EEDaST_SU_EUlST_E_NS1_11comp_targetILNS1_3genE4ELNS1_11target_archE910ELNS1_3gpuE8ELNS1_3repE0EEENS1_30default_config_static_selectorELNS0_4arch9wavefront6targetE0EEEvT1_.private_seg_size, 0
	.set _ZN7rocprim17ROCPRIM_400000_NS6detail17trampoline_kernelINS0_14default_configENS1_27scan_by_key_config_selectorIxxEEZZNS1_16scan_by_key_implILNS1_25lookback_scan_determinismE0ELb1ES3_N6thrust23THRUST_200600_302600_NS6detail15normal_iteratorINS9_10device_ptrIxEEEESE_SE_xNS9_4plusIxEE19head_flag_predicatexEE10hipError_tPvRmT2_T3_T4_T5_mT6_T7_P12ihipStream_tbENKUlT_T0_E_clISt17integral_constantIbLb1EESY_EEDaST_SU_EUlST_E_NS1_11comp_targetILNS1_3genE4ELNS1_11target_archE910ELNS1_3gpuE8ELNS1_3repE0EEENS1_30default_config_static_selectorELNS0_4arch9wavefront6targetE0EEEvT1_.uses_vcc, 0
	.set _ZN7rocprim17ROCPRIM_400000_NS6detail17trampoline_kernelINS0_14default_configENS1_27scan_by_key_config_selectorIxxEEZZNS1_16scan_by_key_implILNS1_25lookback_scan_determinismE0ELb1ES3_N6thrust23THRUST_200600_302600_NS6detail15normal_iteratorINS9_10device_ptrIxEEEESE_SE_xNS9_4plusIxEE19head_flag_predicatexEE10hipError_tPvRmT2_T3_T4_T5_mT6_T7_P12ihipStream_tbENKUlT_T0_E_clISt17integral_constantIbLb1EESY_EEDaST_SU_EUlST_E_NS1_11comp_targetILNS1_3genE4ELNS1_11target_archE910ELNS1_3gpuE8ELNS1_3repE0EEENS1_30default_config_static_selectorELNS0_4arch9wavefront6targetE0EEEvT1_.uses_flat_scratch, 0
	.set _ZN7rocprim17ROCPRIM_400000_NS6detail17trampoline_kernelINS0_14default_configENS1_27scan_by_key_config_selectorIxxEEZZNS1_16scan_by_key_implILNS1_25lookback_scan_determinismE0ELb1ES3_N6thrust23THRUST_200600_302600_NS6detail15normal_iteratorINS9_10device_ptrIxEEEESE_SE_xNS9_4plusIxEE19head_flag_predicatexEE10hipError_tPvRmT2_T3_T4_T5_mT6_T7_P12ihipStream_tbENKUlT_T0_E_clISt17integral_constantIbLb1EESY_EEDaST_SU_EUlST_E_NS1_11comp_targetILNS1_3genE4ELNS1_11target_archE910ELNS1_3gpuE8ELNS1_3repE0EEENS1_30default_config_static_selectorELNS0_4arch9wavefront6targetE0EEEvT1_.has_dyn_sized_stack, 0
	.set _ZN7rocprim17ROCPRIM_400000_NS6detail17trampoline_kernelINS0_14default_configENS1_27scan_by_key_config_selectorIxxEEZZNS1_16scan_by_key_implILNS1_25lookback_scan_determinismE0ELb1ES3_N6thrust23THRUST_200600_302600_NS6detail15normal_iteratorINS9_10device_ptrIxEEEESE_SE_xNS9_4plusIxEE19head_flag_predicatexEE10hipError_tPvRmT2_T3_T4_T5_mT6_T7_P12ihipStream_tbENKUlT_T0_E_clISt17integral_constantIbLb1EESY_EEDaST_SU_EUlST_E_NS1_11comp_targetILNS1_3genE4ELNS1_11target_archE910ELNS1_3gpuE8ELNS1_3repE0EEENS1_30default_config_static_selectorELNS0_4arch9wavefront6targetE0EEEvT1_.has_recursion, 0
	.set _ZN7rocprim17ROCPRIM_400000_NS6detail17trampoline_kernelINS0_14default_configENS1_27scan_by_key_config_selectorIxxEEZZNS1_16scan_by_key_implILNS1_25lookback_scan_determinismE0ELb1ES3_N6thrust23THRUST_200600_302600_NS6detail15normal_iteratorINS9_10device_ptrIxEEEESE_SE_xNS9_4plusIxEE19head_flag_predicatexEE10hipError_tPvRmT2_T3_T4_T5_mT6_T7_P12ihipStream_tbENKUlT_T0_E_clISt17integral_constantIbLb1EESY_EEDaST_SU_EUlST_E_NS1_11comp_targetILNS1_3genE4ELNS1_11target_archE910ELNS1_3gpuE8ELNS1_3repE0EEENS1_30default_config_static_selectorELNS0_4arch9wavefront6targetE0EEEvT1_.has_indirect_call, 0
	.section	.AMDGPU.csdata,"",@progbits
; Kernel info:
; codeLenInByte = 0
; TotalNumSgprs: 0
; NumVgprs: 0
; ScratchSize: 0
; MemoryBound: 0
; FloatMode: 240
; IeeeMode: 1
; LDSByteSize: 0 bytes/workgroup (compile time only)
; SGPRBlocks: 0
; VGPRBlocks: 0
; NumSGPRsForWavesPerEU: 1
; NumVGPRsForWavesPerEU: 1
; Occupancy: 16
; WaveLimiterHint : 0
; COMPUTE_PGM_RSRC2:SCRATCH_EN: 0
; COMPUTE_PGM_RSRC2:USER_SGPR: 6
; COMPUTE_PGM_RSRC2:TRAP_HANDLER: 0
; COMPUTE_PGM_RSRC2:TGID_X_EN: 1
; COMPUTE_PGM_RSRC2:TGID_Y_EN: 0
; COMPUTE_PGM_RSRC2:TGID_Z_EN: 0
; COMPUTE_PGM_RSRC2:TIDIG_COMP_CNT: 0
	.section	.text._ZN7rocprim17ROCPRIM_400000_NS6detail17trampoline_kernelINS0_14default_configENS1_27scan_by_key_config_selectorIxxEEZZNS1_16scan_by_key_implILNS1_25lookback_scan_determinismE0ELb1ES3_N6thrust23THRUST_200600_302600_NS6detail15normal_iteratorINS9_10device_ptrIxEEEESE_SE_xNS9_4plusIxEE19head_flag_predicatexEE10hipError_tPvRmT2_T3_T4_T5_mT6_T7_P12ihipStream_tbENKUlT_T0_E_clISt17integral_constantIbLb1EESY_EEDaST_SU_EUlST_E_NS1_11comp_targetILNS1_3genE3ELNS1_11target_archE908ELNS1_3gpuE7ELNS1_3repE0EEENS1_30default_config_static_selectorELNS0_4arch9wavefront6targetE0EEEvT1_,"axG",@progbits,_ZN7rocprim17ROCPRIM_400000_NS6detail17trampoline_kernelINS0_14default_configENS1_27scan_by_key_config_selectorIxxEEZZNS1_16scan_by_key_implILNS1_25lookback_scan_determinismE0ELb1ES3_N6thrust23THRUST_200600_302600_NS6detail15normal_iteratorINS9_10device_ptrIxEEEESE_SE_xNS9_4plusIxEE19head_flag_predicatexEE10hipError_tPvRmT2_T3_T4_T5_mT6_T7_P12ihipStream_tbENKUlT_T0_E_clISt17integral_constantIbLb1EESY_EEDaST_SU_EUlST_E_NS1_11comp_targetILNS1_3genE3ELNS1_11target_archE908ELNS1_3gpuE7ELNS1_3repE0EEENS1_30default_config_static_selectorELNS0_4arch9wavefront6targetE0EEEvT1_,comdat
	.protected	_ZN7rocprim17ROCPRIM_400000_NS6detail17trampoline_kernelINS0_14default_configENS1_27scan_by_key_config_selectorIxxEEZZNS1_16scan_by_key_implILNS1_25lookback_scan_determinismE0ELb1ES3_N6thrust23THRUST_200600_302600_NS6detail15normal_iteratorINS9_10device_ptrIxEEEESE_SE_xNS9_4plusIxEE19head_flag_predicatexEE10hipError_tPvRmT2_T3_T4_T5_mT6_T7_P12ihipStream_tbENKUlT_T0_E_clISt17integral_constantIbLb1EESY_EEDaST_SU_EUlST_E_NS1_11comp_targetILNS1_3genE3ELNS1_11target_archE908ELNS1_3gpuE7ELNS1_3repE0EEENS1_30default_config_static_selectorELNS0_4arch9wavefront6targetE0EEEvT1_ ; -- Begin function _ZN7rocprim17ROCPRIM_400000_NS6detail17trampoline_kernelINS0_14default_configENS1_27scan_by_key_config_selectorIxxEEZZNS1_16scan_by_key_implILNS1_25lookback_scan_determinismE0ELb1ES3_N6thrust23THRUST_200600_302600_NS6detail15normal_iteratorINS9_10device_ptrIxEEEESE_SE_xNS9_4plusIxEE19head_flag_predicatexEE10hipError_tPvRmT2_T3_T4_T5_mT6_T7_P12ihipStream_tbENKUlT_T0_E_clISt17integral_constantIbLb1EESY_EEDaST_SU_EUlST_E_NS1_11comp_targetILNS1_3genE3ELNS1_11target_archE908ELNS1_3gpuE7ELNS1_3repE0EEENS1_30default_config_static_selectorELNS0_4arch9wavefront6targetE0EEEvT1_
	.globl	_ZN7rocprim17ROCPRIM_400000_NS6detail17trampoline_kernelINS0_14default_configENS1_27scan_by_key_config_selectorIxxEEZZNS1_16scan_by_key_implILNS1_25lookback_scan_determinismE0ELb1ES3_N6thrust23THRUST_200600_302600_NS6detail15normal_iteratorINS9_10device_ptrIxEEEESE_SE_xNS9_4plusIxEE19head_flag_predicatexEE10hipError_tPvRmT2_T3_T4_T5_mT6_T7_P12ihipStream_tbENKUlT_T0_E_clISt17integral_constantIbLb1EESY_EEDaST_SU_EUlST_E_NS1_11comp_targetILNS1_3genE3ELNS1_11target_archE908ELNS1_3gpuE7ELNS1_3repE0EEENS1_30default_config_static_selectorELNS0_4arch9wavefront6targetE0EEEvT1_
	.p2align	8
	.type	_ZN7rocprim17ROCPRIM_400000_NS6detail17trampoline_kernelINS0_14default_configENS1_27scan_by_key_config_selectorIxxEEZZNS1_16scan_by_key_implILNS1_25lookback_scan_determinismE0ELb1ES3_N6thrust23THRUST_200600_302600_NS6detail15normal_iteratorINS9_10device_ptrIxEEEESE_SE_xNS9_4plusIxEE19head_flag_predicatexEE10hipError_tPvRmT2_T3_T4_T5_mT6_T7_P12ihipStream_tbENKUlT_T0_E_clISt17integral_constantIbLb1EESY_EEDaST_SU_EUlST_E_NS1_11comp_targetILNS1_3genE3ELNS1_11target_archE908ELNS1_3gpuE7ELNS1_3repE0EEENS1_30default_config_static_selectorELNS0_4arch9wavefront6targetE0EEEvT1_,@function
_ZN7rocprim17ROCPRIM_400000_NS6detail17trampoline_kernelINS0_14default_configENS1_27scan_by_key_config_selectorIxxEEZZNS1_16scan_by_key_implILNS1_25lookback_scan_determinismE0ELb1ES3_N6thrust23THRUST_200600_302600_NS6detail15normal_iteratorINS9_10device_ptrIxEEEESE_SE_xNS9_4plusIxEE19head_flag_predicatexEE10hipError_tPvRmT2_T3_T4_T5_mT6_T7_P12ihipStream_tbENKUlT_T0_E_clISt17integral_constantIbLb1EESY_EEDaST_SU_EUlST_E_NS1_11comp_targetILNS1_3genE3ELNS1_11target_archE908ELNS1_3gpuE7ELNS1_3repE0EEENS1_30default_config_static_selectorELNS0_4arch9wavefront6targetE0EEEvT1_: ; @_ZN7rocprim17ROCPRIM_400000_NS6detail17trampoline_kernelINS0_14default_configENS1_27scan_by_key_config_selectorIxxEEZZNS1_16scan_by_key_implILNS1_25lookback_scan_determinismE0ELb1ES3_N6thrust23THRUST_200600_302600_NS6detail15normal_iteratorINS9_10device_ptrIxEEEESE_SE_xNS9_4plusIxEE19head_flag_predicatexEE10hipError_tPvRmT2_T3_T4_T5_mT6_T7_P12ihipStream_tbENKUlT_T0_E_clISt17integral_constantIbLb1EESY_EEDaST_SU_EUlST_E_NS1_11comp_targetILNS1_3genE3ELNS1_11target_archE908ELNS1_3gpuE7ELNS1_3repE0EEENS1_30default_config_static_selectorELNS0_4arch9wavefront6targetE0EEEvT1_
; %bb.0:
	.section	.rodata,"a",@progbits
	.p2align	6, 0x0
	.amdhsa_kernel _ZN7rocprim17ROCPRIM_400000_NS6detail17trampoline_kernelINS0_14default_configENS1_27scan_by_key_config_selectorIxxEEZZNS1_16scan_by_key_implILNS1_25lookback_scan_determinismE0ELb1ES3_N6thrust23THRUST_200600_302600_NS6detail15normal_iteratorINS9_10device_ptrIxEEEESE_SE_xNS9_4plusIxEE19head_flag_predicatexEE10hipError_tPvRmT2_T3_T4_T5_mT6_T7_P12ihipStream_tbENKUlT_T0_E_clISt17integral_constantIbLb1EESY_EEDaST_SU_EUlST_E_NS1_11comp_targetILNS1_3genE3ELNS1_11target_archE908ELNS1_3gpuE7ELNS1_3repE0EEENS1_30default_config_static_selectorELNS0_4arch9wavefront6targetE0EEEvT1_
		.amdhsa_group_segment_fixed_size 0
		.amdhsa_private_segment_fixed_size 0
		.amdhsa_kernarg_size 136
		.amdhsa_user_sgpr_count 6
		.amdhsa_user_sgpr_private_segment_buffer 1
		.amdhsa_user_sgpr_dispatch_ptr 0
		.amdhsa_user_sgpr_queue_ptr 0
		.amdhsa_user_sgpr_kernarg_segment_ptr 1
		.amdhsa_user_sgpr_dispatch_id 0
		.amdhsa_user_sgpr_flat_scratch_init 0
		.amdhsa_user_sgpr_private_segment_size 0
		.amdhsa_wavefront_size32 1
		.amdhsa_uses_dynamic_stack 0
		.amdhsa_system_sgpr_private_segment_wavefront_offset 0
		.amdhsa_system_sgpr_workgroup_id_x 1
		.amdhsa_system_sgpr_workgroup_id_y 0
		.amdhsa_system_sgpr_workgroup_id_z 0
		.amdhsa_system_sgpr_workgroup_info 0
		.amdhsa_system_vgpr_workitem_id 0
		.amdhsa_next_free_vgpr 1
		.amdhsa_next_free_sgpr 1
		.amdhsa_reserve_vcc 0
		.amdhsa_reserve_flat_scratch 0
		.amdhsa_float_round_mode_32 0
		.amdhsa_float_round_mode_16_64 0
		.amdhsa_float_denorm_mode_32 3
		.amdhsa_float_denorm_mode_16_64 3
		.amdhsa_dx10_clamp 1
		.amdhsa_ieee_mode 1
		.amdhsa_fp16_overflow 0
		.amdhsa_workgroup_processor_mode 1
		.amdhsa_memory_ordered 1
		.amdhsa_forward_progress 1
		.amdhsa_shared_vgpr_count 0
		.amdhsa_exception_fp_ieee_invalid_op 0
		.amdhsa_exception_fp_denorm_src 0
		.amdhsa_exception_fp_ieee_div_zero 0
		.amdhsa_exception_fp_ieee_overflow 0
		.amdhsa_exception_fp_ieee_underflow 0
		.amdhsa_exception_fp_ieee_inexact 0
		.amdhsa_exception_int_div_zero 0
	.end_amdhsa_kernel
	.section	.text._ZN7rocprim17ROCPRIM_400000_NS6detail17trampoline_kernelINS0_14default_configENS1_27scan_by_key_config_selectorIxxEEZZNS1_16scan_by_key_implILNS1_25lookback_scan_determinismE0ELb1ES3_N6thrust23THRUST_200600_302600_NS6detail15normal_iteratorINS9_10device_ptrIxEEEESE_SE_xNS9_4plusIxEE19head_flag_predicatexEE10hipError_tPvRmT2_T3_T4_T5_mT6_T7_P12ihipStream_tbENKUlT_T0_E_clISt17integral_constantIbLb1EESY_EEDaST_SU_EUlST_E_NS1_11comp_targetILNS1_3genE3ELNS1_11target_archE908ELNS1_3gpuE7ELNS1_3repE0EEENS1_30default_config_static_selectorELNS0_4arch9wavefront6targetE0EEEvT1_,"axG",@progbits,_ZN7rocprim17ROCPRIM_400000_NS6detail17trampoline_kernelINS0_14default_configENS1_27scan_by_key_config_selectorIxxEEZZNS1_16scan_by_key_implILNS1_25lookback_scan_determinismE0ELb1ES3_N6thrust23THRUST_200600_302600_NS6detail15normal_iteratorINS9_10device_ptrIxEEEESE_SE_xNS9_4plusIxEE19head_flag_predicatexEE10hipError_tPvRmT2_T3_T4_T5_mT6_T7_P12ihipStream_tbENKUlT_T0_E_clISt17integral_constantIbLb1EESY_EEDaST_SU_EUlST_E_NS1_11comp_targetILNS1_3genE3ELNS1_11target_archE908ELNS1_3gpuE7ELNS1_3repE0EEENS1_30default_config_static_selectorELNS0_4arch9wavefront6targetE0EEEvT1_,comdat
.Lfunc_end726:
	.size	_ZN7rocprim17ROCPRIM_400000_NS6detail17trampoline_kernelINS0_14default_configENS1_27scan_by_key_config_selectorIxxEEZZNS1_16scan_by_key_implILNS1_25lookback_scan_determinismE0ELb1ES3_N6thrust23THRUST_200600_302600_NS6detail15normal_iteratorINS9_10device_ptrIxEEEESE_SE_xNS9_4plusIxEE19head_flag_predicatexEE10hipError_tPvRmT2_T3_T4_T5_mT6_T7_P12ihipStream_tbENKUlT_T0_E_clISt17integral_constantIbLb1EESY_EEDaST_SU_EUlST_E_NS1_11comp_targetILNS1_3genE3ELNS1_11target_archE908ELNS1_3gpuE7ELNS1_3repE0EEENS1_30default_config_static_selectorELNS0_4arch9wavefront6targetE0EEEvT1_, .Lfunc_end726-_ZN7rocprim17ROCPRIM_400000_NS6detail17trampoline_kernelINS0_14default_configENS1_27scan_by_key_config_selectorIxxEEZZNS1_16scan_by_key_implILNS1_25lookback_scan_determinismE0ELb1ES3_N6thrust23THRUST_200600_302600_NS6detail15normal_iteratorINS9_10device_ptrIxEEEESE_SE_xNS9_4plusIxEE19head_flag_predicatexEE10hipError_tPvRmT2_T3_T4_T5_mT6_T7_P12ihipStream_tbENKUlT_T0_E_clISt17integral_constantIbLb1EESY_EEDaST_SU_EUlST_E_NS1_11comp_targetILNS1_3genE3ELNS1_11target_archE908ELNS1_3gpuE7ELNS1_3repE0EEENS1_30default_config_static_selectorELNS0_4arch9wavefront6targetE0EEEvT1_
                                        ; -- End function
	.set _ZN7rocprim17ROCPRIM_400000_NS6detail17trampoline_kernelINS0_14default_configENS1_27scan_by_key_config_selectorIxxEEZZNS1_16scan_by_key_implILNS1_25lookback_scan_determinismE0ELb1ES3_N6thrust23THRUST_200600_302600_NS6detail15normal_iteratorINS9_10device_ptrIxEEEESE_SE_xNS9_4plusIxEE19head_flag_predicatexEE10hipError_tPvRmT2_T3_T4_T5_mT6_T7_P12ihipStream_tbENKUlT_T0_E_clISt17integral_constantIbLb1EESY_EEDaST_SU_EUlST_E_NS1_11comp_targetILNS1_3genE3ELNS1_11target_archE908ELNS1_3gpuE7ELNS1_3repE0EEENS1_30default_config_static_selectorELNS0_4arch9wavefront6targetE0EEEvT1_.num_vgpr, 0
	.set _ZN7rocprim17ROCPRIM_400000_NS6detail17trampoline_kernelINS0_14default_configENS1_27scan_by_key_config_selectorIxxEEZZNS1_16scan_by_key_implILNS1_25lookback_scan_determinismE0ELb1ES3_N6thrust23THRUST_200600_302600_NS6detail15normal_iteratorINS9_10device_ptrIxEEEESE_SE_xNS9_4plusIxEE19head_flag_predicatexEE10hipError_tPvRmT2_T3_T4_T5_mT6_T7_P12ihipStream_tbENKUlT_T0_E_clISt17integral_constantIbLb1EESY_EEDaST_SU_EUlST_E_NS1_11comp_targetILNS1_3genE3ELNS1_11target_archE908ELNS1_3gpuE7ELNS1_3repE0EEENS1_30default_config_static_selectorELNS0_4arch9wavefront6targetE0EEEvT1_.num_agpr, 0
	.set _ZN7rocprim17ROCPRIM_400000_NS6detail17trampoline_kernelINS0_14default_configENS1_27scan_by_key_config_selectorIxxEEZZNS1_16scan_by_key_implILNS1_25lookback_scan_determinismE0ELb1ES3_N6thrust23THRUST_200600_302600_NS6detail15normal_iteratorINS9_10device_ptrIxEEEESE_SE_xNS9_4plusIxEE19head_flag_predicatexEE10hipError_tPvRmT2_T3_T4_T5_mT6_T7_P12ihipStream_tbENKUlT_T0_E_clISt17integral_constantIbLb1EESY_EEDaST_SU_EUlST_E_NS1_11comp_targetILNS1_3genE3ELNS1_11target_archE908ELNS1_3gpuE7ELNS1_3repE0EEENS1_30default_config_static_selectorELNS0_4arch9wavefront6targetE0EEEvT1_.numbered_sgpr, 0
	.set _ZN7rocprim17ROCPRIM_400000_NS6detail17trampoline_kernelINS0_14default_configENS1_27scan_by_key_config_selectorIxxEEZZNS1_16scan_by_key_implILNS1_25lookback_scan_determinismE0ELb1ES3_N6thrust23THRUST_200600_302600_NS6detail15normal_iteratorINS9_10device_ptrIxEEEESE_SE_xNS9_4plusIxEE19head_flag_predicatexEE10hipError_tPvRmT2_T3_T4_T5_mT6_T7_P12ihipStream_tbENKUlT_T0_E_clISt17integral_constantIbLb1EESY_EEDaST_SU_EUlST_E_NS1_11comp_targetILNS1_3genE3ELNS1_11target_archE908ELNS1_3gpuE7ELNS1_3repE0EEENS1_30default_config_static_selectorELNS0_4arch9wavefront6targetE0EEEvT1_.num_named_barrier, 0
	.set _ZN7rocprim17ROCPRIM_400000_NS6detail17trampoline_kernelINS0_14default_configENS1_27scan_by_key_config_selectorIxxEEZZNS1_16scan_by_key_implILNS1_25lookback_scan_determinismE0ELb1ES3_N6thrust23THRUST_200600_302600_NS6detail15normal_iteratorINS9_10device_ptrIxEEEESE_SE_xNS9_4plusIxEE19head_flag_predicatexEE10hipError_tPvRmT2_T3_T4_T5_mT6_T7_P12ihipStream_tbENKUlT_T0_E_clISt17integral_constantIbLb1EESY_EEDaST_SU_EUlST_E_NS1_11comp_targetILNS1_3genE3ELNS1_11target_archE908ELNS1_3gpuE7ELNS1_3repE0EEENS1_30default_config_static_selectorELNS0_4arch9wavefront6targetE0EEEvT1_.private_seg_size, 0
	.set _ZN7rocprim17ROCPRIM_400000_NS6detail17trampoline_kernelINS0_14default_configENS1_27scan_by_key_config_selectorIxxEEZZNS1_16scan_by_key_implILNS1_25lookback_scan_determinismE0ELb1ES3_N6thrust23THRUST_200600_302600_NS6detail15normal_iteratorINS9_10device_ptrIxEEEESE_SE_xNS9_4plusIxEE19head_flag_predicatexEE10hipError_tPvRmT2_T3_T4_T5_mT6_T7_P12ihipStream_tbENKUlT_T0_E_clISt17integral_constantIbLb1EESY_EEDaST_SU_EUlST_E_NS1_11comp_targetILNS1_3genE3ELNS1_11target_archE908ELNS1_3gpuE7ELNS1_3repE0EEENS1_30default_config_static_selectorELNS0_4arch9wavefront6targetE0EEEvT1_.uses_vcc, 0
	.set _ZN7rocprim17ROCPRIM_400000_NS6detail17trampoline_kernelINS0_14default_configENS1_27scan_by_key_config_selectorIxxEEZZNS1_16scan_by_key_implILNS1_25lookback_scan_determinismE0ELb1ES3_N6thrust23THRUST_200600_302600_NS6detail15normal_iteratorINS9_10device_ptrIxEEEESE_SE_xNS9_4plusIxEE19head_flag_predicatexEE10hipError_tPvRmT2_T3_T4_T5_mT6_T7_P12ihipStream_tbENKUlT_T0_E_clISt17integral_constantIbLb1EESY_EEDaST_SU_EUlST_E_NS1_11comp_targetILNS1_3genE3ELNS1_11target_archE908ELNS1_3gpuE7ELNS1_3repE0EEENS1_30default_config_static_selectorELNS0_4arch9wavefront6targetE0EEEvT1_.uses_flat_scratch, 0
	.set _ZN7rocprim17ROCPRIM_400000_NS6detail17trampoline_kernelINS0_14default_configENS1_27scan_by_key_config_selectorIxxEEZZNS1_16scan_by_key_implILNS1_25lookback_scan_determinismE0ELb1ES3_N6thrust23THRUST_200600_302600_NS6detail15normal_iteratorINS9_10device_ptrIxEEEESE_SE_xNS9_4plusIxEE19head_flag_predicatexEE10hipError_tPvRmT2_T3_T4_T5_mT6_T7_P12ihipStream_tbENKUlT_T0_E_clISt17integral_constantIbLb1EESY_EEDaST_SU_EUlST_E_NS1_11comp_targetILNS1_3genE3ELNS1_11target_archE908ELNS1_3gpuE7ELNS1_3repE0EEENS1_30default_config_static_selectorELNS0_4arch9wavefront6targetE0EEEvT1_.has_dyn_sized_stack, 0
	.set _ZN7rocprim17ROCPRIM_400000_NS6detail17trampoline_kernelINS0_14default_configENS1_27scan_by_key_config_selectorIxxEEZZNS1_16scan_by_key_implILNS1_25lookback_scan_determinismE0ELb1ES3_N6thrust23THRUST_200600_302600_NS6detail15normal_iteratorINS9_10device_ptrIxEEEESE_SE_xNS9_4plusIxEE19head_flag_predicatexEE10hipError_tPvRmT2_T3_T4_T5_mT6_T7_P12ihipStream_tbENKUlT_T0_E_clISt17integral_constantIbLb1EESY_EEDaST_SU_EUlST_E_NS1_11comp_targetILNS1_3genE3ELNS1_11target_archE908ELNS1_3gpuE7ELNS1_3repE0EEENS1_30default_config_static_selectorELNS0_4arch9wavefront6targetE0EEEvT1_.has_recursion, 0
	.set _ZN7rocprim17ROCPRIM_400000_NS6detail17trampoline_kernelINS0_14default_configENS1_27scan_by_key_config_selectorIxxEEZZNS1_16scan_by_key_implILNS1_25lookback_scan_determinismE0ELb1ES3_N6thrust23THRUST_200600_302600_NS6detail15normal_iteratorINS9_10device_ptrIxEEEESE_SE_xNS9_4plusIxEE19head_flag_predicatexEE10hipError_tPvRmT2_T3_T4_T5_mT6_T7_P12ihipStream_tbENKUlT_T0_E_clISt17integral_constantIbLb1EESY_EEDaST_SU_EUlST_E_NS1_11comp_targetILNS1_3genE3ELNS1_11target_archE908ELNS1_3gpuE7ELNS1_3repE0EEENS1_30default_config_static_selectorELNS0_4arch9wavefront6targetE0EEEvT1_.has_indirect_call, 0
	.section	.AMDGPU.csdata,"",@progbits
; Kernel info:
; codeLenInByte = 0
; TotalNumSgprs: 0
; NumVgprs: 0
; ScratchSize: 0
; MemoryBound: 0
; FloatMode: 240
; IeeeMode: 1
; LDSByteSize: 0 bytes/workgroup (compile time only)
; SGPRBlocks: 0
; VGPRBlocks: 0
; NumSGPRsForWavesPerEU: 1
; NumVGPRsForWavesPerEU: 1
; Occupancy: 16
; WaveLimiterHint : 0
; COMPUTE_PGM_RSRC2:SCRATCH_EN: 0
; COMPUTE_PGM_RSRC2:USER_SGPR: 6
; COMPUTE_PGM_RSRC2:TRAP_HANDLER: 0
; COMPUTE_PGM_RSRC2:TGID_X_EN: 1
; COMPUTE_PGM_RSRC2:TGID_Y_EN: 0
; COMPUTE_PGM_RSRC2:TGID_Z_EN: 0
; COMPUTE_PGM_RSRC2:TIDIG_COMP_CNT: 0
	.section	.text._ZN7rocprim17ROCPRIM_400000_NS6detail17trampoline_kernelINS0_14default_configENS1_27scan_by_key_config_selectorIxxEEZZNS1_16scan_by_key_implILNS1_25lookback_scan_determinismE0ELb1ES3_N6thrust23THRUST_200600_302600_NS6detail15normal_iteratorINS9_10device_ptrIxEEEESE_SE_xNS9_4plusIxEE19head_flag_predicatexEE10hipError_tPvRmT2_T3_T4_T5_mT6_T7_P12ihipStream_tbENKUlT_T0_E_clISt17integral_constantIbLb1EESY_EEDaST_SU_EUlST_E_NS1_11comp_targetILNS1_3genE2ELNS1_11target_archE906ELNS1_3gpuE6ELNS1_3repE0EEENS1_30default_config_static_selectorELNS0_4arch9wavefront6targetE0EEEvT1_,"axG",@progbits,_ZN7rocprim17ROCPRIM_400000_NS6detail17trampoline_kernelINS0_14default_configENS1_27scan_by_key_config_selectorIxxEEZZNS1_16scan_by_key_implILNS1_25lookback_scan_determinismE0ELb1ES3_N6thrust23THRUST_200600_302600_NS6detail15normal_iteratorINS9_10device_ptrIxEEEESE_SE_xNS9_4plusIxEE19head_flag_predicatexEE10hipError_tPvRmT2_T3_T4_T5_mT6_T7_P12ihipStream_tbENKUlT_T0_E_clISt17integral_constantIbLb1EESY_EEDaST_SU_EUlST_E_NS1_11comp_targetILNS1_3genE2ELNS1_11target_archE906ELNS1_3gpuE6ELNS1_3repE0EEENS1_30default_config_static_selectorELNS0_4arch9wavefront6targetE0EEEvT1_,comdat
	.protected	_ZN7rocprim17ROCPRIM_400000_NS6detail17trampoline_kernelINS0_14default_configENS1_27scan_by_key_config_selectorIxxEEZZNS1_16scan_by_key_implILNS1_25lookback_scan_determinismE0ELb1ES3_N6thrust23THRUST_200600_302600_NS6detail15normal_iteratorINS9_10device_ptrIxEEEESE_SE_xNS9_4plusIxEE19head_flag_predicatexEE10hipError_tPvRmT2_T3_T4_T5_mT6_T7_P12ihipStream_tbENKUlT_T0_E_clISt17integral_constantIbLb1EESY_EEDaST_SU_EUlST_E_NS1_11comp_targetILNS1_3genE2ELNS1_11target_archE906ELNS1_3gpuE6ELNS1_3repE0EEENS1_30default_config_static_selectorELNS0_4arch9wavefront6targetE0EEEvT1_ ; -- Begin function _ZN7rocprim17ROCPRIM_400000_NS6detail17trampoline_kernelINS0_14default_configENS1_27scan_by_key_config_selectorIxxEEZZNS1_16scan_by_key_implILNS1_25lookback_scan_determinismE0ELb1ES3_N6thrust23THRUST_200600_302600_NS6detail15normal_iteratorINS9_10device_ptrIxEEEESE_SE_xNS9_4plusIxEE19head_flag_predicatexEE10hipError_tPvRmT2_T3_T4_T5_mT6_T7_P12ihipStream_tbENKUlT_T0_E_clISt17integral_constantIbLb1EESY_EEDaST_SU_EUlST_E_NS1_11comp_targetILNS1_3genE2ELNS1_11target_archE906ELNS1_3gpuE6ELNS1_3repE0EEENS1_30default_config_static_selectorELNS0_4arch9wavefront6targetE0EEEvT1_
	.globl	_ZN7rocprim17ROCPRIM_400000_NS6detail17trampoline_kernelINS0_14default_configENS1_27scan_by_key_config_selectorIxxEEZZNS1_16scan_by_key_implILNS1_25lookback_scan_determinismE0ELb1ES3_N6thrust23THRUST_200600_302600_NS6detail15normal_iteratorINS9_10device_ptrIxEEEESE_SE_xNS9_4plusIxEE19head_flag_predicatexEE10hipError_tPvRmT2_T3_T4_T5_mT6_T7_P12ihipStream_tbENKUlT_T0_E_clISt17integral_constantIbLb1EESY_EEDaST_SU_EUlST_E_NS1_11comp_targetILNS1_3genE2ELNS1_11target_archE906ELNS1_3gpuE6ELNS1_3repE0EEENS1_30default_config_static_selectorELNS0_4arch9wavefront6targetE0EEEvT1_
	.p2align	8
	.type	_ZN7rocprim17ROCPRIM_400000_NS6detail17trampoline_kernelINS0_14default_configENS1_27scan_by_key_config_selectorIxxEEZZNS1_16scan_by_key_implILNS1_25lookback_scan_determinismE0ELb1ES3_N6thrust23THRUST_200600_302600_NS6detail15normal_iteratorINS9_10device_ptrIxEEEESE_SE_xNS9_4plusIxEE19head_flag_predicatexEE10hipError_tPvRmT2_T3_T4_T5_mT6_T7_P12ihipStream_tbENKUlT_T0_E_clISt17integral_constantIbLb1EESY_EEDaST_SU_EUlST_E_NS1_11comp_targetILNS1_3genE2ELNS1_11target_archE906ELNS1_3gpuE6ELNS1_3repE0EEENS1_30default_config_static_selectorELNS0_4arch9wavefront6targetE0EEEvT1_,@function
_ZN7rocprim17ROCPRIM_400000_NS6detail17trampoline_kernelINS0_14default_configENS1_27scan_by_key_config_selectorIxxEEZZNS1_16scan_by_key_implILNS1_25lookback_scan_determinismE0ELb1ES3_N6thrust23THRUST_200600_302600_NS6detail15normal_iteratorINS9_10device_ptrIxEEEESE_SE_xNS9_4plusIxEE19head_flag_predicatexEE10hipError_tPvRmT2_T3_T4_T5_mT6_T7_P12ihipStream_tbENKUlT_T0_E_clISt17integral_constantIbLb1EESY_EEDaST_SU_EUlST_E_NS1_11comp_targetILNS1_3genE2ELNS1_11target_archE906ELNS1_3gpuE6ELNS1_3repE0EEENS1_30default_config_static_selectorELNS0_4arch9wavefront6targetE0EEEvT1_: ; @_ZN7rocprim17ROCPRIM_400000_NS6detail17trampoline_kernelINS0_14default_configENS1_27scan_by_key_config_selectorIxxEEZZNS1_16scan_by_key_implILNS1_25lookback_scan_determinismE0ELb1ES3_N6thrust23THRUST_200600_302600_NS6detail15normal_iteratorINS9_10device_ptrIxEEEESE_SE_xNS9_4plusIxEE19head_flag_predicatexEE10hipError_tPvRmT2_T3_T4_T5_mT6_T7_P12ihipStream_tbENKUlT_T0_E_clISt17integral_constantIbLb1EESY_EEDaST_SU_EUlST_E_NS1_11comp_targetILNS1_3genE2ELNS1_11target_archE906ELNS1_3gpuE6ELNS1_3repE0EEENS1_30default_config_static_selectorELNS0_4arch9wavefront6targetE0EEEvT1_
; %bb.0:
	.section	.rodata,"a",@progbits
	.p2align	6, 0x0
	.amdhsa_kernel _ZN7rocprim17ROCPRIM_400000_NS6detail17trampoline_kernelINS0_14default_configENS1_27scan_by_key_config_selectorIxxEEZZNS1_16scan_by_key_implILNS1_25lookback_scan_determinismE0ELb1ES3_N6thrust23THRUST_200600_302600_NS6detail15normal_iteratorINS9_10device_ptrIxEEEESE_SE_xNS9_4plusIxEE19head_flag_predicatexEE10hipError_tPvRmT2_T3_T4_T5_mT6_T7_P12ihipStream_tbENKUlT_T0_E_clISt17integral_constantIbLb1EESY_EEDaST_SU_EUlST_E_NS1_11comp_targetILNS1_3genE2ELNS1_11target_archE906ELNS1_3gpuE6ELNS1_3repE0EEENS1_30default_config_static_selectorELNS0_4arch9wavefront6targetE0EEEvT1_
		.amdhsa_group_segment_fixed_size 0
		.amdhsa_private_segment_fixed_size 0
		.amdhsa_kernarg_size 136
		.amdhsa_user_sgpr_count 6
		.amdhsa_user_sgpr_private_segment_buffer 1
		.amdhsa_user_sgpr_dispatch_ptr 0
		.amdhsa_user_sgpr_queue_ptr 0
		.amdhsa_user_sgpr_kernarg_segment_ptr 1
		.amdhsa_user_sgpr_dispatch_id 0
		.amdhsa_user_sgpr_flat_scratch_init 0
		.amdhsa_user_sgpr_private_segment_size 0
		.amdhsa_wavefront_size32 1
		.amdhsa_uses_dynamic_stack 0
		.amdhsa_system_sgpr_private_segment_wavefront_offset 0
		.amdhsa_system_sgpr_workgroup_id_x 1
		.amdhsa_system_sgpr_workgroup_id_y 0
		.amdhsa_system_sgpr_workgroup_id_z 0
		.amdhsa_system_sgpr_workgroup_info 0
		.amdhsa_system_vgpr_workitem_id 0
		.amdhsa_next_free_vgpr 1
		.amdhsa_next_free_sgpr 1
		.amdhsa_reserve_vcc 0
		.amdhsa_reserve_flat_scratch 0
		.amdhsa_float_round_mode_32 0
		.amdhsa_float_round_mode_16_64 0
		.amdhsa_float_denorm_mode_32 3
		.amdhsa_float_denorm_mode_16_64 3
		.amdhsa_dx10_clamp 1
		.amdhsa_ieee_mode 1
		.amdhsa_fp16_overflow 0
		.amdhsa_workgroup_processor_mode 1
		.amdhsa_memory_ordered 1
		.amdhsa_forward_progress 1
		.amdhsa_shared_vgpr_count 0
		.amdhsa_exception_fp_ieee_invalid_op 0
		.amdhsa_exception_fp_denorm_src 0
		.amdhsa_exception_fp_ieee_div_zero 0
		.amdhsa_exception_fp_ieee_overflow 0
		.amdhsa_exception_fp_ieee_underflow 0
		.amdhsa_exception_fp_ieee_inexact 0
		.amdhsa_exception_int_div_zero 0
	.end_amdhsa_kernel
	.section	.text._ZN7rocprim17ROCPRIM_400000_NS6detail17trampoline_kernelINS0_14default_configENS1_27scan_by_key_config_selectorIxxEEZZNS1_16scan_by_key_implILNS1_25lookback_scan_determinismE0ELb1ES3_N6thrust23THRUST_200600_302600_NS6detail15normal_iteratorINS9_10device_ptrIxEEEESE_SE_xNS9_4plusIxEE19head_flag_predicatexEE10hipError_tPvRmT2_T3_T4_T5_mT6_T7_P12ihipStream_tbENKUlT_T0_E_clISt17integral_constantIbLb1EESY_EEDaST_SU_EUlST_E_NS1_11comp_targetILNS1_3genE2ELNS1_11target_archE906ELNS1_3gpuE6ELNS1_3repE0EEENS1_30default_config_static_selectorELNS0_4arch9wavefront6targetE0EEEvT1_,"axG",@progbits,_ZN7rocprim17ROCPRIM_400000_NS6detail17trampoline_kernelINS0_14default_configENS1_27scan_by_key_config_selectorIxxEEZZNS1_16scan_by_key_implILNS1_25lookback_scan_determinismE0ELb1ES3_N6thrust23THRUST_200600_302600_NS6detail15normal_iteratorINS9_10device_ptrIxEEEESE_SE_xNS9_4plusIxEE19head_flag_predicatexEE10hipError_tPvRmT2_T3_T4_T5_mT6_T7_P12ihipStream_tbENKUlT_T0_E_clISt17integral_constantIbLb1EESY_EEDaST_SU_EUlST_E_NS1_11comp_targetILNS1_3genE2ELNS1_11target_archE906ELNS1_3gpuE6ELNS1_3repE0EEENS1_30default_config_static_selectorELNS0_4arch9wavefront6targetE0EEEvT1_,comdat
.Lfunc_end727:
	.size	_ZN7rocprim17ROCPRIM_400000_NS6detail17trampoline_kernelINS0_14default_configENS1_27scan_by_key_config_selectorIxxEEZZNS1_16scan_by_key_implILNS1_25lookback_scan_determinismE0ELb1ES3_N6thrust23THRUST_200600_302600_NS6detail15normal_iteratorINS9_10device_ptrIxEEEESE_SE_xNS9_4plusIxEE19head_flag_predicatexEE10hipError_tPvRmT2_T3_T4_T5_mT6_T7_P12ihipStream_tbENKUlT_T0_E_clISt17integral_constantIbLb1EESY_EEDaST_SU_EUlST_E_NS1_11comp_targetILNS1_3genE2ELNS1_11target_archE906ELNS1_3gpuE6ELNS1_3repE0EEENS1_30default_config_static_selectorELNS0_4arch9wavefront6targetE0EEEvT1_, .Lfunc_end727-_ZN7rocprim17ROCPRIM_400000_NS6detail17trampoline_kernelINS0_14default_configENS1_27scan_by_key_config_selectorIxxEEZZNS1_16scan_by_key_implILNS1_25lookback_scan_determinismE0ELb1ES3_N6thrust23THRUST_200600_302600_NS6detail15normal_iteratorINS9_10device_ptrIxEEEESE_SE_xNS9_4plusIxEE19head_flag_predicatexEE10hipError_tPvRmT2_T3_T4_T5_mT6_T7_P12ihipStream_tbENKUlT_T0_E_clISt17integral_constantIbLb1EESY_EEDaST_SU_EUlST_E_NS1_11comp_targetILNS1_3genE2ELNS1_11target_archE906ELNS1_3gpuE6ELNS1_3repE0EEENS1_30default_config_static_selectorELNS0_4arch9wavefront6targetE0EEEvT1_
                                        ; -- End function
	.set _ZN7rocprim17ROCPRIM_400000_NS6detail17trampoline_kernelINS0_14default_configENS1_27scan_by_key_config_selectorIxxEEZZNS1_16scan_by_key_implILNS1_25lookback_scan_determinismE0ELb1ES3_N6thrust23THRUST_200600_302600_NS6detail15normal_iteratorINS9_10device_ptrIxEEEESE_SE_xNS9_4plusIxEE19head_flag_predicatexEE10hipError_tPvRmT2_T3_T4_T5_mT6_T7_P12ihipStream_tbENKUlT_T0_E_clISt17integral_constantIbLb1EESY_EEDaST_SU_EUlST_E_NS1_11comp_targetILNS1_3genE2ELNS1_11target_archE906ELNS1_3gpuE6ELNS1_3repE0EEENS1_30default_config_static_selectorELNS0_4arch9wavefront6targetE0EEEvT1_.num_vgpr, 0
	.set _ZN7rocprim17ROCPRIM_400000_NS6detail17trampoline_kernelINS0_14default_configENS1_27scan_by_key_config_selectorIxxEEZZNS1_16scan_by_key_implILNS1_25lookback_scan_determinismE0ELb1ES3_N6thrust23THRUST_200600_302600_NS6detail15normal_iteratorINS9_10device_ptrIxEEEESE_SE_xNS9_4plusIxEE19head_flag_predicatexEE10hipError_tPvRmT2_T3_T4_T5_mT6_T7_P12ihipStream_tbENKUlT_T0_E_clISt17integral_constantIbLb1EESY_EEDaST_SU_EUlST_E_NS1_11comp_targetILNS1_3genE2ELNS1_11target_archE906ELNS1_3gpuE6ELNS1_3repE0EEENS1_30default_config_static_selectorELNS0_4arch9wavefront6targetE0EEEvT1_.num_agpr, 0
	.set _ZN7rocprim17ROCPRIM_400000_NS6detail17trampoline_kernelINS0_14default_configENS1_27scan_by_key_config_selectorIxxEEZZNS1_16scan_by_key_implILNS1_25lookback_scan_determinismE0ELb1ES3_N6thrust23THRUST_200600_302600_NS6detail15normal_iteratorINS9_10device_ptrIxEEEESE_SE_xNS9_4plusIxEE19head_flag_predicatexEE10hipError_tPvRmT2_T3_T4_T5_mT6_T7_P12ihipStream_tbENKUlT_T0_E_clISt17integral_constantIbLb1EESY_EEDaST_SU_EUlST_E_NS1_11comp_targetILNS1_3genE2ELNS1_11target_archE906ELNS1_3gpuE6ELNS1_3repE0EEENS1_30default_config_static_selectorELNS0_4arch9wavefront6targetE0EEEvT1_.numbered_sgpr, 0
	.set _ZN7rocprim17ROCPRIM_400000_NS6detail17trampoline_kernelINS0_14default_configENS1_27scan_by_key_config_selectorIxxEEZZNS1_16scan_by_key_implILNS1_25lookback_scan_determinismE0ELb1ES3_N6thrust23THRUST_200600_302600_NS6detail15normal_iteratorINS9_10device_ptrIxEEEESE_SE_xNS9_4plusIxEE19head_flag_predicatexEE10hipError_tPvRmT2_T3_T4_T5_mT6_T7_P12ihipStream_tbENKUlT_T0_E_clISt17integral_constantIbLb1EESY_EEDaST_SU_EUlST_E_NS1_11comp_targetILNS1_3genE2ELNS1_11target_archE906ELNS1_3gpuE6ELNS1_3repE0EEENS1_30default_config_static_selectorELNS0_4arch9wavefront6targetE0EEEvT1_.num_named_barrier, 0
	.set _ZN7rocprim17ROCPRIM_400000_NS6detail17trampoline_kernelINS0_14default_configENS1_27scan_by_key_config_selectorIxxEEZZNS1_16scan_by_key_implILNS1_25lookback_scan_determinismE0ELb1ES3_N6thrust23THRUST_200600_302600_NS6detail15normal_iteratorINS9_10device_ptrIxEEEESE_SE_xNS9_4plusIxEE19head_flag_predicatexEE10hipError_tPvRmT2_T3_T4_T5_mT6_T7_P12ihipStream_tbENKUlT_T0_E_clISt17integral_constantIbLb1EESY_EEDaST_SU_EUlST_E_NS1_11comp_targetILNS1_3genE2ELNS1_11target_archE906ELNS1_3gpuE6ELNS1_3repE0EEENS1_30default_config_static_selectorELNS0_4arch9wavefront6targetE0EEEvT1_.private_seg_size, 0
	.set _ZN7rocprim17ROCPRIM_400000_NS6detail17trampoline_kernelINS0_14default_configENS1_27scan_by_key_config_selectorIxxEEZZNS1_16scan_by_key_implILNS1_25lookback_scan_determinismE0ELb1ES3_N6thrust23THRUST_200600_302600_NS6detail15normal_iteratorINS9_10device_ptrIxEEEESE_SE_xNS9_4plusIxEE19head_flag_predicatexEE10hipError_tPvRmT2_T3_T4_T5_mT6_T7_P12ihipStream_tbENKUlT_T0_E_clISt17integral_constantIbLb1EESY_EEDaST_SU_EUlST_E_NS1_11comp_targetILNS1_3genE2ELNS1_11target_archE906ELNS1_3gpuE6ELNS1_3repE0EEENS1_30default_config_static_selectorELNS0_4arch9wavefront6targetE0EEEvT1_.uses_vcc, 0
	.set _ZN7rocprim17ROCPRIM_400000_NS6detail17trampoline_kernelINS0_14default_configENS1_27scan_by_key_config_selectorIxxEEZZNS1_16scan_by_key_implILNS1_25lookback_scan_determinismE0ELb1ES3_N6thrust23THRUST_200600_302600_NS6detail15normal_iteratorINS9_10device_ptrIxEEEESE_SE_xNS9_4plusIxEE19head_flag_predicatexEE10hipError_tPvRmT2_T3_T4_T5_mT6_T7_P12ihipStream_tbENKUlT_T0_E_clISt17integral_constantIbLb1EESY_EEDaST_SU_EUlST_E_NS1_11comp_targetILNS1_3genE2ELNS1_11target_archE906ELNS1_3gpuE6ELNS1_3repE0EEENS1_30default_config_static_selectorELNS0_4arch9wavefront6targetE0EEEvT1_.uses_flat_scratch, 0
	.set _ZN7rocprim17ROCPRIM_400000_NS6detail17trampoline_kernelINS0_14default_configENS1_27scan_by_key_config_selectorIxxEEZZNS1_16scan_by_key_implILNS1_25lookback_scan_determinismE0ELb1ES3_N6thrust23THRUST_200600_302600_NS6detail15normal_iteratorINS9_10device_ptrIxEEEESE_SE_xNS9_4plusIxEE19head_flag_predicatexEE10hipError_tPvRmT2_T3_T4_T5_mT6_T7_P12ihipStream_tbENKUlT_T0_E_clISt17integral_constantIbLb1EESY_EEDaST_SU_EUlST_E_NS1_11comp_targetILNS1_3genE2ELNS1_11target_archE906ELNS1_3gpuE6ELNS1_3repE0EEENS1_30default_config_static_selectorELNS0_4arch9wavefront6targetE0EEEvT1_.has_dyn_sized_stack, 0
	.set _ZN7rocprim17ROCPRIM_400000_NS6detail17trampoline_kernelINS0_14default_configENS1_27scan_by_key_config_selectorIxxEEZZNS1_16scan_by_key_implILNS1_25lookback_scan_determinismE0ELb1ES3_N6thrust23THRUST_200600_302600_NS6detail15normal_iteratorINS9_10device_ptrIxEEEESE_SE_xNS9_4plusIxEE19head_flag_predicatexEE10hipError_tPvRmT2_T3_T4_T5_mT6_T7_P12ihipStream_tbENKUlT_T0_E_clISt17integral_constantIbLb1EESY_EEDaST_SU_EUlST_E_NS1_11comp_targetILNS1_3genE2ELNS1_11target_archE906ELNS1_3gpuE6ELNS1_3repE0EEENS1_30default_config_static_selectorELNS0_4arch9wavefront6targetE0EEEvT1_.has_recursion, 0
	.set _ZN7rocprim17ROCPRIM_400000_NS6detail17trampoline_kernelINS0_14default_configENS1_27scan_by_key_config_selectorIxxEEZZNS1_16scan_by_key_implILNS1_25lookback_scan_determinismE0ELb1ES3_N6thrust23THRUST_200600_302600_NS6detail15normal_iteratorINS9_10device_ptrIxEEEESE_SE_xNS9_4plusIxEE19head_flag_predicatexEE10hipError_tPvRmT2_T3_T4_T5_mT6_T7_P12ihipStream_tbENKUlT_T0_E_clISt17integral_constantIbLb1EESY_EEDaST_SU_EUlST_E_NS1_11comp_targetILNS1_3genE2ELNS1_11target_archE906ELNS1_3gpuE6ELNS1_3repE0EEENS1_30default_config_static_selectorELNS0_4arch9wavefront6targetE0EEEvT1_.has_indirect_call, 0
	.section	.AMDGPU.csdata,"",@progbits
; Kernel info:
; codeLenInByte = 0
; TotalNumSgprs: 0
; NumVgprs: 0
; ScratchSize: 0
; MemoryBound: 0
; FloatMode: 240
; IeeeMode: 1
; LDSByteSize: 0 bytes/workgroup (compile time only)
; SGPRBlocks: 0
; VGPRBlocks: 0
; NumSGPRsForWavesPerEU: 1
; NumVGPRsForWavesPerEU: 1
; Occupancy: 16
; WaveLimiterHint : 0
; COMPUTE_PGM_RSRC2:SCRATCH_EN: 0
; COMPUTE_PGM_RSRC2:USER_SGPR: 6
; COMPUTE_PGM_RSRC2:TRAP_HANDLER: 0
; COMPUTE_PGM_RSRC2:TGID_X_EN: 1
; COMPUTE_PGM_RSRC2:TGID_Y_EN: 0
; COMPUTE_PGM_RSRC2:TGID_Z_EN: 0
; COMPUTE_PGM_RSRC2:TIDIG_COMP_CNT: 0
	.section	.text._ZN7rocprim17ROCPRIM_400000_NS6detail17trampoline_kernelINS0_14default_configENS1_27scan_by_key_config_selectorIxxEEZZNS1_16scan_by_key_implILNS1_25lookback_scan_determinismE0ELb1ES3_N6thrust23THRUST_200600_302600_NS6detail15normal_iteratorINS9_10device_ptrIxEEEESE_SE_xNS9_4plusIxEE19head_flag_predicatexEE10hipError_tPvRmT2_T3_T4_T5_mT6_T7_P12ihipStream_tbENKUlT_T0_E_clISt17integral_constantIbLb1EESY_EEDaST_SU_EUlST_E_NS1_11comp_targetILNS1_3genE10ELNS1_11target_archE1200ELNS1_3gpuE4ELNS1_3repE0EEENS1_30default_config_static_selectorELNS0_4arch9wavefront6targetE0EEEvT1_,"axG",@progbits,_ZN7rocprim17ROCPRIM_400000_NS6detail17trampoline_kernelINS0_14default_configENS1_27scan_by_key_config_selectorIxxEEZZNS1_16scan_by_key_implILNS1_25lookback_scan_determinismE0ELb1ES3_N6thrust23THRUST_200600_302600_NS6detail15normal_iteratorINS9_10device_ptrIxEEEESE_SE_xNS9_4plusIxEE19head_flag_predicatexEE10hipError_tPvRmT2_T3_T4_T5_mT6_T7_P12ihipStream_tbENKUlT_T0_E_clISt17integral_constantIbLb1EESY_EEDaST_SU_EUlST_E_NS1_11comp_targetILNS1_3genE10ELNS1_11target_archE1200ELNS1_3gpuE4ELNS1_3repE0EEENS1_30default_config_static_selectorELNS0_4arch9wavefront6targetE0EEEvT1_,comdat
	.protected	_ZN7rocprim17ROCPRIM_400000_NS6detail17trampoline_kernelINS0_14default_configENS1_27scan_by_key_config_selectorIxxEEZZNS1_16scan_by_key_implILNS1_25lookback_scan_determinismE0ELb1ES3_N6thrust23THRUST_200600_302600_NS6detail15normal_iteratorINS9_10device_ptrIxEEEESE_SE_xNS9_4plusIxEE19head_flag_predicatexEE10hipError_tPvRmT2_T3_T4_T5_mT6_T7_P12ihipStream_tbENKUlT_T0_E_clISt17integral_constantIbLb1EESY_EEDaST_SU_EUlST_E_NS1_11comp_targetILNS1_3genE10ELNS1_11target_archE1200ELNS1_3gpuE4ELNS1_3repE0EEENS1_30default_config_static_selectorELNS0_4arch9wavefront6targetE0EEEvT1_ ; -- Begin function _ZN7rocprim17ROCPRIM_400000_NS6detail17trampoline_kernelINS0_14default_configENS1_27scan_by_key_config_selectorIxxEEZZNS1_16scan_by_key_implILNS1_25lookback_scan_determinismE0ELb1ES3_N6thrust23THRUST_200600_302600_NS6detail15normal_iteratorINS9_10device_ptrIxEEEESE_SE_xNS9_4plusIxEE19head_flag_predicatexEE10hipError_tPvRmT2_T3_T4_T5_mT6_T7_P12ihipStream_tbENKUlT_T0_E_clISt17integral_constantIbLb1EESY_EEDaST_SU_EUlST_E_NS1_11comp_targetILNS1_3genE10ELNS1_11target_archE1200ELNS1_3gpuE4ELNS1_3repE0EEENS1_30default_config_static_selectorELNS0_4arch9wavefront6targetE0EEEvT1_
	.globl	_ZN7rocprim17ROCPRIM_400000_NS6detail17trampoline_kernelINS0_14default_configENS1_27scan_by_key_config_selectorIxxEEZZNS1_16scan_by_key_implILNS1_25lookback_scan_determinismE0ELb1ES3_N6thrust23THRUST_200600_302600_NS6detail15normal_iteratorINS9_10device_ptrIxEEEESE_SE_xNS9_4plusIxEE19head_flag_predicatexEE10hipError_tPvRmT2_T3_T4_T5_mT6_T7_P12ihipStream_tbENKUlT_T0_E_clISt17integral_constantIbLb1EESY_EEDaST_SU_EUlST_E_NS1_11comp_targetILNS1_3genE10ELNS1_11target_archE1200ELNS1_3gpuE4ELNS1_3repE0EEENS1_30default_config_static_selectorELNS0_4arch9wavefront6targetE0EEEvT1_
	.p2align	8
	.type	_ZN7rocprim17ROCPRIM_400000_NS6detail17trampoline_kernelINS0_14default_configENS1_27scan_by_key_config_selectorIxxEEZZNS1_16scan_by_key_implILNS1_25lookback_scan_determinismE0ELb1ES3_N6thrust23THRUST_200600_302600_NS6detail15normal_iteratorINS9_10device_ptrIxEEEESE_SE_xNS9_4plusIxEE19head_flag_predicatexEE10hipError_tPvRmT2_T3_T4_T5_mT6_T7_P12ihipStream_tbENKUlT_T0_E_clISt17integral_constantIbLb1EESY_EEDaST_SU_EUlST_E_NS1_11comp_targetILNS1_3genE10ELNS1_11target_archE1200ELNS1_3gpuE4ELNS1_3repE0EEENS1_30default_config_static_selectorELNS0_4arch9wavefront6targetE0EEEvT1_,@function
_ZN7rocprim17ROCPRIM_400000_NS6detail17trampoline_kernelINS0_14default_configENS1_27scan_by_key_config_selectorIxxEEZZNS1_16scan_by_key_implILNS1_25lookback_scan_determinismE0ELb1ES3_N6thrust23THRUST_200600_302600_NS6detail15normal_iteratorINS9_10device_ptrIxEEEESE_SE_xNS9_4plusIxEE19head_flag_predicatexEE10hipError_tPvRmT2_T3_T4_T5_mT6_T7_P12ihipStream_tbENKUlT_T0_E_clISt17integral_constantIbLb1EESY_EEDaST_SU_EUlST_E_NS1_11comp_targetILNS1_3genE10ELNS1_11target_archE1200ELNS1_3gpuE4ELNS1_3repE0EEENS1_30default_config_static_selectorELNS0_4arch9wavefront6targetE0EEEvT1_: ; @_ZN7rocprim17ROCPRIM_400000_NS6detail17trampoline_kernelINS0_14default_configENS1_27scan_by_key_config_selectorIxxEEZZNS1_16scan_by_key_implILNS1_25lookback_scan_determinismE0ELb1ES3_N6thrust23THRUST_200600_302600_NS6detail15normal_iteratorINS9_10device_ptrIxEEEESE_SE_xNS9_4plusIxEE19head_flag_predicatexEE10hipError_tPvRmT2_T3_T4_T5_mT6_T7_P12ihipStream_tbENKUlT_T0_E_clISt17integral_constantIbLb1EESY_EEDaST_SU_EUlST_E_NS1_11comp_targetILNS1_3genE10ELNS1_11target_archE1200ELNS1_3gpuE4ELNS1_3repE0EEENS1_30default_config_static_selectorELNS0_4arch9wavefront6targetE0EEEvT1_
; %bb.0:
	.section	.rodata,"a",@progbits
	.p2align	6, 0x0
	.amdhsa_kernel _ZN7rocprim17ROCPRIM_400000_NS6detail17trampoline_kernelINS0_14default_configENS1_27scan_by_key_config_selectorIxxEEZZNS1_16scan_by_key_implILNS1_25lookback_scan_determinismE0ELb1ES3_N6thrust23THRUST_200600_302600_NS6detail15normal_iteratorINS9_10device_ptrIxEEEESE_SE_xNS9_4plusIxEE19head_flag_predicatexEE10hipError_tPvRmT2_T3_T4_T5_mT6_T7_P12ihipStream_tbENKUlT_T0_E_clISt17integral_constantIbLb1EESY_EEDaST_SU_EUlST_E_NS1_11comp_targetILNS1_3genE10ELNS1_11target_archE1200ELNS1_3gpuE4ELNS1_3repE0EEENS1_30default_config_static_selectorELNS0_4arch9wavefront6targetE0EEEvT1_
		.amdhsa_group_segment_fixed_size 0
		.amdhsa_private_segment_fixed_size 0
		.amdhsa_kernarg_size 136
		.amdhsa_user_sgpr_count 6
		.amdhsa_user_sgpr_private_segment_buffer 1
		.amdhsa_user_sgpr_dispatch_ptr 0
		.amdhsa_user_sgpr_queue_ptr 0
		.amdhsa_user_sgpr_kernarg_segment_ptr 1
		.amdhsa_user_sgpr_dispatch_id 0
		.amdhsa_user_sgpr_flat_scratch_init 0
		.amdhsa_user_sgpr_private_segment_size 0
		.amdhsa_wavefront_size32 1
		.amdhsa_uses_dynamic_stack 0
		.amdhsa_system_sgpr_private_segment_wavefront_offset 0
		.amdhsa_system_sgpr_workgroup_id_x 1
		.amdhsa_system_sgpr_workgroup_id_y 0
		.amdhsa_system_sgpr_workgroup_id_z 0
		.amdhsa_system_sgpr_workgroup_info 0
		.amdhsa_system_vgpr_workitem_id 0
		.amdhsa_next_free_vgpr 1
		.amdhsa_next_free_sgpr 1
		.amdhsa_reserve_vcc 0
		.amdhsa_reserve_flat_scratch 0
		.amdhsa_float_round_mode_32 0
		.amdhsa_float_round_mode_16_64 0
		.amdhsa_float_denorm_mode_32 3
		.amdhsa_float_denorm_mode_16_64 3
		.amdhsa_dx10_clamp 1
		.amdhsa_ieee_mode 1
		.amdhsa_fp16_overflow 0
		.amdhsa_workgroup_processor_mode 1
		.amdhsa_memory_ordered 1
		.amdhsa_forward_progress 1
		.amdhsa_shared_vgpr_count 0
		.amdhsa_exception_fp_ieee_invalid_op 0
		.amdhsa_exception_fp_denorm_src 0
		.amdhsa_exception_fp_ieee_div_zero 0
		.amdhsa_exception_fp_ieee_overflow 0
		.amdhsa_exception_fp_ieee_underflow 0
		.amdhsa_exception_fp_ieee_inexact 0
		.amdhsa_exception_int_div_zero 0
	.end_amdhsa_kernel
	.section	.text._ZN7rocprim17ROCPRIM_400000_NS6detail17trampoline_kernelINS0_14default_configENS1_27scan_by_key_config_selectorIxxEEZZNS1_16scan_by_key_implILNS1_25lookback_scan_determinismE0ELb1ES3_N6thrust23THRUST_200600_302600_NS6detail15normal_iteratorINS9_10device_ptrIxEEEESE_SE_xNS9_4plusIxEE19head_flag_predicatexEE10hipError_tPvRmT2_T3_T4_T5_mT6_T7_P12ihipStream_tbENKUlT_T0_E_clISt17integral_constantIbLb1EESY_EEDaST_SU_EUlST_E_NS1_11comp_targetILNS1_3genE10ELNS1_11target_archE1200ELNS1_3gpuE4ELNS1_3repE0EEENS1_30default_config_static_selectorELNS0_4arch9wavefront6targetE0EEEvT1_,"axG",@progbits,_ZN7rocprim17ROCPRIM_400000_NS6detail17trampoline_kernelINS0_14default_configENS1_27scan_by_key_config_selectorIxxEEZZNS1_16scan_by_key_implILNS1_25lookback_scan_determinismE0ELb1ES3_N6thrust23THRUST_200600_302600_NS6detail15normal_iteratorINS9_10device_ptrIxEEEESE_SE_xNS9_4plusIxEE19head_flag_predicatexEE10hipError_tPvRmT2_T3_T4_T5_mT6_T7_P12ihipStream_tbENKUlT_T0_E_clISt17integral_constantIbLb1EESY_EEDaST_SU_EUlST_E_NS1_11comp_targetILNS1_3genE10ELNS1_11target_archE1200ELNS1_3gpuE4ELNS1_3repE0EEENS1_30default_config_static_selectorELNS0_4arch9wavefront6targetE0EEEvT1_,comdat
.Lfunc_end728:
	.size	_ZN7rocprim17ROCPRIM_400000_NS6detail17trampoline_kernelINS0_14default_configENS1_27scan_by_key_config_selectorIxxEEZZNS1_16scan_by_key_implILNS1_25lookback_scan_determinismE0ELb1ES3_N6thrust23THRUST_200600_302600_NS6detail15normal_iteratorINS9_10device_ptrIxEEEESE_SE_xNS9_4plusIxEE19head_flag_predicatexEE10hipError_tPvRmT2_T3_T4_T5_mT6_T7_P12ihipStream_tbENKUlT_T0_E_clISt17integral_constantIbLb1EESY_EEDaST_SU_EUlST_E_NS1_11comp_targetILNS1_3genE10ELNS1_11target_archE1200ELNS1_3gpuE4ELNS1_3repE0EEENS1_30default_config_static_selectorELNS0_4arch9wavefront6targetE0EEEvT1_, .Lfunc_end728-_ZN7rocprim17ROCPRIM_400000_NS6detail17trampoline_kernelINS0_14default_configENS1_27scan_by_key_config_selectorIxxEEZZNS1_16scan_by_key_implILNS1_25lookback_scan_determinismE0ELb1ES3_N6thrust23THRUST_200600_302600_NS6detail15normal_iteratorINS9_10device_ptrIxEEEESE_SE_xNS9_4plusIxEE19head_flag_predicatexEE10hipError_tPvRmT2_T3_T4_T5_mT6_T7_P12ihipStream_tbENKUlT_T0_E_clISt17integral_constantIbLb1EESY_EEDaST_SU_EUlST_E_NS1_11comp_targetILNS1_3genE10ELNS1_11target_archE1200ELNS1_3gpuE4ELNS1_3repE0EEENS1_30default_config_static_selectorELNS0_4arch9wavefront6targetE0EEEvT1_
                                        ; -- End function
	.set _ZN7rocprim17ROCPRIM_400000_NS6detail17trampoline_kernelINS0_14default_configENS1_27scan_by_key_config_selectorIxxEEZZNS1_16scan_by_key_implILNS1_25lookback_scan_determinismE0ELb1ES3_N6thrust23THRUST_200600_302600_NS6detail15normal_iteratorINS9_10device_ptrIxEEEESE_SE_xNS9_4plusIxEE19head_flag_predicatexEE10hipError_tPvRmT2_T3_T4_T5_mT6_T7_P12ihipStream_tbENKUlT_T0_E_clISt17integral_constantIbLb1EESY_EEDaST_SU_EUlST_E_NS1_11comp_targetILNS1_3genE10ELNS1_11target_archE1200ELNS1_3gpuE4ELNS1_3repE0EEENS1_30default_config_static_selectorELNS0_4arch9wavefront6targetE0EEEvT1_.num_vgpr, 0
	.set _ZN7rocprim17ROCPRIM_400000_NS6detail17trampoline_kernelINS0_14default_configENS1_27scan_by_key_config_selectorIxxEEZZNS1_16scan_by_key_implILNS1_25lookback_scan_determinismE0ELb1ES3_N6thrust23THRUST_200600_302600_NS6detail15normal_iteratorINS9_10device_ptrIxEEEESE_SE_xNS9_4plusIxEE19head_flag_predicatexEE10hipError_tPvRmT2_T3_T4_T5_mT6_T7_P12ihipStream_tbENKUlT_T0_E_clISt17integral_constantIbLb1EESY_EEDaST_SU_EUlST_E_NS1_11comp_targetILNS1_3genE10ELNS1_11target_archE1200ELNS1_3gpuE4ELNS1_3repE0EEENS1_30default_config_static_selectorELNS0_4arch9wavefront6targetE0EEEvT1_.num_agpr, 0
	.set _ZN7rocprim17ROCPRIM_400000_NS6detail17trampoline_kernelINS0_14default_configENS1_27scan_by_key_config_selectorIxxEEZZNS1_16scan_by_key_implILNS1_25lookback_scan_determinismE0ELb1ES3_N6thrust23THRUST_200600_302600_NS6detail15normal_iteratorINS9_10device_ptrIxEEEESE_SE_xNS9_4plusIxEE19head_flag_predicatexEE10hipError_tPvRmT2_T3_T4_T5_mT6_T7_P12ihipStream_tbENKUlT_T0_E_clISt17integral_constantIbLb1EESY_EEDaST_SU_EUlST_E_NS1_11comp_targetILNS1_3genE10ELNS1_11target_archE1200ELNS1_3gpuE4ELNS1_3repE0EEENS1_30default_config_static_selectorELNS0_4arch9wavefront6targetE0EEEvT1_.numbered_sgpr, 0
	.set _ZN7rocprim17ROCPRIM_400000_NS6detail17trampoline_kernelINS0_14default_configENS1_27scan_by_key_config_selectorIxxEEZZNS1_16scan_by_key_implILNS1_25lookback_scan_determinismE0ELb1ES3_N6thrust23THRUST_200600_302600_NS6detail15normal_iteratorINS9_10device_ptrIxEEEESE_SE_xNS9_4plusIxEE19head_flag_predicatexEE10hipError_tPvRmT2_T3_T4_T5_mT6_T7_P12ihipStream_tbENKUlT_T0_E_clISt17integral_constantIbLb1EESY_EEDaST_SU_EUlST_E_NS1_11comp_targetILNS1_3genE10ELNS1_11target_archE1200ELNS1_3gpuE4ELNS1_3repE0EEENS1_30default_config_static_selectorELNS0_4arch9wavefront6targetE0EEEvT1_.num_named_barrier, 0
	.set _ZN7rocprim17ROCPRIM_400000_NS6detail17trampoline_kernelINS0_14default_configENS1_27scan_by_key_config_selectorIxxEEZZNS1_16scan_by_key_implILNS1_25lookback_scan_determinismE0ELb1ES3_N6thrust23THRUST_200600_302600_NS6detail15normal_iteratorINS9_10device_ptrIxEEEESE_SE_xNS9_4plusIxEE19head_flag_predicatexEE10hipError_tPvRmT2_T3_T4_T5_mT6_T7_P12ihipStream_tbENKUlT_T0_E_clISt17integral_constantIbLb1EESY_EEDaST_SU_EUlST_E_NS1_11comp_targetILNS1_3genE10ELNS1_11target_archE1200ELNS1_3gpuE4ELNS1_3repE0EEENS1_30default_config_static_selectorELNS0_4arch9wavefront6targetE0EEEvT1_.private_seg_size, 0
	.set _ZN7rocprim17ROCPRIM_400000_NS6detail17trampoline_kernelINS0_14default_configENS1_27scan_by_key_config_selectorIxxEEZZNS1_16scan_by_key_implILNS1_25lookback_scan_determinismE0ELb1ES3_N6thrust23THRUST_200600_302600_NS6detail15normal_iteratorINS9_10device_ptrIxEEEESE_SE_xNS9_4plusIxEE19head_flag_predicatexEE10hipError_tPvRmT2_T3_T4_T5_mT6_T7_P12ihipStream_tbENKUlT_T0_E_clISt17integral_constantIbLb1EESY_EEDaST_SU_EUlST_E_NS1_11comp_targetILNS1_3genE10ELNS1_11target_archE1200ELNS1_3gpuE4ELNS1_3repE0EEENS1_30default_config_static_selectorELNS0_4arch9wavefront6targetE0EEEvT1_.uses_vcc, 0
	.set _ZN7rocprim17ROCPRIM_400000_NS6detail17trampoline_kernelINS0_14default_configENS1_27scan_by_key_config_selectorIxxEEZZNS1_16scan_by_key_implILNS1_25lookback_scan_determinismE0ELb1ES3_N6thrust23THRUST_200600_302600_NS6detail15normal_iteratorINS9_10device_ptrIxEEEESE_SE_xNS9_4plusIxEE19head_flag_predicatexEE10hipError_tPvRmT2_T3_T4_T5_mT6_T7_P12ihipStream_tbENKUlT_T0_E_clISt17integral_constantIbLb1EESY_EEDaST_SU_EUlST_E_NS1_11comp_targetILNS1_3genE10ELNS1_11target_archE1200ELNS1_3gpuE4ELNS1_3repE0EEENS1_30default_config_static_selectorELNS0_4arch9wavefront6targetE0EEEvT1_.uses_flat_scratch, 0
	.set _ZN7rocprim17ROCPRIM_400000_NS6detail17trampoline_kernelINS0_14default_configENS1_27scan_by_key_config_selectorIxxEEZZNS1_16scan_by_key_implILNS1_25lookback_scan_determinismE0ELb1ES3_N6thrust23THRUST_200600_302600_NS6detail15normal_iteratorINS9_10device_ptrIxEEEESE_SE_xNS9_4plusIxEE19head_flag_predicatexEE10hipError_tPvRmT2_T3_T4_T5_mT6_T7_P12ihipStream_tbENKUlT_T0_E_clISt17integral_constantIbLb1EESY_EEDaST_SU_EUlST_E_NS1_11comp_targetILNS1_3genE10ELNS1_11target_archE1200ELNS1_3gpuE4ELNS1_3repE0EEENS1_30default_config_static_selectorELNS0_4arch9wavefront6targetE0EEEvT1_.has_dyn_sized_stack, 0
	.set _ZN7rocprim17ROCPRIM_400000_NS6detail17trampoline_kernelINS0_14default_configENS1_27scan_by_key_config_selectorIxxEEZZNS1_16scan_by_key_implILNS1_25lookback_scan_determinismE0ELb1ES3_N6thrust23THRUST_200600_302600_NS6detail15normal_iteratorINS9_10device_ptrIxEEEESE_SE_xNS9_4plusIxEE19head_flag_predicatexEE10hipError_tPvRmT2_T3_T4_T5_mT6_T7_P12ihipStream_tbENKUlT_T0_E_clISt17integral_constantIbLb1EESY_EEDaST_SU_EUlST_E_NS1_11comp_targetILNS1_3genE10ELNS1_11target_archE1200ELNS1_3gpuE4ELNS1_3repE0EEENS1_30default_config_static_selectorELNS0_4arch9wavefront6targetE0EEEvT1_.has_recursion, 0
	.set _ZN7rocprim17ROCPRIM_400000_NS6detail17trampoline_kernelINS0_14default_configENS1_27scan_by_key_config_selectorIxxEEZZNS1_16scan_by_key_implILNS1_25lookback_scan_determinismE0ELb1ES3_N6thrust23THRUST_200600_302600_NS6detail15normal_iteratorINS9_10device_ptrIxEEEESE_SE_xNS9_4plusIxEE19head_flag_predicatexEE10hipError_tPvRmT2_T3_T4_T5_mT6_T7_P12ihipStream_tbENKUlT_T0_E_clISt17integral_constantIbLb1EESY_EEDaST_SU_EUlST_E_NS1_11comp_targetILNS1_3genE10ELNS1_11target_archE1200ELNS1_3gpuE4ELNS1_3repE0EEENS1_30default_config_static_selectorELNS0_4arch9wavefront6targetE0EEEvT1_.has_indirect_call, 0
	.section	.AMDGPU.csdata,"",@progbits
; Kernel info:
; codeLenInByte = 0
; TotalNumSgprs: 0
; NumVgprs: 0
; ScratchSize: 0
; MemoryBound: 0
; FloatMode: 240
; IeeeMode: 1
; LDSByteSize: 0 bytes/workgroup (compile time only)
; SGPRBlocks: 0
; VGPRBlocks: 0
; NumSGPRsForWavesPerEU: 1
; NumVGPRsForWavesPerEU: 1
; Occupancy: 16
; WaveLimiterHint : 0
; COMPUTE_PGM_RSRC2:SCRATCH_EN: 0
; COMPUTE_PGM_RSRC2:USER_SGPR: 6
; COMPUTE_PGM_RSRC2:TRAP_HANDLER: 0
; COMPUTE_PGM_RSRC2:TGID_X_EN: 1
; COMPUTE_PGM_RSRC2:TGID_Y_EN: 0
; COMPUTE_PGM_RSRC2:TGID_Z_EN: 0
; COMPUTE_PGM_RSRC2:TIDIG_COMP_CNT: 0
	.section	.text._ZN7rocprim17ROCPRIM_400000_NS6detail17trampoline_kernelINS0_14default_configENS1_27scan_by_key_config_selectorIxxEEZZNS1_16scan_by_key_implILNS1_25lookback_scan_determinismE0ELb1ES3_N6thrust23THRUST_200600_302600_NS6detail15normal_iteratorINS9_10device_ptrIxEEEESE_SE_xNS9_4plusIxEE19head_flag_predicatexEE10hipError_tPvRmT2_T3_T4_T5_mT6_T7_P12ihipStream_tbENKUlT_T0_E_clISt17integral_constantIbLb1EESY_EEDaST_SU_EUlST_E_NS1_11comp_targetILNS1_3genE9ELNS1_11target_archE1100ELNS1_3gpuE3ELNS1_3repE0EEENS1_30default_config_static_selectorELNS0_4arch9wavefront6targetE0EEEvT1_,"axG",@progbits,_ZN7rocprim17ROCPRIM_400000_NS6detail17trampoline_kernelINS0_14default_configENS1_27scan_by_key_config_selectorIxxEEZZNS1_16scan_by_key_implILNS1_25lookback_scan_determinismE0ELb1ES3_N6thrust23THRUST_200600_302600_NS6detail15normal_iteratorINS9_10device_ptrIxEEEESE_SE_xNS9_4plusIxEE19head_flag_predicatexEE10hipError_tPvRmT2_T3_T4_T5_mT6_T7_P12ihipStream_tbENKUlT_T0_E_clISt17integral_constantIbLb1EESY_EEDaST_SU_EUlST_E_NS1_11comp_targetILNS1_3genE9ELNS1_11target_archE1100ELNS1_3gpuE3ELNS1_3repE0EEENS1_30default_config_static_selectorELNS0_4arch9wavefront6targetE0EEEvT1_,comdat
	.protected	_ZN7rocprim17ROCPRIM_400000_NS6detail17trampoline_kernelINS0_14default_configENS1_27scan_by_key_config_selectorIxxEEZZNS1_16scan_by_key_implILNS1_25lookback_scan_determinismE0ELb1ES3_N6thrust23THRUST_200600_302600_NS6detail15normal_iteratorINS9_10device_ptrIxEEEESE_SE_xNS9_4plusIxEE19head_flag_predicatexEE10hipError_tPvRmT2_T3_T4_T5_mT6_T7_P12ihipStream_tbENKUlT_T0_E_clISt17integral_constantIbLb1EESY_EEDaST_SU_EUlST_E_NS1_11comp_targetILNS1_3genE9ELNS1_11target_archE1100ELNS1_3gpuE3ELNS1_3repE0EEENS1_30default_config_static_selectorELNS0_4arch9wavefront6targetE0EEEvT1_ ; -- Begin function _ZN7rocprim17ROCPRIM_400000_NS6detail17trampoline_kernelINS0_14default_configENS1_27scan_by_key_config_selectorIxxEEZZNS1_16scan_by_key_implILNS1_25lookback_scan_determinismE0ELb1ES3_N6thrust23THRUST_200600_302600_NS6detail15normal_iteratorINS9_10device_ptrIxEEEESE_SE_xNS9_4plusIxEE19head_flag_predicatexEE10hipError_tPvRmT2_T3_T4_T5_mT6_T7_P12ihipStream_tbENKUlT_T0_E_clISt17integral_constantIbLb1EESY_EEDaST_SU_EUlST_E_NS1_11comp_targetILNS1_3genE9ELNS1_11target_archE1100ELNS1_3gpuE3ELNS1_3repE0EEENS1_30default_config_static_selectorELNS0_4arch9wavefront6targetE0EEEvT1_
	.globl	_ZN7rocprim17ROCPRIM_400000_NS6detail17trampoline_kernelINS0_14default_configENS1_27scan_by_key_config_selectorIxxEEZZNS1_16scan_by_key_implILNS1_25lookback_scan_determinismE0ELb1ES3_N6thrust23THRUST_200600_302600_NS6detail15normal_iteratorINS9_10device_ptrIxEEEESE_SE_xNS9_4plusIxEE19head_flag_predicatexEE10hipError_tPvRmT2_T3_T4_T5_mT6_T7_P12ihipStream_tbENKUlT_T0_E_clISt17integral_constantIbLb1EESY_EEDaST_SU_EUlST_E_NS1_11comp_targetILNS1_3genE9ELNS1_11target_archE1100ELNS1_3gpuE3ELNS1_3repE0EEENS1_30default_config_static_selectorELNS0_4arch9wavefront6targetE0EEEvT1_
	.p2align	8
	.type	_ZN7rocprim17ROCPRIM_400000_NS6detail17trampoline_kernelINS0_14default_configENS1_27scan_by_key_config_selectorIxxEEZZNS1_16scan_by_key_implILNS1_25lookback_scan_determinismE0ELb1ES3_N6thrust23THRUST_200600_302600_NS6detail15normal_iteratorINS9_10device_ptrIxEEEESE_SE_xNS9_4plusIxEE19head_flag_predicatexEE10hipError_tPvRmT2_T3_T4_T5_mT6_T7_P12ihipStream_tbENKUlT_T0_E_clISt17integral_constantIbLb1EESY_EEDaST_SU_EUlST_E_NS1_11comp_targetILNS1_3genE9ELNS1_11target_archE1100ELNS1_3gpuE3ELNS1_3repE0EEENS1_30default_config_static_selectorELNS0_4arch9wavefront6targetE0EEEvT1_,@function
_ZN7rocprim17ROCPRIM_400000_NS6detail17trampoline_kernelINS0_14default_configENS1_27scan_by_key_config_selectorIxxEEZZNS1_16scan_by_key_implILNS1_25lookback_scan_determinismE0ELb1ES3_N6thrust23THRUST_200600_302600_NS6detail15normal_iteratorINS9_10device_ptrIxEEEESE_SE_xNS9_4plusIxEE19head_flag_predicatexEE10hipError_tPvRmT2_T3_T4_T5_mT6_T7_P12ihipStream_tbENKUlT_T0_E_clISt17integral_constantIbLb1EESY_EEDaST_SU_EUlST_E_NS1_11comp_targetILNS1_3genE9ELNS1_11target_archE1100ELNS1_3gpuE3ELNS1_3repE0EEENS1_30default_config_static_selectorELNS0_4arch9wavefront6targetE0EEEvT1_: ; @_ZN7rocprim17ROCPRIM_400000_NS6detail17trampoline_kernelINS0_14default_configENS1_27scan_by_key_config_selectorIxxEEZZNS1_16scan_by_key_implILNS1_25lookback_scan_determinismE0ELb1ES3_N6thrust23THRUST_200600_302600_NS6detail15normal_iteratorINS9_10device_ptrIxEEEESE_SE_xNS9_4plusIxEE19head_flag_predicatexEE10hipError_tPvRmT2_T3_T4_T5_mT6_T7_P12ihipStream_tbENKUlT_T0_E_clISt17integral_constantIbLb1EESY_EEDaST_SU_EUlST_E_NS1_11comp_targetILNS1_3genE9ELNS1_11target_archE1100ELNS1_3gpuE3ELNS1_3repE0EEENS1_30default_config_static_selectorELNS0_4arch9wavefront6targetE0EEEvT1_
; %bb.0:
	.section	.rodata,"a",@progbits
	.p2align	6, 0x0
	.amdhsa_kernel _ZN7rocprim17ROCPRIM_400000_NS6detail17trampoline_kernelINS0_14default_configENS1_27scan_by_key_config_selectorIxxEEZZNS1_16scan_by_key_implILNS1_25lookback_scan_determinismE0ELb1ES3_N6thrust23THRUST_200600_302600_NS6detail15normal_iteratorINS9_10device_ptrIxEEEESE_SE_xNS9_4plusIxEE19head_flag_predicatexEE10hipError_tPvRmT2_T3_T4_T5_mT6_T7_P12ihipStream_tbENKUlT_T0_E_clISt17integral_constantIbLb1EESY_EEDaST_SU_EUlST_E_NS1_11comp_targetILNS1_3genE9ELNS1_11target_archE1100ELNS1_3gpuE3ELNS1_3repE0EEENS1_30default_config_static_selectorELNS0_4arch9wavefront6targetE0EEEvT1_
		.amdhsa_group_segment_fixed_size 0
		.amdhsa_private_segment_fixed_size 0
		.amdhsa_kernarg_size 136
		.amdhsa_user_sgpr_count 6
		.amdhsa_user_sgpr_private_segment_buffer 1
		.amdhsa_user_sgpr_dispatch_ptr 0
		.amdhsa_user_sgpr_queue_ptr 0
		.amdhsa_user_sgpr_kernarg_segment_ptr 1
		.amdhsa_user_sgpr_dispatch_id 0
		.amdhsa_user_sgpr_flat_scratch_init 0
		.amdhsa_user_sgpr_private_segment_size 0
		.amdhsa_wavefront_size32 1
		.amdhsa_uses_dynamic_stack 0
		.amdhsa_system_sgpr_private_segment_wavefront_offset 0
		.amdhsa_system_sgpr_workgroup_id_x 1
		.amdhsa_system_sgpr_workgroup_id_y 0
		.amdhsa_system_sgpr_workgroup_id_z 0
		.amdhsa_system_sgpr_workgroup_info 0
		.amdhsa_system_vgpr_workitem_id 0
		.amdhsa_next_free_vgpr 1
		.amdhsa_next_free_sgpr 1
		.amdhsa_reserve_vcc 0
		.amdhsa_reserve_flat_scratch 0
		.amdhsa_float_round_mode_32 0
		.amdhsa_float_round_mode_16_64 0
		.amdhsa_float_denorm_mode_32 3
		.amdhsa_float_denorm_mode_16_64 3
		.amdhsa_dx10_clamp 1
		.amdhsa_ieee_mode 1
		.amdhsa_fp16_overflow 0
		.amdhsa_workgroup_processor_mode 1
		.amdhsa_memory_ordered 1
		.amdhsa_forward_progress 1
		.amdhsa_shared_vgpr_count 0
		.amdhsa_exception_fp_ieee_invalid_op 0
		.amdhsa_exception_fp_denorm_src 0
		.amdhsa_exception_fp_ieee_div_zero 0
		.amdhsa_exception_fp_ieee_overflow 0
		.amdhsa_exception_fp_ieee_underflow 0
		.amdhsa_exception_fp_ieee_inexact 0
		.amdhsa_exception_int_div_zero 0
	.end_amdhsa_kernel
	.section	.text._ZN7rocprim17ROCPRIM_400000_NS6detail17trampoline_kernelINS0_14default_configENS1_27scan_by_key_config_selectorIxxEEZZNS1_16scan_by_key_implILNS1_25lookback_scan_determinismE0ELb1ES3_N6thrust23THRUST_200600_302600_NS6detail15normal_iteratorINS9_10device_ptrIxEEEESE_SE_xNS9_4plusIxEE19head_flag_predicatexEE10hipError_tPvRmT2_T3_T4_T5_mT6_T7_P12ihipStream_tbENKUlT_T0_E_clISt17integral_constantIbLb1EESY_EEDaST_SU_EUlST_E_NS1_11comp_targetILNS1_3genE9ELNS1_11target_archE1100ELNS1_3gpuE3ELNS1_3repE0EEENS1_30default_config_static_selectorELNS0_4arch9wavefront6targetE0EEEvT1_,"axG",@progbits,_ZN7rocprim17ROCPRIM_400000_NS6detail17trampoline_kernelINS0_14default_configENS1_27scan_by_key_config_selectorIxxEEZZNS1_16scan_by_key_implILNS1_25lookback_scan_determinismE0ELb1ES3_N6thrust23THRUST_200600_302600_NS6detail15normal_iteratorINS9_10device_ptrIxEEEESE_SE_xNS9_4plusIxEE19head_flag_predicatexEE10hipError_tPvRmT2_T3_T4_T5_mT6_T7_P12ihipStream_tbENKUlT_T0_E_clISt17integral_constantIbLb1EESY_EEDaST_SU_EUlST_E_NS1_11comp_targetILNS1_3genE9ELNS1_11target_archE1100ELNS1_3gpuE3ELNS1_3repE0EEENS1_30default_config_static_selectorELNS0_4arch9wavefront6targetE0EEEvT1_,comdat
.Lfunc_end729:
	.size	_ZN7rocprim17ROCPRIM_400000_NS6detail17trampoline_kernelINS0_14default_configENS1_27scan_by_key_config_selectorIxxEEZZNS1_16scan_by_key_implILNS1_25lookback_scan_determinismE0ELb1ES3_N6thrust23THRUST_200600_302600_NS6detail15normal_iteratorINS9_10device_ptrIxEEEESE_SE_xNS9_4plusIxEE19head_flag_predicatexEE10hipError_tPvRmT2_T3_T4_T5_mT6_T7_P12ihipStream_tbENKUlT_T0_E_clISt17integral_constantIbLb1EESY_EEDaST_SU_EUlST_E_NS1_11comp_targetILNS1_3genE9ELNS1_11target_archE1100ELNS1_3gpuE3ELNS1_3repE0EEENS1_30default_config_static_selectorELNS0_4arch9wavefront6targetE0EEEvT1_, .Lfunc_end729-_ZN7rocprim17ROCPRIM_400000_NS6detail17trampoline_kernelINS0_14default_configENS1_27scan_by_key_config_selectorIxxEEZZNS1_16scan_by_key_implILNS1_25lookback_scan_determinismE0ELb1ES3_N6thrust23THRUST_200600_302600_NS6detail15normal_iteratorINS9_10device_ptrIxEEEESE_SE_xNS9_4plusIxEE19head_flag_predicatexEE10hipError_tPvRmT2_T3_T4_T5_mT6_T7_P12ihipStream_tbENKUlT_T0_E_clISt17integral_constantIbLb1EESY_EEDaST_SU_EUlST_E_NS1_11comp_targetILNS1_3genE9ELNS1_11target_archE1100ELNS1_3gpuE3ELNS1_3repE0EEENS1_30default_config_static_selectorELNS0_4arch9wavefront6targetE0EEEvT1_
                                        ; -- End function
	.set _ZN7rocprim17ROCPRIM_400000_NS6detail17trampoline_kernelINS0_14default_configENS1_27scan_by_key_config_selectorIxxEEZZNS1_16scan_by_key_implILNS1_25lookback_scan_determinismE0ELb1ES3_N6thrust23THRUST_200600_302600_NS6detail15normal_iteratorINS9_10device_ptrIxEEEESE_SE_xNS9_4plusIxEE19head_flag_predicatexEE10hipError_tPvRmT2_T3_T4_T5_mT6_T7_P12ihipStream_tbENKUlT_T0_E_clISt17integral_constantIbLb1EESY_EEDaST_SU_EUlST_E_NS1_11comp_targetILNS1_3genE9ELNS1_11target_archE1100ELNS1_3gpuE3ELNS1_3repE0EEENS1_30default_config_static_selectorELNS0_4arch9wavefront6targetE0EEEvT1_.num_vgpr, 0
	.set _ZN7rocprim17ROCPRIM_400000_NS6detail17trampoline_kernelINS0_14default_configENS1_27scan_by_key_config_selectorIxxEEZZNS1_16scan_by_key_implILNS1_25lookback_scan_determinismE0ELb1ES3_N6thrust23THRUST_200600_302600_NS6detail15normal_iteratorINS9_10device_ptrIxEEEESE_SE_xNS9_4plusIxEE19head_flag_predicatexEE10hipError_tPvRmT2_T3_T4_T5_mT6_T7_P12ihipStream_tbENKUlT_T0_E_clISt17integral_constantIbLb1EESY_EEDaST_SU_EUlST_E_NS1_11comp_targetILNS1_3genE9ELNS1_11target_archE1100ELNS1_3gpuE3ELNS1_3repE0EEENS1_30default_config_static_selectorELNS0_4arch9wavefront6targetE0EEEvT1_.num_agpr, 0
	.set _ZN7rocprim17ROCPRIM_400000_NS6detail17trampoline_kernelINS0_14default_configENS1_27scan_by_key_config_selectorIxxEEZZNS1_16scan_by_key_implILNS1_25lookback_scan_determinismE0ELb1ES3_N6thrust23THRUST_200600_302600_NS6detail15normal_iteratorINS9_10device_ptrIxEEEESE_SE_xNS9_4plusIxEE19head_flag_predicatexEE10hipError_tPvRmT2_T3_T4_T5_mT6_T7_P12ihipStream_tbENKUlT_T0_E_clISt17integral_constantIbLb1EESY_EEDaST_SU_EUlST_E_NS1_11comp_targetILNS1_3genE9ELNS1_11target_archE1100ELNS1_3gpuE3ELNS1_3repE0EEENS1_30default_config_static_selectorELNS0_4arch9wavefront6targetE0EEEvT1_.numbered_sgpr, 0
	.set _ZN7rocprim17ROCPRIM_400000_NS6detail17trampoline_kernelINS0_14default_configENS1_27scan_by_key_config_selectorIxxEEZZNS1_16scan_by_key_implILNS1_25lookback_scan_determinismE0ELb1ES3_N6thrust23THRUST_200600_302600_NS6detail15normal_iteratorINS9_10device_ptrIxEEEESE_SE_xNS9_4plusIxEE19head_flag_predicatexEE10hipError_tPvRmT2_T3_T4_T5_mT6_T7_P12ihipStream_tbENKUlT_T0_E_clISt17integral_constantIbLb1EESY_EEDaST_SU_EUlST_E_NS1_11comp_targetILNS1_3genE9ELNS1_11target_archE1100ELNS1_3gpuE3ELNS1_3repE0EEENS1_30default_config_static_selectorELNS0_4arch9wavefront6targetE0EEEvT1_.num_named_barrier, 0
	.set _ZN7rocprim17ROCPRIM_400000_NS6detail17trampoline_kernelINS0_14default_configENS1_27scan_by_key_config_selectorIxxEEZZNS1_16scan_by_key_implILNS1_25lookback_scan_determinismE0ELb1ES3_N6thrust23THRUST_200600_302600_NS6detail15normal_iteratorINS9_10device_ptrIxEEEESE_SE_xNS9_4plusIxEE19head_flag_predicatexEE10hipError_tPvRmT2_T3_T4_T5_mT6_T7_P12ihipStream_tbENKUlT_T0_E_clISt17integral_constantIbLb1EESY_EEDaST_SU_EUlST_E_NS1_11comp_targetILNS1_3genE9ELNS1_11target_archE1100ELNS1_3gpuE3ELNS1_3repE0EEENS1_30default_config_static_selectorELNS0_4arch9wavefront6targetE0EEEvT1_.private_seg_size, 0
	.set _ZN7rocprim17ROCPRIM_400000_NS6detail17trampoline_kernelINS0_14default_configENS1_27scan_by_key_config_selectorIxxEEZZNS1_16scan_by_key_implILNS1_25lookback_scan_determinismE0ELb1ES3_N6thrust23THRUST_200600_302600_NS6detail15normal_iteratorINS9_10device_ptrIxEEEESE_SE_xNS9_4plusIxEE19head_flag_predicatexEE10hipError_tPvRmT2_T3_T4_T5_mT6_T7_P12ihipStream_tbENKUlT_T0_E_clISt17integral_constantIbLb1EESY_EEDaST_SU_EUlST_E_NS1_11comp_targetILNS1_3genE9ELNS1_11target_archE1100ELNS1_3gpuE3ELNS1_3repE0EEENS1_30default_config_static_selectorELNS0_4arch9wavefront6targetE0EEEvT1_.uses_vcc, 0
	.set _ZN7rocprim17ROCPRIM_400000_NS6detail17trampoline_kernelINS0_14default_configENS1_27scan_by_key_config_selectorIxxEEZZNS1_16scan_by_key_implILNS1_25lookback_scan_determinismE0ELb1ES3_N6thrust23THRUST_200600_302600_NS6detail15normal_iteratorINS9_10device_ptrIxEEEESE_SE_xNS9_4plusIxEE19head_flag_predicatexEE10hipError_tPvRmT2_T3_T4_T5_mT6_T7_P12ihipStream_tbENKUlT_T0_E_clISt17integral_constantIbLb1EESY_EEDaST_SU_EUlST_E_NS1_11comp_targetILNS1_3genE9ELNS1_11target_archE1100ELNS1_3gpuE3ELNS1_3repE0EEENS1_30default_config_static_selectorELNS0_4arch9wavefront6targetE0EEEvT1_.uses_flat_scratch, 0
	.set _ZN7rocprim17ROCPRIM_400000_NS6detail17trampoline_kernelINS0_14default_configENS1_27scan_by_key_config_selectorIxxEEZZNS1_16scan_by_key_implILNS1_25lookback_scan_determinismE0ELb1ES3_N6thrust23THRUST_200600_302600_NS6detail15normal_iteratorINS9_10device_ptrIxEEEESE_SE_xNS9_4plusIxEE19head_flag_predicatexEE10hipError_tPvRmT2_T3_T4_T5_mT6_T7_P12ihipStream_tbENKUlT_T0_E_clISt17integral_constantIbLb1EESY_EEDaST_SU_EUlST_E_NS1_11comp_targetILNS1_3genE9ELNS1_11target_archE1100ELNS1_3gpuE3ELNS1_3repE0EEENS1_30default_config_static_selectorELNS0_4arch9wavefront6targetE0EEEvT1_.has_dyn_sized_stack, 0
	.set _ZN7rocprim17ROCPRIM_400000_NS6detail17trampoline_kernelINS0_14default_configENS1_27scan_by_key_config_selectorIxxEEZZNS1_16scan_by_key_implILNS1_25lookback_scan_determinismE0ELb1ES3_N6thrust23THRUST_200600_302600_NS6detail15normal_iteratorINS9_10device_ptrIxEEEESE_SE_xNS9_4plusIxEE19head_flag_predicatexEE10hipError_tPvRmT2_T3_T4_T5_mT6_T7_P12ihipStream_tbENKUlT_T0_E_clISt17integral_constantIbLb1EESY_EEDaST_SU_EUlST_E_NS1_11comp_targetILNS1_3genE9ELNS1_11target_archE1100ELNS1_3gpuE3ELNS1_3repE0EEENS1_30default_config_static_selectorELNS0_4arch9wavefront6targetE0EEEvT1_.has_recursion, 0
	.set _ZN7rocprim17ROCPRIM_400000_NS6detail17trampoline_kernelINS0_14default_configENS1_27scan_by_key_config_selectorIxxEEZZNS1_16scan_by_key_implILNS1_25lookback_scan_determinismE0ELb1ES3_N6thrust23THRUST_200600_302600_NS6detail15normal_iteratorINS9_10device_ptrIxEEEESE_SE_xNS9_4plusIxEE19head_flag_predicatexEE10hipError_tPvRmT2_T3_T4_T5_mT6_T7_P12ihipStream_tbENKUlT_T0_E_clISt17integral_constantIbLb1EESY_EEDaST_SU_EUlST_E_NS1_11comp_targetILNS1_3genE9ELNS1_11target_archE1100ELNS1_3gpuE3ELNS1_3repE0EEENS1_30default_config_static_selectorELNS0_4arch9wavefront6targetE0EEEvT1_.has_indirect_call, 0
	.section	.AMDGPU.csdata,"",@progbits
; Kernel info:
; codeLenInByte = 0
; TotalNumSgprs: 0
; NumVgprs: 0
; ScratchSize: 0
; MemoryBound: 0
; FloatMode: 240
; IeeeMode: 1
; LDSByteSize: 0 bytes/workgroup (compile time only)
; SGPRBlocks: 0
; VGPRBlocks: 0
; NumSGPRsForWavesPerEU: 1
; NumVGPRsForWavesPerEU: 1
; Occupancy: 16
; WaveLimiterHint : 0
; COMPUTE_PGM_RSRC2:SCRATCH_EN: 0
; COMPUTE_PGM_RSRC2:USER_SGPR: 6
; COMPUTE_PGM_RSRC2:TRAP_HANDLER: 0
; COMPUTE_PGM_RSRC2:TGID_X_EN: 1
; COMPUTE_PGM_RSRC2:TGID_Y_EN: 0
; COMPUTE_PGM_RSRC2:TGID_Z_EN: 0
; COMPUTE_PGM_RSRC2:TIDIG_COMP_CNT: 0
	.section	.text._ZN7rocprim17ROCPRIM_400000_NS6detail17trampoline_kernelINS0_14default_configENS1_27scan_by_key_config_selectorIxxEEZZNS1_16scan_by_key_implILNS1_25lookback_scan_determinismE0ELb1ES3_N6thrust23THRUST_200600_302600_NS6detail15normal_iteratorINS9_10device_ptrIxEEEESE_SE_xNS9_4plusIxEE19head_flag_predicatexEE10hipError_tPvRmT2_T3_T4_T5_mT6_T7_P12ihipStream_tbENKUlT_T0_E_clISt17integral_constantIbLb1EESY_EEDaST_SU_EUlST_E_NS1_11comp_targetILNS1_3genE8ELNS1_11target_archE1030ELNS1_3gpuE2ELNS1_3repE0EEENS1_30default_config_static_selectorELNS0_4arch9wavefront6targetE0EEEvT1_,"axG",@progbits,_ZN7rocprim17ROCPRIM_400000_NS6detail17trampoline_kernelINS0_14default_configENS1_27scan_by_key_config_selectorIxxEEZZNS1_16scan_by_key_implILNS1_25lookback_scan_determinismE0ELb1ES3_N6thrust23THRUST_200600_302600_NS6detail15normal_iteratorINS9_10device_ptrIxEEEESE_SE_xNS9_4plusIxEE19head_flag_predicatexEE10hipError_tPvRmT2_T3_T4_T5_mT6_T7_P12ihipStream_tbENKUlT_T0_E_clISt17integral_constantIbLb1EESY_EEDaST_SU_EUlST_E_NS1_11comp_targetILNS1_3genE8ELNS1_11target_archE1030ELNS1_3gpuE2ELNS1_3repE0EEENS1_30default_config_static_selectorELNS0_4arch9wavefront6targetE0EEEvT1_,comdat
	.protected	_ZN7rocprim17ROCPRIM_400000_NS6detail17trampoline_kernelINS0_14default_configENS1_27scan_by_key_config_selectorIxxEEZZNS1_16scan_by_key_implILNS1_25lookback_scan_determinismE0ELb1ES3_N6thrust23THRUST_200600_302600_NS6detail15normal_iteratorINS9_10device_ptrIxEEEESE_SE_xNS9_4plusIxEE19head_flag_predicatexEE10hipError_tPvRmT2_T3_T4_T5_mT6_T7_P12ihipStream_tbENKUlT_T0_E_clISt17integral_constantIbLb1EESY_EEDaST_SU_EUlST_E_NS1_11comp_targetILNS1_3genE8ELNS1_11target_archE1030ELNS1_3gpuE2ELNS1_3repE0EEENS1_30default_config_static_selectorELNS0_4arch9wavefront6targetE0EEEvT1_ ; -- Begin function _ZN7rocprim17ROCPRIM_400000_NS6detail17trampoline_kernelINS0_14default_configENS1_27scan_by_key_config_selectorIxxEEZZNS1_16scan_by_key_implILNS1_25lookback_scan_determinismE0ELb1ES3_N6thrust23THRUST_200600_302600_NS6detail15normal_iteratorINS9_10device_ptrIxEEEESE_SE_xNS9_4plusIxEE19head_flag_predicatexEE10hipError_tPvRmT2_T3_T4_T5_mT6_T7_P12ihipStream_tbENKUlT_T0_E_clISt17integral_constantIbLb1EESY_EEDaST_SU_EUlST_E_NS1_11comp_targetILNS1_3genE8ELNS1_11target_archE1030ELNS1_3gpuE2ELNS1_3repE0EEENS1_30default_config_static_selectorELNS0_4arch9wavefront6targetE0EEEvT1_
	.globl	_ZN7rocprim17ROCPRIM_400000_NS6detail17trampoline_kernelINS0_14default_configENS1_27scan_by_key_config_selectorIxxEEZZNS1_16scan_by_key_implILNS1_25lookback_scan_determinismE0ELb1ES3_N6thrust23THRUST_200600_302600_NS6detail15normal_iteratorINS9_10device_ptrIxEEEESE_SE_xNS9_4plusIxEE19head_flag_predicatexEE10hipError_tPvRmT2_T3_T4_T5_mT6_T7_P12ihipStream_tbENKUlT_T0_E_clISt17integral_constantIbLb1EESY_EEDaST_SU_EUlST_E_NS1_11comp_targetILNS1_3genE8ELNS1_11target_archE1030ELNS1_3gpuE2ELNS1_3repE0EEENS1_30default_config_static_selectorELNS0_4arch9wavefront6targetE0EEEvT1_
	.p2align	8
	.type	_ZN7rocprim17ROCPRIM_400000_NS6detail17trampoline_kernelINS0_14default_configENS1_27scan_by_key_config_selectorIxxEEZZNS1_16scan_by_key_implILNS1_25lookback_scan_determinismE0ELb1ES3_N6thrust23THRUST_200600_302600_NS6detail15normal_iteratorINS9_10device_ptrIxEEEESE_SE_xNS9_4plusIxEE19head_flag_predicatexEE10hipError_tPvRmT2_T3_T4_T5_mT6_T7_P12ihipStream_tbENKUlT_T0_E_clISt17integral_constantIbLb1EESY_EEDaST_SU_EUlST_E_NS1_11comp_targetILNS1_3genE8ELNS1_11target_archE1030ELNS1_3gpuE2ELNS1_3repE0EEENS1_30default_config_static_selectorELNS0_4arch9wavefront6targetE0EEEvT1_,@function
_ZN7rocprim17ROCPRIM_400000_NS6detail17trampoline_kernelINS0_14default_configENS1_27scan_by_key_config_selectorIxxEEZZNS1_16scan_by_key_implILNS1_25lookback_scan_determinismE0ELb1ES3_N6thrust23THRUST_200600_302600_NS6detail15normal_iteratorINS9_10device_ptrIxEEEESE_SE_xNS9_4plusIxEE19head_flag_predicatexEE10hipError_tPvRmT2_T3_T4_T5_mT6_T7_P12ihipStream_tbENKUlT_T0_E_clISt17integral_constantIbLb1EESY_EEDaST_SU_EUlST_E_NS1_11comp_targetILNS1_3genE8ELNS1_11target_archE1030ELNS1_3gpuE2ELNS1_3repE0EEENS1_30default_config_static_selectorELNS0_4arch9wavefront6targetE0EEEvT1_: ; @_ZN7rocprim17ROCPRIM_400000_NS6detail17trampoline_kernelINS0_14default_configENS1_27scan_by_key_config_selectorIxxEEZZNS1_16scan_by_key_implILNS1_25lookback_scan_determinismE0ELb1ES3_N6thrust23THRUST_200600_302600_NS6detail15normal_iteratorINS9_10device_ptrIxEEEESE_SE_xNS9_4plusIxEE19head_flag_predicatexEE10hipError_tPvRmT2_T3_T4_T5_mT6_T7_P12ihipStream_tbENKUlT_T0_E_clISt17integral_constantIbLb1EESY_EEDaST_SU_EUlST_E_NS1_11comp_targetILNS1_3genE8ELNS1_11target_archE1030ELNS1_3gpuE2ELNS1_3repE0EEENS1_30default_config_static_selectorELNS0_4arch9wavefront6targetE0EEEvT1_
; %bb.0:
	s_endpgm
	.section	.rodata,"a",@progbits
	.p2align	6, 0x0
	.amdhsa_kernel _ZN7rocprim17ROCPRIM_400000_NS6detail17trampoline_kernelINS0_14default_configENS1_27scan_by_key_config_selectorIxxEEZZNS1_16scan_by_key_implILNS1_25lookback_scan_determinismE0ELb1ES3_N6thrust23THRUST_200600_302600_NS6detail15normal_iteratorINS9_10device_ptrIxEEEESE_SE_xNS9_4plusIxEE19head_flag_predicatexEE10hipError_tPvRmT2_T3_T4_T5_mT6_T7_P12ihipStream_tbENKUlT_T0_E_clISt17integral_constantIbLb1EESY_EEDaST_SU_EUlST_E_NS1_11comp_targetILNS1_3genE8ELNS1_11target_archE1030ELNS1_3gpuE2ELNS1_3repE0EEENS1_30default_config_static_selectorELNS0_4arch9wavefront6targetE0EEEvT1_
		.amdhsa_group_segment_fixed_size 0
		.amdhsa_private_segment_fixed_size 0
		.amdhsa_kernarg_size 136
		.amdhsa_user_sgpr_count 6
		.amdhsa_user_sgpr_private_segment_buffer 1
		.amdhsa_user_sgpr_dispatch_ptr 0
		.amdhsa_user_sgpr_queue_ptr 0
		.amdhsa_user_sgpr_kernarg_segment_ptr 1
		.amdhsa_user_sgpr_dispatch_id 0
		.amdhsa_user_sgpr_flat_scratch_init 0
		.amdhsa_user_sgpr_private_segment_size 0
		.amdhsa_wavefront_size32 1
		.amdhsa_uses_dynamic_stack 0
		.amdhsa_system_sgpr_private_segment_wavefront_offset 0
		.amdhsa_system_sgpr_workgroup_id_x 1
		.amdhsa_system_sgpr_workgroup_id_y 0
		.amdhsa_system_sgpr_workgroup_id_z 0
		.amdhsa_system_sgpr_workgroup_info 0
		.amdhsa_system_vgpr_workitem_id 0
		.amdhsa_next_free_vgpr 1
		.amdhsa_next_free_sgpr 1
		.amdhsa_reserve_vcc 0
		.amdhsa_reserve_flat_scratch 0
		.amdhsa_float_round_mode_32 0
		.amdhsa_float_round_mode_16_64 0
		.amdhsa_float_denorm_mode_32 3
		.amdhsa_float_denorm_mode_16_64 3
		.amdhsa_dx10_clamp 1
		.amdhsa_ieee_mode 1
		.amdhsa_fp16_overflow 0
		.amdhsa_workgroup_processor_mode 1
		.amdhsa_memory_ordered 1
		.amdhsa_forward_progress 1
		.amdhsa_shared_vgpr_count 0
		.amdhsa_exception_fp_ieee_invalid_op 0
		.amdhsa_exception_fp_denorm_src 0
		.amdhsa_exception_fp_ieee_div_zero 0
		.amdhsa_exception_fp_ieee_overflow 0
		.amdhsa_exception_fp_ieee_underflow 0
		.amdhsa_exception_fp_ieee_inexact 0
		.amdhsa_exception_int_div_zero 0
	.end_amdhsa_kernel
	.section	.text._ZN7rocprim17ROCPRIM_400000_NS6detail17trampoline_kernelINS0_14default_configENS1_27scan_by_key_config_selectorIxxEEZZNS1_16scan_by_key_implILNS1_25lookback_scan_determinismE0ELb1ES3_N6thrust23THRUST_200600_302600_NS6detail15normal_iteratorINS9_10device_ptrIxEEEESE_SE_xNS9_4plusIxEE19head_flag_predicatexEE10hipError_tPvRmT2_T3_T4_T5_mT6_T7_P12ihipStream_tbENKUlT_T0_E_clISt17integral_constantIbLb1EESY_EEDaST_SU_EUlST_E_NS1_11comp_targetILNS1_3genE8ELNS1_11target_archE1030ELNS1_3gpuE2ELNS1_3repE0EEENS1_30default_config_static_selectorELNS0_4arch9wavefront6targetE0EEEvT1_,"axG",@progbits,_ZN7rocprim17ROCPRIM_400000_NS6detail17trampoline_kernelINS0_14default_configENS1_27scan_by_key_config_selectorIxxEEZZNS1_16scan_by_key_implILNS1_25lookback_scan_determinismE0ELb1ES3_N6thrust23THRUST_200600_302600_NS6detail15normal_iteratorINS9_10device_ptrIxEEEESE_SE_xNS9_4plusIxEE19head_flag_predicatexEE10hipError_tPvRmT2_T3_T4_T5_mT6_T7_P12ihipStream_tbENKUlT_T0_E_clISt17integral_constantIbLb1EESY_EEDaST_SU_EUlST_E_NS1_11comp_targetILNS1_3genE8ELNS1_11target_archE1030ELNS1_3gpuE2ELNS1_3repE0EEENS1_30default_config_static_selectorELNS0_4arch9wavefront6targetE0EEEvT1_,comdat
.Lfunc_end730:
	.size	_ZN7rocprim17ROCPRIM_400000_NS6detail17trampoline_kernelINS0_14default_configENS1_27scan_by_key_config_selectorIxxEEZZNS1_16scan_by_key_implILNS1_25lookback_scan_determinismE0ELb1ES3_N6thrust23THRUST_200600_302600_NS6detail15normal_iteratorINS9_10device_ptrIxEEEESE_SE_xNS9_4plusIxEE19head_flag_predicatexEE10hipError_tPvRmT2_T3_T4_T5_mT6_T7_P12ihipStream_tbENKUlT_T0_E_clISt17integral_constantIbLb1EESY_EEDaST_SU_EUlST_E_NS1_11comp_targetILNS1_3genE8ELNS1_11target_archE1030ELNS1_3gpuE2ELNS1_3repE0EEENS1_30default_config_static_selectorELNS0_4arch9wavefront6targetE0EEEvT1_, .Lfunc_end730-_ZN7rocprim17ROCPRIM_400000_NS6detail17trampoline_kernelINS0_14default_configENS1_27scan_by_key_config_selectorIxxEEZZNS1_16scan_by_key_implILNS1_25lookback_scan_determinismE0ELb1ES3_N6thrust23THRUST_200600_302600_NS6detail15normal_iteratorINS9_10device_ptrIxEEEESE_SE_xNS9_4plusIxEE19head_flag_predicatexEE10hipError_tPvRmT2_T3_T4_T5_mT6_T7_P12ihipStream_tbENKUlT_T0_E_clISt17integral_constantIbLb1EESY_EEDaST_SU_EUlST_E_NS1_11comp_targetILNS1_3genE8ELNS1_11target_archE1030ELNS1_3gpuE2ELNS1_3repE0EEENS1_30default_config_static_selectorELNS0_4arch9wavefront6targetE0EEEvT1_
                                        ; -- End function
	.set _ZN7rocprim17ROCPRIM_400000_NS6detail17trampoline_kernelINS0_14default_configENS1_27scan_by_key_config_selectorIxxEEZZNS1_16scan_by_key_implILNS1_25lookback_scan_determinismE0ELb1ES3_N6thrust23THRUST_200600_302600_NS6detail15normal_iteratorINS9_10device_ptrIxEEEESE_SE_xNS9_4plusIxEE19head_flag_predicatexEE10hipError_tPvRmT2_T3_T4_T5_mT6_T7_P12ihipStream_tbENKUlT_T0_E_clISt17integral_constantIbLb1EESY_EEDaST_SU_EUlST_E_NS1_11comp_targetILNS1_3genE8ELNS1_11target_archE1030ELNS1_3gpuE2ELNS1_3repE0EEENS1_30default_config_static_selectorELNS0_4arch9wavefront6targetE0EEEvT1_.num_vgpr, 0
	.set _ZN7rocprim17ROCPRIM_400000_NS6detail17trampoline_kernelINS0_14default_configENS1_27scan_by_key_config_selectorIxxEEZZNS1_16scan_by_key_implILNS1_25lookback_scan_determinismE0ELb1ES3_N6thrust23THRUST_200600_302600_NS6detail15normal_iteratorINS9_10device_ptrIxEEEESE_SE_xNS9_4plusIxEE19head_flag_predicatexEE10hipError_tPvRmT2_T3_T4_T5_mT6_T7_P12ihipStream_tbENKUlT_T0_E_clISt17integral_constantIbLb1EESY_EEDaST_SU_EUlST_E_NS1_11comp_targetILNS1_3genE8ELNS1_11target_archE1030ELNS1_3gpuE2ELNS1_3repE0EEENS1_30default_config_static_selectorELNS0_4arch9wavefront6targetE0EEEvT1_.num_agpr, 0
	.set _ZN7rocprim17ROCPRIM_400000_NS6detail17trampoline_kernelINS0_14default_configENS1_27scan_by_key_config_selectorIxxEEZZNS1_16scan_by_key_implILNS1_25lookback_scan_determinismE0ELb1ES3_N6thrust23THRUST_200600_302600_NS6detail15normal_iteratorINS9_10device_ptrIxEEEESE_SE_xNS9_4plusIxEE19head_flag_predicatexEE10hipError_tPvRmT2_T3_T4_T5_mT6_T7_P12ihipStream_tbENKUlT_T0_E_clISt17integral_constantIbLb1EESY_EEDaST_SU_EUlST_E_NS1_11comp_targetILNS1_3genE8ELNS1_11target_archE1030ELNS1_3gpuE2ELNS1_3repE0EEENS1_30default_config_static_selectorELNS0_4arch9wavefront6targetE0EEEvT1_.numbered_sgpr, 0
	.set _ZN7rocprim17ROCPRIM_400000_NS6detail17trampoline_kernelINS0_14default_configENS1_27scan_by_key_config_selectorIxxEEZZNS1_16scan_by_key_implILNS1_25lookback_scan_determinismE0ELb1ES3_N6thrust23THRUST_200600_302600_NS6detail15normal_iteratorINS9_10device_ptrIxEEEESE_SE_xNS9_4plusIxEE19head_flag_predicatexEE10hipError_tPvRmT2_T3_T4_T5_mT6_T7_P12ihipStream_tbENKUlT_T0_E_clISt17integral_constantIbLb1EESY_EEDaST_SU_EUlST_E_NS1_11comp_targetILNS1_3genE8ELNS1_11target_archE1030ELNS1_3gpuE2ELNS1_3repE0EEENS1_30default_config_static_selectorELNS0_4arch9wavefront6targetE0EEEvT1_.num_named_barrier, 0
	.set _ZN7rocprim17ROCPRIM_400000_NS6detail17trampoline_kernelINS0_14default_configENS1_27scan_by_key_config_selectorIxxEEZZNS1_16scan_by_key_implILNS1_25lookback_scan_determinismE0ELb1ES3_N6thrust23THRUST_200600_302600_NS6detail15normal_iteratorINS9_10device_ptrIxEEEESE_SE_xNS9_4plusIxEE19head_flag_predicatexEE10hipError_tPvRmT2_T3_T4_T5_mT6_T7_P12ihipStream_tbENKUlT_T0_E_clISt17integral_constantIbLb1EESY_EEDaST_SU_EUlST_E_NS1_11comp_targetILNS1_3genE8ELNS1_11target_archE1030ELNS1_3gpuE2ELNS1_3repE0EEENS1_30default_config_static_selectorELNS0_4arch9wavefront6targetE0EEEvT1_.private_seg_size, 0
	.set _ZN7rocprim17ROCPRIM_400000_NS6detail17trampoline_kernelINS0_14default_configENS1_27scan_by_key_config_selectorIxxEEZZNS1_16scan_by_key_implILNS1_25lookback_scan_determinismE0ELb1ES3_N6thrust23THRUST_200600_302600_NS6detail15normal_iteratorINS9_10device_ptrIxEEEESE_SE_xNS9_4plusIxEE19head_flag_predicatexEE10hipError_tPvRmT2_T3_T4_T5_mT6_T7_P12ihipStream_tbENKUlT_T0_E_clISt17integral_constantIbLb1EESY_EEDaST_SU_EUlST_E_NS1_11comp_targetILNS1_3genE8ELNS1_11target_archE1030ELNS1_3gpuE2ELNS1_3repE0EEENS1_30default_config_static_selectorELNS0_4arch9wavefront6targetE0EEEvT1_.uses_vcc, 0
	.set _ZN7rocprim17ROCPRIM_400000_NS6detail17trampoline_kernelINS0_14default_configENS1_27scan_by_key_config_selectorIxxEEZZNS1_16scan_by_key_implILNS1_25lookback_scan_determinismE0ELb1ES3_N6thrust23THRUST_200600_302600_NS6detail15normal_iteratorINS9_10device_ptrIxEEEESE_SE_xNS9_4plusIxEE19head_flag_predicatexEE10hipError_tPvRmT2_T3_T4_T5_mT6_T7_P12ihipStream_tbENKUlT_T0_E_clISt17integral_constantIbLb1EESY_EEDaST_SU_EUlST_E_NS1_11comp_targetILNS1_3genE8ELNS1_11target_archE1030ELNS1_3gpuE2ELNS1_3repE0EEENS1_30default_config_static_selectorELNS0_4arch9wavefront6targetE0EEEvT1_.uses_flat_scratch, 0
	.set _ZN7rocprim17ROCPRIM_400000_NS6detail17trampoline_kernelINS0_14default_configENS1_27scan_by_key_config_selectorIxxEEZZNS1_16scan_by_key_implILNS1_25lookback_scan_determinismE0ELb1ES3_N6thrust23THRUST_200600_302600_NS6detail15normal_iteratorINS9_10device_ptrIxEEEESE_SE_xNS9_4plusIxEE19head_flag_predicatexEE10hipError_tPvRmT2_T3_T4_T5_mT6_T7_P12ihipStream_tbENKUlT_T0_E_clISt17integral_constantIbLb1EESY_EEDaST_SU_EUlST_E_NS1_11comp_targetILNS1_3genE8ELNS1_11target_archE1030ELNS1_3gpuE2ELNS1_3repE0EEENS1_30default_config_static_selectorELNS0_4arch9wavefront6targetE0EEEvT1_.has_dyn_sized_stack, 0
	.set _ZN7rocprim17ROCPRIM_400000_NS6detail17trampoline_kernelINS0_14default_configENS1_27scan_by_key_config_selectorIxxEEZZNS1_16scan_by_key_implILNS1_25lookback_scan_determinismE0ELb1ES3_N6thrust23THRUST_200600_302600_NS6detail15normal_iteratorINS9_10device_ptrIxEEEESE_SE_xNS9_4plusIxEE19head_flag_predicatexEE10hipError_tPvRmT2_T3_T4_T5_mT6_T7_P12ihipStream_tbENKUlT_T0_E_clISt17integral_constantIbLb1EESY_EEDaST_SU_EUlST_E_NS1_11comp_targetILNS1_3genE8ELNS1_11target_archE1030ELNS1_3gpuE2ELNS1_3repE0EEENS1_30default_config_static_selectorELNS0_4arch9wavefront6targetE0EEEvT1_.has_recursion, 0
	.set _ZN7rocprim17ROCPRIM_400000_NS6detail17trampoline_kernelINS0_14default_configENS1_27scan_by_key_config_selectorIxxEEZZNS1_16scan_by_key_implILNS1_25lookback_scan_determinismE0ELb1ES3_N6thrust23THRUST_200600_302600_NS6detail15normal_iteratorINS9_10device_ptrIxEEEESE_SE_xNS9_4plusIxEE19head_flag_predicatexEE10hipError_tPvRmT2_T3_T4_T5_mT6_T7_P12ihipStream_tbENKUlT_T0_E_clISt17integral_constantIbLb1EESY_EEDaST_SU_EUlST_E_NS1_11comp_targetILNS1_3genE8ELNS1_11target_archE1030ELNS1_3gpuE2ELNS1_3repE0EEENS1_30default_config_static_selectorELNS0_4arch9wavefront6targetE0EEEvT1_.has_indirect_call, 0
	.section	.AMDGPU.csdata,"",@progbits
; Kernel info:
; codeLenInByte = 4
; TotalNumSgprs: 0
; NumVgprs: 0
; ScratchSize: 0
; MemoryBound: 0
; FloatMode: 240
; IeeeMode: 1
; LDSByteSize: 0 bytes/workgroup (compile time only)
; SGPRBlocks: 0
; VGPRBlocks: 0
; NumSGPRsForWavesPerEU: 1
; NumVGPRsForWavesPerEU: 1
; Occupancy: 16
; WaveLimiterHint : 0
; COMPUTE_PGM_RSRC2:SCRATCH_EN: 0
; COMPUTE_PGM_RSRC2:USER_SGPR: 6
; COMPUTE_PGM_RSRC2:TRAP_HANDLER: 0
; COMPUTE_PGM_RSRC2:TGID_X_EN: 1
; COMPUTE_PGM_RSRC2:TGID_Y_EN: 0
; COMPUTE_PGM_RSRC2:TGID_Z_EN: 0
; COMPUTE_PGM_RSRC2:TIDIG_COMP_CNT: 0
	.section	.text._ZN7rocprim17ROCPRIM_400000_NS6detail17trampoline_kernelINS0_14default_configENS1_27scan_by_key_config_selectorIxxEEZZNS1_16scan_by_key_implILNS1_25lookback_scan_determinismE0ELb1ES3_N6thrust23THRUST_200600_302600_NS6detail15normal_iteratorINS9_10device_ptrIxEEEESE_SE_xNS9_4plusIxEE19head_flag_predicatexEE10hipError_tPvRmT2_T3_T4_T5_mT6_T7_P12ihipStream_tbENKUlT_T0_E_clISt17integral_constantIbLb1EESX_IbLb0EEEEDaST_SU_EUlST_E_NS1_11comp_targetILNS1_3genE0ELNS1_11target_archE4294967295ELNS1_3gpuE0ELNS1_3repE0EEENS1_30default_config_static_selectorELNS0_4arch9wavefront6targetE0EEEvT1_,"axG",@progbits,_ZN7rocprim17ROCPRIM_400000_NS6detail17trampoline_kernelINS0_14default_configENS1_27scan_by_key_config_selectorIxxEEZZNS1_16scan_by_key_implILNS1_25lookback_scan_determinismE0ELb1ES3_N6thrust23THRUST_200600_302600_NS6detail15normal_iteratorINS9_10device_ptrIxEEEESE_SE_xNS9_4plusIxEE19head_flag_predicatexEE10hipError_tPvRmT2_T3_T4_T5_mT6_T7_P12ihipStream_tbENKUlT_T0_E_clISt17integral_constantIbLb1EESX_IbLb0EEEEDaST_SU_EUlST_E_NS1_11comp_targetILNS1_3genE0ELNS1_11target_archE4294967295ELNS1_3gpuE0ELNS1_3repE0EEENS1_30default_config_static_selectorELNS0_4arch9wavefront6targetE0EEEvT1_,comdat
	.protected	_ZN7rocprim17ROCPRIM_400000_NS6detail17trampoline_kernelINS0_14default_configENS1_27scan_by_key_config_selectorIxxEEZZNS1_16scan_by_key_implILNS1_25lookback_scan_determinismE0ELb1ES3_N6thrust23THRUST_200600_302600_NS6detail15normal_iteratorINS9_10device_ptrIxEEEESE_SE_xNS9_4plusIxEE19head_flag_predicatexEE10hipError_tPvRmT2_T3_T4_T5_mT6_T7_P12ihipStream_tbENKUlT_T0_E_clISt17integral_constantIbLb1EESX_IbLb0EEEEDaST_SU_EUlST_E_NS1_11comp_targetILNS1_3genE0ELNS1_11target_archE4294967295ELNS1_3gpuE0ELNS1_3repE0EEENS1_30default_config_static_selectorELNS0_4arch9wavefront6targetE0EEEvT1_ ; -- Begin function _ZN7rocprim17ROCPRIM_400000_NS6detail17trampoline_kernelINS0_14default_configENS1_27scan_by_key_config_selectorIxxEEZZNS1_16scan_by_key_implILNS1_25lookback_scan_determinismE0ELb1ES3_N6thrust23THRUST_200600_302600_NS6detail15normal_iteratorINS9_10device_ptrIxEEEESE_SE_xNS9_4plusIxEE19head_flag_predicatexEE10hipError_tPvRmT2_T3_T4_T5_mT6_T7_P12ihipStream_tbENKUlT_T0_E_clISt17integral_constantIbLb1EESX_IbLb0EEEEDaST_SU_EUlST_E_NS1_11comp_targetILNS1_3genE0ELNS1_11target_archE4294967295ELNS1_3gpuE0ELNS1_3repE0EEENS1_30default_config_static_selectorELNS0_4arch9wavefront6targetE0EEEvT1_
	.globl	_ZN7rocprim17ROCPRIM_400000_NS6detail17trampoline_kernelINS0_14default_configENS1_27scan_by_key_config_selectorIxxEEZZNS1_16scan_by_key_implILNS1_25lookback_scan_determinismE0ELb1ES3_N6thrust23THRUST_200600_302600_NS6detail15normal_iteratorINS9_10device_ptrIxEEEESE_SE_xNS9_4plusIxEE19head_flag_predicatexEE10hipError_tPvRmT2_T3_T4_T5_mT6_T7_P12ihipStream_tbENKUlT_T0_E_clISt17integral_constantIbLb1EESX_IbLb0EEEEDaST_SU_EUlST_E_NS1_11comp_targetILNS1_3genE0ELNS1_11target_archE4294967295ELNS1_3gpuE0ELNS1_3repE0EEENS1_30default_config_static_selectorELNS0_4arch9wavefront6targetE0EEEvT1_
	.p2align	8
	.type	_ZN7rocprim17ROCPRIM_400000_NS6detail17trampoline_kernelINS0_14default_configENS1_27scan_by_key_config_selectorIxxEEZZNS1_16scan_by_key_implILNS1_25lookback_scan_determinismE0ELb1ES3_N6thrust23THRUST_200600_302600_NS6detail15normal_iteratorINS9_10device_ptrIxEEEESE_SE_xNS9_4plusIxEE19head_flag_predicatexEE10hipError_tPvRmT2_T3_T4_T5_mT6_T7_P12ihipStream_tbENKUlT_T0_E_clISt17integral_constantIbLb1EESX_IbLb0EEEEDaST_SU_EUlST_E_NS1_11comp_targetILNS1_3genE0ELNS1_11target_archE4294967295ELNS1_3gpuE0ELNS1_3repE0EEENS1_30default_config_static_selectorELNS0_4arch9wavefront6targetE0EEEvT1_,@function
_ZN7rocprim17ROCPRIM_400000_NS6detail17trampoline_kernelINS0_14default_configENS1_27scan_by_key_config_selectorIxxEEZZNS1_16scan_by_key_implILNS1_25lookback_scan_determinismE0ELb1ES3_N6thrust23THRUST_200600_302600_NS6detail15normal_iteratorINS9_10device_ptrIxEEEESE_SE_xNS9_4plusIxEE19head_flag_predicatexEE10hipError_tPvRmT2_T3_T4_T5_mT6_T7_P12ihipStream_tbENKUlT_T0_E_clISt17integral_constantIbLb1EESX_IbLb0EEEEDaST_SU_EUlST_E_NS1_11comp_targetILNS1_3genE0ELNS1_11target_archE4294967295ELNS1_3gpuE0ELNS1_3repE0EEENS1_30default_config_static_selectorELNS0_4arch9wavefront6targetE0EEEvT1_: ; @_ZN7rocprim17ROCPRIM_400000_NS6detail17trampoline_kernelINS0_14default_configENS1_27scan_by_key_config_selectorIxxEEZZNS1_16scan_by_key_implILNS1_25lookback_scan_determinismE0ELb1ES3_N6thrust23THRUST_200600_302600_NS6detail15normal_iteratorINS9_10device_ptrIxEEEESE_SE_xNS9_4plusIxEE19head_flag_predicatexEE10hipError_tPvRmT2_T3_T4_T5_mT6_T7_P12ihipStream_tbENKUlT_T0_E_clISt17integral_constantIbLb1EESX_IbLb0EEEEDaST_SU_EUlST_E_NS1_11comp_targetILNS1_3genE0ELNS1_11target_archE4294967295ELNS1_3gpuE0ELNS1_3repE0EEENS1_30default_config_static_selectorELNS0_4arch9wavefront6targetE0EEEvT1_
; %bb.0:
	.section	.rodata,"a",@progbits
	.p2align	6, 0x0
	.amdhsa_kernel _ZN7rocprim17ROCPRIM_400000_NS6detail17trampoline_kernelINS0_14default_configENS1_27scan_by_key_config_selectorIxxEEZZNS1_16scan_by_key_implILNS1_25lookback_scan_determinismE0ELb1ES3_N6thrust23THRUST_200600_302600_NS6detail15normal_iteratorINS9_10device_ptrIxEEEESE_SE_xNS9_4plusIxEE19head_flag_predicatexEE10hipError_tPvRmT2_T3_T4_T5_mT6_T7_P12ihipStream_tbENKUlT_T0_E_clISt17integral_constantIbLb1EESX_IbLb0EEEEDaST_SU_EUlST_E_NS1_11comp_targetILNS1_3genE0ELNS1_11target_archE4294967295ELNS1_3gpuE0ELNS1_3repE0EEENS1_30default_config_static_selectorELNS0_4arch9wavefront6targetE0EEEvT1_
		.amdhsa_group_segment_fixed_size 0
		.amdhsa_private_segment_fixed_size 0
		.amdhsa_kernarg_size 136
		.amdhsa_user_sgpr_count 6
		.amdhsa_user_sgpr_private_segment_buffer 1
		.amdhsa_user_sgpr_dispatch_ptr 0
		.amdhsa_user_sgpr_queue_ptr 0
		.amdhsa_user_sgpr_kernarg_segment_ptr 1
		.amdhsa_user_sgpr_dispatch_id 0
		.amdhsa_user_sgpr_flat_scratch_init 0
		.amdhsa_user_sgpr_private_segment_size 0
		.amdhsa_wavefront_size32 1
		.amdhsa_uses_dynamic_stack 0
		.amdhsa_system_sgpr_private_segment_wavefront_offset 0
		.amdhsa_system_sgpr_workgroup_id_x 1
		.amdhsa_system_sgpr_workgroup_id_y 0
		.amdhsa_system_sgpr_workgroup_id_z 0
		.amdhsa_system_sgpr_workgroup_info 0
		.amdhsa_system_vgpr_workitem_id 0
		.amdhsa_next_free_vgpr 1
		.amdhsa_next_free_sgpr 1
		.amdhsa_reserve_vcc 0
		.amdhsa_reserve_flat_scratch 0
		.amdhsa_float_round_mode_32 0
		.amdhsa_float_round_mode_16_64 0
		.amdhsa_float_denorm_mode_32 3
		.amdhsa_float_denorm_mode_16_64 3
		.amdhsa_dx10_clamp 1
		.amdhsa_ieee_mode 1
		.amdhsa_fp16_overflow 0
		.amdhsa_workgroup_processor_mode 1
		.amdhsa_memory_ordered 1
		.amdhsa_forward_progress 1
		.amdhsa_shared_vgpr_count 0
		.amdhsa_exception_fp_ieee_invalid_op 0
		.amdhsa_exception_fp_denorm_src 0
		.amdhsa_exception_fp_ieee_div_zero 0
		.amdhsa_exception_fp_ieee_overflow 0
		.amdhsa_exception_fp_ieee_underflow 0
		.amdhsa_exception_fp_ieee_inexact 0
		.amdhsa_exception_int_div_zero 0
	.end_amdhsa_kernel
	.section	.text._ZN7rocprim17ROCPRIM_400000_NS6detail17trampoline_kernelINS0_14default_configENS1_27scan_by_key_config_selectorIxxEEZZNS1_16scan_by_key_implILNS1_25lookback_scan_determinismE0ELb1ES3_N6thrust23THRUST_200600_302600_NS6detail15normal_iteratorINS9_10device_ptrIxEEEESE_SE_xNS9_4plusIxEE19head_flag_predicatexEE10hipError_tPvRmT2_T3_T4_T5_mT6_T7_P12ihipStream_tbENKUlT_T0_E_clISt17integral_constantIbLb1EESX_IbLb0EEEEDaST_SU_EUlST_E_NS1_11comp_targetILNS1_3genE0ELNS1_11target_archE4294967295ELNS1_3gpuE0ELNS1_3repE0EEENS1_30default_config_static_selectorELNS0_4arch9wavefront6targetE0EEEvT1_,"axG",@progbits,_ZN7rocprim17ROCPRIM_400000_NS6detail17trampoline_kernelINS0_14default_configENS1_27scan_by_key_config_selectorIxxEEZZNS1_16scan_by_key_implILNS1_25lookback_scan_determinismE0ELb1ES3_N6thrust23THRUST_200600_302600_NS6detail15normal_iteratorINS9_10device_ptrIxEEEESE_SE_xNS9_4plusIxEE19head_flag_predicatexEE10hipError_tPvRmT2_T3_T4_T5_mT6_T7_P12ihipStream_tbENKUlT_T0_E_clISt17integral_constantIbLb1EESX_IbLb0EEEEDaST_SU_EUlST_E_NS1_11comp_targetILNS1_3genE0ELNS1_11target_archE4294967295ELNS1_3gpuE0ELNS1_3repE0EEENS1_30default_config_static_selectorELNS0_4arch9wavefront6targetE0EEEvT1_,comdat
.Lfunc_end731:
	.size	_ZN7rocprim17ROCPRIM_400000_NS6detail17trampoline_kernelINS0_14default_configENS1_27scan_by_key_config_selectorIxxEEZZNS1_16scan_by_key_implILNS1_25lookback_scan_determinismE0ELb1ES3_N6thrust23THRUST_200600_302600_NS6detail15normal_iteratorINS9_10device_ptrIxEEEESE_SE_xNS9_4plusIxEE19head_flag_predicatexEE10hipError_tPvRmT2_T3_T4_T5_mT6_T7_P12ihipStream_tbENKUlT_T0_E_clISt17integral_constantIbLb1EESX_IbLb0EEEEDaST_SU_EUlST_E_NS1_11comp_targetILNS1_3genE0ELNS1_11target_archE4294967295ELNS1_3gpuE0ELNS1_3repE0EEENS1_30default_config_static_selectorELNS0_4arch9wavefront6targetE0EEEvT1_, .Lfunc_end731-_ZN7rocprim17ROCPRIM_400000_NS6detail17trampoline_kernelINS0_14default_configENS1_27scan_by_key_config_selectorIxxEEZZNS1_16scan_by_key_implILNS1_25lookback_scan_determinismE0ELb1ES3_N6thrust23THRUST_200600_302600_NS6detail15normal_iteratorINS9_10device_ptrIxEEEESE_SE_xNS9_4plusIxEE19head_flag_predicatexEE10hipError_tPvRmT2_T3_T4_T5_mT6_T7_P12ihipStream_tbENKUlT_T0_E_clISt17integral_constantIbLb1EESX_IbLb0EEEEDaST_SU_EUlST_E_NS1_11comp_targetILNS1_3genE0ELNS1_11target_archE4294967295ELNS1_3gpuE0ELNS1_3repE0EEENS1_30default_config_static_selectorELNS0_4arch9wavefront6targetE0EEEvT1_
                                        ; -- End function
	.set _ZN7rocprim17ROCPRIM_400000_NS6detail17trampoline_kernelINS0_14default_configENS1_27scan_by_key_config_selectorIxxEEZZNS1_16scan_by_key_implILNS1_25lookback_scan_determinismE0ELb1ES3_N6thrust23THRUST_200600_302600_NS6detail15normal_iteratorINS9_10device_ptrIxEEEESE_SE_xNS9_4plusIxEE19head_flag_predicatexEE10hipError_tPvRmT2_T3_T4_T5_mT6_T7_P12ihipStream_tbENKUlT_T0_E_clISt17integral_constantIbLb1EESX_IbLb0EEEEDaST_SU_EUlST_E_NS1_11comp_targetILNS1_3genE0ELNS1_11target_archE4294967295ELNS1_3gpuE0ELNS1_3repE0EEENS1_30default_config_static_selectorELNS0_4arch9wavefront6targetE0EEEvT1_.num_vgpr, 0
	.set _ZN7rocprim17ROCPRIM_400000_NS6detail17trampoline_kernelINS0_14default_configENS1_27scan_by_key_config_selectorIxxEEZZNS1_16scan_by_key_implILNS1_25lookback_scan_determinismE0ELb1ES3_N6thrust23THRUST_200600_302600_NS6detail15normal_iteratorINS9_10device_ptrIxEEEESE_SE_xNS9_4plusIxEE19head_flag_predicatexEE10hipError_tPvRmT2_T3_T4_T5_mT6_T7_P12ihipStream_tbENKUlT_T0_E_clISt17integral_constantIbLb1EESX_IbLb0EEEEDaST_SU_EUlST_E_NS1_11comp_targetILNS1_3genE0ELNS1_11target_archE4294967295ELNS1_3gpuE0ELNS1_3repE0EEENS1_30default_config_static_selectorELNS0_4arch9wavefront6targetE0EEEvT1_.num_agpr, 0
	.set _ZN7rocprim17ROCPRIM_400000_NS6detail17trampoline_kernelINS0_14default_configENS1_27scan_by_key_config_selectorIxxEEZZNS1_16scan_by_key_implILNS1_25lookback_scan_determinismE0ELb1ES3_N6thrust23THRUST_200600_302600_NS6detail15normal_iteratorINS9_10device_ptrIxEEEESE_SE_xNS9_4plusIxEE19head_flag_predicatexEE10hipError_tPvRmT2_T3_T4_T5_mT6_T7_P12ihipStream_tbENKUlT_T0_E_clISt17integral_constantIbLb1EESX_IbLb0EEEEDaST_SU_EUlST_E_NS1_11comp_targetILNS1_3genE0ELNS1_11target_archE4294967295ELNS1_3gpuE0ELNS1_3repE0EEENS1_30default_config_static_selectorELNS0_4arch9wavefront6targetE0EEEvT1_.numbered_sgpr, 0
	.set _ZN7rocprim17ROCPRIM_400000_NS6detail17trampoline_kernelINS0_14default_configENS1_27scan_by_key_config_selectorIxxEEZZNS1_16scan_by_key_implILNS1_25lookback_scan_determinismE0ELb1ES3_N6thrust23THRUST_200600_302600_NS6detail15normal_iteratorINS9_10device_ptrIxEEEESE_SE_xNS9_4plusIxEE19head_flag_predicatexEE10hipError_tPvRmT2_T3_T4_T5_mT6_T7_P12ihipStream_tbENKUlT_T0_E_clISt17integral_constantIbLb1EESX_IbLb0EEEEDaST_SU_EUlST_E_NS1_11comp_targetILNS1_3genE0ELNS1_11target_archE4294967295ELNS1_3gpuE0ELNS1_3repE0EEENS1_30default_config_static_selectorELNS0_4arch9wavefront6targetE0EEEvT1_.num_named_barrier, 0
	.set _ZN7rocprim17ROCPRIM_400000_NS6detail17trampoline_kernelINS0_14default_configENS1_27scan_by_key_config_selectorIxxEEZZNS1_16scan_by_key_implILNS1_25lookback_scan_determinismE0ELb1ES3_N6thrust23THRUST_200600_302600_NS6detail15normal_iteratorINS9_10device_ptrIxEEEESE_SE_xNS9_4plusIxEE19head_flag_predicatexEE10hipError_tPvRmT2_T3_T4_T5_mT6_T7_P12ihipStream_tbENKUlT_T0_E_clISt17integral_constantIbLb1EESX_IbLb0EEEEDaST_SU_EUlST_E_NS1_11comp_targetILNS1_3genE0ELNS1_11target_archE4294967295ELNS1_3gpuE0ELNS1_3repE0EEENS1_30default_config_static_selectorELNS0_4arch9wavefront6targetE0EEEvT1_.private_seg_size, 0
	.set _ZN7rocprim17ROCPRIM_400000_NS6detail17trampoline_kernelINS0_14default_configENS1_27scan_by_key_config_selectorIxxEEZZNS1_16scan_by_key_implILNS1_25lookback_scan_determinismE0ELb1ES3_N6thrust23THRUST_200600_302600_NS6detail15normal_iteratorINS9_10device_ptrIxEEEESE_SE_xNS9_4plusIxEE19head_flag_predicatexEE10hipError_tPvRmT2_T3_T4_T5_mT6_T7_P12ihipStream_tbENKUlT_T0_E_clISt17integral_constantIbLb1EESX_IbLb0EEEEDaST_SU_EUlST_E_NS1_11comp_targetILNS1_3genE0ELNS1_11target_archE4294967295ELNS1_3gpuE0ELNS1_3repE0EEENS1_30default_config_static_selectorELNS0_4arch9wavefront6targetE0EEEvT1_.uses_vcc, 0
	.set _ZN7rocprim17ROCPRIM_400000_NS6detail17trampoline_kernelINS0_14default_configENS1_27scan_by_key_config_selectorIxxEEZZNS1_16scan_by_key_implILNS1_25lookback_scan_determinismE0ELb1ES3_N6thrust23THRUST_200600_302600_NS6detail15normal_iteratorINS9_10device_ptrIxEEEESE_SE_xNS9_4plusIxEE19head_flag_predicatexEE10hipError_tPvRmT2_T3_T4_T5_mT6_T7_P12ihipStream_tbENKUlT_T0_E_clISt17integral_constantIbLb1EESX_IbLb0EEEEDaST_SU_EUlST_E_NS1_11comp_targetILNS1_3genE0ELNS1_11target_archE4294967295ELNS1_3gpuE0ELNS1_3repE0EEENS1_30default_config_static_selectorELNS0_4arch9wavefront6targetE0EEEvT1_.uses_flat_scratch, 0
	.set _ZN7rocprim17ROCPRIM_400000_NS6detail17trampoline_kernelINS0_14default_configENS1_27scan_by_key_config_selectorIxxEEZZNS1_16scan_by_key_implILNS1_25lookback_scan_determinismE0ELb1ES3_N6thrust23THRUST_200600_302600_NS6detail15normal_iteratorINS9_10device_ptrIxEEEESE_SE_xNS9_4plusIxEE19head_flag_predicatexEE10hipError_tPvRmT2_T3_T4_T5_mT6_T7_P12ihipStream_tbENKUlT_T0_E_clISt17integral_constantIbLb1EESX_IbLb0EEEEDaST_SU_EUlST_E_NS1_11comp_targetILNS1_3genE0ELNS1_11target_archE4294967295ELNS1_3gpuE0ELNS1_3repE0EEENS1_30default_config_static_selectorELNS0_4arch9wavefront6targetE0EEEvT1_.has_dyn_sized_stack, 0
	.set _ZN7rocprim17ROCPRIM_400000_NS6detail17trampoline_kernelINS0_14default_configENS1_27scan_by_key_config_selectorIxxEEZZNS1_16scan_by_key_implILNS1_25lookback_scan_determinismE0ELb1ES3_N6thrust23THRUST_200600_302600_NS6detail15normal_iteratorINS9_10device_ptrIxEEEESE_SE_xNS9_4plusIxEE19head_flag_predicatexEE10hipError_tPvRmT2_T3_T4_T5_mT6_T7_P12ihipStream_tbENKUlT_T0_E_clISt17integral_constantIbLb1EESX_IbLb0EEEEDaST_SU_EUlST_E_NS1_11comp_targetILNS1_3genE0ELNS1_11target_archE4294967295ELNS1_3gpuE0ELNS1_3repE0EEENS1_30default_config_static_selectorELNS0_4arch9wavefront6targetE0EEEvT1_.has_recursion, 0
	.set _ZN7rocprim17ROCPRIM_400000_NS6detail17trampoline_kernelINS0_14default_configENS1_27scan_by_key_config_selectorIxxEEZZNS1_16scan_by_key_implILNS1_25lookback_scan_determinismE0ELb1ES3_N6thrust23THRUST_200600_302600_NS6detail15normal_iteratorINS9_10device_ptrIxEEEESE_SE_xNS9_4plusIxEE19head_flag_predicatexEE10hipError_tPvRmT2_T3_T4_T5_mT6_T7_P12ihipStream_tbENKUlT_T0_E_clISt17integral_constantIbLb1EESX_IbLb0EEEEDaST_SU_EUlST_E_NS1_11comp_targetILNS1_3genE0ELNS1_11target_archE4294967295ELNS1_3gpuE0ELNS1_3repE0EEENS1_30default_config_static_selectorELNS0_4arch9wavefront6targetE0EEEvT1_.has_indirect_call, 0
	.section	.AMDGPU.csdata,"",@progbits
; Kernel info:
; codeLenInByte = 0
; TotalNumSgprs: 0
; NumVgprs: 0
; ScratchSize: 0
; MemoryBound: 0
; FloatMode: 240
; IeeeMode: 1
; LDSByteSize: 0 bytes/workgroup (compile time only)
; SGPRBlocks: 0
; VGPRBlocks: 0
; NumSGPRsForWavesPerEU: 1
; NumVGPRsForWavesPerEU: 1
; Occupancy: 16
; WaveLimiterHint : 0
; COMPUTE_PGM_RSRC2:SCRATCH_EN: 0
; COMPUTE_PGM_RSRC2:USER_SGPR: 6
; COMPUTE_PGM_RSRC2:TRAP_HANDLER: 0
; COMPUTE_PGM_RSRC2:TGID_X_EN: 1
; COMPUTE_PGM_RSRC2:TGID_Y_EN: 0
; COMPUTE_PGM_RSRC2:TGID_Z_EN: 0
; COMPUTE_PGM_RSRC2:TIDIG_COMP_CNT: 0
	.section	.text._ZN7rocprim17ROCPRIM_400000_NS6detail17trampoline_kernelINS0_14default_configENS1_27scan_by_key_config_selectorIxxEEZZNS1_16scan_by_key_implILNS1_25lookback_scan_determinismE0ELb1ES3_N6thrust23THRUST_200600_302600_NS6detail15normal_iteratorINS9_10device_ptrIxEEEESE_SE_xNS9_4plusIxEE19head_flag_predicatexEE10hipError_tPvRmT2_T3_T4_T5_mT6_T7_P12ihipStream_tbENKUlT_T0_E_clISt17integral_constantIbLb1EESX_IbLb0EEEEDaST_SU_EUlST_E_NS1_11comp_targetILNS1_3genE10ELNS1_11target_archE1201ELNS1_3gpuE5ELNS1_3repE0EEENS1_30default_config_static_selectorELNS0_4arch9wavefront6targetE0EEEvT1_,"axG",@progbits,_ZN7rocprim17ROCPRIM_400000_NS6detail17trampoline_kernelINS0_14default_configENS1_27scan_by_key_config_selectorIxxEEZZNS1_16scan_by_key_implILNS1_25lookback_scan_determinismE0ELb1ES3_N6thrust23THRUST_200600_302600_NS6detail15normal_iteratorINS9_10device_ptrIxEEEESE_SE_xNS9_4plusIxEE19head_flag_predicatexEE10hipError_tPvRmT2_T3_T4_T5_mT6_T7_P12ihipStream_tbENKUlT_T0_E_clISt17integral_constantIbLb1EESX_IbLb0EEEEDaST_SU_EUlST_E_NS1_11comp_targetILNS1_3genE10ELNS1_11target_archE1201ELNS1_3gpuE5ELNS1_3repE0EEENS1_30default_config_static_selectorELNS0_4arch9wavefront6targetE0EEEvT1_,comdat
	.protected	_ZN7rocprim17ROCPRIM_400000_NS6detail17trampoline_kernelINS0_14default_configENS1_27scan_by_key_config_selectorIxxEEZZNS1_16scan_by_key_implILNS1_25lookback_scan_determinismE0ELb1ES3_N6thrust23THRUST_200600_302600_NS6detail15normal_iteratorINS9_10device_ptrIxEEEESE_SE_xNS9_4plusIxEE19head_flag_predicatexEE10hipError_tPvRmT2_T3_T4_T5_mT6_T7_P12ihipStream_tbENKUlT_T0_E_clISt17integral_constantIbLb1EESX_IbLb0EEEEDaST_SU_EUlST_E_NS1_11comp_targetILNS1_3genE10ELNS1_11target_archE1201ELNS1_3gpuE5ELNS1_3repE0EEENS1_30default_config_static_selectorELNS0_4arch9wavefront6targetE0EEEvT1_ ; -- Begin function _ZN7rocprim17ROCPRIM_400000_NS6detail17trampoline_kernelINS0_14default_configENS1_27scan_by_key_config_selectorIxxEEZZNS1_16scan_by_key_implILNS1_25lookback_scan_determinismE0ELb1ES3_N6thrust23THRUST_200600_302600_NS6detail15normal_iteratorINS9_10device_ptrIxEEEESE_SE_xNS9_4plusIxEE19head_flag_predicatexEE10hipError_tPvRmT2_T3_T4_T5_mT6_T7_P12ihipStream_tbENKUlT_T0_E_clISt17integral_constantIbLb1EESX_IbLb0EEEEDaST_SU_EUlST_E_NS1_11comp_targetILNS1_3genE10ELNS1_11target_archE1201ELNS1_3gpuE5ELNS1_3repE0EEENS1_30default_config_static_selectorELNS0_4arch9wavefront6targetE0EEEvT1_
	.globl	_ZN7rocprim17ROCPRIM_400000_NS6detail17trampoline_kernelINS0_14default_configENS1_27scan_by_key_config_selectorIxxEEZZNS1_16scan_by_key_implILNS1_25lookback_scan_determinismE0ELb1ES3_N6thrust23THRUST_200600_302600_NS6detail15normal_iteratorINS9_10device_ptrIxEEEESE_SE_xNS9_4plusIxEE19head_flag_predicatexEE10hipError_tPvRmT2_T3_T4_T5_mT6_T7_P12ihipStream_tbENKUlT_T0_E_clISt17integral_constantIbLb1EESX_IbLb0EEEEDaST_SU_EUlST_E_NS1_11comp_targetILNS1_3genE10ELNS1_11target_archE1201ELNS1_3gpuE5ELNS1_3repE0EEENS1_30default_config_static_selectorELNS0_4arch9wavefront6targetE0EEEvT1_
	.p2align	8
	.type	_ZN7rocprim17ROCPRIM_400000_NS6detail17trampoline_kernelINS0_14default_configENS1_27scan_by_key_config_selectorIxxEEZZNS1_16scan_by_key_implILNS1_25lookback_scan_determinismE0ELb1ES3_N6thrust23THRUST_200600_302600_NS6detail15normal_iteratorINS9_10device_ptrIxEEEESE_SE_xNS9_4plusIxEE19head_flag_predicatexEE10hipError_tPvRmT2_T3_T4_T5_mT6_T7_P12ihipStream_tbENKUlT_T0_E_clISt17integral_constantIbLb1EESX_IbLb0EEEEDaST_SU_EUlST_E_NS1_11comp_targetILNS1_3genE10ELNS1_11target_archE1201ELNS1_3gpuE5ELNS1_3repE0EEENS1_30default_config_static_selectorELNS0_4arch9wavefront6targetE0EEEvT1_,@function
_ZN7rocprim17ROCPRIM_400000_NS6detail17trampoline_kernelINS0_14default_configENS1_27scan_by_key_config_selectorIxxEEZZNS1_16scan_by_key_implILNS1_25lookback_scan_determinismE0ELb1ES3_N6thrust23THRUST_200600_302600_NS6detail15normal_iteratorINS9_10device_ptrIxEEEESE_SE_xNS9_4plusIxEE19head_flag_predicatexEE10hipError_tPvRmT2_T3_T4_T5_mT6_T7_P12ihipStream_tbENKUlT_T0_E_clISt17integral_constantIbLb1EESX_IbLb0EEEEDaST_SU_EUlST_E_NS1_11comp_targetILNS1_3genE10ELNS1_11target_archE1201ELNS1_3gpuE5ELNS1_3repE0EEENS1_30default_config_static_selectorELNS0_4arch9wavefront6targetE0EEEvT1_: ; @_ZN7rocprim17ROCPRIM_400000_NS6detail17trampoline_kernelINS0_14default_configENS1_27scan_by_key_config_selectorIxxEEZZNS1_16scan_by_key_implILNS1_25lookback_scan_determinismE0ELb1ES3_N6thrust23THRUST_200600_302600_NS6detail15normal_iteratorINS9_10device_ptrIxEEEESE_SE_xNS9_4plusIxEE19head_flag_predicatexEE10hipError_tPvRmT2_T3_T4_T5_mT6_T7_P12ihipStream_tbENKUlT_T0_E_clISt17integral_constantIbLb1EESX_IbLb0EEEEDaST_SU_EUlST_E_NS1_11comp_targetILNS1_3genE10ELNS1_11target_archE1201ELNS1_3gpuE5ELNS1_3repE0EEENS1_30default_config_static_selectorELNS0_4arch9wavefront6targetE0EEEvT1_
; %bb.0:
	.section	.rodata,"a",@progbits
	.p2align	6, 0x0
	.amdhsa_kernel _ZN7rocprim17ROCPRIM_400000_NS6detail17trampoline_kernelINS0_14default_configENS1_27scan_by_key_config_selectorIxxEEZZNS1_16scan_by_key_implILNS1_25lookback_scan_determinismE0ELb1ES3_N6thrust23THRUST_200600_302600_NS6detail15normal_iteratorINS9_10device_ptrIxEEEESE_SE_xNS9_4plusIxEE19head_flag_predicatexEE10hipError_tPvRmT2_T3_T4_T5_mT6_T7_P12ihipStream_tbENKUlT_T0_E_clISt17integral_constantIbLb1EESX_IbLb0EEEEDaST_SU_EUlST_E_NS1_11comp_targetILNS1_3genE10ELNS1_11target_archE1201ELNS1_3gpuE5ELNS1_3repE0EEENS1_30default_config_static_selectorELNS0_4arch9wavefront6targetE0EEEvT1_
		.amdhsa_group_segment_fixed_size 0
		.amdhsa_private_segment_fixed_size 0
		.amdhsa_kernarg_size 136
		.amdhsa_user_sgpr_count 6
		.amdhsa_user_sgpr_private_segment_buffer 1
		.amdhsa_user_sgpr_dispatch_ptr 0
		.amdhsa_user_sgpr_queue_ptr 0
		.amdhsa_user_sgpr_kernarg_segment_ptr 1
		.amdhsa_user_sgpr_dispatch_id 0
		.amdhsa_user_sgpr_flat_scratch_init 0
		.amdhsa_user_sgpr_private_segment_size 0
		.amdhsa_wavefront_size32 1
		.amdhsa_uses_dynamic_stack 0
		.amdhsa_system_sgpr_private_segment_wavefront_offset 0
		.amdhsa_system_sgpr_workgroup_id_x 1
		.amdhsa_system_sgpr_workgroup_id_y 0
		.amdhsa_system_sgpr_workgroup_id_z 0
		.amdhsa_system_sgpr_workgroup_info 0
		.amdhsa_system_vgpr_workitem_id 0
		.amdhsa_next_free_vgpr 1
		.amdhsa_next_free_sgpr 1
		.amdhsa_reserve_vcc 0
		.amdhsa_reserve_flat_scratch 0
		.amdhsa_float_round_mode_32 0
		.amdhsa_float_round_mode_16_64 0
		.amdhsa_float_denorm_mode_32 3
		.amdhsa_float_denorm_mode_16_64 3
		.amdhsa_dx10_clamp 1
		.amdhsa_ieee_mode 1
		.amdhsa_fp16_overflow 0
		.amdhsa_workgroup_processor_mode 1
		.amdhsa_memory_ordered 1
		.amdhsa_forward_progress 1
		.amdhsa_shared_vgpr_count 0
		.amdhsa_exception_fp_ieee_invalid_op 0
		.amdhsa_exception_fp_denorm_src 0
		.amdhsa_exception_fp_ieee_div_zero 0
		.amdhsa_exception_fp_ieee_overflow 0
		.amdhsa_exception_fp_ieee_underflow 0
		.amdhsa_exception_fp_ieee_inexact 0
		.amdhsa_exception_int_div_zero 0
	.end_amdhsa_kernel
	.section	.text._ZN7rocprim17ROCPRIM_400000_NS6detail17trampoline_kernelINS0_14default_configENS1_27scan_by_key_config_selectorIxxEEZZNS1_16scan_by_key_implILNS1_25lookback_scan_determinismE0ELb1ES3_N6thrust23THRUST_200600_302600_NS6detail15normal_iteratorINS9_10device_ptrIxEEEESE_SE_xNS9_4plusIxEE19head_flag_predicatexEE10hipError_tPvRmT2_T3_T4_T5_mT6_T7_P12ihipStream_tbENKUlT_T0_E_clISt17integral_constantIbLb1EESX_IbLb0EEEEDaST_SU_EUlST_E_NS1_11comp_targetILNS1_3genE10ELNS1_11target_archE1201ELNS1_3gpuE5ELNS1_3repE0EEENS1_30default_config_static_selectorELNS0_4arch9wavefront6targetE0EEEvT1_,"axG",@progbits,_ZN7rocprim17ROCPRIM_400000_NS6detail17trampoline_kernelINS0_14default_configENS1_27scan_by_key_config_selectorIxxEEZZNS1_16scan_by_key_implILNS1_25lookback_scan_determinismE0ELb1ES3_N6thrust23THRUST_200600_302600_NS6detail15normal_iteratorINS9_10device_ptrIxEEEESE_SE_xNS9_4plusIxEE19head_flag_predicatexEE10hipError_tPvRmT2_T3_T4_T5_mT6_T7_P12ihipStream_tbENKUlT_T0_E_clISt17integral_constantIbLb1EESX_IbLb0EEEEDaST_SU_EUlST_E_NS1_11comp_targetILNS1_3genE10ELNS1_11target_archE1201ELNS1_3gpuE5ELNS1_3repE0EEENS1_30default_config_static_selectorELNS0_4arch9wavefront6targetE0EEEvT1_,comdat
.Lfunc_end732:
	.size	_ZN7rocprim17ROCPRIM_400000_NS6detail17trampoline_kernelINS0_14default_configENS1_27scan_by_key_config_selectorIxxEEZZNS1_16scan_by_key_implILNS1_25lookback_scan_determinismE0ELb1ES3_N6thrust23THRUST_200600_302600_NS6detail15normal_iteratorINS9_10device_ptrIxEEEESE_SE_xNS9_4plusIxEE19head_flag_predicatexEE10hipError_tPvRmT2_T3_T4_T5_mT6_T7_P12ihipStream_tbENKUlT_T0_E_clISt17integral_constantIbLb1EESX_IbLb0EEEEDaST_SU_EUlST_E_NS1_11comp_targetILNS1_3genE10ELNS1_11target_archE1201ELNS1_3gpuE5ELNS1_3repE0EEENS1_30default_config_static_selectorELNS0_4arch9wavefront6targetE0EEEvT1_, .Lfunc_end732-_ZN7rocprim17ROCPRIM_400000_NS6detail17trampoline_kernelINS0_14default_configENS1_27scan_by_key_config_selectorIxxEEZZNS1_16scan_by_key_implILNS1_25lookback_scan_determinismE0ELb1ES3_N6thrust23THRUST_200600_302600_NS6detail15normal_iteratorINS9_10device_ptrIxEEEESE_SE_xNS9_4plusIxEE19head_flag_predicatexEE10hipError_tPvRmT2_T3_T4_T5_mT6_T7_P12ihipStream_tbENKUlT_T0_E_clISt17integral_constantIbLb1EESX_IbLb0EEEEDaST_SU_EUlST_E_NS1_11comp_targetILNS1_3genE10ELNS1_11target_archE1201ELNS1_3gpuE5ELNS1_3repE0EEENS1_30default_config_static_selectorELNS0_4arch9wavefront6targetE0EEEvT1_
                                        ; -- End function
	.set _ZN7rocprim17ROCPRIM_400000_NS6detail17trampoline_kernelINS0_14default_configENS1_27scan_by_key_config_selectorIxxEEZZNS1_16scan_by_key_implILNS1_25lookback_scan_determinismE0ELb1ES3_N6thrust23THRUST_200600_302600_NS6detail15normal_iteratorINS9_10device_ptrIxEEEESE_SE_xNS9_4plusIxEE19head_flag_predicatexEE10hipError_tPvRmT2_T3_T4_T5_mT6_T7_P12ihipStream_tbENKUlT_T0_E_clISt17integral_constantIbLb1EESX_IbLb0EEEEDaST_SU_EUlST_E_NS1_11comp_targetILNS1_3genE10ELNS1_11target_archE1201ELNS1_3gpuE5ELNS1_3repE0EEENS1_30default_config_static_selectorELNS0_4arch9wavefront6targetE0EEEvT1_.num_vgpr, 0
	.set _ZN7rocprim17ROCPRIM_400000_NS6detail17trampoline_kernelINS0_14default_configENS1_27scan_by_key_config_selectorIxxEEZZNS1_16scan_by_key_implILNS1_25lookback_scan_determinismE0ELb1ES3_N6thrust23THRUST_200600_302600_NS6detail15normal_iteratorINS9_10device_ptrIxEEEESE_SE_xNS9_4plusIxEE19head_flag_predicatexEE10hipError_tPvRmT2_T3_T4_T5_mT6_T7_P12ihipStream_tbENKUlT_T0_E_clISt17integral_constantIbLb1EESX_IbLb0EEEEDaST_SU_EUlST_E_NS1_11comp_targetILNS1_3genE10ELNS1_11target_archE1201ELNS1_3gpuE5ELNS1_3repE0EEENS1_30default_config_static_selectorELNS0_4arch9wavefront6targetE0EEEvT1_.num_agpr, 0
	.set _ZN7rocprim17ROCPRIM_400000_NS6detail17trampoline_kernelINS0_14default_configENS1_27scan_by_key_config_selectorIxxEEZZNS1_16scan_by_key_implILNS1_25lookback_scan_determinismE0ELb1ES3_N6thrust23THRUST_200600_302600_NS6detail15normal_iteratorINS9_10device_ptrIxEEEESE_SE_xNS9_4plusIxEE19head_flag_predicatexEE10hipError_tPvRmT2_T3_T4_T5_mT6_T7_P12ihipStream_tbENKUlT_T0_E_clISt17integral_constantIbLb1EESX_IbLb0EEEEDaST_SU_EUlST_E_NS1_11comp_targetILNS1_3genE10ELNS1_11target_archE1201ELNS1_3gpuE5ELNS1_3repE0EEENS1_30default_config_static_selectorELNS0_4arch9wavefront6targetE0EEEvT1_.numbered_sgpr, 0
	.set _ZN7rocprim17ROCPRIM_400000_NS6detail17trampoline_kernelINS0_14default_configENS1_27scan_by_key_config_selectorIxxEEZZNS1_16scan_by_key_implILNS1_25lookback_scan_determinismE0ELb1ES3_N6thrust23THRUST_200600_302600_NS6detail15normal_iteratorINS9_10device_ptrIxEEEESE_SE_xNS9_4plusIxEE19head_flag_predicatexEE10hipError_tPvRmT2_T3_T4_T5_mT6_T7_P12ihipStream_tbENKUlT_T0_E_clISt17integral_constantIbLb1EESX_IbLb0EEEEDaST_SU_EUlST_E_NS1_11comp_targetILNS1_3genE10ELNS1_11target_archE1201ELNS1_3gpuE5ELNS1_3repE0EEENS1_30default_config_static_selectorELNS0_4arch9wavefront6targetE0EEEvT1_.num_named_barrier, 0
	.set _ZN7rocprim17ROCPRIM_400000_NS6detail17trampoline_kernelINS0_14default_configENS1_27scan_by_key_config_selectorIxxEEZZNS1_16scan_by_key_implILNS1_25lookback_scan_determinismE0ELb1ES3_N6thrust23THRUST_200600_302600_NS6detail15normal_iteratorINS9_10device_ptrIxEEEESE_SE_xNS9_4plusIxEE19head_flag_predicatexEE10hipError_tPvRmT2_T3_T4_T5_mT6_T7_P12ihipStream_tbENKUlT_T0_E_clISt17integral_constantIbLb1EESX_IbLb0EEEEDaST_SU_EUlST_E_NS1_11comp_targetILNS1_3genE10ELNS1_11target_archE1201ELNS1_3gpuE5ELNS1_3repE0EEENS1_30default_config_static_selectorELNS0_4arch9wavefront6targetE0EEEvT1_.private_seg_size, 0
	.set _ZN7rocprim17ROCPRIM_400000_NS6detail17trampoline_kernelINS0_14default_configENS1_27scan_by_key_config_selectorIxxEEZZNS1_16scan_by_key_implILNS1_25lookback_scan_determinismE0ELb1ES3_N6thrust23THRUST_200600_302600_NS6detail15normal_iteratorINS9_10device_ptrIxEEEESE_SE_xNS9_4plusIxEE19head_flag_predicatexEE10hipError_tPvRmT2_T3_T4_T5_mT6_T7_P12ihipStream_tbENKUlT_T0_E_clISt17integral_constantIbLb1EESX_IbLb0EEEEDaST_SU_EUlST_E_NS1_11comp_targetILNS1_3genE10ELNS1_11target_archE1201ELNS1_3gpuE5ELNS1_3repE0EEENS1_30default_config_static_selectorELNS0_4arch9wavefront6targetE0EEEvT1_.uses_vcc, 0
	.set _ZN7rocprim17ROCPRIM_400000_NS6detail17trampoline_kernelINS0_14default_configENS1_27scan_by_key_config_selectorIxxEEZZNS1_16scan_by_key_implILNS1_25lookback_scan_determinismE0ELb1ES3_N6thrust23THRUST_200600_302600_NS6detail15normal_iteratorINS9_10device_ptrIxEEEESE_SE_xNS9_4plusIxEE19head_flag_predicatexEE10hipError_tPvRmT2_T3_T4_T5_mT6_T7_P12ihipStream_tbENKUlT_T0_E_clISt17integral_constantIbLb1EESX_IbLb0EEEEDaST_SU_EUlST_E_NS1_11comp_targetILNS1_3genE10ELNS1_11target_archE1201ELNS1_3gpuE5ELNS1_3repE0EEENS1_30default_config_static_selectorELNS0_4arch9wavefront6targetE0EEEvT1_.uses_flat_scratch, 0
	.set _ZN7rocprim17ROCPRIM_400000_NS6detail17trampoline_kernelINS0_14default_configENS1_27scan_by_key_config_selectorIxxEEZZNS1_16scan_by_key_implILNS1_25lookback_scan_determinismE0ELb1ES3_N6thrust23THRUST_200600_302600_NS6detail15normal_iteratorINS9_10device_ptrIxEEEESE_SE_xNS9_4plusIxEE19head_flag_predicatexEE10hipError_tPvRmT2_T3_T4_T5_mT6_T7_P12ihipStream_tbENKUlT_T0_E_clISt17integral_constantIbLb1EESX_IbLb0EEEEDaST_SU_EUlST_E_NS1_11comp_targetILNS1_3genE10ELNS1_11target_archE1201ELNS1_3gpuE5ELNS1_3repE0EEENS1_30default_config_static_selectorELNS0_4arch9wavefront6targetE0EEEvT1_.has_dyn_sized_stack, 0
	.set _ZN7rocprim17ROCPRIM_400000_NS6detail17trampoline_kernelINS0_14default_configENS1_27scan_by_key_config_selectorIxxEEZZNS1_16scan_by_key_implILNS1_25lookback_scan_determinismE0ELb1ES3_N6thrust23THRUST_200600_302600_NS6detail15normal_iteratorINS9_10device_ptrIxEEEESE_SE_xNS9_4plusIxEE19head_flag_predicatexEE10hipError_tPvRmT2_T3_T4_T5_mT6_T7_P12ihipStream_tbENKUlT_T0_E_clISt17integral_constantIbLb1EESX_IbLb0EEEEDaST_SU_EUlST_E_NS1_11comp_targetILNS1_3genE10ELNS1_11target_archE1201ELNS1_3gpuE5ELNS1_3repE0EEENS1_30default_config_static_selectorELNS0_4arch9wavefront6targetE0EEEvT1_.has_recursion, 0
	.set _ZN7rocprim17ROCPRIM_400000_NS6detail17trampoline_kernelINS0_14default_configENS1_27scan_by_key_config_selectorIxxEEZZNS1_16scan_by_key_implILNS1_25lookback_scan_determinismE0ELb1ES3_N6thrust23THRUST_200600_302600_NS6detail15normal_iteratorINS9_10device_ptrIxEEEESE_SE_xNS9_4plusIxEE19head_flag_predicatexEE10hipError_tPvRmT2_T3_T4_T5_mT6_T7_P12ihipStream_tbENKUlT_T0_E_clISt17integral_constantIbLb1EESX_IbLb0EEEEDaST_SU_EUlST_E_NS1_11comp_targetILNS1_3genE10ELNS1_11target_archE1201ELNS1_3gpuE5ELNS1_3repE0EEENS1_30default_config_static_selectorELNS0_4arch9wavefront6targetE0EEEvT1_.has_indirect_call, 0
	.section	.AMDGPU.csdata,"",@progbits
; Kernel info:
; codeLenInByte = 0
; TotalNumSgprs: 0
; NumVgprs: 0
; ScratchSize: 0
; MemoryBound: 0
; FloatMode: 240
; IeeeMode: 1
; LDSByteSize: 0 bytes/workgroup (compile time only)
; SGPRBlocks: 0
; VGPRBlocks: 0
; NumSGPRsForWavesPerEU: 1
; NumVGPRsForWavesPerEU: 1
; Occupancy: 16
; WaveLimiterHint : 0
; COMPUTE_PGM_RSRC2:SCRATCH_EN: 0
; COMPUTE_PGM_RSRC2:USER_SGPR: 6
; COMPUTE_PGM_RSRC2:TRAP_HANDLER: 0
; COMPUTE_PGM_RSRC2:TGID_X_EN: 1
; COMPUTE_PGM_RSRC2:TGID_Y_EN: 0
; COMPUTE_PGM_RSRC2:TGID_Z_EN: 0
; COMPUTE_PGM_RSRC2:TIDIG_COMP_CNT: 0
	.section	.text._ZN7rocprim17ROCPRIM_400000_NS6detail17trampoline_kernelINS0_14default_configENS1_27scan_by_key_config_selectorIxxEEZZNS1_16scan_by_key_implILNS1_25lookback_scan_determinismE0ELb1ES3_N6thrust23THRUST_200600_302600_NS6detail15normal_iteratorINS9_10device_ptrIxEEEESE_SE_xNS9_4plusIxEE19head_flag_predicatexEE10hipError_tPvRmT2_T3_T4_T5_mT6_T7_P12ihipStream_tbENKUlT_T0_E_clISt17integral_constantIbLb1EESX_IbLb0EEEEDaST_SU_EUlST_E_NS1_11comp_targetILNS1_3genE5ELNS1_11target_archE942ELNS1_3gpuE9ELNS1_3repE0EEENS1_30default_config_static_selectorELNS0_4arch9wavefront6targetE0EEEvT1_,"axG",@progbits,_ZN7rocprim17ROCPRIM_400000_NS6detail17trampoline_kernelINS0_14default_configENS1_27scan_by_key_config_selectorIxxEEZZNS1_16scan_by_key_implILNS1_25lookback_scan_determinismE0ELb1ES3_N6thrust23THRUST_200600_302600_NS6detail15normal_iteratorINS9_10device_ptrIxEEEESE_SE_xNS9_4plusIxEE19head_flag_predicatexEE10hipError_tPvRmT2_T3_T4_T5_mT6_T7_P12ihipStream_tbENKUlT_T0_E_clISt17integral_constantIbLb1EESX_IbLb0EEEEDaST_SU_EUlST_E_NS1_11comp_targetILNS1_3genE5ELNS1_11target_archE942ELNS1_3gpuE9ELNS1_3repE0EEENS1_30default_config_static_selectorELNS0_4arch9wavefront6targetE0EEEvT1_,comdat
	.protected	_ZN7rocprim17ROCPRIM_400000_NS6detail17trampoline_kernelINS0_14default_configENS1_27scan_by_key_config_selectorIxxEEZZNS1_16scan_by_key_implILNS1_25lookback_scan_determinismE0ELb1ES3_N6thrust23THRUST_200600_302600_NS6detail15normal_iteratorINS9_10device_ptrIxEEEESE_SE_xNS9_4plusIxEE19head_flag_predicatexEE10hipError_tPvRmT2_T3_T4_T5_mT6_T7_P12ihipStream_tbENKUlT_T0_E_clISt17integral_constantIbLb1EESX_IbLb0EEEEDaST_SU_EUlST_E_NS1_11comp_targetILNS1_3genE5ELNS1_11target_archE942ELNS1_3gpuE9ELNS1_3repE0EEENS1_30default_config_static_selectorELNS0_4arch9wavefront6targetE0EEEvT1_ ; -- Begin function _ZN7rocprim17ROCPRIM_400000_NS6detail17trampoline_kernelINS0_14default_configENS1_27scan_by_key_config_selectorIxxEEZZNS1_16scan_by_key_implILNS1_25lookback_scan_determinismE0ELb1ES3_N6thrust23THRUST_200600_302600_NS6detail15normal_iteratorINS9_10device_ptrIxEEEESE_SE_xNS9_4plusIxEE19head_flag_predicatexEE10hipError_tPvRmT2_T3_T4_T5_mT6_T7_P12ihipStream_tbENKUlT_T0_E_clISt17integral_constantIbLb1EESX_IbLb0EEEEDaST_SU_EUlST_E_NS1_11comp_targetILNS1_3genE5ELNS1_11target_archE942ELNS1_3gpuE9ELNS1_3repE0EEENS1_30default_config_static_selectorELNS0_4arch9wavefront6targetE0EEEvT1_
	.globl	_ZN7rocprim17ROCPRIM_400000_NS6detail17trampoline_kernelINS0_14default_configENS1_27scan_by_key_config_selectorIxxEEZZNS1_16scan_by_key_implILNS1_25lookback_scan_determinismE0ELb1ES3_N6thrust23THRUST_200600_302600_NS6detail15normal_iteratorINS9_10device_ptrIxEEEESE_SE_xNS9_4plusIxEE19head_flag_predicatexEE10hipError_tPvRmT2_T3_T4_T5_mT6_T7_P12ihipStream_tbENKUlT_T0_E_clISt17integral_constantIbLb1EESX_IbLb0EEEEDaST_SU_EUlST_E_NS1_11comp_targetILNS1_3genE5ELNS1_11target_archE942ELNS1_3gpuE9ELNS1_3repE0EEENS1_30default_config_static_selectorELNS0_4arch9wavefront6targetE0EEEvT1_
	.p2align	8
	.type	_ZN7rocprim17ROCPRIM_400000_NS6detail17trampoline_kernelINS0_14default_configENS1_27scan_by_key_config_selectorIxxEEZZNS1_16scan_by_key_implILNS1_25lookback_scan_determinismE0ELb1ES3_N6thrust23THRUST_200600_302600_NS6detail15normal_iteratorINS9_10device_ptrIxEEEESE_SE_xNS9_4plusIxEE19head_flag_predicatexEE10hipError_tPvRmT2_T3_T4_T5_mT6_T7_P12ihipStream_tbENKUlT_T0_E_clISt17integral_constantIbLb1EESX_IbLb0EEEEDaST_SU_EUlST_E_NS1_11comp_targetILNS1_3genE5ELNS1_11target_archE942ELNS1_3gpuE9ELNS1_3repE0EEENS1_30default_config_static_selectorELNS0_4arch9wavefront6targetE0EEEvT1_,@function
_ZN7rocprim17ROCPRIM_400000_NS6detail17trampoline_kernelINS0_14default_configENS1_27scan_by_key_config_selectorIxxEEZZNS1_16scan_by_key_implILNS1_25lookback_scan_determinismE0ELb1ES3_N6thrust23THRUST_200600_302600_NS6detail15normal_iteratorINS9_10device_ptrIxEEEESE_SE_xNS9_4plusIxEE19head_flag_predicatexEE10hipError_tPvRmT2_T3_T4_T5_mT6_T7_P12ihipStream_tbENKUlT_T0_E_clISt17integral_constantIbLb1EESX_IbLb0EEEEDaST_SU_EUlST_E_NS1_11comp_targetILNS1_3genE5ELNS1_11target_archE942ELNS1_3gpuE9ELNS1_3repE0EEENS1_30default_config_static_selectorELNS0_4arch9wavefront6targetE0EEEvT1_: ; @_ZN7rocprim17ROCPRIM_400000_NS6detail17trampoline_kernelINS0_14default_configENS1_27scan_by_key_config_selectorIxxEEZZNS1_16scan_by_key_implILNS1_25lookback_scan_determinismE0ELb1ES3_N6thrust23THRUST_200600_302600_NS6detail15normal_iteratorINS9_10device_ptrIxEEEESE_SE_xNS9_4plusIxEE19head_flag_predicatexEE10hipError_tPvRmT2_T3_T4_T5_mT6_T7_P12ihipStream_tbENKUlT_T0_E_clISt17integral_constantIbLb1EESX_IbLb0EEEEDaST_SU_EUlST_E_NS1_11comp_targetILNS1_3genE5ELNS1_11target_archE942ELNS1_3gpuE9ELNS1_3repE0EEENS1_30default_config_static_selectorELNS0_4arch9wavefront6targetE0EEEvT1_
; %bb.0:
	.section	.rodata,"a",@progbits
	.p2align	6, 0x0
	.amdhsa_kernel _ZN7rocprim17ROCPRIM_400000_NS6detail17trampoline_kernelINS0_14default_configENS1_27scan_by_key_config_selectorIxxEEZZNS1_16scan_by_key_implILNS1_25lookback_scan_determinismE0ELb1ES3_N6thrust23THRUST_200600_302600_NS6detail15normal_iteratorINS9_10device_ptrIxEEEESE_SE_xNS9_4plusIxEE19head_flag_predicatexEE10hipError_tPvRmT2_T3_T4_T5_mT6_T7_P12ihipStream_tbENKUlT_T0_E_clISt17integral_constantIbLb1EESX_IbLb0EEEEDaST_SU_EUlST_E_NS1_11comp_targetILNS1_3genE5ELNS1_11target_archE942ELNS1_3gpuE9ELNS1_3repE0EEENS1_30default_config_static_selectorELNS0_4arch9wavefront6targetE0EEEvT1_
		.amdhsa_group_segment_fixed_size 0
		.amdhsa_private_segment_fixed_size 0
		.amdhsa_kernarg_size 136
		.amdhsa_user_sgpr_count 6
		.amdhsa_user_sgpr_private_segment_buffer 1
		.amdhsa_user_sgpr_dispatch_ptr 0
		.amdhsa_user_sgpr_queue_ptr 0
		.amdhsa_user_sgpr_kernarg_segment_ptr 1
		.amdhsa_user_sgpr_dispatch_id 0
		.amdhsa_user_sgpr_flat_scratch_init 0
		.amdhsa_user_sgpr_private_segment_size 0
		.amdhsa_wavefront_size32 1
		.amdhsa_uses_dynamic_stack 0
		.amdhsa_system_sgpr_private_segment_wavefront_offset 0
		.amdhsa_system_sgpr_workgroup_id_x 1
		.amdhsa_system_sgpr_workgroup_id_y 0
		.amdhsa_system_sgpr_workgroup_id_z 0
		.amdhsa_system_sgpr_workgroup_info 0
		.amdhsa_system_vgpr_workitem_id 0
		.amdhsa_next_free_vgpr 1
		.amdhsa_next_free_sgpr 1
		.amdhsa_reserve_vcc 0
		.amdhsa_reserve_flat_scratch 0
		.amdhsa_float_round_mode_32 0
		.amdhsa_float_round_mode_16_64 0
		.amdhsa_float_denorm_mode_32 3
		.amdhsa_float_denorm_mode_16_64 3
		.amdhsa_dx10_clamp 1
		.amdhsa_ieee_mode 1
		.amdhsa_fp16_overflow 0
		.amdhsa_workgroup_processor_mode 1
		.amdhsa_memory_ordered 1
		.amdhsa_forward_progress 1
		.amdhsa_shared_vgpr_count 0
		.amdhsa_exception_fp_ieee_invalid_op 0
		.amdhsa_exception_fp_denorm_src 0
		.amdhsa_exception_fp_ieee_div_zero 0
		.amdhsa_exception_fp_ieee_overflow 0
		.amdhsa_exception_fp_ieee_underflow 0
		.amdhsa_exception_fp_ieee_inexact 0
		.amdhsa_exception_int_div_zero 0
	.end_amdhsa_kernel
	.section	.text._ZN7rocprim17ROCPRIM_400000_NS6detail17trampoline_kernelINS0_14default_configENS1_27scan_by_key_config_selectorIxxEEZZNS1_16scan_by_key_implILNS1_25lookback_scan_determinismE0ELb1ES3_N6thrust23THRUST_200600_302600_NS6detail15normal_iteratorINS9_10device_ptrIxEEEESE_SE_xNS9_4plusIxEE19head_flag_predicatexEE10hipError_tPvRmT2_T3_T4_T5_mT6_T7_P12ihipStream_tbENKUlT_T0_E_clISt17integral_constantIbLb1EESX_IbLb0EEEEDaST_SU_EUlST_E_NS1_11comp_targetILNS1_3genE5ELNS1_11target_archE942ELNS1_3gpuE9ELNS1_3repE0EEENS1_30default_config_static_selectorELNS0_4arch9wavefront6targetE0EEEvT1_,"axG",@progbits,_ZN7rocprim17ROCPRIM_400000_NS6detail17trampoline_kernelINS0_14default_configENS1_27scan_by_key_config_selectorIxxEEZZNS1_16scan_by_key_implILNS1_25lookback_scan_determinismE0ELb1ES3_N6thrust23THRUST_200600_302600_NS6detail15normal_iteratorINS9_10device_ptrIxEEEESE_SE_xNS9_4plusIxEE19head_flag_predicatexEE10hipError_tPvRmT2_T3_T4_T5_mT6_T7_P12ihipStream_tbENKUlT_T0_E_clISt17integral_constantIbLb1EESX_IbLb0EEEEDaST_SU_EUlST_E_NS1_11comp_targetILNS1_3genE5ELNS1_11target_archE942ELNS1_3gpuE9ELNS1_3repE0EEENS1_30default_config_static_selectorELNS0_4arch9wavefront6targetE0EEEvT1_,comdat
.Lfunc_end733:
	.size	_ZN7rocprim17ROCPRIM_400000_NS6detail17trampoline_kernelINS0_14default_configENS1_27scan_by_key_config_selectorIxxEEZZNS1_16scan_by_key_implILNS1_25lookback_scan_determinismE0ELb1ES3_N6thrust23THRUST_200600_302600_NS6detail15normal_iteratorINS9_10device_ptrIxEEEESE_SE_xNS9_4plusIxEE19head_flag_predicatexEE10hipError_tPvRmT2_T3_T4_T5_mT6_T7_P12ihipStream_tbENKUlT_T0_E_clISt17integral_constantIbLb1EESX_IbLb0EEEEDaST_SU_EUlST_E_NS1_11comp_targetILNS1_3genE5ELNS1_11target_archE942ELNS1_3gpuE9ELNS1_3repE0EEENS1_30default_config_static_selectorELNS0_4arch9wavefront6targetE0EEEvT1_, .Lfunc_end733-_ZN7rocprim17ROCPRIM_400000_NS6detail17trampoline_kernelINS0_14default_configENS1_27scan_by_key_config_selectorIxxEEZZNS1_16scan_by_key_implILNS1_25lookback_scan_determinismE0ELb1ES3_N6thrust23THRUST_200600_302600_NS6detail15normal_iteratorINS9_10device_ptrIxEEEESE_SE_xNS9_4plusIxEE19head_flag_predicatexEE10hipError_tPvRmT2_T3_T4_T5_mT6_T7_P12ihipStream_tbENKUlT_T0_E_clISt17integral_constantIbLb1EESX_IbLb0EEEEDaST_SU_EUlST_E_NS1_11comp_targetILNS1_3genE5ELNS1_11target_archE942ELNS1_3gpuE9ELNS1_3repE0EEENS1_30default_config_static_selectorELNS0_4arch9wavefront6targetE0EEEvT1_
                                        ; -- End function
	.set _ZN7rocprim17ROCPRIM_400000_NS6detail17trampoline_kernelINS0_14default_configENS1_27scan_by_key_config_selectorIxxEEZZNS1_16scan_by_key_implILNS1_25lookback_scan_determinismE0ELb1ES3_N6thrust23THRUST_200600_302600_NS6detail15normal_iteratorINS9_10device_ptrIxEEEESE_SE_xNS9_4plusIxEE19head_flag_predicatexEE10hipError_tPvRmT2_T3_T4_T5_mT6_T7_P12ihipStream_tbENKUlT_T0_E_clISt17integral_constantIbLb1EESX_IbLb0EEEEDaST_SU_EUlST_E_NS1_11comp_targetILNS1_3genE5ELNS1_11target_archE942ELNS1_3gpuE9ELNS1_3repE0EEENS1_30default_config_static_selectorELNS0_4arch9wavefront6targetE0EEEvT1_.num_vgpr, 0
	.set _ZN7rocprim17ROCPRIM_400000_NS6detail17trampoline_kernelINS0_14default_configENS1_27scan_by_key_config_selectorIxxEEZZNS1_16scan_by_key_implILNS1_25lookback_scan_determinismE0ELb1ES3_N6thrust23THRUST_200600_302600_NS6detail15normal_iteratorINS9_10device_ptrIxEEEESE_SE_xNS9_4plusIxEE19head_flag_predicatexEE10hipError_tPvRmT2_T3_T4_T5_mT6_T7_P12ihipStream_tbENKUlT_T0_E_clISt17integral_constantIbLb1EESX_IbLb0EEEEDaST_SU_EUlST_E_NS1_11comp_targetILNS1_3genE5ELNS1_11target_archE942ELNS1_3gpuE9ELNS1_3repE0EEENS1_30default_config_static_selectorELNS0_4arch9wavefront6targetE0EEEvT1_.num_agpr, 0
	.set _ZN7rocprim17ROCPRIM_400000_NS6detail17trampoline_kernelINS0_14default_configENS1_27scan_by_key_config_selectorIxxEEZZNS1_16scan_by_key_implILNS1_25lookback_scan_determinismE0ELb1ES3_N6thrust23THRUST_200600_302600_NS6detail15normal_iteratorINS9_10device_ptrIxEEEESE_SE_xNS9_4plusIxEE19head_flag_predicatexEE10hipError_tPvRmT2_T3_T4_T5_mT6_T7_P12ihipStream_tbENKUlT_T0_E_clISt17integral_constantIbLb1EESX_IbLb0EEEEDaST_SU_EUlST_E_NS1_11comp_targetILNS1_3genE5ELNS1_11target_archE942ELNS1_3gpuE9ELNS1_3repE0EEENS1_30default_config_static_selectorELNS0_4arch9wavefront6targetE0EEEvT1_.numbered_sgpr, 0
	.set _ZN7rocprim17ROCPRIM_400000_NS6detail17trampoline_kernelINS0_14default_configENS1_27scan_by_key_config_selectorIxxEEZZNS1_16scan_by_key_implILNS1_25lookback_scan_determinismE0ELb1ES3_N6thrust23THRUST_200600_302600_NS6detail15normal_iteratorINS9_10device_ptrIxEEEESE_SE_xNS9_4plusIxEE19head_flag_predicatexEE10hipError_tPvRmT2_T3_T4_T5_mT6_T7_P12ihipStream_tbENKUlT_T0_E_clISt17integral_constantIbLb1EESX_IbLb0EEEEDaST_SU_EUlST_E_NS1_11comp_targetILNS1_3genE5ELNS1_11target_archE942ELNS1_3gpuE9ELNS1_3repE0EEENS1_30default_config_static_selectorELNS0_4arch9wavefront6targetE0EEEvT1_.num_named_barrier, 0
	.set _ZN7rocprim17ROCPRIM_400000_NS6detail17trampoline_kernelINS0_14default_configENS1_27scan_by_key_config_selectorIxxEEZZNS1_16scan_by_key_implILNS1_25lookback_scan_determinismE0ELb1ES3_N6thrust23THRUST_200600_302600_NS6detail15normal_iteratorINS9_10device_ptrIxEEEESE_SE_xNS9_4plusIxEE19head_flag_predicatexEE10hipError_tPvRmT2_T3_T4_T5_mT6_T7_P12ihipStream_tbENKUlT_T0_E_clISt17integral_constantIbLb1EESX_IbLb0EEEEDaST_SU_EUlST_E_NS1_11comp_targetILNS1_3genE5ELNS1_11target_archE942ELNS1_3gpuE9ELNS1_3repE0EEENS1_30default_config_static_selectorELNS0_4arch9wavefront6targetE0EEEvT1_.private_seg_size, 0
	.set _ZN7rocprim17ROCPRIM_400000_NS6detail17trampoline_kernelINS0_14default_configENS1_27scan_by_key_config_selectorIxxEEZZNS1_16scan_by_key_implILNS1_25lookback_scan_determinismE0ELb1ES3_N6thrust23THRUST_200600_302600_NS6detail15normal_iteratorINS9_10device_ptrIxEEEESE_SE_xNS9_4plusIxEE19head_flag_predicatexEE10hipError_tPvRmT2_T3_T4_T5_mT6_T7_P12ihipStream_tbENKUlT_T0_E_clISt17integral_constantIbLb1EESX_IbLb0EEEEDaST_SU_EUlST_E_NS1_11comp_targetILNS1_3genE5ELNS1_11target_archE942ELNS1_3gpuE9ELNS1_3repE0EEENS1_30default_config_static_selectorELNS0_4arch9wavefront6targetE0EEEvT1_.uses_vcc, 0
	.set _ZN7rocprim17ROCPRIM_400000_NS6detail17trampoline_kernelINS0_14default_configENS1_27scan_by_key_config_selectorIxxEEZZNS1_16scan_by_key_implILNS1_25lookback_scan_determinismE0ELb1ES3_N6thrust23THRUST_200600_302600_NS6detail15normal_iteratorINS9_10device_ptrIxEEEESE_SE_xNS9_4plusIxEE19head_flag_predicatexEE10hipError_tPvRmT2_T3_T4_T5_mT6_T7_P12ihipStream_tbENKUlT_T0_E_clISt17integral_constantIbLb1EESX_IbLb0EEEEDaST_SU_EUlST_E_NS1_11comp_targetILNS1_3genE5ELNS1_11target_archE942ELNS1_3gpuE9ELNS1_3repE0EEENS1_30default_config_static_selectorELNS0_4arch9wavefront6targetE0EEEvT1_.uses_flat_scratch, 0
	.set _ZN7rocprim17ROCPRIM_400000_NS6detail17trampoline_kernelINS0_14default_configENS1_27scan_by_key_config_selectorIxxEEZZNS1_16scan_by_key_implILNS1_25lookback_scan_determinismE0ELb1ES3_N6thrust23THRUST_200600_302600_NS6detail15normal_iteratorINS9_10device_ptrIxEEEESE_SE_xNS9_4plusIxEE19head_flag_predicatexEE10hipError_tPvRmT2_T3_T4_T5_mT6_T7_P12ihipStream_tbENKUlT_T0_E_clISt17integral_constantIbLb1EESX_IbLb0EEEEDaST_SU_EUlST_E_NS1_11comp_targetILNS1_3genE5ELNS1_11target_archE942ELNS1_3gpuE9ELNS1_3repE0EEENS1_30default_config_static_selectorELNS0_4arch9wavefront6targetE0EEEvT1_.has_dyn_sized_stack, 0
	.set _ZN7rocprim17ROCPRIM_400000_NS6detail17trampoline_kernelINS0_14default_configENS1_27scan_by_key_config_selectorIxxEEZZNS1_16scan_by_key_implILNS1_25lookback_scan_determinismE0ELb1ES3_N6thrust23THRUST_200600_302600_NS6detail15normal_iteratorINS9_10device_ptrIxEEEESE_SE_xNS9_4plusIxEE19head_flag_predicatexEE10hipError_tPvRmT2_T3_T4_T5_mT6_T7_P12ihipStream_tbENKUlT_T0_E_clISt17integral_constantIbLb1EESX_IbLb0EEEEDaST_SU_EUlST_E_NS1_11comp_targetILNS1_3genE5ELNS1_11target_archE942ELNS1_3gpuE9ELNS1_3repE0EEENS1_30default_config_static_selectorELNS0_4arch9wavefront6targetE0EEEvT1_.has_recursion, 0
	.set _ZN7rocprim17ROCPRIM_400000_NS6detail17trampoline_kernelINS0_14default_configENS1_27scan_by_key_config_selectorIxxEEZZNS1_16scan_by_key_implILNS1_25lookback_scan_determinismE0ELb1ES3_N6thrust23THRUST_200600_302600_NS6detail15normal_iteratorINS9_10device_ptrIxEEEESE_SE_xNS9_4plusIxEE19head_flag_predicatexEE10hipError_tPvRmT2_T3_T4_T5_mT6_T7_P12ihipStream_tbENKUlT_T0_E_clISt17integral_constantIbLb1EESX_IbLb0EEEEDaST_SU_EUlST_E_NS1_11comp_targetILNS1_3genE5ELNS1_11target_archE942ELNS1_3gpuE9ELNS1_3repE0EEENS1_30default_config_static_selectorELNS0_4arch9wavefront6targetE0EEEvT1_.has_indirect_call, 0
	.section	.AMDGPU.csdata,"",@progbits
; Kernel info:
; codeLenInByte = 0
; TotalNumSgprs: 0
; NumVgprs: 0
; ScratchSize: 0
; MemoryBound: 0
; FloatMode: 240
; IeeeMode: 1
; LDSByteSize: 0 bytes/workgroup (compile time only)
; SGPRBlocks: 0
; VGPRBlocks: 0
; NumSGPRsForWavesPerEU: 1
; NumVGPRsForWavesPerEU: 1
; Occupancy: 16
; WaveLimiterHint : 0
; COMPUTE_PGM_RSRC2:SCRATCH_EN: 0
; COMPUTE_PGM_RSRC2:USER_SGPR: 6
; COMPUTE_PGM_RSRC2:TRAP_HANDLER: 0
; COMPUTE_PGM_RSRC2:TGID_X_EN: 1
; COMPUTE_PGM_RSRC2:TGID_Y_EN: 0
; COMPUTE_PGM_RSRC2:TGID_Z_EN: 0
; COMPUTE_PGM_RSRC2:TIDIG_COMP_CNT: 0
	.section	.text._ZN7rocprim17ROCPRIM_400000_NS6detail17trampoline_kernelINS0_14default_configENS1_27scan_by_key_config_selectorIxxEEZZNS1_16scan_by_key_implILNS1_25lookback_scan_determinismE0ELb1ES3_N6thrust23THRUST_200600_302600_NS6detail15normal_iteratorINS9_10device_ptrIxEEEESE_SE_xNS9_4plusIxEE19head_flag_predicatexEE10hipError_tPvRmT2_T3_T4_T5_mT6_T7_P12ihipStream_tbENKUlT_T0_E_clISt17integral_constantIbLb1EESX_IbLb0EEEEDaST_SU_EUlST_E_NS1_11comp_targetILNS1_3genE4ELNS1_11target_archE910ELNS1_3gpuE8ELNS1_3repE0EEENS1_30default_config_static_selectorELNS0_4arch9wavefront6targetE0EEEvT1_,"axG",@progbits,_ZN7rocprim17ROCPRIM_400000_NS6detail17trampoline_kernelINS0_14default_configENS1_27scan_by_key_config_selectorIxxEEZZNS1_16scan_by_key_implILNS1_25lookback_scan_determinismE0ELb1ES3_N6thrust23THRUST_200600_302600_NS6detail15normal_iteratorINS9_10device_ptrIxEEEESE_SE_xNS9_4plusIxEE19head_flag_predicatexEE10hipError_tPvRmT2_T3_T4_T5_mT6_T7_P12ihipStream_tbENKUlT_T0_E_clISt17integral_constantIbLb1EESX_IbLb0EEEEDaST_SU_EUlST_E_NS1_11comp_targetILNS1_3genE4ELNS1_11target_archE910ELNS1_3gpuE8ELNS1_3repE0EEENS1_30default_config_static_selectorELNS0_4arch9wavefront6targetE0EEEvT1_,comdat
	.protected	_ZN7rocprim17ROCPRIM_400000_NS6detail17trampoline_kernelINS0_14default_configENS1_27scan_by_key_config_selectorIxxEEZZNS1_16scan_by_key_implILNS1_25lookback_scan_determinismE0ELb1ES3_N6thrust23THRUST_200600_302600_NS6detail15normal_iteratorINS9_10device_ptrIxEEEESE_SE_xNS9_4plusIxEE19head_flag_predicatexEE10hipError_tPvRmT2_T3_T4_T5_mT6_T7_P12ihipStream_tbENKUlT_T0_E_clISt17integral_constantIbLb1EESX_IbLb0EEEEDaST_SU_EUlST_E_NS1_11comp_targetILNS1_3genE4ELNS1_11target_archE910ELNS1_3gpuE8ELNS1_3repE0EEENS1_30default_config_static_selectorELNS0_4arch9wavefront6targetE0EEEvT1_ ; -- Begin function _ZN7rocprim17ROCPRIM_400000_NS6detail17trampoline_kernelINS0_14default_configENS1_27scan_by_key_config_selectorIxxEEZZNS1_16scan_by_key_implILNS1_25lookback_scan_determinismE0ELb1ES3_N6thrust23THRUST_200600_302600_NS6detail15normal_iteratorINS9_10device_ptrIxEEEESE_SE_xNS9_4plusIxEE19head_flag_predicatexEE10hipError_tPvRmT2_T3_T4_T5_mT6_T7_P12ihipStream_tbENKUlT_T0_E_clISt17integral_constantIbLb1EESX_IbLb0EEEEDaST_SU_EUlST_E_NS1_11comp_targetILNS1_3genE4ELNS1_11target_archE910ELNS1_3gpuE8ELNS1_3repE0EEENS1_30default_config_static_selectorELNS0_4arch9wavefront6targetE0EEEvT1_
	.globl	_ZN7rocprim17ROCPRIM_400000_NS6detail17trampoline_kernelINS0_14default_configENS1_27scan_by_key_config_selectorIxxEEZZNS1_16scan_by_key_implILNS1_25lookback_scan_determinismE0ELb1ES3_N6thrust23THRUST_200600_302600_NS6detail15normal_iteratorINS9_10device_ptrIxEEEESE_SE_xNS9_4plusIxEE19head_flag_predicatexEE10hipError_tPvRmT2_T3_T4_T5_mT6_T7_P12ihipStream_tbENKUlT_T0_E_clISt17integral_constantIbLb1EESX_IbLb0EEEEDaST_SU_EUlST_E_NS1_11comp_targetILNS1_3genE4ELNS1_11target_archE910ELNS1_3gpuE8ELNS1_3repE0EEENS1_30default_config_static_selectorELNS0_4arch9wavefront6targetE0EEEvT1_
	.p2align	8
	.type	_ZN7rocprim17ROCPRIM_400000_NS6detail17trampoline_kernelINS0_14default_configENS1_27scan_by_key_config_selectorIxxEEZZNS1_16scan_by_key_implILNS1_25lookback_scan_determinismE0ELb1ES3_N6thrust23THRUST_200600_302600_NS6detail15normal_iteratorINS9_10device_ptrIxEEEESE_SE_xNS9_4plusIxEE19head_flag_predicatexEE10hipError_tPvRmT2_T3_T4_T5_mT6_T7_P12ihipStream_tbENKUlT_T0_E_clISt17integral_constantIbLb1EESX_IbLb0EEEEDaST_SU_EUlST_E_NS1_11comp_targetILNS1_3genE4ELNS1_11target_archE910ELNS1_3gpuE8ELNS1_3repE0EEENS1_30default_config_static_selectorELNS0_4arch9wavefront6targetE0EEEvT1_,@function
_ZN7rocprim17ROCPRIM_400000_NS6detail17trampoline_kernelINS0_14default_configENS1_27scan_by_key_config_selectorIxxEEZZNS1_16scan_by_key_implILNS1_25lookback_scan_determinismE0ELb1ES3_N6thrust23THRUST_200600_302600_NS6detail15normal_iteratorINS9_10device_ptrIxEEEESE_SE_xNS9_4plusIxEE19head_flag_predicatexEE10hipError_tPvRmT2_T3_T4_T5_mT6_T7_P12ihipStream_tbENKUlT_T0_E_clISt17integral_constantIbLb1EESX_IbLb0EEEEDaST_SU_EUlST_E_NS1_11comp_targetILNS1_3genE4ELNS1_11target_archE910ELNS1_3gpuE8ELNS1_3repE0EEENS1_30default_config_static_selectorELNS0_4arch9wavefront6targetE0EEEvT1_: ; @_ZN7rocprim17ROCPRIM_400000_NS6detail17trampoline_kernelINS0_14default_configENS1_27scan_by_key_config_selectorIxxEEZZNS1_16scan_by_key_implILNS1_25lookback_scan_determinismE0ELb1ES3_N6thrust23THRUST_200600_302600_NS6detail15normal_iteratorINS9_10device_ptrIxEEEESE_SE_xNS9_4plusIxEE19head_flag_predicatexEE10hipError_tPvRmT2_T3_T4_T5_mT6_T7_P12ihipStream_tbENKUlT_T0_E_clISt17integral_constantIbLb1EESX_IbLb0EEEEDaST_SU_EUlST_E_NS1_11comp_targetILNS1_3genE4ELNS1_11target_archE910ELNS1_3gpuE8ELNS1_3repE0EEENS1_30default_config_static_selectorELNS0_4arch9wavefront6targetE0EEEvT1_
; %bb.0:
	.section	.rodata,"a",@progbits
	.p2align	6, 0x0
	.amdhsa_kernel _ZN7rocprim17ROCPRIM_400000_NS6detail17trampoline_kernelINS0_14default_configENS1_27scan_by_key_config_selectorIxxEEZZNS1_16scan_by_key_implILNS1_25lookback_scan_determinismE0ELb1ES3_N6thrust23THRUST_200600_302600_NS6detail15normal_iteratorINS9_10device_ptrIxEEEESE_SE_xNS9_4plusIxEE19head_flag_predicatexEE10hipError_tPvRmT2_T3_T4_T5_mT6_T7_P12ihipStream_tbENKUlT_T0_E_clISt17integral_constantIbLb1EESX_IbLb0EEEEDaST_SU_EUlST_E_NS1_11comp_targetILNS1_3genE4ELNS1_11target_archE910ELNS1_3gpuE8ELNS1_3repE0EEENS1_30default_config_static_selectorELNS0_4arch9wavefront6targetE0EEEvT1_
		.amdhsa_group_segment_fixed_size 0
		.amdhsa_private_segment_fixed_size 0
		.amdhsa_kernarg_size 136
		.amdhsa_user_sgpr_count 6
		.amdhsa_user_sgpr_private_segment_buffer 1
		.amdhsa_user_sgpr_dispatch_ptr 0
		.amdhsa_user_sgpr_queue_ptr 0
		.amdhsa_user_sgpr_kernarg_segment_ptr 1
		.amdhsa_user_sgpr_dispatch_id 0
		.amdhsa_user_sgpr_flat_scratch_init 0
		.amdhsa_user_sgpr_private_segment_size 0
		.amdhsa_wavefront_size32 1
		.amdhsa_uses_dynamic_stack 0
		.amdhsa_system_sgpr_private_segment_wavefront_offset 0
		.amdhsa_system_sgpr_workgroup_id_x 1
		.amdhsa_system_sgpr_workgroup_id_y 0
		.amdhsa_system_sgpr_workgroup_id_z 0
		.amdhsa_system_sgpr_workgroup_info 0
		.amdhsa_system_vgpr_workitem_id 0
		.amdhsa_next_free_vgpr 1
		.amdhsa_next_free_sgpr 1
		.amdhsa_reserve_vcc 0
		.amdhsa_reserve_flat_scratch 0
		.amdhsa_float_round_mode_32 0
		.amdhsa_float_round_mode_16_64 0
		.amdhsa_float_denorm_mode_32 3
		.amdhsa_float_denorm_mode_16_64 3
		.amdhsa_dx10_clamp 1
		.amdhsa_ieee_mode 1
		.amdhsa_fp16_overflow 0
		.amdhsa_workgroup_processor_mode 1
		.amdhsa_memory_ordered 1
		.amdhsa_forward_progress 1
		.amdhsa_shared_vgpr_count 0
		.amdhsa_exception_fp_ieee_invalid_op 0
		.amdhsa_exception_fp_denorm_src 0
		.amdhsa_exception_fp_ieee_div_zero 0
		.amdhsa_exception_fp_ieee_overflow 0
		.amdhsa_exception_fp_ieee_underflow 0
		.amdhsa_exception_fp_ieee_inexact 0
		.amdhsa_exception_int_div_zero 0
	.end_amdhsa_kernel
	.section	.text._ZN7rocprim17ROCPRIM_400000_NS6detail17trampoline_kernelINS0_14default_configENS1_27scan_by_key_config_selectorIxxEEZZNS1_16scan_by_key_implILNS1_25lookback_scan_determinismE0ELb1ES3_N6thrust23THRUST_200600_302600_NS6detail15normal_iteratorINS9_10device_ptrIxEEEESE_SE_xNS9_4plusIxEE19head_flag_predicatexEE10hipError_tPvRmT2_T3_T4_T5_mT6_T7_P12ihipStream_tbENKUlT_T0_E_clISt17integral_constantIbLb1EESX_IbLb0EEEEDaST_SU_EUlST_E_NS1_11comp_targetILNS1_3genE4ELNS1_11target_archE910ELNS1_3gpuE8ELNS1_3repE0EEENS1_30default_config_static_selectorELNS0_4arch9wavefront6targetE0EEEvT1_,"axG",@progbits,_ZN7rocprim17ROCPRIM_400000_NS6detail17trampoline_kernelINS0_14default_configENS1_27scan_by_key_config_selectorIxxEEZZNS1_16scan_by_key_implILNS1_25lookback_scan_determinismE0ELb1ES3_N6thrust23THRUST_200600_302600_NS6detail15normal_iteratorINS9_10device_ptrIxEEEESE_SE_xNS9_4plusIxEE19head_flag_predicatexEE10hipError_tPvRmT2_T3_T4_T5_mT6_T7_P12ihipStream_tbENKUlT_T0_E_clISt17integral_constantIbLb1EESX_IbLb0EEEEDaST_SU_EUlST_E_NS1_11comp_targetILNS1_3genE4ELNS1_11target_archE910ELNS1_3gpuE8ELNS1_3repE0EEENS1_30default_config_static_selectorELNS0_4arch9wavefront6targetE0EEEvT1_,comdat
.Lfunc_end734:
	.size	_ZN7rocprim17ROCPRIM_400000_NS6detail17trampoline_kernelINS0_14default_configENS1_27scan_by_key_config_selectorIxxEEZZNS1_16scan_by_key_implILNS1_25lookback_scan_determinismE0ELb1ES3_N6thrust23THRUST_200600_302600_NS6detail15normal_iteratorINS9_10device_ptrIxEEEESE_SE_xNS9_4plusIxEE19head_flag_predicatexEE10hipError_tPvRmT2_T3_T4_T5_mT6_T7_P12ihipStream_tbENKUlT_T0_E_clISt17integral_constantIbLb1EESX_IbLb0EEEEDaST_SU_EUlST_E_NS1_11comp_targetILNS1_3genE4ELNS1_11target_archE910ELNS1_3gpuE8ELNS1_3repE0EEENS1_30default_config_static_selectorELNS0_4arch9wavefront6targetE0EEEvT1_, .Lfunc_end734-_ZN7rocprim17ROCPRIM_400000_NS6detail17trampoline_kernelINS0_14default_configENS1_27scan_by_key_config_selectorIxxEEZZNS1_16scan_by_key_implILNS1_25lookback_scan_determinismE0ELb1ES3_N6thrust23THRUST_200600_302600_NS6detail15normal_iteratorINS9_10device_ptrIxEEEESE_SE_xNS9_4plusIxEE19head_flag_predicatexEE10hipError_tPvRmT2_T3_T4_T5_mT6_T7_P12ihipStream_tbENKUlT_T0_E_clISt17integral_constantIbLb1EESX_IbLb0EEEEDaST_SU_EUlST_E_NS1_11comp_targetILNS1_3genE4ELNS1_11target_archE910ELNS1_3gpuE8ELNS1_3repE0EEENS1_30default_config_static_selectorELNS0_4arch9wavefront6targetE0EEEvT1_
                                        ; -- End function
	.set _ZN7rocprim17ROCPRIM_400000_NS6detail17trampoline_kernelINS0_14default_configENS1_27scan_by_key_config_selectorIxxEEZZNS1_16scan_by_key_implILNS1_25lookback_scan_determinismE0ELb1ES3_N6thrust23THRUST_200600_302600_NS6detail15normal_iteratorINS9_10device_ptrIxEEEESE_SE_xNS9_4plusIxEE19head_flag_predicatexEE10hipError_tPvRmT2_T3_T4_T5_mT6_T7_P12ihipStream_tbENKUlT_T0_E_clISt17integral_constantIbLb1EESX_IbLb0EEEEDaST_SU_EUlST_E_NS1_11comp_targetILNS1_3genE4ELNS1_11target_archE910ELNS1_3gpuE8ELNS1_3repE0EEENS1_30default_config_static_selectorELNS0_4arch9wavefront6targetE0EEEvT1_.num_vgpr, 0
	.set _ZN7rocprim17ROCPRIM_400000_NS6detail17trampoline_kernelINS0_14default_configENS1_27scan_by_key_config_selectorIxxEEZZNS1_16scan_by_key_implILNS1_25lookback_scan_determinismE0ELb1ES3_N6thrust23THRUST_200600_302600_NS6detail15normal_iteratorINS9_10device_ptrIxEEEESE_SE_xNS9_4plusIxEE19head_flag_predicatexEE10hipError_tPvRmT2_T3_T4_T5_mT6_T7_P12ihipStream_tbENKUlT_T0_E_clISt17integral_constantIbLb1EESX_IbLb0EEEEDaST_SU_EUlST_E_NS1_11comp_targetILNS1_3genE4ELNS1_11target_archE910ELNS1_3gpuE8ELNS1_3repE0EEENS1_30default_config_static_selectorELNS0_4arch9wavefront6targetE0EEEvT1_.num_agpr, 0
	.set _ZN7rocprim17ROCPRIM_400000_NS6detail17trampoline_kernelINS0_14default_configENS1_27scan_by_key_config_selectorIxxEEZZNS1_16scan_by_key_implILNS1_25lookback_scan_determinismE0ELb1ES3_N6thrust23THRUST_200600_302600_NS6detail15normal_iteratorINS9_10device_ptrIxEEEESE_SE_xNS9_4plusIxEE19head_flag_predicatexEE10hipError_tPvRmT2_T3_T4_T5_mT6_T7_P12ihipStream_tbENKUlT_T0_E_clISt17integral_constantIbLb1EESX_IbLb0EEEEDaST_SU_EUlST_E_NS1_11comp_targetILNS1_3genE4ELNS1_11target_archE910ELNS1_3gpuE8ELNS1_3repE0EEENS1_30default_config_static_selectorELNS0_4arch9wavefront6targetE0EEEvT1_.numbered_sgpr, 0
	.set _ZN7rocprim17ROCPRIM_400000_NS6detail17trampoline_kernelINS0_14default_configENS1_27scan_by_key_config_selectorIxxEEZZNS1_16scan_by_key_implILNS1_25lookback_scan_determinismE0ELb1ES3_N6thrust23THRUST_200600_302600_NS6detail15normal_iteratorINS9_10device_ptrIxEEEESE_SE_xNS9_4plusIxEE19head_flag_predicatexEE10hipError_tPvRmT2_T3_T4_T5_mT6_T7_P12ihipStream_tbENKUlT_T0_E_clISt17integral_constantIbLb1EESX_IbLb0EEEEDaST_SU_EUlST_E_NS1_11comp_targetILNS1_3genE4ELNS1_11target_archE910ELNS1_3gpuE8ELNS1_3repE0EEENS1_30default_config_static_selectorELNS0_4arch9wavefront6targetE0EEEvT1_.num_named_barrier, 0
	.set _ZN7rocprim17ROCPRIM_400000_NS6detail17trampoline_kernelINS0_14default_configENS1_27scan_by_key_config_selectorIxxEEZZNS1_16scan_by_key_implILNS1_25lookback_scan_determinismE0ELb1ES3_N6thrust23THRUST_200600_302600_NS6detail15normal_iteratorINS9_10device_ptrIxEEEESE_SE_xNS9_4plusIxEE19head_flag_predicatexEE10hipError_tPvRmT2_T3_T4_T5_mT6_T7_P12ihipStream_tbENKUlT_T0_E_clISt17integral_constantIbLb1EESX_IbLb0EEEEDaST_SU_EUlST_E_NS1_11comp_targetILNS1_3genE4ELNS1_11target_archE910ELNS1_3gpuE8ELNS1_3repE0EEENS1_30default_config_static_selectorELNS0_4arch9wavefront6targetE0EEEvT1_.private_seg_size, 0
	.set _ZN7rocprim17ROCPRIM_400000_NS6detail17trampoline_kernelINS0_14default_configENS1_27scan_by_key_config_selectorIxxEEZZNS1_16scan_by_key_implILNS1_25lookback_scan_determinismE0ELb1ES3_N6thrust23THRUST_200600_302600_NS6detail15normal_iteratorINS9_10device_ptrIxEEEESE_SE_xNS9_4plusIxEE19head_flag_predicatexEE10hipError_tPvRmT2_T3_T4_T5_mT6_T7_P12ihipStream_tbENKUlT_T0_E_clISt17integral_constantIbLb1EESX_IbLb0EEEEDaST_SU_EUlST_E_NS1_11comp_targetILNS1_3genE4ELNS1_11target_archE910ELNS1_3gpuE8ELNS1_3repE0EEENS1_30default_config_static_selectorELNS0_4arch9wavefront6targetE0EEEvT1_.uses_vcc, 0
	.set _ZN7rocprim17ROCPRIM_400000_NS6detail17trampoline_kernelINS0_14default_configENS1_27scan_by_key_config_selectorIxxEEZZNS1_16scan_by_key_implILNS1_25lookback_scan_determinismE0ELb1ES3_N6thrust23THRUST_200600_302600_NS6detail15normal_iteratorINS9_10device_ptrIxEEEESE_SE_xNS9_4plusIxEE19head_flag_predicatexEE10hipError_tPvRmT2_T3_T4_T5_mT6_T7_P12ihipStream_tbENKUlT_T0_E_clISt17integral_constantIbLb1EESX_IbLb0EEEEDaST_SU_EUlST_E_NS1_11comp_targetILNS1_3genE4ELNS1_11target_archE910ELNS1_3gpuE8ELNS1_3repE0EEENS1_30default_config_static_selectorELNS0_4arch9wavefront6targetE0EEEvT1_.uses_flat_scratch, 0
	.set _ZN7rocprim17ROCPRIM_400000_NS6detail17trampoline_kernelINS0_14default_configENS1_27scan_by_key_config_selectorIxxEEZZNS1_16scan_by_key_implILNS1_25lookback_scan_determinismE0ELb1ES3_N6thrust23THRUST_200600_302600_NS6detail15normal_iteratorINS9_10device_ptrIxEEEESE_SE_xNS9_4plusIxEE19head_flag_predicatexEE10hipError_tPvRmT2_T3_T4_T5_mT6_T7_P12ihipStream_tbENKUlT_T0_E_clISt17integral_constantIbLb1EESX_IbLb0EEEEDaST_SU_EUlST_E_NS1_11comp_targetILNS1_3genE4ELNS1_11target_archE910ELNS1_3gpuE8ELNS1_3repE0EEENS1_30default_config_static_selectorELNS0_4arch9wavefront6targetE0EEEvT1_.has_dyn_sized_stack, 0
	.set _ZN7rocprim17ROCPRIM_400000_NS6detail17trampoline_kernelINS0_14default_configENS1_27scan_by_key_config_selectorIxxEEZZNS1_16scan_by_key_implILNS1_25lookback_scan_determinismE0ELb1ES3_N6thrust23THRUST_200600_302600_NS6detail15normal_iteratorINS9_10device_ptrIxEEEESE_SE_xNS9_4plusIxEE19head_flag_predicatexEE10hipError_tPvRmT2_T3_T4_T5_mT6_T7_P12ihipStream_tbENKUlT_T0_E_clISt17integral_constantIbLb1EESX_IbLb0EEEEDaST_SU_EUlST_E_NS1_11comp_targetILNS1_3genE4ELNS1_11target_archE910ELNS1_3gpuE8ELNS1_3repE0EEENS1_30default_config_static_selectorELNS0_4arch9wavefront6targetE0EEEvT1_.has_recursion, 0
	.set _ZN7rocprim17ROCPRIM_400000_NS6detail17trampoline_kernelINS0_14default_configENS1_27scan_by_key_config_selectorIxxEEZZNS1_16scan_by_key_implILNS1_25lookback_scan_determinismE0ELb1ES3_N6thrust23THRUST_200600_302600_NS6detail15normal_iteratorINS9_10device_ptrIxEEEESE_SE_xNS9_4plusIxEE19head_flag_predicatexEE10hipError_tPvRmT2_T3_T4_T5_mT6_T7_P12ihipStream_tbENKUlT_T0_E_clISt17integral_constantIbLb1EESX_IbLb0EEEEDaST_SU_EUlST_E_NS1_11comp_targetILNS1_3genE4ELNS1_11target_archE910ELNS1_3gpuE8ELNS1_3repE0EEENS1_30default_config_static_selectorELNS0_4arch9wavefront6targetE0EEEvT1_.has_indirect_call, 0
	.section	.AMDGPU.csdata,"",@progbits
; Kernel info:
; codeLenInByte = 0
; TotalNumSgprs: 0
; NumVgprs: 0
; ScratchSize: 0
; MemoryBound: 0
; FloatMode: 240
; IeeeMode: 1
; LDSByteSize: 0 bytes/workgroup (compile time only)
; SGPRBlocks: 0
; VGPRBlocks: 0
; NumSGPRsForWavesPerEU: 1
; NumVGPRsForWavesPerEU: 1
; Occupancy: 16
; WaveLimiterHint : 0
; COMPUTE_PGM_RSRC2:SCRATCH_EN: 0
; COMPUTE_PGM_RSRC2:USER_SGPR: 6
; COMPUTE_PGM_RSRC2:TRAP_HANDLER: 0
; COMPUTE_PGM_RSRC2:TGID_X_EN: 1
; COMPUTE_PGM_RSRC2:TGID_Y_EN: 0
; COMPUTE_PGM_RSRC2:TGID_Z_EN: 0
; COMPUTE_PGM_RSRC2:TIDIG_COMP_CNT: 0
	.section	.text._ZN7rocprim17ROCPRIM_400000_NS6detail17trampoline_kernelINS0_14default_configENS1_27scan_by_key_config_selectorIxxEEZZNS1_16scan_by_key_implILNS1_25lookback_scan_determinismE0ELb1ES3_N6thrust23THRUST_200600_302600_NS6detail15normal_iteratorINS9_10device_ptrIxEEEESE_SE_xNS9_4plusIxEE19head_flag_predicatexEE10hipError_tPvRmT2_T3_T4_T5_mT6_T7_P12ihipStream_tbENKUlT_T0_E_clISt17integral_constantIbLb1EESX_IbLb0EEEEDaST_SU_EUlST_E_NS1_11comp_targetILNS1_3genE3ELNS1_11target_archE908ELNS1_3gpuE7ELNS1_3repE0EEENS1_30default_config_static_selectorELNS0_4arch9wavefront6targetE0EEEvT1_,"axG",@progbits,_ZN7rocprim17ROCPRIM_400000_NS6detail17trampoline_kernelINS0_14default_configENS1_27scan_by_key_config_selectorIxxEEZZNS1_16scan_by_key_implILNS1_25lookback_scan_determinismE0ELb1ES3_N6thrust23THRUST_200600_302600_NS6detail15normal_iteratorINS9_10device_ptrIxEEEESE_SE_xNS9_4plusIxEE19head_flag_predicatexEE10hipError_tPvRmT2_T3_T4_T5_mT6_T7_P12ihipStream_tbENKUlT_T0_E_clISt17integral_constantIbLb1EESX_IbLb0EEEEDaST_SU_EUlST_E_NS1_11comp_targetILNS1_3genE3ELNS1_11target_archE908ELNS1_3gpuE7ELNS1_3repE0EEENS1_30default_config_static_selectorELNS0_4arch9wavefront6targetE0EEEvT1_,comdat
	.protected	_ZN7rocprim17ROCPRIM_400000_NS6detail17trampoline_kernelINS0_14default_configENS1_27scan_by_key_config_selectorIxxEEZZNS1_16scan_by_key_implILNS1_25lookback_scan_determinismE0ELb1ES3_N6thrust23THRUST_200600_302600_NS6detail15normal_iteratorINS9_10device_ptrIxEEEESE_SE_xNS9_4plusIxEE19head_flag_predicatexEE10hipError_tPvRmT2_T3_T4_T5_mT6_T7_P12ihipStream_tbENKUlT_T0_E_clISt17integral_constantIbLb1EESX_IbLb0EEEEDaST_SU_EUlST_E_NS1_11comp_targetILNS1_3genE3ELNS1_11target_archE908ELNS1_3gpuE7ELNS1_3repE0EEENS1_30default_config_static_selectorELNS0_4arch9wavefront6targetE0EEEvT1_ ; -- Begin function _ZN7rocprim17ROCPRIM_400000_NS6detail17trampoline_kernelINS0_14default_configENS1_27scan_by_key_config_selectorIxxEEZZNS1_16scan_by_key_implILNS1_25lookback_scan_determinismE0ELb1ES3_N6thrust23THRUST_200600_302600_NS6detail15normal_iteratorINS9_10device_ptrIxEEEESE_SE_xNS9_4plusIxEE19head_flag_predicatexEE10hipError_tPvRmT2_T3_T4_T5_mT6_T7_P12ihipStream_tbENKUlT_T0_E_clISt17integral_constantIbLb1EESX_IbLb0EEEEDaST_SU_EUlST_E_NS1_11comp_targetILNS1_3genE3ELNS1_11target_archE908ELNS1_3gpuE7ELNS1_3repE0EEENS1_30default_config_static_selectorELNS0_4arch9wavefront6targetE0EEEvT1_
	.globl	_ZN7rocprim17ROCPRIM_400000_NS6detail17trampoline_kernelINS0_14default_configENS1_27scan_by_key_config_selectorIxxEEZZNS1_16scan_by_key_implILNS1_25lookback_scan_determinismE0ELb1ES3_N6thrust23THRUST_200600_302600_NS6detail15normal_iteratorINS9_10device_ptrIxEEEESE_SE_xNS9_4plusIxEE19head_flag_predicatexEE10hipError_tPvRmT2_T3_T4_T5_mT6_T7_P12ihipStream_tbENKUlT_T0_E_clISt17integral_constantIbLb1EESX_IbLb0EEEEDaST_SU_EUlST_E_NS1_11comp_targetILNS1_3genE3ELNS1_11target_archE908ELNS1_3gpuE7ELNS1_3repE0EEENS1_30default_config_static_selectorELNS0_4arch9wavefront6targetE0EEEvT1_
	.p2align	8
	.type	_ZN7rocprim17ROCPRIM_400000_NS6detail17trampoline_kernelINS0_14default_configENS1_27scan_by_key_config_selectorIxxEEZZNS1_16scan_by_key_implILNS1_25lookback_scan_determinismE0ELb1ES3_N6thrust23THRUST_200600_302600_NS6detail15normal_iteratorINS9_10device_ptrIxEEEESE_SE_xNS9_4plusIxEE19head_flag_predicatexEE10hipError_tPvRmT2_T3_T4_T5_mT6_T7_P12ihipStream_tbENKUlT_T0_E_clISt17integral_constantIbLb1EESX_IbLb0EEEEDaST_SU_EUlST_E_NS1_11comp_targetILNS1_3genE3ELNS1_11target_archE908ELNS1_3gpuE7ELNS1_3repE0EEENS1_30default_config_static_selectorELNS0_4arch9wavefront6targetE0EEEvT1_,@function
_ZN7rocprim17ROCPRIM_400000_NS6detail17trampoline_kernelINS0_14default_configENS1_27scan_by_key_config_selectorIxxEEZZNS1_16scan_by_key_implILNS1_25lookback_scan_determinismE0ELb1ES3_N6thrust23THRUST_200600_302600_NS6detail15normal_iteratorINS9_10device_ptrIxEEEESE_SE_xNS9_4plusIxEE19head_flag_predicatexEE10hipError_tPvRmT2_T3_T4_T5_mT6_T7_P12ihipStream_tbENKUlT_T0_E_clISt17integral_constantIbLb1EESX_IbLb0EEEEDaST_SU_EUlST_E_NS1_11comp_targetILNS1_3genE3ELNS1_11target_archE908ELNS1_3gpuE7ELNS1_3repE0EEENS1_30default_config_static_selectorELNS0_4arch9wavefront6targetE0EEEvT1_: ; @_ZN7rocprim17ROCPRIM_400000_NS6detail17trampoline_kernelINS0_14default_configENS1_27scan_by_key_config_selectorIxxEEZZNS1_16scan_by_key_implILNS1_25lookback_scan_determinismE0ELb1ES3_N6thrust23THRUST_200600_302600_NS6detail15normal_iteratorINS9_10device_ptrIxEEEESE_SE_xNS9_4plusIxEE19head_flag_predicatexEE10hipError_tPvRmT2_T3_T4_T5_mT6_T7_P12ihipStream_tbENKUlT_T0_E_clISt17integral_constantIbLb1EESX_IbLb0EEEEDaST_SU_EUlST_E_NS1_11comp_targetILNS1_3genE3ELNS1_11target_archE908ELNS1_3gpuE7ELNS1_3repE0EEENS1_30default_config_static_selectorELNS0_4arch9wavefront6targetE0EEEvT1_
; %bb.0:
	.section	.rodata,"a",@progbits
	.p2align	6, 0x0
	.amdhsa_kernel _ZN7rocprim17ROCPRIM_400000_NS6detail17trampoline_kernelINS0_14default_configENS1_27scan_by_key_config_selectorIxxEEZZNS1_16scan_by_key_implILNS1_25lookback_scan_determinismE0ELb1ES3_N6thrust23THRUST_200600_302600_NS6detail15normal_iteratorINS9_10device_ptrIxEEEESE_SE_xNS9_4plusIxEE19head_flag_predicatexEE10hipError_tPvRmT2_T3_T4_T5_mT6_T7_P12ihipStream_tbENKUlT_T0_E_clISt17integral_constantIbLb1EESX_IbLb0EEEEDaST_SU_EUlST_E_NS1_11comp_targetILNS1_3genE3ELNS1_11target_archE908ELNS1_3gpuE7ELNS1_3repE0EEENS1_30default_config_static_selectorELNS0_4arch9wavefront6targetE0EEEvT1_
		.amdhsa_group_segment_fixed_size 0
		.amdhsa_private_segment_fixed_size 0
		.amdhsa_kernarg_size 136
		.amdhsa_user_sgpr_count 6
		.amdhsa_user_sgpr_private_segment_buffer 1
		.amdhsa_user_sgpr_dispatch_ptr 0
		.amdhsa_user_sgpr_queue_ptr 0
		.amdhsa_user_sgpr_kernarg_segment_ptr 1
		.amdhsa_user_sgpr_dispatch_id 0
		.amdhsa_user_sgpr_flat_scratch_init 0
		.amdhsa_user_sgpr_private_segment_size 0
		.amdhsa_wavefront_size32 1
		.amdhsa_uses_dynamic_stack 0
		.amdhsa_system_sgpr_private_segment_wavefront_offset 0
		.amdhsa_system_sgpr_workgroup_id_x 1
		.amdhsa_system_sgpr_workgroup_id_y 0
		.amdhsa_system_sgpr_workgroup_id_z 0
		.amdhsa_system_sgpr_workgroup_info 0
		.amdhsa_system_vgpr_workitem_id 0
		.amdhsa_next_free_vgpr 1
		.amdhsa_next_free_sgpr 1
		.amdhsa_reserve_vcc 0
		.amdhsa_reserve_flat_scratch 0
		.amdhsa_float_round_mode_32 0
		.amdhsa_float_round_mode_16_64 0
		.amdhsa_float_denorm_mode_32 3
		.amdhsa_float_denorm_mode_16_64 3
		.amdhsa_dx10_clamp 1
		.amdhsa_ieee_mode 1
		.amdhsa_fp16_overflow 0
		.amdhsa_workgroup_processor_mode 1
		.amdhsa_memory_ordered 1
		.amdhsa_forward_progress 1
		.amdhsa_shared_vgpr_count 0
		.amdhsa_exception_fp_ieee_invalid_op 0
		.amdhsa_exception_fp_denorm_src 0
		.amdhsa_exception_fp_ieee_div_zero 0
		.amdhsa_exception_fp_ieee_overflow 0
		.amdhsa_exception_fp_ieee_underflow 0
		.amdhsa_exception_fp_ieee_inexact 0
		.amdhsa_exception_int_div_zero 0
	.end_amdhsa_kernel
	.section	.text._ZN7rocprim17ROCPRIM_400000_NS6detail17trampoline_kernelINS0_14default_configENS1_27scan_by_key_config_selectorIxxEEZZNS1_16scan_by_key_implILNS1_25lookback_scan_determinismE0ELb1ES3_N6thrust23THRUST_200600_302600_NS6detail15normal_iteratorINS9_10device_ptrIxEEEESE_SE_xNS9_4plusIxEE19head_flag_predicatexEE10hipError_tPvRmT2_T3_T4_T5_mT6_T7_P12ihipStream_tbENKUlT_T0_E_clISt17integral_constantIbLb1EESX_IbLb0EEEEDaST_SU_EUlST_E_NS1_11comp_targetILNS1_3genE3ELNS1_11target_archE908ELNS1_3gpuE7ELNS1_3repE0EEENS1_30default_config_static_selectorELNS0_4arch9wavefront6targetE0EEEvT1_,"axG",@progbits,_ZN7rocprim17ROCPRIM_400000_NS6detail17trampoline_kernelINS0_14default_configENS1_27scan_by_key_config_selectorIxxEEZZNS1_16scan_by_key_implILNS1_25lookback_scan_determinismE0ELb1ES3_N6thrust23THRUST_200600_302600_NS6detail15normal_iteratorINS9_10device_ptrIxEEEESE_SE_xNS9_4plusIxEE19head_flag_predicatexEE10hipError_tPvRmT2_T3_T4_T5_mT6_T7_P12ihipStream_tbENKUlT_T0_E_clISt17integral_constantIbLb1EESX_IbLb0EEEEDaST_SU_EUlST_E_NS1_11comp_targetILNS1_3genE3ELNS1_11target_archE908ELNS1_3gpuE7ELNS1_3repE0EEENS1_30default_config_static_selectorELNS0_4arch9wavefront6targetE0EEEvT1_,comdat
.Lfunc_end735:
	.size	_ZN7rocprim17ROCPRIM_400000_NS6detail17trampoline_kernelINS0_14default_configENS1_27scan_by_key_config_selectorIxxEEZZNS1_16scan_by_key_implILNS1_25lookback_scan_determinismE0ELb1ES3_N6thrust23THRUST_200600_302600_NS6detail15normal_iteratorINS9_10device_ptrIxEEEESE_SE_xNS9_4plusIxEE19head_flag_predicatexEE10hipError_tPvRmT2_T3_T4_T5_mT6_T7_P12ihipStream_tbENKUlT_T0_E_clISt17integral_constantIbLb1EESX_IbLb0EEEEDaST_SU_EUlST_E_NS1_11comp_targetILNS1_3genE3ELNS1_11target_archE908ELNS1_3gpuE7ELNS1_3repE0EEENS1_30default_config_static_selectorELNS0_4arch9wavefront6targetE0EEEvT1_, .Lfunc_end735-_ZN7rocprim17ROCPRIM_400000_NS6detail17trampoline_kernelINS0_14default_configENS1_27scan_by_key_config_selectorIxxEEZZNS1_16scan_by_key_implILNS1_25lookback_scan_determinismE0ELb1ES3_N6thrust23THRUST_200600_302600_NS6detail15normal_iteratorINS9_10device_ptrIxEEEESE_SE_xNS9_4plusIxEE19head_flag_predicatexEE10hipError_tPvRmT2_T3_T4_T5_mT6_T7_P12ihipStream_tbENKUlT_T0_E_clISt17integral_constantIbLb1EESX_IbLb0EEEEDaST_SU_EUlST_E_NS1_11comp_targetILNS1_3genE3ELNS1_11target_archE908ELNS1_3gpuE7ELNS1_3repE0EEENS1_30default_config_static_selectorELNS0_4arch9wavefront6targetE0EEEvT1_
                                        ; -- End function
	.set _ZN7rocprim17ROCPRIM_400000_NS6detail17trampoline_kernelINS0_14default_configENS1_27scan_by_key_config_selectorIxxEEZZNS1_16scan_by_key_implILNS1_25lookback_scan_determinismE0ELb1ES3_N6thrust23THRUST_200600_302600_NS6detail15normal_iteratorINS9_10device_ptrIxEEEESE_SE_xNS9_4plusIxEE19head_flag_predicatexEE10hipError_tPvRmT2_T3_T4_T5_mT6_T7_P12ihipStream_tbENKUlT_T0_E_clISt17integral_constantIbLb1EESX_IbLb0EEEEDaST_SU_EUlST_E_NS1_11comp_targetILNS1_3genE3ELNS1_11target_archE908ELNS1_3gpuE7ELNS1_3repE0EEENS1_30default_config_static_selectorELNS0_4arch9wavefront6targetE0EEEvT1_.num_vgpr, 0
	.set _ZN7rocprim17ROCPRIM_400000_NS6detail17trampoline_kernelINS0_14default_configENS1_27scan_by_key_config_selectorIxxEEZZNS1_16scan_by_key_implILNS1_25lookback_scan_determinismE0ELb1ES3_N6thrust23THRUST_200600_302600_NS6detail15normal_iteratorINS9_10device_ptrIxEEEESE_SE_xNS9_4plusIxEE19head_flag_predicatexEE10hipError_tPvRmT2_T3_T4_T5_mT6_T7_P12ihipStream_tbENKUlT_T0_E_clISt17integral_constantIbLb1EESX_IbLb0EEEEDaST_SU_EUlST_E_NS1_11comp_targetILNS1_3genE3ELNS1_11target_archE908ELNS1_3gpuE7ELNS1_3repE0EEENS1_30default_config_static_selectorELNS0_4arch9wavefront6targetE0EEEvT1_.num_agpr, 0
	.set _ZN7rocprim17ROCPRIM_400000_NS6detail17trampoline_kernelINS0_14default_configENS1_27scan_by_key_config_selectorIxxEEZZNS1_16scan_by_key_implILNS1_25lookback_scan_determinismE0ELb1ES3_N6thrust23THRUST_200600_302600_NS6detail15normal_iteratorINS9_10device_ptrIxEEEESE_SE_xNS9_4plusIxEE19head_flag_predicatexEE10hipError_tPvRmT2_T3_T4_T5_mT6_T7_P12ihipStream_tbENKUlT_T0_E_clISt17integral_constantIbLb1EESX_IbLb0EEEEDaST_SU_EUlST_E_NS1_11comp_targetILNS1_3genE3ELNS1_11target_archE908ELNS1_3gpuE7ELNS1_3repE0EEENS1_30default_config_static_selectorELNS0_4arch9wavefront6targetE0EEEvT1_.numbered_sgpr, 0
	.set _ZN7rocprim17ROCPRIM_400000_NS6detail17trampoline_kernelINS0_14default_configENS1_27scan_by_key_config_selectorIxxEEZZNS1_16scan_by_key_implILNS1_25lookback_scan_determinismE0ELb1ES3_N6thrust23THRUST_200600_302600_NS6detail15normal_iteratorINS9_10device_ptrIxEEEESE_SE_xNS9_4plusIxEE19head_flag_predicatexEE10hipError_tPvRmT2_T3_T4_T5_mT6_T7_P12ihipStream_tbENKUlT_T0_E_clISt17integral_constantIbLb1EESX_IbLb0EEEEDaST_SU_EUlST_E_NS1_11comp_targetILNS1_3genE3ELNS1_11target_archE908ELNS1_3gpuE7ELNS1_3repE0EEENS1_30default_config_static_selectorELNS0_4arch9wavefront6targetE0EEEvT1_.num_named_barrier, 0
	.set _ZN7rocprim17ROCPRIM_400000_NS6detail17trampoline_kernelINS0_14default_configENS1_27scan_by_key_config_selectorIxxEEZZNS1_16scan_by_key_implILNS1_25lookback_scan_determinismE0ELb1ES3_N6thrust23THRUST_200600_302600_NS6detail15normal_iteratorINS9_10device_ptrIxEEEESE_SE_xNS9_4plusIxEE19head_flag_predicatexEE10hipError_tPvRmT2_T3_T4_T5_mT6_T7_P12ihipStream_tbENKUlT_T0_E_clISt17integral_constantIbLb1EESX_IbLb0EEEEDaST_SU_EUlST_E_NS1_11comp_targetILNS1_3genE3ELNS1_11target_archE908ELNS1_3gpuE7ELNS1_3repE0EEENS1_30default_config_static_selectorELNS0_4arch9wavefront6targetE0EEEvT1_.private_seg_size, 0
	.set _ZN7rocprim17ROCPRIM_400000_NS6detail17trampoline_kernelINS0_14default_configENS1_27scan_by_key_config_selectorIxxEEZZNS1_16scan_by_key_implILNS1_25lookback_scan_determinismE0ELb1ES3_N6thrust23THRUST_200600_302600_NS6detail15normal_iteratorINS9_10device_ptrIxEEEESE_SE_xNS9_4plusIxEE19head_flag_predicatexEE10hipError_tPvRmT2_T3_T4_T5_mT6_T7_P12ihipStream_tbENKUlT_T0_E_clISt17integral_constantIbLb1EESX_IbLb0EEEEDaST_SU_EUlST_E_NS1_11comp_targetILNS1_3genE3ELNS1_11target_archE908ELNS1_3gpuE7ELNS1_3repE0EEENS1_30default_config_static_selectorELNS0_4arch9wavefront6targetE0EEEvT1_.uses_vcc, 0
	.set _ZN7rocprim17ROCPRIM_400000_NS6detail17trampoline_kernelINS0_14default_configENS1_27scan_by_key_config_selectorIxxEEZZNS1_16scan_by_key_implILNS1_25lookback_scan_determinismE0ELb1ES3_N6thrust23THRUST_200600_302600_NS6detail15normal_iteratorINS9_10device_ptrIxEEEESE_SE_xNS9_4plusIxEE19head_flag_predicatexEE10hipError_tPvRmT2_T3_T4_T5_mT6_T7_P12ihipStream_tbENKUlT_T0_E_clISt17integral_constantIbLb1EESX_IbLb0EEEEDaST_SU_EUlST_E_NS1_11comp_targetILNS1_3genE3ELNS1_11target_archE908ELNS1_3gpuE7ELNS1_3repE0EEENS1_30default_config_static_selectorELNS0_4arch9wavefront6targetE0EEEvT1_.uses_flat_scratch, 0
	.set _ZN7rocprim17ROCPRIM_400000_NS6detail17trampoline_kernelINS0_14default_configENS1_27scan_by_key_config_selectorIxxEEZZNS1_16scan_by_key_implILNS1_25lookback_scan_determinismE0ELb1ES3_N6thrust23THRUST_200600_302600_NS6detail15normal_iteratorINS9_10device_ptrIxEEEESE_SE_xNS9_4plusIxEE19head_flag_predicatexEE10hipError_tPvRmT2_T3_T4_T5_mT6_T7_P12ihipStream_tbENKUlT_T0_E_clISt17integral_constantIbLb1EESX_IbLb0EEEEDaST_SU_EUlST_E_NS1_11comp_targetILNS1_3genE3ELNS1_11target_archE908ELNS1_3gpuE7ELNS1_3repE0EEENS1_30default_config_static_selectorELNS0_4arch9wavefront6targetE0EEEvT1_.has_dyn_sized_stack, 0
	.set _ZN7rocprim17ROCPRIM_400000_NS6detail17trampoline_kernelINS0_14default_configENS1_27scan_by_key_config_selectorIxxEEZZNS1_16scan_by_key_implILNS1_25lookback_scan_determinismE0ELb1ES3_N6thrust23THRUST_200600_302600_NS6detail15normal_iteratorINS9_10device_ptrIxEEEESE_SE_xNS9_4plusIxEE19head_flag_predicatexEE10hipError_tPvRmT2_T3_T4_T5_mT6_T7_P12ihipStream_tbENKUlT_T0_E_clISt17integral_constantIbLb1EESX_IbLb0EEEEDaST_SU_EUlST_E_NS1_11comp_targetILNS1_3genE3ELNS1_11target_archE908ELNS1_3gpuE7ELNS1_3repE0EEENS1_30default_config_static_selectorELNS0_4arch9wavefront6targetE0EEEvT1_.has_recursion, 0
	.set _ZN7rocprim17ROCPRIM_400000_NS6detail17trampoline_kernelINS0_14default_configENS1_27scan_by_key_config_selectorIxxEEZZNS1_16scan_by_key_implILNS1_25lookback_scan_determinismE0ELb1ES3_N6thrust23THRUST_200600_302600_NS6detail15normal_iteratorINS9_10device_ptrIxEEEESE_SE_xNS9_4plusIxEE19head_flag_predicatexEE10hipError_tPvRmT2_T3_T4_T5_mT6_T7_P12ihipStream_tbENKUlT_T0_E_clISt17integral_constantIbLb1EESX_IbLb0EEEEDaST_SU_EUlST_E_NS1_11comp_targetILNS1_3genE3ELNS1_11target_archE908ELNS1_3gpuE7ELNS1_3repE0EEENS1_30default_config_static_selectorELNS0_4arch9wavefront6targetE0EEEvT1_.has_indirect_call, 0
	.section	.AMDGPU.csdata,"",@progbits
; Kernel info:
; codeLenInByte = 0
; TotalNumSgprs: 0
; NumVgprs: 0
; ScratchSize: 0
; MemoryBound: 0
; FloatMode: 240
; IeeeMode: 1
; LDSByteSize: 0 bytes/workgroup (compile time only)
; SGPRBlocks: 0
; VGPRBlocks: 0
; NumSGPRsForWavesPerEU: 1
; NumVGPRsForWavesPerEU: 1
; Occupancy: 16
; WaveLimiterHint : 0
; COMPUTE_PGM_RSRC2:SCRATCH_EN: 0
; COMPUTE_PGM_RSRC2:USER_SGPR: 6
; COMPUTE_PGM_RSRC2:TRAP_HANDLER: 0
; COMPUTE_PGM_RSRC2:TGID_X_EN: 1
; COMPUTE_PGM_RSRC2:TGID_Y_EN: 0
; COMPUTE_PGM_RSRC2:TGID_Z_EN: 0
; COMPUTE_PGM_RSRC2:TIDIG_COMP_CNT: 0
	.section	.text._ZN7rocprim17ROCPRIM_400000_NS6detail17trampoline_kernelINS0_14default_configENS1_27scan_by_key_config_selectorIxxEEZZNS1_16scan_by_key_implILNS1_25lookback_scan_determinismE0ELb1ES3_N6thrust23THRUST_200600_302600_NS6detail15normal_iteratorINS9_10device_ptrIxEEEESE_SE_xNS9_4plusIxEE19head_flag_predicatexEE10hipError_tPvRmT2_T3_T4_T5_mT6_T7_P12ihipStream_tbENKUlT_T0_E_clISt17integral_constantIbLb1EESX_IbLb0EEEEDaST_SU_EUlST_E_NS1_11comp_targetILNS1_3genE2ELNS1_11target_archE906ELNS1_3gpuE6ELNS1_3repE0EEENS1_30default_config_static_selectorELNS0_4arch9wavefront6targetE0EEEvT1_,"axG",@progbits,_ZN7rocprim17ROCPRIM_400000_NS6detail17trampoline_kernelINS0_14default_configENS1_27scan_by_key_config_selectorIxxEEZZNS1_16scan_by_key_implILNS1_25lookback_scan_determinismE0ELb1ES3_N6thrust23THRUST_200600_302600_NS6detail15normal_iteratorINS9_10device_ptrIxEEEESE_SE_xNS9_4plusIxEE19head_flag_predicatexEE10hipError_tPvRmT2_T3_T4_T5_mT6_T7_P12ihipStream_tbENKUlT_T0_E_clISt17integral_constantIbLb1EESX_IbLb0EEEEDaST_SU_EUlST_E_NS1_11comp_targetILNS1_3genE2ELNS1_11target_archE906ELNS1_3gpuE6ELNS1_3repE0EEENS1_30default_config_static_selectorELNS0_4arch9wavefront6targetE0EEEvT1_,comdat
	.protected	_ZN7rocprim17ROCPRIM_400000_NS6detail17trampoline_kernelINS0_14default_configENS1_27scan_by_key_config_selectorIxxEEZZNS1_16scan_by_key_implILNS1_25lookback_scan_determinismE0ELb1ES3_N6thrust23THRUST_200600_302600_NS6detail15normal_iteratorINS9_10device_ptrIxEEEESE_SE_xNS9_4plusIxEE19head_flag_predicatexEE10hipError_tPvRmT2_T3_T4_T5_mT6_T7_P12ihipStream_tbENKUlT_T0_E_clISt17integral_constantIbLb1EESX_IbLb0EEEEDaST_SU_EUlST_E_NS1_11comp_targetILNS1_3genE2ELNS1_11target_archE906ELNS1_3gpuE6ELNS1_3repE0EEENS1_30default_config_static_selectorELNS0_4arch9wavefront6targetE0EEEvT1_ ; -- Begin function _ZN7rocprim17ROCPRIM_400000_NS6detail17trampoline_kernelINS0_14default_configENS1_27scan_by_key_config_selectorIxxEEZZNS1_16scan_by_key_implILNS1_25lookback_scan_determinismE0ELb1ES3_N6thrust23THRUST_200600_302600_NS6detail15normal_iteratorINS9_10device_ptrIxEEEESE_SE_xNS9_4plusIxEE19head_flag_predicatexEE10hipError_tPvRmT2_T3_T4_T5_mT6_T7_P12ihipStream_tbENKUlT_T0_E_clISt17integral_constantIbLb1EESX_IbLb0EEEEDaST_SU_EUlST_E_NS1_11comp_targetILNS1_3genE2ELNS1_11target_archE906ELNS1_3gpuE6ELNS1_3repE0EEENS1_30default_config_static_selectorELNS0_4arch9wavefront6targetE0EEEvT1_
	.globl	_ZN7rocprim17ROCPRIM_400000_NS6detail17trampoline_kernelINS0_14default_configENS1_27scan_by_key_config_selectorIxxEEZZNS1_16scan_by_key_implILNS1_25lookback_scan_determinismE0ELb1ES3_N6thrust23THRUST_200600_302600_NS6detail15normal_iteratorINS9_10device_ptrIxEEEESE_SE_xNS9_4plusIxEE19head_flag_predicatexEE10hipError_tPvRmT2_T3_T4_T5_mT6_T7_P12ihipStream_tbENKUlT_T0_E_clISt17integral_constantIbLb1EESX_IbLb0EEEEDaST_SU_EUlST_E_NS1_11comp_targetILNS1_3genE2ELNS1_11target_archE906ELNS1_3gpuE6ELNS1_3repE0EEENS1_30default_config_static_selectorELNS0_4arch9wavefront6targetE0EEEvT1_
	.p2align	8
	.type	_ZN7rocprim17ROCPRIM_400000_NS6detail17trampoline_kernelINS0_14default_configENS1_27scan_by_key_config_selectorIxxEEZZNS1_16scan_by_key_implILNS1_25lookback_scan_determinismE0ELb1ES3_N6thrust23THRUST_200600_302600_NS6detail15normal_iteratorINS9_10device_ptrIxEEEESE_SE_xNS9_4plusIxEE19head_flag_predicatexEE10hipError_tPvRmT2_T3_T4_T5_mT6_T7_P12ihipStream_tbENKUlT_T0_E_clISt17integral_constantIbLb1EESX_IbLb0EEEEDaST_SU_EUlST_E_NS1_11comp_targetILNS1_3genE2ELNS1_11target_archE906ELNS1_3gpuE6ELNS1_3repE0EEENS1_30default_config_static_selectorELNS0_4arch9wavefront6targetE0EEEvT1_,@function
_ZN7rocprim17ROCPRIM_400000_NS6detail17trampoline_kernelINS0_14default_configENS1_27scan_by_key_config_selectorIxxEEZZNS1_16scan_by_key_implILNS1_25lookback_scan_determinismE0ELb1ES3_N6thrust23THRUST_200600_302600_NS6detail15normal_iteratorINS9_10device_ptrIxEEEESE_SE_xNS9_4plusIxEE19head_flag_predicatexEE10hipError_tPvRmT2_T3_T4_T5_mT6_T7_P12ihipStream_tbENKUlT_T0_E_clISt17integral_constantIbLb1EESX_IbLb0EEEEDaST_SU_EUlST_E_NS1_11comp_targetILNS1_3genE2ELNS1_11target_archE906ELNS1_3gpuE6ELNS1_3repE0EEENS1_30default_config_static_selectorELNS0_4arch9wavefront6targetE0EEEvT1_: ; @_ZN7rocprim17ROCPRIM_400000_NS6detail17trampoline_kernelINS0_14default_configENS1_27scan_by_key_config_selectorIxxEEZZNS1_16scan_by_key_implILNS1_25lookback_scan_determinismE0ELb1ES3_N6thrust23THRUST_200600_302600_NS6detail15normal_iteratorINS9_10device_ptrIxEEEESE_SE_xNS9_4plusIxEE19head_flag_predicatexEE10hipError_tPvRmT2_T3_T4_T5_mT6_T7_P12ihipStream_tbENKUlT_T0_E_clISt17integral_constantIbLb1EESX_IbLb0EEEEDaST_SU_EUlST_E_NS1_11comp_targetILNS1_3genE2ELNS1_11target_archE906ELNS1_3gpuE6ELNS1_3repE0EEENS1_30default_config_static_selectorELNS0_4arch9wavefront6targetE0EEEvT1_
; %bb.0:
	.section	.rodata,"a",@progbits
	.p2align	6, 0x0
	.amdhsa_kernel _ZN7rocprim17ROCPRIM_400000_NS6detail17trampoline_kernelINS0_14default_configENS1_27scan_by_key_config_selectorIxxEEZZNS1_16scan_by_key_implILNS1_25lookback_scan_determinismE0ELb1ES3_N6thrust23THRUST_200600_302600_NS6detail15normal_iteratorINS9_10device_ptrIxEEEESE_SE_xNS9_4plusIxEE19head_flag_predicatexEE10hipError_tPvRmT2_T3_T4_T5_mT6_T7_P12ihipStream_tbENKUlT_T0_E_clISt17integral_constantIbLb1EESX_IbLb0EEEEDaST_SU_EUlST_E_NS1_11comp_targetILNS1_3genE2ELNS1_11target_archE906ELNS1_3gpuE6ELNS1_3repE0EEENS1_30default_config_static_selectorELNS0_4arch9wavefront6targetE0EEEvT1_
		.amdhsa_group_segment_fixed_size 0
		.amdhsa_private_segment_fixed_size 0
		.amdhsa_kernarg_size 136
		.amdhsa_user_sgpr_count 6
		.amdhsa_user_sgpr_private_segment_buffer 1
		.amdhsa_user_sgpr_dispatch_ptr 0
		.amdhsa_user_sgpr_queue_ptr 0
		.amdhsa_user_sgpr_kernarg_segment_ptr 1
		.amdhsa_user_sgpr_dispatch_id 0
		.amdhsa_user_sgpr_flat_scratch_init 0
		.amdhsa_user_sgpr_private_segment_size 0
		.amdhsa_wavefront_size32 1
		.amdhsa_uses_dynamic_stack 0
		.amdhsa_system_sgpr_private_segment_wavefront_offset 0
		.amdhsa_system_sgpr_workgroup_id_x 1
		.amdhsa_system_sgpr_workgroup_id_y 0
		.amdhsa_system_sgpr_workgroup_id_z 0
		.amdhsa_system_sgpr_workgroup_info 0
		.amdhsa_system_vgpr_workitem_id 0
		.amdhsa_next_free_vgpr 1
		.amdhsa_next_free_sgpr 1
		.amdhsa_reserve_vcc 0
		.amdhsa_reserve_flat_scratch 0
		.amdhsa_float_round_mode_32 0
		.amdhsa_float_round_mode_16_64 0
		.amdhsa_float_denorm_mode_32 3
		.amdhsa_float_denorm_mode_16_64 3
		.amdhsa_dx10_clamp 1
		.amdhsa_ieee_mode 1
		.amdhsa_fp16_overflow 0
		.amdhsa_workgroup_processor_mode 1
		.amdhsa_memory_ordered 1
		.amdhsa_forward_progress 1
		.amdhsa_shared_vgpr_count 0
		.amdhsa_exception_fp_ieee_invalid_op 0
		.amdhsa_exception_fp_denorm_src 0
		.amdhsa_exception_fp_ieee_div_zero 0
		.amdhsa_exception_fp_ieee_overflow 0
		.amdhsa_exception_fp_ieee_underflow 0
		.amdhsa_exception_fp_ieee_inexact 0
		.amdhsa_exception_int_div_zero 0
	.end_amdhsa_kernel
	.section	.text._ZN7rocprim17ROCPRIM_400000_NS6detail17trampoline_kernelINS0_14default_configENS1_27scan_by_key_config_selectorIxxEEZZNS1_16scan_by_key_implILNS1_25lookback_scan_determinismE0ELb1ES3_N6thrust23THRUST_200600_302600_NS6detail15normal_iteratorINS9_10device_ptrIxEEEESE_SE_xNS9_4plusIxEE19head_flag_predicatexEE10hipError_tPvRmT2_T3_T4_T5_mT6_T7_P12ihipStream_tbENKUlT_T0_E_clISt17integral_constantIbLb1EESX_IbLb0EEEEDaST_SU_EUlST_E_NS1_11comp_targetILNS1_3genE2ELNS1_11target_archE906ELNS1_3gpuE6ELNS1_3repE0EEENS1_30default_config_static_selectorELNS0_4arch9wavefront6targetE0EEEvT1_,"axG",@progbits,_ZN7rocprim17ROCPRIM_400000_NS6detail17trampoline_kernelINS0_14default_configENS1_27scan_by_key_config_selectorIxxEEZZNS1_16scan_by_key_implILNS1_25lookback_scan_determinismE0ELb1ES3_N6thrust23THRUST_200600_302600_NS6detail15normal_iteratorINS9_10device_ptrIxEEEESE_SE_xNS9_4plusIxEE19head_flag_predicatexEE10hipError_tPvRmT2_T3_T4_T5_mT6_T7_P12ihipStream_tbENKUlT_T0_E_clISt17integral_constantIbLb1EESX_IbLb0EEEEDaST_SU_EUlST_E_NS1_11comp_targetILNS1_3genE2ELNS1_11target_archE906ELNS1_3gpuE6ELNS1_3repE0EEENS1_30default_config_static_selectorELNS0_4arch9wavefront6targetE0EEEvT1_,comdat
.Lfunc_end736:
	.size	_ZN7rocprim17ROCPRIM_400000_NS6detail17trampoline_kernelINS0_14default_configENS1_27scan_by_key_config_selectorIxxEEZZNS1_16scan_by_key_implILNS1_25lookback_scan_determinismE0ELb1ES3_N6thrust23THRUST_200600_302600_NS6detail15normal_iteratorINS9_10device_ptrIxEEEESE_SE_xNS9_4plusIxEE19head_flag_predicatexEE10hipError_tPvRmT2_T3_T4_T5_mT6_T7_P12ihipStream_tbENKUlT_T0_E_clISt17integral_constantIbLb1EESX_IbLb0EEEEDaST_SU_EUlST_E_NS1_11comp_targetILNS1_3genE2ELNS1_11target_archE906ELNS1_3gpuE6ELNS1_3repE0EEENS1_30default_config_static_selectorELNS0_4arch9wavefront6targetE0EEEvT1_, .Lfunc_end736-_ZN7rocprim17ROCPRIM_400000_NS6detail17trampoline_kernelINS0_14default_configENS1_27scan_by_key_config_selectorIxxEEZZNS1_16scan_by_key_implILNS1_25lookback_scan_determinismE0ELb1ES3_N6thrust23THRUST_200600_302600_NS6detail15normal_iteratorINS9_10device_ptrIxEEEESE_SE_xNS9_4plusIxEE19head_flag_predicatexEE10hipError_tPvRmT2_T3_T4_T5_mT6_T7_P12ihipStream_tbENKUlT_T0_E_clISt17integral_constantIbLb1EESX_IbLb0EEEEDaST_SU_EUlST_E_NS1_11comp_targetILNS1_3genE2ELNS1_11target_archE906ELNS1_3gpuE6ELNS1_3repE0EEENS1_30default_config_static_selectorELNS0_4arch9wavefront6targetE0EEEvT1_
                                        ; -- End function
	.set _ZN7rocprim17ROCPRIM_400000_NS6detail17trampoline_kernelINS0_14default_configENS1_27scan_by_key_config_selectorIxxEEZZNS1_16scan_by_key_implILNS1_25lookback_scan_determinismE0ELb1ES3_N6thrust23THRUST_200600_302600_NS6detail15normal_iteratorINS9_10device_ptrIxEEEESE_SE_xNS9_4plusIxEE19head_flag_predicatexEE10hipError_tPvRmT2_T3_T4_T5_mT6_T7_P12ihipStream_tbENKUlT_T0_E_clISt17integral_constantIbLb1EESX_IbLb0EEEEDaST_SU_EUlST_E_NS1_11comp_targetILNS1_3genE2ELNS1_11target_archE906ELNS1_3gpuE6ELNS1_3repE0EEENS1_30default_config_static_selectorELNS0_4arch9wavefront6targetE0EEEvT1_.num_vgpr, 0
	.set _ZN7rocprim17ROCPRIM_400000_NS6detail17trampoline_kernelINS0_14default_configENS1_27scan_by_key_config_selectorIxxEEZZNS1_16scan_by_key_implILNS1_25lookback_scan_determinismE0ELb1ES3_N6thrust23THRUST_200600_302600_NS6detail15normal_iteratorINS9_10device_ptrIxEEEESE_SE_xNS9_4plusIxEE19head_flag_predicatexEE10hipError_tPvRmT2_T3_T4_T5_mT6_T7_P12ihipStream_tbENKUlT_T0_E_clISt17integral_constantIbLb1EESX_IbLb0EEEEDaST_SU_EUlST_E_NS1_11comp_targetILNS1_3genE2ELNS1_11target_archE906ELNS1_3gpuE6ELNS1_3repE0EEENS1_30default_config_static_selectorELNS0_4arch9wavefront6targetE0EEEvT1_.num_agpr, 0
	.set _ZN7rocprim17ROCPRIM_400000_NS6detail17trampoline_kernelINS0_14default_configENS1_27scan_by_key_config_selectorIxxEEZZNS1_16scan_by_key_implILNS1_25lookback_scan_determinismE0ELb1ES3_N6thrust23THRUST_200600_302600_NS6detail15normal_iteratorINS9_10device_ptrIxEEEESE_SE_xNS9_4plusIxEE19head_flag_predicatexEE10hipError_tPvRmT2_T3_T4_T5_mT6_T7_P12ihipStream_tbENKUlT_T0_E_clISt17integral_constantIbLb1EESX_IbLb0EEEEDaST_SU_EUlST_E_NS1_11comp_targetILNS1_3genE2ELNS1_11target_archE906ELNS1_3gpuE6ELNS1_3repE0EEENS1_30default_config_static_selectorELNS0_4arch9wavefront6targetE0EEEvT1_.numbered_sgpr, 0
	.set _ZN7rocprim17ROCPRIM_400000_NS6detail17trampoline_kernelINS0_14default_configENS1_27scan_by_key_config_selectorIxxEEZZNS1_16scan_by_key_implILNS1_25lookback_scan_determinismE0ELb1ES3_N6thrust23THRUST_200600_302600_NS6detail15normal_iteratorINS9_10device_ptrIxEEEESE_SE_xNS9_4plusIxEE19head_flag_predicatexEE10hipError_tPvRmT2_T3_T4_T5_mT6_T7_P12ihipStream_tbENKUlT_T0_E_clISt17integral_constantIbLb1EESX_IbLb0EEEEDaST_SU_EUlST_E_NS1_11comp_targetILNS1_3genE2ELNS1_11target_archE906ELNS1_3gpuE6ELNS1_3repE0EEENS1_30default_config_static_selectorELNS0_4arch9wavefront6targetE0EEEvT1_.num_named_barrier, 0
	.set _ZN7rocprim17ROCPRIM_400000_NS6detail17trampoline_kernelINS0_14default_configENS1_27scan_by_key_config_selectorIxxEEZZNS1_16scan_by_key_implILNS1_25lookback_scan_determinismE0ELb1ES3_N6thrust23THRUST_200600_302600_NS6detail15normal_iteratorINS9_10device_ptrIxEEEESE_SE_xNS9_4plusIxEE19head_flag_predicatexEE10hipError_tPvRmT2_T3_T4_T5_mT6_T7_P12ihipStream_tbENKUlT_T0_E_clISt17integral_constantIbLb1EESX_IbLb0EEEEDaST_SU_EUlST_E_NS1_11comp_targetILNS1_3genE2ELNS1_11target_archE906ELNS1_3gpuE6ELNS1_3repE0EEENS1_30default_config_static_selectorELNS0_4arch9wavefront6targetE0EEEvT1_.private_seg_size, 0
	.set _ZN7rocprim17ROCPRIM_400000_NS6detail17trampoline_kernelINS0_14default_configENS1_27scan_by_key_config_selectorIxxEEZZNS1_16scan_by_key_implILNS1_25lookback_scan_determinismE0ELb1ES3_N6thrust23THRUST_200600_302600_NS6detail15normal_iteratorINS9_10device_ptrIxEEEESE_SE_xNS9_4plusIxEE19head_flag_predicatexEE10hipError_tPvRmT2_T3_T4_T5_mT6_T7_P12ihipStream_tbENKUlT_T0_E_clISt17integral_constantIbLb1EESX_IbLb0EEEEDaST_SU_EUlST_E_NS1_11comp_targetILNS1_3genE2ELNS1_11target_archE906ELNS1_3gpuE6ELNS1_3repE0EEENS1_30default_config_static_selectorELNS0_4arch9wavefront6targetE0EEEvT1_.uses_vcc, 0
	.set _ZN7rocprim17ROCPRIM_400000_NS6detail17trampoline_kernelINS0_14default_configENS1_27scan_by_key_config_selectorIxxEEZZNS1_16scan_by_key_implILNS1_25lookback_scan_determinismE0ELb1ES3_N6thrust23THRUST_200600_302600_NS6detail15normal_iteratorINS9_10device_ptrIxEEEESE_SE_xNS9_4plusIxEE19head_flag_predicatexEE10hipError_tPvRmT2_T3_T4_T5_mT6_T7_P12ihipStream_tbENKUlT_T0_E_clISt17integral_constantIbLb1EESX_IbLb0EEEEDaST_SU_EUlST_E_NS1_11comp_targetILNS1_3genE2ELNS1_11target_archE906ELNS1_3gpuE6ELNS1_3repE0EEENS1_30default_config_static_selectorELNS0_4arch9wavefront6targetE0EEEvT1_.uses_flat_scratch, 0
	.set _ZN7rocprim17ROCPRIM_400000_NS6detail17trampoline_kernelINS0_14default_configENS1_27scan_by_key_config_selectorIxxEEZZNS1_16scan_by_key_implILNS1_25lookback_scan_determinismE0ELb1ES3_N6thrust23THRUST_200600_302600_NS6detail15normal_iteratorINS9_10device_ptrIxEEEESE_SE_xNS9_4plusIxEE19head_flag_predicatexEE10hipError_tPvRmT2_T3_T4_T5_mT6_T7_P12ihipStream_tbENKUlT_T0_E_clISt17integral_constantIbLb1EESX_IbLb0EEEEDaST_SU_EUlST_E_NS1_11comp_targetILNS1_3genE2ELNS1_11target_archE906ELNS1_3gpuE6ELNS1_3repE0EEENS1_30default_config_static_selectorELNS0_4arch9wavefront6targetE0EEEvT1_.has_dyn_sized_stack, 0
	.set _ZN7rocprim17ROCPRIM_400000_NS6detail17trampoline_kernelINS0_14default_configENS1_27scan_by_key_config_selectorIxxEEZZNS1_16scan_by_key_implILNS1_25lookback_scan_determinismE0ELb1ES3_N6thrust23THRUST_200600_302600_NS6detail15normal_iteratorINS9_10device_ptrIxEEEESE_SE_xNS9_4plusIxEE19head_flag_predicatexEE10hipError_tPvRmT2_T3_T4_T5_mT6_T7_P12ihipStream_tbENKUlT_T0_E_clISt17integral_constantIbLb1EESX_IbLb0EEEEDaST_SU_EUlST_E_NS1_11comp_targetILNS1_3genE2ELNS1_11target_archE906ELNS1_3gpuE6ELNS1_3repE0EEENS1_30default_config_static_selectorELNS0_4arch9wavefront6targetE0EEEvT1_.has_recursion, 0
	.set _ZN7rocprim17ROCPRIM_400000_NS6detail17trampoline_kernelINS0_14default_configENS1_27scan_by_key_config_selectorIxxEEZZNS1_16scan_by_key_implILNS1_25lookback_scan_determinismE0ELb1ES3_N6thrust23THRUST_200600_302600_NS6detail15normal_iteratorINS9_10device_ptrIxEEEESE_SE_xNS9_4plusIxEE19head_flag_predicatexEE10hipError_tPvRmT2_T3_T4_T5_mT6_T7_P12ihipStream_tbENKUlT_T0_E_clISt17integral_constantIbLb1EESX_IbLb0EEEEDaST_SU_EUlST_E_NS1_11comp_targetILNS1_3genE2ELNS1_11target_archE906ELNS1_3gpuE6ELNS1_3repE0EEENS1_30default_config_static_selectorELNS0_4arch9wavefront6targetE0EEEvT1_.has_indirect_call, 0
	.section	.AMDGPU.csdata,"",@progbits
; Kernel info:
; codeLenInByte = 0
; TotalNumSgprs: 0
; NumVgprs: 0
; ScratchSize: 0
; MemoryBound: 0
; FloatMode: 240
; IeeeMode: 1
; LDSByteSize: 0 bytes/workgroup (compile time only)
; SGPRBlocks: 0
; VGPRBlocks: 0
; NumSGPRsForWavesPerEU: 1
; NumVGPRsForWavesPerEU: 1
; Occupancy: 16
; WaveLimiterHint : 0
; COMPUTE_PGM_RSRC2:SCRATCH_EN: 0
; COMPUTE_PGM_RSRC2:USER_SGPR: 6
; COMPUTE_PGM_RSRC2:TRAP_HANDLER: 0
; COMPUTE_PGM_RSRC2:TGID_X_EN: 1
; COMPUTE_PGM_RSRC2:TGID_Y_EN: 0
; COMPUTE_PGM_RSRC2:TGID_Z_EN: 0
; COMPUTE_PGM_RSRC2:TIDIG_COMP_CNT: 0
	.section	.text._ZN7rocprim17ROCPRIM_400000_NS6detail17trampoline_kernelINS0_14default_configENS1_27scan_by_key_config_selectorIxxEEZZNS1_16scan_by_key_implILNS1_25lookback_scan_determinismE0ELb1ES3_N6thrust23THRUST_200600_302600_NS6detail15normal_iteratorINS9_10device_ptrIxEEEESE_SE_xNS9_4plusIxEE19head_flag_predicatexEE10hipError_tPvRmT2_T3_T4_T5_mT6_T7_P12ihipStream_tbENKUlT_T0_E_clISt17integral_constantIbLb1EESX_IbLb0EEEEDaST_SU_EUlST_E_NS1_11comp_targetILNS1_3genE10ELNS1_11target_archE1200ELNS1_3gpuE4ELNS1_3repE0EEENS1_30default_config_static_selectorELNS0_4arch9wavefront6targetE0EEEvT1_,"axG",@progbits,_ZN7rocprim17ROCPRIM_400000_NS6detail17trampoline_kernelINS0_14default_configENS1_27scan_by_key_config_selectorIxxEEZZNS1_16scan_by_key_implILNS1_25lookback_scan_determinismE0ELb1ES3_N6thrust23THRUST_200600_302600_NS6detail15normal_iteratorINS9_10device_ptrIxEEEESE_SE_xNS9_4plusIxEE19head_flag_predicatexEE10hipError_tPvRmT2_T3_T4_T5_mT6_T7_P12ihipStream_tbENKUlT_T0_E_clISt17integral_constantIbLb1EESX_IbLb0EEEEDaST_SU_EUlST_E_NS1_11comp_targetILNS1_3genE10ELNS1_11target_archE1200ELNS1_3gpuE4ELNS1_3repE0EEENS1_30default_config_static_selectorELNS0_4arch9wavefront6targetE0EEEvT1_,comdat
	.protected	_ZN7rocprim17ROCPRIM_400000_NS6detail17trampoline_kernelINS0_14default_configENS1_27scan_by_key_config_selectorIxxEEZZNS1_16scan_by_key_implILNS1_25lookback_scan_determinismE0ELb1ES3_N6thrust23THRUST_200600_302600_NS6detail15normal_iteratorINS9_10device_ptrIxEEEESE_SE_xNS9_4plusIxEE19head_flag_predicatexEE10hipError_tPvRmT2_T3_T4_T5_mT6_T7_P12ihipStream_tbENKUlT_T0_E_clISt17integral_constantIbLb1EESX_IbLb0EEEEDaST_SU_EUlST_E_NS1_11comp_targetILNS1_3genE10ELNS1_11target_archE1200ELNS1_3gpuE4ELNS1_3repE0EEENS1_30default_config_static_selectorELNS0_4arch9wavefront6targetE0EEEvT1_ ; -- Begin function _ZN7rocprim17ROCPRIM_400000_NS6detail17trampoline_kernelINS0_14default_configENS1_27scan_by_key_config_selectorIxxEEZZNS1_16scan_by_key_implILNS1_25lookback_scan_determinismE0ELb1ES3_N6thrust23THRUST_200600_302600_NS6detail15normal_iteratorINS9_10device_ptrIxEEEESE_SE_xNS9_4plusIxEE19head_flag_predicatexEE10hipError_tPvRmT2_T3_T4_T5_mT6_T7_P12ihipStream_tbENKUlT_T0_E_clISt17integral_constantIbLb1EESX_IbLb0EEEEDaST_SU_EUlST_E_NS1_11comp_targetILNS1_3genE10ELNS1_11target_archE1200ELNS1_3gpuE4ELNS1_3repE0EEENS1_30default_config_static_selectorELNS0_4arch9wavefront6targetE0EEEvT1_
	.globl	_ZN7rocprim17ROCPRIM_400000_NS6detail17trampoline_kernelINS0_14default_configENS1_27scan_by_key_config_selectorIxxEEZZNS1_16scan_by_key_implILNS1_25lookback_scan_determinismE0ELb1ES3_N6thrust23THRUST_200600_302600_NS6detail15normal_iteratorINS9_10device_ptrIxEEEESE_SE_xNS9_4plusIxEE19head_flag_predicatexEE10hipError_tPvRmT2_T3_T4_T5_mT6_T7_P12ihipStream_tbENKUlT_T0_E_clISt17integral_constantIbLb1EESX_IbLb0EEEEDaST_SU_EUlST_E_NS1_11comp_targetILNS1_3genE10ELNS1_11target_archE1200ELNS1_3gpuE4ELNS1_3repE0EEENS1_30default_config_static_selectorELNS0_4arch9wavefront6targetE0EEEvT1_
	.p2align	8
	.type	_ZN7rocprim17ROCPRIM_400000_NS6detail17trampoline_kernelINS0_14default_configENS1_27scan_by_key_config_selectorIxxEEZZNS1_16scan_by_key_implILNS1_25lookback_scan_determinismE0ELb1ES3_N6thrust23THRUST_200600_302600_NS6detail15normal_iteratorINS9_10device_ptrIxEEEESE_SE_xNS9_4plusIxEE19head_flag_predicatexEE10hipError_tPvRmT2_T3_T4_T5_mT6_T7_P12ihipStream_tbENKUlT_T0_E_clISt17integral_constantIbLb1EESX_IbLb0EEEEDaST_SU_EUlST_E_NS1_11comp_targetILNS1_3genE10ELNS1_11target_archE1200ELNS1_3gpuE4ELNS1_3repE0EEENS1_30default_config_static_selectorELNS0_4arch9wavefront6targetE0EEEvT1_,@function
_ZN7rocprim17ROCPRIM_400000_NS6detail17trampoline_kernelINS0_14default_configENS1_27scan_by_key_config_selectorIxxEEZZNS1_16scan_by_key_implILNS1_25lookback_scan_determinismE0ELb1ES3_N6thrust23THRUST_200600_302600_NS6detail15normal_iteratorINS9_10device_ptrIxEEEESE_SE_xNS9_4plusIxEE19head_flag_predicatexEE10hipError_tPvRmT2_T3_T4_T5_mT6_T7_P12ihipStream_tbENKUlT_T0_E_clISt17integral_constantIbLb1EESX_IbLb0EEEEDaST_SU_EUlST_E_NS1_11comp_targetILNS1_3genE10ELNS1_11target_archE1200ELNS1_3gpuE4ELNS1_3repE0EEENS1_30default_config_static_selectorELNS0_4arch9wavefront6targetE0EEEvT1_: ; @_ZN7rocprim17ROCPRIM_400000_NS6detail17trampoline_kernelINS0_14default_configENS1_27scan_by_key_config_selectorIxxEEZZNS1_16scan_by_key_implILNS1_25lookback_scan_determinismE0ELb1ES3_N6thrust23THRUST_200600_302600_NS6detail15normal_iteratorINS9_10device_ptrIxEEEESE_SE_xNS9_4plusIxEE19head_flag_predicatexEE10hipError_tPvRmT2_T3_T4_T5_mT6_T7_P12ihipStream_tbENKUlT_T0_E_clISt17integral_constantIbLb1EESX_IbLb0EEEEDaST_SU_EUlST_E_NS1_11comp_targetILNS1_3genE10ELNS1_11target_archE1200ELNS1_3gpuE4ELNS1_3repE0EEENS1_30default_config_static_selectorELNS0_4arch9wavefront6targetE0EEEvT1_
; %bb.0:
	.section	.rodata,"a",@progbits
	.p2align	6, 0x0
	.amdhsa_kernel _ZN7rocprim17ROCPRIM_400000_NS6detail17trampoline_kernelINS0_14default_configENS1_27scan_by_key_config_selectorIxxEEZZNS1_16scan_by_key_implILNS1_25lookback_scan_determinismE0ELb1ES3_N6thrust23THRUST_200600_302600_NS6detail15normal_iteratorINS9_10device_ptrIxEEEESE_SE_xNS9_4plusIxEE19head_flag_predicatexEE10hipError_tPvRmT2_T3_T4_T5_mT6_T7_P12ihipStream_tbENKUlT_T0_E_clISt17integral_constantIbLb1EESX_IbLb0EEEEDaST_SU_EUlST_E_NS1_11comp_targetILNS1_3genE10ELNS1_11target_archE1200ELNS1_3gpuE4ELNS1_3repE0EEENS1_30default_config_static_selectorELNS0_4arch9wavefront6targetE0EEEvT1_
		.amdhsa_group_segment_fixed_size 0
		.amdhsa_private_segment_fixed_size 0
		.amdhsa_kernarg_size 136
		.amdhsa_user_sgpr_count 6
		.amdhsa_user_sgpr_private_segment_buffer 1
		.amdhsa_user_sgpr_dispatch_ptr 0
		.amdhsa_user_sgpr_queue_ptr 0
		.amdhsa_user_sgpr_kernarg_segment_ptr 1
		.amdhsa_user_sgpr_dispatch_id 0
		.amdhsa_user_sgpr_flat_scratch_init 0
		.amdhsa_user_sgpr_private_segment_size 0
		.amdhsa_wavefront_size32 1
		.amdhsa_uses_dynamic_stack 0
		.amdhsa_system_sgpr_private_segment_wavefront_offset 0
		.amdhsa_system_sgpr_workgroup_id_x 1
		.amdhsa_system_sgpr_workgroup_id_y 0
		.amdhsa_system_sgpr_workgroup_id_z 0
		.amdhsa_system_sgpr_workgroup_info 0
		.amdhsa_system_vgpr_workitem_id 0
		.amdhsa_next_free_vgpr 1
		.amdhsa_next_free_sgpr 1
		.amdhsa_reserve_vcc 0
		.amdhsa_reserve_flat_scratch 0
		.amdhsa_float_round_mode_32 0
		.amdhsa_float_round_mode_16_64 0
		.amdhsa_float_denorm_mode_32 3
		.amdhsa_float_denorm_mode_16_64 3
		.amdhsa_dx10_clamp 1
		.amdhsa_ieee_mode 1
		.amdhsa_fp16_overflow 0
		.amdhsa_workgroup_processor_mode 1
		.amdhsa_memory_ordered 1
		.amdhsa_forward_progress 1
		.amdhsa_shared_vgpr_count 0
		.amdhsa_exception_fp_ieee_invalid_op 0
		.amdhsa_exception_fp_denorm_src 0
		.amdhsa_exception_fp_ieee_div_zero 0
		.amdhsa_exception_fp_ieee_overflow 0
		.amdhsa_exception_fp_ieee_underflow 0
		.amdhsa_exception_fp_ieee_inexact 0
		.amdhsa_exception_int_div_zero 0
	.end_amdhsa_kernel
	.section	.text._ZN7rocprim17ROCPRIM_400000_NS6detail17trampoline_kernelINS0_14default_configENS1_27scan_by_key_config_selectorIxxEEZZNS1_16scan_by_key_implILNS1_25lookback_scan_determinismE0ELb1ES3_N6thrust23THRUST_200600_302600_NS6detail15normal_iteratorINS9_10device_ptrIxEEEESE_SE_xNS9_4plusIxEE19head_flag_predicatexEE10hipError_tPvRmT2_T3_T4_T5_mT6_T7_P12ihipStream_tbENKUlT_T0_E_clISt17integral_constantIbLb1EESX_IbLb0EEEEDaST_SU_EUlST_E_NS1_11comp_targetILNS1_3genE10ELNS1_11target_archE1200ELNS1_3gpuE4ELNS1_3repE0EEENS1_30default_config_static_selectorELNS0_4arch9wavefront6targetE0EEEvT1_,"axG",@progbits,_ZN7rocprim17ROCPRIM_400000_NS6detail17trampoline_kernelINS0_14default_configENS1_27scan_by_key_config_selectorIxxEEZZNS1_16scan_by_key_implILNS1_25lookback_scan_determinismE0ELb1ES3_N6thrust23THRUST_200600_302600_NS6detail15normal_iteratorINS9_10device_ptrIxEEEESE_SE_xNS9_4plusIxEE19head_flag_predicatexEE10hipError_tPvRmT2_T3_T4_T5_mT6_T7_P12ihipStream_tbENKUlT_T0_E_clISt17integral_constantIbLb1EESX_IbLb0EEEEDaST_SU_EUlST_E_NS1_11comp_targetILNS1_3genE10ELNS1_11target_archE1200ELNS1_3gpuE4ELNS1_3repE0EEENS1_30default_config_static_selectorELNS0_4arch9wavefront6targetE0EEEvT1_,comdat
.Lfunc_end737:
	.size	_ZN7rocprim17ROCPRIM_400000_NS6detail17trampoline_kernelINS0_14default_configENS1_27scan_by_key_config_selectorIxxEEZZNS1_16scan_by_key_implILNS1_25lookback_scan_determinismE0ELb1ES3_N6thrust23THRUST_200600_302600_NS6detail15normal_iteratorINS9_10device_ptrIxEEEESE_SE_xNS9_4plusIxEE19head_flag_predicatexEE10hipError_tPvRmT2_T3_T4_T5_mT6_T7_P12ihipStream_tbENKUlT_T0_E_clISt17integral_constantIbLb1EESX_IbLb0EEEEDaST_SU_EUlST_E_NS1_11comp_targetILNS1_3genE10ELNS1_11target_archE1200ELNS1_3gpuE4ELNS1_3repE0EEENS1_30default_config_static_selectorELNS0_4arch9wavefront6targetE0EEEvT1_, .Lfunc_end737-_ZN7rocprim17ROCPRIM_400000_NS6detail17trampoline_kernelINS0_14default_configENS1_27scan_by_key_config_selectorIxxEEZZNS1_16scan_by_key_implILNS1_25lookback_scan_determinismE0ELb1ES3_N6thrust23THRUST_200600_302600_NS6detail15normal_iteratorINS9_10device_ptrIxEEEESE_SE_xNS9_4plusIxEE19head_flag_predicatexEE10hipError_tPvRmT2_T3_T4_T5_mT6_T7_P12ihipStream_tbENKUlT_T0_E_clISt17integral_constantIbLb1EESX_IbLb0EEEEDaST_SU_EUlST_E_NS1_11comp_targetILNS1_3genE10ELNS1_11target_archE1200ELNS1_3gpuE4ELNS1_3repE0EEENS1_30default_config_static_selectorELNS0_4arch9wavefront6targetE0EEEvT1_
                                        ; -- End function
	.set _ZN7rocprim17ROCPRIM_400000_NS6detail17trampoline_kernelINS0_14default_configENS1_27scan_by_key_config_selectorIxxEEZZNS1_16scan_by_key_implILNS1_25lookback_scan_determinismE0ELb1ES3_N6thrust23THRUST_200600_302600_NS6detail15normal_iteratorINS9_10device_ptrIxEEEESE_SE_xNS9_4plusIxEE19head_flag_predicatexEE10hipError_tPvRmT2_T3_T4_T5_mT6_T7_P12ihipStream_tbENKUlT_T0_E_clISt17integral_constantIbLb1EESX_IbLb0EEEEDaST_SU_EUlST_E_NS1_11comp_targetILNS1_3genE10ELNS1_11target_archE1200ELNS1_3gpuE4ELNS1_3repE0EEENS1_30default_config_static_selectorELNS0_4arch9wavefront6targetE0EEEvT1_.num_vgpr, 0
	.set _ZN7rocprim17ROCPRIM_400000_NS6detail17trampoline_kernelINS0_14default_configENS1_27scan_by_key_config_selectorIxxEEZZNS1_16scan_by_key_implILNS1_25lookback_scan_determinismE0ELb1ES3_N6thrust23THRUST_200600_302600_NS6detail15normal_iteratorINS9_10device_ptrIxEEEESE_SE_xNS9_4plusIxEE19head_flag_predicatexEE10hipError_tPvRmT2_T3_T4_T5_mT6_T7_P12ihipStream_tbENKUlT_T0_E_clISt17integral_constantIbLb1EESX_IbLb0EEEEDaST_SU_EUlST_E_NS1_11comp_targetILNS1_3genE10ELNS1_11target_archE1200ELNS1_3gpuE4ELNS1_3repE0EEENS1_30default_config_static_selectorELNS0_4arch9wavefront6targetE0EEEvT1_.num_agpr, 0
	.set _ZN7rocprim17ROCPRIM_400000_NS6detail17trampoline_kernelINS0_14default_configENS1_27scan_by_key_config_selectorIxxEEZZNS1_16scan_by_key_implILNS1_25lookback_scan_determinismE0ELb1ES3_N6thrust23THRUST_200600_302600_NS6detail15normal_iteratorINS9_10device_ptrIxEEEESE_SE_xNS9_4plusIxEE19head_flag_predicatexEE10hipError_tPvRmT2_T3_T4_T5_mT6_T7_P12ihipStream_tbENKUlT_T0_E_clISt17integral_constantIbLb1EESX_IbLb0EEEEDaST_SU_EUlST_E_NS1_11comp_targetILNS1_3genE10ELNS1_11target_archE1200ELNS1_3gpuE4ELNS1_3repE0EEENS1_30default_config_static_selectorELNS0_4arch9wavefront6targetE0EEEvT1_.numbered_sgpr, 0
	.set _ZN7rocprim17ROCPRIM_400000_NS6detail17trampoline_kernelINS0_14default_configENS1_27scan_by_key_config_selectorIxxEEZZNS1_16scan_by_key_implILNS1_25lookback_scan_determinismE0ELb1ES3_N6thrust23THRUST_200600_302600_NS6detail15normal_iteratorINS9_10device_ptrIxEEEESE_SE_xNS9_4plusIxEE19head_flag_predicatexEE10hipError_tPvRmT2_T3_T4_T5_mT6_T7_P12ihipStream_tbENKUlT_T0_E_clISt17integral_constantIbLb1EESX_IbLb0EEEEDaST_SU_EUlST_E_NS1_11comp_targetILNS1_3genE10ELNS1_11target_archE1200ELNS1_3gpuE4ELNS1_3repE0EEENS1_30default_config_static_selectorELNS0_4arch9wavefront6targetE0EEEvT1_.num_named_barrier, 0
	.set _ZN7rocprim17ROCPRIM_400000_NS6detail17trampoline_kernelINS0_14default_configENS1_27scan_by_key_config_selectorIxxEEZZNS1_16scan_by_key_implILNS1_25lookback_scan_determinismE0ELb1ES3_N6thrust23THRUST_200600_302600_NS6detail15normal_iteratorINS9_10device_ptrIxEEEESE_SE_xNS9_4plusIxEE19head_flag_predicatexEE10hipError_tPvRmT2_T3_T4_T5_mT6_T7_P12ihipStream_tbENKUlT_T0_E_clISt17integral_constantIbLb1EESX_IbLb0EEEEDaST_SU_EUlST_E_NS1_11comp_targetILNS1_3genE10ELNS1_11target_archE1200ELNS1_3gpuE4ELNS1_3repE0EEENS1_30default_config_static_selectorELNS0_4arch9wavefront6targetE0EEEvT1_.private_seg_size, 0
	.set _ZN7rocprim17ROCPRIM_400000_NS6detail17trampoline_kernelINS0_14default_configENS1_27scan_by_key_config_selectorIxxEEZZNS1_16scan_by_key_implILNS1_25lookback_scan_determinismE0ELb1ES3_N6thrust23THRUST_200600_302600_NS6detail15normal_iteratorINS9_10device_ptrIxEEEESE_SE_xNS9_4plusIxEE19head_flag_predicatexEE10hipError_tPvRmT2_T3_T4_T5_mT6_T7_P12ihipStream_tbENKUlT_T0_E_clISt17integral_constantIbLb1EESX_IbLb0EEEEDaST_SU_EUlST_E_NS1_11comp_targetILNS1_3genE10ELNS1_11target_archE1200ELNS1_3gpuE4ELNS1_3repE0EEENS1_30default_config_static_selectorELNS0_4arch9wavefront6targetE0EEEvT1_.uses_vcc, 0
	.set _ZN7rocprim17ROCPRIM_400000_NS6detail17trampoline_kernelINS0_14default_configENS1_27scan_by_key_config_selectorIxxEEZZNS1_16scan_by_key_implILNS1_25lookback_scan_determinismE0ELb1ES3_N6thrust23THRUST_200600_302600_NS6detail15normal_iteratorINS9_10device_ptrIxEEEESE_SE_xNS9_4plusIxEE19head_flag_predicatexEE10hipError_tPvRmT2_T3_T4_T5_mT6_T7_P12ihipStream_tbENKUlT_T0_E_clISt17integral_constantIbLb1EESX_IbLb0EEEEDaST_SU_EUlST_E_NS1_11comp_targetILNS1_3genE10ELNS1_11target_archE1200ELNS1_3gpuE4ELNS1_3repE0EEENS1_30default_config_static_selectorELNS0_4arch9wavefront6targetE0EEEvT1_.uses_flat_scratch, 0
	.set _ZN7rocprim17ROCPRIM_400000_NS6detail17trampoline_kernelINS0_14default_configENS1_27scan_by_key_config_selectorIxxEEZZNS1_16scan_by_key_implILNS1_25lookback_scan_determinismE0ELb1ES3_N6thrust23THRUST_200600_302600_NS6detail15normal_iteratorINS9_10device_ptrIxEEEESE_SE_xNS9_4plusIxEE19head_flag_predicatexEE10hipError_tPvRmT2_T3_T4_T5_mT6_T7_P12ihipStream_tbENKUlT_T0_E_clISt17integral_constantIbLb1EESX_IbLb0EEEEDaST_SU_EUlST_E_NS1_11comp_targetILNS1_3genE10ELNS1_11target_archE1200ELNS1_3gpuE4ELNS1_3repE0EEENS1_30default_config_static_selectorELNS0_4arch9wavefront6targetE0EEEvT1_.has_dyn_sized_stack, 0
	.set _ZN7rocprim17ROCPRIM_400000_NS6detail17trampoline_kernelINS0_14default_configENS1_27scan_by_key_config_selectorIxxEEZZNS1_16scan_by_key_implILNS1_25lookback_scan_determinismE0ELb1ES3_N6thrust23THRUST_200600_302600_NS6detail15normal_iteratorINS9_10device_ptrIxEEEESE_SE_xNS9_4plusIxEE19head_flag_predicatexEE10hipError_tPvRmT2_T3_T4_T5_mT6_T7_P12ihipStream_tbENKUlT_T0_E_clISt17integral_constantIbLb1EESX_IbLb0EEEEDaST_SU_EUlST_E_NS1_11comp_targetILNS1_3genE10ELNS1_11target_archE1200ELNS1_3gpuE4ELNS1_3repE0EEENS1_30default_config_static_selectorELNS0_4arch9wavefront6targetE0EEEvT1_.has_recursion, 0
	.set _ZN7rocprim17ROCPRIM_400000_NS6detail17trampoline_kernelINS0_14default_configENS1_27scan_by_key_config_selectorIxxEEZZNS1_16scan_by_key_implILNS1_25lookback_scan_determinismE0ELb1ES3_N6thrust23THRUST_200600_302600_NS6detail15normal_iteratorINS9_10device_ptrIxEEEESE_SE_xNS9_4plusIxEE19head_flag_predicatexEE10hipError_tPvRmT2_T3_T4_T5_mT6_T7_P12ihipStream_tbENKUlT_T0_E_clISt17integral_constantIbLb1EESX_IbLb0EEEEDaST_SU_EUlST_E_NS1_11comp_targetILNS1_3genE10ELNS1_11target_archE1200ELNS1_3gpuE4ELNS1_3repE0EEENS1_30default_config_static_selectorELNS0_4arch9wavefront6targetE0EEEvT1_.has_indirect_call, 0
	.section	.AMDGPU.csdata,"",@progbits
; Kernel info:
; codeLenInByte = 0
; TotalNumSgprs: 0
; NumVgprs: 0
; ScratchSize: 0
; MemoryBound: 0
; FloatMode: 240
; IeeeMode: 1
; LDSByteSize: 0 bytes/workgroup (compile time only)
; SGPRBlocks: 0
; VGPRBlocks: 0
; NumSGPRsForWavesPerEU: 1
; NumVGPRsForWavesPerEU: 1
; Occupancy: 16
; WaveLimiterHint : 0
; COMPUTE_PGM_RSRC2:SCRATCH_EN: 0
; COMPUTE_PGM_RSRC2:USER_SGPR: 6
; COMPUTE_PGM_RSRC2:TRAP_HANDLER: 0
; COMPUTE_PGM_RSRC2:TGID_X_EN: 1
; COMPUTE_PGM_RSRC2:TGID_Y_EN: 0
; COMPUTE_PGM_RSRC2:TGID_Z_EN: 0
; COMPUTE_PGM_RSRC2:TIDIG_COMP_CNT: 0
	.section	.text._ZN7rocprim17ROCPRIM_400000_NS6detail17trampoline_kernelINS0_14default_configENS1_27scan_by_key_config_selectorIxxEEZZNS1_16scan_by_key_implILNS1_25lookback_scan_determinismE0ELb1ES3_N6thrust23THRUST_200600_302600_NS6detail15normal_iteratorINS9_10device_ptrIxEEEESE_SE_xNS9_4plusIxEE19head_flag_predicatexEE10hipError_tPvRmT2_T3_T4_T5_mT6_T7_P12ihipStream_tbENKUlT_T0_E_clISt17integral_constantIbLb1EESX_IbLb0EEEEDaST_SU_EUlST_E_NS1_11comp_targetILNS1_3genE9ELNS1_11target_archE1100ELNS1_3gpuE3ELNS1_3repE0EEENS1_30default_config_static_selectorELNS0_4arch9wavefront6targetE0EEEvT1_,"axG",@progbits,_ZN7rocprim17ROCPRIM_400000_NS6detail17trampoline_kernelINS0_14default_configENS1_27scan_by_key_config_selectorIxxEEZZNS1_16scan_by_key_implILNS1_25lookback_scan_determinismE0ELb1ES3_N6thrust23THRUST_200600_302600_NS6detail15normal_iteratorINS9_10device_ptrIxEEEESE_SE_xNS9_4plusIxEE19head_flag_predicatexEE10hipError_tPvRmT2_T3_T4_T5_mT6_T7_P12ihipStream_tbENKUlT_T0_E_clISt17integral_constantIbLb1EESX_IbLb0EEEEDaST_SU_EUlST_E_NS1_11comp_targetILNS1_3genE9ELNS1_11target_archE1100ELNS1_3gpuE3ELNS1_3repE0EEENS1_30default_config_static_selectorELNS0_4arch9wavefront6targetE0EEEvT1_,comdat
	.protected	_ZN7rocprim17ROCPRIM_400000_NS6detail17trampoline_kernelINS0_14default_configENS1_27scan_by_key_config_selectorIxxEEZZNS1_16scan_by_key_implILNS1_25lookback_scan_determinismE0ELb1ES3_N6thrust23THRUST_200600_302600_NS6detail15normal_iteratorINS9_10device_ptrIxEEEESE_SE_xNS9_4plusIxEE19head_flag_predicatexEE10hipError_tPvRmT2_T3_T4_T5_mT6_T7_P12ihipStream_tbENKUlT_T0_E_clISt17integral_constantIbLb1EESX_IbLb0EEEEDaST_SU_EUlST_E_NS1_11comp_targetILNS1_3genE9ELNS1_11target_archE1100ELNS1_3gpuE3ELNS1_3repE0EEENS1_30default_config_static_selectorELNS0_4arch9wavefront6targetE0EEEvT1_ ; -- Begin function _ZN7rocprim17ROCPRIM_400000_NS6detail17trampoline_kernelINS0_14default_configENS1_27scan_by_key_config_selectorIxxEEZZNS1_16scan_by_key_implILNS1_25lookback_scan_determinismE0ELb1ES3_N6thrust23THRUST_200600_302600_NS6detail15normal_iteratorINS9_10device_ptrIxEEEESE_SE_xNS9_4plusIxEE19head_flag_predicatexEE10hipError_tPvRmT2_T3_T4_T5_mT6_T7_P12ihipStream_tbENKUlT_T0_E_clISt17integral_constantIbLb1EESX_IbLb0EEEEDaST_SU_EUlST_E_NS1_11comp_targetILNS1_3genE9ELNS1_11target_archE1100ELNS1_3gpuE3ELNS1_3repE0EEENS1_30default_config_static_selectorELNS0_4arch9wavefront6targetE0EEEvT1_
	.globl	_ZN7rocprim17ROCPRIM_400000_NS6detail17trampoline_kernelINS0_14default_configENS1_27scan_by_key_config_selectorIxxEEZZNS1_16scan_by_key_implILNS1_25lookback_scan_determinismE0ELb1ES3_N6thrust23THRUST_200600_302600_NS6detail15normal_iteratorINS9_10device_ptrIxEEEESE_SE_xNS9_4plusIxEE19head_flag_predicatexEE10hipError_tPvRmT2_T3_T4_T5_mT6_T7_P12ihipStream_tbENKUlT_T0_E_clISt17integral_constantIbLb1EESX_IbLb0EEEEDaST_SU_EUlST_E_NS1_11comp_targetILNS1_3genE9ELNS1_11target_archE1100ELNS1_3gpuE3ELNS1_3repE0EEENS1_30default_config_static_selectorELNS0_4arch9wavefront6targetE0EEEvT1_
	.p2align	8
	.type	_ZN7rocprim17ROCPRIM_400000_NS6detail17trampoline_kernelINS0_14default_configENS1_27scan_by_key_config_selectorIxxEEZZNS1_16scan_by_key_implILNS1_25lookback_scan_determinismE0ELb1ES3_N6thrust23THRUST_200600_302600_NS6detail15normal_iteratorINS9_10device_ptrIxEEEESE_SE_xNS9_4plusIxEE19head_flag_predicatexEE10hipError_tPvRmT2_T3_T4_T5_mT6_T7_P12ihipStream_tbENKUlT_T0_E_clISt17integral_constantIbLb1EESX_IbLb0EEEEDaST_SU_EUlST_E_NS1_11comp_targetILNS1_3genE9ELNS1_11target_archE1100ELNS1_3gpuE3ELNS1_3repE0EEENS1_30default_config_static_selectorELNS0_4arch9wavefront6targetE0EEEvT1_,@function
_ZN7rocprim17ROCPRIM_400000_NS6detail17trampoline_kernelINS0_14default_configENS1_27scan_by_key_config_selectorIxxEEZZNS1_16scan_by_key_implILNS1_25lookback_scan_determinismE0ELb1ES3_N6thrust23THRUST_200600_302600_NS6detail15normal_iteratorINS9_10device_ptrIxEEEESE_SE_xNS9_4plusIxEE19head_flag_predicatexEE10hipError_tPvRmT2_T3_T4_T5_mT6_T7_P12ihipStream_tbENKUlT_T0_E_clISt17integral_constantIbLb1EESX_IbLb0EEEEDaST_SU_EUlST_E_NS1_11comp_targetILNS1_3genE9ELNS1_11target_archE1100ELNS1_3gpuE3ELNS1_3repE0EEENS1_30default_config_static_selectorELNS0_4arch9wavefront6targetE0EEEvT1_: ; @_ZN7rocprim17ROCPRIM_400000_NS6detail17trampoline_kernelINS0_14default_configENS1_27scan_by_key_config_selectorIxxEEZZNS1_16scan_by_key_implILNS1_25lookback_scan_determinismE0ELb1ES3_N6thrust23THRUST_200600_302600_NS6detail15normal_iteratorINS9_10device_ptrIxEEEESE_SE_xNS9_4plusIxEE19head_flag_predicatexEE10hipError_tPvRmT2_T3_T4_T5_mT6_T7_P12ihipStream_tbENKUlT_T0_E_clISt17integral_constantIbLb1EESX_IbLb0EEEEDaST_SU_EUlST_E_NS1_11comp_targetILNS1_3genE9ELNS1_11target_archE1100ELNS1_3gpuE3ELNS1_3repE0EEENS1_30default_config_static_selectorELNS0_4arch9wavefront6targetE0EEEvT1_
; %bb.0:
	.section	.rodata,"a",@progbits
	.p2align	6, 0x0
	.amdhsa_kernel _ZN7rocprim17ROCPRIM_400000_NS6detail17trampoline_kernelINS0_14default_configENS1_27scan_by_key_config_selectorIxxEEZZNS1_16scan_by_key_implILNS1_25lookback_scan_determinismE0ELb1ES3_N6thrust23THRUST_200600_302600_NS6detail15normal_iteratorINS9_10device_ptrIxEEEESE_SE_xNS9_4plusIxEE19head_flag_predicatexEE10hipError_tPvRmT2_T3_T4_T5_mT6_T7_P12ihipStream_tbENKUlT_T0_E_clISt17integral_constantIbLb1EESX_IbLb0EEEEDaST_SU_EUlST_E_NS1_11comp_targetILNS1_3genE9ELNS1_11target_archE1100ELNS1_3gpuE3ELNS1_3repE0EEENS1_30default_config_static_selectorELNS0_4arch9wavefront6targetE0EEEvT1_
		.amdhsa_group_segment_fixed_size 0
		.amdhsa_private_segment_fixed_size 0
		.amdhsa_kernarg_size 136
		.amdhsa_user_sgpr_count 6
		.amdhsa_user_sgpr_private_segment_buffer 1
		.amdhsa_user_sgpr_dispatch_ptr 0
		.amdhsa_user_sgpr_queue_ptr 0
		.amdhsa_user_sgpr_kernarg_segment_ptr 1
		.amdhsa_user_sgpr_dispatch_id 0
		.amdhsa_user_sgpr_flat_scratch_init 0
		.amdhsa_user_sgpr_private_segment_size 0
		.amdhsa_wavefront_size32 1
		.amdhsa_uses_dynamic_stack 0
		.amdhsa_system_sgpr_private_segment_wavefront_offset 0
		.amdhsa_system_sgpr_workgroup_id_x 1
		.amdhsa_system_sgpr_workgroup_id_y 0
		.amdhsa_system_sgpr_workgroup_id_z 0
		.amdhsa_system_sgpr_workgroup_info 0
		.amdhsa_system_vgpr_workitem_id 0
		.amdhsa_next_free_vgpr 1
		.amdhsa_next_free_sgpr 1
		.amdhsa_reserve_vcc 0
		.amdhsa_reserve_flat_scratch 0
		.amdhsa_float_round_mode_32 0
		.amdhsa_float_round_mode_16_64 0
		.amdhsa_float_denorm_mode_32 3
		.amdhsa_float_denorm_mode_16_64 3
		.amdhsa_dx10_clamp 1
		.amdhsa_ieee_mode 1
		.amdhsa_fp16_overflow 0
		.amdhsa_workgroup_processor_mode 1
		.amdhsa_memory_ordered 1
		.amdhsa_forward_progress 1
		.amdhsa_shared_vgpr_count 0
		.amdhsa_exception_fp_ieee_invalid_op 0
		.amdhsa_exception_fp_denorm_src 0
		.amdhsa_exception_fp_ieee_div_zero 0
		.amdhsa_exception_fp_ieee_overflow 0
		.amdhsa_exception_fp_ieee_underflow 0
		.amdhsa_exception_fp_ieee_inexact 0
		.amdhsa_exception_int_div_zero 0
	.end_amdhsa_kernel
	.section	.text._ZN7rocprim17ROCPRIM_400000_NS6detail17trampoline_kernelINS0_14default_configENS1_27scan_by_key_config_selectorIxxEEZZNS1_16scan_by_key_implILNS1_25lookback_scan_determinismE0ELb1ES3_N6thrust23THRUST_200600_302600_NS6detail15normal_iteratorINS9_10device_ptrIxEEEESE_SE_xNS9_4plusIxEE19head_flag_predicatexEE10hipError_tPvRmT2_T3_T4_T5_mT6_T7_P12ihipStream_tbENKUlT_T0_E_clISt17integral_constantIbLb1EESX_IbLb0EEEEDaST_SU_EUlST_E_NS1_11comp_targetILNS1_3genE9ELNS1_11target_archE1100ELNS1_3gpuE3ELNS1_3repE0EEENS1_30default_config_static_selectorELNS0_4arch9wavefront6targetE0EEEvT1_,"axG",@progbits,_ZN7rocprim17ROCPRIM_400000_NS6detail17trampoline_kernelINS0_14default_configENS1_27scan_by_key_config_selectorIxxEEZZNS1_16scan_by_key_implILNS1_25lookback_scan_determinismE0ELb1ES3_N6thrust23THRUST_200600_302600_NS6detail15normal_iteratorINS9_10device_ptrIxEEEESE_SE_xNS9_4plusIxEE19head_flag_predicatexEE10hipError_tPvRmT2_T3_T4_T5_mT6_T7_P12ihipStream_tbENKUlT_T0_E_clISt17integral_constantIbLb1EESX_IbLb0EEEEDaST_SU_EUlST_E_NS1_11comp_targetILNS1_3genE9ELNS1_11target_archE1100ELNS1_3gpuE3ELNS1_3repE0EEENS1_30default_config_static_selectorELNS0_4arch9wavefront6targetE0EEEvT1_,comdat
.Lfunc_end738:
	.size	_ZN7rocprim17ROCPRIM_400000_NS6detail17trampoline_kernelINS0_14default_configENS1_27scan_by_key_config_selectorIxxEEZZNS1_16scan_by_key_implILNS1_25lookback_scan_determinismE0ELb1ES3_N6thrust23THRUST_200600_302600_NS6detail15normal_iteratorINS9_10device_ptrIxEEEESE_SE_xNS9_4plusIxEE19head_flag_predicatexEE10hipError_tPvRmT2_T3_T4_T5_mT6_T7_P12ihipStream_tbENKUlT_T0_E_clISt17integral_constantIbLb1EESX_IbLb0EEEEDaST_SU_EUlST_E_NS1_11comp_targetILNS1_3genE9ELNS1_11target_archE1100ELNS1_3gpuE3ELNS1_3repE0EEENS1_30default_config_static_selectorELNS0_4arch9wavefront6targetE0EEEvT1_, .Lfunc_end738-_ZN7rocprim17ROCPRIM_400000_NS6detail17trampoline_kernelINS0_14default_configENS1_27scan_by_key_config_selectorIxxEEZZNS1_16scan_by_key_implILNS1_25lookback_scan_determinismE0ELb1ES3_N6thrust23THRUST_200600_302600_NS6detail15normal_iteratorINS9_10device_ptrIxEEEESE_SE_xNS9_4plusIxEE19head_flag_predicatexEE10hipError_tPvRmT2_T3_T4_T5_mT6_T7_P12ihipStream_tbENKUlT_T0_E_clISt17integral_constantIbLb1EESX_IbLb0EEEEDaST_SU_EUlST_E_NS1_11comp_targetILNS1_3genE9ELNS1_11target_archE1100ELNS1_3gpuE3ELNS1_3repE0EEENS1_30default_config_static_selectorELNS0_4arch9wavefront6targetE0EEEvT1_
                                        ; -- End function
	.set _ZN7rocprim17ROCPRIM_400000_NS6detail17trampoline_kernelINS0_14default_configENS1_27scan_by_key_config_selectorIxxEEZZNS1_16scan_by_key_implILNS1_25lookback_scan_determinismE0ELb1ES3_N6thrust23THRUST_200600_302600_NS6detail15normal_iteratorINS9_10device_ptrIxEEEESE_SE_xNS9_4plusIxEE19head_flag_predicatexEE10hipError_tPvRmT2_T3_T4_T5_mT6_T7_P12ihipStream_tbENKUlT_T0_E_clISt17integral_constantIbLb1EESX_IbLb0EEEEDaST_SU_EUlST_E_NS1_11comp_targetILNS1_3genE9ELNS1_11target_archE1100ELNS1_3gpuE3ELNS1_3repE0EEENS1_30default_config_static_selectorELNS0_4arch9wavefront6targetE0EEEvT1_.num_vgpr, 0
	.set _ZN7rocprim17ROCPRIM_400000_NS6detail17trampoline_kernelINS0_14default_configENS1_27scan_by_key_config_selectorIxxEEZZNS1_16scan_by_key_implILNS1_25lookback_scan_determinismE0ELb1ES3_N6thrust23THRUST_200600_302600_NS6detail15normal_iteratorINS9_10device_ptrIxEEEESE_SE_xNS9_4plusIxEE19head_flag_predicatexEE10hipError_tPvRmT2_T3_T4_T5_mT6_T7_P12ihipStream_tbENKUlT_T0_E_clISt17integral_constantIbLb1EESX_IbLb0EEEEDaST_SU_EUlST_E_NS1_11comp_targetILNS1_3genE9ELNS1_11target_archE1100ELNS1_3gpuE3ELNS1_3repE0EEENS1_30default_config_static_selectorELNS0_4arch9wavefront6targetE0EEEvT1_.num_agpr, 0
	.set _ZN7rocprim17ROCPRIM_400000_NS6detail17trampoline_kernelINS0_14default_configENS1_27scan_by_key_config_selectorIxxEEZZNS1_16scan_by_key_implILNS1_25lookback_scan_determinismE0ELb1ES3_N6thrust23THRUST_200600_302600_NS6detail15normal_iteratorINS9_10device_ptrIxEEEESE_SE_xNS9_4plusIxEE19head_flag_predicatexEE10hipError_tPvRmT2_T3_T4_T5_mT6_T7_P12ihipStream_tbENKUlT_T0_E_clISt17integral_constantIbLb1EESX_IbLb0EEEEDaST_SU_EUlST_E_NS1_11comp_targetILNS1_3genE9ELNS1_11target_archE1100ELNS1_3gpuE3ELNS1_3repE0EEENS1_30default_config_static_selectorELNS0_4arch9wavefront6targetE0EEEvT1_.numbered_sgpr, 0
	.set _ZN7rocprim17ROCPRIM_400000_NS6detail17trampoline_kernelINS0_14default_configENS1_27scan_by_key_config_selectorIxxEEZZNS1_16scan_by_key_implILNS1_25lookback_scan_determinismE0ELb1ES3_N6thrust23THRUST_200600_302600_NS6detail15normal_iteratorINS9_10device_ptrIxEEEESE_SE_xNS9_4plusIxEE19head_flag_predicatexEE10hipError_tPvRmT2_T3_T4_T5_mT6_T7_P12ihipStream_tbENKUlT_T0_E_clISt17integral_constantIbLb1EESX_IbLb0EEEEDaST_SU_EUlST_E_NS1_11comp_targetILNS1_3genE9ELNS1_11target_archE1100ELNS1_3gpuE3ELNS1_3repE0EEENS1_30default_config_static_selectorELNS0_4arch9wavefront6targetE0EEEvT1_.num_named_barrier, 0
	.set _ZN7rocprim17ROCPRIM_400000_NS6detail17trampoline_kernelINS0_14default_configENS1_27scan_by_key_config_selectorIxxEEZZNS1_16scan_by_key_implILNS1_25lookback_scan_determinismE0ELb1ES3_N6thrust23THRUST_200600_302600_NS6detail15normal_iteratorINS9_10device_ptrIxEEEESE_SE_xNS9_4plusIxEE19head_flag_predicatexEE10hipError_tPvRmT2_T3_T4_T5_mT6_T7_P12ihipStream_tbENKUlT_T0_E_clISt17integral_constantIbLb1EESX_IbLb0EEEEDaST_SU_EUlST_E_NS1_11comp_targetILNS1_3genE9ELNS1_11target_archE1100ELNS1_3gpuE3ELNS1_3repE0EEENS1_30default_config_static_selectorELNS0_4arch9wavefront6targetE0EEEvT1_.private_seg_size, 0
	.set _ZN7rocprim17ROCPRIM_400000_NS6detail17trampoline_kernelINS0_14default_configENS1_27scan_by_key_config_selectorIxxEEZZNS1_16scan_by_key_implILNS1_25lookback_scan_determinismE0ELb1ES3_N6thrust23THRUST_200600_302600_NS6detail15normal_iteratorINS9_10device_ptrIxEEEESE_SE_xNS9_4plusIxEE19head_flag_predicatexEE10hipError_tPvRmT2_T3_T4_T5_mT6_T7_P12ihipStream_tbENKUlT_T0_E_clISt17integral_constantIbLb1EESX_IbLb0EEEEDaST_SU_EUlST_E_NS1_11comp_targetILNS1_3genE9ELNS1_11target_archE1100ELNS1_3gpuE3ELNS1_3repE0EEENS1_30default_config_static_selectorELNS0_4arch9wavefront6targetE0EEEvT1_.uses_vcc, 0
	.set _ZN7rocprim17ROCPRIM_400000_NS6detail17trampoline_kernelINS0_14default_configENS1_27scan_by_key_config_selectorIxxEEZZNS1_16scan_by_key_implILNS1_25lookback_scan_determinismE0ELb1ES3_N6thrust23THRUST_200600_302600_NS6detail15normal_iteratorINS9_10device_ptrIxEEEESE_SE_xNS9_4plusIxEE19head_flag_predicatexEE10hipError_tPvRmT2_T3_T4_T5_mT6_T7_P12ihipStream_tbENKUlT_T0_E_clISt17integral_constantIbLb1EESX_IbLb0EEEEDaST_SU_EUlST_E_NS1_11comp_targetILNS1_3genE9ELNS1_11target_archE1100ELNS1_3gpuE3ELNS1_3repE0EEENS1_30default_config_static_selectorELNS0_4arch9wavefront6targetE0EEEvT1_.uses_flat_scratch, 0
	.set _ZN7rocprim17ROCPRIM_400000_NS6detail17trampoline_kernelINS0_14default_configENS1_27scan_by_key_config_selectorIxxEEZZNS1_16scan_by_key_implILNS1_25lookback_scan_determinismE0ELb1ES3_N6thrust23THRUST_200600_302600_NS6detail15normal_iteratorINS9_10device_ptrIxEEEESE_SE_xNS9_4plusIxEE19head_flag_predicatexEE10hipError_tPvRmT2_T3_T4_T5_mT6_T7_P12ihipStream_tbENKUlT_T0_E_clISt17integral_constantIbLb1EESX_IbLb0EEEEDaST_SU_EUlST_E_NS1_11comp_targetILNS1_3genE9ELNS1_11target_archE1100ELNS1_3gpuE3ELNS1_3repE0EEENS1_30default_config_static_selectorELNS0_4arch9wavefront6targetE0EEEvT1_.has_dyn_sized_stack, 0
	.set _ZN7rocprim17ROCPRIM_400000_NS6detail17trampoline_kernelINS0_14default_configENS1_27scan_by_key_config_selectorIxxEEZZNS1_16scan_by_key_implILNS1_25lookback_scan_determinismE0ELb1ES3_N6thrust23THRUST_200600_302600_NS6detail15normal_iteratorINS9_10device_ptrIxEEEESE_SE_xNS9_4plusIxEE19head_flag_predicatexEE10hipError_tPvRmT2_T3_T4_T5_mT6_T7_P12ihipStream_tbENKUlT_T0_E_clISt17integral_constantIbLb1EESX_IbLb0EEEEDaST_SU_EUlST_E_NS1_11comp_targetILNS1_3genE9ELNS1_11target_archE1100ELNS1_3gpuE3ELNS1_3repE0EEENS1_30default_config_static_selectorELNS0_4arch9wavefront6targetE0EEEvT1_.has_recursion, 0
	.set _ZN7rocprim17ROCPRIM_400000_NS6detail17trampoline_kernelINS0_14default_configENS1_27scan_by_key_config_selectorIxxEEZZNS1_16scan_by_key_implILNS1_25lookback_scan_determinismE0ELb1ES3_N6thrust23THRUST_200600_302600_NS6detail15normal_iteratorINS9_10device_ptrIxEEEESE_SE_xNS9_4plusIxEE19head_flag_predicatexEE10hipError_tPvRmT2_T3_T4_T5_mT6_T7_P12ihipStream_tbENKUlT_T0_E_clISt17integral_constantIbLb1EESX_IbLb0EEEEDaST_SU_EUlST_E_NS1_11comp_targetILNS1_3genE9ELNS1_11target_archE1100ELNS1_3gpuE3ELNS1_3repE0EEENS1_30default_config_static_selectorELNS0_4arch9wavefront6targetE0EEEvT1_.has_indirect_call, 0
	.section	.AMDGPU.csdata,"",@progbits
; Kernel info:
; codeLenInByte = 0
; TotalNumSgprs: 0
; NumVgprs: 0
; ScratchSize: 0
; MemoryBound: 0
; FloatMode: 240
; IeeeMode: 1
; LDSByteSize: 0 bytes/workgroup (compile time only)
; SGPRBlocks: 0
; VGPRBlocks: 0
; NumSGPRsForWavesPerEU: 1
; NumVGPRsForWavesPerEU: 1
; Occupancy: 16
; WaveLimiterHint : 0
; COMPUTE_PGM_RSRC2:SCRATCH_EN: 0
; COMPUTE_PGM_RSRC2:USER_SGPR: 6
; COMPUTE_PGM_RSRC2:TRAP_HANDLER: 0
; COMPUTE_PGM_RSRC2:TGID_X_EN: 1
; COMPUTE_PGM_RSRC2:TGID_Y_EN: 0
; COMPUTE_PGM_RSRC2:TGID_Z_EN: 0
; COMPUTE_PGM_RSRC2:TIDIG_COMP_CNT: 0
	.section	.text._ZN7rocprim17ROCPRIM_400000_NS6detail17trampoline_kernelINS0_14default_configENS1_27scan_by_key_config_selectorIxxEEZZNS1_16scan_by_key_implILNS1_25lookback_scan_determinismE0ELb1ES3_N6thrust23THRUST_200600_302600_NS6detail15normal_iteratorINS9_10device_ptrIxEEEESE_SE_xNS9_4plusIxEE19head_flag_predicatexEE10hipError_tPvRmT2_T3_T4_T5_mT6_T7_P12ihipStream_tbENKUlT_T0_E_clISt17integral_constantIbLb1EESX_IbLb0EEEEDaST_SU_EUlST_E_NS1_11comp_targetILNS1_3genE8ELNS1_11target_archE1030ELNS1_3gpuE2ELNS1_3repE0EEENS1_30default_config_static_selectorELNS0_4arch9wavefront6targetE0EEEvT1_,"axG",@progbits,_ZN7rocprim17ROCPRIM_400000_NS6detail17trampoline_kernelINS0_14default_configENS1_27scan_by_key_config_selectorIxxEEZZNS1_16scan_by_key_implILNS1_25lookback_scan_determinismE0ELb1ES3_N6thrust23THRUST_200600_302600_NS6detail15normal_iteratorINS9_10device_ptrIxEEEESE_SE_xNS9_4plusIxEE19head_flag_predicatexEE10hipError_tPvRmT2_T3_T4_T5_mT6_T7_P12ihipStream_tbENKUlT_T0_E_clISt17integral_constantIbLb1EESX_IbLb0EEEEDaST_SU_EUlST_E_NS1_11comp_targetILNS1_3genE8ELNS1_11target_archE1030ELNS1_3gpuE2ELNS1_3repE0EEENS1_30default_config_static_selectorELNS0_4arch9wavefront6targetE0EEEvT1_,comdat
	.protected	_ZN7rocprim17ROCPRIM_400000_NS6detail17trampoline_kernelINS0_14default_configENS1_27scan_by_key_config_selectorIxxEEZZNS1_16scan_by_key_implILNS1_25lookback_scan_determinismE0ELb1ES3_N6thrust23THRUST_200600_302600_NS6detail15normal_iteratorINS9_10device_ptrIxEEEESE_SE_xNS9_4plusIxEE19head_flag_predicatexEE10hipError_tPvRmT2_T3_T4_T5_mT6_T7_P12ihipStream_tbENKUlT_T0_E_clISt17integral_constantIbLb1EESX_IbLb0EEEEDaST_SU_EUlST_E_NS1_11comp_targetILNS1_3genE8ELNS1_11target_archE1030ELNS1_3gpuE2ELNS1_3repE0EEENS1_30default_config_static_selectorELNS0_4arch9wavefront6targetE0EEEvT1_ ; -- Begin function _ZN7rocprim17ROCPRIM_400000_NS6detail17trampoline_kernelINS0_14default_configENS1_27scan_by_key_config_selectorIxxEEZZNS1_16scan_by_key_implILNS1_25lookback_scan_determinismE0ELb1ES3_N6thrust23THRUST_200600_302600_NS6detail15normal_iteratorINS9_10device_ptrIxEEEESE_SE_xNS9_4plusIxEE19head_flag_predicatexEE10hipError_tPvRmT2_T3_T4_T5_mT6_T7_P12ihipStream_tbENKUlT_T0_E_clISt17integral_constantIbLb1EESX_IbLb0EEEEDaST_SU_EUlST_E_NS1_11comp_targetILNS1_3genE8ELNS1_11target_archE1030ELNS1_3gpuE2ELNS1_3repE0EEENS1_30default_config_static_selectorELNS0_4arch9wavefront6targetE0EEEvT1_
	.globl	_ZN7rocprim17ROCPRIM_400000_NS6detail17trampoline_kernelINS0_14default_configENS1_27scan_by_key_config_selectorIxxEEZZNS1_16scan_by_key_implILNS1_25lookback_scan_determinismE0ELb1ES3_N6thrust23THRUST_200600_302600_NS6detail15normal_iteratorINS9_10device_ptrIxEEEESE_SE_xNS9_4plusIxEE19head_flag_predicatexEE10hipError_tPvRmT2_T3_T4_T5_mT6_T7_P12ihipStream_tbENKUlT_T0_E_clISt17integral_constantIbLb1EESX_IbLb0EEEEDaST_SU_EUlST_E_NS1_11comp_targetILNS1_3genE8ELNS1_11target_archE1030ELNS1_3gpuE2ELNS1_3repE0EEENS1_30default_config_static_selectorELNS0_4arch9wavefront6targetE0EEEvT1_
	.p2align	8
	.type	_ZN7rocprim17ROCPRIM_400000_NS6detail17trampoline_kernelINS0_14default_configENS1_27scan_by_key_config_selectorIxxEEZZNS1_16scan_by_key_implILNS1_25lookback_scan_determinismE0ELb1ES3_N6thrust23THRUST_200600_302600_NS6detail15normal_iteratorINS9_10device_ptrIxEEEESE_SE_xNS9_4plusIxEE19head_flag_predicatexEE10hipError_tPvRmT2_T3_T4_T5_mT6_T7_P12ihipStream_tbENKUlT_T0_E_clISt17integral_constantIbLb1EESX_IbLb0EEEEDaST_SU_EUlST_E_NS1_11comp_targetILNS1_3genE8ELNS1_11target_archE1030ELNS1_3gpuE2ELNS1_3repE0EEENS1_30default_config_static_selectorELNS0_4arch9wavefront6targetE0EEEvT1_,@function
_ZN7rocprim17ROCPRIM_400000_NS6detail17trampoline_kernelINS0_14default_configENS1_27scan_by_key_config_selectorIxxEEZZNS1_16scan_by_key_implILNS1_25lookback_scan_determinismE0ELb1ES3_N6thrust23THRUST_200600_302600_NS6detail15normal_iteratorINS9_10device_ptrIxEEEESE_SE_xNS9_4plusIxEE19head_flag_predicatexEE10hipError_tPvRmT2_T3_T4_T5_mT6_T7_P12ihipStream_tbENKUlT_T0_E_clISt17integral_constantIbLb1EESX_IbLb0EEEEDaST_SU_EUlST_E_NS1_11comp_targetILNS1_3genE8ELNS1_11target_archE1030ELNS1_3gpuE2ELNS1_3repE0EEENS1_30default_config_static_selectorELNS0_4arch9wavefront6targetE0EEEvT1_: ; @_ZN7rocprim17ROCPRIM_400000_NS6detail17trampoline_kernelINS0_14default_configENS1_27scan_by_key_config_selectorIxxEEZZNS1_16scan_by_key_implILNS1_25lookback_scan_determinismE0ELb1ES3_N6thrust23THRUST_200600_302600_NS6detail15normal_iteratorINS9_10device_ptrIxEEEESE_SE_xNS9_4plusIxEE19head_flag_predicatexEE10hipError_tPvRmT2_T3_T4_T5_mT6_T7_P12ihipStream_tbENKUlT_T0_E_clISt17integral_constantIbLb1EESX_IbLb0EEEEDaST_SU_EUlST_E_NS1_11comp_targetILNS1_3genE8ELNS1_11target_archE1030ELNS1_3gpuE2ELNS1_3repE0EEENS1_30default_config_static_selectorELNS0_4arch9wavefront6targetE0EEEvT1_
; %bb.0:
	s_endpgm
	.section	.rodata,"a",@progbits
	.p2align	6, 0x0
	.amdhsa_kernel _ZN7rocprim17ROCPRIM_400000_NS6detail17trampoline_kernelINS0_14default_configENS1_27scan_by_key_config_selectorIxxEEZZNS1_16scan_by_key_implILNS1_25lookback_scan_determinismE0ELb1ES3_N6thrust23THRUST_200600_302600_NS6detail15normal_iteratorINS9_10device_ptrIxEEEESE_SE_xNS9_4plusIxEE19head_flag_predicatexEE10hipError_tPvRmT2_T3_T4_T5_mT6_T7_P12ihipStream_tbENKUlT_T0_E_clISt17integral_constantIbLb1EESX_IbLb0EEEEDaST_SU_EUlST_E_NS1_11comp_targetILNS1_3genE8ELNS1_11target_archE1030ELNS1_3gpuE2ELNS1_3repE0EEENS1_30default_config_static_selectorELNS0_4arch9wavefront6targetE0EEEvT1_
		.amdhsa_group_segment_fixed_size 0
		.amdhsa_private_segment_fixed_size 0
		.amdhsa_kernarg_size 136
		.amdhsa_user_sgpr_count 6
		.amdhsa_user_sgpr_private_segment_buffer 1
		.amdhsa_user_sgpr_dispatch_ptr 0
		.amdhsa_user_sgpr_queue_ptr 0
		.amdhsa_user_sgpr_kernarg_segment_ptr 1
		.amdhsa_user_sgpr_dispatch_id 0
		.amdhsa_user_sgpr_flat_scratch_init 0
		.amdhsa_user_sgpr_private_segment_size 0
		.amdhsa_wavefront_size32 1
		.amdhsa_uses_dynamic_stack 0
		.amdhsa_system_sgpr_private_segment_wavefront_offset 0
		.amdhsa_system_sgpr_workgroup_id_x 1
		.amdhsa_system_sgpr_workgroup_id_y 0
		.amdhsa_system_sgpr_workgroup_id_z 0
		.amdhsa_system_sgpr_workgroup_info 0
		.amdhsa_system_vgpr_workitem_id 0
		.amdhsa_next_free_vgpr 1
		.amdhsa_next_free_sgpr 1
		.amdhsa_reserve_vcc 0
		.amdhsa_reserve_flat_scratch 0
		.amdhsa_float_round_mode_32 0
		.amdhsa_float_round_mode_16_64 0
		.amdhsa_float_denorm_mode_32 3
		.amdhsa_float_denorm_mode_16_64 3
		.amdhsa_dx10_clamp 1
		.amdhsa_ieee_mode 1
		.amdhsa_fp16_overflow 0
		.amdhsa_workgroup_processor_mode 1
		.amdhsa_memory_ordered 1
		.amdhsa_forward_progress 1
		.amdhsa_shared_vgpr_count 0
		.amdhsa_exception_fp_ieee_invalid_op 0
		.amdhsa_exception_fp_denorm_src 0
		.amdhsa_exception_fp_ieee_div_zero 0
		.amdhsa_exception_fp_ieee_overflow 0
		.amdhsa_exception_fp_ieee_underflow 0
		.amdhsa_exception_fp_ieee_inexact 0
		.amdhsa_exception_int_div_zero 0
	.end_amdhsa_kernel
	.section	.text._ZN7rocprim17ROCPRIM_400000_NS6detail17trampoline_kernelINS0_14default_configENS1_27scan_by_key_config_selectorIxxEEZZNS1_16scan_by_key_implILNS1_25lookback_scan_determinismE0ELb1ES3_N6thrust23THRUST_200600_302600_NS6detail15normal_iteratorINS9_10device_ptrIxEEEESE_SE_xNS9_4plusIxEE19head_flag_predicatexEE10hipError_tPvRmT2_T3_T4_T5_mT6_T7_P12ihipStream_tbENKUlT_T0_E_clISt17integral_constantIbLb1EESX_IbLb0EEEEDaST_SU_EUlST_E_NS1_11comp_targetILNS1_3genE8ELNS1_11target_archE1030ELNS1_3gpuE2ELNS1_3repE0EEENS1_30default_config_static_selectorELNS0_4arch9wavefront6targetE0EEEvT1_,"axG",@progbits,_ZN7rocprim17ROCPRIM_400000_NS6detail17trampoline_kernelINS0_14default_configENS1_27scan_by_key_config_selectorIxxEEZZNS1_16scan_by_key_implILNS1_25lookback_scan_determinismE0ELb1ES3_N6thrust23THRUST_200600_302600_NS6detail15normal_iteratorINS9_10device_ptrIxEEEESE_SE_xNS9_4plusIxEE19head_flag_predicatexEE10hipError_tPvRmT2_T3_T4_T5_mT6_T7_P12ihipStream_tbENKUlT_T0_E_clISt17integral_constantIbLb1EESX_IbLb0EEEEDaST_SU_EUlST_E_NS1_11comp_targetILNS1_3genE8ELNS1_11target_archE1030ELNS1_3gpuE2ELNS1_3repE0EEENS1_30default_config_static_selectorELNS0_4arch9wavefront6targetE0EEEvT1_,comdat
.Lfunc_end739:
	.size	_ZN7rocprim17ROCPRIM_400000_NS6detail17trampoline_kernelINS0_14default_configENS1_27scan_by_key_config_selectorIxxEEZZNS1_16scan_by_key_implILNS1_25lookback_scan_determinismE0ELb1ES3_N6thrust23THRUST_200600_302600_NS6detail15normal_iteratorINS9_10device_ptrIxEEEESE_SE_xNS9_4plusIxEE19head_flag_predicatexEE10hipError_tPvRmT2_T3_T4_T5_mT6_T7_P12ihipStream_tbENKUlT_T0_E_clISt17integral_constantIbLb1EESX_IbLb0EEEEDaST_SU_EUlST_E_NS1_11comp_targetILNS1_3genE8ELNS1_11target_archE1030ELNS1_3gpuE2ELNS1_3repE0EEENS1_30default_config_static_selectorELNS0_4arch9wavefront6targetE0EEEvT1_, .Lfunc_end739-_ZN7rocprim17ROCPRIM_400000_NS6detail17trampoline_kernelINS0_14default_configENS1_27scan_by_key_config_selectorIxxEEZZNS1_16scan_by_key_implILNS1_25lookback_scan_determinismE0ELb1ES3_N6thrust23THRUST_200600_302600_NS6detail15normal_iteratorINS9_10device_ptrIxEEEESE_SE_xNS9_4plusIxEE19head_flag_predicatexEE10hipError_tPvRmT2_T3_T4_T5_mT6_T7_P12ihipStream_tbENKUlT_T0_E_clISt17integral_constantIbLb1EESX_IbLb0EEEEDaST_SU_EUlST_E_NS1_11comp_targetILNS1_3genE8ELNS1_11target_archE1030ELNS1_3gpuE2ELNS1_3repE0EEENS1_30default_config_static_selectorELNS0_4arch9wavefront6targetE0EEEvT1_
                                        ; -- End function
	.set _ZN7rocprim17ROCPRIM_400000_NS6detail17trampoline_kernelINS0_14default_configENS1_27scan_by_key_config_selectorIxxEEZZNS1_16scan_by_key_implILNS1_25lookback_scan_determinismE0ELb1ES3_N6thrust23THRUST_200600_302600_NS6detail15normal_iteratorINS9_10device_ptrIxEEEESE_SE_xNS9_4plusIxEE19head_flag_predicatexEE10hipError_tPvRmT2_T3_T4_T5_mT6_T7_P12ihipStream_tbENKUlT_T0_E_clISt17integral_constantIbLb1EESX_IbLb0EEEEDaST_SU_EUlST_E_NS1_11comp_targetILNS1_3genE8ELNS1_11target_archE1030ELNS1_3gpuE2ELNS1_3repE0EEENS1_30default_config_static_selectorELNS0_4arch9wavefront6targetE0EEEvT1_.num_vgpr, 0
	.set _ZN7rocprim17ROCPRIM_400000_NS6detail17trampoline_kernelINS0_14default_configENS1_27scan_by_key_config_selectorIxxEEZZNS1_16scan_by_key_implILNS1_25lookback_scan_determinismE0ELb1ES3_N6thrust23THRUST_200600_302600_NS6detail15normal_iteratorINS9_10device_ptrIxEEEESE_SE_xNS9_4plusIxEE19head_flag_predicatexEE10hipError_tPvRmT2_T3_T4_T5_mT6_T7_P12ihipStream_tbENKUlT_T0_E_clISt17integral_constantIbLb1EESX_IbLb0EEEEDaST_SU_EUlST_E_NS1_11comp_targetILNS1_3genE8ELNS1_11target_archE1030ELNS1_3gpuE2ELNS1_3repE0EEENS1_30default_config_static_selectorELNS0_4arch9wavefront6targetE0EEEvT1_.num_agpr, 0
	.set _ZN7rocprim17ROCPRIM_400000_NS6detail17trampoline_kernelINS0_14default_configENS1_27scan_by_key_config_selectorIxxEEZZNS1_16scan_by_key_implILNS1_25lookback_scan_determinismE0ELb1ES3_N6thrust23THRUST_200600_302600_NS6detail15normal_iteratorINS9_10device_ptrIxEEEESE_SE_xNS9_4plusIxEE19head_flag_predicatexEE10hipError_tPvRmT2_T3_T4_T5_mT6_T7_P12ihipStream_tbENKUlT_T0_E_clISt17integral_constantIbLb1EESX_IbLb0EEEEDaST_SU_EUlST_E_NS1_11comp_targetILNS1_3genE8ELNS1_11target_archE1030ELNS1_3gpuE2ELNS1_3repE0EEENS1_30default_config_static_selectorELNS0_4arch9wavefront6targetE0EEEvT1_.numbered_sgpr, 0
	.set _ZN7rocprim17ROCPRIM_400000_NS6detail17trampoline_kernelINS0_14default_configENS1_27scan_by_key_config_selectorIxxEEZZNS1_16scan_by_key_implILNS1_25lookback_scan_determinismE0ELb1ES3_N6thrust23THRUST_200600_302600_NS6detail15normal_iteratorINS9_10device_ptrIxEEEESE_SE_xNS9_4plusIxEE19head_flag_predicatexEE10hipError_tPvRmT2_T3_T4_T5_mT6_T7_P12ihipStream_tbENKUlT_T0_E_clISt17integral_constantIbLb1EESX_IbLb0EEEEDaST_SU_EUlST_E_NS1_11comp_targetILNS1_3genE8ELNS1_11target_archE1030ELNS1_3gpuE2ELNS1_3repE0EEENS1_30default_config_static_selectorELNS0_4arch9wavefront6targetE0EEEvT1_.num_named_barrier, 0
	.set _ZN7rocprim17ROCPRIM_400000_NS6detail17trampoline_kernelINS0_14default_configENS1_27scan_by_key_config_selectorIxxEEZZNS1_16scan_by_key_implILNS1_25lookback_scan_determinismE0ELb1ES3_N6thrust23THRUST_200600_302600_NS6detail15normal_iteratorINS9_10device_ptrIxEEEESE_SE_xNS9_4plusIxEE19head_flag_predicatexEE10hipError_tPvRmT2_T3_T4_T5_mT6_T7_P12ihipStream_tbENKUlT_T0_E_clISt17integral_constantIbLb1EESX_IbLb0EEEEDaST_SU_EUlST_E_NS1_11comp_targetILNS1_3genE8ELNS1_11target_archE1030ELNS1_3gpuE2ELNS1_3repE0EEENS1_30default_config_static_selectorELNS0_4arch9wavefront6targetE0EEEvT1_.private_seg_size, 0
	.set _ZN7rocprim17ROCPRIM_400000_NS6detail17trampoline_kernelINS0_14default_configENS1_27scan_by_key_config_selectorIxxEEZZNS1_16scan_by_key_implILNS1_25lookback_scan_determinismE0ELb1ES3_N6thrust23THRUST_200600_302600_NS6detail15normal_iteratorINS9_10device_ptrIxEEEESE_SE_xNS9_4plusIxEE19head_flag_predicatexEE10hipError_tPvRmT2_T3_T4_T5_mT6_T7_P12ihipStream_tbENKUlT_T0_E_clISt17integral_constantIbLb1EESX_IbLb0EEEEDaST_SU_EUlST_E_NS1_11comp_targetILNS1_3genE8ELNS1_11target_archE1030ELNS1_3gpuE2ELNS1_3repE0EEENS1_30default_config_static_selectorELNS0_4arch9wavefront6targetE0EEEvT1_.uses_vcc, 0
	.set _ZN7rocprim17ROCPRIM_400000_NS6detail17trampoline_kernelINS0_14default_configENS1_27scan_by_key_config_selectorIxxEEZZNS1_16scan_by_key_implILNS1_25lookback_scan_determinismE0ELb1ES3_N6thrust23THRUST_200600_302600_NS6detail15normal_iteratorINS9_10device_ptrIxEEEESE_SE_xNS9_4plusIxEE19head_flag_predicatexEE10hipError_tPvRmT2_T3_T4_T5_mT6_T7_P12ihipStream_tbENKUlT_T0_E_clISt17integral_constantIbLb1EESX_IbLb0EEEEDaST_SU_EUlST_E_NS1_11comp_targetILNS1_3genE8ELNS1_11target_archE1030ELNS1_3gpuE2ELNS1_3repE0EEENS1_30default_config_static_selectorELNS0_4arch9wavefront6targetE0EEEvT1_.uses_flat_scratch, 0
	.set _ZN7rocprim17ROCPRIM_400000_NS6detail17trampoline_kernelINS0_14default_configENS1_27scan_by_key_config_selectorIxxEEZZNS1_16scan_by_key_implILNS1_25lookback_scan_determinismE0ELb1ES3_N6thrust23THRUST_200600_302600_NS6detail15normal_iteratorINS9_10device_ptrIxEEEESE_SE_xNS9_4plusIxEE19head_flag_predicatexEE10hipError_tPvRmT2_T3_T4_T5_mT6_T7_P12ihipStream_tbENKUlT_T0_E_clISt17integral_constantIbLb1EESX_IbLb0EEEEDaST_SU_EUlST_E_NS1_11comp_targetILNS1_3genE8ELNS1_11target_archE1030ELNS1_3gpuE2ELNS1_3repE0EEENS1_30default_config_static_selectorELNS0_4arch9wavefront6targetE0EEEvT1_.has_dyn_sized_stack, 0
	.set _ZN7rocprim17ROCPRIM_400000_NS6detail17trampoline_kernelINS0_14default_configENS1_27scan_by_key_config_selectorIxxEEZZNS1_16scan_by_key_implILNS1_25lookback_scan_determinismE0ELb1ES3_N6thrust23THRUST_200600_302600_NS6detail15normal_iteratorINS9_10device_ptrIxEEEESE_SE_xNS9_4plusIxEE19head_flag_predicatexEE10hipError_tPvRmT2_T3_T4_T5_mT6_T7_P12ihipStream_tbENKUlT_T0_E_clISt17integral_constantIbLb1EESX_IbLb0EEEEDaST_SU_EUlST_E_NS1_11comp_targetILNS1_3genE8ELNS1_11target_archE1030ELNS1_3gpuE2ELNS1_3repE0EEENS1_30default_config_static_selectorELNS0_4arch9wavefront6targetE0EEEvT1_.has_recursion, 0
	.set _ZN7rocprim17ROCPRIM_400000_NS6detail17trampoline_kernelINS0_14default_configENS1_27scan_by_key_config_selectorIxxEEZZNS1_16scan_by_key_implILNS1_25lookback_scan_determinismE0ELb1ES3_N6thrust23THRUST_200600_302600_NS6detail15normal_iteratorINS9_10device_ptrIxEEEESE_SE_xNS9_4plusIxEE19head_flag_predicatexEE10hipError_tPvRmT2_T3_T4_T5_mT6_T7_P12ihipStream_tbENKUlT_T0_E_clISt17integral_constantIbLb1EESX_IbLb0EEEEDaST_SU_EUlST_E_NS1_11comp_targetILNS1_3genE8ELNS1_11target_archE1030ELNS1_3gpuE2ELNS1_3repE0EEENS1_30default_config_static_selectorELNS0_4arch9wavefront6targetE0EEEvT1_.has_indirect_call, 0
	.section	.AMDGPU.csdata,"",@progbits
; Kernel info:
; codeLenInByte = 4
; TotalNumSgprs: 0
; NumVgprs: 0
; ScratchSize: 0
; MemoryBound: 0
; FloatMode: 240
; IeeeMode: 1
; LDSByteSize: 0 bytes/workgroup (compile time only)
; SGPRBlocks: 0
; VGPRBlocks: 0
; NumSGPRsForWavesPerEU: 1
; NumVGPRsForWavesPerEU: 1
; Occupancy: 16
; WaveLimiterHint : 0
; COMPUTE_PGM_RSRC2:SCRATCH_EN: 0
; COMPUTE_PGM_RSRC2:USER_SGPR: 6
; COMPUTE_PGM_RSRC2:TRAP_HANDLER: 0
; COMPUTE_PGM_RSRC2:TGID_X_EN: 1
; COMPUTE_PGM_RSRC2:TGID_Y_EN: 0
; COMPUTE_PGM_RSRC2:TGID_Z_EN: 0
; COMPUTE_PGM_RSRC2:TIDIG_COMP_CNT: 0
	.section	.text._ZN7rocprim17ROCPRIM_400000_NS6detail17trampoline_kernelINS0_14default_configENS1_27scan_by_key_config_selectorIxxEEZZNS1_16scan_by_key_implILNS1_25lookback_scan_determinismE0ELb1ES3_N6thrust23THRUST_200600_302600_NS6detail15normal_iteratorINS9_10device_ptrIxEEEESE_SE_xNS9_4plusIxEE19head_flag_predicatexEE10hipError_tPvRmT2_T3_T4_T5_mT6_T7_P12ihipStream_tbENKUlT_T0_E_clISt17integral_constantIbLb0EESX_IbLb1EEEEDaST_SU_EUlST_E_NS1_11comp_targetILNS1_3genE0ELNS1_11target_archE4294967295ELNS1_3gpuE0ELNS1_3repE0EEENS1_30default_config_static_selectorELNS0_4arch9wavefront6targetE0EEEvT1_,"axG",@progbits,_ZN7rocprim17ROCPRIM_400000_NS6detail17trampoline_kernelINS0_14default_configENS1_27scan_by_key_config_selectorIxxEEZZNS1_16scan_by_key_implILNS1_25lookback_scan_determinismE0ELb1ES3_N6thrust23THRUST_200600_302600_NS6detail15normal_iteratorINS9_10device_ptrIxEEEESE_SE_xNS9_4plusIxEE19head_flag_predicatexEE10hipError_tPvRmT2_T3_T4_T5_mT6_T7_P12ihipStream_tbENKUlT_T0_E_clISt17integral_constantIbLb0EESX_IbLb1EEEEDaST_SU_EUlST_E_NS1_11comp_targetILNS1_3genE0ELNS1_11target_archE4294967295ELNS1_3gpuE0ELNS1_3repE0EEENS1_30default_config_static_selectorELNS0_4arch9wavefront6targetE0EEEvT1_,comdat
	.protected	_ZN7rocprim17ROCPRIM_400000_NS6detail17trampoline_kernelINS0_14default_configENS1_27scan_by_key_config_selectorIxxEEZZNS1_16scan_by_key_implILNS1_25lookback_scan_determinismE0ELb1ES3_N6thrust23THRUST_200600_302600_NS6detail15normal_iteratorINS9_10device_ptrIxEEEESE_SE_xNS9_4plusIxEE19head_flag_predicatexEE10hipError_tPvRmT2_T3_T4_T5_mT6_T7_P12ihipStream_tbENKUlT_T0_E_clISt17integral_constantIbLb0EESX_IbLb1EEEEDaST_SU_EUlST_E_NS1_11comp_targetILNS1_3genE0ELNS1_11target_archE4294967295ELNS1_3gpuE0ELNS1_3repE0EEENS1_30default_config_static_selectorELNS0_4arch9wavefront6targetE0EEEvT1_ ; -- Begin function _ZN7rocprim17ROCPRIM_400000_NS6detail17trampoline_kernelINS0_14default_configENS1_27scan_by_key_config_selectorIxxEEZZNS1_16scan_by_key_implILNS1_25lookback_scan_determinismE0ELb1ES3_N6thrust23THRUST_200600_302600_NS6detail15normal_iteratorINS9_10device_ptrIxEEEESE_SE_xNS9_4plusIxEE19head_flag_predicatexEE10hipError_tPvRmT2_T3_T4_T5_mT6_T7_P12ihipStream_tbENKUlT_T0_E_clISt17integral_constantIbLb0EESX_IbLb1EEEEDaST_SU_EUlST_E_NS1_11comp_targetILNS1_3genE0ELNS1_11target_archE4294967295ELNS1_3gpuE0ELNS1_3repE0EEENS1_30default_config_static_selectorELNS0_4arch9wavefront6targetE0EEEvT1_
	.globl	_ZN7rocprim17ROCPRIM_400000_NS6detail17trampoline_kernelINS0_14default_configENS1_27scan_by_key_config_selectorIxxEEZZNS1_16scan_by_key_implILNS1_25lookback_scan_determinismE0ELb1ES3_N6thrust23THRUST_200600_302600_NS6detail15normal_iteratorINS9_10device_ptrIxEEEESE_SE_xNS9_4plusIxEE19head_flag_predicatexEE10hipError_tPvRmT2_T3_T4_T5_mT6_T7_P12ihipStream_tbENKUlT_T0_E_clISt17integral_constantIbLb0EESX_IbLb1EEEEDaST_SU_EUlST_E_NS1_11comp_targetILNS1_3genE0ELNS1_11target_archE4294967295ELNS1_3gpuE0ELNS1_3repE0EEENS1_30default_config_static_selectorELNS0_4arch9wavefront6targetE0EEEvT1_
	.p2align	8
	.type	_ZN7rocprim17ROCPRIM_400000_NS6detail17trampoline_kernelINS0_14default_configENS1_27scan_by_key_config_selectorIxxEEZZNS1_16scan_by_key_implILNS1_25lookback_scan_determinismE0ELb1ES3_N6thrust23THRUST_200600_302600_NS6detail15normal_iteratorINS9_10device_ptrIxEEEESE_SE_xNS9_4plusIxEE19head_flag_predicatexEE10hipError_tPvRmT2_T3_T4_T5_mT6_T7_P12ihipStream_tbENKUlT_T0_E_clISt17integral_constantIbLb0EESX_IbLb1EEEEDaST_SU_EUlST_E_NS1_11comp_targetILNS1_3genE0ELNS1_11target_archE4294967295ELNS1_3gpuE0ELNS1_3repE0EEENS1_30default_config_static_selectorELNS0_4arch9wavefront6targetE0EEEvT1_,@function
_ZN7rocprim17ROCPRIM_400000_NS6detail17trampoline_kernelINS0_14default_configENS1_27scan_by_key_config_selectorIxxEEZZNS1_16scan_by_key_implILNS1_25lookback_scan_determinismE0ELb1ES3_N6thrust23THRUST_200600_302600_NS6detail15normal_iteratorINS9_10device_ptrIxEEEESE_SE_xNS9_4plusIxEE19head_flag_predicatexEE10hipError_tPvRmT2_T3_T4_T5_mT6_T7_P12ihipStream_tbENKUlT_T0_E_clISt17integral_constantIbLb0EESX_IbLb1EEEEDaST_SU_EUlST_E_NS1_11comp_targetILNS1_3genE0ELNS1_11target_archE4294967295ELNS1_3gpuE0ELNS1_3repE0EEENS1_30default_config_static_selectorELNS0_4arch9wavefront6targetE0EEEvT1_: ; @_ZN7rocprim17ROCPRIM_400000_NS6detail17trampoline_kernelINS0_14default_configENS1_27scan_by_key_config_selectorIxxEEZZNS1_16scan_by_key_implILNS1_25lookback_scan_determinismE0ELb1ES3_N6thrust23THRUST_200600_302600_NS6detail15normal_iteratorINS9_10device_ptrIxEEEESE_SE_xNS9_4plusIxEE19head_flag_predicatexEE10hipError_tPvRmT2_T3_T4_T5_mT6_T7_P12ihipStream_tbENKUlT_T0_E_clISt17integral_constantIbLb0EESX_IbLb1EEEEDaST_SU_EUlST_E_NS1_11comp_targetILNS1_3genE0ELNS1_11target_archE4294967295ELNS1_3gpuE0ELNS1_3repE0EEENS1_30default_config_static_selectorELNS0_4arch9wavefront6targetE0EEEvT1_
; %bb.0:
	.section	.rodata,"a",@progbits
	.p2align	6, 0x0
	.amdhsa_kernel _ZN7rocprim17ROCPRIM_400000_NS6detail17trampoline_kernelINS0_14default_configENS1_27scan_by_key_config_selectorIxxEEZZNS1_16scan_by_key_implILNS1_25lookback_scan_determinismE0ELb1ES3_N6thrust23THRUST_200600_302600_NS6detail15normal_iteratorINS9_10device_ptrIxEEEESE_SE_xNS9_4plusIxEE19head_flag_predicatexEE10hipError_tPvRmT2_T3_T4_T5_mT6_T7_P12ihipStream_tbENKUlT_T0_E_clISt17integral_constantIbLb0EESX_IbLb1EEEEDaST_SU_EUlST_E_NS1_11comp_targetILNS1_3genE0ELNS1_11target_archE4294967295ELNS1_3gpuE0ELNS1_3repE0EEENS1_30default_config_static_selectorELNS0_4arch9wavefront6targetE0EEEvT1_
		.amdhsa_group_segment_fixed_size 0
		.amdhsa_private_segment_fixed_size 0
		.amdhsa_kernarg_size 136
		.amdhsa_user_sgpr_count 6
		.amdhsa_user_sgpr_private_segment_buffer 1
		.amdhsa_user_sgpr_dispatch_ptr 0
		.amdhsa_user_sgpr_queue_ptr 0
		.amdhsa_user_sgpr_kernarg_segment_ptr 1
		.amdhsa_user_sgpr_dispatch_id 0
		.amdhsa_user_sgpr_flat_scratch_init 0
		.amdhsa_user_sgpr_private_segment_size 0
		.amdhsa_wavefront_size32 1
		.amdhsa_uses_dynamic_stack 0
		.amdhsa_system_sgpr_private_segment_wavefront_offset 0
		.amdhsa_system_sgpr_workgroup_id_x 1
		.amdhsa_system_sgpr_workgroup_id_y 0
		.amdhsa_system_sgpr_workgroup_id_z 0
		.amdhsa_system_sgpr_workgroup_info 0
		.amdhsa_system_vgpr_workitem_id 0
		.amdhsa_next_free_vgpr 1
		.amdhsa_next_free_sgpr 1
		.amdhsa_reserve_vcc 0
		.amdhsa_reserve_flat_scratch 0
		.amdhsa_float_round_mode_32 0
		.amdhsa_float_round_mode_16_64 0
		.amdhsa_float_denorm_mode_32 3
		.amdhsa_float_denorm_mode_16_64 3
		.amdhsa_dx10_clamp 1
		.amdhsa_ieee_mode 1
		.amdhsa_fp16_overflow 0
		.amdhsa_workgroup_processor_mode 1
		.amdhsa_memory_ordered 1
		.amdhsa_forward_progress 1
		.amdhsa_shared_vgpr_count 0
		.amdhsa_exception_fp_ieee_invalid_op 0
		.amdhsa_exception_fp_denorm_src 0
		.amdhsa_exception_fp_ieee_div_zero 0
		.amdhsa_exception_fp_ieee_overflow 0
		.amdhsa_exception_fp_ieee_underflow 0
		.amdhsa_exception_fp_ieee_inexact 0
		.amdhsa_exception_int_div_zero 0
	.end_amdhsa_kernel
	.section	.text._ZN7rocprim17ROCPRIM_400000_NS6detail17trampoline_kernelINS0_14default_configENS1_27scan_by_key_config_selectorIxxEEZZNS1_16scan_by_key_implILNS1_25lookback_scan_determinismE0ELb1ES3_N6thrust23THRUST_200600_302600_NS6detail15normal_iteratorINS9_10device_ptrIxEEEESE_SE_xNS9_4plusIxEE19head_flag_predicatexEE10hipError_tPvRmT2_T3_T4_T5_mT6_T7_P12ihipStream_tbENKUlT_T0_E_clISt17integral_constantIbLb0EESX_IbLb1EEEEDaST_SU_EUlST_E_NS1_11comp_targetILNS1_3genE0ELNS1_11target_archE4294967295ELNS1_3gpuE0ELNS1_3repE0EEENS1_30default_config_static_selectorELNS0_4arch9wavefront6targetE0EEEvT1_,"axG",@progbits,_ZN7rocprim17ROCPRIM_400000_NS6detail17trampoline_kernelINS0_14default_configENS1_27scan_by_key_config_selectorIxxEEZZNS1_16scan_by_key_implILNS1_25lookback_scan_determinismE0ELb1ES3_N6thrust23THRUST_200600_302600_NS6detail15normal_iteratorINS9_10device_ptrIxEEEESE_SE_xNS9_4plusIxEE19head_flag_predicatexEE10hipError_tPvRmT2_T3_T4_T5_mT6_T7_P12ihipStream_tbENKUlT_T0_E_clISt17integral_constantIbLb0EESX_IbLb1EEEEDaST_SU_EUlST_E_NS1_11comp_targetILNS1_3genE0ELNS1_11target_archE4294967295ELNS1_3gpuE0ELNS1_3repE0EEENS1_30default_config_static_selectorELNS0_4arch9wavefront6targetE0EEEvT1_,comdat
.Lfunc_end740:
	.size	_ZN7rocprim17ROCPRIM_400000_NS6detail17trampoline_kernelINS0_14default_configENS1_27scan_by_key_config_selectorIxxEEZZNS1_16scan_by_key_implILNS1_25lookback_scan_determinismE0ELb1ES3_N6thrust23THRUST_200600_302600_NS6detail15normal_iteratorINS9_10device_ptrIxEEEESE_SE_xNS9_4plusIxEE19head_flag_predicatexEE10hipError_tPvRmT2_T3_T4_T5_mT6_T7_P12ihipStream_tbENKUlT_T0_E_clISt17integral_constantIbLb0EESX_IbLb1EEEEDaST_SU_EUlST_E_NS1_11comp_targetILNS1_3genE0ELNS1_11target_archE4294967295ELNS1_3gpuE0ELNS1_3repE0EEENS1_30default_config_static_selectorELNS0_4arch9wavefront6targetE0EEEvT1_, .Lfunc_end740-_ZN7rocprim17ROCPRIM_400000_NS6detail17trampoline_kernelINS0_14default_configENS1_27scan_by_key_config_selectorIxxEEZZNS1_16scan_by_key_implILNS1_25lookback_scan_determinismE0ELb1ES3_N6thrust23THRUST_200600_302600_NS6detail15normal_iteratorINS9_10device_ptrIxEEEESE_SE_xNS9_4plusIxEE19head_flag_predicatexEE10hipError_tPvRmT2_T3_T4_T5_mT6_T7_P12ihipStream_tbENKUlT_T0_E_clISt17integral_constantIbLb0EESX_IbLb1EEEEDaST_SU_EUlST_E_NS1_11comp_targetILNS1_3genE0ELNS1_11target_archE4294967295ELNS1_3gpuE0ELNS1_3repE0EEENS1_30default_config_static_selectorELNS0_4arch9wavefront6targetE0EEEvT1_
                                        ; -- End function
	.set _ZN7rocprim17ROCPRIM_400000_NS6detail17trampoline_kernelINS0_14default_configENS1_27scan_by_key_config_selectorIxxEEZZNS1_16scan_by_key_implILNS1_25lookback_scan_determinismE0ELb1ES3_N6thrust23THRUST_200600_302600_NS6detail15normal_iteratorINS9_10device_ptrIxEEEESE_SE_xNS9_4plusIxEE19head_flag_predicatexEE10hipError_tPvRmT2_T3_T4_T5_mT6_T7_P12ihipStream_tbENKUlT_T0_E_clISt17integral_constantIbLb0EESX_IbLb1EEEEDaST_SU_EUlST_E_NS1_11comp_targetILNS1_3genE0ELNS1_11target_archE4294967295ELNS1_3gpuE0ELNS1_3repE0EEENS1_30default_config_static_selectorELNS0_4arch9wavefront6targetE0EEEvT1_.num_vgpr, 0
	.set _ZN7rocprim17ROCPRIM_400000_NS6detail17trampoline_kernelINS0_14default_configENS1_27scan_by_key_config_selectorIxxEEZZNS1_16scan_by_key_implILNS1_25lookback_scan_determinismE0ELb1ES3_N6thrust23THRUST_200600_302600_NS6detail15normal_iteratorINS9_10device_ptrIxEEEESE_SE_xNS9_4plusIxEE19head_flag_predicatexEE10hipError_tPvRmT2_T3_T4_T5_mT6_T7_P12ihipStream_tbENKUlT_T0_E_clISt17integral_constantIbLb0EESX_IbLb1EEEEDaST_SU_EUlST_E_NS1_11comp_targetILNS1_3genE0ELNS1_11target_archE4294967295ELNS1_3gpuE0ELNS1_3repE0EEENS1_30default_config_static_selectorELNS0_4arch9wavefront6targetE0EEEvT1_.num_agpr, 0
	.set _ZN7rocprim17ROCPRIM_400000_NS6detail17trampoline_kernelINS0_14default_configENS1_27scan_by_key_config_selectorIxxEEZZNS1_16scan_by_key_implILNS1_25lookback_scan_determinismE0ELb1ES3_N6thrust23THRUST_200600_302600_NS6detail15normal_iteratorINS9_10device_ptrIxEEEESE_SE_xNS9_4plusIxEE19head_flag_predicatexEE10hipError_tPvRmT2_T3_T4_T5_mT6_T7_P12ihipStream_tbENKUlT_T0_E_clISt17integral_constantIbLb0EESX_IbLb1EEEEDaST_SU_EUlST_E_NS1_11comp_targetILNS1_3genE0ELNS1_11target_archE4294967295ELNS1_3gpuE0ELNS1_3repE0EEENS1_30default_config_static_selectorELNS0_4arch9wavefront6targetE0EEEvT1_.numbered_sgpr, 0
	.set _ZN7rocprim17ROCPRIM_400000_NS6detail17trampoline_kernelINS0_14default_configENS1_27scan_by_key_config_selectorIxxEEZZNS1_16scan_by_key_implILNS1_25lookback_scan_determinismE0ELb1ES3_N6thrust23THRUST_200600_302600_NS6detail15normal_iteratorINS9_10device_ptrIxEEEESE_SE_xNS9_4plusIxEE19head_flag_predicatexEE10hipError_tPvRmT2_T3_T4_T5_mT6_T7_P12ihipStream_tbENKUlT_T0_E_clISt17integral_constantIbLb0EESX_IbLb1EEEEDaST_SU_EUlST_E_NS1_11comp_targetILNS1_3genE0ELNS1_11target_archE4294967295ELNS1_3gpuE0ELNS1_3repE0EEENS1_30default_config_static_selectorELNS0_4arch9wavefront6targetE0EEEvT1_.num_named_barrier, 0
	.set _ZN7rocprim17ROCPRIM_400000_NS6detail17trampoline_kernelINS0_14default_configENS1_27scan_by_key_config_selectorIxxEEZZNS1_16scan_by_key_implILNS1_25lookback_scan_determinismE0ELb1ES3_N6thrust23THRUST_200600_302600_NS6detail15normal_iteratorINS9_10device_ptrIxEEEESE_SE_xNS9_4plusIxEE19head_flag_predicatexEE10hipError_tPvRmT2_T3_T4_T5_mT6_T7_P12ihipStream_tbENKUlT_T0_E_clISt17integral_constantIbLb0EESX_IbLb1EEEEDaST_SU_EUlST_E_NS1_11comp_targetILNS1_3genE0ELNS1_11target_archE4294967295ELNS1_3gpuE0ELNS1_3repE0EEENS1_30default_config_static_selectorELNS0_4arch9wavefront6targetE0EEEvT1_.private_seg_size, 0
	.set _ZN7rocprim17ROCPRIM_400000_NS6detail17trampoline_kernelINS0_14default_configENS1_27scan_by_key_config_selectorIxxEEZZNS1_16scan_by_key_implILNS1_25lookback_scan_determinismE0ELb1ES3_N6thrust23THRUST_200600_302600_NS6detail15normal_iteratorINS9_10device_ptrIxEEEESE_SE_xNS9_4plusIxEE19head_flag_predicatexEE10hipError_tPvRmT2_T3_T4_T5_mT6_T7_P12ihipStream_tbENKUlT_T0_E_clISt17integral_constantIbLb0EESX_IbLb1EEEEDaST_SU_EUlST_E_NS1_11comp_targetILNS1_3genE0ELNS1_11target_archE4294967295ELNS1_3gpuE0ELNS1_3repE0EEENS1_30default_config_static_selectorELNS0_4arch9wavefront6targetE0EEEvT1_.uses_vcc, 0
	.set _ZN7rocprim17ROCPRIM_400000_NS6detail17trampoline_kernelINS0_14default_configENS1_27scan_by_key_config_selectorIxxEEZZNS1_16scan_by_key_implILNS1_25lookback_scan_determinismE0ELb1ES3_N6thrust23THRUST_200600_302600_NS6detail15normal_iteratorINS9_10device_ptrIxEEEESE_SE_xNS9_4plusIxEE19head_flag_predicatexEE10hipError_tPvRmT2_T3_T4_T5_mT6_T7_P12ihipStream_tbENKUlT_T0_E_clISt17integral_constantIbLb0EESX_IbLb1EEEEDaST_SU_EUlST_E_NS1_11comp_targetILNS1_3genE0ELNS1_11target_archE4294967295ELNS1_3gpuE0ELNS1_3repE0EEENS1_30default_config_static_selectorELNS0_4arch9wavefront6targetE0EEEvT1_.uses_flat_scratch, 0
	.set _ZN7rocprim17ROCPRIM_400000_NS6detail17trampoline_kernelINS0_14default_configENS1_27scan_by_key_config_selectorIxxEEZZNS1_16scan_by_key_implILNS1_25lookback_scan_determinismE0ELb1ES3_N6thrust23THRUST_200600_302600_NS6detail15normal_iteratorINS9_10device_ptrIxEEEESE_SE_xNS9_4plusIxEE19head_flag_predicatexEE10hipError_tPvRmT2_T3_T4_T5_mT6_T7_P12ihipStream_tbENKUlT_T0_E_clISt17integral_constantIbLb0EESX_IbLb1EEEEDaST_SU_EUlST_E_NS1_11comp_targetILNS1_3genE0ELNS1_11target_archE4294967295ELNS1_3gpuE0ELNS1_3repE0EEENS1_30default_config_static_selectorELNS0_4arch9wavefront6targetE0EEEvT1_.has_dyn_sized_stack, 0
	.set _ZN7rocprim17ROCPRIM_400000_NS6detail17trampoline_kernelINS0_14default_configENS1_27scan_by_key_config_selectorIxxEEZZNS1_16scan_by_key_implILNS1_25lookback_scan_determinismE0ELb1ES3_N6thrust23THRUST_200600_302600_NS6detail15normal_iteratorINS9_10device_ptrIxEEEESE_SE_xNS9_4plusIxEE19head_flag_predicatexEE10hipError_tPvRmT2_T3_T4_T5_mT6_T7_P12ihipStream_tbENKUlT_T0_E_clISt17integral_constantIbLb0EESX_IbLb1EEEEDaST_SU_EUlST_E_NS1_11comp_targetILNS1_3genE0ELNS1_11target_archE4294967295ELNS1_3gpuE0ELNS1_3repE0EEENS1_30default_config_static_selectorELNS0_4arch9wavefront6targetE0EEEvT1_.has_recursion, 0
	.set _ZN7rocprim17ROCPRIM_400000_NS6detail17trampoline_kernelINS0_14default_configENS1_27scan_by_key_config_selectorIxxEEZZNS1_16scan_by_key_implILNS1_25lookback_scan_determinismE0ELb1ES3_N6thrust23THRUST_200600_302600_NS6detail15normal_iteratorINS9_10device_ptrIxEEEESE_SE_xNS9_4plusIxEE19head_flag_predicatexEE10hipError_tPvRmT2_T3_T4_T5_mT6_T7_P12ihipStream_tbENKUlT_T0_E_clISt17integral_constantIbLb0EESX_IbLb1EEEEDaST_SU_EUlST_E_NS1_11comp_targetILNS1_3genE0ELNS1_11target_archE4294967295ELNS1_3gpuE0ELNS1_3repE0EEENS1_30default_config_static_selectorELNS0_4arch9wavefront6targetE0EEEvT1_.has_indirect_call, 0
	.section	.AMDGPU.csdata,"",@progbits
; Kernel info:
; codeLenInByte = 0
; TotalNumSgprs: 0
; NumVgprs: 0
; ScratchSize: 0
; MemoryBound: 0
; FloatMode: 240
; IeeeMode: 1
; LDSByteSize: 0 bytes/workgroup (compile time only)
; SGPRBlocks: 0
; VGPRBlocks: 0
; NumSGPRsForWavesPerEU: 1
; NumVGPRsForWavesPerEU: 1
; Occupancy: 16
; WaveLimiterHint : 0
; COMPUTE_PGM_RSRC2:SCRATCH_EN: 0
; COMPUTE_PGM_RSRC2:USER_SGPR: 6
; COMPUTE_PGM_RSRC2:TRAP_HANDLER: 0
; COMPUTE_PGM_RSRC2:TGID_X_EN: 1
; COMPUTE_PGM_RSRC2:TGID_Y_EN: 0
; COMPUTE_PGM_RSRC2:TGID_Z_EN: 0
; COMPUTE_PGM_RSRC2:TIDIG_COMP_CNT: 0
	.section	.text._ZN7rocprim17ROCPRIM_400000_NS6detail17trampoline_kernelINS0_14default_configENS1_27scan_by_key_config_selectorIxxEEZZNS1_16scan_by_key_implILNS1_25lookback_scan_determinismE0ELb1ES3_N6thrust23THRUST_200600_302600_NS6detail15normal_iteratorINS9_10device_ptrIxEEEESE_SE_xNS9_4plusIxEE19head_flag_predicatexEE10hipError_tPvRmT2_T3_T4_T5_mT6_T7_P12ihipStream_tbENKUlT_T0_E_clISt17integral_constantIbLb0EESX_IbLb1EEEEDaST_SU_EUlST_E_NS1_11comp_targetILNS1_3genE10ELNS1_11target_archE1201ELNS1_3gpuE5ELNS1_3repE0EEENS1_30default_config_static_selectorELNS0_4arch9wavefront6targetE0EEEvT1_,"axG",@progbits,_ZN7rocprim17ROCPRIM_400000_NS6detail17trampoline_kernelINS0_14default_configENS1_27scan_by_key_config_selectorIxxEEZZNS1_16scan_by_key_implILNS1_25lookback_scan_determinismE0ELb1ES3_N6thrust23THRUST_200600_302600_NS6detail15normal_iteratorINS9_10device_ptrIxEEEESE_SE_xNS9_4plusIxEE19head_flag_predicatexEE10hipError_tPvRmT2_T3_T4_T5_mT6_T7_P12ihipStream_tbENKUlT_T0_E_clISt17integral_constantIbLb0EESX_IbLb1EEEEDaST_SU_EUlST_E_NS1_11comp_targetILNS1_3genE10ELNS1_11target_archE1201ELNS1_3gpuE5ELNS1_3repE0EEENS1_30default_config_static_selectorELNS0_4arch9wavefront6targetE0EEEvT1_,comdat
	.protected	_ZN7rocprim17ROCPRIM_400000_NS6detail17trampoline_kernelINS0_14default_configENS1_27scan_by_key_config_selectorIxxEEZZNS1_16scan_by_key_implILNS1_25lookback_scan_determinismE0ELb1ES3_N6thrust23THRUST_200600_302600_NS6detail15normal_iteratorINS9_10device_ptrIxEEEESE_SE_xNS9_4plusIxEE19head_flag_predicatexEE10hipError_tPvRmT2_T3_T4_T5_mT6_T7_P12ihipStream_tbENKUlT_T0_E_clISt17integral_constantIbLb0EESX_IbLb1EEEEDaST_SU_EUlST_E_NS1_11comp_targetILNS1_3genE10ELNS1_11target_archE1201ELNS1_3gpuE5ELNS1_3repE0EEENS1_30default_config_static_selectorELNS0_4arch9wavefront6targetE0EEEvT1_ ; -- Begin function _ZN7rocprim17ROCPRIM_400000_NS6detail17trampoline_kernelINS0_14default_configENS1_27scan_by_key_config_selectorIxxEEZZNS1_16scan_by_key_implILNS1_25lookback_scan_determinismE0ELb1ES3_N6thrust23THRUST_200600_302600_NS6detail15normal_iteratorINS9_10device_ptrIxEEEESE_SE_xNS9_4plusIxEE19head_flag_predicatexEE10hipError_tPvRmT2_T3_T4_T5_mT6_T7_P12ihipStream_tbENKUlT_T0_E_clISt17integral_constantIbLb0EESX_IbLb1EEEEDaST_SU_EUlST_E_NS1_11comp_targetILNS1_3genE10ELNS1_11target_archE1201ELNS1_3gpuE5ELNS1_3repE0EEENS1_30default_config_static_selectorELNS0_4arch9wavefront6targetE0EEEvT1_
	.globl	_ZN7rocprim17ROCPRIM_400000_NS6detail17trampoline_kernelINS0_14default_configENS1_27scan_by_key_config_selectorIxxEEZZNS1_16scan_by_key_implILNS1_25lookback_scan_determinismE0ELb1ES3_N6thrust23THRUST_200600_302600_NS6detail15normal_iteratorINS9_10device_ptrIxEEEESE_SE_xNS9_4plusIxEE19head_flag_predicatexEE10hipError_tPvRmT2_T3_T4_T5_mT6_T7_P12ihipStream_tbENKUlT_T0_E_clISt17integral_constantIbLb0EESX_IbLb1EEEEDaST_SU_EUlST_E_NS1_11comp_targetILNS1_3genE10ELNS1_11target_archE1201ELNS1_3gpuE5ELNS1_3repE0EEENS1_30default_config_static_selectorELNS0_4arch9wavefront6targetE0EEEvT1_
	.p2align	8
	.type	_ZN7rocprim17ROCPRIM_400000_NS6detail17trampoline_kernelINS0_14default_configENS1_27scan_by_key_config_selectorIxxEEZZNS1_16scan_by_key_implILNS1_25lookback_scan_determinismE0ELb1ES3_N6thrust23THRUST_200600_302600_NS6detail15normal_iteratorINS9_10device_ptrIxEEEESE_SE_xNS9_4plusIxEE19head_flag_predicatexEE10hipError_tPvRmT2_T3_T4_T5_mT6_T7_P12ihipStream_tbENKUlT_T0_E_clISt17integral_constantIbLb0EESX_IbLb1EEEEDaST_SU_EUlST_E_NS1_11comp_targetILNS1_3genE10ELNS1_11target_archE1201ELNS1_3gpuE5ELNS1_3repE0EEENS1_30default_config_static_selectorELNS0_4arch9wavefront6targetE0EEEvT1_,@function
_ZN7rocprim17ROCPRIM_400000_NS6detail17trampoline_kernelINS0_14default_configENS1_27scan_by_key_config_selectorIxxEEZZNS1_16scan_by_key_implILNS1_25lookback_scan_determinismE0ELb1ES3_N6thrust23THRUST_200600_302600_NS6detail15normal_iteratorINS9_10device_ptrIxEEEESE_SE_xNS9_4plusIxEE19head_flag_predicatexEE10hipError_tPvRmT2_T3_T4_T5_mT6_T7_P12ihipStream_tbENKUlT_T0_E_clISt17integral_constantIbLb0EESX_IbLb1EEEEDaST_SU_EUlST_E_NS1_11comp_targetILNS1_3genE10ELNS1_11target_archE1201ELNS1_3gpuE5ELNS1_3repE0EEENS1_30default_config_static_selectorELNS0_4arch9wavefront6targetE0EEEvT1_: ; @_ZN7rocprim17ROCPRIM_400000_NS6detail17trampoline_kernelINS0_14default_configENS1_27scan_by_key_config_selectorIxxEEZZNS1_16scan_by_key_implILNS1_25lookback_scan_determinismE0ELb1ES3_N6thrust23THRUST_200600_302600_NS6detail15normal_iteratorINS9_10device_ptrIxEEEESE_SE_xNS9_4plusIxEE19head_flag_predicatexEE10hipError_tPvRmT2_T3_T4_T5_mT6_T7_P12ihipStream_tbENKUlT_T0_E_clISt17integral_constantIbLb0EESX_IbLb1EEEEDaST_SU_EUlST_E_NS1_11comp_targetILNS1_3genE10ELNS1_11target_archE1201ELNS1_3gpuE5ELNS1_3repE0EEENS1_30default_config_static_selectorELNS0_4arch9wavefront6targetE0EEEvT1_
; %bb.0:
	.section	.rodata,"a",@progbits
	.p2align	6, 0x0
	.amdhsa_kernel _ZN7rocprim17ROCPRIM_400000_NS6detail17trampoline_kernelINS0_14default_configENS1_27scan_by_key_config_selectorIxxEEZZNS1_16scan_by_key_implILNS1_25lookback_scan_determinismE0ELb1ES3_N6thrust23THRUST_200600_302600_NS6detail15normal_iteratorINS9_10device_ptrIxEEEESE_SE_xNS9_4plusIxEE19head_flag_predicatexEE10hipError_tPvRmT2_T3_T4_T5_mT6_T7_P12ihipStream_tbENKUlT_T0_E_clISt17integral_constantIbLb0EESX_IbLb1EEEEDaST_SU_EUlST_E_NS1_11comp_targetILNS1_3genE10ELNS1_11target_archE1201ELNS1_3gpuE5ELNS1_3repE0EEENS1_30default_config_static_selectorELNS0_4arch9wavefront6targetE0EEEvT1_
		.amdhsa_group_segment_fixed_size 0
		.amdhsa_private_segment_fixed_size 0
		.amdhsa_kernarg_size 136
		.amdhsa_user_sgpr_count 6
		.amdhsa_user_sgpr_private_segment_buffer 1
		.amdhsa_user_sgpr_dispatch_ptr 0
		.amdhsa_user_sgpr_queue_ptr 0
		.amdhsa_user_sgpr_kernarg_segment_ptr 1
		.amdhsa_user_sgpr_dispatch_id 0
		.amdhsa_user_sgpr_flat_scratch_init 0
		.amdhsa_user_sgpr_private_segment_size 0
		.amdhsa_wavefront_size32 1
		.amdhsa_uses_dynamic_stack 0
		.amdhsa_system_sgpr_private_segment_wavefront_offset 0
		.amdhsa_system_sgpr_workgroup_id_x 1
		.amdhsa_system_sgpr_workgroup_id_y 0
		.amdhsa_system_sgpr_workgroup_id_z 0
		.amdhsa_system_sgpr_workgroup_info 0
		.amdhsa_system_vgpr_workitem_id 0
		.amdhsa_next_free_vgpr 1
		.amdhsa_next_free_sgpr 1
		.amdhsa_reserve_vcc 0
		.amdhsa_reserve_flat_scratch 0
		.amdhsa_float_round_mode_32 0
		.amdhsa_float_round_mode_16_64 0
		.amdhsa_float_denorm_mode_32 3
		.amdhsa_float_denorm_mode_16_64 3
		.amdhsa_dx10_clamp 1
		.amdhsa_ieee_mode 1
		.amdhsa_fp16_overflow 0
		.amdhsa_workgroup_processor_mode 1
		.amdhsa_memory_ordered 1
		.amdhsa_forward_progress 1
		.amdhsa_shared_vgpr_count 0
		.amdhsa_exception_fp_ieee_invalid_op 0
		.amdhsa_exception_fp_denorm_src 0
		.amdhsa_exception_fp_ieee_div_zero 0
		.amdhsa_exception_fp_ieee_overflow 0
		.amdhsa_exception_fp_ieee_underflow 0
		.amdhsa_exception_fp_ieee_inexact 0
		.amdhsa_exception_int_div_zero 0
	.end_amdhsa_kernel
	.section	.text._ZN7rocprim17ROCPRIM_400000_NS6detail17trampoline_kernelINS0_14default_configENS1_27scan_by_key_config_selectorIxxEEZZNS1_16scan_by_key_implILNS1_25lookback_scan_determinismE0ELb1ES3_N6thrust23THRUST_200600_302600_NS6detail15normal_iteratorINS9_10device_ptrIxEEEESE_SE_xNS9_4plusIxEE19head_flag_predicatexEE10hipError_tPvRmT2_T3_T4_T5_mT6_T7_P12ihipStream_tbENKUlT_T0_E_clISt17integral_constantIbLb0EESX_IbLb1EEEEDaST_SU_EUlST_E_NS1_11comp_targetILNS1_3genE10ELNS1_11target_archE1201ELNS1_3gpuE5ELNS1_3repE0EEENS1_30default_config_static_selectorELNS0_4arch9wavefront6targetE0EEEvT1_,"axG",@progbits,_ZN7rocprim17ROCPRIM_400000_NS6detail17trampoline_kernelINS0_14default_configENS1_27scan_by_key_config_selectorIxxEEZZNS1_16scan_by_key_implILNS1_25lookback_scan_determinismE0ELb1ES3_N6thrust23THRUST_200600_302600_NS6detail15normal_iteratorINS9_10device_ptrIxEEEESE_SE_xNS9_4plusIxEE19head_flag_predicatexEE10hipError_tPvRmT2_T3_T4_T5_mT6_T7_P12ihipStream_tbENKUlT_T0_E_clISt17integral_constantIbLb0EESX_IbLb1EEEEDaST_SU_EUlST_E_NS1_11comp_targetILNS1_3genE10ELNS1_11target_archE1201ELNS1_3gpuE5ELNS1_3repE0EEENS1_30default_config_static_selectorELNS0_4arch9wavefront6targetE0EEEvT1_,comdat
.Lfunc_end741:
	.size	_ZN7rocprim17ROCPRIM_400000_NS6detail17trampoline_kernelINS0_14default_configENS1_27scan_by_key_config_selectorIxxEEZZNS1_16scan_by_key_implILNS1_25lookback_scan_determinismE0ELb1ES3_N6thrust23THRUST_200600_302600_NS6detail15normal_iteratorINS9_10device_ptrIxEEEESE_SE_xNS9_4plusIxEE19head_flag_predicatexEE10hipError_tPvRmT2_T3_T4_T5_mT6_T7_P12ihipStream_tbENKUlT_T0_E_clISt17integral_constantIbLb0EESX_IbLb1EEEEDaST_SU_EUlST_E_NS1_11comp_targetILNS1_3genE10ELNS1_11target_archE1201ELNS1_3gpuE5ELNS1_3repE0EEENS1_30default_config_static_selectorELNS0_4arch9wavefront6targetE0EEEvT1_, .Lfunc_end741-_ZN7rocprim17ROCPRIM_400000_NS6detail17trampoline_kernelINS0_14default_configENS1_27scan_by_key_config_selectorIxxEEZZNS1_16scan_by_key_implILNS1_25lookback_scan_determinismE0ELb1ES3_N6thrust23THRUST_200600_302600_NS6detail15normal_iteratorINS9_10device_ptrIxEEEESE_SE_xNS9_4plusIxEE19head_flag_predicatexEE10hipError_tPvRmT2_T3_T4_T5_mT6_T7_P12ihipStream_tbENKUlT_T0_E_clISt17integral_constantIbLb0EESX_IbLb1EEEEDaST_SU_EUlST_E_NS1_11comp_targetILNS1_3genE10ELNS1_11target_archE1201ELNS1_3gpuE5ELNS1_3repE0EEENS1_30default_config_static_selectorELNS0_4arch9wavefront6targetE0EEEvT1_
                                        ; -- End function
	.set _ZN7rocprim17ROCPRIM_400000_NS6detail17trampoline_kernelINS0_14default_configENS1_27scan_by_key_config_selectorIxxEEZZNS1_16scan_by_key_implILNS1_25lookback_scan_determinismE0ELb1ES3_N6thrust23THRUST_200600_302600_NS6detail15normal_iteratorINS9_10device_ptrIxEEEESE_SE_xNS9_4plusIxEE19head_flag_predicatexEE10hipError_tPvRmT2_T3_T4_T5_mT6_T7_P12ihipStream_tbENKUlT_T0_E_clISt17integral_constantIbLb0EESX_IbLb1EEEEDaST_SU_EUlST_E_NS1_11comp_targetILNS1_3genE10ELNS1_11target_archE1201ELNS1_3gpuE5ELNS1_3repE0EEENS1_30default_config_static_selectorELNS0_4arch9wavefront6targetE0EEEvT1_.num_vgpr, 0
	.set _ZN7rocprim17ROCPRIM_400000_NS6detail17trampoline_kernelINS0_14default_configENS1_27scan_by_key_config_selectorIxxEEZZNS1_16scan_by_key_implILNS1_25lookback_scan_determinismE0ELb1ES3_N6thrust23THRUST_200600_302600_NS6detail15normal_iteratorINS9_10device_ptrIxEEEESE_SE_xNS9_4plusIxEE19head_flag_predicatexEE10hipError_tPvRmT2_T3_T4_T5_mT6_T7_P12ihipStream_tbENKUlT_T0_E_clISt17integral_constantIbLb0EESX_IbLb1EEEEDaST_SU_EUlST_E_NS1_11comp_targetILNS1_3genE10ELNS1_11target_archE1201ELNS1_3gpuE5ELNS1_3repE0EEENS1_30default_config_static_selectorELNS0_4arch9wavefront6targetE0EEEvT1_.num_agpr, 0
	.set _ZN7rocprim17ROCPRIM_400000_NS6detail17trampoline_kernelINS0_14default_configENS1_27scan_by_key_config_selectorIxxEEZZNS1_16scan_by_key_implILNS1_25lookback_scan_determinismE0ELb1ES3_N6thrust23THRUST_200600_302600_NS6detail15normal_iteratorINS9_10device_ptrIxEEEESE_SE_xNS9_4plusIxEE19head_flag_predicatexEE10hipError_tPvRmT2_T3_T4_T5_mT6_T7_P12ihipStream_tbENKUlT_T0_E_clISt17integral_constantIbLb0EESX_IbLb1EEEEDaST_SU_EUlST_E_NS1_11comp_targetILNS1_3genE10ELNS1_11target_archE1201ELNS1_3gpuE5ELNS1_3repE0EEENS1_30default_config_static_selectorELNS0_4arch9wavefront6targetE0EEEvT1_.numbered_sgpr, 0
	.set _ZN7rocprim17ROCPRIM_400000_NS6detail17trampoline_kernelINS0_14default_configENS1_27scan_by_key_config_selectorIxxEEZZNS1_16scan_by_key_implILNS1_25lookback_scan_determinismE0ELb1ES3_N6thrust23THRUST_200600_302600_NS6detail15normal_iteratorINS9_10device_ptrIxEEEESE_SE_xNS9_4plusIxEE19head_flag_predicatexEE10hipError_tPvRmT2_T3_T4_T5_mT6_T7_P12ihipStream_tbENKUlT_T0_E_clISt17integral_constantIbLb0EESX_IbLb1EEEEDaST_SU_EUlST_E_NS1_11comp_targetILNS1_3genE10ELNS1_11target_archE1201ELNS1_3gpuE5ELNS1_3repE0EEENS1_30default_config_static_selectorELNS0_4arch9wavefront6targetE0EEEvT1_.num_named_barrier, 0
	.set _ZN7rocprim17ROCPRIM_400000_NS6detail17trampoline_kernelINS0_14default_configENS1_27scan_by_key_config_selectorIxxEEZZNS1_16scan_by_key_implILNS1_25lookback_scan_determinismE0ELb1ES3_N6thrust23THRUST_200600_302600_NS6detail15normal_iteratorINS9_10device_ptrIxEEEESE_SE_xNS9_4plusIxEE19head_flag_predicatexEE10hipError_tPvRmT2_T3_T4_T5_mT6_T7_P12ihipStream_tbENKUlT_T0_E_clISt17integral_constantIbLb0EESX_IbLb1EEEEDaST_SU_EUlST_E_NS1_11comp_targetILNS1_3genE10ELNS1_11target_archE1201ELNS1_3gpuE5ELNS1_3repE0EEENS1_30default_config_static_selectorELNS0_4arch9wavefront6targetE0EEEvT1_.private_seg_size, 0
	.set _ZN7rocprim17ROCPRIM_400000_NS6detail17trampoline_kernelINS0_14default_configENS1_27scan_by_key_config_selectorIxxEEZZNS1_16scan_by_key_implILNS1_25lookback_scan_determinismE0ELb1ES3_N6thrust23THRUST_200600_302600_NS6detail15normal_iteratorINS9_10device_ptrIxEEEESE_SE_xNS9_4plusIxEE19head_flag_predicatexEE10hipError_tPvRmT2_T3_T4_T5_mT6_T7_P12ihipStream_tbENKUlT_T0_E_clISt17integral_constantIbLb0EESX_IbLb1EEEEDaST_SU_EUlST_E_NS1_11comp_targetILNS1_3genE10ELNS1_11target_archE1201ELNS1_3gpuE5ELNS1_3repE0EEENS1_30default_config_static_selectorELNS0_4arch9wavefront6targetE0EEEvT1_.uses_vcc, 0
	.set _ZN7rocprim17ROCPRIM_400000_NS6detail17trampoline_kernelINS0_14default_configENS1_27scan_by_key_config_selectorIxxEEZZNS1_16scan_by_key_implILNS1_25lookback_scan_determinismE0ELb1ES3_N6thrust23THRUST_200600_302600_NS6detail15normal_iteratorINS9_10device_ptrIxEEEESE_SE_xNS9_4plusIxEE19head_flag_predicatexEE10hipError_tPvRmT2_T3_T4_T5_mT6_T7_P12ihipStream_tbENKUlT_T0_E_clISt17integral_constantIbLb0EESX_IbLb1EEEEDaST_SU_EUlST_E_NS1_11comp_targetILNS1_3genE10ELNS1_11target_archE1201ELNS1_3gpuE5ELNS1_3repE0EEENS1_30default_config_static_selectorELNS0_4arch9wavefront6targetE0EEEvT1_.uses_flat_scratch, 0
	.set _ZN7rocprim17ROCPRIM_400000_NS6detail17trampoline_kernelINS0_14default_configENS1_27scan_by_key_config_selectorIxxEEZZNS1_16scan_by_key_implILNS1_25lookback_scan_determinismE0ELb1ES3_N6thrust23THRUST_200600_302600_NS6detail15normal_iteratorINS9_10device_ptrIxEEEESE_SE_xNS9_4plusIxEE19head_flag_predicatexEE10hipError_tPvRmT2_T3_T4_T5_mT6_T7_P12ihipStream_tbENKUlT_T0_E_clISt17integral_constantIbLb0EESX_IbLb1EEEEDaST_SU_EUlST_E_NS1_11comp_targetILNS1_3genE10ELNS1_11target_archE1201ELNS1_3gpuE5ELNS1_3repE0EEENS1_30default_config_static_selectorELNS0_4arch9wavefront6targetE0EEEvT1_.has_dyn_sized_stack, 0
	.set _ZN7rocprim17ROCPRIM_400000_NS6detail17trampoline_kernelINS0_14default_configENS1_27scan_by_key_config_selectorIxxEEZZNS1_16scan_by_key_implILNS1_25lookback_scan_determinismE0ELb1ES3_N6thrust23THRUST_200600_302600_NS6detail15normal_iteratorINS9_10device_ptrIxEEEESE_SE_xNS9_4plusIxEE19head_flag_predicatexEE10hipError_tPvRmT2_T3_T4_T5_mT6_T7_P12ihipStream_tbENKUlT_T0_E_clISt17integral_constantIbLb0EESX_IbLb1EEEEDaST_SU_EUlST_E_NS1_11comp_targetILNS1_3genE10ELNS1_11target_archE1201ELNS1_3gpuE5ELNS1_3repE0EEENS1_30default_config_static_selectorELNS0_4arch9wavefront6targetE0EEEvT1_.has_recursion, 0
	.set _ZN7rocprim17ROCPRIM_400000_NS6detail17trampoline_kernelINS0_14default_configENS1_27scan_by_key_config_selectorIxxEEZZNS1_16scan_by_key_implILNS1_25lookback_scan_determinismE0ELb1ES3_N6thrust23THRUST_200600_302600_NS6detail15normal_iteratorINS9_10device_ptrIxEEEESE_SE_xNS9_4plusIxEE19head_flag_predicatexEE10hipError_tPvRmT2_T3_T4_T5_mT6_T7_P12ihipStream_tbENKUlT_T0_E_clISt17integral_constantIbLb0EESX_IbLb1EEEEDaST_SU_EUlST_E_NS1_11comp_targetILNS1_3genE10ELNS1_11target_archE1201ELNS1_3gpuE5ELNS1_3repE0EEENS1_30default_config_static_selectorELNS0_4arch9wavefront6targetE0EEEvT1_.has_indirect_call, 0
	.section	.AMDGPU.csdata,"",@progbits
; Kernel info:
; codeLenInByte = 0
; TotalNumSgprs: 0
; NumVgprs: 0
; ScratchSize: 0
; MemoryBound: 0
; FloatMode: 240
; IeeeMode: 1
; LDSByteSize: 0 bytes/workgroup (compile time only)
; SGPRBlocks: 0
; VGPRBlocks: 0
; NumSGPRsForWavesPerEU: 1
; NumVGPRsForWavesPerEU: 1
; Occupancy: 16
; WaveLimiterHint : 0
; COMPUTE_PGM_RSRC2:SCRATCH_EN: 0
; COMPUTE_PGM_RSRC2:USER_SGPR: 6
; COMPUTE_PGM_RSRC2:TRAP_HANDLER: 0
; COMPUTE_PGM_RSRC2:TGID_X_EN: 1
; COMPUTE_PGM_RSRC2:TGID_Y_EN: 0
; COMPUTE_PGM_RSRC2:TGID_Z_EN: 0
; COMPUTE_PGM_RSRC2:TIDIG_COMP_CNT: 0
	.section	.text._ZN7rocprim17ROCPRIM_400000_NS6detail17trampoline_kernelINS0_14default_configENS1_27scan_by_key_config_selectorIxxEEZZNS1_16scan_by_key_implILNS1_25lookback_scan_determinismE0ELb1ES3_N6thrust23THRUST_200600_302600_NS6detail15normal_iteratorINS9_10device_ptrIxEEEESE_SE_xNS9_4plusIxEE19head_flag_predicatexEE10hipError_tPvRmT2_T3_T4_T5_mT6_T7_P12ihipStream_tbENKUlT_T0_E_clISt17integral_constantIbLb0EESX_IbLb1EEEEDaST_SU_EUlST_E_NS1_11comp_targetILNS1_3genE5ELNS1_11target_archE942ELNS1_3gpuE9ELNS1_3repE0EEENS1_30default_config_static_selectorELNS0_4arch9wavefront6targetE0EEEvT1_,"axG",@progbits,_ZN7rocprim17ROCPRIM_400000_NS6detail17trampoline_kernelINS0_14default_configENS1_27scan_by_key_config_selectorIxxEEZZNS1_16scan_by_key_implILNS1_25lookback_scan_determinismE0ELb1ES3_N6thrust23THRUST_200600_302600_NS6detail15normal_iteratorINS9_10device_ptrIxEEEESE_SE_xNS9_4plusIxEE19head_flag_predicatexEE10hipError_tPvRmT2_T3_T4_T5_mT6_T7_P12ihipStream_tbENKUlT_T0_E_clISt17integral_constantIbLb0EESX_IbLb1EEEEDaST_SU_EUlST_E_NS1_11comp_targetILNS1_3genE5ELNS1_11target_archE942ELNS1_3gpuE9ELNS1_3repE0EEENS1_30default_config_static_selectorELNS0_4arch9wavefront6targetE0EEEvT1_,comdat
	.protected	_ZN7rocprim17ROCPRIM_400000_NS6detail17trampoline_kernelINS0_14default_configENS1_27scan_by_key_config_selectorIxxEEZZNS1_16scan_by_key_implILNS1_25lookback_scan_determinismE0ELb1ES3_N6thrust23THRUST_200600_302600_NS6detail15normal_iteratorINS9_10device_ptrIxEEEESE_SE_xNS9_4plusIxEE19head_flag_predicatexEE10hipError_tPvRmT2_T3_T4_T5_mT6_T7_P12ihipStream_tbENKUlT_T0_E_clISt17integral_constantIbLb0EESX_IbLb1EEEEDaST_SU_EUlST_E_NS1_11comp_targetILNS1_3genE5ELNS1_11target_archE942ELNS1_3gpuE9ELNS1_3repE0EEENS1_30default_config_static_selectorELNS0_4arch9wavefront6targetE0EEEvT1_ ; -- Begin function _ZN7rocprim17ROCPRIM_400000_NS6detail17trampoline_kernelINS0_14default_configENS1_27scan_by_key_config_selectorIxxEEZZNS1_16scan_by_key_implILNS1_25lookback_scan_determinismE0ELb1ES3_N6thrust23THRUST_200600_302600_NS6detail15normal_iteratorINS9_10device_ptrIxEEEESE_SE_xNS9_4plusIxEE19head_flag_predicatexEE10hipError_tPvRmT2_T3_T4_T5_mT6_T7_P12ihipStream_tbENKUlT_T0_E_clISt17integral_constantIbLb0EESX_IbLb1EEEEDaST_SU_EUlST_E_NS1_11comp_targetILNS1_3genE5ELNS1_11target_archE942ELNS1_3gpuE9ELNS1_3repE0EEENS1_30default_config_static_selectorELNS0_4arch9wavefront6targetE0EEEvT1_
	.globl	_ZN7rocprim17ROCPRIM_400000_NS6detail17trampoline_kernelINS0_14default_configENS1_27scan_by_key_config_selectorIxxEEZZNS1_16scan_by_key_implILNS1_25lookback_scan_determinismE0ELb1ES3_N6thrust23THRUST_200600_302600_NS6detail15normal_iteratorINS9_10device_ptrIxEEEESE_SE_xNS9_4plusIxEE19head_flag_predicatexEE10hipError_tPvRmT2_T3_T4_T5_mT6_T7_P12ihipStream_tbENKUlT_T0_E_clISt17integral_constantIbLb0EESX_IbLb1EEEEDaST_SU_EUlST_E_NS1_11comp_targetILNS1_3genE5ELNS1_11target_archE942ELNS1_3gpuE9ELNS1_3repE0EEENS1_30default_config_static_selectorELNS0_4arch9wavefront6targetE0EEEvT1_
	.p2align	8
	.type	_ZN7rocprim17ROCPRIM_400000_NS6detail17trampoline_kernelINS0_14default_configENS1_27scan_by_key_config_selectorIxxEEZZNS1_16scan_by_key_implILNS1_25lookback_scan_determinismE0ELb1ES3_N6thrust23THRUST_200600_302600_NS6detail15normal_iteratorINS9_10device_ptrIxEEEESE_SE_xNS9_4plusIxEE19head_flag_predicatexEE10hipError_tPvRmT2_T3_T4_T5_mT6_T7_P12ihipStream_tbENKUlT_T0_E_clISt17integral_constantIbLb0EESX_IbLb1EEEEDaST_SU_EUlST_E_NS1_11comp_targetILNS1_3genE5ELNS1_11target_archE942ELNS1_3gpuE9ELNS1_3repE0EEENS1_30default_config_static_selectorELNS0_4arch9wavefront6targetE0EEEvT1_,@function
_ZN7rocprim17ROCPRIM_400000_NS6detail17trampoline_kernelINS0_14default_configENS1_27scan_by_key_config_selectorIxxEEZZNS1_16scan_by_key_implILNS1_25lookback_scan_determinismE0ELb1ES3_N6thrust23THRUST_200600_302600_NS6detail15normal_iteratorINS9_10device_ptrIxEEEESE_SE_xNS9_4plusIxEE19head_flag_predicatexEE10hipError_tPvRmT2_T3_T4_T5_mT6_T7_P12ihipStream_tbENKUlT_T0_E_clISt17integral_constantIbLb0EESX_IbLb1EEEEDaST_SU_EUlST_E_NS1_11comp_targetILNS1_3genE5ELNS1_11target_archE942ELNS1_3gpuE9ELNS1_3repE0EEENS1_30default_config_static_selectorELNS0_4arch9wavefront6targetE0EEEvT1_: ; @_ZN7rocprim17ROCPRIM_400000_NS6detail17trampoline_kernelINS0_14default_configENS1_27scan_by_key_config_selectorIxxEEZZNS1_16scan_by_key_implILNS1_25lookback_scan_determinismE0ELb1ES3_N6thrust23THRUST_200600_302600_NS6detail15normal_iteratorINS9_10device_ptrIxEEEESE_SE_xNS9_4plusIxEE19head_flag_predicatexEE10hipError_tPvRmT2_T3_T4_T5_mT6_T7_P12ihipStream_tbENKUlT_T0_E_clISt17integral_constantIbLb0EESX_IbLb1EEEEDaST_SU_EUlST_E_NS1_11comp_targetILNS1_3genE5ELNS1_11target_archE942ELNS1_3gpuE9ELNS1_3repE0EEENS1_30default_config_static_selectorELNS0_4arch9wavefront6targetE0EEEvT1_
; %bb.0:
	.section	.rodata,"a",@progbits
	.p2align	6, 0x0
	.amdhsa_kernel _ZN7rocprim17ROCPRIM_400000_NS6detail17trampoline_kernelINS0_14default_configENS1_27scan_by_key_config_selectorIxxEEZZNS1_16scan_by_key_implILNS1_25lookback_scan_determinismE0ELb1ES3_N6thrust23THRUST_200600_302600_NS6detail15normal_iteratorINS9_10device_ptrIxEEEESE_SE_xNS9_4plusIxEE19head_flag_predicatexEE10hipError_tPvRmT2_T3_T4_T5_mT6_T7_P12ihipStream_tbENKUlT_T0_E_clISt17integral_constantIbLb0EESX_IbLb1EEEEDaST_SU_EUlST_E_NS1_11comp_targetILNS1_3genE5ELNS1_11target_archE942ELNS1_3gpuE9ELNS1_3repE0EEENS1_30default_config_static_selectorELNS0_4arch9wavefront6targetE0EEEvT1_
		.amdhsa_group_segment_fixed_size 0
		.amdhsa_private_segment_fixed_size 0
		.amdhsa_kernarg_size 136
		.amdhsa_user_sgpr_count 6
		.amdhsa_user_sgpr_private_segment_buffer 1
		.amdhsa_user_sgpr_dispatch_ptr 0
		.amdhsa_user_sgpr_queue_ptr 0
		.amdhsa_user_sgpr_kernarg_segment_ptr 1
		.amdhsa_user_sgpr_dispatch_id 0
		.amdhsa_user_sgpr_flat_scratch_init 0
		.amdhsa_user_sgpr_private_segment_size 0
		.amdhsa_wavefront_size32 1
		.amdhsa_uses_dynamic_stack 0
		.amdhsa_system_sgpr_private_segment_wavefront_offset 0
		.amdhsa_system_sgpr_workgroup_id_x 1
		.amdhsa_system_sgpr_workgroup_id_y 0
		.amdhsa_system_sgpr_workgroup_id_z 0
		.amdhsa_system_sgpr_workgroup_info 0
		.amdhsa_system_vgpr_workitem_id 0
		.amdhsa_next_free_vgpr 1
		.amdhsa_next_free_sgpr 1
		.amdhsa_reserve_vcc 0
		.amdhsa_reserve_flat_scratch 0
		.amdhsa_float_round_mode_32 0
		.amdhsa_float_round_mode_16_64 0
		.amdhsa_float_denorm_mode_32 3
		.amdhsa_float_denorm_mode_16_64 3
		.amdhsa_dx10_clamp 1
		.amdhsa_ieee_mode 1
		.amdhsa_fp16_overflow 0
		.amdhsa_workgroup_processor_mode 1
		.amdhsa_memory_ordered 1
		.amdhsa_forward_progress 1
		.amdhsa_shared_vgpr_count 0
		.amdhsa_exception_fp_ieee_invalid_op 0
		.amdhsa_exception_fp_denorm_src 0
		.amdhsa_exception_fp_ieee_div_zero 0
		.amdhsa_exception_fp_ieee_overflow 0
		.amdhsa_exception_fp_ieee_underflow 0
		.amdhsa_exception_fp_ieee_inexact 0
		.amdhsa_exception_int_div_zero 0
	.end_amdhsa_kernel
	.section	.text._ZN7rocprim17ROCPRIM_400000_NS6detail17trampoline_kernelINS0_14default_configENS1_27scan_by_key_config_selectorIxxEEZZNS1_16scan_by_key_implILNS1_25lookback_scan_determinismE0ELb1ES3_N6thrust23THRUST_200600_302600_NS6detail15normal_iteratorINS9_10device_ptrIxEEEESE_SE_xNS9_4plusIxEE19head_flag_predicatexEE10hipError_tPvRmT2_T3_T4_T5_mT6_T7_P12ihipStream_tbENKUlT_T0_E_clISt17integral_constantIbLb0EESX_IbLb1EEEEDaST_SU_EUlST_E_NS1_11comp_targetILNS1_3genE5ELNS1_11target_archE942ELNS1_3gpuE9ELNS1_3repE0EEENS1_30default_config_static_selectorELNS0_4arch9wavefront6targetE0EEEvT1_,"axG",@progbits,_ZN7rocprim17ROCPRIM_400000_NS6detail17trampoline_kernelINS0_14default_configENS1_27scan_by_key_config_selectorIxxEEZZNS1_16scan_by_key_implILNS1_25lookback_scan_determinismE0ELb1ES3_N6thrust23THRUST_200600_302600_NS6detail15normal_iteratorINS9_10device_ptrIxEEEESE_SE_xNS9_4plusIxEE19head_flag_predicatexEE10hipError_tPvRmT2_T3_T4_T5_mT6_T7_P12ihipStream_tbENKUlT_T0_E_clISt17integral_constantIbLb0EESX_IbLb1EEEEDaST_SU_EUlST_E_NS1_11comp_targetILNS1_3genE5ELNS1_11target_archE942ELNS1_3gpuE9ELNS1_3repE0EEENS1_30default_config_static_selectorELNS0_4arch9wavefront6targetE0EEEvT1_,comdat
.Lfunc_end742:
	.size	_ZN7rocprim17ROCPRIM_400000_NS6detail17trampoline_kernelINS0_14default_configENS1_27scan_by_key_config_selectorIxxEEZZNS1_16scan_by_key_implILNS1_25lookback_scan_determinismE0ELb1ES3_N6thrust23THRUST_200600_302600_NS6detail15normal_iteratorINS9_10device_ptrIxEEEESE_SE_xNS9_4plusIxEE19head_flag_predicatexEE10hipError_tPvRmT2_T3_T4_T5_mT6_T7_P12ihipStream_tbENKUlT_T0_E_clISt17integral_constantIbLb0EESX_IbLb1EEEEDaST_SU_EUlST_E_NS1_11comp_targetILNS1_3genE5ELNS1_11target_archE942ELNS1_3gpuE9ELNS1_3repE0EEENS1_30default_config_static_selectorELNS0_4arch9wavefront6targetE0EEEvT1_, .Lfunc_end742-_ZN7rocprim17ROCPRIM_400000_NS6detail17trampoline_kernelINS0_14default_configENS1_27scan_by_key_config_selectorIxxEEZZNS1_16scan_by_key_implILNS1_25lookback_scan_determinismE0ELb1ES3_N6thrust23THRUST_200600_302600_NS6detail15normal_iteratorINS9_10device_ptrIxEEEESE_SE_xNS9_4plusIxEE19head_flag_predicatexEE10hipError_tPvRmT2_T3_T4_T5_mT6_T7_P12ihipStream_tbENKUlT_T0_E_clISt17integral_constantIbLb0EESX_IbLb1EEEEDaST_SU_EUlST_E_NS1_11comp_targetILNS1_3genE5ELNS1_11target_archE942ELNS1_3gpuE9ELNS1_3repE0EEENS1_30default_config_static_selectorELNS0_4arch9wavefront6targetE0EEEvT1_
                                        ; -- End function
	.set _ZN7rocprim17ROCPRIM_400000_NS6detail17trampoline_kernelINS0_14default_configENS1_27scan_by_key_config_selectorIxxEEZZNS1_16scan_by_key_implILNS1_25lookback_scan_determinismE0ELb1ES3_N6thrust23THRUST_200600_302600_NS6detail15normal_iteratorINS9_10device_ptrIxEEEESE_SE_xNS9_4plusIxEE19head_flag_predicatexEE10hipError_tPvRmT2_T3_T4_T5_mT6_T7_P12ihipStream_tbENKUlT_T0_E_clISt17integral_constantIbLb0EESX_IbLb1EEEEDaST_SU_EUlST_E_NS1_11comp_targetILNS1_3genE5ELNS1_11target_archE942ELNS1_3gpuE9ELNS1_3repE0EEENS1_30default_config_static_selectorELNS0_4arch9wavefront6targetE0EEEvT1_.num_vgpr, 0
	.set _ZN7rocprim17ROCPRIM_400000_NS6detail17trampoline_kernelINS0_14default_configENS1_27scan_by_key_config_selectorIxxEEZZNS1_16scan_by_key_implILNS1_25lookback_scan_determinismE0ELb1ES3_N6thrust23THRUST_200600_302600_NS6detail15normal_iteratorINS9_10device_ptrIxEEEESE_SE_xNS9_4plusIxEE19head_flag_predicatexEE10hipError_tPvRmT2_T3_T4_T5_mT6_T7_P12ihipStream_tbENKUlT_T0_E_clISt17integral_constantIbLb0EESX_IbLb1EEEEDaST_SU_EUlST_E_NS1_11comp_targetILNS1_3genE5ELNS1_11target_archE942ELNS1_3gpuE9ELNS1_3repE0EEENS1_30default_config_static_selectorELNS0_4arch9wavefront6targetE0EEEvT1_.num_agpr, 0
	.set _ZN7rocprim17ROCPRIM_400000_NS6detail17trampoline_kernelINS0_14default_configENS1_27scan_by_key_config_selectorIxxEEZZNS1_16scan_by_key_implILNS1_25lookback_scan_determinismE0ELb1ES3_N6thrust23THRUST_200600_302600_NS6detail15normal_iteratorINS9_10device_ptrIxEEEESE_SE_xNS9_4plusIxEE19head_flag_predicatexEE10hipError_tPvRmT2_T3_T4_T5_mT6_T7_P12ihipStream_tbENKUlT_T0_E_clISt17integral_constantIbLb0EESX_IbLb1EEEEDaST_SU_EUlST_E_NS1_11comp_targetILNS1_3genE5ELNS1_11target_archE942ELNS1_3gpuE9ELNS1_3repE0EEENS1_30default_config_static_selectorELNS0_4arch9wavefront6targetE0EEEvT1_.numbered_sgpr, 0
	.set _ZN7rocprim17ROCPRIM_400000_NS6detail17trampoline_kernelINS0_14default_configENS1_27scan_by_key_config_selectorIxxEEZZNS1_16scan_by_key_implILNS1_25lookback_scan_determinismE0ELb1ES3_N6thrust23THRUST_200600_302600_NS6detail15normal_iteratorINS9_10device_ptrIxEEEESE_SE_xNS9_4plusIxEE19head_flag_predicatexEE10hipError_tPvRmT2_T3_T4_T5_mT6_T7_P12ihipStream_tbENKUlT_T0_E_clISt17integral_constantIbLb0EESX_IbLb1EEEEDaST_SU_EUlST_E_NS1_11comp_targetILNS1_3genE5ELNS1_11target_archE942ELNS1_3gpuE9ELNS1_3repE0EEENS1_30default_config_static_selectorELNS0_4arch9wavefront6targetE0EEEvT1_.num_named_barrier, 0
	.set _ZN7rocprim17ROCPRIM_400000_NS6detail17trampoline_kernelINS0_14default_configENS1_27scan_by_key_config_selectorIxxEEZZNS1_16scan_by_key_implILNS1_25lookback_scan_determinismE0ELb1ES3_N6thrust23THRUST_200600_302600_NS6detail15normal_iteratorINS9_10device_ptrIxEEEESE_SE_xNS9_4plusIxEE19head_flag_predicatexEE10hipError_tPvRmT2_T3_T4_T5_mT6_T7_P12ihipStream_tbENKUlT_T0_E_clISt17integral_constantIbLb0EESX_IbLb1EEEEDaST_SU_EUlST_E_NS1_11comp_targetILNS1_3genE5ELNS1_11target_archE942ELNS1_3gpuE9ELNS1_3repE0EEENS1_30default_config_static_selectorELNS0_4arch9wavefront6targetE0EEEvT1_.private_seg_size, 0
	.set _ZN7rocprim17ROCPRIM_400000_NS6detail17trampoline_kernelINS0_14default_configENS1_27scan_by_key_config_selectorIxxEEZZNS1_16scan_by_key_implILNS1_25lookback_scan_determinismE0ELb1ES3_N6thrust23THRUST_200600_302600_NS6detail15normal_iteratorINS9_10device_ptrIxEEEESE_SE_xNS9_4plusIxEE19head_flag_predicatexEE10hipError_tPvRmT2_T3_T4_T5_mT6_T7_P12ihipStream_tbENKUlT_T0_E_clISt17integral_constantIbLb0EESX_IbLb1EEEEDaST_SU_EUlST_E_NS1_11comp_targetILNS1_3genE5ELNS1_11target_archE942ELNS1_3gpuE9ELNS1_3repE0EEENS1_30default_config_static_selectorELNS0_4arch9wavefront6targetE0EEEvT1_.uses_vcc, 0
	.set _ZN7rocprim17ROCPRIM_400000_NS6detail17trampoline_kernelINS0_14default_configENS1_27scan_by_key_config_selectorIxxEEZZNS1_16scan_by_key_implILNS1_25lookback_scan_determinismE0ELb1ES3_N6thrust23THRUST_200600_302600_NS6detail15normal_iteratorINS9_10device_ptrIxEEEESE_SE_xNS9_4plusIxEE19head_flag_predicatexEE10hipError_tPvRmT2_T3_T4_T5_mT6_T7_P12ihipStream_tbENKUlT_T0_E_clISt17integral_constantIbLb0EESX_IbLb1EEEEDaST_SU_EUlST_E_NS1_11comp_targetILNS1_3genE5ELNS1_11target_archE942ELNS1_3gpuE9ELNS1_3repE0EEENS1_30default_config_static_selectorELNS0_4arch9wavefront6targetE0EEEvT1_.uses_flat_scratch, 0
	.set _ZN7rocprim17ROCPRIM_400000_NS6detail17trampoline_kernelINS0_14default_configENS1_27scan_by_key_config_selectorIxxEEZZNS1_16scan_by_key_implILNS1_25lookback_scan_determinismE0ELb1ES3_N6thrust23THRUST_200600_302600_NS6detail15normal_iteratorINS9_10device_ptrIxEEEESE_SE_xNS9_4plusIxEE19head_flag_predicatexEE10hipError_tPvRmT2_T3_T4_T5_mT6_T7_P12ihipStream_tbENKUlT_T0_E_clISt17integral_constantIbLb0EESX_IbLb1EEEEDaST_SU_EUlST_E_NS1_11comp_targetILNS1_3genE5ELNS1_11target_archE942ELNS1_3gpuE9ELNS1_3repE0EEENS1_30default_config_static_selectorELNS0_4arch9wavefront6targetE0EEEvT1_.has_dyn_sized_stack, 0
	.set _ZN7rocprim17ROCPRIM_400000_NS6detail17trampoline_kernelINS0_14default_configENS1_27scan_by_key_config_selectorIxxEEZZNS1_16scan_by_key_implILNS1_25lookback_scan_determinismE0ELb1ES3_N6thrust23THRUST_200600_302600_NS6detail15normal_iteratorINS9_10device_ptrIxEEEESE_SE_xNS9_4plusIxEE19head_flag_predicatexEE10hipError_tPvRmT2_T3_T4_T5_mT6_T7_P12ihipStream_tbENKUlT_T0_E_clISt17integral_constantIbLb0EESX_IbLb1EEEEDaST_SU_EUlST_E_NS1_11comp_targetILNS1_3genE5ELNS1_11target_archE942ELNS1_3gpuE9ELNS1_3repE0EEENS1_30default_config_static_selectorELNS0_4arch9wavefront6targetE0EEEvT1_.has_recursion, 0
	.set _ZN7rocprim17ROCPRIM_400000_NS6detail17trampoline_kernelINS0_14default_configENS1_27scan_by_key_config_selectorIxxEEZZNS1_16scan_by_key_implILNS1_25lookback_scan_determinismE0ELb1ES3_N6thrust23THRUST_200600_302600_NS6detail15normal_iteratorINS9_10device_ptrIxEEEESE_SE_xNS9_4plusIxEE19head_flag_predicatexEE10hipError_tPvRmT2_T3_T4_T5_mT6_T7_P12ihipStream_tbENKUlT_T0_E_clISt17integral_constantIbLb0EESX_IbLb1EEEEDaST_SU_EUlST_E_NS1_11comp_targetILNS1_3genE5ELNS1_11target_archE942ELNS1_3gpuE9ELNS1_3repE0EEENS1_30default_config_static_selectorELNS0_4arch9wavefront6targetE0EEEvT1_.has_indirect_call, 0
	.section	.AMDGPU.csdata,"",@progbits
; Kernel info:
; codeLenInByte = 0
; TotalNumSgprs: 0
; NumVgprs: 0
; ScratchSize: 0
; MemoryBound: 0
; FloatMode: 240
; IeeeMode: 1
; LDSByteSize: 0 bytes/workgroup (compile time only)
; SGPRBlocks: 0
; VGPRBlocks: 0
; NumSGPRsForWavesPerEU: 1
; NumVGPRsForWavesPerEU: 1
; Occupancy: 16
; WaveLimiterHint : 0
; COMPUTE_PGM_RSRC2:SCRATCH_EN: 0
; COMPUTE_PGM_RSRC2:USER_SGPR: 6
; COMPUTE_PGM_RSRC2:TRAP_HANDLER: 0
; COMPUTE_PGM_RSRC2:TGID_X_EN: 1
; COMPUTE_PGM_RSRC2:TGID_Y_EN: 0
; COMPUTE_PGM_RSRC2:TGID_Z_EN: 0
; COMPUTE_PGM_RSRC2:TIDIG_COMP_CNT: 0
	.section	.text._ZN7rocprim17ROCPRIM_400000_NS6detail17trampoline_kernelINS0_14default_configENS1_27scan_by_key_config_selectorIxxEEZZNS1_16scan_by_key_implILNS1_25lookback_scan_determinismE0ELb1ES3_N6thrust23THRUST_200600_302600_NS6detail15normal_iteratorINS9_10device_ptrIxEEEESE_SE_xNS9_4plusIxEE19head_flag_predicatexEE10hipError_tPvRmT2_T3_T4_T5_mT6_T7_P12ihipStream_tbENKUlT_T0_E_clISt17integral_constantIbLb0EESX_IbLb1EEEEDaST_SU_EUlST_E_NS1_11comp_targetILNS1_3genE4ELNS1_11target_archE910ELNS1_3gpuE8ELNS1_3repE0EEENS1_30default_config_static_selectorELNS0_4arch9wavefront6targetE0EEEvT1_,"axG",@progbits,_ZN7rocprim17ROCPRIM_400000_NS6detail17trampoline_kernelINS0_14default_configENS1_27scan_by_key_config_selectorIxxEEZZNS1_16scan_by_key_implILNS1_25lookback_scan_determinismE0ELb1ES3_N6thrust23THRUST_200600_302600_NS6detail15normal_iteratorINS9_10device_ptrIxEEEESE_SE_xNS9_4plusIxEE19head_flag_predicatexEE10hipError_tPvRmT2_T3_T4_T5_mT6_T7_P12ihipStream_tbENKUlT_T0_E_clISt17integral_constantIbLb0EESX_IbLb1EEEEDaST_SU_EUlST_E_NS1_11comp_targetILNS1_3genE4ELNS1_11target_archE910ELNS1_3gpuE8ELNS1_3repE0EEENS1_30default_config_static_selectorELNS0_4arch9wavefront6targetE0EEEvT1_,comdat
	.protected	_ZN7rocprim17ROCPRIM_400000_NS6detail17trampoline_kernelINS0_14default_configENS1_27scan_by_key_config_selectorIxxEEZZNS1_16scan_by_key_implILNS1_25lookback_scan_determinismE0ELb1ES3_N6thrust23THRUST_200600_302600_NS6detail15normal_iteratorINS9_10device_ptrIxEEEESE_SE_xNS9_4plusIxEE19head_flag_predicatexEE10hipError_tPvRmT2_T3_T4_T5_mT6_T7_P12ihipStream_tbENKUlT_T0_E_clISt17integral_constantIbLb0EESX_IbLb1EEEEDaST_SU_EUlST_E_NS1_11comp_targetILNS1_3genE4ELNS1_11target_archE910ELNS1_3gpuE8ELNS1_3repE0EEENS1_30default_config_static_selectorELNS0_4arch9wavefront6targetE0EEEvT1_ ; -- Begin function _ZN7rocprim17ROCPRIM_400000_NS6detail17trampoline_kernelINS0_14default_configENS1_27scan_by_key_config_selectorIxxEEZZNS1_16scan_by_key_implILNS1_25lookback_scan_determinismE0ELb1ES3_N6thrust23THRUST_200600_302600_NS6detail15normal_iteratorINS9_10device_ptrIxEEEESE_SE_xNS9_4plusIxEE19head_flag_predicatexEE10hipError_tPvRmT2_T3_T4_T5_mT6_T7_P12ihipStream_tbENKUlT_T0_E_clISt17integral_constantIbLb0EESX_IbLb1EEEEDaST_SU_EUlST_E_NS1_11comp_targetILNS1_3genE4ELNS1_11target_archE910ELNS1_3gpuE8ELNS1_3repE0EEENS1_30default_config_static_selectorELNS0_4arch9wavefront6targetE0EEEvT1_
	.globl	_ZN7rocprim17ROCPRIM_400000_NS6detail17trampoline_kernelINS0_14default_configENS1_27scan_by_key_config_selectorIxxEEZZNS1_16scan_by_key_implILNS1_25lookback_scan_determinismE0ELb1ES3_N6thrust23THRUST_200600_302600_NS6detail15normal_iteratorINS9_10device_ptrIxEEEESE_SE_xNS9_4plusIxEE19head_flag_predicatexEE10hipError_tPvRmT2_T3_T4_T5_mT6_T7_P12ihipStream_tbENKUlT_T0_E_clISt17integral_constantIbLb0EESX_IbLb1EEEEDaST_SU_EUlST_E_NS1_11comp_targetILNS1_3genE4ELNS1_11target_archE910ELNS1_3gpuE8ELNS1_3repE0EEENS1_30default_config_static_selectorELNS0_4arch9wavefront6targetE0EEEvT1_
	.p2align	8
	.type	_ZN7rocprim17ROCPRIM_400000_NS6detail17trampoline_kernelINS0_14default_configENS1_27scan_by_key_config_selectorIxxEEZZNS1_16scan_by_key_implILNS1_25lookback_scan_determinismE0ELb1ES3_N6thrust23THRUST_200600_302600_NS6detail15normal_iteratorINS9_10device_ptrIxEEEESE_SE_xNS9_4plusIxEE19head_flag_predicatexEE10hipError_tPvRmT2_T3_T4_T5_mT6_T7_P12ihipStream_tbENKUlT_T0_E_clISt17integral_constantIbLb0EESX_IbLb1EEEEDaST_SU_EUlST_E_NS1_11comp_targetILNS1_3genE4ELNS1_11target_archE910ELNS1_3gpuE8ELNS1_3repE0EEENS1_30default_config_static_selectorELNS0_4arch9wavefront6targetE0EEEvT1_,@function
_ZN7rocprim17ROCPRIM_400000_NS6detail17trampoline_kernelINS0_14default_configENS1_27scan_by_key_config_selectorIxxEEZZNS1_16scan_by_key_implILNS1_25lookback_scan_determinismE0ELb1ES3_N6thrust23THRUST_200600_302600_NS6detail15normal_iteratorINS9_10device_ptrIxEEEESE_SE_xNS9_4plusIxEE19head_flag_predicatexEE10hipError_tPvRmT2_T3_T4_T5_mT6_T7_P12ihipStream_tbENKUlT_T0_E_clISt17integral_constantIbLb0EESX_IbLb1EEEEDaST_SU_EUlST_E_NS1_11comp_targetILNS1_3genE4ELNS1_11target_archE910ELNS1_3gpuE8ELNS1_3repE0EEENS1_30default_config_static_selectorELNS0_4arch9wavefront6targetE0EEEvT1_: ; @_ZN7rocprim17ROCPRIM_400000_NS6detail17trampoline_kernelINS0_14default_configENS1_27scan_by_key_config_selectorIxxEEZZNS1_16scan_by_key_implILNS1_25lookback_scan_determinismE0ELb1ES3_N6thrust23THRUST_200600_302600_NS6detail15normal_iteratorINS9_10device_ptrIxEEEESE_SE_xNS9_4plusIxEE19head_flag_predicatexEE10hipError_tPvRmT2_T3_T4_T5_mT6_T7_P12ihipStream_tbENKUlT_T0_E_clISt17integral_constantIbLb0EESX_IbLb1EEEEDaST_SU_EUlST_E_NS1_11comp_targetILNS1_3genE4ELNS1_11target_archE910ELNS1_3gpuE8ELNS1_3repE0EEENS1_30default_config_static_selectorELNS0_4arch9wavefront6targetE0EEEvT1_
; %bb.0:
	.section	.rodata,"a",@progbits
	.p2align	6, 0x0
	.amdhsa_kernel _ZN7rocprim17ROCPRIM_400000_NS6detail17trampoline_kernelINS0_14default_configENS1_27scan_by_key_config_selectorIxxEEZZNS1_16scan_by_key_implILNS1_25lookback_scan_determinismE0ELb1ES3_N6thrust23THRUST_200600_302600_NS6detail15normal_iteratorINS9_10device_ptrIxEEEESE_SE_xNS9_4plusIxEE19head_flag_predicatexEE10hipError_tPvRmT2_T3_T4_T5_mT6_T7_P12ihipStream_tbENKUlT_T0_E_clISt17integral_constantIbLb0EESX_IbLb1EEEEDaST_SU_EUlST_E_NS1_11comp_targetILNS1_3genE4ELNS1_11target_archE910ELNS1_3gpuE8ELNS1_3repE0EEENS1_30default_config_static_selectorELNS0_4arch9wavefront6targetE0EEEvT1_
		.amdhsa_group_segment_fixed_size 0
		.amdhsa_private_segment_fixed_size 0
		.amdhsa_kernarg_size 136
		.amdhsa_user_sgpr_count 6
		.amdhsa_user_sgpr_private_segment_buffer 1
		.amdhsa_user_sgpr_dispatch_ptr 0
		.amdhsa_user_sgpr_queue_ptr 0
		.amdhsa_user_sgpr_kernarg_segment_ptr 1
		.amdhsa_user_sgpr_dispatch_id 0
		.amdhsa_user_sgpr_flat_scratch_init 0
		.amdhsa_user_sgpr_private_segment_size 0
		.amdhsa_wavefront_size32 1
		.amdhsa_uses_dynamic_stack 0
		.amdhsa_system_sgpr_private_segment_wavefront_offset 0
		.amdhsa_system_sgpr_workgroup_id_x 1
		.amdhsa_system_sgpr_workgroup_id_y 0
		.amdhsa_system_sgpr_workgroup_id_z 0
		.amdhsa_system_sgpr_workgroup_info 0
		.amdhsa_system_vgpr_workitem_id 0
		.amdhsa_next_free_vgpr 1
		.amdhsa_next_free_sgpr 1
		.amdhsa_reserve_vcc 0
		.amdhsa_reserve_flat_scratch 0
		.amdhsa_float_round_mode_32 0
		.amdhsa_float_round_mode_16_64 0
		.amdhsa_float_denorm_mode_32 3
		.amdhsa_float_denorm_mode_16_64 3
		.amdhsa_dx10_clamp 1
		.amdhsa_ieee_mode 1
		.amdhsa_fp16_overflow 0
		.amdhsa_workgroup_processor_mode 1
		.amdhsa_memory_ordered 1
		.amdhsa_forward_progress 1
		.amdhsa_shared_vgpr_count 0
		.amdhsa_exception_fp_ieee_invalid_op 0
		.amdhsa_exception_fp_denorm_src 0
		.amdhsa_exception_fp_ieee_div_zero 0
		.amdhsa_exception_fp_ieee_overflow 0
		.amdhsa_exception_fp_ieee_underflow 0
		.amdhsa_exception_fp_ieee_inexact 0
		.amdhsa_exception_int_div_zero 0
	.end_amdhsa_kernel
	.section	.text._ZN7rocprim17ROCPRIM_400000_NS6detail17trampoline_kernelINS0_14default_configENS1_27scan_by_key_config_selectorIxxEEZZNS1_16scan_by_key_implILNS1_25lookback_scan_determinismE0ELb1ES3_N6thrust23THRUST_200600_302600_NS6detail15normal_iteratorINS9_10device_ptrIxEEEESE_SE_xNS9_4plusIxEE19head_flag_predicatexEE10hipError_tPvRmT2_T3_T4_T5_mT6_T7_P12ihipStream_tbENKUlT_T0_E_clISt17integral_constantIbLb0EESX_IbLb1EEEEDaST_SU_EUlST_E_NS1_11comp_targetILNS1_3genE4ELNS1_11target_archE910ELNS1_3gpuE8ELNS1_3repE0EEENS1_30default_config_static_selectorELNS0_4arch9wavefront6targetE0EEEvT1_,"axG",@progbits,_ZN7rocprim17ROCPRIM_400000_NS6detail17trampoline_kernelINS0_14default_configENS1_27scan_by_key_config_selectorIxxEEZZNS1_16scan_by_key_implILNS1_25lookback_scan_determinismE0ELb1ES3_N6thrust23THRUST_200600_302600_NS6detail15normal_iteratorINS9_10device_ptrIxEEEESE_SE_xNS9_4plusIxEE19head_flag_predicatexEE10hipError_tPvRmT2_T3_T4_T5_mT6_T7_P12ihipStream_tbENKUlT_T0_E_clISt17integral_constantIbLb0EESX_IbLb1EEEEDaST_SU_EUlST_E_NS1_11comp_targetILNS1_3genE4ELNS1_11target_archE910ELNS1_3gpuE8ELNS1_3repE0EEENS1_30default_config_static_selectorELNS0_4arch9wavefront6targetE0EEEvT1_,comdat
.Lfunc_end743:
	.size	_ZN7rocprim17ROCPRIM_400000_NS6detail17trampoline_kernelINS0_14default_configENS1_27scan_by_key_config_selectorIxxEEZZNS1_16scan_by_key_implILNS1_25lookback_scan_determinismE0ELb1ES3_N6thrust23THRUST_200600_302600_NS6detail15normal_iteratorINS9_10device_ptrIxEEEESE_SE_xNS9_4plusIxEE19head_flag_predicatexEE10hipError_tPvRmT2_T3_T4_T5_mT6_T7_P12ihipStream_tbENKUlT_T0_E_clISt17integral_constantIbLb0EESX_IbLb1EEEEDaST_SU_EUlST_E_NS1_11comp_targetILNS1_3genE4ELNS1_11target_archE910ELNS1_3gpuE8ELNS1_3repE0EEENS1_30default_config_static_selectorELNS0_4arch9wavefront6targetE0EEEvT1_, .Lfunc_end743-_ZN7rocprim17ROCPRIM_400000_NS6detail17trampoline_kernelINS0_14default_configENS1_27scan_by_key_config_selectorIxxEEZZNS1_16scan_by_key_implILNS1_25lookback_scan_determinismE0ELb1ES3_N6thrust23THRUST_200600_302600_NS6detail15normal_iteratorINS9_10device_ptrIxEEEESE_SE_xNS9_4plusIxEE19head_flag_predicatexEE10hipError_tPvRmT2_T3_T4_T5_mT6_T7_P12ihipStream_tbENKUlT_T0_E_clISt17integral_constantIbLb0EESX_IbLb1EEEEDaST_SU_EUlST_E_NS1_11comp_targetILNS1_3genE4ELNS1_11target_archE910ELNS1_3gpuE8ELNS1_3repE0EEENS1_30default_config_static_selectorELNS0_4arch9wavefront6targetE0EEEvT1_
                                        ; -- End function
	.set _ZN7rocprim17ROCPRIM_400000_NS6detail17trampoline_kernelINS0_14default_configENS1_27scan_by_key_config_selectorIxxEEZZNS1_16scan_by_key_implILNS1_25lookback_scan_determinismE0ELb1ES3_N6thrust23THRUST_200600_302600_NS6detail15normal_iteratorINS9_10device_ptrIxEEEESE_SE_xNS9_4plusIxEE19head_flag_predicatexEE10hipError_tPvRmT2_T3_T4_T5_mT6_T7_P12ihipStream_tbENKUlT_T0_E_clISt17integral_constantIbLb0EESX_IbLb1EEEEDaST_SU_EUlST_E_NS1_11comp_targetILNS1_3genE4ELNS1_11target_archE910ELNS1_3gpuE8ELNS1_3repE0EEENS1_30default_config_static_selectorELNS0_4arch9wavefront6targetE0EEEvT1_.num_vgpr, 0
	.set _ZN7rocprim17ROCPRIM_400000_NS6detail17trampoline_kernelINS0_14default_configENS1_27scan_by_key_config_selectorIxxEEZZNS1_16scan_by_key_implILNS1_25lookback_scan_determinismE0ELb1ES3_N6thrust23THRUST_200600_302600_NS6detail15normal_iteratorINS9_10device_ptrIxEEEESE_SE_xNS9_4plusIxEE19head_flag_predicatexEE10hipError_tPvRmT2_T3_T4_T5_mT6_T7_P12ihipStream_tbENKUlT_T0_E_clISt17integral_constantIbLb0EESX_IbLb1EEEEDaST_SU_EUlST_E_NS1_11comp_targetILNS1_3genE4ELNS1_11target_archE910ELNS1_3gpuE8ELNS1_3repE0EEENS1_30default_config_static_selectorELNS0_4arch9wavefront6targetE0EEEvT1_.num_agpr, 0
	.set _ZN7rocprim17ROCPRIM_400000_NS6detail17trampoline_kernelINS0_14default_configENS1_27scan_by_key_config_selectorIxxEEZZNS1_16scan_by_key_implILNS1_25lookback_scan_determinismE0ELb1ES3_N6thrust23THRUST_200600_302600_NS6detail15normal_iteratorINS9_10device_ptrIxEEEESE_SE_xNS9_4plusIxEE19head_flag_predicatexEE10hipError_tPvRmT2_T3_T4_T5_mT6_T7_P12ihipStream_tbENKUlT_T0_E_clISt17integral_constantIbLb0EESX_IbLb1EEEEDaST_SU_EUlST_E_NS1_11comp_targetILNS1_3genE4ELNS1_11target_archE910ELNS1_3gpuE8ELNS1_3repE0EEENS1_30default_config_static_selectorELNS0_4arch9wavefront6targetE0EEEvT1_.numbered_sgpr, 0
	.set _ZN7rocprim17ROCPRIM_400000_NS6detail17trampoline_kernelINS0_14default_configENS1_27scan_by_key_config_selectorIxxEEZZNS1_16scan_by_key_implILNS1_25lookback_scan_determinismE0ELb1ES3_N6thrust23THRUST_200600_302600_NS6detail15normal_iteratorINS9_10device_ptrIxEEEESE_SE_xNS9_4plusIxEE19head_flag_predicatexEE10hipError_tPvRmT2_T3_T4_T5_mT6_T7_P12ihipStream_tbENKUlT_T0_E_clISt17integral_constantIbLb0EESX_IbLb1EEEEDaST_SU_EUlST_E_NS1_11comp_targetILNS1_3genE4ELNS1_11target_archE910ELNS1_3gpuE8ELNS1_3repE0EEENS1_30default_config_static_selectorELNS0_4arch9wavefront6targetE0EEEvT1_.num_named_barrier, 0
	.set _ZN7rocprim17ROCPRIM_400000_NS6detail17trampoline_kernelINS0_14default_configENS1_27scan_by_key_config_selectorIxxEEZZNS1_16scan_by_key_implILNS1_25lookback_scan_determinismE0ELb1ES3_N6thrust23THRUST_200600_302600_NS6detail15normal_iteratorINS9_10device_ptrIxEEEESE_SE_xNS9_4plusIxEE19head_flag_predicatexEE10hipError_tPvRmT2_T3_T4_T5_mT6_T7_P12ihipStream_tbENKUlT_T0_E_clISt17integral_constantIbLb0EESX_IbLb1EEEEDaST_SU_EUlST_E_NS1_11comp_targetILNS1_3genE4ELNS1_11target_archE910ELNS1_3gpuE8ELNS1_3repE0EEENS1_30default_config_static_selectorELNS0_4arch9wavefront6targetE0EEEvT1_.private_seg_size, 0
	.set _ZN7rocprim17ROCPRIM_400000_NS6detail17trampoline_kernelINS0_14default_configENS1_27scan_by_key_config_selectorIxxEEZZNS1_16scan_by_key_implILNS1_25lookback_scan_determinismE0ELb1ES3_N6thrust23THRUST_200600_302600_NS6detail15normal_iteratorINS9_10device_ptrIxEEEESE_SE_xNS9_4plusIxEE19head_flag_predicatexEE10hipError_tPvRmT2_T3_T4_T5_mT6_T7_P12ihipStream_tbENKUlT_T0_E_clISt17integral_constantIbLb0EESX_IbLb1EEEEDaST_SU_EUlST_E_NS1_11comp_targetILNS1_3genE4ELNS1_11target_archE910ELNS1_3gpuE8ELNS1_3repE0EEENS1_30default_config_static_selectorELNS0_4arch9wavefront6targetE0EEEvT1_.uses_vcc, 0
	.set _ZN7rocprim17ROCPRIM_400000_NS6detail17trampoline_kernelINS0_14default_configENS1_27scan_by_key_config_selectorIxxEEZZNS1_16scan_by_key_implILNS1_25lookback_scan_determinismE0ELb1ES3_N6thrust23THRUST_200600_302600_NS6detail15normal_iteratorINS9_10device_ptrIxEEEESE_SE_xNS9_4plusIxEE19head_flag_predicatexEE10hipError_tPvRmT2_T3_T4_T5_mT6_T7_P12ihipStream_tbENKUlT_T0_E_clISt17integral_constantIbLb0EESX_IbLb1EEEEDaST_SU_EUlST_E_NS1_11comp_targetILNS1_3genE4ELNS1_11target_archE910ELNS1_3gpuE8ELNS1_3repE0EEENS1_30default_config_static_selectorELNS0_4arch9wavefront6targetE0EEEvT1_.uses_flat_scratch, 0
	.set _ZN7rocprim17ROCPRIM_400000_NS6detail17trampoline_kernelINS0_14default_configENS1_27scan_by_key_config_selectorIxxEEZZNS1_16scan_by_key_implILNS1_25lookback_scan_determinismE0ELb1ES3_N6thrust23THRUST_200600_302600_NS6detail15normal_iteratorINS9_10device_ptrIxEEEESE_SE_xNS9_4plusIxEE19head_flag_predicatexEE10hipError_tPvRmT2_T3_T4_T5_mT6_T7_P12ihipStream_tbENKUlT_T0_E_clISt17integral_constantIbLb0EESX_IbLb1EEEEDaST_SU_EUlST_E_NS1_11comp_targetILNS1_3genE4ELNS1_11target_archE910ELNS1_3gpuE8ELNS1_3repE0EEENS1_30default_config_static_selectorELNS0_4arch9wavefront6targetE0EEEvT1_.has_dyn_sized_stack, 0
	.set _ZN7rocprim17ROCPRIM_400000_NS6detail17trampoline_kernelINS0_14default_configENS1_27scan_by_key_config_selectorIxxEEZZNS1_16scan_by_key_implILNS1_25lookback_scan_determinismE0ELb1ES3_N6thrust23THRUST_200600_302600_NS6detail15normal_iteratorINS9_10device_ptrIxEEEESE_SE_xNS9_4plusIxEE19head_flag_predicatexEE10hipError_tPvRmT2_T3_T4_T5_mT6_T7_P12ihipStream_tbENKUlT_T0_E_clISt17integral_constantIbLb0EESX_IbLb1EEEEDaST_SU_EUlST_E_NS1_11comp_targetILNS1_3genE4ELNS1_11target_archE910ELNS1_3gpuE8ELNS1_3repE0EEENS1_30default_config_static_selectorELNS0_4arch9wavefront6targetE0EEEvT1_.has_recursion, 0
	.set _ZN7rocprim17ROCPRIM_400000_NS6detail17trampoline_kernelINS0_14default_configENS1_27scan_by_key_config_selectorIxxEEZZNS1_16scan_by_key_implILNS1_25lookback_scan_determinismE0ELb1ES3_N6thrust23THRUST_200600_302600_NS6detail15normal_iteratorINS9_10device_ptrIxEEEESE_SE_xNS9_4plusIxEE19head_flag_predicatexEE10hipError_tPvRmT2_T3_T4_T5_mT6_T7_P12ihipStream_tbENKUlT_T0_E_clISt17integral_constantIbLb0EESX_IbLb1EEEEDaST_SU_EUlST_E_NS1_11comp_targetILNS1_3genE4ELNS1_11target_archE910ELNS1_3gpuE8ELNS1_3repE0EEENS1_30default_config_static_selectorELNS0_4arch9wavefront6targetE0EEEvT1_.has_indirect_call, 0
	.section	.AMDGPU.csdata,"",@progbits
; Kernel info:
; codeLenInByte = 0
; TotalNumSgprs: 0
; NumVgprs: 0
; ScratchSize: 0
; MemoryBound: 0
; FloatMode: 240
; IeeeMode: 1
; LDSByteSize: 0 bytes/workgroup (compile time only)
; SGPRBlocks: 0
; VGPRBlocks: 0
; NumSGPRsForWavesPerEU: 1
; NumVGPRsForWavesPerEU: 1
; Occupancy: 16
; WaveLimiterHint : 0
; COMPUTE_PGM_RSRC2:SCRATCH_EN: 0
; COMPUTE_PGM_RSRC2:USER_SGPR: 6
; COMPUTE_PGM_RSRC2:TRAP_HANDLER: 0
; COMPUTE_PGM_RSRC2:TGID_X_EN: 1
; COMPUTE_PGM_RSRC2:TGID_Y_EN: 0
; COMPUTE_PGM_RSRC2:TGID_Z_EN: 0
; COMPUTE_PGM_RSRC2:TIDIG_COMP_CNT: 0
	.section	.text._ZN7rocprim17ROCPRIM_400000_NS6detail17trampoline_kernelINS0_14default_configENS1_27scan_by_key_config_selectorIxxEEZZNS1_16scan_by_key_implILNS1_25lookback_scan_determinismE0ELb1ES3_N6thrust23THRUST_200600_302600_NS6detail15normal_iteratorINS9_10device_ptrIxEEEESE_SE_xNS9_4plusIxEE19head_flag_predicatexEE10hipError_tPvRmT2_T3_T4_T5_mT6_T7_P12ihipStream_tbENKUlT_T0_E_clISt17integral_constantIbLb0EESX_IbLb1EEEEDaST_SU_EUlST_E_NS1_11comp_targetILNS1_3genE3ELNS1_11target_archE908ELNS1_3gpuE7ELNS1_3repE0EEENS1_30default_config_static_selectorELNS0_4arch9wavefront6targetE0EEEvT1_,"axG",@progbits,_ZN7rocprim17ROCPRIM_400000_NS6detail17trampoline_kernelINS0_14default_configENS1_27scan_by_key_config_selectorIxxEEZZNS1_16scan_by_key_implILNS1_25lookback_scan_determinismE0ELb1ES3_N6thrust23THRUST_200600_302600_NS6detail15normal_iteratorINS9_10device_ptrIxEEEESE_SE_xNS9_4plusIxEE19head_flag_predicatexEE10hipError_tPvRmT2_T3_T4_T5_mT6_T7_P12ihipStream_tbENKUlT_T0_E_clISt17integral_constantIbLb0EESX_IbLb1EEEEDaST_SU_EUlST_E_NS1_11comp_targetILNS1_3genE3ELNS1_11target_archE908ELNS1_3gpuE7ELNS1_3repE0EEENS1_30default_config_static_selectorELNS0_4arch9wavefront6targetE0EEEvT1_,comdat
	.protected	_ZN7rocprim17ROCPRIM_400000_NS6detail17trampoline_kernelINS0_14default_configENS1_27scan_by_key_config_selectorIxxEEZZNS1_16scan_by_key_implILNS1_25lookback_scan_determinismE0ELb1ES3_N6thrust23THRUST_200600_302600_NS6detail15normal_iteratorINS9_10device_ptrIxEEEESE_SE_xNS9_4plusIxEE19head_flag_predicatexEE10hipError_tPvRmT2_T3_T4_T5_mT6_T7_P12ihipStream_tbENKUlT_T0_E_clISt17integral_constantIbLb0EESX_IbLb1EEEEDaST_SU_EUlST_E_NS1_11comp_targetILNS1_3genE3ELNS1_11target_archE908ELNS1_3gpuE7ELNS1_3repE0EEENS1_30default_config_static_selectorELNS0_4arch9wavefront6targetE0EEEvT1_ ; -- Begin function _ZN7rocprim17ROCPRIM_400000_NS6detail17trampoline_kernelINS0_14default_configENS1_27scan_by_key_config_selectorIxxEEZZNS1_16scan_by_key_implILNS1_25lookback_scan_determinismE0ELb1ES3_N6thrust23THRUST_200600_302600_NS6detail15normal_iteratorINS9_10device_ptrIxEEEESE_SE_xNS9_4plusIxEE19head_flag_predicatexEE10hipError_tPvRmT2_T3_T4_T5_mT6_T7_P12ihipStream_tbENKUlT_T0_E_clISt17integral_constantIbLb0EESX_IbLb1EEEEDaST_SU_EUlST_E_NS1_11comp_targetILNS1_3genE3ELNS1_11target_archE908ELNS1_3gpuE7ELNS1_3repE0EEENS1_30default_config_static_selectorELNS0_4arch9wavefront6targetE0EEEvT1_
	.globl	_ZN7rocprim17ROCPRIM_400000_NS6detail17trampoline_kernelINS0_14default_configENS1_27scan_by_key_config_selectorIxxEEZZNS1_16scan_by_key_implILNS1_25lookback_scan_determinismE0ELb1ES3_N6thrust23THRUST_200600_302600_NS6detail15normal_iteratorINS9_10device_ptrIxEEEESE_SE_xNS9_4plusIxEE19head_flag_predicatexEE10hipError_tPvRmT2_T3_T4_T5_mT6_T7_P12ihipStream_tbENKUlT_T0_E_clISt17integral_constantIbLb0EESX_IbLb1EEEEDaST_SU_EUlST_E_NS1_11comp_targetILNS1_3genE3ELNS1_11target_archE908ELNS1_3gpuE7ELNS1_3repE0EEENS1_30default_config_static_selectorELNS0_4arch9wavefront6targetE0EEEvT1_
	.p2align	8
	.type	_ZN7rocprim17ROCPRIM_400000_NS6detail17trampoline_kernelINS0_14default_configENS1_27scan_by_key_config_selectorIxxEEZZNS1_16scan_by_key_implILNS1_25lookback_scan_determinismE0ELb1ES3_N6thrust23THRUST_200600_302600_NS6detail15normal_iteratorINS9_10device_ptrIxEEEESE_SE_xNS9_4plusIxEE19head_flag_predicatexEE10hipError_tPvRmT2_T3_T4_T5_mT6_T7_P12ihipStream_tbENKUlT_T0_E_clISt17integral_constantIbLb0EESX_IbLb1EEEEDaST_SU_EUlST_E_NS1_11comp_targetILNS1_3genE3ELNS1_11target_archE908ELNS1_3gpuE7ELNS1_3repE0EEENS1_30default_config_static_selectorELNS0_4arch9wavefront6targetE0EEEvT1_,@function
_ZN7rocprim17ROCPRIM_400000_NS6detail17trampoline_kernelINS0_14default_configENS1_27scan_by_key_config_selectorIxxEEZZNS1_16scan_by_key_implILNS1_25lookback_scan_determinismE0ELb1ES3_N6thrust23THRUST_200600_302600_NS6detail15normal_iteratorINS9_10device_ptrIxEEEESE_SE_xNS9_4plusIxEE19head_flag_predicatexEE10hipError_tPvRmT2_T3_T4_T5_mT6_T7_P12ihipStream_tbENKUlT_T0_E_clISt17integral_constantIbLb0EESX_IbLb1EEEEDaST_SU_EUlST_E_NS1_11comp_targetILNS1_3genE3ELNS1_11target_archE908ELNS1_3gpuE7ELNS1_3repE0EEENS1_30default_config_static_selectorELNS0_4arch9wavefront6targetE0EEEvT1_: ; @_ZN7rocprim17ROCPRIM_400000_NS6detail17trampoline_kernelINS0_14default_configENS1_27scan_by_key_config_selectorIxxEEZZNS1_16scan_by_key_implILNS1_25lookback_scan_determinismE0ELb1ES3_N6thrust23THRUST_200600_302600_NS6detail15normal_iteratorINS9_10device_ptrIxEEEESE_SE_xNS9_4plusIxEE19head_flag_predicatexEE10hipError_tPvRmT2_T3_T4_T5_mT6_T7_P12ihipStream_tbENKUlT_T0_E_clISt17integral_constantIbLb0EESX_IbLb1EEEEDaST_SU_EUlST_E_NS1_11comp_targetILNS1_3genE3ELNS1_11target_archE908ELNS1_3gpuE7ELNS1_3repE0EEENS1_30default_config_static_selectorELNS0_4arch9wavefront6targetE0EEEvT1_
; %bb.0:
	.section	.rodata,"a",@progbits
	.p2align	6, 0x0
	.amdhsa_kernel _ZN7rocprim17ROCPRIM_400000_NS6detail17trampoline_kernelINS0_14default_configENS1_27scan_by_key_config_selectorIxxEEZZNS1_16scan_by_key_implILNS1_25lookback_scan_determinismE0ELb1ES3_N6thrust23THRUST_200600_302600_NS6detail15normal_iteratorINS9_10device_ptrIxEEEESE_SE_xNS9_4plusIxEE19head_flag_predicatexEE10hipError_tPvRmT2_T3_T4_T5_mT6_T7_P12ihipStream_tbENKUlT_T0_E_clISt17integral_constantIbLb0EESX_IbLb1EEEEDaST_SU_EUlST_E_NS1_11comp_targetILNS1_3genE3ELNS1_11target_archE908ELNS1_3gpuE7ELNS1_3repE0EEENS1_30default_config_static_selectorELNS0_4arch9wavefront6targetE0EEEvT1_
		.amdhsa_group_segment_fixed_size 0
		.amdhsa_private_segment_fixed_size 0
		.amdhsa_kernarg_size 136
		.amdhsa_user_sgpr_count 6
		.amdhsa_user_sgpr_private_segment_buffer 1
		.amdhsa_user_sgpr_dispatch_ptr 0
		.amdhsa_user_sgpr_queue_ptr 0
		.amdhsa_user_sgpr_kernarg_segment_ptr 1
		.amdhsa_user_sgpr_dispatch_id 0
		.amdhsa_user_sgpr_flat_scratch_init 0
		.amdhsa_user_sgpr_private_segment_size 0
		.amdhsa_wavefront_size32 1
		.amdhsa_uses_dynamic_stack 0
		.amdhsa_system_sgpr_private_segment_wavefront_offset 0
		.amdhsa_system_sgpr_workgroup_id_x 1
		.amdhsa_system_sgpr_workgroup_id_y 0
		.amdhsa_system_sgpr_workgroup_id_z 0
		.amdhsa_system_sgpr_workgroup_info 0
		.amdhsa_system_vgpr_workitem_id 0
		.amdhsa_next_free_vgpr 1
		.amdhsa_next_free_sgpr 1
		.amdhsa_reserve_vcc 0
		.amdhsa_reserve_flat_scratch 0
		.amdhsa_float_round_mode_32 0
		.amdhsa_float_round_mode_16_64 0
		.amdhsa_float_denorm_mode_32 3
		.amdhsa_float_denorm_mode_16_64 3
		.amdhsa_dx10_clamp 1
		.amdhsa_ieee_mode 1
		.amdhsa_fp16_overflow 0
		.amdhsa_workgroup_processor_mode 1
		.amdhsa_memory_ordered 1
		.amdhsa_forward_progress 1
		.amdhsa_shared_vgpr_count 0
		.amdhsa_exception_fp_ieee_invalid_op 0
		.amdhsa_exception_fp_denorm_src 0
		.amdhsa_exception_fp_ieee_div_zero 0
		.amdhsa_exception_fp_ieee_overflow 0
		.amdhsa_exception_fp_ieee_underflow 0
		.amdhsa_exception_fp_ieee_inexact 0
		.amdhsa_exception_int_div_zero 0
	.end_amdhsa_kernel
	.section	.text._ZN7rocprim17ROCPRIM_400000_NS6detail17trampoline_kernelINS0_14default_configENS1_27scan_by_key_config_selectorIxxEEZZNS1_16scan_by_key_implILNS1_25lookback_scan_determinismE0ELb1ES3_N6thrust23THRUST_200600_302600_NS6detail15normal_iteratorINS9_10device_ptrIxEEEESE_SE_xNS9_4plusIxEE19head_flag_predicatexEE10hipError_tPvRmT2_T3_T4_T5_mT6_T7_P12ihipStream_tbENKUlT_T0_E_clISt17integral_constantIbLb0EESX_IbLb1EEEEDaST_SU_EUlST_E_NS1_11comp_targetILNS1_3genE3ELNS1_11target_archE908ELNS1_3gpuE7ELNS1_3repE0EEENS1_30default_config_static_selectorELNS0_4arch9wavefront6targetE0EEEvT1_,"axG",@progbits,_ZN7rocprim17ROCPRIM_400000_NS6detail17trampoline_kernelINS0_14default_configENS1_27scan_by_key_config_selectorIxxEEZZNS1_16scan_by_key_implILNS1_25lookback_scan_determinismE0ELb1ES3_N6thrust23THRUST_200600_302600_NS6detail15normal_iteratorINS9_10device_ptrIxEEEESE_SE_xNS9_4plusIxEE19head_flag_predicatexEE10hipError_tPvRmT2_T3_T4_T5_mT6_T7_P12ihipStream_tbENKUlT_T0_E_clISt17integral_constantIbLb0EESX_IbLb1EEEEDaST_SU_EUlST_E_NS1_11comp_targetILNS1_3genE3ELNS1_11target_archE908ELNS1_3gpuE7ELNS1_3repE0EEENS1_30default_config_static_selectorELNS0_4arch9wavefront6targetE0EEEvT1_,comdat
.Lfunc_end744:
	.size	_ZN7rocprim17ROCPRIM_400000_NS6detail17trampoline_kernelINS0_14default_configENS1_27scan_by_key_config_selectorIxxEEZZNS1_16scan_by_key_implILNS1_25lookback_scan_determinismE0ELb1ES3_N6thrust23THRUST_200600_302600_NS6detail15normal_iteratorINS9_10device_ptrIxEEEESE_SE_xNS9_4plusIxEE19head_flag_predicatexEE10hipError_tPvRmT2_T3_T4_T5_mT6_T7_P12ihipStream_tbENKUlT_T0_E_clISt17integral_constantIbLb0EESX_IbLb1EEEEDaST_SU_EUlST_E_NS1_11comp_targetILNS1_3genE3ELNS1_11target_archE908ELNS1_3gpuE7ELNS1_3repE0EEENS1_30default_config_static_selectorELNS0_4arch9wavefront6targetE0EEEvT1_, .Lfunc_end744-_ZN7rocprim17ROCPRIM_400000_NS6detail17trampoline_kernelINS0_14default_configENS1_27scan_by_key_config_selectorIxxEEZZNS1_16scan_by_key_implILNS1_25lookback_scan_determinismE0ELb1ES3_N6thrust23THRUST_200600_302600_NS6detail15normal_iteratorINS9_10device_ptrIxEEEESE_SE_xNS9_4plusIxEE19head_flag_predicatexEE10hipError_tPvRmT2_T3_T4_T5_mT6_T7_P12ihipStream_tbENKUlT_T0_E_clISt17integral_constantIbLb0EESX_IbLb1EEEEDaST_SU_EUlST_E_NS1_11comp_targetILNS1_3genE3ELNS1_11target_archE908ELNS1_3gpuE7ELNS1_3repE0EEENS1_30default_config_static_selectorELNS0_4arch9wavefront6targetE0EEEvT1_
                                        ; -- End function
	.set _ZN7rocprim17ROCPRIM_400000_NS6detail17trampoline_kernelINS0_14default_configENS1_27scan_by_key_config_selectorIxxEEZZNS1_16scan_by_key_implILNS1_25lookback_scan_determinismE0ELb1ES3_N6thrust23THRUST_200600_302600_NS6detail15normal_iteratorINS9_10device_ptrIxEEEESE_SE_xNS9_4plusIxEE19head_flag_predicatexEE10hipError_tPvRmT2_T3_T4_T5_mT6_T7_P12ihipStream_tbENKUlT_T0_E_clISt17integral_constantIbLb0EESX_IbLb1EEEEDaST_SU_EUlST_E_NS1_11comp_targetILNS1_3genE3ELNS1_11target_archE908ELNS1_3gpuE7ELNS1_3repE0EEENS1_30default_config_static_selectorELNS0_4arch9wavefront6targetE0EEEvT1_.num_vgpr, 0
	.set _ZN7rocprim17ROCPRIM_400000_NS6detail17trampoline_kernelINS0_14default_configENS1_27scan_by_key_config_selectorIxxEEZZNS1_16scan_by_key_implILNS1_25lookback_scan_determinismE0ELb1ES3_N6thrust23THRUST_200600_302600_NS6detail15normal_iteratorINS9_10device_ptrIxEEEESE_SE_xNS9_4plusIxEE19head_flag_predicatexEE10hipError_tPvRmT2_T3_T4_T5_mT6_T7_P12ihipStream_tbENKUlT_T0_E_clISt17integral_constantIbLb0EESX_IbLb1EEEEDaST_SU_EUlST_E_NS1_11comp_targetILNS1_3genE3ELNS1_11target_archE908ELNS1_3gpuE7ELNS1_3repE0EEENS1_30default_config_static_selectorELNS0_4arch9wavefront6targetE0EEEvT1_.num_agpr, 0
	.set _ZN7rocprim17ROCPRIM_400000_NS6detail17trampoline_kernelINS0_14default_configENS1_27scan_by_key_config_selectorIxxEEZZNS1_16scan_by_key_implILNS1_25lookback_scan_determinismE0ELb1ES3_N6thrust23THRUST_200600_302600_NS6detail15normal_iteratorINS9_10device_ptrIxEEEESE_SE_xNS9_4plusIxEE19head_flag_predicatexEE10hipError_tPvRmT2_T3_T4_T5_mT6_T7_P12ihipStream_tbENKUlT_T0_E_clISt17integral_constantIbLb0EESX_IbLb1EEEEDaST_SU_EUlST_E_NS1_11comp_targetILNS1_3genE3ELNS1_11target_archE908ELNS1_3gpuE7ELNS1_3repE0EEENS1_30default_config_static_selectorELNS0_4arch9wavefront6targetE0EEEvT1_.numbered_sgpr, 0
	.set _ZN7rocprim17ROCPRIM_400000_NS6detail17trampoline_kernelINS0_14default_configENS1_27scan_by_key_config_selectorIxxEEZZNS1_16scan_by_key_implILNS1_25lookback_scan_determinismE0ELb1ES3_N6thrust23THRUST_200600_302600_NS6detail15normal_iteratorINS9_10device_ptrIxEEEESE_SE_xNS9_4plusIxEE19head_flag_predicatexEE10hipError_tPvRmT2_T3_T4_T5_mT6_T7_P12ihipStream_tbENKUlT_T0_E_clISt17integral_constantIbLb0EESX_IbLb1EEEEDaST_SU_EUlST_E_NS1_11comp_targetILNS1_3genE3ELNS1_11target_archE908ELNS1_3gpuE7ELNS1_3repE0EEENS1_30default_config_static_selectorELNS0_4arch9wavefront6targetE0EEEvT1_.num_named_barrier, 0
	.set _ZN7rocprim17ROCPRIM_400000_NS6detail17trampoline_kernelINS0_14default_configENS1_27scan_by_key_config_selectorIxxEEZZNS1_16scan_by_key_implILNS1_25lookback_scan_determinismE0ELb1ES3_N6thrust23THRUST_200600_302600_NS6detail15normal_iteratorINS9_10device_ptrIxEEEESE_SE_xNS9_4plusIxEE19head_flag_predicatexEE10hipError_tPvRmT2_T3_T4_T5_mT6_T7_P12ihipStream_tbENKUlT_T0_E_clISt17integral_constantIbLb0EESX_IbLb1EEEEDaST_SU_EUlST_E_NS1_11comp_targetILNS1_3genE3ELNS1_11target_archE908ELNS1_3gpuE7ELNS1_3repE0EEENS1_30default_config_static_selectorELNS0_4arch9wavefront6targetE0EEEvT1_.private_seg_size, 0
	.set _ZN7rocprim17ROCPRIM_400000_NS6detail17trampoline_kernelINS0_14default_configENS1_27scan_by_key_config_selectorIxxEEZZNS1_16scan_by_key_implILNS1_25lookback_scan_determinismE0ELb1ES3_N6thrust23THRUST_200600_302600_NS6detail15normal_iteratorINS9_10device_ptrIxEEEESE_SE_xNS9_4plusIxEE19head_flag_predicatexEE10hipError_tPvRmT2_T3_T4_T5_mT6_T7_P12ihipStream_tbENKUlT_T0_E_clISt17integral_constantIbLb0EESX_IbLb1EEEEDaST_SU_EUlST_E_NS1_11comp_targetILNS1_3genE3ELNS1_11target_archE908ELNS1_3gpuE7ELNS1_3repE0EEENS1_30default_config_static_selectorELNS0_4arch9wavefront6targetE0EEEvT1_.uses_vcc, 0
	.set _ZN7rocprim17ROCPRIM_400000_NS6detail17trampoline_kernelINS0_14default_configENS1_27scan_by_key_config_selectorIxxEEZZNS1_16scan_by_key_implILNS1_25lookback_scan_determinismE0ELb1ES3_N6thrust23THRUST_200600_302600_NS6detail15normal_iteratorINS9_10device_ptrIxEEEESE_SE_xNS9_4plusIxEE19head_flag_predicatexEE10hipError_tPvRmT2_T3_T4_T5_mT6_T7_P12ihipStream_tbENKUlT_T0_E_clISt17integral_constantIbLb0EESX_IbLb1EEEEDaST_SU_EUlST_E_NS1_11comp_targetILNS1_3genE3ELNS1_11target_archE908ELNS1_3gpuE7ELNS1_3repE0EEENS1_30default_config_static_selectorELNS0_4arch9wavefront6targetE0EEEvT1_.uses_flat_scratch, 0
	.set _ZN7rocprim17ROCPRIM_400000_NS6detail17trampoline_kernelINS0_14default_configENS1_27scan_by_key_config_selectorIxxEEZZNS1_16scan_by_key_implILNS1_25lookback_scan_determinismE0ELb1ES3_N6thrust23THRUST_200600_302600_NS6detail15normal_iteratorINS9_10device_ptrIxEEEESE_SE_xNS9_4plusIxEE19head_flag_predicatexEE10hipError_tPvRmT2_T3_T4_T5_mT6_T7_P12ihipStream_tbENKUlT_T0_E_clISt17integral_constantIbLb0EESX_IbLb1EEEEDaST_SU_EUlST_E_NS1_11comp_targetILNS1_3genE3ELNS1_11target_archE908ELNS1_3gpuE7ELNS1_3repE0EEENS1_30default_config_static_selectorELNS0_4arch9wavefront6targetE0EEEvT1_.has_dyn_sized_stack, 0
	.set _ZN7rocprim17ROCPRIM_400000_NS6detail17trampoline_kernelINS0_14default_configENS1_27scan_by_key_config_selectorIxxEEZZNS1_16scan_by_key_implILNS1_25lookback_scan_determinismE0ELb1ES3_N6thrust23THRUST_200600_302600_NS6detail15normal_iteratorINS9_10device_ptrIxEEEESE_SE_xNS9_4plusIxEE19head_flag_predicatexEE10hipError_tPvRmT2_T3_T4_T5_mT6_T7_P12ihipStream_tbENKUlT_T0_E_clISt17integral_constantIbLb0EESX_IbLb1EEEEDaST_SU_EUlST_E_NS1_11comp_targetILNS1_3genE3ELNS1_11target_archE908ELNS1_3gpuE7ELNS1_3repE0EEENS1_30default_config_static_selectorELNS0_4arch9wavefront6targetE0EEEvT1_.has_recursion, 0
	.set _ZN7rocprim17ROCPRIM_400000_NS6detail17trampoline_kernelINS0_14default_configENS1_27scan_by_key_config_selectorIxxEEZZNS1_16scan_by_key_implILNS1_25lookback_scan_determinismE0ELb1ES3_N6thrust23THRUST_200600_302600_NS6detail15normal_iteratorINS9_10device_ptrIxEEEESE_SE_xNS9_4plusIxEE19head_flag_predicatexEE10hipError_tPvRmT2_T3_T4_T5_mT6_T7_P12ihipStream_tbENKUlT_T0_E_clISt17integral_constantIbLb0EESX_IbLb1EEEEDaST_SU_EUlST_E_NS1_11comp_targetILNS1_3genE3ELNS1_11target_archE908ELNS1_3gpuE7ELNS1_3repE0EEENS1_30default_config_static_selectorELNS0_4arch9wavefront6targetE0EEEvT1_.has_indirect_call, 0
	.section	.AMDGPU.csdata,"",@progbits
; Kernel info:
; codeLenInByte = 0
; TotalNumSgprs: 0
; NumVgprs: 0
; ScratchSize: 0
; MemoryBound: 0
; FloatMode: 240
; IeeeMode: 1
; LDSByteSize: 0 bytes/workgroup (compile time only)
; SGPRBlocks: 0
; VGPRBlocks: 0
; NumSGPRsForWavesPerEU: 1
; NumVGPRsForWavesPerEU: 1
; Occupancy: 16
; WaveLimiterHint : 0
; COMPUTE_PGM_RSRC2:SCRATCH_EN: 0
; COMPUTE_PGM_RSRC2:USER_SGPR: 6
; COMPUTE_PGM_RSRC2:TRAP_HANDLER: 0
; COMPUTE_PGM_RSRC2:TGID_X_EN: 1
; COMPUTE_PGM_RSRC2:TGID_Y_EN: 0
; COMPUTE_PGM_RSRC2:TGID_Z_EN: 0
; COMPUTE_PGM_RSRC2:TIDIG_COMP_CNT: 0
	.section	.text._ZN7rocprim17ROCPRIM_400000_NS6detail17trampoline_kernelINS0_14default_configENS1_27scan_by_key_config_selectorIxxEEZZNS1_16scan_by_key_implILNS1_25lookback_scan_determinismE0ELb1ES3_N6thrust23THRUST_200600_302600_NS6detail15normal_iteratorINS9_10device_ptrIxEEEESE_SE_xNS9_4plusIxEE19head_flag_predicatexEE10hipError_tPvRmT2_T3_T4_T5_mT6_T7_P12ihipStream_tbENKUlT_T0_E_clISt17integral_constantIbLb0EESX_IbLb1EEEEDaST_SU_EUlST_E_NS1_11comp_targetILNS1_3genE2ELNS1_11target_archE906ELNS1_3gpuE6ELNS1_3repE0EEENS1_30default_config_static_selectorELNS0_4arch9wavefront6targetE0EEEvT1_,"axG",@progbits,_ZN7rocprim17ROCPRIM_400000_NS6detail17trampoline_kernelINS0_14default_configENS1_27scan_by_key_config_selectorIxxEEZZNS1_16scan_by_key_implILNS1_25lookback_scan_determinismE0ELb1ES3_N6thrust23THRUST_200600_302600_NS6detail15normal_iteratorINS9_10device_ptrIxEEEESE_SE_xNS9_4plusIxEE19head_flag_predicatexEE10hipError_tPvRmT2_T3_T4_T5_mT6_T7_P12ihipStream_tbENKUlT_T0_E_clISt17integral_constantIbLb0EESX_IbLb1EEEEDaST_SU_EUlST_E_NS1_11comp_targetILNS1_3genE2ELNS1_11target_archE906ELNS1_3gpuE6ELNS1_3repE0EEENS1_30default_config_static_selectorELNS0_4arch9wavefront6targetE0EEEvT1_,comdat
	.protected	_ZN7rocprim17ROCPRIM_400000_NS6detail17trampoline_kernelINS0_14default_configENS1_27scan_by_key_config_selectorIxxEEZZNS1_16scan_by_key_implILNS1_25lookback_scan_determinismE0ELb1ES3_N6thrust23THRUST_200600_302600_NS6detail15normal_iteratorINS9_10device_ptrIxEEEESE_SE_xNS9_4plusIxEE19head_flag_predicatexEE10hipError_tPvRmT2_T3_T4_T5_mT6_T7_P12ihipStream_tbENKUlT_T0_E_clISt17integral_constantIbLb0EESX_IbLb1EEEEDaST_SU_EUlST_E_NS1_11comp_targetILNS1_3genE2ELNS1_11target_archE906ELNS1_3gpuE6ELNS1_3repE0EEENS1_30default_config_static_selectorELNS0_4arch9wavefront6targetE0EEEvT1_ ; -- Begin function _ZN7rocprim17ROCPRIM_400000_NS6detail17trampoline_kernelINS0_14default_configENS1_27scan_by_key_config_selectorIxxEEZZNS1_16scan_by_key_implILNS1_25lookback_scan_determinismE0ELb1ES3_N6thrust23THRUST_200600_302600_NS6detail15normal_iteratorINS9_10device_ptrIxEEEESE_SE_xNS9_4plusIxEE19head_flag_predicatexEE10hipError_tPvRmT2_T3_T4_T5_mT6_T7_P12ihipStream_tbENKUlT_T0_E_clISt17integral_constantIbLb0EESX_IbLb1EEEEDaST_SU_EUlST_E_NS1_11comp_targetILNS1_3genE2ELNS1_11target_archE906ELNS1_3gpuE6ELNS1_3repE0EEENS1_30default_config_static_selectorELNS0_4arch9wavefront6targetE0EEEvT1_
	.globl	_ZN7rocprim17ROCPRIM_400000_NS6detail17trampoline_kernelINS0_14default_configENS1_27scan_by_key_config_selectorIxxEEZZNS1_16scan_by_key_implILNS1_25lookback_scan_determinismE0ELb1ES3_N6thrust23THRUST_200600_302600_NS6detail15normal_iteratorINS9_10device_ptrIxEEEESE_SE_xNS9_4plusIxEE19head_flag_predicatexEE10hipError_tPvRmT2_T3_T4_T5_mT6_T7_P12ihipStream_tbENKUlT_T0_E_clISt17integral_constantIbLb0EESX_IbLb1EEEEDaST_SU_EUlST_E_NS1_11comp_targetILNS1_3genE2ELNS1_11target_archE906ELNS1_3gpuE6ELNS1_3repE0EEENS1_30default_config_static_selectorELNS0_4arch9wavefront6targetE0EEEvT1_
	.p2align	8
	.type	_ZN7rocprim17ROCPRIM_400000_NS6detail17trampoline_kernelINS0_14default_configENS1_27scan_by_key_config_selectorIxxEEZZNS1_16scan_by_key_implILNS1_25lookback_scan_determinismE0ELb1ES3_N6thrust23THRUST_200600_302600_NS6detail15normal_iteratorINS9_10device_ptrIxEEEESE_SE_xNS9_4plusIxEE19head_flag_predicatexEE10hipError_tPvRmT2_T3_T4_T5_mT6_T7_P12ihipStream_tbENKUlT_T0_E_clISt17integral_constantIbLb0EESX_IbLb1EEEEDaST_SU_EUlST_E_NS1_11comp_targetILNS1_3genE2ELNS1_11target_archE906ELNS1_3gpuE6ELNS1_3repE0EEENS1_30default_config_static_selectorELNS0_4arch9wavefront6targetE0EEEvT1_,@function
_ZN7rocprim17ROCPRIM_400000_NS6detail17trampoline_kernelINS0_14default_configENS1_27scan_by_key_config_selectorIxxEEZZNS1_16scan_by_key_implILNS1_25lookback_scan_determinismE0ELb1ES3_N6thrust23THRUST_200600_302600_NS6detail15normal_iteratorINS9_10device_ptrIxEEEESE_SE_xNS9_4plusIxEE19head_flag_predicatexEE10hipError_tPvRmT2_T3_T4_T5_mT6_T7_P12ihipStream_tbENKUlT_T0_E_clISt17integral_constantIbLb0EESX_IbLb1EEEEDaST_SU_EUlST_E_NS1_11comp_targetILNS1_3genE2ELNS1_11target_archE906ELNS1_3gpuE6ELNS1_3repE0EEENS1_30default_config_static_selectorELNS0_4arch9wavefront6targetE0EEEvT1_: ; @_ZN7rocprim17ROCPRIM_400000_NS6detail17trampoline_kernelINS0_14default_configENS1_27scan_by_key_config_selectorIxxEEZZNS1_16scan_by_key_implILNS1_25lookback_scan_determinismE0ELb1ES3_N6thrust23THRUST_200600_302600_NS6detail15normal_iteratorINS9_10device_ptrIxEEEESE_SE_xNS9_4plusIxEE19head_flag_predicatexEE10hipError_tPvRmT2_T3_T4_T5_mT6_T7_P12ihipStream_tbENKUlT_T0_E_clISt17integral_constantIbLb0EESX_IbLb1EEEEDaST_SU_EUlST_E_NS1_11comp_targetILNS1_3genE2ELNS1_11target_archE906ELNS1_3gpuE6ELNS1_3repE0EEENS1_30default_config_static_selectorELNS0_4arch9wavefront6targetE0EEEvT1_
; %bb.0:
	.section	.rodata,"a",@progbits
	.p2align	6, 0x0
	.amdhsa_kernel _ZN7rocprim17ROCPRIM_400000_NS6detail17trampoline_kernelINS0_14default_configENS1_27scan_by_key_config_selectorIxxEEZZNS1_16scan_by_key_implILNS1_25lookback_scan_determinismE0ELb1ES3_N6thrust23THRUST_200600_302600_NS6detail15normal_iteratorINS9_10device_ptrIxEEEESE_SE_xNS9_4plusIxEE19head_flag_predicatexEE10hipError_tPvRmT2_T3_T4_T5_mT6_T7_P12ihipStream_tbENKUlT_T0_E_clISt17integral_constantIbLb0EESX_IbLb1EEEEDaST_SU_EUlST_E_NS1_11comp_targetILNS1_3genE2ELNS1_11target_archE906ELNS1_3gpuE6ELNS1_3repE0EEENS1_30default_config_static_selectorELNS0_4arch9wavefront6targetE0EEEvT1_
		.amdhsa_group_segment_fixed_size 0
		.amdhsa_private_segment_fixed_size 0
		.amdhsa_kernarg_size 136
		.amdhsa_user_sgpr_count 6
		.amdhsa_user_sgpr_private_segment_buffer 1
		.amdhsa_user_sgpr_dispatch_ptr 0
		.amdhsa_user_sgpr_queue_ptr 0
		.amdhsa_user_sgpr_kernarg_segment_ptr 1
		.amdhsa_user_sgpr_dispatch_id 0
		.amdhsa_user_sgpr_flat_scratch_init 0
		.amdhsa_user_sgpr_private_segment_size 0
		.amdhsa_wavefront_size32 1
		.amdhsa_uses_dynamic_stack 0
		.amdhsa_system_sgpr_private_segment_wavefront_offset 0
		.amdhsa_system_sgpr_workgroup_id_x 1
		.amdhsa_system_sgpr_workgroup_id_y 0
		.amdhsa_system_sgpr_workgroup_id_z 0
		.amdhsa_system_sgpr_workgroup_info 0
		.amdhsa_system_vgpr_workitem_id 0
		.amdhsa_next_free_vgpr 1
		.amdhsa_next_free_sgpr 1
		.amdhsa_reserve_vcc 0
		.amdhsa_reserve_flat_scratch 0
		.amdhsa_float_round_mode_32 0
		.amdhsa_float_round_mode_16_64 0
		.amdhsa_float_denorm_mode_32 3
		.amdhsa_float_denorm_mode_16_64 3
		.amdhsa_dx10_clamp 1
		.amdhsa_ieee_mode 1
		.amdhsa_fp16_overflow 0
		.amdhsa_workgroup_processor_mode 1
		.amdhsa_memory_ordered 1
		.amdhsa_forward_progress 1
		.amdhsa_shared_vgpr_count 0
		.amdhsa_exception_fp_ieee_invalid_op 0
		.amdhsa_exception_fp_denorm_src 0
		.amdhsa_exception_fp_ieee_div_zero 0
		.amdhsa_exception_fp_ieee_overflow 0
		.amdhsa_exception_fp_ieee_underflow 0
		.amdhsa_exception_fp_ieee_inexact 0
		.amdhsa_exception_int_div_zero 0
	.end_amdhsa_kernel
	.section	.text._ZN7rocprim17ROCPRIM_400000_NS6detail17trampoline_kernelINS0_14default_configENS1_27scan_by_key_config_selectorIxxEEZZNS1_16scan_by_key_implILNS1_25lookback_scan_determinismE0ELb1ES3_N6thrust23THRUST_200600_302600_NS6detail15normal_iteratorINS9_10device_ptrIxEEEESE_SE_xNS9_4plusIxEE19head_flag_predicatexEE10hipError_tPvRmT2_T3_T4_T5_mT6_T7_P12ihipStream_tbENKUlT_T0_E_clISt17integral_constantIbLb0EESX_IbLb1EEEEDaST_SU_EUlST_E_NS1_11comp_targetILNS1_3genE2ELNS1_11target_archE906ELNS1_3gpuE6ELNS1_3repE0EEENS1_30default_config_static_selectorELNS0_4arch9wavefront6targetE0EEEvT1_,"axG",@progbits,_ZN7rocprim17ROCPRIM_400000_NS6detail17trampoline_kernelINS0_14default_configENS1_27scan_by_key_config_selectorIxxEEZZNS1_16scan_by_key_implILNS1_25lookback_scan_determinismE0ELb1ES3_N6thrust23THRUST_200600_302600_NS6detail15normal_iteratorINS9_10device_ptrIxEEEESE_SE_xNS9_4plusIxEE19head_flag_predicatexEE10hipError_tPvRmT2_T3_T4_T5_mT6_T7_P12ihipStream_tbENKUlT_T0_E_clISt17integral_constantIbLb0EESX_IbLb1EEEEDaST_SU_EUlST_E_NS1_11comp_targetILNS1_3genE2ELNS1_11target_archE906ELNS1_3gpuE6ELNS1_3repE0EEENS1_30default_config_static_selectorELNS0_4arch9wavefront6targetE0EEEvT1_,comdat
.Lfunc_end745:
	.size	_ZN7rocprim17ROCPRIM_400000_NS6detail17trampoline_kernelINS0_14default_configENS1_27scan_by_key_config_selectorIxxEEZZNS1_16scan_by_key_implILNS1_25lookback_scan_determinismE0ELb1ES3_N6thrust23THRUST_200600_302600_NS6detail15normal_iteratorINS9_10device_ptrIxEEEESE_SE_xNS9_4plusIxEE19head_flag_predicatexEE10hipError_tPvRmT2_T3_T4_T5_mT6_T7_P12ihipStream_tbENKUlT_T0_E_clISt17integral_constantIbLb0EESX_IbLb1EEEEDaST_SU_EUlST_E_NS1_11comp_targetILNS1_3genE2ELNS1_11target_archE906ELNS1_3gpuE6ELNS1_3repE0EEENS1_30default_config_static_selectorELNS0_4arch9wavefront6targetE0EEEvT1_, .Lfunc_end745-_ZN7rocprim17ROCPRIM_400000_NS6detail17trampoline_kernelINS0_14default_configENS1_27scan_by_key_config_selectorIxxEEZZNS1_16scan_by_key_implILNS1_25lookback_scan_determinismE0ELb1ES3_N6thrust23THRUST_200600_302600_NS6detail15normal_iteratorINS9_10device_ptrIxEEEESE_SE_xNS9_4plusIxEE19head_flag_predicatexEE10hipError_tPvRmT2_T3_T4_T5_mT6_T7_P12ihipStream_tbENKUlT_T0_E_clISt17integral_constantIbLb0EESX_IbLb1EEEEDaST_SU_EUlST_E_NS1_11comp_targetILNS1_3genE2ELNS1_11target_archE906ELNS1_3gpuE6ELNS1_3repE0EEENS1_30default_config_static_selectorELNS0_4arch9wavefront6targetE0EEEvT1_
                                        ; -- End function
	.set _ZN7rocprim17ROCPRIM_400000_NS6detail17trampoline_kernelINS0_14default_configENS1_27scan_by_key_config_selectorIxxEEZZNS1_16scan_by_key_implILNS1_25lookback_scan_determinismE0ELb1ES3_N6thrust23THRUST_200600_302600_NS6detail15normal_iteratorINS9_10device_ptrIxEEEESE_SE_xNS9_4plusIxEE19head_flag_predicatexEE10hipError_tPvRmT2_T3_T4_T5_mT6_T7_P12ihipStream_tbENKUlT_T0_E_clISt17integral_constantIbLb0EESX_IbLb1EEEEDaST_SU_EUlST_E_NS1_11comp_targetILNS1_3genE2ELNS1_11target_archE906ELNS1_3gpuE6ELNS1_3repE0EEENS1_30default_config_static_selectorELNS0_4arch9wavefront6targetE0EEEvT1_.num_vgpr, 0
	.set _ZN7rocprim17ROCPRIM_400000_NS6detail17trampoline_kernelINS0_14default_configENS1_27scan_by_key_config_selectorIxxEEZZNS1_16scan_by_key_implILNS1_25lookback_scan_determinismE0ELb1ES3_N6thrust23THRUST_200600_302600_NS6detail15normal_iteratorINS9_10device_ptrIxEEEESE_SE_xNS9_4plusIxEE19head_flag_predicatexEE10hipError_tPvRmT2_T3_T4_T5_mT6_T7_P12ihipStream_tbENKUlT_T0_E_clISt17integral_constantIbLb0EESX_IbLb1EEEEDaST_SU_EUlST_E_NS1_11comp_targetILNS1_3genE2ELNS1_11target_archE906ELNS1_3gpuE6ELNS1_3repE0EEENS1_30default_config_static_selectorELNS0_4arch9wavefront6targetE0EEEvT1_.num_agpr, 0
	.set _ZN7rocprim17ROCPRIM_400000_NS6detail17trampoline_kernelINS0_14default_configENS1_27scan_by_key_config_selectorIxxEEZZNS1_16scan_by_key_implILNS1_25lookback_scan_determinismE0ELb1ES3_N6thrust23THRUST_200600_302600_NS6detail15normal_iteratorINS9_10device_ptrIxEEEESE_SE_xNS9_4plusIxEE19head_flag_predicatexEE10hipError_tPvRmT2_T3_T4_T5_mT6_T7_P12ihipStream_tbENKUlT_T0_E_clISt17integral_constantIbLb0EESX_IbLb1EEEEDaST_SU_EUlST_E_NS1_11comp_targetILNS1_3genE2ELNS1_11target_archE906ELNS1_3gpuE6ELNS1_3repE0EEENS1_30default_config_static_selectorELNS0_4arch9wavefront6targetE0EEEvT1_.numbered_sgpr, 0
	.set _ZN7rocprim17ROCPRIM_400000_NS6detail17trampoline_kernelINS0_14default_configENS1_27scan_by_key_config_selectorIxxEEZZNS1_16scan_by_key_implILNS1_25lookback_scan_determinismE0ELb1ES3_N6thrust23THRUST_200600_302600_NS6detail15normal_iteratorINS9_10device_ptrIxEEEESE_SE_xNS9_4plusIxEE19head_flag_predicatexEE10hipError_tPvRmT2_T3_T4_T5_mT6_T7_P12ihipStream_tbENKUlT_T0_E_clISt17integral_constantIbLb0EESX_IbLb1EEEEDaST_SU_EUlST_E_NS1_11comp_targetILNS1_3genE2ELNS1_11target_archE906ELNS1_3gpuE6ELNS1_3repE0EEENS1_30default_config_static_selectorELNS0_4arch9wavefront6targetE0EEEvT1_.num_named_barrier, 0
	.set _ZN7rocprim17ROCPRIM_400000_NS6detail17trampoline_kernelINS0_14default_configENS1_27scan_by_key_config_selectorIxxEEZZNS1_16scan_by_key_implILNS1_25lookback_scan_determinismE0ELb1ES3_N6thrust23THRUST_200600_302600_NS6detail15normal_iteratorINS9_10device_ptrIxEEEESE_SE_xNS9_4plusIxEE19head_flag_predicatexEE10hipError_tPvRmT2_T3_T4_T5_mT6_T7_P12ihipStream_tbENKUlT_T0_E_clISt17integral_constantIbLb0EESX_IbLb1EEEEDaST_SU_EUlST_E_NS1_11comp_targetILNS1_3genE2ELNS1_11target_archE906ELNS1_3gpuE6ELNS1_3repE0EEENS1_30default_config_static_selectorELNS0_4arch9wavefront6targetE0EEEvT1_.private_seg_size, 0
	.set _ZN7rocprim17ROCPRIM_400000_NS6detail17trampoline_kernelINS0_14default_configENS1_27scan_by_key_config_selectorIxxEEZZNS1_16scan_by_key_implILNS1_25lookback_scan_determinismE0ELb1ES3_N6thrust23THRUST_200600_302600_NS6detail15normal_iteratorINS9_10device_ptrIxEEEESE_SE_xNS9_4plusIxEE19head_flag_predicatexEE10hipError_tPvRmT2_T3_T4_T5_mT6_T7_P12ihipStream_tbENKUlT_T0_E_clISt17integral_constantIbLb0EESX_IbLb1EEEEDaST_SU_EUlST_E_NS1_11comp_targetILNS1_3genE2ELNS1_11target_archE906ELNS1_3gpuE6ELNS1_3repE0EEENS1_30default_config_static_selectorELNS0_4arch9wavefront6targetE0EEEvT1_.uses_vcc, 0
	.set _ZN7rocprim17ROCPRIM_400000_NS6detail17trampoline_kernelINS0_14default_configENS1_27scan_by_key_config_selectorIxxEEZZNS1_16scan_by_key_implILNS1_25lookback_scan_determinismE0ELb1ES3_N6thrust23THRUST_200600_302600_NS6detail15normal_iteratorINS9_10device_ptrIxEEEESE_SE_xNS9_4plusIxEE19head_flag_predicatexEE10hipError_tPvRmT2_T3_T4_T5_mT6_T7_P12ihipStream_tbENKUlT_T0_E_clISt17integral_constantIbLb0EESX_IbLb1EEEEDaST_SU_EUlST_E_NS1_11comp_targetILNS1_3genE2ELNS1_11target_archE906ELNS1_3gpuE6ELNS1_3repE0EEENS1_30default_config_static_selectorELNS0_4arch9wavefront6targetE0EEEvT1_.uses_flat_scratch, 0
	.set _ZN7rocprim17ROCPRIM_400000_NS6detail17trampoline_kernelINS0_14default_configENS1_27scan_by_key_config_selectorIxxEEZZNS1_16scan_by_key_implILNS1_25lookback_scan_determinismE0ELb1ES3_N6thrust23THRUST_200600_302600_NS6detail15normal_iteratorINS9_10device_ptrIxEEEESE_SE_xNS9_4plusIxEE19head_flag_predicatexEE10hipError_tPvRmT2_T3_T4_T5_mT6_T7_P12ihipStream_tbENKUlT_T0_E_clISt17integral_constantIbLb0EESX_IbLb1EEEEDaST_SU_EUlST_E_NS1_11comp_targetILNS1_3genE2ELNS1_11target_archE906ELNS1_3gpuE6ELNS1_3repE0EEENS1_30default_config_static_selectorELNS0_4arch9wavefront6targetE0EEEvT1_.has_dyn_sized_stack, 0
	.set _ZN7rocprim17ROCPRIM_400000_NS6detail17trampoline_kernelINS0_14default_configENS1_27scan_by_key_config_selectorIxxEEZZNS1_16scan_by_key_implILNS1_25lookback_scan_determinismE0ELb1ES3_N6thrust23THRUST_200600_302600_NS6detail15normal_iteratorINS9_10device_ptrIxEEEESE_SE_xNS9_4plusIxEE19head_flag_predicatexEE10hipError_tPvRmT2_T3_T4_T5_mT6_T7_P12ihipStream_tbENKUlT_T0_E_clISt17integral_constantIbLb0EESX_IbLb1EEEEDaST_SU_EUlST_E_NS1_11comp_targetILNS1_3genE2ELNS1_11target_archE906ELNS1_3gpuE6ELNS1_3repE0EEENS1_30default_config_static_selectorELNS0_4arch9wavefront6targetE0EEEvT1_.has_recursion, 0
	.set _ZN7rocprim17ROCPRIM_400000_NS6detail17trampoline_kernelINS0_14default_configENS1_27scan_by_key_config_selectorIxxEEZZNS1_16scan_by_key_implILNS1_25lookback_scan_determinismE0ELb1ES3_N6thrust23THRUST_200600_302600_NS6detail15normal_iteratorINS9_10device_ptrIxEEEESE_SE_xNS9_4plusIxEE19head_flag_predicatexEE10hipError_tPvRmT2_T3_T4_T5_mT6_T7_P12ihipStream_tbENKUlT_T0_E_clISt17integral_constantIbLb0EESX_IbLb1EEEEDaST_SU_EUlST_E_NS1_11comp_targetILNS1_3genE2ELNS1_11target_archE906ELNS1_3gpuE6ELNS1_3repE0EEENS1_30default_config_static_selectorELNS0_4arch9wavefront6targetE0EEEvT1_.has_indirect_call, 0
	.section	.AMDGPU.csdata,"",@progbits
; Kernel info:
; codeLenInByte = 0
; TotalNumSgprs: 0
; NumVgprs: 0
; ScratchSize: 0
; MemoryBound: 0
; FloatMode: 240
; IeeeMode: 1
; LDSByteSize: 0 bytes/workgroup (compile time only)
; SGPRBlocks: 0
; VGPRBlocks: 0
; NumSGPRsForWavesPerEU: 1
; NumVGPRsForWavesPerEU: 1
; Occupancy: 16
; WaveLimiterHint : 0
; COMPUTE_PGM_RSRC2:SCRATCH_EN: 0
; COMPUTE_PGM_RSRC2:USER_SGPR: 6
; COMPUTE_PGM_RSRC2:TRAP_HANDLER: 0
; COMPUTE_PGM_RSRC2:TGID_X_EN: 1
; COMPUTE_PGM_RSRC2:TGID_Y_EN: 0
; COMPUTE_PGM_RSRC2:TGID_Z_EN: 0
; COMPUTE_PGM_RSRC2:TIDIG_COMP_CNT: 0
	.section	.text._ZN7rocprim17ROCPRIM_400000_NS6detail17trampoline_kernelINS0_14default_configENS1_27scan_by_key_config_selectorIxxEEZZNS1_16scan_by_key_implILNS1_25lookback_scan_determinismE0ELb1ES3_N6thrust23THRUST_200600_302600_NS6detail15normal_iteratorINS9_10device_ptrIxEEEESE_SE_xNS9_4plusIxEE19head_flag_predicatexEE10hipError_tPvRmT2_T3_T4_T5_mT6_T7_P12ihipStream_tbENKUlT_T0_E_clISt17integral_constantIbLb0EESX_IbLb1EEEEDaST_SU_EUlST_E_NS1_11comp_targetILNS1_3genE10ELNS1_11target_archE1200ELNS1_3gpuE4ELNS1_3repE0EEENS1_30default_config_static_selectorELNS0_4arch9wavefront6targetE0EEEvT1_,"axG",@progbits,_ZN7rocprim17ROCPRIM_400000_NS6detail17trampoline_kernelINS0_14default_configENS1_27scan_by_key_config_selectorIxxEEZZNS1_16scan_by_key_implILNS1_25lookback_scan_determinismE0ELb1ES3_N6thrust23THRUST_200600_302600_NS6detail15normal_iteratorINS9_10device_ptrIxEEEESE_SE_xNS9_4plusIxEE19head_flag_predicatexEE10hipError_tPvRmT2_T3_T4_T5_mT6_T7_P12ihipStream_tbENKUlT_T0_E_clISt17integral_constantIbLb0EESX_IbLb1EEEEDaST_SU_EUlST_E_NS1_11comp_targetILNS1_3genE10ELNS1_11target_archE1200ELNS1_3gpuE4ELNS1_3repE0EEENS1_30default_config_static_selectorELNS0_4arch9wavefront6targetE0EEEvT1_,comdat
	.protected	_ZN7rocprim17ROCPRIM_400000_NS6detail17trampoline_kernelINS0_14default_configENS1_27scan_by_key_config_selectorIxxEEZZNS1_16scan_by_key_implILNS1_25lookback_scan_determinismE0ELb1ES3_N6thrust23THRUST_200600_302600_NS6detail15normal_iteratorINS9_10device_ptrIxEEEESE_SE_xNS9_4plusIxEE19head_flag_predicatexEE10hipError_tPvRmT2_T3_T4_T5_mT6_T7_P12ihipStream_tbENKUlT_T0_E_clISt17integral_constantIbLb0EESX_IbLb1EEEEDaST_SU_EUlST_E_NS1_11comp_targetILNS1_3genE10ELNS1_11target_archE1200ELNS1_3gpuE4ELNS1_3repE0EEENS1_30default_config_static_selectorELNS0_4arch9wavefront6targetE0EEEvT1_ ; -- Begin function _ZN7rocprim17ROCPRIM_400000_NS6detail17trampoline_kernelINS0_14default_configENS1_27scan_by_key_config_selectorIxxEEZZNS1_16scan_by_key_implILNS1_25lookback_scan_determinismE0ELb1ES3_N6thrust23THRUST_200600_302600_NS6detail15normal_iteratorINS9_10device_ptrIxEEEESE_SE_xNS9_4plusIxEE19head_flag_predicatexEE10hipError_tPvRmT2_T3_T4_T5_mT6_T7_P12ihipStream_tbENKUlT_T0_E_clISt17integral_constantIbLb0EESX_IbLb1EEEEDaST_SU_EUlST_E_NS1_11comp_targetILNS1_3genE10ELNS1_11target_archE1200ELNS1_3gpuE4ELNS1_3repE0EEENS1_30default_config_static_selectorELNS0_4arch9wavefront6targetE0EEEvT1_
	.globl	_ZN7rocprim17ROCPRIM_400000_NS6detail17trampoline_kernelINS0_14default_configENS1_27scan_by_key_config_selectorIxxEEZZNS1_16scan_by_key_implILNS1_25lookback_scan_determinismE0ELb1ES3_N6thrust23THRUST_200600_302600_NS6detail15normal_iteratorINS9_10device_ptrIxEEEESE_SE_xNS9_4plusIxEE19head_flag_predicatexEE10hipError_tPvRmT2_T3_T4_T5_mT6_T7_P12ihipStream_tbENKUlT_T0_E_clISt17integral_constantIbLb0EESX_IbLb1EEEEDaST_SU_EUlST_E_NS1_11comp_targetILNS1_3genE10ELNS1_11target_archE1200ELNS1_3gpuE4ELNS1_3repE0EEENS1_30default_config_static_selectorELNS0_4arch9wavefront6targetE0EEEvT1_
	.p2align	8
	.type	_ZN7rocprim17ROCPRIM_400000_NS6detail17trampoline_kernelINS0_14default_configENS1_27scan_by_key_config_selectorIxxEEZZNS1_16scan_by_key_implILNS1_25lookback_scan_determinismE0ELb1ES3_N6thrust23THRUST_200600_302600_NS6detail15normal_iteratorINS9_10device_ptrIxEEEESE_SE_xNS9_4plusIxEE19head_flag_predicatexEE10hipError_tPvRmT2_T3_T4_T5_mT6_T7_P12ihipStream_tbENKUlT_T0_E_clISt17integral_constantIbLb0EESX_IbLb1EEEEDaST_SU_EUlST_E_NS1_11comp_targetILNS1_3genE10ELNS1_11target_archE1200ELNS1_3gpuE4ELNS1_3repE0EEENS1_30default_config_static_selectorELNS0_4arch9wavefront6targetE0EEEvT1_,@function
_ZN7rocprim17ROCPRIM_400000_NS6detail17trampoline_kernelINS0_14default_configENS1_27scan_by_key_config_selectorIxxEEZZNS1_16scan_by_key_implILNS1_25lookback_scan_determinismE0ELb1ES3_N6thrust23THRUST_200600_302600_NS6detail15normal_iteratorINS9_10device_ptrIxEEEESE_SE_xNS9_4plusIxEE19head_flag_predicatexEE10hipError_tPvRmT2_T3_T4_T5_mT6_T7_P12ihipStream_tbENKUlT_T0_E_clISt17integral_constantIbLb0EESX_IbLb1EEEEDaST_SU_EUlST_E_NS1_11comp_targetILNS1_3genE10ELNS1_11target_archE1200ELNS1_3gpuE4ELNS1_3repE0EEENS1_30default_config_static_selectorELNS0_4arch9wavefront6targetE0EEEvT1_: ; @_ZN7rocprim17ROCPRIM_400000_NS6detail17trampoline_kernelINS0_14default_configENS1_27scan_by_key_config_selectorIxxEEZZNS1_16scan_by_key_implILNS1_25lookback_scan_determinismE0ELb1ES3_N6thrust23THRUST_200600_302600_NS6detail15normal_iteratorINS9_10device_ptrIxEEEESE_SE_xNS9_4plusIxEE19head_flag_predicatexEE10hipError_tPvRmT2_T3_T4_T5_mT6_T7_P12ihipStream_tbENKUlT_T0_E_clISt17integral_constantIbLb0EESX_IbLb1EEEEDaST_SU_EUlST_E_NS1_11comp_targetILNS1_3genE10ELNS1_11target_archE1200ELNS1_3gpuE4ELNS1_3repE0EEENS1_30default_config_static_selectorELNS0_4arch9wavefront6targetE0EEEvT1_
; %bb.0:
	.section	.rodata,"a",@progbits
	.p2align	6, 0x0
	.amdhsa_kernel _ZN7rocprim17ROCPRIM_400000_NS6detail17trampoline_kernelINS0_14default_configENS1_27scan_by_key_config_selectorIxxEEZZNS1_16scan_by_key_implILNS1_25lookback_scan_determinismE0ELb1ES3_N6thrust23THRUST_200600_302600_NS6detail15normal_iteratorINS9_10device_ptrIxEEEESE_SE_xNS9_4plusIxEE19head_flag_predicatexEE10hipError_tPvRmT2_T3_T4_T5_mT6_T7_P12ihipStream_tbENKUlT_T0_E_clISt17integral_constantIbLb0EESX_IbLb1EEEEDaST_SU_EUlST_E_NS1_11comp_targetILNS1_3genE10ELNS1_11target_archE1200ELNS1_3gpuE4ELNS1_3repE0EEENS1_30default_config_static_selectorELNS0_4arch9wavefront6targetE0EEEvT1_
		.amdhsa_group_segment_fixed_size 0
		.amdhsa_private_segment_fixed_size 0
		.amdhsa_kernarg_size 136
		.amdhsa_user_sgpr_count 6
		.amdhsa_user_sgpr_private_segment_buffer 1
		.amdhsa_user_sgpr_dispatch_ptr 0
		.amdhsa_user_sgpr_queue_ptr 0
		.amdhsa_user_sgpr_kernarg_segment_ptr 1
		.amdhsa_user_sgpr_dispatch_id 0
		.amdhsa_user_sgpr_flat_scratch_init 0
		.amdhsa_user_sgpr_private_segment_size 0
		.amdhsa_wavefront_size32 1
		.amdhsa_uses_dynamic_stack 0
		.amdhsa_system_sgpr_private_segment_wavefront_offset 0
		.amdhsa_system_sgpr_workgroup_id_x 1
		.amdhsa_system_sgpr_workgroup_id_y 0
		.amdhsa_system_sgpr_workgroup_id_z 0
		.amdhsa_system_sgpr_workgroup_info 0
		.amdhsa_system_vgpr_workitem_id 0
		.amdhsa_next_free_vgpr 1
		.amdhsa_next_free_sgpr 1
		.amdhsa_reserve_vcc 0
		.amdhsa_reserve_flat_scratch 0
		.amdhsa_float_round_mode_32 0
		.amdhsa_float_round_mode_16_64 0
		.amdhsa_float_denorm_mode_32 3
		.amdhsa_float_denorm_mode_16_64 3
		.amdhsa_dx10_clamp 1
		.amdhsa_ieee_mode 1
		.amdhsa_fp16_overflow 0
		.amdhsa_workgroup_processor_mode 1
		.amdhsa_memory_ordered 1
		.amdhsa_forward_progress 1
		.amdhsa_shared_vgpr_count 0
		.amdhsa_exception_fp_ieee_invalid_op 0
		.amdhsa_exception_fp_denorm_src 0
		.amdhsa_exception_fp_ieee_div_zero 0
		.amdhsa_exception_fp_ieee_overflow 0
		.amdhsa_exception_fp_ieee_underflow 0
		.amdhsa_exception_fp_ieee_inexact 0
		.amdhsa_exception_int_div_zero 0
	.end_amdhsa_kernel
	.section	.text._ZN7rocprim17ROCPRIM_400000_NS6detail17trampoline_kernelINS0_14default_configENS1_27scan_by_key_config_selectorIxxEEZZNS1_16scan_by_key_implILNS1_25lookback_scan_determinismE0ELb1ES3_N6thrust23THRUST_200600_302600_NS6detail15normal_iteratorINS9_10device_ptrIxEEEESE_SE_xNS9_4plusIxEE19head_flag_predicatexEE10hipError_tPvRmT2_T3_T4_T5_mT6_T7_P12ihipStream_tbENKUlT_T0_E_clISt17integral_constantIbLb0EESX_IbLb1EEEEDaST_SU_EUlST_E_NS1_11comp_targetILNS1_3genE10ELNS1_11target_archE1200ELNS1_3gpuE4ELNS1_3repE0EEENS1_30default_config_static_selectorELNS0_4arch9wavefront6targetE0EEEvT1_,"axG",@progbits,_ZN7rocprim17ROCPRIM_400000_NS6detail17trampoline_kernelINS0_14default_configENS1_27scan_by_key_config_selectorIxxEEZZNS1_16scan_by_key_implILNS1_25lookback_scan_determinismE0ELb1ES3_N6thrust23THRUST_200600_302600_NS6detail15normal_iteratorINS9_10device_ptrIxEEEESE_SE_xNS9_4plusIxEE19head_flag_predicatexEE10hipError_tPvRmT2_T3_T4_T5_mT6_T7_P12ihipStream_tbENKUlT_T0_E_clISt17integral_constantIbLb0EESX_IbLb1EEEEDaST_SU_EUlST_E_NS1_11comp_targetILNS1_3genE10ELNS1_11target_archE1200ELNS1_3gpuE4ELNS1_3repE0EEENS1_30default_config_static_selectorELNS0_4arch9wavefront6targetE0EEEvT1_,comdat
.Lfunc_end746:
	.size	_ZN7rocprim17ROCPRIM_400000_NS6detail17trampoline_kernelINS0_14default_configENS1_27scan_by_key_config_selectorIxxEEZZNS1_16scan_by_key_implILNS1_25lookback_scan_determinismE0ELb1ES3_N6thrust23THRUST_200600_302600_NS6detail15normal_iteratorINS9_10device_ptrIxEEEESE_SE_xNS9_4plusIxEE19head_flag_predicatexEE10hipError_tPvRmT2_T3_T4_T5_mT6_T7_P12ihipStream_tbENKUlT_T0_E_clISt17integral_constantIbLb0EESX_IbLb1EEEEDaST_SU_EUlST_E_NS1_11comp_targetILNS1_3genE10ELNS1_11target_archE1200ELNS1_3gpuE4ELNS1_3repE0EEENS1_30default_config_static_selectorELNS0_4arch9wavefront6targetE0EEEvT1_, .Lfunc_end746-_ZN7rocprim17ROCPRIM_400000_NS6detail17trampoline_kernelINS0_14default_configENS1_27scan_by_key_config_selectorIxxEEZZNS1_16scan_by_key_implILNS1_25lookback_scan_determinismE0ELb1ES3_N6thrust23THRUST_200600_302600_NS6detail15normal_iteratorINS9_10device_ptrIxEEEESE_SE_xNS9_4plusIxEE19head_flag_predicatexEE10hipError_tPvRmT2_T3_T4_T5_mT6_T7_P12ihipStream_tbENKUlT_T0_E_clISt17integral_constantIbLb0EESX_IbLb1EEEEDaST_SU_EUlST_E_NS1_11comp_targetILNS1_3genE10ELNS1_11target_archE1200ELNS1_3gpuE4ELNS1_3repE0EEENS1_30default_config_static_selectorELNS0_4arch9wavefront6targetE0EEEvT1_
                                        ; -- End function
	.set _ZN7rocprim17ROCPRIM_400000_NS6detail17trampoline_kernelINS0_14default_configENS1_27scan_by_key_config_selectorIxxEEZZNS1_16scan_by_key_implILNS1_25lookback_scan_determinismE0ELb1ES3_N6thrust23THRUST_200600_302600_NS6detail15normal_iteratorINS9_10device_ptrIxEEEESE_SE_xNS9_4plusIxEE19head_flag_predicatexEE10hipError_tPvRmT2_T3_T4_T5_mT6_T7_P12ihipStream_tbENKUlT_T0_E_clISt17integral_constantIbLb0EESX_IbLb1EEEEDaST_SU_EUlST_E_NS1_11comp_targetILNS1_3genE10ELNS1_11target_archE1200ELNS1_3gpuE4ELNS1_3repE0EEENS1_30default_config_static_selectorELNS0_4arch9wavefront6targetE0EEEvT1_.num_vgpr, 0
	.set _ZN7rocprim17ROCPRIM_400000_NS6detail17trampoline_kernelINS0_14default_configENS1_27scan_by_key_config_selectorIxxEEZZNS1_16scan_by_key_implILNS1_25lookback_scan_determinismE0ELb1ES3_N6thrust23THRUST_200600_302600_NS6detail15normal_iteratorINS9_10device_ptrIxEEEESE_SE_xNS9_4plusIxEE19head_flag_predicatexEE10hipError_tPvRmT2_T3_T4_T5_mT6_T7_P12ihipStream_tbENKUlT_T0_E_clISt17integral_constantIbLb0EESX_IbLb1EEEEDaST_SU_EUlST_E_NS1_11comp_targetILNS1_3genE10ELNS1_11target_archE1200ELNS1_3gpuE4ELNS1_3repE0EEENS1_30default_config_static_selectorELNS0_4arch9wavefront6targetE0EEEvT1_.num_agpr, 0
	.set _ZN7rocprim17ROCPRIM_400000_NS6detail17trampoline_kernelINS0_14default_configENS1_27scan_by_key_config_selectorIxxEEZZNS1_16scan_by_key_implILNS1_25lookback_scan_determinismE0ELb1ES3_N6thrust23THRUST_200600_302600_NS6detail15normal_iteratorINS9_10device_ptrIxEEEESE_SE_xNS9_4plusIxEE19head_flag_predicatexEE10hipError_tPvRmT2_T3_T4_T5_mT6_T7_P12ihipStream_tbENKUlT_T0_E_clISt17integral_constantIbLb0EESX_IbLb1EEEEDaST_SU_EUlST_E_NS1_11comp_targetILNS1_3genE10ELNS1_11target_archE1200ELNS1_3gpuE4ELNS1_3repE0EEENS1_30default_config_static_selectorELNS0_4arch9wavefront6targetE0EEEvT1_.numbered_sgpr, 0
	.set _ZN7rocprim17ROCPRIM_400000_NS6detail17trampoline_kernelINS0_14default_configENS1_27scan_by_key_config_selectorIxxEEZZNS1_16scan_by_key_implILNS1_25lookback_scan_determinismE0ELb1ES3_N6thrust23THRUST_200600_302600_NS6detail15normal_iteratorINS9_10device_ptrIxEEEESE_SE_xNS9_4plusIxEE19head_flag_predicatexEE10hipError_tPvRmT2_T3_T4_T5_mT6_T7_P12ihipStream_tbENKUlT_T0_E_clISt17integral_constantIbLb0EESX_IbLb1EEEEDaST_SU_EUlST_E_NS1_11comp_targetILNS1_3genE10ELNS1_11target_archE1200ELNS1_3gpuE4ELNS1_3repE0EEENS1_30default_config_static_selectorELNS0_4arch9wavefront6targetE0EEEvT1_.num_named_barrier, 0
	.set _ZN7rocprim17ROCPRIM_400000_NS6detail17trampoline_kernelINS0_14default_configENS1_27scan_by_key_config_selectorIxxEEZZNS1_16scan_by_key_implILNS1_25lookback_scan_determinismE0ELb1ES3_N6thrust23THRUST_200600_302600_NS6detail15normal_iteratorINS9_10device_ptrIxEEEESE_SE_xNS9_4plusIxEE19head_flag_predicatexEE10hipError_tPvRmT2_T3_T4_T5_mT6_T7_P12ihipStream_tbENKUlT_T0_E_clISt17integral_constantIbLb0EESX_IbLb1EEEEDaST_SU_EUlST_E_NS1_11comp_targetILNS1_3genE10ELNS1_11target_archE1200ELNS1_3gpuE4ELNS1_3repE0EEENS1_30default_config_static_selectorELNS0_4arch9wavefront6targetE0EEEvT1_.private_seg_size, 0
	.set _ZN7rocprim17ROCPRIM_400000_NS6detail17trampoline_kernelINS0_14default_configENS1_27scan_by_key_config_selectorIxxEEZZNS1_16scan_by_key_implILNS1_25lookback_scan_determinismE0ELb1ES3_N6thrust23THRUST_200600_302600_NS6detail15normal_iteratorINS9_10device_ptrIxEEEESE_SE_xNS9_4plusIxEE19head_flag_predicatexEE10hipError_tPvRmT2_T3_T4_T5_mT6_T7_P12ihipStream_tbENKUlT_T0_E_clISt17integral_constantIbLb0EESX_IbLb1EEEEDaST_SU_EUlST_E_NS1_11comp_targetILNS1_3genE10ELNS1_11target_archE1200ELNS1_3gpuE4ELNS1_3repE0EEENS1_30default_config_static_selectorELNS0_4arch9wavefront6targetE0EEEvT1_.uses_vcc, 0
	.set _ZN7rocprim17ROCPRIM_400000_NS6detail17trampoline_kernelINS0_14default_configENS1_27scan_by_key_config_selectorIxxEEZZNS1_16scan_by_key_implILNS1_25lookback_scan_determinismE0ELb1ES3_N6thrust23THRUST_200600_302600_NS6detail15normal_iteratorINS9_10device_ptrIxEEEESE_SE_xNS9_4plusIxEE19head_flag_predicatexEE10hipError_tPvRmT2_T3_T4_T5_mT6_T7_P12ihipStream_tbENKUlT_T0_E_clISt17integral_constantIbLb0EESX_IbLb1EEEEDaST_SU_EUlST_E_NS1_11comp_targetILNS1_3genE10ELNS1_11target_archE1200ELNS1_3gpuE4ELNS1_3repE0EEENS1_30default_config_static_selectorELNS0_4arch9wavefront6targetE0EEEvT1_.uses_flat_scratch, 0
	.set _ZN7rocprim17ROCPRIM_400000_NS6detail17trampoline_kernelINS0_14default_configENS1_27scan_by_key_config_selectorIxxEEZZNS1_16scan_by_key_implILNS1_25lookback_scan_determinismE0ELb1ES3_N6thrust23THRUST_200600_302600_NS6detail15normal_iteratorINS9_10device_ptrIxEEEESE_SE_xNS9_4plusIxEE19head_flag_predicatexEE10hipError_tPvRmT2_T3_T4_T5_mT6_T7_P12ihipStream_tbENKUlT_T0_E_clISt17integral_constantIbLb0EESX_IbLb1EEEEDaST_SU_EUlST_E_NS1_11comp_targetILNS1_3genE10ELNS1_11target_archE1200ELNS1_3gpuE4ELNS1_3repE0EEENS1_30default_config_static_selectorELNS0_4arch9wavefront6targetE0EEEvT1_.has_dyn_sized_stack, 0
	.set _ZN7rocprim17ROCPRIM_400000_NS6detail17trampoline_kernelINS0_14default_configENS1_27scan_by_key_config_selectorIxxEEZZNS1_16scan_by_key_implILNS1_25lookback_scan_determinismE0ELb1ES3_N6thrust23THRUST_200600_302600_NS6detail15normal_iteratorINS9_10device_ptrIxEEEESE_SE_xNS9_4plusIxEE19head_flag_predicatexEE10hipError_tPvRmT2_T3_T4_T5_mT6_T7_P12ihipStream_tbENKUlT_T0_E_clISt17integral_constantIbLb0EESX_IbLb1EEEEDaST_SU_EUlST_E_NS1_11comp_targetILNS1_3genE10ELNS1_11target_archE1200ELNS1_3gpuE4ELNS1_3repE0EEENS1_30default_config_static_selectorELNS0_4arch9wavefront6targetE0EEEvT1_.has_recursion, 0
	.set _ZN7rocprim17ROCPRIM_400000_NS6detail17trampoline_kernelINS0_14default_configENS1_27scan_by_key_config_selectorIxxEEZZNS1_16scan_by_key_implILNS1_25lookback_scan_determinismE0ELb1ES3_N6thrust23THRUST_200600_302600_NS6detail15normal_iteratorINS9_10device_ptrIxEEEESE_SE_xNS9_4plusIxEE19head_flag_predicatexEE10hipError_tPvRmT2_T3_T4_T5_mT6_T7_P12ihipStream_tbENKUlT_T0_E_clISt17integral_constantIbLb0EESX_IbLb1EEEEDaST_SU_EUlST_E_NS1_11comp_targetILNS1_3genE10ELNS1_11target_archE1200ELNS1_3gpuE4ELNS1_3repE0EEENS1_30default_config_static_selectorELNS0_4arch9wavefront6targetE0EEEvT1_.has_indirect_call, 0
	.section	.AMDGPU.csdata,"",@progbits
; Kernel info:
; codeLenInByte = 0
; TotalNumSgprs: 0
; NumVgprs: 0
; ScratchSize: 0
; MemoryBound: 0
; FloatMode: 240
; IeeeMode: 1
; LDSByteSize: 0 bytes/workgroup (compile time only)
; SGPRBlocks: 0
; VGPRBlocks: 0
; NumSGPRsForWavesPerEU: 1
; NumVGPRsForWavesPerEU: 1
; Occupancy: 16
; WaveLimiterHint : 0
; COMPUTE_PGM_RSRC2:SCRATCH_EN: 0
; COMPUTE_PGM_RSRC2:USER_SGPR: 6
; COMPUTE_PGM_RSRC2:TRAP_HANDLER: 0
; COMPUTE_PGM_RSRC2:TGID_X_EN: 1
; COMPUTE_PGM_RSRC2:TGID_Y_EN: 0
; COMPUTE_PGM_RSRC2:TGID_Z_EN: 0
; COMPUTE_PGM_RSRC2:TIDIG_COMP_CNT: 0
	.section	.text._ZN7rocprim17ROCPRIM_400000_NS6detail17trampoline_kernelINS0_14default_configENS1_27scan_by_key_config_selectorIxxEEZZNS1_16scan_by_key_implILNS1_25lookback_scan_determinismE0ELb1ES3_N6thrust23THRUST_200600_302600_NS6detail15normal_iteratorINS9_10device_ptrIxEEEESE_SE_xNS9_4plusIxEE19head_flag_predicatexEE10hipError_tPvRmT2_T3_T4_T5_mT6_T7_P12ihipStream_tbENKUlT_T0_E_clISt17integral_constantIbLb0EESX_IbLb1EEEEDaST_SU_EUlST_E_NS1_11comp_targetILNS1_3genE9ELNS1_11target_archE1100ELNS1_3gpuE3ELNS1_3repE0EEENS1_30default_config_static_selectorELNS0_4arch9wavefront6targetE0EEEvT1_,"axG",@progbits,_ZN7rocprim17ROCPRIM_400000_NS6detail17trampoline_kernelINS0_14default_configENS1_27scan_by_key_config_selectorIxxEEZZNS1_16scan_by_key_implILNS1_25lookback_scan_determinismE0ELb1ES3_N6thrust23THRUST_200600_302600_NS6detail15normal_iteratorINS9_10device_ptrIxEEEESE_SE_xNS9_4plusIxEE19head_flag_predicatexEE10hipError_tPvRmT2_T3_T4_T5_mT6_T7_P12ihipStream_tbENKUlT_T0_E_clISt17integral_constantIbLb0EESX_IbLb1EEEEDaST_SU_EUlST_E_NS1_11comp_targetILNS1_3genE9ELNS1_11target_archE1100ELNS1_3gpuE3ELNS1_3repE0EEENS1_30default_config_static_selectorELNS0_4arch9wavefront6targetE0EEEvT1_,comdat
	.protected	_ZN7rocprim17ROCPRIM_400000_NS6detail17trampoline_kernelINS0_14default_configENS1_27scan_by_key_config_selectorIxxEEZZNS1_16scan_by_key_implILNS1_25lookback_scan_determinismE0ELb1ES3_N6thrust23THRUST_200600_302600_NS6detail15normal_iteratorINS9_10device_ptrIxEEEESE_SE_xNS9_4plusIxEE19head_flag_predicatexEE10hipError_tPvRmT2_T3_T4_T5_mT6_T7_P12ihipStream_tbENKUlT_T0_E_clISt17integral_constantIbLb0EESX_IbLb1EEEEDaST_SU_EUlST_E_NS1_11comp_targetILNS1_3genE9ELNS1_11target_archE1100ELNS1_3gpuE3ELNS1_3repE0EEENS1_30default_config_static_selectorELNS0_4arch9wavefront6targetE0EEEvT1_ ; -- Begin function _ZN7rocprim17ROCPRIM_400000_NS6detail17trampoline_kernelINS0_14default_configENS1_27scan_by_key_config_selectorIxxEEZZNS1_16scan_by_key_implILNS1_25lookback_scan_determinismE0ELb1ES3_N6thrust23THRUST_200600_302600_NS6detail15normal_iteratorINS9_10device_ptrIxEEEESE_SE_xNS9_4plusIxEE19head_flag_predicatexEE10hipError_tPvRmT2_T3_T4_T5_mT6_T7_P12ihipStream_tbENKUlT_T0_E_clISt17integral_constantIbLb0EESX_IbLb1EEEEDaST_SU_EUlST_E_NS1_11comp_targetILNS1_3genE9ELNS1_11target_archE1100ELNS1_3gpuE3ELNS1_3repE0EEENS1_30default_config_static_selectorELNS0_4arch9wavefront6targetE0EEEvT1_
	.globl	_ZN7rocprim17ROCPRIM_400000_NS6detail17trampoline_kernelINS0_14default_configENS1_27scan_by_key_config_selectorIxxEEZZNS1_16scan_by_key_implILNS1_25lookback_scan_determinismE0ELb1ES3_N6thrust23THRUST_200600_302600_NS6detail15normal_iteratorINS9_10device_ptrIxEEEESE_SE_xNS9_4plusIxEE19head_flag_predicatexEE10hipError_tPvRmT2_T3_T4_T5_mT6_T7_P12ihipStream_tbENKUlT_T0_E_clISt17integral_constantIbLb0EESX_IbLb1EEEEDaST_SU_EUlST_E_NS1_11comp_targetILNS1_3genE9ELNS1_11target_archE1100ELNS1_3gpuE3ELNS1_3repE0EEENS1_30default_config_static_selectorELNS0_4arch9wavefront6targetE0EEEvT1_
	.p2align	8
	.type	_ZN7rocprim17ROCPRIM_400000_NS6detail17trampoline_kernelINS0_14default_configENS1_27scan_by_key_config_selectorIxxEEZZNS1_16scan_by_key_implILNS1_25lookback_scan_determinismE0ELb1ES3_N6thrust23THRUST_200600_302600_NS6detail15normal_iteratorINS9_10device_ptrIxEEEESE_SE_xNS9_4plusIxEE19head_flag_predicatexEE10hipError_tPvRmT2_T3_T4_T5_mT6_T7_P12ihipStream_tbENKUlT_T0_E_clISt17integral_constantIbLb0EESX_IbLb1EEEEDaST_SU_EUlST_E_NS1_11comp_targetILNS1_3genE9ELNS1_11target_archE1100ELNS1_3gpuE3ELNS1_3repE0EEENS1_30default_config_static_selectorELNS0_4arch9wavefront6targetE0EEEvT1_,@function
_ZN7rocprim17ROCPRIM_400000_NS6detail17trampoline_kernelINS0_14default_configENS1_27scan_by_key_config_selectorIxxEEZZNS1_16scan_by_key_implILNS1_25lookback_scan_determinismE0ELb1ES3_N6thrust23THRUST_200600_302600_NS6detail15normal_iteratorINS9_10device_ptrIxEEEESE_SE_xNS9_4plusIxEE19head_flag_predicatexEE10hipError_tPvRmT2_T3_T4_T5_mT6_T7_P12ihipStream_tbENKUlT_T0_E_clISt17integral_constantIbLb0EESX_IbLb1EEEEDaST_SU_EUlST_E_NS1_11comp_targetILNS1_3genE9ELNS1_11target_archE1100ELNS1_3gpuE3ELNS1_3repE0EEENS1_30default_config_static_selectorELNS0_4arch9wavefront6targetE0EEEvT1_: ; @_ZN7rocprim17ROCPRIM_400000_NS6detail17trampoline_kernelINS0_14default_configENS1_27scan_by_key_config_selectorIxxEEZZNS1_16scan_by_key_implILNS1_25lookback_scan_determinismE0ELb1ES3_N6thrust23THRUST_200600_302600_NS6detail15normal_iteratorINS9_10device_ptrIxEEEESE_SE_xNS9_4plusIxEE19head_flag_predicatexEE10hipError_tPvRmT2_T3_T4_T5_mT6_T7_P12ihipStream_tbENKUlT_T0_E_clISt17integral_constantIbLb0EESX_IbLb1EEEEDaST_SU_EUlST_E_NS1_11comp_targetILNS1_3genE9ELNS1_11target_archE1100ELNS1_3gpuE3ELNS1_3repE0EEENS1_30default_config_static_selectorELNS0_4arch9wavefront6targetE0EEEvT1_
; %bb.0:
	.section	.rodata,"a",@progbits
	.p2align	6, 0x0
	.amdhsa_kernel _ZN7rocprim17ROCPRIM_400000_NS6detail17trampoline_kernelINS0_14default_configENS1_27scan_by_key_config_selectorIxxEEZZNS1_16scan_by_key_implILNS1_25lookback_scan_determinismE0ELb1ES3_N6thrust23THRUST_200600_302600_NS6detail15normal_iteratorINS9_10device_ptrIxEEEESE_SE_xNS9_4plusIxEE19head_flag_predicatexEE10hipError_tPvRmT2_T3_T4_T5_mT6_T7_P12ihipStream_tbENKUlT_T0_E_clISt17integral_constantIbLb0EESX_IbLb1EEEEDaST_SU_EUlST_E_NS1_11comp_targetILNS1_3genE9ELNS1_11target_archE1100ELNS1_3gpuE3ELNS1_3repE0EEENS1_30default_config_static_selectorELNS0_4arch9wavefront6targetE0EEEvT1_
		.amdhsa_group_segment_fixed_size 0
		.amdhsa_private_segment_fixed_size 0
		.amdhsa_kernarg_size 136
		.amdhsa_user_sgpr_count 6
		.amdhsa_user_sgpr_private_segment_buffer 1
		.amdhsa_user_sgpr_dispatch_ptr 0
		.amdhsa_user_sgpr_queue_ptr 0
		.amdhsa_user_sgpr_kernarg_segment_ptr 1
		.amdhsa_user_sgpr_dispatch_id 0
		.amdhsa_user_sgpr_flat_scratch_init 0
		.amdhsa_user_sgpr_private_segment_size 0
		.amdhsa_wavefront_size32 1
		.amdhsa_uses_dynamic_stack 0
		.amdhsa_system_sgpr_private_segment_wavefront_offset 0
		.amdhsa_system_sgpr_workgroup_id_x 1
		.amdhsa_system_sgpr_workgroup_id_y 0
		.amdhsa_system_sgpr_workgroup_id_z 0
		.amdhsa_system_sgpr_workgroup_info 0
		.amdhsa_system_vgpr_workitem_id 0
		.amdhsa_next_free_vgpr 1
		.amdhsa_next_free_sgpr 1
		.amdhsa_reserve_vcc 0
		.amdhsa_reserve_flat_scratch 0
		.amdhsa_float_round_mode_32 0
		.amdhsa_float_round_mode_16_64 0
		.amdhsa_float_denorm_mode_32 3
		.amdhsa_float_denorm_mode_16_64 3
		.amdhsa_dx10_clamp 1
		.amdhsa_ieee_mode 1
		.amdhsa_fp16_overflow 0
		.amdhsa_workgroup_processor_mode 1
		.amdhsa_memory_ordered 1
		.amdhsa_forward_progress 1
		.amdhsa_shared_vgpr_count 0
		.amdhsa_exception_fp_ieee_invalid_op 0
		.amdhsa_exception_fp_denorm_src 0
		.amdhsa_exception_fp_ieee_div_zero 0
		.amdhsa_exception_fp_ieee_overflow 0
		.amdhsa_exception_fp_ieee_underflow 0
		.amdhsa_exception_fp_ieee_inexact 0
		.amdhsa_exception_int_div_zero 0
	.end_amdhsa_kernel
	.section	.text._ZN7rocprim17ROCPRIM_400000_NS6detail17trampoline_kernelINS0_14default_configENS1_27scan_by_key_config_selectorIxxEEZZNS1_16scan_by_key_implILNS1_25lookback_scan_determinismE0ELb1ES3_N6thrust23THRUST_200600_302600_NS6detail15normal_iteratorINS9_10device_ptrIxEEEESE_SE_xNS9_4plusIxEE19head_flag_predicatexEE10hipError_tPvRmT2_T3_T4_T5_mT6_T7_P12ihipStream_tbENKUlT_T0_E_clISt17integral_constantIbLb0EESX_IbLb1EEEEDaST_SU_EUlST_E_NS1_11comp_targetILNS1_3genE9ELNS1_11target_archE1100ELNS1_3gpuE3ELNS1_3repE0EEENS1_30default_config_static_selectorELNS0_4arch9wavefront6targetE0EEEvT1_,"axG",@progbits,_ZN7rocprim17ROCPRIM_400000_NS6detail17trampoline_kernelINS0_14default_configENS1_27scan_by_key_config_selectorIxxEEZZNS1_16scan_by_key_implILNS1_25lookback_scan_determinismE0ELb1ES3_N6thrust23THRUST_200600_302600_NS6detail15normal_iteratorINS9_10device_ptrIxEEEESE_SE_xNS9_4plusIxEE19head_flag_predicatexEE10hipError_tPvRmT2_T3_T4_T5_mT6_T7_P12ihipStream_tbENKUlT_T0_E_clISt17integral_constantIbLb0EESX_IbLb1EEEEDaST_SU_EUlST_E_NS1_11comp_targetILNS1_3genE9ELNS1_11target_archE1100ELNS1_3gpuE3ELNS1_3repE0EEENS1_30default_config_static_selectorELNS0_4arch9wavefront6targetE0EEEvT1_,comdat
.Lfunc_end747:
	.size	_ZN7rocprim17ROCPRIM_400000_NS6detail17trampoline_kernelINS0_14default_configENS1_27scan_by_key_config_selectorIxxEEZZNS1_16scan_by_key_implILNS1_25lookback_scan_determinismE0ELb1ES3_N6thrust23THRUST_200600_302600_NS6detail15normal_iteratorINS9_10device_ptrIxEEEESE_SE_xNS9_4plusIxEE19head_flag_predicatexEE10hipError_tPvRmT2_T3_T4_T5_mT6_T7_P12ihipStream_tbENKUlT_T0_E_clISt17integral_constantIbLb0EESX_IbLb1EEEEDaST_SU_EUlST_E_NS1_11comp_targetILNS1_3genE9ELNS1_11target_archE1100ELNS1_3gpuE3ELNS1_3repE0EEENS1_30default_config_static_selectorELNS0_4arch9wavefront6targetE0EEEvT1_, .Lfunc_end747-_ZN7rocprim17ROCPRIM_400000_NS6detail17trampoline_kernelINS0_14default_configENS1_27scan_by_key_config_selectorIxxEEZZNS1_16scan_by_key_implILNS1_25lookback_scan_determinismE0ELb1ES3_N6thrust23THRUST_200600_302600_NS6detail15normal_iteratorINS9_10device_ptrIxEEEESE_SE_xNS9_4plusIxEE19head_flag_predicatexEE10hipError_tPvRmT2_T3_T4_T5_mT6_T7_P12ihipStream_tbENKUlT_T0_E_clISt17integral_constantIbLb0EESX_IbLb1EEEEDaST_SU_EUlST_E_NS1_11comp_targetILNS1_3genE9ELNS1_11target_archE1100ELNS1_3gpuE3ELNS1_3repE0EEENS1_30default_config_static_selectorELNS0_4arch9wavefront6targetE0EEEvT1_
                                        ; -- End function
	.set _ZN7rocprim17ROCPRIM_400000_NS6detail17trampoline_kernelINS0_14default_configENS1_27scan_by_key_config_selectorIxxEEZZNS1_16scan_by_key_implILNS1_25lookback_scan_determinismE0ELb1ES3_N6thrust23THRUST_200600_302600_NS6detail15normal_iteratorINS9_10device_ptrIxEEEESE_SE_xNS9_4plusIxEE19head_flag_predicatexEE10hipError_tPvRmT2_T3_T4_T5_mT6_T7_P12ihipStream_tbENKUlT_T0_E_clISt17integral_constantIbLb0EESX_IbLb1EEEEDaST_SU_EUlST_E_NS1_11comp_targetILNS1_3genE9ELNS1_11target_archE1100ELNS1_3gpuE3ELNS1_3repE0EEENS1_30default_config_static_selectorELNS0_4arch9wavefront6targetE0EEEvT1_.num_vgpr, 0
	.set _ZN7rocprim17ROCPRIM_400000_NS6detail17trampoline_kernelINS0_14default_configENS1_27scan_by_key_config_selectorIxxEEZZNS1_16scan_by_key_implILNS1_25lookback_scan_determinismE0ELb1ES3_N6thrust23THRUST_200600_302600_NS6detail15normal_iteratorINS9_10device_ptrIxEEEESE_SE_xNS9_4plusIxEE19head_flag_predicatexEE10hipError_tPvRmT2_T3_T4_T5_mT6_T7_P12ihipStream_tbENKUlT_T0_E_clISt17integral_constantIbLb0EESX_IbLb1EEEEDaST_SU_EUlST_E_NS1_11comp_targetILNS1_3genE9ELNS1_11target_archE1100ELNS1_3gpuE3ELNS1_3repE0EEENS1_30default_config_static_selectorELNS0_4arch9wavefront6targetE0EEEvT1_.num_agpr, 0
	.set _ZN7rocprim17ROCPRIM_400000_NS6detail17trampoline_kernelINS0_14default_configENS1_27scan_by_key_config_selectorIxxEEZZNS1_16scan_by_key_implILNS1_25lookback_scan_determinismE0ELb1ES3_N6thrust23THRUST_200600_302600_NS6detail15normal_iteratorINS9_10device_ptrIxEEEESE_SE_xNS9_4plusIxEE19head_flag_predicatexEE10hipError_tPvRmT2_T3_T4_T5_mT6_T7_P12ihipStream_tbENKUlT_T0_E_clISt17integral_constantIbLb0EESX_IbLb1EEEEDaST_SU_EUlST_E_NS1_11comp_targetILNS1_3genE9ELNS1_11target_archE1100ELNS1_3gpuE3ELNS1_3repE0EEENS1_30default_config_static_selectorELNS0_4arch9wavefront6targetE0EEEvT1_.numbered_sgpr, 0
	.set _ZN7rocprim17ROCPRIM_400000_NS6detail17trampoline_kernelINS0_14default_configENS1_27scan_by_key_config_selectorIxxEEZZNS1_16scan_by_key_implILNS1_25lookback_scan_determinismE0ELb1ES3_N6thrust23THRUST_200600_302600_NS6detail15normal_iteratorINS9_10device_ptrIxEEEESE_SE_xNS9_4plusIxEE19head_flag_predicatexEE10hipError_tPvRmT2_T3_T4_T5_mT6_T7_P12ihipStream_tbENKUlT_T0_E_clISt17integral_constantIbLb0EESX_IbLb1EEEEDaST_SU_EUlST_E_NS1_11comp_targetILNS1_3genE9ELNS1_11target_archE1100ELNS1_3gpuE3ELNS1_3repE0EEENS1_30default_config_static_selectorELNS0_4arch9wavefront6targetE0EEEvT1_.num_named_barrier, 0
	.set _ZN7rocprim17ROCPRIM_400000_NS6detail17trampoline_kernelINS0_14default_configENS1_27scan_by_key_config_selectorIxxEEZZNS1_16scan_by_key_implILNS1_25lookback_scan_determinismE0ELb1ES3_N6thrust23THRUST_200600_302600_NS6detail15normal_iteratorINS9_10device_ptrIxEEEESE_SE_xNS9_4plusIxEE19head_flag_predicatexEE10hipError_tPvRmT2_T3_T4_T5_mT6_T7_P12ihipStream_tbENKUlT_T0_E_clISt17integral_constantIbLb0EESX_IbLb1EEEEDaST_SU_EUlST_E_NS1_11comp_targetILNS1_3genE9ELNS1_11target_archE1100ELNS1_3gpuE3ELNS1_3repE0EEENS1_30default_config_static_selectorELNS0_4arch9wavefront6targetE0EEEvT1_.private_seg_size, 0
	.set _ZN7rocprim17ROCPRIM_400000_NS6detail17trampoline_kernelINS0_14default_configENS1_27scan_by_key_config_selectorIxxEEZZNS1_16scan_by_key_implILNS1_25lookback_scan_determinismE0ELb1ES3_N6thrust23THRUST_200600_302600_NS6detail15normal_iteratorINS9_10device_ptrIxEEEESE_SE_xNS9_4plusIxEE19head_flag_predicatexEE10hipError_tPvRmT2_T3_T4_T5_mT6_T7_P12ihipStream_tbENKUlT_T0_E_clISt17integral_constantIbLb0EESX_IbLb1EEEEDaST_SU_EUlST_E_NS1_11comp_targetILNS1_3genE9ELNS1_11target_archE1100ELNS1_3gpuE3ELNS1_3repE0EEENS1_30default_config_static_selectorELNS0_4arch9wavefront6targetE0EEEvT1_.uses_vcc, 0
	.set _ZN7rocprim17ROCPRIM_400000_NS6detail17trampoline_kernelINS0_14default_configENS1_27scan_by_key_config_selectorIxxEEZZNS1_16scan_by_key_implILNS1_25lookback_scan_determinismE0ELb1ES3_N6thrust23THRUST_200600_302600_NS6detail15normal_iteratorINS9_10device_ptrIxEEEESE_SE_xNS9_4plusIxEE19head_flag_predicatexEE10hipError_tPvRmT2_T3_T4_T5_mT6_T7_P12ihipStream_tbENKUlT_T0_E_clISt17integral_constantIbLb0EESX_IbLb1EEEEDaST_SU_EUlST_E_NS1_11comp_targetILNS1_3genE9ELNS1_11target_archE1100ELNS1_3gpuE3ELNS1_3repE0EEENS1_30default_config_static_selectorELNS0_4arch9wavefront6targetE0EEEvT1_.uses_flat_scratch, 0
	.set _ZN7rocprim17ROCPRIM_400000_NS6detail17trampoline_kernelINS0_14default_configENS1_27scan_by_key_config_selectorIxxEEZZNS1_16scan_by_key_implILNS1_25lookback_scan_determinismE0ELb1ES3_N6thrust23THRUST_200600_302600_NS6detail15normal_iteratorINS9_10device_ptrIxEEEESE_SE_xNS9_4plusIxEE19head_flag_predicatexEE10hipError_tPvRmT2_T3_T4_T5_mT6_T7_P12ihipStream_tbENKUlT_T0_E_clISt17integral_constantIbLb0EESX_IbLb1EEEEDaST_SU_EUlST_E_NS1_11comp_targetILNS1_3genE9ELNS1_11target_archE1100ELNS1_3gpuE3ELNS1_3repE0EEENS1_30default_config_static_selectorELNS0_4arch9wavefront6targetE0EEEvT1_.has_dyn_sized_stack, 0
	.set _ZN7rocprim17ROCPRIM_400000_NS6detail17trampoline_kernelINS0_14default_configENS1_27scan_by_key_config_selectorIxxEEZZNS1_16scan_by_key_implILNS1_25lookback_scan_determinismE0ELb1ES3_N6thrust23THRUST_200600_302600_NS6detail15normal_iteratorINS9_10device_ptrIxEEEESE_SE_xNS9_4plusIxEE19head_flag_predicatexEE10hipError_tPvRmT2_T3_T4_T5_mT6_T7_P12ihipStream_tbENKUlT_T0_E_clISt17integral_constantIbLb0EESX_IbLb1EEEEDaST_SU_EUlST_E_NS1_11comp_targetILNS1_3genE9ELNS1_11target_archE1100ELNS1_3gpuE3ELNS1_3repE0EEENS1_30default_config_static_selectorELNS0_4arch9wavefront6targetE0EEEvT1_.has_recursion, 0
	.set _ZN7rocprim17ROCPRIM_400000_NS6detail17trampoline_kernelINS0_14default_configENS1_27scan_by_key_config_selectorIxxEEZZNS1_16scan_by_key_implILNS1_25lookback_scan_determinismE0ELb1ES3_N6thrust23THRUST_200600_302600_NS6detail15normal_iteratorINS9_10device_ptrIxEEEESE_SE_xNS9_4plusIxEE19head_flag_predicatexEE10hipError_tPvRmT2_T3_T4_T5_mT6_T7_P12ihipStream_tbENKUlT_T0_E_clISt17integral_constantIbLb0EESX_IbLb1EEEEDaST_SU_EUlST_E_NS1_11comp_targetILNS1_3genE9ELNS1_11target_archE1100ELNS1_3gpuE3ELNS1_3repE0EEENS1_30default_config_static_selectorELNS0_4arch9wavefront6targetE0EEEvT1_.has_indirect_call, 0
	.section	.AMDGPU.csdata,"",@progbits
; Kernel info:
; codeLenInByte = 0
; TotalNumSgprs: 0
; NumVgprs: 0
; ScratchSize: 0
; MemoryBound: 0
; FloatMode: 240
; IeeeMode: 1
; LDSByteSize: 0 bytes/workgroup (compile time only)
; SGPRBlocks: 0
; VGPRBlocks: 0
; NumSGPRsForWavesPerEU: 1
; NumVGPRsForWavesPerEU: 1
; Occupancy: 16
; WaveLimiterHint : 0
; COMPUTE_PGM_RSRC2:SCRATCH_EN: 0
; COMPUTE_PGM_RSRC2:USER_SGPR: 6
; COMPUTE_PGM_RSRC2:TRAP_HANDLER: 0
; COMPUTE_PGM_RSRC2:TGID_X_EN: 1
; COMPUTE_PGM_RSRC2:TGID_Y_EN: 0
; COMPUTE_PGM_RSRC2:TGID_Z_EN: 0
; COMPUTE_PGM_RSRC2:TIDIG_COMP_CNT: 0
	.section	.text._ZN7rocprim17ROCPRIM_400000_NS6detail17trampoline_kernelINS0_14default_configENS1_27scan_by_key_config_selectorIxxEEZZNS1_16scan_by_key_implILNS1_25lookback_scan_determinismE0ELb1ES3_N6thrust23THRUST_200600_302600_NS6detail15normal_iteratorINS9_10device_ptrIxEEEESE_SE_xNS9_4plusIxEE19head_flag_predicatexEE10hipError_tPvRmT2_T3_T4_T5_mT6_T7_P12ihipStream_tbENKUlT_T0_E_clISt17integral_constantIbLb0EESX_IbLb1EEEEDaST_SU_EUlST_E_NS1_11comp_targetILNS1_3genE8ELNS1_11target_archE1030ELNS1_3gpuE2ELNS1_3repE0EEENS1_30default_config_static_selectorELNS0_4arch9wavefront6targetE0EEEvT1_,"axG",@progbits,_ZN7rocprim17ROCPRIM_400000_NS6detail17trampoline_kernelINS0_14default_configENS1_27scan_by_key_config_selectorIxxEEZZNS1_16scan_by_key_implILNS1_25lookback_scan_determinismE0ELb1ES3_N6thrust23THRUST_200600_302600_NS6detail15normal_iteratorINS9_10device_ptrIxEEEESE_SE_xNS9_4plusIxEE19head_flag_predicatexEE10hipError_tPvRmT2_T3_T4_T5_mT6_T7_P12ihipStream_tbENKUlT_T0_E_clISt17integral_constantIbLb0EESX_IbLb1EEEEDaST_SU_EUlST_E_NS1_11comp_targetILNS1_3genE8ELNS1_11target_archE1030ELNS1_3gpuE2ELNS1_3repE0EEENS1_30default_config_static_selectorELNS0_4arch9wavefront6targetE0EEEvT1_,comdat
	.protected	_ZN7rocprim17ROCPRIM_400000_NS6detail17trampoline_kernelINS0_14default_configENS1_27scan_by_key_config_selectorIxxEEZZNS1_16scan_by_key_implILNS1_25lookback_scan_determinismE0ELb1ES3_N6thrust23THRUST_200600_302600_NS6detail15normal_iteratorINS9_10device_ptrIxEEEESE_SE_xNS9_4plusIxEE19head_flag_predicatexEE10hipError_tPvRmT2_T3_T4_T5_mT6_T7_P12ihipStream_tbENKUlT_T0_E_clISt17integral_constantIbLb0EESX_IbLb1EEEEDaST_SU_EUlST_E_NS1_11comp_targetILNS1_3genE8ELNS1_11target_archE1030ELNS1_3gpuE2ELNS1_3repE0EEENS1_30default_config_static_selectorELNS0_4arch9wavefront6targetE0EEEvT1_ ; -- Begin function _ZN7rocprim17ROCPRIM_400000_NS6detail17trampoline_kernelINS0_14default_configENS1_27scan_by_key_config_selectorIxxEEZZNS1_16scan_by_key_implILNS1_25lookback_scan_determinismE0ELb1ES3_N6thrust23THRUST_200600_302600_NS6detail15normal_iteratorINS9_10device_ptrIxEEEESE_SE_xNS9_4plusIxEE19head_flag_predicatexEE10hipError_tPvRmT2_T3_T4_T5_mT6_T7_P12ihipStream_tbENKUlT_T0_E_clISt17integral_constantIbLb0EESX_IbLb1EEEEDaST_SU_EUlST_E_NS1_11comp_targetILNS1_3genE8ELNS1_11target_archE1030ELNS1_3gpuE2ELNS1_3repE0EEENS1_30default_config_static_selectorELNS0_4arch9wavefront6targetE0EEEvT1_
	.globl	_ZN7rocprim17ROCPRIM_400000_NS6detail17trampoline_kernelINS0_14default_configENS1_27scan_by_key_config_selectorIxxEEZZNS1_16scan_by_key_implILNS1_25lookback_scan_determinismE0ELb1ES3_N6thrust23THRUST_200600_302600_NS6detail15normal_iteratorINS9_10device_ptrIxEEEESE_SE_xNS9_4plusIxEE19head_flag_predicatexEE10hipError_tPvRmT2_T3_T4_T5_mT6_T7_P12ihipStream_tbENKUlT_T0_E_clISt17integral_constantIbLb0EESX_IbLb1EEEEDaST_SU_EUlST_E_NS1_11comp_targetILNS1_3genE8ELNS1_11target_archE1030ELNS1_3gpuE2ELNS1_3repE0EEENS1_30default_config_static_selectorELNS0_4arch9wavefront6targetE0EEEvT1_
	.p2align	8
	.type	_ZN7rocprim17ROCPRIM_400000_NS6detail17trampoline_kernelINS0_14default_configENS1_27scan_by_key_config_selectorIxxEEZZNS1_16scan_by_key_implILNS1_25lookback_scan_determinismE0ELb1ES3_N6thrust23THRUST_200600_302600_NS6detail15normal_iteratorINS9_10device_ptrIxEEEESE_SE_xNS9_4plusIxEE19head_flag_predicatexEE10hipError_tPvRmT2_T3_T4_T5_mT6_T7_P12ihipStream_tbENKUlT_T0_E_clISt17integral_constantIbLb0EESX_IbLb1EEEEDaST_SU_EUlST_E_NS1_11comp_targetILNS1_3genE8ELNS1_11target_archE1030ELNS1_3gpuE2ELNS1_3repE0EEENS1_30default_config_static_selectorELNS0_4arch9wavefront6targetE0EEEvT1_,@function
_ZN7rocprim17ROCPRIM_400000_NS6detail17trampoline_kernelINS0_14default_configENS1_27scan_by_key_config_selectorIxxEEZZNS1_16scan_by_key_implILNS1_25lookback_scan_determinismE0ELb1ES3_N6thrust23THRUST_200600_302600_NS6detail15normal_iteratorINS9_10device_ptrIxEEEESE_SE_xNS9_4plusIxEE19head_flag_predicatexEE10hipError_tPvRmT2_T3_T4_T5_mT6_T7_P12ihipStream_tbENKUlT_T0_E_clISt17integral_constantIbLb0EESX_IbLb1EEEEDaST_SU_EUlST_E_NS1_11comp_targetILNS1_3genE8ELNS1_11target_archE1030ELNS1_3gpuE2ELNS1_3repE0EEENS1_30default_config_static_selectorELNS0_4arch9wavefront6targetE0EEEvT1_: ; @_ZN7rocprim17ROCPRIM_400000_NS6detail17trampoline_kernelINS0_14default_configENS1_27scan_by_key_config_selectorIxxEEZZNS1_16scan_by_key_implILNS1_25lookback_scan_determinismE0ELb1ES3_N6thrust23THRUST_200600_302600_NS6detail15normal_iteratorINS9_10device_ptrIxEEEESE_SE_xNS9_4plusIxEE19head_flag_predicatexEE10hipError_tPvRmT2_T3_T4_T5_mT6_T7_P12ihipStream_tbENKUlT_T0_E_clISt17integral_constantIbLb0EESX_IbLb1EEEEDaST_SU_EUlST_E_NS1_11comp_targetILNS1_3genE8ELNS1_11target_archE1030ELNS1_3gpuE2ELNS1_3repE0EEENS1_30default_config_static_selectorELNS0_4arch9wavefront6targetE0EEEvT1_
; %bb.0:
	s_clause 0x3
	s_load_dwordx8 s[36:43], s[4:5], 0x0
	s_load_dwordx2 s[44:45], s[4:5], 0x20
	s_load_dwordx8 s[20:27], s[4:5], 0x30
	s_load_dwordx2 s[46:47], s[4:5], 0x50
	v_cmp_ne_u32_e64 s2, 0, v0
	v_cmp_eq_u32_e64 s0, 0, v0
	s_and_saveexec_b32 s1, s0
	s_cbranch_execz .LBB748_4
; %bb.1:
	s_mov_b32 s6, exec_lo
	s_mov_b32 s3, exec_lo
	v_mbcnt_lo_u32_b32 v1, s6, 0
                                        ; implicit-def: $vgpr2
	v_cmpx_eq_u32_e32 0, v1
	s_cbranch_execz .LBB748_3
; %bb.2:
	s_load_dwordx2 s[8:9], s[4:5], 0x80
	s_bcnt1_i32_b32 s6, s6
	v_mov_b32_e32 v2, 0
	v_mov_b32_e32 v3, s6
	s_waitcnt lgkmcnt(0)
	global_atomic_add v2, v2, v3, s[8:9] glc
.LBB748_3:
	s_or_b32 exec_lo, exec_lo, s3
	s_waitcnt vmcnt(0)
	v_readfirstlane_b32 s3, v2
	v_mov_b32_e32 v2, 0
	v_add_nc_u32_e32 v1, s3, v1
	ds_write_b32 v2, v1
.LBB748_4:
	s_or_b32 exec_lo, exec_lo, s1
	v_mov_b32_e32 v2, 0
	s_clause 0x1
	s_load_dword s1, s[4:5], 0x58
	s_load_dwordx4 s[28:31], s[4:5], 0x60
	s_waitcnt lgkmcnt(0)
	s_barrier
	buffer_gl0_inv
	ds_read_b32 v5, v2
	s_lshl_b64 s[34:35], s[38:39], 3
	s_waitcnt lgkmcnt(0)
	s_add_u32 s6, s36, s34
	s_addc_u32 s7, s37, s35
	s_add_u32 s8, s40, s34
	s_addc_u32 s9, s41, s35
	s_barrier
	buffer_gl0_inv
	s_barrier
	buffer_gl0_inv
	s_mul_i32 s3, s47, s1
	s_mul_hi_u32 s4, s46, s1
	s_mul_i32 s1, s46, s1
	s_add_i32 s4, s4, s3
	v_mul_lo_u32 v1, 0xd00, v5
	v_add_co_u32 v3, s1, s1, v5
	v_add_co_ci_u32_e64 v4, null, s4, 0, s1
	s_add_u32 s4, s28, -1
	s_addc_u32 s5, s29, -1
	v_readfirstlane_b32 s27, v5
	v_lshlrev_b64 v[49:50], 3, v[1:2]
	v_cmp_le_u64_e64 s1, s[4:5], v[3:4]
	s_mul_i32 s19, s4, 0xfffff300
	v_add_co_u32 v47, vcc_lo, s6, v49
	v_add_co_ci_u32_e64 v48, null, s7, v50, vcc_lo
	v_add_co_u32 v88, vcc_lo, s8, v49
	v_add_co_ci_u32_e64 v89, null, s9, v50, vcc_lo
	s_and_b32 vcc_lo, exec_lo, s1
	s_cbranch_vccz .LBB748_45
; %bb.5:
	flat_load_dwordx2 v[1:2], v[47:48]
	s_add_i32 s28, s19, s26
	v_cmp_gt_u32_e32 vcc_lo, s28, v0
	s_waitcnt vmcnt(0) lgkmcnt(0)
	v_mov_b32_e32 v4, v2
	v_mov_b32_e32 v3, v1
	s_and_saveexec_b32 s4, vcc_lo
	s_cbranch_execz .LBB748_7
; %bb.6:
	v_lshlrev_b32_e32 v3, 3, v0
	v_add_co_u32 v3, s3, v47, v3
	v_add_co_ci_u32_e64 v4, null, 0, v48, s3
	flat_load_dwordx2 v[3:4], v[3:4]
.LBB748_7:
	s_or_b32 exec_lo, exec_lo, s4
	v_or_b32_e32 v5, 0x100, v0
	v_cmp_gt_u32_e64 s3, s28, v5
	v_lshlrev_b32_e32 v27, 3, v5
	v_mov_b32_e32 v6, v2
	v_mov_b32_e32 v5, v1
	s_and_saveexec_b32 s5, s3
	s_cbranch_execz .LBB748_9
; %bb.8:
	v_add_co_u32 v5, s4, v47, v27
	v_add_co_ci_u32_e64 v6, null, 0, v48, s4
	flat_load_dwordx2 v[5:6], v[5:6]
.LBB748_9:
	s_or_b32 exec_lo, exec_lo, s5
	v_or_b32_e32 v7, 0x200, v0
	v_cmp_gt_u32_e64 s4, s28, v7
	v_lshlrev_b32_e32 v29, 3, v7
	v_mov_b32_e32 v8, v2
	v_mov_b32_e32 v7, v1
	s_and_saveexec_b32 s6, s4
	s_cbranch_execz .LBB748_11
; %bb.10:
	v_add_co_u32 v7, s5, v47, v29
	v_add_co_ci_u32_e64 v8, null, 0, v48, s5
	flat_load_dwordx2 v[7:8], v[7:8]
.LBB748_11:
	;; [unrolled: 13-line block ×11, first 2 shown]
	s_or_b32 exec_lo, exec_lo, s15
	v_or_b32_e32 v28, 0xc00, v0
	v_cmp_gt_u32_e64 s14, s28, v28
	v_lshlrev_b32_e32 v53, 3, v28
	s_and_saveexec_b32 s16, s14
	s_cbranch_execz .LBB748_31
; %bb.30:
	v_add_co_u32 v1, s15, v47, v53
	v_add_co_ci_u32_e64 v2, null, 0, v48, s15
	flat_load_dwordx2 v[1:2], v[1:2]
.LBB748_31:
	s_or_b32 exec_lo, exec_lo, s16
	v_lshlrev_b32_e32 v54, 3, v0
	s_mov_b32 s16, exec_lo
	s_waitcnt vmcnt(0) lgkmcnt(0)
	ds_write2st64_b64 v54, v[3:4], v[5:6] offset1:4
	ds_write2st64_b64 v54, v[7:8], v[9:10] offset0:8 offset1:12
	ds_write2st64_b64 v54, v[11:12], v[13:14] offset0:16 offset1:20
	;; [unrolled: 1-line block ×5, first 2 shown]
	ds_write_b64 v54, v[1:2] offset:24576
	s_waitcnt lgkmcnt(0)
	s_barrier
	buffer_gl0_inv
	flat_load_dwordx2 v[75:76], v[47:48]
	v_mad_u32_u24 v102, 0x60, v0, v54
	ds_read2_b64 v[21:24], v102 offset1:1
	ds_read2_b64 v[17:20], v102 offset0:2 offset1:3
	ds_read2_b64 v[13:16], v102 offset0:4 offset1:5
	;; [unrolled: 1-line block ×5, first 2 shown]
	ds_read_b64 v[77:78], v102 offset:96
	v_mad_i32_i24 v25, 0xffffffa0, v0, v102
	s_waitcnt lgkmcnt(6)
	ds_write_b64 v25, v[21:22] offset:28672
	s_waitcnt vmcnt(0) lgkmcnt(0)
	s_barrier
	buffer_gl0_inv
	v_cmpx_ne_u32_e32 0xff, v0
; %bb.32:
	v_mul_i32_i24_e32 v21, 0xffffffa0, v0
	v_add_nc_u32_e32 v21, v102, v21
	ds_read_b64 v[75:76], v21 offset:28680
; %bb.33:
	s_or_b32 exec_lo, exec_lo, s16
	s_waitcnt lgkmcnt(0)
	s_barrier
	buffer_gl0_inv
                                        ; implicit-def: $vgpr21_vgpr22
	s_and_saveexec_b32 s15, vcc_lo
	s_cbranch_execz .LBB748_46
; %bb.34:
	v_add_co_u32 v21, vcc_lo, v88, v54
	v_add_co_ci_u32_e64 v22, null, 0, v89, vcc_lo
	flat_load_dwordx2 v[21:22], v[21:22]
	s_or_b32 exec_lo, exec_lo, s15
                                        ; implicit-def: $vgpr25_vgpr26
	s_and_saveexec_b32 s15, s3
	s_cbranch_execnz .LBB748_47
.LBB748_35:
	s_or_b32 exec_lo, exec_lo, s15
                                        ; implicit-def: $vgpr27_vgpr28
	s_and_saveexec_b32 s3, s4
	s_cbranch_execz .LBB748_48
.LBB748_36:
	v_add_co_u32 v27, vcc_lo, v88, v29
	v_add_co_ci_u32_e64 v28, null, 0, v89, vcc_lo
	flat_load_dwordx2 v[27:28], v[27:28]
	s_or_b32 exec_lo, exec_lo, s3
                                        ; implicit-def: $vgpr29_vgpr30
	s_and_saveexec_b32 s3, s5
	s_cbranch_execnz .LBB748_49
.LBB748_37:
	s_or_b32 exec_lo, exec_lo, s3
                                        ; implicit-def: $vgpr31_vgpr32
	s_and_saveexec_b32 s3, s6
	s_cbranch_execz .LBB748_50
.LBB748_38:
	v_add_co_u32 v31, vcc_lo, v88, v33
	v_add_co_ci_u32_e64 v32, null, 0, v89, vcc_lo
	flat_load_dwordx2 v[31:32], v[31:32]
	s_or_b32 exec_lo, exec_lo, s3
                                        ; implicit-def: $vgpr33_vgpr34
	s_and_saveexec_b32 s3, s7
	s_cbranch_execnz .LBB748_51
.LBB748_39:
	s_or_b32 exec_lo, exec_lo, s3
                                        ; implicit-def: $vgpr35_vgpr36
	s_and_saveexec_b32 s3, s8
	s_cbranch_execz .LBB748_52
.LBB748_40:
	v_add_co_u32 v35, vcc_lo, v88, v37
	v_add_co_ci_u32_e64 v36, null, 0, v89, vcc_lo
	flat_load_dwordx2 v[35:36], v[35:36]
	s_or_b32 exec_lo, exec_lo, s3
                                        ; implicit-def: $vgpr37_vgpr38
	s_and_saveexec_b32 s3, s9
	s_cbranch_execnz .LBB748_53
.LBB748_41:
	s_or_b32 exec_lo, exec_lo, s3
                                        ; implicit-def: $vgpr39_vgpr40
	s_and_saveexec_b32 s3, s10
	s_cbranch_execz .LBB748_54
.LBB748_42:
	v_add_co_u32 v39, vcc_lo, v88, v41
	v_add_co_ci_u32_e64 v40, null, 0, v89, vcc_lo
	flat_load_dwordx2 v[39:40], v[39:40]
	s_or_b32 exec_lo, exec_lo, s3
                                        ; implicit-def: $vgpr41_vgpr42
	s_and_saveexec_b32 s3, s11
	s_cbranch_execnz .LBB748_55
.LBB748_43:
	s_or_b32 exec_lo, exec_lo, s3
                                        ; implicit-def: $vgpr43_vgpr44
	s_and_saveexec_b32 s3, s12
	s_cbranch_execz .LBB748_56
.LBB748_44:
	v_add_co_u32 v43, vcc_lo, v88, v45
	v_add_co_ci_u32_e64 v44, null, 0, v89, vcc_lo
	flat_load_dwordx2 v[43:44], v[43:44]
	s_or_b32 exec_lo, exec_lo, s3
                                        ; implicit-def: $vgpr45_vgpr46
	s_and_saveexec_b32 s3, s13
	s_cbranch_execz .LBB748_58
	s_branch .LBB748_57
.LBB748_45:
	s_mov_b32 s3, 0
                                        ; implicit-def: $sgpr16
                                        ; implicit-def: $vgpr51_vgpr52
                                        ; implicit-def: $vgpr93
                                        ; implicit-def: $vgpr53_vgpr54
                                        ; implicit-def: $vgpr94
                                        ; implicit-def: $vgpr69_vgpr70
                                        ; implicit-def: $vgpr95
                                        ; implicit-def: $vgpr73_vgpr74
                                        ; implicit-def: $vgpr96
                                        ; implicit-def: $vgpr67_vgpr68
                                        ; implicit-def: $vgpr97
                                        ; implicit-def: $vgpr71_vgpr72
                                        ; implicit-def: $vgpr98
                                        ; implicit-def: $vgpr63_vgpr64
                                        ; implicit-def: $vgpr99
                                        ; implicit-def: $vgpr65_vgpr66
                                        ; implicit-def: $vgpr100
                                        ; implicit-def: $vgpr61_vgpr62
                                        ; implicit-def: $vgpr101
                                        ; implicit-def: $vgpr59_vgpr60
                                        ; implicit-def: $vgpr103
                                        ; implicit-def: $vgpr57_vgpr58
                                        ; implicit-def: $vgpr104
                                        ; implicit-def: $vgpr55_vgpr56
                                        ; implicit-def: $vgpr106
                                        ; implicit-def: $vgpr35_vgpr36
                                        ; implicit-def: $vgpr79
                                        ; implicit-def: $vgpr21_vgpr22
                                        ; implicit-def: $vgpr80
                                        ; implicit-def: $vgpr25_vgpr26
                                        ; implicit-def: $vgpr81
                                        ; implicit-def: $vgpr27_vgpr28
                                        ; implicit-def: $vgpr82
                                        ; implicit-def: $vgpr29_vgpr30
                                        ; implicit-def: $vgpr83
                                        ; implicit-def: $vgpr31_vgpr32
                                        ; implicit-def: $vgpr84
                                        ; implicit-def: $vgpr33_vgpr34
                                        ; implicit-def: $vgpr86
                                        ; implicit-def: $vgpr37_vgpr38
                                        ; implicit-def: $vgpr87
                                        ; implicit-def: $vgpr39_vgpr40
                                        ; implicit-def: $vgpr90
                                        ; implicit-def: $vgpr41_vgpr42
                                        ; implicit-def: $vgpr91
                                        ; implicit-def: $vgpr43_vgpr44
                                        ; implicit-def: $vgpr92
                                        ; implicit-def: $vgpr45_vgpr46
                                        ; implicit-def: $vgpr85
	v_lshlrev_b32_e32 v75, 3, v0
	s_cbranch_execz .LBB748_92
	s_branch .LBB748_87
.LBB748_46:
	s_or_b32 exec_lo, exec_lo, s15
                                        ; implicit-def: $vgpr25_vgpr26
	s_and_saveexec_b32 s15, s3
	s_cbranch_execz .LBB748_35
.LBB748_47:
	v_add_co_u32 v25, vcc_lo, v88, v27
	v_add_co_ci_u32_e64 v26, null, 0, v89, vcc_lo
	flat_load_dwordx2 v[25:26], v[25:26]
	s_or_b32 exec_lo, exec_lo, s15
                                        ; implicit-def: $vgpr27_vgpr28
	s_and_saveexec_b32 s3, s4
	s_cbranch_execnz .LBB748_36
.LBB748_48:
	s_or_b32 exec_lo, exec_lo, s3
                                        ; implicit-def: $vgpr29_vgpr30
	s_and_saveexec_b32 s3, s5
	s_cbranch_execz .LBB748_37
.LBB748_49:
	v_add_co_u32 v29, vcc_lo, v88, v31
	v_add_co_ci_u32_e64 v30, null, 0, v89, vcc_lo
	flat_load_dwordx2 v[29:30], v[29:30]
	s_or_b32 exec_lo, exec_lo, s3
                                        ; implicit-def: $vgpr31_vgpr32
	s_and_saveexec_b32 s3, s6
	s_cbranch_execnz .LBB748_38
.LBB748_50:
	s_or_b32 exec_lo, exec_lo, s3
                                        ; implicit-def: $vgpr33_vgpr34
	s_and_saveexec_b32 s3, s7
	s_cbranch_execz .LBB748_39
.LBB748_51:
	v_add_co_u32 v33, vcc_lo, v88, v35
	v_add_co_ci_u32_e64 v34, null, 0, v89, vcc_lo
	flat_load_dwordx2 v[33:34], v[33:34]
	s_or_b32 exec_lo, exec_lo, s3
                                        ; implicit-def: $vgpr35_vgpr36
	s_and_saveexec_b32 s3, s8
	s_cbranch_execnz .LBB748_40
.LBB748_52:
	s_or_b32 exec_lo, exec_lo, s3
                                        ; implicit-def: $vgpr37_vgpr38
	s_and_saveexec_b32 s3, s9
	s_cbranch_execz .LBB748_41
.LBB748_53:
	v_add_co_u32 v37, vcc_lo, v88, v39
	v_add_co_ci_u32_e64 v38, null, 0, v89, vcc_lo
	flat_load_dwordx2 v[37:38], v[37:38]
	s_or_b32 exec_lo, exec_lo, s3
                                        ; implicit-def: $vgpr39_vgpr40
	s_and_saveexec_b32 s3, s10
	s_cbranch_execnz .LBB748_42
.LBB748_54:
	s_or_b32 exec_lo, exec_lo, s3
                                        ; implicit-def: $vgpr41_vgpr42
	s_and_saveexec_b32 s3, s11
	s_cbranch_execz .LBB748_43
.LBB748_55:
	v_add_co_u32 v41, vcc_lo, v88, v43
	v_add_co_ci_u32_e64 v42, null, 0, v89, vcc_lo
	flat_load_dwordx2 v[41:42], v[41:42]
	s_or_b32 exec_lo, exec_lo, s3
                                        ; implicit-def: $vgpr43_vgpr44
	s_and_saveexec_b32 s3, s12
	s_cbranch_execnz .LBB748_44
.LBB748_56:
	s_or_b32 exec_lo, exec_lo, s3
                                        ; implicit-def: $vgpr45_vgpr46
	s_and_saveexec_b32 s3, s13
	s_cbranch_execz .LBB748_58
.LBB748_57:
	v_add_co_u32 v45, vcc_lo, v88, v51
	v_add_co_ci_u32_e64 v46, null, 0, v89, vcc_lo
	flat_load_dwordx2 v[45:46], v[45:46]
.LBB748_58:
	s_or_b32 exec_lo, exec_lo, s3
	v_mul_u32_u24_e32 v105, 13, v0
                                        ; implicit-def: $vgpr51_vgpr52
	s_and_saveexec_b32 s3, s14
	s_cbranch_execz .LBB748_60
; %bb.59:
	v_add_co_u32 v51, vcc_lo, v88, v53
	v_add_co_ci_u32_e64 v52, null, 0, v89, vcc_lo
	flat_load_dwordx2 v[51:52], v[51:52]
.LBB748_60:
	s_or_b32 exec_lo, exec_lo, s3
	s_waitcnt vmcnt(0) lgkmcnt(0)
	ds_write2st64_b64 v54, v[21:22], v[25:26] offset1:4
	ds_write2st64_b64 v54, v[27:28], v[29:30] offset0:8 offset1:12
	ds_write2st64_b64 v54, v[31:32], v[33:34] offset0:16 offset1:20
	;; [unrolled: 1-line block ×5, first 2 shown]
	ds_write_b64 v54, v[51:52] offset:24576
	v_mov_b32_e32 v51, 0
	v_mov_b32_e32 v53, 0
	;; [unrolled: 1-line block ×24, first 2 shown]
	v_cmp_gt_u32_e32 vcc_lo, s28, v105
	v_mov_b32_e32 v93, 0
	v_mov_b32_e32 v52, 0
	;; [unrolled: 1-line block ×48, first 2 shown]
	s_mov_b32 s15, 0
	s_mov_b32 s3, 0
	s_waitcnt lgkmcnt(0)
	s_barrier
	buffer_gl0_inv
                                        ; implicit-def: $sgpr16
	s_and_saveexec_b32 s17, vcc_lo
	s_cbranch_execz .LBB748_86
; %bb.61:
	ds_read_b64 v[21:22], v102
	v_cmp_ne_u64_e32 vcc_lo, 0, v[23:24]
	v_add_nc_u32_e32 v23, 1, v105
	v_mov_b32_e32 v53, 0
	v_mov_b32_e32 v69, 0
	;; [unrolled: 1-line block ×17, first 2 shown]
	s_waitcnt lgkmcnt(0)
	v_cndmask_b32_e64 v52, v22, s45, vcc_lo
	v_cndmask_b32_e64 v51, v21, s44, vcc_lo
	v_mov_b32_e32 v21, 0
	v_mov_b32_e32 v37, 0
	;; [unrolled: 1-line block ×21, first 2 shown]
	v_cmp_gt_u32_e64 s3, s28, v23
	v_mov_b32_e32 v62, 0
	v_mov_b32_e32 v101, 0
	;; [unrolled: 1-line block ×30, first 2 shown]
	s_mov_b32 s4, 0
                                        ; implicit-def: $sgpr16
	s_and_saveexec_b32 s18, s3
	s_cbranch_execz .LBB748_85
; %bb.62:
	ds_read2_b64 v[21:24], v102 offset0:1 offset1:2
	v_cmp_ne_u64_e64 s3, 0, v[17:18]
	v_add_nc_u32_e32 v17, 2, v105
	v_mov_b32_e32 v53, 0
	v_mov_b32_e32 v69, 0
	;; [unrolled: 1-line block ×17, first 2 shown]
	s_waitcnt lgkmcnt(0)
	v_cndmask_b32_e64 v56, v22, s45, s3
	v_cndmask_b32_e64 v55, v21, s44, s3
	v_mov_b32_e32 v21, 0
	v_mov_b32_e32 v39, 0
	v_mov_b32_e32 v41, 0
	v_mov_b32_e32 v43, 0
	v_mov_b32_e32 v54, 0
	v_mov_b32_e32 v93, 0
	v_mov_b32_e32 v94, 0
	v_mov_b32_e32 v70, 0
	v_mov_b32_e32 v95, 0
	v_mov_b32_e32 v74, 0
	v_mov_b32_e32 v96, 0
	v_mov_b32_e32 v68, 0
	v_mov_b32_e32 v97, 0
	v_mov_b32_e32 v72, 0
	v_mov_b32_e32 v98, 0
	v_mov_b32_e32 v64, 0
	v_mov_b32_e32 v99, 0
	v_mov_b32_e32 v66, 0
	v_mov_b32_e32 v100, 0
	v_cmp_gt_u32_e64 s4, s28, v17
	v_mov_b32_e32 v62, 0
	v_mov_b32_e32 v101, 0
	;; [unrolled: 1-line block ×26, first 2 shown]
	s_mov_b32 s5, 0
                                        ; implicit-def: $sgpr16
	s_and_saveexec_b32 s29, s4
	s_cbranch_execz .LBB748_84
; %bb.63:
	v_cmp_ne_u64_e64 s4, 0, v[19:20]
	v_add_nc_u32_e32 v17, 3, v105
	v_mov_b32_e32 v53, 0
	v_mov_b32_e32 v69, 0
	;; [unrolled: 1-line block ×20, first 2 shown]
	v_cndmask_b32_e64 v58, v24, s45, s4
	v_mov_b32_e32 v93, 0
	v_cmp_gt_u32_e64 s5, s28, v17
	v_cndmask_b32_e64 v57, v23, s44, s4
	v_mov_b32_e32 v94, 0
	v_mov_b32_e32 v70, 0
	v_mov_b32_e32 v95, 0
	v_mov_b32_e32 v74, 0
	v_mov_b32_e32 v96, 0
	v_mov_b32_e32 v68, 0
	v_mov_b32_e32 v97, 0
	v_mov_b32_e32 v72, 0
	v_mov_b32_e32 v98, 0
	v_mov_b32_e32 v64, 0
	v_mov_b32_e32 v99, 0
	v_mov_b32_e32 v66, 0
	v_mov_b32_e32 v100, 0
	v_mov_b32_e32 v62, 0
	v_mov_b32_e32 v101, 0
	v_mov_b32_e32 v60, 0
	v_mov_b32_e32 v36, 0
	v_mov_b32_e32 v79, 0
	v_mov_b32_e32 v22, 0
	v_mov_b32_e32 v80, 0
	v_mov_b32_e32 v26, 0
	v_mov_b32_e32 v81, 0
	v_mov_b32_e32 v28, 0
	v_mov_b32_e32 v82, 0
	v_mov_b32_e32 v30, 0
	v_mov_b32_e32 v83, 0
	v_mov_b32_e32 v32, 0
	v_mov_b32_e32 v84, 0
	v_mov_b32_e32 v34, 0
	v_mov_b32_e32 v86, 0
	v_mov_b32_e32 v38, 0
	v_mov_b32_e32 v87, 0
	v_mov_b32_e32 v40, 0
	v_mov_b32_e32 v42, 0
	v_mov_b32_e32 v90, 0
	s_mov_b32 s6, 0
                                        ; implicit-def: $sgpr16
	s_and_saveexec_b32 s33, s5
	s_cbranch_execz .LBB748_83
; %bb.64:
	ds_read2_b64 v[17:20], v102 offset0:3 offset1:4
	v_cmp_ne_u64_e64 s5, 0, v[13:14]
	v_add_nc_u32_e32 v13, 4, v105
	v_mov_b32_e32 v53, 0
	v_mov_b32_e32 v69, 0
	;; [unrolled: 1-line block ×32, first 2 shown]
	v_cmp_gt_u32_e64 s6, s28, v13
	s_waitcnt lgkmcnt(0)
	v_cndmask_b32_e64 v60, v18, s45, s5
	v_cndmask_b32_e64 v59, v17, s44, s5
	v_mov_b32_e32 v62, 0
	v_mov_b32_e32 v36, 0
	;; [unrolled: 1-line block ×18, first 2 shown]
	s_mov_b32 s7, 0
                                        ; implicit-def: $sgpr16
	s_and_saveexec_b32 s36, s6
	s_cbranch_execz .LBB748_82
; %bb.65:
	v_cmp_ne_u64_e64 s6, 0, v[15:16]
	v_add_nc_u32_e32 v13, 5, v105
	v_mov_b32_e32 v53, 0
	v_mov_b32_e32 v69, 0
	;; [unrolled: 1-line block ×16, first 2 shown]
	v_cndmask_b32_e64 v62, v20, s45, s6
	v_mov_b32_e32 v93, 0
	v_cmp_gt_u32_e64 s7, s28, v13
	v_cndmask_b32_e64 v61, v19, s44, s6
	v_mov_b32_e32 v94, 0
	v_mov_b32_e32 v70, 0
	;; [unrolled: 1-line block ×27, first 2 shown]
	s_mov_b32 s8, 0
                                        ; implicit-def: $sgpr16
	s_and_saveexec_b32 s37, s7
	s_cbranch_execz .LBB748_81
; %bb.66:
	ds_read2_b64 v[13:16], v102 offset0:5 offset1:6
	v_cmp_ne_u64_e64 s7, 0, v[9:10]
	v_mov_b32_e32 v53, 0
	v_mov_b32_e32 v69, 0
	v_mov_b32_e32 v73, 0
	v_mov_b32_e32 v67, 0
	v_mov_b32_e32 v71, 0
	v_mov_b32_e32 v63, 0
	v_mov_b32_e32 v35, 0
	v_mov_b32_e32 v21, 0
	v_mov_b32_e32 v25, 0
	v_mov_b32_e32 v27, 0
	v_mov_b32_e32 v29, 0
	v_mov_b32_e32 v31, 0
	v_mov_b32_e32 v33, 0
	v_mov_b32_e32 v54, 0
	v_add_nc_u32_e32 v9, 6, v105
	v_mov_b32_e32 v93, 0
	v_mov_b32_e32 v94, 0
	v_mov_b32_e32 v70, 0
	v_mov_b32_e32 v95, 0
	v_mov_b32_e32 v74, 0
	v_mov_b32_e32 v96, 0
	v_mov_b32_e32 v68, 0
	v_mov_b32_e32 v97, 0
	v_mov_b32_e32 v72, 0
	v_mov_b32_e32 v98, 0
	v_mov_b32_e32 v64, 0
	v_mov_b32_e32 v36, 0
	v_mov_b32_e32 v79, 0
	v_mov_b32_e32 v22, 0
	s_waitcnt lgkmcnt(0)
	v_cndmask_b32_e64 v66, v14, s45, s7
	v_cndmask_b32_e64 v65, v13, s44, s7
	v_mov_b32_e32 v80, 0
	v_mov_b32_e32 v26, 0
	;; [unrolled: 1-line block ×10, first 2 shown]
	s_mov_b32 s9, 0
	s_mov_b32 s38, exec_lo
                                        ; implicit-def: $sgpr16
	v_cmpx_gt_u32_e64 s28, v9
	s_cbranch_execz .LBB748_80
; %bb.67:
	v_cmp_ne_u64_e64 s8, 0, v[11:12]
	v_add_nc_u32_e32 v9, 7, v105
	v_mov_b32_e32 v53, 0
	v_mov_b32_e32 v69, 0
	;; [unrolled: 1-line block ×12, first 2 shown]
	v_cndmask_b32_e64 v64, v16, s45, s8
	v_mov_b32_e32 v93, 0
	v_cmp_gt_u32_e64 s9, s28, v9
	v_cndmask_b32_e64 v63, v15, s44, s8
	v_mov_b32_e32 v94, 0
	v_mov_b32_e32 v70, 0
	;; [unrolled: 1-line block ×19, first 2 shown]
	s_mov_b32 s10, 0
                                        ; implicit-def: $sgpr16
	s_and_saveexec_b32 s39, s9
	s_cbranch_execz .LBB748_79
; %bb.68:
	ds_read2_b64 v[9:12], v102 offset0:7 offset1:8
	v_cmp_ne_u64_e64 s9, 0, v[5:6]
	v_mov_b32_e32 v53, 0
	v_mov_b32_e32 v69, 0
	;; [unrolled: 1-line block ×10, first 2 shown]
	v_add_nc_u32_e32 v5, 8, v105
	v_mov_b32_e32 v93, 0
	v_mov_b32_e32 v94, 0
	;; [unrolled: 1-line block ×14, first 2 shown]
	s_waitcnt lgkmcnt(0)
	v_cndmask_b32_e64 v72, v10, s45, s9
	v_cndmask_b32_e64 v71, v9, s44, s9
	v_mov_b32_e32 v30, 0
	v_mov_b32_e32 v82, 0
	s_mov_b32 s11, 0
	s_mov_b32 s40, exec_lo
                                        ; implicit-def: $sgpr16
	v_cmpx_gt_u32_e64 s28, v5
	s_cbranch_execz .LBB748_78
; %bb.69:
	v_cmp_ne_u64_e64 s10, 0, v[7:8]
	v_mov_b32_e32 v53, 0
	v_mov_b32_e32 v69, 0
	;; [unrolled: 1-line block ×7, first 2 shown]
	v_add_nc_u32_e32 v5, 9, v105
	v_mov_b32_e32 v54, 0
	v_cndmask_b32_e64 v68, v12, s45, s10
	v_mov_b32_e32 v93, 0
	v_cndmask_b32_e64 v67, v11, s44, s10
	v_mov_b32_e32 v94, 0
	v_mov_b32_e32 v70, 0
	;; [unrolled: 1-line block ×11, first 2 shown]
	s_mov_b32 s12, 0
	s_mov_b32 s41, exec_lo
                                        ; implicit-def: $sgpr16
	v_cmpx_gt_u32_e64 s28, v5
	s_cbranch_execz .LBB748_77
; %bb.70:
	ds_read2_b64 v[5:8], v102 offset0:9 offset1:10
	v_cmp_ne_u64_e64 s11, 0, v[1:2]
	v_mov_b32_e32 v53, 0
	v_mov_b32_e32 v69, 0
	;; [unrolled: 1-line block ×5, first 2 shown]
	v_add_nc_u32_e32 v1, 10, v105
	v_mov_b32_e32 v93, 0
	v_mov_b32_e32 v94, 0
	v_mov_b32_e32 v70, 0
	v_mov_b32_e32 v36, 0
	v_mov_b32_e32 v26, 0
	v_mov_b32_e32 v80, 0
	s_mov_b32 s13, 0
	s_mov_b32 s48, exec_lo
                                        ; implicit-def: $sgpr16
	s_waitcnt lgkmcnt(0)
	v_cndmask_b32_e64 v74, v6, s45, s11
	v_cndmask_b32_e64 v73, v5, s44, s11
	v_cmpx_gt_u32_e64 s28, v1
	s_cbranch_execz .LBB748_76
; %bb.71:
	v_cmp_ne_u64_e64 s12, 0, v[3:4]
	v_mov_b32_e32 v53, 0
	v_mov_b32_e32 v35, 0
	v_add_nc_u32_e32 v1, 11, v105
	v_mov_b32_e32 v54, 0
	v_mov_b32_e32 v36, 0
	v_cndmask_b32_e64 v70, v8, s45, s12
	v_cndmask_b32_e64 v69, v7, s44, s12
	v_mov_b32_e32 v93, 0
	s_mov_b32 s14, 0
	s_mov_b32 s49, exec_lo
                                        ; implicit-def: $sgpr16
	v_cmpx_gt_u32_e64 s28, v1
	s_cbranch_execz .LBB748_75
; %bb.72:
	ds_read2_b64 v[1:4], v102 offset0:11 offset1:12
	v_cmp_ne_u64_e64 s13, 0, v[77:78]
	v_add_nc_u32_e32 v5, 12, v105
	v_mov_b32_e32 v35, 0
	v_mov_b32_e32 v36, 0
                                        ; implicit-def: $sgpr16
	v_cmp_gt_u32_e64 s14, s28, v5
	s_mov_b32 s28, 0
	s_waitcnt lgkmcnt(0)
	v_cndmask_b32_e64 v54, v2, s45, s13
	v_cndmask_b32_e64 v53, v1, s44, s13
	s_and_saveexec_b32 s50, s14
	s_xor_b32 s14, exec_lo, s50
; %bb.73:
	v_cmp_ne_u64_e64 s16, 0, v[75:76]
	s_mov_b32 s28, exec_lo
	v_cndmask_b32_e64 v36, v4, s45, s16
	v_cndmask_b32_e64 v35, v3, s44, s16
; %bb.74:
	s_or_b32 exec_lo, exec_lo, s14
	v_cndmask_b32_e64 v93, 0, 1, s13
	s_and_b32 s14, s28, exec_lo
.LBB748_75:
	s_or_b32 exec_lo, exec_lo, s49
	v_cndmask_b32_e64 v94, 0, 1, s12
	v_mov_b32_e32 v25, v69
	v_mov_b32_e32 v26, v70
	s_and_b32 s13, s14, exec_lo
	v_mov_b32_e32 v80, v94
.LBB748_76:
	s_or_b32 exec_lo, exec_lo, s48
	v_cndmask_b32_e64 v95, 0, 1, s11
	v_mov_b32_e32 v21, v53
	v_mov_b32_e32 v27, v73
	;; [unrolled: 1-line block ×6, first 2 shown]
	s_and_b32 s12, s13, exec_lo
.LBB748_77:
	s_or_b32 exec_lo, exec_lo, s41
	v_cndmask_b32_e64 v96, 0, 1, s10
	v_mov_b32_e32 v29, v67
	v_mov_b32_e32 v30, v68
	s_and_b32 s11, s12, exec_lo
	v_mov_b32_e32 v82, v96
.LBB748_78:
	s_or_b32 exec_lo, exec_lo, s40
	v_cndmask_b32_e64 v97, 0, 1, s9
	v_mov_b32_e32 v31, v71
	v_mov_b32_e32 v32, v72
	s_and_b32 s10, s11, exec_lo
	v_mov_b32_e32 v83, v97
.LBB748_79:
	s_or_b32 exec_lo, exec_lo, s39
	v_cndmask_b32_e64 v98, 0, 1, s8
	v_mov_b32_e32 v33, v63
	v_mov_b32_e32 v34, v64
	s_and_b32 s9, s10, exec_lo
	v_mov_b32_e32 v84, v98
.LBB748_80:
	s_or_b32 exec_lo, exec_lo, s38
	v_cndmask_b32_e64 v99, 0, 1, s7
	v_mov_b32_e32 v37, v65
	v_mov_b32_e32 v38, v66
	s_and_b32 s8, s9, exec_lo
	v_mov_b32_e32 v86, v99
.LBB748_81:
	s_or_b32 exec_lo, exec_lo, s37
	v_cndmask_b32_e64 v100, 0, 1, s6
	v_mov_b32_e32 v39, v61
	v_mov_b32_e32 v40, v62
	s_and_b32 s7, s8, exec_lo
	v_mov_b32_e32 v87, v100
.LBB748_82:
	s_or_b32 exec_lo, exec_lo, s36
	v_cndmask_b32_e64 v101, 0, 1, s5
	v_mov_b32_e32 v41, v59
	v_mov_b32_e32 v42, v60
	s_and_b32 s6, s7, exec_lo
	v_mov_b32_e32 v90, v101
.LBB748_83:
	s_or_b32 exec_lo, exec_lo, s33
	v_cndmask_b32_e64 v103, 0, 1, s4
	v_mov_b32_e32 v43, v57
	v_mov_b32_e32 v44, v58
	s_and_b32 s5, s6, exec_lo
	v_mov_b32_e32 v91, v103
.LBB748_84:
	s_or_b32 exec_lo, exec_lo, s29
	v_cndmask_b32_e64 v104, 0, 1, s3
	v_mov_b32_e32 v45, v55
	v_mov_b32_e32 v46, v56
	s_and_b32 s4, s5, exec_lo
	v_mov_b32_e32 v92, v104
.LBB748_85:
	s_or_b32 exec_lo, exec_lo, s18
	v_cndmask_b32_e64 v106, 0, 1, vcc_lo
	s_and_b32 s3, s4, exec_lo
	v_mov_b32_e32 v85, v106
.LBB748_86:
	s_or_b32 exec_lo, exec_lo, s17
	v_lshlrev_b32_e32 v75, 3, v0
	s_and_b32 vcc_lo, exec_lo, s15
	s_cbranch_vccz .LBB748_92
.LBB748_87:
	v_add_co_u32 v1, vcc_lo, v47, v75
	v_add_co_ci_u32_e64 v2, null, 0, v48, vcc_lo
	v_mad_u32_u24 v57, 0x60, v0, v75
	v_add_co_u32 v3, vcc_lo, 0x800, v1
	v_add_co_ci_u32_e64 v4, null, 0, v2, vcc_lo
	v_add_co_u32 v5, vcc_lo, 0x1000, v1
	v_add_co_ci_u32_e64 v6, null, 0, v2, vcc_lo
	;; [unrolled: 2-line block ×10, first 2 shown]
	v_add_co_u32 v25, vcc_lo, 0x5800, v1
	s_clause 0x7
	flat_load_dwordx2 v[17:18], v[1:2]
	flat_load_dwordx2 v[3:4], v[3:4]
	;; [unrolled: 1-line block ×8, first 2 shown]
	v_add_co_ci_u32_e64 v26, null, 0, v2, vcc_lo
	v_add_co_u32 v1, vcc_lo, 0x6000, v1
	v_add_co_ci_u32_e64 v2, null, 0, v2, vcc_lo
	s_clause 0x4
	flat_load_dwordx2 v[19:20], v[19:20]
	flat_load_dwordx2 v[21:22], v[21:22]
	;; [unrolled: 1-line block ×5, first 2 shown]
	v_add_co_u32 v27, vcc_lo, 0x6800, v47
	v_add_co_ci_u32_e64 v28, null, 0, v48, vcc_lo
	s_mov_b32 s3, exec_lo
	s_waitcnt vmcnt(11) lgkmcnt(11)
	ds_write2st64_b64 v75, v[17:18], v[3:4] offset1:4
	s_waitcnt vmcnt(9) lgkmcnt(10)
	ds_write2st64_b64 v75, v[5:6], v[7:8] offset0:8 offset1:12
	s_waitcnt vmcnt(7) lgkmcnt(9)
	ds_write2st64_b64 v75, v[9:10], v[11:12] offset0:16 offset1:20
	;; [unrolled: 2-line block ×5, first 2 shown]
	s_waitcnt vmcnt(0) lgkmcnt(6)
	ds_write_b64 v75, v[1:2] offset:24576
	s_waitcnt lgkmcnt(0)
	s_barrier
	buffer_gl0_inv
	flat_load_dwordx2 v[55:56], v[27:28]
	ds_read2_b64 v[21:24], v57 offset1:1
	ds_read2_b64 v[17:20], v57 offset0:2 offset1:3
	ds_read2_b64 v[13:16], v57 offset0:4 offset1:5
	;; [unrolled: 1-line block ×5, first 2 shown]
	ds_read_b64 v[53:54], v57 offset:96
	v_mad_i32_i24 v25, 0xffffffa0, v0, v57
	s_waitcnt lgkmcnt(6)
	ds_write_b64 v25, v[21:22] offset:28672
	s_waitcnt vmcnt(0) lgkmcnt(0)
	s_barrier
	buffer_gl0_inv
	v_cmpx_ne_u32_e32 0xff, v0
; %bb.88:
	v_mul_i32_i24_e32 v21, 0xffffffa0, v0
	v_add_nc_u32_e32 v21, v57, v21
	ds_read_b64 v[55:56], v21 offset:28680
; %bb.89:
	s_or_b32 exec_lo, exec_lo, s3
	v_add_co_u32 v21, vcc_lo, v88, v75
	v_add_co_ci_u32_e64 v22, null, 0, v89, vcc_lo
	s_waitcnt lgkmcnt(0)
	v_add_co_u32 v25, vcc_lo, 0x800, v21
	v_add_co_ci_u32_e64 v26, null, 0, v22, vcc_lo
	v_add_co_u32 v27, vcc_lo, 0x1000, v21
	v_add_co_ci_u32_e64 v28, null, 0, v22, vcc_lo
	;; [unrolled: 2-line block ×10, first 2 shown]
	v_add_co_u32 v47, vcc_lo, 0x5800, v21
	s_barrier
	buffer_gl0_inv
	s_clause 0x7
	flat_load_dwordx2 v[39:40], v[21:22]
	flat_load_dwordx2 v[25:26], v[25:26]
	;; [unrolled: 1-line block ×8, first 2 shown]
	v_add_co_ci_u32_e64 v48, null, 0, v22, vcc_lo
	v_add_co_u32 v21, vcc_lo, 0x6000, v21
	v_add_co_ci_u32_e64 v22, null, 0, v22, vcc_lo
	s_clause 0x4
	flat_load_dwordx2 v[41:42], v[41:42]
	flat_load_dwordx2 v[43:44], v[43:44]
	;; [unrolled: 1-line block ×5, first 2 shown]
	v_mov_b32_e32 v52, s45
	v_mov_b32_e32 v51, s44
	s_mov_b32 s4, exec_lo
	v_cmp_ne_u64_e32 vcc_lo, 0, v[23:24]
	s_waitcnt vmcnt(11) lgkmcnt(11)
	ds_write2st64_b64 v75, v[39:40], v[25:26] offset1:4
	s_waitcnt vmcnt(9) lgkmcnt(10)
	ds_write2st64_b64 v75, v[27:28], v[29:30] offset0:8 offset1:12
	s_waitcnt vmcnt(7) lgkmcnt(9)
	ds_write2st64_b64 v75, v[31:32], v[33:34] offset0:16 offset1:20
	;; [unrolled: 2-line block ×5, first 2 shown]
	s_waitcnt vmcnt(0) lgkmcnt(6)
	ds_write_b64 v75, v[21:22] offset:24576
	s_waitcnt lgkmcnt(0)
	s_barrier
	buffer_gl0_inv
	ds_read2_b64 v[45:48], v57 offset0:1 offset1:2
	ds_read2_b64 v[41:44], v57 offset0:3 offset1:4
	;; [unrolled: 1-line block ×6, first 2 shown]
	v_cmpx_eq_u64_e32 0, v[23:24]
; %bb.90:
	ds_read_b64 v[51:52], v57
; %bb.91:
	s_or_b32 exec_lo, exec_lo, s4
	v_cndmask_b32_e64 v106, 0, 1, vcc_lo
	v_cmp_ne_u64_e32 vcc_lo, 0, v[17:18]
	v_cmp_ne_u64_e64 s3, 0, v[19:20]
	v_cmp_ne_u64_e64 s4, 0, v[13:14]
	;; [unrolled: 1-line block ×11, first 2 shown]
	s_waitcnt lgkmcnt(5)
	v_cndmask_b32_e64 v55, v45, s44, vcc_lo
	v_cndmask_b32_e64 v57, v47, s44, s3
	s_waitcnt lgkmcnt(4)
	v_cndmask_b32_e64 v59, v41, s44, s4
	v_cndmask_b32_e64 v61, v43, s44, s5
	s_waitcnt lgkmcnt(3)
	v_cndmask_b32_e64 v65, v37, s44, s6
	v_cndmask_b32_e64 v63, v39, s44, s7
	s_waitcnt lgkmcnt(2)
	v_cndmask_b32_e64 v71, v33, s44, s8
	v_cndmask_b32_e64 v67, v35, s44, s9
	s_waitcnt lgkmcnt(1)
	v_cndmask_b32_e64 v73, v29, s44, s10
	s_waitcnt lgkmcnt(0)
	v_cndmask_b32_e64 v53, v25, s44, s12
	v_cndmask_b32_e64 v69, v31, s44, s11
	v_cndmask_b32_e64 v104, 0, 1, vcc_lo
	v_cndmask_b32_e64 v103, 0, 1, s3
	v_cndmask_b32_e64 v101, 0, 1, s4
	;; [unrolled: 1-line block ×10, first 2 shown]
	v_cndmask_b32_e64 v56, v46, s45, vcc_lo
	v_cndmask_b32_e64 v58, v48, s45, s3
	v_cndmask_b32_e64 v60, v42, s45, s4
	;; [unrolled: 1-line block ×12, first 2 shown]
	v_mov_b32_e32 v21, v53
	v_mov_b32_e32 v25, v69
	;; [unrolled: 1-line block ×34, first 2 shown]
	s_mov_b32 s3, -1
.LBB748_92:
	v_mov_b32_e32 v12, 0
	s_and_saveexec_b32 s4, s3
	s_cbranch_execz .LBB748_94
; %bb.93:
	v_mov_b32_e32 v45, v55
	v_mov_b32_e32 v43, v57
	;; [unrolled: 1-line block ×11, first 2 shown]
	v_cndmask_b32_e64 v12, 0, 1, s16
	v_mov_b32_e32 v85, v106
	v_mov_b32_e32 v46, v56
	;; [unrolled: 1-line block ×23, first 2 shown]
.LBB748_94:
	s_or_b32 exec_lo, exec_lo, s4
	v_and_b32_e32 v23, 1, v90
	v_and_b32_e32 v18, 1, v84
	;; [unrolled: 1-line block ×4, first 2 shown]
	v_or_b32_e32 v13, v91, v92
	v_or_b32_e32 v15, v86, v87
	;; [unrolled: 1-line block ×4, first 2 shown]
	v_cmp_eq_u32_e64 s16, 1, v23
	v_cmp_eq_u32_e64 s15, 1, v18
	;; [unrolled: 1-line block ×3, first 2 shown]
	v_cmp_eq_u16_e64 s14, 0, v12
	v_and_b32_e32 v17, 1, v12
	v_mbcnt_lo_u32_b32 v11, -1, 0
	s_cmp_lg_u32 s27, 0
	v_cmp_eq_u32_e32 vcc_lo, 1, v20
	s_barrier
	buffer_gl0_inv
	s_cbranch_scc0 .LBB748_152
; %bb.95:
	v_mov_b32_e32 v1, 0
	v_cmp_eq_u32_e64 s18, 1, v17
	v_cmp_eq_u16_sdwa s12, v92, v1 src0_sel:BYTE_0 src1_sel:DWORD
	v_cmp_eq_u16_sdwa s11, v91, v1 src0_sel:BYTE_0 src1_sel:DWORD
	;; [unrolled: 1-line block ×5, first 2 shown]
	v_cndmask_b32_e64 v3, 0, v51, s12
	v_cndmask_b32_e64 v2, 0, v52, s12
	v_cmp_eq_u16_sdwa s7, v84, v1 src0_sel:BYTE_0 src1_sel:DWORD
	v_cmp_eq_u16_sdwa s6, v83, v1 src0_sel:BYTE_0 src1_sel:DWORD
	;; [unrolled: 1-line block ×3, first 2 shown]
	v_add_co_u32 v3, s3, v3, v45
	v_add_co_ci_u32_e64 v2, null, v2, v46, s3
	v_cmp_eq_u16_sdwa s4, v81, v1 src0_sel:BYTE_0 src1_sel:DWORD
	v_cndmask_b32_e64 v3, 0, v3, s11
	v_cmp_ne_u16_sdwa s28, v13, v1 src0_sel:BYTE_0 src1_sel:DWORD
	v_cndmask_b32_e64 v2, 0, v2, s11
	v_cmp_ne_u16_sdwa s29, v15, v1 src0_sel:BYTE_0 src1_sel:DWORD
	v_cmp_ne_u16_sdwa s33, v16, v1 src0_sel:BYTE_0 src1_sel:DWORD
	v_add_co_u32 v3, s3, v3, v43
	v_add_co_ci_u32_e64 v2, null, v2, v44, s3
	v_cmp_ne_u16_sdwa s36, v14, v1 src0_sel:BYTE_0 src1_sel:DWORD
	v_cndmask_b32_e64 v3, 0, v3, s10
	s_or_b32 s16, s28, s16
	v_cndmask_b32_e64 v2, 0, v2, s10
	s_or_b32 s28, s29, s15
	s_or_b32 s17, s33, s17
	v_add_co_u32 v3, s3, v3, v41
	v_add_co_ci_u32_e64 v2, null, v2, v42, s3
	s_or_b32 s18, s36, s18
	v_cndmask_b32_e64 v3, 0, v3, s9
	s_or_b32 s17, s18, s17
	v_cndmask_b32_e64 v2, 0, v2, s9
	s_or_b32 s17, s17, s28
	v_add_co_u32 v3, s3, v3, v39
	v_add_co_ci_u32_e64 v2, null, v2, v40, s3
	v_cndmask_b32_e64 v3, 0, v3, s8
	v_cndmask_b32_e64 v2, 0, v2, s8
	v_add_co_u32 v3, s3, v3, v37
	v_add_co_ci_u32_e64 v2, null, v2, v38, s3
	v_cndmask_b32_e64 v3, 0, v3, s7
	v_cndmask_b32_e64 v2, 0, v2, s7
	;; [unrolled: 4-line block ×5, first 2 shown]
	v_add_co_u32 v3, s3, v3, v27
	v_add_co_ci_u32_e64 v2, null, v2, v28, s3
	v_cmp_eq_u16_sdwa s3, v80, v1 src0_sel:BYTE_0 src1_sel:DWORD
	v_cndmask_b32_e64 v3, 0, v3, s3
	v_cndmask_b32_e64 v2, 0, v2, s3
	v_add_co_u32 v3, s13, v3, v25
	v_add_co_ci_u32_e64 v2, null, v2, v26, s13
	v_cmp_eq_u16_sdwa s13, v79, v1 src0_sel:BYTE_0 src1_sel:DWORD
	v_cndmask_b32_e64 v1, 0, v2, s13
	v_cndmask_b32_e64 v2, 0, v3, s13
	v_add_co_u32 v2, s15, v2, v21
	v_add_co_ci_u32_e64 v1, null, v1, v22, s15
	s_or_b32 s15, s17, s16
	v_cndmask_b32_e64 v3, 0, v2, s14
	s_or_b32 s15, s15, vcc_lo
	v_cndmask_b32_e64 v1, 0, v1, s14
	v_cndmask_b32_e64 v2, 0, 1, s15
	;; [unrolled: 1-line block ×3, first 2 shown]
	v_add_co_u32 v3, vcc_lo, v3, v35
	v_add_co_ci_u32_e64 v4, null, v1, v36, vcc_lo
	v_and_b32_e32 v1, 15, v11
	v_mov_b32_dpp v8, v2 row_shr:1 row_mask:0xf bank_mask:0xf
	v_mov_b32_dpp v6, v3 row_shr:1 row_mask:0xf bank_mask:0xf
	;; [unrolled: 1-line block ×3, first 2 shown]
	s_mov_b32 s14, exec_lo
	v_cmpx_ne_u32_e32 0, v1
	s_cbranch_execz .LBB748_97
; %bb.96:
	v_and_b32_e32 v2, 1, v8
	v_cndmask_b32_e64 v6, v6, 0, s15
	v_cndmask_b32_e64 v7, v7, 0, s15
	v_or_b32_e32 v5, v2, v5
	v_add_co_u32 v3, vcc_lo, v6, v3
	v_add_co_ci_u32_e64 v4, null, v7, v4, vcc_lo
	v_and_b32_e32 v2, 0xffff, v5
.LBB748_97:
	s_or_b32 exec_lo, exec_lo, s14
	v_mov_b32_dpp v6, v3 row_shr:2 row_mask:0xf bank_mask:0xf
	v_mov_b32_dpp v7, v4 row_shr:2 row_mask:0xf bank_mask:0xf
	v_mov_b32_dpp v8, v2 row_shr:2 row_mask:0xf bank_mask:0xf
	s_mov_b32 s16, exec_lo
	v_cmpx_lt_u32_e32 1, v1
	s_cbranch_execz .LBB748_99
; %bb.98:
	v_cmp_eq_u16_e32 vcc_lo, 0, v5
	v_and_b32_e32 v2, 1, v5
	v_and_b32_e32 v5, 1, v8
	v_cndmask_b32_e32 v7, 0, v7, vcc_lo
	v_cndmask_b32_e32 v6, 0, v6, vcc_lo
	v_cmp_eq_u32_e32 vcc_lo, 1, v2
	v_cmp_eq_u32_e64 s14, 1, v5
	v_add_co_u32 v3, s15, v6, v3
	s_or_b32 s14, vcc_lo, s14
	v_add_co_ci_u32_e64 v4, null, v7, v4, s15
	v_cndmask_b32_e64 v5, 0, 1, s14
	v_cndmask_b32_e64 v2, 0, 1, s14
.LBB748_99:
	s_or_b32 exec_lo, exec_lo, s16
	v_mov_b32_dpp v6, v3 row_shr:4 row_mask:0xf bank_mask:0xf
	v_mov_b32_dpp v7, v4 row_shr:4 row_mask:0xf bank_mask:0xf
	v_mov_b32_dpp v8, v2 row_shr:4 row_mask:0xf bank_mask:0xf
	s_mov_b32 s16, exec_lo
	v_cmpx_lt_u32_e32 3, v1
	s_cbranch_execz .LBB748_101
; %bb.100:
	v_cmp_eq_u16_e32 vcc_lo, 0, v5
	v_and_b32_e32 v2, 1, v5
	v_and_b32_e32 v5, 1, v8
	v_cndmask_b32_e32 v7, 0, v7, vcc_lo
	v_cndmask_b32_e32 v6, 0, v6, vcc_lo
	v_cmp_eq_u32_e32 vcc_lo, 1, v2
	v_cmp_eq_u32_e64 s14, 1, v5
	v_add_co_u32 v3, s15, v6, v3
	s_or_b32 s14, vcc_lo, s14
	v_add_co_ci_u32_e64 v4, null, v7, v4, s15
	v_cndmask_b32_e64 v5, 0, 1, s14
	v_cndmask_b32_e64 v2, 0, 1, s14
.LBB748_101:
	;; [unrolled: 21-line block ×3, first 2 shown]
	s_or_b32 exec_lo, exec_lo, s16
	ds_swizzle_b32 v1, v3 offset:swizzle(BROADCAST,32,15)
	ds_swizzle_b32 v6, v4 offset:swizzle(BROADCAST,32,15)
	;; [unrolled: 1-line block ×3, first 2 shown]
	v_and_b32_e32 v7, 16, v11
	s_mov_b32 s16, exec_lo
	v_cmpx_ne_u32_e32 0, v7
	s_cbranch_execz .LBB748_105
; %bb.104:
	v_cmp_eq_u16_e32 vcc_lo, 0, v5
	v_and_b32_e32 v5, 1, v5
	s_waitcnt lgkmcnt(0)
	v_and_b32_e32 v2, 1, v2
	v_cndmask_b32_e32 v6, 0, v6, vcc_lo
	v_cndmask_b32_e32 v1, 0, v1, vcc_lo
	v_cmp_eq_u32_e32 vcc_lo, 1, v5
	v_cmp_eq_u32_e64 s14, 1, v2
	v_add_co_u32 v3, s15, v1, v3
	s_or_b32 s14, vcc_lo, s14
	v_add_co_ci_u32_e64 v4, null, v6, v4, s15
	v_cndmask_b32_e64 v5, 0, 1, s14
.LBB748_105:
	s_or_b32 exec_lo, exec_lo, s16
	s_waitcnt lgkmcnt(0)
	v_lshrrev_b32_e32 v2, 5, v0
	v_or_b32_e32 v1, 31, v0
	s_mov_b32 s14, exec_lo
	v_lshlrev_b32_e32 v6, 4, v2
	v_cmpx_eq_u32_e64 v0, v1
	s_cbranch_execz .LBB748_107
; %bb.106:
	ds_write_b64 v6, v[3:4]
	ds_write_b8 v6, v5 offset:8
.LBB748_107:
	s_or_b32 exec_lo, exec_lo, s14
	s_mov_b32 s16, exec_lo
	s_waitcnt lgkmcnt(0)
	s_barrier
	buffer_gl0_inv
	v_cmpx_gt_u32_e32 8, v0
	s_cbranch_execz .LBB748_115
; %bb.108:
	v_lshlrev_b32_e32 v7, 4, v0
	v_and_b32_e32 v8, 7, v11
	s_mov_b32 s14, exec_lo
	ds_read_b64 v[1:2], v7
	ds_read_b32 v47, v7 offset:8
	s_waitcnt lgkmcnt(1)
	v_mov_b32_dpp v48, v1 row_shr:1 row_mask:0xf bank_mask:0xf
	v_mov_b32_dpp v53, v2 row_shr:1 row_mask:0xf bank_mask:0xf
	s_waitcnt lgkmcnt(0)
	v_and_b32_e32 v10, 0xffffff00, v47
	v_mov_b32_dpp v54, v47 row_shr:1 row_mask:0xf bank_mask:0xf
	v_mov_b32_e32 v24, v47
	v_mov_b32_e32 v9, v47
	v_cmpx_ne_u32_e32 0, v8
	s_cbranch_execz .LBB748_110
; %bb.109:
	v_mov_b32_e32 v9, 0
	v_cmp_eq_u16_sdwa vcc_lo, v47, v9 src0_sel:BYTE_0 src1_sel:DWORD
	v_or_b32_e32 v9, v54, v47
	v_cndmask_b32_e32 v48, 0, v48, vcc_lo
	v_cndmask_b32_e32 v47, 0, v53, vcc_lo
	v_and_b32_e32 v24, 1, v9
	v_and_b32_e32 v9, 1, v9
	v_add_co_u32 v1, vcc_lo, v48, v1
	v_add_co_ci_u32_e64 v2, null, v47, v2, vcc_lo
	v_or_b32_e32 v47, v9, v10
.LBB748_110:
	s_or_b32 exec_lo, exec_lo, s14
	v_mov_b32_dpp v48, v1 row_shr:2 row_mask:0xf bank_mask:0xf
	v_mov_b32_dpp v53, v2 row_shr:2 row_mask:0xf bank_mask:0xf
	v_mov_b32_dpp v54, v47 row_shr:2 row_mask:0xf bank_mask:0xf
	s_mov_b32 s17, exec_lo
	v_cmpx_lt_u32_e32 1, v8
	s_cbranch_execz .LBB748_112
; %bb.111:
	v_mov_b32_e32 v24, 0
	v_and_b32_e32 v47, 1, v9
	v_and_b32_e32 v54, 1, v54
	v_cmp_eq_u16_sdwa vcc_lo, v9, v24 src0_sel:BYTE_0 src1_sel:DWORD
	v_cmp_eq_u32_e64 s14, 1, v47
	v_cmp_eq_u32_e64 s15, 1, v54
	v_cndmask_b32_e32 v47, 0, v48, vcc_lo
	v_cndmask_b32_e32 v9, 0, v53, vcc_lo
	s_or_b32 s14, s14, s15
	v_cndmask_b32_e64 v24, 0, 1, s14
	v_cndmask_b32_e64 v48, 0, 1, s14
	v_add_co_u32 v1, vcc_lo, v47, v1
	v_add_co_ci_u32_e64 v2, null, v9, v2, vcc_lo
	v_or_b32_e32 v47, v10, v48
	v_mov_b32_e32 v9, v24
.LBB748_112:
	s_or_b32 exec_lo, exec_lo, s17
	v_mov_b32_dpp v10, v1 row_shr:4 row_mask:0xf bank_mask:0xf
	v_mov_b32_dpp v48, v2 row_shr:4 row_mask:0xf bank_mask:0xf
	v_mov_b32_dpp v47, v47 row_shr:4 row_mask:0xf bank_mask:0xf
	s_mov_b32 s17, exec_lo
	v_cmpx_lt_u32_e32 3, v8
	s_cbranch_execz .LBB748_114
; %bb.113:
	v_mov_b32_e32 v8, 0
	v_cmp_eq_u16_sdwa vcc_lo, v9, v8 src0_sel:BYTE_0 src1_sel:DWORD
	v_and_b32_e32 v8, 1, v9
	v_and_b32_e32 v9, 1, v47
	v_cndmask_b32_e32 v24, 0, v48, vcc_lo
	v_cndmask_b32_e32 v10, 0, v10, vcc_lo
	v_cmp_eq_u32_e32 vcc_lo, 1, v8
	v_cmp_eq_u32_e64 s14, 1, v9
	v_add_co_u32 v1, s15, v10, v1
	s_or_b32 s14, vcc_lo, s14
	v_add_co_ci_u32_e64 v2, null, v24, v2, s15
	v_cndmask_b32_e64 v24, 0, 1, s14
.LBB748_114:
	s_or_b32 exec_lo, exec_lo, s17
	ds_write_b64 v7, v[1:2]
	ds_write_b8 v7, v24 offset:8
.LBB748_115:
	s_or_b32 exec_lo, exec_lo, s16
	v_mov_b32_e32 v1, 0
	v_mov_b32_e32 v2, 0
	;; [unrolled: 1-line block ×3, first 2 shown]
	s_mov_b32 s15, exec_lo
	v_cmp_gt_u32_e32 vcc_lo, 32, v0
	s_waitcnt lgkmcnt(0)
	s_barrier
	buffer_gl0_inv
	v_cmpx_lt_u32_e32 31, v0
	s_cbranch_execz .LBB748_117
; %bb.116:
	v_add_nc_u32_e32 v1, -16, v6
	v_add_nc_u32_e32 v6, -8, v6
	v_cmp_eq_u16_e64 s14, 0, v5
	ds_read_b64 v[1:2], v1
	ds_read_u8 v24, v6
	s_waitcnt lgkmcnt(1)
	v_cndmask_b32_e64 v7, 0, v1, s14
	v_cndmask_b32_e64 v6, 0, v2, s14
	s_waitcnt lgkmcnt(0)
	v_or_b32_e32 v5, v24, v5
	v_add_co_u32 v3, s14, v3, v7
	v_add_co_ci_u32_e64 v4, null, v4, v6, s14
.LBB748_117:
	s_or_b32 exec_lo, exec_lo, s15
	v_sub_co_u32 v6, s14, v11, 1
	v_and_b32_e32 v5, 0xff, v5
	v_cmp_gt_i32_e64 s15, 0, v6
	v_cndmask_b32_e64 v6, v6, v11, s15
	v_lshlrev_b32_e32 v6, 2, v6
	ds_bpermute_b32 v54, v6, v3
	ds_bpermute_b32 v53, v6, v4
	;; [unrolled: 1-line block ×3, first 2 shown]
	s_and_saveexec_b32 s17, vcc_lo
	s_cbranch_execz .LBB748_157
; %bb.118:
	v_mov_b32_e32 v7, 0
	ds_read_b64 v[3:4], v7 offset:112
	ds_read_u8 v47, v7 offset:120
	s_and_saveexec_b32 s15, s14
	s_cbranch_execz .LBB748_120
; %bb.119:
	s_add_i32 s28, s27, 32
	s_mov_b32 s29, 0
	v_mov_b32_e32 v5, 1
	s_lshl_b64 s[36:37], s[28:29], 4
	v_mov_b32_e32 v6, s28
	s_add_u32 s36, s20, s36
	s_addc_u32 s37, s21, s37
	s_waitcnt lgkmcnt(1)
	global_store_dwordx2 v7, v[3:4], s[36:37]
	s_waitcnt lgkmcnt(0)
	global_store_byte v7, v47, s[36:37] offset:8
	s_waitcnt_vscnt null, 0x0
	buffer_gl1_inv
	buffer_gl0_inv
	global_store_byte v6, v5, s[24:25]
.LBB748_120:
	s_or_b32 exec_lo, exec_lo, s15
	v_xad_u32 v5, v11, -1, s27
	s_mov_b32 s16, 0
	s_mov_b32 s15, exec_lo
	v_add_nc_u32_e32 v6, 32, v5
	global_load_ubyte v48, v6, s[24:25] glc dlc
	s_waitcnt vmcnt(0)
	v_cmpx_eq_u16_e32 0, v48
	s_cbranch_execz .LBB748_124
; %bb.121:
	v_add_co_u32 v8, s18, s24, v6
	v_add_co_ci_u32_e64 v9, null, s25, 0, s18
.LBB748_122:                            ; =>This Inner Loop Header: Depth=1
	global_load_ubyte v48, v[8:9], off glc dlc
	s_waitcnt vmcnt(0)
	v_cmp_ne_u16_e32 vcc_lo, 0, v48
	s_or_b32 s16, vcc_lo, s16
	s_andn2_b32 exec_lo, exec_lo, s16
	s_cbranch_execnz .LBB748_122
; %bb.123:
	s_or_b32 exec_lo, exec_lo, s16
.LBB748_124:
	s_or_b32 exec_lo, exec_lo, s15
	v_cmp_eq_u16_e32 vcc_lo, 1, v48
	v_mov_b32_e32 v9, s20
	v_mov_b32_e32 v8, s21
	v_lshlrev_b64 v[6:7], 4, v[6:7]
	s_waitcnt lgkmcnt(0)
	s_waitcnt_vscnt null, 0x0
	buffer_gl1_inv
	buffer_gl0_inv
	v_lshlrev_b32_e64 v57, v11, -1
	v_cndmask_b32_e32 v9, s22, v9, vcc_lo
	v_cndmask_b32_e32 v8, s23, v8, vcc_lo
	s_mov_b32 s15, exec_lo
	v_add_co_u32 v6, vcc_lo, v9, v6
	v_add_co_ci_u32_e64 v7, null, v8, v7, vcc_lo
	v_cmp_ne_u32_e32 vcc_lo, 31, v11
	s_clause 0x1
	global_load_ubyte v68, v[6:7], off offset:8
	global_load_dwordx2 v[9:10], v[6:7], off
	v_add_co_ci_u32_e64 v6, null, 0, v11, vcc_lo
	v_cmp_eq_u16_e32 vcc_lo, 2, v48
	v_lshlrev_b32_e32 v56, 2, v6
	v_and_or_b32 v6, vcc_lo, v57, 0x80000000
	v_ffbl_b32_e32 v6, v6
	s_waitcnt vmcnt(1)
	v_and_b32_e32 v7, 1, v68
	s_waitcnt vmcnt(0)
	ds_bpermute_b32 v8, v56, v9
	ds_bpermute_b32 v58, v56, v10
	ds_bpermute_b32 v59, v56, v7
	v_cmpx_lt_u32_e64 v11, v6
	s_cbranch_execz .LBB748_126
; %bb.125:
	v_mov_b32_e32 v7, 0
	v_cmp_eq_u16_sdwa vcc_lo, v68, v7 src0_sel:BYTE_0 src1_sel:DWORD
	s_waitcnt lgkmcnt(0)
	v_and_b32_e32 v7, 1, v59
	v_cndmask_b32_e32 v8, 0, v8, vcc_lo
	v_cndmask_b32_e32 v58, 0, v58, vcc_lo
	v_or_b32_e32 v68, v7, v68
	v_add_co_u32 v9, vcc_lo, v8, v9
	v_add_co_ci_u32_e64 v10, null, v58, v10, vcc_lo
	v_and_b32_e32 v7, 0xff, v68
.LBB748_126:
	s_or_b32 exec_lo, exec_lo, s15
	v_cmp_gt_u32_e32 vcc_lo, 30, v11
	s_waitcnt lgkmcnt(0)
	v_add_nc_u32_e32 v59, 2, v11
	s_mov_b32 s18, exec_lo
	v_cndmask_b32_e64 v8, 0, 2, vcc_lo
	v_add_lshl_u32 v58, v8, v11, 2
	ds_bpermute_b32 v8, v58, v9
	ds_bpermute_b32 v60, v58, v10
	ds_bpermute_b32 v61, v58, v7
	v_cmpx_le_u32_e64 v59, v6
	s_cbranch_execz .LBB748_128
; %bb.127:
	v_mov_b32_e32 v7, 0
	v_and_b32_e32 v62, 1, v68
	s_waitcnt lgkmcnt(0)
	v_and_b32_e32 v61, 1, v61
	v_cmp_eq_u16_sdwa vcc_lo, v68, v7 src0_sel:BYTE_0 src1_sel:DWORD
	v_cmp_eq_u32_e64 s15, 1, v62
	v_cmp_eq_u32_e64 s16, 1, v61
	v_cndmask_b32_e32 v8, 0, v8, vcc_lo
	v_cndmask_b32_e32 v7, 0, v60, vcc_lo
	s_or_b32 s15, s15, s16
	v_cndmask_b32_e64 v68, 0, 1, s15
	v_add_co_u32 v9, vcc_lo, v8, v9
	v_add_co_ci_u32_e64 v10, null, v7, v10, vcc_lo
	v_cndmask_b32_e64 v7, 0, 1, s15
.LBB748_128:
	s_or_b32 exec_lo, exec_lo, s18
	v_cmp_gt_u32_e32 vcc_lo, 28, v11
	s_waitcnt lgkmcnt(0)
	v_add_nc_u32_e32 v61, 4, v11
	s_mov_b32 s18, exec_lo
	v_cndmask_b32_e64 v8, 0, 4, vcc_lo
	v_add_lshl_u32 v60, v8, v11, 2
	ds_bpermute_b32 v8, v60, v9
	ds_bpermute_b32 v62, v60, v10
	ds_bpermute_b32 v63, v60, v7
	v_cmpx_le_u32_e64 v61, v6
	s_cbranch_execz .LBB748_130
; %bb.129:
	v_mov_b32_e32 v7, 0
	v_and_b32_e32 v64, 1, v68
	s_waitcnt lgkmcnt(0)
	v_and_b32_e32 v63, 1, v63
	v_cmp_eq_u16_sdwa vcc_lo, v68, v7 src0_sel:BYTE_0 src1_sel:DWORD
	v_cmp_eq_u32_e64 s15, 1, v64
	v_cmp_eq_u32_e64 s16, 1, v63
	v_cndmask_b32_e32 v8, 0, v8, vcc_lo
	v_cndmask_b32_e32 v7, 0, v62, vcc_lo
	s_or_b32 s15, s15, s16
	v_cndmask_b32_e64 v68, 0, 1, s15
	v_add_co_u32 v9, vcc_lo, v8, v9
	v_add_co_ci_u32_e64 v10, null, v7, v10, vcc_lo
	v_cndmask_b32_e64 v7, 0, 1, s15
.LBB748_130:
	;; [unrolled: 28-line block ×3, first 2 shown]
	s_or_b32 exec_lo, exec_lo, s18
	s_waitcnt lgkmcnt(0)
	v_lshl_or_b32 v65, v11, 2, 64
	v_add_nc_u32_e32 v66, 16, v11
	s_mov_b32 s18, exec_lo
	ds_bpermute_b32 v8, v65, v9
	ds_bpermute_b32 v64, v65, v10
	;; [unrolled: 1-line block ×3, first 2 shown]
	v_cmpx_le_u32_e64 v66, v6
	s_cbranch_execz .LBB748_134
; %bb.133:
	v_mov_b32_e32 v6, 0
	s_waitcnt lgkmcnt(0)
	v_and_b32_e32 v7, 1, v7
	v_cmp_eq_u16_sdwa vcc_lo, v68, v6 src0_sel:BYTE_0 src1_sel:DWORD
	v_and_b32_e32 v6, 1, v68
	v_cmp_eq_u32_e64 s15, 1, v7
	v_cndmask_b32_e32 v64, 0, v64, vcc_lo
	v_cndmask_b32_e32 v8, 0, v8, vcc_lo
	v_cmp_eq_u32_e32 vcc_lo, 1, v6
	v_add_co_u32 v9, s16, v8, v9
	s_or_b32 s15, vcc_lo, s15
	v_add_co_ci_u32_e64 v10, null, v64, v10, s16
	v_cndmask_b32_e64 v68, 0, 1, s15
.LBB748_134:
	s_or_b32 exec_lo, exec_lo, s18
	v_mov_b32_e32 v6, 0
	v_mov_b32_e32 v67, 2
	s_branch .LBB748_137
.LBB748_135:                            ;   in Loop: Header=BB748_137 Depth=1
	s_or_b32 exec_lo, exec_lo, s28
	v_cmp_eq_u16_sdwa vcc_lo, v64, v6 src0_sel:BYTE_0 src1_sel:DWORD
	v_and_b32_e32 v68, 1, v64
	v_subrev_nc_u32_e32 v5, 32, v5
	v_cndmask_b32_e32 v9, 0, v9, vcc_lo
	v_cndmask_b32_e32 v10, 0, v10, vcc_lo
	v_cmp_eq_u32_e32 vcc_lo, 1, v68
	v_add_co_u32 v9, s15, v9, v7
	v_add_co_ci_u32_e64 v10, null, v10, v8, s15
	s_or_b32 s15, vcc_lo, s18
	v_cndmask_b32_e64 v68, 0, 1, s15
	s_mov_b32 s15, 0
.LBB748_136:                            ;   in Loop: Header=BB748_137 Depth=1
	s_and_b32 vcc_lo, exec_lo, s15
	s_cbranch_vccnz .LBB748_153
.LBB748_137:                            ; =>This Loop Header: Depth=1
                                        ;     Child Loop BB748_140 Depth 2
	v_cmp_ne_u16_sdwa s15, v48, v67 src0_sel:BYTE_0 src1_sel:DWORD
	s_waitcnt lgkmcnt(0)
	v_mov_b32_e32 v7, v9
	v_mov_b32_e32 v64, v68
	;; [unrolled: 1-line block ×3, first 2 shown]
                                        ; implicit-def: $vgpr68
                                        ; implicit-def: $vgpr9_vgpr10
                                        ; implicit-def: $vgpr48
	s_cmp_lg_u32 s15, exec_lo
	s_mov_b32 s15, -1
	s_cbranch_scc1 .LBB748_136
; %bb.138:                              ;   in Loop: Header=BB748_137 Depth=1
	global_load_ubyte v48, v5, s[24:25] glc dlc
	s_mov_b32 s15, exec_lo
	s_waitcnt vmcnt(0)
	v_cmpx_eq_u16_e32 0, v48
	s_cbranch_execz .LBB748_142
; %bb.139:                              ;   in Loop: Header=BB748_137 Depth=1
	v_add_co_u32 v9, s16, s24, v5
	v_add_co_ci_u32_e64 v10, null, s25, 0, s16
	s_mov_b32 s16, 0
.LBB748_140:                            ;   Parent Loop BB748_137 Depth=1
                                        ; =>  This Inner Loop Header: Depth=2
	global_load_ubyte v48, v[9:10], off glc dlc
	s_waitcnt vmcnt(0)
	v_cmp_ne_u16_e32 vcc_lo, 0, v48
	s_or_b32 s16, vcc_lo, s16
	s_andn2_b32 exec_lo, exec_lo, s16
	s_cbranch_execnz .LBB748_140
; %bb.141:                              ;   in Loop: Header=BB748_137 Depth=1
	s_or_b32 exec_lo, exec_lo, s16
.LBB748_142:                            ;   in Loop: Header=BB748_137 Depth=1
	s_or_b32 exec_lo, exec_lo, s15
	v_cmp_eq_u16_e32 vcc_lo, 1, v48
	v_mov_b32_e32 v69, s20
	v_mov_b32_e32 v68, s21
	v_lshlrev_b64 v[9:10], 4, v[5:6]
	buffer_gl1_inv
	buffer_gl0_inv
	s_mov_b32 s15, exec_lo
	v_cndmask_b32_e32 v69, s22, v69, vcc_lo
	v_cndmask_b32_e32 v68, s23, v68, vcc_lo
	v_add_co_u32 v9, vcc_lo, v69, v9
	v_add_co_ci_u32_e64 v10, null, v68, v10, vcc_lo
	v_cmp_eq_u16_e32 vcc_lo, 2, v48
	s_clause 0x1
	global_load_ubyte v69, v[9:10], off offset:8
	global_load_dwordx2 v[9:10], v[9:10], off
	v_and_or_b32 v68, vcc_lo, v57, 0x80000000
	v_ffbl_b32_e32 v68, v68
	s_waitcnt vmcnt(1)
	v_and_b32_e32 v70, 1, v69
	s_waitcnt vmcnt(0)
	ds_bpermute_b32 v71, v56, v9
	ds_bpermute_b32 v72, v56, v10
	;; [unrolled: 1-line block ×3, first 2 shown]
	v_cmpx_lt_u32_e64 v11, v68
	s_cbranch_execz .LBB748_144
; %bb.143:                              ;   in Loop: Header=BB748_137 Depth=1
	v_cmp_eq_u16_sdwa vcc_lo, v69, v6 src0_sel:BYTE_0 src1_sel:DWORD
	s_waitcnt lgkmcnt(0)
	v_and_b32_e32 v70, 1, v73
	v_cndmask_b32_e32 v71, 0, v71, vcc_lo
	v_cndmask_b32_e32 v72, 0, v72, vcc_lo
	v_or_b32_e32 v69, v70, v69
	v_add_co_u32 v9, vcc_lo, v71, v9
	v_add_co_ci_u32_e64 v10, null, v72, v10, vcc_lo
	v_and_b32_e32 v70, 0xff, v69
.LBB748_144:                            ;   in Loop: Header=BB748_137 Depth=1
	s_or_b32 exec_lo, exec_lo, s15
	s_waitcnt lgkmcnt(2)
	ds_bpermute_b32 v71, v58, v9
	s_waitcnt lgkmcnt(2)
	ds_bpermute_b32 v72, v58, v10
	;; [unrolled: 2-line block ×3, first 2 shown]
	v_and_b32_e32 v74, 1, v69
	s_mov_b32 s16, exec_lo
	v_cmp_eq_u32_e64 s18, 1, v74
	v_cmpx_le_u32_e64 v59, v68
	s_cbranch_execz .LBB748_146
; %bb.145:                              ;   in Loop: Header=BB748_137 Depth=1
	v_cmp_eq_u16_sdwa vcc_lo, v69, v6 src0_sel:BYTE_0 src1_sel:DWORD
	s_waitcnt lgkmcnt(0)
	v_and_b32_e32 v69, 1, v73
	v_cndmask_b32_e32 v71, 0, v71, vcc_lo
	v_cndmask_b32_e32 v70, 0, v72, vcc_lo
	v_cmp_eq_u32_e32 vcc_lo, 1, v69
	v_add_co_u32 v9, s15, v71, v9
	v_add_co_ci_u32_e64 v10, null, v70, v10, s15
	s_or_b32 s15, s18, vcc_lo
	s_andn2_b32 s18, s18, exec_lo
	v_cndmask_b32_e64 v69, 0, 1, s15
	v_cndmask_b32_e64 v70, 0, 1, s15
	s_and_b32 s15, s15, exec_lo
	s_or_b32 s18, s18, s15
.LBB748_146:                            ;   in Loop: Header=BB748_137 Depth=1
	s_or_b32 exec_lo, exec_lo, s16
	s_waitcnt lgkmcnt(2)
	ds_bpermute_b32 v71, v60, v9
	s_waitcnt lgkmcnt(2)
	ds_bpermute_b32 v72, v60, v10
	;; [unrolled: 2-line block ×3, first 2 shown]
	s_mov_b32 s28, exec_lo
	v_cmpx_le_u32_e64 v61, v68
	s_cbranch_execz .LBB748_148
; %bb.147:                              ;   in Loop: Header=BB748_137 Depth=1
	v_cmp_eq_u16_sdwa vcc_lo, v69, v6 src0_sel:BYTE_0 src1_sel:DWORD
	v_and_b32_e32 v69, 1, v69
	s_waitcnt lgkmcnt(0)
	v_and_b32_e32 v70, 1, v73
	v_cndmask_b32_e32 v72, 0, v72, vcc_lo
	v_cndmask_b32_e32 v71, 0, v71, vcc_lo
	v_cmp_eq_u32_e32 vcc_lo, 1, v69
	v_cmp_eq_u32_e64 s15, 1, v70
	v_add_co_u32 v9, s16, v71, v9
	s_or_b32 s15, vcc_lo, s15
	v_add_co_ci_u32_e64 v10, null, v72, v10, s16
	v_cndmask_b32_e64 v69, 0, 1, s15
	v_cndmask_b32_e64 v70, 0, 1, s15
	s_andn2_b32 s16, s18, exec_lo
	s_and_b32 s15, s15, exec_lo
	s_or_b32 s18, s16, s15
.LBB748_148:                            ;   in Loop: Header=BB748_137 Depth=1
	s_or_b32 exec_lo, exec_lo, s28
	s_waitcnt lgkmcnt(2)
	ds_bpermute_b32 v71, v62, v9
	s_waitcnt lgkmcnt(2)
	ds_bpermute_b32 v72, v62, v10
	;; [unrolled: 2-line block ×3, first 2 shown]
	s_mov_b32 s28, exec_lo
	v_cmpx_le_u32_e64 v63, v68
	s_cbranch_execz .LBB748_150
; %bb.149:                              ;   in Loop: Header=BB748_137 Depth=1
	v_cmp_eq_u16_sdwa vcc_lo, v69, v6 src0_sel:BYTE_0 src1_sel:DWORD
	v_and_b32_e32 v69, 1, v69
	s_waitcnt lgkmcnt(0)
	v_and_b32_e32 v70, 1, v73
	v_cndmask_b32_e32 v72, 0, v72, vcc_lo
	v_cndmask_b32_e32 v71, 0, v71, vcc_lo
	v_cmp_eq_u32_e32 vcc_lo, 1, v69
	v_cmp_eq_u32_e64 s15, 1, v70
	v_add_co_u32 v9, s16, v71, v9
	s_or_b32 s15, vcc_lo, s15
	v_add_co_ci_u32_e64 v10, null, v72, v10, s16
	v_cndmask_b32_e64 v69, 0, 1, s15
	v_cndmask_b32_e64 v70, 0, 1, s15
	s_andn2_b32 s16, s18, exec_lo
	s_and_b32 s15, s15, exec_lo
	s_or_b32 s18, s16, s15
.LBB748_150:                            ;   in Loop: Header=BB748_137 Depth=1
	s_or_b32 exec_lo, exec_lo, s28
	s_waitcnt lgkmcnt(2)
	ds_bpermute_b32 v71, v65, v9
	s_waitcnt lgkmcnt(2)
	ds_bpermute_b32 v72, v65, v10
	ds_bpermute_b32 v70, v65, v70
	s_mov_b32 s28, exec_lo
	v_cmpx_le_u32_e64 v66, v68
	s_cbranch_execz .LBB748_135
; %bb.151:                              ;   in Loop: Header=BB748_137 Depth=1
	v_cmp_eq_u16_sdwa vcc_lo, v69, v6 src0_sel:BYTE_0 src1_sel:DWORD
	v_and_b32_e32 v68, 1, v69
	s_waitcnt lgkmcnt(0)
	v_and_b32_e32 v69, 1, v70
	v_cndmask_b32_e32 v71, 0, v71, vcc_lo
	v_cndmask_b32_e32 v70, 0, v72, vcc_lo
	v_cmp_eq_u32_e32 vcc_lo, 1, v68
	v_cmp_eq_u32_e64 s15, 1, v69
	v_add_co_u32 v9, s16, v71, v9
	v_add_co_ci_u32_e64 v10, null, v70, v10, s16
	s_or_b32 s15, vcc_lo, s15
	s_andn2_b32 s16, s18, exec_lo
	s_and_b32 s15, s15, exec_lo
	s_or_b32 s18, s16, s15
	s_branch .LBB748_135
.LBB748_152:
                                        ; implicit-def: $vgpr47_vgpr48
                                        ; implicit-def: $vgpr3_vgpr4
                                        ; implicit-def: $vgpr73_vgpr74
                                        ; implicit-def: $vgpr69_vgpr70
                                        ; implicit-def: $vgpr65_vgpr66
                                        ; implicit-def: $vgpr59_vgpr60
                                        ; implicit-def: $vgpr61_vgpr62
                                        ; implicit-def: $vgpr71_vgpr72
                                        ; implicit-def: $vgpr67_vgpr68
                                        ; implicit-def: $vgpr63_vgpr64
                                        ; implicit-def: $vgpr57_vgpr58
                                        ; implicit-def: $vgpr55_vgpr56
                                        ; implicit-def: $vgpr53_vgpr54
	s_cbranch_execnz .LBB748_160
	s_branch .LBB748_187
.LBB748_153:
	s_and_saveexec_b32 s15, s14
	s_cbranch_execz .LBB748_155
; %bb.154:
	v_mov_b32_e32 v5, 0
	v_or_b32_e32 v6, v47, v64
	s_mov_b32 s21, 0
	s_add_i32 s20, s27, 32
	v_mov_b32_e32 v9, 2
	v_cmp_eq_u32_sdwa vcc_lo, v47, v5 src0_sel:BYTE_0 src1_sel:DWORD
	s_lshl_b64 s[28:29], s[20:21], 4
	v_mov_b32_e32 v48, s20
	v_and_b32_e32 v6, 1, v6
	s_add_u32 s20, s22, s28
	v_cndmask_b32_e32 v47, 0, v7, vcc_lo
	v_cndmask_b32_e32 v10, 0, v8, vcc_lo
	s_addc_u32 s21, s23, s29
	v_add_co_u32 v3, vcc_lo, v47, v3
	v_add_co_ci_u32_e64 v4, null, v10, v4, vcc_lo
	global_store_byte v5, v6, s[20:21] offset:8
	global_store_dwordx2 v5, v[3:4], s[20:21]
	s_waitcnt lgkmcnt(0)
	s_waitcnt_vscnt null, 0x0
	buffer_gl1_inv
	buffer_gl0_inv
	global_store_byte v48, v9, s[24:25]
.LBB748_155:
	s_or_b32 exec_lo, exec_lo, s15
	s_and_b32 exec_lo, exec_lo, s0
	s_cbranch_execz .LBB748_157
; %bb.156:
	v_mov_b32_e32 v3, 0
	ds_write_b64 v3, v[7:8] offset:112
	ds_write_b8 v3, v64 offset:120
.LBB748_157:
	s_or_b32 exec_lo, exec_lo, s17
	v_mov_b32_e32 v3, 0
	s_waitcnt lgkmcnt(0)
	s_waitcnt_vscnt null, 0x0
	s_barrier
	buffer_gl0_inv
	ds_read_b64 v[47:48], v3 offset:112
	s_and_saveexec_b32 s15, s2
	s_cbranch_execz .LBB748_159
; %bb.158:
	v_cndmask_b32_e64 v4, v55, v24, s14
	v_cndmask_b32_e64 v1, v54, v1, s14
	;; [unrolled: 1-line block ×3, first 2 shown]
	v_cmp_eq_u16_sdwa vcc_lo, v4, v3 src0_sel:BYTE_0 src1_sel:DWORD
	s_waitcnt lgkmcnt(0)
	v_cndmask_b32_e32 v5, 0, v47, vcc_lo
	v_cndmask_b32_e32 v4, 0, v48, vcc_lo
	v_add_co_u32 v47, vcc_lo, v1, v5
	v_add_co_ci_u32_e64 v48, null, v2, v4, vcc_lo
.LBB748_159:
	s_or_b32 exec_lo, exec_lo, s15
	v_cmp_eq_u16_sdwa vcc_lo, v85, v3 src0_sel:BYTE_0 src1_sel:DWORD
	s_waitcnt lgkmcnt(0)
	v_cndmask_b32_e32 v2, 0, v47, vcc_lo
	v_cndmask_b32_e32 v1, 0, v48, vcc_lo
	v_add_co_u32 v53, vcc_lo, v2, v51
	v_add_co_ci_u32_e64 v54, null, v1, v52, vcc_lo
	v_cndmask_b32_e64 v1, 0, v53, s12
	v_cndmask_b32_e64 v2, 0, v54, s12
	v_add_co_u32 v55, vcc_lo, v1, v45
	v_add_co_ci_u32_e64 v56, null, v2, v46, vcc_lo
	v_cndmask_b32_e64 v1, 0, v55, s11
	v_cndmask_b32_e64 v2, 0, v56, s11
	;; [unrolled: 4-line block ×11, first 2 shown]
	s_branch .LBB748_187
.LBB748_160:
	s_cmp_eq_u64 s[46:47], 0
	v_mov_b32_e32 v1, s44
	s_cselect_b32 s2, -1, 0
	s_cmp_eq_u64 s[30:31], 0
	v_mov_b32_e32 v2, s45
	s_cselect_b32 s3, -1, 0
	s_or_b32 s2, s2, s3
	s_and_b32 vcc_lo, exec_lo, s2
	s_cbranch_vccnz .LBB748_162
; %bb.161:
	v_mov_b32_e32 v1, 0
	global_load_dwordx2 v[1:2], v1, s[30:31]
.LBB748_162:
	v_mov_b32_e32 v3, 0
	v_cmp_eq_u32_e64 s13, 1, v23
	v_cmp_eq_u32_e64 s15, 1, v19
	v_cmp_eq_u32_e64 s16, 1, v17
	v_cmp_eq_u32_e64 s14, 1, v18
	v_cmp_eq_u16_sdwa s10, v92, v3 src0_sel:BYTE_0 src1_sel:DWORD
	v_cmp_eq_u16_sdwa s9, v91, v3 src0_sel:BYTE_0 src1_sel:DWORD
	;; [unrolled: 1-line block ×5, first 2 shown]
	v_cndmask_b32_e64 v5, 0, v51, s10
	v_cndmask_b32_e64 v4, 0, v52, s10
	v_cmp_eq_u16_sdwa s4, v84, v3 src0_sel:BYTE_0 src1_sel:DWORD
	v_cmp_eq_u16_sdwa s5, v83, v3 src0_sel:BYTE_0 src1_sel:DWORD
	;; [unrolled: 1-line block ×3, first 2 shown]
	v_add_co_u32 v5, vcc_lo, v5, v45
	v_add_co_ci_u32_e64 v4, null, v4, v46, vcc_lo
	v_cmp_ne_u16_sdwa s17, v13, v3 src0_sel:BYTE_0 src1_sel:DWORD
	v_cndmask_b32_e64 v5, 0, v5, s9
	v_cmp_ne_u16_sdwa s20, v16, v3 src0_sel:BYTE_0 src1_sel:DWORD
	v_cndmask_b32_e64 v4, 0, v4, s9
	v_cmp_ne_u16_sdwa s21, v14, v3 src0_sel:BYTE_0 src1_sel:DWORD
	v_cmp_ne_u16_sdwa s18, v15, v3 src0_sel:BYTE_0 src1_sel:DWORD
	v_add_co_u32 v5, vcc_lo, v5, v43
	v_add_co_ci_u32_e64 v4, null, v4, v44, vcc_lo
	s_or_b32 s17, s17, s13
	v_cndmask_b32_e64 v5, 0, v5, s7
	s_or_b32 s13, s20, s15
	v_cndmask_b32_e64 v4, 0, v4, s7
	s_or_b32 s15, s21, s16
	s_or_b32 s14, s18, s14
	v_add_co_u32 v5, vcc_lo, v5, v41
	v_add_co_ci_u32_e64 v4, null, v4, v42, vcc_lo
	s_or_b32 s15, s15, s13
	v_cndmask_b32_e64 v5, 0, v5, s8
	v_cmp_eq_u32_e64 s12, 1, v20
	v_cndmask_b32_e64 v4, 0, v4, s8
	s_or_b32 s14, s15, s14
	s_or_b32 s14, s14, s17
	v_add_co_u32 v5, vcc_lo, v5, v39
	v_add_co_ci_u32_e64 v4, null, v4, v40, vcc_lo
	v_cndmask_b32_e64 v5, 0, v5, s6
	v_cndmask_b32_e64 v4, 0, v4, s6
	v_add_co_u32 v5, vcc_lo, v5, v37
	v_add_co_ci_u32_e64 v4, null, v4, v38, vcc_lo
	v_cndmask_b32_e64 v5, 0, v5, s4
	v_cndmask_b32_e64 v4, 0, v4, s4
	;; [unrolled: 4-line block ×4, first 2 shown]
	v_add_co_u32 v5, vcc_lo, v5, v29
	v_add_co_ci_u32_e64 v4, null, v4, v30, vcc_lo
	v_cmp_eq_u16_sdwa vcc_lo, v81, v3 src0_sel:BYTE_0 src1_sel:DWORD
	v_cndmask_b32_e32 v5, 0, v5, vcc_lo
	v_cndmask_b32_e32 v4, 0, v4, vcc_lo
	v_add_co_u32 v5, s3, v5, v27
	v_add_co_ci_u32_e64 v4, null, v4, v28, s3
	v_cmp_eq_u16_sdwa s3, v80, v3 src0_sel:BYTE_0 src1_sel:DWORD
	v_cndmask_b32_e64 v5, 0, v5, s3
	v_cndmask_b32_e64 v4, 0, v4, s3
	v_add_co_u32 v5, s11, v5, v25
	v_add_co_ci_u32_e64 v4, null, v4, v26, s11
	v_cmp_eq_u16_sdwa s11, v79, v3 src0_sel:BYTE_0 src1_sel:DWORD
	v_cndmask_b32_e64 v3, 0, v4, s11
	v_cndmask_b32_e64 v4, 0, v5, s11
	v_add_co_u32 v4, s13, v4, v21
	v_add_co_ci_u32_e64 v3, null, v3, v22, s13
	v_cmp_eq_u16_e64 s13, 0, v12
	v_cndmask_b32_e64 v5, 0, v3, s13
	v_cndmask_b32_e64 v3, 0, v4, s13
	s_or_b32 s13, s14, s12
	s_mov_b32 s14, exec_lo
	v_cndmask_b32_e64 v6, 0, 1, s13
	v_cndmask_b32_e64 v7, 0, 1, s13
	v_add_co_u32 v3, s12, v3, v35
	v_add_co_ci_u32_e64 v4, null, v5, v36, s12
	v_and_b32_e32 v5, 15, v11
	v_mov_b32_dpp v10, v6 row_shr:1 row_mask:0xf bank_mask:0xf
	v_mov_b32_dpp v8, v3 row_shr:1 row_mask:0xf bank_mask:0xf
	;; [unrolled: 1-line block ×3, first 2 shown]
	v_cmpx_ne_u32_e32 0, v5
	s_cbranch_execz .LBB748_164
; %bb.163:
	v_and_b32_e32 v6, 1, v10
	v_cndmask_b32_e64 v8, v8, 0, s13
	v_cndmask_b32_e64 v9, v9, 0, s13
	v_or_b32_e32 v7, v6, v7
	v_add_co_u32 v3, s12, v8, v3
	v_add_co_ci_u32_e64 v4, null, v9, v4, s12
	v_and_b32_e32 v6, 0xffff, v7
.LBB748_164:
	s_or_b32 exec_lo, exec_lo, s14
	v_mov_b32_dpp v8, v3 row_shr:2 row_mask:0xf bank_mask:0xf
	v_mov_b32_dpp v9, v4 row_shr:2 row_mask:0xf bank_mask:0xf
	v_mov_b32_dpp v10, v6 row_shr:2 row_mask:0xf bank_mask:0xf
	s_mov_b32 s15, exec_lo
	v_cmpx_lt_u32_e32 1, v5
	s_cbranch_execz .LBB748_166
; %bb.165:
	v_cmp_eq_u16_e64 s12, 0, v7
	v_and_b32_e32 v6, 1, v7
	v_and_b32_e32 v7, 1, v10
	v_cndmask_b32_e64 v9, 0, v9, s12
	v_cndmask_b32_e64 v8, 0, v8, s12
	v_cmp_eq_u32_e64 s12, 1, v6
	v_cmp_eq_u32_e64 s13, 1, v7
	v_add_co_u32 v3, s14, v8, v3
	s_or_b32 s12, s12, s13
	v_add_co_ci_u32_e64 v4, null, v9, v4, s14
	v_cndmask_b32_e64 v7, 0, 1, s12
	v_cndmask_b32_e64 v6, 0, 1, s12
.LBB748_166:
	s_or_b32 exec_lo, exec_lo, s15
	v_mov_b32_dpp v8, v3 row_shr:4 row_mask:0xf bank_mask:0xf
	v_mov_b32_dpp v9, v4 row_shr:4 row_mask:0xf bank_mask:0xf
	v_mov_b32_dpp v10, v6 row_shr:4 row_mask:0xf bank_mask:0xf
	s_mov_b32 s15, exec_lo
	v_cmpx_lt_u32_e32 3, v5
	s_cbranch_execz .LBB748_168
; %bb.167:
	v_cmp_eq_u16_e64 s12, 0, v7
	v_and_b32_e32 v6, 1, v7
	v_and_b32_e32 v7, 1, v10
	v_cndmask_b32_e64 v9, 0, v9, s12
	v_cndmask_b32_e64 v8, 0, v8, s12
	v_cmp_eq_u32_e64 s12, 1, v6
	v_cmp_eq_u32_e64 s13, 1, v7
	v_add_co_u32 v3, s14, v8, v3
	s_or_b32 s12, s12, s13
	v_add_co_ci_u32_e64 v4, null, v9, v4, s14
	v_cndmask_b32_e64 v7, 0, 1, s12
	v_cndmask_b32_e64 v6, 0, 1, s12
.LBB748_168:
	;; [unrolled: 21-line block ×3, first 2 shown]
	s_or_b32 exec_lo, exec_lo, s15
	ds_swizzle_b32 v5, v3 offset:swizzle(BROADCAST,32,15)
	ds_swizzle_b32 v8, v4 offset:swizzle(BROADCAST,32,15)
	;; [unrolled: 1-line block ×3, first 2 shown]
	v_and_b32_e32 v9, 16, v11
	s_mov_b32 s15, exec_lo
	v_cmpx_ne_u32_e32 0, v9
	s_cbranch_execz .LBB748_172
; %bb.171:
	v_cmp_eq_u16_e64 s12, 0, v7
	v_and_b32_e32 v7, 1, v7
	s_waitcnt lgkmcnt(0)
	v_and_b32_e32 v6, 1, v6
	v_cndmask_b32_e64 v8, 0, v8, s12
	v_cndmask_b32_e64 v5, 0, v5, s12
	v_cmp_eq_u32_e64 s12, 1, v7
	v_cmp_eq_u32_e64 s13, 1, v6
	v_add_co_u32 v3, s14, v5, v3
	s_or_b32 s12, s12, s13
	v_add_co_ci_u32_e64 v4, null, v8, v4, s14
	v_cndmask_b32_e64 v7, 0, 1, s12
.LBB748_172:
	s_or_b32 exec_lo, exec_lo, s15
	s_waitcnt lgkmcnt(0)
	v_lshrrev_b32_e32 v6, 5, v0
	v_or_b32_e32 v5, 31, v0
	s_mov_b32 s13, exec_lo
	v_lshlrev_b32_e32 v8, 4, v6
	v_cmpx_eq_u32_e64 v0, v5
	s_cbranch_execz .LBB748_174
; %bb.173:
	ds_write_b64 v8, v[3:4]
	ds_write_b8 v8, v7 offset:8
.LBB748_174:
	s_or_b32 exec_lo, exec_lo, s13
	s_mov_b32 s15, exec_lo
	s_waitcnt vmcnt(0) lgkmcnt(0)
	s_barrier
	buffer_gl0_inv
	v_cmpx_gt_u32_e32 8, v0
	s_cbranch_execz .LBB748_182
; %bb.175:
	v_lshlrev_b32_e32 v9, 4, v0
	v_and_b32_e32 v10, 7, v11
	s_mov_b32 s13, exec_lo
	ds_read_b64 v[5:6], v9
	ds_read_b32 v15, v9 offset:8
	s_waitcnt lgkmcnt(1)
	v_mov_b32_dpp v16, v5 row_shr:1 row_mask:0xf bank_mask:0xf
	v_mov_b32_dpp v17, v6 row_shr:1 row_mask:0xf bank_mask:0xf
	s_waitcnt lgkmcnt(0)
	v_and_b32_e32 v13, 0xffffff00, v15
	v_mov_b32_dpp v18, v15 row_shr:1 row_mask:0xf bank_mask:0xf
	v_mov_b32_e32 v14, v15
	v_mov_b32_e32 v12, v15
	v_cmpx_ne_u32_e32 0, v10
	s_cbranch_execz .LBB748_177
; %bb.176:
	v_mov_b32_e32 v12, 0
	v_cmp_eq_u16_sdwa s12, v15, v12 src0_sel:BYTE_0 src1_sel:DWORD
	v_or_b32_e32 v12, v18, v15
	v_cndmask_b32_e64 v16, 0, v16, s12
	v_cndmask_b32_e64 v15, 0, v17, s12
	v_and_b32_e32 v14, 1, v12
	v_and_b32_e32 v12, 1, v12
	v_add_co_u32 v5, s12, v16, v5
	v_add_co_ci_u32_e64 v6, null, v15, v6, s12
	v_or_b32_e32 v15, v12, v13
.LBB748_177:
	s_or_b32 exec_lo, exec_lo, s13
	v_mov_b32_dpp v16, v5 row_shr:2 row_mask:0xf bank_mask:0xf
	v_mov_b32_dpp v17, v6 row_shr:2 row_mask:0xf bank_mask:0xf
	;; [unrolled: 1-line block ×3, first 2 shown]
	s_mov_b32 s16, exec_lo
	v_cmpx_lt_u32_e32 1, v10
	s_cbranch_execz .LBB748_179
; %bb.178:
	v_mov_b32_e32 v14, 0
	v_and_b32_e32 v15, 1, v12
	v_and_b32_e32 v18, 1, v18
	v_cmp_eq_u16_sdwa s12, v12, v14 src0_sel:BYTE_0 src1_sel:DWORD
	v_cmp_eq_u32_e64 s13, 1, v15
	v_cmp_eq_u32_e64 s14, 1, v18
	v_cndmask_b32_e64 v12, 0, v17, s12
	v_cndmask_b32_e64 v15, 0, v16, s12
	s_or_b32 s12, s13, s14
	v_cndmask_b32_e64 v14, 0, 1, s12
	v_cndmask_b32_e64 v16, 0, 1, s12
	v_add_co_u32 v5, s12, v15, v5
	v_add_co_ci_u32_e64 v6, null, v12, v6, s12
	v_or_b32_e32 v15, v13, v16
	v_mov_b32_e32 v12, v14
.LBB748_179:
	s_or_b32 exec_lo, exec_lo, s16
	v_mov_b32_dpp v13, v5 row_shr:4 row_mask:0xf bank_mask:0xf
	v_mov_b32_dpp v16, v6 row_shr:4 row_mask:0xf bank_mask:0xf
	;; [unrolled: 1-line block ×3, first 2 shown]
	s_mov_b32 s16, exec_lo
	v_cmpx_lt_u32_e32 3, v10
	s_cbranch_execz .LBB748_181
; %bb.180:
	v_mov_b32_e32 v10, 0
	v_cmp_eq_u16_sdwa s12, v12, v10 src0_sel:BYTE_0 src1_sel:DWORD
	v_and_b32_e32 v10, 1, v12
	v_and_b32_e32 v12, 1, v15
	v_cndmask_b32_e64 v14, 0, v16, s12
	v_cndmask_b32_e64 v13, 0, v13, s12
	v_cmp_eq_u32_e64 s12, 1, v10
	v_cmp_eq_u32_e64 s13, 1, v12
	v_add_co_u32 v5, s14, v13, v5
	s_or_b32 s12, s12, s13
	v_add_co_ci_u32_e64 v6, null, v14, v6, s14
	v_cndmask_b32_e64 v14, 0, 1, s12
.LBB748_181:
	s_or_b32 exec_lo, exec_lo, s16
	ds_write_b64 v9, v[5:6]
	ds_write_b8 v9, v14 offset:8
.LBB748_182:
	s_or_b32 exec_lo, exec_lo, s15
	v_mov_b32_e32 v6, v2
	v_mov_b32_e32 v5, v1
	s_mov_b32 s13, exec_lo
	s_waitcnt lgkmcnt(0)
	s_barrier
	buffer_gl0_inv
	v_cmpx_lt_u32_e32 31, v0
	s_cbranch_execz .LBB748_184
; %bb.183:
	v_add_nc_u32_e32 v5, -8, v8
	ds_read_u8 v9, v5
	v_add_nc_u32_e32 v5, -16, v8
	ds_read_b64 v[5:6], v5
	s_waitcnt lgkmcnt(1)
	v_cmp_eq_u16_e64 s12, 0, v9
	v_cndmask_b32_e64 v9, 0, v1, s12
	v_cndmask_b32_e64 v8, 0, v2, s12
	s_waitcnt lgkmcnt(0)
	v_add_co_u32 v5, s12, v9, v5
	v_add_co_ci_u32_e64 v6, null, v8, v6, s12
.LBB748_184:
	s_or_b32 exec_lo, exec_lo, s13
	v_cmp_eq_u16_e64 s12, 0, v7
	v_sub_co_u32 v7, s13, v11, 1
	v_cndmask_b32_e64 v8, 0, v6, s12
	v_cndmask_b32_e64 v9, 0, v5, s12
	v_cmp_gt_i32_e64 s12, 0, v7
	v_cndmask_b32_e64 v7, v7, v11, s12
	v_add_co_u32 v3, s12, v9, v3
	v_add_co_ci_u32_e64 v4, null, v8, v4, s12
	v_lshlrev_b32_e32 v7, 2, v7
	ds_bpermute_b32 v3, v7, v3
	ds_bpermute_b32 v4, v7, v4
	s_waitcnt lgkmcnt(1)
	v_cndmask_b32_e64 v47, v3, v5, s13
	v_mov_b32_e32 v5, 0
	s_waitcnt lgkmcnt(0)
	v_cndmask_b32_e64 v48, v4, v6, s13
	v_cndmask_b32_e64 v3, v47, v1, s0
	v_cmp_eq_u16_sdwa s12, v85, v5 src0_sel:BYTE_0 src1_sel:DWORD
	v_cndmask_b32_e64 v4, v48, v2, s0
	v_cndmask_b32_e64 v3, 0, v3, s12
	;; [unrolled: 1-line block ×3, first 2 shown]
	v_add_co_u32 v53, s12, v3, v51
	v_add_co_ci_u32_e64 v54, null, v4, v52, s12
	v_cndmask_b32_e64 v3, 0, v53, s10
	v_cndmask_b32_e64 v4, 0, v54, s10
	v_add_co_u32 v55, s10, v3, v45
	v_add_co_ci_u32_e64 v56, null, v4, v46, s10
	v_cndmask_b32_e64 v3, 0, v55, s9
	v_cndmask_b32_e64 v4, 0, v56, s9
	;; [unrolled: 4-line block ×8, first 2 shown]
	v_add_co_u32 v69, s2, v3, v29
	v_add_co_ci_u32_e64 v70, null, v4, v30, s2
	v_cndmask_b32_e32 v3, 0, v69, vcc_lo
	v_cndmask_b32_e32 v4, 0, v70, vcc_lo
	v_add_co_u32 v71, vcc_lo, v3, v27
	v_add_co_ci_u32_e64 v72, null, v4, v28, vcc_lo
	v_cndmask_b32_e64 v3, 0, v71, s3
	v_cndmask_b32_e64 v4, 0, v72, s3
	v_add_co_u32 v73, vcc_lo, v3, v25
	v_add_co_ci_u32_e64 v74, null, v4, v26, vcc_lo
	v_cndmask_b32_e64 v3, 0, v73, s11
	v_cndmask_b32_e64 v4, 0, v74, s11
	s_and_saveexec_b32 s2, s0
	s_cbranch_execz .LBB748_186
; %bb.185:
	ds_read_u8 v8, v5 offset:120
	ds_read_b64 v[6:7], v5 offset:112
	v_mov_b32_e32 v48, v2
	v_mov_b32_e32 v47, v1
	s_waitcnt lgkmcnt(1)
	v_cmp_eq_u32_sdwa vcc_lo, v8, v5 src0_sel:WORD_0 src1_sel:DWORD
	v_cndmask_b32_e32 v10, 0, v1, vcc_lo
	v_cndmask_b32_e32 v9, 0, v2, vcc_lo
	s_waitcnt lgkmcnt(0)
	v_add_co_u32 v6, vcc_lo, v10, v6
	v_add_co_ci_u32_e64 v7, null, v9, v7, vcc_lo
	v_mov_b32_e32 v9, 2
	global_store_byte v5, v8, s[22:23] offset:520
	global_store_dwordx2 v5, v[6:7], s[22:23] offset:512
	s_waitcnt_vscnt null, 0x0
	buffer_gl1_inv
	buffer_gl0_inv
	global_store_byte v5, v9, s[24:25] offset:32
.LBB748_186:
	s_or_b32 exec_lo, exec_lo, s2
.LBB748_187:
	s_add_u32 s0, s42, s34
	v_add_co_u32 v25, vcc_lo, v3, v21
	s_addc_u32 s2, s43, s35
	v_add_co_ci_u32_e64 v26, null, v4, v22, vcc_lo
	v_add_co_u32 v29, vcc_lo, s0, v49
	v_add_co_ci_u32_e64 v30, null, s2, v50, vcc_lo
	s_and_b32 vcc_lo, exec_lo, s1
	s_cbranch_vccz .LBB748_231
; %bb.188:
	v_mul_u32_u24_e32 v1, 13, v0
	s_add_i32 s19, s19, s26
	s_mov_b32 s0, exec_lo
	v_cmpx_gt_u32_e64 s19, v1
	s_cbranch_execz .LBB748_206
; %bb.189:
	v_add_nc_u32_e32 v2, 1, v1
	s_mov_b32 s1, exec_lo
	v_cmpx_gt_u32_e64 s19, v2
	s_cbranch_execz .LBB748_205
; %bb.190:
	v_add_nc_u32_e32 v2, 2, v1
	;; [unrolled: 5-line block ×8, first 2 shown]
	s_mov_b32 s8, exec_lo
	v_cmpx_gt_u32_e64 s19, v2
; %bb.197:
	v_add_nc_u32_e32 v2, 9, v1
	s_mov_b32 s9, exec_lo
	v_cmpx_gt_u32_e64 s19, v2
	s_or_b32 exec_lo, exec_lo, s9
; %bb.198:
	s_or_b32 exec_lo, exec_lo, s8
.LBB748_199:
	s_or_b32 exec_lo, exec_lo, s7
.LBB748_200:
	s_or_b32 exec_lo, exec_lo, s6
.LBB748_201:
	s_or_b32 exec_lo, exec_lo, s5
.LBB748_202:
	s_or_b32 exec_lo, exec_lo, s4
.LBB748_203:
	s_or_b32 exec_lo, exec_lo, s3
.LBB748_204:
	s_or_b32 exec_lo, exec_lo, s2
.LBB748_205:
	s_or_b32 exec_lo, exec_lo, s1
.LBB748_206:
	s_or_b32 exec_lo, exec_lo, s0
	v_lshlrev_b32_e32 v31, 3, v1
	s_waitcnt_vscnt null, 0x0
	s_barrier
	buffer_gl0_inv
	v_add_co_u32 v27, vcc_lo, v29, v75
	v_mad_i32_i24 v1, 0xffffffa0, v0, v31
	ds_write2_b64 v31, v[47:48], v[53:54] offset1:1
	ds_write2_b64 v31, v[55:56], v[61:62] offset0:2 offset1:3
	ds_write2_b64 v31, v[57:58], v[59:60] offset0:4 offset1:5
	;; [unrolled: 1-line block ×5, first 2 shown]
	ds_write_b64 v31, v[25:26] offset:96
	s_waitcnt lgkmcnt(0)
	s_barrier
	buffer_gl0_inv
	ds_read2st64_b64 v[21:24], v1 offset0:4 offset1:8
	ds_read2st64_b64 v[17:20], v1 offset0:12 offset1:16
	;; [unrolled: 1-line block ×6, first 2 shown]
	v_add_co_ci_u32_e64 v28, null, 0, v30, vcc_lo
	s_mov_b32 s0, exec_lo
	v_cmpx_gt_u32_e64 s19, v0
	s_cbranch_execz .LBB748_208
; %bb.207:
	v_mul_i32_i24_e32 v32, 0xffffffa0, v0
	v_add_nc_u32_e32 v31, v31, v32
	ds_read_b64 v[31:32], v31
	s_waitcnt lgkmcnt(0)
	flat_store_dwordx2 v[27:28], v[31:32]
.LBB748_208:
	s_or_b32 exec_lo, exec_lo, s0
	v_or_b32_e32 v31, 0x100, v0
	s_mov_b32 s0, exec_lo
	v_cmpx_gt_u32_e64 s19, v31
	s_cbranch_execz .LBB748_210
; %bb.209:
	v_add_co_u32 v31, vcc_lo, 0x800, v27
	v_add_co_ci_u32_e64 v32, null, 0, v28, vcc_lo
	s_waitcnt lgkmcnt(5)
	flat_store_dwordx2 v[31:32], v[21:22]
.LBB748_210:
	s_or_b32 exec_lo, exec_lo, s0
	s_waitcnt lgkmcnt(5)
	v_or_b32_e32 v21, 0x200, v0
	s_mov_b32 s0, exec_lo
	v_cmpx_gt_u32_e64 s19, v21
	s_cbranch_execz .LBB748_212
; %bb.211:
	v_add_co_u32 v21, vcc_lo, 0x1000, v27
	v_add_co_ci_u32_e64 v22, null, 0, v28, vcc_lo
	flat_store_dwordx2 v[21:22], v[23:24]
.LBB748_212:
	s_or_b32 exec_lo, exec_lo, s0
	v_or_b32_e32 v21, 0x300, v0
	s_mov_b32 s0, exec_lo
	v_cmpx_gt_u32_e64 s19, v21
	s_cbranch_execz .LBB748_214
; %bb.213:
	v_add_co_u32 v21, vcc_lo, 0x1800, v27
	v_add_co_ci_u32_e64 v22, null, 0, v28, vcc_lo
	s_waitcnt lgkmcnt(4)
	flat_store_dwordx2 v[21:22], v[17:18]
.LBB748_214:
	s_or_b32 exec_lo, exec_lo, s0
	s_waitcnt lgkmcnt(4)
	v_or_b32_e32 v17, 0x400, v0
	s_mov_b32 s0, exec_lo
	v_cmpx_gt_u32_e64 s19, v17
	s_cbranch_execz .LBB748_216
; %bb.215:
	v_add_co_u32 v17, vcc_lo, 0x2000, v27
	v_add_co_ci_u32_e64 v18, null, 0, v28, vcc_lo
	flat_store_dwordx2 v[17:18], v[19:20]
.LBB748_216:
	;; [unrolled: 22-line block ×5, first 2 shown]
	s_or_b32 exec_lo, exec_lo, s0
	v_or_b32_e32 v5, 0xb00, v0
	s_mov_b32 s0, exec_lo
	v_cmpx_gt_u32_e64 s19, v5
	s_cbranch_execz .LBB748_230
; %bb.229:
	v_add_co_u32 v5, vcc_lo, 0x5800, v27
	v_add_co_ci_u32_e64 v6, null, 0, v28, vcc_lo
	s_waitcnt lgkmcnt(0)
	flat_store_dwordx2 v[5:6], v[1:2]
.LBB748_230:
	s_or_b32 exec_lo, exec_lo, s0
	s_waitcnt lgkmcnt(0)
	v_or_b32_e32 v1, 0xc00, v0
	v_cmp_gt_u32_e64 s0, s19, v1
	s_branch .LBB748_233
.LBB748_231:
	s_mov_b32 s0, 0
                                        ; implicit-def: $vgpr3_vgpr4
	s_cbranch_execz .LBB748_233
; %bb.232:
	v_mul_i32_i24_e32 v2, 0xffffffa0, v0
	v_mul_u32_u24_e32 v1, 0x68, v0
	s_waitcnt_vscnt null, 0x0
	s_barrier
	buffer_gl0_inv
	v_mad_u32_u24 v3, 0x68, v0, v2
	ds_write2_b64 v1, v[47:48], v[53:54] offset1:1
	ds_write2_b64 v1, v[55:56], v[61:62] offset0:2 offset1:3
	ds_write2_b64 v1, v[57:58], v[59:60] offset0:4 offset1:5
	;; [unrolled: 1-line block ×5, first 2 shown]
	ds_write_b64 v1, v[25:26] offset:96
	s_waitcnt lgkmcnt(0)
	s_barrier
	buffer_gl0_inv
	ds_read2st64_b64 v[5:8], v3 offset1:4
	ds_read2st64_b64 v[9:12], v3 offset0:8 offset1:12
	ds_read2st64_b64 v[13:16], v3 offset0:16 offset1:20
	;; [unrolled: 1-line block ×3, first 2 shown]
	v_add_co_u32 v1, vcc_lo, v29, v75
	v_add_co_ci_u32_e64 v2, null, 0, v30, vcc_lo
	ds_read2st64_b64 v[21:24], v3 offset0:32 offset1:36
	v_add_co_u32 v31, vcc_lo, 0x800, v1
	v_add_co_ci_u32_e64 v32, null, 0, v2, vcc_lo
	v_add_co_u32 v33, vcc_lo, 0x1000, v1
	v_add_co_ci_u32_e64 v34, null, 0, v2, vcc_lo
	ds_read2st64_b64 v[25:28], v3 offset0:40 offset1:44
	ds_read_b64 v[3:4], v3 offset:24576
	s_or_b32 s0, s0, exec_lo
	s_waitcnt lgkmcnt(6)
	flat_store_dwordx2 v[1:2], v[5:6]
	flat_store_dwordx2 v[31:32], v[7:8]
	s_waitcnt lgkmcnt(7)
	flat_store_dwordx2 v[33:34], v[9:10]
	v_add_co_u32 v5, vcc_lo, 0x1800, v1
	v_add_co_ci_u32_e64 v6, null, 0, v2, vcc_lo
	v_add_co_u32 v7, vcc_lo, 0x2000, v1
	v_add_co_ci_u32_e64 v8, null, 0, v2, vcc_lo
	;; [unrolled: 2-line block ×5, first 2 shown]
	flat_store_dwordx2 v[5:6], v[11:12]
	s_waitcnt lgkmcnt(8)
	flat_store_dwordx2 v[7:8], v[13:14]
	flat_store_dwordx2 v[9:10], v[15:16]
	s_waitcnt lgkmcnt(9)
	flat_store_dwordx2 v[31:32], v[17:18]
	flat_store_dwordx2 v[33:34], v[19:20]
	v_add_co_u32 v5, vcc_lo, 0x4000, v1
	v_add_co_ci_u32_e64 v6, null, 0, v2, vcc_lo
	v_add_co_u32 v7, vcc_lo, 0x4800, v1
	v_add_co_ci_u32_e64 v8, null, 0, v2, vcc_lo
	;; [unrolled: 2-line block ×4, first 2 shown]
	s_waitcnt lgkmcnt(10)
	flat_store_dwordx2 v[5:6], v[21:22]
	flat_store_dwordx2 v[7:8], v[23:24]
	s_waitcnt lgkmcnt(11)
	flat_store_dwordx2 v[9:10], v[25:26]
	flat_store_dwordx2 v[1:2], v[27:28]
.LBB748_233:
	s_and_saveexec_b32 s1, s0
	s_cbranch_execz .LBB748_235
; %bb.234:
	v_lshlrev_b32_e32 v0, 3, v0
	v_add_co_u32 v0, vcc_lo, v29, v0
	v_add_co_ci_u32_e64 v1, null, 0, v30, vcc_lo
	v_add_co_u32 v0, vcc_lo, 0x6000, v0
	v_add_co_ci_u32_e64 v1, null, 0, v1, vcc_lo
	s_waitcnt lgkmcnt(12)
	flat_store_dwordx2 v[0:1], v[3:4]
	s_endpgm
.LBB748_235:
	s_endpgm
	.section	.rodata,"a",@progbits
	.p2align	6, 0x0
	.amdhsa_kernel _ZN7rocprim17ROCPRIM_400000_NS6detail17trampoline_kernelINS0_14default_configENS1_27scan_by_key_config_selectorIxxEEZZNS1_16scan_by_key_implILNS1_25lookback_scan_determinismE0ELb1ES3_N6thrust23THRUST_200600_302600_NS6detail15normal_iteratorINS9_10device_ptrIxEEEESE_SE_xNS9_4plusIxEE19head_flag_predicatexEE10hipError_tPvRmT2_T3_T4_T5_mT6_T7_P12ihipStream_tbENKUlT_T0_E_clISt17integral_constantIbLb0EESX_IbLb1EEEEDaST_SU_EUlST_E_NS1_11comp_targetILNS1_3genE8ELNS1_11target_archE1030ELNS1_3gpuE2ELNS1_3repE0EEENS1_30default_config_static_selectorELNS0_4arch9wavefront6targetE0EEEvT1_
		.amdhsa_group_segment_fixed_size 30720
		.amdhsa_private_segment_fixed_size 0
		.amdhsa_kernarg_size 136
		.amdhsa_user_sgpr_count 6
		.amdhsa_user_sgpr_private_segment_buffer 1
		.amdhsa_user_sgpr_dispatch_ptr 0
		.amdhsa_user_sgpr_queue_ptr 0
		.amdhsa_user_sgpr_kernarg_segment_ptr 1
		.amdhsa_user_sgpr_dispatch_id 0
		.amdhsa_user_sgpr_flat_scratch_init 0
		.amdhsa_user_sgpr_private_segment_size 0
		.amdhsa_wavefront_size32 1
		.amdhsa_uses_dynamic_stack 0
		.amdhsa_system_sgpr_private_segment_wavefront_offset 0
		.amdhsa_system_sgpr_workgroup_id_x 1
		.amdhsa_system_sgpr_workgroup_id_y 0
		.amdhsa_system_sgpr_workgroup_id_z 0
		.amdhsa_system_sgpr_workgroup_info 0
		.amdhsa_system_vgpr_workitem_id 0
		.amdhsa_next_free_vgpr 113
		.amdhsa_next_free_sgpr 51
		.amdhsa_reserve_vcc 1
		.amdhsa_reserve_flat_scratch 1
		.amdhsa_float_round_mode_32 0
		.amdhsa_float_round_mode_16_64 0
		.amdhsa_float_denorm_mode_32 3
		.amdhsa_float_denorm_mode_16_64 3
		.amdhsa_dx10_clamp 1
		.amdhsa_ieee_mode 1
		.amdhsa_fp16_overflow 0
		.amdhsa_workgroup_processor_mode 1
		.amdhsa_memory_ordered 1
		.amdhsa_forward_progress 1
		.amdhsa_shared_vgpr_count 0
		.amdhsa_exception_fp_ieee_invalid_op 0
		.amdhsa_exception_fp_denorm_src 0
		.amdhsa_exception_fp_ieee_div_zero 0
		.amdhsa_exception_fp_ieee_overflow 0
		.amdhsa_exception_fp_ieee_underflow 0
		.amdhsa_exception_fp_ieee_inexact 0
		.amdhsa_exception_int_div_zero 0
	.end_amdhsa_kernel
	.section	.text._ZN7rocprim17ROCPRIM_400000_NS6detail17trampoline_kernelINS0_14default_configENS1_27scan_by_key_config_selectorIxxEEZZNS1_16scan_by_key_implILNS1_25lookback_scan_determinismE0ELb1ES3_N6thrust23THRUST_200600_302600_NS6detail15normal_iteratorINS9_10device_ptrIxEEEESE_SE_xNS9_4plusIxEE19head_flag_predicatexEE10hipError_tPvRmT2_T3_T4_T5_mT6_T7_P12ihipStream_tbENKUlT_T0_E_clISt17integral_constantIbLb0EESX_IbLb1EEEEDaST_SU_EUlST_E_NS1_11comp_targetILNS1_3genE8ELNS1_11target_archE1030ELNS1_3gpuE2ELNS1_3repE0EEENS1_30default_config_static_selectorELNS0_4arch9wavefront6targetE0EEEvT1_,"axG",@progbits,_ZN7rocprim17ROCPRIM_400000_NS6detail17trampoline_kernelINS0_14default_configENS1_27scan_by_key_config_selectorIxxEEZZNS1_16scan_by_key_implILNS1_25lookback_scan_determinismE0ELb1ES3_N6thrust23THRUST_200600_302600_NS6detail15normal_iteratorINS9_10device_ptrIxEEEESE_SE_xNS9_4plusIxEE19head_flag_predicatexEE10hipError_tPvRmT2_T3_T4_T5_mT6_T7_P12ihipStream_tbENKUlT_T0_E_clISt17integral_constantIbLb0EESX_IbLb1EEEEDaST_SU_EUlST_E_NS1_11comp_targetILNS1_3genE8ELNS1_11target_archE1030ELNS1_3gpuE2ELNS1_3repE0EEENS1_30default_config_static_selectorELNS0_4arch9wavefront6targetE0EEEvT1_,comdat
.Lfunc_end748:
	.size	_ZN7rocprim17ROCPRIM_400000_NS6detail17trampoline_kernelINS0_14default_configENS1_27scan_by_key_config_selectorIxxEEZZNS1_16scan_by_key_implILNS1_25lookback_scan_determinismE0ELb1ES3_N6thrust23THRUST_200600_302600_NS6detail15normal_iteratorINS9_10device_ptrIxEEEESE_SE_xNS9_4plusIxEE19head_flag_predicatexEE10hipError_tPvRmT2_T3_T4_T5_mT6_T7_P12ihipStream_tbENKUlT_T0_E_clISt17integral_constantIbLb0EESX_IbLb1EEEEDaST_SU_EUlST_E_NS1_11comp_targetILNS1_3genE8ELNS1_11target_archE1030ELNS1_3gpuE2ELNS1_3repE0EEENS1_30default_config_static_selectorELNS0_4arch9wavefront6targetE0EEEvT1_, .Lfunc_end748-_ZN7rocprim17ROCPRIM_400000_NS6detail17trampoline_kernelINS0_14default_configENS1_27scan_by_key_config_selectorIxxEEZZNS1_16scan_by_key_implILNS1_25lookback_scan_determinismE0ELb1ES3_N6thrust23THRUST_200600_302600_NS6detail15normal_iteratorINS9_10device_ptrIxEEEESE_SE_xNS9_4plusIxEE19head_flag_predicatexEE10hipError_tPvRmT2_T3_T4_T5_mT6_T7_P12ihipStream_tbENKUlT_T0_E_clISt17integral_constantIbLb0EESX_IbLb1EEEEDaST_SU_EUlST_E_NS1_11comp_targetILNS1_3genE8ELNS1_11target_archE1030ELNS1_3gpuE2ELNS1_3repE0EEENS1_30default_config_static_selectorELNS0_4arch9wavefront6targetE0EEEvT1_
                                        ; -- End function
	.set _ZN7rocprim17ROCPRIM_400000_NS6detail17trampoline_kernelINS0_14default_configENS1_27scan_by_key_config_selectorIxxEEZZNS1_16scan_by_key_implILNS1_25lookback_scan_determinismE0ELb1ES3_N6thrust23THRUST_200600_302600_NS6detail15normal_iteratorINS9_10device_ptrIxEEEESE_SE_xNS9_4plusIxEE19head_flag_predicatexEE10hipError_tPvRmT2_T3_T4_T5_mT6_T7_P12ihipStream_tbENKUlT_T0_E_clISt17integral_constantIbLb0EESX_IbLb1EEEEDaST_SU_EUlST_E_NS1_11comp_targetILNS1_3genE8ELNS1_11target_archE1030ELNS1_3gpuE2ELNS1_3repE0EEENS1_30default_config_static_selectorELNS0_4arch9wavefront6targetE0EEEvT1_.num_vgpr, 107
	.set _ZN7rocprim17ROCPRIM_400000_NS6detail17trampoline_kernelINS0_14default_configENS1_27scan_by_key_config_selectorIxxEEZZNS1_16scan_by_key_implILNS1_25lookback_scan_determinismE0ELb1ES3_N6thrust23THRUST_200600_302600_NS6detail15normal_iteratorINS9_10device_ptrIxEEEESE_SE_xNS9_4plusIxEE19head_flag_predicatexEE10hipError_tPvRmT2_T3_T4_T5_mT6_T7_P12ihipStream_tbENKUlT_T0_E_clISt17integral_constantIbLb0EESX_IbLb1EEEEDaST_SU_EUlST_E_NS1_11comp_targetILNS1_3genE8ELNS1_11target_archE1030ELNS1_3gpuE2ELNS1_3repE0EEENS1_30default_config_static_selectorELNS0_4arch9wavefront6targetE0EEEvT1_.num_agpr, 0
	.set _ZN7rocprim17ROCPRIM_400000_NS6detail17trampoline_kernelINS0_14default_configENS1_27scan_by_key_config_selectorIxxEEZZNS1_16scan_by_key_implILNS1_25lookback_scan_determinismE0ELb1ES3_N6thrust23THRUST_200600_302600_NS6detail15normal_iteratorINS9_10device_ptrIxEEEESE_SE_xNS9_4plusIxEE19head_flag_predicatexEE10hipError_tPvRmT2_T3_T4_T5_mT6_T7_P12ihipStream_tbENKUlT_T0_E_clISt17integral_constantIbLb0EESX_IbLb1EEEEDaST_SU_EUlST_E_NS1_11comp_targetILNS1_3genE8ELNS1_11target_archE1030ELNS1_3gpuE2ELNS1_3repE0EEENS1_30default_config_static_selectorELNS0_4arch9wavefront6targetE0EEEvT1_.numbered_sgpr, 51
	.set _ZN7rocprim17ROCPRIM_400000_NS6detail17trampoline_kernelINS0_14default_configENS1_27scan_by_key_config_selectorIxxEEZZNS1_16scan_by_key_implILNS1_25lookback_scan_determinismE0ELb1ES3_N6thrust23THRUST_200600_302600_NS6detail15normal_iteratorINS9_10device_ptrIxEEEESE_SE_xNS9_4plusIxEE19head_flag_predicatexEE10hipError_tPvRmT2_T3_T4_T5_mT6_T7_P12ihipStream_tbENKUlT_T0_E_clISt17integral_constantIbLb0EESX_IbLb1EEEEDaST_SU_EUlST_E_NS1_11comp_targetILNS1_3genE8ELNS1_11target_archE1030ELNS1_3gpuE2ELNS1_3repE0EEENS1_30default_config_static_selectorELNS0_4arch9wavefront6targetE0EEEvT1_.num_named_barrier, 0
	.set _ZN7rocprim17ROCPRIM_400000_NS6detail17trampoline_kernelINS0_14default_configENS1_27scan_by_key_config_selectorIxxEEZZNS1_16scan_by_key_implILNS1_25lookback_scan_determinismE0ELb1ES3_N6thrust23THRUST_200600_302600_NS6detail15normal_iteratorINS9_10device_ptrIxEEEESE_SE_xNS9_4plusIxEE19head_flag_predicatexEE10hipError_tPvRmT2_T3_T4_T5_mT6_T7_P12ihipStream_tbENKUlT_T0_E_clISt17integral_constantIbLb0EESX_IbLb1EEEEDaST_SU_EUlST_E_NS1_11comp_targetILNS1_3genE8ELNS1_11target_archE1030ELNS1_3gpuE2ELNS1_3repE0EEENS1_30default_config_static_selectorELNS0_4arch9wavefront6targetE0EEEvT1_.private_seg_size, 0
	.set _ZN7rocprim17ROCPRIM_400000_NS6detail17trampoline_kernelINS0_14default_configENS1_27scan_by_key_config_selectorIxxEEZZNS1_16scan_by_key_implILNS1_25lookback_scan_determinismE0ELb1ES3_N6thrust23THRUST_200600_302600_NS6detail15normal_iteratorINS9_10device_ptrIxEEEESE_SE_xNS9_4plusIxEE19head_flag_predicatexEE10hipError_tPvRmT2_T3_T4_T5_mT6_T7_P12ihipStream_tbENKUlT_T0_E_clISt17integral_constantIbLb0EESX_IbLb1EEEEDaST_SU_EUlST_E_NS1_11comp_targetILNS1_3genE8ELNS1_11target_archE1030ELNS1_3gpuE2ELNS1_3repE0EEENS1_30default_config_static_selectorELNS0_4arch9wavefront6targetE0EEEvT1_.uses_vcc, 1
	.set _ZN7rocprim17ROCPRIM_400000_NS6detail17trampoline_kernelINS0_14default_configENS1_27scan_by_key_config_selectorIxxEEZZNS1_16scan_by_key_implILNS1_25lookback_scan_determinismE0ELb1ES3_N6thrust23THRUST_200600_302600_NS6detail15normal_iteratorINS9_10device_ptrIxEEEESE_SE_xNS9_4plusIxEE19head_flag_predicatexEE10hipError_tPvRmT2_T3_T4_T5_mT6_T7_P12ihipStream_tbENKUlT_T0_E_clISt17integral_constantIbLb0EESX_IbLb1EEEEDaST_SU_EUlST_E_NS1_11comp_targetILNS1_3genE8ELNS1_11target_archE1030ELNS1_3gpuE2ELNS1_3repE0EEENS1_30default_config_static_selectorELNS0_4arch9wavefront6targetE0EEEvT1_.uses_flat_scratch, 1
	.set _ZN7rocprim17ROCPRIM_400000_NS6detail17trampoline_kernelINS0_14default_configENS1_27scan_by_key_config_selectorIxxEEZZNS1_16scan_by_key_implILNS1_25lookback_scan_determinismE0ELb1ES3_N6thrust23THRUST_200600_302600_NS6detail15normal_iteratorINS9_10device_ptrIxEEEESE_SE_xNS9_4plusIxEE19head_flag_predicatexEE10hipError_tPvRmT2_T3_T4_T5_mT6_T7_P12ihipStream_tbENKUlT_T0_E_clISt17integral_constantIbLb0EESX_IbLb1EEEEDaST_SU_EUlST_E_NS1_11comp_targetILNS1_3genE8ELNS1_11target_archE1030ELNS1_3gpuE2ELNS1_3repE0EEENS1_30default_config_static_selectorELNS0_4arch9wavefront6targetE0EEEvT1_.has_dyn_sized_stack, 0
	.set _ZN7rocprim17ROCPRIM_400000_NS6detail17trampoline_kernelINS0_14default_configENS1_27scan_by_key_config_selectorIxxEEZZNS1_16scan_by_key_implILNS1_25lookback_scan_determinismE0ELb1ES3_N6thrust23THRUST_200600_302600_NS6detail15normal_iteratorINS9_10device_ptrIxEEEESE_SE_xNS9_4plusIxEE19head_flag_predicatexEE10hipError_tPvRmT2_T3_T4_T5_mT6_T7_P12ihipStream_tbENKUlT_T0_E_clISt17integral_constantIbLb0EESX_IbLb1EEEEDaST_SU_EUlST_E_NS1_11comp_targetILNS1_3genE8ELNS1_11target_archE1030ELNS1_3gpuE2ELNS1_3repE0EEENS1_30default_config_static_selectorELNS0_4arch9wavefront6targetE0EEEvT1_.has_recursion, 0
	.set _ZN7rocprim17ROCPRIM_400000_NS6detail17trampoline_kernelINS0_14default_configENS1_27scan_by_key_config_selectorIxxEEZZNS1_16scan_by_key_implILNS1_25lookback_scan_determinismE0ELb1ES3_N6thrust23THRUST_200600_302600_NS6detail15normal_iteratorINS9_10device_ptrIxEEEESE_SE_xNS9_4plusIxEE19head_flag_predicatexEE10hipError_tPvRmT2_T3_T4_T5_mT6_T7_P12ihipStream_tbENKUlT_T0_E_clISt17integral_constantIbLb0EESX_IbLb1EEEEDaST_SU_EUlST_E_NS1_11comp_targetILNS1_3genE8ELNS1_11target_archE1030ELNS1_3gpuE2ELNS1_3repE0EEENS1_30default_config_static_selectorELNS0_4arch9wavefront6targetE0EEEvT1_.has_indirect_call, 0
	.section	.AMDGPU.csdata,"",@progbits
; Kernel info:
; codeLenInByte = 15824
; TotalNumSgprs: 53
; NumVgprs: 107
; ScratchSize: 0
; MemoryBound: 0
; FloatMode: 240
; IeeeMode: 1
; LDSByteSize: 30720 bytes/workgroup (compile time only)
; SGPRBlocks: 0
; VGPRBlocks: 14
; NumSGPRsForWavesPerEU: 53
; NumVGPRsForWavesPerEU: 113
; Occupancy: 8
; WaveLimiterHint : 1
; COMPUTE_PGM_RSRC2:SCRATCH_EN: 0
; COMPUTE_PGM_RSRC2:USER_SGPR: 6
; COMPUTE_PGM_RSRC2:TRAP_HANDLER: 0
; COMPUTE_PGM_RSRC2:TGID_X_EN: 1
; COMPUTE_PGM_RSRC2:TGID_Y_EN: 0
; COMPUTE_PGM_RSRC2:TGID_Z_EN: 0
; COMPUTE_PGM_RSRC2:TIDIG_COMP_CNT: 0
	.section	.text._ZN7rocprim17ROCPRIM_400000_NS6detail17trampoline_kernelINS0_14default_configENS1_27scan_by_key_config_selectorIiiEEZZNS1_16scan_by_key_implILNS1_25lookback_scan_determinismE0ELb0ES3_N6thrust23THRUST_200600_302600_NS6detail15normal_iteratorINS9_10device_ptrIiEEEESE_SE_iNS9_4plusIiEE19head_flag_predicateiEE10hipError_tPvRmT2_T3_T4_T5_mT6_T7_P12ihipStream_tbENKUlT_T0_E_clISt17integral_constantIbLb0EESY_EEDaST_SU_EUlST_E_NS1_11comp_targetILNS1_3genE0ELNS1_11target_archE4294967295ELNS1_3gpuE0ELNS1_3repE0EEENS1_30default_config_static_selectorELNS0_4arch9wavefront6targetE0EEEvT1_,"axG",@progbits,_ZN7rocprim17ROCPRIM_400000_NS6detail17trampoline_kernelINS0_14default_configENS1_27scan_by_key_config_selectorIiiEEZZNS1_16scan_by_key_implILNS1_25lookback_scan_determinismE0ELb0ES3_N6thrust23THRUST_200600_302600_NS6detail15normal_iteratorINS9_10device_ptrIiEEEESE_SE_iNS9_4plusIiEE19head_flag_predicateiEE10hipError_tPvRmT2_T3_T4_T5_mT6_T7_P12ihipStream_tbENKUlT_T0_E_clISt17integral_constantIbLb0EESY_EEDaST_SU_EUlST_E_NS1_11comp_targetILNS1_3genE0ELNS1_11target_archE4294967295ELNS1_3gpuE0ELNS1_3repE0EEENS1_30default_config_static_selectorELNS0_4arch9wavefront6targetE0EEEvT1_,comdat
	.protected	_ZN7rocprim17ROCPRIM_400000_NS6detail17trampoline_kernelINS0_14default_configENS1_27scan_by_key_config_selectorIiiEEZZNS1_16scan_by_key_implILNS1_25lookback_scan_determinismE0ELb0ES3_N6thrust23THRUST_200600_302600_NS6detail15normal_iteratorINS9_10device_ptrIiEEEESE_SE_iNS9_4plusIiEE19head_flag_predicateiEE10hipError_tPvRmT2_T3_T4_T5_mT6_T7_P12ihipStream_tbENKUlT_T0_E_clISt17integral_constantIbLb0EESY_EEDaST_SU_EUlST_E_NS1_11comp_targetILNS1_3genE0ELNS1_11target_archE4294967295ELNS1_3gpuE0ELNS1_3repE0EEENS1_30default_config_static_selectorELNS0_4arch9wavefront6targetE0EEEvT1_ ; -- Begin function _ZN7rocprim17ROCPRIM_400000_NS6detail17trampoline_kernelINS0_14default_configENS1_27scan_by_key_config_selectorIiiEEZZNS1_16scan_by_key_implILNS1_25lookback_scan_determinismE0ELb0ES3_N6thrust23THRUST_200600_302600_NS6detail15normal_iteratorINS9_10device_ptrIiEEEESE_SE_iNS9_4plusIiEE19head_flag_predicateiEE10hipError_tPvRmT2_T3_T4_T5_mT6_T7_P12ihipStream_tbENKUlT_T0_E_clISt17integral_constantIbLb0EESY_EEDaST_SU_EUlST_E_NS1_11comp_targetILNS1_3genE0ELNS1_11target_archE4294967295ELNS1_3gpuE0ELNS1_3repE0EEENS1_30default_config_static_selectorELNS0_4arch9wavefront6targetE0EEEvT1_
	.globl	_ZN7rocprim17ROCPRIM_400000_NS6detail17trampoline_kernelINS0_14default_configENS1_27scan_by_key_config_selectorIiiEEZZNS1_16scan_by_key_implILNS1_25lookback_scan_determinismE0ELb0ES3_N6thrust23THRUST_200600_302600_NS6detail15normal_iteratorINS9_10device_ptrIiEEEESE_SE_iNS9_4plusIiEE19head_flag_predicateiEE10hipError_tPvRmT2_T3_T4_T5_mT6_T7_P12ihipStream_tbENKUlT_T0_E_clISt17integral_constantIbLb0EESY_EEDaST_SU_EUlST_E_NS1_11comp_targetILNS1_3genE0ELNS1_11target_archE4294967295ELNS1_3gpuE0ELNS1_3repE0EEENS1_30default_config_static_selectorELNS0_4arch9wavefront6targetE0EEEvT1_
	.p2align	8
	.type	_ZN7rocprim17ROCPRIM_400000_NS6detail17trampoline_kernelINS0_14default_configENS1_27scan_by_key_config_selectorIiiEEZZNS1_16scan_by_key_implILNS1_25lookback_scan_determinismE0ELb0ES3_N6thrust23THRUST_200600_302600_NS6detail15normal_iteratorINS9_10device_ptrIiEEEESE_SE_iNS9_4plusIiEE19head_flag_predicateiEE10hipError_tPvRmT2_T3_T4_T5_mT6_T7_P12ihipStream_tbENKUlT_T0_E_clISt17integral_constantIbLb0EESY_EEDaST_SU_EUlST_E_NS1_11comp_targetILNS1_3genE0ELNS1_11target_archE4294967295ELNS1_3gpuE0ELNS1_3repE0EEENS1_30default_config_static_selectorELNS0_4arch9wavefront6targetE0EEEvT1_,@function
_ZN7rocprim17ROCPRIM_400000_NS6detail17trampoline_kernelINS0_14default_configENS1_27scan_by_key_config_selectorIiiEEZZNS1_16scan_by_key_implILNS1_25lookback_scan_determinismE0ELb0ES3_N6thrust23THRUST_200600_302600_NS6detail15normal_iteratorINS9_10device_ptrIiEEEESE_SE_iNS9_4plusIiEE19head_flag_predicateiEE10hipError_tPvRmT2_T3_T4_T5_mT6_T7_P12ihipStream_tbENKUlT_T0_E_clISt17integral_constantIbLb0EESY_EEDaST_SU_EUlST_E_NS1_11comp_targetILNS1_3genE0ELNS1_11target_archE4294967295ELNS1_3gpuE0ELNS1_3repE0EEENS1_30default_config_static_selectorELNS0_4arch9wavefront6targetE0EEEvT1_: ; @_ZN7rocprim17ROCPRIM_400000_NS6detail17trampoline_kernelINS0_14default_configENS1_27scan_by_key_config_selectorIiiEEZZNS1_16scan_by_key_implILNS1_25lookback_scan_determinismE0ELb0ES3_N6thrust23THRUST_200600_302600_NS6detail15normal_iteratorINS9_10device_ptrIiEEEESE_SE_iNS9_4plusIiEE19head_flag_predicateiEE10hipError_tPvRmT2_T3_T4_T5_mT6_T7_P12ihipStream_tbENKUlT_T0_E_clISt17integral_constantIbLb0EESY_EEDaST_SU_EUlST_E_NS1_11comp_targetILNS1_3genE0ELNS1_11target_archE4294967295ELNS1_3gpuE0ELNS1_3repE0EEENS1_30default_config_static_selectorELNS0_4arch9wavefront6targetE0EEEvT1_
; %bb.0:
	.section	.rodata,"a",@progbits
	.p2align	6, 0x0
	.amdhsa_kernel _ZN7rocprim17ROCPRIM_400000_NS6detail17trampoline_kernelINS0_14default_configENS1_27scan_by_key_config_selectorIiiEEZZNS1_16scan_by_key_implILNS1_25lookback_scan_determinismE0ELb0ES3_N6thrust23THRUST_200600_302600_NS6detail15normal_iteratorINS9_10device_ptrIiEEEESE_SE_iNS9_4plusIiEE19head_flag_predicateiEE10hipError_tPvRmT2_T3_T4_T5_mT6_T7_P12ihipStream_tbENKUlT_T0_E_clISt17integral_constantIbLb0EESY_EEDaST_SU_EUlST_E_NS1_11comp_targetILNS1_3genE0ELNS1_11target_archE4294967295ELNS1_3gpuE0ELNS1_3repE0EEENS1_30default_config_static_selectorELNS0_4arch9wavefront6targetE0EEEvT1_
		.amdhsa_group_segment_fixed_size 0
		.amdhsa_private_segment_fixed_size 0
		.amdhsa_kernarg_size 112
		.amdhsa_user_sgpr_count 6
		.amdhsa_user_sgpr_private_segment_buffer 1
		.amdhsa_user_sgpr_dispatch_ptr 0
		.amdhsa_user_sgpr_queue_ptr 0
		.amdhsa_user_sgpr_kernarg_segment_ptr 1
		.amdhsa_user_sgpr_dispatch_id 0
		.amdhsa_user_sgpr_flat_scratch_init 0
		.amdhsa_user_sgpr_private_segment_size 0
		.amdhsa_wavefront_size32 1
		.amdhsa_uses_dynamic_stack 0
		.amdhsa_system_sgpr_private_segment_wavefront_offset 0
		.amdhsa_system_sgpr_workgroup_id_x 1
		.amdhsa_system_sgpr_workgroup_id_y 0
		.amdhsa_system_sgpr_workgroup_id_z 0
		.amdhsa_system_sgpr_workgroup_info 0
		.amdhsa_system_vgpr_workitem_id 0
		.amdhsa_next_free_vgpr 1
		.amdhsa_next_free_sgpr 1
		.amdhsa_reserve_vcc 0
		.amdhsa_reserve_flat_scratch 0
		.amdhsa_float_round_mode_32 0
		.amdhsa_float_round_mode_16_64 0
		.amdhsa_float_denorm_mode_32 3
		.amdhsa_float_denorm_mode_16_64 3
		.amdhsa_dx10_clamp 1
		.amdhsa_ieee_mode 1
		.amdhsa_fp16_overflow 0
		.amdhsa_workgroup_processor_mode 1
		.amdhsa_memory_ordered 1
		.amdhsa_forward_progress 1
		.amdhsa_shared_vgpr_count 0
		.amdhsa_exception_fp_ieee_invalid_op 0
		.amdhsa_exception_fp_denorm_src 0
		.amdhsa_exception_fp_ieee_div_zero 0
		.amdhsa_exception_fp_ieee_overflow 0
		.amdhsa_exception_fp_ieee_underflow 0
		.amdhsa_exception_fp_ieee_inexact 0
		.amdhsa_exception_int_div_zero 0
	.end_amdhsa_kernel
	.section	.text._ZN7rocprim17ROCPRIM_400000_NS6detail17trampoline_kernelINS0_14default_configENS1_27scan_by_key_config_selectorIiiEEZZNS1_16scan_by_key_implILNS1_25lookback_scan_determinismE0ELb0ES3_N6thrust23THRUST_200600_302600_NS6detail15normal_iteratorINS9_10device_ptrIiEEEESE_SE_iNS9_4plusIiEE19head_flag_predicateiEE10hipError_tPvRmT2_T3_T4_T5_mT6_T7_P12ihipStream_tbENKUlT_T0_E_clISt17integral_constantIbLb0EESY_EEDaST_SU_EUlST_E_NS1_11comp_targetILNS1_3genE0ELNS1_11target_archE4294967295ELNS1_3gpuE0ELNS1_3repE0EEENS1_30default_config_static_selectorELNS0_4arch9wavefront6targetE0EEEvT1_,"axG",@progbits,_ZN7rocprim17ROCPRIM_400000_NS6detail17trampoline_kernelINS0_14default_configENS1_27scan_by_key_config_selectorIiiEEZZNS1_16scan_by_key_implILNS1_25lookback_scan_determinismE0ELb0ES3_N6thrust23THRUST_200600_302600_NS6detail15normal_iteratorINS9_10device_ptrIiEEEESE_SE_iNS9_4plusIiEE19head_flag_predicateiEE10hipError_tPvRmT2_T3_T4_T5_mT6_T7_P12ihipStream_tbENKUlT_T0_E_clISt17integral_constantIbLb0EESY_EEDaST_SU_EUlST_E_NS1_11comp_targetILNS1_3genE0ELNS1_11target_archE4294967295ELNS1_3gpuE0ELNS1_3repE0EEENS1_30default_config_static_selectorELNS0_4arch9wavefront6targetE0EEEvT1_,comdat
.Lfunc_end749:
	.size	_ZN7rocprim17ROCPRIM_400000_NS6detail17trampoline_kernelINS0_14default_configENS1_27scan_by_key_config_selectorIiiEEZZNS1_16scan_by_key_implILNS1_25lookback_scan_determinismE0ELb0ES3_N6thrust23THRUST_200600_302600_NS6detail15normal_iteratorINS9_10device_ptrIiEEEESE_SE_iNS9_4plusIiEE19head_flag_predicateiEE10hipError_tPvRmT2_T3_T4_T5_mT6_T7_P12ihipStream_tbENKUlT_T0_E_clISt17integral_constantIbLb0EESY_EEDaST_SU_EUlST_E_NS1_11comp_targetILNS1_3genE0ELNS1_11target_archE4294967295ELNS1_3gpuE0ELNS1_3repE0EEENS1_30default_config_static_selectorELNS0_4arch9wavefront6targetE0EEEvT1_, .Lfunc_end749-_ZN7rocprim17ROCPRIM_400000_NS6detail17trampoline_kernelINS0_14default_configENS1_27scan_by_key_config_selectorIiiEEZZNS1_16scan_by_key_implILNS1_25lookback_scan_determinismE0ELb0ES3_N6thrust23THRUST_200600_302600_NS6detail15normal_iteratorINS9_10device_ptrIiEEEESE_SE_iNS9_4plusIiEE19head_flag_predicateiEE10hipError_tPvRmT2_T3_T4_T5_mT6_T7_P12ihipStream_tbENKUlT_T0_E_clISt17integral_constantIbLb0EESY_EEDaST_SU_EUlST_E_NS1_11comp_targetILNS1_3genE0ELNS1_11target_archE4294967295ELNS1_3gpuE0ELNS1_3repE0EEENS1_30default_config_static_selectorELNS0_4arch9wavefront6targetE0EEEvT1_
                                        ; -- End function
	.set _ZN7rocprim17ROCPRIM_400000_NS6detail17trampoline_kernelINS0_14default_configENS1_27scan_by_key_config_selectorIiiEEZZNS1_16scan_by_key_implILNS1_25lookback_scan_determinismE0ELb0ES3_N6thrust23THRUST_200600_302600_NS6detail15normal_iteratorINS9_10device_ptrIiEEEESE_SE_iNS9_4plusIiEE19head_flag_predicateiEE10hipError_tPvRmT2_T3_T4_T5_mT6_T7_P12ihipStream_tbENKUlT_T0_E_clISt17integral_constantIbLb0EESY_EEDaST_SU_EUlST_E_NS1_11comp_targetILNS1_3genE0ELNS1_11target_archE4294967295ELNS1_3gpuE0ELNS1_3repE0EEENS1_30default_config_static_selectorELNS0_4arch9wavefront6targetE0EEEvT1_.num_vgpr, 0
	.set _ZN7rocprim17ROCPRIM_400000_NS6detail17trampoline_kernelINS0_14default_configENS1_27scan_by_key_config_selectorIiiEEZZNS1_16scan_by_key_implILNS1_25lookback_scan_determinismE0ELb0ES3_N6thrust23THRUST_200600_302600_NS6detail15normal_iteratorINS9_10device_ptrIiEEEESE_SE_iNS9_4plusIiEE19head_flag_predicateiEE10hipError_tPvRmT2_T3_T4_T5_mT6_T7_P12ihipStream_tbENKUlT_T0_E_clISt17integral_constantIbLb0EESY_EEDaST_SU_EUlST_E_NS1_11comp_targetILNS1_3genE0ELNS1_11target_archE4294967295ELNS1_3gpuE0ELNS1_3repE0EEENS1_30default_config_static_selectorELNS0_4arch9wavefront6targetE0EEEvT1_.num_agpr, 0
	.set _ZN7rocprim17ROCPRIM_400000_NS6detail17trampoline_kernelINS0_14default_configENS1_27scan_by_key_config_selectorIiiEEZZNS1_16scan_by_key_implILNS1_25lookback_scan_determinismE0ELb0ES3_N6thrust23THRUST_200600_302600_NS6detail15normal_iteratorINS9_10device_ptrIiEEEESE_SE_iNS9_4plusIiEE19head_flag_predicateiEE10hipError_tPvRmT2_T3_T4_T5_mT6_T7_P12ihipStream_tbENKUlT_T0_E_clISt17integral_constantIbLb0EESY_EEDaST_SU_EUlST_E_NS1_11comp_targetILNS1_3genE0ELNS1_11target_archE4294967295ELNS1_3gpuE0ELNS1_3repE0EEENS1_30default_config_static_selectorELNS0_4arch9wavefront6targetE0EEEvT1_.numbered_sgpr, 0
	.set _ZN7rocprim17ROCPRIM_400000_NS6detail17trampoline_kernelINS0_14default_configENS1_27scan_by_key_config_selectorIiiEEZZNS1_16scan_by_key_implILNS1_25lookback_scan_determinismE0ELb0ES3_N6thrust23THRUST_200600_302600_NS6detail15normal_iteratorINS9_10device_ptrIiEEEESE_SE_iNS9_4plusIiEE19head_flag_predicateiEE10hipError_tPvRmT2_T3_T4_T5_mT6_T7_P12ihipStream_tbENKUlT_T0_E_clISt17integral_constantIbLb0EESY_EEDaST_SU_EUlST_E_NS1_11comp_targetILNS1_3genE0ELNS1_11target_archE4294967295ELNS1_3gpuE0ELNS1_3repE0EEENS1_30default_config_static_selectorELNS0_4arch9wavefront6targetE0EEEvT1_.num_named_barrier, 0
	.set _ZN7rocprim17ROCPRIM_400000_NS6detail17trampoline_kernelINS0_14default_configENS1_27scan_by_key_config_selectorIiiEEZZNS1_16scan_by_key_implILNS1_25lookback_scan_determinismE0ELb0ES3_N6thrust23THRUST_200600_302600_NS6detail15normal_iteratorINS9_10device_ptrIiEEEESE_SE_iNS9_4plusIiEE19head_flag_predicateiEE10hipError_tPvRmT2_T3_T4_T5_mT6_T7_P12ihipStream_tbENKUlT_T0_E_clISt17integral_constantIbLb0EESY_EEDaST_SU_EUlST_E_NS1_11comp_targetILNS1_3genE0ELNS1_11target_archE4294967295ELNS1_3gpuE0ELNS1_3repE0EEENS1_30default_config_static_selectorELNS0_4arch9wavefront6targetE0EEEvT1_.private_seg_size, 0
	.set _ZN7rocprim17ROCPRIM_400000_NS6detail17trampoline_kernelINS0_14default_configENS1_27scan_by_key_config_selectorIiiEEZZNS1_16scan_by_key_implILNS1_25lookback_scan_determinismE0ELb0ES3_N6thrust23THRUST_200600_302600_NS6detail15normal_iteratorINS9_10device_ptrIiEEEESE_SE_iNS9_4plusIiEE19head_flag_predicateiEE10hipError_tPvRmT2_T3_T4_T5_mT6_T7_P12ihipStream_tbENKUlT_T0_E_clISt17integral_constantIbLb0EESY_EEDaST_SU_EUlST_E_NS1_11comp_targetILNS1_3genE0ELNS1_11target_archE4294967295ELNS1_3gpuE0ELNS1_3repE0EEENS1_30default_config_static_selectorELNS0_4arch9wavefront6targetE0EEEvT1_.uses_vcc, 0
	.set _ZN7rocprim17ROCPRIM_400000_NS6detail17trampoline_kernelINS0_14default_configENS1_27scan_by_key_config_selectorIiiEEZZNS1_16scan_by_key_implILNS1_25lookback_scan_determinismE0ELb0ES3_N6thrust23THRUST_200600_302600_NS6detail15normal_iteratorINS9_10device_ptrIiEEEESE_SE_iNS9_4plusIiEE19head_flag_predicateiEE10hipError_tPvRmT2_T3_T4_T5_mT6_T7_P12ihipStream_tbENKUlT_T0_E_clISt17integral_constantIbLb0EESY_EEDaST_SU_EUlST_E_NS1_11comp_targetILNS1_3genE0ELNS1_11target_archE4294967295ELNS1_3gpuE0ELNS1_3repE0EEENS1_30default_config_static_selectorELNS0_4arch9wavefront6targetE0EEEvT1_.uses_flat_scratch, 0
	.set _ZN7rocprim17ROCPRIM_400000_NS6detail17trampoline_kernelINS0_14default_configENS1_27scan_by_key_config_selectorIiiEEZZNS1_16scan_by_key_implILNS1_25lookback_scan_determinismE0ELb0ES3_N6thrust23THRUST_200600_302600_NS6detail15normal_iteratorINS9_10device_ptrIiEEEESE_SE_iNS9_4plusIiEE19head_flag_predicateiEE10hipError_tPvRmT2_T3_T4_T5_mT6_T7_P12ihipStream_tbENKUlT_T0_E_clISt17integral_constantIbLb0EESY_EEDaST_SU_EUlST_E_NS1_11comp_targetILNS1_3genE0ELNS1_11target_archE4294967295ELNS1_3gpuE0ELNS1_3repE0EEENS1_30default_config_static_selectorELNS0_4arch9wavefront6targetE0EEEvT1_.has_dyn_sized_stack, 0
	.set _ZN7rocprim17ROCPRIM_400000_NS6detail17trampoline_kernelINS0_14default_configENS1_27scan_by_key_config_selectorIiiEEZZNS1_16scan_by_key_implILNS1_25lookback_scan_determinismE0ELb0ES3_N6thrust23THRUST_200600_302600_NS6detail15normal_iteratorINS9_10device_ptrIiEEEESE_SE_iNS9_4plusIiEE19head_flag_predicateiEE10hipError_tPvRmT2_T3_T4_T5_mT6_T7_P12ihipStream_tbENKUlT_T0_E_clISt17integral_constantIbLb0EESY_EEDaST_SU_EUlST_E_NS1_11comp_targetILNS1_3genE0ELNS1_11target_archE4294967295ELNS1_3gpuE0ELNS1_3repE0EEENS1_30default_config_static_selectorELNS0_4arch9wavefront6targetE0EEEvT1_.has_recursion, 0
	.set _ZN7rocprim17ROCPRIM_400000_NS6detail17trampoline_kernelINS0_14default_configENS1_27scan_by_key_config_selectorIiiEEZZNS1_16scan_by_key_implILNS1_25lookback_scan_determinismE0ELb0ES3_N6thrust23THRUST_200600_302600_NS6detail15normal_iteratorINS9_10device_ptrIiEEEESE_SE_iNS9_4plusIiEE19head_flag_predicateiEE10hipError_tPvRmT2_T3_T4_T5_mT6_T7_P12ihipStream_tbENKUlT_T0_E_clISt17integral_constantIbLb0EESY_EEDaST_SU_EUlST_E_NS1_11comp_targetILNS1_3genE0ELNS1_11target_archE4294967295ELNS1_3gpuE0ELNS1_3repE0EEENS1_30default_config_static_selectorELNS0_4arch9wavefront6targetE0EEEvT1_.has_indirect_call, 0
	.section	.AMDGPU.csdata,"",@progbits
; Kernel info:
; codeLenInByte = 0
; TotalNumSgprs: 0
; NumVgprs: 0
; ScratchSize: 0
; MemoryBound: 0
; FloatMode: 240
; IeeeMode: 1
; LDSByteSize: 0 bytes/workgroup (compile time only)
; SGPRBlocks: 0
; VGPRBlocks: 0
; NumSGPRsForWavesPerEU: 1
; NumVGPRsForWavesPerEU: 1
; Occupancy: 16
; WaveLimiterHint : 0
; COMPUTE_PGM_RSRC2:SCRATCH_EN: 0
; COMPUTE_PGM_RSRC2:USER_SGPR: 6
; COMPUTE_PGM_RSRC2:TRAP_HANDLER: 0
; COMPUTE_PGM_RSRC2:TGID_X_EN: 1
; COMPUTE_PGM_RSRC2:TGID_Y_EN: 0
; COMPUTE_PGM_RSRC2:TGID_Z_EN: 0
; COMPUTE_PGM_RSRC2:TIDIG_COMP_CNT: 0
	.section	.text._ZN7rocprim17ROCPRIM_400000_NS6detail17trampoline_kernelINS0_14default_configENS1_27scan_by_key_config_selectorIiiEEZZNS1_16scan_by_key_implILNS1_25lookback_scan_determinismE0ELb0ES3_N6thrust23THRUST_200600_302600_NS6detail15normal_iteratorINS9_10device_ptrIiEEEESE_SE_iNS9_4plusIiEE19head_flag_predicateiEE10hipError_tPvRmT2_T3_T4_T5_mT6_T7_P12ihipStream_tbENKUlT_T0_E_clISt17integral_constantIbLb0EESY_EEDaST_SU_EUlST_E_NS1_11comp_targetILNS1_3genE10ELNS1_11target_archE1201ELNS1_3gpuE5ELNS1_3repE0EEENS1_30default_config_static_selectorELNS0_4arch9wavefront6targetE0EEEvT1_,"axG",@progbits,_ZN7rocprim17ROCPRIM_400000_NS6detail17trampoline_kernelINS0_14default_configENS1_27scan_by_key_config_selectorIiiEEZZNS1_16scan_by_key_implILNS1_25lookback_scan_determinismE0ELb0ES3_N6thrust23THRUST_200600_302600_NS6detail15normal_iteratorINS9_10device_ptrIiEEEESE_SE_iNS9_4plusIiEE19head_flag_predicateiEE10hipError_tPvRmT2_T3_T4_T5_mT6_T7_P12ihipStream_tbENKUlT_T0_E_clISt17integral_constantIbLb0EESY_EEDaST_SU_EUlST_E_NS1_11comp_targetILNS1_3genE10ELNS1_11target_archE1201ELNS1_3gpuE5ELNS1_3repE0EEENS1_30default_config_static_selectorELNS0_4arch9wavefront6targetE0EEEvT1_,comdat
	.protected	_ZN7rocprim17ROCPRIM_400000_NS6detail17trampoline_kernelINS0_14default_configENS1_27scan_by_key_config_selectorIiiEEZZNS1_16scan_by_key_implILNS1_25lookback_scan_determinismE0ELb0ES3_N6thrust23THRUST_200600_302600_NS6detail15normal_iteratorINS9_10device_ptrIiEEEESE_SE_iNS9_4plusIiEE19head_flag_predicateiEE10hipError_tPvRmT2_T3_T4_T5_mT6_T7_P12ihipStream_tbENKUlT_T0_E_clISt17integral_constantIbLb0EESY_EEDaST_SU_EUlST_E_NS1_11comp_targetILNS1_3genE10ELNS1_11target_archE1201ELNS1_3gpuE5ELNS1_3repE0EEENS1_30default_config_static_selectorELNS0_4arch9wavefront6targetE0EEEvT1_ ; -- Begin function _ZN7rocprim17ROCPRIM_400000_NS6detail17trampoline_kernelINS0_14default_configENS1_27scan_by_key_config_selectorIiiEEZZNS1_16scan_by_key_implILNS1_25lookback_scan_determinismE0ELb0ES3_N6thrust23THRUST_200600_302600_NS6detail15normal_iteratorINS9_10device_ptrIiEEEESE_SE_iNS9_4plusIiEE19head_flag_predicateiEE10hipError_tPvRmT2_T3_T4_T5_mT6_T7_P12ihipStream_tbENKUlT_T0_E_clISt17integral_constantIbLb0EESY_EEDaST_SU_EUlST_E_NS1_11comp_targetILNS1_3genE10ELNS1_11target_archE1201ELNS1_3gpuE5ELNS1_3repE0EEENS1_30default_config_static_selectorELNS0_4arch9wavefront6targetE0EEEvT1_
	.globl	_ZN7rocprim17ROCPRIM_400000_NS6detail17trampoline_kernelINS0_14default_configENS1_27scan_by_key_config_selectorIiiEEZZNS1_16scan_by_key_implILNS1_25lookback_scan_determinismE0ELb0ES3_N6thrust23THRUST_200600_302600_NS6detail15normal_iteratorINS9_10device_ptrIiEEEESE_SE_iNS9_4plusIiEE19head_flag_predicateiEE10hipError_tPvRmT2_T3_T4_T5_mT6_T7_P12ihipStream_tbENKUlT_T0_E_clISt17integral_constantIbLb0EESY_EEDaST_SU_EUlST_E_NS1_11comp_targetILNS1_3genE10ELNS1_11target_archE1201ELNS1_3gpuE5ELNS1_3repE0EEENS1_30default_config_static_selectorELNS0_4arch9wavefront6targetE0EEEvT1_
	.p2align	8
	.type	_ZN7rocprim17ROCPRIM_400000_NS6detail17trampoline_kernelINS0_14default_configENS1_27scan_by_key_config_selectorIiiEEZZNS1_16scan_by_key_implILNS1_25lookback_scan_determinismE0ELb0ES3_N6thrust23THRUST_200600_302600_NS6detail15normal_iteratorINS9_10device_ptrIiEEEESE_SE_iNS9_4plusIiEE19head_flag_predicateiEE10hipError_tPvRmT2_T3_T4_T5_mT6_T7_P12ihipStream_tbENKUlT_T0_E_clISt17integral_constantIbLb0EESY_EEDaST_SU_EUlST_E_NS1_11comp_targetILNS1_3genE10ELNS1_11target_archE1201ELNS1_3gpuE5ELNS1_3repE0EEENS1_30default_config_static_selectorELNS0_4arch9wavefront6targetE0EEEvT1_,@function
_ZN7rocprim17ROCPRIM_400000_NS6detail17trampoline_kernelINS0_14default_configENS1_27scan_by_key_config_selectorIiiEEZZNS1_16scan_by_key_implILNS1_25lookback_scan_determinismE0ELb0ES3_N6thrust23THRUST_200600_302600_NS6detail15normal_iteratorINS9_10device_ptrIiEEEESE_SE_iNS9_4plusIiEE19head_flag_predicateiEE10hipError_tPvRmT2_T3_T4_T5_mT6_T7_P12ihipStream_tbENKUlT_T0_E_clISt17integral_constantIbLb0EESY_EEDaST_SU_EUlST_E_NS1_11comp_targetILNS1_3genE10ELNS1_11target_archE1201ELNS1_3gpuE5ELNS1_3repE0EEENS1_30default_config_static_selectorELNS0_4arch9wavefront6targetE0EEEvT1_: ; @_ZN7rocprim17ROCPRIM_400000_NS6detail17trampoline_kernelINS0_14default_configENS1_27scan_by_key_config_selectorIiiEEZZNS1_16scan_by_key_implILNS1_25lookback_scan_determinismE0ELb0ES3_N6thrust23THRUST_200600_302600_NS6detail15normal_iteratorINS9_10device_ptrIiEEEESE_SE_iNS9_4plusIiEE19head_flag_predicateiEE10hipError_tPvRmT2_T3_T4_T5_mT6_T7_P12ihipStream_tbENKUlT_T0_E_clISt17integral_constantIbLb0EESY_EEDaST_SU_EUlST_E_NS1_11comp_targetILNS1_3genE10ELNS1_11target_archE1201ELNS1_3gpuE5ELNS1_3repE0EEENS1_30default_config_static_selectorELNS0_4arch9wavefront6targetE0EEEvT1_
; %bb.0:
	.section	.rodata,"a",@progbits
	.p2align	6, 0x0
	.amdhsa_kernel _ZN7rocprim17ROCPRIM_400000_NS6detail17trampoline_kernelINS0_14default_configENS1_27scan_by_key_config_selectorIiiEEZZNS1_16scan_by_key_implILNS1_25lookback_scan_determinismE0ELb0ES3_N6thrust23THRUST_200600_302600_NS6detail15normal_iteratorINS9_10device_ptrIiEEEESE_SE_iNS9_4plusIiEE19head_flag_predicateiEE10hipError_tPvRmT2_T3_T4_T5_mT6_T7_P12ihipStream_tbENKUlT_T0_E_clISt17integral_constantIbLb0EESY_EEDaST_SU_EUlST_E_NS1_11comp_targetILNS1_3genE10ELNS1_11target_archE1201ELNS1_3gpuE5ELNS1_3repE0EEENS1_30default_config_static_selectorELNS0_4arch9wavefront6targetE0EEEvT1_
		.amdhsa_group_segment_fixed_size 0
		.amdhsa_private_segment_fixed_size 0
		.amdhsa_kernarg_size 112
		.amdhsa_user_sgpr_count 6
		.amdhsa_user_sgpr_private_segment_buffer 1
		.amdhsa_user_sgpr_dispatch_ptr 0
		.amdhsa_user_sgpr_queue_ptr 0
		.amdhsa_user_sgpr_kernarg_segment_ptr 1
		.amdhsa_user_sgpr_dispatch_id 0
		.amdhsa_user_sgpr_flat_scratch_init 0
		.amdhsa_user_sgpr_private_segment_size 0
		.amdhsa_wavefront_size32 1
		.amdhsa_uses_dynamic_stack 0
		.amdhsa_system_sgpr_private_segment_wavefront_offset 0
		.amdhsa_system_sgpr_workgroup_id_x 1
		.amdhsa_system_sgpr_workgroup_id_y 0
		.amdhsa_system_sgpr_workgroup_id_z 0
		.amdhsa_system_sgpr_workgroup_info 0
		.amdhsa_system_vgpr_workitem_id 0
		.amdhsa_next_free_vgpr 1
		.amdhsa_next_free_sgpr 1
		.amdhsa_reserve_vcc 0
		.amdhsa_reserve_flat_scratch 0
		.amdhsa_float_round_mode_32 0
		.amdhsa_float_round_mode_16_64 0
		.amdhsa_float_denorm_mode_32 3
		.amdhsa_float_denorm_mode_16_64 3
		.amdhsa_dx10_clamp 1
		.amdhsa_ieee_mode 1
		.amdhsa_fp16_overflow 0
		.amdhsa_workgroup_processor_mode 1
		.amdhsa_memory_ordered 1
		.amdhsa_forward_progress 1
		.amdhsa_shared_vgpr_count 0
		.amdhsa_exception_fp_ieee_invalid_op 0
		.amdhsa_exception_fp_denorm_src 0
		.amdhsa_exception_fp_ieee_div_zero 0
		.amdhsa_exception_fp_ieee_overflow 0
		.amdhsa_exception_fp_ieee_underflow 0
		.amdhsa_exception_fp_ieee_inexact 0
		.amdhsa_exception_int_div_zero 0
	.end_amdhsa_kernel
	.section	.text._ZN7rocprim17ROCPRIM_400000_NS6detail17trampoline_kernelINS0_14default_configENS1_27scan_by_key_config_selectorIiiEEZZNS1_16scan_by_key_implILNS1_25lookback_scan_determinismE0ELb0ES3_N6thrust23THRUST_200600_302600_NS6detail15normal_iteratorINS9_10device_ptrIiEEEESE_SE_iNS9_4plusIiEE19head_flag_predicateiEE10hipError_tPvRmT2_T3_T4_T5_mT6_T7_P12ihipStream_tbENKUlT_T0_E_clISt17integral_constantIbLb0EESY_EEDaST_SU_EUlST_E_NS1_11comp_targetILNS1_3genE10ELNS1_11target_archE1201ELNS1_3gpuE5ELNS1_3repE0EEENS1_30default_config_static_selectorELNS0_4arch9wavefront6targetE0EEEvT1_,"axG",@progbits,_ZN7rocprim17ROCPRIM_400000_NS6detail17trampoline_kernelINS0_14default_configENS1_27scan_by_key_config_selectorIiiEEZZNS1_16scan_by_key_implILNS1_25lookback_scan_determinismE0ELb0ES3_N6thrust23THRUST_200600_302600_NS6detail15normal_iteratorINS9_10device_ptrIiEEEESE_SE_iNS9_4plusIiEE19head_flag_predicateiEE10hipError_tPvRmT2_T3_T4_T5_mT6_T7_P12ihipStream_tbENKUlT_T0_E_clISt17integral_constantIbLb0EESY_EEDaST_SU_EUlST_E_NS1_11comp_targetILNS1_3genE10ELNS1_11target_archE1201ELNS1_3gpuE5ELNS1_3repE0EEENS1_30default_config_static_selectorELNS0_4arch9wavefront6targetE0EEEvT1_,comdat
.Lfunc_end750:
	.size	_ZN7rocprim17ROCPRIM_400000_NS6detail17trampoline_kernelINS0_14default_configENS1_27scan_by_key_config_selectorIiiEEZZNS1_16scan_by_key_implILNS1_25lookback_scan_determinismE0ELb0ES3_N6thrust23THRUST_200600_302600_NS6detail15normal_iteratorINS9_10device_ptrIiEEEESE_SE_iNS9_4plusIiEE19head_flag_predicateiEE10hipError_tPvRmT2_T3_T4_T5_mT6_T7_P12ihipStream_tbENKUlT_T0_E_clISt17integral_constantIbLb0EESY_EEDaST_SU_EUlST_E_NS1_11comp_targetILNS1_3genE10ELNS1_11target_archE1201ELNS1_3gpuE5ELNS1_3repE0EEENS1_30default_config_static_selectorELNS0_4arch9wavefront6targetE0EEEvT1_, .Lfunc_end750-_ZN7rocprim17ROCPRIM_400000_NS6detail17trampoline_kernelINS0_14default_configENS1_27scan_by_key_config_selectorIiiEEZZNS1_16scan_by_key_implILNS1_25lookback_scan_determinismE0ELb0ES3_N6thrust23THRUST_200600_302600_NS6detail15normal_iteratorINS9_10device_ptrIiEEEESE_SE_iNS9_4plusIiEE19head_flag_predicateiEE10hipError_tPvRmT2_T3_T4_T5_mT6_T7_P12ihipStream_tbENKUlT_T0_E_clISt17integral_constantIbLb0EESY_EEDaST_SU_EUlST_E_NS1_11comp_targetILNS1_3genE10ELNS1_11target_archE1201ELNS1_3gpuE5ELNS1_3repE0EEENS1_30default_config_static_selectorELNS0_4arch9wavefront6targetE0EEEvT1_
                                        ; -- End function
	.set _ZN7rocprim17ROCPRIM_400000_NS6detail17trampoline_kernelINS0_14default_configENS1_27scan_by_key_config_selectorIiiEEZZNS1_16scan_by_key_implILNS1_25lookback_scan_determinismE0ELb0ES3_N6thrust23THRUST_200600_302600_NS6detail15normal_iteratorINS9_10device_ptrIiEEEESE_SE_iNS9_4plusIiEE19head_flag_predicateiEE10hipError_tPvRmT2_T3_T4_T5_mT6_T7_P12ihipStream_tbENKUlT_T0_E_clISt17integral_constantIbLb0EESY_EEDaST_SU_EUlST_E_NS1_11comp_targetILNS1_3genE10ELNS1_11target_archE1201ELNS1_3gpuE5ELNS1_3repE0EEENS1_30default_config_static_selectorELNS0_4arch9wavefront6targetE0EEEvT1_.num_vgpr, 0
	.set _ZN7rocprim17ROCPRIM_400000_NS6detail17trampoline_kernelINS0_14default_configENS1_27scan_by_key_config_selectorIiiEEZZNS1_16scan_by_key_implILNS1_25lookback_scan_determinismE0ELb0ES3_N6thrust23THRUST_200600_302600_NS6detail15normal_iteratorINS9_10device_ptrIiEEEESE_SE_iNS9_4plusIiEE19head_flag_predicateiEE10hipError_tPvRmT2_T3_T4_T5_mT6_T7_P12ihipStream_tbENKUlT_T0_E_clISt17integral_constantIbLb0EESY_EEDaST_SU_EUlST_E_NS1_11comp_targetILNS1_3genE10ELNS1_11target_archE1201ELNS1_3gpuE5ELNS1_3repE0EEENS1_30default_config_static_selectorELNS0_4arch9wavefront6targetE0EEEvT1_.num_agpr, 0
	.set _ZN7rocprim17ROCPRIM_400000_NS6detail17trampoline_kernelINS0_14default_configENS1_27scan_by_key_config_selectorIiiEEZZNS1_16scan_by_key_implILNS1_25lookback_scan_determinismE0ELb0ES3_N6thrust23THRUST_200600_302600_NS6detail15normal_iteratorINS9_10device_ptrIiEEEESE_SE_iNS9_4plusIiEE19head_flag_predicateiEE10hipError_tPvRmT2_T3_T4_T5_mT6_T7_P12ihipStream_tbENKUlT_T0_E_clISt17integral_constantIbLb0EESY_EEDaST_SU_EUlST_E_NS1_11comp_targetILNS1_3genE10ELNS1_11target_archE1201ELNS1_3gpuE5ELNS1_3repE0EEENS1_30default_config_static_selectorELNS0_4arch9wavefront6targetE0EEEvT1_.numbered_sgpr, 0
	.set _ZN7rocprim17ROCPRIM_400000_NS6detail17trampoline_kernelINS0_14default_configENS1_27scan_by_key_config_selectorIiiEEZZNS1_16scan_by_key_implILNS1_25lookback_scan_determinismE0ELb0ES3_N6thrust23THRUST_200600_302600_NS6detail15normal_iteratorINS9_10device_ptrIiEEEESE_SE_iNS9_4plusIiEE19head_flag_predicateiEE10hipError_tPvRmT2_T3_T4_T5_mT6_T7_P12ihipStream_tbENKUlT_T0_E_clISt17integral_constantIbLb0EESY_EEDaST_SU_EUlST_E_NS1_11comp_targetILNS1_3genE10ELNS1_11target_archE1201ELNS1_3gpuE5ELNS1_3repE0EEENS1_30default_config_static_selectorELNS0_4arch9wavefront6targetE0EEEvT1_.num_named_barrier, 0
	.set _ZN7rocprim17ROCPRIM_400000_NS6detail17trampoline_kernelINS0_14default_configENS1_27scan_by_key_config_selectorIiiEEZZNS1_16scan_by_key_implILNS1_25lookback_scan_determinismE0ELb0ES3_N6thrust23THRUST_200600_302600_NS6detail15normal_iteratorINS9_10device_ptrIiEEEESE_SE_iNS9_4plusIiEE19head_flag_predicateiEE10hipError_tPvRmT2_T3_T4_T5_mT6_T7_P12ihipStream_tbENKUlT_T0_E_clISt17integral_constantIbLb0EESY_EEDaST_SU_EUlST_E_NS1_11comp_targetILNS1_3genE10ELNS1_11target_archE1201ELNS1_3gpuE5ELNS1_3repE0EEENS1_30default_config_static_selectorELNS0_4arch9wavefront6targetE0EEEvT1_.private_seg_size, 0
	.set _ZN7rocprim17ROCPRIM_400000_NS6detail17trampoline_kernelINS0_14default_configENS1_27scan_by_key_config_selectorIiiEEZZNS1_16scan_by_key_implILNS1_25lookback_scan_determinismE0ELb0ES3_N6thrust23THRUST_200600_302600_NS6detail15normal_iteratorINS9_10device_ptrIiEEEESE_SE_iNS9_4plusIiEE19head_flag_predicateiEE10hipError_tPvRmT2_T3_T4_T5_mT6_T7_P12ihipStream_tbENKUlT_T0_E_clISt17integral_constantIbLb0EESY_EEDaST_SU_EUlST_E_NS1_11comp_targetILNS1_3genE10ELNS1_11target_archE1201ELNS1_3gpuE5ELNS1_3repE0EEENS1_30default_config_static_selectorELNS0_4arch9wavefront6targetE0EEEvT1_.uses_vcc, 0
	.set _ZN7rocprim17ROCPRIM_400000_NS6detail17trampoline_kernelINS0_14default_configENS1_27scan_by_key_config_selectorIiiEEZZNS1_16scan_by_key_implILNS1_25lookback_scan_determinismE0ELb0ES3_N6thrust23THRUST_200600_302600_NS6detail15normal_iteratorINS9_10device_ptrIiEEEESE_SE_iNS9_4plusIiEE19head_flag_predicateiEE10hipError_tPvRmT2_T3_T4_T5_mT6_T7_P12ihipStream_tbENKUlT_T0_E_clISt17integral_constantIbLb0EESY_EEDaST_SU_EUlST_E_NS1_11comp_targetILNS1_3genE10ELNS1_11target_archE1201ELNS1_3gpuE5ELNS1_3repE0EEENS1_30default_config_static_selectorELNS0_4arch9wavefront6targetE0EEEvT1_.uses_flat_scratch, 0
	.set _ZN7rocprim17ROCPRIM_400000_NS6detail17trampoline_kernelINS0_14default_configENS1_27scan_by_key_config_selectorIiiEEZZNS1_16scan_by_key_implILNS1_25lookback_scan_determinismE0ELb0ES3_N6thrust23THRUST_200600_302600_NS6detail15normal_iteratorINS9_10device_ptrIiEEEESE_SE_iNS9_4plusIiEE19head_flag_predicateiEE10hipError_tPvRmT2_T3_T4_T5_mT6_T7_P12ihipStream_tbENKUlT_T0_E_clISt17integral_constantIbLb0EESY_EEDaST_SU_EUlST_E_NS1_11comp_targetILNS1_3genE10ELNS1_11target_archE1201ELNS1_3gpuE5ELNS1_3repE0EEENS1_30default_config_static_selectorELNS0_4arch9wavefront6targetE0EEEvT1_.has_dyn_sized_stack, 0
	.set _ZN7rocprim17ROCPRIM_400000_NS6detail17trampoline_kernelINS0_14default_configENS1_27scan_by_key_config_selectorIiiEEZZNS1_16scan_by_key_implILNS1_25lookback_scan_determinismE0ELb0ES3_N6thrust23THRUST_200600_302600_NS6detail15normal_iteratorINS9_10device_ptrIiEEEESE_SE_iNS9_4plusIiEE19head_flag_predicateiEE10hipError_tPvRmT2_T3_T4_T5_mT6_T7_P12ihipStream_tbENKUlT_T0_E_clISt17integral_constantIbLb0EESY_EEDaST_SU_EUlST_E_NS1_11comp_targetILNS1_3genE10ELNS1_11target_archE1201ELNS1_3gpuE5ELNS1_3repE0EEENS1_30default_config_static_selectorELNS0_4arch9wavefront6targetE0EEEvT1_.has_recursion, 0
	.set _ZN7rocprim17ROCPRIM_400000_NS6detail17trampoline_kernelINS0_14default_configENS1_27scan_by_key_config_selectorIiiEEZZNS1_16scan_by_key_implILNS1_25lookback_scan_determinismE0ELb0ES3_N6thrust23THRUST_200600_302600_NS6detail15normal_iteratorINS9_10device_ptrIiEEEESE_SE_iNS9_4plusIiEE19head_flag_predicateiEE10hipError_tPvRmT2_T3_T4_T5_mT6_T7_P12ihipStream_tbENKUlT_T0_E_clISt17integral_constantIbLb0EESY_EEDaST_SU_EUlST_E_NS1_11comp_targetILNS1_3genE10ELNS1_11target_archE1201ELNS1_3gpuE5ELNS1_3repE0EEENS1_30default_config_static_selectorELNS0_4arch9wavefront6targetE0EEEvT1_.has_indirect_call, 0
	.section	.AMDGPU.csdata,"",@progbits
; Kernel info:
; codeLenInByte = 0
; TotalNumSgprs: 0
; NumVgprs: 0
; ScratchSize: 0
; MemoryBound: 0
; FloatMode: 240
; IeeeMode: 1
; LDSByteSize: 0 bytes/workgroup (compile time only)
; SGPRBlocks: 0
; VGPRBlocks: 0
; NumSGPRsForWavesPerEU: 1
; NumVGPRsForWavesPerEU: 1
; Occupancy: 16
; WaveLimiterHint : 0
; COMPUTE_PGM_RSRC2:SCRATCH_EN: 0
; COMPUTE_PGM_RSRC2:USER_SGPR: 6
; COMPUTE_PGM_RSRC2:TRAP_HANDLER: 0
; COMPUTE_PGM_RSRC2:TGID_X_EN: 1
; COMPUTE_PGM_RSRC2:TGID_Y_EN: 0
; COMPUTE_PGM_RSRC2:TGID_Z_EN: 0
; COMPUTE_PGM_RSRC2:TIDIG_COMP_CNT: 0
	.section	.text._ZN7rocprim17ROCPRIM_400000_NS6detail17trampoline_kernelINS0_14default_configENS1_27scan_by_key_config_selectorIiiEEZZNS1_16scan_by_key_implILNS1_25lookback_scan_determinismE0ELb0ES3_N6thrust23THRUST_200600_302600_NS6detail15normal_iteratorINS9_10device_ptrIiEEEESE_SE_iNS9_4plusIiEE19head_flag_predicateiEE10hipError_tPvRmT2_T3_T4_T5_mT6_T7_P12ihipStream_tbENKUlT_T0_E_clISt17integral_constantIbLb0EESY_EEDaST_SU_EUlST_E_NS1_11comp_targetILNS1_3genE5ELNS1_11target_archE942ELNS1_3gpuE9ELNS1_3repE0EEENS1_30default_config_static_selectorELNS0_4arch9wavefront6targetE0EEEvT1_,"axG",@progbits,_ZN7rocprim17ROCPRIM_400000_NS6detail17trampoline_kernelINS0_14default_configENS1_27scan_by_key_config_selectorIiiEEZZNS1_16scan_by_key_implILNS1_25lookback_scan_determinismE0ELb0ES3_N6thrust23THRUST_200600_302600_NS6detail15normal_iteratorINS9_10device_ptrIiEEEESE_SE_iNS9_4plusIiEE19head_flag_predicateiEE10hipError_tPvRmT2_T3_T4_T5_mT6_T7_P12ihipStream_tbENKUlT_T0_E_clISt17integral_constantIbLb0EESY_EEDaST_SU_EUlST_E_NS1_11comp_targetILNS1_3genE5ELNS1_11target_archE942ELNS1_3gpuE9ELNS1_3repE0EEENS1_30default_config_static_selectorELNS0_4arch9wavefront6targetE0EEEvT1_,comdat
	.protected	_ZN7rocprim17ROCPRIM_400000_NS6detail17trampoline_kernelINS0_14default_configENS1_27scan_by_key_config_selectorIiiEEZZNS1_16scan_by_key_implILNS1_25lookback_scan_determinismE0ELb0ES3_N6thrust23THRUST_200600_302600_NS6detail15normal_iteratorINS9_10device_ptrIiEEEESE_SE_iNS9_4plusIiEE19head_flag_predicateiEE10hipError_tPvRmT2_T3_T4_T5_mT6_T7_P12ihipStream_tbENKUlT_T0_E_clISt17integral_constantIbLb0EESY_EEDaST_SU_EUlST_E_NS1_11comp_targetILNS1_3genE5ELNS1_11target_archE942ELNS1_3gpuE9ELNS1_3repE0EEENS1_30default_config_static_selectorELNS0_4arch9wavefront6targetE0EEEvT1_ ; -- Begin function _ZN7rocprim17ROCPRIM_400000_NS6detail17trampoline_kernelINS0_14default_configENS1_27scan_by_key_config_selectorIiiEEZZNS1_16scan_by_key_implILNS1_25lookback_scan_determinismE0ELb0ES3_N6thrust23THRUST_200600_302600_NS6detail15normal_iteratorINS9_10device_ptrIiEEEESE_SE_iNS9_4plusIiEE19head_flag_predicateiEE10hipError_tPvRmT2_T3_T4_T5_mT6_T7_P12ihipStream_tbENKUlT_T0_E_clISt17integral_constantIbLb0EESY_EEDaST_SU_EUlST_E_NS1_11comp_targetILNS1_3genE5ELNS1_11target_archE942ELNS1_3gpuE9ELNS1_3repE0EEENS1_30default_config_static_selectorELNS0_4arch9wavefront6targetE0EEEvT1_
	.globl	_ZN7rocprim17ROCPRIM_400000_NS6detail17trampoline_kernelINS0_14default_configENS1_27scan_by_key_config_selectorIiiEEZZNS1_16scan_by_key_implILNS1_25lookback_scan_determinismE0ELb0ES3_N6thrust23THRUST_200600_302600_NS6detail15normal_iteratorINS9_10device_ptrIiEEEESE_SE_iNS9_4plusIiEE19head_flag_predicateiEE10hipError_tPvRmT2_T3_T4_T5_mT6_T7_P12ihipStream_tbENKUlT_T0_E_clISt17integral_constantIbLb0EESY_EEDaST_SU_EUlST_E_NS1_11comp_targetILNS1_3genE5ELNS1_11target_archE942ELNS1_3gpuE9ELNS1_3repE0EEENS1_30default_config_static_selectorELNS0_4arch9wavefront6targetE0EEEvT1_
	.p2align	8
	.type	_ZN7rocprim17ROCPRIM_400000_NS6detail17trampoline_kernelINS0_14default_configENS1_27scan_by_key_config_selectorIiiEEZZNS1_16scan_by_key_implILNS1_25lookback_scan_determinismE0ELb0ES3_N6thrust23THRUST_200600_302600_NS6detail15normal_iteratorINS9_10device_ptrIiEEEESE_SE_iNS9_4plusIiEE19head_flag_predicateiEE10hipError_tPvRmT2_T3_T4_T5_mT6_T7_P12ihipStream_tbENKUlT_T0_E_clISt17integral_constantIbLb0EESY_EEDaST_SU_EUlST_E_NS1_11comp_targetILNS1_3genE5ELNS1_11target_archE942ELNS1_3gpuE9ELNS1_3repE0EEENS1_30default_config_static_selectorELNS0_4arch9wavefront6targetE0EEEvT1_,@function
_ZN7rocprim17ROCPRIM_400000_NS6detail17trampoline_kernelINS0_14default_configENS1_27scan_by_key_config_selectorIiiEEZZNS1_16scan_by_key_implILNS1_25lookback_scan_determinismE0ELb0ES3_N6thrust23THRUST_200600_302600_NS6detail15normal_iteratorINS9_10device_ptrIiEEEESE_SE_iNS9_4plusIiEE19head_flag_predicateiEE10hipError_tPvRmT2_T3_T4_T5_mT6_T7_P12ihipStream_tbENKUlT_T0_E_clISt17integral_constantIbLb0EESY_EEDaST_SU_EUlST_E_NS1_11comp_targetILNS1_3genE5ELNS1_11target_archE942ELNS1_3gpuE9ELNS1_3repE0EEENS1_30default_config_static_selectorELNS0_4arch9wavefront6targetE0EEEvT1_: ; @_ZN7rocprim17ROCPRIM_400000_NS6detail17trampoline_kernelINS0_14default_configENS1_27scan_by_key_config_selectorIiiEEZZNS1_16scan_by_key_implILNS1_25lookback_scan_determinismE0ELb0ES3_N6thrust23THRUST_200600_302600_NS6detail15normal_iteratorINS9_10device_ptrIiEEEESE_SE_iNS9_4plusIiEE19head_flag_predicateiEE10hipError_tPvRmT2_T3_T4_T5_mT6_T7_P12ihipStream_tbENKUlT_T0_E_clISt17integral_constantIbLb0EESY_EEDaST_SU_EUlST_E_NS1_11comp_targetILNS1_3genE5ELNS1_11target_archE942ELNS1_3gpuE9ELNS1_3repE0EEENS1_30default_config_static_selectorELNS0_4arch9wavefront6targetE0EEEvT1_
; %bb.0:
	.section	.rodata,"a",@progbits
	.p2align	6, 0x0
	.amdhsa_kernel _ZN7rocprim17ROCPRIM_400000_NS6detail17trampoline_kernelINS0_14default_configENS1_27scan_by_key_config_selectorIiiEEZZNS1_16scan_by_key_implILNS1_25lookback_scan_determinismE0ELb0ES3_N6thrust23THRUST_200600_302600_NS6detail15normal_iteratorINS9_10device_ptrIiEEEESE_SE_iNS9_4plusIiEE19head_flag_predicateiEE10hipError_tPvRmT2_T3_T4_T5_mT6_T7_P12ihipStream_tbENKUlT_T0_E_clISt17integral_constantIbLb0EESY_EEDaST_SU_EUlST_E_NS1_11comp_targetILNS1_3genE5ELNS1_11target_archE942ELNS1_3gpuE9ELNS1_3repE0EEENS1_30default_config_static_selectorELNS0_4arch9wavefront6targetE0EEEvT1_
		.amdhsa_group_segment_fixed_size 0
		.amdhsa_private_segment_fixed_size 0
		.amdhsa_kernarg_size 112
		.amdhsa_user_sgpr_count 6
		.amdhsa_user_sgpr_private_segment_buffer 1
		.amdhsa_user_sgpr_dispatch_ptr 0
		.amdhsa_user_sgpr_queue_ptr 0
		.amdhsa_user_sgpr_kernarg_segment_ptr 1
		.amdhsa_user_sgpr_dispatch_id 0
		.amdhsa_user_sgpr_flat_scratch_init 0
		.amdhsa_user_sgpr_private_segment_size 0
		.amdhsa_wavefront_size32 1
		.amdhsa_uses_dynamic_stack 0
		.amdhsa_system_sgpr_private_segment_wavefront_offset 0
		.amdhsa_system_sgpr_workgroup_id_x 1
		.amdhsa_system_sgpr_workgroup_id_y 0
		.amdhsa_system_sgpr_workgroup_id_z 0
		.amdhsa_system_sgpr_workgroup_info 0
		.amdhsa_system_vgpr_workitem_id 0
		.amdhsa_next_free_vgpr 1
		.amdhsa_next_free_sgpr 1
		.amdhsa_reserve_vcc 0
		.amdhsa_reserve_flat_scratch 0
		.amdhsa_float_round_mode_32 0
		.amdhsa_float_round_mode_16_64 0
		.amdhsa_float_denorm_mode_32 3
		.amdhsa_float_denorm_mode_16_64 3
		.amdhsa_dx10_clamp 1
		.amdhsa_ieee_mode 1
		.amdhsa_fp16_overflow 0
		.amdhsa_workgroup_processor_mode 1
		.amdhsa_memory_ordered 1
		.amdhsa_forward_progress 1
		.amdhsa_shared_vgpr_count 0
		.amdhsa_exception_fp_ieee_invalid_op 0
		.amdhsa_exception_fp_denorm_src 0
		.amdhsa_exception_fp_ieee_div_zero 0
		.amdhsa_exception_fp_ieee_overflow 0
		.amdhsa_exception_fp_ieee_underflow 0
		.amdhsa_exception_fp_ieee_inexact 0
		.amdhsa_exception_int_div_zero 0
	.end_amdhsa_kernel
	.section	.text._ZN7rocprim17ROCPRIM_400000_NS6detail17trampoline_kernelINS0_14default_configENS1_27scan_by_key_config_selectorIiiEEZZNS1_16scan_by_key_implILNS1_25lookback_scan_determinismE0ELb0ES3_N6thrust23THRUST_200600_302600_NS6detail15normal_iteratorINS9_10device_ptrIiEEEESE_SE_iNS9_4plusIiEE19head_flag_predicateiEE10hipError_tPvRmT2_T3_T4_T5_mT6_T7_P12ihipStream_tbENKUlT_T0_E_clISt17integral_constantIbLb0EESY_EEDaST_SU_EUlST_E_NS1_11comp_targetILNS1_3genE5ELNS1_11target_archE942ELNS1_3gpuE9ELNS1_3repE0EEENS1_30default_config_static_selectorELNS0_4arch9wavefront6targetE0EEEvT1_,"axG",@progbits,_ZN7rocprim17ROCPRIM_400000_NS6detail17trampoline_kernelINS0_14default_configENS1_27scan_by_key_config_selectorIiiEEZZNS1_16scan_by_key_implILNS1_25lookback_scan_determinismE0ELb0ES3_N6thrust23THRUST_200600_302600_NS6detail15normal_iteratorINS9_10device_ptrIiEEEESE_SE_iNS9_4plusIiEE19head_flag_predicateiEE10hipError_tPvRmT2_T3_T4_T5_mT6_T7_P12ihipStream_tbENKUlT_T0_E_clISt17integral_constantIbLb0EESY_EEDaST_SU_EUlST_E_NS1_11comp_targetILNS1_3genE5ELNS1_11target_archE942ELNS1_3gpuE9ELNS1_3repE0EEENS1_30default_config_static_selectorELNS0_4arch9wavefront6targetE0EEEvT1_,comdat
.Lfunc_end751:
	.size	_ZN7rocprim17ROCPRIM_400000_NS6detail17trampoline_kernelINS0_14default_configENS1_27scan_by_key_config_selectorIiiEEZZNS1_16scan_by_key_implILNS1_25lookback_scan_determinismE0ELb0ES3_N6thrust23THRUST_200600_302600_NS6detail15normal_iteratorINS9_10device_ptrIiEEEESE_SE_iNS9_4plusIiEE19head_flag_predicateiEE10hipError_tPvRmT2_T3_T4_T5_mT6_T7_P12ihipStream_tbENKUlT_T0_E_clISt17integral_constantIbLb0EESY_EEDaST_SU_EUlST_E_NS1_11comp_targetILNS1_3genE5ELNS1_11target_archE942ELNS1_3gpuE9ELNS1_3repE0EEENS1_30default_config_static_selectorELNS0_4arch9wavefront6targetE0EEEvT1_, .Lfunc_end751-_ZN7rocprim17ROCPRIM_400000_NS6detail17trampoline_kernelINS0_14default_configENS1_27scan_by_key_config_selectorIiiEEZZNS1_16scan_by_key_implILNS1_25lookback_scan_determinismE0ELb0ES3_N6thrust23THRUST_200600_302600_NS6detail15normal_iteratorINS9_10device_ptrIiEEEESE_SE_iNS9_4plusIiEE19head_flag_predicateiEE10hipError_tPvRmT2_T3_T4_T5_mT6_T7_P12ihipStream_tbENKUlT_T0_E_clISt17integral_constantIbLb0EESY_EEDaST_SU_EUlST_E_NS1_11comp_targetILNS1_3genE5ELNS1_11target_archE942ELNS1_3gpuE9ELNS1_3repE0EEENS1_30default_config_static_selectorELNS0_4arch9wavefront6targetE0EEEvT1_
                                        ; -- End function
	.set _ZN7rocprim17ROCPRIM_400000_NS6detail17trampoline_kernelINS0_14default_configENS1_27scan_by_key_config_selectorIiiEEZZNS1_16scan_by_key_implILNS1_25lookback_scan_determinismE0ELb0ES3_N6thrust23THRUST_200600_302600_NS6detail15normal_iteratorINS9_10device_ptrIiEEEESE_SE_iNS9_4plusIiEE19head_flag_predicateiEE10hipError_tPvRmT2_T3_T4_T5_mT6_T7_P12ihipStream_tbENKUlT_T0_E_clISt17integral_constantIbLb0EESY_EEDaST_SU_EUlST_E_NS1_11comp_targetILNS1_3genE5ELNS1_11target_archE942ELNS1_3gpuE9ELNS1_3repE0EEENS1_30default_config_static_selectorELNS0_4arch9wavefront6targetE0EEEvT1_.num_vgpr, 0
	.set _ZN7rocprim17ROCPRIM_400000_NS6detail17trampoline_kernelINS0_14default_configENS1_27scan_by_key_config_selectorIiiEEZZNS1_16scan_by_key_implILNS1_25lookback_scan_determinismE0ELb0ES3_N6thrust23THRUST_200600_302600_NS6detail15normal_iteratorINS9_10device_ptrIiEEEESE_SE_iNS9_4plusIiEE19head_flag_predicateiEE10hipError_tPvRmT2_T3_T4_T5_mT6_T7_P12ihipStream_tbENKUlT_T0_E_clISt17integral_constantIbLb0EESY_EEDaST_SU_EUlST_E_NS1_11comp_targetILNS1_3genE5ELNS1_11target_archE942ELNS1_3gpuE9ELNS1_3repE0EEENS1_30default_config_static_selectorELNS0_4arch9wavefront6targetE0EEEvT1_.num_agpr, 0
	.set _ZN7rocprim17ROCPRIM_400000_NS6detail17trampoline_kernelINS0_14default_configENS1_27scan_by_key_config_selectorIiiEEZZNS1_16scan_by_key_implILNS1_25lookback_scan_determinismE0ELb0ES3_N6thrust23THRUST_200600_302600_NS6detail15normal_iteratorINS9_10device_ptrIiEEEESE_SE_iNS9_4plusIiEE19head_flag_predicateiEE10hipError_tPvRmT2_T3_T4_T5_mT6_T7_P12ihipStream_tbENKUlT_T0_E_clISt17integral_constantIbLb0EESY_EEDaST_SU_EUlST_E_NS1_11comp_targetILNS1_3genE5ELNS1_11target_archE942ELNS1_3gpuE9ELNS1_3repE0EEENS1_30default_config_static_selectorELNS0_4arch9wavefront6targetE0EEEvT1_.numbered_sgpr, 0
	.set _ZN7rocprim17ROCPRIM_400000_NS6detail17trampoline_kernelINS0_14default_configENS1_27scan_by_key_config_selectorIiiEEZZNS1_16scan_by_key_implILNS1_25lookback_scan_determinismE0ELb0ES3_N6thrust23THRUST_200600_302600_NS6detail15normal_iteratorINS9_10device_ptrIiEEEESE_SE_iNS9_4plusIiEE19head_flag_predicateiEE10hipError_tPvRmT2_T3_T4_T5_mT6_T7_P12ihipStream_tbENKUlT_T0_E_clISt17integral_constantIbLb0EESY_EEDaST_SU_EUlST_E_NS1_11comp_targetILNS1_3genE5ELNS1_11target_archE942ELNS1_3gpuE9ELNS1_3repE0EEENS1_30default_config_static_selectorELNS0_4arch9wavefront6targetE0EEEvT1_.num_named_barrier, 0
	.set _ZN7rocprim17ROCPRIM_400000_NS6detail17trampoline_kernelINS0_14default_configENS1_27scan_by_key_config_selectorIiiEEZZNS1_16scan_by_key_implILNS1_25lookback_scan_determinismE0ELb0ES3_N6thrust23THRUST_200600_302600_NS6detail15normal_iteratorINS9_10device_ptrIiEEEESE_SE_iNS9_4plusIiEE19head_flag_predicateiEE10hipError_tPvRmT2_T3_T4_T5_mT6_T7_P12ihipStream_tbENKUlT_T0_E_clISt17integral_constantIbLb0EESY_EEDaST_SU_EUlST_E_NS1_11comp_targetILNS1_3genE5ELNS1_11target_archE942ELNS1_3gpuE9ELNS1_3repE0EEENS1_30default_config_static_selectorELNS0_4arch9wavefront6targetE0EEEvT1_.private_seg_size, 0
	.set _ZN7rocprim17ROCPRIM_400000_NS6detail17trampoline_kernelINS0_14default_configENS1_27scan_by_key_config_selectorIiiEEZZNS1_16scan_by_key_implILNS1_25lookback_scan_determinismE0ELb0ES3_N6thrust23THRUST_200600_302600_NS6detail15normal_iteratorINS9_10device_ptrIiEEEESE_SE_iNS9_4plusIiEE19head_flag_predicateiEE10hipError_tPvRmT2_T3_T4_T5_mT6_T7_P12ihipStream_tbENKUlT_T0_E_clISt17integral_constantIbLb0EESY_EEDaST_SU_EUlST_E_NS1_11comp_targetILNS1_3genE5ELNS1_11target_archE942ELNS1_3gpuE9ELNS1_3repE0EEENS1_30default_config_static_selectorELNS0_4arch9wavefront6targetE0EEEvT1_.uses_vcc, 0
	.set _ZN7rocprim17ROCPRIM_400000_NS6detail17trampoline_kernelINS0_14default_configENS1_27scan_by_key_config_selectorIiiEEZZNS1_16scan_by_key_implILNS1_25lookback_scan_determinismE0ELb0ES3_N6thrust23THRUST_200600_302600_NS6detail15normal_iteratorINS9_10device_ptrIiEEEESE_SE_iNS9_4plusIiEE19head_flag_predicateiEE10hipError_tPvRmT2_T3_T4_T5_mT6_T7_P12ihipStream_tbENKUlT_T0_E_clISt17integral_constantIbLb0EESY_EEDaST_SU_EUlST_E_NS1_11comp_targetILNS1_3genE5ELNS1_11target_archE942ELNS1_3gpuE9ELNS1_3repE0EEENS1_30default_config_static_selectorELNS0_4arch9wavefront6targetE0EEEvT1_.uses_flat_scratch, 0
	.set _ZN7rocprim17ROCPRIM_400000_NS6detail17trampoline_kernelINS0_14default_configENS1_27scan_by_key_config_selectorIiiEEZZNS1_16scan_by_key_implILNS1_25lookback_scan_determinismE0ELb0ES3_N6thrust23THRUST_200600_302600_NS6detail15normal_iteratorINS9_10device_ptrIiEEEESE_SE_iNS9_4plusIiEE19head_flag_predicateiEE10hipError_tPvRmT2_T3_T4_T5_mT6_T7_P12ihipStream_tbENKUlT_T0_E_clISt17integral_constantIbLb0EESY_EEDaST_SU_EUlST_E_NS1_11comp_targetILNS1_3genE5ELNS1_11target_archE942ELNS1_3gpuE9ELNS1_3repE0EEENS1_30default_config_static_selectorELNS0_4arch9wavefront6targetE0EEEvT1_.has_dyn_sized_stack, 0
	.set _ZN7rocprim17ROCPRIM_400000_NS6detail17trampoline_kernelINS0_14default_configENS1_27scan_by_key_config_selectorIiiEEZZNS1_16scan_by_key_implILNS1_25lookback_scan_determinismE0ELb0ES3_N6thrust23THRUST_200600_302600_NS6detail15normal_iteratorINS9_10device_ptrIiEEEESE_SE_iNS9_4plusIiEE19head_flag_predicateiEE10hipError_tPvRmT2_T3_T4_T5_mT6_T7_P12ihipStream_tbENKUlT_T0_E_clISt17integral_constantIbLb0EESY_EEDaST_SU_EUlST_E_NS1_11comp_targetILNS1_3genE5ELNS1_11target_archE942ELNS1_3gpuE9ELNS1_3repE0EEENS1_30default_config_static_selectorELNS0_4arch9wavefront6targetE0EEEvT1_.has_recursion, 0
	.set _ZN7rocprim17ROCPRIM_400000_NS6detail17trampoline_kernelINS0_14default_configENS1_27scan_by_key_config_selectorIiiEEZZNS1_16scan_by_key_implILNS1_25lookback_scan_determinismE0ELb0ES3_N6thrust23THRUST_200600_302600_NS6detail15normal_iteratorINS9_10device_ptrIiEEEESE_SE_iNS9_4plusIiEE19head_flag_predicateiEE10hipError_tPvRmT2_T3_T4_T5_mT6_T7_P12ihipStream_tbENKUlT_T0_E_clISt17integral_constantIbLb0EESY_EEDaST_SU_EUlST_E_NS1_11comp_targetILNS1_3genE5ELNS1_11target_archE942ELNS1_3gpuE9ELNS1_3repE0EEENS1_30default_config_static_selectorELNS0_4arch9wavefront6targetE0EEEvT1_.has_indirect_call, 0
	.section	.AMDGPU.csdata,"",@progbits
; Kernel info:
; codeLenInByte = 0
; TotalNumSgprs: 0
; NumVgprs: 0
; ScratchSize: 0
; MemoryBound: 0
; FloatMode: 240
; IeeeMode: 1
; LDSByteSize: 0 bytes/workgroup (compile time only)
; SGPRBlocks: 0
; VGPRBlocks: 0
; NumSGPRsForWavesPerEU: 1
; NumVGPRsForWavesPerEU: 1
; Occupancy: 16
; WaveLimiterHint : 0
; COMPUTE_PGM_RSRC2:SCRATCH_EN: 0
; COMPUTE_PGM_RSRC2:USER_SGPR: 6
; COMPUTE_PGM_RSRC2:TRAP_HANDLER: 0
; COMPUTE_PGM_RSRC2:TGID_X_EN: 1
; COMPUTE_PGM_RSRC2:TGID_Y_EN: 0
; COMPUTE_PGM_RSRC2:TGID_Z_EN: 0
; COMPUTE_PGM_RSRC2:TIDIG_COMP_CNT: 0
	.section	.text._ZN7rocprim17ROCPRIM_400000_NS6detail17trampoline_kernelINS0_14default_configENS1_27scan_by_key_config_selectorIiiEEZZNS1_16scan_by_key_implILNS1_25lookback_scan_determinismE0ELb0ES3_N6thrust23THRUST_200600_302600_NS6detail15normal_iteratorINS9_10device_ptrIiEEEESE_SE_iNS9_4plusIiEE19head_flag_predicateiEE10hipError_tPvRmT2_T3_T4_T5_mT6_T7_P12ihipStream_tbENKUlT_T0_E_clISt17integral_constantIbLb0EESY_EEDaST_SU_EUlST_E_NS1_11comp_targetILNS1_3genE4ELNS1_11target_archE910ELNS1_3gpuE8ELNS1_3repE0EEENS1_30default_config_static_selectorELNS0_4arch9wavefront6targetE0EEEvT1_,"axG",@progbits,_ZN7rocprim17ROCPRIM_400000_NS6detail17trampoline_kernelINS0_14default_configENS1_27scan_by_key_config_selectorIiiEEZZNS1_16scan_by_key_implILNS1_25lookback_scan_determinismE0ELb0ES3_N6thrust23THRUST_200600_302600_NS6detail15normal_iteratorINS9_10device_ptrIiEEEESE_SE_iNS9_4plusIiEE19head_flag_predicateiEE10hipError_tPvRmT2_T3_T4_T5_mT6_T7_P12ihipStream_tbENKUlT_T0_E_clISt17integral_constantIbLb0EESY_EEDaST_SU_EUlST_E_NS1_11comp_targetILNS1_3genE4ELNS1_11target_archE910ELNS1_3gpuE8ELNS1_3repE0EEENS1_30default_config_static_selectorELNS0_4arch9wavefront6targetE0EEEvT1_,comdat
	.protected	_ZN7rocprim17ROCPRIM_400000_NS6detail17trampoline_kernelINS0_14default_configENS1_27scan_by_key_config_selectorIiiEEZZNS1_16scan_by_key_implILNS1_25lookback_scan_determinismE0ELb0ES3_N6thrust23THRUST_200600_302600_NS6detail15normal_iteratorINS9_10device_ptrIiEEEESE_SE_iNS9_4plusIiEE19head_flag_predicateiEE10hipError_tPvRmT2_T3_T4_T5_mT6_T7_P12ihipStream_tbENKUlT_T0_E_clISt17integral_constantIbLb0EESY_EEDaST_SU_EUlST_E_NS1_11comp_targetILNS1_3genE4ELNS1_11target_archE910ELNS1_3gpuE8ELNS1_3repE0EEENS1_30default_config_static_selectorELNS0_4arch9wavefront6targetE0EEEvT1_ ; -- Begin function _ZN7rocprim17ROCPRIM_400000_NS6detail17trampoline_kernelINS0_14default_configENS1_27scan_by_key_config_selectorIiiEEZZNS1_16scan_by_key_implILNS1_25lookback_scan_determinismE0ELb0ES3_N6thrust23THRUST_200600_302600_NS6detail15normal_iteratorINS9_10device_ptrIiEEEESE_SE_iNS9_4plusIiEE19head_flag_predicateiEE10hipError_tPvRmT2_T3_T4_T5_mT6_T7_P12ihipStream_tbENKUlT_T0_E_clISt17integral_constantIbLb0EESY_EEDaST_SU_EUlST_E_NS1_11comp_targetILNS1_3genE4ELNS1_11target_archE910ELNS1_3gpuE8ELNS1_3repE0EEENS1_30default_config_static_selectorELNS0_4arch9wavefront6targetE0EEEvT1_
	.globl	_ZN7rocprim17ROCPRIM_400000_NS6detail17trampoline_kernelINS0_14default_configENS1_27scan_by_key_config_selectorIiiEEZZNS1_16scan_by_key_implILNS1_25lookback_scan_determinismE0ELb0ES3_N6thrust23THRUST_200600_302600_NS6detail15normal_iteratorINS9_10device_ptrIiEEEESE_SE_iNS9_4plusIiEE19head_flag_predicateiEE10hipError_tPvRmT2_T3_T4_T5_mT6_T7_P12ihipStream_tbENKUlT_T0_E_clISt17integral_constantIbLb0EESY_EEDaST_SU_EUlST_E_NS1_11comp_targetILNS1_3genE4ELNS1_11target_archE910ELNS1_3gpuE8ELNS1_3repE0EEENS1_30default_config_static_selectorELNS0_4arch9wavefront6targetE0EEEvT1_
	.p2align	8
	.type	_ZN7rocprim17ROCPRIM_400000_NS6detail17trampoline_kernelINS0_14default_configENS1_27scan_by_key_config_selectorIiiEEZZNS1_16scan_by_key_implILNS1_25lookback_scan_determinismE0ELb0ES3_N6thrust23THRUST_200600_302600_NS6detail15normal_iteratorINS9_10device_ptrIiEEEESE_SE_iNS9_4plusIiEE19head_flag_predicateiEE10hipError_tPvRmT2_T3_T4_T5_mT6_T7_P12ihipStream_tbENKUlT_T0_E_clISt17integral_constantIbLb0EESY_EEDaST_SU_EUlST_E_NS1_11comp_targetILNS1_3genE4ELNS1_11target_archE910ELNS1_3gpuE8ELNS1_3repE0EEENS1_30default_config_static_selectorELNS0_4arch9wavefront6targetE0EEEvT1_,@function
_ZN7rocprim17ROCPRIM_400000_NS6detail17trampoline_kernelINS0_14default_configENS1_27scan_by_key_config_selectorIiiEEZZNS1_16scan_by_key_implILNS1_25lookback_scan_determinismE0ELb0ES3_N6thrust23THRUST_200600_302600_NS6detail15normal_iteratorINS9_10device_ptrIiEEEESE_SE_iNS9_4plusIiEE19head_flag_predicateiEE10hipError_tPvRmT2_T3_T4_T5_mT6_T7_P12ihipStream_tbENKUlT_T0_E_clISt17integral_constantIbLb0EESY_EEDaST_SU_EUlST_E_NS1_11comp_targetILNS1_3genE4ELNS1_11target_archE910ELNS1_3gpuE8ELNS1_3repE0EEENS1_30default_config_static_selectorELNS0_4arch9wavefront6targetE0EEEvT1_: ; @_ZN7rocprim17ROCPRIM_400000_NS6detail17trampoline_kernelINS0_14default_configENS1_27scan_by_key_config_selectorIiiEEZZNS1_16scan_by_key_implILNS1_25lookback_scan_determinismE0ELb0ES3_N6thrust23THRUST_200600_302600_NS6detail15normal_iteratorINS9_10device_ptrIiEEEESE_SE_iNS9_4plusIiEE19head_flag_predicateiEE10hipError_tPvRmT2_T3_T4_T5_mT6_T7_P12ihipStream_tbENKUlT_T0_E_clISt17integral_constantIbLb0EESY_EEDaST_SU_EUlST_E_NS1_11comp_targetILNS1_3genE4ELNS1_11target_archE910ELNS1_3gpuE8ELNS1_3repE0EEENS1_30default_config_static_selectorELNS0_4arch9wavefront6targetE0EEEvT1_
; %bb.0:
	.section	.rodata,"a",@progbits
	.p2align	6, 0x0
	.amdhsa_kernel _ZN7rocprim17ROCPRIM_400000_NS6detail17trampoline_kernelINS0_14default_configENS1_27scan_by_key_config_selectorIiiEEZZNS1_16scan_by_key_implILNS1_25lookback_scan_determinismE0ELb0ES3_N6thrust23THRUST_200600_302600_NS6detail15normal_iteratorINS9_10device_ptrIiEEEESE_SE_iNS9_4plusIiEE19head_flag_predicateiEE10hipError_tPvRmT2_T3_T4_T5_mT6_T7_P12ihipStream_tbENKUlT_T0_E_clISt17integral_constantIbLb0EESY_EEDaST_SU_EUlST_E_NS1_11comp_targetILNS1_3genE4ELNS1_11target_archE910ELNS1_3gpuE8ELNS1_3repE0EEENS1_30default_config_static_selectorELNS0_4arch9wavefront6targetE0EEEvT1_
		.amdhsa_group_segment_fixed_size 0
		.amdhsa_private_segment_fixed_size 0
		.amdhsa_kernarg_size 112
		.amdhsa_user_sgpr_count 6
		.amdhsa_user_sgpr_private_segment_buffer 1
		.amdhsa_user_sgpr_dispatch_ptr 0
		.amdhsa_user_sgpr_queue_ptr 0
		.amdhsa_user_sgpr_kernarg_segment_ptr 1
		.amdhsa_user_sgpr_dispatch_id 0
		.amdhsa_user_sgpr_flat_scratch_init 0
		.amdhsa_user_sgpr_private_segment_size 0
		.amdhsa_wavefront_size32 1
		.amdhsa_uses_dynamic_stack 0
		.amdhsa_system_sgpr_private_segment_wavefront_offset 0
		.amdhsa_system_sgpr_workgroup_id_x 1
		.amdhsa_system_sgpr_workgroup_id_y 0
		.amdhsa_system_sgpr_workgroup_id_z 0
		.amdhsa_system_sgpr_workgroup_info 0
		.amdhsa_system_vgpr_workitem_id 0
		.amdhsa_next_free_vgpr 1
		.amdhsa_next_free_sgpr 1
		.amdhsa_reserve_vcc 0
		.amdhsa_reserve_flat_scratch 0
		.amdhsa_float_round_mode_32 0
		.amdhsa_float_round_mode_16_64 0
		.amdhsa_float_denorm_mode_32 3
		.amdhsa_float_denorm_mode_16_64 3
		.amdhsa_dx10_clamp 1
		.amdhsa_ieee_mode 1
		.amdhsa_fp16_overflow 0
		.amdhsa_workgroup_processor_mode 1
		.amdhsa_memory_ordered 1
		.amdhsa_forward_progress 1
		.amdhsa_shared_vgpr_count 0
		.amdhsa_exception_fp_ieee_invalid_op 0
		.amdhsa_exception_fp_denorm_src 0
		.amdhsa_exception_fp_ieee_div_zero 0
		.amdhsa_exception_fp_ieee_overflow 0
		.amdhsa_exception_fp_ieee_underflow 0
		.amdhsa_exception_fp_ieee_inexact 0
		.amdhsa_exception_int_div_zero 0
	.end_amdhsa_kernel
	.section	.text._ZN7rocprim17ROCPRIM_400000_NS6detail17trampoline_kernelINS0_14default_configENS1_27scan_by_key_config_selectorIiiEEZZNS1_16scan_by_key_implILNS1_25lookback_scan_determinismE0ELb0ES3_N6thrust23THRUST_200600_302600_NS6detail15normal_iteratorINS9_10device_ptrIiEEEESE_SE_iNS9_4plusIiEE19head_flag_predicateiEE10hipError_tPvRmT2_T3_T4_T5_mT6_T7_P12ihipStream_tbENKUlT_T0_E_clISt17integral_constantIbLb0EESY_EEDaST_SU_EUlST_E_NS1_11comp_targetILNS1_3genE4ELNS1_11target_archE910ELNS1_3gpuE8ELNS1_3repE0EEENS1_30default_config_static_selectorELNS0_4arch9wavefront6targetE0EEEvT1_,"axG",@progbits,_ZN7rocprim17ROCPRIM_400000_NS6detail17trampoline_kernelINS0_14default_configENS1_27scan_by_key_config_selectorIiiEEZZNS1_16scan_by_key_implILNS1_25lookback_scan_determinismE0ELb0ES3_N6thrust23THRUST_200600_302600_NS6detail15normal_iteratorINS9_10device_ptrIiEEEESE_SE_iNS9_4plusIiEE19head_flag_predicateiEE10hipError_tPvRmT2_T3_T4_T5_mT6_T7_P12ihipStream_tbENKUlT_T0_E_clISt17integral_constantIbLb0EESY_EEDaST_SU_EUlST_E_NS1_11comp_targetILNS1_3genE4ELNS1_11target_archE910ELNS1_3gpuE8ELNS1_3repE0EEENS1_30default_config_static_selectorELNS0_4arch9wavefront6targetE0EEEvT1_,comdat
.Lfunc_end752:
	.size	_ZN7rocprim17ROCPRIM_400000_NS6detail17trampoline_kernelINS0_14default_configENS1_27scan_by_key_config_selectorIiiEEZZNS1_16scan_by_key_implILNS1_25lookback_scan_determinismE0ELb0ES3_N6thrust23THRUST_200600_302600_NS6detail15normal_iteratorINS9_10device_ptrIiEEEESE_SE_iNS9_4plusIiEE19head_flag_predicateiEE10hipError_tPvRmT2_T3_T4_T5_mT6_T7_P12ihipStream_tbENKUlT_T0_E_clISt17integral_constantIbLb0EESY_EEDaST_SU_EUlST_E_NS1_11comp_targetILNS1_3genE4ELNS1_11target_archE910ELNS1_3gpuE8ELNS1_3repE0EEENS1_30default_config_static_selectorELNS0_4arch9wavefront6targetE0EEEvT1_, .Lfunc_end752-_ZN7rocprim17ROCPRIM_400000_NS6detail17trampoline_kernelINS0_14default_configENS1_27scan_by_key_config_selectorIiiEEZZNS1_16scan_by_key_implILNS1_25lookback_scan_determinismE0ELb0ES3_N6thrust23THRUST_200600_302600_NS6detail15normal_iteratorINS9_10device_ptrIiEEEESE_SE_iNS9_4plusIiEE19head_flag_predicateiEE10hipError_tPvRmT2_T3_T4_T5_mT6_T7_P12ihipStream_tbENKUlT_T0_E_clISt17integral_constantIbLb0EESY_EEDaST_SU_EUlST_E_NS1_11comp_targetILNS1_3genE4ELNS1_11target_archE910ELNS1_3gpuE8ELNS1_3repE0EEENS1_30default_config_static_selectorELNS0_4arch9wavefront6targetE0EEEvT1_
                                        ; -- End function
	.set _ZN7rocprim17ROCPRIM_400000_NS6detail17trampoline_kernelINS0_14default_configENS1_27scan_by_key_config_selectorIiiEEZZNS1_16scan_by_key_implILNS1_25lookback_scan_determinismE0ELb0ES3_N6thrust23THRUST_200600_302600_NS6detail15normal_iteratorINS9_10device_ptrIiEEEESE_SE_iNS9_4plusIiEE19head_flag_predicateiEE10hipError_tPvRmT2_T3_T4_T5_mT6_T7_P12ihipStream_tbENKUlT_T0_E_clISt17integral_constantIbLb0EESY_EEDaST_SU_EUlST_E_NS1_11comp_targetILNS1_3genE4ELNS1_11target_archE910ELNS1_3gpuE8ELNS1_3repE0EEENS1_30default_config_static_selectorELNS0_4arch9wavefront6targetE0EEEvT1_.num_vgpr, 0
	.set _ZN7rocprim17ROCPRIM_400000_NS6detail17trampoline_kernelINS0_14default_configENS1_27scan_by_key_config_selectorIiiEEZZNS1_16scan_by_key_implILNS1_25lookback_scan_determinismE0ELb0ES3_N6thrust23THRUST_200600_302600_NS6detail15normal_iteratorINS9_10device_ptrIiEEEESE_SE_iNS9_4plusIiEE19head_flag_predicateiEE10hipError_tPvRmT2_T3_T4_T5_mT6_T7_P12ihipStream_tbENKUlT_T0_E_clISt17integral_constantIbLb0EESY_EEDaST_SU_EUlST_E_NS1_11comp_targetILNS1_3genE4ELNS1_11target_archE910ELNS1_3gpuE8ELNS1_3repE0EEENS1_30default_config_static_selectorELNS0_4arch9wavefront6targetE0EEEvT1_.num_agpr, 0
	.set _ZN7rocprim17ROCPRIM_400000_NS6detail17trampoline_kernelINS0_14default_configENS1_27scan_by_key_config_selectorIiiEEZZNS1_16scan_by_key_implILNS1_25lookback_scan_determinismE0ELb0ES3_N6thrust23THRUST_200600_302600_NS6detail15normal_iteratorINS9_10device_ptrIiEEEESE_SE_iNS9_4plusIiEE19head_flag_predicateiEE10hipError_tPvRmT2_T3_T4_T5_mT6_T7_P12ihipStream_tbENKUlT_T0_E_clISt17integral_constantIbLb0EESY_EEDaST_SU_EUlST_E_NS1_11comp_targetILNS1_3genE4ELNS1_11target_archE910ELNS1_3gpuE8ELNS1_3repE0EEENS1_30default_config_static_selectorELNS0_4arch9wavefront6targetE0EEEvT1_.numbered_sgpr, 0
	.set _ZN7rocprim17ROCPRIM_400000_NS6detail17trampoline_kernelINS0_14default_configENS1_27scan_by_key_config_selectorIiiEEZZNS1_16scan_by_key_implILNS1_25lookback_scan_determinismE0ELb0ES3_N6thrust23THRUST_200600_302600_NS6detail15normal_iteratorINS9_10device_ptrIiEEEESE_SE_iNS9_4plusIiEE19head_flag_predicateiEE10hipError_tPvRmT2_T3_T4_T5_mT6_T7_P12ihipStream_tbENKUlT_T0_E_clISt17integral_constantIbLb0EESY_EEDaST_SU_EUlST_E_NS1_11comp_targetILNS1_3genE4ELNS1_11target_archE910ELNS1_3gpuE8ELNS1_3repE0EEENS1_30default_config_static_selectorELNS0_4arch9wavefront6targetE0EEEvT1_.num_named_barrier, 0
	.set _ZN7rocprim17ROCPRIM_400000_NS6detail17trampoline_kernelINS0_14default_configENS1_27scan_by_key_config_selectorIiiEEZZNS1_16scan_by_key_implILNS1_25lookback_scan_determinismE0ELb0ES3_N6thrust23THRUST_200600_302600_NS6detail15normal_iteratorINS9_10device_ptrIiEEEESE_SE_iNS9_4plusIiEE19head_flag_predicateiEE10hipError_tPvRmT2_T3_T4_T5_mT6_T7_P12ihipStream_tbENKUlT_T0_E_clISt17integral_constantIbLb0EESY_EEDaST_SU_EUlST_E_NS1_11comp_targetILNS1_3genE4ELNS1_11target_archE910ELNS1_3gpuE8ELNS1_3repE0EEENS1_30default_config_static_selectorELNS0_4arch9wavefront6targetE0EEEvT1_.private_seg_size, 0
	.set _ZN7rocprim17ROCPRIM_400000_NS6detail17trampoline_kernelINS0_14default_configENS1_27scan_by_key_config_selectorIiiEEZZNS1_16scan_by_key_implILNS1_25lookback_scan_determinismE0ELb0ES3_N6thrust23THRUST_200600_302600_NS6detail15normal_iteratorINS9_10device_ptrIiEEEESE_SE_iNS9_4plusIiEE19head_flag_predicateiEE10hipError_tPvRmT2_T3_T4_T5_mT6_T7_P12ihipStream_tbENKUlT_T0_E_clISt17integral_constantIbLb0EESY_EEDaST_SU_EUlST_E_NS1_11comp_targetILNS1_3genE4ELNS1_11target_archE910ELNS1_3gpuE8ELNS1_3repE0EEENS1_30default_config_static_selectorELNS0_4arch9wavefront6targetE0EEEvT1_.uses_vcc, 0
	.set _ZN7rocprim17ROCPRIM_400000_NS6detail17trampoline_kernelINS0_14default_configENS1_27scan_by_key_config_selectorIiiEEZZNS1_16scan_by_key_implILNS1_25lookback_scan_determinismE0ELb0ES3_N6thrust23THRUST_200600_302600_NS6detail15normal_iteratorINS9_10device_ptrIiEEEESE_SE_iNS9_4plusIiEE19head_flag_predicateiEE10hipError_tPvRmT2_T3_T4_T5_mT6_T7_P12ihipStream_tbENKUlT_T0_E_clISt17integral_constantIbLb0EESY_EEDaST_SU_EUlST_E_NS1_11comp_targetILNS1_3genE4ELNS1_11target_archE910ELNS1_3gpuE8ELNS1_3repE0EEENS1_30default_config_static_selectorELNS0_4arch9wavefront6targetE0EEEvT1_.uses_flat_scratch, 0
	.set _ZN7rocprim17ROCPRIM_400000_NS6detail17trampoline_kernelINS0_14default_configENS1_27scan_by_key_config_selectorIiiEEZZNS1_16scan_by_key_implILNS1_25lookback_scan_determinismE0ELb0ES3_N6thrust23THRUST_200600_302600_NS6detail15normal_iteratorINS9_10device_ptrIiEEEESE_SE_iNS9_4plusIiEE19head_flag_predicateiEE10hipError_tPvRmT2_T3_T4_T5_mT6_T7_P12ihipStream_tbENKUlT_T0_E_clISt17integral_constantIbLb0EESY_EEDaST_SU_EUlST_E_NS1_11comp_targetILNS1_3genE4ELNS1_11target_archE910ELNS1_3gpuE8ELNS1_3repE0EEENS1_30default_config_static_selectorELNS0_4arch9wavefront6targetE0EEEvT1_.has_dyn_sized_stack, 0
	.set _ZN7rocprim17ROCPRIM_400000_NS6detail17trampoline_kernelINS0_14default_configENS1_27scan_by_key_config_selectorIiiEEZZNS1_16scan_by_key_implILNS1_25lookback_scan_determinismE0ELb0ES3_N6thrust23THRUST_200600_302600_NS6detail15normal_iteratorINS9_10device_ptrIiEEEESE_SE_iNS9_4plusIiEE19head_flag_predicateiEE10hipError_tPvRmT2_T3_T4_T5_mT6_T7_P12ihipStream_tbENKUlT_T0_E_clISt17integral_constantIbLb0EESY_EEDaST_SU_EUlST_E_NS1_11comp_targetILNS1_3genE4ELNS1_11target_archE910ELNS1_3gpuE8ELNS1_3repE0EEENS1_30default_config_static_selectorELNS0_4arch9wavefront6targetE0EEEvT1_.has_recursion, 0
	.set _ZN7rocprim17ROCPRIM_400000_NS6detail17trampoline_kernelINS0_14default_configENS1_27scan_by_key_config_selectorIiiEEZZNS1_16scan_by_key_implILNS1_25lookback_scan_determinismE0ELb0ES3_N6thrust23THRUST_200600_302600_NS6detail15normal_iteratorINS9_10device_ptrIiEEEESE_SE_iNS9_4plusIiEE19head_flag_predicateiEE10hipError_tPvRmT2_T3_T4_T5_mT6_T7_P12ihipStream_tbENKUlT_T0_E_clISt17integral_constantIbLb0EESY_EEDaST_SU_EUlST_E_NS1_11comp_targetILNS1_3genE4ELNS1_11target_archE910ELNS1_3gpuE8ELNS1_3repE0EEENS1_30default_config_static_selectorELNS0_4arch9wavefront6targetE0EEEvT1_.has_indirect_call, 0
	.section	.AMDGPU.csdata,"",@progbits
; Kernel info:
; codeLenInByte = 0
; TotalNumSgprs: 0
; NumVgprs: 0
; ScratchSize: 0
; MemoryBound: 0
; FloatMode: 240
; IeeeMode: 1
; LDSByteSize: 0 bytes/workgroup (compile time only)
; SGPRBlocks: 0
; VGPRBlocks: 0
; NumSGPRsForWavesPerEU: 1
; NumVGPRsForWavesPerEU: 1
; Occupancy: 16
; WaveLimiterHint : 0
; COMPUTE_PGM_RSRC2:SCRATCH_EN: 0
; COMPUTE_PGM_RSRC2:USER_SGPR: 6
; COMPUTE_PGM_RSRC2:TRAP_HANDLER: 0
; COMPUTE_PGM_RSRC2:TGID_X_EN: 1
; COMPUTE_PGM_RSRC2:TGID_Y_EN: 0
; COMPUTE_PGM_RSRC2:TGID_Z_EN: 0
; COMPUTE_PGM_RSRC2:TIDIG_COMP_CNT: 0
	.section	.text._ZN7rocprim17ROCPRIM_400000_NS6detail17trampoline_kernelINS0_14default_configENS1_27scan_by_key_config_selectorIiiEEZZNS1_16scan_by_key_implILNS1_25lookback_scan_determinismE0ELb0ES3_N6thrust23THRUST_200600_302600_NS6detail15normal_iteratorINS9_10device_ptrIiEEEESE_SE_iNS9_4plusIiEE19head_flag_predicateiEE10hipError_tPvRmT2_T3_T4_T5_mT6_T7_P12ihipStream_tbENKUlT_T0_E_clISt17integral_constantIbLb0EESY_EEDaST_SU_EUlST_E_NS1_11comp_targetILNS1_3genE3ELNS1_11target_archE908ELNS1_3gpuE7ELNS1_3repE0EEENS1_30default_config_static_selectorELNS0_4arch9wavefront6targetE0EEEvT1_,"axG",@progbits,_ZN7rocprim17ROCPRIM_400000_NS6detail17trampoline_kernelINS0_14default_configENS1_27scan_by_key_config_selectorIiiEEZZNS1_16scan_by_key_implILNS1_25lookback_scan_determinismE0ELb0ES3_N6thrust23THRUST_200600_302600_NS6detail15normal_iteratorINS9_10device_ptrIiEEEESE_SE_iNS9_4plusIiEE19head_flag_predicateiEE10hipError_tPvRmT2_T3_T4_T5_mT6_T7_P12ihipStream_tbENKUlT_T0_E_clISt17integral_constantIbLb0EESY_EEDaST_SU_EUlST_E_NS1_11comp_targetILNS1_3genE3ELNS1_11target_archE908ELNS1_3gpuE7ELNS1_3repE0EEENS1_30default_config_static_selectorELNS0_4arch9wavefront6targetE0EEEvT1_,comdat
	.protected	_ZN7rocprim17ROCPRIM_400000_NS6detail17trampoline_kernelINS0_14default_configENS1_27scan_by_key_config_selectorIiiEEZZNS1_16scan_by_key_implILNS1_25lookback_scan_determinismE0ELb0ES3_N6thrust23THRUST_200600_302600_NS6detail15normal_iteratorINS9_10device_ptrIiEEEESE_SE_iNS9_4plusIiEE19head_flag_predicateiEE10hipError_tPvRmT2_T3_T4_T5_mT6_T7_P12ihipStream_tbENKUlT_T0_E_clISt17integral_constantIbLb0EESY_EEDaST_SU_EUlST_E_NS1_11comp_targetILNS1_3genE3ELNS1_11target_archE908ELNS1_3gpuE7ELNS1_3repE0EEENS1_30default_config_static_selectorELNS0_4arch9wavefront6targetE0EEEvT1_ ; -- Begin function _ZN7rocprim17ROCPRIM_400000_NS6detail17trampoline_kernelINS0_14default_configENS1_27scan_by_key_config_selectorIiiEEZZNS1_16scan_by_key_implILNS1_25lookback_scan_determinismE0ELb0ES3_N6thrust23THRUST_200600_302600_NS6detail15normal_iteratorINS9_10device_ptrIiEEEESE_SE_iNS9_4plusIiEE19head_flag_predicateiEE10hipError_tPvRmT2_T3_T4_T5_mT6_T7_P12ihipStream_tbENKUlT_T0_E_clISt17integral_constantIbLb0EESY_EEDaST_SU_EUlST_E_NS1_11comp_targetILNS1_3genE3ELNS1_11target_archE908ELNS1_3gpuE7ELNS1_3repE0EEENS1_30default_config_static_selectorELNS0_4arch9wavefront6targetE0EEEvT1_
	.globl	_ZN7rocprim17ROCPRIM_400000_NS6detail17trampoline_kernelINS0_14default_configENS1_27scan_by_key_config_selectorIiiEEZZNS1_16scan_by_key_implILNS1_25lookback_scan_determinismE0ELb0ES3_N6thrust23THRUST_200600_302600_NS6detail15normal_iteratorINS9_10device_ptrIiEEEESE_SE_iNS9_4plusIiEE19head_flag_predicateiEE10hipError_tPvRmT2_T3_T4_T5_mT6_T7_P12ihipStream_tbENKUlT_T0_E_clISt17integral_constantIbLb0EESY_EEDaST_SU_EUlST_E_NS1_11comp_targetILNS1_3genE3ELNS1_11target_archE908ELNS1_3gpuE7ELNS1_3repE0EEENS1_30default_config_static_selectorELNS0_4arch9wavefront6targetE0EEEvT1_
	.p2align	8
	.type	_ZN7rocprim17ROCPRIM_400000_NS6detail17trampoline_kernelINS0_14default_configENS1_27scan_by_key_config_selectorIiiEEZZNS1_16scan_by_key_implILNS1_25lookback_scan_determinismE0ELb0ES3_N6thrust23THRUST_200600_302600_NS6detail15normal_iteratorINS9_10device_ptrIiEEEESE_SE_iNS9_4plusIiEE19head_flag_predicateiEE10hipError_tPvRmT2_T3_T4_T5_mT6_T7_P12ihipStream_tbENKUlT_T0_E_clISt17integral_constantIbLb0EESY_EEDaST_SU_EUlST_E_NS1_11comp_targetILNS1_3genE3ELNS1_11target_archE908ELNS1_3gpuE7ELNS1_3repE0EEENS1_30default_config_static_selectorELNS0_4arch9wavefront6targetE0EEEvT1_,@function
_ZN7rocprim17ROCPRIM_400000_NS6detail17trampoline_kernelINS0_14default_configENS1_27scan_by_key_config_selectorIiiEEZZNS1_16scan_by_key_implILNS1_25lookback_scan_determinismE0ELb0ES3_N6thrust23THRUST_200600_302600_NS6detail15normal_iteratorINS9_10device_ptrIiEEEESE_SE_iNS9_4plusIiEE19head_flag_predicateiEE10hipError_tPvRmT2_T3_T4_T5_mT6_T7_P12ihipStream_tbENKUlT_T0_E_clISt17integral_constantIbLb0EESY_EEDaST_SU_EUlST_E_NS1_11comp_targetILNS1_3genE3ELNS1_11target_archE908ELNS1_3gpuE7ELNS1_3repE0EEENS1_30default_config_static_selectorELNS0_4arch9wavefront6targetE0EEEvT1_: ; @_ZN7rocprim17ROCPRIM_400000_NS6detail17trampoline_kernelINS0_14default_configENS1_27scan_by_key_config_selectorIiiEEZZNS1_16scan_by_key_implILNS1_25lookback_scan_determinismE0ELb0ES3_N6thrust23THRUST_200600_302600_NS6detail15normal_iteratorINS9_10device_ptrIiEEEESE_SE_iNS9_4plusIiEE19head_flag_predicateiEE10hipError_tPvRmT2_T3_T4_T5_mT6_T7_P12ihipStream_tbENKUlT_T0_E_clISt17integral_constantIbLb0EESY_EEDaST_SU_EUlST_E_NS1_11comp_targetILNS1_3genE3ELNS1_11target_archE908ELNS1_3gpuE7ELNS1_3repE0EEENS1_30default_config_static_selectorELNS0_4arch9wavefront6targetE0EEEvT1_
; %bb.0:
	.section	.rodata,"a",@progbits
	.p2align	6, 0x0
	.amdhsa_kernel _ZN7rocprim17ROCPRIM_400000_NS6detail17trampoline_kernelINS0_14default_configENS1_27scan_by_key_config_selectorIiiEEZZNS1_16scan_by_key_implILNS1_25lookback_scan_determinismE0ELb0ES3_N6thrust23THRUST_200600_302600_NS6detail15normal_iteratorINS9_10device_ptrIiEEEESE_SE_iNS9_4plusIiEE19head_flag_predicateiEE10hipError_tPvRmT2_T3_T4_T5_mT6_T7_P12ihipStream_tbENKUlT_T0_E_clISt17integral_constantIbLb0EESY_EEDaST_SU_EUlST_E_NS1_11comp_targetILNS1_3genE3ELNS1_11target_archE908ELNS1_3gpuE7ELNS1_3repE0EEENS1_30default_config_static_selectorELNS0_4arch9wavefront6targetE0EEEvT1_
		.amdhsa_group_segment_fixed_size 0
		.amdhsa_private_segment_fixed_size 0
		.amdhsa_kernarg_size 112
		.amdhsa_user_sgpr_count 6
		.amdhsa_user_sgpr_private_segment_buffer 1
		.amdhsa_user_sgpr_dispatch_ptr 0
		.amdhsa_user_sgpr_queue_ptr 0
		.amdhsa_user_sgpr_kernarg_segment_ptr 1
		.amdhsa_user_sgpr_dispatch_id 0
		.amdhsa_user_sgpr_flat_scratch_init 0
		.amdhsa_user_sgpr_private_segment_size 0
		.amdhsa_wavefront_size32 1
		.amdhsa_uses_dynamic_stack 0
		.amdhsa_system_sgpr_private_segment_wavefront_offset 0
		.amdhsa_system_sgpr_workgroup_id_x 1
		.amdhsa_system_sgpr_workgroup_id_y 0
		.amdhsa_system_sgpr_workgroup_id_z 0
		.amdhsa_system_sgpr_workgroup_info 0
		.amdhsa_system_vgpr_workitem_id 0
		.amdhsa_next_free_vgpr 1
		.amdhsa_next_free_sgpr 1
		.amdhsa_reserve_vcc 0
		.amdhsa_reserve_flat_scratch 0
		.amdhsa_float_round_mode_32 0
		.amdhsa_float_round_mode_16_64 0
		.amdhsa_float_denorm_mode_32 3
		.amdhsa_float_denorm_mode_16_64 3
		.amdhsa_dx10_clamp 1
		.amdhsa_ieee_mode 1
		.amdhsa_fp16_overflow 0
		.amdhsa_workgroup_processor_mode 1
		.amdhsa_memory_ordered 1
		.amdhsa_forward_progress 1
		.amdhsa_shared_vgpr_count 0
		.amdhsa_exception_fp_ieee_invalid_op 0
		.amdhsa_exception_fp_denorm_src 0
		.amdhsa_exception_fp_ieee_div_zero 0
		.amdhsa_exception_fp_ieee_overflow 0
		.amdhsa_exception_fp_ieee_underflow 0
		.amdhsa_exception_fp_ieee_inexact 0
		.amdhsa_exception_int_div_zero 0
	.end_amdhsa_kernel
	.section	.text._ZN7rocprim17ROCPRIM_400000_NS6detail17trampoline_kernelINS0_14default_configENS1_27scan_by_key_config_selectorIiiEEZZNS1_16scan_by_key_implILNS1_25lookback_scan_determinismE0ELb0ES3_N6thrust23THRUST_200600_302600_NS6detail15normal_iteratorINS9_10device_ptrIiEEEESE_SE_iNS9_4plusIiEE19head_flag_predicateiEE10hipError_tPvRmT2_T3_T4_T5_mT6_T7_P12ihipStream_tbENKUlT_T0_E_clISt17integral_constantIbLb0EESY_EEDaST_SU_EUlST_E_NS1_11comp_targetILNS1_3genE3ELNS1_11target_archE908ELNS1_3gpuE7ELNS1_3repE0EEENS1_30default_config_static_selectorELNS0_4arch9wavefront6targetE0EEEvT1_,"axG",@progbits,_ZN7rocprim17ROCPRIM_400000_NS6detail17trampoline_kernelINS0_14default_configENS1_27scan_by_key_config_selectorIiiEEZZNS1_16scan_by_key_implILNS1_25lookback_scan_determinismE0ELb0ES3_N6thrust23THRUST_200600_302600_NS6detail15normal_iteratorINS9_10device_ptrIiEEEESE_SE_iNS9_4plusIiEE19head_flag_predicateiEE10hipError_tPvRmT2_T3_T4_T5_mT6_T7_P12ihipStream_tbENKUlT_T0_E_clISt17integral_constantIbLb0EESY_EEDaST_SU_EUlST_E_NS1_11comp_targetILNS1_3genE3ELNS1_11target_archE908ELNS1_3gpuE7ELNS1_3repE0EEENS1_30default_config_static_selectorELNS0_4arch9wavefront6targetE0EEEvT1_,comdat
.Lfunc_end753:
	.size	_ZN7rocprim17ROCPRIM_400000_NS6detail17trampoline_kernelINS0_14default_configENS1_27scan_by_key_config_selectorIiiEEZZNS1_16scan_by_key_implILNS1_25lookback_scan_determinismE0ELb0ES3_N6thrust23THRUST_200600_302600_NS6detail15normal_iteratorINS9_10device_ptrIiEEEESE_SE_iNS9_4plusIiEE19head_flag_predicateiEE10hipError_tPvRmT2_T3_T4_T5_mT6_T7_P12ihipStream_tbENKUlT_T0_E_clISt17integral_constantIbLb0EESY_EEDaST_SU_EUlST_E_NS1_11comp_targetILNS1_3genE3ELNS1_11target_archE908ELNS1_3gpuE7ELNS1_3repE0EEENS1_30default_config_static_selectorELNS0_4arch9wavefront6targetE0EEEvT1_, .Lfunc_end753-_ZN7rocprim17ROCPRIM_400000_NS6detail17trampoline_kernelINS0_14default_configENS1_27scan_by_key_config_selectorIiiEEZZNS1_16scan_by_key_implILNS1_25lookback_scan_determinismE0ELb0ES3_N6thrust23THRUST_200600_302600_NS6detail15normal_iteratorINS9_10device_ptrIiEEEESE_SE_iNS9_4plusIiEE19head_flag_predicateiEE10hipError_tPvRmT2_T3_T4_T5_mT6_T7_P12ihipStream_tbENKUlT_T0_E_clISt17integral_constantIbLb0EESY_EEDaST_SU_EUlST_E_NS1_11comp_targetILNS1_3genE3ELNS1_11target_archE908ELNS1_3gpuE7ELNS1_3repE0EEENS1_30default_config_static_selectorELNS0_4arch9wavefront6targetE0EEEvT1_
                                        ; -- End function
	.set _ZN7rocprim17ROCPRIM_400000_NS6detail17trampoline_kernelINS0_14default_configENS1_27scan_by_key_config_selectorIiiEEZZNS1_16scan_by_key_implILNS1_25lookback_scan_determinismE0ELb0ES3_N6thrust23THRUST_200600_302600_NS6detail15normal_iteratorINS9_10device_ptrIiEEEESE_SE_iNS9_4plusIiEE19head_flag_predicateiEE10hipError_tPvRmT2_T3_T4_T5_mT6_T7_P12ihipStream_tbENKUlT_T0_E_clISt17integral_constantIbLb0EESY_EEDaST_SU_EUlST_E_NS1_11comp_targetILNS1_3genE3ELNS1_11target_archE908ELNS1_3gpuE7ELNS1_3repE0EEENS1_30default_config_static_selectorELNS0_4arch9wavefront6targetE0EEEvT1_.num_vgpr, 0
	.set _ZN7rocprim17ROCPRIM_400000_NS6detail17trampoline_kernelINS0_14default_configENS1_27scan_by_key_config_selectorIiiEEZZNS1_16scan_by_key_implILNS1_25lookback_scan_determinismE0ELb0ES3_N6thrust23THRUST_200600_302600_NS6detail15normal_iteratorINS9_10device_ptrIiEEEESE_SE_iNS9_4plusIiEE19head_flag_predicateiEE10hipError_tPvRmT2_T3_T4_T5_mT6_T7_P12ihipStream_tbENKUlT_T0_E_clISt17integral_constantIbLb0EESY_EEDaST_SU_EUlST_E_NS1_11comp_targetILNS1_3genE3ELNS1_11target_archE908ELNS1_3gpuE7ELNS1_3repE0EEENS1_30default_config_static_selectorELNS0_4arch9wavefront6targetE0EEEvT1_.num_agpr, 0
	.set _ZN7rocprim17ROCPRIM_400000_NS6detail17trampoline_kernelINS0_14default_configENS1_27scan_by_key_config_selectorIiiEEZZNS1_16scan_by_key_implILNS1_25lookback_scan_determinismE0ELb0ES3_N6thrust23THRUST_200600_302600_NS6detail15normal_iteratorINS9_10device_ptrIiEEEESE_SE_iNS9_4plusIiEE19head_flag_predicateiEE10hipError_tPvRmT2_T3_T4_T5_mT6_T7_P12ihipStream_tbENKUlT_T0_E_clISt17integral_constantIbLb0EESY_EEDaST_SU_EUlST_E_NS1_11comp_targetILNS1_3genE3ELNS1_11target_archE908ELNS1_3gpuE7ELNS1_3repE0EEENS1_30default_config_static_selectorELNS0_4arch9wavefront6targetE0EEEvT1_.numbered_sgpr, 0
	.set _ZN7rocprim17ROCPRIM_400000_NS6detail17trampoline_kernelINS0_14default_configENS1_27scan_by_key_config_selectorIiiEEZZNS1_16scan_by_key_implILNS1_25lookback_scan_determinismE0ELb0ES3_N6thrust23THRUST_200600_302600_NS6detail15normal_iteratorINS9_10device_ptrIiEEEESE_SE_iNS9_4plusIiEE19head_flag_predicateiEE10hipError_tPvRmT2_T3_T4_T5_mT6_T7_P12ihipStream_tbENKUlT_T0_E_clISt17integral_constantIbLb0EESY_EEDaST_SU_EUlST_E_NS1_11comp_targetILNS1_3genE3ELNS1_11target_archE908ELNS1_3gpuE7ELNS1_3repE0EEENS1_30default_config_static_selectorELNS0_4arch9wavefront6targetE0EEEvT1_.num_named_barrier, 0
	.set _ZN7rocprim17ROCPRIM_400000_NS6detail17trampoline_kernelINS0_14default_configENS1_27scan_by_key_config_selectorIiiEEZZNS1_16scan_by_key_implILNS1_25lookback_scan_determinismE0ELb0ES3_N6thrust23THRUST_200600_302600_NS6detail15normal_iteratorINS9_10device_ptrIiEEEESE_SE_iNS9_4plusIiEE19head_flag_predicateiEE10hipError_tPvRmT2_T3_T4_T5_mT6_T7_P12ihipStream_tbENKUlT_T0_E_clISt17integral_constantIbLb0EESY_EEDaST_SU_EUlST_E_NS1_11comp_targetILNS1_3genE3ELNS1_11target_archE908ELNS1_3gpuE7ELNS1_3repE0EEENS1_30default_config_static_selectorELNS0_4arch9wavefront6targetE0EEEvT1_.private_seg_size, 0
	.set _ZN7rocprim17ROCPRIM_400000_NS6detail17trampoline_kernelINS0_14default_configENS1_27scan_by_key_config_selectorIiiEEZZNS1_16scan_by_key_implILNS1_25lookback_scan_determinismE0ELb0ES3_N6thrust23THRUST_200600_302600_NS6detail15normal_iteratorINS9_10device_ptrIiEEEESE_SE_iNS9_4plusIiEE19head_flag_predicateiEE10hipError_tPvRmT2_T3_T4_T5_mT6_T7_P12ihipStream_tbENKUlT_T0_E_clISt17integral_constantIbLb0EESY_EEDaST_SU_EUlST_E_NS1_11comp_targetILNS1_3genE3ELNS1_11target_archE908ELNS1_3gpuE7ELNS1_3repE0EEENS1_30default_config_static_selectorELNS0_4arch9wavefront6targetE0EEEvT1_.uses_vcc, 0
	.set _ZN7rocprim17ROCPRIM_400000_NS6detail17trampoline_kernelINS0_14default_configENS1_27scan_by_key_config_selectorIiiEEZZNS1_16scan_by_key_implILNS1_25lookback_scan_determinismE0ELb0ES3_N6thrust23THRUST_200600_302600_NS6detail15normal_iteratorINS9_10device_ptrIiEEEESE_SE_iNS9_4plusIiEE19head_flag_predicateiEE10hipError_tPvRmT2_T3_T4_T5_mT6_T7_P12ihipStream_tbENKUlT_T0_E_clISt17integral_constantIbLb0EESY_EEDaST_SU_EUlST_E_NS1_11comp_targetILNS1_3genE3ELNS1_11target_archE908ELNS1_3gpuE7ELNS1_3repE0EEENS1_30default_config_static_selectorELNS0_4arch9wavefront6targetE0EEEvT1_.uses_flat_scratch, 0
	.set _ZN7rocprim17ROCPRIM_400000_NS6detail17trampoline_kernelINS0_14default_configENS1_27scan_by_key_config_selectorIiiEEZZNS1_16scan_by_key_implILNS1_25lookback_scan_determinismE0ELb0ES3_N6thrust23THRUST_200600_302600_NS6detail15normal_iteratorINS9_10device_ptrIiEEEESE_SE_iNS9_4plusIiEE19head_flag_predicateiEE10hipError_tPvRmT2_T3_T4_T5_mT6_T7_P12ihipStream_tbENKUlT_T0_E_clISt17integral_constantIbLb0EESY_EEDaST_SU_EUlST_E_NS1_11comp_targetILNS1_3genE3ELNS1_11target_archE908ELNS1_3gpuE7ELNS1_3repE0EEENS1_30default_config_static_selectorELNS0_4arch9wavefront6targetE0EEEvT1_.has_dyn_sized_stack, 0
	.set _ZN7rocprim17ROCPRIM_400000_NS6detail17trampoline_kernelINS0_14default_configENS1_27scan_by_key_config_selectorIiiEEZZNS1_16scan_by_key_implILNS1_25lookback_scan_determinismE0ELb0ES3_N6thrust23THRUST_200600_302600_NS6detail15normal_iteratorINS9_10device_ptrIiEEEESE_SE_iNS9_4plusIiEE19head_flag_predicateiEE10hipError_tPvRmT2_T3_T4_T5_mT6_T7_P12ihipStream_tbENKUlT_T0_E_clISt17integral_constantIbLb0EESY_EEDaST_SU_EUlST_E_NS1_11comp_targetILNS1_3genE3ELNS1_11target_archE908ELNS1_3gpuE7ELNS1_3repE0EEENS1_30default_config_static_selectorELNS0_4arch9wavefront6targetE0EEEvT1_.has_recursion, 0
	.set _ZN7rocprim17ROCPRIM_400000_NS6detail17trampoline_kernelINS0_14default_configENS1_27scan_by_key_config_selectorIiiEEZZNS1_16scan_by_key_implILNS1_25lookback_scan_determinismE0ELb0ES3_N6thrust23THRUST_200600_302600_NS6detail15normal_iteratorINS9_10device_ptrIiEEEESE_SE_iNS9_4plusIiEE19head_flag_predicateiEE10hipError_tPvRmT2_T3_T4_T5_mT6_T7_P12ihipStream_tbENKUlT_T0_E_clISt17integral_constantIbLb0EESY_EEDaST_SU_EUlST_E_NS1_11comp_targetILNS1_3genE3ELNS1_11target_archE908ELNS1_3gpuE7ELNS1_3repE0EEENS1_30default_config_static_selectorELNS0_4arch9wavefront6targetE0EEEvT1_.has_indirect_call, 0
	.section	.AMDGPU.csdata,"",@progbits
; Kernel info:
; codeLenInByte = 0
; TotalNumSgprs: 0
; NumVgprs: 0
; ScratchSize: 0
; MemoryBound: 0
; FloatMode: 240
; IeeeMode: 1
; LDSByteSize: 0 bytes/workgroup (compile time only)
; SGPRBlocks: 0
; VGPRBlocks: 0
; NumSGPRsForWavesPerEU: 1
; NumVGPRsForWavesPerEU: 1
; Occupancy: 16
; WaveLimiterHint : 0
; COMPUTE_PGM_RSRC2:SCRATCH_EN: 0
; COMPUTE_PGM_RSRC2:USER_SGPR: 6
; COMPUTE_PGM_RSRC2:TRAP_HANDLER: 0
; COMPUTE_PGM_RSRC2:TGID_X_EN: 1
; COMPUTE_PGM_RSRC2:TGID_Y_EN: 0
; COMPUTE_PGM_RSRC2:TGID_Z_EN: 0
; COMPUTE_PGM_RSRC2:TIDIG_COMP_CNT: 0
	.section	.text._ZN7rocprim17ROCPRIM_400000_NS6detail17trampoline_kernelINS0_14default_configENS1_27scan_by_key_config_selectorIiiEEZZNS1_16scan_by_key_implILNS1_25lookback_scan_determinismE0ELb0ES3_N6thrust23THRUST_200600_302600_NS6detail15normal_iteratorINS9_10device_ptrIiEEEESE_SE_iNS9_4plusIiEE19head_flag_predicateiEE10hipError_tPvRmT2_T3_T4_T5_mT6_T7_P12ihipStream_tbENKUlT_T0_E_clISt17integral_constantIbLb0EESY_EEDaST_SU_EUlST_E_NS1_11comp_targetILNS1_3genE2ELNS1_11target_archE906ELNS1_3gpuE6ELNS1_3repE0EEENS1_30default_config_static_selectorELNS0_4arch9wavefront6targetE0EEEvT1_,"axG",@progbits,_ZN7rocprim17ROCPRIM_400000_NS6detail17trampoline_kernelINS0_14default_configENS1_27scan_by_key_config_selectorIiiEEZZNS1_16scan_by_key_implILNS1_25lookback_scan_determinismE0ELb0ES3_N6thrust23THRUST_200600_302600_NS6detail15normal_iteratorINS9_10device_ptrIiEEEESE_SE_iNS9_4plusIiEE19head_flag_predicateiEE10hipError_tPvRmT2_T3_T4_T5_mT6_T7_P12ihipStream_tbENKUlT_T0_E_clISt17integral_constantIbLb0EESY_EEDaST_SU_EUlST_E_NS1_11comp_targetILNS1_3genE2ELNS1_11target_archE906ELNS1_3gpuE6ELNS1_3repE0EEENS1_30default_config_static_selectorELNS0_4arch9wavefront6targetE0EEEvT1_,comdat
	.protected	_ZN7rocprim17ROCPRIM_400000_NS6detail17trampoline_kernelINS0_14default_configENS1_27scan_by_key_config_selectorIiiEEZZNS1_16scan_by_key_implILNS1_25lookback_scan_determinismE0ELb0ES3_N6thrust23THRUST_200600_302600_NS6detail15normal_iteratorINS9_10device_ptrIiEEEESE_SE_iNS9_4plusIiEE19head_flag_predicateiEE10hipError_tPvRmT2_T3_T4_T5_mT6_T7_P12ihipStream_tbENKUlT_T0_E_clISt17integral_constantIbLb0EESY_EEDaST_SU_EUlST_E_NS1_11comp_targetILNS1_3genE2ELNS1_11target_archE906ELNS1_3gpuE6ELNS1_3repE0EEENS1_30default_config_static_selectorELNS0_4arch9wavefront6targetE0EEEvT1_ ; -- Begin function _ZN7rocprim17ROCPRIM_400000_NS6detail17trampoline_kernelINS0_14default_configENS1_27scan_by_key_config_selectorIiiEEZZNS1_16scan_by_key_implILNS1_25lookback_scan_determinismE0ELb0ES3_N6thrust23THRUST_200600_302600_NS6detail15normal_iteratorINS9_10device_ptrIiEEEESE_SE_iNS9_4plusIiEE19head_flag_predicateiEE10hipError_tPvRmT2_T3_T4_T5_mT6_T7_P12ihipStream_tbENKUlT_T0_E_clISt17integral_constantIbLb0EESY_EEDaST_SU_EUlST_E_NS1_11comp_targetILNS1_3genE2ELNS1_11target_archE906ELNS1_3gpuE6ELNS1_3repE0EEENS1_30default_config_static_selectorELNS0_4arch9wavefront6targetE0EEEvT1_
	.globl	_ZN7rocprim17ROCPRIM_400000_NS6detail17trampoline_kernelINS0_14default_configENS1_27scan_by_key_config_selectorIiiEEZZNS1_16scan_by_key_implILNS1_25lookback_scan_determinismE0ELb0ES3_N6thrust23THRUST_200600_302600_NS6detail15normal_iteratorINS9_10device_ptrIiEEEESE_SE_iNS9_4plusIiEE19head_flag_predicateiEE10hipError_tPvRmT2_T3_T4_T5_mT6_T7_P12ihipStream_tbENKUlT_T0_E_clISt17integral_constantIbLb0EESY_EEDaST_SU_EUlST_E_NS1_11comp_targetILNS1_3genE2ELNS1_11target_archE906ELNS1_3gpuE6ELNS1_3repE0EEENS1_30default_config_static_selectorELNS0_4arch9wavefront6targetE0EEEvT1_
	.p2align	8
	.type	_ZN7rocprim17ROCPRIM_400000_NS6detail17trampoline_kernelINS0_14default_configENS1_27scan_by_key_config_selectorIiiEEZZNS1_16scan_by_key_implILNS1_25lookback_scan_determinismE0ELb0ES3_N6thrust23THRUST_200600_302600_NS6detail15normal_iteratorINS9_10device_ptrIiEEEESE_SE_iNS9_4plusIiEE19head_flag_predicateiEE10hipError_tPvRmT2_T3_T4_T5_mT6_T7_P12ihipStream_tbENKUlT_T0_E_clISt17integral_constantIbLb0EESY_EEDaST_SU_EUlST_E_NS1_11comp_targetILNS1_3genE2ELNS1_11target_archE906ELNS1_3gpuE6ELNS1_3repE0EEENS1_30default_config_static_selectorELNS0_4arch9wavefront6targetE0EEEvT1_,@function
_ZN7rocprim17ROCPRIM_400000_NS6detail17trampoline_kernelINS0_14default_configENS1_27scan_by_key_config_selectorIiiEEZZNS1_16scan_by_key_implILNS1_25lookback_scan_determinismE0ELb0ES3_N6thrust23THRUST_200600_302600_NS6detail15normal_iteratorINS9_10device_ptrIiEEEESE_SE_iNS9_4plusIiEE19head_flag_predicateiEE10hipError_tPvRmT2_T3_T4_T5_mT6_T7_P12ihipStream_tbENKUlT_T0_E_clISt17integral_constantIbLb0EESY_EEDaST_SU_EUlST_E_NS1_11comp_targetILNS1_3genE2ELNS1_11target_archE906ELNS1_3gpuE6ELNS1_3repE0EEENS1_30default_config_static_selectorELNS0_4arch9wavefront6targetE0EEEvT1_: ; @_ZN7rocprim17ROCPRIM_400000_NS6detail17trampoline_kernelINS0_14default_configENS1_27scan_by_key_config_selectorIiiEEZZNS1_16scan_by_key_implILNS1_25lookback_scan_determinismE0ELb0ES3_N6thrust23THRUST_200600_302600_NS6detail15normal_iteratorINS9_10device_ptrIiEEEESE_SE_iNS9_4plusIiEE19head_flag_predicateiEE10hipError_tPvRmT2_T3_T4_T5_mT6_T7_P12ihipStream_tbENKUlT_T0_E_clISt17integral_constantIbLb0EESY_EEDaST_SU_EUlST_E_NS1_11comp_targetILNS1_3genE2ELNS1_11target_archE906ELNS1_3gpuE6ELNS1_3repE0EEENS1_30default_config_static_selectorELNS0_4arch9wavefront6targetE0EEEvT1_
; %bb.0:
	.section	.rodata,"a",@progbits
	.p2align	6, 0x0
	.amdhsa_kernel _ZN7rocprim17ROCPRIM_400000_NS6detail17trampoline_kernelINS0_14default_configENS1_27scan_by_key_config_selectorIiiEEZZNS1_16scan_by_key_implILNS1_25lookback_scan_determinismE0ELb0ES3_N6thrust23THRUST_200600_302600_NS6detail15normal_iteratorINS9_10device_ptrIiEEEESE_SE_iNS9_4plusIiEE19head_flag_predicateiEE10hipError_tPvRmT2_T3_T4_T5_mT6_T7_P12ihipStream_tbENKUlT_T0_E_clISt17integral_constantIbLb0EESY_EEDaST_SU_EUlST_E_NS1_11comp_targetILNS1_3genE2ELNS1_11target_archE906ELNS1_3gpuE6ELNS1_3repE0EEENS1_30default_config_static_selectorELNS0_4arch9wavefront6targetE0EEEvT1_
		.amdhsa_group_segment_fixed_size 0
		.amdhsa_private_segment_fixed_size 0
		.amdhsa_kernarg_size 112
		.amdhsa_user_sgpr_count 6
		.amdhsa_user_sgpr_private_segment_buffer 1
		.amdhsa_user_sgpr_dispatch_ptr 0
		.amdhsa_user_sgpr_queue_ptr 0
		.amdhsa_user_sgpr_kernarg_segment_ptr 1
		.amdhsa_user_sgpr_dispatch_id 0
		.amdhsa_user_sgpr_flat_scratch_init 0
		.amdhsa_user_sgpr_private_segment_size 0
		.amdhsa_wavefront_size32 1
		.amdhsa_uses_dynamic_stack 0
		.amdhsa_system_sgpr_private_segment_wavefront_offset 0
		.amdhsa_system_sgpr_workgroup_id_x 1
		.amdhsa_system_sgpr_workgroup_id_y 0
		.amdhsa_system_sgpr_workgroup_id_z 0
		.amdhsa_system_sgpr_workgroup_info 0
		.amdhsa_system_vgpr_workitem_id 0
		.amdhsa_next_free_vgpr 1
		.amdhsa_next_free_sgpr 1
		.amdhsa_reserve_vcc 0
		.amdhsa_reserve_flat_scratch 0
		.amdhsa_float_round_mode_32 0
		.amdhsa_float_round_mode_16_64 0
		.amdhsa_float_denorm_mode_32 3
		.amdhsa_float_denorm_mode_16_64 3
		.amdhsa_dx10_clamp 1
		.amdhsa_ieee_mode 1
		.amdhsa_fp16_overflow 0
		.amdhsa_workgroup_processor_mode 1
		.amdhsa_memory_ordered 1
		.amdhsa_forward_progress 1
		.amdhsa_shared_vgpr_count 0
		.amdhsa_exception_fp_ieee_invalid_op 0
		.amdhsa_exception_fp_denorm_src 0
		.amdhsa_exception_fp_ieee_div_zero 0
		.amdhsa_exception_fp_ieee_overflow 0
		.amdhsa_exception_fp_ieee_underflow 0
		.amdhsa_exception_fp_ieee_inexact 0
		.amdhsa_exception_int_div_zero 0
	.end_amdhsa_kernel
	.section	.text._ZN7rocprim17ROCPRIM_400000_NS6detail17trampoline_kernelINS0_14default_configENS1_27scan_by_key_config_selectorIiiEEZZNS1_16scan_by_key_implILNS1_25lookback_scan_determinismE0ELb0ES3_N6thrust23THRUST_200600_302600_NS6detail15normal_iteratorINS9_10device_ptrIiEEEESE_SE_iNS9_4plusIiEE19head_flag_predicateiEE10hipError_tPvRmT2_T3_T4_T5_mT6_T7_P12ihipStream_tbENKUlT_T0_E_clISt17integral_constantIbLb0EESY_EEDaST_SU_EUlST_E_NS1_11comp_targetILNS1_3genE2ELNS1_11target_archE906ELNS1_3gpuE6ELNS1_3repE0EEENS1_30default_config_static_selectorELNS0_4arch9wavefront6targetE0EEEvT1_,"axG",@progbits,_ZN7rocprim17ROCPRIM_400000_NS6detail17trampoline_kernelINS0_14default_configENS1_27scan_by_key_config_selectorIiiEEZZNS1_16scan_by_key_implILNS1_25lookback_scan_determinismE0ELb0ES3_N6thrust23THRUST_200600_302600_NS6detail15normal_iteratorINS9_10device_ptrIiEEEESE_SE_iNS9_4plusIiEE19head_flag_predicateiEE10hipError_tPvRmT2_T3_T4_T5_mT6_T7_P12ihipStream_tbENKUlT_T0_E_clISt17integral_constantIbLb0EESY_EEDaST_SU_EUlST_E_NS1_11comp_targetILNS1_3genE2ELNS1_11target_archE906ELNS1_3gpuE6ELNS1_3repE0EEENS1_30default_config_static_selectorELNS0_4arch9wavefront6targetE0EEEvT1_,comdat
.Lfunc_end754:
	.size	_ZN7rocprim17ROCPRIM_400000_NS6detail17trampoline_kernelINS0_14default_configENS1_27scan_by_key_config_selectorIiiEEZZNS1_16scan_by_key_implILNS1_25lookback_scan_determinismE0ELb0ES3_N6thrust23THRUST_200600_302600_NS6detail15normal_iteratorINS9_10device_ptrIiEEEESE_SE_iNS9_4plusIiEE19head_flag_predicateiEE10hipError_tPvRmT2_T3_T4_T5_mT6_T7_P12ihipStream_tbENKUlT_T0_E_clISt17integral_constantIbLb0EESY_EEDaST_SU_EUlST_E_NS1_11comp_targetILNS1_3genE2ELNS1_11target_archE906ELNS1_3gpuE6ELNS1_3repE0EEENS1_30default_config_static_selectorELNS0_4arch9wavefront6targetE0EEEvT1_, .Lfunc_end754-_ZN7rocprim17ROCPRIM_400000_NS6detail17trampoline_kernelINS0_14default_configENS1_27scan_by_key_config_selectorIiiEEZZNS1_16scan_by_key_implILNS1_25lookback_scan_determinismE0ELb0ES3_N6thrust23THRUST_200600_302600_NS6detail15normal_iteratorINS9_10device_ptrIiEEEESE_SE_iNS9_4plusIiEE19head_flag_predicateiEE10hipError_tPvRmT2_T3_T4_T5_mT6_T7_P12ihipStream_tbENKUlT_T0_E_clISt17integral_constantIbLb0EESY_EEDaST_SU_EUlST_E_NS1_11comp_targetILNS1_3genE2ELNS1_11target_archE906ELNS1_3gpuE6ELNS1_3repE0EEENS1_30default_config_static_selectorELNS0_4arch9wavefront6targetE0EEEvT1_
                                        ; -- End function
	.set _ZN7rocprim17ROCPRIM_400000_NS6detail17trampoline_kernelINS0_14default_configENS1_27scan_by_key_config_selectorIiiEEZZNS1_16scan_by_key_implILNS1_25lookback_scan_determinismE0ELb0ES3_N6thrust23THRUST_200600_302600_NS6detail15normal_iteratorINS9_10device_ptrIiEEEESE_SE_iNS9_4plusIiEE19head_flag_predicateiEE10hipError_tPvRmT2_T3_T4_T5_mT6_T7_P12ihipStream_tbENKUlT_T0_E_clISt17integral_constantIbLb0EESY_EEDaST_SU_EUlST_E_NS1_11comp_targetILNS1_3genE2ELNS1_11target_archE906ELNS1_3gpuE6ELNS1_3repE0EEENS1_30default_config_static_selectorELNS0_4arch9wavefront6targetE0EEEvT1_.num_vgpr, 0
	.set _ZN7rocprim17ROCPRIM_400000_NS6detail17trampoline_kernelINS0_14default_configENS1_27scan_by_key_config_selectorIiiEEZZNS1_16scan_by_key_implILNS1_25lookback_scan_determinismE0ELb0ES3_N6thrust23THRUST_200600_302600_NS6detail15normal_iteratorINS9_10device_ptrIiEEEESE_SE_iNS9_4plusIiEE19head_flag_predicateiEE10hipError_tPvRmT2_T3_T4_T5_mT6_T7_P12ihipStream_tbENKUlT_T0_E_clISt17integral_constantIbLb0EESY_EEDaST_SU_EUlST_E_NS1_11comp_targetILNS1_3genE2ELNS1_11target_archE906ELNS1_3gpuE6ELNS1_3repE0EEENS1_30default_config_static_selectorELNS0_4arch9wavefront6targetE0EEEvT1_.num_agpr, 0
	.set _ZN7rocprim17ROCPRIM_400000_NS6detail17trampoline_kernelINS0_14default_configENS1_27scan_by_key_config_selectorIiiEEZZNS1_16scan_by_key_implILNS1_25lookback_scan_determinismE0ELb0ES3_N6thrust23THRUST_200600_302600_NS6detail15normal_iteratorINS9_10device_ptrIiEEEESE_SE_iNS9_4plusIiEE19head_flag_predicateiEE10hipError_tPvRmT2_T3_T4_T5_mT6_T7_P12ihipStream_tbENKUlT_T0_E_clISt17integral_constantIbLb0EESY_EEDaST_SU_EUlST_E_NS1_11comp_targetILNS1_3genE2ELNS1_11target_archE906ELNS1_3gpuE6ELNS1_3repE0EEENS1_30default_config_static_selectorELNS0_4arch9wavefront6targetE0EEEvT1_.numbered_sgpr, 0
	.set _ZN7rocprim17ROCPRIM_400000_NS6detail17trampoline_kernelINS0_14default_configENS1_27scan_by_key_config_selectorIiiEEZZNS1_16scan_by_key_implILNS1_25lookback_scan_determinismE0ELb0ES3_N6thrust23THRUST_200600_302600_NS6detail15normal_iteratorINS9_10device_ptrIiEEEESE_SE_iNS9_4plusIiEE19head_flag_predicateiEE10hipError_tPvRmT2_T3_T4_T5_mT6_T7_P12ihipStream_tbENKUlT_T0_E_clISt17integral_constantIbLb0EESY_EEDaST_SU_EUlST_E_NS1_11comp_targetILNS1_3genE2ELNS1_11target_archE906ELNS1_3gpuE6ELNS1_3repE0EEENS1_30default_config_static_selectorELNS0_4arch9wavefront6targetE0EEEvT1_.num_named_barrier, 0
	.set _ZN7rocprim17ROCPRIM_400000_NS6detail17trampoline_kernelINS0_14default_configENS1_27scan_by_key_config_selectorIiiEEZZNS1_16scan_by_key_implILNS1_25lookback_scan_determinismE0ELb0ES3_N6thrust23THRUST_200600_302600_NS6detail15normal_iteratorINS9_10device_ptrIiEEEESE_SE_iNS9_4plusIiEE19head_flag_predicateiEE10hipError_tPvRmT2_T3_T4_T5_mT6_T7_P12ihipStream_tbENKUlT_T0_E_clISt17integral_constantIbLb0EESY_EEDaST_SU_EUlST_E_NS1_11comp_targetILNS1_3genE2ELNS1_11target_archE906ELNS1_3gpuE6ELNS1_3repE0EEENS1_30default_config_static_selectorELNS0_4arch9wavefront6targetE0EEEvT1_.private_seg_size, 0
	.set _ZN7rocprim17ROCPRIM_400000_NS6detail17trampoline_kernelINS0_14default_configENS1_27scan_by_key_config_selectorIiiEEZZNS1_16scan_by_key_implILNS1_25lookback_scan_determinismE0ELb0ES3_N6thrust23THRUST_200600_302600_NS6detail15normal_iteratorINS9_10device_ptrIiEEEESE_SE_iNS9_4plusIiEE19head_flag_predicateiEE10hipError_tPvRmT2_T3_T4_T5_mT6_T7_P12ihipStream_tbENKUlT_T0_E_clISt17integral_constantIbLb0EESY_EEDaST_SU_EUlST_E_NS1_11comp_targetILNS1_3genE2ELNS1_11target_archE906ELNS1_3gpuE6ELNS1_3repE0EEENS1_30default_config_static_selectorELNS0_4arch9wavefront6targetE0EEEvT1_.uses_vcc, 0
	.set _ZN7rocprim17ROCPRIM_400000_NS6detail17trampoline_kernelINS0_14default_configENS1_27scan_by_key_config_selectorIiiEEZZNS1_16scan_by_key_implILNS1_25lookback_scan_determinismE0ELb0ES3_N6thrust23THRUST_200600_302600_NS6detail15normal_iteratorINS9_10device_ptrIiEEEESE_SE_iNS9_4plusIiEE19head_flag_predicateiEE10hipError_tPvRmT2_T3_T4_T5_mT6_T7_P12ihipStream_tbENKUlT_T0_E_clISt17integral_constantIbLb0EESY_EEDaST_SU_EUlST_E_NS1_11comp_targetILNS1_3genE2ELNS1_11target_archE906ELNS1_3gpuE6ELNS1_3repE0EEENS1_30default_config_static_selectorELNS0_4arch9wavefront6targetE0EEEvT1_.uses_flat_scratch, 0
	.set _ZN7rocprim17ROCPRIM_400000_NS6detail17trampoline_kernelINS0_14default_configENS1_27scan_by_key_config_selectorIiiEEZZNS1_16scan_by_key_implILNS1_25lookback_scan_determinismE0ELb0ES3_N6thrust23THRUST_200600_302600_NS6detail15normal_iteratorINS9_10device_ptrIiEEEESE_SE_iNS9_4plusIiEE19head_flag_predicateiEE10hipError_tPvRmT2_T3_T4_T5_mT6_T7_P12ihipStream_tbENKUlT_T0_E_clISt17integral_constantIbLb0EESY_EEDaST_SU_EUlST_E_NS1_11comp_targetILNS1_3genE2ELNS1_11target_archE906ELNS1_3gpuE6ELNS1_3repE0EEENS1_30default_config_static_selectorELNS0_4arch9wavefront6targetE0EEEvT1_.has_dyn_sized_stack, 0
	.set _ZN7rocprim17ROCPRIM_400000_NS6detail17trampoline_kernelINS0_14default_configENS1_27scan_by_key_config_selectorIiiEEZZNS1_16scan_by_key_implILNS1_25lookback_scan_determinismE0ELb0ES3_N6thrust23THRUST_200600_302600_NS6detail15normal_iteratorINS9_10device_ptrIiEEEESE_SE_iNS9_4plusIiEE19head_flag_predicateiEE10hipError_tPvRmT2_T3_T4_T5_mT6_T7_P12ihipStream_tbENKUlT_T0_E_clISt17integral_constantIbLb0EESY_EEDaST_SU_EUlST_E_NS1_11comp_targetILNS1_3genE2ELNS1_11target_archE906ELNS1_3gpuE6ELNS1_3repE0EEENS1_30default_config_static_selectorELNS0_4arch9wavefront6targetE0EEEvT1_.has_recursion, 0
	.set _ZN7rocprim17ROCPRIM_400000_NS6detail17trampoline_kernelINS0_14default_configENS1_27scan_by_key_config_selectorIiiEEZZNS1_16scan_by_key_implILNS1_25lookback_scan_determinismE0ELb0ES3_N6thrust23THRUST_200600_302600_NS6detail15normal_iteratorINS9_10device_ptrIiEEEESE_SE_iNS9_4plusIiEE19head_flag_predicateiEE10hipError_tPvRmT2_T3_T4_T5_mT6_T7_P12ihipStream_tbENKUlT_T0_E_clISt17integral_constantIbLb0EESY_EEDaST_SU_EUlST_E_NS1_11comp_targetILNS1_3genE2ELNS1_11target_archE906ELNS1_3gpuE6ELNS1_3repE0EEENS1_30default_config_static_selectorELNS0_4arch9wavefront6targetE0EEEvT1_.has_indirect_call, 0
	.section	.AMDGPU.csdata,"",@progbits
; Kernel info:
; codeLenInByte = 0
; TotalNumSgprs: 0
; NumVgprs: 0
; ScratchSize: 0
; MemoryBound: 0
; FloatMode: 240
; IeeeMode: 1
; LDSByteSize: 0 bytes/workgroup (compile time only)
; SGPRBlocks: 0
; VGPRBlocks: 0
; NumSGPRsForWavesPerEU: 1
; NumVGPRsForWavesPerEU: 1
; Occupancy: 16
; WaveLimiterHint : 0
; COMPUTE_PGM_RSRC2:SCRATCH_EN: 0
; COMPUTE_PGM_RSRC2:USER_SGPR: 6
; COMPUTE_PGM_RSRC2:TRAP_HANDLER: 0
; COMPUTE_PGM_RSRC2:TGID_X_EN: 1
; COMPUTE_PGM_RSRC2:TGID_Y_EN: 0
; COMPUTE_PGM_RSRC2:TGID_Z_EN: 0
; COMPUTE_PGM_RSRC2:TIDIG_COMP_CNT: 0
	.section	.text._ZN7rocprim17ROCPRIM_400000_NS6detail17trampoline_kernelINS0_14default_configENS1_27scan_by_key_config_selectorIiiEEZZNS1_16scan_by_key_implILNS1_25lookback_scan_determinismE0ELb0ES3_N6thrust23THRUST_200600_302600_NS6detail15normal_iteratorINS9_10device_ptrIiEEEESE_SE_iNS9_4plusIiEE19head_flag_predicateiEE10hipError_tPvRmT2_T3_T4_T5_mT6_T7_P12ihipStream_tbENKUlT_T0_E_clISt17integral_constantIbLb0EESY_EEDaST_SU_EUlST_E_NS1_11comp_targetILNS1_3genE10ELNS1_11target_archE1200ELNS1_3gpuE4ELNS1_3repE0EEENS1_30default_config_static_selectorELNS0_4arch9wavefront6targetE0EEEvT1_,"axG",@progbits,_ZN7rocprim17ROCPRIM_400000_NS6detail17trampoline_kernelINS0_14default_configENS1_27scan_by_key_config_selectorIiiEEZZNS1_16scan_by_key_implILNS1_25lookback_scan_determinismE0ELb0ES3_N6thrust23THRUST_200600_302600_NS6detail15normal_iteratorINS9_10device_ptrIiEEEESE_SE_iNS9_4plusIiEE19head_flag_predicateiEE10hipError_tPvRmT2_T3_T4_T5_mT6_T7_P12ihipStream_tbENKUlT_T0_E_clISt17integral_constantIbLb0EESY_EEDaST_SU_EUlST_E_NS1_11comp_targetILNS1_3genE10ELNS1_11target_archE1200ELNS1_3gpuE4ELNS1_3repE0EEENS1_30default_config_static_selectorELNS0_4arch9wavefront6targetE0EEEvT1_,comdat
	.protected	_ZN7rocprim17ROCPRIM_400000_NS6detail17trampoline_kernelINS0_14default_configENS1_27scan_by_key_config_selectorIiiEEZZNS1_16scan_by_key_implILNS1_25lookback_scan_determinismE0ELb0ES3_N6thrust23THRUST_200600_302600_NS6detail15normal_iteratorINS9_10device_ptrIiEEEESE_SE_iNS9_4plusIiEE19head_flag_predicateiEE10hipError_tPvRmT2_T3_T4_T5_mT6_T7_P12ihipStream_tbENKUlT_T0_E_clISt17integral_constantIbLb0EESY_EEDaST_SU_EUlST_E_NS1_11comp_targetILNS1_3genE10ELNS1_11target_archE1200ELNS1_3gpuE4ELNS1_3repE0EEENS1_30default_config_static_selectorELNS0_4arch9wavefront6targetE0EEEvT1_ ; -- Begin function _ZN7rocprim17ROCPRIM_400000_NS6detail17trampoline_kernelINS0_14default_configENS1_27scan_by_key_config_selectorIiiEEZZNS1_16scan_by_key_implILNS1_25lookback_scan_determinismE0ELb0ES3_N6thrust23THRUST_200600_302600_NS6detail15normal_iteratorINS9_10device_ptrIiEEEESE_SE_iNS9_4plusIiEE19head_flag_predicateiEE10hipError_tPvRmT2_T3_T4_T5_mT6_T7_P12ihipStream_tbENKUlT_T0_E_clISt17integral_constantIbLb0EESY_EEDaST_SU_EUlST_E_NS1_11comp_targetILNS1_3genE10ELNS1_11target_archE1200ELNS1_3gpuE4ELNS1_3repE0EEENS1_30default_config_static_selectorELNS0_4arch9wavefront6targetE0EEEvT1_
	.globl	_ZN7rocprim17ROCPRIM_400000_NS6detail17trampoline_kernelINS0_14default_configENS1_27scan_by_key_config_selectorIiiEEZZNS1_16scan_by_key_implILNS1_25lookback_scan_determinismE0ELb0ES3_N6thrust23THRUST_200600_302600_NS6detail15normal_iteratorINS9_10device_ptrIiEEEESE_SE_iNS9_4plusIiEE19head_flag_predicateiEE10hipError_tPvRmT2_T3_T4_T5_mT6_T7_P12ihipStream_tbENKUlT_T0_E_clISt17integral_constantIbLb0EESY_EEDaST_SU_EUlST_E_NS1_11comp_targetILNS1_3genE10ELNS1_11target_archE1200ELNS1_3gpuE4ELNS1_3repE0EEENS1_30default_config_static_selectorELNS0_4arch9wavefront6targetE0EEEvT1_
	.p2align	8
	.type	_ZN7rocprim17ROCPRIM_400000_NS6detail17trampoline_kernelINS0_14default_configENS1_27scan_by_key_config_selectorIiiEEZZNS1_16scan_by_key_implILNS1_25lookback_scan_determinismE0ELb0ES3_N6thrust23THRUST_200600_302600_NS6detail15normal_iteratorINS9_10device_ptrIiEEEESE_SE_iNS9_4plusIiEE19head_flag_predicateiEE10hipError_tPvRmT2_T3_T4_T5_mT6_T7_P12ihipStream_tbENKUlT_T0_E_clISt17integral_constantIbLb0EESY_EEDaST_SU_EUlST_E_NS1_11comp_targetILNS1_3genE10ELNS1_11target_archE1200ELNS1_3gpuE4ELNS1_3repE0EEENS1_30default_config_static_selectorELNS0_4arch9wavefront6targetE0EEEvT1_,@function
_ZN7rocprim17ROCPRIM_400000_NS6detail17trampoline_kernelINS0_14default_configENS1_27scan_by_key_config_selectorIiiEEZZNS1_16scan_by_key_implILNS1_25lookback_scan_determinismE0ELb0ES3_N6thrust23THRUST_200600_302600_NS6detail15normal_iteratorINS9_10device_ptrIiEEEESE_SE_iNS9_4plusIiEE19head_flag_predicateiEE10hipError_tPvRmT2_T3_T4_T5_mT6_T7_P12ihipStream_tbENKUlT_T0_E_clISt17integral_constantIbLb0EESY_EEDaST_SU_EUlST_E_NS1_11comp_targetILNS1_3genE10ELNS1_11target_archE1200ELNS1_3gpuE4ELNS1_3repE0EEENS1_30default_config_static_selectorELNS0_4arch9wavefront6targetE0EEEvT1_: ; @_ZN7rocprim17ROCPRIM_400000_NS6detail17trampoline_kernelINS0_14default_configENS1_27scan_by_key_config_selectorIiiEEZZNS1_16scan_by_key_implILNS1_25lookback_scan_determinismE0ELb0ES3_N6thrust23THRUST_200600_302600_NS6detail15normal_iteratorINS9_10device_ptrIiEEEESE_SE_iNS9_4plusIiEE19head_flag_predicateiEE10hipError_tPvRmT2_T3_T4_T5_mT6_T7_P12ihipStream_tbENKUlT_T0_E_clISt17integral_constantIbLb0EESY_EEDaST_SU_EUlST_E_NS1_11comp_targetILNS1_3genE10ELNS1_11target_archE1200ELNS1_3gpuE4ELNS1_3repE0EEENS1_30default_config_static_selectorELNS0_4arch9wavefront6targetE0EEEvT1_
; %bb.0:
	.section	.rodata,"a",@progbits
	.p2align	6, 0x0
	.amdhsa_kernel _ZN7rocprim17ROCPRIM_400000_NS6detail17trampoline_kernelINS0_14default_configENS1_27scan_by_key_config_selectorIiiEEZZNS1_16scan_by_key_implILNS1_25lookback_scan_determinismE0ELb0ES3_N6thrust23THRUST_200600_302600_NS6detail15normal_iteratorINS9_10device_ptrIiEEEESE_SE_iNS9_4plusIiEE19head_flag_predicateiEE10hipError_tPvRmT2_T3_T4_T5_mT6_T7_P12ihipStream_tbENKUlT_T0_E_clISt17integral_constantIbLb0EESY_EEDaST_SU_EUlST_E_NS1_11comp_targetILNS1_3genE10ELNS1_11target_archE1200ELNS1_3gpuE4ELNS1_3repE0EEENS1_30default_config_static_selectorELNS0_4arch9wavefront6targetE0EEEvT1_
		.amdhsa_group_segment_fixed_size 0
		.amdhsa_private_segment_fixed_size 0
		.amdhsa_kernarg_size 112
		.amdhsa_user_sgpr_count 6
		.amdhsa_user_sgpr_private_segment_buffer 1
		.amdhsa_user_sgpr_dispatch_ptr 0
		.amdhsa_user_sgpr_queue_ptr 0
		.amdhsa_user_sgpr_kernarg_segment_ptr 1
		.amdhsa_user_sgpr_dispatch_id 0
		.amdhsa_user_sgpr_flat_scratch_init 0
		.amdhsa_user_sgpr_private_segment_size 0
		.amdhsa_wavefront_size32 1
		.amdhsa_uses_dynamic_stack 0
		.amdhsa_system_sgpr_private_segment_wavefront_offset 0
		.amdhsa_system_sgpr_workgroup_id_x 1
		.amdhsa_system_sgpr_workgroup_id_y 0
		.amdhsa_system_sgpr_workgroup_id_z 0
		.amdhsa_system_sgpr_workgroup_info 0
		.amdhsa_system_vgpr_workitem_id 0
		.amdhsa_next_free_vgpr 1
		.amdhsa_next_free_sgpr 1
		.amdhsa_reserve_vcc 0
		.amdhsa_reserve_flat_scratch 0
		.amdhsa_float_round_mode_32 0
		.amdhsa_float_round_mode_16_64 0
		.amdhsa_float_denorm_mode_32 3
		.amdhsa_float_denorm_mode_16_64 3
		.amdhsa_dx10_clamp 1
		.amdhsa_ieee_mode 1
		.amdhsa_fp16_overflow 0
		.amdhsa_workgroup_processor_mode 1
		.amdhsa_memory_ordered 1
		.amdhsa_forward_progress 1
		.amdhsa_shared_vgpr_count 0
		.amdhsa_exception_fp_ieee_invalid_op 0
		.amdhsa_exception_fp_denorm_src 0
		.amdhsa_exception_fp_ieee_div_zero 0
		.amdhsa_exception_fp_ieee_overflow 0
		.amdhsa_exception_fp_ieee_underflow 0
		.amdhsa_exception_fp_ieee_inexact 0
		.amdhsa_exception_int_div_zero 0
	.end_amdhsa_kernel
	.section	.text._ZN7rocprim17ROCPRIM_400000_NS6detail17trampoline_kernelINS0_14default_configENS1_27scan_by_key_config_selectorIiiEEZZNS1_16scan_by_key_implILNS1_25lookback_scan_determinismE0ELb0ES3_N6thrust23THRUST_200600_302600_NS6detail15normal_iteratorINS9_10device_ptrIiEEEESE_SE_iNS9_4plusIiEE19head_flag_predicateiEE10hipError_tPvRmT2_T3_T4_T5_mT6_T7_P12ihipStream_tbENKUlT_T0_E_clISt17integral_constantIbLb0EESY_EEDaST_SU_EUlST_E_NS1_11comp_targetILNS1_3genE10ELNS1_11target_archE1200ELNS1_3gpuE4ELNS1_3repE0EEENS1_30default_config_static_selectorELNS0_4arch9wavefront6targetE0EEEvT1_,"axG",@progbits,_ZN7rocprim17ROCPRIM_400000_NS6detail17trampoline_kernelINS0_14default_configENS1_27scan_by_key_config_selectorIiiEEZZNS1_16scan_by_key_implILNS1_25lookback_scan_determinismE0ELb0ES3_N6thrust23THRUST_200600_302600_NS6detail15normal_iteratorINS9_10device_ptrIiEEEESE_SE_iNS9_4plusIiEE19head_flag_predicateiEE10hipError_tPvRmT2_T3_T4_T5_mT6_T7_P12ihipStream_tbENKUlT_T0_E_clISt17integral_constantIbLb0EESY_EEDaST_SU_EUlST_E_NS1_11comp_targetILNS1_3genE10ELNS1_11target_archE1200ELNS1_3gpuE4ELNS1_3repE0EEENS1_30default_config_static_selectorELNS0_4arch9wavefront6targetE0EEEvT1_,comdat
.Lfunc_end755:
	.size	_ZN7rocprim17ROCPRIM_400000_NS6detail17trampoline_kernelINS0_14default_configENS1_27scan_by_key_config_selectorIiiEEZZNS1_16scan_by_key_implILNS1_25lookback_scan_determinismE0ELb0ES3_N6thrust23THRUST_200600_302600_NS6detail15normal_iteratorINS9_10device_ptrIiEEEESE_SE_iNS9_4plusIiEE19head_flag_predicateiEE10hipError_tPvRmT2_T3_T4_T5_mT6_T7_P12ihipStream_tbENKUlT_T0_E_clISt17integral_constantIbLb0EESY_EEDaST_SU_EUlST_E_NS1_11comp_targetILNS1_3genE10ELNS1_11target_archE1200ELNS1_3gpuE4ELNS1_3repE0EEENS1_30default_config_static_selectorELNS0_4arch9wavefront6targetE0EEEvT1_, .Lfunc_end755-_ZN7rocprim17ROCPRIM_400000_NS6detail17trampoline_kernelINS0_14default_configENS1_27scan_by_key_config_selectorIiiEEZZNS1_16scan_by_key_implILNS1_25lookback_scan_determinismE0ELb0ES3_N6thrust23THRUST_200600_302600_NS6detail15normal_iteratorINS9_10device_ptrIiEEEESE_SE_iNS9_4plusIiEE19head_flag_predicateiEE10hipError_tPvRmT2_T3_T4_T5_mT6_T7_P12ihipStream_tbENKUlT_T0_E_clISt17integral_constantIbLb0EESY_EEDaST_SU_EUlST_E_NS1_11comp_targetILNS1_3genE10ELNS1_11target_archE1200ELNS1_3gpuE4ELNS1_3repE0EEENS1_30default_config_static_selectorELNS0_4arch9wavefront6targetE0EEEvT1_
                                        ; -- End function
	.set _ZN7rocprim17ROCPRIM_400000_NS6detail17trampoline_kernelINS0_14default_configENS1_27scan_by_key_config_selectorIiiEEZZNS1_16scan_by_key_implILNS1_25lookback_scan_determinismE0ELb0ES3_N6thrust23THRUST_200600_302600_NS6detail15normal_iteratorINS9_10device_ptrIiEEEESE_SE_iNS9_4plusIiEE19head_flag_predicateiEE10hipError_tPvRmT2_T3_T4_T5_mT6_T7_P12ihipStream_tbENKUlT_T0_E_clISt17integral_constantIbLb0EESY_EEDaST_SU_EUlST_E_NS1_11comp_targetILNS1_3genE10ELNS1_11target_archE1200ELNS1_3gpuE4ELNS1_3repE0EEENS1_30default_config_static_selectorELNS0_4arch9wavefront6targetE0EEEvT1_.num_vgpr, 0
	.set _ZN7rocprim17ROCPRIM_400000_NS6detail17trampoline_kernelINS0_14default_configENS1_27scan_by_key_config_selectorIiiEEZZNS1_16scan_by_key_implILNS1_25lookback_scan_determinismE0ELb0ES3_N6thrust23THRUST_200600_302600_NS6detail15normal_iteratorINS9_10device_ptrIiEEEESE_SE_iNS9_4plusIiEE19head_flag_predicateiEE10hipError_tPvRmT2_T3_T4_T5_mT6_T7_P12ihipStream_tbENKUlT_T0_E_clISt17integral_constantIbLb0EESY_EEDaST_SU_EUlST_E_NS1_11comp_targetILNS1_3genE10ELNS1_11target_archE1200ELNS1_3gpuE4ELNS1_3repE0EEENS1_30default_config_static_selectorELNS0_4arch9wavefront6targetE0EEEvT1_.num_agpr, 0
	.set _ZN7rocprim17ROCPRIM_400000_NS6detail17trampoline_kernelINS0_14default_configENS1_27scan_by_key_config_selectorIiiEEZZNS1_16scan_by_key_implILNS1_25lookback_scan_determinismE0ELb0ES3_N6thrust23THRUST_200600_302600_NS6detail15normal_iteratorINS9_10device_ptrIiEEEESE_SE_iNS9_4plusIiEE19head_flag_predicateiEE10hipError_tPvRmT2_T3_T4_T5_mT6_T7_P12ihipStream_tbENKUlT_T0_E_clISt17integral_constantIbLb0EESY_EEDaST_SU_EUlST_E_NS1_11comp_targetILNS1_3genE10ELNS1_11target_archE1200ELNS1_3gpuE4ELNS1_3repE0EEENS1_30default_config_static_selectorELNS0_4arch9wavefront6targetE0EEEvT1_.numbered_sgpr, 0
	.set _ZN7rocprim17ROCPRIM_400000_NS6detail17trampoline_kernelINS0_14default_configENS1_27scan_by_key_config_selectorIiiEEZZNS1_16scan_by_key_implILNS1_25lookback_scan_determinismE0ELb0ES3_N6thrust23THRUST_200600_302600_NS6detail15normal_iteratorINS9_10device_ptrIiEEEESE_SE_iNS9_4plusIiEE19head_flag_predicateiEE10hipError_tPvRmT2_T3_T4_T5_mT6_T7_P12ihipStream_tbENKUlT_T0_E_clISt17integral_constantIbLb0EESY_EEDaST_SU_EUlST_E_NS1_11comp_targetILNS1_3genE10ELNS1_11target_archE1200ELNS1_3gpuE4ELNS1_3repE0EEENS1_30default_config_static_selectorELNS0_4arch9wavefront6targetE0EEEvT1_.num_named_barrier, 0
	.set _ZN7rocprim17ROCPRIM_400000_NS6detail17trampoline_kernelINS0_14default_configENS1_27scan_by_key_config_selectorIiiEEZZNS1_16scan_by_key_implILNS1_25lookback_scan_determinismE0ELb0ES3_N6thrust23THRUST_200600_302600_NS6detail15normal_iteratorINS9_10device_ptrIiEEEESE_SE_iNS9_4plusIiEE19head_flag_predicateiEE10hipError_tPvRmT2_T3_T4_T5_mT6_T7_P12ihipStream_tbENKUlT_T0_E_clISt17integral_constantIbLb0EESY_EEDaST_SU_EUlST_E_NS1_11comp_targetILNS1_3genE10ELNS1_11target_archE1200ELNS1_3gpuE4ELNS1_3repE0EEENS1_30default_config_static_selectorELNS0_4arch9wavefront6targetE0EEEvT1_.private_seg_size, 0
	.set _ZN7rocprim17ROCPRIM_400000_NS6detail17trampoline_kernelINS0_14default_configENS1_27scan_by_key_config_selectorIiiEEZZNS1_16scan_by_key_implILNS1_25lookback_scan_determinismE0ELb0ES3_N6thrust23THRUST_200600_302600_NS6detail15normal_iteratorINS9_10device_ptrIiEEEESE_SE_iNS9_4plusIiEE19head_flag_predicateiEE10hipError_tPvRmT2_T3_T4_T5_mT6_T7_P12ihipStream_tbENKUlT_T0_E_clISt17integral_constantIbLb0EESY_EEDaST_SU_EUlST_E_NS1_11comp_targetILNS1_3genE10ELNS1_11target_archE1200ELNS1_3gpuE4ELNS1_3repE0EEENS1_30default_config_static_selectorELNS0_4arch9wavefront6targetE0EEEvT1_.uses_vcc, 0
	.set _ZN7rocprim17ROCPRIM_400000_NS6detail17trampoline_kernelINS0_14default_configENS1_27scan_by_key_config_selectorIiiEEZZNS1_16scan_by_key_implILNS1_25lookback_scan_determinismE0ELb0ES3_N6thrust23THRUST_200600_302600_NS6detail15normal_iteratorINS9_10device_ptrIiEEEESE_SE_iNS9_4plusIiEE19head_flag_predicateiEE10hipError_tPvRmT2_T3_T4_T5_mT6_T7_P12ihipStream_tbENKUlT_T0_E_clISt17integral_constantIbLb0EESY_EEDaST_SU_EUlST_E_NS1_11comp_targetILNS1_3genE10ELNS1_11target_archE1200ELNS1_3gpuE4ELNS1_3repE0EEENS1_30default_config_static_selectorELNS0_4arch9wavefront6targetE0EEEvT1_.uses_flat_scratch, 0
	.set _ZN7rocprim17ROCPRIM_400000_NS6detail17trampoline_kernelINS0_14default_configENS1_27scan_by_key_config_selectorIiiEEZZNS1_16scan_by_key_implILNS1_25lookback_scan_determinismE0ELb0ES3_N6thrust23THRUST_200600_302600_NS6detail15normal_iteratorINS9_10device_ptrIiEEEESE_SE_iNS9_4plusIiEE19head_flag_predicateiEE10hipError_tPvRmT2_T3_T4_T5_mT6_T7_P12ihipStream_tbENKUlT_T0_E_clISt17integral_constantIbLb0EESY_EEDaST_SU_EUlST_E_NS1_11comp_targetILNS1_3genE10ELNS1_11target_archE1200ELNS1_3gpuE4ELNS1_3repE0EEENS1_30default_config_static_selectorELNS0_4arch9wavefront6targetE0EEEvT1_.has_dyn_sized_stack, 0
	.set _ZN7rocprim17ROCPRIM_400000_NS6detail17trampoline_kernelINS0_14default_configENS1_27scan_by_key_config_selectorIiiEEZZNS1_16scan_by_key_implILNS1_25lookback_scan_determinismE0ELb0ES3_N6thrust23THRUST_200600_302600_NS6detail15normal_iteratorINS9_10device_ptrIiEEEESE_SE_iNS9_4plusIiEE19head_flag_predicateiEE10hipError_tPvRmT2_T3_T4_T5_mT6_T7_P12ihipStream_tbENKUlT_T0_E_clISt17integral_constantIbLb0EESY_EEDaST_SU_EUlST_E_NS1_11comp_targetILNS1_3genE10ELNS1_11target_archE1200ELNS1_3gpuE4ELNS1_3repE0EEENS1_30default_config_static_selectorELNS0_4arch9wavefront6targetE0EEEvT1_.has_recursion, 0
	.set _ZN7rocprim17ROCPRIM_400000_NS6detail17trampoline_kernelINS0_14default_configENS1_27scan_by_key_config_selectorIiiEEZZNS1_16scan_by_key_implILNS1_25lookback_scan_determinismE0ELb0ES3_N6thrust23THRUST_200600_302600_NS6detail15normal_iteratorINS9_10device_ptrIiEEEESE_SE_iNS9_4plusIiEE19head_flag_predicateiEE10hipError_tPvRmT2_T3_T4_T5_mT6_T7_P12ihipStream_tbENKUlT_T0_E_clISt17integral_constantIbLb0EESY_EEDaST_SU_EUlST_E_NS1_11comp_targetILNS1_3genE10ELNS1_11target_archE1200ELNS1_3gpuE4ELNS1_3repE0EEENS1_30default_config_static_selectorELNS0_4arch9wavefront6targetE0EEEvT1_.has_indirect_call, 0
	.section	.AMDGPU.csdata,"",@progbits
; Kernel info:
; codeLenInByte = 0
; TotalNumSgprs: 0
; NumVgprs: 0
; ScratchSize: 0
; MemoryBound: 0
; FloatMode: 240
; IeeeMode: 1
; LDSByteSize: 0 bytes/workgroup (compile time only)
; SGPRBlocks: 0
; VGPRBlocks: 0
; NumSGPRsForWavesPerEU: 1
; NumVGPRsForWavesPerEU: 1
; Occupancy: 16
; WaveLimiterHint : 0
; COMPUTE_PGM_RSRC2:SCRATCH_EN: 0
; COMPUTE_PGM_RSRC2:USER_SGPR: 6
; COMPUTE_PGM_RSRC2:TRAP_HANDLER: 0
; COMPUTE_PGM_RSRC2:TGID_X_EN: 1
; COMPUTE_PGM_RSRC2:TGID_Y_EN: 0
; COMPUTE_PGM_RSRC2:TGID_Z_EN: 0
; COMPUTE_PGM_RSRC2:TIDIG_COMP_CNT: 0
	.section	.text._ZN7rocprim17ROCPRIM_400000_NS6detail17trampoline_kernelINS0_14default_configENS1_27scan_by_key_config_selectorIiiEEZZNS1_16scan_by_key_implILNS1_25lookback_scan_determinismE0ELb0ES3_N6thrust23THRUST_200600_302600_NS6detail15normal_iteratorINS9_10device_ptrIiEEEESE_SE_iNS9_4plusIiEE19head_flag_predicateiEE10hipError_tPvRmT2_T3_T4_T5_mT6_T7_P12ihipStream_tbENKUlT_T0_E_clISt17integral_constantIbLb0EESY_EEDaST_SU_EUlST_E_NS1_11comp_targetILNS1_3genE9ELNS1_11target_archE1100ELNS1_3gpuE3ELNS1_3repE0EEENS1_30default_config_static_selectorELNS0_4arch9wavefront6targetE0EEEvT1_,"axG",@progbits,_ZN7rocprim17ROCPRIM_400000_NS6detail17trampoline_kernelINS0_14default_configENS1_27scan_by_key_config_selectorIiiEEZZNS1_16scan_by_key_implILNS1_25lookback_scan_determinismE0ELb0ES3_N6thrust23THRUST_200600_302600_NS6detail15normal_iteratorINS9_10device_ptrIiEEEESE_SE_iNS9_4plusIiEE19head_flag_predicateiEE10hipError_tPvRmT2_T3_T4_T5_mT6_T7_P12ihipStream_tbENKUlT_T0_E_clISt17integral_constantIbLb0EESY_EEDaST_SU_EUlST_E_NS1_11comp_targetILNS1_3genE9ELNS1_11target_archE1100ELNS1_3gpuE3ELNS1_3repE0EEENS1_30default_config_static_selectorELNS0_4arch9wavefront6targetE0EEEvT1_,comdat
	.protected	_ZN7rocprim17ROCPRIM_400000_NS6detail17trampoline_kernelINS0_14default_configENS1_27scan_by_key_config_selectorIiiEEZZNS1_16scan_by_key_implILNS1_25lookback_scan_determinismE0ELb0ES3_N6thrust23THRUST_200600_302600_NS6detail15normal_iteratorINS9_10device_ptrIiEEEESE_SE_iNS9_4plusIiEE19head_flag_predicateiEE10hipError_tPvRmT2_T3_T4_T5_mT6_T7_P12ihipStream_tbENKUlT_T0_E_clISt17integral_constantIbLb0EESY_EEDaST_SU_EUlST_E_NS1_11comp_targetILNS1_3genE9ELNS1_11target_archE1100ELNS1_3gpuE3ELNS1_3repE0EEENS1_30default_config_static_selectorELNS0_4arch9wavefront6targetE0EEEvT1_ ; -- Begin function _ZN7rocprim17ROCPRIM_400000_NS6detail17trampoline_kernelINS0_14default_configENS1_27scan_by_key_config_selectorIiiEEZZNS1_16scan_by_key_implILNS1_25lookback_scan_determinismE0ELb0ES3_N6thrust23THRUST_200600_302600_NS6detail15normal_iteratorINS9_10device_ptrIiEEEESE_SE_iNS9_4plusIiEE19head_flag_predicateiEE10hipError_tPvRmT2_T3_T4_T5_mT6_T7_P12ihipStream_tbENKUlT_T0_E_clISt17integral_constantIbLb0EESY_EEDaST_SU_EUlST_E_NS1_11comp_targetILNS1_3genE9ELNS1_11target_archE1100ELNS1_3gpuE3ELNS1_3repE0EEENS1_30default_config_static_selectorELNS0_4arch9wavefront6targetE0EEEvT1_
	.globl	_ZN7rocprim17ROCPRIM_400000_NS6detail17trampoline_kernelINS0_14default_configENS1_27scan_by_key_config_selectorIiiEEZZNS1_16scan_by_key_implILNS1_25lookback_scan_determinismE0ELb0ES3_N6thrust23THRUST_200600_302600_NS6detail15normal_iteratorINS9_10device_ptrIiEEEESE_SE_iNS9_4plusIiEE19head_flag_predicateiEE10hipError_tPvRmT2_T3_T4_T5_mT6_T7_P12ihipStream_tbENKUlT_T0_E_clISt17integral_constantIbLb0EESY_EEDaST_SU_EUlST_E_NS1_11comp_targetILNS1_3genE9ELNS1_11target_archE1100ELNS1_3gpuE3ELNS1_3repE0EEENS1_30default_config_static_selectorELNS0_4arch9wavefront6targetE0EEEvT1_
	.p2align	8
	.type	_ZN7rocprim17ROCPRIM_400000_NS6detail17trampoline_kernelINS0_14default_configENS1_27scan_by_key_config_selectorIiiEEZZNS1_16scan_by_key_implILNS1_25lookback_scan_determinismE0ELb0ES3_N6thrust23THRUST_200600_302600_NS6detail15normal_iteratorINS9_10device_ptrIiEEEESE_SE_iNS9_4plusIiEE19head_flag_predicateiEE10hipError_tPvRmT2_T3_T4_T5_mT6_T7_P12ihipStream_tbENKUlT_T0_E_clISt17integral_constantIbLb0EESY_EEDaST_SU_EUlST_E_NS1_11comp_targetILNS1_3genE9ELNS1_11target_archE1100ELNS1_3gpuE3ELNS1_3repE0EEENS1_30default_config_static_selectorELNS0_4arch9wavefront6targetE0EEEvT1_,@function
_ZN7rocprim17ROCPRIM_400000_NS6detail17trampoline_kernelINS0_14default_configENS1_27scan_by_key_config_selectorIiiEEZZNS1_16scan_by_key_implILNS1_25lookback_scan_determinismE0ELb0ES3_N6thrust23THRUST_200600_302600_NS6detail15normal_iteratorINS9_10device_ptrIiEEEESE_SE_iNS9_4plusIiEE19head_flag_predicateiEE10hipError_tPvRmT2_T3_T4_T5_mT6_T7_P12ihipStream_tbENKUlT_T0_E_clISt17integral_constantIbLb0EESY_EEDaST_SU_EUlST_E_NS1_11comp_targetILNS1_3genE9ELNS1_11target_archE1100ELNS1_3gpuE3ELNS1_3repE0EEENS1_30default_config_static_selectorELNS0_4arch9wavefront6targetE0EEEvT1_: ; @_ZN7rocprim17ROCPRIM_400000_NS6detail17trampoline_kernelINS0_14default_configENS1_27scan_by_key_config_selectorIiiEEZZNS1_16scan_by_key_implILNS1_25lookback_scan_determinismE0ELb0ES3_N6thrust23THRUST_200600_302600_NS6detail15normal_iteratorINS9_10device_ptrIiEEEESE_SE_iNS9_4plusIiEE19head_flag_predicateiEE10hipError_tPvRmT2_T3_T4_T5_mT6_T7_P12ihipStream_tbENKUlT_T0_E_clISt17integral_constantIbLb0EESY_EEDaST_SU_EUlST_E_NS1_11comp_targetILNS1_3genE9ELNS1_11target_archE1100ELNS1_3gpuE3ELNS1_3repE0EEENS1_30default_config_static_selectorELNS0_4arch9wavefront6targetE0EEEvT1_
; %bb.0:
	.section	.rodata,"a",@progbits
	.p2align	6, 0x0
	.amdhsa_kernel _ZN7rocprim17ROCPRIM_400000_NS6detail17trampoline_kernelINS0_14default_configENS1_27scan_by_key_config_selectorIiiEEZZNS1_16scan_by_key_implILNS1_25lookback_scan_determinismE0ELb0ES3_N6thrust23THRUST_200600_302600_NS6detail15normal_iteratorINS9_10device_ptrIiEEEESE_SE_iNS9_4plusIiEE19head_flag_predicateiEE10hipError_tPvRmT2_T3_T4_T5_mT6_T7_P12ihipStream_tbENKUlT_T0_E_clISt17integral_constantIbLb0EESY_EEDaST_SU_EUlST_E_NS1_11comp_targetILNS1_3genE9ELNS1_11target_archE1100ELNS1_3gpuE3ELNS1_3repE0EEENS1_30default_config_static_selectorELNS0_4arch9wavefront6targetE0EEEvT1_
		.amdhsa_group_segment_fixed_size 0
		.amdhsa_private_segment_fixed_size 0
		.amdhsa_kernarg_size 112
		.amdhsa_user_sgpr_count 6
		.amdhsa_user_sgpr_private_segment_buffer 1
		.amdhsa_user_sgpr_dispatch_ptr 0
		.amdhsa_user_sgpr_queue_ptr 0
		.amdhsa_user_sgpr_kernarg_segment_ptr 1
		.amdhsa_user_sgpr_dispatch_id 0
		.amdhsa_user_sgpr_flat_scratch_init 0
		.amdhsa_user_sgpr_private_segment_size 0
		.amdhsa_wavefront_size32 1
		.amdhsa_uses_dynamic_stack 0
		.amdhsa_system_sgpr_private_segment_wavefront_offset 0
		.amdhsa_system_sgpr_workgroup_id_x 1
		.amdhsa_system_sgpr_workgroup_id_y 0
		.amdhsa_system_sgpr_workgroup_id_z 0
		.amdhsa_system_sgpr_workgroup_info 0
		.amdhsa_system_vgpr_workitem_id 0
		.amdhsa_next_free_vgpr 1
		.amdhsa_next_free_sgpr 1
		.amdhsa_reserve_vcc 0
		.amdhsa_reserve_flat_scratch 0
		.amdhsa_float_round_mode_32 0
		.amdhsa_float_round_mode_16_64 0
		.amdhsa_float_denorm_mode_32 3
		.amdhsa_float_denorm_mode_16_64 3
		.amdhsa_dx10_clamp 1
		.amdhsa_ieee_mode 1
		.amdhsa_fp16_overflow 0
		.amdhsa_workgroup_processor_mode 1
		.amdhsa_memory_ordered 1
		.amdhsa_forward_progress 1
		.amdhsa_shared_vgpr_count 0
		.amdhsa_exception_fp_ieee_invalid_op 0
		.amdhsa_exception_fp_denorm_src 0
		.amdhsa_exception_fp_ieee_div_zero 0
		.amdhsa_exception_fp_ieee_overflow 0
		.amdhsa_exception_fp_ieee_underflow 0
		.amdhsa_exception_fp_ieee_inexact 0
		.amdhsa_exception_int_div_zero 0
	.end_amdhsa_kernel
	.section	.text._ZN7rocprim17ROCPRIM_400000_NS6detail17trampoline_kernelINS0_14default_configENS1_27scan_by_key_config_selectorIiiEEZZNS1_16scan_by_key_implILNS1_25lookback_scan_determinismE0ELb0ES3_N6thrust23THRUST_200600_302600_NS6detail15normal_iteratorINS9_10device_ptrIiEEEESE_SE_iNS9_4plusIiEE19head_flag_predicateiEE10hipError_tPvRmT2_T3_T4_T5_mT6_T7_P12ihipStream_tbENKUlT_T0_E_clISt17integral_constantIbLb0EESY_EEDaST_SU_EUlST_E_NS1_11comp_targetILNS1_3genE9ELNS1_11target_archE1100ELNS1_3gpuE3ELNS1_3repE0EEENS1_30default_config_static_selectorELNS0_4arch9wavefront6targetE0EEEvT1_,"axG",@progbits,_ZN7rocprim17ROCPRIM_400000_NS6detail17trampoline_kernelINS0_14default_configENS1_27scan_by_key_config_selectorIiiEEZZNS1_16scan_by_key_implILNS1_25lookback_scan_determinismE0ELb0ES3_N6thrust23THRUST_200600_302600_NS6detail15normal_iteratorINS9_10device_ptrIiEEEESE_SE_iNS9_4plusIiEE19head_flag_predicateiEE10hipError_tPvRmT2_T3_T4_T5_mT6_T7_P12ihipStream_tbENKUlT_T0_E_clISt17integral_constantIbLb0EESY_EEDaST_SU_EUlST_E_NS1_11comp_targetILNS1_3genE9ELNS1_11target_archE1100ELNS1_3gpuE3ELNS1_3repE0EEENS1_30default_config_static_selectorELNS0_4arch9wavefront6targetE0EEEvT1_,comdat
.Lfunc_end756:
	.size	_ZN7rocprim17ROCPRIM_400000_NS6detail17trampoline_kernelINS0_14default_configENS1_27scan_by_key_config_selectorIiiEEZZNS1_16scan_by_key_implILNS1_25lookback_scan_determinismE0ELb0ES3_N6thrust23THRUST_200600_302600_NS6detail15normal_iteratorINS9_10device_ptrIiEEEESE_SE_iNS9_4plusIiEE19head_flag_predicateiEE10hipError_tPvRmT2_T3_T4_T5_mT6_T7_P12ihipStream_tbENKUlT_T0_E_clISt17integral_constantIbLb0EESY_EEDaST_SU_EUlST_E_NS1_11comp_targetILNS1_3genE9ELNS1_11target_archE1100ELNS1_3gpuE3ELNS1_3repE0EEENS1_30default_config_static_selectorELNS0_4arch9wavefront6targetE0EEEvT1_, .Lfunc_end756-_ZN7rocprim17ROCPRIM_400000_NS6detail17trampoline_kernelINS0_14default_configENS1_27scan_by_key_config_selectorIiiEEZZNS1_16scan_by_key_implILNS1_25lookback_scan_determinismE0ELb0ES3_N6thrust23THRUST_200600_302600_NS6detail15normal_iteratorINS9_10device_ptrIiEEEESE_SE_iNS9_4plusIiEE19head_flag_predicateiEE10hipError_tPvRmT2_T3_T4_T5_mT6_T7_P12ihipStream_tbENKUlT_T0_E_clISt17integral_constantIbLb0EESY_EEDaST_SU_EUlST_E_NS1_11comp_targetILNS1_3genE9ELNS1_11target_archE1100ELNS1_3gpuE3ELNS1_3repE0EEENS1_30default_config_static_selectorELNS0_4arch9wavefront6targetE0EEEvT1_
                                        ; -- End function
	.set _ZN7rocprim17ROCPRIM_400000_NS6detail17trampoline_kernelINS0_14default_configENS1_27scan_by_key_config_selectorIiiEEZZNS1_16scan_by_key_implILNS1_25lookback_scan_determinismE0ELb0ES3_N6thrust23THRUST_200600_302600_NS6detail15normal_iteratorINS9_10device_ptrIiEEEESE_SE_iNS9_4plusIiEE19head_flag_predicateiEE10hipError_tPvRmT2_T3_T4_T5_mT6_T7_P12ihipStream_tbENKUlT_T0_E_clISt17integral_constantIbLb0EESY_EEDaST_SU_EUlST_E_NS1_11comp_targetILNS1_3genE9ELNS1_11target_archE1100ELNS1_3gpuE3ELNS1_3repE0EEENS1_30default_config_static_selectorELNS0_4arch9wavefront6targetE0EEEvT1_.num_vgpr, 0
	.set _ZN7rocprim17ROCPRIM_400000_NS6detail17trampoline_kernelINS0_14default_configENS1_27scan_by_key_config_selectorIiiEEZZNS1_16scan_by_key_implILNS1_25lookback_scan_determinismE0ELb0ES3_N6thrust23THRUST_200600_302600_NS6detail15normal_iteratorINS9_10device_ptrIiEEEESE_SE_iNS9_4plusIiEE19head_flag_predicateiEE10hipError_tPvRmT2_T3_T4_T5_mT6_T7_P12ihipStream_tbENKUlT_T0_E_clISt17integral_constantIbLb0EESY_EEDaST_SU_EUlST_E_NS1_11comp_targetILNS1_3genE9ELNS1_11target_archE1100ELNS1_3gpuE3ELNS1_3repE0EEENS1_30default_config_static_selectorELNS0_4arch9wavefront6targetE0EEEvT1_.num_agpr, 0
	.set _ZN7rocprim17ROCPRIM_400000_NS6detail17trampoline_kernelINS0_14default_configENS1_27scan_by_key_config_selectorIiiEEZZNS1_16scan_by_key_implILNS1_25lookback_scan_determinismE0ELb0ES3_N6thrust23THRUST_200600_302600_NS6detail15normal_iteratorINS9_10device_ptrIiEEEESE_SE_iNS9_4plusIiEE19head_flag_predicateiEE10hipError_tPvRmT2_T3_T4_T5_mT6_T7_P12ihipStream_tbENKUlT_T0_E_clISt17integral_constantIbLb0EESY_EEDaST_SU_EUlST_E_NS1_11comp_targetILNS1_3genE9ELNS1_11target_archE1100ELNS1_3gpuE3ELNS1_3repE0EEENS1_30default_config_static_selectorELNS0_4arch9wavefront6targetE0EEEvT1_.numbered_sgpr, 0
	.set _ZN7rocprim17ROCPRIM_400000_NS6detail17trampoline_kernelINS0_14default_configENS1_27scan_by_key_config_selectorIiiEEZZNS1_16scan_by_key_implILNS1_25lookback_scan_determinismE0ELb0ES3_N6thrust23THRUST_200600_302600_NS6detail15normal_iteratorINS9_10device_ptrIiEEEESE_SE_iNS9_4plusIiEE19head_flag_predicateiEE10hipError_tPvRmT2_T3_T4_T5_mT6_T7_P12ihipStream_tbENKUlT_T0_E_clISt17integral_constantIbLb0EESY_EEDaST_SU_EUlST_E_NS1_11comp_targetILNS1_3genE9ELNS1_11target_archE1100ELNS1_3gpuE3ELNS1_3repE0EEENS1_30default_config_static_selectorELNS0_4arch9wavefront6targetE0EEEvT1_.num_named_barrier, 0
	.set _ZN7rocprim17ROCPRIM_400000_NS6detail17trampoline_kernelINS0_14default_configENS1_27scan_by_key_config_selectorIiiEEZZNS1_16scan_by_key_implILNS1_25lookback_scan_determinismE0ELb0ES3_N6thrust23THRUST_200600_302600_NS6detail15normal_iteratorINS9_10device_ptrIiEEEESE_SE_iNS9_4plusIiEE19head_flag_predicateiEE10hipError_tPvRmT2_T3_T4_T5_mT6_T7_P12ihipStream_tbENKUlT_T0_E_clISt17integral_constantIbLb0EESY_EEDaST_SU_EUlST_E_NS1_11comp_targetILNS1_3genE9ELNS1_11target_archE1100ELNS1_3gpuE3ELNS1_3repE0EEENS1_30default_config_static_selectorELNS0_4arch9wavefront6targetE0EEEvT1_.private_seg_size, 0
	.set _ZN7rocprim17ROCPRIM_400000_NS6detail17trampoline_kernelINS0_14default_configENS1_27scan_by_key_config_selectorIiiEEZZNS1_16scan_by_key_implILNS1_25lookback_scan_determinismE0ELb0ES3_N6thrust23THRUST_200600_302600_NS6detail15normal_iteratorINS9_10device_ptrIiEEEESE_SE_iNS9_4plusIiEE19head_flag_predicateiEE10hipError_tPvRmT2_T3_T4_T5_mT6_T7_P12ihipStream_tbENKUlT_T0_E_clISt17integral_constantIbLb0EESY_EEDaST_SU_EUlST_E_NS1_11comp_targetILNS1_3genE9ELNS1_11target_archE1100ELNS1_3gpuE3ELNS1_3repE0EEENS1_30default_config_static_selectorELNS0_4arch9wavefront6targetE0EEEvT1_.uses_vcc, 0
	.set _ZN7rocprim17ROCPRIM_400000_NS6detail17trampoline_kernelINS0_14default_configENS1_27scan_by_key_config_selectorIiiEEZZNS1_16scan_by_key_implILNS1_25lookback_scan_determinismE0ELb0ES3_N6thrust23THRUST_200600_302600_NS6detail15normal_iteratorINS9_10device_ptrIiEEEESE_SE_iNS9_4plusIiEE19head_flag_predicateiEE10hipError_tPvRmT2_T3_T4_T5_mT6_T7_P12ihipStream_tbENKUlT_T0_E_clISt17integral_constantIbLb0EESY_EEDaST_SU_EUlST_E_NS1_11comp_targetILNS1_3genE9ELNS1_11target_archE1100ELNS1_3gpuE3ELNS1_3repE0EEENS1_30default_config_static_selectorELNS0_4arch9wavefront6targetE0EEEvT1_.uses_flat_scratch, 0
	.set _ZN7rocprim17ROCPRIM_400000_NS6detail17trampoline_kernelINS0_14default_configENS1_27scan_by_key_config_selectorIiiEEZZNS1_16scan_by_key_implILNS1_25lookback_scan_determinismE0ELb0ES3_N6thrust23THRUST_200600_302600_NS6detail15normal_iteratorINS9_10device_ptrIiEEEESE_SE_iNS9_4plusIiEE19head_flag_predicateiEE10hipError_tPvRmT2_T3_T4_T5_mT6_T7_P12ihipStream_tbENKUlT_T0_E_clISt17integral_constantIbLb0EESY_EEDaST_SU_EUlST_E_NS1_11comp_targetILNS1_3genE9ELNS1_11target_archE1100ELNS1_3gpuE3ELNS1_3repE0EEENS1_30default_config_static_selectorELNS0_4arch9wavefront6targetE0EEEvT1_.has_dyn_sized_stack, 0
	.set _ZN7rocprim17ROCPRIM_400000_NS6detail17trampoline_kernelINS0_14default_configENS1_27scan_by_key_config_selectorIiiEEZZNS1_16scan_by_key_implILNS1_25lookback_scan_determinismE0ELb0ES3_N6thrust23THRUST_200600_302600_NS6detail15normal_iteratorINS9_10device_ptrIiEEEESE_SE_iNS9_4plusIiEE19head_flag_predicateiEE10hipError_tPvRmT2_T3_T4_T5_mT6_T7_P12ihipStream_tbENKUlT_T0_E_clISt17integral_constantIbLb0EESY_EEDaST_SU_EUlST_E_NS1_11comp_targetILNS1_3genE9ELNS1_11target_archE1100ELNS1_3gpuE3ELNS1_3repE0EEENS1_30default_config_static_selectorELNS0_4arch9wavefront6targetE0EEEvT1_.has_recursion, 0
	.set _ZN7rocprim17ROCPRIM_400000_NS6detail17trampoline_kernelINS0_14default_configENS1_27scan_by_key_config_selectorIiiEEZZNS1_16scan_by_key_implILNS1_25lookback_scan_determinismE0ELb0ES3_N6thrust23THRUST_200600_302600_NS6detail15normal_iteratorINS9_10device_ptrIiEEEESE_SE_iNS9_4plusIiEE19head_flag_predicateiEE10hipError_tPvRmT2_T3_T4_T5_mT6_T7_P12ihipStream_tbENKUlT_T0_E_clISt17integral_constantIbLb0EESY_EEDaST_SU_EUlST_E_NS1_11comp_targetILNS1_3genE9ELNS1_11target_archE1100ELNS1_3gpuE3ELNS1_3repE0EEENS1_30default_config_static_selectorELNS0_4arch9wavefront6targetE0EEEvT1_.has_indirect_call, 0
	.section	.AMDGPU.csdata,"",@progbits
; Kernel info:
; codeLenInByte = 0
; TotalNumSgprs: 0
; NumVgprs: 0
; ScratchSize: 0
; MemoryBound: 0
; FloatMode: 240
; IeeeMode: 1
; LDSByteSize: 0 bytes/workgroup (compile time only)
; SGPRBlocks: 0
; VGPRBlocks: 0
; NumSGPRsForWavesPerEU: 1
; NumVGPRsForWavesPerEU: 1
; Occupancy: 16
; WaveLimiterHint : 0
; COMPUTE_PGM_RSRC2:SCRATCH_EN: 0
; COMPUTE_PGM_RSRC2:USER_SGPR: 6
; COMPUTE_PGM_RSRC2:TRAP_HANDLER: 0
; COMPUTE_PGM_RSRC2:TGID_X_EN: 1
; COMPUTE_PGM_RSRC2:TGID_Y_EN: 0
; COMPUTE_PGM_RSRC2:TGID_Z_EN: 0
; COMPUTE_PGM_RSRC2:TIDIG_COMP_CNT: 0
	.section	.text._ZN7rocprim17ROCPRIM_400000_NS6detail17trampoline_kernelINS0_14default_configENS1_27scan_by_key_config_selectorIiiEEZZNS1_16scan_by_key_implILNS1_25lookback_scan_determinismE0ELb0ES3_N6thrust23THRUST_200600_302600_NS6detail15normal_iteratorINS9_10device_ptrIiEEEESE_SE_iNS9_4plusIiEE19head_flag_predicateiEE10hipError_tPvRmT2_T3_T4_T5_mT6_T7_P12ihipStream_tbENKUlT_T0_E_clISt17integral_constantIbLb0EESY_EEDaST_SU_EUlST_E_NS1_11comp_targetILNS1_3genE8ELNS1_11target_archE1030ELNS1_3gpuE2ELNS1_3repE0EEENS1_30default_config_static_selectorELNS0_4arch9wavefront6targetE0EEEvT1_,"axG",@progbits,_ZN7rocprim17ROCPRIM_400000_NS6detail17trampoline_kernelINS0_14default_configENS1_27scan_by_key_config_selectorIiiEEZZNS1_16scan_by_key_implILNS1_25lookback_scan_determinismE0ELb0ES3_N6thrust23THRUST_200600_302600_NS6detail15normal_iteratorINS9_10device_ptrIiEEEESE_SE_iNS9_4plusIiEE19head_flag_predicateiEE10hipError_tPvRmT2_T3_T4_T5_mT6_T7_P12ihipStream_tbENKUlT_T0_E_clISt17integral_constantIbLb0EESY_EEDaST_SU_EUlST_E_NS1_11comp_targetILNS1_3genE8ELNS1_11target_archE1030ELNS1_3gpuE2ELNS1_3repE0EEENS1_30default_config_static_selectorELNS0_4arch9wavefront6targetE0EEEvT1_,comdat
	.protected	_ZN7rocprim17ROCPRIM_400000_NS6detail17trampoline_kernelINS0_14default_configENS1_27scan_by_key_config_selectorIiiEEZZNS1_16scan_by_key_implILNS1_25lookback_scan_determinismE0ELb0ES3_N6thrust23THRUST_200600_302600_NS6detail15normal_iteratorINS9_10device_ptrIiEEEESE_SE_iNS9_4plusIiEE19head_flag_predicateiEE10hipError_tPvRmT2_T3_T4_T5_mT6_T7_P12ihipStream_tbENKUlT_T0_E_clISt17integral_constantIbLb0EESY_EEDaST_SU_EUlST_E_NS1_11comp_targetILNS1_3genE8ELNS1_11target_archE1030ELNS1_3gpuE2ELNS1_3repE0EEENS1_30default_config_static_selectorELNS0_4arch9wavefront6targetE0EEEvT1_ ; -- Begin function _ZN7rocprim17ROCPRIM_400000_NS6detail17trampoline_kernelINS0_14default_configENS1_27scan_by_key_config_selectorIiiEEZZNS1_16scan_by_key_implILNS1_25lookback_scan_determinismE0ELb0ES3_N6thrust23THRUST_200600_302600_NS6detail15normal_iteratorINS9_10device_ptrIiEEEESE_SE_iNS9_4plusIiEE19head_flag_predicateiEE10hipError_tPvRmT2_T3_T4_T5_mT6_T7_P12ihipStream_tbENKUlT_T0_E_clISt17integral_constantIbLb0EESY_EEDaST_SU_EUlST_E_NS1_11comp_targetILNS1_3genE8ELNS1_11target_archE1030ELNS1_3gpuE2ELNS1_3repE0EEENS1_30default_config_static_selectorELNS0_4arch9wavefront6targetE0EEEvT1_
	.globl	_ZN7rocprim17ROCPRIM_400000_NS6detail17trampoline_kernelINS0_14default_configENS1_27scan_by_key_config_selectorIiiEEZZNS1_16scan_by_key_implILNS1_25lookback_scan_determinismE0ELb0ES3_N6thrust23THRUST_200600_302600_NS6detail15normal_iteratorINS9_10device_ptrIiEEEESE_SE_iNS9_4plusIiEE19head_flag_predicateiEE10hipError_tPvRmT2_T3_T4_T5_mT6_T7_P12ihipStream_tbENKUlT_T0_E_clISt17integral_constantIbLb0EESY_EEDaST_SU_EUlST_E_NS1_11comp_targetILNS1_3genE8ELNS1_11target_archE1030ELNS1_3gpuE2ELNS1_3repE0EEENS1_30default_config_static_selectorELNS0_4arch9wavefront6targetE0EEEvT1_
	.p2align	8
	.type	_ZN7rocprim17ROCPRIM_400000_NS6detail17trampoline_kernelINS0_14default_configENS1_27scan_by_key_config_selectorIiiEEZZNS1_16scan_by_key_implILNS1_25lookback_scan_determinismE0ELb0ES3_N6thrust23THRUST_200600_302600_NS6detail15normal_iteratorINS9_10device_ptrIiEEEESE_SE_iNS9_4plusIiEE19head_flag_predicateiEE10hipError_tPvRmT2_T3_T4_T5_mT6_T7_P12ihipStream_tbENKUlT_T0_E_clISt17integral_constantIbLb0EESY_EEDaST_SU_EUlST_E_NS1_11comp_targetILNS1_3genE8ELNS1_11target_archE1030ELNS1_3gpuE2ELNS1_3repE0EEENS1_30default_config_static_selectorELNS0_4arch9wavefront6targetE0EEEvT1_,@function
_ZN7rocprim17ROCPRIM_400000_NS6detail17trampoline_kernelINS0_14default_configENS1_27scan_by_key_config_selectorIiiEEZZNS1_16scan_by_key_implILNS1_25lookback_scan_determinismE0ELb0ES3_N6thrust23THRUST_200600_302600_NS6detail15normal_iteratorINS9_10device_ptrIiEEEESE_SE_iNS9_4plusIiEE19head_flag_predicateiEE10hipError_tPvRmT2_T3_T4_T5_mT6_T7_P12ihipStream_tbENKUlT_T0_E_clISt17integral_constantIbLb0EESY_EEDaST_SU_EUlST_E_NS1_11comp_targetILNS1_3genE8ELNS1_11target_archE1030ELNS1_3gpuE2ELNS1_3repE0EEENS1_30default_config_static_selectorELNS0_4arch9wavefront6targetE0EEEvT1_: ; @_ZN7rocprim17ROCPRIM_400000_NS6detail17trampoline_kernelINS0_14default_configENS1_27scan_by_key_config_selectorIiiEEZZNS1_16scan_by_key_implILNS1_25lookback_scan_determinismE0ELb0ES3_N6thrust23THRUST_200600_302600_NS6detail15normal_iteratorINS9_10device_ptrIiEEEESE_SE_iNS9_4plusIiEE19head_flag_predicateiEE10hipError_tPvRmT2_T3_T4_T5_mT6_T7_P12ihipStream_tbENKUlT_T0_E_clISt17integral_constantIbLb0EESY_EEDaST_SU_EUlST_E_NS1_11comp_targetILNS1_3genE8ELNS1_11target_archE1030ELNS1_3gpuE2ELNS1_3repE0EEENS1_30default_config_static_selectorELNS0_4arch9wavefront6targetE0EEEvT1_
; %bb.0:
	s_clause 0x4
	s_load_dwordx8 s[8:15], s[4:5], 0x0
	s_load_dwordx2 s[24:25], s[4:5], 0x38
	s_load_dword s2, s[4:5], 0x40
	s_load_dwordx4 s[20:23], s[4:5], 0x48
	s_load_dwordx4 s[16:19], s[4:5], 0x28
	s_mov_b32 s1, 0
	s_mul_i32 s0, s6, 0x300
	s_waitcnt lgkmcnt(0)
	s_barrier
	buffer_gl0_inv
	s_lshl_b64 s[10:11], s[10:11], 2
	s_add_u32 s5, s8, s10
	s_addc_u32 s7, s9, s11
	s_mul_i32 s3, s25, s2
	s_mul_hi_u32 s4, s24, s2
	s_add_u32 s12, s12, s10
	s_addc_u32 s13, s13, s11
	s_lshl_b64 s[8:9], s[0:1], 2
	s_add_i32 s19, s4, s3
	s_mul_i32 s0, s24, s2
	s_add_u32 s2, s5, s8
	s_addc_u32 s3, s7, s9
	s_add_u32 s4, s12, s8
	s_addc_u32 s5, s13, s9
	;; [unrolled: 2-line block ×3, first 2 shown]
	s_add_u32 s20, s20, -1
	s_addc_u32 s21, s21, -1
	v_cmp_ge_u64_e64 s7, s[12:13], s[20:21]
	s_mul_i32 s12, s20, 0xfffffd00
	s_and_b32 vcc_lo, exec_lo, s7
	s_cbranch_vccz .LBB757_16
; %bb.1:
	v_mov_b32_e32 v1, s2
	v_mov_b32_e32 v2, s3
	s_add_i32 s13, s12, s18
	v_cmp_gt_u32_e32 vcc_lo, s13, v0
	flat_load_dword v1, v[1:2]
	s_waitcnt vmcnt(0) lgkmcnt(0)
	v_mov_b32_e32 v2, v1
	s_and_saveexec_b32 s0, vcc_lo
	s_cbranch_execz .LBB757_3
; %bb.2:
	v_lshlrev_b32_e32 v2, 2, v0
	v_add_co_u32 v2, s1, s2, v2
	v_add_co_ci_u32_e64 v3, null, s3, 0, s1
	flat_load_dword v2, v[2:3]
.LBB757_3:
	s_or_b32 exec_lo, exec_lo, s0
	v_or_b32_e32 v3, 0x100, v0
	v_cmp_gt_u32_e64 s0, s13, v3
	v_mov_b32_e32 v3, v1
	s_and_saveexec_b32 s1, s0
	s_cbranch_execz .LBB757_5
; %bb.4:
	v_lshlrev_b32_e32 v3, 2, v0
	v_add_co_u32 v3, s19, s2, v3
	v_add_co_ci_u32_e64 v4, null, s3, 0, s19
	flat_load_dword v3, v[3:4] offset:1024
.LBB757_5:
	s_or_b32 exec_lo, exec_lo, s1
	v_or_b32_e32 v4, 0x200, v0
	v_cmp_gt_u32_e64 s1, s13, v4
	v_lshlrev_b32_e32 v8, 2, v4
	s_and_saveexec_b32 s19, s1
	s_cbranch_execz .LBB757_7
; %bb.6:
	v_add_co_u32 v4, s20, s2, v8
	v_add_co_ci_u32_e64 v5, null, s3, 0, s20
	flat_load_dword v1, v[4:5]
.LBB757_7:
	s_or_b32 exec_lo, exec_lo, s19
	v_lshlrev_b32_e32 v9, 2, v0
	v_lshl_add_u32 v7, v0, 3, v9
	s_waitcnt vmcnt(0) lgkmcnt(0)
	ds_write2st64_b32 v9, v2, v3 offset1:4
	ds_write_b32 v9, v1 offset:2048
	s_waitcnt lgkmcnt(0)
	s_barrier
	buffer_gl0_inv
	ds_read_b32 v6, v7 offset:8
	ds_read2_b32 v[4:5], v7 offset1:1
	v_mov_b32_e32 v1, 0
	v_mov_b32_e32 v2, v1
	;; [unrolled: 1-line block ×3, first 2 shown]
	s_waitcnt lgkmcnt(1)
	ds_write_b32 v9, v6 offset:3072
	s_waitcnt lgkmcnt(0)
	s_barrier
	buffer_gl0_inv
	s_barrier
	buffer_gl0_inv
	s_and_saveexec_b32 s19, vcc_lo
	s_cbranch_execnz .LBB757_86
; %bb.8:
	s_or_b32 exec_lo, exec_lo, s19
	s_and_saveexec_b32 s19, s0
	s_cbranch_execnz .LBB757_87
.LBB757_9:
	s_or_b32 exec_lo, exec_lo, s19
	v_mul_u32_u24_e32 v13, 3, v0
	s_and_saveexec_b32 s0, s1
	s_cbranch_execz .LBB757_11
.LBB757_10:
	v_add_co_u32 v10, s1, s4, v8
	v_add_co_ci_u32_e64 v11, null, s5, 0, s1
	flat_load_dword v3, v[10:11]
.LBB757_11:
	s_or_b32 exec_lo, exec_lo, s0
	s_waitcnt vmcnt(0) lgkmcnt(0)
	ds_write2st64_b32 v9, v1, v2 offset1:4
	ds_write_b32 v9, v3 offset:2048
	v_mov_b32_e32 v9, 0
	v_mov_b32_e32 v11, 0
	;; [unrolled: 1-line block ×4, first 2 shown]
	s_mov_b32 s19, 0
	s_mov_b32 s1, 0
	s_mov_b32 s20, exec_lo
	s_waitcnt lgkmcnt(0)
	s_barrier
	buffer_gl0_inv
                                        ; implicit-def: $vgpr2
	v_cmpx_gt_u32_e64 s13, v13
	s_cbranch_execz .LBB757_15
; %bb.12:
	ds_read_b32 v9, v7
	v_cmp_ne_u32_e32 vcc_lo, 0, v4
	v_mov_b32_e32 v11, 0
	v_add_nc_u32_e32 v1, 1, v13
	v_mov_b32_e32 v12, 0
	s_mov_b32 s0, 0
	v_cndmask_b32_e64 v10, 0, 1, vcc_lo
	s_mov_b32 s1, exec_lo
                                        ; implicit-def: $vgpr2
	v_cmpx_gt_u32_e64 s13, v1
	s_xor_b32 s1, exec_lo, s1
	s_cbranch_execz .LBB757_14
; %bb.13:
	ds_read2_b32 v[1:2], v7 offset0:1 offset1:2
	v_add_nc_u32_e32 v3, 2, v13
	v_cmp_ne_u32_e64 s0, 0, v5
	v_cmp_gt_u32_e32 vcc_lo, s13, v3
	v_cndmask_b32_e64 v12, 0, 1, s0
	s_and_b32 s0, vcc_lo, exec_lo
	s_waitcnt lgkmcnt(0)
	v_mov_b32_e32 v11, v1
.LBB757_14:
	s_or_b32 exec_lo, exec_lo, s1
	s_and_b32 s1, s0, exec_lo
.LBB757_15:
	s_or_b32 exec_lo, exec_lo, s20
	v_lshlrev_b32_e32 v18, 2, v0
	s_and_b32 vcc_lo, exec_lo, s19
	s_cbranch_vccnz .LBB757_17
	s_branch .LBB757_18
.LBB757_16:
                                        ; implicit-def: $vgpr6
                                        ; implicit-def: $vgpr2
                                        ; implicit-def: $vgpr9_vgpr10
                                        ; implicit-def: $vgpr11_vgpr12
	v_lshlrev_b32_e32 v18, 2, v0
	s_cbranch_execz .LBB757_18
.LBB757_17:
	v_add_co_u32 v1, s0, s2, v18
	v_add_co_ci_u32_e64 v2, null, s3, 0, s0
	s_waitcnt lgkmcnt(0)
	v_lshl_add_u32 v9, v0, 3, v18
	v_add_co_u32 v3, vcc_lo, 0x800, v1
	v_add_co_ci_u32_e64 v4, null, 0, v2, vcc_lo
	s_or_b32 s1, s1, exec_lo
	s_clause 0x2
	flat_load_dword v5, v[1:2]
	flat_load_dword v1, v[1:2] offset:1024
	flat_load_dword v2, v[3:4]
	s_waitcnt vmcnt(1) lgkmcnt(1)
	ds_write2st64_b32 v18, v5, v1 offset1:4
	s_waitcnt vmcnt(0) lgkmcnt(1)
	ds_write_b32 v18, v2 offset:2048
	s_waitcnt lgkmcnt(0)
	s_barrier
	buffer_gl0_inv
	ds_read_b32 v6, v9 offset:8
	ds_read2_b32 v[3:4], v9 offset1:1
	v_add_co_u32 v1, s0, s4, v18
	v_add_co_ci_u32_e64 v2, null, s5, 0, s0
	v_add_co_u32 v7, vcc_lo, 0x800, v1
	v_add_co_ci_u32_e64 v8, null, 0, v2, vcc_lo
	s_waitcnt lgkmcnt(1)
	ds_write_b32 v18, v6 offset:3072
	s_waitcnt lgkmcnt(0)
	s_barrier
	buffer_gl0_inv
	s_barrier
	buffer_gl0_inv
	s_clause 0x2
	flat_load_dword v5, v[1:2]
	flat_load_dword v1, v[1:2] offset:1024
	flat_load_dword v2, v[7:8]
	v_cmp_ne_u32_e32 vcc_lo, 0, v3
	s_waitcnt vmcnt(1) lgkmcnt(1)
	ds_write2st64_b32 v18, v5, v1 offset1:4
	s_waitcnt vmcnt(0) lgkmcnt(1)
	ds_write_b32 v18, v2 offset:2048
	s_waitcnt lgkmcnt(0)
	s_barrier
	buffer_gl0_inv
	ds_read2_b32 v[7:8], v9 offset1:1
	ds_read_b32 v2, v9 offset:8
	v_cndmask_b32_e64 v10, 0, 1, vcc_lo
	v_cmp_ne_u32_e32 vcc_lo, 0, v4
	v_cndmask_b32_e64 v12, 0, 1, vcc_lo
	s_waitcnt lgkmcnt(1)
	v_mov_b32_e32 v9, v7
	v_mov_b32_e32 v11, v8
.LBB757_18:
	v_mov_b32_e32 v13, 0
	v_mov_b32_e32 v14, 0
	s_and_saveexec_b32 s0, s1
	s_cbranch_execz .LBB757_20
; %bb.19:
	v_cmp_ne_u32_e32 vcc_lo, 0, v6
	s_waitcnt lgkmcnt(0)
	v_mov_b32_e32 v13, v2
	v_cndmask_b32_e64 v14, 0, 1, vcc_lo
.LBB757_20:
	s_or_b32 exec_lo, exec_lo, s0
	v_or_b32_e32 v22, v12, v14
	v_mbcnt_lo_u32_b32 v19, -1, 0
	v_lshrrev_b32_e32 v20, 5, v0
	v_or_b32_e32 v21, 31, v0
	s_cmp_lg_u32 s6, 0
	s_mov_b32 s2, 0
	s_waitcnt lgkmcnt(0)
	s_barrier
	buffer_gl0_inv
	s_cbranch_scc0 .LBB757_46
; %bb.21:
	v_and_b32_e32 v2, 0xff, v22
	v_mov_b32_e32 v1, 0
	s_mov_b32 s3, 1
	v_and_b32_e32 v8, 15, v19
	v_cmp_gt_u64_e64 s0, s[2:3], v[11:12]
	v_cmp_gt_u64_e64 s1, s[2:3], v[13:14]
	v_cmp_eq_u64_e32 vcc_lo, 0, v[1:2]
	v_cndmask_b32_e64 v3, 0, v9, s0
	v_cndmask_b32_e32 v2, 1, v10, vcc_lo
	v_add_nc_u32_e32 v3, v3, v11
	v_and_b32_e32 v4, 0xff, v2
	v_and_b32_e32 v6, 1, v2
	v_cndmask_b32_e64 v3, 0, v3, s1
	v_mov_b32_dpp v5, v4 row_shr:1 row_mask:0xf bank_mask:0xf
	v_cmp_eq_u32_e32 vcc_lo, 1, v6
	v_add_nc_u32_e32 v3, v3, v13
	v_and_b32_e32 v5, 1, v5
	v_mov_b32_dpp v7, v3 row_shr:1 row_mask:0xf bank_mask:0xf
	v_cndmask_b32_e64 v5, v5, 1, vcc_lo
	v_cmp_eq_u16_e32 vcc_lo, 0, v4
	v_cndmask_b32_e32 v6, 0, v7, vcc_lo
	v_cmp_eq_u32_e32 vcc_lo, 0, v8
	v_cndmask_b32_e32 v4, v5, v4, vcc_lo
	v_cndmask_b32_e32 v2, v5, v2, vcc_lo
	v_cndmask_b32_e64 v6, v6, 0, vcc_lo
	v_mov_b32_dpp v5, v4 row_shr:2 row_mask:0xf bank_mask:0xf
	v_and_b32_e32 v7, 1, v2
	v_add_nc_u32_e32 v3, v6, v3
	v_cmp_eq_u16_sdwa s2, v2, v1 src0_sel:BYTE_0 src1_sel:DWORD
	v_and_b32_e32 v5, 1, v5
	v_cmp_eq_u32_e32 vcc_lo, 1, v7
	v_cndmask_b32_e64 v5, v5, 1, vcc_lo
	v_cmp_lt_u32_e32 vcc_lo, 1, v8
	v_cndmask_b32_e32 v7, v2, v5, vcc_lo
	v_cndmask_b32_e32 v4, v4, v5, vcc_lo
	v_mov_b32_dpp v2, v3 row_shr:2 row_mask:0xf bank_mask:0xf
	s_and_b32 vcc_lo, vcc_lo, s2
	v_and_b32_e32 v6, 1, v7
	v_mov_b32_dpp v5, v4 row_shr:4 row_mask:0xf bank_mask:0xf
	v_cndmask_b32_e32 v2, 0, v2, vcc_lo
	v_cmp_eq_u16_sdwa s2, v7, v1 src0_sel:BYTE_0 src1_sel:DWORD
	v_cmp_eq_u32_e32 vcc_lo, 1, v6
	v_and_b32_e32 v5, 1, v5
	v_add_nc_u32_e32 v2, v2, v3
	v_cndmask_b32_e64 v5, v5, 1, vcc_lo
	v_cmp_lt_u32_e32 vcc_lo, 3, v8
	v_cndmask_b32_e32 v3, v7, v5, vcc_lo
	v_cndmask_b32_e32 v4, v4, v5, vcc_lo
	v_mov_b32_dpp v5, v2 row_shr:4 row_mask:0xf bank_mask:0xf
	s_and_b32 vcc_lo, vcc_lo, s2
	v_and_b32_e32 v7, 1, v3
	v_mov_b32_dpp v6, v4 row_shr:8 row_mask:0xf bank_mask:0xf
	v_cndmask_b32_e32 v5, 0, v5, vcc_lo
	v_cmp_eq_u16_sdwa s2, v3, v1 src0_sel:BYTE_0 src1_sel:DWORD
	v_cmp_eq_u32_e32 vcc_lo, 1, v7
	v_and_b32_e32 v6, 1, v6
	v_add_nc_u32_e32 v2, v5, v2
	v_bfe_i32 v7, v19, 4, 1
	v_cndmask_b32_e64 v5, v6, 1, vcc_lo
	v_cmp_lt_u32_e32 vcc_lo, 7, v8
	v_mov_b32_dpp v6, v2 row_shr:8 row_mask:0xf bank_mask:0xf
	s_and_b32 s2, vcc_lo, s2
	v_cndmask_b32_e32 v4, v4, v5, vcc_lo
	v_cndmask_b32_e64 v6, 0, v6, s2
	v_cndmask_b32_e32 v3, v3, v5, vcc_lo
	ds_swizzle_b32 v5, v4 offset:swizzle(BROADCAST,32,15)
	v_add_nc_u32_e32 v2, v6, v2
	v_and_b32_e32 v8, 1, v3
	v_cmp_eq_u16_sdwa vcc_lo, v3, v1 src0_sel:BYTE_0 src1_sel:DWORD
	v_and_b32_e32 v3, 16, v19
	ds_swizzle_b32 v6, v2 offset:swizzle(BROADCAST,32,15)
	v_cmp_eq_u32_e64 s2, 0, v3
	s_waitcnt lgkmcnt(1)
	v_and_b32_e32 v5, 1, v5
	s_waitcnt lgkmcnt(0)
	v_cndmask_b32_e32 v1, 0, v6, vcc_lo
	v_cmp_eq_u32_e32 vcc_lo, 1, v8
	v_and_b32_e32 v1, v7, v1
	v_cndmask_b32_e64 v5, v5, 1, vcc_lo
	v_add_nc_u32_e32 v3, v1, v2
	v_cndmask_b32_e64 v4, v5, v4, s2
	v_lshlrev_b32_e32 v5, 3, v20
	s_mov_b32 s2, exec_lo
	v_cmpx_eq_u32_e64 v0, v21
	s_cbranch_execz .LBB757_23
; %bb.22:
	ds_write_b32 v5, v3
	ds_write_b8 v5, v4 offset:4
.LBB757_23:
	s_or_b32 exec_lo, exec_lo, s2
	s_mov_b32 s2, exec_lo
	s_waitcnt lgkmcnt(0)
	s_barrier
	buffer_gl0_inv
	v_cmpx_gt_u32_e32 8, v0
	s_cbranch_execz .LBB757_29
; %bb.24:
	v_lshlrev_b32_e32 v6, 3, v0
	v_and_b32_e32 v7, 7, v19
	s_mov_b32 s3, exec_lo
	ds_read_b64 v[1:2], v6
	s_waitcnt lgkmcnt(0)
	v_and_b32_e32 v8, 0xffffff00, v2
	v_mov_b32_dpp v16, v1 row_shr:1 row_mask:0xf bank_mask:0xf
	v_mov_b32_dpp v17, v2 row_shr:1 row_mask:0xf bank_mask:0xf
	v_mov_b32_e32 v15, v2
	v_cmpx_ne_u32_e32 0, v7
	s_cbranch_execz .LBB757_26
; %bb.25:
	v_mov_b32_e32 v15, 0
	v_and_b32_e32 v23, 1, v2
	v_and_b32_e32 v17, 1, v17
	v_cmp_eq_u16_sdwa vcc_lo, v2, v15 src0_sel:BYTE_0 src1_sel:DWORD
	v_cndmask_b32_e32 v2, 0, v16, vcc_lo
	v_cmp_eq_u32_e32 vcc_lo, 1, v23
	v_add_nc_u32_e32 v1, v2, v1
	v_cndmask_b32_e64 v16, v17, 1, vcc_lo
	v_or_b32_sdwa v15, v8, v16 dst_sel:DWORD dst_unused:UNUSED_PAD src0_sel:DWORD src1_sel:WORD_0
	v_mov_b32_e32 v2, v16
.LBB757_26:
	s_or_b32 exec_lo, exec_lo, s3
	v_mov_b32_dpp v16, v1 row_shr:2 row_mask:0xf bank_mask:0xf
	v_mov_b32_dpp v17, v15 row_shr:2 row_mask:0xf bank_mask:0xf
	s_mov_b32 s3, exec_lo
	v_cmpx_lt_u32_e32 1, v7
	s_cbranch_execz .LBB757_28
; %bb.27:
	v_mov_b32_e32 v15, 0
	v_and_b32_e32 v23, 1, v2
	v_and_b32_e32 v17, 1, v17
	v_cmp_eq_u16_sdwa vcc_lo, v2, v15 src0_sel:BYTE_0 src1_sel:DWORD
	v_cndmask_b32_e32 v2, 0, v16, vcc_lo
	v_cmp_eq_u32_e32 vcc_lo, 1, v23
	v_add_nc_u32_e32 v1, v2, v1
	v_cndmask_b32_e64 v16, v17, 1, vcc_lo
	v_or_b32_sdwa v15, v8, v16 dst_sel:DWORD dst_unused:UNUSED_PAD src0_sel:DWORD src1_sel:WORD_0
	v_mov_b32_e32 v2, v16
.LBB757_28:
	s_or_b32 exec_lo, exec_lo, s3
	v_mov_b32_dpp v8, v15 row_shr:4 row_mask:0xf bank_mask:0xf
	v_and_b32_e32 v16, 1, v2
	v_mov_b32_e32 v15, 0
	v_and_b32_e32 v8, 1, v8
	v_cmp_eq_u32_e32 vcc_lo, 1, v16
	v_cmp_eq_u16_sdwa s3, v2, v15 src0_sel:BYTE_0 src1_sel:DWORD
	v_cndmask_b32_e64 v8, v8, 1, vcc_lo
	v_cmp_lt_u32_e32 vcc_lo, 3, v7
	v_mov_b32_dpp v7, v1 row_shr:4 row_mask:0xf bank_mask:0xf
	v_cndmask_b32_e32 v2, v2, v8, vcc_lo
	s_and_b32 vcc_lo, vcc_lo, s3
	v_cndmask_b32_e32 v7, 0, v7, vcc_lo
	v_add_nc_u32_e32 v1, v7, v1
	ds_write_b32 v6, v1
	ds_write_b8 v6, v2 offset:4
.LBB757_29:
	s_or_b32 exec_lo, exec_lo, s2
	v_mov_b32_e32 v23, 0
	v_mov_b32_e32 v24, 0
	s_mov_b32 s3, exec_lo
	v_cmp_gt_u32_e32 vcc_lo, 32, v0
	s_waitcnt lgkmcnt(0)
	s_barrier
	buffer_gl0_inv
	v_cmpx_lt_u32_e32 31, v0
	s_cbranch_execz .LBB757_31
; %bb.30:
	v_add_nc_u32_e32 v1, -8, v5
	v_cmp_eq_u32_e64 s2, 0, v4
	v_and_b32_e32 v2, 1, v4
	ds_read_b32 v23, v1
	v_add_nc_u32_e32 v1, -4, v5
	ds_read_u8 v24, v1
	s_waitcnt lgkmcnt(1)
	v_cndmask_b32_e64 v1, 0, v23, s2
	v_cmp_eq_u32_e64 s2, 1, v2
	v_add_nc_u32_e32 v3, v1, v3
	s_waitcnt lgkmcnt(0)
	v_cndmask_b32_e64 v4, v24, 1, s2
.LBB757_31:
	s_or_b32 exec_lo, exec_lo, s3
	v_sub_co_u32 v1, s2, v19, 1
	v_cmp_gt_i32_e64 s3, 0, v1
	v_cndmask_b32_e64 v1, v1, v19, s3
	v_lshlrev_b32_e32 v1, 2, v1
	ds_bpermute_b32 v25, v1, v3
	ds_bpermute_b32 v26, v1, v4
	s_and_saveexec_b32 s13, vcc_lo
	s_cbranch_execz .LBB757_51
; %bb.32:
	v_mov_b32_e32 v4, 0
	ds_read_b64 v[1:2], v4 offset:56
	s_and_saveexec_b32 s3, s2
	s_cbranch_execz .LBB757_34
; %bb.33:
	s_add_i32 s4, s6, 32
	s_mov_b32 s5, 0
	v_mov_b32_e32 v3, 1
	s_lshl_b64 s[4:5], s[4:5], 4
	s_add_u32 s4, s16, s4
	s_addc_u32 s5, s17, s5
	v_mov_b32_e32 v6, s5
	v_mov_b32_e32 v5, s4
	s_waitcnt lgkmcnt(0)
	;;#ASMSTART
	global_store_dwordx4 v[5:6], v[1:4] off	
s_waitcnt vmcnt(0)
	;;#ASMEND
.LBB757_34:
	s_or_b32 exec_lo, exec_lo, s3
	v_xad_u32 v15, v19, -1, s6
	s_mov_b32 s4, 0
	v_add_nc_u32_e32 v3, 32, v15
	v_lshlrev_b64 v[5:6], 4, v[3:4]
	v_add_co_u32 v16, vcc_lo, s16, v5
	v_add_co_ci_u32_e64 v17, null, s17, v6, vcc_lo
	;;#ASMSTART
	global_load_dwordx4 v[5:8], v[16:17] off glc dlc	
s_waitcnt vmcnt(0)
	;;#ASMEND
	v_and_b32_e32 v6, 0xff, v6
	v_cmp_eq_u16_sdwa s5, v7, v4 src0_sel:BYTE_0 src1_sel:DWORD
	s_and_saveexec_b32 s3, s5
	s_cbranch_execz .LBB757_38
; %bb.35:
	v_mov_b32_e32 v3, 0
.LBB757_36:                             ; =>This Inner Loop Header: Depth=1
	;;#ASMSTART
	global_load_dwordx4 v[5:8], v[16:17] off glc dlc	
s_waitcnt vmcnt(0)
	;;#ASMEND
	v_cmp_ne_u16_sdwa s5, v7, v3 src0_sel:BYTE_0 src1_sel:DWORD
	s_or_b32 s4, s5, s4
	s_andn2_b32 exec_lo, exec_lo, s4
	s_cbranch_execnz .LBB757_36
; %bb.37:
	s_or_b32 exec_lo, exec_lo, s4
	v_and_b32_e32 v6, 0xff, v6
.LBB757_38:
	s_or_b32 exec_lo, exec_lo, s3
	v_cmp_ne_u32_e32 vcc_lo, 31, v19
	v_mov_b32_e32 v27, 2
	v_lshlrev_b32_e64 v28, v19, -1
	v_and_b32_e32 v8, 1, v6
	s_mov_b32 s4, 0
	v_add_co_ci_u32_e64 v3, null, 0, v19, vcc_lo
	v_cmp_eq_u16_sdwa s3, v7, v27 src0_sel:BYTE_0 src1_sel:DWORD
	v_cmp_eq_u32_e32 vcc_lo, 1, v8
	s_mov_b32 s5, 1
	v_lshlrev_b32_e32 v17, 2, v3
	v_add_nc_u32_e32 v36, 8, v19
	v_and_or_b32 v4, s3, v28, 0x80000000
	v_cmp_gt_u64_e64 s3, s[4:5], v[5:6]
	v_lshl_or_b32 v37, v19, 2, 64
	ds_bpermute_b32 v3, v17, v6
	ds_bpermute_b32 v16, v17, v5
	v_ffbl_b32_e32 v4, v4
	v_add_nc_u32_e32 v38, 16, v19
	s_waitcnt lgkmcnt(1)
	v_and_b32_e32 v3, 1, v3
	v_cndmask_b32_e64 v3, v3, 1, vcc_lo
	v_cmp_gt_u32_e32 vcc_lo, 30, v19
	v_and_b32_e32 v30, 0xffff, v3
	v_cndmask_b32_e64 v8, 0, 2, vcc_lo
	v_cmp_lt_u32_e32 vcc_lo, v19, v4
	v_add_lshl_u32 v29, v8, v19, 2
	v_cndmask_b32_e32 v8, v6, v30, vcc_lo
	v_cndmask_b32_e32 v3, v6, v3, vcc_lo
	s_and_b32 vcc_lo, vcc_lo, s3
	s_waitcnt lgkmcnt(0)
	v_cndmask_b32_e32 v6, 0, v16, vcc_lo
	ds_bpermute_b32 v30, v29, v8
	v_and_b32_e32 v16, 1, v3
	v_add_nc_u32_e32 v5, v6, v5
	v_cmp_eq_u32_e32 vcc_lo, 1, v16
	v_mov_b32_e32 v16, 0
	ds_bpermute_b32 v6, v29, v5
	v_cmp_eq_u16_sdwa s3, v3, v16 src0_sel:BYTE_0 src1_sel:DWORD
	s_waitcnt lgkmcnt(1)
	v_and_b32_e32 v31, 1, v30
	v_add_nc_u32_e32 v30, 2, v19
	v_cndmask_b32_e64 v32, v31, 1, vcc_lo
	v_cmp_gt_u32_e32 vcc_lo, 28, v19
	v_and_b32_e32 v33, 0xffff, v32
	v_cndmask_b32_e64 v31, 0, 4, vcc_lo
	v_cmp_gt_u32_e32 vcc_lo, v30, v4
	v_add_lshl_u32 v31, v31, v19, 2
	v_cndmask_b32_e32 v8, v33, v8, vcc_lo
	v_cndmask_b32_e32 v34, v32, v3, vcc_lo
	s_waitcnt lgkmcnt(0)
	v_cndmask_b32_e64 v3, 0, v6, s3
	v_add_nc_u32_e32 v32, 4, v19
	ds_bpermute_b32 v6, v31, v8
	v_and_b32_e32 v33, 1, v34
	v_cndmask_b32_e64 v3, v3, 0, vcc_lo
	v_cmp_eq_u16_sdwa s3, v34, v16 src0_sel:BYTE_0 src1_sel:DWORD
	v_cmp_eq_u32_e32 vcc_lo, 1, v33
	v_add_nc_u32_e32 v3, v3, v5
	ds_bpermute_b32 v5, v31, v3
	s_waitcnt lgkmcnt(1)
	v_and_b32_e32 v6, 1, v6
	v_cndmask_b32_e64 v6, v6, 1, vcc_lo
	v_cmp_gt_u32_e32 vcc_lo, 24, v19
	v_and_b32_e32 v35, 0xffff, v6
	v_cndmask_b32_e64 v33, 0, 8, vcc_lo
	v_cmp_gt_u32_e32 vcc_lo, v32, v4
	s_waitcnt lgkmcnt(0)
	v_cndmask_b32_e64 v5, 0, v5, s3
	v_add_lshl_u32 v33, v33, v19, 2
	v_cndmask_b32_e32 v8, v35, v8, vcc_lo
	v_cndmask_b32_e32 v6, v6, v34, vcc_lo
	v_cndmask_b32_e64 v5, v5, 0, vcc_lo
	ds_bpermute_b32 v34, v33, v8
	v_and_b32_e32 v35, 1, v6
	v_add_nc_u32_e32 v3, v5, v3
	v_cmp_eq_u32_e32 vcc_lo, 1, v35
	ds_bpermute_b32 v5, v33, v3
	s_waitcnt lgkmcnt(1)
	v_and_b32_e32 v34, 1, v34
	v_cndmask_b32_e64 v34, v34, 1, vcc_lo
	v_cmp_eq_u16_sdwa vcc_lo, v6, v16 src0_sel:BYTE_0 src1_sel:DWORD
	v_and_b32_e32 v35, 0xffff, v34
	s_waitcnt lgkmcnt(0)
	v_cndmask_b32_e32 v5, 0, v5, vcc_lo
	v_cmp_gt_u32_e32 vcc_lo, v36, v4
	v_cndmask_b32_e64 v5, v5, 0, vcc_lo
	v_cndmask_b32_e32 v8, v35, v8, vcc_lo
	v_cndmask_b32_e32 v6, v34, v6, vcc_lo
	v_add_nc_u32_e32 v3, v5, v3
	ds_bpermute_b32 v5, v37, v8
	v_and_b32_e32 v34, 1, v6
	v_cmp_eq_u16_sdwa vcc_lo, v6, v16 src0_sel:BYTE_0 src1_sel:DWORD
	ds_bpermute_b32 v8, v37, v3
	s_waitcnt lgkmcnt(1)
	v_and_b32_e32 v5, 1, v5
	s_waitcnt lgkmcnt(0)
	v_cndmask_b32_e32 v8, 0, v8, vcc_lo
	v_cmp_eq_u32_e32 vcc_lo, 1, v34
	v_cndmask_b32_e64 v5, v5, 1, vcc_lo
	v_cmp_gt_u32_e32 vcc_lo, v38, v4
	v_cndmask_b32_e32 v4, v5, v6, vcc_lo
	v_cndmask_b32_e64 v5, v8, 0, vcc_lo
	v_add_nc_u32_e32 v3, v5, v3
	s_branch .LBB757_42
.LBB757_39:                             ;   in Loop: Header=BB757_42 Depth=1
	s_or_b32 exec_lo, exec_lo, s19
	v_and_b32_e32 v6, 0xff, v6
.LBB757_40:                             ;   in Loop: Header=BB757_42 Depth=1
	s_or_b32 exec_lo, exec_lo, s3
	ds_bpermute_b32 v3, v17, v6
	v_cmp_eq_u16_sdwa s3, v7, v27 src0_sel:BYTE_0 src1_sel:DWORD
	v_and_b32_e32 v4, 1, v6
	v_subrev_nc_u32_e32 v15, 32, v15
	v_and_or_b32 v8, s3, v28, 0x80000000
	v_cmp_eq_u32_e32 vcc_lo, 1, v4
	v_cmp_gt_u64_e64 s3, s[4:5], v[5:6]
	v_ffbl_b32_e32 v4, v8
	ds_bpermute_b32 v8, v17, v5
	s_waitcnt lgkmcnt(1)
	v_and_b32_e32 v3, 1, v3
	v_cndmask_b32_e64 v3, v3, 1, vcc_lo
	v_cmp_lt_u32_e32 vcc_lo, v19, v4
	v_and_b32_e32 v39, 0xffff, v3
	v_cndmask_b32_e32 v3, v6, v3, vcc_lo
	v_cndmask_b32_e32 v39, v6, v39, vcc_lo
	s_and_b32 vcc_lo, vcc_lo, s3
	v_cmp_eq_u16_sdwa s3, v3, v16 src0_sel:BYTE_0 src1_sel:DWORD
	s_waitcnt lgkmcnt(0)
	v_cndmask_b32_e32 v6, 0, v8, vcc_lo
	v_and_b32_e32 v8, 1, v3
	ds_bpermute_b32 v40, v29, v39
	v_add_nc_u32_e32 v5, v6, v5
	v_cmp_eq_u32_e32 vcc_lo, 1, v8
	ds_bpermute_b32 v6, v29, v5
	s_waitcnt lgkmcnt(1)
	v_and_b32_e32 v40, 1, v40
	v_cndmask_b32_e64 v8, v40, 1, vcc_lo
	v_cmp_gt_u32_e32 vcc_lo, v30, v4
	v_and_b32_e32 v40, 0xffff, v8
	v_cndmask_b32_e32 v8, v8, v3, vcc_lo
	s_waitcnt lgkmcnt(0)
	v_cndmask_b32_e64 v3, 0, v6, s3
	v_cndmask_b32_e32 v39, v40, v39, vcc_lo
	v_and_b32_e32 v40, 1, v8
	v_cndmask_b32_e64 v3, v3, 0, vcc_lo
	v_cmp_eq_u16_sdwa s3, v8, v16 src0_sel:BYTE_0 src1_sel:DWORD
	ds_bpermute_b32 v6, v31, v39
	v_cmp_eq_u32_e32 vcc_lo, 1, v40
	v_add_nc_u32_e32 v3, v3, v5
	ds_bpermute_b32 v5, v31, v3
	s_waitcnt lgkmcnt(1)
	v_and_b32_e32 v6, 1, v6
	v_cndmask_b32_e64 v6, v6, 1, vcc_lo
	v_cmp_gt_u32_e32 vcc_lo, v32, v4
	s_waitcnt lgkmcnt(0)
	v_cndmask_b32_e64 v5, 0, v5, s3
	s_mov_b32 s3, 0
	v_and_b32_e32 v40, 0xffff, v6
	v_cndmask_b32_e32 v6, v6, v8, vcc_lo
	v_cndmask_b32_e64 v5, v5, 0, vcc_lo
	v_cndmask_b32_e32 v8, v40, v39, vcc_lo
	v_and_b32_e32 v40, 1, v6
	v_add_nc_u32_e32 v3, v5, v3
	ds_bpermute_b32 v39, v33, v8
	v_cmp_eq_u32_e32 vcc_lo, 1, v40
	ds_bpermute_b32 v5, v33, v3
	s_waitcnt lgkmcnt(1)
	v_and_b32_e32 v39, 1, v39
	v_cndmask_b32_e64 v39, v39, 1, vcc_lo
	v_cmp_eq_u16_sdwa vcc_lo, v6, v16 src0_sel:BYTE_0 src1_sel:DWORD
	v_and_b32_e32 v40, 0xffff, v39
	s_waitcnt lgkmcnt(0)
	v_cndmask_b32_e32 v5, 0, v5, vcc_lo
	v_cmp_gt_u32_e32 vcc_lo, v36, v4
	v_cndmask_b32_e64 v5, v5, 0, vcc_lo
	v_cndmask_b32_e32 v8, v40, v8, vcc_lo
	v_cndmask_b32_e32 v6, v39, v6, vcc_lo
	v_add_nc_u32_e32 v3, v5, v3
	ds_bpermute_b32 v5, v37, v8
	v_and_b32_e32 v39, 1, v6
	ds_bpermute_b32 v8, v37, v3
	v_cmp_eq_u32_e32 vcc_lo, 1, v39
	s_waitcnt lgkmcnt(1)
	v_cndmask_b32_e64 v5, v5, 1, vcc_lo
	v_cmp_eq_u16_sdwa vcc_lo, v6, v16 src0_sel:BYTE_0 src1_sel:DWORD
	s_waitcnt lgkmcnt(0)
	v_cndmask_b32_e32 v8, 0, v8, vcc_lo
	v_cmp_gt_u32_e32 vcc_lo, v38, v4
	v_cndmask_b32_e32 v4, v5, v6, vcc_lo
	v_cndmask_b32_e64 v5, v8, 0, vcc_lo
	v_cmp_eq_u16_sdwa vcc_lo, v34, v16 src0_sel:BYTE_0 src1_sel:DWORD
	v_and_b32_e32 v4, 1, v4
	v_add_nc_u32_e32 v3, v5, v3
	v_and_b32_e32 v5, 1, v34
	v_cndmask_b32_e32 v3, 0, v3, vcc_lo
	v_cmp_eq_u32_e32 vcc_lo, 1, v5
	v_add_nc_u32_e32 v3, v3, v35
	v_cndmask_b32_e64 v4, v4, 1, vcc_lo
.LBB757_41:                             ;   in Loop: Header=BB757_42 Depth=1
	s_and_b32 vcc_lo, exec_lo, s3
	s_cbranch_vccnz .LBB757_47
.LBB757_42:                             ; =>This Loop Header: Depth=1
                                        ;     Child Loop BB757_45 Depth 2
	v_cmp_ne_u16_sdwa s3, v7, v27 src0_sel:BYTE_0 src1_sel:DWORD
	v_mov_b32_e32 v34, v4
	v_mov_b32_e32 v35, v3
                                        ; implicit-def: $vgpr4
                                        ; implicit-def: $vgpr3
                                        ; implicit-def: $vgpr7
	s_cmp_lg_u32 s3, exec_lo
	s_mov_b32 s3, -1
	s_cbranch_scc1 .LBB757_41
; %bb.43:                               ;   in Loop: Header=BB757_42 Depth=1
	v_lshlrev_b64 v[3:4], 4, v[15:16]
	v_add_co_u32 v3, vcc_lo, s16, v3
	v_add_co_ci_u32_e64 v4, null, s17, v4, vcc_lo
	;;#ASMSTART
	global_load_dwordx4 v[5:8], v[3:4] off glc dlc	
s_waitcnt vmcnt(0)
	;;#ASMEND
	v_and_b32_e32 v6, 0xff, v6
	v_cmp_eq_u16_sdwa s19, v7, v16 src0_sel:BYTE_0 src1_sel:DWORD
	s_and_saveexec_b32 s3, s19
	s_cbranch_execz .LBB757_40
; %bb.44:                               ;   in Loop: Header=BB757_42 Depth=1
	s_mov_b32 s19, 0
.LBB757_45:                             ;   Parent Loop BB757_42 Depth=1
                                        ; =>  This Inner Loop Header: Depth=2
	;;#ASMSTART
	global_load_dwordx4 v[5:8], v[3:4] off glc dlc	
s_waitcnt vmcnt(0)
	;;#ASMEND
	v_cmp_ne_u16_sdwa s20, v7, v16 src0_sel:BYTE_0 src1_sel:DWORD
	s_or_b32 s19, s20, s19
	s_andn2_b32 exec_lo, exec_lo, s19
	s_cbranch_execnz .LBB757_45
	s_branch .LBB757_39
.LBB757_46:
                                        ; implicit-def: $vgpr7
                                        ; implicit-def: $vgpr5
                                        ; implicit-def: $vgpr6
	s_cbranch_execnz .LBB757_52
	s_branch .LBB757_69
.LBB757_47:
	s_and_saveexec_b32 s3, s2
	s_cbranch_execz .LBB757_49
; %bb.48:
	v_mov_b32_e32 v4, 0
	v_and_b32_e32 v3, 1, v2
	s_mov_b32 s5, 0
	s_add_i32 s4, s6, 32
	v_and_b32_e32 v5, 1, v34
	v_cmp_eq_u32_sdwa vcc_lo, v2, v4 src0_sel:BYTE_0 src1_sel:DWORD
	s_lshl_b64 s[4:5], s[4:5], 4
	s_add_u32 s4, s16, s4
	s_addc_u32 s5, s17, s5
	v_cndmask_b32_e32 v2, 0, v35, vcc_lo
	v_cmp_eq_u32_e32 vcc_lo, 1, v3
	v_mov_b32_e32 v3, 2
	v_add_nc_u32_e32 v1, v2, v1
	v_cndmask_b32_e64 v2, v5, 1, vcc_lo
	v_mov_b32_e32 v6, s5
	v_mov_b32_e32 v5, s4
	;;#ASMSTART
	global_store_dwordx4 v[5:6], v[1:4] off	
s_waitcnt vmcnt(0)
	;;#ASMEND
.LBB757_49:
	s_or_b32 exec_lo, exec_lo, s3
	v_cmp_eq_u32_e32 vcc_lo, 0, v0
	s_and_b32 exec_lo, exec_lo, vcc_lo
	s_cbranch_execz .LBB757_51
; %bb.50:
	v_mov_b32_e32 v1, 0
	ds_write_b32 v1, v35 offset:56
	ds_write_b8 v1, v34 offset:60
.LBB757_51:
	s_or_b32 exec_lo, exec_lo, s13
	s_waitcnt lgkmcnt(0)
	v_cndmask_b32_e64 v2, v26, v24, s2
	v_and_b32_e32 v4, 1, v10
	v_mov_b32_e32 v1, 0
	v_cndmask_b32_e64 v5, v25, v23, s2
	s_mov_b32 s2, 0
	v_and_b32_e32 v2, 1, v2
	v_cmp_eq_u32_e32 vcc_lo, 1, v4
	s_mov_b32 s3, 1
	s_barrier
	buffer_gl0_inv
	v_cndmask_b32_e64 v2, v2, 1, vcc_lo
	v_cmp_gt_u64_e32 vcc_lo, s[2:3], v[9:10]
	ds_read_b32 v3, v1 offset:56
	v_cndmask_b32_e32 v4, 0, v5, vcc_lo
	v_cmp_eq_u32_e32 vcc_lo, 0, v0
	v_cndmask_b32_e32 v2, v2, v10, vcc_lo
	v_cndmask_b32_e64 v4, v4, 0, vcc_lo
	v_cmp_eq_u16_sdwa vcc_lo, v2, v1 src0_sel:BYTE_0 src1_sel:DWORD
	s_waitcnt lgkmcnt(0)
	v_cndmask_b32_e32 v1, 0, v3, vcc_lo
	v_add3_u32 v7, v4, v9, v1
	v_cndmask_b32_e64 v1, 0, v7, s0
	v_add_nc_u32_e32 v5, v1, v11
	v_cndmask_b32_e64 v1, 0, v5, s1
	v_add_nc_u32_e32 v6, v1, v13
	s_branch .LBB757_69
.LBB757_52:
	s_cmp_lg_u64 s[24:25], 0
	v_cmp_eq_u32_e32 vcc_lo, 0, v0
	s_cselect_b32 s1, -1, 0
	s_cmp_lg_u64 s[22:23], 0
	v_cmp_ne_u32_e64 s0, 0, v0
	s_cselect_b32 s2, -1, 0
	s_mov_b32 s4, 0
	s_and_b32 s1, s1, s2
	s_and_b32 s1, vcc_lo, s1
	s_and_saveexec_b32 s2, s1
	s_cbranch_execz .LBB757_54
; %bb.53:
	v_mov_b32_e32 v1, 0
	s_mov_b32 s5, 1
	s_clause 0x1
	global_load_dword v2, v1, s[22:23]
	global_load_ubyte v3, v1, s[22:23] offset:4
	v_cmp_gt_u64_e64 s1, s[4:5], v[9:10]
	s_waitcnt vmcnt(1)
	v_cndmask_b32_e64 v4, 0, v2, s1
	v_and_b32_e32 v2, 1, v10
	s_waitcnt vmcnt(0)
	v_and_b32_e32 v3, 1, v3
	v_add_nc_u32_e32 v9, v4, v9
	v_cmp_eq_u64_e64 s1, 0, v[1:2]
	v_cndmask_b32_e64 v10, 1, v3, s1
.LBB757_54:
	s_or_b32 exec_lo, exec_lo, s2
	v_and_b32_e32 v2, 0xff, v22
	v_mov_b32_e32 v1, 0
	s_mov_b32 s5, 1
	v_and_b32_e32 v7, 15, v19
	v_cmp_eq_u64_e64 s1, 0, v[1:2]
	v_cmp_eq_u32_e64 s3, 0, v7
	v_cndmask_b32_e64 v2, 1, v10, s1
	v_cmp_gt_u64_e64 s1, s[4:5], v[11:12]
	v_and_b32_e32 v3, 0xff, v2
	v_and_b32_e32 v6, 1, v2
	v_cndmask_b32_e64 v5, 0, v9, s1
	v_mov_b32_dpp v4, v3 row_shr:1 row_mask:0xf bank_mask:0xf
	v_cmp_eq_u32_e64 s2, 1, v6
	v_add_nc_u32_e32 v5, v5, v11
	v_and_b32_e32 v4, 1, v4
	v_cndmask_b32_e64 v4, v4, 1, s2
	v_cmp_gt_u64_e64 s2, s[4:5], v[13:14]
	v_cmp_eq_u16_e64 s4, 0, v3
	v_cndmask_b32_e64 v8, v4, v3, s3
	v_cndmask_b32_e64 v2, v4, v2, s3
	;; [unrolled: 1-line block ×3, first 2 shown]
	v_mov_b32_dpp v4, v8 row_shr:2 row_mask:0xf bank_mask:0xf
	v_and_b32_e32 v14, 1, v2
	v_add_nc_u32_e32 v6, v6, v13
	v_and_b32_e32 v4, 1, v4
	v_mov_b32_dpp v12, v6 row_shr:1 row_mask:0xf bank_mask:0xf
	v_cndmask_b32_e64 v3, 0, v12, s4
	v_cmp_eq_u32_e64 s4, 1, v14
	v_cndmask_b32_e64 v3, v3, 0, s3
	v_cndmask_b32_e64 v4, v4, 1, s4
	v_cmp_lt_u32_e64 s4, 1, v7
	v_cmp_eq_u16_sdwa s3, v2, v1 src0_sel:BYTE_0 src1_sel:DWORD
	v_add_nc_u32_e32 v3, v3, v6
	v_cndmask_b32_e64 v12, v2, v4, s4
	v_cndmask_b32_e64 v4, v8, v4, s4
	s_and_b32 s3, s4, s3
	v_mov_b32_dpp v2, v3 row_shr:2 row_mask:0xf bank_mask:0xf
	v_and_b32_e32 v14, 1, v12
	v_mov_b32_dpp v8, v4 row_shr:4 row_mask:0xf bank_mask:0xf
	v_cmp_eq_u16_sdwa s4, v12, v1 src0_sel:BYTE_0 src1_sel:DWORD
	v_cndmask_b32_e64 v2, 0, v2, s3
	v_cmp_eq_u32_e64 s3, 1, v14
	v_and_b32_e32 v8, 1, v8
	v_add_nc_u32_e32 v2, v2, v3
	v_cndmask_b32_e64 v8, v8, 1, s3
	v_cmp_lt_u32_e64 s3, 3, v7
	v_cndmask_b32_e64 v3, v12, v8, s3
	v_cndmask_b32_e64 v4, v4, v8, s3
	v_mov_b32_dpp v8, v2 row_shr:4 row_mask:0xf bank_mask:0xf
	s_and_b32 s3, s3, s4
	v_and_b32_e32 v14, 1, v3
	v_mov_b32_dpp v12, v4 row_shr:8 row_mask:0xf bank_mask:0xf
	v_cndmask_b32_e64 v8, 0, v8, s3
	v_cmp_eq_u16_sdwa s4, v3, v1 src0_sel:BYTE_0 src1_sel:DWORD
	v_cmp_eq_u32_e64 s3, 1, v14
	v_and_b32_e32 v12, 1, v12
	v_add_nc_u32_e32 v2, v8, v2
	v_cndmask_b32_e64 v8, v12, 1, s3
	v_cmp_lt_u32_e64 s3, 7, v7
	v_mov_b32_dpp v7, v2 row_shr:8 row_mask:0xf bank_mask:0xf
	v_bfe_i32 v12, v19, 4, 1
	s_and_b32 s4, s3, s4
	v_cndmask_b32_e64 v4, v4, v8, s3
	v_cndmask_b32_e64 v7, 0, v7, s4
	;; [unrolled: 1-line block ×3, first 2 shown]
	s_mov_b32 s4, exec_lo
	v_add_nc_u32_e32 v2, v7, v2
	ds_swizzle_b32 v7, v4 offset:swizzle(BROADCAST,32,15)
	v_and_b32_e32 v14, 1, v3
	v_cmp_eq_u16_sdwa s3, v3, v1 src0_sel:BYTE_0 src1_sel:DWORD
	v_and_b32_e32 v3, 16, v19
	ds_swizzle_b32 v8, v2 offset:swizzle(BROADCAST,32,15)
	s_waitcnt lgkmcnt(1)
	v_and_b32_e32 v7, 1, v7
	s_waitcnt lgkmcnt(0)
	v_cndmask_b32_e64 v1, 0, v8, s3
	v_cmp_eq_u32_e64 s3, 1, v14
	v_and_b32_e32 v1, v12, v1
	v_cndmask_b32_e64 v7, v7, 1, s3
	v_cmp_eq_u32_e64 s3, 0, v3
	v_add_nc_u32_e32 v3, v1, v2
	v_cndmask_b32_e64 v4, v7, v4, s3
	v_cmpx_eq_u32_e64 v0, v21
	s_cbranch_execz .LBB757_56
; %bb.55:
	v_lshlrev_b32_e32 v1, 3, v20
	ds_write_b32 v1, v3
	ds_write_b8 v1, v4 offset:4
.LBB757_56:
	s_or_b32 exec_lo, exec_lo, s4
	s_mov_b32 s4, exec_lo
	s_waitcnt lgkmcnt(0)
	s_barrier
	buffer_gl0_inv
	v_cmpx_gt_u32_e32 8, v0
	s_cbranch_execz .LBB757_62
; %bb.57:
	v_lshlrev_b32_e32 v7, 3, v0
	v_and_b32_e32 v8, 7, v19
	s_mov_b32 s5, exec_lo
	ds_read_b64 v[1:2], v7
	s_waitcnt lgkmcnt(0)
	v_and_b32_e32 v12, 0xffffff00, v2
	v_mov_b32_dpp v15, v1 row_shr:1 row_mask:0xf bank_mask:0xf
	v_mov_b32_dpp v16, v2 row_shr:1 row_mask:0xf bank_mask:0xf
	v_mov_b32_e32 v14, v2
	v_cmpx_ne_u32_e32 0, v8
	s_cbranch_execz .LBB757_59
; %bb.58:
	v_mov_b32_e32 v14, 0
	v_and_b32_e32 v17, 1, v2
	v_and_b32_e32 v16, 1, v16
	v_cmp_eq_u16_sdwa s3, v2, v14 src0_sel:BYTE_0 src1_sel:DWORD
	v_cndmask_b32_e64 v2, 0, v15, s3
	v_cmp_eq_u32_e64 s3, 1, v17
	v_add_nc_u32_e32 v1, v2, v1
	v_cndmask_b32_e64 v15, v16, 1, s3
	v_or_b32_sdwa v14, v12, v15 dst_sel:DWORD dst_unused:UNUSED_PAD src0_sel:DWORD src1_sel:WORD_0
	v_mov_b32_e32 v2, v15
.LBB757_59:
	s_or_b32 exec_lo, exec_lo, s5
	v_mov_b32_dpp v15, v1 row_shr:2 row_mask:0xf bank_mask:0xf
	v_mov_b32_dpp v16, v14 row_shr:2 row_mask:0xf bank_mask:0xf
	s_mov_b32 s5, exec_lo
	v_cmpx_lt_u32_e32 1, v8
	s_cbranch_execz .LBB757_61
; %bb.60:
	v_mov_b32_e32 v14, 0
	v_and_b32_e32 v17, 1, v2
	v_and_b32_e32 v16, 1, v16
	v_cmp_eq_u16_sdwa s3, v2, v14 src0_sel:BYTE_0 src1_sel:DWORD
	v_cndmask_b32_e64 v2, 0, v15, s3
	v_cmp_eq_u32_e64 s3, 1, v17
	v_add_nc_u32_e32 v1, v2, v1
	v_cndmask_b32_e64 v15, v16, 1, s3
	v_or_b32_sdwa v14, v12, v15 dst_sel:DWORD dst_unused:UNUSED_PAD src0_sel:DWORD src1_sel:WORD_0
	v_mov_b32_e32 v2, v15
.LBB757_61:
	s_or_b32 exec_lo, exec_lo, s5
	v_mov_b32_dpp v12, v14 row_shr:4 row_mask:0xf bank_mask:0xf
	v_and_b32_e32 v15, 1, v2
	v_mov_b32_e32 v14, 0
	v_and_b32_e32 v12, 1, v12
	v_cmp_eq_u32_e64 s3, 1, v15
	v_cmp_eq_u16_sdwa s5, v2, v14 src0_sel:BYTE_0 src1_sel:DWORD
	v_cndmask_b32_e64 v12, v12, 1, s3
	v_cmp_lt_u32_e64 s3, 3, v8
	v_mov_b32_dpp v8, v1 row_shr:4 row_mask:0xf bank_mask:0xf
	v_cndmask_b32_e64 v2, v2, v12, s3
	s_and_b32 s3, s3, s5
	v_cndmask_b32_e64 v8, 0, v8, s3
	v_add_nc_u32_e32 v1, v8, v1
	ds_write_b32 v7, v1
	ds_write_b8 v7, v2 offset:4
.LBB757_62:
	s_or_b32 exec_lo, exec_lo, s4
	v_mov_b32_e32 v1, 0
	s_mov_b32 s4, exec_lo
	s_waitcnt lgkmcnt(0)
	s_barrier
	buffer_gl0_inv
	v_cmpx_lt_u32_e32 31, v0
	s_cbranch_execz .LBB757_64
; %bb.63:
	v_lshl_add_u32 v1, v20, 3, -8
	v_cmp_eq_u32_e64 s3, 0, v4
	ds_read_b32 v1, v1
	s_waitcnt lgkmcnt(0)
	v_cndmask_b32_e64 v2, 0, v1, s3
	v_add_nc_u32_e32 v3, v2, v3
.LBB757_64:
	s_or_b32 exec_lo, exec_lo, s4
	v_add_nc_u32_e32 v2, -1, v19
	s_mov_b32 s4, 0
	v_cmp_gt_i32_e64 s3, 0, v2
	v_cndmask_b32_e64 v2, v2, v19, s3
	v_lshlrev_b32_e32 v2, 2, v2
	ds_bpermute_b32 v2, v2, v3
	s_and_saveexec_b32 s3, s0
	s_cbranch_execz .LBB757_66
; %bb.65:
	v_cmp_eq_u32_e64 s0, 0, v19
	s_mov_b32 s5, 1
	;;#ASMSTART
	;;#ASMEND
	s_waitcnt lgkmcnt(0)
	v_cndmask_b32_e64 v1, v2, v1, s0
	v_cmp_gt_u64_e64 s0, s[4:5], v[9:10]
	v_cndmask_b32_e64 v1, 0, v1, s0
	v_add_nc_u32_e32 v9, v1, v9
	v_cndmask_b32_e64 v1, 0, v9, s1
	v_add_nc_u32_e32 v5, v1, v11
	v_cndmask_b32_e64 v1, 0, v5, s2
	v_add_nc_u32_e32 v6, v1, v13
.LBB757_66:
	s_or_b32 exec_lo, exec_lo, s3
	s_and_saveexec_b32 s0, vcc_lo
	s_cbranch_execz .LBB757_68
; %bb.67:
	v_mov_b32_e32 v4, 0
	s_add_u32 s2, s16, 0x200
	s_addc_u32 s3, s17, 0
	v_mov_b32_e32 v3, 2
	v_mov_b32_e32 v8, s3
	ds_read_b32 v1, v4 offset:56
	s_waitcnt lgkmcnt(1)
	ds_read_u8 v2, v4 offset:60
	v_mov_b32_e32 v7, s2
	s_waitcnt lgkmcnt(0)
	;;#ASMSTART
	global_store_dwordx4 v[7:8], v[1:4] off	
s_waitcnt vmcnt(0)
	;;#ASMEND
.LBB757_68:
	s_or_b32 exec_lo, exec_lo, s0
	v_mov_b32_e32 v7, v9
.LBB757_69:
	s_add_u32 s0, s14, s10
	v_mov_b32_e32 v3, 0
	s_addc_u32 s1, s15, s11
	s_add_u32 s0, s0, s8
	s_addc_u32 s1, s1, s9
	s_and_b32 vcc_lo, exec_lo, s7
	s_cbranch_vccz .LBB757_81
; %bb.70:
	v_mul_u32_u24_e32 v1, 3, v0
	v_mov_b32_e32 v4, 0
	s_waitcnt lgkmcnt(0)
	v_mov_b32_e32 v2, 0
	s_add_i32 s12, s12, s18
	s_mov_b32 s2, exec_lo
	v_cmpx_gt_u32_e64 s12, v1
	s_cbranch_execz .LBB757_76
; %bb.71:
	v_add_nc_u32_e32 v3, 1, v1
	v_mov_b32_e32 v2, 0
	v_mov_b32_e32 v4, 0
	s_mov_b32 s3, exec_lo
	v_cmpx_gt_u32_e64 s12, v3
	s_cbranch_execz .LBB757_75
; %bb.72:
	v_add_nc_u32_e32 v2, 2, v1
	v_cmp_gt_u32_e32 vcc_lo, s12, v2
	v_mov_b32_e32 v2, 0
	s_and_saveexec_b32 s4, vcc_lo
; %bb.73:
	v_mov_b32_e32 v2, v6
; %bb.74:
	s_or_b32 exec_lo, exec_lo, s4
	v_mov_b32_e32 v4, v5
.LBB757_75:
	s_or_b32 exec_lo, exec_lo, s3
	v_mov_b32_e32 v3, v7
.LBB757_76:
	s_or_b32 exec_lo, exec_lo, s2
	v_lshlrev_b32_e32 v8, 2, v1
	v_lshlrev_b32_e32 v9, 3, v0
	s_barrier
	buffer_gl0_inv
	ds_write2_b32 v8, v3, v4 offset1:1
	v_sub_nc_u32_e32 v1, v8, v9
	ds_write_b32 v8, v2 offset:8
	s_waitcnt lgkmcnt(0)
	s_barrier
	buffer_gl0_inv
	ds_read2st64_b32 v[1:2], v1 offset0:4 offset1:8
	v_add_co_u32 v3, s2, s0, v18
	v_add_co_ci_u32_e64 v4, null, s1, 0, s2
	s_mov_b32 s2, exec_lo
	v_cmpx_gt_u32_e64 s12, v0
	s_cbranch_execz .LBB757_78
; %bb.77:
	v_sub_nc_u32_e32 v9, 0, v9
	v_add_nc_u32_e32 v8, v8, v9
	ds_read_b32 v8, v8
	s_waitcnt lgkmcnt(0)
	flat_store_dword v[3:4], v8
.LBB757_78:
	s_or_b32 exec_lo, exec_lo, s2
	v_or_b32_e32 v8, 0x100, v0
	s_mov_b32 s2, exec_lo
	v_cmpx_gt_u32_e64 s12, v8
	s_cbranch_execz .LBB757_80
; %bb.79:
	s_waitcnt lgkmcnt(0)
	flat_store_dword v[3:4], v1 offset:1024
.LBB757_80:
	s_or_b32 exec_lo, exec_lo, s2
	s_waitcnt lgkmcnt(0)
	v_or_b32_e32 v1, 0x200, v0
	v_cmp_gt_u32_e64 s2, s12, v1
	s_branch .LBB757_83
.LBB757_81:
	s_mov_b32 s2, 0
                                        ; implicit-def: $vgpr2
	s_cbranch_execz .LBB757_83
; %bb.82:
	v_mul_u32_u24_e32 v1, 12, v0
	s_waitcnt lgkmcnt(0)
	v_lshlrev_b32_e32 v2, 3, v0
	s_waitcnt_vscnt null, 0x0
	s_barrier
	buffer_gl0_inv
	ds_write2_b32 v1, v7, v5 offset1:1
	v_sub_nc_u32_e32 v2, v1, v2
	ds_write_b32 v1, v6 offset:8
	s_waitcnt lgkmcnt(0)
	s_barrier
	buffer_gl0_inv
	ds_read2st64_b32 v[3:4], v2 offset1:4
	ds_read_b32 v2, v2 offset:2048
	v_add_co_u32 v5, s3, s0, v18
	v_add_co_ci_u32_e64 v6, null, s1, 0, s3
	s_or_b32 s2, s2, exec_lo
	s_waitcnt lgkmcnt(1)
	flat_store_dword v[5:6], v3
	flat_store_dword v[5:6], v4 offset:1024
.LBB757_83:
	s_and_saveexec_b32 s3, s2
	s_cbranch_execnz .LBB757_85
; %bb.84:
	s_endpgm
.LBB757_85:
	v_lshlrev_b32_e32 v0, 2, v0
	v_add_co_u32 v0, s0, s0, v0
	v_add_co_ci_u32_e64 v1, null, s1, 0, s0
	v_add_co_u32 v0, vcc_lo, 0x800, v0
	v_add_co_ci_u32_e64 v1, null, 0, v1, vcc_lo
	s_waitcnt lgkmcnt(0)
	flat_store_dword v[0:1], v2
	s_endpgm
.LBB757_86:
	v_add_co_u32 v2, s20, s4, v9
	v_add_co_ci_u32_e64 v3, null, s5, 0, s20
	v_mov_b32_e32 v11, v1
	v_mov_b32_e32 v12, v1
	flat_load_dword v10, v[2:3]
	s_waitcnt vmcnt(0) lgkmcnt(0)
	v_mov_b32_e32 v1, v10
	v_mov_b32_e32 v2, v11
	;; [unrolled: 1-line block ×3, first 2 shown]
	s_or_b32 exec_lo, exec_lo, s19
	s_and_saveexec_b32 s19, s0
	s_cbranch_execz .LBB757_9
.LBB757_87:
	v_add_co_u32 v10, s0, s4, v9
	v_add_co_ci_u32_e64 v11, null, s5, 0, s0
	flat_load_dword v2, v[10:11] offset:1024
	s_or_b32 exec_lo, exec_lo, s19
	v_mul_u32_u24_e32 v13, 3, v0
	s_and_saveexec_b32 s0, s1
	s_cbranch_execnz .LBB757_10
	s_branch .LBB757_11
	.section	.rodata,"a",@progbits
	.p2align	6, 0x0
	.amdhsa_kernel _ZN7rocprim17ROCPRIM_400000_NS6detail17trampoline_kernelINS0_14default_configENS1_27scan_by_key_config_selectorIiiEEZZNS1_16scan_by_key_implILNS1_25lookback_scan_determinismE0ELb0ES3_N6thrust23THRUST_200600_302600_NS6detail15normal_iteratorINS9_10device_ptrIiEEEESE_SE_iNS9_4plusIiEE19head_flag_predicateiEE10hipError_tPvRmT2_T3_T4_T5_mT6_T7_P12ihipStream_tbENKUlT_T0_E_clISt17integral_constantIbLb0EESY_EEDaST_SU_EUlST_E_NS1_11comp_targetILNS1_3genE8ELNS1_11target_archE1030ELNS1_3gpuE2ELNS1_3repE0EEENS1_30default_config_static_selectorELNS0_4arch9wavefront6targetE0EEEvT1_
		.amdhsa_group_segment_fixed_size 5120
		.amdhsa_private_segment_fixed_size 0
		.amdhsa_kernarg_size 112
		.amdhsa_user_sgpr_count 6
		.amdhsa_user_sgpr_private_segment_buffer 1
		.amdhsa_user_sgpr_dispatch_ptr 0
		.amdhsa_user_sgpr_queue_ptr 0
		.amdhsa_user_sgpr_kernarg_segment_ptr 1
		.amdhsa_user_sgpr_dispatch_id 0
		.amdhsa_user_sgpr_flat_scratch_init 0
		.amdhsa_user_sgpr_private_segment_size 0
		.amdhsa_wavefront_size32 1
		.amdhsa_uses_dynamic_stack 0
		.amdhsa_system_sgpr_private_segment_wavefront_offset 0
		.amdhsa_system_sgpr_workgroup_id_x 1
		.amdhsa_system_sgpr_workgroup_id_y 0
		.amdhsa_system_sgpr_workgroup_id_z 0
		.amdhsa_system_sgpr_workgroup_info 0
		.amdhsa_system_vgpr_workitem_id 0
		.amdhsa_next_free_vgpr 41
		.amdhsa_next_free_sgpr 26
		.amdhsa_reserve_vcc 1
		.amdhsa_reserve_flat_scratch 1
		.amdhsa_float_round_mode_32 0
		.amdhsa_float_round_mode_16_64 0
		.amdhsa_float_denorm_mode_32 3
		.amdhsa_float_denorm_mode_16_64 3
		.amdhsa_dx10_clamp 1
		.amdhsa_ieee_mode 1
		.amdhsa_fp16_overflow 0
		.amdhsa_workgroup_processor_mode 1
		.amdhsa_memory_ordered 1
		.amdhsa_forward_progress 1
		.amdhsa_shared_vgpr_count 0
		.amdhsa_exception_fp_ieee_invalid_op 0
		.amdhsa_exception_fp_denorm_src 0
		.amdhsa_exception_fp_ieee_div_zero 0
		.amdhsa_exception_fp_ieee_overflow 0
		.amdhsa_exception_fp_ieee_underflow 0
		.amdhsa_exception_fp_ieee_inexact 0
		.amdhsa_exception_int_div_zero 0
	.end_amdhsa_kernel
	.section	.text._ZN7rocprim17ROCPRIM_400000_NS6detail17trampoline_kernelINS0_14default_configENS1_27scan_by_key_config_selectorIiiEEZZNS1_16scan_by_key_implILNS1_25lookback_scan_determinismE0ELb0ES3_N6thrust23THRUST_200600_302600_NS6detail15normal_iteratorINS9_10device_ptrIiEEEESE_SE_iNS9_4plusIiEE19head_flag_predicateiEE10hipError_tPvRmT2_T3_T4_T5_mT6_T7_P12ihipStream_tbENKUlT_T0_E_clISt17integral_constantIbLb0EESY_EEDaST_SU_EUlST_E_NS1_11comp_targetILNS1_3genE8ELNS1_11target_archE1030ELNS1_3gpuE2ELNS1_3repE0EEENS1_30default_config_static_selectorELNS0_4arch9wavefront6targetE0EEEvT1_,"axG",@progbits,_ZN7rocprim17ROCPRIM_400000_NS6detail17trampoline_kernelINS0_14default_configENS1_27scan_by_key_config_selectorIiiEEZZNS1_16scan_by_key_implILNS1_25lookback_scan_determinismE0ELb0ES3_N6thrust23THRUST_200600_302600_NS6detail15normal_iteratorINS9_10device_ptrIiEEEESE_SE_iNS9_4plusIiEE19head_flag_predicateiEE10hipError_tPvRmT2_T3_T4_T5_mT6_T7_P12ihipStream_tbENKUlT_T0_E_clISt17integral_constantIbLb0EESY_EEDaST_SU_EUlST_E_NS1_11comp_targetILNS1_3genE8ELNS1_11target_archE1030ELNS1_3gpuE2ELNS1_3repE0EEENS1_30default_config_static_selectorELNS0_4arch9wavefront6targetE0EEEvT1_,comdat
.Lfunc_end757:
	.size	_ZN7rocprim17ROCPRIM_400000_NS6detail17trampoline_kernelINS0_14default_configENS1_27scan_by_key_config_selectorIiiEEZZNS1_16scan_by_key_implILNS1_25lookback_scan_determinismE0ELb0ES3_N6thrust23THRUST_200600_302600_NS6detail15normal_iteratorINS9_10device_ptrIiEEEESE_SE_iNS9_4plusIiEE19head_flag_predicateiEE10hipError_tPvRmT2_T3_T4_T5_mT6_T7_P12ihipStream_tbENKUlT_T0_E_clISt17integral_constantIbLb0EESY_EEDaST_SU_EUlST_E_NS1_11comp_targetILNS1_3genE8ELNS1_11target_archE1030ELNS1_3gpuE2ELNS1_3repE0EEENS1_30default_config_static_selectorELNS0_4arch9wavefront6targetE0EEEvT1_, .Lfunc_end757-_ZN7rocprim17ROCPRIM_400000_NS6detail17trampoline_kernelINS0_14default_configENS1_27scan_by_key_config_selectorIiiEEZZNS1_16scan_by_key_implILNS1_25lookback_scan_determinismE0ELb0ES3_N6thrust23THRUST_200600_302600_NS6detail15normal_iteratorINS9_10device_ptrIiEEEESE_SE_iNS9_4plusIiEE19head_flag_predicateiEE10hipError_tPvRmT2_T3_T4_T5_mT6_T7_P12ihipStream_tbENKUlT_T0_E_clISt17integral_constantIbLb0EESY_EEDaST_SU_EUlST_E_NS1_11comp_targetILNS1_3genE8ELNS1_11target_archE1030ELNS1_3gpuE2ELNS1_3repE0EEENS1_30default_config_static_selectorELNS0_4arch9wavefront6targetE0EEEvT1_
                                        ; -- End function
	.set _ZN7rocprim17ROCPRIM_400000_NS6detail17trampoline_kernelINS0_14default_configENS1_27scan_by_key_config_selectorIiiEEZZNS1_16scan_by_key_implILNS1_25lookback_scan_determinismE0ELb0ES3_N6thrust23THRUST_200600_302600_NS6detail15normal_iteratorINS9_10device_ptrIiEEEESE_SE_iNS9_4plusIiEE19head_flag_predicateiEE10hipError_tPvRmT2_T3_T4_T5_mT6_T7_P12ihipStream_tbENKUlT_T0_E_clISt17integral_constantIbLb0EESY_EEDaST_SU_EUlST_E_NS1_11comp_targetILNS1_3genE8ELNS1_11target_archE1030ELNS1_3gpuE2ELNS1_3repE0EEENS1_30default_config_static_selectorELNS0_4arch9wavefront6targetE0EEEvT1_.num_vgpr, 41
	.set _ZN7rocprim17ROCPRIM_400000_NS6detail17trampoline_kernelINS0_14default_configENS1_27scan_by_key_config_selectorIiiEEZZNS1_16scan_by_key_implILNS1_25lookback_scan_determinismE0ELb0ES3_N6thrust23THRUST_200600_302600_NS6detail15normal_iteratorINS9_10device_ptrIiEEEESE_SE_iNS9_4plusIiEE19head_flag_predicateiEE10hipError_tPvRmT2_T3_T4_T5_mT6_T7_P12ihipStream_tbENKUlT_T0_E_clISt17integral_constantIbLb0EESY_EEDaST_SU_EUlST_E_NS1_11comp_targetILNS1_3genE8ELNS1_11target_archE1030ELNS1_3gpuE2ELNS1_3repE0EEENS1_30default_config_static_selectorELNS0_4arch9wavefront6targetE0EEEvT1_.num_agpr, 0
	.set _ZN7rocprim17ROCPRIM_400000_NS6detail17trampoline_kernelINS0_14default_configENS1_27scan_by_key_config_selectorIiiEEZZNS1_16scan_by_key_implILNS1_25lookback_scan_determinismE0ELb0ES3_N6thrust23THRUST_200600_302600_NS6detail15normal_iteratorINS9_10device_ptrIiEEEESE_SE_iNS9_4plusIiEE19head_flag_predicateiEE10hipError_tPvRmT2_T3_T4_T5_mT6_T7_P12ihipStream_tbENKUlT_T0_E_clISt17integral_constantIbLb0EESY_EEDaST_SU_EUlST_E_NS1_11comp_targetILNS1_3genE8ELNS1_11target_archE1030ELNS1_3gpuE2ELNS1_3repE0EEENS1_30default_config_static_selectorELNS0_4arch9wavefront6targetE0EEEvT1_.numbered_sgpr, 26
	.set _ZN7rocprim17ROCPRIM_400000_NS6detail17trampoline_kernelINS0_14default_configENS1_27scan_by_key_config_selectorIiiEEZZNS1_16scan_by_key_implILNS1_25lookback_scan_determinismE0ELb0ES3_N6thrust23THRUST_200600_302600_NS6detail15normal_iteratorINS9_10device_ptrIiEEEESE_SE_iNS9_4plusIiEE19head_flag_predicateiEE10hipError_tPvRmT2_T3_T4_T5_mT6_T7_P12ihipStream_tbENKUlT_T0_E_clISt17integral_constantIbLb0EESY_EEDaST_SU_EUlST_E_NS1_11comp_targetILNS1_3genE8ELNS1_11target_archE1030ELNS1_3gpuE2ELNS1_3repE0EEENS1_30default_config_static_selectorELNS0_4arch9wavefront6targetE0EEEvT1_.num_named_barrier, 0
	.set _ZN7rocprim17ROCPRIM_400000_NS6detail17trampoline_kernelINS0_14default_configENS1_27scan_by_key_config_selectorIiiEEZZNS1_16scan_by_key_implILNS1_25lookback_scan_determinismE0ELb0ES3_N6thrust23THRUST_200600_302600_NS6detail15normal_iteratorINS9_10device_ptrIiEEEESE_SE_iNS9_4plusIiEE19head_flag_predicateiEE10hipError_tPvRmT2_T3_T4_T5_mT6_T7_P12ihipStream_tbENKUlT_T0_E_clISt17integral_constantIbLb0EESY_EEDaST_SU_EUlST_E_NS1_11comp_targetILNS1_3genE8ELNS1_11target_archE1030ELNS1_3gpuE2ELNS1_3repE0EEENS1_30default_config_static_selectorELNS0_4arch9wavefront6targetE0EEEvT1_.private_seg_size, 0
	.set _ZN7rocprim17ROCPRIM_400000_NS6detail17trampoline_kernelINS0_14default_configENS1_27scan_by_key_config_selectorIiiEEZZNS1_16scan_by_key_implILNS1_25lookback_scan_determinismE0ELb0ES3_N6thrust23THRUST_200600_302600_NS6detail15normal_iteratorINS9_10device_ptrIiEEEESE_SE_iNS9_4plusIiEE19head_flag_predicateiEE10hipError_tPvRmT2_T3_T4_T5_mT6_T7_P12ihipStream_tbENKUlT_T0_E_clISt17integral_constantIbLb0EESY_EEDaST_SU_EUlST_E_NS1_11comp_targetILNS1_3genE8ELNS1_11target_archE1030ELNS1_3gpuE2ELNS1_3repE0EEENS1_30default_config_static_selectorELNS0_4arch9wavefront6targetE0EEEvT1_.uses_vcc, 1
	.set _ZN7rocprim17ROCPRIM_400000_NS6detail17trampoline_kernelINS0_14default_configENS1_27scan_by_key_config_selectorIiiEEZZNS1_16scan_by_key_implILNS1_25lookback_scan_determinismE0ELb0ES3_N6thrust23THRUST_200600_302600_NS6detail15normal_iteratorINS9_10device_ptrIiEEEESE_SE_iNS9_4plusIiEE19head_flag_predicateiEE10hipError_tPvRmT2_T3_T4_T5_mT6_T7_P12ihipStream_tbENKUlT_T0_E_clISt17integral_constantIbLb0EESY_EEDaST_SU_EUlST_E_NS1_11comp_targetILNS1_3genE8ELNS1_11target_archE1030ELNS1_3gpuE2ELNS1_3repE0EEENS1_30default_config_static_selectorELNS0_4arch9wavefront6targetE0EEEvT1_.uses_flat_scratch, 1
	.set _ZN7rocprim17ROCPRIM_400000_NS6detail17trampoline_kernelINS0_14default_configENS1_27scan_by_key_config_selectorIiiEEZZNS1_16scan_by_key_implILNS1_25lookback_scan_determinismE0ELb0ES3_N6thrust23THRUST_200600_302600_NS6detail15normal_iteratorINS9_10device_ptrIiEEEESE_SE_iNS9_4plusIiEE19head_flag_predicateiEE10hipError_tPvRmT2_T3_T4_T5_mT6_T7_P12ihipStream_tbENKUlT_T0_E_clISt17integral_constantIbLb0EESY_EEDaST_SU_EUlST_E_NS1_11comp_targetILNS1_3genE8ELNS1_11target_archE1030ELNS1_3gpuE2ELNS1_3repE0EEENS1_30default_config_static_selectorELNS0_4arch9wavefront6targetE0EEEvT1_.has_dyn_sized_stack, 0
	.set _ZN7rocprim17ROCPRIM_400000_NS6detail17trampoline_kernelINS0_14default_configENS1_27scan_by_key_config_selectorIiiEEZZNS1_16scan_by_key_implILNS1_25lookback_scan_determinismE0ELb0ES3_N6thrust23THRUST_200600_302600_NS6detail15normal_iteratorINS9_10device_ptrIiEEEESE_SE_iNS9_4plusIiEE19head_flag_predicateiEE10hipError_tPvRmT2_T3_T4_T5_mT6_T7_P12ihipStream_tbENKUlT_T0_E_clISt17integral_constantIbLb0EESY_EEDaST_SU_EUlST_E_NS1_11comp_targetILNS1_3genE8ELNS1_11target_archE1030ELNS1_3gpuE2ELNS1_3repE0EEENS1_30default_config_static_selectorELNS0_4arch9wavefront6targetE0EEEvT1_.has_recursion, 0
	.set _ZN7rocprim17ROCPRIM_400000_NS6detail17trampoline_kernelINS0_14default_configENS1_27scan_by_key_config_selectorIiiEEZZNS1_16scan_by_key_implILNS1_25lookback_scan_determinismE0ELb0ES3_N6thrust23THRUST_200600_302600_NS6detail15normal_iteratorINS9_10device_ptrIiEEEESE_SE_iNS9_4plusIiEE19head_flag_predicateiEE10hipError_tPvRmT2_T3_T4_T5_mT6_T7_P12ihipStream_tbENKUlT_T0_E_clISt17integral_constantIbLb0EESY_EEDaST_SU_EUlST_E_NS1_11comp_targetILNS1_3genE8ELNS1_11target_archE1030ELNS1_3gpuE2ELNS1_3repE0EEENS1_30default_config_static_selectorELNS0_4arch9wavefront6targetE0EEEvT1_.has_indirect_call, 0
	.section	.AMDGPU.csdata,"",@progbits
; Kernel info:
; codeLenInByte = 6008
; TotalNumSgprs: 28
; NumVgprs: 41
; ScratchSize: 0
; MemoryBound: 0
; FloatMode: 240
; IeeeMode: 1
; LDSByteSize: 5120 bytes/workgroup (compile time only)
; SGPRBlocks: 0
; VGPRBlocks: 5
; NumSGPRsForWavesPerEU: 28
; NumVGPRsForWavesPerEU: 41
; Occupancy: 16
; WaveLimiterHint : 1
; COMPUTE_PGM_RSRC2:SCRATCH_EN: 0
; COMPUTE_PGM_RSRC2:USER_SGPR: 6
; COMPUTE_PGM_RSRC2:TRAP_HANDLER: 0
; COMPUTE_PGM_RSRC2:TGID_X_EN: 1
; COMPUTE_PGM_RSRC2:TGID_Y_EN: 0
; COMPUTE_PGM_RSRC2:TGID_Z_EN: 0
; COMPUTE_PGM_RSRC2:TIDIG_COMP_CNT: 0
	.section	.text._ZN7rocprim17ROCPRIM_400000_NS6detail17trampoline_kernelINS0_14default_configENS1_27scan_by_key_config_selectorIiiEEZZNS1_16scan_by_key_implILNS1_25lookback_scan_determinismE0ELb0ES3_N6thrust23THRUST_200600_302600_NS6detail15normal_iteratorINS9_10device_ptrIiEEEESE_SE_iNS9_4plusIiEE19head_flag_predicateiEE10hipError_tPvRmT2_T3_T4_T5_mT6_T7_P12ihipStream_tbENKUlT_T0_E_clISt17integral_constantIbLb1EESY_EEDaST_SU_EUlST_E_NS1_11comp_targetILNS1_3genE0ELNS1_11target_archE4294967295ELNS1_3gpuE0ELNS1_3repE0EEENS1_30default_config_static_selectorELNS0_4arch9wavefront6targetE0EEEvT1_,"axG",@progbits,_ZN7rocprim17ROCPRIM_400000_NS6detail17trampoline_kernelINS0_14default_configENS1_27scan_by_key_config_selectorIiiEEZZNS1_16scan_by_key_implILNS1_25lookback_scan_determinismE0ELb0ES3_N6thrust23THRUST_200600_302600_NS6detail15normal_iteratorINS9_10device_ptrIiEEEESE_SE_iNS9_4plusIiEE19head_flag_predicateiEE10hipError_tPvRmT2_T3_T4_T5_mT6_T7_P12ihipStream_tbENKUlT_T0_E_clISt17integral_constantIbLb1EESY_EEDaST_SU_EUlST_E_NS1_11comp_targetILNS1_3genE0ELNS1_11target_archE4294967295ELNS1_3gpuE0ELNS1_3repE0EEENS1_30default_config_static_selectorELNS0_4arch9wavefront6targetE0EEEvT1_,comdat
	.protected	_ZN7rocprim17ROCPRIM_400000_NS6detail17trampoline_kernelINS0_14default_configENS1_27scan_by_key_config_selectorIiiEEZZNS1_16scan_by_key_implILNS1_25lookback_scan_determinismE0ELb0ES3_N6thrust23THRUST_200600_302600_NS6detail15normal_iteratorINS9_10device_ptrIiEEEESE_SE_iNS9_4plusIiEE19head_flag_predicateiEE10hipError_tPvRmT2_T3_T4_T5_mT6_T7_P12ihipStream_tbENKUlT_T0_E_clISt17integral_constantIbLb1EESY_EEDaST_SU_EUlST_E_NS1_11comp_targetILNS1_3genE0ELNS1_11target_archE4294967295ELNS1_3gpuE0ELNS1_3repE0EEENS1_30default_config_static_selectorELNS0_4arch9wavefront6targetE0EEEvT1_ ; -- Begin function _ZN7rocprim17ROCPRIM_400000_NS6detail17trampoline_kernelINS0_14default_configENS1_27scan_by_key_config_selectorIiiEEZZNS1_16scan_by_key_implILNS1_25lookback_scan_determinismE0ELb0ES3_N6thrust23THRUST_200600_302600_NS6detail15normal_iteratorINS9_10device_ptrIiEEEESE_SE_iNS9_4plusIiEE19head_flag_predicateiEE10hipError_tPvRmT2_T3_T4_T5_mT6_T7_P12ihipStream_tbENKUlT_T0_E_clISt17integral_constantIbLb1EESY_EEDaST_SU_EUlST_E_NS1_11comp_targetILNS1_3genE0ELNS1_11target_archE4294967295ELNS1_3gpuE0ELNS1_3repE0EEENS1_30default_config_static_selectorELNS0_4arch9wavefront6targetE0EEEvT1_
	.globl	_ZN7rocprim17ROCPRIM_400000_NS6detail17trampoline_kernelINS0_14default_configENS1_27scan_by_key_config_selectorIiiEEZZNS1_16scan_by_key_implILNS1_25lookback_scan_determinismE0ELb0ES3_N6thrust23THRUST_200600_302600_NS6detail15normal_iteratorINS9_10device_ptrIiEEEESE_SE_iNS9_4plusIiEE19head_flag_predicateiEE10hipError_tPvRmT2_T3_T4_T5_mT6_T7_P12ihipStream_tbENKUlT_T0_E_clISt17integral_constantIbLb1EESY_EEDaST_SU_EUlST_E_NS1_11comp_targetILNS1_3genE0ELNS1_11target_archE4294967295ELNS1_3gpuE0ELNS1_3repE0EEENS1_30default_config_static_selectorELNS0_4arch9wavefront6targetE0EEEvT1_
	.p2align	8
	.type	_ZN7rocprim17ROCPRIM_400000_NS6detail17trampoline_kernelINS0_14default_configENS1_27scan_by_key_config_selectorIiiEEZZNS1_16scan_by_key_implILNS1_25lookback_scan_determinismE0ELb0ES3_N6thrust23THRUST_200600_302600_NS6detail15normal_iteratorINS9_10device_ptrIiEEEESE_SE_iNS9_4plusIiEE19head_flag_predicateiEE10hipError_tPvRmT2_T3_T4_T5_mT6_T7_P12ihipStream_tbENKUlT_T0_E_clISt17integral_constantIbLb1EESY_EEDaST_SU_EUlST_E_NS1_11comp_targetILNS1_3genE0ELNS1_11target_archE4294967295ELNS1_3gpuE0ELNS1_3repE0EEENS1_30default_config_static_selectorELNS0_4arch9wavefront6targetE0EEEvT1_,@function
_ZN7rocprim17ROCPRIM_400000_NS6detail17trampoline_kernelINS0_14default_configENS1_27scan_by_key_config_selectorIiiEEZZNS1_16scan_by_key_implILNS1_25lookback_scan_determinismE0ELb0ES3_N6thrust23THRUST_200600_302600_NS6detail15normal_iteratorINS9_10device_ptrIiEEEESE_SE_iNS9_4plusIiEE19head_flag_predicateiEE10hipError_tPvRmT2_T3_T4_T5_mT6_T7_P12ihipStream_tbENKUlT_T0_E_clISt17integral_constantIbLb1EESY_EEDaST_SU_EUlST_E_NS1_11comp_targetILNS1_3genE0ELNS1_11target_archE4294967295ELNS1_3gpuE0ELNS1_3repE0EEENS1_30default_config_static_selectorELNS0_4arch9wavefront6targetE0EEEvT1_: ; @_ZN7rocprim17ROCPRIM_400000_NS6detail17trampoline_kernelINS0_14default_configENS1_27scan_by_key_config_selectorIiiEEZZNS1_16scan_by_key_implILNS1_25lookback_scan_determinismE0ELb0ES3_N6thrust23THRUST_200600_302600_NS6detail15normal_iteratorINS9_10device_ptrIiEEEESE_SE_iNS9_4plusIiEE19head_flag_predicateiEE10hipError_tPvRmT2_T3_T4_T5_mT6_T7_P12ihipStream_tbENKUlT_T0_E_clISt17integral_constantIbLb1EESY_EEDaST_SU_EUlST_E_NS1_11comp_targetILNS1_3genE0ELNS1_11target_archE4294967295ELNS1_3gpuE0ELNS1_3repE0EEENS1_30default_config_static_selectorELNS0_4arch9wavefront6targetE0EEEvT1_
; %bb.0:
	.section	.rodata,"a",@progbits
	.p2align	6, 0x0
	.amdhsa_kernel _ZN7rocprim17ROCPRIM_400000_NS6detail17trampoline_kernelINS0_14default_configENS1_27scan_by_key_config_selectorIiiEEZZNS1_16scan_by_key_implILNS1_25lookback_scan_determinismE0ELb0ES3_N6thrust23THRUST_200600_302600_NS6detail15normal_iteratorINS9_10device_ptrIiEEEESE_SE_iNS9_4plusIiEE19head_flag_predicateiEE10hipError_tPvRmT2_T3_T4_T5_mT6_T7_P12ihipStream_tbENKUlT_T0_E_clISt17integral_constantIbLb1EESY_EEDaST_SU_EUlST_E_NS1_11comp_targetILNS1_3genE0ELNS1_11target_archE4294967295ELNS1_3gpuE0ELNS1_3repE0EEENS1_30default_config_static_selectorELNS0_4arch9wavefront6targetE0EEEvT1_
		.amdhsa_group_segment_fixed_size 0
		.amdhsa_private_segment_fixed_size 0
		.amdhsa_kernarg_size 112
		.amdhsa_user_sgpr_count 6
		.amdhsa_user_sgpr_private_segment_buffer 1
		.amdhsa_user_sgpr_dispatch_ptr 0
		.amdhsa_user_sgpr_queue_ptr 0
		.amdhsa_user_sgpr_kernarg_segment_ptr 1
		.amdhsa_user_sgpr_dispatch_id 0
		.amdhsa_user_sgpr_flat_scratch_init 0
		.amdhsa_user_sgpr_private_segment_size 0
		.amdhsa_wavefront_size32 1
		.amdhsa_uses_dynamic_stack 0
		.amdhsa_system_sgpr_private_segment_wavefront_offset 0
		.amdhsa_system_sgpr_workgroup_id_x 1
		.amdhsa_system_sgpr_workgroup_id_y 0
		.amdhsa_system_sgpr_workgroup_id_z 0
		.amdhsa_system_sgpr_workgroup_info 0
		.amdhsa_system_vgpr_workitem_id 0
		.amdhsa_next_free_vgpr 1
		.amdhsa_next_free_sgpr 1
		.amdhsa_reserve_vcc 0
		.amdhsa_reserve_flat_scratch 0
		.amdhsa_float_round_mode_32 0
		.amdhsa_float_round_mode_16_64 0
		.amdhsa_float_denorm_mode_32 3
		.amdhsa_float_denorm_mode_16_64 3
		.amdhsa_dx10_clamp 1
		.amdhsa_ieee_mode 1
		.amdhsa_fp16_overflow 0
		.amdhsa_workgroup_processor_mode 1
		.amdhsa_memory_ordered 1
		.amdhsa_forward_progress 1
		.amdhsa_shared_vgpr_count 0
		.amdhsa_exception_fp_ieee_invalid_op 0
		.amdhsa_exception_fp_denorm_src 0
		.amdhsa_exception_fp_ieee_div_zero 0
		.amdhsa_exception_fp_ieee_overflow 0
		.amdhsa_exception_fp_ieee_underflow 0
		.amdhsa_exception_fp_ieee_inexact 0
		.amdhsa_exception_int_div_zero 0
	.end_amdhsa_kernel
	.section	.text._ZN7rocprim17ROCPRIM_400000_NS6detail17trampoline_kernelINS0_14default_configENS1_27scan_by_key_config_selectorIiiEEZZNS1_16scan_by_key_implILNS1_25lookback_scan_determinismE0ELb0ES3_N6thrust23THRUST_200600_302600_NS6detail15normal_iteratorINS9_10device_ptrIiEEEESE_SE_iNS9_4plusIiEE19head_flag_predicateiEE10hipError_tPvRmT2_T3_T4_T5_mT6_T7_P12ihipStream_tbENKUlT_T0_E_clISt17integral_constantIbLb1EESY_EEDaST_SU_EUlST_E_NS1_11comp_targetILNS1_3genE0ELNS1_11target_archE4294967295ELNS1_3gpuE0ELNS1_3repE0EEENS1_30default_config_static_selectorELNS0_4arch9wavefront6targetE0EEEvT1_,"axG",@progbits,_ZN7rocprim17ROCPRIM_400000_NS6detail17trampoline_kernelINS0_14default_configENS1_27scan_by_key_config_selectorIiiEEZZNS1_16scan_by_key_implILNS1_25lookback_scan_determinismE0ELb0ES3_N6thrust23THRUST_200600_302600_NS6detail15normal_iteratorINS9_10device_ptrIiEEEESE_SE_iNS9_4plusIiEE19head_flag_predicateiEE10hipError_tPvRmT2_T3_T4_T5_mT6_T7_P12ihipStream_tbENKUlT_T0_E_clISt17integral_constantIbLb1EESY_EEDaST_SU_EUlST_E_NS1_11comp_targetILNS1_3genE0ELNS1_11target_archE4294967295ELNS1_3gpuE0ELNS1_3repE0EEENS1_30default_config_static_selectorELNS0_4arch9wavefront6targetE0EEEvT1_,comdat
.Lfunc_end758:
	.size	_ZN7rocprim17ROCPRIM_400000_NS6detail17trampoline_kernelINS0_14default_configENS1_27scan_by_key_config_selectorIiiEEZZNS1_16scan_by_key_implILNS1_25lookback_scan_determinismE0ELb0ES3_N6thrust23THRUST_200600_302600_NS6detail15normal_iteratorINS9_10device_ptrIiEEEESE_SE_iNS9_4plusIiEE19head_flag_predicateiEE10hipError_tPvRmT2_T3_T4_T5_mT6_T7_P12ihipStream_tbENKUlT_T0_E_clISt17integral_constantIbLb1EESY_EEDaST_SU_EUlST_E_NS1_11comp_targetILNS1_3genE0ELNS1_11target_archE4294967295ELNS1_3gpuE0ELNS1_3repE0EEENS1_30default_config_static_selectorELNS0_4arch9wavefront6targetE0EEEvT1_, .Lfunc_end758-_ZN7rocprim17ROCPRIM_400000_NS6detail17trampoline_kernelINS0_14default_configENS1_27scan_by_key_config_selectorIiiEEZZNS1_16scan_by_key_implILNS1_25lookback_scan_determinismE0ELb0ES3_N6thrust23THRUST_200600_302600_NS6detail15normal_iteratorINS9_10device_ptrIiEEEESE_SE_iNS9_4plusIiEE19head_flag_predicateiEE10hipError_tPvRmT2_T3_T4_T5_mT6_T7_P12ihipStream_tbENKUlT_T0_E_clISt17integral_constantIbLb1EESY_EEDaST_SU_EUlST_E_NS1_11comp_targetILNS1_3genE0ELNS1_11target_archE4294967295ELNS1_3gpuE0ELNS1_3repE0EEENS1_30default_config_static_selectorELNS0_4arch9wavefront6targetE0EEEvT1_
                                        ; -- End function
	.set _ZN7rocprim17ROCPRIM_400000_NS6detail17trampoline_kernelINS0_14default_configENS1_27scan_by_key_config_selectorIiiEEZZNS1_16scan_by_key_implILNS1_25lookback_scan_determinismE0ELb0ES3_N6thrust23THRUST_200600_302600_NS6detail15normal_iteratorINS9_10device_ptrIiEEEESE_SE_iNS9_4plusIiEE19head_flag_predicateiEE10hipError_tPvRmT2_T3_T4_T5_mT6_T7_P12ihipStream_tbENKUlT_T0_E_clISt17integral_constantIbLb1EESY_EEDaST_SU_EUlST_E_NS1_11comp_targetILNS1_3genE0ELNS1_11target_archE4294967295ELNS1_3gpuE0ELNS1_3repE0EEENS1_30default_config_static_selectorELNS0_4arch9wavefront6targetE0EEEvT1_.num_vgpr, 0
	.set _ZN7rocprim17ROCPRIM_400000_NS6detail17trampoline_kernelINS0_14default_configENS1_27scan_by_key_config_selectorIiiEEZZNS1_16scan_by_key_implILNS1_25lookback_scan_determinismE0ELb0ES3_N6thrust23THRUST_200600_302600_NS6detail15normal_iteratorINS9_10device_ptrIiEEEESE_SE_iNS9_4plusIiEE19head_flag_predicateiEE10hipError_tPvRmT2_T3_T4_T5_mT6_T7_P12ihipStream_tbENKUlT_T0_E_clISt17integral_constantIbLb1EESY_EEDaST_SU_EUlST_E_NS1_11comp_targetILNS1_3genE0ELNS1_11target_archE4294967295ELNS1_3gpuE0ELNS1_3repE0EEENS1_30default_config_static_selectorELNS0_4arch9wavefront6targetE0EEEvT1_.num_agpr, 0
	.set _ZN7rocprim17ROCPRIM_400000_NS6detail17trampoline_kernelINS0_14default_configENS1_27scan_by_key_config_selectorIiiEEZZNS1_16scan_by_key_implILNS1_25lookback_scan_determinismE0ELb0ES3_N6thrust23THRUST_200600_302600_NS6detail15normal_iteratorINS9_10device_ptrIiEEEESE_SE_iNS9_4plusIiEE19head_flag_predicateiEE10hipError_tPvRmT2_T3_T4_T5_mT6_T7_P12ihipStream_tbENKUlT_T0_E_clISt17integral_constantIbLb1EESY_EEDaST_SU_EUlST_E_NS1_11comp_targetILNS1_3genE0ELNS1_11target_archE4294967295ELNS1_3gpuE0ELNS1_3repE0EEENS1_30default_config_static_selectorELNS0_4arch9wavefront6targetE0EEEvT1_.numbered_sgpr, 0
	.set _ZN7rocprim17ROCPRIM_400000_NS6detail17trampoline_kernelINS0_14default_configENS1_27scan_by_key_config_selectorIiiEEZZNS1_16scan_by_key_implILNS1_25lookback_scan_determinismE0ELb0ES3_N6thrust23THRUST_200600_302600_NS6detail15normal_iteratorINS9_10device_ptrIiEEEESE_SE_iNS9_4plusIiEE19head_flag_predicateiEE10hipError_tPvRmT2_T3_T4_T5_mT6_T7_P12ihipStream_tbENKUlT_T0_E_clISt17integral_constantIbLb1EESY_EEDaST_SU_EUlST_E_NS1_11comp_targetILNS1_3genE0ELNS1_11target_archE4294967295ELNS1_3gpuE0ELNS1_3repE0EEENS1_30default_config_static_selectorELNS0_4arch9wavefront6targetE0EEEvT1_.num_named_barrier, 0
	.set _ZN7rocprim17ROCPRIM_400000_NS6detail17trampoline_kernelINS0_14default_configENS1_27scan_by_key_config_selectorIiiEEZZNS1_16scan_by_key_implILNS1_25lookback_scan_determinismE0ELb0ES3_N6thrust23THRUST_200600_302600_NS6detail15normal_iteratorINS9_10device_ptrIiEEEESE_SE_iNS9_4plusIiEE19head_flag_predicateiEE10hipError_tPvRmT2_T3_T4_T5_mT6_T7_P12ihipStream_tbENKUlT_T0_E_clISt17integral_constantIbLb1EESY_EEDaST_SU_EUlST_E_NS1_11comp_targetILNS1_3genE0ELNS1_11target_archE4294967295ELNS1_3gpuE0ELNS1_3repE0EEENS1_30default_config_static_selectorELNS0_4arch9wavefront6targetE0EEEvT1_.private_seg_size, 0
	.set _ZN7rocprim17ROCPRIM_400000_NS6detail17trampoline_kernelINS0_14default_configENS1_27scan_by_key_config_selectorIiiEEZZNS1_16scan_by_key_implILNS1_25lookback_scan_determinismE0ELb0ES3_N6thrust23THRUST_200600_302600_NS6detail15normal_iteratorINS9_10device_ptrIiEEEESE_SE_iNS9_4plusIiEE19head_flag_predicateiEE10hipError_tPvRmT2_T3_T4_T5_mT6_T7_P12ihipStream_tbENKUlT_T0_E_clISt17integral_constantIbLb1EESY_EEDaST_SU_EUlST_E_NS1_11comp_targetILNS1_3genE0ELNS1_11target_archE4294967295ELNS1_3gpuE0ELNS1_3repE0EEENS1_30default_config_static_selectorELNS0_4arch9wavefront6targetE0EEEvT1_.uses_vcc, 0
	.set _ZN7rocprim17ROCPRIM_400000_NS6detail17trampoline_kernelINS0_14default_configENS1_27scan_by_key_config_selectorIiiEEZZNS1_16scan_by_key_implILNS1_25lookback_scan_determinismE0ELb0ES3_N6thrust23THRUST_200600_302600_NS6detail15normal_iteratorINS9_10device_ptrIiEEEESE_SE_iNS9_4plusIiEE19head_flag_predicateiEE10hipError_tPvRmT2_T3_T4_T5_mT6_T7_P12ihipStream_tbENKUlT_T0_E_clISt17integral_constantIbLb1EESY_EEDaST_SU_EUlST_E_NS1_11comp_targetILNS1_3genE0ELNS1_11target_archE4294967295ELNS1_3gpuE0ELNS1_3repE0EEENS1_30default_config_static_selectorELNS0_4arch9wavefront6targetE0EEEvT1_.uses_flat_scratch, 0
	.set _ZN7rocprim17ROCPRIM_400000_NS6detail17trampoline_kernelINS0_14default_configENS1_27scan_by_key_config_selectorIiiEEZZNS1_16scan_by_key_implILNS1_25lookback_scan_determinismE0ELb0ES3_N6thrust23THRUST_200600_302600_NS6detail15normal_iteratorINS9_10device_ptrIiEEEESE_SE_iNS9_4plusIiEE19head_flag_predicateiEE10hipError_tPvRmT2_T3_T4_T5_mT6_T7_P12ihipStream_tbENKUlT_T0_E_clISt17integral_constantIbLb1EESY_EEDaST_SU_EUlST_E_NS1_11comp_targetILNS1_3genE0ELNS1_11target_archE4294967295ELNS1_3gpuE0ELNS1_3repE0EEENS1_30default_config_static_selectorELNS0_4arch9wavefront6targetE0EEEvT1_.has_dyn_sized_stack, 0
	.set _ZN7rocprim17ROCPRIM_400000_NS6detail17trampoline_kernelINS0_14default_configENS1_27scan_by_key_config_selectorIiiEEZZNS1_16scan_by_key_implILNS1_25lookback_scan_determinismE0ELb0ES3_N6thrust23THRUST_200600_302600_NS6detail15normal_iteratorINS9_10device_ptrIiEEEESE_SE_iNS9_4plusIiEE19head_flag_predicateiEE10hipError_tPvRmT2_T3_T4_T5_mT6_T7_P12ihipStream_tbENKUlT_T0_E_clISt17integral_constantIbLb1EESY_EEDaST_SU_EUlST_E_NS1_11comp_targetILNS1_3genE0ELNS1_11target_archE4294967295ELNS1_3gpuE0ELNS1_3repE0EEENS1_30default_config_static_selectorELNS0_4arch9wavefront6targetE0EEEvT1_.has_recursion, 0
	.set _ZN7rocprim17ROCPRIM_400000_NS6detail17trampoline_kernelINS0_14default_configENS1_27scan_by_key_config_selectorIiiEEZZNS1_16scan_by_key_implILNS1_25lookback_scan_determinismE0ELb0ES3_N6thrust23THRUST_200600_302600_NS6detail15normal_iteratorINS9_10device_ptrIiEEEESE_SE_iNS9_4plusIiEE19head_flag_predicateiEE10hipError_tPvRmT2_T3_T4_T5_mT6_T7_P12ihipStream_tbENKUlT_T0_E_clISt17integral_constantIbLb1EESY_EEDaST_SU_EUlST_E_NS1_11comp_targetILNS1_3genE0ELNS1_11target_archE4294967295ELNS1_3gpuE0ELNS1_3repE0EEENS1_30default_config_static_selectorELNS0_4arch9wavefront6targetE0EEEvT1_.has_indirect_call, 0
	.section	.AMDGPU.csdata,"",@progbits
; Kernel info:
; codeLenInByte = 0
; TotalNumSgprs: 0
; NumVgprs: 0
; ScratchSize: 0
; MemoryBound: 0
; FloatMode: 240
; IeeeMode: 1
; LDSByteSize: 0 bytes/workgroup (compile time only)
; SGPRBlocks: 0
; VGPRBlocks: 0
; NumSGPRsForWavesPerEU: 1
; NumVGPRsForWavesPerEU: 1
; Occupancy: 16
; WaveLimiterHint : 0
; COMPUTE_PGM_RSRC2:SCRATCH_EN: 0
; COMPUTE_PGM_RSRC2:USER_SGPR: 6
; COMPUTE_PGM_RSRC2:TRAP_HANDLER: 0
; COMPUTE_PGM_RSRC2:TGID_X_EN: 1
; COMPUTE_PGM_RSRC2:TGID_Y_EN: 0
; COMPUTE_PGM_RSRC2:TGID_Z_EN: 0
; COMPUTE_PGM_RSRC2:TIDIG_COMP_CNT: 0
	.section	.text._ZN7rocprim17ROCPRIM_400000_NS6detail17trampoline_kernelINS0_14default_configENS1_27scan_by_key_config_selectorIiiEEZZNS1_16scan_by_key_implILNS1_25lookback_scan_determinismE0ELb0ES3_N6thrust23THRUST_200600_302600_NS6detail15normal_iteratorINS9_10device_ptrIiEEEESE_SE_iNS9_4plusIiEE19head_flag_predicateiEE10hipError_tPvRmT2_T3_T4_T5_mT6_T7_P12ihipStream_tbENKUlT_T0_E_clISt17integral_constantIbLb1EESY_EEDaST_SU_EUlST_E_NS1_11comp_targetILNS1_3genE10ELNS1_11target_archE1201ELNS1_3gpuE5ELNS1_3repE0EEENS1_30default_config_static_selectorELNS0_4arch9wavefront6targetE0EEEvT1_,"axG",@progbits,_ZN7rocprim17ROCPRIM_400000_NS6detail17trampoline_kernelINS0_14default_configENS1_27scan_by_key_config_selectorIiiEEZZNS1_16scan_by_key_implILNS1_25lookback_scan_determinismE0ELb0ES3_N6thrust23THRUST_200600_302600_NS6detail15normal_iteratorINS9_10device_ptrIiEEEESE_SE_iNS9_4plusIiEE19head_flag_predicateiEE10hipError_tPvRmT2_T3_T4_T5_mT6_T7_P12ihipStream_tbENKUlT_T0_E_clISt17integral_constantIbLb1EESY_EEDaST_SU_EUlST_E_NS1_11comp_targetILNS1_3genE10ELNS1_11target_archE1201ELNS1_3gpuE5ELNS1_3repE0EEENS1_30default_config_static_selectorELNS0_4arch9wavefront6targetE0EEEvT1_,comdat
	.protected	_ZN7rocprim17ROCPRIM_400000_NS6detail17trampoline_kernelINS0_14default_configENS1_27scan_by_key_config_selectorIiiEEZZNS1_16scan_by_key_implILNS1_25lookback_scan_determinismE0ELb0ES3_N6thrust23THRUST_200600_302600_NS6detail15normal_iteratorINS9_10device_ptrIiEEEESE_SE_iNS9_4plusIiEE19head_flag_predicateiEE10hipError_tPvRmT2_T3_T4_T5_mT6_T7_P12ihipStream_tbENKUlT_T0_E_clISt17integral_constantIbLb1EESY_EEDaST_SU_EUlST_E_NS1_11comp_targetILNS1_3genE10ELNS1_11target_archE1201ELNS1_3gpuE5ELNS1_3repE0EEENS1_30default_config_static_selectorELNS0_4arch9wavefront6targetE0EEEvT1_ ; -- Begin function _ZN7rocprim17ROCPRIM_400000_NS6detail17trampoline_kernelINS0_14default_configENS1_27scan_by_key_config_selectorIiiEEZZNS1_16scan_by_key_implILNS1_25lookback_scan_determinismE0ELb0ES3_N6thrust23THRUST_200600_302600_NS6detail15normal_iteratorINS9_10device_ptrIiEEEESE_SE_iNS9_4plusIiEE19head_flag_predicateiEE10hipError_tPvRmT2_T3_T4_T5_mT6_T7_P12ihipStream_tbENKUlT_T0_E_clISt17integral_constantIbLb1EESY_EEDaST_SU_EUlST_E_NS1_11comp_targetILNS1_3genE10ELNS1_11target_archE1201ELNS1_3gpuE5ELNS1_3repE0EEENS1_30default_config_static_selectorELNS0_4arch9wavefront6targetE0EEEvT1_
	.globl	_ZN7rocprim17ROCPRIM_400000_NS6detail17trampoline_kernelINS0_14default_configENS1_27scan_by_key_config_selectorIiiEEZZNS1_16scan_by_key_implILNS1_25lookback_scan_determinismE0ELb0ES3_N6thrust23THRUST_200600_302600_NS6detail15normal_iteratorINS9_10device_ptrIiEEEESE_SE_iNS9_4plusIiEE19head_flag_predicateiEE10hipError_tPvRmT2_T3_T4_T5_mT6_T7_P12ihipStream_tbENKUlT_T0_E_clISt17integral_constantIbLb1EESY_EEDaST_SU_EUlST_E_NS1_11comp_targetILNS1_3genE10ELNS1_11target_archE1201ELNS1_3gpuE5ELNS1_3repE0EEENS1_30default_config_static_selectorELNS0_4arch9wavefront6targetE0EEEvT1_
	.p2align	8
	.type	_ZN7rocprim17ROCPRIM_400000_NS6detail17trampoline_kernelINS0_14default_configENS1_27scan_by_key_config_selectorIiiEEZZNS1_16scan_by_key_implILNS1_25lookback_scan_determinismE0ELb0ES3_N6thrust23THRUST_200600_302600_NS6detail15normal_iteratorINS9_10device_ptrIiEEEESE_SE_iNS9_4plusIiEE19head_flag_predicateiEE10hipError_tPvRmT2_T3_T4_T5_mT6_T7_P12ihipStream_tbENKUlT_T0_E_clISt17integral_constantIbLb1EESY_EEDaST_SU_EUlST_E_NS1_11comp_targetILNS1_3genE10ELNS1_11target_archE1201ELNS1_3gpuE5ELNS1_3repE0EEENS1_30default_config_static_selectorELNS0_4arch9wavefront6targetE0EEEvT1_,@function
_ZN7rocprim17ROCPRIM_400000_NS6detail17trampoline_kernelINS0_14default_configENS1_27scan_by_key_config_selectorIiiEEZZNS1_16scan_by_key_implILNS1_25lookback_scan_determinismE0ELb0ES3_N6thrust23THRUST_200600_302600_NS6detail15normal_iteratorINS9_10device_ptrIiEEEESE_SE_iNS9_4plusIiEE19head_flag_predicateiEE10hipError_tPvRmT2_T3_T4_T5_mT6_T7_P12ihipStream_tbENKUlT_T0_E_clISt17integral_constantIbLb1EESY_EEDaST_SU_EUlST_E_NS1_11comp_targetILNS1_3genE10ELNS1_11target_archE1201ELNS1_3gpuE5ELNS1_3repE0EEENS1_30default_config_static_selectorELNS0_4arch9wavefront6targetE0EEEvT1_: ; @_ZN7rocprim17ROCPRIM_400000_NS6detail17trampoline_kernelINS0_14default_configENS1_27scan_by_key_config_selectorIiiEEZZNS1_16scan_by_key_implILNS1_25lookback_scan_determinismE0ELb0ES3_N6thrust23THRUST_200600_302600_NS6detail15normal_iteratorINS9_10device_ptrIiEEEESE_SE_iNS9_4plusIiEE19head_flag_predicateiEE10hipError_tPvRmT2_T3_T4_T5_mT6_T7_P12ihipStream_tbENKUlT_T0_E_clISt17integral_constantIbLb1EESY_EEDaST_SU_EUlST_E_NS1_11comp_targetILNS1_3genE10ELNS1_11target_archE1201ELNS1_3gpuE5ELNS1_3repE0EEENS1_30default_config_static_selectorELNS0_4arch9wavefront6targetE0EEEvT1_
; %bb.0:
	.section	.rodata,"a",@progbits
	.p2align	6, 0x0
	.amdhsa_kernel _ZN7rocprim17ROCPRIM_400000_NS6detail17trampoline_kernelINS0_14default_configENS1_27scan_by_key_config_selectorIiiEEZZNS1_16scan_by_key_implILNS1_25lookback_scan_determinismE0ELb0ES3_N6thrust23THRUST_200600_302600_NS6detail15normal_iteratorINS9_10device_ptrIiEEEESE_SE_iNS9_4plusIiEE19head_flag_predicateiEE10hipError_tPvRmT2_T3_T4_T5_mT6_T7_P12ihipStream_tbENKUlT_T0_E_clISt17integral_constantIbLb1EESY_EEDaST_SU_EUlST_E_NS1_11comp_targetILNS1_3genE10ELNS1_11target_archE1201ELNS1_3gpuE5ELNS1_3repE0EEENS1_30default_config_static_selectorELNS0_4arch9wavefront6targetE0EEEvT1_
		.amdhsa_group_segment_fixed_size 0
		.amdhsa_private_segment_fixed_size 0
		.amdhsa_kernarg_size 112
		.amdhsa_user_sgpr_count 6
		.amdhsa_user_sgpr_private_segment_buffer 1
		.amdhsa_user_sgpr_dispatch_ptr 0
		.amdhsa_user_sgpr_queue_ptr 0
		.amdhsa_user_sgpr_kernarg_segment_ptr 1
		.amdhsa_user_sgpr_dispatch_id 0
		.amdhsa_user_sgpr_flat_scratch_init 0
		.amdhsa_user_sgpr_private_segment_size 0
		.amdhsa_wavefront_size32 1
		.amdhsa_uses_dynamic_stack 0
		.amdhsa_system_sgpr_private_segment_wavefront_offset 0
		.amdhsa_system_sgpr_workgroup_id_x 1
		.amdhsa_system_sgpr_workgroup_id_y 0
		.amdhsa_system_sgpr_workgroup_id_z 0
		.amdhsa_system_sgpr_workgroup_info 0
		.amdhsa_system_vgpr_workitem_id 0
		.amdhsa_next_free_vgpr 1
		.amdhsa_next_free_sgpr 1
		.amdhsa_reserve_vcc 0
		.amdhsa_reserve_flat_scratch 0
		.amdhsa_float_round_mode_32 0
		.amdhsa_float_round_mode_16_64 0
		.amdhsa_float_denorm_mode_32 3
		.amdhsa_float_denorm_mode_16_64 3
		.amdhsa_dx10_clamp 1
		.amdhsa_ieee_mode 1
		.amdhsa_fp16_overflow 0
		.amdhsa_workgroup_processor_mode 1
		.amdhsa_memory_ordered 1
		.amdhsa_forward_progress 1
		.amdhsa_shared_vgpr_count 0
		.amdhsa_exception_fp_ieee_invalid_op 0
		.amdhsa_exception_fp_denorm_src 0
		.amdhsa_exception_fp_ieee_div_zero 0
		.amdhsa_exception_fp_ieee_overflow 0
		.amdhsa_exception_fp_ieee_underflow 0
		.amdhsa_exception_fp_ieee_inexact 0
		.amdhsa_exception_int_div_zero 0
	.end_amdhsa_kernel
	.section	.text._ZN7rocprim17ROCPRIM_400000_NS6detail17trampoline_kernelINS0_14default_configENS1_27scan_by_key_config_selectorIiiEEZZNS1_16scan_by_key_implILNS1_25lookback_scan_determinismE0ELb0ES3_N6thrust23THRUST_200600_302600_NS6detail15normal_iteratorINS9_10device_ptrIiEEEESE_SE_iNS9_4plusIiEE19head_flag_predicateiEE10hipError_tPvRmT2_T3_T4_T5_mT6_T7_P12ihipStream_tbENKUlT_T0_E_clISt17integral_constantIbLb1EESY_EEDaST_SU_EUlST_E_NS1_11comp_targetILNS1_3genE10ELNS1_11target_archE1201ELNS1_3gpuE5ELNS1_3repE0EEENS1_30default_config_static_selectorELNS0_4arch9wavefront6targetE0EEEvT1_,"axG",@progbits,_ZN7rocprim17ROCPRIM_400000_NS6detail17trampoline_kernelINS0_14default_configENS1_27scan_by_key_config_selectorIiiEEZZNS1_16scan_by_key_implILNS1_25lookback_scan_determinismE0ELb0ES3_N6thrust23THRUST_200600_302600_NS6detail15normal_iteratorINS9_10device_ptrIiEEEESE_SE_iNS9_4plusIiEE19head_flag_predicateiEE10hipError_tPvRmT2_T3_T4_T5_mT6_T7_P12ihipStream_tbENKUlT_T0_E_clISt17integral_constantIbLb1EESY_EEDaST_SU_EUlST_E_NS1_11comp_targetILNS1_3genE10ELNS1_11target_archE1201ELNS1_3gpuE5ELNS1_3repE0EEENS1_30default_config_static_selectorELNS0_4arch9wavefront6targetE0EEEvT1_,comdat
.Lfunc_end759:
	.size	_ZN7rocprim17ROCPRIM_400000_NS6detail17trampoline_kernelINS0_14default_configENS1_27scan_by_key_config_selectorIiiEEZZNS1_16scan_by_key_implILNS1_25lookback_scan_determinismE0ELb0ES3_N6thrust23THRUST_200600_302600_NS6detail15normal_iteratorINS9_10device_ptrIiEEEESE_SE_iNS9_4plusIiEE19head_flag_predicateiEE10hipError_tPvRmT2_T3_T4_T5_mT6_T7_P12ihipStream_tbENKUlT_T0_E_clISt17integral_constantIbLb1EESY_EEDaST_SU_EUlST_E_NS1_11comp_targetILNS1_3genE10ELNS1_11target_archE1201ELNS1_3gpuE5ELNS1_3repE0EEENS1_30default_config_static_selectorELNS0_4arch9wavefront6targetE0EEEvT1_, .Lfunc_end759-_ZN7rocprim17ROCPRIM_400000_NS6detail17trampoline_kernelINS0_14default_configENS1_27scan_by_key_config_selectorIiiEEZZNS1_16scan_by_key_implILNS1_25lookback_scan_determinismE0ELb0ES3_N6thrust23THRUST_200600_302600_NS6detail15normal_iteratorINS9_10device_ptrIiEEEESE_SE_iNS9_4plusIiEE19head_flag_predicateiEE10hipError_tPvRmT2_T3_T4_T5_mT6_T7_P12ihipStream_tbENKUlT_T0_E_clISt17integral_constantIbLb1EESY_EEDaST_SU_EUlST_E_NS1_11comp_targetILNS1_3genE10ELNS1_11target_archE1201ELNS1_3gpuE5ELNS1_3repE0EEENS1_30default_config_static_selectorELNS0_4arch9wavefront6targetE0EEEvT1_
                                        ; -- End function
	.set _ZN7rocprim17ROCPRIM_400000_NS6detail17trampoline_kernelINS0_14default_configENS1_27scan_by_key_config_selectorIiiEEZZNS1_16scan_by_key_implILNS1_25lookback_scan_determinismE0ELb0ES3_N6thrust23THRUST_200600_302600_NS6detail15normal_iteratorINS9_10device_ptrIiEEEESE_SE_iNS9_4plusIiEE19head_flag_predicateiEE10hipError_tPvRmT2_T3_T4_T5_mT6_T7_P12ihipStream_tbENKUlT_T0_E_clISt17integral_constantIbLb1EESY_EEDaST_SU_EUlST_E_NS1_11comp_targetILNS1_3genE10ELNS1_11target_archE1201ELNS1_3gpuE5ELNS1_3repE0EEENS1_30default_config_static_selectorELNS0_4arch9wavefront6targetE0EEEvT1_.num_vgpr, 0
	.set _ZN7rocprim17ROCPRIM_400000_NS6detail17trampoline_kernelINS0_14default_configENS1_27scan_by_key_config_selectorIiiEEZZNS1_16scan_by_key_implILNS1_25lookback_scan_determinismE0ELb0ES3_N6thrust23THRUST_200600_302600_NS6detail15normal_iteratorINS9_10device_ptrIiEEEESE_SE_iNS9_4plusIiEE19head_flag_predicateiEE10hipError_tPvRmT2_T3_T4_T5_mT6_T7_P12ihipStream_tbENKUlT_T0_E_clISt17integral_constantIbLb1EESY_EEDaST_SU_EUlST_E_NS1_11comp_targetILNS1_3genE10ELNS1_11target_archE1201ELNS1_3gpuE5ELNS1_3repE0EEENS1_30default_config_static_selectorELNS0_4arch9wavefront6targetE0EEEvT1_.num_agpr, 0
	.set _ZN7rocprim17ROCPRIM_400000_NS6detail17trampoline_kernelINS0_14default_configENS1_27scan_by_key_config_selectorIiiEEZZNS1_16scan_by_key_implILNS1_25lookback_scan_determinismE0ELb0ES3_N6thrust23THRUST_200600_302600_NS6detail15normal_iteratorINS9_10device_ptrIiEEEESE_SE_iNS9_4plusIiEE19head_flag_predicateiEE10hipError_tPvRmT2_T3_T4_T5_mT6_T7_P12ihipStream_tbENKUlT_T0_E_clISt17integral_constantIbLb1EESY_EEDaST_SU_EUlST_E_NS1_11comp_targetILNS1_3genE10ELNS1_11target_archE1201ELNS1_3gpuE5ELNS1_3repE0EEENS1_30default_config_static_selectorELNS0_4arch9wavefront6targetE0EEEvT1_.numbered_sgpr, 0
	.set _ZN7rocprim17ROCPRIM_400000_NS6detail17trampoline_kernelINS0_14default_configENS1_27scan_by_key_config_selectorIiiEEZZNS1_16scan_by_key_implILNS1_25lookback_scan_determinismE0ELb0ES3_N6thrust23THRUST_200600_302600_NS6detail15normal_iteratorINS9_10device_ptrIiEEEESE_SE_iNS9_4plusIiEE19head_flag_predicateiEE10hipError_tPvRmT2_T3_T4_T5_mT6_T7_P12ihipStream_tbENKUlT_T0_E_clISt17integral_constantIbLb1EESY_EEDaST_SU_EUlST_E_NS1_11comp_targetILNS1_3genE10ELNS1_11target_archE1201ELNS1_3gpuE5ELNS1_3repE0EEENS1_30default_config_static_selectorELNS0_4arch9wavefront6targetE0EEEvT1_.num_named_barrier, 0
	.set _ZN7rocprim17ROCPRIM_400000_NS6detail17trampoline_kernelINS0_14default_configENS1_27scan_by_key_config_selectorIiiEEZZNS1_16scan_by_key_implILNS1_25lookback_scan_determinismE0ELb0ES3_N6thrust23THRUST_200600_302600_NS6detail15normal_iteratorINS9_10device_ptrIiEEEESE_SE_iNS9_4plusIiEE19head_flag_predicateiEE10hipError_tPvRmT2_T3_T4_T5_mT6_T7_P12ihipStream_tbENKUlT_T0_E_clISt17integral_constantIbLb1EESY_EEDaST_SU_EUlST_E_NS1_11comp_targetILNS1_3genE10ELNS1_11target_archE1201ELNS1_3gpuE5ELNS1_3repE0EEENS1_30default_config_static_selectorELNS0_4arch9wavefront6targetE0EEEvT1_.private_seg_size, 0
	.set _ZN7rocprim17ROCPRIM_400000_NS6detail17trampoline_kernelINS0_14default_configENS1_27scan_by_key_config_selectorIiiEEZZNS1_16scan_by_key_implILNS1_25lookback_scan_determinismE0ELb0ES3_N6thrust23THRUST_200600_302600_NS6detail15normal_iteratorINS9_10device_ptrIiEEEESE_SE_iNS9_4plusIiEE19head_flag_predicateiEE10hipError_tPvRmT2_T3_T4_T5_mT6_T7_P12ihipStream_tbENKUlT_T0_E_clISt17integral_constantIbLb1EESY_EEDaST_SU_EUlST_E_NS1_11comp_targetILNS1_3genE10ELNS1_11target_archE1201ELNS1_3gpuE5ELNS1_3repE0EEENS1_30default_config_static_selectorELNS0_4arch9wavefront6targetE0EEEvT1_.uses_vcc, 0
	.set _ZN7rocprim17ROCPRIM_400000_NS6detail17trampoline_kernelINS0_14default_configENS1_27scan_by_key_config_selectorIiiEEZZNS1_16scan_by_key_implILNS1_25lookback_scan_determinismE0ELb0ES3_N6thrust23THRUST_200600_302600_NS6detail15normal_iteratorINS9_10device_ptrIiEEEESE_SE_iNS9_4plusIiEE19head_flag_predicateiEE10hipError_tPvRmT2_T3_T4_T5_mT6_T7_P12ihipStream_tbENKUlT_T0_E_clISt17integral_constantIbLb1EESY_EEDaST_SU_EUlST_E_NS1_11comp_targetILNS1_3genE10ELNS1_11target_archE1201ELNS1_3gpuE5ELNS1_3repE0EEENS1_30default_config_static_selectorELNS0_4arch9wavefront6targetE0EEEvT1_.uses_flat_scratch, 0
	.set _ZN7rocprim17ROCPRIM_400000_NS6detail17trampoline_kernelINS0_14default_configENS1_27scan_by_key_config_selectorIiiEEZZNS1_16scan_by_key_implILNS1_25lookback_scan_determinismE0ELb0ES3_N6thrust23THRUST_200600_302600_NS6detail15normal_iteratorINS9_10device_ptrIiEEEESE_SE_iNS9_4plusIiEE19head_flag_predicateiEE10hipError_tPvRmT2_T3_T4_T5_mT6_T7_P12ihipStream_tbENKUlT_T0_E_clISt17integral_constantIbLb1EESY_EEDaST_SU_EUlST_E_NS1_11comp_targetILNS1_3genE10ELNS1_11target_archE1201ELNS1_3gpuE5ELNS1_3repE0EEENS1_30default_config_static_selectorELNS0_4arch9wavefront6targetE0EEEvT1_.has_dyn_sized_stack, 0
	.set _ZN7rocprim17ROCPRIM_400000_NS6detail17trampoline_kernelINS0_14default_configENS1_27scan_by_key_config_selectorIiiEEZZNS1_16scan_by_key_implILNS1_25lookback_scan_determinismE0ELb0ES3_N6thrust23THRUST_200600_302600_NS6detail15normal_iteratorINS9_10device_ptrIiEEEESE_SE_iNS9_4plusIiEE19head_flag_predicateiEE10hipError_tPvRmT2_T3_T4_T5_mT6_T7_P12ihipStream_tbENKUlT_T0_E_clISt17integral_constantIbLb1EESY_EEDaST_SU_EUlST_E_NS1_11comp_targetILNS1_3genE10ELNS1_11target_archE1201ELNS1_3gpuE5ELNS1_3repE0EEENS1_30default_config_static_selectorELNS0_4arch9wavefront6targetE0EEEvT1_.has_recursion, 0
	.set _ZN7rocprim17ROCPRIM_400000_NS6detail17trampoline_kernelINS0_14default_configENS1_27scan_by_key_config_selectorIiiEEZZNS1_16scan_by_key_implILNS1_25lookback_scan_determinismE0ELb0ES3_N6thrust23THRUST_200600_302600_NS6detail15normal_iteratorINS9_10device_ptrIiEEEESE_SE_iNS9_4plusIiEE19head_flag_predicateiEE10hipError_tPvRmT2_T3_T4_T5_mT6_T7_P12ihipStream_tbENKUlT_T0_E_clISt17integral_constantIbLb1EESY_EEDaST_SU_EUlST_E_NS1_11comp_targetILNS1_3genE10ELNS1_11target_archE1201ELNS1_3gpuE5ELNS1_3repE0EEENS1_30default_config_static_selectorELNS0_4arch9wavefront6targetE0EEEvT1_.has_indirect_call, 0
	.section	.AMDGPU.csdata,"",@progbits
; Kernel info:
; codeLenInByte = 0
; TotalNumSgprs: 0
; NumVgprs: 0
; ScratchSize: 0
; MemoryBound: 0
; FloatMode: 240
; IeeeMode: 1
; LDSByteSize: 0 bytes/workgroup (compile time only)
; SGPRBlocks: 0
; VGPRBlocks: 0
; NumSGPRsForWavesPerEU: 1
; NumVGPRsForWavesPerEU: 1
; Occupancy: 16
; WaveLimiterHint : 0
; COMPUTE_PGM_RSRC2:SCRATCH_EN: 0
; COMPUTE_PGM_RSRC2:USER_SGPR: 6
; COMPUTE_PGM_RSRC2:TRAP_HANDLER: 0
; COMPUTE_PGM_RSRC2:TGID_X_EN: 1
; COMPUTE_PGM_RSRC2:TGID_Y_EN: 0
; COMPUTE_PGM_RSRC2:TGID_Z_EN: 0
; COMPUTE_PGM_RSRC2:TIDIG_COMP_CNT: 0
	.section	.text._ZN7rocprim17ROCPRIM_400000_NS6detail17trampoline_kernelINS0_14default_configENS1_27scan_by_key_config_selectorIiiEEZZNS1_16scan_by_key_implILNS1_25lookback_scan_determinismE0ELb0ES3_N6thrust23THRUST_200600_302600_NS6detail15normal_iteratorINS9_10device_ptrIiEEEESE_SE_iNS9_4plusIiEE19head_flag_predicateiEE10hipError_tPvRmT2_T3_T4_T5_mT6_T7_P12ihipStream_tbENKUlT_T0_E_clISt17integral_constantIbLb1EESY_EEDaST_SU_EUlST_E_NS1_11comp_targetILNS1_3genE5ELNS1_11target_archE942ELNS1_3gpuE9ELNS1_3repE0EEENS1_30default_config_static_selectorELNS0_4arch9wavefront6targetE0EEEvT1_,"axG",@progbits,_ZN7rocprim17ROCPRIM_400000_NS6detail17trampoline_kernelINS0_14default_configENS1_27scan_by_key_config_selectorIiiEEZZNS1_16scan_by_key_implILNS1_25lookback_scan_determinismE0ELb0ES3_N6thrust23THRUST_200600_302600_NS6detail15normal_iteratorINS9_10device_ptrIiEEEESE_SE_iNS9_4plusIiEE19head_flag_predicateiEE10hipError_tPvRmT2_T3_T4_T5_mT6_T7_P12ihipStream_tbENKUlT_T0_E_clISt17integral_constantIbLb1EESY_EEDaST_SU_EUlST_E_NS1_11comp_targetILNS1_3genE5ELNS1_11target_archE942ELNS1_3gpuE9ELNS1_3repE0EEENS1_30default_config_static_selectorELNS0_4arch9wavefront6targetE0EEEvT1_,comdat
	.protected	_ZN7rocprim17ROCPRIM_400000_NS6detail17trampoline_kernelINS0_14default_configENS1_27scan_by_key_config_selectorIiiEEZZNS1_16scan_by_key_implILNS1_25lookback_scan_determinismE0ELb0ES3_N6thrust23THRUST_200600_302600_NS6detail15normal_iteratorINS9_10device_ptrIiEEEESE_SE_iNS9_4plusIiEE19head_flag_predicateiEE10hipError_tPvRmT2_T3_T4_T5_mT6_T7_P12ihipStream_tbENKUlT_T0_E_clISt17integral_constantIbLb1EESY_EEDaST_SU_EUlST_E_NS1_11comp_targetILNS1_3genE5ELNS1_11target_archE942ELNS1_3gpuE9ELNS1_3repE0EEENS1_30default_config_static_selectorELNS0_4arch9wavefront6targetE0EEEvT1_ ; -- Begin function _ZN7rocprim17ROCPRIM_400000_NS6detail17trampoline_kernelINS0_14default_configENS1_27scan_by_key_config_selectorIiiEEZZNS1_16scan_by_key_implILNS1_25lookback_scan_determinismE0ELb0ES3_N6thrust23THRUST_200600_302600_NS6detail15normal_iteratorINS9_10device_ptrIiEEEESE_SE_iNS9_4plusIiEE19head_flag_predicateiEE10hipError_tPvRmT2_T3_T4_T5_mT6_T7_P12ihipStream_tbENKUlT_T0_E_clISt17integral_constantIbLb1EESY_EEDaST_SU_EUlST_E_NS1_11comp_targetILNS1_3genE5ELNS1_11target_archE942ELNS1_3gpuE9ELNS1_3repE0EEENS1_30default_config_static_selectorELNS0_4arch9wavefront6targetE0EEEvT1_
	.globl	_ZN7rocprim17ROCPRIM_400000_NS6detail17trampoline_kernelINS0_14default_configENS1_27scan_by_key_config_selectorIiiEEZZNS1_16scan_by_key_implILNS1_25lookback_scan_determinismE0ELb0ES3_N6thrust23THRUST_200600_302600_NS6detail15normal_iteratorINS9_10device_ptrIiEEEESE_SE_iNS9_4plusIiEE19head_flag_predicateiEE10hipError_tPvRmT2_T3_T4_T5_mT6_T7_P12ihipStream_tbENKUlT_T0_E_clISt17integral_constantIbLb1EESY_EEDaST_SU_EUlST_E_NS1_11comp_targetILNS1_3genE5ELNS1_11target_archE942ELNS1_3gpuE9ELNS1_3repE0EEENS1_30default_config_static_selectorELNS0_4arch9wavefront6targetE0EEEvT1_
	.p2align	8
	.type	_ZN7rocprim17ROCPRIM_400000_NS6detail17trampoline_kernelINS0_14default_configENS1_27scan_by_key_config_selectorIiiEEZZNS1_16scan_by_key_implILNS1_25lookback_scan_determinismE0ELb0ES3_N6thrust23THRUST_200600_302600_NS6detail15normal_iteratorINS9_10device_ptrIiEEEESE_SE_iNS9_4plusIiEE19head_flag_predicateiEE10hipError_tPvRmT2_T3_T4_T5_mT6_T7_P12ihipStream_tbENKUlT_T0_E_clISt17integral_constantIbLb1EESY_EEDaST_SU_EUlST_E_NS1_11comp_targetILNS1_3genE5ELNS1_11target_archE942ELNS1_3gpuE9ELNS1_3repE0EEENS1_30default_config_static_selectorELNS0_4arch9wavefront6targetE0EEEvT1_,@function
_ZN7rocprim17ROCPRIM_400000_NS6detail17trampoline_kernelINS0_14default_configENS1_27scan_by_key_config_selectorIiiEEZZNS1_16scan_by_key_implILNS1_25lookback_scan_determinismE0ELb0ES3_N6thrust23THRUST_200600_302600_NS6detail15normal_iteratorINS9_10device_ptrIiEEEESE_SE_iNS9_4plusIiEE19head_flag_predicateiEE10hipError_tPvRmT2_T3_T4_T5_mT6_T7_P12ihipStream_tbENKUlT_T0_E_clISt17integral_constantIbLb1EESY_EEDaST_SU_EUlST_E_NS1_11comp_targetILNS1_3genE5ELNS1_11target_archE942ELNS1_3gpuE9ELNS1_3repE0EEENS1_30default_config_static_selectorELNS0_4arch9wavefront6targetE0EEEvT1_: ; @_ZN7rocprim17ROCPRIM_400000_NS6detail17trampoline_kernelINS0_14default_configENS1_27scan_by_key_config_selectorIiiEEZZNS1_16scan_by_key_implILNS1_25lookback_scan_determinismE0ELb0ES3_N6thrust23THRUST_200600_302600_NS6detail15normal_iteratorINS9_10device_ptrIiEEEESE_SE_iNS9_4plusIiEE19head_flag_predicateiEE10hipError_tPvRmT2_T3_T4_T5_mT6_T7_P12ihipStream_tbENKUlT_T0_E_clISt17integral_constantIbLb1EESY_EEDaST_SU_EUlST_E_NS1_11comp_targetILNS1_3genE5ELNS1_11target_archE942ELNS1_3gpuE9ELNS1_3repE0EEENS1_30default_config_static_selectorELNS0_4arch9wavefront6targetE0EEEvT1_
; %bb.0:
	.section	.rodata,"a",@progbits
	.p2align	6, 0x0
	.amdhsa_kernel _ZN7rocprim17ROCPRIM_400000_NS6detail17trampoline_kernelINS0_14default_configENS1_27scan_by_key_config_selectorIiiEEZZNS1_16scan_by_key_implILNS1_25lookback_scan_determinismE0ELb0ES3_N6thrust23THRUST_200600_302600_NS6detail15normal_iteratorINS9_10device_ptrIiEEEESE_SE_iNS9_4plusIiEE19head_flag_predicateiEE10hipError_tPvRmT2_T3_T4_T5_mT6_T7_P12ihipStream_tbENKUlT_T0_E_clISt17integral_constantIbLb1EESY_EEDaST_SU_EUlST_E_NS1_11comp_targetILNS1_3genE5ELNS1_11target_archE942ELNS1_3gpuE9ELNS1_3repE0EEENS1_30default_config_static_selectorELNS0_4arch9wavefront6targetE0EEEvT1_
		.amdhsa_group_segment_fixed_size 0
		.amdhsa_private_segment_fixed_size 0
		.amdhsa_kernarg_size 112
		.amdhsa_user_sgpr_count 6
		.amdhsa_user_sgpr_private_segment_buffer 1
		.amdhsa_user_sgpr_dispatch_ptr 0
		.amdhsa_user_sgpr_queue_ptr 0
		.amdhsa_user_sgpr_kernarg_segment_ptr 1
		.amdhsa_user_sgpr_dispatch_id 0
		.amdhsa_user_sgpr_flat_scratch_init 0
		.amdhsa_user_sgpr_private_segment_size 0
		.amdhsa_wavefront_size32 1
		.amdhsa_uses_dynamic_stack 0
		.amdhsa_system_sgpr_private_segment_wavefront_offset 0
		.amdhsa_system_sgpr_workgroup_id_x 1
		.amdhsa_system_sgpr_workgroup_id_y 0
		.amdhsa_system_sgpr_workgroup_id_z 0
		.amdhsa_system_sgpr_workgroup_info 0
		.amdhsa_system_vgpr_workitem_id 0
		.amdhsa_next_free_vgpr 1
		.amdhsa_next_free_sgpr 1
		.amdhsa_reserve_vcc 0
		.amdhsa_reserve_flat_scratch 0
		.amdhsa_float_round_mode_32 0
		.amdhsa_float_round_mode_16_64 0
		.amdhsa_float_denorm_mode_32 3
		.amdhsa_float_denorm_mode_16_64 3
		.amdhsa_dx10_clamp 1
		.amdhsa_ieee_mode 1
		.amdhsa_fp16_overflow 0
		.amdhsa_workgroup_processor_mode 1
		.amdhsa_memory_ordered 1
		.amdhsa_forward_progress 1
		.amdhsa_shared_vgpr_count 0
		.amdhsa_exception_fp_ieee_invalid_op 0
		.amdhsa_exception_fp_denorm_src 0
		.amdhsa_exception_fp_ieee_div_zero 0
		.amdhsa_exception_fp_ieee_overflow 0
		.amdhsa_exception_fp_ieee_underflow 0
		.amdhsa_exception_fp_ieee_inexact 0
		.amdhsa_exception_int_div_zero 0
	.end_amdhsa_kernel
	.section	.text._ZN7rocprim17ROCPRIM_400000_NS6detail17trampoline_kernelINS0_14default_configENS1_27scan_by_key_config_selectorIiiEEZZNS1_16scan_by_key_implILNS1_25lookback_scan_determinismE0ELb0ES3_N6thrust23THRUST_200600_302600_NS6detail15normal_iteratorINS9_10device_ptrIiEEEESE_SE_iNS9_4plusIiEE19head_flag_predicateiEE10hipError_tPvRmT2_T3_T4_T5_mT6_T7_P12ihipStream_tbENKUlT_T0_E_clISt17integral_constantIbLb1EESY_EEDaST_SU_EUlST_E_NS1_11comp_targetILNS1_3genE5ELNS1_11target_archE942ELNS1_3gpuE9ELNS1_3repE0EEENS1_30default_config_static_selectorELNS0_4arch9wavefront6targetE0EEEvT1_,"axG",@progbits,_ZN7rocprim17ROCPRIM_400000_NS6detail17trampoline_kernelINS0_14default_configENS1_27scan_by_key_config_selectorIiiEEZZNS1_16scan_by_key_implILNS1_25lookback_scan_determinismE0ELb0ES3_N6thrust23THRUST_200600_302600_NS6detail15normal_iteratorINS9_10device_ptrIiEEEESE_SE_iNS9_4plusIiEE19head_flag_predicateiEE10hipError_tPvRmT2_T3_T4_T5_mT6_T7_P12ihipStream_tbENKUlT_T0_E_clISt17integral_constantIbLb1EESY_EEDaST_SU_EUlST_E_NS1_11comp_targetILNS1_3genE5ELNS1_11target_archE942ELNS1_3gpuE9ELNS1_3repE0EEENS1_30default_config_static_selectorELNS0_4arch9wavefront6targetE0EEEvT1_,comdat
.Lfunc_end760:
	.size	_ZN7rocprim17ROCPRIM_400000_NS6detail17trampoline_kernelINS0_14default_configENS1_27scan_by_key_config_selectorIiiEEZZNS1_16scan_by_key_implILNS1_25lookback_scan_determinismE0ELb0ES3_N6thrust23THRUST_200600_302600_NS6detail15normal_iteratorINS9_10device_ptrIiEEEESE_SE_iNS9_4plusIiEE19head_flag_predicateiEE10hipError_tPvRmT2_T3_T4_T5_mT6_T7_P12ihipStream_tbENKUlT_T0_E_clISt17integral_constantIbLb1EESY_EEDaST_SU_EUlST_E_NS1_11comp_targetILNS1_3genE5ELNS1_11target_archE942ELNS1_3gpuE9ELNS1_3repE0EEENS1_30default_config_static_selectorELNS0_4arch9wavefront6targetE0EEEvT1_, .Lfunc_end760-_ZN7rocprim17ROCPRIM_400000_NS6detail17trampoline_kernelINS0_14default_configENS1_27scan_by_key_config_selectorIiiEEZZNS1_16scan_by_key_implILNS1_25lookback_scan_determinismE0ELb0ES3_N6thrust23THRUST_200600_302600_NS6detail15normal_iteratorINS9_10device_ptrIiEEEESE_SE_iNS9_4plusIiEE19head_flag_predicateiEE10hipError_tPvRmT2_T3_T4_T5_mT6_T7_P12ihipStream_tbENKUlT_T0_E_clISt17integral_constantIbLb1EESY_EEDaST_SU_EUlST_E_NS1_11comp_targetILNS1_3genE5ELNS1_11target_archE942ELNS1_3gpuE9ELNS1_3repE0EEENS1_30default_config_static_selectorELNS0_4arch9wavefront6targetE0EEEvT1_
                                        ; -- End function
	.set _ZN7rocprim17ROCPRIM_400000_NS6detail17trampoline_kernelINS0_14default_configENS1_27scan_by_key_config_selectorIiiEEZZNS1_16scan_by_key_implILNS1_25lookback_scan_determinismE0ELb0ES3_N6thrust23THRUST_200600_302600_NS6detail15normal_iteratorINS9_10device_ptrIiEEEESE_SE_iNS9_4plusIiEE19head_flag_predicateiEE10hipError_tPvRmT2_T3_T4_T5_mT6_T7_P12ihipStream_tbENKUlT_T0_E_clISt17integral_constantIbLb1EESY_EEDaST_SU_EUlST_E_NS1_11comp_targetILNS1_3genE5ELNS1_11target_archE942ELNS1_3gpuE9ELNS1_3repE0EEENS1_30default_config_static_selectorELNS0_4arch9wavefront6targetE0EEEvT1_.num_vgpr, 0
	.set _ZN7rocprim17ROCPRIM_400000_NS6detail17trampoline_kernelINS0_14default_configENS1_27scan_by_key_config_selectorIiiEEZZNS1_16scan_by_key_implILNS1_25lookback_scan_determinismE0ELb0ES3_N6thrust23THRUST_200600_302600_NS6detail15normal_iteratorINS9_10device_ptrIiEEEESE_SE_iNS9_4plusIiEE19head_flag_predicateiEE10hipError_tPvRmT2_T3_T4_T5_mT6_T7_P12ihipStream_tbENKUlT_T0_E_clISt17integral_constantIbLb1EESY_EEDaST_SU_EUlST_E_NS1_11comp_targetILNS1_3genE5ELNS1_11target_archE942ELNS1_3gpuE9ELNS1_3repE0EEENS1_30default_config_static_selectorELNS0_4arch9wavefront6targetE0EEEvT1_.num_agpr, 0
	.set _ZN7rocprim17ROCPRIM_400000_NS6detail17trampoline_kernelINS0_14default_configENS1_27scan_by_key_config_selectorIiiEEZZNS1_16scan_by_key_implILNS1_25lookback_scan_determinismE0ELb0ES3_N6thrust23THRUST_200600_302600_NS6detail15normal_iteratorINS9_10device_ptrIiEEEESE_SE_iNS9_4plusIiEE19head_flag_predicateiEE10hipError_tPvRmT2_T3_T4_T5_mT6_T7_P12ihipStream_tbENKUlT_T0_E_clISt17integral_constantIbLb1EESY_EEDaST_SU_EUlST_E_NS1_11comp_targetILNS1_3genE5ELNS1_11target_archE942ELNS1_3gpuE9ELNS1_3repE0EEENS1_30default_config_static_selectorELNS0_4arch9wavefront6targetE0EEEvT1_.numbered_sgpr, 0
	.set _ZN7rocprim17ROCPRIM_400000_NS6detail17trampoline_kernelINS0_14default_configENS1_27scan_by_key_config_selectorIiiEEZZNS1_16scan_by_key_implILNS1_25lookback_scan_determinismE0ELb0ES3_N6thrust23THRUST_200600_302600_NS6detail15normal_iteratorINS9_10device_ptrIiEEEESE_SE_iNS9_4plusIiEE19head_flag_predicateiEE10hipError_tPvRmT2_T3_T4_T5_mT6_T7_P12ihipStream_tbENKUlT_T0_E_clISt17integral_constantIbLb1EESY_EEDaST_SU_EUlST_E_NS1_11comp_targetILNS1_3genE5ELNS1_11target_archE942ELNS1_3gpuE9ELNS1_3repE0EEENS1_30default_config_static_selectorELNS0_4arch9wavefront6targetE0EEEvT1_.num_named_barrier, 0
	.set _ZN7rocprim17ROCPRIM_400000_NS6detail17trampoline_kernelINS0_14default_configENS1_27scan_by_key_config_selectorIiiEEZZNS1_16scan_by_key_implILNS1_25lookback_scan_determinismE0ELb0ES3_N6thrust23THRUST_200600_302600_NS6detail15normal_iteratorINS9_10device_ptrIiEEEESE_SE_iNS9_4plusIiEE19head_flag_predicateiEE10hipError_tPvRmT2_T3_T4_T5_mT6_T7_P12ihipStream_tbENKUlT_T0_E_clISt17integral_constantIbLb1EESY_EEDaST_SU_EUlST_E_NS1_11comp_targetILNS1_3genE5ELNS1_11target_archE942ELNS1_3gpuE9ELNS1_3repE0EEENS1_30default_config_static_selectorELNS0_4arch9wavefront6targetE0EEEvT1_.private_seg_size, 0
	.set _ZN7rocprim17ROCPRIM_400000_NS6detail17trampoline_kernelINS0_14default_configENS1_27scan_by_key_config_selectorIiiEEZZNS1_16scan_by_key_implILNS1_25lookback_scan_determinismE0ELb0ES3_N6thrust23THRUST_200600_302600_NS6detail15normal_iteratorINS9_10device_ptrIiEEEESE_SE_iNS9_4plusIiEE19head_flag_predicateiEE10hipError_tPvRmT2_T3_T4_T5_mT6_T7_P12ihipStream_tbENKUlT_T0_E_clISt17integral_constantIbLb1EESY_EEDaST_SU_EUlST_E_NS1_11comp_targetILNS1_3genE5ELNS1_11target_archE942ELNS1_3gpuE9ELNS1_3repE0EEENS1_30default_config_static_selectorELNS0_4arch9wavefront6targetE0EEEvT1_.uses_vcc, 0
	.set _ZN7rocprim17ROCPRIM_400000_NS6detail17trampoline_kernelINS0_14default_configENS1_27scan_by_key_config_selectorIiiEEZZNS1_16scan_by_key_implILNS1_25lookback_scan_determinismE0ELb0ES3_N6thrust23THRUST_200600_302600_NS6detail15normal_iteratorINS9_10device_ptrIiEEEESE_SE_iNS9_4plusIiEE19head_flag_predicateiEE10hipError_tPvRmT2_T3_T4_T5_mT6_T7_P12ihipStream_tbENKUlT_T0_E_clISt17integral_constantIbLb1EESY_EEDaST_SU_EUlST_E_NS1_11comp_targetILNS1_3genE5ELNS1_11target_archE942ELNS1_3gpuE9ELNS1_3repE0EEENS1_30default_config_static_selectorELNS0_4arch9wavefront6targetE0EEEvT1_.uses_flat_scratch, 0
	.set _ZN7rocprim17ROCPRIM_400000_NS6detail17trampoline_kernelINS0_14default_configENS1_27scan_by_key_config_selectorIiiEEZZNS1_16scan_by_key_implILNS1_25lookback_scan_determinismE0ELb0ES3_N6thrust23THRUST_200600_302600_NS6detail15normal_iteratorINS9_10device_ptrIiEEEESE_SE_iNS9_4plusIiEE19head_flag_predicateiEE10hipError_tPvRmT2_T3_T4_T5_mT6_T7_P12ihipStream_tbENKUlT_T0_E_clISt17integral_constantIbLb1EESY_EEDaST_SU_EUlST_E_NS1_11comp_targetILNS1_3genE5ELNS1_11target_archE942ELNS1_3gpuE9ELNS1_3repE0EEENS1_30default_config_static_selectorELNS0_4arch9wavefront6targetE0EEEvT1_.has_dyn_sized_stack, 0
	.set _ZN7rocprim17ROCPRIM_400000_NS6detail17trampoline_kernelINS0_14default_configENS1_27scan_by_key_config_selectorIiiEEZZNS1_16scan_by_key_implILNS1_25lookback_scan_determinismE0ELb0ES3_N6thrust23THRUST_200600_302600_NS6detail15normal_iteratorINS9_10device_ptrIiEEEESE_SE_iNS9_4plusIiEE19head_flag_predicateiEE10hipError_tPvRmT2_T3_T4_T5_mT6_T7_P12ihipStream_tbENKUlT_T0_E_clISt17integral_constantIbLb1EESY_EEDaST_SU_EUlST_E_NS1_11comp_targetILNS1_3genE5ELNS1_11target_archE942ELNS1_3gpuE9ELNS1_3repE0EEENS1_30default_config_static_selectorELNS0_4arch9wavefront6targetE0EEEvT1_.has_recursion, 0
	.set _ZN7rocprim17ROCPRIM_400000_NS6detail17trampoline_kernelINS0_14default_configENS1_27scan_by_key_config_selectorIiiEEZZNS1_16scan_by_key_implILNS1_25lookback_scan_determinismE0ELb0ES3_N6thrust23THRUST_200600_302600_NS6detail15normal_iteratorINS9_10device_ptrIiEEEESE_SE_iNS9_4plusIiEE19head_flag_predicateiEE10hipError_tPvRmT2_T3_T4_T5_mT6_T7_P12ihipStream_tbENKUlT_T0_E_clISt17integral_constantIbLb1EESY_EEDaST_SU_EUlST_E_NS1_11comp_targetILNS1_3genE5ELNS1_11target_archE942ELNS1_3gpuE9ELNS1_3repE0EEENS1_30default_config_static_selectorELNS0_4arch9wavefront6targetE0EEEvT1_.has_indirect_call, 0
	.section	.AMDGPU.csdata,"",@progbits
; Kernel info:
; codeLenInByte = 0
; TotalNumSgprs: 0
; NumVgprs: 0
; ScratchSize: 0
; MemoryBound: 0
; FloatMode: 240
; IeeeMode: 1
; LDSByteSize: 0 bytes/workgroup (compile time only)
; SGPRBlocks: 0
; VGPRBlocks: 0
; NumSGPRsForWavesPerEU: 1
; NumVGPRsForWavesPerEU: 1
; Occupancy: 16
; WaveLimiterHint : 0
; COMPUTE_PGM_RSRC2:SCRATCH_EN: 0
; COMPUTE_PGM_RSRC2:USER_SGPR: 6
; COMPUTE_PGM_RSRC2:TRAP_HANDLER: 0
; COMPUTE_PGM_RSRC2:TGID_X_EN: 1
; COMPUTE_PGM_RSRC2:TGID_Y_EN: 0
; COMPUTE_PGM_RSRC2:TGID_Z_EN: 0
; COMPUTE_PGM_RSRC2:TIDIG_COMP_CNT: 0
	.section	.text._ZN7rocprim17ROCPRIM_400000_NS6detail17trampoline_kernelINS0_14default_configENS1_27scan_by_key_config_selectorIiiEEZZNS1_16scan_by_key_implILNS1_25lookback_scan_determinismE0ELb0ES3_N6thrust23THRUST_200600_302600_NS6detail15normal_iteratorINS9_10device_ptrIiEEEESE_SE_iNS9_4plusIiEE19head_flag_predicateiEE10hipError_tPvRmT2_T3_T4_T5_mT6_T7_P12ihipStream_tbENKUlT_T0_E_clISt17integral_constantIbLb1EESY_EEDaST_SU_EUlST_E_NS1_11comp_targetILNS1_3genE4ELNS1_11target_archE910ELNS1_3gpuE8ELNS1_3repE0EEENS1_30default_config_static_selectorELNS0_4arch9wavefront6targetE0EEEvT1_,"axG",@progbits,_ZN7rocprim17ROCPRIM_400000_NS6detail17trampoline_kernelINS0_14default_configENS1_27scan_by_key_config_selectorIiiEEZZNS1_16scan_by_key_implILNS1_25lookback_scan_determinismE0ELb0ES3_N6thrust23THRUST_200600_302600_NS6detail15normal_iteratorINS9_10device_ptrIiEEEESE_SE_iNS9_4plusIiEE19head_flag_predicateiEE10hipError_tPvRmT2_T3_T4_T5_mT6_T7_P12ihipStream_tbENKUlT_T0_E_clISt17integral_constantIbLb1EESY_EEDaST_SU_EUlST_E_NS1_11comp_targetILNS1_3genE4ELNS1_11target_archE910ELNS1_3gpuE8ELNS1_3repE0EEENS1_30default_config_static_selectorELNS0_4arch9wavefront6targetE0EEEvT1_,comdat
	.protected	_ZN7rocprim17ROCPRIM_400000_NS6detail17trampoline_kernelINS0_14default_configENS1_27scan_by_key_config_selectorIiiEEZZNS1_16scan_by_key_implILNS1_25lookback_scan_determinismE0ELb0ES3_N6thrust23THRUST_200600_302600_NS6detail15normal_iteratorINS9_10device_ptrIiEEEESE_SE_iNS9_4plusIiEE19head_flag_predicateiEE10hipError_tPvRmT2_T3_T4_T5_mT6_T7_P12ihipStream_tbENKUlT_T0_E_clISt17integral_constantIbLb1EESY_EEDaST_SU_EUlST_E_NS1_11comp_targetILNS1_3genE4ELNS1_11target_archE910ELNS1_3gpuE8ELNS1_3repE0EEENS1_30default_config_static_selectorELNS0_4arch9wavefront6targetE0EEEvT1_ ; -- Begin function _ZN7rocprim17ROCPRIM_400000_NS6detail17trampoline_kernelINS0_14default_configENS1_27scan_by_key_config_selectorIiiEEZZNS1_16scan_by_key_implILNS1_25lookback_scan_determinismE0ELb0ES3_N6thrust23THRUST_200600_302600_NS6detail15normal_iteratorINS9_10device_ptrIiEEEESE_SE_iNS9_4plusIiEE19head_flag_predicateiEE10hipError_tPvRmT2_T3_T4_T5_mT6_T7_P12ihipStream_tbENKUlT_T0_E_clISt17integral_constantIbLb1EESY_EEDaST_SU_EUlST_E_NS1_11comp_targetILNS1_3genE4ELNS1_11target_archE910ELNS1_3gpuE8ELNS1_3repE0EEENS1_30default_config_static_selectorELNS0_4arch9wavefront6targetE0EEEvT1_
	.globl	_ZN7rocprim17ROCPRIM_400000_NS6detail17trampoline_kernelINS0_14default_configENS1_27scan_by_key_config_selectorIiiEEZZNS1_16scan_by_key_implILNS1_25lookback_scan_determinismE0ELb0ES3_N6thrust23THRUST_200600_302600_NS6detail15normal_iteratorINS9_10device_ptrIiEEEESE_SE_iNS9_4plusIiEE19head_flag_predicateiEE10hipError_tPvRmT2_T3_T4_T5_mT6_T7_P12ihipStream_tbENKUlT_T0_E_clISt17integral_constantIbLb1EESY_EEDaST_SU_EUlST_E_NS1_11comp_targetILNS1_3genE4ELNS1_11target_archE910ELNS1_3gpuE8ELNS1_3repE0EEENS1_30default_config_static_selectorELNS0_4arch9wavefront6targetE0EEEvT1_
	.p2align	8
	.type	_ZN7rocprim17ROCPRIM_400000_NS6detail17trampoline_kernelINS0_14default_configENS1_27scan_by_key_config_selectorIiiEEZZNS1_16scan_by_key_implILNS1_25lookback_scan_determinismE0ELb0ES3_N6thrust23THRUST_200600_302600_NS6detail15normal_iteratorINS9_10device_ptrIiEEEESE_SE_iNS9_4plusIiEE19head_flag_predicateiEE10hipError_tPvRmT2_T3_T4_T5_mT6_T7_P12ihipStream_tbENKUlT_T0_E_clISt17integral_constantIbLb1EESY_EEDaST_SU_EUlST_E_NS1_11comp_targetILNS1_3genE4ELNS1_11target_archE910ELNS1_3gpuE8ELNS1_3repE0EEENS1_30default_config_static_selectorELNS0_4arch9wavefront6targetE0EEEvT1_,@function
_ZN7rocprim17ROCPRIM_400000_NS6detail17trampoline_kernelINS0_14default_configENS1_27scan_by_key_config_selectorIiiEEZZNS1_16scan_by_key_implILNS1_25lookback_scan_determinismE0ELb0ES3_N6thrust23THRUST_200600_302600_NS6detail15normal_iteratorINS9_10device_ptrIiEEEESE_SE_iNS9_4plusIiEE19head_flag_predicateiEE10hipError_tPvRmT2_T3_T4_T5_mT6_T7_P12ihipStream_tbENKUlT_T0_E_clISt17integral_constantIbLb1EESY_EEDaST_SU_EUlST_E_NS1_11comp_targetILNS1_3genE4ELNS1_11target_archE910ELNS1_3gpuE8ELNS1_3repE0EEENS1_30default_config_static_selectorELNS0_4arch9wavefront6targetE0EEEvT1_: ; @_ZN7rocprim17ROCPRIM_400000_NS6detail17trampoline_kernelINS0_14default_configENS1_27scan_by_key_config_selectorIiiEEZZNS1_16scan_by_key_implILNS1_25lookback_scan_determinismE0ELb0ES3_N6thrust23THRUST_200600_302600_NS6detail15normal_iteratorINS9_10device_ptrIiEEEESE_SE_iNS9_4plusIiEE19head_flag_predicateiEE10hipError_tPvRmT2_T3_T4_T5_mT6_T7_P12ihipStream_tbENKUlT_T0_E_clISt17integral_constantIbLb1EESY_EEDaST_SU_EUlST_E_NS1_11comp_targetILNS1_3genE4ELNS1_11target_archE910ELNS1_3gpuE8ELNS1_3repE0EEENS1_30default_config_static_selectorELNS0_4arch9wavefront6targetE0EEEvT1_
; %bb.0:
	.section	.rodata,"a",@progbits
	.p2align	6, 0x0
	.amdhsa_kernel _ZN7rocprim17ROCPRIM_400000_NS6detail17trampoline_kernelINS0_14default_configENS1_27scan_by_key_config_selectorIiiEEZZNS1_16scan_by_key_implILNS1_25lookback_scan_determinismE0ELb0ES3_N6thrust23THRUST_200600_302600_NS6detail15normal_iteratorINS9_10device_ptrIiEEEESE_SE_iNS9_4plusIiEE19head_flag_predicateiEE10hipError_tPvRmT2_T3_T4_T5_mT6_T7_P12ihipStream_tbENKUlT_T0_E_clISt17integral_constantIbLb1EESY_EEDaST_SU_EUlST_E_NS1_11comp_targetILNS1_3genE4ELNS1_11target_archE910ELNS1_3gpuE8ELNS1_3repE0EEENS1_30default_config_static_selectorELNS0_4arch9wavefront6targetE0EEEvT1_
		.amdhsa_group_segment_fixed_size 0
		.amdhsa_private_segment_fixed_size 0
		.amdhsa_kernarg_size 112
		.amdhsa_user_sgpr_count 6
		.amdhsa_user_sgpr_private_segment_buffer 1
		.amdhsa_user_sgpr_dispatch_ptr 0
		.amdhsa_user_sgpr_queue_ptr 0
		.amdhsa_user_sgpr_kernarg_segment_ptr 1
		.amdhsa_user_sgpr_dispatch_id 0
		.amdhsa_user_sgpr_flat_scratch_init 0
		.amdhsa_user_sgpr_private_segment_size 0
		.amdhsa_wavefront_size32 1
		.amdhsa_uses_dynamic_stack 0
		.amdhsa_system_sgpr_private_segment_wavefront_offset 0
		.amdhsa_system_sgpr_workgroup_id_x 1
		.amdhsa_system_sgpr_workgroup_id_y 0
		.amdhsa_system_sgpr_workgroup_id_z 0
		.amdhsa_system_sgpr_workgroup_info 0
		.amdhsa_system_vgpr_workitem_id 0
		.amdhsa_next_free_vgpr 1
		.amdhsa_next_free_sgpr 1
		.amdhsa_reserve_vcc 0
		.amdhsa_reserve_flat_scratch 0
		.amdhsa_float_round_mode_32 0
		.amdhsa_float_round_mode_16_64 0
		.amdhsa_float_denorm_mode_32 3
		.amdhsa_float_denorm_mode_16_64 3
		.amdhsa_dx10_clamp 1
		.amdhsa_ieee_mode 1
		.amdhsa_fp16_overflow 0
		.amdhsa_workgroup_processor_mode 1
		.amdhsa_memory_ordered 1
		.amdhsa_forward_progress 1
		.amdhsa_shared_vgpr_count 0
		.amdhsa_exception_fp_ieee_invalid_op 0
		.amdhsa_exception_fp_denorm_src 0
		.amdhsa_exception_fp_ieee_div_zero 0
		.amdhsa_exception_fp_ieee_overflow 0
		.amdhsa_exception_fp_ieee_underflow 0
		.amdhsa_exception_fp_ieee_inexact 0
		.amdhsa_exception_int_div_zero 0
	.end_amdhsa_kernel
	.section	.text._ZN7rocprim17ROCPRIM_400000_NS6detail17trampoline_kernelINS0_14default_configENS1_27scan_by_key_config_selectorIiiEEZZNS1_16scan_by_key_implILNS1_25lookback_scan_determinismE0ELb0ES3_N6thrust23THRUST_200600_302600_NS6detail15normal_iteratorINS9_10device_ptrIiEEEESE_SE_iNS9_4plusIiEE19head_flag_predicateiEE10hipError_tPvRmT2_T3_T4_T5_mT6_T7_P12ihipStream_tbENKUlT_T0_E_clISt17integral_constantIbLb1EESY_EEDaST_SU_EUlST_E_NS1_11comp_targetILNS1_3genE4ELNS1_11target_archE910ELNS1_3gpuE8ELNS1_3repE0EEENS1_30default_config_static_selectorELNS0_4arch9wavefront6targetE0EEEvT1_,"axG",@progbits,_ZN7rocprim17ROCPRIM_400000_NS6detail17trampoline_kernelINS0_14default_configENS1_27scan_by_key_config_selectorIiiEEZZNS1_16scan_by_key_implILNS1_25lookback_scan_determinismE0ELb0ES3_N6thrust23THRUST_200600_302600_NS6detail15normal_iteratorINS9_10device_ptrIiEEEESE_SE_iNS9_4plusIiEE19head_flag_predicateiEE10hipError_tPvRmT2_T3_T4_T5_mT6_T7_P12ihipStream_tbENKUlT_T0_E_clISt17integral_constantIbLb1EESY_EEDaST_SU_EUlST_E_NS1_11comp_targetILNS1_3genE4ELNS1_11target_archE910ELNS1_3gpuE8ELNS1_3repE0EEENS1_30default_config_static_selectorELNS0_4arch9wavefront6targetE0EEEvT1_,comdat
.Lfunc_end761:
	.size	_ZN7rocprim17ROCPRIM_400000_NS6detail17trampoline_kernelINS0_14default_configENS1_27scan_by_key_config_selectorIiiEEZZNS1_16scan_by_key_implILNS1_25lookback_scan_determinismE0ELb0ES3_N6thrust23THRUST_200600_302600_NS6detail15normal_iteratorINS9_10device_ptrIiEEEESE_SE_iNS9_4plusIiEE19head_flag_predicateiEE10hipError_tPvRmT2_T3_T4_T5_mT6_T7_P12ihipStream_tbENKUlT_T0_E_clISt17integral_constantIbLb1EESY_EEDaST_SU_EUlST_E_NS1_11comp_targetILNS1_3genE4ELNS1_11target_archE910ELNS1_3gpuE8ELNS1_3repE0EEENS1_30default_config_static_selectorELNS0_4arch9wavefront6targetE0EEEvT1_, .Lfunc_end761-_ZN7rocprim17ROCPRIM_400000_NS6detail17trampoline_kernelINS0_14default_configENS1_27scan_by_key_config_selectorIiiEEZZNS1_16scan_by_key_implILNS1_25lookback_scan_determinismE0ELb0ES3_N6thrust23THRUST_200600_302600_NS6detail15normal_iteratorINS9_10device_ptrIiEEEESE_SE_iNS9_4plusIiEE19head_flag_predicateiEE10hipError_tPvRmT2_T3_T4_T5_mT6_T7_P12ihipStream_tbENKUlT_T0_E_clISt17integral_constantIbLb1EESY_EEDaST_SU_EUlST_E_NS1_11comp_targetILNS1_3genE4ELNS1_11target_archE910ELNS1_3gpuE8ELNS1_3repE0EEENS1_30default_config_static_selectorELNS0_4arch9wavefront6targetE0EEEvT1_
                                        ; -- End function
	.set _ZN7rocprim17ROCPRIM_400000_NS6detail17trampoline_kernelINS0_14default_configENS1_27scan_by_key_config_selectorIiiEEZZNS1_16scan_by_key_implILNS1_25lookback_scan_determinismE0ELb0ES3_N6thrust23THRUST_200600_302600_NS6detail15normal_iteratorINS9_10device_ptrIiEEEESE_SE_iNS9_4plusIiEE19head_flag_predicateiEE10hipError_tPvRmT2_T3_T4_T5_mT6_T7_P12ihipStream_tbENKUlT_T0_E_clISt17integral_constantIbLb1EESY_EEDaST_SU_EUlST_E_NS1_11comp_targetILNS1_3genE4ELNS1_11target_archE910ELNS1_3gpuE8ELNS1_3repE0EEENS1_30default_config_static_selectorELNS0_4arch9wavefront6targetE0EEEvT1_.num_vgpr, 0
	.set _ZN7rocprim17ROCPRIM_400000_NS6detail17trampoline_kernelINS0_14default_configENS1_27scan_by_key_config_selectorIiiEEZZNS1_16scan_by_key_implILNS1_25lookback_scan_determinismE0ELb0ES3_N6thrust23THRUST_200600_302600_NS6detail15normal_iteratorINS9_10device_ptrIiEEEESE_SE_iNS9_4plusIiEE19head_flag_predicateiEE10hipError_tPvRmT2_T3_T4_T5_mT6_T7_P12ihipStream_tbENKUlT_T0_E_clISt17integral_constantIbLb1EESY_EEDaST_SU_EUlST_E_NS1_11comp_targetILNS1_3genE4ELNS1_11target_archE910ELNS1_3gpuE8ELNS1_3repE0EEENS1_30default_config_static_selectorELNS0_4arch9wavefront6targetE0EEEvT1_.num_agpr, 0
	.set _ZN7rocprim17ROCPRIM_400000_NS6detail17trampoline_kernelINS0_14default_configENS1_27scan_by_key_config_selectorIiiEEZZNS1_16scan_by_key_implILNS1_25lookback_scan_determinismE0ELb0ES3_N6thrust23THRUST_200600_302600_NS6detail15normal_iteratorINS9_10device_ptrIiEEEESE_SE_iNS9_4plusIiEE19head_flag_predicateiEE10hipError_tPvRmT2_T3_T4_T5_mT6_T7_P12ihipStream_tbENKUlT_T0_E_clISt17integral_constantIbLb1EESY_EEDaST_SU_EUlST_E_NS1_11comp_targetILNS1_3genE4ELNS1_11target_archE910ELNS1_3gpuE8ELNS1_3repE0EEENS1_30default_config_static_selectorELNS0_4arch9wavefront6targetE0EEEvT1_.numbered_sgpr, 0
	.set _ZN7rocprim17ROCPRIM_400000_NS6detail17trampoline_kernelINS0_14default_configENS1_27scan_by_key_config_selectorIiiEEZZNS1_16scan_by_key_implILNS1_25lookback_scan_determinismE0ELb0ES3_N6thrust23THRUST_200600_302600_NS6detail15normal_iteratorINS9_10device_ptrIiEEEESE_SE_iNS9_4plusIiEE19head_flag_predicateiEE10hipError_tPvRmT2_T3_T4_T5_mT6_T7_P12ihipStream_tbENKUlT_T0_E_clISt17integral_constantIbLb1EESY_EEDaST_SU_EUlST_E_NS1_11comp_targetILNS1_3genE4ELNS1_11target_archE910ELNS1_3gpuE8ELNS1_3repE0EEENS1_30default_config_static_selectorELNS0_4arch9wavefront6targetE0EEEvT1_.num_named_barrier, 0
	.set _ZN7rocprim17ROCPRIM_400000_NS6detail17trampoline_kernelINS0_14default_configENS1_27scan_by_key_config_selectorIiiEEZZNS1_16scan_by_key_implILNS1_25lookback_scan_determinismE0ELb0ES3_N6thrust23THRUST_200600_302600_NS6detail15normal_iteratorINS9_10device_ptrIiEEEESE_SE_iNS9_4plusIiEE19head_flag_predicateiEE10hipError_tPvRmT2_T3_T4_T5_mT6_T7_P12ihipStream_tbENKUlT_T0_E_clISt17integral_constantIbLb1EESY_EEDaST_SU_EUlST_E_NS1_11comp_targetILNS1_3genE4ELNS1_11target_archE910ELNS1_3gpuE8ELNS1_3repE0EEENS1_30default_config_static_selectorELNS0_4arch9wavefront6targetE0EEEvT1_.private_seg_size, 0
	.set _ZN7rocprim17ROCPRIM_400000_NS6detail17trampoline_kernelINS0_14default_configENS1_27scan_by_key_config_selectorIiiEEZZNS1_16scan_by_key_implILNS1_25lookback_scan_determinismE0ELb0ES3_N6thrust23THRUST_200600_302600_NS6detail15normal_iteratorINS9_10device_ptrIiEEEESE_SE_iNS9_4plusIiEE19head_flag_predicateiEE10hipError_tPvRmT2_T3_T4_T5_mT6_T7_P12ihipStream_tbENKUlT_T0_E_clISt17integral_constantIbLb1EESY_EEDaST_SU_EUlST_E_NS1_11comp_targetILNS1_3genE4ELNS1_11target_archE910ELNS1_3gpuE8ELNS1_3repE0EEENS1_30default_config_static_selectorELNS0_4arch9wavefront6targetE0EEEvT1_.uses_vcc, 0
	.set _ZN7rocprim17ROCPRIM_400000_NS6detail17trampoline_kernelINS0_14default_configENS1_27scan_by_key_config_selectorIiiEEZZNS1_16scan_by_key_implILNS1_25lookback_scan_determinismE0ELb0ES3_N6thrust23THRUST_200600_302600_NS6detail15normal_iteratorINS9_10device_ptrIiEEEESE_SE_iNS9_4plusIiEE19head_flag_predicateiEE10hipError_tPvRmT2_T3_T4_T5_mT6_T7_P12ihipStream_tbENKUlT_T0_E_clISt17integral_constantIbLb1EESY_EEDaST_SU_EUlST_E_NS1_11comp_targetILNS1_3genE4ELNS1_11target_archE910ELNS1_3gpuE8ELNS1_3repE0EEENS1_30default_config_static_selectorELNS0_4arch9wavefront6targetE0EEEvT1_.uses_flat_scratch, 0
	.set _ZN7rocprim17ROCPRIM_400000_NS6detail17trampoline_kernelINS0_14default_configENS1_27scan_by_key_config_selectorIiiEEZZNS1_16scan_by_key_implILNS1_25lookback_scan_determinismE0ELb0ES3_N6thrust23THRUST_200600_302600_NS6detail15normal_iteratorINS9_10device_ptrIiEEEESE_SE_iNS9_4plusIiEE19head_flag_predicateiEE10hipError_tPvRmT2_T3_T4_T5_mT6_T7_P12ihipStream_tbENKUlT_T0_E_clISt17integral_constantIbLb1EESY_EEDaST_SU_EUlST_E_NS1_11comp_targetILNS1_3genE4ELNS1_11target_archE910ELNS1_3gpuE8ELNS1_3repE0EEENS1_30default_config_static_selectorELNS0_4arch9wavefront6targetE0EEEvT1_.has_dyn_sized_stack, 0
	.set _ZN7rocprim17ROCPRIM_400000_NS6detail17trampoline_kernelINS0_14default_configENS1_27scan_by_key_config_selectorIiiEEZZNS1_16scan_by_key_implILNS1_25lookback_scan_determinismE0ELb0ES3_N6thrust23THRUST_200600_302600_NS6detail15normal_iteratorINS9_10device_ptrIiEEEESE_SE_iNS9_4plusIiEE19head_flag_predicateiEE10hipError_tPvRmT2_T3_T4_T5_mT6_T7_P12ihipStream_tbENKUlT_T0_E_clISt17integral_constantIbLb1EESY_EEDaST_SU_EUlST_E_NS1_11comp_targetILNS1_3genE4ELNS1_11target_archE910ELNS1_3gpuE8ELNS1_3repE0EEENS1_30default_config_static_selectorELNS0_4arch9wavefront6targetE0EEEvT1_.has_recursion, 0
	.set _ZN7rocprim17ROCPRIM_400000_NS6detail17trampoline_kernelINS0_14default_configENS1_27scan_by_key_config_selectorIiiEEZZNS1_16scan_by_key_implILNS1_25lookback_scan_determinismE0ELb0ES3_N6thrust23THRUST_200600_302600_NS6detail15normal_iteratorINS9_10device_ptrIiEEEESE_SE_iNS9_4plusIiEE19head_flag_predicateiEE10hipError_tPvRmT2_T3_T4_T5_mT6_T7_P12ihipStream_tbENKUlT_T0_E_clISt17integral_constantIbLb1EESY_EEDaST_SU_EUlST_E_NS1_11comp_targetILNS1_3genE4ELNS1_11target_archE910ELNS1_3gpuE8ELNS1_3repE0EEENS1_30default_config_static_selectorELNS0_4arch9wavefront6targetE0EEEvT1_.has_indirect_call, 0
	.section	.AMDGPU.csdata,"",@progbits
; Kernel info:
; codeLenInByte = 0
; TotalNumSgprs: 0
; NumVgprs: 0
; ScratchSize: 0
; MemoryBound: 0
; FloatMode: 240
; IeeeMode: 1
; LDSByteSize: 0 bytes/workgroup (compile time only)
; SGPRBlocks: 0
; VGPRBlocks: 0
; NumSGPRsForWavesPerEU: 1
; NumVGPRsForWavesPerEU: 1
; Occupancy: 16
; WaveLimiterHint : 0
; COMPUTE_PGM_RSRC2:SCRATCH_EN: 0
; COMPUTE_PGM_RSRC2:USER_SGPR: 6
; COMPUTE_PGM_RSRC2:TRAP_HANDLER: 0
; COMPUTE_PGM_RSRC2:TGID_X_EN: 1
; COMPUTE_PGM_RSRC2:TGID_Y_EN: 0
; COMPUTE_PGM_RSRC2:TGID_Z_EN: 0
; COMPUTE_PGM_RSRC2:TIDIG_COMP_CNT: 0
	.section	.text._ZN7rocprim17ROCPRIM_400000_NS6detail17trampoline_kernelINS0_14default_configENS1_27scan_by_key_config_selectorIiiEEZZNS1_16scan_by_key_implILNS1_25lookback_scan_determinismE0ELb0ES3_N6thrust23THRUST_200600_302600_NS6detail15normal_iteratorINS9_10device_ptrIiEEEESE_SE_iNS9_4plusIiEE19head_flag_predicateiEE10hipError_tPvRmT2_T3_T4_T5_mT6_T7_P12ihipStream_tbENKUlT_T0_E_clISt17integral_constantIbLb1EESY_EEDaST_SU_EUlST_E_NS1_11comp_targetILNS1_3genE3ELNS1_11target_archE908ELNS1_3gpuE7ELNS1_3repE0EEENS1_30default_config_static_selectorELNS0_4arch9wavefront6targetE0EEEvT1_,"axG",@progbits,_ZN7rocprim17ROCPRIM_400000_NS6detail17trampoline_kernelINS0_14default_configENS1_27scan_by_key_config_selectorIiiEEZZNS1_16scan_by_key_implILNS1_25lookback_scan_determinismE0ELb0ES3_N6thrust23THRUST_200600_302600_NS6detail15normal_iteratorINS9_10device_ptrIiEEEESE_SE_iNS9_4plusIiEE19head_flag_predicateiEE10hipError_tPvRmT2_T3_T4_T5_mT6_T7_P12ihipStream_tbENKUlT_T0_E_clISt17integral_constantIbLb1EESY_EEDaST_SU_EUlST_E_NS1_11comp_targetILNS1_3genE3ELNS1_11target_archE908ELNS1_3gpuE7ELNS1_3repE0EEENS1_30default_config_static_selectorELNS0_4arch9wavefront6targetE0EEEvT1_,comdat
	.protected	_ZN7rocprim17ROCPRIM_400000_NS6detail17trampoline_kernelINS0_14default_configENS1_27scan_by_key_config_selectorIiiEEZZNS1_16scan_by_key_implILNS1_25lookback_scan_determinismE0ELb0ES3_N6thrust23THRUST_200600_302600_NS6detail15normal_iteratorINS9_10device_ptrIiEEEESE_SE_iNS9_4plusIiEE19head_flag_predicateiEE10hipError_tPvRmT2_T3_T4_T5_mT6_T7_P12ihipStream_tbENKUlT_T0_E_clISt17integral_constantIbLb1EESY_EEDaST_SU_EUlST_E_NS1_11comp_targetILNS1_3genE3ELNS1_11target_archE908ELNS1_3gpuE7ELNS1_3repE0EEENS1_30default_config_static_selectorELNS0_4arch9wavefront6targetE0EEEvT1_ ; -- Begin function _ZN7rocprim17ROCPRIM_400000_NS6detail17trampoline_kernelINS0_14default_configENS1_27scan_by_key_config_selectorIiiEEZZNS1_16scan_by_key_implILNS1_25lookback_scan_determinismE0ELb0ES3_N6thrust23THRUST_200600_302600_NS6detail15normal_iteratorINS9_10device_ptrIiEEEESE_SE_iNS9_4plusIiEE19head_flag_predicateiEE10hipError_tPvRmT2_T3_T4_T5_mT6_T7_P12ihipStream_tbENKUlT_T0_E_clISt17integral_constantIbLb1EESY_EEDaST_SU_EUlST_E_NS1_11comp_targetILNS1_3genE3ELNS1_11target_archE908ELNS1_3gpuE7ELNS1_3repE0EEENS1_30default_config_static_selectorELNS0_4arch9wavefront6targetE0EEEvT1_
	.globl	_ZN7rocprim17ROCPRIM_400000_NS6detail17trampoline_kernelINS0_14default_configENS1_27scan_by_key_config_selectorIiiEEZZNS1_16scan_by_key_implILNS1_25lookback_scan_determinismE0ELb0ES3_N6thrust23THRUST_200600_302600_NS6detail15normal_iteratorINS9_10device_ptrIiEEEESE_SE_iNS9_4plusIiEE19head_flag_predicateiEE10hipError_tPvRmT2_T3_T4_T5_mT6_T7_P12ihipStream_tbENKUlT_T0_E_clISt17integral_constantIbLb1EESY_EEDaST_SU_EUlST_E_NS1_11comp_targetILNS1_3genE3ELNS1_11target_archE908ELNS1_3gpuE7ELNS1_3repE0EEENS1_30default_config_static_selectorELNS0_4arch9wavefront6targetE0EEEvT1_
	.p2align	8
	.type	_ZN7rocprim17ROCPRIM_400000_NS6detail17trampoline_kernelINS0_14default_configENS1_27scan_by_key_config_selectorIiiEEZZNS1_16scan_by_key_implILNS1_25lookback_scan_determinismE0ELb0ES3_N6thrust23THRUST_200600_302600_NS6detail15normal_iteratorINS9_10device_ptrIiEEEESE_SE_iNS9_4plusIiEE19head_flag_predicateiEE10hipError_tPvRmT2_T3_T4_T5_mT6_T7_P12ihipStream_tbENKUlT_T0_E_clISt17integral_constantIbLb1EESY_EEDaST_SU_EUlST_E_NS1_11comp_targetILNS1_3genE3ELNS1_11target_archE908ELNS1_3gpuE7ELNS1_3repE0EEENS1_30default_config_static_selectorELNS0_4arch9wavefront6targetE0EEEvT1_,@function
_ZN7rocprim17ROCPRIM_400000_NS6detail17trampoline_kernelINS0_14default_configENS1_27scan_by_key_config_selectorIiiEEZZNS1_16scan_by_key_implILNS1_25lookback_scan_determinismE0ELb0ES3_N6thrust23THRUST_200600_302600_NS6detail15normal_iteratorINS9_10device_ptrIiEEEESE_SE_iNS9_4plusIiEE19head_flag_predicateiEE10hipError_tPvRmT2_T3_T4_T5_mT6_T7_P12ihipStream_tbENKUlT_T0_E_clISt17integral_constantIbLb1EESY_EEDaST_SU_EUlST_E_NS1_11comp_targetILNS1_3genE3ELNS1_11target_archE908ELNS1_3gpuE7ELNS1_3repE0EEENS1_30default_config_static_selectorELNS0_4arch9wavefront6targetE0EEEvT1_: ; @_ZN7rocprim17ROCPRIM_400000_NS6detail17trampoline_kernelINS0_14default_configENS1_27scan_by_key_config_selectorIiiEEZZNS1_16scan_by_key_implILNS1_25lookback_scan_determinismE0ELb0ES3_N6thrust23THRUST_200600_302600_NS6detail15normal_iteratorINS9_10device_ptrIiEEEESE_SE_iNS9_4plusIiEE19head_flag_predicateiEE10hipError_tPvRmT2_T3_T4_T5_mT6_T7_P12ihipStream_tbENKUlT_T0_E_clISt17integral_constantIbLb1EESY_EEDaST_SU_EUlST_E_NS1_11comp_targetILNS1_3genE3ELNS1_11target_archE908ELNS1_3gpuE7ELNS1_3repE0EEENS1_30default_config_static_selectorELNS0_4arch9wavefront6targetE0EEEvT1_
; %bb.0:
	.section	.rodata,"a",@progbits
	.p2align	6, 0x0
	.amdhsa_kernel _ZN7rocprim17ROCPRIM_400000_NS6detail17trampoline_kernelINS0_14default_configENS1_27scan_by_key_config_selectorIiiEEZZNS1_16scan_by_key_implILNS1_25lookback_scan_determinismE0ELb0ES3_N6thrust23THRUST_200600_302600_NS6detail15normal_iteratorINS9_10device_ptrIiEEEESE_SE_iNS9_4plusIiEE19head_flag_predicateiEE10hipError_tPvRmT2_T3_T4_T5_mT6_T7_P12ihipStream_tbENKUlT_T0_E_clISt17integral_constantIbLb1EESY_EEDaST_SU_EUlST_E_NS1_11comp_targetILNS1_3genE3ELNS1_11target_archE908ELNS1_3gpuE7ELNS1_3repE0EEENS1_30default_config_static_selectorELNS0_4arch9wavefront6targetE0EEEvT1_
		.amdhsa_group_segment_fixed_size 0
		.amdhsa_private_segment_fixed_size 0
		.amdhsa_kernarg_size 112
		.amdhsa_user_sgpr_count 6
		.amdhsa_user_sgpr_private_segment_buffer 1
		.amdhsa_user_sgpr_dispatch_ptr 0
		.amdhsa_user_sgpr_queue_ptr 0
		.amdhsa_user_sgpr_kernarg_segment_ptr 1
		.amdhsa_user_sgpr_dispatch_id 0
		.amdhsa_user_sgpr_flat_scratch_init 0
		.amdhsa_user_sgpr_private_segment_size 0
		.amdhsa_wavefront_size32 1
		.amdhsa_uses_dynamic_stack 0
		.amdhsa_system_sgpr_private_segment_wavefront_offset 0
		.amdhsa_system_sgpr_workgroup_id_x 1
		.amdhsa_system_sgpr_workgroup_id_y 0
		.amdhsa_system_sgpr_workgroup_id_z 0
		.amdhsa_system_sgpr_workgroup_info 0
		.amdhsa_system_vgpr_workitem_id 0
		.amdhsa_next_free_vgpr 1
		.amdhsa_next_free_sgpr 1
		.amdhsa_reserve_vcc 0
		.amdhsa_reserve_flat_scratch 0
		.amdhsa_float_round_mode_32 0
		.amdhsa_float_round_mode_16_64 0
		.amdhsa_float_denorm_mode_32 3
		.amdhsa_float_denorm_mode_16_64 3
		.amdhsa_dx10_clamp 1
		.amdhsa_ieee_mode 1
		.amdhsa_fp16_overflow 0
		.amdhsa_workgroup_processor_mode 1
		.amdhsa_memory_ordered 1
		.amdhsa_forward_progress 1
		.amdhsa_shared_vgpr_count 0
		.amdhsa_exception_fp_ieee_invalid_op 0
		.amdhsa_exception_fp_denorm_src 0
		.amdhsa_exception_fp_ieee_div_zero 0
		.amdhsa_exception_fp_ieee_overflow 0
		.amdhsa_exception_fp_ieee_underflow 0
		.amdhsa_exception_fp_ieee_inexact 0
		.amdhsa_exception_int_div_zero 0
	.end_amdhsa_kernel
	.section	.text._ZN7rocprim17ROCPRIM_400000_NS6detail17trampoline_kernelINS0_14default_configENS1_27scan_by_key_config_selectorIiiEEZZNS1_16scan_by_key_implILNS1_25lookback_scan_determinismE0ELb0ES3_N6thrust23THRUST_200600_302600_NS6detail15normal_iteratorINS9_10device_ptrIiEEEESE_SE_iNS9_4plusIiEE19head_flag_predicateiEE10hipError_tPvRmT2_T3_T4_T5_mT6_T7_P12ihipStream_tbENKUlT_T0_E_clISt17integral_constantIbLb1EESY_EEDaST_SU_EUlST_E_NS1_11comp_targetILNS1_3genE3ELNS1_11target_archE908ELNS1_3gpuE7ELNS1_3repE0EEENS1_30default_config_static_selectorELNS0_4arch9wavefront6targetE0EEEvT1_,"axG",@progbits,_ZN7rocprim17ROCPRIM_400000_NS6detail17trampoline_kernelINS0_14default_configENS1_27scan_by_key_config_selectorIiiEEZZNS1_16scan_by_key_implILNS1_25lookback_scan_determinismE0ELb0ES3_N6thrust23THRUST_200600_302600_NS6detail15normal_iteratorINS9_10device_ptrIiEEEESE_SE_iNS9_4plusIiEE19head_flag_predicateiEE10hipError_tPvRmT2_T3_T4_T5_mT6_T7_P12ihipStream_tbENKUlT_T0_E_clISt17integral_constantIbLb1EESY_EEDaST_SU_EUlST_E_NS1_11comp_targetILNS1_3genE3ELNS1_11target_archE908ELNS1_3gpuE7ELNS1_3repE0EEENS1_30default_config_static_selectorELNS0_4arch9wavefront6targetE0EEEvT1_,comdat
.Lfunc_end762:
	.size	_ZN7rocprim17ROCPRIM_400000_NS6detail17trampoline_kernelINS0_14default_configENS1_27scan_by_key_config_selectorIiiEEZZNS1_16scan_by_key_implILNS1_25lookback_scan_determinismE0ELb0ES3_N6thrust23THRUST_200600_302600_NS6detail15normal_iteratorINS9_10device_ptrIiEEEESE_SE_iNS9_4plusIiEE19head_flag_predicateiEE10hipError_tPvRmT2_T3_T4_T5_mT6_T7_P12ihipStream_tbENKUlT_T0_E_clISt17integral_constantIbLb1EESY_EEDaST_SU_EUlST_E_NS1_11comp_targetILNS1_3genE3ELNS1_11target_archE908ELNS1_3gpuE7ELNS1_3repE0EEENS1_30default_config_static_selectorELNS0_4arch9wavefront6targetE0EEEvT1_, .Lfunc_end762-_ZN7rocprim17ROCPRIM_400000_NS6detail17trampoline_kernelINS0_14default_configENS1_27scan_by_key_config_selectorIiiEEZZNS1_16scan_by_key_implILNS1_25lookback_scan_determinismE0ELb0ES3_N6thrust23THRUST_200600_302600_NS6detail15normal_iteratorINS9_10device_ptrIiEEEESE_SE_iNS9_4plusIiEE19head_flag_predicateiEE10hipError_tPvRmT2_T3_T4_T5_mT6_T7_P12ihipStream_tbENKUlT_T0_E_clISt17integral_constantIbLb1EESY_EEDaST_SU_EUlST_E_NS1_11comp_targetILNS1_3genE3ELNS1_11target_archE908ELNS1_3gpuE7ELNS1_3repE0EEENS1_30default_config_static_selectorELNS0_4arch9wavefront6targetE0EEEvT1_
                                        ; -- End function
	.set _ZN7rocprim17ROCPRIM_400000_NS6detail17trampoline_kernelINS0_14default_configENS1_27scan_by_key_config_selectorIiiEEZZNS1_16scan_by_key_implILNS1_25lookback_scan_determinismE0ELb0ES3_N6thrust23THRUST_200600_302600_NS6detail15normal_iteratorINS9_10device_ptrIiEEEESE_SE_iNS9_4plusIiEE19head_flag_predicateiEE10hipError_tPvRmT2_T3_T4_T5_mT6_T7_P12ihipStream_tbENKUlT_T0_E_clISt17integral_constantIbLb1EESY_EEDaST_SU_EUlST_E_NS1_11comp_targetILNS1_3genE3ELNS1_11target_archE908ELNS1_3gpuE7ELNS1_3repE0EEENS1_30default_config_static_selectorELNS0_4arch9wavefront6targetE0EEEvT1_.num_vgpr, 0
	.set _ZN7rocprim17ROCPRIM_400000_NS6detail17trampoline_kernelINS0_14default_configENS1_27scan_by_key_config_selectorIiiEEZZNS1_16scan_by_key_implILNS1_25lookback_scan_determinismE0ELb0ES3_N6thrust23THRUST_200600_302600_NS6detail15normal_iteratorINS9_10device_ptrIiEEEESE_SE_iNS9_4plusIiEE19head_flag_predicateiEE10hipError_tPvRmT2_T3_T4_T5_mT6_T7_P12ihipStream_tbENKUlT_T0_E_clISt17integral_constantIbLb1EESY_EEDaST_SU_EUlST_E_NS1_11comp_targetILNS1_3genE3ELNS1_11target_archE908ELNS1_3gpuE7ELNS1_3repE0EEENS1_30default_config_static_selectorELNS0_4arch9wavefront6targetE0EEEvT1_.num_agpr, 0
	.set _ZN7rocprim17ROCPRIM_400000_NS6detail17trampoline_kernelINS0_14default_configENS1_27scan_by_key_config_selectorIiiEEZZNS1_16scan_by_key_implILNS1_25lookback_scan_determinismE0ELb0ES3_N6thrust23THRUST_200600_302600_NS6detail15normal_iteratorINS9_10device_ptrIiEEEESE_SE_iNS9_4plusIiEE19head_flag_predicateiEE10hipError_tPvRmT2_T3_T4_T5_mT6_T7_P12ihipStream_tbENKUlT_T0_E_clISt17integral_constantIbLb1EESY_EEDaST_SU_EUlST_E_NS1_11comp_targetILNS1_3genE3ELNS1_11target_archE908ELNS1_3gpuE7ELNS1_3repE0EEENS1_30default_config_static_selectorELNS0_4arch9wavefront6targetE0EEEvT1_.numbered_sgpr, 0
	.set _ZN7rocprim17ROCPRIM_400000_NS6detail17trampoline_kernelINS0_14default_configENS1_27scan_by_key_config_selectorIiiEEZZNS1_16scan_by_key_implILNS1_25lookback_scan_determinismE0ELb0ES3_N6thrust23THRUST_200600_302600_NS6detail15normal_iteratorINS9_10device_ptrIiEEEESE_SE_iNS9_4plusIiEE19head_flag_predicateiEE10hipError_tPvRmT2_T3_T4_T5_mT6_T7_P12ihipStream_tbENKUlT_T0_E_clISt17integral_constantIbLb1EESY_EEDaST_SU_EUlST_E_NS1_11comp_targetILNS1_3genE3ELNS1_11target_archE908ELNS1_3gpuE7ELNS1_3repE0EEENS1_30default_config_static_selectorELNS0_4arch9wavefront6targetE0EEEvT1_.num_named_barrier, 0
	.set _ZN7rocprim17ROCPRIM_400000_NS6detail17trampoline_kernelINS0_14default_configENS1_27scan_by_key_config_selectorIiiEEZZNS1_16scan_by_key_implILNS1_25lookback_scan_determinismE0ELb0ES3_N6thrust23THRUST_200600_302600_NS6detail15normal_iteratorINS9_10device_ptrIiEEEESE_SE_iNS9_4plusIiEE19head_flag_predicateiEE10hipError_tPvRmT2_T3_T4_T5_mT6_T7_P12ihipStream_tbENKUlT_T0_E_clISt17integral_constantIbLb1EESY_EEDaST_SU_EUlST_E_NS1_11comp_targetILNS1_3genE3ELNS1_11target_archE908ELNS1_3gpuE7ELNS1_3repE0EEENS1_30default_config_static_selectorELNS0_4arch9wavefront6targetE0EEEvT1_.private_seg_size, 0
	.set _ZN7rocprim17ROCPRIM_400000_NS6detail17trampoline_kernelINS0_14default_configENS1_27scan_by_key_config_selectorIiiEEZZNS1_16scan_by_key_implILNS1_25lookback_scan_determinismE0ELb0ES3_N6thrust23THRUST_200600_302600_NS6detail15normal_iteratorINS9_10device_ptrIiEEEESE_SE_iNS9_4plusIiEE19head_flag_predicateiEE10hipError_tPvRmT2_T3_T4_T5_mT6_T7_P12ihipStream_tbENKUlT_T0_E_clISt17integral_constantIbLb1EESY_EEDaST_SU_EUlST_E_NS1_11comp_targetILNS1_3genE3ELNS1_11target_archE908ELNS1_3gpuE7ELNS1_3repE0EEENS1_30default_config_static_selectorELNS0_4arch9wavefront6targetE0EEEvT1_.uses_vcc, 0
	.set _ZN7rocprim17ROCPRIM_400000_NS6detail17trampoline_kernelINS0_14default_configENS1_27scan_by_key_config_selectorIiiEEZZNS1_16scan_by_key_implILNS1_25lookback_scan_determinismE0ELb0ES3_N6thrust23THRUST_200600_302600_NS6detail15normal_iteratorINS9_10device_ptrIiEEEESE_SE_iNS9_4plusIiEE19head_flag_predicateiEE10hipError_tPvRmT2_T3_T4_T5_mT6_T7_P12ihipStream_tbENKUlT_T0_E_clISt17integral_constantIbLb1EESY_EEDaST_SU_EUlST_E_NS1_11comp_targetILNS1_3genE3ELNS1_11target_archE908ELNS1_3gpuE7ELNS1_3repE0EEENS1_30default_config_static_selectorELNS0_4arch9wavefront6targetE0EEEvT1_.uses_flat_scratch, 0
	.set _ZN7rocprim17ROCPRIM_400000_NS6detail17trampoline_kernelINS0_14default_configENS1_27scan_by_key_config_selectorIiiEEZZNS1_16scan_by_key_implILNS1_25lookback_scan_determinismE0ELb0ES3_N6thrust23THRUST_200600_302600_NS6detail15normal_iteratorINS9_10device_ptrIiEEEESE_SE_iNS9_4plusIiEE19head_flag_predicateiEE10hipError_tPvRmT2_T3_T4_T5_mT6_T7_P12ihipStream_tbENKUlT_T0_E_clISt17integral_constantIbLb1EESY_EEDaST_SU_EUlST_E_NS1_11comp_targetILNS1_3genE3ELNS1_11target_archE908ELNS1_3gpuE7ELNS1_3repE0EEENS1_30default_config_static_selectorELNS0_4arch9wavefront6targetE0EEEvT1_.has_dyn_sized_stack, 0
	.set _ZN7rocprim17ROCPRIM_400000_NS6detail17trampoline_kernelINS0_14default_configENS1_27scan_by_key_config_selectorIiiEEZZNS1_16scan_by_key_implILNS1_25lookback_scan_determinismE0ELb0ES3_N6thrust23THRUST_200600_302600_NS6detail15normal_iteratorINS9_10device_ptrIiEEEESE_SE_iNS9_4plusIiEE19head_flag_predicateiEE10hipError_tPvRmT2_T3_T4_T5_mT6_T7_P12ihipStream_tbENKUlT_T0_E_clISt17integral_constantIbLb1EESY_EEDaST_SU_EUlST_E_NS1_11comp_targetILNS1_3genE3ELNS1_11target_archE908ELNS1_3gpuE7ELNS1_3repE0EEENS1_30default_config_static_selectorELNS0_4arch9wavefront6targetE0EEEvT1_.has_recursion, 0
	.set _ZN7rocprim17ROCPRIM_400000_NS6detail17trampoline_kernelINS0_14default_configENS1_27scan_by_key_config_selectorIiiEEZZNS1_16scan_by_key_implILNS1_25lookback_scan_determinismE0ELb0ES3_N6thrust23THRUST_200600_302600_NS6detail15normal_iteratorINS9_10device_ptrIiEEEESE_SE_iNS9_4plusIiEE19head_flag_predicateiEE10hipError_tPvRmT2_T3_T4_T5_mT6_T7_P12ihipStream_tbENKUlT_T0_E_clISt17integral_constantIbLb1EESY_EEDaST_SU_EUlST_E_NS1_11comp_targetILNS1_3genE3ELNS1_11target_archE908ELNS1_3gpuE7ELNS1_3repE0EEENS1_30default_config_static_selectorELNS0_4arch9wavefront6targetE0EEEvT1_.has_indirect_call, 0
	.section	.AMDGPU.csdata,"",@progbits
; Kernel info:
; codeLenInByte = 0
; TotalNumSgprs: 0
; NumVgprs: 0
; ScratchSize: 0
; MemoryBound: 0
; FloatMode: 240
; IeeeMode: 1
; LDSByteSize: 0 bytes/workgroup (compile time only)
; SGPRBlocks: 0
; VGPRBlocks: 0
; NumSGPRsForWavesPerEU: 1
; NumVGPRsForWavesPerEU: 1
; Occupancy: 16
; WaveLimiterHint : 0
; COMPUTE_PGM_RSRC2:SCRATCH_EN: 0
; COMPUTE_PGM_RSRC2:USER_SGPR: 6
; COMPUTE_PGM_RSRC2:TRAP_HANDLER: 0
; COMPUTE_PGM_RSRC2:TGID_X_EN: 1
; COMPUTE_PGM_RSRC2:TGID_Y_EN: 0
; COMPUTE_PGM_RSRC2:TGID_Z_EN: 0
; COMPUTE_PGM_RSRC2:TIDIG_COMP_CNT: 0
	.section	.text._ZN7rocprim17ROCPRIM_400000_NS6detail17trampoline_kernelINS0_14default_configENS1_27scan_by_key_config_selectorIiiEEZZNS1_16scan_by_key_implILNS1_25lookback_scan_determinismE0ELb0ES3_N6thrust23THRUST_200600_302600_NS6detail15normal_iteratorINS9_10device_ptrIiEEEESE_SE_iNS9_4plusIiEE19head_flag_predicateiEE10hipError_tPvRmT2_T3_T4_T5_mT6_T7_P12ihipStream_tbENKUlT_T0_E_clISt17integral_constantIbLb1EESY_EEDaST_SU_EUlST_E_NS1_11comp_targetILNS1_3genE2ELNS1_11target_archE906ELNS1_3gpuE6ELNS1_3repE0EEENS1_30default_config_static_selectorELNS0_4arch9wavefront6targetE0EEEvT1_,"axG",@progbits,_ZN7rocprim17ROCPRIM_400000_NS6detail17trampoline_kernelINS0_14default_configENS1_27scan_by_key_config_selectorIiiEEZZNS1_16scan_by_key_implILNS1_25lookback_scan_determinismE0ELb0ES3_N6thrust23THRUST_200600_302600_NS6detail15normal_iteratorINS9_10device_ptrIiEEEESE_SE_iNS9_4plusIiEE19head_flag_predicateiEE10hipError_tPvRmT2_T3_T4_T5_mT6_T7_P12ihipStream_tbENKUlT_T0_E_clISt17integral_constantIbLb1EESY_EEDaST_SU_EUlST_E_NS1_11comp_targetILNS1_3genE2ELNS1_11target_archE906ELNS1_3gpuE6ELNS1_3repE0EEENS1_30default_config_static_selectorELNS0_4arch9wavefront6targetE0EEEvT1_,comdat
	.protected	_ZN7rocprim17ROCPRIM_400000_NS6detail17trampoline_kernelINS0_14default_configENS1_27scan_by_key_config_selectorIiiEEZZNS1_16scan_by_key_implILNS1_25lookback_scan_determinismE0ELb0ES3_N6thrust23THRUST_200600_302600_NS6detail15normal_iteratorINS9_10device_ptrIiEEEESE_SE_iNS9_4plusIiEE19head_flag_predicateiEE10hipError_tPvRmT2_T3_T4_T5_mT6_T7_P12ihipStream_tbENKUlT_T0_E_clISt17integral_constantIbLb1EESY_EEDaST_SU_EUlST_E_NS1_11comp_targetILNS1_3genE2ELNS1_11target_archE906ELNS1_3gpuE6ELNS1_3repE0EEENS1_30default_config_static_selectorELNS0_4arch9wavefront6targetE0EEEvT1_ ; -- Begin function _ZN7rocprim17ROCPRIM_400000_NS6detail17trampoline_kernelINS0_14default_configENS1_27scan_by_key_config_selectorIiiEEZZNS1_16scan_by_key_implILNS1_25lookback_scan_determinismE0ELb0ES3_N6thrust23THRUST_200600_302600_NS6detail15normal_iteratorINS9_10device_ptrIiEEEESE_SE_iNS9_4plusIiEE19head_flag_predicateiEE10hipError_tPvRmT2_T3_T4_T5_mT6_T7_P12ihipStream_tbENKUlT_T0_E_clISt17integral_constantIbLb1EESY_EEDaST_SU_EUlST_E_NS1_11comp_targetILNS1_3genE2ELNS1_11target_archE906ELNS1_3gpuE6ELNS1_3repE0EEENS1_30default_config_static_selectorELNS0_4arch9wavefront6targetE0EEEvT1_
	.globl	_ZN7rocprim17ROCPRIM_400000_NS6detail17trampoline_kernelINS0_14default_configENS1_27scan_by_key_config_selectorIiiEEZZNS1_16scan_by_key_implILNS1_25lookback_scan_determinismE0ELb0ES3_N6thrust23THRUST_200600_302600_NS6detail15normal_iteratorINS9_10device_ptrIiEEEESE_SE_iNS9_4plusIiEE19head_flag_predicateiEE10hipError_tPvRmT2_T3_T4_T5_mT6_T7_P12ihipStream_tbENKUlT_T0_E_clISt17integral_constantIbLb1EESY_EEDaST_SU_EUlST_E_NS1_11comp_targetILNS1_3genE2ELNS1_11target_archE906ELNS1_3gpuE6ELNS1_3repE0EEENS1_30default_config_static_selectorELNS0_4arch9wavefront6targetE0EEEvT1_
	.p2align	8
	.type	_ZN7rocprim17ROCPRIM_400000_NS6detail17trampoline_kernelINS0_14default_configENS1_27scan_by_key_config_selectorIiiEEZZNS1_16scan_by_key_implILNS1_25lookback_scan_determinismE0ELb0ES3_N6thrust23THRUST_200600_302600_NS6detail15normal_iteratorINS9_10device_ptrIiEEEESE_SE_iNS9_4plusIiEE19head_flag_predicateiEE10hipError_tPvRmT2_T3_T4_T5_mT6_T7_P12ihipStream_tbENKUlT_T0_E_clISt17integral_constantIbLb1EESY_EEDaST_SU_EUlST_E_NS1_11comp_targetILNS1_3genE2ELNS1_11target_archE906ELNS1_3gpuE6ELNS1_3repE0EEENS1_30default_config_static_selectorELNS0_4arch9wavefront6targetE0EEEvT1_,@function
_ZN7rocprim17ROCPRIM_400000_NS6detail17trampoline_kernelINS0_14default_configENS1_27scan_by_key_config_selectorIiiEEZZNS1_16scan_by_key_implILNS1_25lookback_scan_determinismE0ELb0ES3_N6thrust23THRUST_200600_302600_NS6detail15normal_iteratorINS9_10device_ptrIiEEEESE_SE_iNS9_4plusIiEE19head_flag_predicateiEE10hipError_tPvRmT2_T3_T4_T5_mT6_T7_P12ihipStream_tbENKUlT_T0_E_clISt17integral_constantIbLb1EESY_EEDaST_SU_EUlST_E_NS1_11comp_targetILNS1_3genE2ELNS1_11target_archE906ELNS1_3gpuE6ELNS1_3repE0EEENS1_30default_config_static_selectorELNS0_4arch9wavefront6targetE0EEEvT1_: ; @_ZN7rocprim17ROCPRIM_400000_NS6detail17trampoline_kernelINS0_14default_configENS1_27scan_by_key_config_selectorIiiEEZZNS1_16scan_by_key_implILNS1_25lookback_scan_determinismE0ELb0ES3_N6thrust23THRUST_200600_302600_NS6detail15normal_iteratorINS9_10device_ptrIiEEEESE_SE_iNS9_4plusIiEE19head_flag_predicateiEE10hipError_tPvRmT2_T3_T4_T5_mT6_T7_P12ihipStream_tbENKUlT_T0_E_clISt17integral_constantIbLb1EESY_EEDaST_SU_EUlST_E_NS1_11comp_targetILNS1_3genE2ELNS1_11target_archE906ELNS1_3gpuE6ELNS1_3repE0EEENS1_30default_config_static_selectorELNS0_4arch9wavefront6targetE0EEEvT1_
; %bb.0:
	.section	.rodata,"a",@progbits
	.p2align	6, 0x0
	.amdhsa_kernel _ZN7rocprim17ROCPRIM_400000_NS6detail17trampoline_kernelINS0_14default_configENS1_27scan_by_key_config_selectorIiiEEZZNS1_16scan_by_key_implILNS1_25lookback_scan_determinismE0ELb0ES3_N6thrust23THRUST_200600_302600_NS6detail15normal_iteratorINS9_10device_ptrIiEEEESE_SE_iNS9_4plusIiEE19head_flag_predicateiEE10hipError_tPvRmT2_T3_T4_T5_mT6_T7_P12ihipStream_tbENKUlT_T0_E_clISt17integral_constantIbLb1EESY_EEDaST_SU_EUlST_E_NS1_11comp_targetILNS1_3genE2ELNS1_11target_archE906ELNS1_3gpuE6ELNS1_3repE0EEENS1_30default_config_static_selectorELNS0_4arch9wavefront6targetE0EEEvT1_
		.amdhsa_group_segment_fixed_size 0
		.amdhsa_private_segment_fixed_size 0
		.amdhsa_kernarg_size 112
		.amdhsa_user_sgpr_count 6
		.amdhsa_user_sgpr_private_segment_buffer 1
		.amdhsa_user_sgpr_dispatch_ptr 0
		.amdhsa_user_sgpr_queue_ptr 0
		.amdhsa_user_sgpr_kernarg_segment_ptr 1
		.amdhsa_user_sgpr_dispatch_id 0
		.amdhsa_user_sgpr_flat_scratch_init 0
		.amdhsa_user_sgpr_private_segment_size 0
		.amdhsa_wavefront_size32 1
		.amdhsa_uses_dynamic_stack 0
		.amdhsa_system_sgpr_private_segment_wavefront_offset 0
		.amdhsa_system_sgpr_workgroup_id_x 1
		.amdhsa_system_sgpr_workgroup_id_y 0
		.amdhsa_system_sgpr_workgroup_id_z 0
		.amdhsa_system_sgpr_workgroup_info 0
		.amdhsa_system_vgpr_workitem_id 0
		.amdhsa_next_free_vgpr 1
		.amdhsa_next_free_sgpr 1
		.amdhsa_reserve_vcc 0
		.amdhsa_reserve_flat_scratch 0
		.amdhsa_float_round_mode_32 0
		.amdhsa_float_round_mode_16_64 0
		.amdhsa_float_denorm_mode_32 3
		.amdhsa_float_denorm_mode_16_64 3
		.amdhsa_dx10_clamp 1
		.amdhsa_ieee_mode 1
		.amdhsa_fp16_overflow 0
		.amdhsa_workgroup_processor_mode 1
		.amdhsa_memory_ordered 1
		.amdhsa_forward_progress 1
		.amdhsa_shared_vgpr_count 0
		.amdhsa_exception_fp_ieee_invalid_op 0
		.amdhsa_exception_fp_denorm_src 0
		.amdhsa_exception_fp_ieee_div_zero 0
		.amdhsa_exception_fp_ieee_overflow 0
		.amdhsa_exception_fp_ieee_underflow 0
		.amdhsa_exception_fp_ieee_inexact 0
		.amdhsa_exception_int_div_zero 0
	.end_amdhsa_kernel
	.section	.text._ZN7rocprim17ROCPRIM_400000_NS6detail17trampoline_kernelINS0_14default_configENS1_27scan_by_key_config_selectorIiiEEZZNS1_16scan_by_key_implILNS1_25lookback_scan_determinismE0ELb0ES3_N6thrust23THRUST_200600_302600_NS6detail15normal_iteratorINS9_10device_ptrIiEEEESE_SE_iNS9_4plusIiEE19head_flag_predicateiEE10hipError_tPvRmT2_T3_T4_T5_mT6_T7_P12ihipStream_tbENKUlT_T0_E_clISt17integral_constantIbLb1EESY_EEDaST_SU_EUlST_E_NS1_11comp_targetILNS1_3genE2ELNS1_11target_archE906ELNS1_3gpuE6ELNS1_3repE0EEENS1_30default_config_static_selectorELNS0_4arch9wavefront6targetE0EEEvT1_,"axG",@progbits,_ZN7rocprim17ROCPRIM_400000_NS6detail17trampoline_kernelINS0_14default_configENS1_27scan_by_key_config_selectorIiiEEZZNS1_16scan_by_key_implILNS1_25lookback_scan_determinismE0ELb0ES3_N6thrust23THRUST_200600_302600_NS6detail15normal_iteratorINS9_10device_ptrIiEEEESE_SE_iNS9_4plusIiEE19head_flag_predicateiEE10hipError_tPvRmT2_T3_T4_T5_mT6_T7_P12ihipStream_tbENKUlT_T0_E_clISt17integral_constantIbLb1EESY_EEDaST_SU_EUlST_E_NS1_11comp_targetILNS1_3genE2ELNS1_11target_archE906ELNS1_3gpuE6ELNS1_3repE0EEENS1_30default_config_static_selectorELNS0_4arch9wavefront6targetE0EEEvT1_,comdat
.Lfunc_end763:
	.size	_ZN7rocprim17ROCPRIM_400000_NS6detail17trampoline_kernelINS0_14default_configENS1_27scan_by_key_config_selectorIiiEEZZNS1_16scan_by_key_implILNS1_25lookback_scan_determinismE0ELb0ES3_N6thrust23THRUST_200600_302600_NS6detail15normal_iteratorINS9_10device_ptrIiEEEESE_SE_iNS9_4plusIiEE19head_flag_predicateiEE10hipError_tPvRmT2_T3_T4_T5_mT6_T7_P12ihipStream_tbENKUlT_T0_E_clISt17integral_constantIbLb1EESY_EEDaST_SU_EUlST_E_NS1_11comp_targetILNS1_3genE2ELNS1_11target_archE906ELNS1_3gpuE6ELNS1_3repE0EEENS1_30default_config_static_selectorELNS0_4arch9wavefront6targetE0EEEvT1_, .Lfunc_end763-_ZN7rocprim17ROCPRIM_400000_NS6detail17trampoline_kernelINS0_14default_configENS1_27scan_by_key_config_selectorIiiEEZZNS1_16scan_by_key_implILNS1_25lookback_scan_determinismE0ELb0ES3_N6thrust23THRUST_200600_302600_NS6detail15normal_iteratorINS9_10device_ptrIiEEEESE_SE_iNS9_4plusIiEE19head_flag_predicateiEE10hipError_tPvRmT2_T3_T4_T5_mT6_T7_P12ihipStream_tbENKUlT_T0_E_clISt17integral_constantIbLb1EESY_EEDaST_SU_EUlST_E_NS1_11comp_targetILNS1_3genE2ELNS1_11target_archE906ELNS1_3gpuE6ELNS1_3repE0EEENS1_30default_config_static_selectorELNS0_4arch9wavefront6targetE0EEEvT1_
                                        ; -- End function
	.set _ZN7rocprim17ROCPRIM_400000_NS6detail17trampoline_kernelINS0_14default_configENS1_27scan_by_key_config_selectorIiiEEZZNS1_16scan_by_key_implILNS1_25lookback_scan_determinismE0ELb0ES3_N6thrust23THRUST_200600_302600_NS6detail15normal_iteratorINS9_10device_ptrIiEEEESE_SE_iNS9_4plusIiEE19head_flag_predicateiEE10hipError_tPvRmT2_T3_T4_T5_mT6_T7_P12ihipStream_tbENKUlT_T0_E_clISt17integral_constantIbLb1EESY_EEDaST_SU_EUlST_E_NS1_11comp_targetILNS1_3genE2ELNS1_11target_archE906ELNS1_3gpuE6ELNS1_3repE0EEENS1_30default_config_static_selectorELNS0_4arch9wavefront6targetE0EEEvT1_.num_vgpr, 0
	.set _ZN7rocprim17ROCPRIM_400000_NS6detail17trampoline_kernelINS0_14default_configENS1_27scan_by_key_config_selectorIiiEEZZNS1_16scan_by_key_implILNS1_25lookback_scan_determinismE0ELb0ES3_N6thrust23THRUST_200600_302600_NS6detail15normal_iteratorINS9_10device_ptrIiEEEESE_SE_iNS9_4plusIiEE19head_flag_predicateiEE10hipError_tPvRmT2_T3_T4_T5_mT6_T7_P12ihipStream_tbENKUlT_T0_E_clISt17integral_constantIbLb1EESY_EEDaST_SU_EUlST_E_NS1_11comp_targetILNS1_3genE2ELNS1_11target_archE906ELNS1_3gpuE6ELNS1_3repE0EEENS1_30default_config_static_selectorELNS0_4arch9wavefront6targetE0EEEvT1_.num_agpr, 0
	.set _ZN7rocprim17ROCPRIM_400000_NS6detail17trampoline_kernelINS0_14default_configENS1_27scan_by_key_config_selectorIiiEEZZNS1_16scan_by_key_implILNS1_25lookback_scan_determinismE0ELb0ES3_N6thrust23THRUST_200600_302600_NS6detail15normal_iteratorINS9_10device_ptrIiEEEESE_SE_iNS9_4plusIiEE19head_flag_predicateiEE10hipError_tPvRmT2_T3_T4_T5_mT6_T7_P12ihipStream_tbENKUlT_T0_E_clISt17integral_constantIbLb1EESY_EEDaST_SU_EUlST_E_NS1_11comp_targetILNS1_3genE2ELNS1_11target_archE906ELNS1_3gpuE6ELNS1_3repE0EEENS1_30default_config_static_selectorELNS0_4arch9wavefront6targetE0EEEvT1_.numbered_sgpr, 0
	.set _ZN7rocprim17ROCPRIM_400000_NS6detail17trampoline_kernelINS0_14default_configENS1_27scan_by_key_config_selectorIiiEEZZNS1_16scan_by_key_implILNS1_25lookback_scan_determinismE0ELb0ES3_N6thrust23THRUST_200600_302600_NS6detail15normal_iteratorINS9_10device_ptrIiEEEESE_SE_iNS9_4plusIiEE19head_flag_predicateiEE10hipError_tPvRmT2_T3_T4_T5_mT6_T7_P12ihipStream_tbENKUlT_T0_E_clISt17integral_constantIbLb1EESY_EEDaST_SU_EUlST_E_NS1_11comp_targetILNS1_3genE2ELNS1_11target_archE906ELNS1_3gpuE6ELNS1_3repE0EEENS1_30default_config_static_selectorELNS0_4arch9wavefront6targetE0EEEvT1_.num_named_barrier, 0
	.set _ZN7rocprim17ROCPRIM_400000_NS6detail17trampoline_kernelINS0_14default_configENS1_27scan_by_key_config_selectorIiiEEZZNS1_16scan_by_key_implILNS1_25lookback_scan_determinismE0ELb0ES3_N6thrust23THRUST_200600_302600_NS6detail15normal_iteratorINS9_10device_ptrIiEEEESE_SE_iNS9_4plusIiEE19head_flag_predicateiEE10hipError_tPvRmT2_T3_T4_T5_mT6_T7_P12ihipStream_tbENKUlT_T0_E_clISt17integral_constantIbLb1EESY_EEDaST_SU_EUlST_E_NS1_11comp_targetILNS1_3genE2ELNS1_11target_archE906ELNS1_3gpuE6ELNS1_3repE0EEENS1_30default_config_static_selectorELNS0_4arch9wavefront6targetE0EEEvT1_.private_seg_size, 0
	.set _ZN7rocprim17ROCPRIM_400000_NS6detail17trampoline_kernelINS0_14default_configENS1_27scan_by_key_config_selectorIiiEEZZNS1_16scan_by_key_implILNS1_25lookback_scan_determinismE0ELb0ES3_N6thrust23THRUST_200600_302600_NS6detail15normal_iteratorINS9_10device_ptrIiEEEESE_SE_iNS9_4plusIiEE19head_flag_predicateiEE10hipError_tPvRmT2_T3_T4_T5_mT6_T7_P12ihipStream_tbENKUlT_T0_E_clISt17integral_constantIbLb1EESY_EEDaST_SU_EUlST_E_NS1_11comp_targetILNS1_3genE2ELNS1_11target_archE906ELNS1_3gpuE6ELNS1_3repE0EEENS1_30default_config_static_selectorELNS0_4arch9wavefront6targetE0EEEvT1_.uses_vcc, 0
	.set _ZN7rocprim17ROCPRIM_400000_NS6detail17trampoline_kernelINS0_14default_configENS1_27scan_by_key_config_selectorIiiEEZZNS1_16scan_by_key_implILNS1_25lookback_scan_determinismE0ELb0ES3_N6thrust23THRUST_200600_302600_NS6detail15normal_iteratorINS9_10device_ptrIiEEEESE_SE_iNS9_4plusIiEE19head_flag_predicateiEE10hipError_tPvRmT2_T3_T4_T5_mT6_T7_P12ihipStream_tbENKUlT_T0_E_clISt17integral_constantIbLb1EESY_EEDaST_SU_EUlST_E_NS1_11comp_targetILNS1_3genE2ELNS1_11target_archE906ELNS1_3gpuE6ELNS1_3repE0EEENS1_30default_config_static_selectorELNS0_4arch9wavefront6targetE0EEEvT1_.uses_flat_scratch, 0
	.set _ZN7rocprim17ROCPRIM_400000_NS6detail17trampoline_kernelINS0_14default_configENS1_27scan_by_key_config_selectorIiiEEZZNS1_16scan_by_key_implILNS1_25lookback_scan_determinismE0ELb0ES3_N6thrust23THRUST_200600_302600_NS6detail15normal_iteratorINS9_10device_ptrIiEEEESE_SE_iNS9_4plusIiEE19head_flag_predicateiEE10hipError_tPvRmT2_T3_T4_T5_mT6_T7_P12ihipStream_tbENKUlT_T0_E_clISt17integral_constantIbLb1EESY_EEDaST_SU_EUlST_E_NS1_11comp_targetILNS1_3genE2ELNS1_11target_archE906ELNS1_3gpuE6ELNS1_3repE0EEENS1_30default_config_static_selectorELNS0_4arch9wavefront6targetE0EEEvT1_.has_dyn_sized_stack, 0
	.set _ZN7rocprim17ROCPRIM_400000_NS6detail17trampoline_kernelINS0_14default_configENS1_27scan_by_key_config_selectorIiiEEZZNS1_16scan_by_key_implILNS1_25lookback_scan_determinismE0ELb0ES3_N6thrust23THRUST_200600_302600_NS6detail15normal_iteratorINS9_10device_ptrIiEEEESE_SE_iNS9_4plusIiEE19head_flag_predicateiEE10hipError_tPvRmT2_T3_T4_T5_mT6_T7_P12ihipStream_tbENKUlT_T0_E_clISt17integral_constantIbLb1EESY_EEDaST_SU_EUlST_E_NS1_11comp_targetILNS1_3genE2ELNS1_11target_archE906ELNS1_3gpuE6ELNS1_3repE0EEENS1_30default_config_static_selectorELNS0_4arch9wavefront6targetE0EEEvT1_.has_recursion, 0
	.set _ZN7rocprim17ROCPRIM_400000_NS6detail17trampoline_kernelINS0_14default_configENS1_27scan_by_key_config_selectorIiiEEZZNS1_16scan_by_key_implILNS1_25lookback_scan_determinismE0ELb0ES3_N6thrust23THRUST_200600_302600_NS6detail15normal_iteratorINS9_10device_ptrIiEEEESE_SE_iNS9_4plusIiEE19head_flag_predicateiEE10hipError_tPvRmT2_T3_T4_T5_mT6_T7_P12ihipStream_tbENKUlT_T0_E_clISt17integral_constantIbLb1EESY_EEDaST_SU_EUlST_E_NS1_11comp_targetILNS1_3genE2ELNS1_11target_archE906ELNS1_3gpuE6ELNS1_3repE0EEENS1_30default_config_static_selectorELNS0_4arch9wavefront6targetE0EEEvT1_.has_indirect_call, 0
	.section	.AMDGPU.csdata,"",@progbits
; Kernel info:
; codeLenInByte = 0
; TotalNumSgprs: 0
; NumVgprs: 0
; ScratchSize: 0
; MemoryBound: 0
; FloatMode: 240
; IeeeMode: 1
; LDSByteSize: 0 bytes/workgroup (compile time only)
; SGPRBlocks: 0
; VGPRBlocks: 0
; NumSGPRsForWavesPerEU: 1
; NumVGPRsForWavesPerEU: 1
; Occupancy: 16
; WaveLimiterHint : 0
; COMPUTE_PGM_RSRC2:SCRATCH_EN: 0
; COMPUTE_PGM_RSRC2:USER_SGPR: 6
; COMPUTE_PGM_RSRC2:TRAP_HANDLER: 0
; COMPUTE_PGM_RSRC2:TGID_X_EN: 1
; COMPUTE_PGM_RSRC2:TGID_Y_EN: 0
; COMPUTE_PGM_RSRC2:TGID_Z_EN: 0
; COMPUTE_PGM_RSRC2:TIDIG_COMP_CNT: 0
	.section	.text._ZN7rocprim17ROCPRIM_400000_NS6detail17trampoline_kernelINS0_14default_configENS1_27scan_by_key_config_selectorIiiEEZZNS1_16scan_by_key_implILNS1_25lookback_scan_determinismE0ELb0ES3_N6thrust23THRUST_200600_302600_NS6detail15normal_iteratorINS9_10device_ptrIiEEEESE_SE_iNS9_4plusIiEE19head_flag_predicateiEE10hipError_tPvRmT2_T3_T4_T5_mT6_T7_P12ihipStream_tbENKUlT_T0_E_clISt17integral_constantIbLb1EESY_EEDaST_SU_EUlST_E_NS1_11comp_targetILNS1_3genE10ELNS1_11target_archE1200ELNS1_3gpuE4ELNS1_3repE0EEENS1_30default_config_static_selectorELNS0_4arch9wavefront6targetE0EEEvT1_,"axG",@progbits,_ZN7rocprim17ROCPRIM_400000_NS6detail17trampoline_kernelINS0_14default_configENS1_27scan_by_key_config_selectorIiiEEZZNS1_16scan_by_key_implILNS1_25lookback_scan_determinismE0ELb0ES3_N6thrust23THRUST_200600_302600_NS6detail15normal_iteratorINS9_10device_ptrIiEEEESE_SE_iNS9_4plusIiEE19head_flag_predicateiEE10hipError_tPvRmT2_T3_T4_T5_mT6_T7_P12ihipStream_tbENKUlT_T0_E_clISt17integral_constantIbLb1EESY_EEDaST_SU_EUlST_E_NS1_11comp_targetILNS1_3genE10ELNS1_11target_archE1200ELNS1_3gpuE4ELNS1_3repE0EEENS1_30default_config_static_selectorELNS0_4arch9wavefront6targetE0EEEvT1_,comdat
	.protected	_ZN7rocprim17ROCPRIM_400000_NS6detail17trampoline_kernelINS0_14default_configENS1_27scan_by_key_config_selectorIiiEEZZNS1_16scan_by_key_implILNS1_25lookback_scan_determinismE0ELb0ES3_N6thrust23THRUST_200600_302600_NS6detail15normal_iteratorINS9_10device_ptrIiEEEESE_SE_iNS9_4plusIiEE19head_flag_predicateiEE10hipError_tPvRmT2_T3_T4_T5_mT6_T7_P12ihipStream_tbENKUlT_T0_E_clISt17integral_constantIbLb1EESY_EEDaST_SU_EUlST_E_NS1_11comp_targetILNS1_3genE10ELNS1_11target_archE1200ELNS1_3gpuE4ELNS1_3repE0EEENS1_30default_config_static_selectorELNS0_4arch9wavefront6targetE0EEEvT1_ ; -- Begin function _ZN7rocprim17ROCPRIM_400000_NS6detail17trampoline_kernelINS0_14default_configENS1_27scan_by_key_config_selectorIiiEEZZNS1_16scan_by_key_implILNS1_25lookback_scan_determinismE0ELb0ES3_N6thrust23THRUST_200600_302600_NS6detail15normal_iteratorINS9_10device_ptrIiEEEESE_SE_iNS9_4plusIiEE19head_flag_predicateiEE10hipError_tPvRmT2_T3_T4_T5_mT6_T7_P12ihipStream_tbENKUlT_T0_E_clISt17integral_constantIbLb1EESY_EEDaST_SU_EUlST_E_NS1_11comp_targetILNS1_3genE10ELNS1_11target_archE1200ELNS1_3gpuE4ELNS1_3repE0EEENS1_30default_config_static_selectorELNS0_4arch9wavefront6targetE0EEEvT1_
	.globl	_ZN7rocprim17ROCPRIM_400000_NS6detail17trampoline_kernelINS0_14default_configENS1_27scan_by_key_config_selectorIiiEEZZNS1_16scan_by_key_implILNS1_25lookback_scan_determinismE0ELb0ES3_N6thrust23THRUST_200600_302600_NS6detail15normal_iteratorINS9_10device_ptrIiEEEESE_SE_iNS9_4plusIiEE19head_flag_predicateiEE10hipError_tPvRmT2_T3_T4_T5_mT6_T7_P12ihipStream_tbENKUlT_T0_E_clISt17integral_constantIbLb1EESY_EEDaST_SU_EUlST_E_NS1_11comp_targetILNS1_3genE10ELNS1_11target_archE1200ELNS1_3gpuE4ELNS1_3repE0EEENS1_30default_config_static_selectorELNS0_4arch9wavefront6targetE0EEEvT1_
	.p2align	8
	.type	_ZN7rocprim17ROCPRIM_400000_NS6detail17trampoline_kernelINS0_14default_configENS1_27scan_by_key_config_selectorIiiEEZZNS1_16scan_by_key_implILNS1_25lookback_scan_determinismE0ELb0ES3_N6thrust23THRUST_200600_302600_NS6detail15normal_iteratorINS9_10device_ptrIiEEEESE_SE_iNS9_4plusIiEE19head_flag_predicateiEE10hipError_tPvRmT2_T3_T4_T5_mT6_T7_P12ihipStream_tbENKUlT_T0_E_clISt17integral_constantIbLb1EESY_EEDaST_SU_EUlST_E_NS1_11comp_targetILNS1_3genE10ELNS1_11target_archE1200ELNS1_3gpuE4ELNS1_3repE0EEENS1_30default_config_static_selectorELNS0_4arch9wavefront6targetE0EEEvT1_,@function
_ZN7rocprim17ROCPRIM_400000_NS6detail17trampoline_kernelINS0_14default_configENS1_27scan_by_key_config_selectorIiiEEZZNS1_16scan_by_key_implILNS1_25lookback_scan_determinismE0ELb0ES3_N6thrust23THRUST_200600_302600_NS6detail15normal_iteratorINS9_10device_ptrIiEEEESE_SE_iNS9_4plusIiEE19head_flag_predicateiEE10hipError_tPvRmT2_T3_T4_T5_mT6_T7_P12ihipStream_tbENKUlT_T0_E_clISt17integral_constantIbLb1EESY_EEDaST_SU_EUlST_E_NS1_11comp_targetILNS1_3genE10ELNS1_11target_archE1200ELNS1_3gpuE4ELNS1_3repE0EEENS1_30default_config_static_selectorELNS0_4arch9wavefront6targetE0EEEvT1_: ; @_ZN7rocprim17ROCPRIM_400000_NS6detail17trampoline_kernelINS0_14default_configENS1_27scan_by_key_config_selectorIiiEEZZNS1_16scan_by_key_implILNS1_25lookback_scan_determinismE0ELb0ES3_N6thrust23THRUST_200600_302600_NS6detail15normal_iteratorINS9_10device_ptrIiEEEESE_SE_iNS9_4plusIiEE19head_flag_predicateiEE10hipError_tPvRmT2_T3_T4_T5_mT6_T7_P12ihipStream_tbENKUlT_T0_E_clISt17integral_constantIbLb1EESY_EEDaST_SU_EUlST_E_NS1_11comp_targetILNS1_3genE10ELNS1_11target_archE1200ELNS1_3gpuE4ELNS1_3repE0EEENS1_30default_config_static_selectorELNS0_4arch9wavefront6targetE0EEEvT1_
; %bb.0:
	.section	.rodata,"a",@progbits
	.p2align	6, 0x0
	.amdhsa_kernel _ZN7rocprim17ROCPRIM_400000_NS6detail17trampoline_kernelINS0_14default_configENS1_27scan_by_key_config_selectorIiiEEZZNS1_16scan_by_key_implILNS1_25lookback_scan_determinismE0ELb0ES3_N6thrust23THRUST_200600_302600_NS6detail15normal_iteratorINS9_10device_ptrIiEEEESE_SE_iNS9_4plusIiEE19head_flag_predicateiEE10hipError_tPvRmT2_T3_T4_T5_mT6_T7_P12ihipStream_tbENKUlT_T0_E_clISt17integral_constantIbLb1EESY_EEDaST_SU_EUlST_E_NS1_11comp_targetILNS1_3genE10ELNS1_11target_archE1200ELNS1_3gpuE4ELNS1_3repE0EEENS1_30default_config_static_selectorELNS0_4arch9wavefront6targetE0EEEvT1_
		.amdhsa_group_segment_fixed_size 0
		.amdhsa_private_segment_fixed_size 0
		.amdhsa_kernarg_size 112
		.amdhsa_user_sgpr_count 6
		.amdhsa_user_sgpr_private_segment_buffer 1
		.amdhsa_user_sgpr_dispatch_ptr 0
		.amdhsa_user_sgpr_queue_ptr 0
		.amdhsa_user_sgpr_kernarg_segment_ptr 1
		.amdhsa_user_sgpr_dispatch_id 0
		.amdhsa_user_sgpr_flat_scratch_init 0
		.amdhsa_user_sgpr_private_segment_size 0
		.amdhsa_wavefront_size32 1
		.amdhsa_uses_dynamic_stack 0
		.amdhsa_system_sgpr_private_segment_wavefront_offset 0
		.amdhsa_system_sgpr_workgroup_id_x 1
		.amdhsa_system_sgpr_workgroup_id_y 0
		.amdhsa_system_sgpr_workgroup_id_z 0
		.amdhsa_system_sgpr_workgroup_info 0
		.amdhsa_system_vgpr_workitem_id 0
		.amdhsa_next_free_vgpr 1
		.amdhsa_next_free_sgpr 1
		.amdhsa_reserve_vcc 0
		.amdhsa_reserve_flat_scratch 0
		.amdhsa_float_round_mode_32 0
		.amdhsa_float_round_mode_16_64 0
		.amdhsa_float_denorm_mode_32 3
		.amdhsa_float_denorm_mode_16_64 3
		.amdhsa_dx10_clamp 1
		.amdhsa_ieee_mode 1
		.amdhsa_fp16_overflow 0
		.amdhsa_workgroup_processor_mode 1
		.amdhsa_memory_ordered 1
		.amdhsa_forward_progress 1
		.amdhsa_shared_vgpr_count 0
		.amdhsa_exception_fp_ieee_invalid_op 0
		.amdhsa_exception_fp_denorm_src 0
		.amdhsa_exception_fp_ieee_div_zero 0
		.amdhsa_exception_fp_ieee_overflow 0
		.amdhsa_exception_fp_ieee_underflow 0
		.amdhsa_exception_fp_ieee_inexact 0
		.amdhsa_exception_int_div_zero 0
	.end_amdhsa_kernel
	.section	.text._ZN7rocprim17ROCPRIM_400000_NS6detail17trampoline_kernelINS0_14default_configENS1_27scan_by_key_config_selectorIiiEEZZNS1_16scan_by_key_implILNS1_25lookback_scan_determinismE0ELb0ES3_N6thrust23THRUST_200600_302600_NS6detail15normal_iteratorINS9_10device_ptrIiEEEESE_SE_iNS9_4plusIiEE19head_flag_predicateiEE10hipError_tPvRmT2_T3_T4_T5_mT6_T7_P12ihipStream_tbENKUlT_T0_E_clISt17integral_constantIbLb1EESY_EEDaST_SU_EUlST_E_NS1_11comp_targetILNS1_3genE10ELNS1_11target_archE1200ELNS1_3gpuE4ELNS1_3repE0EEENS1_30default_config_static_selectorELNS0_4arch9wavefront6targetE0EEEvT1_,"axG",@progbits,_ZN7rocprim17ROCPRIM_400000_NS6detail17trampoline_kernelINS0_14default_configENS1_27scan_by_key_config_selectorIiiEEZZNS1_16scan_by_key_implILNS1_25lookback_scan_determinismE0ELb0ES3_N6thrust23THRUST_200600_302600_NS6detail15normal_iteratorINS9_10device_ptrIiEEEESE_SE_iNS9_4plusIiEE19head_flag_predicateiEE10hipError_tPvRmT2_T3_T4_T5_mT6_T7_P12ihipStream_tbENKUlT_T0_E_clISt17integral_constantIbLb1EESY_EEDaST_SU_EUlST_E_NS1_11comp_targetILNS1_3genE10ELNS1_11target_archE1200ELNS1_3gpuE4ELNS1_3repE0EEENS1_30default_config_static_selectorELNS0_4arch9wavefront6targetE0EEEvT1_,comdat
.Lfunc_end764:
	.size	_ZN7rocprim17ROCPRIM_400000_NS6detail17trampoline_kernelINS0_14default_configENS1_27scan_by_key_config_selectorIiiEEZZNS1_16scan_by_key_implILNS1_25lookback_scan_determinismE0ELb0ES3_N6thrust23THRUST_200600_302600_NS6detail15normal_iteratorINS9_10device_ptrIiEEEESE_SE_iNS9_4plusIiEE19head_flag_predicateiEE10hipError_tPvRmT2_T3_T4_T5_mT6_T7_P12ihipStream_tbENKUlT_T0_E_clISt17integral_constantIbLb1EESY_EEDaST_SU_EUlST_E_NS1_11comp_targetILNS1_3genE10ELNS1_11target_archE1200ELNS1_3gpuE4ELNS1_3repE0EEENS1_30default_config_static_selectorELNS0_4arch9wavefront6targetE0EEEvT1_, .Lfunc_end764-_ZN7rocprim17ROCPRIM_400000_NS6detail17trampoline_kernelINS0_14default_configENS1_27scan_by_key_config_selectorIiiEEZZNS1_16scan_by_key_implILNS1_25lookback_scan_determinismE0ELb0ES3_N6thrust23THRUST_200600_302600_NS6detail15normal_iteratorINS9_10device_ptrIiEEEESE_SE_iNS9_4plusIiEE19head_flag_predicateiEE10hipError_tPvRmT2_T3_T4_T5_mT6_T7_P12ihipStream_tbENKUlT_T0_E_clISt17integral_constantIbLb1EESY_EEDaST_SU_EUlST_E_NS1_11comp_targetILNS1_3genE10ELNS1_11target_archE1200ELNS1_3gpuE4ELNS1_3repE0EEENS1_30default_config_static_selectorELNS0_4arch9wavefront6targetE0EEEvT1_
                                        ; -- End function
	.set _ZN7rocprim17ROCPRIM_400000_NS6detail17trampoline_kernelINS0_14default_configENS1_27scan_by_key_config_selectorIiiEEZZNS1_16scan_by_key_implILNS1_25lookback_scan_determinismE0ELb0ES3_N6thrust23THRUST_200600_302600_NS6detail15normal_iteratorINS9_10device_ptrIiEEEESE_SE_iNS9_4plusIiEE19head_flag_predicateiEE10hipError_tPvRmT2_T3_T4_T5_mT6_T7_P12ihipStream_tbENKUlT_T0_E_clISt17integral_constantIbLb1EESY_EEDaST_SU_EUlST_E_NS1_11comp_targetILNS1_3genE10ELNS1_11target_archE1200ELNS1_3gpuE4ELNS1_3repE0EEENS1_30default_config_static_selectorELNS0_4arch9wavefront6targetE0EEEvT1_.num_vgpr, 0
	.set _ZN7rocprim17ROCPRIM_400000_NS6detail17trampoline_kernelINS0_14default_configENS1_27scan_by_key_config_selectorIiiEEZZNS1_16scan_by_key_implILNS1_25lookback_scan_determinismE0ELb0ES3_N6thrust23THRUST_200600_302600_NS6detail15normal_iteratorINS9_10device_ptrIiEEEESE_SE_iNS9_4plusIiEE19head_flag_predicateiEE10hipError_tPvRmT2_T3_T4_T5_mT6_T7_P12ihipStream_tbENKUlT_T0_E_clISt17integral_constantIbLb1EESY_EEDaST_SU_EUlST_E_NS1_11comp_targetILNS1_3genE10ELNS1_11target_archE1200ELNS1_3gpuE4ELNS1_3repE0EEENS1_30default_config_static_selectorELNS0_4arch9wavefront6targetE0EEEvT1_.num_agpr, 0
	.set _ZN7rocprim17ROCPRIM_400000_NS6detail17trampoline_kernelINS0_14default_configENS1_27scan_by_key_config_selectorIiiEEZZNS1_16scan_by_key_implILNS1_25lookback_scan_determinismE0ELb0ES3_N6thrust23THRUST_200600_302600_NS6detail15normal_iteratorINS9_10device_ptrIiEEEESE_SE_iNS9_4plusIiEE19head_flag_predicateiEE10hipError_tPvRmT2_T3_T4_T5_mT6_T7_P12ihipStream_tbENKUlT_T0_E_clISt17integral_constantIbLb1EESY_EEDaST_SU_EUlST_E_NS1_11comp_targetILNS1_3genE10ELNS1_11target_archE1200ELNS1_3gpuE4ELNS1_3repE0EEENS1_30default_config_static_selectorELNS0_4arch9wavefront6targetE0EEEvT1_.numbered_sgpr, 0
	.set _ZN7rocprim17ROCPRIM_400000_NS6detail17trampoline_kernelINS0_14default_configENS1_27scan_by_key_config_selectorIiiEEZZNS1_16scan_by_key_implILNS1_25lookback_scan_determinismE0ELb0ES3_N6thrust23THRUST_200600_302600_NS6detail15normal_iteratorINS9_10device_ptrIiEEEESE_SE_iNS9_4plusIiEE19head_flag_predicateiEE10hipError_tPvRmT2_T3_T4_T5_mT6_T7_P12ihipStream_tbENKUlT_T0_E_clISt17integral_constantIbLb1EESY_EEDaST_SU_EUlST_E_NS1_11comp_targetILNS1_3genE10ELNS1_11target_archE1200ELNS1_3gpuE4ELNS1_3repE0EEENS1_30default_config_static_selectorELNS0_4arch9wavefront6targetE0EEEvT1_.num_named_barrier, 0
	.set _ZN7rocprim17ROCPRIM_400000_NS6detail17trampoline_kernelINS0_14default_configENS1_27scan_by_key_config_selectorIiiEEZZNS1_16scan_by_key_implILNS1_25lookback_scan_determinismE0ELb0ES3_N6thrust23THRUST_200600_302600_NS6detail15normal_iteratorINS9_10device_ptrIiEEEESE_SE_iNS9_4plusIiEE19head_flag_predicateiEE10hipError_tPvRmT2_T3_T4_T5_mT6_T7_P12ihipStream_tbENKUlT_T0_E_clISt17integral_constantIbLb1EESY_EEDaST_SU_EUlST_E_NS1_11comp_targetILNS1_3genE10ELNS1_11target_archE1200ELNS1_3gpuE4ELNS1_3repE0EEENS1_30default_config_static_selectorELNS0_4arch9wavefront6targetE0EEEvT1_.private_seg_size, 0
	.set _ZN7rocprim17ROCPRIM_400000_NS6detail17trampoline_kernelINS0_14default_configENS1_27scan_by_key_config_selectorIiiEEZZNS1_16scan_by_key_implILNS1_25lookback_scan_determinismE0ELb0ES3_N6thrust23THRUST_200600_302600_NS6detail15normal_iteratorINS9_10device_ptrIiEEEESE_SE_iNS9_4plusIiEE19head_flag_predicateiEE10hipError_tPvRmT2_T3_T4_T5_mT6_T7_P12ihipStream_tbENKUlT_T0_E_clISt17integral_constantIbLb1EESY_EEDaST_SU_EUlST_E_NS1_11comp_targetILNS1_3genE10ELNS1_11target_archE1200ELNS1_3gpuE4ELNS1_3repE0EEENS1_30default_config_static_selectorELNS0_4arch9wavefront6targetE0EEEvT1_.uses_vcc, 0
	.set _ZN7rocprim17ROCPRIM_400000_NS6detail17trampoline_kernelINS0_14default_configENS1_27scan_by_key_config_selectorIiiEEZZNS1_16scan_by_key_implILNS1_25lookback_scan_determinismE0ELb0ES3_N6thrust23THRUST_200600_302600_NS6detail15normal_iteratorINS9_10device_ptrIiEEEESE_SE_iNS9_4plusIiEE19head_flag_predicateiEE10hipError_tPvRmT2_T3_T4_T5_mT6_T7_P12ihipStream_tbENKUlT_T0_E_clISt17integral_constantIbLb1EESY_EEDaST_SU_EUlST_E_NS1_11comp_targetILNS1_3genE10ELNS1_11target_archE1200ELNS1_3gpuE4ELNS1_3repE0EEENS1_30default_config_static_selectorELNS0_4arch9wavefront6targetE0EEEvT1_.uses_flat_scratch, 0
	.set _ZN7rocprim17ROCPRIM_400000_NS6detail17trampoline_kernelINS0_14default_configENS1_27scan_by_key_config_selectorIiiEEZZNS1_16scan_by_key_implILNS1_25lookback_scan_determinismE0ELb0ES3_N6thrust23THRUST_200600_302600_NS6detail15normal_iteratorINS9_10device_ptrIiEEEESE_SE_iNS9_4plusIiEE19head_flag_predicateiEE10hipError_tPvRmT2_T3_T4_T5_mT6_T7_P12ihipStream_tbENKUlT_T0_E_clISt17integral_constantIbLb1EESY_EEDaST_SU_EUlST_E_NS1_11comp_targetILNS1_3genE10ELNS1_11target_archE1200ELNS1_3gpuE4ELNS1_3repE0EEENS1_30default_config_static_selectorELNS0_4arch9wavefront6targetE0EEEvT1_.has_dyn_sized_stack, 0
	.set _ZN7rocprim17ROCPRIM_400000_NS6detail17trampoline_kernelINS0_14default_configENS1_27scan_by_key_config_selectorIiiEEZZNS1_16scan_by_key_implILNS1_25lookback_scan_determinismE0ELb0ES3_N6thrust23THRUST_200600_302600_NS6detail15normal_iteratorINS9_10device_ptrIiEEEESE_SE_iNS9_4plusIiEE19head_flag_predicateiEE10hipError_tPvRmT2_T3_T4_T5_mT6_T7_P12ihipStream_tbENKUlT_T0_E_clISt17integral_constantIbLb1EESY_EEDaST_SU_EUlST_E_NS1_11comp_targetILNS1_3genE10ELNS1_11target_archE1200ELNS1_3gpuE4ELNS1_3repE0EEENS1_30default_config_static_selectorELNS0_4arch9wavefront6targetE0EEEvT1_.has_recursion, 0
	.set _ZN7rocprim17ROCPRIM_400000_NS6detail17trampoline_kernelINS0_14default_configENS1_27scan_by_key_config_selectorIiiEEZZNS1_16scan_by_key_implILNS1_25lookback_scan_determinismE0ELb0ES3_N6thrust23THRUST_200600_302600_NS6detail15normal_iteratorINS9_10device_ptrIiEEEESE_SE_iNS9_4plusIiEE19head_flag_predicateiEE10hipError_tPvRmT2_T3_T4_T5_mT6_T7_P12ihipStream_tbENKUlT_T0_E_clISt17integral_constantIbLb1EESY_EEDaST_SU_EUlST_E_NS1_11comp_targetILNS1_3genE10ELNS1_11target_archE1200ELNS1_3gpuE4ELNS1_3repE0EEENS1_30default_config_static_selectorELNS0_4arch9wavefront6targetE0EEEvT1_.has_indirect_call, 0
	.section	.AMDGPU.csdata,"",@progbits
; Kernel info:
; codeLenInByte = 0
; TotalNumSgprs: 0
; NumVgprs: 0
; ScratchSize: 0
; MemoryBound: 0
; FloatMode: 240
; IeeeMode: 1
; LDSByteSize: 0 bytes/workgroup (compile time only)
; SGPRBlocks: 0
; VGPRBlocks: 0
; NumSGPRsForWavesPerEU: 1
; NumVGPRsForWavesPerEU: 1
; Occupancy: 16
; WaveLimiterHint : 0
; COMPUTE_PGM_RSRC2:SCRATCH_EN: 0
; COMPUTE_PGM_RSRC2:USER_SGPR: 6
; COMPUTE_PGM_RSRC2:TRAP_HANDLER: 0
; COMPUTE_PGM_RSRC2:TGID_X_EN: 1
; COMPUTE_PGM_RSRC2:TGID_Y_EN: 0
; COMPUTE_PGM_RSRC2:TGID_Z_EN: 0
; COMPUTE_PGM_RSRC2:TIDIG_COMP_CNT: 0
	.section	.text._ZN7rocprim17ROCPRIM_400000_NS6detail17trampoline_kernelINS0_14default_configENS1_27scan_by_key_config_selectorIiiEEZZNS1_16scan_by_key_implILNS1_25lookback_scan_determinismE0ELb0ES3_N6thrust23THRUST_200600_302600_NS6detail15normal_iteratorINS9_10device_ptrIiEEEESE_SE_iNS9_4plusIiEE19head_flag_predicateiEE10hipError_tPvRmT2_T3_T4_T5_mT6_T7_P12ihipStream_tbENKUlT_T0_E_clISt17integral_constantIbLb1EESY_EEDaST_SU_EUlST_E_NS1_11comp_targetILNS1_3genE9ELNS1_11target_archE1100ELNS1_3gpuE3ELNS1_3repE0EEENS1_30default_config_static_selectorELNS0_4arch9wavefront6targetE0EEEvT1_,"axG",@progbits,_ZN7rocprim17ROCPRIM_400000_NS6detail17trampoline_kernelINS0_14default_configENS1_27scan_by_key_config_selectorIiiEEZZNS1_16scan_by_key_implILNS1_25lookback_scan_determinismE0ELb0ES3_N6thrust23THRUST_200600_302600_NS6detail15normal_iteratorINS9_10device_ptrIiEEEESE_SE_iNS9_4plusIiEE19head_flag_predicateiEE10hipError_tPvRmT2_T3_T4_T5_mT6_T7_P12ihipStream_tbENKUlT_T0_E_clISt17integral_constantIbLb1EESY_EEDaST_SU_EUlST_E_NS1_11comp_targetILNS1_3genE9ELNS1_11target_archE1100ELNS1_3gpuE3ELNS1_3repE0EEENS1_30default_config_static_selectorELNS0_4arch9wavefront6targetE0EEEvT1_,comdat
	.protected	_ZN7rocprim17ROCPRIM_400000_NS6detail17trampoline_kernelINS0_14default_configENS1_27scan_by_key_config_selectorIiiEEZZNS1_16scan_by_key_implILNS1_25lookback_scan_determinismE0ELb0ES3_N6thrust23THRUST_200600_302600_NS6detail15normal_iteratorINS9_10device_ptrIiEEEESE_SE_iNS9_4plusIiEE19head_flag_predicateiEE10hipError_tPvRmT2_T3_T4_T5_mT6_T7_P12ihipStream_tbENKUlT_T0_E_clISt17integral_constantIbLb1EESY_EEDaST_SU_EUlST_E_NS1_11comp_targetILNS1_3genE9ELNS1_11target_archE1100ELNS1_3gpuE3ELNS1_3repE0EEENS1_30default_config_static_selectorELNS0_4arch9wavefront6targetE0EEEvT1_ ; -- Begin function _ZN7rocprim17ROCPRIM_400000_NS6detail17trampoline_kernelINS0_14default_configENS1_27scan_by_key_config_selectorIiiEEZZNS1_16scan_by_key_implILNS1_25lookback_scan_determinismE0ELb0ES3_N6thrust23THRUST_200600_302600_NS6detail15normal_iteratorINS9_10device_ptrIiEEEESE_SE_iNS9_4plusIiEE19head_flag_predicateiEE10hipError_tPvRmT2_T3_T4_T5_mT6_T7_P12ihipStream_tbENKUlT_T0_E_clISt17integral_constantIbLb1EESY_EEDaST_SU_EUlST_E_NS1_11comp_targetILNS1_3genE9ELNS1_11target_archE1100ELNS1_3gpuE3ELNS1_3repE0EEENS1_30default_config_static_selectorELNS0_4arch9wavefront6targetE0EEEvT1_
	.globl	_ZN7rocprim17ROCPRIM_400000_NS6detail17trampoline_kernelINS0_14default_configENS1_27scan_by_key_config_selectorIiiEEZZNS1_16scan_by_key_implILNS1_25lookback_scan_determinismE0ELb0ES3_N6thrust23THRUST_200600_302600_NS6detail15normal_iteratorINS9_10device_ptrIiEEEESE_SE_iNS9_4plusIiEE19head_flag_predicateiEE10hipError_tPvRmT2_T3_T4_T5_mT6_T7_P12ihipStream_tbENKUlT_T0_E_clISt17integral_constantIbLb1EESY_EEDaST_SU_EUlST_E_NS1_11comp_targetILNS1_3genE9ELNS1_11target_archE1100ELNS1_3gpuE3ELNS1_3repE0EEENS1_30default_config_static_selectorELNS0_4arch9wavefront6targetE0EEEvT1_
	.p2align	8
	.type	_ZN7rocprim17ROCPRIM_400000_NS6detail17trampoline_kernelINS0_14default_configENS1_27scan_by_key_config_selectorIiiEEZZNS1_16scan_by_key_implILNS1_25lookback_scan_determinismE0ELb0ES3_N6thrust23THRUST_200600_302600_NS6detail15normal_iteratorINS9_10device_ptrIiEEEESE_SE_iNS9_4plusIiEE19head_flag_predicateiEE10hipError_tPvRmT2_T3_T4_T5_mT6_T7_P12ihipStream_tbENKUlT_T0_E_clISt17integral_constantIbLb1EESY_EEDaST_SU_EUlST_E_NS1_11comp_targetILNS1_3genE9ELNS1_11target_archE1100ELNS1_3gpuE3ELNS1_3repE0EEENS1_30default_config_static_selectorELNS0_4arch9wavefront6targetE0EEEvT1_,@function
_ZN7rocprim17ROCPRIM_400000_NS6detail17trampoline_kernelINS0_14default_configENS1_27scan_by_key_config_selectorIiiEEZZNS1_16scan_by_key_implILNS1_25lookback_scan_determinismE0ELb0ES3_N6thrust23THRUST_200600_302600_NS6detail15normal_iteratorINS9_10device_ptrIiEEEESE_SE_iNS9_4plusIiEE19head_flag_predicateiEE10hipError_tPvRmT2_T3_T4_T5_mT6_T7_P12ihipStream_tbENKUlT_T0_E_clISt17integral_constantIbLb1EESY_EEDaST_SU_EUlST_E_NS1_11comp_targetILNS1_3genE9ELNS1_11target_archE1100ELNS1_3gpuE3ELNS1_3repE0EEENS1_30default_config_static_selectorELNS0_4arch9wavefront6targetE0EEEvT1_: ; @_ZN7rocprim17ROCPRIM_400000_NS6detail17trampoline_kernelINS0_14default_configENS1_27scan_by_key_config_selectorIiiEEZZNS1_16scan_by_key_implILNS1_25lookback_scan_determinismE0ELb0ES3_N6thrust23THRUST_200600_302600_NS6detail15normal_iteratorINS9_10device_ptrIiEEEESE_SE_iNS9_4plusIiEE19head_flag_predicateiEE10hipError_tPvRmT2_T3_T4_T5_mT6_T7_P12ihipStream_tbENKUlT_T0_E_clISt17integral_constantIbLb1EESY_EEDaST_SU_EUlST_E_NS1_11comp_targetILNS1_3genE9ELNS1_11target_archE1100ELNS1_3gpuE3ELNS1_3repE0EEENS1_30default_config_static_selectorELNS0_4arch9wavefront6targetE0EEEvT1_
; %bb.0:
	.section	.rodata,"a",@progbits
	.p2align	6, 0x0
	.amdhsa_kernel _ZN7rocprim17ROCPRIM_400000_NS6detail17trampoline_kernelINS0_14default_configENS1_27scan_by_key_config_selectorIiiEEZZNS1_16scan_by_key_implILNS1_25lookback_scan_determinismE0ELb0ES3_N6thrust23THRUST_200600_302600_NS6detail15normal_iteratorINS9_10device_ptrIiEEEESE_SE_iNS9_4plusIiEE19head_flag_predicateiEE10hipError_tPvRmT2_T3_T4_T5_mT6_T7_P12ihipStream_tbENKUlT_T0_E_clISt17integral_constantIbLb1EESY_EEDaST_SU_EUlST_E_NS1_11comp_targetILNS1_3genE9ELNS1_11target_archE1100ELNS1_3gpuE3ELNS1_3repE0EEENS1_30default_config_static_selectorELNS0_4arch9wavefront6targetE0EEEvT1_
		.amdhsa_group_segment_fixed_size 0
		.amdhsa_private_segment_fixed_size 0
		.amdhsa_kernarg_size 112
		.amdhsa_user_sgpr_count 6
		.amdhsa_user_sgpr_private_segment_buffer 1
		.amdhsa_user_sgpr_dispatch_ptr 0
		.amdhsa_user_sgpr_queue_ptr 0
		.amdhsa_user_sgpr_kernarg_segment_ptr 1
		.amdhsa_user_sgpr_dispatch_id 0
		.amdhsa_user_sgpr_flat_scratch_init 0
		.amdhsa_user_sgpr_private_segment_size 0
		.amdhsa_wavefront_size32 1
		.amdhsa_uses_dynamic_stack 0
		.amdhsa_system_sgpr_private_segment_wavefront_offset 0
		.amdhsa_system_sgpr_workgroup_id_x 1
		.amdhsa_system_sgpr_workgroup_id_y 0
		.amdhsa_system_sgpr_workgroup_id_z 0
		.amdhsa_system_sgpr_workgroup_info 0
		.amdhsa_system_vgpr_workitem_id 0
		.amdhsa_next_free_vgpr 1
		.amdhsa_next_free_sgpr 1
		.amdhsa_reserve_vcc 0
		.amdhsa_reserve_flat_scratch 0
		.amdhsa_float_round_mode_32 0
		.amdhsa_float_round_mode_16_64 0
		.amdhsa_float_denorm_mode_32 3
		.amdhsa_float_denorm_mode_16_64 3
		.amdhsa_dx10_clamp 1
		.amdhsa_ieee_mode 1
		.amdhsa_fp16_overflow 0
		.amdhsa_workgroup_processor_mode 1
		.amdhsa_memory_ordered 1
		.amdhsa_forward_progress 1
		.amdhsa_shared_vgpr_count 0
		.amdhsa_exception_fp_ieee_invalid_op 0
		.amdhsa_exception_fp_denorm_src 0
		.amdhsa_exception_fp_ieee_div_zero 0
		.amdhsa_exception_fp_ieee_overflow 0
		.amdhsa_exception_fp_ieee_underflow 0
		.amdhsa_exception_fp_ieee_inexact 0
		.amdhsa_exception_int_div_zero 0
	.end_amdhsa_kernel
	.section	.text._ZN7rocprim17ROCPRIM_400000_NS6detail17trampoline_kernelINS0_14default_configENS1_27scan_by_key_config_selectorIiiEEZZNS1_16scan_by_key_implILNS1_25lookback_scan_determinismE0ELb0ES3_N6thrust23THRUST_200600_302600_NS6detail15normal_iteratorINS9_10device_ptrIiEEEESE_SE_iNS9_4plusIiEE19head_flag_predicateiEE10hipError_tPvRmT2_T3_T4_T5_mT6_T7_P12ihipStream_tbENKUlT_T0_E_clISt17integral_constantIbLb1EESY_EEDaST_SU_EUlST_E_NS1_11comp_targetILNS1_3genE9ELNS1_11target_archE1100ELNS1_3gpuE3ELNS1_3repE0EEENS1_30default_config_static_selectorELNS0_4arch9wavefront6targetE0EEEvT1_,"axG",@progbits,_ZN7rocprim17ROCPRIM_400000_NS6detail17trampoline_kernelINS0_14default_configENS1_27scan_by_key_config_selectorIiiEEZZNS1_16scan_by_key_implILNS1_25lookback_scan_determinismE0ELb0ES3_N6thrust23THRUST_200600_302600_NS6detail15normal_iteratorINS9_10device_ptrIiEEEESE_SE_iNS9_4plusIiEE19head_flag_predicateiEE10hipError_tPvRmT2_T3_T4_T5_mT6_T7_P12ihipStream_tbENKUlT_T0_E_clISt17integral_constantIbLb1EESY_EEDaST_SU_EUlST_E_NS1_11comp_targetILNS1_3genE9ELNS1_11target_archE1100ELNS1_3gpuE3ELNS1_3repE0EEENS1_30default_config_static_selectorELNS0_4arch9wavefront6targetE0EEEvT1_,comdat
.Lfunc_end765:
	.size	_ZN7rocprim17ROCPRIM_400000_NS6detail17trampoline_kernelINS0_14default_configENS1_27scan_by_key_config_selectorIiiEEZZNS1_16scan_by_key_implILNS1_25lookback_scan_determinismE0ELb0ES3_N6thrust23THRUST_200600_302600_NS6detail15normal_iteratorINS9_10device_ptrIiEEEESE_SE_iNS9_4plusIiEE19head_flag_predicateiEE10hipError_tPvRmT2_T3_T4_T5_mT6_T7_P12ihipStream_tbENKUlT_T0_E_clISt17integral_constantIbLb1EESY_EEDaST_SU_EUlST_E_NS1_11comp_targetILNS1_3genE9ELNS1_11target_archE1100ELNS1_3gpuE3ELNS1_3repE0EEENS1_30default_config_static_selectorELNS0_4arch9wavefront6targetE0EEEvT1_, .Lfunc_end765-_ZN7rocprim17ROCPRIM_400000_NS6detail17trampoline_kernelINS0_14default_configENS1_27scan_by_key_config_selectorIiiEEZZNS1_16scan_by_key_implILNS1_25lookback_scan_determinismE0ELb0ES3_N6thrust23THRUST_200600_302600_NS6detail15normal_iteratorINS9_10device_ptrIiEEEESE_SE_iNS9_4plusIiEE19head_flag_predicateiEE10hipError_tPvRmT2_T3_T4_T5_mT6_T7_P12ihipStream_tbENKUlT_T0_E_clISt17integral_constantIbLb1EESY_EEDaST_SU_EUlST_E_NS1_11comp_targetILNS1_3genE9ELNS1_11target_archE1100ELNS1_3gpuE3ELNS1_3repE0EEENS1_30default_config_static_selectorELNS0_4arch9wavefront6targetE0EEEvT1_
                                        ; -- End function
	.set _ZN7rocprim17ROCPRIM_400000_NS6detail17trampoline_kernelINS0_14default_configENS1_27scan_by_key_config_selectorIiiEEZZNS1_16scan_by_key_implILNS1_25lookback_scan_determinismE0ELb0ES3_N6thrust23THRUST_200600_302600_NS6detail15normal_iteratorINS9_10device_ptrIiEEEESE_SE_iNS9_4plusIiEE19head_flag_predicateiEE10hipError_tPvRmT2_T3_T4_T5_mT6_T7_P12ihipStream_tbENKUlT_T0_E_clISt17integral_constantIbLb1EESY_EEDaST_SU_EUlST_E_NS1_11comp_targetILNS1_3genE9ELNS1_11target_archE1100ELNS1_3gpuE3ELNS1_3repE0EEENS1_30default_config_static_selectorELNS0_4arch9wavefront6targetE0EEEvT1_.num_vgpr, 0
	.set _ZN7rocprim17ROCPRIM_400000_NS6detail17trampoline_kernelINS0_14default_configENS1_27scan_by_key_config_selectorIiiEEZZNS1_16scan_by_key_implILNS1_25lookback_scan_determinismE0ELb0ES3_N6thrust23THRUST_200600_302600_NS6detail15normal_iteratorINS9_10device_ptrIiEEEESE_SE_iNS9_4plusIiEE19head_flag_predicateiEE10hipError_tPvRmT2_T3_T4_T5_mT6_T7_P12ihipStream_tbENKUlT_T0_E_clISt17integral_constantIbLb1EESY_EEDaST_SU_EUlST_E_NS1_11comp_targetILNS1_3genE9ELNS1_11target_archE1100ELNS1_3gpuE3ELNS1_3repE0EEENS1_30default_config_static_selectorELNS0_4arch9wavefront6targetE0EEEvT1_.num_agpr, 0
	.set _ZN7rocprim17ROCPRIM_400000_NS6detail17trampoline_kernelINS0_14default_configENS1_27scan_by_key_config_selectorIiiEEZZNS1_16scan_by_key_implILNS1_25lookback_scan_determinismE0ELb0ES3_N6thrust23THRUST_200600_302600_NS6detail15normal_iteratorINS9_10device_ptrIiEEEESE_SE_iNS9_4plusIiEE19head_flag_predicateiEE10hipError_tPvRmT2_T3_T4_T5_mT6_T7_P12ihipStream_tbENKUlT_T0_E_clISt17integral_constantIbLb1EESY_EEDaST_SU_EUlST_E_NS1_11comp_targetILNS1_3genE9ELNS1_11target_archE1100ELNS1_3gpuE3ELNS1_3repE0EEENS1_30default_config_static_selectorELNS0_4arch9wavefront6targetE0EEEvT1_.numbered_sgpr, 0
	.set _ZN7rocprim17ROCPRIM_400000_NS6detail17trampoline_kernelINS0_14default_configENS1_27scan_by_key_config_selectorIiiEEZZNS1_16scan_by_key_implILNS1_25lookback_scan_determinismE0ELb0ES3_N6thrust23THRUST_200600_302600_NS6detail15normal_iteratorINS9_10device_ptrIiEEEESE_SE_iNS9_4plusIiEE19head_flag_predicateiEE10hipError_tPvRmT2_T3_T4_T5_mT6_T7_P12ihipStream_tbENKUlT_T0_E_clISt17integral_constantIbLb1EESY_EEDaST_SU_EUlST_E_NS1_11comp_targetILNS1_3genE9ELNS1_11target_archE1100ELNS1_3gpuE3ELNS1_3repE0EEENS1_30default_config_static_selectorELNS0_4arch9wavefront6targetE0EEEvT1_.num_named_barrier, 0
	.set _ZN7rocprim17ROCPRIM_400000_NS6detail17trampoline_kernelINS0_14default_configENS1_27scan_by_key_config_selectorIiiEEZZNS1_16scan_by_key_implILNS1_25lookback_scan_determinismE0ELb0ES3_N6thrust23THRUST_200600_302600_NS6detail15normal_iteratorINS9_10device_ptrIiEEEESE_SE_iNS9_4plusIiEE19head_flag_predicateiEE10hipError_tPvRmT2_T3_T4_T5_mT6_T7_P12ihipStream_tbENKUlT_T0_E_clISt17integral_constantIbLb1EESY_EEDaST_SU_EUlST_E_NS1_11comp_targetILNS1_3genE9ELNS1_11target_archE1100ELNS1_3gpuE3ELNS1_3repE0EEENS1_30default_config_static_selectorELNS0_4arch9wavefront6targetE0EEEvT1_.private_seg_size, 0
	.set _ZN7rocprim17ROCPRIM_400000_NS6detail17trampoline_kernelINS0_14default_configENS1_27scan_by_key_config_selectorIiiEEZZNS1_16scan_by_key_implILNS1_25lookback_scan_determinismE0ELb0ES3_N6thrust23THRUST_200600_302600_NS6detail15normal_iteratorINS9_10device_ptrIiEEEESE_SE_iNS9_4plusIiEE19head_flag_predicateiEE10hipError_tPvRmT2_T3_T4_T5_mT6_T7_P12ihipStream_tbENKUlT_T0_E_clISt17integral_constantIbLb1EESY_EEDaST_SU_EUlST_E_NS1_11comp_targetILNS1_3genE9ELNS1_11target_archE1100ELNS1_3gpuE3ELNS1_3repE0EEENS1_30default_config_static_selectorELNS0_4arch9wavefront6targetE0EEEvT1_.uses_vcc, 0
	.set _ZN7rocprim17ROCPRIM_400000_NS6detail17trampoline_kernelINS0_14default_configENS1_27scan_by_key_config_selectorIiiEEZZNS1_16scan_by_key_implILNS1_25lookback_scan_determinismE0ELb0ES3_N6thrust23THRUST_200600_302600_NS6detail15normal_iteratorINS9_10device_ptrIiEEEESE_SE_iNS9_4plusIiEE19head_flag_predicateiEE10hipError_tPvRmT2_T3_T4_T5_mT6_T7_P12ihipStream_tbENKUlT_T0_E_clISt17integral_constantIbLb1EESY_EEDaST_SU_EUlST_E_NS1_11comp_targetILNS1_3genE9ELNS1_11target_archE1100ELNS1_3gpuE3ELNS1_3repE0EEENS1_30default_config_static_selectorELNS0_4arch9wavefront6targetE0EEEvT1_.uses_flat_scratch, 0
	.set _ZN7rocprim17ROCPRIM_400000_NS6detail17trampoline_kernelINS0_14default_configENS1_27scan_by_key_config_selectorIiiEEZZNS1_16scan_by_key_implILNS1_25lookback_scan_determinismE0ELb0ES3_N6thrust23THRUST_200600_302600_NS6detail15normal_iteratorINS9_10device_ptrIiEEEESE_SE_iNS9_4plusIiEE19head_flag_predicateiEE10hipError_tPvRmT2_T3_T4_T5_mT6_T7_P12ihipStream_tbENKUlT_T0_E_clISt17integral_constantIbLb1EESY_EEDaST_SU_EUlST_E_NS1_11comp_targetILNS1_3genE9ELNS1_11target_archE1100ELNS1_3gpuE3ELNS1_3repE0EEENS1_30default_config_static_selectorELNS0_4arch9wavefront6targetE0EEEvT1_.has_dyn_sized_stack, 0
	.set _ZN7rocprim17ROCPRIM_400000_NS6detail17trampoline_kernelINS0_14default_configENS1_27scan_by_key_config_selectorIiiEEZZNS1_16scan_by_key_implILNS1_25lookback_scan_determinismE0ELb0ES3_N6thrust23THRUST_200600_302600_NS6detail15normal_iteratorINS9_10device_ptrIiEEEESE_SE_iNS9_4plusIiEE19head_flag_predicateiEE10hipError_tPvRmT2_T3_T4_T5_mT6_T7_P12ihipStream_tbENKUlT_T0_E_clISt17integral_constantIbLb1EESY_EEDaST_SU_EUlST_E_NS1_11comp_targetILNS1_3genE9ELNS1_11target_archE1100ELNS1_3gpuE3ELNS1_3repE0EEENS1_30default_config_static_selectorELNS0_4arch9wavefront6targetE0EEEvT1_.has_recursion, 0
	.set _ZN7rocprim17ROCPRIM_400000_NS6detail17trampoline_kernelINS0_14default_configENS1_27scan_by_key_config_selectorIiiEEZZNS1_16scan_by_key_implILNS1_25lookback_scan_determinismE0ELb0ES3_N6thrust23THRUST_200600_302600_NS6detail15normal_iteratorINS9_10device_ptrIiEEEESE_SE_iNS9_4plusIiEE19head_flag_predicateiEE10hipError_tPvRmT2_T3_T4_T5_mT6_T7_P12ihipStream_tbENKUlT_T0_E_clISt17integral_constantIbLb1EESY_EEDaST_SU_EUlST_E_NS1_11comp_targetILNS1_3genE9ELNS1_11target_archE1100ELNS1_3gpuE3ELNS1_3repE0EEENS1_30default_config_static_selectorELNS0_4arch9wavefront6targetE0EEEvT1_.has_indirect_call, 0
	.section	.AMDGPU.csdata,"",@progbits
; Kernel info:
; codeLenInByte = 0
; TotalNumSgprs: 0
; NumVgprs: 0
; ScratchSize: 0
; MemoryBound: 0
; FloatMode: 240
; IeeeMode: 1
; LDSByteSize: 0 bytes/workgroup (compile time only)
; SGPRBlocks: 0
; VGPRBlocks: 0
; NumSGPRsForWavesPerEU: 1
; NumVGPRsForWavesPerEU: 1
; Occupancy: 16
; WaveLimiterHint : 0
; COMPUTE_PGM_RSRC2:SCRATCH_EN: 0
; COMPUTE_PGM_RSRC2:USER_SGPR: 6
; COMPUTE_PGM_RSRC2:TRAP_HANDLER: 0
; COMPUTE_PGM_RSRC2:TGID_X_EN: 1
; COMPUTE_PGM_RSRC2:TGID_Y_EN: 0
; COMPUTE_PGM_RSRC2:TGID_Z_EN: 0
; COMPUTE_PGM_RSRC2:TIDIG_COMP_CNT: 0
	.section	.text._ZN7rocprim17ROCPRIM_400000_NS6detail17trampoline_kernelINS0_14default_configENS1_27scan_by_key_config_selectorIiiEEZZNS1_16scan_by_key_implILNS1_25lookback_scan_determinismE0ELb0ES3_N6thrust23THRUST_200600_302600_NS6detail15normal_iteratorINS9_10device_ptrIiEEEESE_SE_iNS9_4plusIiEE19head_flag_predicateiEE10hipError_tPvRmT2_T3_T4_T5_mT6_T7_P12ihipStream_tbENKUlT_T0_E_clISt17integral_constantIbLb1EESY_EEDaST_SU_EUlST_E_NS1_11comp_targetILNS1_3genE8ELNS1_11target_archE1030ELNS1_3gpuE2ELNS1_3repE0EEENS1_30default_config_static_selectorELNS0_4arch9wavefront6targetE0EEEvT1_,"axG",@progbits,_ZN7rocprim17ROCPRIM_400000_NS6detail17trampoline_kernelINS0_14default_configENS1_27scan_by_key_config_selectorIiiEEZZNS1_16scan_by_key_implILNS1_25lookback_scan_determinismE0ELb0ES3_N6thrust23THRUST_200600_302600_NS6detail15normal_iteratorINS9_10device_ptrIiEEEESE_SE_iNS9_4plusIiEE19head_flag_predicateiEE10hipError_tPvRmT2_T3_T4_T5_mT6_T7_P12ihipStream_tbENKUlT_T0_E_clISt17integral_constantIbLb1EESY_EEDaST_SU_EUlST_E_NS1_11comp_targetILNS1_3genE8ELNS1_11target_archE1030ELNS1_3gpuE2ELNS1_3repE0EEENS1_30default_config_static_selectorELNS0_4arch9wavefront6targetE0EEEvT1_,comdat
	.protected	_ZN7rocprim17ROCPRIM_400000_NS6detail17trampoline_kernelINS0_14default_configENS1_27scan_by_key_config_selectorIiiEEZZNS1_16scan_by_key_implILNS1_25lookback_scan_determinismE0ELb0ES3_N6thrust23THRUST_200600_302600_NS6detail15normal_iteratorINS9_10device_ptrIiEEEESE_SE_iNS9_4plusIiEE19head_flag_predicateiEE10hipError_tPvRmT2_T3_T4_T5_mT6_T7_P12ihipStream_tbENKUlT_T0_E_clISt17integral_constantIbLb1EESY_EEDaST_SU_EUlST_E_NS1_11comp_targetILNS1_3genE8ELNS1_11target_archE1030ELNS1_3gpuE2ELNS1_3repE0EEENS1_30default_config_static_selectorELNS0_4arch9wavefront6targetE0EEEvT1_ ; -- Begin function _ZN7rocprim17ROCPRIM_400000_NS6detail17trampoline_kernelINS0_14default_configENS1_27scan_by_key_config_selectorIiiEEZZNS1_16scan_by_key_implILNS1_25lookback_scan_determinismE0ELb0ES3_N6thrust23THRUST_200600_302600_NS6detail15normal_iteratorINS9_10device_ptrIiEEEESE_SE_iNS9_4plusIiEE19head_flag_predicateiEE10hipError_tPvRmT2_T3_T4_T5_mT6_T7_P12ihipStream_tbENKUlT_T0_E_clISt17integral_constantIbLb1EESY_EEDaST_SU_EUlST_E_NS1_11comp_targetILNS1_3genE8ELNS1_11target_archE1030ELNS1_3gpuE2ELNS1_3repE0EEENS1_30default_config_static_selectorELNS0_4arch9wavefront6targetE0EEEvT1_
	.globl	_ZN7rocprim17ROCPRIM_400000_NS6detail17trampoline_kernelINS0_14default_configENS1_27scan_by_key_config_selectorIiiEEZZNS1_16scan_by_key_implILNS1_25lookback_scan_determinismE0ELb0ES3_N6thrust23THRUST_200600_302600_NS6detail15normal_iteratorINS9_10device_ptrIiEEEESE_SE_iNS9_4plusIiEE19head_flag_predicateiEE10hipError_tPvRmT2_T3_T4_T5_mT6_T7_P12ihipStream_tbENKUlT_T0_E_clISt17integral_constantIbLb1EESY_EEDaST_SU_EUlST_E_NS1_11comp_targetILNS1_3genE8ELNS1_11target_archE1030ELNS1_3gpuE2ELNS1_3repE0EEENS1_30default_config_static_selectorELNS0_4arch9wavefront6targetE0EEEvT1_
	.p2align	8
	.type	_ZN7rocprim17ROCPRIM_400000_NS6detail17trampoline_kernelINS0_14default_configENS1_27scan_by_key_config_selectorIiiEEZZNS1_16scan_by_key_implILNS1_25lookback_scan_determinismE0ELb0ES3_N6thrust23THRUST_200600_302600_NS6detail15normal_iteratorINS9_10device_ptrIiEEEESE_SE_iNS9_4plusIiEE19head_flag_predicateiEE10hipError_tPvRmT2_T3_T4_T5_mT6_T7_P12ihipStream_tbENKUlT_T0_E_clISt17integral_constantIbLb1EESY_EEDaST_SU_EUlST_E_NS1_11comp_targetILNS1_3genE8ELNS1_11target_archE1030ELNS1_3gpuE2ELNS1_3repE0EEENS1_30default_config_static_selectorELNS0_4arch9wavefront6targetE0EEEvT1_,@function
_ZN7rocprim17ROCPRIM_400000_NS6detail17trampoline_kernelINS0_14default_configENS1_27scan_by_key_config_selectorIiiEEZZNS1_16scan_by_key_implILNS1_25lookback_scan_determinismE0ELb0ES3_N6thrust23THRUST_200600_302600_NS6detail15normal_iteratorINS9_10device_ptrIiEEEESE_SE_iNS9_4plusIiEE19head_flag_predicateiEE10hipError_tPvRmT2_T3_T4_T5_mT6_T7_P12ihipStream_tbENKUlT_T0_E_clISt17integral_constantIbLb1EESY_EEDaST_SU_EUlST_E_NS1_11comp_targetILNS1_3genE8ELNS1_11target_archE1030ELNS1_3gpuE2ELNS1_3repE0EEENS1_30default_config_static_selectorELNS0_4arch9wavefront6targetE0EEEvT1_: ; @_ZN7rocprim17ROCPRIM_400000_NS6detail17trampoline_kernelINS0_14default_configENS1_27scan_by_key_config_selectorIiiEEZZNS1_16scan_by_key_implILNS1_25lookback_scan_determinismE0ELb0ES3_N6thrust23THRUST_200600_302600_NS6detail15normal_iteratorINS9_10device_ptrIiEEEESE_SE_iNS9_4plusIiEE19head_flag_predicateiEE10hipError_tPvRmT2_T3_T4_T5_mT6_T7_P12ihipStream_tbENKUlT_T0_E_clISt17integral_constantIbLb1EESY_EEDaST_SU_EUlST_E_NS1_11comp_targetILNS1_3genE8ELNS1_11target_archE1030ELNS1_3gpuE2ELNS1_3repE0EEENS1_30default_config_static_selectorELNS0_4arch9wavefront6targetE0EEEvT1_
; %bb.0:
	s_endpgm
	.section	.rodata,"a",@progbits
	.p2align	6, 0x0
	.amdhsa_kernel _ZN7rocprim17ROCPRIM_400000_NS6detail17trampoline_kernelINS0_14default_configENS1_27scan_by_key_config_selectorIiiEEZZNS1_16scan_by_key_implILNS1_25lookback_scan_determinismE0ELb0ES3_N6thrust23THRUST_200600_302600_NS6detail15normal_iteratorINS9_10device_ptrIiEEEESE_SE_iNS9_4plusIiEE19head_flag_predicateiEE10hipError_tPvRmT2_T3_T4_T5_mT6_T7_P12ihipStream_tbENKUlT_T0_E_clISt17integral_constantIbLb1EESY_EEDaST_SU_EUlST_E_NS1_11comp_targetILNS1_3genE8ELNS1_11target_archE1030ELNS1_3gpuE2ELNS1_3repE0EEENS1_30default_config_static_selectorELNS0_4arch9wavefront6targetE0EEEvT1_
		.amdhsa_group_segment_fixed_size 0
		.amdhsa_private_segment_fixed_size 0
		.amdhsa_kernarg_size 112
		.amdhsa_user_sgpr_count 6
		.amdhsa_user_sgpr_private_segment_buffer 1
		.amdhsa_user_sgpr_dispatch_ptr 0
		.amdhsa_user_sgpr_queue_ptr 0
		.amdhsa_user_sgpr_kernarg_segment_ptr 1
		.amdhsa_user_sgpr_dispatch_id 0
		.amdhsa_user_sgpr_flat_scratch_init 0
		.amdhsa_user_sgpr_private_segment_size 0
		.amdhsa_wavefront_size32 1
		.amdhsa_uses_dynamic_stack 0
		.amdhsa_system_sgpr_private_segment_wavefront_offset 0
		.amdhsa_system_sgpr_workgroup_id_x 1
		.amdhsa_system_sgpr_workgroup_id_y 0
		.amdhsa_system_sgpr_workgroup_id_z 0
		.amdhsa_system_sgpr_workgroup_info 0
		.amdhsa_system_vgpr_workitem_id 0
		.amdhsa_next_free_vgpr 1
		.amdhsa_next_free_sgpr 1
		.amdhsa_reserve_vcc 0
		.amdhsa_reserve_flat_scratch 0
		.amdhsa_float_round_mode_32 0
		.amdhsa_float_round_mode_16_64 0
		.amdhsa_float_denorm_mode_32 3
		.amdhsa_float_denorm_mode_16_64 3
		.amdhsa_dx10_clamp 1
		.amdhsa_ieee_mode 1
		.amdhsa_fp16_overflow 0
		.amdhsa_workgroup_processor_mode 1
		.amdhsa_memory_ordered 1
		.amdhsa_forward_progress 1
		.amdhsa_shared_vgpr_count 0
		.amdhsa_exception_fp_ieee_invalid_op 0
		.amdhsa_exception_fp_denorm_src 0
		.amdhsa_exception_fp_ieee_div_zero 0
		.amdhsa_exception_fp_ieee_overflow 0
		.amdhsa_exception_fp_ieee_underflow 0
		.amdhsa_exception_fp_ieee_inexact 0
		.amdhsa_exception_int_div_zero 0
	.end_amdhsa_kernel
	.section	.text._ZN7rocprim17ROCPRIM_400000_NS6detail17trampoline_kernelINS0_14default_configENS1_27scan_by_key_config_selectorIiiEEZZNS1_16scan_by_key_implILNS1_25lookback_scan_determinismE0ELb0ES3_N6thrust23THRUST_200600_302600_NS6detail15normal_iteratorINS9_10device_ptrIiEEEESE_SE_iNS9_4plusIiEE19head_flag_predicateiEE10hipError_tPvRmT2_T3_T4_T5_mT6_T7_P12ihipStream_tbENKUlT_T0_E_clISt17integral_constantIbLb1EESY_EEDaST_SU_EUlST_E_NS1_11comp_targetILNS1_3genE8ELNS1_11target_archE1030ELNS1_3gpuE2ELNS1_3repE0EEENS1_30default_config_static_selectorELNS0_4arch9wavefront6targetE0EEEvT1_,"axG",@progbits,_ZN7rocprim17ROCPRIM_400000_NS6detail17trampoline_kernelINS0_14default_configENS1_27scan_by_key_config_selectorIiiEEZZNS1_16scan_by_key_implILNS1_25lookback_scan_determinismE0ELb0ES3_N6thrust23THRUST_200600_302600_NS6detail15normal_iteratorINS9_10device_ptrIiEEEESE_SE_iNS9_4plusIiEE19head_flag_predicateiEE10hipError_tPvRmT2_T3_T4_T5_mT6_T7_P12ihipStream_tbENKUlT_T0_E_clISt17integral_constantIbLb1EESY_EEDaST_SU_EUlST_E_NS1_11comp_targetILNS1_3genE8ELNS1_11target_archE1030ELNS1_3gpuE2ELNS1_3repE0EEENS1_30default_config_static_selectorELNS0_4arch9wavefront6targetE0EEEvT1_,comdat
.Lfunc_end766:
	.size	_ZN7rocprim17ROCPRIM_400000_NS6detail17trampoline_kernelINS0_14default_configENS1_27scan_by_key_config_selectorIiiEEZZNS1_16scan_by_key_implILNS1_25lookback_scan_determinismE0ELb0ES3_N6thrust23THRUST_200600_302600_NS6detail15normal_iteratorINS9_10device_ptrIiEEEESE_SE_iNS9_4plusIiEE19head_flag_predicateiEE10hipError_tPvRmT2_T3_T4_T5_mT6_T7_P12ihipStream_tbENKUlT_T0_E_clISt17integral_constantIbLb1EESY_EEDaST_SU_EUlST_E_NS1_11comp_targetILNS1_3genE8ELNS1_11target_archE1030ELNS1_3gpuE2ELNS1_3repE0EEENS1_30default_config_static_selectorELNS0_4arch9wavefront6targetE0EEEvT1_, .Lfunc_end766-_ZN7rocprim17ROCPRIM_400000_NS6detail17trampoline_kernelINS0_14default_configENS1_27scan_by_key_config_selectorIiiEEZZNS1_16scan_by_key_implILNS1_25lookback_scan_determinismE0ELb0ES3_N6thrust23THRUST_200600_302600_NS6detail15normal_iteratorINS9_10device_ptrIiEEEESE_SE_iNS9_4plusIiEE19head_flag_predicateiEE10hipError_tPvRmT2_T3_T4_T5_mT6_T7_P12ihipStream_tbENKUlT_T0_E_clISt17integral_constantIbLb1EESY_EEDaST_SU_EUlST_E_NS1_11comp_targetILNS1_3genE8ELNS1_11target_archE1030ELNS1_3gpuE2ELNS1_3repE0EEENS1_30default_config_static_selectorELNS0_4arch9wavefront6targetE0EEEvT1_
                                        ; -- End function
	.set _ZN7rocprim17ROCPRIM_400000_NS6detail17trampoline_kernelINS0_14default_configENS1_27scan_by_key_config_selectorIiiEEZZNS1_16scan_by_key_implILNS1_25lookback_scan_determinismE0ELb0ES3_N6thrust23THRUST_200600_302600_NS6detail15normal_iteratorINS9_10device_ptrIiEEEESE_SE_iNS9_4plusIiEE19head_flag_predicateiEE10hipError_tPvRmT2_T3_T4_T5_mT6_T7_P12ihipStream_tbENKUlT_T0_E_clISt17integral_constantIbLb1EESY_EEDaST_SU_EUlST_E_NS1_11comp_targetILNS1_3genE8ELNS1_11target_archE1030ELNS1_3gpuE2ELNS1_3repE0EEENS1_30default_config_static_selectorELNS0_4arch9wavefront6targetE0EEEvT1_.num_vgpr, 0
	.set _ZN7rocprim17ROCPRIM_400000_NS6detail17trampoline_kernelINS0_14default_configENS1_27scan_by_key_config_selectorIiiEEZZNS1_16scan_by_key_implILNS1_25lookback_scan_determinismE0ELb0ES3_N6thrust23THRUST_200600_302600_NS6detail15normal_iteratorINS9_10device_ptrIiEEEESE_SE_iNS9_4plusIiEE19head_flag_predicateiEE10hipError_tPvRmT2_T3_T4_T5_mT6_T7_P12ihipStream_tbENKUlT_T0_E_clISt17integral_constantIbLb1EESY_EEDaST_SU_EUlST_E_NS1_11comp_targetILNS1_3genE8ELNS1_11target_archE1030ELNS1_3gpuE2ELNS1_3repE0EEENS1_30default_config_static_selectorELNS0_4arch9wavefront6targetE0EEEvT1_.num_agpr, 0
	.set _ZN7rocprim17ROCPRIM_400000_NS6detail17trampoline_kernelINS0_14default_configENS1_27scan_by_key_config_selectorIiiEEZZNS1_16scan_by_key_implILNS1_25lookback_scan_determinismE0ELb0ES3_N6thrust23THRUST_200600_302600_NS6detail15normal_iteratorINS9_10device_ptrIiEEEESE_SE_iNS9_4plusIiEE19head_flag_predicateiEE10hipError_tPvRmT2_T3_T4_T5_mT6_T7_P12ihipStream_tbENKUlT_T0_E_clISt17integral_constantIbLb1EESY_EEDaST_SU_EUlST_E_NS1_11comp_targetILNS1_3genE8ELNS1_11target_archE1030ELNS1_3gpuE2ELNS1_3repE0EEENS1_30default_config_static_selectorELNS0_4arch9wavefront6targetE0EEEvT1_.numbered_sgpr, 0
	.set _ZN7rocprim17ROCPRIM_400000_NS6detail17trampoline_kernelINS0_14default_configENS1_27scan_by_key_config_selectorIiiEEZZNS1_16scan_by_key_implILNS1_25lookback_scan_determinismE0ELb0ES3_N6thrust23THRUST_200600_302600_NS6detail15normal_iteratorINS9_10device_ptrIiEEEESE_SE_iNS9_4plusIiEE19head_flag_predicateiEE10hipError_tPvRmT2_T3_T4_T5_mT6_T7_P12ihipStream_tbENKUlT_T0_E_clISt17integral_constantIbLb1EESY_EEDaST_SU_EUlST_E_NS1_11comp_targetILNS1_3genE8ELNS1_11target_archE1030ELNS1_3gpuE2ELNS1_3repE0EEENS1_30default_config_static_selectorELNS0_4arch9wavefront6targetE0EEEvT1_.num_named_barrier, 0
	.set _ZN7rocprim17ROCPRIM_400000_NS6detail17trampoline_kernelINS0_14default_configENS1_27scan_by_key_config_selectorIiiEEZZNS1_16scan_by_key_implILNS1_25lookback_scan_determinismE0ELb0ES3_N6thrust23THRUST_200600_302600_NS6detail15normal_iteratorINS9_10device_ptrIiEEEESE_SE_iNS9_4plusIiEE19head_flag_predicateiEE10hipError_tPvRmT2_T3_T4_T5_mT6_T7_P12ihipStream_tbENKUlT_T0_E_clISt17integral_constantIbLb1EESY_EEDaST_SU_EUlST_E_NS1_11comp_targetILNS1_3genE8ELNS1_11target_archE1030ELNS1_3gpuE2ELNS1_3repE0EEENS1_30default_config_static_selectorELNS0_4arch9wavefront6targetE0EEEvT1_.private_seg_size, 0
	.set _ZN7rocprim17ROCPRIM_400000_NS6detail17trampoline_kernelINS0_14default_configENS1_27scan_by_key_config_selectorIiiEEZZNS1_16scan_by_key_implILNS1_25lookback_scan_determinismE0ELb0ES3_N6thrust23THRUST_200600_302600_NS6detail15normal_iteratorINS9_10device_ptrIiEEEESE_SE_iNS9_4plusIiEE19head_flag_predicateiEE10hipError_tPvRmT2_T3_T4_T5_mT6_T7_P12ihipStream_tbENKUlT_T0_E_clISt17integral_constantIbLb1EESY_EEDaST_SU_EUlST_E_NS1_11comp_targetILNS1_3genE8ELNS1_11target_archE1030ELNS1_3gpuE2ELNS1_3repE0EEENS1_30default_config_static_selectorELNS0_4arch9wavefront6targetE0EEEvT1_.uses_vcc, 0
	.set _ZN7rocprim17ROCPRIM_400000_NS6detail17trampoline_kernelINS0_14default_configENS1_27scan_by_key_config_selectorIiiEEZZNS1_16scan_by_key_implILNS1_25lookback_scan_determinismE0ELb0ES3_N6thrust23THRUST_200600_302600_NS6detail15normal_iteratorINS9_10device_ptrIiEEEESE_SE_iNS9_4plusIiEE19head_flag_predicateiEE10hipError_tPvRmT2_T3_T4_T5_mT6_T7_P12ihipStream_tbENKUlT_T0_E_clISt17integral_constantIbLb1EESY_EEDaST_SU_EUlST_E_NS1_11comp_targetILNS1_3genE8ELNS1_11target_archE1030ELNS1_3gpuE2ELNS1_3repE0EEENS1_30default_config_static_selectorELNS0_4arch9wavefront6targetE0EEEvT1_.uses_flat_scratch, 0
	.set _ZN7rocprim17ROCPRIM_400000_NS6detail17trampoline_kernelINS0_14default_configENS1_27scan_by_key_config_selectorIiiEEZZNS1_16scan_by_key_implILNS1_25lookback_scan_determinismE0ELb0ES3_N6thrust23THRUST_200600_302600_NS6detail15normal_iteratorINS9_10device_ptrIiEEEESE_SE_iNS9_4plusIiEE19head_flag_predicateiEE10hipError_tPvRmT2_T3_T4_T5_mT6_T7_P12ihipStream_tbENKUlT_T0_E_clISt17integral_constantIbLb1EESY_EEDaST_SU_EUlST_E_NS1_11comp_targetILNS1_3genE8ELNS1_11target_archE1030ELNS1_3gpuE2ELNS1_3repE0EEENS1_30default_config_static_selectorELNS0_4arch9wavefront6targetE0EEEvT1_.has_dyn_sized_stack, 0
	.set _ZN7rocprim17ROCPRIM_400000_NS6detail17trampoline_kernelINS0_14default_configENS1_27scan_by_key_config_selectorIiiEEZZNS1_16scan_by_key_implILNS1_25lookback_scan_determinismE0ELb0ES3_N6thrust23THRUST_200600_302600_NS6detail15normal_iteratorINS9_10device_ptrIiEEEESE_SE_iNS9_4plusIiEE19head_flag_predicateiEE10hipError_tPvRmT2_T3_T4_T5_mT6_T7_P12ihipStream_tbENKUlT_T0_E_clISt17integral_constantIbLb1EESY_EEDaST_SU_EUlST_E_NS1_11comp_targetILNS1_3genE8ELNS1_11target_archE1030ELNS1_3gpuE2ELNS1_3repE0EEENS1_30default_config_static_selectorELNS0_4arch9wavefront6targetE0EEEvT1_.has_recursion, 0
	.set _ZN7rocprim17ROCPRIM_400000_NS6detail17trampoline_kernelINS0_14default_configENS1_27scan_by_key_config_selectorIiiEEZZNS1_16scan_by_key_implILNS1_25lookback_scan_determinismE0ELb0ES3_N6thrust23THRUST_200600_302600_NS6detail15normal_iteratorINS9_10device_ptrIiEEEESE_SE_iNS9_4plusIiEE19head_flag_predicateiEE10hipError_tPvRmT2_T3_T4_T5_mT6_T7_P12ihipStream_tbENKUlT_T0_E_clISt17integral_constantIbLb1EESY_EEDaST_SU_EUlST_E_NS1_11comp_targetILNS1_3genE8ELNS1_11target_archE1030ELNS1_3gpuE2ELNS1_3repE0EEENS1_30default_config_static_selectorELNS0_4arch9wavefront6targetE0EEEvT1_.has_indirect_call, 0
	.section	.AMDGPU.csdata,"",@progbits
; Kernel info:
; codeLenInByte = 4
; TotalNumSgprs: 0
; NumVgprs: 0
; ScratchSize: 0
; MemoryBound: 0
; FloatMode: 240
; IeeeMode: 1
; LDSByteSize: 0 bytes/workgroup (compile time only)
; SGPRBlocks: 0
; VGPRBlocks: 0
; NumSGPRsForWavesPerEU: 1
; NumVGPRsForWavesPerEU: 1
; Occupancy: 16
; WaveLimiterHint : 0
; COMPUTE_PGM_RSRC2:SCRATCH_EN: 0
; COMPUTE_PGM_RSRC2:USER_SGPR: 6
; COMPUTE_PGM_RSRC2:TRAP_HANDLER: 0
; COMPUTE_PGM_RSRC2:TGID_X_EN: 1
; COMPUTE_PGM_RSRC2:TGID_Y_EN: 0
; COMPUTE_PGM_RSRC2:TGID_Z_EN: 0
; COMPUTE_PGM_RSRC2:TIDIG_COMP_CNT: 0
	.section	.text._ZN7rocprim17ROCPRIM_400000_NS6detail17trampoline_kernelINS0_14default_configENS1_27scan_by_key_config_selectorIiiEEZZNS1_16scan_by_key_implILNS1_25lookback_scan_determinismE0ELb0ES3_N6thrust23THRUST_200600_302600_NS6detail15normal_iteratorINS9_10device_ptrIiEEEESE_SE_iNS9_4plusIiEE19head_flag_predicateiEE10hipError_tPvRmT2_T3_T4_T5_mT6_T7_P12ihipStream_tbENKUlT_T0_E_clISt17integral_constantIbLb1EESX_IbLb0EEEEDaST_SU_EUlST_E_NS1_11comp_targetILNS1_3genE0ELNS1_11target_archE4294967295ELNS1_3gpuE0ELNS1_3repE0EEENS1_30default_config_static_selectorELNS0_4arch9wavefront6targetE0EEEvT1_,"axG",@progbits,_ZN7rocprim17ROCPRIM_400000_NS6detail17trampoline_kernelINS0_14default_configENS1_27scan_by_key_config_selectorIiiEEZZNS1_16scan_by_key_implILNS1_25lookback_scan_determinismE0ELb0ES3_N6thrust23THRUST_200600_302600_NS6detail15normal_iteratorINS9_10device_ptrIiEEEESE_SE_iNS9_4plusIiEE19head_flag_predicateiEE10hipError_tPvRmT2_T3_T4_T5_mT6_T7_P12ihipStream_tbENKUlT_T0_E_clISt17integral_constantIbLb1EESX_IbLb0EEEEDaST_SU_EUlST_E_NS1_11comp_targetILNS1_3genE0ELNS1_11target_archE4294967295ELNS1_3gpuE0ELNS1_3repE0EEENS1_30default_config_static_selectorELNS0_4arch9wavefront6targetE0EEEvT1_,comdat
	.protected	_ZN7rocprim17ROCPRIM_400000_NS6detail17trampoline_kernelINS0_14default_configENS1_27scan_by_key_config_selectorIiiEEZZNS1_16scan_by_key_implILNS1_25lookback_scan_determinismE0ELb0ES3_N6thrust23THRUST_200600_302600_NS6detail15normal_iteratorINS9_10device_ptrIiEEEESE_SE_iNS9_4plusIiEE19head_flag_predicateiEE10hipError_tPvRmT2_T3_T4_T5_mT6_T7_P12ihipStream_tbENKUlT_T0_E_clISt17integral_constantIbLb1EESX_IbLb0EEEEDaST_SU_EUlST_E_NS1_11comp_targetILNS1_3genE0ELNS1_11target_archE4294967295ELNS1_3gpuE0ELNS1_3repE0EEENS1_30default_config_static_selectorELNS0_4arch9wavefront6targetE0EEEvT1_ ; -- Begin function _ZN7rocprim17ROCPRIM_400000_NS6detail17trampoline_kernelINS0_14default_configENS1_27scan_by_key_config_selectorIiiEEZZNS1_16scan_by_key_implILNS1_25lookback_scan_determinismE0ELb0ES3_N6thrust23THRUST_200600_302600_NS6detail15normal_iteratorINS9_10device_ptrIiEEEESE_SE_iNS9_4plusIiEE19head_flag_predicateiEE10hipError_tPvRmT2_T3_T4_T5_mT6_T7_P12ihipStream_tbENKUlT_T0_E_clISt17integral_constantIbLb1EESX_IbLb0EEEEDaST_SU_EUlST_E_NS1_11comp_targetILNS1_3genE0ELNS1_11target_archE4294967295ELNS1_3gpuE0ELNS1_3repE0EEENS1_30default_config_static_selectorELNS0_4arch9wavefront6targetE0EEEvT1_
	.globl	_ZN7rocprim17ROCPRIM_400000_NS6detail17trampoline_kernelINS0_14default_configENS1_27scan_by_key_config_selectorIiiEEZZNS1_16scan_by_key_implILNS1_25lookback_scan_determinismE0ELb0ES3_N6thrust23THRUST_200600_302600_NS6detail15normal_iteratorINS9_10device_ptrIiEEEESE_SE_iNS9_4plusIiEE19head_flag_predicateiEE10hipError_tPvRmT2_T3_T4_T5_mT6_T7_P12ihipStream_tbENKUlT_T0_E_clISt17integral_constantIbLb1EESX_IbLb0EEEEDaST_SU_EUlST_E_NS1_11comp_targetILNS1_3genE0ELNS1_11target_archE4294967295ELNS1_3gpuE0ELNS1_3repE0EEENS1_30default_config_static_selectorELNS0_4arch9wavefront6targetE0EEEvT1_
	.p2align	8
	.type	_ZN7rocprim17ROCPRIM_400000_NS6detail17trampoline_kernelINS0_14default_configENS1_27scan_by_key_config_selectorIiiEEZZNS1_16scan_by_key_implILNS1_25lookback_scan_determinismE0ELb0ES3_N6thrust23THRUST_200600_302600_NS6detail15normal_iteratorINS9_10device_ptrIiEEEESE_SE_iNS9_4plusIiEE19head_flag_predicateiEE10hipError_tPvRmT2_T3_T4_T5_mT6_T7_P12ihipStream_tbENKUlT_T0_E_clISt17integral_constantIbLb1EESX_IbLb0EEEEDaST_SU_EUlST_E_NS1_11comp_targetILNS1_3genE0ELNS1_11target_archE4294967295ELNS1_3gpuE0ELNS1_3repE0EEENS1_30default_config_static_selectorELNS0_4arch9wavefront6targetE0EEEvT1_,@function
_ZN7rocprim17ROCPRIM_400000_NS6detail17trampoline_kernelINS0_14default_configENS1_27scan_by_key_config_selectorIiiEEZZNS1_16scan_by_key_implILNS1_25lookback_scan_determinismE0ELb0ES3_N6thrust23THRUST_200600_302600_NS6detail15normal_iteratorINS9_10device_ptrIiEEEESE_SE_iNS9_4plusIiEE19head_flag_predicateiEE10hipError_tPvRmT2_T3_T4_T5_mT6_T7_P12ihipStream_tbENKUlT_T0_E_clISt17integral_constantIbLb1EESX_IbLb0EEEEDaST_SU_EUlST_E_NS1_11comp_targetILNS1_3genE0ELNS1_11target_archE4294967295ELNS1_3gpuE0ELNS1_3repE0EEENS1_30default_config_static_selectorELNS0_4arch9wavefront6targetE0EEEvT1_: ; @_ZN7rocprim17ROCPRIM_400000_NS6detail17trampoline_kernelINS0_14default_configENS1_27scan_by_key_config_selectorIiiEEZZNS1_16scan_by_key_implILNS1_25lookback_scan_determinismE0ELb0ES3_N6thrust23THRUST_200600_302600_NS6detail15normal_iteratorINS9_10device_ptrIiEEEESE_SE_iNS9_4plusIiEE19head_flag_predicateiEE10hipError_tPvRmT2_T3_T4_T5_mT6_T7_P12ihipStream_tbENKUlT_T0_E_clISt17integral_constantIbLb1EESX_IbLb0EEEEDaST_SU_EUlST_E_NS1_11comp_targetILNS1_3genE0ELNS1_11target_archE4294967295ELNS1_3gpuE0ELNS1_3repE0EEENS1_30default_config_static_selectorELNS0_4arch9wavefront6targetE0EEEvT1_
; %bb.0:
	.section	.rodata,"a",@progbits
	.p2align	6, 0x0
	.amdhsa_kernel _ZN7rocprim17ROCPRIM_400000_NS6detail17trampoline_kernelINS0_14default_configENS1_27scan_by_key_config_selectorIiiEEZZNS1_16scan_by_key_implILNS1_25lookback_scan_determinismE0ELb0ES3_N6thrust23THRUST_200600_302600_NS6detail15normal_iteratorINS9_10device_ptrIiEEEESE_SE_iNS9_4plusIiEE19head_flag_predicateiEE10hipError_tPvRmT2_T3_T4_T5_mT6_T7_P12ihipStream_tbENKUlT_T0_E_clISt17integral_constantIbLb1EESX_IbLb0EEEEDaST_SU_EUlST_E_NS1_11comp_targetILNS1_3genE0ELNS1_11target_archE4294967295ELNS1_3gpuE0ELNS1_3repE0EEENS1_30default_config_static_selectorELNS0_4arch9wavefront6targetE0EEEvT1_
		.amdhsa_group_segment_fixed_size 0
		.amdhsa_private_segment_fixed_size 0
		.amdhsa_kernarg_size 112
		.amdhsa_user_sgpr_count 6
		.amdhsa_user_sgpr_private_segment_buffer 1
		.amdhsa_user_sgpr_dispatch_ptr 0
		.amdhsa_user_sgpr_queue_ptr 0
		.amdhsa_user_sgpr_kernarg_segment_ptr 1
		.amdhsa_user_sgpr_dispatch_id 0
		.amdhsa_user_sgpr_flat_scratch_init 0
		.amdhsa_user_sgpr_private_segment_size 0
		.amdhsa_wavefront_size32 1
		.amdhsa_uses_dynamic_stack 0
		.amdhsa_system_sgpr_private_segment_wavefront_offset 0
		.amdhsa_system_sgpr_workgroup_id_x 1
		.amdhsa_system_sgpr_workgroup_id_y 0
		.amdhsa_system_sgpr_workgroup_id_z 0
		.amdhsa_system_sgpr_workgroup_info 0
		.amdhsa_system_vgpr_workitem_id 0
		.amdhsa_next_free_vgpr 1
		.amdhsa_next_free_sgpr 1
		.amdhsa_reserve_vcc 0
		.amdhsa_reserve_flat_scratch 0
		.amdhsa_float_round_mode_32 0
		.amdhsa_float_round_mode_16_64 0
		.amdhsa_float_denorm_mode_32 3
		.amdhsa_float_denorm_mode_16_64 3
		.amdhsa_dx10_clamp 1
		.amdhsa_ieee_mode 1
		.amdhsa_fp16_overflow 0
		.amdhsa_workgroup_processor_mode 1
		.amdhsa_memory_ordered 1
		.amdhsa_forward_progress 1
		.amdhsa_shared_vgpr_count 0
		.amdhsa_exception_fp_ieee_invalid_op 0
		.amdhsa_exception_fp_denorm_src 0
		.amdhsa_exception_fp_ieee_div_zero 0
		.amdhsa_exception_fp_ieee_overflow 0
		.amdhsa_exception_fp_ieee_underflow 0
		.amdhsa_exception_fp_ieee_inexact 0
		.amdhsa_exception_int_div_zero 0
	.end_amdhsa_kernel
	.section	.text._ZN7rocprim17ROCPRIM_400000_NS6detail17trampoline_kernelINS0_14default_configENS1_27scan_by_key_config_selectorIiiEEZZNS1_16scan_by_key_implILNS1_25lookback_scan_determinismE0ELb0ES3_N6thrust23THRUST_200600_302600_NS6detail15normal_iteratorINS9_10device_ptrIiEEEESE_SE_iNS9_4plusIiEE19head_flag_predicateiEE10hipError_tPvRmT2_T3_T4_T5_mT6_T7_P12ihipStream_tbENKUlT_T0_E_clISt17integral_constantIbLb1EESX_IbLb0EEEEDaST_SU_EUlST_E_NS1_11comp_targetILNS1_3genE0ELNS1_11target_archE4294967295ELNS1_3gpuE0ELNS1_3repE0EEENS1_30default_config_static_selectorELNS0_4arch9wavefront6targetE0EEEvT1_,"axG",@progbits,_ZN7rocprim17ROCPRIM_400000_NS6detail17trampoline_kernelINS0_14default_configENS1_27scan_by_key_config_selectorIiiEEZZNS1_16scan_by_key_implILNS1_25lookback_scan_determinismE0ELb0ES3_N6thrust23THRUST_200600_302600_NS6detail15normal_iteratorINS9_10device_ptrIiEEEESE_SE_iNS9_4plusIiEE19head_flag_predicateiEE10hipError_tPvRmT2_T3_T4_T5_mT6_T7_P12ihipStream_tbENKUlT_T0_E_clISt17integral_constantIbLb1EESX_IbLb0EEEEDaST_SU_EUlST_E_NS1_11comp_targetILNS1_3genE0ELNS1_11target_archE4294967295ELNS1_3gpuE0ELNS1_3repE0EEENS1_30default_config_static_selectorELNS0_4arch9wavefront6targetE0EEEvT1_,comdat
.Lfunc_end767:
	.size	_ZN7rocprim17ROCPRIM_400000_NS6detail17trampoline_kernelINS0_14default_configENS1_27scan_by_key_config_selectorIiiEEZZNS1_16scan_by_key_implILNS1_25lookback_scan_determinismE0ELb0ES3_N6thrust23THRUST_200600_302600_NS6detail15normal_iteratorINS9_10device_ptrIiEEEESE_SE_iNS9_4plusIiEE19head_flag_predicateiEE10hipError_tPvRmT2_T3_T4_T5_mT6_T7_P12ihipStream_tbENKUlT_T0_E_clISt17integral_constantIbLb1EESX_IbLb0EEEEDaST_SU_EUlST_E_NS1_11comp_targetILNS1_3genE0ELNS1_11target_archE4294967295ELNS1_3gpuE0ELNS1_3repE0EEENS1_30default_config_static_selectorELNS0_4arch9wavefront6targetE0EEEvT1_, .Lfunc_end767-_ZN7rocprim17ROCPRIM_400000_NS6detail17trampoline_kernelINS0_14default_configENS1_27scan_by_key_config_selectorIiiEEZZNS1_16scan_by_key_implILNS1_25lookback_scan_determinismE0ELb0ES3_N6thrust23THRUST_200600_302600_NS6detail15normal_iteratorINS9_10device_ptrIiEEEESE_SE_iNS9_4plusIiEE19head_flag_predicateiEE10hipError_tPvRmT2_T3_T4_T5_mT6_T7_P12ihipStream_tbENKUlT_T0_E_clISt17integral_constantIbLb1EESX_IbLb0EEEEDaST_SU_EUlST_E_NS1_11comp_targetILNS1_3genE0ELNS1_11target_archE4294967295ELNS1_3gpuE0ELNS1_3repE0EEENS1_30default_config_static_selectorELNS0_4arch9wavefront6targetE0EEEvT1_
                                        ; -- End function
	.set _ZN7rocprim17ROCPRIM_400000_NS6detail17trampoline_kernelINS0_14default_configENS1_27scan_by_key_config_selectorIiiEEZZNS1_16scan_by_key_implILNS1_25lookback_scan_determinismE0ELb0ES3_N6thrust23THRUST_200600_302600_NS6detail15normal_iteratorINS9_10device_ptrIiEEEESE_SE_iNS9_4plusIiEE19head_flag_predicateiEE10hipError_tPvRmT2_T3_T4_T5_mT6_T7_P12ihipStream_tbENKUlT_T0_E_clISt17integral_constantIbLb1EESX_IbLb0EEEEDaST_SU_EUlST_E_NS1_11comp_targetILNS1_3genE0ELNS1_11target_archE4294967295ELNS1_3gpuE0ELNS1_3repE0EEENS1_30default_config_static_selectorELNS0_4arch9wavefront6targetE0EEEvT1_.num_vgpr, 0
	.set _ZN7rocprim17ROCPRIM_400000_NS6detail17trampoline_kernelINS0_14default_configENS1_27scan_by_key_config_selectorIiiEEZZNS1_16scan_by_key_implILNS1_25lookback_scan_determinismE0ELb0ES3_N6thrust23THRUST_200600_302600_NS6detail15normal_iteratorINS9_10device_ptrIiEEEESE_SE_iNS9_4plusIiEE19head_flag_predicateiEE10hipError_tPvRmT2_T3_T4_T5_mT6_T7_P12ihipStream_tbENKUlT_T0_E_clISt17integral_constantIbLb1EESX_IbLb0EEEEDaST_SU_EUlST_E_NS1_11comp_targetILNS1_3genE0ELNS1_11target_archE4294967295ELNS1_3gpuE0ELNS1_3repE0EEENS1_30default_config_static_selectorELNS0_4arch9wavefront6targetE0EEEvT1_.num_agpr, 0
	.set _ZN7rocprim17ROCPRIM_400000_NS6detail17trampoline_kernelINS0_14default_configENS1_27scan_by_key_config_selectorIiiEEZZNS1_16scan_by_key_implILNS1_25lookback_scan_determinismE0ELb0ES3_N6thrust23THRUST_200600_302600_NS6detail15normal_iteratorINS9_10device_ptrIiEEEESE_SE_iNS9_4plusIiEE19head_flag_predicateiEE10hipError_tPvRmT2_T3_T4_T5_mT6_T7_P12ihipStream_tbENKUlT_T0_E_clISt17integral_constantIbLb1EESX_IbLb0EEEEDaST_SU_EUlST_E_NS1_11comp_targetILNS1_3genE0ELNS1_11target_archE4294967295ELNS1_3gpuE0ELNS1_3repE0EEENS1_30default_config_static_selectorELNS0_4arch9wavefront6targetE0EEEvT1_.numbered_sgpr, 0
	.set _ZN7rocprim17ROCPRIM_400000_NS6detail17trampoline_kernelINS0_14default_configENS1_27scan_by_key_config_selectorIiiEEZZNS1_16scan_by_key_implILNS1_25lookback_scan_determinismE0ELb0ES3_N6thrust23THRUST_200600_302600_NS6detail15normal_iteratorINS9_10device_ptrIiEEEESE_SE_iNS9_4plusIiEE19head_flag_predicateiEE10hipError_tPvRmT2_T3_T4_T5_mT6_T7_P12ihipStream_tbENKUlT_T0_E_clISt17integral_constantIbLb1EESX_IbLb0EEEEDaST_SU_EUlST_E_NS1_11comp_targetILNS1_3genE0ELNS1_11target_archE4294967295ELNS1_3gpuE0ELNS1_3repE0EEENS1_30default_config_static_selectorELNS0_4arch9wavefront6targetE0EEEvT1_.num_named_barrier, 0
	.set _ZN7rocprim17ROCPRIM_400000_NS6detail17trampoline_kernelINS0_14default_configENS1_27scan_by_key_config_selectorIiiEEZZNS1_16scan_by_key_implILNS1_25lookback_scan_determinismE0ELb0ES3_N6thrust23THRUST_200600_302600_NS6detail15normal_iteratorINS9_10device_ptrIiEEEESE_SE_iNS9_4plusIiEE19head_flag_predicateiEE10hipError_tPvRmT2_T3_T4_T5_mT6_T7_P12ihipStream_tbENKUlT_T0_E_clISt17integral_constantIbLb1EESX_IbLb0EEEEDaST_SU_EUlST_E_NS1_11comp_targetILNS1_3genE0ELNS1_11target_archE4294967295ELNS1_3gpuE0ELNS1_3repE0EEENS1_30default_config_static_selectorELNS0_4arch9wavefront6targetE0EEEvT1_.private_seg_size, 0
	.set _ZN7rocprim17ROCPRIM_400000_NS6detail17trampoline_kernelINS0_14default_configENS1_27scan_by_key_config_selectorIiiEEZZNS1_16scan_by_key_implILNS1_25lookback_scan_determinismE0ELb0ES3_N6thrust23THRUST_200600_302600_NS6detail15normal_iteratorINS9_10device_ptrIiEEEESE_SE_iNS9_4plusIiEE19head_flag_predicateiEE10hipError_tPvRmT2_T3_T4_T5_mT6_T7_P12ihipStream_tbENKUlT_T0_E_clISt17integral_constantIbLb1EESX_IbLb0EEEEDaST_SU_EUlST_E_NS1_11comp_targetILNS1_3genE0ELNS1_11target_archE4294967295ELNS1_3gpuE0ELNS1_3repE0EEENS1_30default_config_static_selectorELNS0_4arch9wavefront6targetE0EEEvT1_.uses_vcc, 0
	.set _ZN7rocprim17ROCPRIM_400000_NS6detail17trampoline_kernelINS0_14default_configENS1_27scan_by_key_config_selectorIiiEEZZNS1_16scan_by_key_implILNS1_25lookback_scan_determinismE0ELb0ES3_N6thrust23THRUST_200600_302600_NS6detail15normal_iteratorINS9_10device_ptrIiEEEESE_SE_iNS9_4plusIiEE19head_flag_predicateiEE10hipError_tPvRmT2_T3_T4_T5_mT6_T7_P12ihipStream_tbENKUlT_T0_E_clISt17integral_constantIbLb1EESX_IbLb0EEEEDaST_SU_EUlST_E_NS1_11comp_targetILNS1_3genE0ELNS1_11target_archE4294967295ELNS1_3gpuE0ELNS1_3repE0EEENS1_30default_config_static_selectorELNS0_4arch9wavefront6targetE0EEEvT1_.uses_flat_scratch, 0
	.set _ZN7rocprim17ROCPRIM_400000_NS6detail17trampoline_kernelINS0_14default_configENS1_27scan_by_key_config_selectorIiiEEZZNS1_16scan_by_key_implILNS1_25lookback_scan_determinismE0ELb0ES3_N6thrust23THRUST_200600_302600_NS6detail15normal_iteratorINS9_10device_ptrIiEEEESE_SE_iNS9_4plusIiEE19head_flag_predicateiEE10hipError_tPvRmT2_T3_T4_T5_mT6_T7_P12ihipStream_tbENKUlT_T0_E_clISt17integral_constantIbLb1EESX_IbLb0EEEEDaST_SU_EUlST_E_NS1_11comp_targetILNS1_3genE0ELNS1_11target_archE4294967295ELNS1_3gpuE0ELNS1_3repE0EEENS1_30default_config_static_selectorELNS0_4arch9wavefront6targetE0EEEvT1_.has_dyn_sized_stack, 0
	.set _ZN7rocprim17ROCPRIM_400000_NS6detail17trampoline_kernelINS0_14default_configENS1_27scan_by_key_config_selectorIiiEEZZNS1_16scan_by_key_implILNS1_25lookback_scan_determinismE0ELb0ES3_N6thrust23THRUST_200600_302600_NS6detail15normal_iteratorINS9_10device_ptrIiEEEESE_SE_iNS9_4plusIiEE19head_flag_predicateiEE10hipError_tPvRmT2_T3_T4_T5_mT6_T7_P12ihipStream_tbENKUlT_T0_E_clISt17integral_constantIbLb1EESX_IbLb0EEEEDaST_SU_EUlST_E_NS1_11comp_targetILNS1_3genE0ELNS1_11target_archE4294967295ELNS1_3gpuE0ELNS1_3repE0EEENS1_30default_config_static_selectorELNS0_4arch9wavefront6targetE0EEEvT1_.has_recursion, 0
	.set _ZN7rocprim17ROCPRIM_400000_NS6detail17trampoline_kernelINS0_14default_configENS1_27scan_by_key_config_selectorIiiEEZZNS1_16scan_by_key_implILNS1_25lookback_scan_determinismE0ELb0ES3_N6thrust23THRUST_200600_302600_NS6detail15normal_iteratorINS9_10device_ptrIiEEEESE_SE_iNS9_4plusIiEE19head_flag_predicateiEE10hipError_tPvRmT2_T3_T4_T5_mT6_T7_P12ihipStream_tbENKUlT_T0_E_clISt17integral_constantIbLb1EESX_IbLb0EEEEDaST_SU_EUlST_E_NS1_11comp_targetILNS1_3genE0ELNS1_11target_archE4294967295ELNS1_3gpuE0ELNS1_3repE0EEENS1_30default_config_static_selectorELNS0_4arch9wavefront6targetE0EEEvT1_.has_indirect_call, 0
	.section	.AMDGPU.csdata,"",@progbits
; Kernel info:
; codeLenInByte = 0
; TotalNumSgprs: 0
; NumVgprs: 0
; ScratchSize: 0
; MemoryBound: 0
; FloatMode: 240
; IeeeMode: 1
; LDSByteSize: 0 bytes/workgroup (compile time only)
; SGPRBlocks: 0
; VGPRBlocks: 0
; NumSGPRsForWavesPerEU: 1
; NumVGPRsForWavesPerEU: 1
; Occupancy: 16
; WaveLimiterHint : 0
; COMPUTE_PGM_RSRC2:SCRATCH_EN: 0
; COMPUTE_PGM_RSRC2:USER_SGPR: 6
; COMPUTE_PGM_RSRC2:TRAP_HANDLER: 0
; COMPUTE_PGM_RSRC2:TGID_X_EN: 1
; COMPUTE_PGM_RSRC2:TGID_Y_EN: 0
; COMPUTE_PGM_RSRC2:TGID_Z_EN: 0
; COMPUTE_PGM_RSRC2:TIDIG_COMP_CNT: 0
	.section	.text._ZN7rocprim17ROCPRIM_400000_NS6detail17trampoline_kernelINS0_14default_configENS1_27scan_by_key_config_selectorIiiEEZZNS1_16scan_by_key_implILNS1_25lookback_scan_determinismE0ELb0ES3_N6thrust23THRUST_200600_302600_NS6detail15normal_iteratorINS9_10device_ptrIiEEEESE_SE_iNS9_4plusIiEE19head_flag_predicateiEE10hipError_tPvRmT2_T3_T4_T5_mT6_T7_P12ihipStream_tbENKUlT_T0_E_clISt17integral_constantIbLb1EESX_IbLb0EEEEDaST_SU_EUlST_E_NS1_11comp_targetILNS1_3genE10ELNS1_11target_archE1201ELNS1_3gpuE5ELNS1_3repE0EEENS1_30default_config_static_selectorELNS0_4arch9wavefront6targetE0EEEvT1_,"axG",@progbits,_ZN7rocprim17ROCPRIM_400000_NS6detail17trampoline_kernelINS0_14default_configENS1_27scan_by_key_config_selectorIiiEEZZNS1_16scan_by_key_implILNS1_25lookback_scan_determinismE0ELb0ES3_N6thrust23THRUST_200600_302600_NS6detail15normal_iteratorINS9_10device_ptrIiEEEESE_SE_iNS9_4plusIiEE19head_flag_predicateiEE10hipError_tPvRmT2_T3_T4_T5_mT6_T7_P12ihipStream_tbENKUlT_T0_E_clISt17integral_constantIbLb1EESX_IbLb0EEEEDaST_SU_EUlST_E_NS1_11comp_targetILNS1_3genE10ELNS1_11target_archE1201ELNS1_3gpuE5ELNS1_3repE0EEENS1_30default_config_static_selectorELNS0_4arch9wavefront6targetE0EEEvT1_,comdat
	.protected	_ZN7rocprim17ROCPRIM_400000_NS6detail17trampoline_kernelINS0_14default_configENS1_27scan_by_key_config_selectorIiiEEZZNS1_16scan_by_key_implILNS1_25lookback_scan_determinismE0ELb0ES3_N6thrust23THRUST_200600_302600_NS6detail15normal_iteratorINS9_10device_ptrIiEEEESE_SE_iNS9_4plusIiEE19head_flag_predicateiEE10hipError_tPvRmT2_T3_T4_T5_mT6_T7_P12ihipStream_tbENKUlT_T0_E_clISt17integral_constantIbLb1EESX_IbLb0EEEEDaST_SU_EUlST_E_NS1_11comp_targetILNS1_3genE10ELNS1_11target_archE1201ELNS1_3gpuE5ELNS1_3repE0EEENS1_30default_config_static_selectorELNS0_4arch9wavefront6targetE0EEEvT1_ ; -- Begin function _ZN7rocprim17ROCPRIM_400000_NS6detail17trampoline_kernelINS0_14default_configENS1_27scan_by_key_config_selectorIiiEEZZNS1_16scan_by_key_implILNS1_25lookback_scan_determinismE0ELb0ES3_N6thrust23THRUST_200600_302600_NS6detail15normal_iteratorINS9_10device_ptrIiEEEESE_SE_iNS9_4plusIiEE19head_flag_predicateiEE10hipError_tPvRmT2_T3_T4_T5_mT6_T7_P12ihipStream_tbENKUlT_T0_E_clISt17integral_constantIbLb1EESX_IbLb0EEEEDaST_SU_EUlST_E_NS1_11comp_targetILNS1_3genE10ELNS1_11target_archE1201ELNS1_3gpuE5ELNS1_3repE0EEENS1_30default_config_static_selectorELNS0_4arch9wavefront6targetE0EEEvT1_
	.globl	_ZN7rocprim17ROCPRIM_400000_NS6detail17trampoline_kernelINS0_14default_configENS1_27scan_by_key_config_selectorIiiEEZZNS1_16scan_by_key_implILNS1_25lookback_scan_determinismE0ELb0ES3_N6thrust23THRUST_200600_302600_NS6detail15normal_iteratorINS9_10device_ptrIiEEEESE_SE_iNS9_4plusIiEE19head_flag_predicateiEE10hipError_tPvRmT2_T3_T4_T5_mT6_T7_P12ihipStream_tbENKUlT_T0_E_clISt17integral_constantIbLb1EESX_IbLb0EEEEDaST_SU_EUlST_E_NS1_11comp_targetILNS1_3genE10ELNS1_11target_archE1201ELNS1_3gpuE5ELNS1_3repE0EEENS1_30default_config_static_selectorELNS0_4arch9wavefront6targetE0EEEvT1_
	.p2align	8
	.type	_ZN7rocprim17ROCPRIM_400000_NS6detail17trampoline_kernelINS0_14default_configENS1_27scan_by_key_config_selectorIiiEEZZNS1_16scan_by_key_implILNS1_25lookback_scan_determinismE0ELb0ES3_N6thrust23THRUST_200600_302600_NS6detail15normal_iteratorINS9_10device_ptrIiEEEESE_SE_iNS9_4plusIiEE19head_flag_predicateiEE10hipError_tPvRmT2_T3_T4_T5_mT6_T7_P12ihipStream_tbENKUlT_T0_E_clISt17integral_constantIbLb1EESX_IbLb0EEEEDaST_SU_EUlST_E_NS1_11comp_targetILNS1_3genE10ELNS1_11target_archE1201ELNS1_3gpuE5ELNS1_3repE0EEENS1_30default_config_static_selectorELNS0_4arch9wavefront6targetE0EEEvT1_,@function
_ZN7rocprim17ROCPRIM_400000_NS6detail17trampoline_kernelINS0_14default_configENS1_27scan_by_key_config_selectorIiiEEZZNS1_16scan_by_key_implILNS1_25lookback_scan_determinismE0ELb0ES3_N6thrust23THRUST_200600_302600_NS6detail15normal_iteratorINS9_10device_ptrIiEEEESE_SE_iNS9_4plusIiEE19head_flag_predicateiEE10hipError_tPvRmT2_T3_T4_T5_mT6_T7_P12ihipStream_tbENKUlT_T0_E_clISt17integral_constantIbLb1EESX_IbLb0EEEEDaST_SU_EUlST_E_NS1_11comp_targetILNS1_3genE10ELNS1_11target_archE1201ELNS1_3gpuE5ELNS1_3repE0EEENS1_30default_config_static_selectorELNS0_4arch9wavefront6targetE0EEEvT1_: ; @_ZN7rocprim17ROCPRIM_400000_NS6detail17trampoline_kernelINS0_14default_configENS1_27scan_by_key_config_selectorIiiEEZZNS1_16scan_by_key_implILNS1_25lookback_scan_determinismE0ELb0ES3_N6thrust23THRUST_200600_302600_NS6detail15normal_iteratorINS9_10device_ptrIiEEEESE_SE_iNS9_4plusIiEE19head_flag_predicateiEE10hipError_tPvRmT2_T3_T4_T5_mT6_T7_P12ihipStream_tbENKUlT_T0_E_clISt17integral_constantIbLb1EESX_IbLb0EEEEDaST_SU_EUlST_E_NS1_11comp_targetILNS1_3genE10ELNS1_11target_archE1201ELNS1_3gpuE5ELNS1_3repE0EEENS1_30default_config_static_selectorELNS0_4arch9wavefront6targetE0EEEvT1_
; %bb.0:
	.section	.rodata,"a",@progbits
	.p2align	6, 0x0
	.amdhsa_kernel _ZN7rocprim17ROCPRIM_400000_NS6detail17trampoline_kernelINS0_14default_configENS1_27scan_by_key_config_selectorIiiEEZZNS1_16scan_by_key_implILNS1_25lookback_scan_determinismE0ELb0ES3_N6thrust23THRUST_200600_302600_NS6detail15normal_iteratorINS9_10device_ptrIiEEEESE_SE_iNS9_4plusIiEE19head_flag_predicateiEE10hipError_tPvRmT2_T3_T4_T5_mT6_T7_P12ihipStream_tbENKUlT_T0_E_clISt17integral_constantIbLb1EESX_IbLb0EEEEDaST_SU_EUlST_E_NS1_11comp_targetILNS1_3genE10ELNS1_11target_archE1201ELNS1_3gpuE5ELNS1_3repE0EEENS1_30default_config_static_selectorELNS0_4arch9wavefront6targetE0EEEvT1_
		.amdhsa_group_segment_fixed_size 0
		.amdhsa_private_segment_fixed_size 0
		.amdhsa_kernarg_size 112
		.amdhsa_user_sgpr_count 6
		.amdhsa_user_sgpr_private_segment_buffer 1
		.amdhsa_user_sgpr_dispatch_ptr 0
		.amdhsa_user_sgpr_queue_ptr 0
		.amdhsa_user_sgpr_kernarg_segment_ptr 1
		.amdhsa_user_sgpr_dispatch_id 0
		.amdhsa_user_sgpr_flat_scratch_init 0
		.amdhsa_user_sgpr_private_segment_size 0
		.amdhsa_wavefront_size32 1
		.amdhsa_uses_dynamic_stack 0
		.amdhsa_system_sgpr_private_segment_wavefront_offset 0
		.amdhsa_system_sgpr_workgroup_id_x 1
		.amdhsa_system_sgpr_workgroup_id_y 0
		.amdhsa_system_sgpr_workgroup_id_z 0
		.amdhsa_system_sgpr_workgroup_info 0
		.amdhsa_system_vgpr_workitem_id 0
		.amdhsa_next_free_vgpr 1
		.amdhsa_next_free_sgpr 1
		.amdhsa_reserve_vcc 0
		.amdhsa_reserve_flat_scratch 0
		.amdhsa_float_round_mode_32 0
		.amdhsa_float_round_mode_16_64 0
		.amdhsa_float_denorm_mode_32 3
		.amdhsa_float_denorm_mode_16_64 3
		.amdhsa_dx10_clamp 1
		.amdhsa_ieee_mode 1
		.amdhsa_fp16_overflow 0
		.amdhsa_workgroup_processor_mode 1
		.amdhsa_memory_ordered 1
		.amdhsa_forward_progress 1
		.amdhsa_shared_vgpr_count 0
		.amdhsa_exception_fp_ieee_invalid_op 0
		.amdhsa_exception_fp_denorm_src 0
		.amdhsa_exception_fp_ieee_div_zero 0
		.amdhsa_exception_fp_ieee_overflow 0
		.amdhsa_exception_fp_ieee_underflow 0
		.amdhsa_exception_fp_ieee_inexact 0
		.amdhsa_exception_int_div_zero 0
	.end_amdhsa_kernel
	.section	.text._ZN7rocprim17ROCPRIM_400000_NS6detail17trampoline_kernelINS0_14default_configENS1_27scan_by_key_config_selectorIiiEEZZNS1_16scan_by_key_implILNS1_25lookback_scan_determinismE0ELb0ES3_N6thrust23THRUST_200600_302600_NS6detail15normal_iteratorINS9_10device_ptrIiEEEESE_SE_iNS9_4plusIiEE19head_flag_predicateiEE10hipError_tPvRmT2_T3_T4_T5_mT6_T7_P12ihipStream_tbENKUlT_T0_E_clISt17integral_constantIbLb1EESX_IbLb0EEEEDaST_SU_EUlST_E_NS1_11comp_targetILNS1_3genE10ELNS1_11target_archE1201ELNS1_3gpuE5ELNS1_3repE0EEENS1_30default_config_static_selectorELNS0_4arch9wavefront6targetE0EEEvT1_,"axG",@progbits,_ZN7rocprim17ROCPRIM_400000_NS6detail17trampoline_kernelINS0_14default_configENS1_27scan_by_key_config_selectorIiiEEZZNS1_16scan_by_key_implILNS1_25lookback_scan_determinismE0ELb0ES3_N6thrust23THRUST_200600_302600_NS6detail15normal_iteratorINS9_10device_ptrIiEEEESE_SE_iNS9_4plusIiEE19head_flag_predicateiEE10hipError_tPvRmT2_T3_T4_T5_mT6_T7_P12ihipStream_tbENKUlT_T0_E_clISt17integral_constantIbLb1EESX_IbLb0EEEEDaST_SU_EUlST_E_NS1_11comp_targetILNS1_3genE10ELNS1_11target_archE1201ELNS1_3gpuE5ELNS1_3repE0EEENS1_30default_config_static_selectorELNS0_4arch9wavefront6targetE0EEEvT1_,comdat
.Lfunc_end768:
	.size	_ZN7rocprim17ROCPRIM_400000_NS6detail17trampoline_kernelINS0_14default_configENS1_27scan_by_key_config_selectorIiiEEZZNS1_16scan_by_key_implILNS1_25lookback_scan_determinismE0ELb0ES3_N6thrust23THRUST_200600_302600_NS6detail15normal_iteratorINS9_10device_ptrIiEEEESE_SE_iNS9_4plusIiEE19head_flag_predicateiEE10hipError_tPvRmT2_T3_T4_T5_mT6_T7_P12ihipStream_tbENKUlT_T0_E_clISt17integral_constantIbLb1EESX_IbLb0EEEEDaST_SU_EUlST_E_NS1_11comp_targetILNS1_3genE10ELNS1_11target_archE1201ELNS1_3gpuE5ELNS1_3repE0EEENS1_30default_config_static_selectorELNS0_4arch9wavefront6targetE0EEEvT1_, .Lfunc_end768-_ZN7rocprim17ROCPRIM_400000_NS6detail17trampoline_kernelINS0_14default_configENS1_27scan_by_key_config_selectorIiiEEZZNS1_16scan_by_key_implILNS1_25lookback_scan_determinismE0ELb0ES3_N6thrust23THRUST_200600_302600_NS6detail15normal_iteratorINS9_10device_ptrIiEEEESE_SE_iNS9_4plusIiEE19head_flag_predicateiEE10hipError_tPvRmT2_T3_T4_T5_mT6_T7_P12ihipStream_tbENKUlT_T0_E_clISt17integral_constantIbLb1EESX_IbLb0EEEEDaST_SU_EUlST_E_NS1_11comp_targetILNS1_3genE10ELNS1_11target_archE1201ELNS1_3gpuE5ELNS1_3repE0EEENS1_30default_config_static_selectorELNS0_4arch9wavefront6targetE0EEEvT1_
                                        ; -- End function
	.set _ZN7rocprim17ROCPRIM_400000_NS6detail17trampoline_kernelINS0_14default_configENS1_27scan_by_key_config_selectorIiiEEZZNS1_16scan_by_key_implILNS1_25lookback_scan_determinismE0ELb0ES3_N6thrust23THRUST_200600_302600_NS6detail15normal_iteratorINS9_10device_ptrIiEEEESE_SE_iNS9_4plusIiEE19head_flag_predicateiEE10hipError_tPvRmT2_T3_T4_T5_mT6_T7_P12ihipStream_tbENKUlT_T0_E_clISt17integral_constantIbLb1EESX_IbLb0EEEEDaST_SU_EUlST_E_NS1_11comp_targetILNS1_3genE10ELNS1_11target_archE1201ELNS1_3gpuE5ELNS1_3repE0EEENS1_30default_config_static_selectorELNS0_4arch9wavefront6targetE0EEEvT1_.num_vgpr, 0
	.set _ZN7rocprim17ROCPRIM_400000_NS6detail17trampoline_kernelINS0_14default_configENS1_27scan_by_key_config_selectorIiiEEZZNS1_16scan_by_key_implILNS1_25lookback_scan_determinismE0ELb0ES3_N6thrust23THRUST_200600_302600_NS6detail15normal_iteratorINS9_10device_ptrIiEEEESE_SE_iNS9_4plusIiEE19head_flag_predicateiEE10hipError_tPvRmT2_T3_T4_T5_mT6_T7_P12ihipStream_tbENKUlT_T0_E_clISt17integral_constantIbLb1EESX_IbLb0EEEEDaST_SU_EUlST_E_NS1_11comp_targetILNS1_3genE10ELNS1_11target_archE1201ELNS1_3gpuE5ELNS1_3repE0EEENS1_30default_config_static_selectorELNS0_4arch9wavefront6targetE0EEEvT1_.num_agpr, 0
	.set _ZN7rocprim17ROCPRIM_400000_NS6detail17trampoline_kernelINS0_14default_configENS1_27scan_by_key_config_selectorIiiEEZZNS1_16scan_by_key_implILNS1_25lookback_scan_determinismE0ELb0ES3_N6thrust23THRUST_200600_302600_NS6detail15normal_iteratorINS9_10device_ptrIiEEEESE_SE_iNS9_4plusIiEE19head_flag_predicateiEE10hipError_tPvRmT2_T3_T4_T5_mT6_T7_P12ihipStream_tbENKUlT_T0_E_clISt17integral_constantIbLb1EESX_IbLb0EEEEDaST_SU_EUlST_E_NS1_11comp_targetILNS1_3genE10ELNS1_11target_archE1201ELNS1_3gpuE5ELNS1_3repE0EEENS1_30default_config_static_selectorELNS0_4arch9wavefront6targetE0EEEvT1_.numbered_sgpr, 0
	.set _ZN7rocprim17ROCPRIM_400000_NS6detail17trampoline_kernelINS0_14default_configENS1_27scan_by_key_config_selectorIiiEEZZNS1_16scan_by_key_implILNS1_25lookback_scan_determinismE0ELb0ES3_N6thrust23THRUST_200600_302600_NS6detail15normal_iteratorINS9_10device_ptrIiEEEESE_SE_iNS9_4plusIiEE19head_flag_predicateiEE10hipError_tPvRmT2_T3_T4_T5_mT6_T7_P12ihipStream_tbENKUlT_T0_E_clISt17integral_constantIbLb1EESX_IbLb0EEEEDaST_SU_EUlST_E_NS1_11comp_targetILNS1_3genE10ELNS1_11target_archE1201ELNS1_3gpuE5ELNS1_3repE0EEENS1_30default_config_static_selectorELNS0_4arch9wavefront6targetE0EEEvT1_.num_named_barrier, 0
	.set _ZN7rocprim17ROCPRIM_400000_NS6detail17trampoline_kernelINS0_14default_configENS1_27scan_by_key_config_selectorIiiEEZZNS1_16scan_by_key_implILNS1_25lookback_scan_determinismE0ELb0ES3_N6thrust23THRUST_200600_302600_NS6detail15normal_iteratorINS9_10device_ptrIiEEEESE_SE_iNS9_4plusIiEE19head_flag_predicateiEE10hipError_tPvRmT2_T3_T4_T5_mT6_T7_P12ihipStream_tbENKUlT_T0_E_clISt17integral_constantIbLb1EESX_IbLb0EEEEDaST_SU_EUlST_E_NS1_11comp_targetILNS1_3genE10ELNS1_11target_archE1201ELNS1_3gpuE5ELNS1_3repE0EEENS1_30default_config_static_selectorELNS0_4arch9wavefront6targetE0EEEvT1_.private_seg_size, 0
	.set _ZN7rocprim17ROCPRIM_400000_NS6detail17trampoline_kernelINS0_14default_configENS1_27scan_by_key_config_selectorIiiEEZZNS1_16scan_by_key_implILNS1_25lookback_scan_determinismE0ELb0ES3_N6thrust23THRUST_200600_302600_NS6detail15normal_iteratorINS9_10device_ptrIiEEEESE_SE_iNS9_4plusIiEE19head_flag_predicateiEE10hipError_tPvRmT2_T3_T4_T5_mT6_T7_P12ihipStream_tbENKUlT_T0_E_clISt17integral_constantIbLb1EESX_IbLb0EEEEDaST_SU_EUlST_E_NS1_11comp_targetILNS1_3genE10ELNS1_11target_archE1201ELNS1_3gpuE5ELNS1_3repE0EEENS1_30default_config_static_selectorELNS0_4arch9wavefront6targetE0EEEvT1_.uses_vcc, 0
	.set _ZN7rocprim17ROCPRIM_400000_NS6detail17trampoline_kernelINS0_14default_configENS1_27scan_by_key_config_selectorIiiEEZZNS1_16scan_by_key_implILNS1_25lookback_scan_determinismE0ELb0ES3_N6thrust23THRUST_200600_302600_NS6detail15normal_iteratorINS9_10device_ptrIiEEEESE_SE_iNS9_4plusIiEE19head_flag_predicateiEE10hipError_tPvRmT2_T3_T4_T5_mT6_T7_P12ihipStream_tbENKUlT_T0_E_clISt17integral_constantIbLb1EESX_IbLb0EEEEDaST_SU_EUlST_E_NS1_11comp_targetILNS1_3genE10ELNS1_11target_archE1201ELNS1_3gpuE5ELNS1_3repE0EEENS1_30default_config_static_selectorELNS0_4arch9wavefront6targetE0EEEvT1_.uses_flat_scratch, 0
	.set _ZN7rocprim17ROCPRIM_400000_NS6detail17trampoline_kernelINS0_14default_configENS1_27scan_by_key_config_selectorIiiEEZZNS1_16scan_by_key_implILNS1_25lookback_scan_determinismE0ELb0ES3_N6thrust23THRUST_200600_302600_NS6detail15normal_iteratorINS9_10device_ptrIiEEEESE_SE_iNS9_4plusIiEE19head_flag_predicateiEE10hipError_tPvRmT2_T3_T4_T5_mT6_T7_P12ihipStream_tbENKUlT_T0_E_clISt17integral_constantIbLb1EESX_IbLb0EEEEDaST_SU_EUlST_E_NS1_11comp_targetILNS1_3genE10ELNS1_11target_archE1201ELNS1_3gpuE5ELNS1_3repE0EEENS1_30default_config_static_selectorELNS0_4arch9wavefront6targetE0EEEvT1_.has_dyn_sized_stack, 0
	.set _ZN7rocprim17ROCPRIM_400000_NS6detail17trampoline_kernelINS0_14default_configENS1_27scan_by_key_config_selectorIiiEEZZNS1_16scan_by_key_implILNS1_25lookback_scan_determinismE0ELb0ES3_N6thrust23THRUST_200600_302600_NS6detail15normal_iteratorINS9_10device_ptrIiEEEESE_SE_iNS9_4plusIiEE19head_flag_predicateiEE10hipError_tPvRmT2_T3_T4_T5_mT6_T7_P12ihipStream_tbENKUlT_T0_E_clISt17integral_constantIbLb1EESX_IbLb0EEEEDaST_SU_EUlST_E_NS1_11comp_targetILNS1_3genE10ELNS1_11target_archE1201ELNS1_3gpuE5ELNS1_3repE0EEENS1_30default_config_static_selectorELNS0_4arch9wavefront6targetE0EEEvT1_.has_recursion, 0
	.set _ZN7rocprim17ROCPRIM_400000_NS6detail17trampoline_kernelINS0_14default_configENS1_27scan_by_key_config_selectorIiiEEZZNS1_16scan_by_key_implILNS1_25lookback_scan_determinismE0ELb0ES3_N6thrust23THRUST_200600_302600_NS6detail15normal_iteratorINS9_10device_ptrIiEEEESE_SE_iNS9_4plusIiEE19head_flag_predicateiEE10hipError_tPvRmT2_T3_T4_T5_mT6_T7_P12ihipStream_tbENKUlT_T0_E_clISt17integral_constantIbLb1EESX_IbLb0EEEEDaST_SU_EUlST_E_NS1_11comp_targetILNS1_3genE10ELNS1_11target_archE1201ELNS1_3gpuE5ELNS1_3repE0EEENS1_30default_config_static_selectorELNS0_4arch9wavefront6targetE0EEEvT1_.has_indirect_call, 0
	.section	.AMDGPU.csdata,"",@progbits
; Kernel info:
; codeLenInByte = 0
; TotalNumSgprs: 0
; NumVgprs: 0
; ScratchSize: 0
; MemoryBound: 0
; FloatMode: 240
; IeeeMode: 1
; LDSByteSize: 0 bytes/workgroup (compile time only)
; SGPRBlocks: 0
; VGPRBlocks: 0
; NumSGPRsForWavesPerEU: 1
; NumVGPRsForWavesPerEU: 1
; Occupancy: 16
; WaveLimiterHint : 0
; COMPUTE_PGM_RSRC2:SCRATCH_EN: 0
; COMPUTE_PGM_RSRC2:USER_SGPR: 6
; COMPUTE_PGM_RSRC2:TRAP_HANDLER: 0
; COMPUTE_PGM_RSRC2:TGID_X_EN: 1
; COMPUTE_PGM_RSRC2:TGID_Y_EN: 0
; COMPUTE_PGM_RSRC2:TGID_Z_EN: 0
; COMPUTE_PGM_RSRC2:TIDIG_COMP_CNT: 0
	.section	.text._ZN7rocprim17ROCPRIM_400000_NS6detail17trampoline_kernelINS0_14default_configENS1_27scan_by_key_config_selectorIiiEEZZNS1_16scan_by_key_implILNS1_25lookback_scan_determinismE0ELb0ES3_N6thrust23THRUST_200600_302600_NS6detail15normal_iteratorINS9_10device_ptrIiEEEESE_SE_iNS9_4plusIiEE19head_flag_predicateiEE10hipError_tPvRmT2_T3_T4_T5_mT6_T7_P12ihipStream_tbENKUlT_T0_E_clISt17integral_constantIbLb1EESX_IbLb0EEEEDaST_SU_EUlST_E_NS1_11comp_targetILNS1_3genE5ELNS1_11target_archE942ELNS1_3gpuE9ELNS1_3repE0EEENS1_30default_config_static_selectorELNS0_4arch9wavefront6targetE0EEEvT1_,"axG",@progbits,_ZN7rocprim17ROCPRIM_400000_NS6detail17trampoline_kernelINS0_14default_configENS1_27scan_by_key_config_selectorIiiEEZZNS1_16scan_by_key_implILNS1_25lookback_scan_determinismE0ELb0ES3_N6thrust23THRUST_200600_302600_NS6detail15normal_iteratorINS9_10device_ptrIiEEEESE_SE_iNS9_4plusIiEE19head_flag_predicateiEE10hipError_tPvRmT2_T3_T4_T5_mT6_T7_P12ihipStream_tbENKUlT_T0_E_clISt17integral_constantIbLb1EESX_IbLb0EEEEDaST_SU_EUlST_E_NS1_11comp_targetILNS1_3genE5ELNS1_11target_archE942ELNS1_3gpuE9ELNS1_3repE0EEENS1_30default_config_static_selectorELNS0_4arch9wavefront6targetE0EEEvT1_,comdat
	.protected	_ZN7rocprim17ROCPRIM_400000_NS6detail17trampoline_kernelINS0_14default_configENS1_27scan_by_key_config_selectorIiiEEZZNS1_16scan_by_key_implILNS1_25lookback_scan_determinismE0ELb0ES3_N6thrust23THRUST_200600_302600_NS6detail15normal_iteratorINS9_10device_ptrIiEEEESE_SE_iNS9_4plusIiEE19head_flag_predicateiEE10hipError_tPvRmT2_T3_T4_T5_mT6_T7_P12ihipStream_tbENKUlT_T0_E_clISt17integral_constantIbLb1EESX_IbLb0EEEEDaST_SU_EUlST_E_NS1_11comp_targetILNS1_3genE5ELNS1_11target_archE942ELNS1_3gpuE9ELNS1_3repE0EEENS1_30default_config_static_selectorELNS0_4arch9wavefront6targetE0EEEvT1_ ; -- Begin function _ZN7rocprim17ROCPRIM_400000_NS6detail17trampoline_kernelINS0_14default_configENS1_27scan_by_key_config_selectorIiiEEZZNS1_16scan_by_key_implILNS1_25lookback_scan_determinismE0ELb0ES3_N6thrust23THRUST_200600_302600_NS6detail15normal_iteratorINS9_10device_ptrIiEEEESE_SE_iNS9_4plusIiEE19head_flag_predicateiEE10hipError_tPvRmT2_T3_T4_T5_mT6_T7_P12ihipStream_tbENKUlT_T0_E_clISt17integral_constantIbLb1EESX_IbLb0EEEEDaST_SU_EUlST_E_NS1_11comp_targetILNS1_3genE5ELNS1_11target_archE942ELNS1_3gpuE9ELNS1_3repE0EEENS1_30default_config_static_selectorELNS0_4arch9wavefront6targetE0EEEvT1_
	.globl	_ZN7rocprim17ROCPRIM_400000_NS6detail17trampoline_kernelINS0_14default_configENS1_27scan_by_key_config_selectorIiiEEZZNS1_16scan_by_key_implILNS1_25lookback_scan_determinismE0ELb0ES3_N6thrust23THRUST_200600_302600_NS6detail15normal_iteratorINS9_10device_ptrIiEEEESE_SE_iNS9_4plusIiEE19head_flag_predicateiEE10hipError_tPvRmT2_T3_T4_T5_mT6_T7_P12ihipStream_tbENKUlT_T0_E_clISt17integral_constantIbLb1EESX_IbLb0EEEEDaST_SU_EUlST_E_NS1_11comp_targetILNS1_3genE5ELNS1_11target_archE942ELNS1_3gpuE9ELNS1_3repE0EEENS1_30default_config_static_selectorELNS0_4arch9wavefront6targetE0EEEvT1_
	.p2align	8
	.type	_ZN7rocprim17ROCPRIM_400000_NS6detail17trampoline_kernelINS0_14default_configENS1_27scan_by_key_config_selectorIiiEEZZNS1_16scan_by_key_implILNS1_25lookback_scan_determinismE0ELb0ES3_N6thrust23THRUST_200600_302600_NS6detail15normal_iteratorINS9_10device_ptrIiEEEESE_SE_iNS9_4plusIiEE19head_flag_predicateiEE10hipError_tPvRmT2_T3_T4_T5_mT6_T7_P12ihipStream_tbENKUlT_T0_E_clISt17integral_constantIbLb1EESX_IbLb0EEEEDaST_SU_EUlST_E_NS1_11comp_targetILNS1_3genE5ELNS1_11target_archE942ELNS1_3gpuE9ELNS1_3repE0EEENS1_30default_config_static_selectorELNS0_4arch9wavefront6targetE0EEEvT1_,@function
_ZN7rocprim17ROCPRIM_400000_NS6detail17trampoline_kernelINS0_14default_configENS1_27scan_by_key_config_selectorIiiEEZZNS1_16scan_by_key_implILNS1_25lookback_scan_determinismE0ELb0ES3_N6thrust23THRUST_200600_302600_NS6detail15normal_iteratorINS9_10device_ptrIiEEEESE_SE_iNS9_4plusIiEE19head_flag_predicateiEE10hipError_tPvRmT2_T3_T4_T5_mT6_T7_P12ihipStream_tbENKUlT_T0_E_clISt17integral_constantIbLb1EESX_IbLb0EEEEDaST_SU_EUlST_E_NS1_11comp_targetILNS1_3genE5ELNS1_11target_archE942ELNS1_3gpuE9ELNS1_3repE0EEENS1_30default_config_static_selectorELNS0_4arch9wavefront6targetE0EEEvT1_: ; @_ZN7rocprim17ROCPRIM_400000_NS6detail17trampoline_kernelINS0_14default_configENS1_27scan_by_key_config_selectorIiiEEZZNS1_16scan_by_key_implILNS1_25lookback_scan_determinismE0ELb0ES3_N6thrust23THRUST_200600_302600_NS6detail15normal_iteratorINS9_10device_ptrIiEEEESE_SE_iNS9_4plusIiEE19head_flag_predicateiEE10hipError_tPvRmT2_T3_T4_T5_mT6_T7_P12ihipStream_tbENKUlT_T0_E_clISt17integral_constantIbLb1EESX_IbLb0EEEEDaST_SU_EUlST_E_NS1_11comp_targetILNS1_3genE5ELNS1_11target_archE942ELNS1_3gpuE9ELNS1_3repE0EEENS1_30default_config_static_selectorELNS0_4arch9wavefront6targetE0EEEvT1_
; %bb.0:
	.section	.rodata,"a",@progbits
	.p2align	6, 0x0
	.amdhsa_kernel _ZN7rocprim17ROCPRIM_400000_NS6detail17trampoline_kernelINS0_14default_configENS1_27scan_by_key_config_selectorIiiEEZZNS1_16scan_by_key_implILNS1_25lookback_scan_determinismE0ELb0ES3_N6thrust23THRUST_200600_302600_NS6detail15normal_iteratorINS9_10device_ptrIiEEEESE_SE_iNS9_4plusIiEE19head_flag_predicateiEE10hipError_tPvRmT2_T3_T4_T5_mT6_T7_P12ihipStream_tbENKUlT_T0_E_clISt17integral_constantIbLb1EESX_IbLb0EEEEDaST_SU_EUlST_E_NS1_11comp_targetILNS1_3genE5ELNS1_11target_archE942ELNS1_3gpuE9ELNS1_3repE0EEENS1_30default_config_static_selectorELNS0_4arch9wavefront6targetE0EEEvT1_
		.amdhsa_group_segment_fixed_size 0
		.amdhsa_private_segment_fixed_size 0
		.amdhsa_kernarg_size 112
		.amdhsa_user_sgpr_count 6
		.amdhsa_user_sgpr_private_segment_buffer 1
		.amdhsa_user_sgpr_dispatch_ptr 0
		.amdhsa_user_sgpr_queue_ptr 0
		.amdhsa_user_sgpr_kernarg_segment_ptr 1
		.amdhsa_user_sgpr_dispatch_id 0
		.amdhsa_user_sgpr_flat_scratch_init 0
		.amdhsa_user_sgpr_private_segment_size 0
		.amdhsa_wavefront_size32 1
		.amdhsa_uses_dynamic_stack 0
		.amdhsa_system_sgpr_private_segment_wavefront_offset 0
		.amdhsa_system_sgpr_workgroup_id_x 1
		.amdhsa_system_sgpr_workgroup_id_y 0
		.amdhsa_system_sgpr_workgroup_id_z 0
		.amdhsa_system_sgpr_workgroup_info 0
		.amdhsa_system_vgpr_workitem_id 0
		.amdhsa_next_free_vgpr 1
		.amdhsa_next_free_sgpr 1
		.amdhsa_reserve_vcc 0
		.amdhsa_reserve_flat_scratch 0
		.amdhsa_float_round_mode_32 0
		.amdhsa_float_round_mode_16_64 0
		.amdhsa_float_denorm_mode_32 3
		.amdhsa_float_denorm_mode_16_64 3
		.amdhsa_dx10_clamp 1
		.amdhsa_ieee_mode 1
		.amdhsa_fp16_overflow 0
		.amdhsa_workgroup_processor_mode 1
		.amdhsa_memory_ordered 1
		.amdhsa_forward_progress 1
		.amdhsa_shared_vgpr_count 0
		.amdhsa_exception_fp_ieee_invalid_op 0
		.amdhsa_exception_fp_denorm_src 0
		.amdhsa_exception_fp_ieee_div_zero 0
		.amdhsa_exception_fp_ieee_overflow 0
		.amdhsa_exception_fp_ieee_underflow 0
		.amdhsa_exception_fp_ieee_inexact 0
		.amdhsa_exception_int_div_zero 0
	.end_amdhsa_kernel
	.section	.text._ZN7rocprim17ROCPRIM_400000_NS6detail17trampoline_kernelINS0_14default_configENS1_27scan_by_key_config_selectorIiiEEZZNS1_16scan_by_key_implILNS1_25lookback_scan_determinismE0ELb0ES3_N6thrust23THRUST_200600_302600_NS6detail15normal_iteratorINS9_10device_ptrIiEEEESE_SE_iNS9_4plusIiEE19head_flag_predicateiEE10hipError_tPvRmT2_T3_T4_T5_mT6_T7_P12ihipStream_tbENKUlT_T0_E_clISt17integral_constantIbLb1EESX_IbLb0EEEEDaST_SU_EUlST_E_NS1_11comp_targetILNS1_3genE5ELNS1_11target_archE942ELNS1_3gpuE9ELNS1_3repE0EEENS1_30default_config_static_selectorELNS0_4arch9wavefront6targetE0EEEvT1_,"axG",@progbits,_ZN7rocprim17ROCPRIM_400000_NS6detail17trampoline_kernelINS0_14default_configENS1_27scan_by_key_config_selectorIiiEEZZNS1_16scan_by_key_implILNS1_25lookback_scan_determinismE0ELb0ES3_N6thrust23THRUST_200600_302600_NS6detail15normal_iteratorINS9_10device_ptrIiEEEESE_SE_iNS9_4plusIiEE19head_flag_predicateiEE10hipError_tPvRmT2_T3_T4_T5_mT6_T7_P12ihipStream_tbENKUlT_T0_E_clISt17integral_constantIbLb1EESX_IbLb0EEEEDaST_SU_EUlST_E_NS1_11comp_targetILNS1_3genE5ELNS1_11target_archE942ELNS1_3gpuE9ELNS1_3repE0EEENS1_30default_config_static_selectorELNS0_4arch9wavefront6targetE0EEEvT1_,comdat
.Lfunc_end769:
	.size	_ZN7rocprim17ROCPRIM_400000_NS6detail17trampoline_kernelINS0_14default_configENS1_27scan_by_key_config_selectorIiiEEZZNS1_16scan_by_key_implILNS1_25lookback_scan_determinismE0ELb0ES3_N6thrust23THRUST_200600_302600_NS6detail15normal_iteratorINS9_10device_ptrIiEEEESE_SE_iNS9_4plusIiEE19head_flag_predicateiEE10hipError_tPvRmT2_T3_T4_T5_mT6_T7_P12ihipStream_tbENKUlT_T0_E_clISt17integral_constantIbLb1EESX_IbLb0EEEEDaST_SU_EUlST_E_NS1_11comp_targetILNS1_3genE5ELNS1_11target_archE942ELNS1_3gpuE9ELNS1_3repE0EEENS1_30default_config_static_selectorELNS0_4arch9wavefront6targetE0EEEvT1_, .Lfunc_end769-_ZN7rocprim17ROCPRIM_400000_NS6detail17trampoline_kernelINS0_14default_configENS1_27scan_by_key_config_selectorIiiEEZZNS1_16scan_by_key_implILNS1_25lookback_scan_determinismE0ELb0ES3_N6thrust23THRUST_200600_302600_NS6detail15normal_iteratorINS9_10device_ptrIiEEEESE_SE_iNS9_4plusIiEE19head_flag_predicateiEE10hipError_tPvRmT2_T3_T4_T5_mT6_T7_P12ihipStream_tbENKUlT_T0_E_clISt17integral_constantIbLb1EESX_IbLb0EEEEDaST_SU_EUlST_E_NS1_11comp_targetILNS1_3genE5ELNS1_11target_archE942ELNS1_3gpuE9ELNS1_3repE0EEENS1_30default_config_static_selectorELNS0_4arch9wavefront6targetE0EEEvT1_
                                        ; -- End function
	.set _ZN7rocprim17ROCPRIM_400000_NS6detail17trampoline_kernelINS0_14default_configENS1_27scan_by_key_config_selectorIiiEEZZNS1_16scan_by_key_implILNS1_25lookback_scan_determinismE0ELb0ES3_N6thrust23THRUST_200600_302600_NS6detail15normal_iteratorINS9_10device_ptrIiEEEESE_SE_iNS9_4plusIiEE19head_flag_predicateiEE10hipError_tPvRmT2_T3_T4_T5_mT6_T7_P12ihipStream_tbENKUlT_T0_E_clISt17integral_constantIbLb1EESX_IbLb0EEEEDaST_SU_EUlST_E_NS1_11comp_targetILNS1_3genE5ELNS1_11target_archE942ELNS1_3gpuE9ELNS1_3repE0EEENS1_30default_config_static_selectorELNS0_4arch9wavefront6targetE0EEEvT1_.num_vgpr, 0
	.set _ZN7rocprim17ROCPRIM_400000_NS6detail17trampoline_kernelINS0_14default_configENS1_27scan_by_key_config_selectorIiiEEZZNS1_16scan_by_key_implILNS1_25lookback_scan_determinismE0ELb0ES3_N6thrust23THRUST_200600_302600_NS6detail15normal_iteratorINS9_10device_ptrIiEEEESE_SE_iNS9_4plusIiEE19head_flag_predicateiEE10hipError_tPvRmT2_T3_T4_T5_mT6_T7_P12ihipStream_tbENKUlT_T0_E_clISt17integral_constantIbLb1EESX_IbLb0EEEEDaST_SU_EUlST_E_NS1_11comp_targetILNS1_3genE5ELNS1_11target_archE942ELNS1_3gpuE9ELNS1_3repE0EEENS1_30default_config_static_selectorELNS0_4arch9wavefront6targetE0EEEvT1_.num_agpr, 0
	.set _ZN7rocprim17ROCPRIM_400000_NS6detail17trampoline_kernelINS0_14default_configENS1_27scan_by_key_config_selectorIiiEEZZNS1_16scan_by_key_implILNS1_25lookback_scan_determinismE0ELb0ES3_N6thrust23THRUST_200600_302600_NS6detail15normal_iteratorINS9_10device_ptrIiEEEESE_SE_iNS9_4plusIiEE19head_flag_predicateiEE10hipError_tPvRmT2_T3_T4_T5_mT6_T7_P12ihipStream_tbENKUlT_T0_E_clISt17integral_constantIbLb1EESX_IbLb0EEEEDaST_SU_EUlST_E_NS1_11comp_targetILNS1_3genE5ELNS1_11target_archE942ELNS1_3gpuE9ELNS1_3repE0EEENS1_30default_config_static_selectorELNS0_4arch9wavefront6targetE0EEEvT1_.numbered_sgpr, 0
	.set _ZN7rocprim17ROCPRIM_400000_NS6detail17trampoline_kernelINS0_14default_configENS1_27scan_by_key_config_selectorIiiEEZZNS1_16scan_by_key_implILNS1_25lookback_scan_determinismE0ELb0ES3_N6thrust23THRUST_200600_302600_NS6detail15normal_iteratorINS9_10device_ptrIiEEEESE_SE_iNS9_4plusIiEE19head_flag_predicateiEE10hipError_tPvRmT2_T3_T4_T5_mT6_T7_P12ihipStream_tbENKUlT_T0_E_clISt17integral_constantIbLb1EESX_IbLb0EEEEDaST_SU_EUlST_E_NS1_11comp_targetILNS1_3genE5ELNS1_11target_archE942ELNS1_3gpuE9ELNS1_3repE0EEENS1_30default_config_static_selectorELNS0_4arch9wavefront6targetE0EEEvT1_.num_named_barrier, 0
	.set _ZN7rocprim17ROCPRIM_400000_NS6detail17trampoline_kernelINS0_14default_configENS1_27scan_by_key_config_selectorIiiEEZZNS1_16scan_by_key_implILNS1_25lookback_scan_determinismE0ELb0ES3_N6thrust23THRUST_200600_302600_NS6detail15normal_iteratorINS9_10device_ptrIiEEEESE_SE_iNS9_4plusIiEE19head_flag_predicateiEE10hipError_tPvRmT2_T3_T4_T5_mT6_T7_P12ihipStream_tbENKUlT_T0_E_clISt17integral_constantIbLb1EESX_IbLb0EEEEDaST_SU_EUlST_E_NS1_11comp_targetILNS1_3genE5ELNS1_11target_archE942ELNS1_3gpuE9ELNS1_3repE0EEENS1_30default_config_static_selectorELNS0_4arch9wavefront6targetE0EEEvT1_.private_seg_size, 0
	.set _ZN7rocprim17ROCPRIM_400000_NS6detail17trampoline_kernelINS0_14default_configENS1_27scan_by_key_config_selectorIiiEEZZNS1_16scan_by_key_implILNS1_25lookback_scan_determinismE0ELb0ES3_N6thrust23THRUST_200600_302600_NS6detail15normal_iteratorINS9_10device_ptrIiEEEESE_SE_iNS9_4plusIiEE19head_flag_predicateiEE10hipError_tPvRmT2_T3_T4_T5_mT6_T7_P12ihipStream_tbENKUlT_T0_E_clISt17integral_constantIbLb1EESX_IbLb0EEEEDaST_SU_EUlST_E_NS1_11comp_targetILNS1_3genE5ELNS1_11target_archE942ELNS1_3gpuE9ELNS1_3repE0EEENS1_30default_config_static_selectorELNS0_4arch9wavefront6targetE0EEEvT1_.uses_vcc, 0
	.set _ZN7rocprim17ROCPRIM_400000_NS6detail17trampoline_kernelINS0_14default_configENS1_27scan_by_key_config_selectorIiiEEZZNS1_16scan_by_key_implILNS1_25lookback_scan_determinismE0ELb0ES3_N6thrust23THRUST_200600_302600_NS6detail15normal_iteratorINS9_10device_ptrIiEEEESE_SE_iNS9_4plusIiEE19head_flag_predicateiEE10hipError_tPvRmT2_T3_T4_T5_mT6_T7_P12ihipStream_tbENKUlT_T0_E_clISt17integral_constantIbLb1EESX_IbLb0EEEEDaST_SU_EUlST_E_NS1_11comp_targetILNS1_3genE5ELNS1_11target_archE942ELNS1_3gpuE9ELNS1_3repE0EEENS1_30default_config_static_selectorELNS0_4arch9wavefront6targetE0EEEvT1_.uses_flat_scratch, 0
	.set _ZN7rocprim17ROCPRIM_400000_NS6detail17trampoline_kernelINS0_14default_configENS1_27scan_by_key_config_selectorIiiEEZZNS1_16scan_by_key_implILNS1_25lookback_scan_determinismE0ELb0ES3_N6thrust23THRUST_200600_302600_NS6detail15normal_iteratorINS9_10device_ptrIiEEEESE_SE_iNS9_4plusIiEE19head_flag_predicateiEE10hipError_tPvRmT2_T3_T4_T5_mT6_T7_P12ihipStream_tbENKUlT_T0_E_clISt17integral_constantIbLb1EESX_IbLb0EEEEDaST_SU_EUlST_E_NS1_11comp_targetILNS1_3genE5ELNS1_11target_archE942ELNS1_3gpuE9ELNS1_3repE0EEENS1_30default_config_static_selectorELNS0_4arch9wavefront6targetE0EEEvT1_.has_dyn_sized_stack, 0
	.set _ZN7rocprim17ROCPRIM_400000_NS6detail17trampoline_kernelINS0_14default_configENS1_27scan_by_key_config_selectorIiiEEZZNS1_16scan_by_key_implILNS1_25lookback_scan_determinismE0ELb0ES3_N6thrust23THRUST_200600_302600_NS6detail15normal_iteratorINS9_10device_ptrIiEEEESE_SE_iNS9_4plusIiEE19head_flag_predicateiEE10hipError_tPvRmT2_T3_T4_T5_mT6_T7_P12ihipStream_tbENKUlT_T0_E_clISt17integral_constantIbLb1EESX_IbLb0EEEEDaST_SU_EUlST_E_NS1_11comp_targetILNS1_3genE5ELNS1_11target_archE942ELNS1_3gpuE9ELNS1_3repE0EEENS1_30default_config_static_selectorELNS0_4arch9wavefront6targetE0EEEvT1_.has_recursion, 0
	.set _ZN7rocprim17ROCPRIM_400000_NS6detail17trampoline_kernelINS0_14default_configENS1_27scan_by_key_config_selectorIiiEEZZNS1_16scan_by_key_implILNS1_25lookback_scan_determinismE0ELb0ES3_N6thrust23THRUST_200600_302600_NS6detail15normal_iteratorINS9_10device_ptrIiEEEESE_SE_iNS9_4plusIiEE19head_flag_predicateiEE10hipError_tPvRmT2_T3_T4_T5_mT6_T7_P12ihipStream_tbENKUlT_T0_E_clISt17integral_constantIbLb1EESX_IbLb0EEEEDaST_SU_EUlST_E_NS1_11comp_targetILNS1_3genE5ELNS1_11target_archE942ELNS1_3gpuE9ELNS1_3repE0EEENS1_30default_config_static_selectorELNS0_4arch9wavefront6targetE0EEEvT1_.has_indirect_call, 0
	.section	.AMDGPU.csdata,"",@progbits
; Kernel info:
; codeLenInByte = 0
; TotalNumSgprs: 0
; NumVgprs: 0
; ScratchSize: 0
; MemoryBound: 0
; FloatMode: 240
; IeeeMode: 1
; LDSByteSize: 0 bytes/workgroup (compile time only)
; SGPRBlocks: 0
; VGPRBlocks: 0
; NumSGPRsForWavesPerEU: 1
; NumVGPRsForWavesPerEU: 1
; Occupancy: 16
; WaveLimiterHint : 0
; COMPUTE_PGM_RSRC2:SCRATCH_EN: 0
; COMPUTE_PGM_RSRC2:USER_SGPR: 6
; COMPUTE_PGM_RSRC2:TRAP_HANDLER: 0
; COMPUTE_PGM_RSRC2:TGID_X_EN: 1
; COMPUTE_PGM_RSRC2:TGID_Y_EN: 0
; COMPUTE_PGM_RSRC2:TGID_Z_EN: 0
; COMPUTE_PGM_RSRC2:TIDIG_COMP_CNT: 0
	.section	.text._ZN7rocprim17ROCPRIM_400000_NS6detail17trampoline_kernelINS0_14default_configENS1_27scan_by_key_config_selectorIiiEEZZNS1_16scan_by_key_implILNS1_25lookback_scan_determinismE0ELb0ES3_N6thrust23THRUST_200600_302600_NS6detail15normal_iteratorINS9_10device_ptrIiEEEESE_SE_iNS9_4plusIiEE19head_flag_predicateiEE10hipError_tPvRmT2_T3_T4_T5_mT6_T7_P12ihipStream_tbENKUlT_T0_E_clISt17integral_constantIbLb1EESX_IbLb0EEEEDaST_SU_EUlST_E_NS1_11comp_targetILNS1_3genE4ELNS1_11target_archE910ELNS1_3gpuE8ELNS1_3repE0EEENS1_30default_config_static_selectorELNS0_4arch9wavefront6targetE0EEEvT1_,"axG",@progbits,_ZN7rocprim17ROCPRIM_400000_NS6detail17trampoline_kernelINS0_14default_configENS1_27scan_by_key_config_selectorIiiEEZZNS1_16scan_by_key_implILNS1_25lookback_scan_determinismE0ELb0ES3_N6thrust23THRUST_200600_302600_NS6detail15normal_iteratorINS9_10device_ptrIiEEEESE_SE_iNS9_4plusIiEE19head_flag_predicateiEE10hipError_tPvRmT2_T3_T4_T5_mT6_T7_P12ihipStream_tbENKUlT_T0_E_clISt17integral_constantIbLb1EESX_IbLb0EEEEDaST_SU_EUlST_E_NS1_11comp_targetILNS1_3genE4ELNS1_11target_archE910ELNS1_3gpuE8ELNS1_3repE0EEENS1_30default_config_static_selectorELNS0_4arch9wavefront6targetE0EEEvT1_,comdat
	.protected	_ZN7rocprim17ROCPRIM_400000_NS6detail17trampoline_kernelINS0_14default_configENS1_27scan_by_key_config_selectorIiiEEZZNS1_16scan_by_key_implILNS1_25lookback_scan_determinismE0ELb0ES3_N6thrust23THRUST_200600_302600_NS6detail15normal_iteratorINS9_10device_ptrIiEEEESE_SE_iNS9_4plusIiEE19head_flag_predicateiEE10hipError_tPvRmT2_T3_T4_T5_mT6_T7_P12ihipStream_tbENKUlT_T0_E_clISt17integral_constantIbLb1EESX_IbLb0EEEEDaST_SU_EUlST_E_NS1_11comp_targetILNS1_3genE4ELNS1_11target_archE910ELNS1_3gpuE8ELNS1_3repE0EEENS1_30default_config_static_selectorELNS0_4arch9wavefront6targetE0EEEvT1_ ; -- Begin function _ZN7rocprim17ROCPRIM_400000_NS6detail17trampoline_kernelINS0_14default_configENS1_27scan_by_key_config_selectorIiiEEZZNS1_16scan_by_key_implILNS1_25lookback_scan_determinismE0ELb0ES3_N6thrust23THRUST_200600_302600_NS6detail15normal_iteratorINS9_10device_ptrIiEEEESE_SE_iNS9_4plusIiEE19head_flag_predicateiEE10hipError_tPvRmT2_T3_T4_T5_mT6_T7_P12ihipStream_tbENKUlT_T0_E_clISt17integral_constantIbLb1EESX_IbLb0EEEEDaST_SU_EUlST_E_NS1_11comp_targetILNS1_3genE4ELNS1_11target_archE910ELNS1_3gpuE8ELNS1_3repE0EEENS1_30default_config_static_selectorELNS0_4arch9wavefront6targetE0EEEvT1_
	.globl	_ZN7rocprim17ROCPRIM_400000_NS6detail17trampoline_kernelINS0_14default_configENS1_27scan_by_key_config_selectorIiiEEZZNS1_16scan_by_key_implILNS1_25lookback_scan_determinismE0ELb0ES3_N6thrust23THRUST_200600_302600_NS6detail15normal_iteratorINS9_10device_ptrIiEEEESE_SE_iNS9_4plusIiEE19head_flag_predicateiEE10hipError_tPvRmT2_T3_T4_T5_mT6_T7_P12ihipStream_tbENKUlT_T0_E_clISt17integral_constantIbLb1EESX_IbLb0EEEEDaST_SU_EUlST_E_NS1_11comp_targetILNS1_3genE4ELNS1_11target_archE910ELNS1_3gpuE8ELNS1_3repE0EEENS1_30default_config_static_selectorELNS0_4arch9wavefront6targetE0EEEvT1_
	.p2align	8
	.type	_ZN7rocprim17ROCPRIM_400000_NS6detail17trampoline_kernelINS0_14default_configENS1_27scan_by_key_config_selectorIiiEEZZNS1_16scan_by_key_implILNS1_25lookback_scan_determinismE0ELb0ES3_N6thrust23THRUST_200600_302600_NS6detail15normal_iteratorINS9_10device_ptrIiEEEESE_SE_iNS9_4plusIiEE19head_flag_predicateiEE10hipError_tPvRmT2_T3_T4_T5_mT6_T7_P12ihipStream_tbENKUlT_T0_E_clISt17integral_constantIbLb1EESX_IbLb0EEEEDaST_SU_EUlST_E_NS1_11comp_targetILNS1_3genE4ELNS1_11target_archE910ELNS1_3gpuE8ELNS1_3repE0EEENS1_30default_config_static_selectorELNS0_4arch9wavefront6targetE0EEEvT1_,@function
_ZN7rocprim17ROCPRIM_400000_NS6detail17trampoline_kernelINS0_14default_configENS1_27scan_by_key_config_selectorIiiEEZZNS1_16scan_by_key_implILNS1_25lookback_scan_determinismE0ELb0ES3_N6thrust23THRUST_200600_302600_NS6detail15normal_iteratorINS9_10device_ptrIiEEEESE_SE_iNS9_4plusIiEE19head_flag_predicateiEE10hipError_tPvRmT2_T3_T4_T5_mT6_T7_P12ihipStream_tbENKUlT_T0_E_clISt17integral_constantIbLb1EESX_IbLb0EEEEDaST_SU_EUlST_E_NS1_11comp_targetILNS1_3genE4ELNS1_11target_archE910ELNS1_3gpuE8ELNS1_3repE0EEENS1_30default_config_static_selectorELNS0_4arch9wavefront6targetE0EEEvT1_: ; @_ZN7rocprim17ROCPRIM_400000_NS6detail17trampoline_kernelINS0_14default_configENS1_27scan_by_key_config_selectorIiiEEZZNS1_16scan_by_key_implILNS1_25lookback_scan_determinismE0ELb0ES3_N6thrust23THRUST_200600_302600_NS6detail15normal_iteratorINS9_10device_ptrIiEEEESE_SE_iNS9_4plusIiEE19head_flag_predicateiEE10hipError_tPvRmT2_T3_T4_T5_mT6_T7_P12ihipStream_tbENKUlT_T0_E_clISt17integral_constantIbLb1EESX_IbLb0EEEEDaST_SU_EUlST_E_NS1_11comp_targetILNS1_3genE4ELNS1_11target_archE910ELNS1_3gpuE8ELNS1_3repE0EEENS1_30default_config_static_selectorELNS0_4arch9wavefront6targetE0EEEvT1_
; %bb.0:
	.section	.rodata,"a",@progbits
	.p2align	6, 0x0
	.amdhsa_kernel _ZN7rocprim17ROCPRIM_400000_NS6detail17trampoline_kernelINS0_14default_configENS1_27scan_by_key_config_selectorIiiEEZZNS1_16scan_by_key_implILNS1_25lookback_scan_determinismE0ELb0ES3_N6thrust23THRUST_200600_302600_NS6detail15normal_iteratorINS9_10device_ptrIiEEEESE_SE_iNS9_4plusIiEE19head_flag_predicateiEE10hipError_tPvRmT2_T3_T4_T5_mT6_T7_P12ihipStream_tbENKUlT_T0_E_clISt17integral_constantIbLb1EESX_IbLb0EEEEDaST_SU_EUlST_E_NS1_11comp_targetILNS1_3genE4ELNS1_11target_archE910ELNS1_3gpuE8ELNS1_3repE0EEENS1_30default_config_static_selectorELNS0_4arch9wavefront6targetE0EEEvT1_
		.amdhsa_group_segment_fixed_size 0
		.amdhsa_private_segment_fixed_size 0
		.amdhsa_kernarg_size 112
		.amdhsa_user_sgpr_count 6
		.amdhsa_user_sgpr_private_segment_buffer 1
		.amdhsa_user_sgpr_dispatch_ptr 0
		.amdhsa_user_sgpr_queue_ptr 0
		.amdhsa_user_sgpr_kernarg_segment_ptr 1
		.amdhsa_user_sgpr_dispatch_id 0
		.amdhsa_user_sgpr_flat_scratch_init 0
		.amdhsa_user_sgpr_private_segment_size 0
		.amdhsa_wavefront_size32 1
		.amdhsa_uses_dynamic_stack 0
		.amdhsa_system_sgpr_private_segment_wavefront_offset 0
		.amdhsa_system_sgpr_workgroup_id_x 1
		.amdhsa_system_sgpr_workgroup_id_y 0
		.amdhsa_system_sgpr_workgroup_id_z 0
		.amdhsa_system_sgpr_workgroup_info 0
		.amdhsa_system_vgpr_workitem_id 0
		.amdhsa_next_free_vgpr 1
		.amdhsa_next_free_sgpr 1
		.amdhsa_reserve_vcc 0
		.amdhsa_reserve_flat_scratch 0
		.amdhsa_float_round_mode_32 0
		.amdhsa_float_round_mode_16_64 0
		.amdhsa_float_denorm_mode_32 3
		.amdhsa_float_denorm_mode_16_64 3
		.amdhsa_dx10_clamp 1
		.amdhsa_ieee_mode 1
		.amdhsa_fp16_overflow 0
		.amdhsa_workgroup_processor_mode 1
		.amdhsa_memory_ordered 1
		.amdhsa_forward_progress 1
		.amdhsa_shared_vgpr_count 0
		.amdhsa_exception_fp_ieee_invalid_op 0
		.amdhsa_exception_fp_denorm_src 0
		.amdhsa_exception_fp_ieee_div_zero 0
		.amdhsa_exception_fp_ieee_overflow 0
		.amdhsa_exception_fp_ieee_underflow 0
		.amdhsa_exception_fp_ieee_inexact 0
		.amdhsa_exception_int_div_zero 0
	.end_amdhsa_kernel
	.section	.text._ZN7rocprim17ROCPRIM_400000_NS6detail17trampoline_kernelINS0_14default_configENS1_27scan_by_key_config_selectorIiiEEZZNS1_16scan_by_key_implILNS1_25lookback_scan_determinismE0ELb0ES3_N6thrust23THRUST_200600_302600_NS6detail15normal_iteratorINS9_10device_ptrIiEEEESE_SE_iNS9_4plusIiEE19head_flag_predicateiEE10hipError_tPvRmT2_T3_T4_T5_mT6_T7_P12ihipStream_tbENKUlT_T0_E_clISt17integral_constantIbLb1EESX_IbLb0EEEEDaST_SU_EUlST_E_NS1_11comp_targetILNS1_3genE4ELNS1_11target_archE910ELNS1_3gpuE8ELNS1_3repE0EEENS1_30default_config_static_selectorELNS0_4arch9wavefront6targetE0EEEvT1_,"axG",@progbits,_ZN7rocprim17ROCPRIM_400000_NS6detail17trampoline_kernelINS0_14default_configENS1_27scan_by_key_config_selectorIiiEEZZNS1_16scan_by_key_implILNS1_25lookback_scan_determinismE0ELb0ES3_N6thrust23THRUST_200600_302600_NS6detail15normal_iteratorINS9_10device_ptrIiEEEESE_SE_iNS9_4plusIiEE19head_flag_predicateiEE10hipError_tPvRmT2_T3_T4_T5_mT6_T7_P12ihipStream_tbENKUlT_T0_E_clISt17integral_constantIbLb1EESX_IbLb0EEEEDaST_SU_EUlST_E_NS1_11comp_targetILNS1_3genE4ELNS1_11target_archE910ELNS1_3gpuE8ELNS1_3repE0EEENS1_30default_config_static_selectorELNS0_4arch9wavefront6targetE0EEEvT1_,comdat
.Lfunc_end770:
	.size	_ZN7rocprim17ROCPRIM_400000_NS6detail17trampoline_kernelINS0_14default_configENS1_27scan_by_key_config_selectorIiiEEZZNS1_16scan_by_key_implILNS1_25lookback_scan_determinismE0ELb0ES3_N6thrust23THRUST_200600_302600_NS6detail15normal_iteratorINS9_10device_ptrIiEEEESE_SE_iNS9_4plusIiEE19head_flag_predicateiEE10hipError_tPvRmT2_T3_T4_T5_mT6_T7_P12ihipStream_tbENKUlT_T0_E_clISt17integral_constantIbLb1EESX_IbLb0EEEEDaST_SU_EUlST_E_NS1_11comp_targetILNS1_3genE4ELNS1_11target_archE910ELNS1_3gpuE8ELNS1_3repE0EEENS1_30default_config_static_selectorELNS0_4arch9wavefront6targetE0EEEvT1_, .Lfunc_end770-_ZN7rocprim17ROCPRIM_400000_NS6detail17trampoline_kernelINS0_14default_configENS1_27scan_by_key_config_selectorIiiEEZZNS1_16scan_by_key_implILNS1_25lookback_scan_determinismE0ELb0ES3_N6thrust23THRUST_200600_302600_NS6detail15normal_iteratorINS9_10device_ptrIiEEEESE_SE_iNS9_4plusIiEE19head_flag_predicateiEE10hipError_tPvRmT2_T3_T4_T5_mT6_T7_P12ihipStream_tbENKUlT_T0_E_clISt17integral_constantIbLb1EESX_IbLb0EEEEDaST_SU_EUlST_E_NS1_11comp_targetILNS1_3genE4ELNS1_11target_archE910ELNS1_3gpuE8ELNS1_3repE0EEENS1_30default_config_static_selectorELNS0_4arch9wavefront6targetE0EEEvT1_
                                        ; -- End function
	.set _ZN7rocprim17ROCPRIM_400000_NS6detail17trampoline_kernelINS0_14default_configENS1_27scan_by_key_config_selectorIiiEEZZNS1_16scan_by_key_implILNS1_25lookback_scan_determinismE0ELb0ES3_N6thrust23THRUST_200600_302600_NS6detail15normal_iteratorINS9_10device_ptrIiEEEESE_SE_iNS9_4plusIiEE19head_flag_predicateiEE10hipError_tPvRmT2_T3_T4_T5_mT6_T7_P12ihipStream_tbENKUlT_T0_E_clISt17integral_constantIbLb1EESX_IbLb0EEEEDaST_SU_EUlST_E_NS1_11comp_targetILNS1_3genE4ELNS1_11target_archE910ELNS1_3gpuE8ELNS1_3repE0EEENS1_30default_config_static_selectorELNS0_4arch9wavefront6targetE0EEEvT1_.num_vgpr, 0
	.set _ZN7rocprim17ROCPRIM_400000_NS6detail17trampoline_kernelINS0_14default_configENS1_27scan_by_key_config_selectorIiiEEZZNS1_16scan_by_key_implILNS1_25lookback_scan_determinismE0ELb0ES3_N6thrust23THRUST_200600_302600_NS6detail15normal_iteratorINS9_10device_ptrIiEEEESE_SE_iNS9_4plusIiEE19head_flag_predicateiEE10hipError_tPvRmT2_T3_T4_T5_mT6_T7_P12ihipStream_tbENKUlT_T0_E_clISt17integral_constantIbLb1EESX_IbLb0EEEEDaST_SU_EUlST_E_NS1_11comp_targetILNS1_3genE4ELNS1_11target_archE910ELNS1_3gpuE8ELNS1_3repE0EEENS1_30default_config_static_selectorELNS0_4arch9wavefront6targetE0EEEvT1_.num_agpr, 0
	.set _ZN7rocprim17ROCPRIM_400000_NS6detail17trampoline_kernelINS0_14default_configENS1_27scan_by_key_config_selectorIiiEEZZNS1_16scan_by_key_implILNS1_25lookback_scan_determinismE0ELb0ES3_N6thrust23THRUST_200600_302600_NS6detail15normal_iteratorINS9_10device_ptrIiEEEESE_SE_iNS9_4plusIiEE19head_flag_predicateiEE10hipError_tPvRmT2_T3_T4_T5_mT6_T7_P12ihipStream_tbENKUlT_T0_E_clISt17integral_constantIbLb1EESX_IbLb0EEEEDaST_SU_EUlST_E_NS1_11comp_targetILNS1_3genE4ELNS1_11target_archE910ELNS1_3gpuE8ELNS1_3repE0EEENS1_30default_config_static_selectorELNS0_4arch9wavefront6targetE0EEEvT1_.numbered_sgpr, 0
	.set _ZN7rocprim17ROCPRIM_400000_NS6detail17trampoline_kernelINS0_14default_configENS1_27scan_by_key_config_selectorIiiEEZZNS1_16scan_by_key_implILNS1_25lookback_scan_determinismE0ELb0ES3_N6thrust23THRUST_200600_302600_NS6detail15normal_iteratorINS9_10device_ptrIiEEEESE_SE_iNS9_4plusIiEE19head_flag_predicateiEE10hipError_tPvRmT2_T3_T4_T5_mT6_T7_P12ihipStream_tbENKUlT_T0_E_clISt17integral_constantIbLb1EESX_IbLb0EEEEDaST_SU_EUlST_E_NS1_11comp_targetILNS1_3genE4ELNS1_11target_archE910ELNS1_3gpuE8ELNS1_3repE0EEENS1_30default_config_static_selectorELNS0_4arch9wavefront6targetE0EEEvT1_.num_named_barrier, 0
	.set _ZN7rocprim17ROCPRIM_400000_NS6detail17trampoline_kernelINS0_14default_configENS1_27scan_by_key_config_selectorIiiEEZZNS1_16scan_by_key_implILNS1_25lookback_scan_determinismE0ELb0ES3_N6thrust23THRUST_200600_302600_NS6detail15normal_iteratorINS9_10device_ptrIiEEEESE_SE_iNS9_4plusIiEE19head_flag_predicateiEE10hipError_tPvRmT2_T3_T4_T5_mT6_T7_P12ihipStream_tbENKUlT_T0_E_clISt17integral_constantIbLb1EESX_IbLb0EEEEDaST_SU_EUlST_E_NS1_11comp_targetILNS1_3genE4ELNS1_11target_archE910ELNS1_3gpuE8ELNS1_3repE0EEENS1_30default_config_static_selectorELNS0_4arch9wavefront6targetE0EEEvT1_.private_seg_size, 0
	.set _ZN7rocprim17ROCPRIM_400000_NS6detail17trampoline_kernelINS0_14default_configENS1_27scan_by_key_config_selectorIiiEEZZNS1_16scan_by_key_implILNS1_25lookback_scan_determinismE0ELb0ES3_N6thrust23THRUST_200600_302600_NS6detail15normal_iteratorINS9_10device_ptrIiEEEESE_SE_iNS9_4plusIiEE19head_flag_predicateiEE10hipError_tPvRmT2_T3_T4_T5_mT6_T7_P12ihipStream_tbENKUlT_T0_E_clISt17integral_constantIbLb1EESX_IbLb0EEEEDaST_SU_EUlST_E_NS1_11comp_targetILNS1_3genE4ELNS1_11target_archE910ELNS1_3gpuE8ELNS1_3repE0EEENS1_30default_config_static_selectorELNS0_4arch9wavefront6targetE0EEEvT1_.uses_vcc, 0
	.set _ZN7rocprim17ROCPRIM_400000_NS6detail17trampoline_kernelINS0_14default_configENS1_27scan_by_key_config_selectorIiiEEZZNS1_16scan_by_key_implILNS1_25lookback_scan_determinismE0ELb0ES3_N6thrust23THRUST_200600_302600_NS6detail15normal_iteratorINS9_10device_ptrIiEEEESE_SE_iNS9_4plusIiEE19head_flag_predicateiEE10hipError_tPvRmT2_T3_T4_T5_mT6_T7_P12ihipStream_tbENKUlT_T0_E_clISt17integral_constantIbLb1EESX_IbLb0EEEEDaST_SU_EUlST_E_NS1_11comp_targetILNS1_3genE4ELNS1_11target_archE910ELNS1_3gpuE8ELNS1_3repE0EEENS1_30default_config_static_selectorELNS0_4arch9wavefront6targetE0EEEvT1_.uses_flat_scratch, 0
	.set _ZN7rocprim17ROCPRIM_400000_NS6detail17trampoline_kernelINS0_14default_configENS1_27scan_by_key_config_selectorIiiEEZZNS1_16scan_by_key_implILNS1_25lookback_scan_determinismE0ELb0ES3_N6thrust23THRUST_200600_302600_NS6detail15normal_iteratorINS9_10device_ptrIiEEEESE_SE_iNS9_4plusIiEE19head_flag_predicateiEE10hipError_tPvRmT2_T3_T4_T5_mT6_T7_P12ihipStream_tbENKUlT_T0_E_clISt17integral_constantIbLb1EESX_IbLb0EEEEDaST_SU_EUlST_E_NS1_11comp_targetILNS1_3genE4ELNS1_11target_archE910ELNS1_3gpuE8ELNS1_3repE0EEENS1_30default_config_static_selectorELNS0_4arch9wavefront6targetE0EEEvT1_.has_dyn_sized_stack, 0
	.set _ZN7rocprim17ROCPRIM_400000_NS6detail17trampoline_kernelINS0_14default_configENS1_27scan_by_key_config_selectorIiiEEZZNS1_16scan_by_key_implILNS1_25lookback_scan_determinismE0ELb0ES3_N6thrust23THRUST_200600_302600_NS6detail15normal_iteratorINS9_10device_ptrIiEEEESE_SE_iNS9_4plusIiEE19head_flag_predicateiEE10hipError_tPvRmT2_T3_T4_T5_mT6_T7_P12ihipStream_tbENKUlT_T0_E_clISt17integral_constantIbLb1EESX_IbLb0EEEEDaST_SU_EUlST_E_NS1_11comp_targetILNS1_3genE4ELNS1_11target_archE910ELNS1_3gpuE8ELNS1_3repE0EEENS1_30default_config_static_selectorELNS0_4arch9wavefront6targetE0EEEvT1_.has_recursion, 0
	.set _ZN7rocprim17ROCPRIM_400000_NS6detail17trampoline_kernelINS0_14default_configENS1_27scan_by_key_config_selectorIiiEEZZNS1_16scan_by_key_implILNS1_25lookback_scan_determinismE0ELb0ES3_N6thrust23THRUST_200600_302600_NS6detail15normal_iteratorINS9_10device_ptrIiEEEESE_SE_iNS9_4plusIiEE19head_flag_predicateiEE10hipError_tPvRmT2_T3_T4_T5_mT6_T7_P12ihipStream_tbENKUlT_T0_E_clISt17integral_constantIbLb1EESX_IbLb0EEEEDaST_SU_EUlST_E_NS1_11comp_targetILNS1_3genE4ELNS1_11target_archE910ELNS1_3gpuE8ELNS1_3repE0EEENS1_30default_config_static_selectorELNS0_4arch9wavefront6targetE0EEEvT1_.has_indirect_call, 0
	.section	.AMDGPU.csdata,"",@progbits
; Kernel info:
; codeLenInByte = 0
; TotalNumSgprs: 0
; NumVgprs: 0
; ScratchSize: 0
; MemoryBound: 0
; FloatMode: 240
; IeeeMode: 1
; LDSByteSize: 0 bytes/workgroup (compile time only)
; SGPRBlocks: 0
; VGPRBlocks: 0
; NumSGPRsForWavesPerEU: 1
; NumVGPRsForWavesPerEU: 1
; Occupancy: 16
; WaveLimiterHint : 0
; COMPUTE_PGM_RSRC2:SCRATCH_EN: 0
; COMPUTE_PGM_RSRC2:USER_SGPR: 6
; COMPUTE_PGM_RSRC2:TRAP_HANDLER: 0
; COMPUTE_PGM_RSRC2:TGID_X_EN: 1
; COMPUTE_PGM_RSRC2:TGID_Y_EN: 0
; COMPUTE_PGM_RSRC2:TGID_Z_EN: 0
; COMPUTE_PGM_RSRC2:TIDIG_COMP_CNT: 0
	.section	.text._ZN7rocprim17ROCPRIM_400000_NS6detail17trampoline_kernelINS0_14default_configENS1_27scan_by_key_config_selectorIiiEEZZNS1_16scan_by_key_implILNS1_25lookback_scan_determinismE0ELb0ES3_N6thrust23THRUST_200600_302600_NS6detail15normal_iteratorINS9_10device_ptrIiEEEESE_SE_iNS9_4plusIiEE19head_flag_predicateiEE10hipError_tPvRmT2_T3_T4_T5_mT6_T7_P12ihipStream_tbENKUlT_T0_E_clISt17integral_constantIbLb1EESX_IbLb0EEEEDaST_SU_EUlST_E_NS1_11comp_targetILNS1_3genE3ELNS1_11target_archE908ELNS1_3gpuE7ELNS1_3repE0EEENS1_30default_config_static_selectorELNS0_4arch9wavefront6targetE0EEEvT1_,"axG",@progbits,_ZN7rocprim17ROCPRIM_400000_NS6detail17trampoline_kernelINS0_14default_configENS1_27scan_by_key_config_selectorIiiEEZZNS1_16scan_by_key_implILNS1_25lookback_scan_determinismE0ELb0ES3_N6thrust23THRUST_200600_302600_NS6detail15normal_iteratorINS9_10device_ptrIiEEEESE_SE_iNS9_4plusIiEE19head_flag_predicateiEE10hipError_tPvRmT2_T3_T4_T5_mT6_T7_P12ihipStream_tbENKUlT_T0_E_clISt17integral_constantIbLb1EESX_IbLb0EEEEDaST_SU_EUlST_E_NS1_11comp_targetILNS1_3genE3ELNS1_11target_archE908ELNS1_3gpuE7ELNS1_3repE0EEENS1_30default_config_static_selectorELNS0_4arch9wavefront6targetE0EEEvT1_,comdat
	.protected	_ZN7rocprim17ROCPRIM_400000_NS6detail17trampoline_kernelINS0_14default_configENS1_27scan_by_key_config_selectorIiiEEZZNS1_16scan_by_key_implILNS1_25lookback_scan_determinismE0ELb0ES3_N6thrust23THRUST_200600_302600_NS6detail15normal_iteratorINS9_10device_ptrIiEEEESE_SE_iNS9_4plusIiEE19head_flag_predicateiEE10hipError_tPvRmT2_T3_T4_T5_mT6_T7_P12ihipStream_tbENKUlT_T0_E_clISt17integral_constantIbLb1EESX_IbLb0EEEEDaST_SU_EUlST_E_NS1_11comp_targetILNS1_3genE3ELNS1_11target_archE908ELNS1_3gpuE7ELNS1_3repE0EEENS1_30default_config_static_selectorELNS0_4arch9wavefront6targetE0EEEvT1_ ; -- Begin function _ZN7rocprim17ROCPRIM_400000_NS6detail17trampoline_kernelINS0_14default_configENS1_27scan_by_key_config_selectorIiiEEZZNS1_16scan_by_key_implILNS1_25lookback_scan_determinismE0ELb0ES3_N6thrust23THRUST_200600_302600_NS6detail15normal_iteratorINS9_10device_ptrIiEEEESE_SE_iNS9_4plusIiEE19head_flag_predicateiEE10hipError_tPvRmT2_T3_T4_T5_mT6_T7_P12ihipStream_tbENKUlT_T0_E_clISt17integral_constantIbLb1EESX_IbLb0EEEEDaST_SU_EUlST_E_NS1_11comp_targetILNS1_3genE3ELNS1_11target_archE908ELNS1_3gpuE7ELNS1_3repE0EEENS1_30default_config_static_selectorELNS0_4arch9wavefront6targetE0EEEvT1_
	.globl	_ZN7rocprim17ROCPRIM_400000_NS6detail17trampoline_kernelINS0_14default_configENS1_27scan_by_key_config_selectorIiiEEZZNS1_16scan_by_key_implILNS1_25lookback_scan_determinismE0ELb0ES3_N6thrust23THRUST_200600_302600_NS6detail15normal_iteratorINS9_10device_ptrIiEEEESE_SE_iNS9_4plusIiEE19head_flag_predicateiEE10hipError_tPvRmT2_T3_T4_T5_mT6_T7_P12ihipStream_tbENKUlT_T0_E_clISt17integral_constantIbLb1EESX_IbLb0EEEEDaST_SU_EUlST_E_NS1_11comp_targetILNS1_3genE3ELNS1_11target_archE908ELNS1_3gpuE7ELNS1_3repE0EEENS1_30default_config_static_selectorELNS0_4arch9wavefront6targetE0EEEvT1_
	.p2align	8
	.type	_ZN7rocprim17ROCPRIM_400000_NS6detail17trampoline_kernelINS0_14default_configENS1_27scan_by_key_config_selectorIiiEEZZNS1_16scan_by_key_implILNS1_25lookback_scan_determinismE0ELb0ES3_N6thrust23THRUST_200600_302600_NS6detail15normal_iteratorINS9_10device_ptrIiEEEESE_SE_iNS9_4plusIiEE19head_flag_predicateiEE10hipError_tPvRmT2_T3_T4_T5_mT6_T7_P12ihipStream_tbENKUlT_T0_E_clISt17integral_constantIbLb1EESX_IbLb0EEEEDaST_SU_EUlST_E_NS1_11comp_targetILNS1_3genE3ELNS1_11target_archE908ELNS1_3gpuE7ELNS1_3repE0EEENS1_30default_config_static_selectorELNS0_4arch9wavefront6targetE0EEEvT1_,@function
_ZN7rocprim17ROCPRIM_400000_NS6detail17trampoline_kernelINS0_14default_configENS1_27scan_by_key_config_selectorIiiEEZZNS1_16scan_by_key_implILNS1_25lookback_scan_determinismE0ELb0ES3_N6thrust23THRUST_200600_302600_NS6detail15normal_iteratorINS9_10device_ptrIiEEEESE_SE_iNS9_4plusIiEE19head_flag_predicateiEE10hipError_tPvRmT2_T3_T4_T5_mT6_T7_P12ihipStream_tbENKUlT_T0_E_clISt17integral_constantIbLb1EESX_IbLb0EEEEDaST_SU_EUlST_E_NS1_11comp_targetILNS1_3genE3ELNS1_11target_archE908ELNS1_3gpuE7ELNS1_3repE0EEENS1_30default_config_static_selectorELNS0_4arch9wavefront6targetE0EEEvT1_: ; @_ZN7rocprim17ROCPRIM_400000_NS6detail17trampoline_kernelINS0_14default_configENS1_27scan_by_key_config_selectorIiiEEZZNS1_16scan_by_key_implILNS1_25lookback_scan_determinismE0ELb0ES3_N6thrust23THRUST_200600_302600_NS6detail15normal_iteratorINS9_10device_ptrIiEEEESE_SE_iNS9_4plusIiEE19head_flag_predicateiEE10hipError_tPvRmT2_T3_T4_T5_mT6_T7_P12ihipStream_tbENKUlT_T0_E_clISt17integral_constantIbLb1EESX_IbLb0EEEEDaST_SU_EUlST_E_NS1_11comp_targetILNS1_3genE3ELNS1_11target_archE908ELNS1_3gpuE7ELNS1_3repE0EEENS1_30default_config_static_selectorELNS0_4arch9wavefront6targetE0EEEvT1_
; %bb.0:
	.section	.rodata,"a",@progbits
	.p2align	6, 0x0
	.amdhsa_kernel _ZN7rocprim17ROCPRIM_400000_NS6detail17trampoline_kernelINS0_14default_configENS1_27scan_by_key_config_selectorIiiEEZZNS1_16scan_by_key_implILNS1_25lookback_scan_determinismE0ELb0ES3_N6thrust23THRUST_200600_302600_NS6detail15normal_iteratorINS9_10device_ptrIiEEEESE_SE_iNS9_4plusIiEE19head_flag_predicateiEE10hipError_tPvRmT2_T3_T4_T5_mT6_T7_P12ihipStream_tbENKUlT_T0_E_clISt17integral_constantIbLb1EESX_IbLb0EEEEDaST_SU_EUlST_E_NS1_11comp_targetILNS1_3genE3ELNS1_11target_archE908ELNS1_3gpuE7ELNS1_3repE0EEENS1_30default_config_static_selectorELNS0_4arch9wavefront6targetE0EEEvT1_
		.amdhsa_group_segment_fixed_size 0
		.amdhsa_private_segment_fixed_size 0
		.amdhsa_kernarg_size 112
		.amdhsa_user_sgpr_count 6
		.amdhsa_user_sgpr_private_segment_buffer 1
		.amdhsa_user_sgpr_dispatch_ptr 0
		.amdhsa_user_sgpr_queue_ptr 0
		.amdhsa_user_sgpr_kernarg_segment_ptr 1
		.amdhsa_user_sgpr_dispatch_id 0
		.amdhsa_user_sgpr_flat_scratch_init 0
		.amdhsa_user_sgpr_private_segment_size 0
		.amdhsa_wavefront_size32 1
		.amdhsa_uses_dynamic_stack 0
		.amdhsa_system_sgpr_private_segment_wavefront_offset 0
		.amdhsa_system_sgpr_workgroup_id_x 1
		.amdhsa_system_sgpr_workgroup_id_y 0
		.amdhsa_system_sgpr_workgroup_id_z 0
		.amdhsa_system_sgpr_workgroup_info 0
		.amdhsa_system_vgpr_workitem_id 0
		.amdhsa_next_free_vgpr 1
		.amdhsa_next_free_sgpr 1
		.amdhsa_reserve_vcc 0
		.amdhsa_reserve_flat_scratch 0
		.amdhsa_float_round_mode_32 0
		.amdhsa_float_round_mode_16_64 0
		.amdhsa_float_denorm_mode_32 3
		.amdhsa_float_denorm_mode_16_64 3
		.amdhsa_dx10_clamp 1
		.amdhsa_ieee_mode 1
		.amdhsa_fp16_overflow 0
		.amdhsa_workgroup_processor_mode 1
		.amdhsa_memory_ordered 1
		.amdhsa_forward_progress 1
		.amdhsa_shared_vgpr_count 0
		.amdhsa_exception_fp_ieee_invalid_op 0
		.amdhsa_exception_fp_denorm_src 0
		.amdhsa_exception_fp_ieee_div_zero 0
		.amdhsa_exception_fp_ieee_overflow 0
		.amdhsa_exception_fp_ieee_underflow 0
		.amdhsa_exception_fp_ieee_inexact 0
		.amdhsa_exception_int_div_zero 0
	.end_amdhsa_kernel
	.section	.text._ZN7rocprim17ROCPRIM_400000_NS6detail17trampoline_kernelINS0_14default_configENS1_27scan_by_key_config_selectorIiiEEZZNS1_16scan_by_key_implILNS1_25lookback_scan_determinismE0ELb0ES3_N6thrust23THRUST_200600_302600_NS6detail15normal_iteratorINS9_10device_ptrIiEEEESE_SE_iNS9_4plusIiEE19head_flag_predicateiEE10hipError_tPvRmT2_T3_T4_T5_mT6_T7_P12ihipStream_tbENKUlT_T0_E_clISt17integral_constantIbLb1EESX_IbLb0EEEEDaST_SU_EUlST_E_NS1_11comp_targetILNS1_3genE3ELNS1_11target_archE908ELNS1_3gpuE7ELNS1_3repE0EEENS1_30default_config_static_selectorELNS0_4arch9wavefront6targetE0EEEvT1_,"axG",@progbits,_ZN7rocprim17ROCPRIM_400000_NS6detail17trampoline_kernelINS0_14default_configENS1_27scan_by_key_config_selectorIiiEEZZNS1_16scan_by_key_implILNS1_25lookback_scan_determinismE0ELb0ES3_N6thrust23THRUST_200600_302600_NS6detail15normal_iteratorINS9_10device_ptrIiEEEESE_SE_iNS9_4plusIiEE19head_flag_predicateiEE10hipError_tPvRmT2_T3_T4_T5_mT6_T7_P12ihipStream_tbENKUlT_T0_E_clISt17integral_constantIbLb1EESX_IbLb0EEEEDaST_SU_EUlST_E_NS1_11comp_targetILNS1_3genE3ELNS1_11target_archE908ELNS1_3gpuE7ELNS1_3repE0EEENS1_30default_config_static_selectorELNS0_4arch9wavefront6targetE0EEEvT1_,comdat
.Lfunc_end771:
	.size	_ZN7rocprim17ROCPRIM_400000_NS6detail17trampoline_kernelINS0_14default_configENS1_27scan_by_key_config_selectorIiiEEZZNS1_16scan_by_key_implILNS1_25lookback_scan_determinismE0ELb0ES3_N6thrust23THRUST_200600_302600_NS6detail15normal_iteratorINS9_10device_ptrIiEEEESE_SE_iNS9_4plusIiEE19head_flag_predicateiEE10hipError_tPvRmT2_T3_T4_T5_mT6_T7_P12ihipStream_tbENKUlT_T0_E_clISt17integral_constantIbLb1EESX_IbLb0EEEEDaST_SU_EUlST_E_NS1_11comp_targetILNS1_3genE3ELNS1_11target_archE908ELNS1_3gpuE7ELNS1_3repE0EEENS1_30default_config_static_selectorELNS0_4arch9wavefront6targetE0EEEvT1_, .Lfunc_end771-_ZN7rocprim17ROCPRIM_400000_NS6detail17trampoline_kernelINS0_14default_configENS1_27scan_by_key_config_selectorIiiEEZZNS1_16scan_by_key_implILNS1_25lookback_scan_determinismE0ELb0ES3_N6thrust23THRUST_200600_302600_NS6detail15normal_iteratorINS9_10device_ptrIiEEEESE_SE_iNS9_4plusIiEE19head_flag_predicateiEE10hipError_tPvRmT2_T3_T4_T5_mT6_T7_P12ihipStream_tbENKUlT_T0_E_clISt17integral_constantIbLb1EESX_IbLb0EEEEDaST_SU_EUlST_E_NS1_11comp_targetILNS1_3genE3ELNS1_11target_archE908ELNS1_3gpuE7ELNS1_3repE0EEENS1_30default_config_static_selectorELNS0_4arch9wavefront6targetE0EEEvT1_
                                        ; -- End function
	.set _ZN7rocprim17ROCPRIM_400000_NS6detail17trampoline_kernelINS0_14default_configENS1_27scan_by_key_config_selectorIiiEEZZNS1_16scan_by_key_implILNS1_25lookback_scan_determinismE0ELb0ES3_N6thrust23THRUST_200600_302600_NS6detail15normal_iteratorINS9_10device_ptrIiEEEESE_SE_iNS9_4plusIiEE19head_flag_predicateiEE10hipError_tPvRmT2_T3_T4_T5_mT6_T7_P12ihipStream_tbENKUlT_T0_E_clISt17integral_constantIbLb1EESX_IbLb0EEEEDaST_SU_EUlST_E_NS1_11comp_targetILNS1_3genE3ELNS1_11target_archE908ELNS1_3gpuE7ELNS1_3repE0EEENS1_30default_config_static_selectorELNS0_4arch9wavefront6targetE0EEEvT1_.num_vgpr, 0
	.set _ZN7rocprim17ROCPRIM_400000_NS6detail17trampoline_kernelINS0_14default_configENS1_27scan_by_key_config_selectorIiiEEZZNS1_16scan_by_key_implILNS1_25lookback_scan_determinismE0ELb0ES3_N6thrust23THRUST_200600_302600_NS6detail15normal_iteratorINS9_10device_ptrIiEEEESE_SE_iNS9_4plusIiEE19head_flag_predicateiEE10hipError_tPvRmT2_T3_T4_T5_mT6_T7_P12ihipStream_tbENKUlT_T0_E_clISt17integral_constantIbLb1EESX_IbLb0EEEEDaST_SU_EUlST_E_NS1_11comp_targetILNS1_3genE3ELNS1_11target_archE908ELNS1_3gpuE7ELNS1_3repE0EEENS1_30default_config_static_selectorELNS0_4arch9wavefront6targetE0EEEvT1_.num_agpr, 0
	.set _ZN7rocprim17ROCPRIM_400000_NS6detail17trampoline_kernelINS0_14default_configENS1_27scan_by_key_config_selectorIiiEEZZNS1_16scan_by_key_implILNS1_25lookback_scan_determinismE0ELb0ES3_N6thrust23THRUST_200600_302600_NS6detail15normal_iteratorINS9_10device_ptrIiEEEESE_SE_iNS9_4plusIiEE19head_flag_predicateiEE10hipError_tPvRmT2_T3_T4_T5_mT6_T7_P12ihipStream_tbENKUlT_T0_E_clISt17integral_constantIbLb1EESX_IbLb0EEEEDaST_SU_EUlST_E_NS1_11comp_targetILNS1_3genE3ELNS1_11target_archE908ELNS1_3gpuE7ELNS1_3repE0EEENS1_30default_config_static_selectorELNS0_4arch9wavefront6targetE0EEEvT1_.numbered_sgpr, 0
	.set _ZN7rocprim17ROCPRIM_400000_NS6detail17trampoline_kernelINS0_14default_configENS1_27scan_by_key_config_selectorIiiEEZZNS1_16scan_by_key_implILNS1_25lookback_scan_determinismE0ELb0ES3_N6thrust23THRUST_200600_302600_NS6detail15normal_iteratorINS9_10device_ptrIiEEEESE_SE_iNS9_4plusIiEE19head_flag_predicateiEE10hipError_tPvRmT2_T3_T4_T5_mT6_T7_P12ihipStream_tbENKUlT_T0_E_clISt17integral_constantIbLb1EESX_IbLb0EEEEDaST_SU_EUlST_E_NS1_11comp_targetILNS1_3genE3ELNS1_11target_archE908ELNS1_3gpuE7ELNS1_3repE0EEENS1_30default_config_static_selectorELNS0_4arch9wavefront6targetE0EEEvT1_.num_named_barrier, 0
	.set _ZN7rocprim17ROCPRIM_400000_NS6detail17trampoline_kernelINS0_14default_configENS1_27scan_by_key_config_selectorIiiEEZZNS1_16scan_by_key_implILNS1_25lookback_scan_determinismE0ELb0ES3_N6thrust23THRUST_200600_302600_NS6detail15normal_iteratorINS9_10device_ptrIiEEEESE_SE_iNS9_4plusIiEE19head_flag_predicateiEE10hipError_tPvRmT2_T3_T4_T5_mT6_T7_P12ihipStream_tbENKUlT_T0_E_clISt17integral_constantIbLb1EESX_IbLb0EEEEDaST_SU_EUlST_E_NS1_11comp_targetILNS1_3genE3ELNS1_11target_archE908ELNS1_3gpuE7ELNS1_3repE0EEENS1_30default_config_static_selectorELNS0_4arch9wavefront6targetE0EEEvT1_.private_seg_size, 0
	.set _ZN7rocprim17ROCPRIM_400000_NS6detail17trampoline_kernelINS0_14default_configENS1_27scan_by_key_config_selectorIiiEEZZNS1_16scan_by_key_implILNS1_25lookback_scan_determinismE0ELb0ES3_N6thrust23THRUST_200600_302600_NS6detail15normal_iteratorINS9_10device_ptrIiEEEESE_SE_iNS9_4plusIiEE19head_flag_predicateiEE10hipError_tPvRmT2_T3_T4_T5_mT6_T7_P12ihipStream_tbENKUlT_T0_E_clISt17integral_constantIbLb1EESX_IbLb0EEEEDaST_SU_EUlST_E_NS1_11comp_targetILNS1_3genE3ELNS1_11target_archE908ELNS1_3gpuE7ELNS1_3repE0EEENS1_30default_config_static_selectorELNS0_4arch9wavefront6targetE0EEEvT1_.uses_vcc, 0
	.set _ZN7rocprim17ROCPRIM_400000_NS6detail17trampoline_kernelINS0_14default_configENS1_27scan_by_key_config_selectorIiiEEZZNS1_16scan_by_key_implILNS1_25lookback_scan_determinismE0ELb0ES3_N6thrust23THRUST_200600_302600_NS6detail15normal_iteratorINS9_10device_ptrIiEEEESE_SE_iNS9_4plusIiEE19head_flag_predicateiEE10hipError_tPvRmT2_T3_T4_T5_mT6_T7_P12ihipStream_tbENKUlT_T0_E_clISt17integral_constantIbLb1EESX_IbLb0EEEEDaST_SU_EUlST_E_NS1_11comp_targetILNS1_3genE3ELNS1_11target_archE908ELNS1_3gpuE7ELNS1_3repE0EEENS1_30default_config_static_selectorELNS0_4arch9wavefront6targetE0EEEvT1_.uses_flat_scratch, 0
	.set _ZN7rocprim17ROCPRIM_400000_NS6detail17trampoline_kernelINS0_14default_configENS1_27scan_by_key_config_selectorIiiEEZZNS1_16scan_by_key_implILNS1_25lookback_scan_determinismE0ELb0ES3_N6thrust23THRUST_200600_302600_NS6detail15normal_iteratorINS9_10device_ptrIiEEEESE_SE_iNS9_4plusIiEE19head_flag_predicateiEE10hipError_tPvRmT2_T3_T4_T5_mT6_T7_P12ihipStream_tbENKUlT_T0_E_clISt17integral_constantIbLb1EESX_IbLb0EEEEDaST_SU_EUlST_E_NS1_11comp_targetILNS1_3genE3ELNS1_11target_archE908ELNS1_3gpuE7ELNS1_3repE0EEENS1_30default_config_static_selectorELNS0_4arch9wavefront6targetE0EEEvT1_.has_dyn_sized_stack, 0
	.set _ZN7rocprim17ROCPRIM_400000_NS6detail17trampoline_kernelINS0_14default_configENS1_27scan_by_key_config_selectorIiiEEZZNS1_16scan_by_key_implILNS1_25lookback_scan_determinismE0ELb0ES3_N6thrust23THRUST_200600_302600_NS6detail15normal_iteratorINS9_10device_ptrIiEEEESE_SE_iNS9_4plusIiEE19head_flag_predicateiEE10hipError_tPvRmT2_T3_T4_T5_mT6_T7_P12ihipStream_tbENKUlT_T0_E_clISt17integral_constantIbLb1EESX_IbLb0EEEEDaST_SU_EUlST_E_NS1_11comp_targetILNS1_3genE3ELNS1_11target_archE908ELNS1_3gpuE7ELNS1_3repE0EEENS1_30default_config_static_selectorELNS0_4arch9wavefront6targetE0EEEvT1_.has_recursion, 0
	.set _ZN7rocprim17ROCPRIM_400000_NS6detail17trampoline_kernelINS0_14default_configENS1_27scan_by_key_config_selectorIiiEEZZNS1_16scan_by_key_implILNS1_25lookback_scan_determinismE0ELb0ES3_N6thrust23THRUST_200600_302600_NS6detail15normal_iteratorINS9_10device_ptrIiEEEESE_SE_iNS9_4plusIiEE19head_flag_predicateiEE10hipError_tPvRmT2_T3_T4_T5_mT6_T7_P12ihipStream_tbENKUlT_T0_E_clISt17integral_constantIbLb1EESX_IbLb0EEEEDaST_SU_EUlST_E_NS1_11comp_targetILNS1_3genE3ELNS1_11target_archE908ELNS1_3gpuE7ELNS1_3repE0EEENS1_30default_config_static_selectorELNS0_4arch9wavefront6targetE0EEEvT1_.has_indirect_call, 0
	.section	.AMDGPU.csdata,"",@progbits
; Kernel info:
; codeLenInByte = 0
; TotalNumSgprs: 0
; NumVgprs: 0
; ScratchSize: 0
; MemoryBound: 0
; FloatMode: 240
; IeeeMode: 1
; LDSByteSize: 0 bytes/workgroup (compile time only)
; SGPRBlocks: 0
; VGPRBlocks: 0
; NumSGPRsForWavesPerEU: 1
; NumVGPRsForWavesPerEU: 1
; Occupancy: 16
; WaveLimiterHint : 0
; COMPUTE_PGM_RSRC2:SCRATCH_EN: 0
; COMPUTE_PGM_RSRC2:USER_SGPR: 6
; COMPUTE_PGM_RSRC2:TRAP_HANDLER: 0
; COMPUTE_PGM_RSRC2:TGID_X_EN: 1
; COMPUTE_PGM_RSRC2:TGID_Y_EN: 0
; COMPUTE_PGM_RSRC2:TGID_Z_EN: 0
; COMPUTE_PGM_RSRC2:TIDIG_COMP_CNT: 0
	.section	.text._ZN7rocprim17ROCPRIM_400000_NS6detail17trampoline_kernelINS0_14default_configENS1_27scan_by_key_config_selectorIiiEEZZNS1_16scan_by_key_implILNS1_25lookback_scan_determinismE0ELb0ES3_N6thrust23THRUST_200600_302600_NS6detail15normal_iteratorINS9_10device_ptrIiEEEESE_SE_iNS9_4plusIiEE19head_flag_predicateiEE10hipError_tPvRmT2_T3_T4_T5_mT6_T7_P12ihipStream_tbENKUlT_T0_E_clISt17integral_constantIbLb1EESX_IbLb0EEEEDaST_SU_EUlST_E_NS1_11comp_targetILNS1_3genE2ELNS1_11target_archE906ELNS1_3gpuE6ELNS1_3repE0EEENS1_30default_config_static_selectorELNS0_4arch9wavefront6targetE0EEEvT1_,"axG",@progbits,_ZN7rocprim17ROCPRIM_400000_NS6detail17trampoline_kernelINS0_14default_configENS1_27scan_by_key_config_selectorIiiEEZZNS1_16scan_by_key_implILNS1_25lookback_scan_determinismE0ELb0ES3_N6thrust23THRUST_200600_302600_NS6detail15normal_iteratorINS9_10device_ptrIiEEEESE_SE_iNS9_4plusIiEE19head_flag_predicateiEE10hipError_tPvRmT2_T3_T4_T5_mT6_T7_P12ihipStream_tbENKUlT_T0_E_clISt17integral_constantIbLb1EESX_IbLb0EEEEDaST_SU_EUlST_E_NS1_11comp_targetILNS1_3genE2ELNS1_11target_archE906ELNS1_3gpuE6ELNS1_3repE0EEENS1_30default_config_static_selectorELNS0_4arch9wavefront6targetE0EEEvT1_,comdat
	.protected	_ZN7rocprim17ROCPRIM_400000_NS6detail17trampoline_kernelINS0_14default_configENS1_27scan_by_key_config_selectorIiiEEZZNS1_16scan_by_key_implILNS1_25lookback_scan_determinismE0ELb0ES3_N6thrust23THRUST_200600_302600_NS6detail15normal_iteratorINS9_10device_ptrIiEEEESE_SE_iNS9_4plusIiEE19head_flag_predicateiEE10hipError_tPvRmT2_T3_T4_T5_mT6_T7_P12ihipStream_tbENKUlT_T0_E_clISt17integral_constantIbLb1EESX_IbLb0EEEEDaST_SU_EUlST_E_NS1_11comp_targetILNS1_3genE2ELNS1_11target_archE906ELNS1_3gpuE6ELNS1_3repE0EEENS1_30default_config_static_selectorELNS0_4arch9wavefront6targetE0EEEvT1_ ; -- Begin function _ZN7rocprim17ROCPRIM_400000_NS6detail17trampoline_kernelINS0_14default_configENS1_27scan_by_key_config_selectorIiiEEZZNS1_16scan_by_key_implILNS1_25lookback_scan_determinismE0ELb0ES3_N6thrust23THRUST_200600_302600_NS6detail15normal_iteratorINS9_10device_ptrIiEEEESE_SE_iNS9_4plusIiEE19head_flag_predicateiEE10hipError_tPvRmT2_T3_T4_T5_mT6_T7_P12ihipStream_tbENKUlT_T0_E_clISt17integral_constantIbLb1EESX_IbLb0EEEEDaST_SU_EUlST_E_NS1_11comp_targetILNS1_3genE2ELNS1_11target_archE906ELNS1_3gpuE6ELNS1_3repE0EEENS1_30default_config_static_selectorELNS0_4arch9wavefront6targetE0EEEvT1_
	.globl	_ZN7rocprim17ROCPRIM_400000_NS6detail17trampoline_kernelINS0_14default_configENS1_27scan_by_key_config_selectorIiiEEZZNS1_16scan_by_key_implILNS1_25lookback_scan_determinismE0ELb0ES3_N6thrust23THRUST_200600_302600_NS6detail15normal_iteratorINS9_10device_ptrIiEEEESE_SE_iNS9_4plusIiEE19head_flag_predicateiEE10hipError_tPvRmT2_T3_T4_T5_mT6_T7_P12ihipStream_tbENKUlT_T0_E_clISt17integral_constantIbLb1EESX_IbLb0EEEEDaST_SU_EUlST_E_NS1_11comp_targetILNS1_3genE2ELNS1_11target_archE906ELNS1_3gpuE6ELNS1_3repE0EEENS1_30default_config_static_selectorELNS0_4arch9wavefront6targetE0EEEvT1_
	.p2align	8
	.type	_ZN7rocprim17ROCPRIM_400000_NS6detail17trampoline_kernelINS0_14default_configENS1_27scan_by_key_config_selectorIiiEEZZNS1_16scan_by_key_implILNS1_25lookback_scan_determinismE0ELb0ES3_N6thrust23THRUST_200600_302600_NS6detail15normal_iteratorINS9_10device_ptrIiEEEESE_SE_iNS9_4plusIiEE19head_flag_predicateiEE10hipError_tPvRmT2_T3_T4_T5_mT6_T7_P12ihipStream_tbENKUlT_T0_E_clISt17integral_constantIbLb1EESX_IbLb0EEEEDaST_SU_EUlST_E_NS1_11comp_targetILNS1_3genE2ELNS1_11target_archE906ELNS1_3gpuE6ELNS1_3repE0EEENS1_30default_config_static_selectorELNS0_4arch9wavefront6targetE0EEEvT1_,@function
_ZN7rocprim17ROCPRIM_400000_NS6detail17trampoline_kernelINS0_14default_configENS1_27scan_by_key_config_selectorIiiEEZZNS1_16scan_by_key_implILNS1_25lookback_scan_determinismE0ELb0ES3_N6thrust23THRUST_200600_302600_NS6detail15normal_iteratorINS9_10device_ptrIiEEEESE_SE_iNS9_4plusIiEE19head_flag_predicateiEE10hipError_tPvRmT2_T3_T4_T5_mT6_T7_P12ihipStream_tbENKUlT_T0_E_clISt17integral_constantIbLb1EESX_IbLb0EEEEDaST_SU_EUlST_E_NS1_11comp_targetILNS1_3genE2ELNS1_11target_archE906ELNS1_3gpuE6ELNS1_3repE0EEENS1_30default_config_static_selectorELNS0_4arch9wavefront6targetE0EEEvT1_: ; @_ZN7rocprim17ROCPRIM_400000_NS6detail17trampoline_kernelINS0_14default_configENS1_27scan_by_key_config_selectorIiiEEZZNS1_16scan_by_key_implILNS1_25lookback_scan_determinismE0ELb0ES3_N6thrust23THRUST_200600_302600_NS6detail15normal_iteratorINS9_10device_ptrIiEEEESE_SE_iNS9_4plusIiEE19head_flag_predicateiEE10hipError_tPvRmT2_T3_T4_T5_mT6_T7_P12ihipStream_tbENKUlT_T0_E_clISt17integral_constantIbLb1EESX_IbLb0EEEEDaST_SU_EUlST_E_NS1_11comp_targetILNS1_3genE2ELNS1_11target_archE906ELNS1_3gpuE6ELNS1_3repE0EEENS1_30default_config_static_selectorELNS0_4arch9wavefront6targetE0EEEvT1_
; %bb.0:
	.section	.rodata,"a",@progbits
	.p2align	6, 0x0
	.amdhsa_kernel _ZN7rocprim17ROCPRIM_400000_NS6detail17trampoline_kernelINS0_14default_configENS1_27scan_by_key_config_selectorIiiEEZZNS1_16scan_by_key_implILNS1_25lookback_scan_determinismE0ELb0ES3_N6thrust23THRUST_200600_302600_NS6detail15normal_iteratorINS9_10device_ptrIiEEEESE_SE_iNS9_4plusIiEE19head_flag_predicateiEE10hipError_tPvRmT2_T3_T4_T5_mT6_T7_P12ihipStream_tbENKUlT_T0_E_clISt17integral_constantIbLb1EESX_IbLb0EEEEDaST_SU_EUlST_E_NS1_11comp_targetILNS1_3genE2ELNS1_11target_archE906ELNS1_3gpuE6ELNS1_3repE0EEENS1_30default_config_static_selectorELNS0_4arch9wavefront6targetE0EEEvT1_
		.amdhsa_group_segment_fixed_size 0
		.amdhsa_private_segment_fixed_size 0
		.amdhsa_kernarg_size 112
		.amdhsa_user_sgpr_count 6
		.amdhsa_user_sgpr_private_segment_buffer 1
		.amdhsa_user_sgpr_dispatch_ptr 0
		.amdhsa_user_sgpr_queue_ptr 0
		.amdhsa_user_sgpr_kernarg_segment_ptr 1
		.amdhsa_user_sgpr_dispatch_id 0
		.amdhsa_user_sgpr_flat_scratch_init 0
		.amdhsa_user_sgpr_private_segment_size 0
		.amdhsa_wavefront_size32 1
		.amdhsa_uses_dynamic_stack 0
		.amdhsa_system_sgpr_private_segment_wavefront_offset 0
		.amdhsa_system_sgpr_workgroup_id_x 1
		.amdhsa_system_sgpr_workgroup_id_y 0
		.amdhsa_system_sgpr_workgroup_id_z 0
		.amdhsa_system_sgpr_workgroup_info 0
		.amdhsa_system_vgpr_workitem_id 0
		.amdhsa_next_free_vgpr 1
		.amdhsa_next_free_sgpr 1
		.amdhsa_reserve_vcc 0
		.amdhsa_reserve_flat_scratch 0
		.amdhsa_float_round_mode_32 0
		.amdhsa_float_round_mode_16_64 0
		.amdhsa_float_denorm_mode_32 3
		.amdhsa_float_denorm_mode_16_64 3
		.amdhsa_dx10_clamp 1
		.amdhsa_ieee_mode 1
		.amdhsa_fp16_overflow 0
		.amdhsa_workgroup_processor_mode 1
		.amdhsa_memory_ordered 1
		.amdhsa_forward_progress 1
		.amdhsa_shared_vgpr_count 0
		.amdhsa_exception_fp_ieee_invalid_op 0
		.amdhsa_exception_fp_denorm_src 0
		.amdhsa_exception_fp_ieee_div_zero 0
		.amdhsa_exception_fp_ieee_overflow 0
		.amdhsa_exception_fp_ieee_underflow 0
		.amdhsa_exception_fp_ieee_inexact 0
		.amdhsa_exception_int_div_zero 0
	.end_amdhsa_kernel
	.section	.text._ZN7rocprim17ROCPRIM_400000_NS6detail17trampoline_kernelINS0_14default_configENS1_27scan_by_key_config_selectorIiiEEZZNS1_16scan_by_key_implILNS1_25lookback_scan_determinismE0ELb0ES3_N6thrust23THRUST_200600_302600_NS6detail15normal_iteratorINS9_10device_ptrIiEEEESE_SE_iNS9_4plusIiEE19head_flag_predicateiEE10hipError_tPvRmT2_T3_T4_T5_mT6_T7_P12ihipStream_tbENKUlT_T0_E_clISt17integral_constantIbLb1EESX_IbLb0EEEEDaST_SU_EUlST_E_NS1_11comp_targetILNS1_3genE2ELNS1_11target_archE906ELNS1_3gpuE6ELNS1_3repE0EEENS1_30default_config_static_selectorELNS0_4arch9wavefront6targetE0EEEvT1_,"axG",@progbits,_ZN7rocprim17ROCPRIM_400000_NS6detail17trampoline_kernelINS0_14default_configENS1_27scan_by_key_config_selectorIiiEEZZNS1_16scan_by_key_implILNS1_25lookback_scan_determinismE0ELb0ES3_N6thrust23THRUST_200600_302600_NS6detail15normal_iteratorINS9_10device_ptrIiEEEESE_SE_iNS9_4plusIiEE19head_flag_predicateiEE10hipError_tPvRmT2_T3_T4_T5_mT6_T7_P12ihipStream_tbENKUlT_T0_E_clISt17integral_constantIbLb1EESX_IbLb0EEEEDaST_SU_EUlST_E_NS1_11comp_targetILNS1_3genE2ELNS1_11target_archE906ELNS1_3gpuE6ELNS1_3repE0EEENS1_30default_config_static_selectorELNS0_4arch9wavefront6targetE0EEEvT1_,comdat
.Lfunc_end772:
	.size	_ZN7rocprim17ROCPRIM_400000_NS6detail17trampoline_kernelINS0_14default_configENS1_27scan_by_key_config_selectorIiiEEZZNS1_16scan_by_key_implILNS1_25lookback_scan_determinismE0ELb0ES3_N6thrust23THRUST_200600_302600_NS6detail15normal_iteratorINS9_10device_ptrIiEEEESE_SE_iNS9_4plusIiEE19head_flag_predicateiEE10hipError_tPvRmT2_T3_T4_T5_mT6_T7_P12ihipStream_tbENKUlT_T0_E_clISt17integral_constantIbLb1EESX_IbLb0EEEEDaST_SU_EUlST_E_NS1_11comp_targetILNS1_3genE2ELNS1_11target_archE906ELNS1_3gpuE6ELNS1_3repE0EEENS1_30default_config_static_selectorELNS0_4arch9wavefront6targetE0EEEvT1_, .Lfunc_end772-_ZN7rocprim17ROCPRIM_400000_NS6detail17trampoline_kernelINS0_14default_configENS1_27scan_by_key_config_selectorIiiEEZZNS1_16scan_by_key_implILNS1_25lookback_scan_determinismE0ELb0ES3_N6thrust23THRUST_200600_302600_NS6detail15normal_iteratorINS9_10device_ptrIiEEEESE_SE_iNS9_4plusIiEE19head_flag_predicateiEE10hipError_tPvRmT2_T3_T4_T5_mT6_T7_P12ihipStream_tbENKUlT_T0_E_clISt17integral_constantIbLb1EESX_IbLb0EEEEDaST_SU_EUlST_E_NS1_11comp_targetILNS1_3genE2ELNS1_11target_archE906ELNS1_3gpuE6ELNS1_3repE0EEENS1_30default_config_static_selectorELNS0_4arch9wavefront6targetE0EEEvT1_
                                        ; -- End function
	.set _ZN7rocprim17ROCPRIM_400000_NS6detail17trampoline_kernelINS0_14default_configENS1_27scan_by_key_config_selectorIiiEEZZNS1_16scan_by_key_implILNS1_25lookback_scan_determinismE0ELb0ES3_N6thrust23THRUST_200600_302600_NS6detail15normal_iteratorINS9_10device_ptrIiEEEESE_SE_iNS9_4plusIiEE19head_flag_predicateiEE10hipError_tPvRmT2_T3_T4_T5_mT6_T7_P12ihipStream_tbENKUlT_T0_E_clISt17integral_constantIbLb1EESX_IbLb0EEEEDaST_SU_EUlST_E_NS1_11comp_targetILNS1_3genE2ELNS1_11target_archE906ELNS1_3gpuE6ELNS1_3repE0EEENS1_30default_config_static_selectorELNS0_4arch9wavefront6targetE0EEEvT1_.num_vgpr, 0
	.set _ZN7rocprim17ROCPRIM_400000_NS6detail17trampoline_kernelINS0_14default_configENS1_27scan_by_key_config_selectorIiiEEZZNS1_16scan_by_key_implILNS1_25lookback_scan_determinismE0ELb0ES3_N6thrust23THRUST_200600_302600_NS6detail15normal_iteratorINS9_10device_ptrIiEEEESE_SE_iNS9_4plusIiEE19head_flag_predicateiEE10hipError_tPvRmT2_T3_T4_T5_mT6_T7_P12ihipStream_tbENKUlT_T0_E_clISt17integral_constantIbLb1EESX_IbLb0EEEEDaST_SU_EUlST_E_NS1_11comp_targetILNS1_3genE2ELNS1_11target_archE906ELNS1_3gpuE6ELNS1_3repE0EEENS1_30default_config_static_selectorELNS0_4arch9wavefront6targetE0EEEvT1_.num_agpr, 0
	.set _ZN7rocprim17ROCPRIM_400000_NS6detail17trampoline_kernelINS0_14default_configENS1_27scan_by_key_config_selectorIiiEEZZNS1_16scan_by_key_implILNS1_25lookback_scan_determinismE0ELb0ES3_N6thrust23THRUST_200600_302600_NS6detail15normal_iteratorINS9_10device_ptrIiEEEESE_SE_iNS9_4plusIiEE19head_flag_predicateiEE10hipError_tPvRmT2_T3_T4_T5_mT6_T7_P12ihipStream_tbENKUlT_T0_E_clISt17integral_constantIbLb1EESX_IbLb0EEEEDaST_SU_EUlST_E_NS1_11comp_targetILNS1_3genE2ELNS1_11target_archE906ELNS1_3gpuE6ELNS1_3repE0EEENS1_30default_config_static_selectorELNS0_4arch9wavefront6targetE0EEEvT1_.numbered_sgpr, 0
	.set _ZN7rocprim17ROCPRIM_400000_NS6detail17trampoline_kernelINS0_14default_configENS1_27scan_by_key_config_selectorIiiEEZZNS1_16scan_by_key_implILNS1_25lookback_scan_determinismE0ELb0ES3_N6thrust23THRUST_200600_302600_NS6detail15normal_iteratorINS9_10device_ptrIiEEEESE_SE_iNS9_4plusIiEE19head_flag_predicateiEE10hipError_tPvRmT2_T3_T4_T5_mT6_T7_P12ihipStream_tbENKUlT_T0_E_clISt17integral_constantIbLb1EESX_IbLb0EEEEDaST_SU_EUlST_E_NS1_11comp_targetILNS1_3genE2ELNS1_11target_archE906ELNS1_3gpuE6ELNS1_3repE0EEENS1_30default_config_static_selectorELNS0_4arch9wavefront6targetE0EEEvT1_.num_named_barrier, 0
	.set _ZN7rocprim17ROCPRIM_400000_NS6detail17trampoline_kernelINS0_14default_configENS1_27scan_by_key_config_selectorIiiEEZZNS1_16scan_by_key_implILNS1_25lookback_scan_determinismE0ELb0ES3_N6thrust23THRUST_200600_302600_NS6detail15normal_iteratorINS9_10device_ptrIiEEEESE_SE_iNS9_4plusIiEE19head_flag_predicateiEE10hipError_tPvRmT2_T3_T4_T5_mT6_T7_P12ihipStream_tbENKUlT_T0_E_clISt17integral_constantIbLb1EESX_IbLb0EEEEDaST_SU_EUlST_E_NS1_11comp_targetILNS1_3genE2ELNS1_11target_archE906ELNS1_3gpuE6ELNS1_3repE0EEENS1_30default_config_static_selectorELNS0_4arch9wavefront6targetE0EEEvT1_.private_seg_size, 0
	.set _ZN7rocprim17ROCPRIM_400000_NS6detail17trampoline_kernelINS0_14default_configENS1_27scan_by_key_config_selectorIiiEEZZNS1_16scan_by_key_implILNS1_25lookback_scan_determinismE0ELb0ES3_N6thrust23THRUST_200600_302600_NS6detail15normal_iteratorINS9_10device_ptrIiEEEESE_SE_iNS9_4plusIiEE19head_flag_predicateiEE10hipError_tPvRmT2_T3_T4_T5_mT6_T7_P12ihipStream_tbENKUlT_T0_E_clISt17integral_constantIbLb1EESX_IbLb0EEEEDaST_SU_EUlST_E_NS1_11comp_targetILNS1_3genE2ELNS1_11target_archE906ELNS1_3gpuE6ELNS1_3repE0EEENS1_30default_config_static_selectorELNS0_4arch9wavefront6targetE0EEEvT1_.uses_vcc, 0
	.set _ZN7rocprim17ROCPRIM_400000_NS6detail17trampoline_kernelINS0_14default_configENS1_27scan_by_key_config_selectorIiiEEZZNS1_16scan_by_key_implILNS1_25lookback_scan_determinismE0ELb0ES3_N6thrust23THRUST_200600_302600_NS6detail15normal_iteratorINS9_10device_ptrIiEEEESE_SE_iNS9_4plusIiEE19head_flag_predicateiEE10hipError_tPvRmT2_T3_T4_T5_mT6_T7_P12ihipStream_tbENKUlT_T0_E_clISt17integral_constantIbLb1EESX_IbLb0EEEEDaST_SU_EUlST_E_NS1_11comp_targetILNS1_3genE2ELNS1_11target_archE906ELNS1_3gpuE6ELNS1_3repE0EEENS1_30default_config_static_selectorELNS0_4arch9wavefront6targetE0EEEvT1_.uses_flat_scratch, 0
	.set _ZN7rocprim17ROCPRIM_400000_NS6detail17trampoline_kernelINS0_14default_configENS1_27scan_by_key_config_selectorIiiEEZZNS1_16scan_by_key_implILNS1_25lookback_scan_determinismE0ELb0ES3_N6thrust23THRUST_200600_302600_NS6detail15normal_iteratorINS9_10device_ptrIiEEEESE_SE_iNS9_4plusIiEE19head_flag_predicateiEE10hipError_tPvRmT2_T3_T4_T5_mT6_T7_P12ihipStream_tbENKUlT_T0_E_clISt17integral_constantIbLb1EESX_IbLb0EEEEDaST_SU_EUlST_E_NS1_11comp_targetILNS1_3genE2ELNS1_11target_archE906ELNS1_3gpuE6ELNS1_3repE0EEENS1_30default_config_static_selectorELNS0_4arch9wavefront6targetE0EEEvT1_.has_dyn_sized_stack, 0
	.set _ZN7rocprim17ROCPRIM_400000_NS6detail17trampoline_kernelINS0_14default_configENS1_27scan_by_key_config_selectorIiiEEZZNS1_16scan_by_key_implILNS1_25lookback_scan_determinismE0ELb0ES3_N6thrust23THRUST_200600_302600_NS6detail15normal_iteratorINS9_10device_ptrIiEEEESE_SE_iNS9_4plusIiEE19head_flag_predicateiEE10hipError_tPvRmT2_T3_T4_T5_mT6_T7_P12ihipStream_tbENKUlT_T0_E_clISt17integral_constantIbLb1EESX_IbLb0EEEEDaST_SU_EUlST_E_NS1_11comp_targetILNS1_3genE2ELNS1_11target_archE906ELNS1_3gpuE6ELNS1_3repE0EEENS1_30default_config_static_selectorELNS0_4arch9wavefront6targetE0EEEvT1_.has_recursion, 0
	.set _ZN7rocprim17ROCPRIM_400000_NS6detail17trampoline_kernelINS0_14default_configENS1_27scan_by_key_config_selectorIiiEEZZNS1_16scan_by_key_implILNS1_25lookback_scan_determinismE0ELb0ES3_N6thrust23THRUST_200600_302600_NS6detail15normal_iteratorINS9_10device_ptrIiEEEESE_SE_iNS9_4plusIiEE19head_flag_predicateiEE10hipError_tPvRmT2_T3_T4_T5_mT6_T7_P12ihipStream_tbENKUlT_T0_E_clISt17integral_constantIbLb1EESX_IbLb0EEEEDaST_SU_EUlST_E_NS1_11comp_targetILNS1_3genE2ELNS1_11target_archE906ELNS1_3gpuE6ELNS1_3repE0EEENS1_30default_config_static_selectorELNS0_4arch9wavefront6targetE0EEEvT1_.has_indirect_call, 0
	.section	.AMDGPU.csdata,"",@progbits
; Kernel info:
; codeLenInByte = 0
; TotalNumSgprs: 0
; NumVgprs: 0
; ScratchSize: 0
; MemoryBound: 0
; FloatMode: 240
; IeeeMode: 1
; LDSByteSize: 0 bytes/workgroup (compile time only)
; SGPRBlocks: 0
; VGPRBlocks: 0
; NumSGPRsForWavesPerEU: 1
; NumVGPRsForWavesPerEU: 1
; Occupancy: 16
; WaveLimiterHint : 0
; COMPUTE_PGM_RSRC2:SCRATCH_EN: 0
; COMPUTE_PGM_RSRC2:USER_SGPR: 6
; COMPUTE_PGM_RSRC2:TRAP_HANDLER: 0
; COMPUTE_PGM_RSRC2:TGID_X_EN: 1
; COMPUTE_PGM_RSRC2:TGID_Y_EN: 0
; COMPUTE_PGM_RSRC2:TGID_Z_EN: 0
; COMPUTE_PGM_RSRC2:TIDIG_COMP_CNT: 0
	.section	.text._ZN7rocprim17ROCPRIM_400000_NS6detail17trampoline_kernelINS0_14default_configENS1_27scan_by_key_config_selectorIiiEEZZNS1_16scan_by_key_implILNS1_25lookback_scan_determinismE0ELb0ES3_N6thrust23THRUST_200600_302600_NS6detail15normal_iteratorINS9_10device_ptrIiEEEESE_SE_iNS9_4plusIiEE19head_flag_predicateiEE10hipError_tPvRmT2_T3_T4_T5_mT6_T7_P12ihipStream_tbENKUlT_T0_E_clISt17integral_constantIbLb1EESX_IbLb0EEEEDaST_SU_EUlST_E_NS1_11comp_targetILNS1_3genE10ELNS1_11target_archE1200ELNS1_3gpuE4ELNS1_3repE0EEENS1_30default_config_static_selectorELNS0_4arch9wavefront6targetE0EEEvT1_,"axG",@progbits,_ZN7rocprim17ROCPRIM_400000_NS6detail17trampoline_kernelINS0_14default_configENS1_27scan_by_key_config_selectorIiiEEZZNS1_16scan_by_key_implILNS1_25lookback_scan_determinismE0ELb0ES3_N6thrust23THRUST_200600_302600_NS6detail15normal_iteratorINS9_10device_ptrIiEEEESE_SE_iNS9_4plusIiEE19head_flag_predicateiEE10hipError_tPvRmT2_T3_T4_T5_mT6_T7_P12ihipStream_tbENKUlT_T0_E_clISt17integral_constantIbLb1EESX_IbLb0EEEEDaST_SU_EUlST_E_NS1_11comp_targetILNS1_3genE10ELNS1_11target_archE1200ELNS1_3gpuE4ELNS1_3repE0EEENS1_30default_config_static_selectorELNS0_4arch9wavefront6targetE0EEEvT1_,comdat
	.protected	_ZN7rocprim17ROCPRIM_400000_NS6detail17trampoline_kernelINS0_14default_configENS1_27scan_by_key_config_selectorIiiEEZZNS1_16scan_by_key_implILNS1_25lookback_scan_determinismE0ELb0ES3_N6thrust23THRUST_200600_302600_NS6detail15normal_iteratorINS9_10device_ptrIiEEEESE_SE_iNS9_4plusIiEE19head_flag_predicateiEE10hipError_tPvRmT2_T3_T4_T5_mT6_T7_P12ihipStream_tbENKUlT_T0_E_clISt17integral_constantIbLb1EESX_IbLb0EEEEDaST_SU_EUlST_E_NS1_11comp_targetILNS1_3genE10ELNS1_11target_archE1200ELNS1_3gpuE4ELNS1_3repE0EEENS1_30default_config_static_selectorELNS0_4arch9wavefront6targetE0EEEvT1_ ; -- Begin function _ZN7rocprim17ROCPRIM_400000_NS6detail17trampoline_kernelINS0_14default_configENS1_27scan_by_key_config_selectorIiiEEZZNS1_16scan_by_key_implILNS1_25lookback_scan_determinismE0ELb0ES3_N6thrust23THRUST_200600_302600_NS6detail15normal_iteratorINS9_10device_ptrIiEEEESE_SE_iNS9_4plusIiEE19head_flag_predicateiEE10hipError_tPvRmT2_T3_T4_T5_mT6_T7_P12ihipStream_tbENKUlT_T0_E_clISt17integral_constantIbLb1EESX_IbLb0EEEEDaST_SU_EUlST_E_NS1_11comp_targetILNS1_3genE10ELNS1_11target_archE1200ELNS1_3gpuE4ELNS1_3repE0EEENS1_30default_config_static_selectorELNS0_4arch9wavefront6targetE0EEEvT1_
	.globl	_ZN7rocprim17ROCPRIM_400000_NS6detail17trampoline_kernelINS0_14default_configENS1_27scan_by_key_config_selectorIiiEEZZNS1_16scan_by_key_implILNS1_25lookback_scan_determinismE0ELb0ES3_N6thrust23THRUST_200600_302600_NS6detail15normal_iteratorINS9_10device_ptrIiEEEESE_SE_iNS9_4plusIiEE19head_flag_predicateiEE10hipError_tPvRmT2_T3_T4_T5_mT6_T7_P12ihipStream_tbENKUlT_T0_E_clISt17integral_constantIbLb1EESX_IbLb0EEEEDaST_SU_EUlST_E_NS1_11comp_targetILNS1_3genE10ELNS1_11target_archE1200ELNS1_3gpuE4ELNS1_3repE0EEENS1_30default_config_static_selectorELNS0_4arch9wavefront6targetE0EEEvT1_
	.p2align	8
	.type	_ZN7rocprim17ROCPRIM_400000_NS6detail17trampoline_kernelINS0_14default_configENS1_27scan_by_key_config_selectorIiiEEZZNS1_16scan_by_key_implILNS1_25lookback_scan_determinismE0ELb0ES3_N6thrust23THRUST_200600_302600_NS6detail15normal_iteratorINS9_10device_ptrIiEEEESE_SE_iNS9_4plusIiEE19head_flag_predicateiEE10hipError_tPvRmT2_T3_T4_T5_mT6_T7_P12ihipStream_tbENKUlT_T0_E_clISt17integral_constantIbLb1EESX_IbLb0EEEEDaST_SU_EUlST_E_NS1_11comp_targetILNS1_3genE10ELNS1_11target_archE1200ELNS1_3gpuE4ELNS1_3repE0EEENS1_30default_config_static_selectorELNS0_4arch9wavefront6targetE0EEEvT1_,@function
_ZN7rocprim17ROCPRIM_400000_NS6detail17trampoline_kernelINS0_14default_configENS1_27scan_by_key_config_selectorIiiEEZZNS1_16scan_by_key_implILNS1_25lookback_scan_determinismE0ELb0ES3_N6thrust23THRUST_200600_302600_NS6detail15normal_iteratorINS9_10device_ptrIiEEEESE_SE_iNS9_4plusIiEE19head_flag_predicateiEE10hipError_tPvRmT2_T3_T4_T5_mT6_T7_P12ihipStream_tbENKUlT_T0_E_clISt17integral_constantIbLb1EESX_IbLb0EEEEDaST_SU_EUlST_E_NS1_11comp_targetILNS1_3genE10ELNS1_11target_archE1200ELNS1_3gpuE4ELNS1_3repE0EEENS1_30default_config_static_selectorELNS0_4arch9wavefront6targetE0EEEvT1_: ; @_ZN7rocprim17ROCPRIM_400000_NS6detail17trampoline_kernelINS0_14default_configENS1_27scan_by_key_config_selectorIiiEEZZNS1_16scan_by_key_implILNS1_25lookback_scan_determinismE0ELb0ES3_N6thrust23THRUST_200600_302600_NS6detail15normal_iteratorINS9_10device_ptrIiEEEESE_SE_iNS9_4plusIiEE19head_flag_predicateiEE10hipError_tPvRmT2_T3_T4_T5_mT6_T7_P12ihipStream_tbENKUlT_T0_E_clISt17integral_constantIbLb1EESX_IbLb0EEEEDaST_SU_EUlST_E_NS1_11comp_targetILNS1_3genE10ELNS1_11target_archE1200ELNS1_3gpuE4ELNS1_3repE0EEENS1_30default_config_static_selectorELNS0_4arch9wavefront6targetE0EEEvT1_
; %bb.0:
	.section	.rodata,"a",@progbits
	.p2align	6, 0x0
	.amdhsa_kernel _ZN7rocprim17ROCPRIM_400000_NS6detail17trampoline_kernelINS0_14default_configENS1_27scan_by_key_config_selectorIiiEEZZNS1_16scan_by_key_implILNS1_25lookback_scan_determinismE0ELb0ES3_N6thrust23THRUST_200600_302600_NS6detail15normal_iteratorINS9_10device_ptrIiEEEESE_SE_iNS9_4plusIiEE19head_flag_predicateiEE10hipError_tPvRmT2_T3_T4_T5_mT6_T7_P12ihipStream_tbENKUlT_T0_E_clISt17integral_constantIbLb1EESX_IbLb0EEEEDaST_SU_EUlST_E_NS1_11comp_targetILNS1_3genE10ELNS1_11target_archE1200ELNS1_3gpuE4ELNS1_3repE0EEENS1_30default_config_static_selectorELNS0_4arch9wavefront6targetE0EEEvT1_
		.amdhsa_group_segment_fixed_size 0
		.amdhsa_private_segment_fixed_size 0
		.amdhsa_kernarg_size 112
		.amdhsa_user_sgpr_count 6
		.amdhsa_user_sgpr_private_segment_buffer 1
		.amdhsa_user_sgpr_dispatch_ptr 0
		.amdhsa_user_sgpr_queue_ptr 0
		.amdhsa_user_sgpr_kernarg_segment_ptr 1
		.amdhsa_user_sgpr_dispatch_id 0
		.amdhsa_user_sgpr_flat_scratch_init 0
		.amdhsa_user_sgpr_private_segment_size 0
		.amdhsa_wavefront_size32 1
		.amdhsa_uses_dynamic_stack 0
		.amdhsa_system_sgpr_private_segment_wavefront_offset 0
		.amdhsa_system_sgpr_workgroup_id_x 1
		.amdhsa_system_sgpr_workgroup_id_y 0
		.amdhsa_system_sgpr_workgroup_id_z 0
		.amdhsa_system_sgpr_workgroup_info 0
		.amdhsa_system_vgpr_workitem_id 0
		.amdhsa_next_free_vgpr 1
		.amdhsa_next_free_sgpr 1
		.amdhsa_reserve_vcc 0
		.amdhsa_reserve_flat_scratch 0
		.amdhsa_float_round_mode_32 0
		.amdhsa_float_round_mode_16_64 0
		.amdhsa_float_denorm_mode_32 3
		.amdhsa_float_denorm_mode_16_64 3
		.amdhsa_dx10_clamp 1
		.amdhsa_ieee_mode 1
		.amdhsa_fp16_overflow 0
		.amdhsa_workgroup_processor_mode 1
		.amdhsa_memory_ordered 1
		.amdhsa_forward_progress 1
		.amdhsa_shared_vgpr_count 0
		.amdhsa_exception_fp_ieee_invalid_op 0
		.amdhsa_exception_fp_denorm_src 0
		.amdhsa_exception_fp_ieee_div_zero 0
		.amdhsa_exception_fp_ieee_overflow 0
		.amdhsa_exception_fp_ieee_underflow 0
		.amdhsa_exception_fp_ieee_inexact 0
		.amdhsa_exception_int_div_zero 0
	.end_amdhsa_kernel
	.section	.text._ZN7rocprim17ROCPRIM_400000_NS6detail17trampoline_kernelINS0_14default_configENS1_27scan_by_key_config_selectorIiiEEZZNS1_16scan_by_key_implILNS1_25lookback_scan_determinismE0ELb0ES3_N6thrust23THRUST_200600_302600_NS6detail15normal_iteratorINS9_10device_ptrIiEEEESE_SE_iNS9_4plusIiEE19head_flag_predicateiEE10hipError_tPvRmT2_T3_T4_T5_mT6_T7_P12ihipStream_tbENKUlT_T0_E_clISt17integral_constantIbLb1EESX_IbLb0EEEEDaST_SU_EUlST_E_NS1_11comp_targetILNS1_3genE10ELNS1_11target_archE1200ELNS1_3gpuE4ELNS1_3repE0EEENS1_30default_config_static_selectorELNS0_4arch9wavefront6targetE0EEEvT1_,"axG",@progbits,_ZN7rocprim17ROCPRIM_400000_NS6detail17trampoline_kernelINS0_14default_configENS1_27scan_by_key_config_selectorIiiEEZZNS1_16scan_by_key_implILNS1_25lookback_scan_determinismE0ELb0ES3_N6thrust23THRUST_200600_302600_NS6detail15normal_iteratorINS9_10device_ptrIiEEEESE_SE_iNS9_4plusIiEE19head_flag_predicateiEE10hipError_tPvRmT2_T3_T4_T5_mT6_T7_P12ihipStream_tbENKUlT_T0_E_clISt17integral_constantIbLb1EESX_IbLb0EEEEDaST_SU_EUlST_E_NS1_11comp_targetILNS1_3genE10ELNS1_11target_archE1200ELNS1_3gpuE4ELNS1_3repE0EEENS1_30default_config_static_selectorELNS0_4arch9wavefront6targetE0EEEvT1_,comdat
.Lfunc_end773:
	.size	_ZN7rocprim17ROCPRIM_400000_NS6detail17trampoline_kernelINS0_14default_configENS1_27scan_by_key_config_selectorIiiEEZZNS1_16scan_by_key_implILNS1_25lookback_scan_determinismE0ELb0ES3_N6thrust23THRUST_200600_302600_NS6detail15normal_iteratorINS9_10device_ptrIiEEEESE_SE_iNS9_4plusIiEE19head_flag_predicateiEE10hipError_tPvRmT2_T3_T4_T5_mT6_T7_P12ihipStream_tbENKUlT_T0_E_clISt17integral_constantIbLb1EESX_IbLb0EEEEDaST_SU_EUlST_E_NS1_11comp_targetILNS1_3genE10ELNS1_11target_archE1200ELNS1_3gpuE4ELNS1_3repE0EEENS1_30default_config_static_selectorELNS0_4arch9wavefront6targetE0EEEvT1_, .Lfunc_end773-_ZN7rocprim17ROCPRIM_400000_NS6detail17trampoline_kernelINS0_14default_configENS1_27scan_by_key_config_selectorIiiEEZZNS1_16scan_by_key_implILNS1_25lookback_scan_determinismE0ELb0ES3_N6thrust23THRUST_200600_302600_NS6detail15normal_iteratorINS9_10device_ptrIiEEEESE_SE_iNS9_4plusIiEE19head_flag_predicateiEE10hipError_tPvRmT2_T3_T4_T5_mT6_T7_P12ihipStream_tbENKUlT_T0_E_clISt17integral_constantIbLb1EESX_IbLb0EEEEDaST_SU_EUlST_E_NS1_11comp_targetILNS1_3genE10ELNS1_11target_archE1200ELNS1_3gpuE4ELNS1_3repE0EEENS1_30default_config_static_selectorELNS0_4arch9wavefront6targetE0EEEvT1_
                                        ; -- End function
	.set _ZN7rocprim17ROCPRIM_400000_NS6detail17trampoline_kernelINS0_14default_configENS1_27scan_by_key_config_selectorIiiEEZZNS1_16scan_by_key_implILNS1_25lookback_scan_determinismE0ELb0ES3_N6thrust23THRUST_200600_302600_NS6detail15normal_iteratorINS9_10device_ptrIiEEEESE_SE_iNS9_4plusIiEE19head_flag_predicateiEE10hipError_tPvRmT2_T3_T4_T5_mT6_T7_P12ihipStream_tbENKUlT_T0_E_clISt17integral_constantIbLb1EESX_IbLb0EEEEDaST_SU_EUlST_E_NS1_11comp_targetILNS1_3genE10ELNS1_11target_archE1200ELNS1_3gpuE4ELNS1_3repE0EEENS1_30default_config_static_selectorELNS0_4arch9wavefront6targetE0EEEvT1_.num_vgpr, 0
	.set _ZN7rocprim17ROCPRIM_400000_NS6detail17trampoline_kernelINS0_14default_configENS1_27scan_by_key_config_selectorIiiEEZZNS1_16scan_by_key_implILNS1_25lookback_scan_determinismE0ELb0ES3_N6thrust23THRUST_200600_302600_NS6detail15normal_iteratorINS9_10device_ptrIiEEEESE_SE_iNS9_4plusIiEE19head_flag_predicateiEE10hipError_tPvRmT2_T3_T4_T5_mT6_T7_P12ihipStream_tbENKUlT_T0_E_clISt17integral_constantIbLb1EESX_IbLb0EEEEDaST_SU_EUlST_E_NS1_11comp_targetILNS1_3genE10ELNS1_11target_archE1200ELNS1_3gpuE4ELNS1_3repE0EEENS1_30default_config_static_selectorELNS0_4arch9wavefront6targetE0EEEvT1_.num_agpr, 0
	.set _ZN7rocprim17ROCPRIM_400000_NS6detail17trampoline_kernelINS0_14default_configENS1_27scan_by_key_config_selectorIiiEEZZNS1_16scan_by_key_implILNS1_25lookback_scan_determinismE0ELb0ES3_N6thrust23THRUST_200600_302600_NS6detail15normal_iteratorINS9_10device_ptrIiEEEESE_SE_iNS9_4plusIiEE19head_flag_predicateiEE10hipError_tPvRmT2_T3_T4_T5_mT6_T7_P12ihipStream_tbENKUlT_T0_E_clISt17integral_constantIbLb1EESX_IbLb0EEEEDaST_SU_EUlST_E_NS1_11comp_targetILNS1_3genE10ELNS1_11target_archE1200ELNS1_3gpuE4ELNS1_3repE0EEENS1_30default_config_static_selectorELNS0_4arch9wavefront6targetE0EEEvT1_.numbered_sgpr, 0
	.set _ZN7rocprim17ROCPRIM_400000_NS6detail17trampoline_kernelINS0_14default_configENS1_27scan_by_key_config_selectorIiiEEZZNS1_16scan_by_key_implILNS1_25lookback_scan_determinismE0ELb0ES3_N6thrust23THRUST_200600_302600_NS6detail15normal_iteratorINS9_10device_ptrIiEEEESE_SE_iNS9_4plusIiEE19head_flag_predicateiEE10hipError_tPvRmT2_T3_T4_T5_mT6_T7_P12ihipStream_tbENKUlT_T0_E_clISt17integral_constantIbLb1EESX_IbLb0EEEEDaST_SU_EUlST_E_NS1_11comp_targetILNS1_3genE10ELNS1_11target_archE1200ELNS1_3gpuE4ELNS1_3repE0EEENS1_30default_config_static_selectorELNS0_4arch9wavefront6targetE0EEEvT1_.num_named_barrier, 0
	.set _ZN7rocprim17ROCPRIM_400000_NS6detail17trampoline_kernelINS0_14default_configENS1_27scan_by_key_config_selectorIiiEEZZNS1_16scan_by_key_implILNS1_25lookback_scan_determinismE0ELb0ES3_N6thrust23THRUST_200600_302600_NS6detail15normal_iteratorINS9_10device_ptrIiEEEESE_SE_iNS9_4plusIiEE19head_flag_predicateiEE10hipError_tPvRmT2_T3_T4_T5_mT6_T7_P12ihipStream_tbENKUlT_T0_E_clISt17integral_constantIbLb1EESX_IbLb0EEEEDaST_SU_EUlST_E_NS1_11comp_targetILNS1_3genE10ELNS1_11target_archE1200ELNS1_3gpuE4ELNS1_3repE0EEENS1_30default_config_static_selectorELNS0_4arch9wavefront6targetE0EEEvT1_.private_seg_size, 0
	.set _ZN7rocprim17ROCPRIM_400000_NS6detail17trampoline_kernelINS0_14default_configENS1_27scan_by_key_config_selectorIiiEEZZNS1_16scan_by_key_implILNS1_25lookback_scan_determinismE0ELb0ES3_N6thrust23THRUST_200600_302600_NS6detail15normal_iteratorINS9_10device_ptrIiEEEESE_SE_iNS9_4plusIiEE19head_flag_predicateiEE10hipError_tPvRmT2_T3_T4_T5_mT6_T7_P12ihipStream_tbENKUlT_T0_E_clISt17integral_constantIbLb1EESX_IbLb0EEEEDaST_SU_EUlST_E_NS1_11comp_targetILNS1_3genE10ELNS1_11target_archE1200ELNS1_3gpuE4ELNS1_3repE0EEENS1_30default_config_static_selectorELNS0_4arch9wavefront6targetE0EEEvT1_.uses_vcc, 0
	.set _ZN7rocprim17ROCPRIM_400000_NS6detail17trampoline_kernelINS0_14default_configENS1_27scan_by_key_config_selectorIiiEEZZNS1_16scan_by_key_implILNS1_25lookback_scan_determinismE0ELb0ES3_N6thrust23THRUST_200600_302600_NS6detail15normal_iteratorINS9_10device_ptrIiEEEESE_SE_iNS9_4plusIiEE19head_flag_predicateiEE10hipError_tPvRmT2_T3_T4_T5_mT6_T7_P12ihipStream_tbENKUlT_T0_E_clISt17integral_constantIbLb1EESX_IbLb0EEEEDaST_SU_EUlST_E_NS1_11comp_targetILNS1_3genE10ELNS1_11target_archE1200ELNS1_3gpuE4ELNS1_3repE0EEENS1_30default_config_static_selectorELNS0_4arch9wavefront6targetE0EEEvT1_.uses_flat_scratch, 0
	.set _ZN7rocprim17ROCPRIM_400000_NS6detail17trampoline_kernelINS0_14default_configENS1_27scan_by_key_config_selectorIiiEEZZNS1_16scan_by_key_implILNS1_25lookback_scan_determinismE0ELb0ES3_N6thrust23THRUST_200600_302600_NS6detail15normal_iteratorINS9_10device_ptrIiEEEESE_SE_iNS9_4plusIiEE19head_flag_predicateiEE10hipError_tPvRmT2_T3_T4_T5_mT6_T7_P12ihipStream_tbENKUlT_T0_E_clISt17integral_constantIbLb1EESX_IbLb0EEEEDaST_SU_EUlST_E_NS1_11comp_targetILNS1_3genE10ELNS1_11target_archE1200ELNS1_3gpuE4ELNS1_3repE0EEENS1_30default_config_static_selectorELNS0_4arch9wavefront6targetE0EEEvT1_.has_dyn_sized_stack, 0
	.set _ZN7rocprim17ROCPRIM_400000_NS6detail17trampoline_kernelINS0_14default_configENS1_27scan_by_key_config_selectorIiiEEZZNS1_16scan_by_key_implILNS1_25lookback_scan_determinismE0ELb0ES3_N6thrust23THRUST_200600_302600_NS6detail15normal_iteratorINS9_10device_ptrIiEEEESE_SE_iNS9_4plusIiEE19head_flag_predicateiEE10hipError_tPvRmT2_T3_T4_T5_mT6_T7_P12ihipStream_tbENKUlT_T0_E_clISt17integral_constantIbLb1EESX_IbLb0EEEEDaST_SU_EUlST_E_NS1_11comp_targetILNS1_3genE10ELNS1_11target_archE1200ELNS1_3gpuE4ELNS1_3repE0EEENS1_30default_config_static_selectorELNS0_4arch9wavefront6targetE0EEEvT1_.has_recursion, 0
	.set _ZN7rocprim17ROCPRIM_400000_NS6detail17trampoline_kernelINS0_14default_configENS1_27scan_by_key_config_selectorIiiEEZZNS1_16scan_by_key_implILNS1_25lookback_scan_determinismE0ELb0ES3_N6thrust23THRUST_200600_302600_NS6detail15normal_iteratorINS9_10device_ptrIiEEEESE_SE_iNS9_4plusIiEE19head_flag_predicateiEE10hipError_tPvRmT2_T3_T4_T5_mT6_T7_P12ihipStream_tbENKUlT_T0_E_clISt17integral_constantIbLb1EESX_IbLb0EEEEDaST_SU_EUlST_E_NS1_11comp_targetILNS1_3genE10ELNS1_11target_archE1200ELNS1_3gpuE4ELNS1_3repE0EEENS1_30default_config_static_selectorELNS0_4arch9wavefront6targetE0EEEvT1_.has_indirect_call, 0
	.section	.AMDGPU.csdata,"",@progbits
; Kernel info:
; codeLenInByte = 0
; TotalNumSgprs: 0
; NumVgprs: 0
; ScratchSize: 0
; MemoryBound: 0
; FloatMode: 240
; IeeeMode: 1
; LDSByteSize: 0 bytes/workgroup (compile time only)
; SGPRBlocks: 0
; VGPRBlocks: 0
; NumSGPRsForWavesPerEU: 1
; NumVGPRsForWavesPerEU: 1
; Occupancy: 16
; WaveLimiterHint : 0
; COMPUTE_PGM_RSRC2:SCRATCH_EN: 0
; COMPUTE_PGM_RSRC2:USER_SGPR: 6
; COMPUTE_PGM_RSRC2:TRAP_HANDLER: 0
; COMPUTE_PGM_RSRC2:TGID_X_EN: 1
; COMPUTE_PGM_RSRC2:TGID_Y_EN: 0
; COMPUTE_PGM_RSRC2:TGID_Z_EN: 0
; COMPUTE_PGM_RSRC2:TIDIG_COMP_CNT: 0
	.section	.text._ZN7rocprim17ROCPRIM_400000_NS6detail17trampoline_kernelINS0_14default_configENS1_27scan_by_key_config_selectorIiiEEZZNS1_16scan_by_key_implILNS1_25lookback_scan_determinismE0ELb0ES3_N6thrust23THRUST_200600_302600_NS6detail15normal_iteratorINS9_10device_ptrIiEEEESE_SE_iNS9_4plusIiEE19head_flag_predicateiEE10hipError_tPvRmT2_T3_T4_T5_mT6_T7_P12ihipStream_tbENKUlT_T0_E_clISt17integral_constantIbLb1EESX_IbLb0EEEEDaST_SU_EUlST_E_NS1_11comp_targetILNS1_3genE9ELNS1_11target_archE1100ELNS1_3gpuE3ELNS1_3repE0EEENS1_30default_config_static_selectorELNS0_4arch9wavefront6targetE0EEEvT1_,"axG",@progbits,_ZN7rocprim17ROCPRIM_400000_NS6detail17trampoline_kernelINS0_14default_configENS1_27scan_by_key_config_selectorIiiEEZZNS1_16scan_by_key_implILNS1_25lookback_scan_determinismE0ELb0ES3_N6thrust23THRUST_200600_302600_NS6detail15normal_iteratorINS9_10device_ptrIiEEEESE_SE_iNS9_4plusIiEE19head_flag_predicateiEE10hipError_tPvRmT2_T3_T4_T5_mT6_T7_P12ihipStream_tbENKUlT_T0_E_clISt17integral_constantIbLb1EESX_IbLb0EEEEDaST_SU_EUlST_E_NS1_11comp_targetILNS1_3genE9ELNS1_11target_archE1100ELNS1_3gpuE3ELNS1_3repE0EEENS1_30default_config_static_selectorELNS0_4arch9wavefront6targetE0EEEvT1_,comdat
	.protected	_ZN7rocprim17ROCPRIM_400000_NS6detail17trampoline_kernelINS0_14default_configENS1_27scan_by_key_config_selectorIiiEEZZNS1_16scan_by_key_implILNS1_25lookback_scan_determinismE0ELb0ES3_N6thrust23THRUST_200600_302600_NS6detail15normal_iteratorINS9_10device_ptrIiEEEESE_SE_iNS9_4plusIiEE19head_flag_predicateiEE10hipError_tPvRmT2_T3_T4_T5_mT6_T7_P12ihipStream_tbENKUlT_T0_E_clISt17integral_constantIbLb1EESX_IbLb0EEEEDaST_SU_EUlST_E_NS1_11comp_targetILNS1_3genE9ELNS1_11target_archE1100ELNS1_3gpuE3ELNS1_3repE0EEENS1_30default_config_static_selectorELNS0_4arch9wavefront6targetE0EEEvT1_ ; -- Begin function _ZN7rocprim17ROCPRIM_400000_NS6detail17trampoline_kernelINS0_14default_configENS1_27scan_by_key_config_selectorIiiEEZZNS1_16scan_by_key_implILNS1_25lookback_scan_determinismE0ELb0ES3_N6thrust23THRUST_200600_302600_NS6detail15normal_iteratorINS9_10device_ptrIiEEEESE_SE_iNS9_4plusIiEE19head_flag_predicateiEE10hipError_tPvRmT2_T3_T4_T5_mT6_T7_P12ihipStream_tbENKUlT_T0_E_clISt17integral_constantIbLb1EESX_IbLb0EEEEDaST_SU_EUlST_E_NS1_11comp_targetILNS1_3genE9ELNS1_11target_archE1100ELNS1_3gpuE3ELNS1_3repE0EEENS1_30default_config_static_selectorELNS0_4arch9wavefront6targetE0EEEvT1_
	.globl	_ZN7rocprim17ROCPRIM_400000_NS6detail17trampoline_kernelINS0_14default_configENS1_27scan_by_key_config_selectorIiiEEZZNS1_16scan_by_key_implILNS1_25lookback_scan_determinismE0ELb0ES3_N6thrust23THRUST_200600_302600_NS6detail15normal_iteratorINS9_10device_ptrIiEEEESE_SE_iNS9_4plusIiEE19head_flag_predicateiEE10hipError_tPvRmT2_T3_T4_T5_mT6_T7_P12ihipStream_tbENKUlT_T0_E_clISt17integral_constantIbLb1EESX_IbLb0EEEEDaST_SU_EUlST_E_NS1_11comp_targetILNS1_3genE9ELNS1_11target_archE1100ELNS1_3gpuE3ELNS1_3repE0EEENS1_30default_config_static_selectorELNS0_4arch9wavefront6targetE0EEEvT1_
	.p2align	8
	.type	_ZN7rocprim17ROCPRIM_400000_NS6detail17trampoline_kernelINS0_14default_configENS1_27scan_by_key_config_selectorIiiEEZZNS1_16scan_by_key_implILNS1_25lookback_scan_determinismE0ELb0ES3_N6thrust23THRUST_200600_302600_NS6detail15normal_iteratorINS9_10device_ptrIiEEEESE_SE_iNS9_4plusIiEE19head_flag_predicateiEE10hipError_tPvRmT2_T3_T4_T5_mT6_T7_P12ihipStream_tbENKUlT_T0_E_clISt17integral_constantIbLb1EESX_IbLb0EEEEDaST_SU_EUlST_E_NS1_11comp_targetILNS1_3genE9ELNS1_11target_archE1100ELNS1_3gpuE3ELNS1_3repE0EEENS1_30default_config_static_selectorELNS0_4arch9wavefront6targetE0EEEvT1_,@function
_ZN7rocprim17ROCPRIM_400000_NS6detail17trampoline_kernelINS0_14default_configENS1_27scan_by_key_config_selectorIiiEEZZNS1_16scan_by_key_implILNS1_25lookback_scan_determinismE0ELb0ES3_N6thrust23THRUST_200600_302600_NS6detail15normal_iteratorINS9_10device_ptrIiEEEESE_SE_iNS9_4plusIiEE19head_flag_predicateiEE10hipError_tPvRmT2_T3_T4_T5_mT6_T7_P12ihipStream_tbENKUlT_T0_E_clISt17integral_constantIbLb1EESX_IbLb0EEEEDaST_SU_EUlST_E_NS1_11comp_targetILNS1_3genE9ELNS1_11target_archE1100ELNS1_3gpuE3ELNS1_3repE0EEENS1_30default_config_static_selectorELNS0_4arch9wavefront6targetE0EEEvT1_: ; @_ZN7rocprim17ROCPRIM_400000_NS6detail17trampoline_kernelINS0_14default_configENS1_27scan_by_key_config_selectorIiiEEZZNS1_16scan_by_key_implILNS1_25lookback_scan_determinismE0ELb0ES3_N6thrust23THRUST_200600_302600_NS6detail15normal_iteratorINS9_10device_ptrIiEEEESE_SE_iNS9_4plusIiEE19head_flag_predicateiEE10hipError_tPvRmT2_T3_T4_T5_mT6_T7_P12ihipStream_tbENKUlT_T0_E_clISt17integral_constantIbLb1EESX_IbLb0EEEEDaST_SU_EUlST_E_NS1_11comp_targetILNS1_3genE9ELNS1_11target_archE1100ELNS1_3gpuE3ELNS1_3repE0EEENS1_30default_config_static_selectorELNS0_4arch9wavefront6targetE0EEEvT1_
; %bb.0:
	.section	.rodata,"a",@progbits
	.p2align	6, 0x0
	.amdhsa_kernel _ZN7rocprim17ROCPRIM_400000_NS6detail17trampoline_kernelINS0_14default_configENS1_27scan_by_key_config_selectorIiiEEZZNS1_16scan_by_key_implILNS1_25lookback_scan_determinismE0ELb0ES3_N6thrust23THRUST_200600_302600_NS6detail15normal_iteratorINS9_10device_ptrIiEEEESE_SE_iNS9_4plusIiEE19head_flag_predicateiEE10hipError_tPvRmT2_T3_T4_T5_mT6_T7_P12ihipStream_tbENKUlT_T0_E_clISt17integral_constantIbLb1EESX_IbLb0EEEEDaST_SU_EUlST_E_NS1_11comp_targetILNS1_3genE9ELNS1_11target_archE1100ELNS1_3gpuE3ELNS1_3repE0EEENS1_30default_config_static_selectorELNS0_4arch9wavefront6targetE0EEEvT1_
		.amdhsa_group_segment_fixed_size 0
		.amdhsa_private_segment_fixed_size 0
		.amdhsa_kernarg_size 112
		.amdhsa_user_sgpr_count 6
		.amdhsa_user_sgpr_private_segment_buffer 1
		.amdhsa_user_sgpr_dispatch_ptr 0
		.amdhsa_user_sgpr_queue_ptr 0
		.amdhsa_user_sgpr_kernarg_segment_ptr 1
		.amdhsa_user_sgpr_dispatch_id 0
		.amdhsa_user_sgpr_flat_scratch_init 0
		.amdhsa_user_sgpr_private_segment_size 0
		.amdhsa_wavefront_size32 1
		.amdhsa_uses_dynamic_stack 0
		.amdhsa_system_sgpr_private_segment_wavefront_offset 0
		.amdhsa_system_sgpr_workgroup_id_x 1
		.amdhsa_system_sgpr_workgroup_id_y 0
		.amdhsa_system_sgpr_workgroup_id_z 0
		.amdhsa_system_sgpr_workgroup_info 0
		.amdhsa_system_vgpr_workitem_id 0
		.amdhsa_next_free_vgpr 1
		.amdhsa_next_free_sgpr 1
		.amdhsa_reserve_vcc 0
		.amdhsa_reserve_flat_scratch 0
		.amdhsa_float_round_mode_32 0
		.amdhsa_float_round_mode_16_64 0
		.amdhsa_float_denorm_mode_32 3
		.amdhsa_float_denorm_mode_16_64 3
		.amdhsa_dx10_clamp 1
		.amdhsa_ieee_mode 1
		.amdhsa_fp16_overflow 0
		.amdhsa_workgroup_processor_mode 1
		.amdhsa_memory_ordered 1
		.amdhsa_forward_progress 1
		.amdhsa_shared_vgpr_count 0
		.amdhsa_exception_fp_ieee_invalid_op 0
		.amdhsa_exception_fp_denorm_src 0
		.amdhsa_exception_fp_ieee_div_zero 0
		.amdhsa_exception_fp_ieee_overflow 0
		.amdhsa_exception_fp_ieee_underflow 0
		.amdhsa_exception_fp_ieee_inexact 0
		.amdhsa_exception_int_div_zero 0
	.end_amdhsa_kernel
	.section	.text._ZN7rocprim17ROCPRIM_400000_NS6detail17trampoline_kernelINS0_14default_configENS1_27scan_by_key_config_selectorIiiEEZZNS1_16scan_by_key_implILNS1_25lookback_scan_determinismE0ELb0ES3_N6thrust23THRUST_200600_302600_NS6detail15normal_iteratorINS9_10device_ptrIiEEEESE_SE_iNS9_4plusIiEE19head_flag_predicateiEE10hipError_tPvRmT2_T3_T4_T5_mT6_T7_P12ihipStream_tbENKUlT_T0_E_clISt17integral_constantIbLb1EESX_IbLb0EEEEDaST_SU_EUlST_E_NS1_11comp_targetILNS1_3genE9ELNS1_11target_archE1100ELNS1_3gpuE3ELNS1_3repE0EEENS1_30default_config_static_selectorELNS0_4arch9wavefront6targetE0EEEvT1_,"axG",@progbits,_ZN7rocprim17ROCPRIM_400000_NS6detail17trampoline_kernelINS0_14default_configENS1_27scan_by_key_config_selectorIiiEEZZNS1_16scan_by_key_implILNS1_25lookback_scan_determinismE0ELb0ES3_N6thrust23THRUST_200600_302600_NS6detail15normal_iteratorINS9_10device_ptrIiEEEESE_SE_iNS9_4plusIiEE19head_flag_predicateiEE10hipError_tPvRmT2_T3_T4_T5_mT6_T7_P12ihipStream_tbENKUlT_T0_E_clISt17integral_constantIbLb1EESX_IbLb0EEEEDaST_SU_EUlST_E_NS1_11comp_targetILNS1_3genE9ELNS1_11target_archE1100ELNS1_3gpuE3ELNS1_3repE0EEENS1_30default_config_static_selectorELNS0_4arch9wavefront6targetE0EEEvT1_,comdat
.Lfunc_end774:
	.size	_ZN7rocprim17ROCPRIM_400000_NS6detail17trampoline_kernelINS0_14default_configENS1_27scan_by_key_config_selectorIiiEEZZNS1_16scan_by_key_implILNS1_25lookback_scan_determinismE0ELb0ES3_N6thrust23THRUST_200600_302600_NS6detail15normal_iteratorINS9_10device_ptrIiEEEESE_SE_iNS9_4plusIiEE19head_flag_predicateiEE10hipError_tPvRmT2_T3_T4_T5_mT6_T7_P12ihipStream_tbENKUlT_T0_E_clISt17integral_constantIbLb1EESX_IbLb0EEEEDaST_SU_EUlST_E_NS1_11comp_targetILNS1_3genE9ELNS1_11target_archE1100ELNS1_3gpuE3ELNS1_3repE0EEENS1_30default_config_static_selectorELNS0_4arch9wavefront6targetE0EEEvT1_, .Lfunc_end774-_ZN7rocprim17ROCPRIM_400000_NS6detail17trampoline_kernelINS0_14default_configENS1_27scan_by_key_config_selectorIiiEEZZNS1_16scan_by_key_implILNS1_25lookback_scan_determinismE0ELb0ES3_N6thrust23THRUST_200600_302600_NS6detail15normal_iteratorINS9_10device_ptrIiEEEESE_SE_iNS9_4plusIiEE19head_flag_predicateiEE10hipError_tPvRmT2_T3_T4_T5_mT6_T7_P12ihipStream_tbENKUlT_T0_E_clISt17integral_constantIbLb1EESX_IbLb0EEEEDaST_SU_EUlST_E_NS1_11comp_targetILNS1_3genE9ELNS1_11target_archE1100ELNS1_3gpuE3ELNS1_3repE0EEENS1_30default_config_static_selectorELNS0_4arch9wavefront6targetE0EEEvT1_
                                        ; -- End function
	.set _ZN7rocprim17ROCPRIM_400000_NS6detail17trampoline_kernelINS0_14default_configENS1_27scan_by_key_config_selectorIiiEEZZNS1_16scan_by_key_implILNS1_25lookback_scan_determinismE0ELb0ES3_N6thrust23THRUST_200600_302600_NS6detail15normal_iteratorINS9_10device_ptrIiEEEESE_SE_iNS9_4plusIiEE19head_flag_predicateiEE10hipError_tPvRmT2_T3_T4_T5_mT6_T7_P12ihipStream_tbENKUlT_T0_E_clISt17integral_constantIbLb1EESX_IbLb0EEEEDaST_SU_EUlST_E_NS1_11comp_targetILNS1_3genE9ELNS1_11target_archE1100ELNS1_3gpuE3ELNS1_3repE0EEENS1_30default_config_static_selectorELNS0_4arch9wavefront6targetE0EEEvT1_.num_vgpr, 0
	.set _ZN7rocprim17ROCPRIM_400000_NS6detail17trampoline_kernelINS0_14default_configENS1_27scan_by_key_config_selectorIiiEEZZNS1_16scan_by_key_implILNS1_25lookback_scan_determinismE0ELb0ES3_N6thrust23THRUST_200600_302600_NS6detail15normal_iteratorINS9_10device_ptrIiEEEESE_SE_iNS9_4plusIiEE19head_flag_predicateiEE10hipError_tPvRmT2_T3_T4_T5_mT6_T7_P12ihipStream_tbENKUlT_T0_E_clISt17integral_constantIbLb1EESX_IbLb0EEEEDaST_SU_EUlST_E_NS1_11comp_targetILNS1_3genE9ELNS1_11target_archE1100ELNS1_3gpuE3ELNS1_3repE0EEENS1_30default_config_static_selectorELNS0_4arch9wavefront6targetE0EEEvT1_.num_agpr, 0
	.set _ZN7rocprim17ROCPRIM_400000_NS6detail17trampoline_kernelINS0_14default_configENS1_27scan_by_key_config_selectorIiiEEZZNS1_16scan_by_key_implILNS1_25lookback_scan_determinismE0ELb0ES3_N6thrust23THRUST_200600_302600_NS6detail15normal_iteratorINS9_10device_ptrIiEEEESE_SE_iNS9_4plusIiEE19head_flag_predicateiEE10hipError_tPvRmT2_T3_T4_T5_mT6_T7_P12ihipStream_tbENKUlT_T0_E_clISt17integral_constantIbLb1EESX_IbLb0EEEEDaST_SU_EUlST_E_NS1_11comp_targetILNS1_3genE9ELNS1_11target_archE1100ELNS1_3gpuE3ELNS1_3repE0EEENS1_30default_config_static_selectorELNS0_4arch9wavefront6targetE0EEEvT1_.numbered_sgpr, 0
	.set _ZN7rocprim17ROCPRIM_400000_NS6detail17trampoline_kernelINS0_14default_configENS1_27scan_by_key_config_selectorIiiEEZZNS1_16scan_by_key_implILNS1_25lookback_scan_determinismE0ELb0ES3_N6thrust23THRUST_200600_302600_NS6detail15normal_iteratorINS9_10device_ptrIiEEEESE_SE_iNS9_4plusIiEE19head_flag_predicateiEE10hipError_tPvRmT2_T3_T4_T5_mT6_T7_P12ihipStream_tbENKUlT_T0_E_clISt17integral_constantIbLb1EESX_IbLb0EEEEDaST_SU_EUlST_E_NS1_11comp_targetILNS1_3genE9ELNS1_11target_archE1100ELNS1_3gpuE3ELNS1_3repE0EEENS1_30default_config_static_selectorELNS0_4arch9wavefront6targetE0EEEvT1_.num_named_barrier, 0
	.set _ZN7rocprim17ROCPRIM_400000_NS6detail17trampoline_kernelINS0_14default_configENS1_27scan_by_key_config_selectorIiiEEZZNS1_16scan_by_key_implILNS1_25lookback_scan_determinismE0ELb0ES3_N6thrust23THRUST_200600_302600_NS6detail15normal_iteratorINS9_10device_ptrIiEEEESE_SE_iNS9_4plusIiEE19head_flag_predicateiEE10hipError_tPvRmT2_T3_T4_T5_mT6_T7_P12ihipStream_tbENKUlT_T0_E_clISt17integral_constantIbLb1EESX_IbLb0EEEEDaST_SU_EUlST_E_NS1_11comp_targetILNS1_3genE9ELNS1_11target_archE1100ELNS1_3gpuE3ELNS1_3repE0EEENS1_30default_config_static_selectorELNS0_4arch9wavefront6targetE0EEEvT1_.private_seg_size, 0
	.set _ZN7rocprim17ROCPRIM_400000_NS6detail17trampoline_kernelINS0_14default_configENS1_27scan_by_key_config_selectorIiiEEZZNS1_16scan_by_key_implILNS1_25lookback_scan_determinismE0ELb0ES3_N6thrust23THRUST_200600_302600_NS6detail15normal_iteratorINS9_10device_ptrIiEEEESE_SE_iNS9_4plusIiEE19head_flag_predicateiEE10hipError_tPvRmT2_T3_T4_T5_mT6_T7_P12ihipStream_tbENKUlT_T0_E_clISt17integral_constantIbLb1EESX_IbLb0EEEEDaST_SU_EUlST_E_NS1_11comp_targetILNS1_3genE9ELNS1_11target_archE1100ELNS1_3gpuE3ELNS1_3repE0EEENS1_30default_config_static_selectorELNS0_4arch9wavefront6targetE0EEEvT1_.uses_vcc, 0
	.set _ZN7rocprim17ROCPRIM_400000_NS6detail17trampoline_kernelINS0_14default_configENS1_27scan_by_key_config_selectorIiiEEZZNS1_16scan_by_key_implILNS1_25lookback_scan_determinismE0ELb0ES3_N6thrust23THRUST_200600_302600_NS6detail15normal_iteratorINS9_10device_ptrIiEEEESE_SE_iNS9_4plusIiEE19head_flag_predicateiEE10hipError_tPvRmT2_T3_T4_T5_mT6_T7_P12ihipStream_tbENKUlT_T0_E_clISt17integral_constantIbLb1EESX_IbLb0EEEEDaST_SU_EUlST_E_NS1_11comp_targetILNS1_3genE9ELNS1_11target_archE1100ELNS1_3gpuE3ELNS1_3repE0EEENS1_30default_config_static_selectorELNS0_4arch9wavefront6targetE0EEEvT1_.uses_flat_scratch, 0
	.set _ZN7rocprim17ROCPRIM_400000_NS6detail17trampoline_kernelINS0_14default_configENS1_27scan_by_key_config_selectorIiiEEZZNS1_16scan_by_key_implILNS1_25lookback_scan_determinismE0ELb0ES3_N6thrust23THRUST_200600_302600_NS6detail15normal_iteratorINS9_10device_ptrIiEEEESE_SE_iNS9_4plusIiEE19head_flag_predicateiEE10hipError_tPvRmT2_T3_T4_T5_mT6_T7_P12ihipStream_tbENKUlT_T0_E_clISt17integral_constantIbLb1EESX_IbLb0EEEEDaST_SU_EUlST_E_NS1_11comp_targetILNS1_3genE9ELNS1_11target_archE1100ELNS1_3gpuE3ELNS1_3repE0EEENS1_30default_config_static_selectorELNS0_4arch9wavefront6targetE0EEEvT1_.has_dyn_sized_stack, 0
	.set _ZN7rocprim17ROCPRIM_400000_NS6detail17trampoline_kernelINS0_14default_configENS1_27scan_by_key_config_selectorIiiEEZZNS1_16scan_by_key_implILNS1_25lookback_scan_determinismE0ELb0ES3_N6thrust23THRUST_200600_302600_NS6detail15normal_iteratorINS9_10device_ptrIiEEEESE_SE_iNS9_4plusIiEE19head_flag_predicateiEE10hipError_tPvRmT2_T3_T4_T5_mT6_T7_P12ihipStream_tbENKUlT_T0_E_clISt17integral_constantIbLb1EESX_IbLb0EEEEDaST_SU_EUlST_E_NS1_11comp_targetILNS1_3genE9ELNS1_11target_archE1100ELNS1_3gpuE3ELNS1_3repE0EEENS1_30default_config_static_selectorELNS0_4arch9wavefront6targetE0EEEvT1_.has_recursion, 0
	.set _ZN7rocprim17ROCPRIM_400000_NS6detail17trampoline_kernelINS0_14default_configENS1_27scan_by_key_config_selectorIiiEEZZNS1_16scan_by_key_implILNS1_25lookback_scan_determinismE0ELb0ES3_N6thrust23THRUST_200600_302600_NS6detail15normal_iteratorINS9_10device_ptrIiEEEESE_SE_iNS9_4plusIiEE19head_flag_predicateiEE10hipError_tPvRmT2_T3_T4_T5_mT6_T7_P12ihipStream_tbENKUlT_T0_E_clISt17integral_constantIbLb1EESX_IbLb0EEEEDaST_SU_EUlST_E_NS1_11comp_targetILNS1_3genE9ELNS1_11target_archE1100ELNS1_3gpuE3ELNS1_3repE0EEENS1_30default_config_static_selectorELNS0_4arch9wavefront6targetE0EEEvT1_.has_indirect_call, 0
	.section	.AMDGPU.csdata,"",@progbits
; Kernel info:
; codeLenInByte = 0
; TotalNumSgprs: 0
; NumVgprs: 0
; ScratchSize: 0
; MemoryBound: 0
; FloatMode: 240
; IeeeMode: 1
; LDSByteSize: 0 bytes/workgroup (compile time only)
; SGPRBlocks: 0
; VGPRBlocks: 0
; NumSGPRsForWavesPerEU: 1
; NumVGPRsForWavesPerEU: 1
; Occupancy: 16
; WaveLimiterHint : 0
; COMPUTE_PGM_RSRC2:SCRATCH_EN: 0
; COMPUTE_PGM_RSRC2:USER_SGPR: 6
; COMPUTE_PGM_RSRC2:TRAP_HANDLER: 0
; COMPUTE_PGM_RSRC2:TGID_X_EN: 1
; COMPUTE_PGM_RSRC2:TGID_Y_EN: 0
; COMPUTE_PGM_RSRC2:TGID_Z_EN: 0
; COMPUTE_PGM_RSRC2:TIDIG_COMP_CNT: 0
	.section	.text._ZN7rocprim17ROCPRIM_400000_NS6detail17trampoline_kernelINS0_14default_configENS1_27scan_by_key_config_selectorIiiEEZZNS1_16scan_by_key_implILNS1_25lookback_scan_determinismE0ELb0ES3_N6thrust23THRUST_200600_302600_NS6detail15normal_iteratorINS9_10device_ptrIiEEEESE_SE_iNS9_4plusIiEE19head_flag_predicateiEE10hipError_tPvRmT2_T3_T4_T5_mT6_T7_P12ihipStream_tbENKUlT_T0_E_clISt17integral_constantIbLb1EESX_IbLb0EEEEDaST_SU_EUlST_E_NS1_11comp_targetILNS1_3genE8ELNS1_11target_archE1030ELNS1_3gpuE2ELNS1_3repE0EEENS1_30default_config_static_selectorELNS0_4arch9wavefront6targetE0EEEvT1_,"axG",@progbits,_ZN7rocprim17ROCPRIM_400000_NS6detail17trampoline_kernelINS0_14default_configENS1_27scan_by_key_config_selectorIiiEEZZNS1_16scan_by_key_implILNS1_25lookback_scan_determinismE0ELb0ES3_N6thrust23THRUST_200600_302600_NS6detail15normal_iteratorINS9_10device_ptrIiEEEESE_SE_iNS9_4plusIiEE19head_flag_predicateiEE10hipError_tPvRmT2_T3_T4_T5_mT6_T7_P12ihipStream_tbENKUlT_T0_E_clISt17integral_constantIbLb1EESX_IbLb0EEEEDaST_SU_EUlST_E_NS1_11comp_targetILNS1_3genE8ELNS1_11target_archE1030ELNS1_3gpuE2ELNS1_3repE0EEENS1_30default_config_static_selectorELNS0_4arch9wavefront6targetE0EEEvT1_,comdat
	.protected	_ZN7rocprim17ROCPRIM_400000_NS6detail17trampoline_kernelINS0_14default_configENS1_27scan_by_key_config_selectorIiiEEZZNS1_16scan_by_key_implILNS1_25lookback_scan_determinismE0ELb0ES3_N6thrust23THRUST_200600_302600_NS6detail15normal_iteratorINS9_10device_ptrIiEEEESE_SE_iNS9_4plusIiEE19head_flag_predicateiEE10hipError_tPvRmT2_T3_T4_T5_mT6_T7_P12ihipStream_tbENKUlT_T0_E_clISt17integral_constantIbLb1EESX_IbLb0EEEEDaST_SU_EUlST_E_NS1_11comp_targetILNS1_3genE8ELNS1_11target_archE1030ELNS1_3gpuE2ELNS1_3repE0EEENS1_30default_config_static_selectorELNS0_4arch9wavefront6targetE0EEEvT1_ ; -- Begin function _ZN7rocprim17ROCPRIM_400000_NS6detail17trampoline_kernelINS0_14default_configENS1_27scan_by_key_config_selectorIiiEEZZNS1_16scan_by_key_implILNS1_25lookback_scan_determinismE0ELb0ES3_N6thrust23THRUST_200600_302600_NS6detail15normal_iteratorINS9_10device_ptrIiEEEESE_SE_iNS9_4plusIiEE19head_flag_predicateiEE10hipError_tPvRmT2_T3_T4_T5_mT6_T7_P12ihipStream_tbENKUlT_T0_E_clISt17integral_constantIbLb1EESX_IbLb0EEEEDaST_SU_EUlST_E_NS1_11comp_targetILNS1_3genE8ELNS1_11target_archE1030ELNS1_3gpuE2ELNS1_3repE0EEENS1_30default_config_static_selectorELNS0_4arch9wavefront6targetE0EEEvT1_
	.globl	_ZN7rocprim17ROCPRIM_400000_NS6detail17trampoline_kernelINS0_14default_configENS1_27scan_by_key_config_selectorIiiEEZZNS1_16scan_by_key_implILNS1_25lookback_scan_determinismE0ELb0ES3_N6thrust23THRUST_200600_302600_NS6detail15normal_iteratorINS9_10device_ptrIiEEEESE_SE_iNS9_4plusIiEE19head_flag_predicateiEE10hipError_tPvRmT2_T3_T4_T5_mT6_T7_P12ihipStream_tbENKUlT_T0_E_clISt17integral_constantIbLb1EESX_IbLb0EEEEDaST_SU_EUlST_E_NS1_11comp_targetILNS1_3genE8ELNS1_11target_archE1030ELNS1_3gpuE2ELNS1_3repE0EEENS1_30default_config_static_selectorELNS0_4arch9wavefront6targetE0EEEvT1_
	.p2align	8
	.type	_ZN7rocprim17ROCPRIM_400000_NS6detail17trampoline_kernelINS0_14default_configENS1_27scan_by_key_config_selectorIiiEEZZNS1_16scan_by_key_implILNS1_25lookback_scan_determinismE0ELb0ES3_N6thrust23THRUST_200600_302600_NS6detail15normal_iteratorINS9_10device_ptrIiEEEESE_SE_iNS9_4plusIiEE19head_flag_predicateiEE10hipError_tPvRmT2_T3_T4_T5_mT6_T7_P12ihipStream_tbENKUlT_T0_E_clISt17integral_constantIbLb1EESX_IbLb0EEEEDaST_SU_EUlST_E_NS1_11comp_targetILNS1_3genE8ELNS1_11target_archE1030ELNS1_3gpuE2ELNS1_3repE0EEENS1_30default_config_static_selectorELNS0_4arch9wavefront6targetE0EEEvT1_,@function
_ZN7rocprim17ROCPRIM_400000_NS6detail17trampoline_kernelINS0_14default_configENS1_27scan_by_key_config_selectorIiiEEZZNS1_16scan_by_key_implILNS1_25lookback_scan_determinismE0ELb0ES3_N6thrust23THRUST_200600_302600_NS6detail15normal_iteratorINS9_10device_ptrIiEEEESE_SE_iNS9_4plusIiEE19head_flag_predicateiEE10hipError_tPvRmT2_T3_T4_T5_mT6_T7_P12ihipStream_tbENKUlT_T0_E_clISt17integral_constantIbLb1EESX_IbLb0EEEEDaST_SU_EUlST_E_NS1_11comp_targetILNS1_3genE8ELNS1_11target_archE1030ELNS1_3gpuE2ELNS1_3repE0EEENS1_30default_config_static_selectorELNS0_4arch9wavefront6targetE0EEEvT1_: ; @_ZN7rocprim17ROCPRIM_400000_NS6detail17trampoline_kernelINS0_14default_configENS1_27scan_by_key_config_selectorIiiEEZZNS1_16scan_by_key_implILNS1_25lookback_scan_determinismE0ELb0ES3_N6thrust23THRUST_200600_302600_NS6detail15normal_iteratorINS9_10device_ptrIiEEEESE_SE_iNS9_4plusIiEE19head_flag_predicateiEE10hipError_tPvRmT2_T3_T4_T5_mT6_T7_P12ihipStream_tbENKUlT_T0_E_clISt17integral_constantIbLb1EESX_IbLb0EEEEDaST_SU_EUlST_E_NS1_11comp_targetILNS1_3genE8ELNS1_11target_archE1030ELNS1_3gpuE2ELNS1_3repE0EEENS1_30default_config_static_selectorELNS0_4arch9wavefront6targetE0EEEvT1_
; %bb.0:
	s_endpgm
	.section	.rodata,"a",@progbits
	.p2align	6, 0x0
	.amdhsa_kernel _ZN7rocprim17ROCPRIM_400000_NS6detail17trampoline_kernelINS0_14default_configENS1_27scan_by_key_config_selectorIiiEEZZNS1_16scan_by_key_implILNS1_25lookback_scan_determinismE0ELb0ES3_N6thrust23THRUST_200600_302600_NS6detail15normal_iteratorINS9_10device_ptrIiEEEESE_SE_iNS9_4plusIiEE19head_flag_predicateiEE10hipError_tPvRmT2_T3_T4_T5_mT6_T7_P12ihipStream_tbENKUlT_T0_E_clISt17integral_constantIbLb1EESX_IbLb0EEEEDaST_SU_EUlST_E_NS1_11comp_targetILNS1_3genE8ELNS1_11target_archE1030ELNS1_3gpuE2ELNS1_3repE0EEENS1_30default_config_static_selectorELNS0_4arch9wavefront6targetE0EEEvT1_
		.amdhsa_group_segment_fixed_size 0
		.amdhsa_private_segment_fixed_size 0
		.amdhsa_kernarg_size 112
		.amdhsa_user_sgpr_count 6
		.amdhsa_user_sgpr_private_segment_buffer 1
		.amdhsa_user_sgpr_dispatch_ptr 0
		.amdhsa_user_sgpr_queue_ptr 0
		.amdhsa_user_sgpr_kernarg_segment_ptr 1
		.amdhsa_user_sgpr_dispatch_id 0
		.amdhsa_user_sgpr_flat_scratch_init 0
		.amdhsa_user_sgpr_private_segment_size 0
		.amdhsa_wavefront_size32 1
		.amdhsa_uses_dynamic_stack 0
		.amdhsa_system_sgpr_private_segment_wavefront_offset 0
		.amdhsa_system_sgpr_workgroup_id_x 1
		.amdhsa_system_sgpr_workgroup_id_y 0
		.amdhsa_system_sgpr_workgroup_id_z 0
		.amdhsa_system_sgpr_workgroup_info 0
		.amdhsa_system_vgpr_workitem_id 0
		.amdhsa_next_free_vgpr 1
		.amdhsa_next_free_sgpr 1
		.amdhsa_reserve_vcc 0
		.amdhsa_reserve_flat_scratch 0
		.amdhsa_float_round_mode_32 0
		.amdhsa_float_round_mode_16_64 0
		.amdhsa_float_denorm_mode_32 3
		.amdhsa_float_denorm_mode_16_64 3
		.amdhsa_dx10_clamp 1
		.amdhsa_ieee_mode 1
		.amdhsa_fp16_overflow 0
		.amdhsa_workgroup_processor_mode 1
		.amdhsa_memory_ordered 1
		.amdhsa_forward_progress 1
		.amdhsa_shared_vgpr_count 0
		.amdhsa_exception_fp_ieee_invalid_op 0
		.amdhsa_exception_fp_denorm_src 0
		.amdhsa_exception_fp_ieee_div_zero 0
		.amdhsa_exception_fp_ieee_overflow 0
		.amdhsa_exception_fp_ieee_underflow 0
		.amdhsa_exception_fp_ieee_inexact 0
		.amdhsa_exception_int_div_zero 0
	.end_amdhsa_kernel
	.section	.text._ZN7rocprim17ROCPRIM_400000_NS6detail17trampoline_kernelINS0_14default_configENS1_27scan_by_key_config_selectorIiiEEZZNS1_16scan_by_key_implILNS1_25lookback_scan_determinismE0ELb0ES3_N6thrust23THRUST_200600_302600_NS6detail15normal_iteratorINS9_10device_ptrIiEEEESE_SE_iNS9_4plusIiEE19head_flag_predicateiEE10hipError_tPvRmT2_T3_T4_T5_mT6_T7_P12ihipStream_tbENKUlT_T0_E_clISt17integral_constantIbLb1EESX_IbLb0EEEEDaST_SU_EUlST_E_NS1_11comp_targetILNS1_3genE8ELNS1_11target_archE1030ELNS1_3gpuE2ELNS1_3repE0EEENS1_30default_config_static_selectorELNS0_4arch9wavefront6targetE0EEEvT1_,"axG",@progbits,_ZN7rocprim17ROCPRIM_400000_NS6detail17trampoline_kernelINS0_14default_configENS1_27scan_by_key_config_selectorIiiEEZZNS1_16scan_by_key_implILNS1_25lookback_scan_determinismE0ELb0ES3_N6thrust23THRUST_200600_302600_NS6detail15normal_iteratorINS9_10device_ptrIiEEEESE_SE_iNS9_4plusIiEE19head_flag_predicateiEE10hipError_tPvRmT2_T3_T4_T5_mT6_T7_P12ihipStream_tbENKUlT_T0_E_clISt17integral_constantIbLb1EESX_IbLb0EEEEDaST_SU_EUlST_E_NS1_11comp_targetILNS1_3genE8ELNS1_11target_archE1030ELNS1_3gpuE2ELNS1_3repE0EEENS1_30default_config_static_selectorELNS0_4arch9wavefront6targetE0EEEvT1_,comdat
.Lfunc_end775:
	.size	_ZN7rocprim17ROCPRIM_400000_NS6detail17trampoline_kernelINS0_14default_configENS1_27scan_by_key_config_selectorIiiEEZZNS1_16scan_by_key_implILNS1_25lookback_scan_determinismE0ELb0ES3_N6thrust23THRUST_200600_302600_NS6detail15normal_iteratorINS9_10device_ptrIiEEEESE_SE_iNS9_4plusIiEE19head_flag_predicateiEE10hipError_tPvRmT2_T3_T4_T5_mT6_T7_P12ihipStream_tbENKUlT_T0_E_clISt17integral_constantIbLb1EESX_IbLb0EEEEDaST_SU_EUlST_E_NS1_11comp_targetILNS1_3genE8ELNS1_11target_archE1030ELNS1_3gpuE2ELNS1_3repE0EEENS1_30default_config_static_selectorELNS0_4arch9wavefront6targetE0EEEvT1_, .Lfunc_end775-_ZN7rocprim17ROCPRIM_400000_NS6detail17trampoline_kernelINS0_14default_configENS1_27scan_by_key_config_selectorIiiEEZZNS1_16scan_by_key_implILNS1_25lookback_scan_determinismE0ELb0ES3_N6thrust23THRUST_200600_302600_NS6detail15normal_iteratorINS9_10device_ptrIiEEEESE_SE_iNS9_4plusIiEE19head_flag_predicateiEE10hipError_tPvRmT2_T3_T4_T5_mT6_T7_P12ihipStream_tbENKUlT_T0_E_clISt17integral_constantIbLb1EESX_IbLb0EEEEDaST_SU_EUlST_E_NS1_11comp_targetILNS1_3genE8ELNS1_11target_archE1030ELNS1_3gpuE2ELNS1_3repE0EEENS1_30default_config_static_selectorELNS0_4arch9wavefront6targetE0EEEvT1_
                                        ; -- End function
	.set _ZN7rocprim17ROCPRIM_400000_NS6detail17trampoline_kernelINS0_14default_configENS1_27scan_by_key_config_selectorIiiEEZZNS1_16scan_by_key_implILNS1_25lookback_scan_determinismE0ELb0ES3_N6thrust23THRUST_200600_302600_NS6detail15normal_iteratorINS9_10device_ptrIiEEEESE_SE_iNS9_4plusIiEE19head_flag_predicateiEE10hipError_tPvRmT2_T3_T4_T5_mT6_T7_P12ihipStream_tbENKUlT_T0_E_clISt17integral_constantIbLb1EESX_IbLb0EEEEDaST_SU_EUlST_E_NS1_11comp_targetILNS1_3genE8ELNS1_11target_archE1030ELNS1_3gpuE2ELNS1_3repE0EEENS1_30default_config_static_selectorELNS0_4arch9wavefront6targetE0EEEvT1_.num_vgpr, 0
	.set _ZN7rocprim17ROCPRIM_400000_NS6detail17trampoline_kernelINS0_14default_configENS1_27scan_by_key_config_selectorIiiEEZZNS1_16scan_by_key_implILNS1_25lookback_scan_determinismE0ELb0ES3_N6thrust23THRUST_200600_302600_NS6detail15normal_iteratorINS9_10device_ptrIiEEEESE_SE_iNS9_4plusIiEE19head_flag_predicateiEE10hipError_tPvRmT2_T3_T4_T5_mT6_T7_P12ihipStream_tbENKUlT_T0_E_clISt17integral_constantIbLb1EESX_IbLb0EEEEDaST_SU_EUlST_E_NS1_11comp_targetILNS1_3genE8ELNS1_11target_archE1030ELNS1_3gpuE2ELNS1_3repE0EEENS1_30default_config_static_selectorELNS0_4arch9wavefront6targetE0EEEvT1_.num_agpr, 0
	.set _ZN7rocprim17ROCPRIM_400000_NS6detail17trampoline_kernelINS0_14default_configENS1_27scan_by_key_config_selectorIiiEEZZNS1_16scan_by_key_implILNS1_25lookback_scan_determinismE0ELb0ES3_N6thrust23THRUST_200600_302600_NS6detail15normal_iteratorINS9_10device_ptrIiEEEESE_SE_iNS9_4plusIiEE19head_flag_predicateiEE10hipError_tPvRmT2_T3_T4_T5_mT6_T7_P12ihipStream_tbENKUlT_T0_E_clISt17integral_constantIbLb1EESX_IbLb0EEEEDaST_SU_EUlST_E_NS1_11comp_targetILNS1_3genE8ELNS1_11target_archE1030ELNS1_3gpuE2ELNS1_3repE0EEENS1_30default_config_static_selectorELNS0_4arch9wavefront6targetE0EEEvT1_.numbered_sgpr, 0
	.set _ZN7rocprim17ROCPRIM_400000_NS6detail17trampoline_kernelINS0_14default_configENS1_27scan_by_key_config_selectorIiiEEZZNS1_16scan_by_key_implILNS1_25lookback_scan_determinismE0ELb0ES3_N6thrust23THRUST_200600_302600_NS6detail15normal_iteratorINS9_10device_ptrIiEEEESE_SE_iNS9_4plusIiEE19head_flag_predicateiEE10hipError_tPvRmT2_T3_T4_T5_mT6_T7_P12ihipStream_tbENKUlT_T0_E_clISt17integral_constantIbLb1EESX_IbLb0EEEEDaST_SU_EUlST_E_NS1_11comp_targetILNS1_3genE8ELNS1_11target_archE1030ELNS1_3gpuE2ELNS1_3repE0EEENS1_30default_config_static_selectorELNS0_4arch9wavefront6targetE0EEEvT1_.num_named_barrier, 0
	.set _ZN7rocprim17ROCPRIM_400000_NS6detail17trampoline_kernelINS0_14default_configENS1_27scan_by_key_config_selectorIiiEEZZNS1_16scan_by_key_implILNS1_25lookback_scan_determinismE0ELb0ES3_N6thrust23THRUST_200600_302600_NS6detail15normal_iteratorINS9_10device_ptrIiEEEESE_SE_iNS9_4plusIiEE19head_flag_predicateiEE10hipError_tPvRmT2_T3_T4_T5_mT6_T7_P12ihipStream_tbENKUlT_T0_E_clISt17integral_constantIbLb1EESX_IbLb0EEEEDaST_SU_EUlST_E_NS1_11comp_targetILNS1_3genE8ELNS1_11target_archE1030ELNS1_3gpuE2ELNS1_3repE0EEENS1_30default_config_static_selectorELNS0_4arch9wavefront6targetE0EEEvT1_.private_seg_size, 0
	.set _ZN7rocprim17ROCPRIM_400000_NS6detail17trampoline_kernelINS0_14default_configENS1_27scan_by_key_config_selectorIiiEEZZNS1_16scan_by_key_implILNS1_25lookback_scan_determinismE0ELb0ES3_N6thrust23THRUST_200600_302600_NS6detail15normal_iteratorINS9_10device_ptrIiEEEESE_SE_iNS9_4plusIiEE19head_flag_predicateiEE10hipError_tPvRmT2_T3_T4_T5_mT6_T7_P12ihipStream_tbENKUlT_T0_E_clISt17integral_constantIbLb1EESX_IbLb0EEEEDaST_SU_EUlST_E_NS1_11comp_targetILNS1_3genE8ELNS1_11target_archE1030ELNS1_3gpuE2ELNS1_3repE0EEENS1_30default_config_static_selectorELNS0_4arch9wavefront6targetE0EEEvT1_.uses_vcc, 0
	.set _ZN7rocprim17ROCPRIM_400000_NS6detail17trampoline_kernelINS0_14default_configENS1_27scan_by_key_config_selectorIiiEEZZNS1_16scan_by_key_implILNS1_25lookback_scan_determinismE0ELb0ES3_N6thrust23THRUST_200600_302600_NS6detail15normal_iteratorINS9_10device_ptrIiEEEESE_SE_iNS9_4plusIiEE19head_flag_predicateiEE10hipError_tPvRmT2_T3_T4_T5_mT6_T7_P12ihipStream_tbENKUlT_T0_E_clISt17integral_constantIbLb1EESX_IbLb0EEEEDaST_SU_EUlST_E_NS1_11comp_targetILNS1_3genE8ELNS1_11target_archE1030ELNS1_3gpuE2ELNS1_3repE0EEENS1_30default_config_static_selectorELNS0_4arch9wavefront6targetE0EEEvT1_.uses_flat_scratch, 0
	.set _ZN7rocprim17ROCPRIM_400000_NS6detail17trampoline_kernelINS0_14default_configENS1_27scan_by_key_config_selectorIiiEEZZNS1_16scan_by_key_implILNS1_25lookback_scan_determinismE0ELb0ES3_N6thrust23THRUST_200600_302600_NS6detail15normal_iteratorINS9_10device_ptrIiEEEESE_SE_iNS9_4plusIiEE19head_flag_predicateiEE10hipError_tPvRmT2_T3_T4_T5_mT6_T7_P12ihipStream_tbENKUlT_T0_E_clISt17integral_constantIbLb1EESX_IbLb0EEEEDaST_SU_EUlST_E_NS1_11comp_targetILNS1_3genE8ELNS1_11target_archE1030ELNS1_3gpuE2ELNS1_3repE0EEENS1_30default_config_static_selectorELNS0_4arch9wavefront6targetE0EEEvT1_.has_dyn_sized_stack, 0
	.set _ZN7rocprim17ROCPRIM_400000_NS6detail17trampoline_kernelINS0_14default_configENS1_27scan_by_key_config_selectorIiiEEZZNS1_16scan_by_key_implILNS1_25lookback_scan_determinismE0ELb0ES3_N6thrust23THRUST_200600_302600_NS6detail15normal_iteratorINS9_10device_ptrIiEEEESE_SE_iNS9_4plusIiEE19head_flag_predicateiEE10hipError_tPvRmT2_T3_T4_T5_mT6_T7_P12ihipStream_tbENKUlT_T0_E_clISt17integral_constantIbLb1EESX_IbLb0EEEEDaST_SU_EUlST_E_NS1_11comp_targetILNS1_3genE8ELNS1_11target_archE1030ELNS1_3gpuE2ELNS1_3repE0EEENS1_30default_config_static_selectorELNS0_4arch9wavefront6targetE0EEEvT1_.has_recursion, 0
	.set _ZN7rocprim17ROCPRIM_400000_NS6detail17trampoline_kernelINS0_14default_configENS1_27scan_by_key_config_selectorIiiEEZZNS1_16scan_by_key_implILNS1_25lookback_scan_determinismE0ELb0ES3_N6thrust23THRUST_200600_302600_NS6detail15normal_iteratorINS9_10device_ptrIiEEEESE_SE_iNS9_4plusIiEE19head_flag_predicateiEE10hipError_tPvRmT2_T3_T4_T5_mT6_T7_P12ihipStream_tbENKUlT_T0_E_clISt17integral_constantIbLb1EESX_IbLb0EEEEDaST_SU_EUlST_E_NS1_11comp_targetILNS1_3genE8ELNS1_11target_archE1030ELNS1_3gpuE2ELNS1_3repE0EEENS1_30default_config_static_selectorELNS0_4arch9wavefront6targetE0EEEvT1_.has_indirect_call, 0
	.section	.AMDGPU.csdata,"",@progbits
; Kernel info:
; codeLenInByte = 4
; TotalNumSgprs: 0
; NumVgprs: 0
; ScratchSize: 0
; MemoryBound: 0
; FloatMode: 240
; IeeeMode: 1
; LDSByteSize: 0 bytes/workgroup (compile time only)
; SGPRBlocks: 0
; VGPRBlocks: 0
; NumSGPRsForWavesPerEU: 1
; NumVGPRsForWavesPerEU: 1
; Occupancy: 16
; WaveLimiterHint : 0
; COMPUTE_PGM_RSRC2:SCRATCH_EN: 0
; COMPUTE_PGM_RSRC2:USER_SGPR: 6
; COMPUTE_PGM_RSRC2:TRAP_HANDLER: 0
; COMPUTE_PGM_RSRC2:TGID_X_EN: 1
; COMPUTE_PGM_RSRC2:TGID_Y_EN: 0
; COMPUTE_PGM_RSRC2:TGID_Z_EN: 0
; COMPUTE_PGM_RSRC2:TIDIG_COMP_CNT: 0
	.section	.text._ZN7rocprim17ROCPRIM_400000_NS6detail17trampoline_kernelINS0_14default_configENS1_27scan_by_key_config_selectorIiiEEZZNS1_16scan_by_key_implILNS1_25lookback_scan_determinismE0ELb0ES3_N6thrust23THRUST_200600_302600_NS6detail15normal_iteratorINS9_10device_ptrIiEEEESE_SE_iNS9_4plusIiEE19head_flag_predicateiEE10hipError_tPvRmT2_T3_T4_T5_mT6_T7_P12ihipStream_tbENKUlT_T0_E_clISt17integral_constantIbLb0EESX_IbLb1EEEEDaST_SU_EUlST_E_NS1_11comp_targetILNS1_3genE0ELNS1_11target_archE4294967295ELNS1_3gpuE0ELNS1_3repE0EEENS1_30default_config_static_selectorELNS0_4arch9wavefront6targetE0EEEvT1_,"axG",@progbits,_ZN7rocprim17ROCPRIM_400000_NS6detail17trampoline_kernelINS0_14default_configENS1_27scan_by_key_config_selectorIiiEEZZNS1_16scan_by_key_implILNS1_25lookback_scan_determinismE0ELb0ES3_N6thrust23THRUST_200600_302600_NS6detail15normal_iteratorINS9_10device_ptrIiEEEESE_SE_iNS9_4plusIiEE19head_flag_predicateiEE10hipError_tPvRmT2_T3_T4_T5_mT6_T7_P12ihipStream_tbENKUlT_T0_E_clISt17integral_constantIbLb0EESX_IbLb1EEEEDaST_SU_EUlST_E_NS1_11comp_targetILNS1_3genE0ELNS1_11target_archE4294967295ELNS1_3gpuE0ELNS1_3repE0EEENS1_30default_config_static_selectorELNS0_4arch9wavefront6targetE0EEEvT1_,comdat
	.protected	_ZN7rocprim17ROCPRIM_400000_NS6detail17trampoline_kernelINS0_14default_configENS1_27scan_by_key_config_selectorIiiEEZZNS1_16scan_by_key_implILNS1_25lookback_scan_determinismE0ELb0ES3_N6thrust23THRUST_200600_302600_NS6detail15normal_iteratorINS9_10device_ptrIiEEEESE_SE_iNS9_4plusIiEE19head_flag_predicateiEE10hipError_tPvRmT2_T3_T4_T5_mT6_T7_P12ihipStream_tbENKUlT_T0_E_clISt17integral_constantIbLb0EESX_IbLb1EEEEDaST_SU_EUlST_E_NS1_11comp_targetILNS1_3genE0ELNS1_11target_archE4294967295ELNS1_3gpuE0ELNS1_3repE0EEENS1_30default_config_static_selectorELNS0_4arch9wavefront6targetE0EEEvT1_ ; -- Begin function _ZN7rocprim17ROCPRIM_400000_NS6detail17trampoline_kernelINS0_14default_configENS1_27scan_by_key_config_selectorIiiEEZZNS1_16scan_by_key_implILNS1_25lookback_scan_determinismE0ELb0ES3_N6thrust23THRUST_200600_302600_NS6detail15normal_iteratorINS9_10device_ptrIiEEEESE_SE_iNS9_4plusIiEE19head_flag_predicateiEE10hipError_tPvRmT2_T3_T4_T5_mT6_T7_P12ihipStream_tbENKUlT_T0_E_clISt17integral_constantIbLb0EESX_IbLb1EEEEDaST_SU_EUlST_E_NS1_11comp_targetILNS1_3genE0ELNS1_11target_archE4294967295ELNS1_3gpuE0ELNS1_3repE0EEENS1_30default_config_static_selectorELNS0_4arch9wavefront6targetE0EEEvT1_
	.globl	_ZN7rocprim17ROCPRIM_400000_NS6detail17trampoline_kernelINS0_14default_configENS1_27scan_by_key_config_selectorIiiEEZZNS1_16scan_by_key_implILNS1_25lookback_scan_determinismE0ELb0ES3_N6thrust23THRUST_200600_302600_NS6detail15normal_iteratorINS9_10device_ptrIiEEEESE_SE_iNS9_4plusIiEE19head_flag_predicateiEE10hipError_tPvRmT2_T3_T4_T5_mT6_T7_P12ihipStream_tbENKUlT_T0_E_clISt17integral_constantIbLb0EESX_IbLb1EEEEDaST_SU_EUlST_E_NS1_11comp_targetILNS1_3genE0ELNS1_11target_archE4294967295ELNS1_3gpuE0ELNS1_3repE0EEENS1_30default_config_static_selectorELNS0_4arch9wavefront6targetE0EEEvT1_
	.p2align	8
	.type	_ZN7rocprim17ROCPRIM_400000_NS6detail17trampoline_kernelINS0_14default_configENS1_27scan_by_key_config_selectorIiiEEZZNS1_16scan_by_key_implILNS1_25lookback_scan_determinismE0ELb0ES3_N6thrust23THRUST_200600_302600_NS6detail15normal_iteratorINS9_10device_ptrIiEEEESE_SE_iNS9_4plusIiEE19head_flag_predicateiEE10hipError_tPvRmT2_T3_T4_T5_mT6_T7_P12ihipStream_tbENKUlT_T0_E_clISt17integral_constantIbLb0EESX_IbLb1EEEEDaST_SU_EUlST_E_NS1_11comp_targetILNS1_3genE0ELNS1_11target_archE4294967295ELNS1_3gpuE0ELNS1_3repE0EEENS1_30default_config_static_selectorELNS0_4arch9wavefront6targetE0EEEvT1_,@function
_ZN7rocprim17ROCPRIM_400000_NS6detail17trampoline_kernelINS0_14default_configENS1_27scan_by_key_config_selectorIiiEEZZNS1_16scan_by_key_implILNS1_25lookback_scan_determinismE0ELb0ES3_N6thrust23THRUST_200600_302600_NS6detail15normal_iteratorINS9_10device_ptrIiEEEESE_SE_iNS9_4plusIiEE19head_flag_predicateiEE10hipError_tPvRmT2_T3_T4_T5_mT6_T7_P12ihipStream_tbENKUlT_T0_E_clISt17integral_constantIbLb0EESX_IbLb1EEEEDaST_SU_EUlST_E_NS1_11comp_targetILNS1_3genE0ELNS1_11target_archE4294967295ELNS1_3gpuE0ELNS1_3repE0EEENS1_30default_config_static_selectorELNS0_4arch9wavefront6targetE0EEEvT1_: ; @_ZN7rocprim17ROCPRIM_400000_NS6detail17trampoline_kernelINS0_14default_configENS1_27scan_by_key_config_selectorIiiEEZZNS1_16scan_by_key_implILNS1_25lookback_scan_determinismE0ELb0ES3_N6thrust23THRUST_200600_302600_NS6detail15normal_iteratorINS9_10device_ptrIiEEEESE_SE_iNS9_4plusIiEE19head_flag_predicateiEE10hipError_tPvRmT2_T3_T4_T5_mT6_T7_P12ihipStream_tbENKUlT_T0_E_clISt17integral_constantIbLb0EESX_IbLb1EEEEDaST_SU_EUlST_E_NS1_11comp_targetILNS1_3genE0ELNS1_11target_archE4294967295ELNS1_3gpuE0ELNS1_3repE0EEENS1_30default_config_static_selectorELNS0_4arch9wavefront6targetE0EEEvT1_
; %bb.0:
	.section	.rodata,"a",@progbits
	.p2align	6, 0x0
	.amdhsa_kernel _ZN7rocprim17ROCPRIM_400000_NS6detail17trampoline_kernelINS0_14default_configENS1_27scan_by_key_config_selectorIiiEEZZNS1_16scan_by_key_implILNS1_25lookback_scan_determinismE0ELb0ES3_N6thrust23THRUST_200600_302600_NS6detail15normal_iteratorINS9_10device_ptrIiEEEESE_SE_iNS9_4plusIiEE19head_flag_predicateiEE10hipError_tPvRmT2_T3_T4_T5_mT6_T7_P12ihipStream_tbENKUlT_T0_E_clISt17integral_constantIbLb0EESX_IbLb1EEEEDaST_SU_EUlST_E_NS1_11comp_targetILNS1_3genE0ELNS1_11target_archE4294967295ELNS1_3gpuE0ELNS1_3repE0EEENS1_30default_config_static_selectorELNS0_4arch9wavefront6targetE0EEEvT1_
		.amdhsa_group_segment_fixed_size 0
		.amdhsa_private_segment_fixed_size 0
		.amdhsa_kernarg_size 112
		.amdhsa_user_sgpr_count 6
		.amdhsa_user_sgpr_private_segment_buffer 1
		.amdhsa_user_sgpr_dispatch_ptr 0
		.amdhsa_user_sgpr_queue_ptr 0
		.amdhsa_user_sgpr_kernarg_segment_ptr 1
		.amdhsa_user_sgpr_dispatch_id 0
		.amdhsa_user_sgpr_flat_scratch_init 0
		.amdhsa_user_sgpr_private_segment_size 0
		.amdhsa_wavefront_size32 1
		.amdhsa_uses_dynamic_stack 0
		.amdhsa_system_sgpr_private_segment_wavefront_offset 0
		.amdhsa_system_sgpr_workgroup_id_x 1
		.amdhsa_system_sgpr_workgroup_id_y 0
		.amdhsa_system_sgpr_workgroup_id_z 0
		.amdhsa_system_sgpr_workgroup_info 0
		.amdhsa_system_vgpr_workitem_id 0
		.amdhsa_next_free_vgpr 1
		.amdhsa_next_free_sgpr 1
		.amdhsa_reserve_vcc 0
		.amdhsa_reserve_flat_scratch 0
		.amdhsa_float_round_mode_32 0
		.amdhsa_float_round_mode_16_64 0
		.amdhsa_float_denorm_mode_32 3
		.amdhsa_float_denorm_mode_16_64 3
		.amdhsa_dx10_clamp 1
		.amdhsa_ieee_mode 1
		.amdhsa_fp16_overflow 0
		.amdhsa_workgroup_processor_mode 1
		.amdhsa_memory_ordered 1
		.amdhsa_forward_progress 1
		.amdhsa_shared_vgpr_count 0
		.amdhsa_exception_fp_ieee_invalid_op 0
		.amdhsa_exception_fp_denorm_src 0
		.amdhsa_exception_fp_ieee_div_zero 0
		.amdhsa_exception_fp_ieee_overflow 0
		.amdhsa_exception_fp_ieee_underflow 0
		.amdhsa_exception_fp_ieee_inexact 0
		.amdhsa_exception_int_div_zero 0
	.end_amdhsa_kernel
	.section	.text._ZN7rocprim17ROCPRIM_400000_NS6detail17trampoline_kernelINS0_14default_configENS1_27scan_by_key_config_selectorIiiEEZZNS1_16scan_by_key_implILNS1_25lookback_scan_determinismE0ELb0ES3_N6thrust23THRUST_200600_302600_NS6detail15normal_iteratorINS9_10device_ptrIiEEEESE_SE_iNS9_4plusIiEE19head_flag_predicateiEE10hipError_tPvRmT2_T3_T4_T5_mT6_T7_P12ihipStream_tbENKUlT_T0_E_clISt17integral_constantIbLb0EESX_IbLb1EEEEDaST_SU_EUlST_E_NS1_11comp_targetILNS1_3genE0ELNS1_11target_archE4294967295ELNS1_3gpuE0ELNS1_3repE0EEENS1_30default_config_static_selectorELNS0_4arch9wavefront6targetE0EEEvT1_,"axG",@progbits,_ZN7rocprim17ROCPRIM_400000_NS6detail17trampoline_kernelINS0_14default_configENS1_27scan_by_key_config_selectorIiiEEZZNS1_16scan_by_key_implILNS1_25lookback_scan_determinismE0ELb0ES3_N6thrust23THRUST_200600_302600_NS6detail15normal_iteratorINS9_10device_ptrIiEEEESE_SE_iNS9_4plusIiEE19head_flag_predicateiEE10hipError_tPvRmT2_T3_T4_T5_mT6_T7_P12ihipStream_tbENKUlT_T0_E_clISt17integral_constantIbLb0EESX_IbLb1EEEEDaST_SU_EUlST_E_NS1_11comp_targetILNS1_3genE0ELNS1_11target_archE4294967295ELNS1_3gpuE0ELNS1_3repE0EEENS1_30default_config_static_selectorELNS0_4arch9wavefront6targetE0EEEvT1_,comdat
.Lfunc_end776:
	.size	_ZN7rocprim17ROCPRIM_400000_NS6detail17trampoline_kernelINS0_14default_configENS1_27scan_by_key_config_selectorIiiEEZZNS1_16scan_by_key_implILNS1_25lookback_scan_determinismE0ELb0ES3_N6thrust23THRUST_200600_302600_NS6detail15normal_iteratorINS9_10device_ptrIiEEEESE_SE_iNS9_4plusIiEE19head_flag_predicateiEE10hipError_tPvRmT2_T3_T4_T5_mT6_T7_P12ihipStream_tbENKUlT_T0_E_clISt17integral_constantIbLb0EESX_IbLb1EEEEDaST_SU_EUlST_E_NS1_11comp_targetILNS1_3genE0ELNS1_11target_archE4294967295ELNS1_3gpuE0ELNS1_3repE0EEENS1_30default_config_static_selectorELNS0_4arch9wavefront6targetE0EEEvT1_, .Lfunc_end776-_ZN7rocprim17ROCPRIM_400000_NS6detail17trampoline_kernelINS0_14default_configENS1_27scan_by_key_config_selectorIiiEEZZNS1_16scan_by_key_implILNS1_25lookback_scan_determinismE0ELb0ES3_N6thrust23THRUST_200600_302600_NS6detail15normal_iteratorINS9_10device_ptrIiEEEESE_SE_iNS9_4plusIiEE19head_flag_predicateiEE10hipError_tPvRmT2_T3_T4_T5_mT6_T7_P12ihipStream_tbENKUlT_T0_E_clISt17integral_constantIbLb0EESX_IbLb1EEEEDaST_SU_EUlST_E_NS1_11comp_targetILNS1_3genE0ELNS1_11target_archE4294967295ELNS1_3gpuE0ELNS1_3repE0EEENS1_30default_config_static_selectorELNS0_4arch9wavefront6targetE0EEEvT1_
                                        ; -- End function
	.set _ZN7rocprim17ROCPRIM_400000_NS6detail17trampoline_kernelINS0_14default_configENS1_27scan_by_key_config_selectorIiiEEZZNS1_16scan_by_key_implILNS1_25lookback_scan_determinismE0ELb0ES3_N6thrust23THRUST_200600_302600_NS6detail15normal_iteratorINS9_10device_ptrIiEEEESE_SE_iNS9_4plusIiEE19head_flag_predicateiEE10hipError_tPvRmT2_T3_T4_T5_mT6_T7_P12ihipStream_tbENKUlT_T0_E_clISt17integral_constantIbLb0EESX_IbLb1EEEEDaST_SU_EUlST_E_NS1_11comp_targetILNS1_3genE0ELNS1_11target_archE4294967295ELNS1_3gpuE0ELNS1_3repE0EEENS1_30default_config_static_selectorELNS0_4arch9wavefront6targetE0EEEvT1_.num_vgpr, 0
	.set _ZN7rocprim17ROCPRIM_400000_NS6detail17trampoline_kernelINS0_14default_configENS1_27scan_by_key_config_selectorIiiEEZZNS1_16scan_by_key_implILNS1_25lookback_scan_determinismE0ELb0ES3_N6thrust23THRUST_200600_302600_NS6detail15normal_iteratorINS9_10device_ptrIiEEEESE_SE_iNS9_4plusIiEE19head_flag_predicateiEE10hipError_tPvRmT2_T3_T4_T5_mT6_T7_P12ihipStream_tbENKUlT_T0_E_clISt17integral_constantIbLb0EESX_IbLb1EEEEDaST_SU_EUlST_E_NS1_11comp_targetILNS1_3genE0ELNS1_11target_archE4294967295ELNS1_3gpuE0ELNS1_3repE0EEENS1_30default_config_static_selectorELNS0_4arch9wavefront6targetE0EEEvT1_.num_agpr, 0
	.set _ZN7rocprim17ROCPRIM_400000_NS6detail17trampoline_kernelINS0_14default_configENS1_27scan_by_key_config_selectorIiiEEZZNS1_16scan_by_key_implILNS1_25lookback_scan_determinismE0ELb0ES3_N6thrust23THRUST_200600_302600_NS6detail15normal_iteratorINS9_10device_ptrIiEEEESE_SE_iNS9_4plusIiEE19head_flag_predicateiEE10hipError_tPvRmT2_T3_T4_T5_mT6_T7_P12ihipStream_tbENKUlT_T0_E_clISt17integral_constantIbLb0EESX_IbLb1EEEEDaST_SU_EUlST_E_NS1_11comp_targetILNS1_3genE0ELNS1_11target_archE4294967295ELNS1_3gpuE0ELNS1_3repE0EEENS1_30default_config_static_selectorELNS0_4arch9wavefront6targetE0EEEvT1_.numbered_sgpr, 0
	.set _ZN7rocprim17ROCPRIM_400000_NS6detail17trampoline_kernelINS0_14default_configENS1_27scan_by_key_config_selectorIiiEEZZNS1_16scan_by_key_implILNS1_25lookback_scan_determinismE0ELb0ES3_N6thrust23THRUST_200600_302600_NS6detail15normal_iteratorINS9_10device_ptrIiEEEESE_SE_iNS9_4plusIiEE19head_flag_predicateiEE10hipError_tPvRmT2_T3_T4_T5_mT6_T7_P12ihipStream_tbENKUlT_T0_E_clISt17integral_constantIbLb0EESX_IbLb1EEEEDaST_SU_EUlST_E_NS1_11comp_targetILNS1_3genE0ELNS1_11target_archE4294967295ELNS1_3gpuE0ELNS1_3repE0EEENS1_30default_config_static_selectorELNS0_4arch9wavefront6targetE0EEEvT1_.num_named_barrier, 0
	.set _ZN7rocprim17ROCPRIM_400000_NS6detail17trampoline_kernelINS0_14default_configENS1_27scan_by_key_config_selectorIiiEEZZNS1_16scan_by_key_implILNS1_25lookback_scan_determinismE0ELb0ES3_N6thrust23THRUST_200600_302600_NS6detail15normal_iteratorINS9_10device_ptrIiEEEESE_SE_iNS9_4plusIiEE19head_flag_predicateiEE10hipError_tPvRmT2_T3_T4_T5_mT6_T7_P12ihipStream_tbENKUlT_T0_E_clISt17integral_constantIbLb0EESX_IbLb1EEEEDaST_SU_EUlST_E_NS1_11comp_targetILNS1_3genE0ELNS1_11target_archE4294967295ELNS1_3gpuE0ELNS1_3repE0EEENS1_30default_config_static_selectorELNS0_4arch9wavefront6targetE0EEEvT1_.private_seg_size, 0
	.set _ZN7rocprim17ROCPRIM_400000_NS6detail17trampoline_kernelINS0_14default_configENS1_27scan_by_key_config_selectorIiiEEZZNS1_16scan_by_key_implILNS1_25lookback_scan_determinismE0ELb0ES3_N6thrust23THRUST_200600_302600_NS6detail15normal_iteratorINS9_10device_ptrIiEEEESE_SE_iNS9_4plusIiEE19head_flag_predicateiEE10hipError_tPvRmT2_T3_T4_T5_mT6_T7_P12ihipStream_tbENKUlT_T0_E_clISt17integral_constantIbLb0EESX_IbLb1EEEEDaST_SU_EUlST_E_NS1_11comp_targetILNS1_3genE0ELNS1_11target_archE4294967295ELNS1_3gpuE0ELNS1_3repE0EEENS1_30default_config_static_selectorELNS0_4arch9wavefront6targetE0EEEvT1_.uses_vcc, 0
	.set _ZN7rocprim17ROCPRIM_400000_NS6detail17trampoline_kernelINS0_14default_configENS1_27scan_by_key_config_selectorIiiEEZZNS1_16scan_by_key_implILNS1_25lookback_scan_determinismE0ELb0ES3_N6thrust23THRUST_200600_302600_NS6detail15normal_iteratorINS9_10device_ptrIiEEEESE_SE_iNS9_4plusIiEE19head_flag_predicateiEE10hipError_tPvRmT2_T3_T4_T5_mT6_T7_P12ihipStream_tbENKUlT_T0_E_clISt17integral_constantIbLb0EESX_IbLb1EEEEDaST_SU_EUlST_E_NS1_11comp_targetILNS1_3genE0ELNS1_11target_archE4294967295ELNS1_3gpuE0ELNS1_3repE0EEENS1_30default_config_static_selectorELNS0_4arch9wavefront6targetE0EEEvT1_.uses_flat_scratch, 0
	.set _ZN7rocprim17ROCPRIM_400000_NS6detail17trampoline_kernelINS0_14default_configENS1_27scan_by_key_config_selectorIiiEEZZNS1_16scan_by_key_implILNS1_25lookback_scan_determinismE0ELb0ES3_N6thrust23THRUST_200600_302600_NS6detail15normal_iteratorINS9_10device_ptrIiEEEESE_SE_iNS9_4plusIiEE19head_flag_predicateiEE10hipError_tPvRmT2_T3_T4_T5_mT6_T7_P12ihipStream_tbENKUlT_T0_E_clISt17integral_constantIbLb0EESX_IbLb1EEEEDaST_SU_EUlST_E_NS1_11comp_targetILNS1_3genE0ELNS1_11target_archE4294967295ELNS1_3gpuE0ELNS1_3repE0EEENS1_30default_config_static_selectorELNS0_4arch9wavefront6targetE0EEEvT1_.has_dyn_sized_stack, 0
	.set _ZN7rocprim17ROCPRIM_400000_NS6detail17trampoline_kernelINS0_14default_configENS1_27scan_by_key_config_selectorIiiEEZZNS1_16scan_by_key_implILNS1_25lookback_scan_determinismE0ELb0ES3_N6thrust23THRUST_200600_302600_NS6detail15normal_iteratorINS9_10device_ptrIiEEEESE_SE_iNS9_4plusIiEE19head_flag_predicateiEE10hipError_tPvRmT2_T3_T4_T5_mT6_T7_P12ihipStream_tbENKUlT_T0_E_clISt17integral_constantIbLb0EESX_IbLb1EEEEDaST_SU_EUlST_E_NS1_11comp_targetILNS1_3genE0ELNS1_11target_archE4294967295ELNS1_3gpuE0ELNS1_3repE0EEENS1_30default_config_static_selectorELNS0_4arch9wavefront6targetE0EEEvT1_.has_recursion, 0
	.set _ZN7rocprim17ROCPRIM_400000_NS6detail17trampoline_kernelINS0_14default_configENS1_27scan_by_key_config_selectorIiiEEZZNS1_16scan_by_key_implILNS1_25lookback_scan_determinismE0ELb0ES3_N6thrust23THRUST_200600_302600_NS6detail15normal_iteratorINS9_10device_ptrIiEEEESE_SE_iNS9_4plusIiEE19head_flag_predicateiEE10hipError_tPvRmT2_T3_T4_T5_mT6_T7_P12ihipStream_tbENKUlT_T0_E_clISt17integral_constantIbLb0EESX_IbLb1EEEEDaST_SU_EUlST_E_NS1_11comp_targetILNS1_3genE0ELNS1_11target_archE4294967295ELNS1_3gpuE0ELNS1_3repE0EEENS1_30default_config_static_selectorELNS0_4arch9wavefront6targetE0EEEvT1_.has_indirect_call, 0
	.section	.AMDGPU.csdata,"",@progbits
; Kernel info:
; codeLenInByte = 0
; TotalNumSgprs: 0
; NumVgprs: 0
; ScratchSize: 0
; MemoryBound: 0
; FloatMode: 240
; IeeeMode: 1
; LDSByteSize: 0 bytes/workgroup (compile time only)
; SGPRBlocks: 0
; VGPRBlocks: 0
; NumSGPRsForWavesPerEU: 1
; NumVGPRsForWavesPerEU: 1
; Occupancy: 16
; WaveLimiterHint : 0
; COMPUTE_PGM_RSRC2:SCRATCH_EN: 0
; COMPUTE_PGM_RSRC2:USER_SGPR: 6
; COMPUTE_PGM_RSRC2:TRAP_HANDLER: 0
; COMPUTE_PGM_RSRC2:TGID_X_EN: 1
; COMPUTE_PGM_RSRC2:TGID_Y_EN: 0
; COMPUTE_PGM_RSRC2:TGID_Z_EN: 0
; COMPUTE_PGM_RSRC2:TIDIG_COMP_CNT: 0
	.section	.text._ZN7rocprim17ROCPRIM_400000_NS6detail17trampoline_kernelINS0_14default_configENS1_27scan_by_key_config_selectorIiiEEZZNS1_16scan_by_key_implILNS1_25lookback_scan_determinismE0ELb0ES3_N6thrust23THRUST_200600_302600_NS6detail15normal_iteratorINS9_10device_ptrIiEEEESE_SE_iNS9_4plusIiEE19head_flag_predicateiEE10hipError_tPvRmT2_T3_T4_T5_mT6_T7_P12ihipStream_tbENKUlT_T0_E_clISt17integral_constantIbLb0EESX_IbLb1EEEEDaST_SU_EUlST_E_NS1_11comp_targetILNS1_3genE10ELNS1_11target_archE1201ELNS1_3gpuE5ELNS1_3repE0EEENS1_30default_config_static_selectorELNS0_4arch9wavefront6targetE0EEEvT1_,"axG",@progbits,_ZN7rocprim17ROCPRIM_400000_NS6detail17trampoline_kernelINS0_14default_configENS1_27scan_by_key_config_selectorIiiEEZZNS1_16scan_by_key_implILNS1_25lookback_scan_determinismE0ELb0ES3_N6thrust23THRUST_200600_302600_NS6detail15normal_iteratorINS9_10device_ptrIiEEEESE_SE_iNS9_4plusIiEE19head_flag_predicateiEE10hipError_tPvRmT2_T3_T4_T5_mT6_T7_P12ihipStream_tbENKUlT_T0_E_clISt17integral_constantIbLb0EESX_IbLb1EEEEDaST_SU_EUlST_E_NS1_11comp_targetILNS1_3genE10ELNS1_11target_archE1201ELNS1_3gpuE5ELNS1_3repE0EEENS1_30default_config_static_selectorELNS0_4arch9wavefront6targetE0EEEvT1_,comdat
	.protected	_ZN7rocprim17ROCPRIM_400000_NS6detail17trampoline_kernelINS0_14default_configENS1_27scan_by_key_config_selectorIiiEEZZNS1_16scan_by_key_implILNS1_25lookback_scan_determinismE0ELb0ES3_N6thrust23THRUST_200600_302600_NS6detail15normal_iteratorINS9_10device_ptrIiEEEESE_SE_iNS9_4plusIiEE19head_flag_predicateiEE10hipError_tPvRmT2_T3_T4_T5_mT6_T7_P12ihipStream_tbENKUlT_T0_E_clISt17integral_constantIbLb0EESX_IbLb1EEEEDaST_SU_EUlST_E_NS1_11comp_targetILNS1_3genE10ELNS1_11target_archE1201ELNS1_3gpuE5ELNS1_3repE0EEENS1_30default_config_static_selectorELNS0_4arch9wavefront6targetE0EEEvT1_ ; -- Begin function _ZN7rocprim17ROCPRIM_400000_NS6detail17trampoline_kernelINS0_14default_configENS1_27scan_by_key_config_selectorIiiEEZZNS1_16scan_by_key_implILNS1_25lookback_scan_determinismE0ELb0ES3_N6thrust23THRUST_200600_302600_NS6detail15normal_iteratorINS9_10device_ptrIiEEEESE_SE_iNS9_4plusIiEE19head_flag_predicateiEE10hipError_tPvRmT2_T3_T4_T5_mT6_T7_P12ihipStream_tbENKUlT_T0_E_clISt17integral_constantIbLb0EESX_IbLb1EEEEDaST_SU_EUlST_E_NS1_11comp_targetILNS1_3genE10ELNS1_11target_archE1201ELNS1_3gpuE5ELNS1_3repE0EEENS1_30default_config_static_selectorELNS0_4arch9wavefront6targetE0EEEvT1_
	.globl	_ZN7rocprim17ROCPRIM_400000_NS6detail17trampoline_kernelINS0_14default_configENS1_27scan_by_key_config_selectorIiiEEZZNS1_16scan_by_key_implILNS1_25lookback_scan_determinismE0ELb0ES3_N6thrust23THRUST_200600_302600_NS6detail15normal_iteratorINS9_10device_ptrIiEEEESE_SE_iNS9_4plusIiEE19head_flag_predicateiEE10hipError_tPvRmT2_T3_T4_T5_mT6_T7_P12ihipStream_tbENKUlT_T0_E_clISt17integral_constantIbLb0EESX_IbLb1EEEEDaST_SU_EUlST_E_NS1_11comp_targetILNS1_3genE10ELNS1_11target_archE1201ELNS1_3gpuE5ELNS1_3repE0EEENS1_30default_config_static_selectorELNS0_4arch9wavefront6targetE0EEEvT1_
	.p2align	8
	.type	_ZN7rocprim17ROCPRIM_400000_NS6detail17trampoline_kernelINS0_14default_configENS1_27scan_by_key_config_selectorIiiEEZZNS1_16scan_by_key_implILNS1_25lookback_scan_determinismE0ELb0ES3_N6thrust23THRUST_200600_302600_NS6detail15normal_iteratorINS9_10device_ptrIiEEEESE_SE_iNS9_4plusIiEE19head_flag_predicateiEE10hipError_tPvRmT2_T3_T4_T5_mT6_T7_P12ihipStream_tbENKUlT_T0_E_clISt17integral_constantIbLb0EESX_IbLb1EEEEDaST_SU_EUlST_E_NS1_11comp_targetILNS1_3genE10ELNS1_11target_archE1201ELNS1_3gpuE5ELNS1_3repE0EEENS1_30default_config_static_selectorELNS0_4arch9wavefront6targetE0EEEvT1_,@function
_ZN7rocprim17ROCPRIM_400000_NS6detail17trampoline_kernelINS0_14default_configENS1_27scan_by_key_config_selectorIiiEEZZNS1_16scan_by_key_implILNS1_25lookback_scan_determinismE0ELb0ES3_N6thrust23THRUST_200600_302600_NS6detail15normal_iteratorINS9_10device_ptrIiEEEESE_SE_iNS9_4plusIiEE19head_flag_predicateiEE10hipError_tPvRmT2_T3_T4_T5_mT6_T7_P12ihipStream_tbENKUlT_T0_E_clISt17integral_constantIbLb0EESX_IbLb1EEEEDaST_SU_EUlST_E_NS1_11comp_targetILNS1_3genE10ELNS1_11target_archE1201ELNS1_3gpuE5ELNS1_3repE0EEENS1_30default_config_static_selectorELNS0_4arch9wavefront6targetE0EEEvT1_: ; @_ZN7rocprim17ROCPRIM_400000_NS6detail17trampoline_kernelINS0_14default_configENS1_27scan_by_key_config_selectorIiiEEZZNS1_16scan_by_key_implILNS1_25lookback_scan_determinismE0ELb0ES3_N6thrust23THRUST_200600_302600_NS6detail15normal_iteratorINS9_10device_ptrIiEEEESE_SE_iNS9_4plusIiEE19head_flag_predicateiEE10hipError_tPvRmT2_T3_T4_T5_mT6_T7_P12ihipStream_tbENKUlT_T0_E_clISt17integral_constantIbLb0EESX_IbLb1EEEEDaST_SU_EUlST_E_NS1_11comp_targetILNS1_3genE10ELNS1_11target_archE1201ELNS1_3gpuE5ELNS1_3repE0EEENS1_30default_config_static_selectorELNS0_4arch9wavefront6targetE0EEEvT1_
; %bb.0:
	.section	.rodata,"a",@progbits
	.p2align	6, 0x0
	.amdhsa_kernel _ZN7rocprim17ROCPRIM_400000_NS6detail17trampoline_kernelINS0_14default_configENS1_27scan_by_key_config_selectorIiiEEZZNS1_16scan_by_key_implILNS1_25lookback_scan_determinismE0ELb0ES3_N6thrust23THRUST_200600_302600_NS6detail15normal_iteratorINS9_10device_ptrIiEEEESE_SE_iNS9_4plusIiEE19head_flag_predicateiEE10hipError_tPvRmT2_T3_T4_T5_mT6_T7_P12ihipStream_tbENKUlT_T0_E_clISt17integral_constantIbLb0EESX_IbLb1EEEEDaST_SU_EUlST_E_NS1_11comp_targetILNS1_3genE10ELNS1_11target_archE1201ELNS1_3gpuE5ELNS1_3repE0EEENS1_30default_config_static_selectorELNS0_4arch9wavefront6targetE0EEEvT1_
		.amdhsa_group_segment_fixed_size 0
		.amdhsa_private_segment_fixed_size 0
		.amdhsa_kernarg_size 112
		.amdhsa_user_sgpr_count 6
		.amdhsa_user_sgpr_private_segment_buffer 1
		.amdhsa_user_sgpr_dispatch_ptr 0
		.amdhsa_user_sgpr_queue_ptr 0
		.amdhsa_user_sgpr_kernarg_segment_ptr 1
		.amdhsa_user_sgpr_dispatch_id 0
		.amdhsa_user_sgpr_flat_scratch_init 0
		.amdhsa_user_sgpr_private_segment_size 0
		.amdhsa_wavefront_size32 1
		.amdhsa_uses_dynamic_stack 0
		.amdhsa_system_sgpr_private_segment_wavefront_offset 0
		.amdhsa_system_sgpr_workgroup_id_x 1
		.amdhsa_system_sgpr_workgroup_id_y 0
		.amdhsa_system_sgpr_workgroup_id_z 0
		.amdhsa_system_sgpr_workgroup_info 0
		.amdhsa_system_vgpr_workitem_id 0
		.amdhsa_next_free_vgpr 1
		.amdhsa_next_free_sgpr 1
		.amdhsa_reserve_vcc 0
		.amdhsa_reserve_flat_scratch 0
		.amdhsa_float_round_mode_32 0
		.amdhsa_float_round_mode_16_64 0
		.amdhsa_float_denorm_mode_32 3
		.amdhsa_float_denorm_mode_16_64 3
		.amdhsa_dx10_clamp 1
		.amdhsa_ieee_mode 1
		.amdhsa_fp16_overflow 0
		.amdhsa_workgroup_processor_mode 1
		.amdhsa_memory_ordered 1
		.amdhsa_forward_progress 1
		.amdhsa_shared_vgpr_count 0
		.amdhsa_exception_fp_ieee_invalid_op 0
		.amdhsa_exception_fp_denorm_src 0
		.amdhsa_exception_fp_ieee_div_zero 0
		.amdhsa_exception_fp_ieee_overflow 0
		.amdhsa_exception_fp_ieee_underflow 0
		.amdhsa_exception_fp_ieee_inexact 0
		.amdhsa_exception_int_div_zero 0
	.end_amdhsa_kernel
	.section	.text._ZN7rocprim17ROCPRIM_400000_NS6detail17trampoline_kernelINS0_14default_configENS1_27scan_by_key_config_selectorIiiEEZZNS1_16scan_by_key_implILNS1_25lookback_scan_determinismE0ELb0ES3_N6thrust23THRUST_200600_302600_NS6detail15normal_iteratorINS9_10device_ptrIiEEEESE_SE_iNS9_4plusIiEE19head_flag_predicateiEE10hipError_tPvRmT2_T3_T4_T5_mT6_T7_P12ihipStream_tbENKUlT_T0_E_clISt17integral_constantIbLb0EESX_IbLb1EEEEDaST_SU_EUlST_E_NS1_11comp_targetILNS1_3genE10ELNS1_11target_archE1201ELNS1_3gpuE5ELNS1_3repE0EEENS1_30default_config_static_selectorELNS0_4arch9wavefront6targetE0EEEvT1_,"axG",@progbits,_ZN7rocprim17ROCPRIM_400000_NS6detail17trampoline_kernelINS0_14default_configENS1_27scan_by_key_config_selectorIiiEEZZNS1_16scan_by_key_implILNS1_25lookback_scan_determinismE0ELb0ES3_N6thrust23THRUST_200600_302600_NS6detail15normal_iteratorINS9_10device_ptrIiEEEESE_SE_iNS9_4plusIiEE19head_flag_predicateiEE10hipError_tPvRmT2_T3_T4_T5_mT6_T7_P12ihipStream_tbENKUlT_T0_E_clISt17integral_constantIbLb0EESX_IbLb1EEEEDaST_SU_EUlST_E_NS1_11comp_targetILNS1_3genE10ELNS1_11target_archE1201ELNS1_3gpuE5ELNS1_3repE0EEENS1_30default_config_static_selectorELNS0_4arch9wavefront6targetE0EEEvT1_,comdat
.Lfunc_end777:
	.size	_ZN7rocprim17ROCPRIM_400000_NS6detail17trampoline_kernelINS0_14default_configENS1_27scan_by_key_config_selectorIiiEEZZNS1_16scan_by_key_implILNS1_25lookback_scan_determinismE0ELb0ES3_N6thrust23THRUST_200600_302600_NS6detail15normal_iteratorINS9_10device_ptrIiEEEESE_SE_iNS9_4plusIiEE19head_flag_predicateiEE10hipError_tPvRmT2_T3_T4_T5_mT6_T7_P12ihipStream_tbENKUlT_T0_E_clISt17integral_constantIbLb0EESX_IbLb1EEEEDaST_SU_EUlST_E_NS1_11comp_targetILNS1_3genE10ELNS1_11target_archE1201ELNS1_3gpuE5ELNS1_3repE0EEENS1_30default_config_static_selectorELNS0_4arch9wavefront6targetE0EEEvT1_, .Lfunc_end777-_ZN7rocprim17ROCPRIM_400000_NS6detail17trampoline_kernelINS0_14default_configENS1_27scan_by_key_config_selectorIiiEEZZNS1_16scan_by_key_implILNS1_25lookback_scan_determinismE0ELb0ES3_N6thrust23THRUST_200600_302600_NS6detail15normal_iteratorINS9_10device_ptrIiEEEESE_SE_iNS9_4plusIiEE19head_flag_predicateiEE10hipError_tPvRmT2_T3_T4_T5_mT6_T7_P12ihipStream_tbENKUlT_T0_E_clISt17integral_constantIbLb0EESX_IbLb1EEEEDaST_SU_EUlST_E_NS1_11comp_targetILNS1_3genE10ELNS1_11target_archE1201ELNS1_3gpuE5ELNS1_3repE0EEENS1_30default_config_static_selectorELNS0_4arch9wavefront6targetE0EEEvT1_
                                        ; -- End function
	.set _ZN7rocprim17ROCPRIM_400000_NS6detail17trampoline_kernelINS0_14default_configENS1_27scan_by_key_config_selectorIiiEEZZNS1_16scan_by_key_implILNS1_25lookback_scan_determinismE0ELb0ES3_N6thrust23THRUST_200600_302600_NS6detail15normal_iteratorINS9_10device_ptrIiEEEESE_SE_iNS9_4plusIiEE19head_flag_predicateiEE10hipError_tPvRmT2_T3_T4_T5_mT6_T7_P12ihipStream_tbENKUlT_T0_E_clISt17integral_constantIbLb0EESX_IbLb1EEEEDaST_SU_EUlST_E_NS1_11comp_targetILNS1_3genE10ELNS1_11target_archE1201ELNS1_3gpuE5ELNS1_3repE0EEENS1_30default_config_static_selectorELNS0_4arch9wavefront6targetE0EEEvT1_.num_vgpr, 0
	.set _ZN7rocprim17ROCPRIM_400000_NS6detail17trampoline_kernelINS0_14default_configENS1_27scan_by_key_config_selectorIiiEEZZNS1_16scan_by_key_implILNS1_25lookback_scan_determinismE0ELb0ES3_N6thrust23THRUST_200600_302600_NS6detail15normal_iteratorINS9_10device_ptrIiEEEESE_SE_iNS9_4plusIiEE19head_flag_predicateiEE10hipError_tPvRmT2_T3_T4_T5_mT6_T7_P12ihipStream_tbENKUlT_T0_E_clISt17integral_constantIbLb0EESX_IbLb1EEEEDaST_SU_EUlST_E_NS1_11comp_targetILNS1_3genE10ELNS1_11target_archE1201ELNS1_3gpuE5ELNS1_3repE0EEENS1_30default_config_static_selectorELNS0_4arch9wavefront6targetE0EEEvT1_.num_agpr, 0
	.set _ZN7rocprim17ROCPRIM_400000_NS6detail17trampoline_kernelINS0_14default_configENS1_27scan_by_key_config_selectorIiiEEZZNS1_16scan_by_key_implILNS1_25lookback_scan_determinismE0ELb0ES3_N6thrust23THRUST_200600_302600_NS6detail15normal_iteratorINS9_10device_ptrIiEEEESE_SE_iNS9_4plusIiEE19head_flag_predicateiEE10hipError_tPvRmT2_T3_T4_T5_mT6_T7_P12ihipStream_tbENKUlT_T0_E_clISt17integral_constantIbLb0EESX_IbLb1EEEEDaST_SU_EUlST_E_NS1_11comp_targetILNS1_3genE10ELNS1_11target_archE1201ELNS1_3gpuE5ELNS1_3repE0EEENS1_30default_config_static_selectorELNS0_4arch9wavefront6targetE0EEEvT1_.numbered_sgpr, 0
	.set _ZN7rocprim17ROCPRIM_400000_NS6detail17trampoline_kernelINS0_14default_configENS1_27scan_by_key_config_selectorIiiEEZZNS1_16scan_by_key_implILNS1_25lookback_scan_determinismE0ELb0ES3_N6thrust23THRUST_200600_302600_NS6detail15normal_iteratorINS9_10device_ptrIiEEEESE_SE_iNS9_4plusIiEE19head_flag_predicateiEE10hipError_tPvRmT2_T3_T4_T5_mT6_T7_P12ihipStream_tbENKUlT_T0_E_clISt17integral_constantIbLb0EESX_IbLb1EEEEDaST_SU_EUlST_E_NS1_11comp_targetILNS1_3genE10ELNS1_11target_archE1201ELNS1_3gpuE5ELNS1_3repE0EEENS1_30default_config_static_selectorELNS0_4arch9wavefront6targetE0EEEvT1_.num_named_barrier, 0
	.set _ZN7rocprim17ROCPRIM_400000_NS6detail17trampoline_kernelINS0_14default_configENS1_27scan_by_key_config_selectorIiiEEZZNS1_16scan_by_key_implILNS1_25lookback_scan_determinismE0ELb0ES3_N6thrust23THRUST_200600_302600_NS6detail15normal_iteratorINS9_10device_ptrIiEEEESE_SE_iNS9_4plusIiEE19head_flag_predicateiEE10hipError_tPvRmT2_T3_T4_T5_mT6_T7_P12ihipStream_tbENKUlT_T0_E_clISt17integral_constantIbLb0EESX_IbLb1EEEEDaST_SU_EUlST_E_NS1_11comp_targetILNS1_3genE10ELNS1_11target_archE1201ELNS1_3gpuE5ELNS1_3repE0EEENS1_30default_config_static_selectorELNS0_4arch9wavefront6targetE0EEEvT1_.private_seg_size, 0
	.set _ZN7rocprim17ROCPRIM_400000_NS6detail17trampoline_kernelINS0_14default_configENS1_27scan_by_key_config_selectorIiiEEZZNS1_16scan_by_key_implILNS1_25lookback_scan_determinismE0ELb0ES3_N6thrust23THRUST_200600_302600_NS6detail15normal_iteratorINS9_10device_ptrIiEEEESE_SE_iNS9_4plusIiEE19head_flag_predicateiEE10hipError_tPvRmT2_T3_T4_T5_mT6_T7_P12ihipStream_tbENKUlT_T0_E_clISt17integral_constantIbLb0EESX_IbLb1EEEEDaST_SU_EUlST_E_NS1_11comp_targetILNS1_3genE10ELNS1_11target_archE1201ELNS1_3gpuE5ELNS1_3repE0EEENS1_30default_config_static_selectorELNS0_4arch9wavefront6targetE0EEEvT1_.uses_vcc, 0
	.set _ZN7rocprim17ROCPRIM_400000_NS6detail17trampoline_kernelINS0_14default_configENS1_27scan_by_key_config_selectorIiiEEZZNS1_16scan_by_key_implILNS1_25lookback_scan_determinismE0ELb0ES3_N6thrust23THRUST_200600_302600_NS6detail15normal_iteratorINS9_10device_ptrIiEEEESE_SE_iNS9_4plusIiEE19head_flag_predicateiEE10hipError_tPvRmT2_T3_T4_T5_mT6_T7_P12ihipStream_tbENKUlT_T0_E_clISt17integral_constantIbLb0EESX_IbLb1EEEEDaST_SU_EUlST_E_NS1_11comp_targetILNS1_3genE10ELNS1_11target_archE1201ELNS1_3gpuE5ELNS1_3repE0EEENS1_30default_config_static_selectorELNS0_4arch9wavefront6targetE0EEEvT1_.uses_flat_scratch, 0
	.set _ZN7rocprim17ROCPRIM_400000_NS6detail17trampoline_kernelINS0_14default_configENS1_27scan_by_key_config_selectorIiiEEZZNS1_16scan_by_key_implILNS1_25lookback_scan_determinismE0ELb0ES3_N6thrust23THRUST_200600_302600_NS6detail15normal_iteratorINS9_10device_ptrIiEEEESE_SE_iNS9_4plusIiEE19head_flag_predicateiEE10hipError_tPvRmT2_T3_T4_T5_mT6_T7_P12ihipStream_tbENKUlT_T0_E_clISt17integral_constantIbLb0EESX_IbLb1EEEEDaST_SU_EUlST_E_NS1_11comp_targetILNS1_3genE10ELNS1_11target_archE1201ELNS1_3gpuE5ELNS1_3repE0EEENS1_30default_config_static_selectorELNS0_4arch9wavefront6targetE0EEEvT1_.has_dyn_sized_stack, 0
	.set _ZN7rocprim17ROCPRIM_400000_NS6detail17trampoline_kernelINS0_14default_configENS1_27scan_by_key_config_selectorIiiEEZZNS1_16scan_by_key_implILNS1_25lookback_scan_determinismE0ELb0ES3_N6thrust23THRUST_200600_302600_NS6detail15normal_iteratorINS9_10device_ptrIiEEEESE_SE_iNS9_4plusIiEE19head_flag_predicateiEE10hipError_tPvRmT2_T3_T4_T5_mT6_T7_P12ihipStream_tbENKUlT_T0_E_clISt17integral_constantIbLb0EESX_IbLb1EEEEDaST_SU_EUlST_E_NS1_11comp_targetILNS1_3genE10ELNS1_11target_archE1201ELNS1_3gpuE5ELNS1_3repE0EEENS1_30default_config_static_selectorELNS0_4arch9wavefront6targetE0EEEvT1_.has_recursion, 0
	.set _ZN7rocprim17ROCPRIM_400000_NS6detail17trampoline_kernelINS0_14default_configENS1_27scan_by_key_config_selectorIiiEEZZNS1_16scan_by_key_implILNS1_25lookback_scan_determinismE0ELb0ES3_N6thrust23THRUST_200600_302600_NS6detail15normal_iteratorINS9_10device_ptrIiEEEESE_SE_iNS9_4plusIiEE19head_flag_predicateiEE10hipError_tPvRmT2_T3_T4_T5_mT6_T7_P12ihipStream_tbENKUlT_T0_E_clISt17integral_constantIbLb0EESX_IbLb1EEEEDaST_SU_EUlST_E_NS1_11comp_targetILNS1_3genE10ELNS1_11target_archE1201ELNS1_3gpuE5ELNS1_3repE0EEENS1_30default_config_static_selectorELNS0_4arch9wavefront6targetE0EEEvT1_.has_indirect_call, 0
	.section	.AMDGPU.csdata,"",@progbits
; Kernel info:
; codeLenInByte = 0
; TotalNumSgprs: 0
; NumVgprs: 0
; ScratchSize: 0
; MemoryBound: 0
; FloatMode: 240
; IeeeMode: 1
; LDSByteSize: 0 bytes/workgroup (compile time only)
; SGPRBlocks: 0
; VGPRBlocks: 0
; NumSGPRsForWavesPerEU: 1
; NumVGPRsForWavesPerEU: 1
; Occupancy: 16
; WaveLimiterHint : 0
; COMPUTE_PGM_RSRC2:SCRATCH_EN: 0
; COMPUTE_PGM_RSRC2:USER_SGPR: 6
; COMPUTE_PGM_RSRC2:TRAP_HANDLER: 0
; COMPUTE_PGM_RSRC2:TGID_X_EN: 1
; COMPUTE_PGM_RSRC2:TGID_Y_EN: 0
; COMPUTE_PGM_RSRC2:TGID_Z_EN: 0
; COMPUTE_PGM_RSRC2:TIDIG_COMP_CNT: 0
	.section	.text._ZN7rocprim17ROCPRIM_400000_NS6detail17trampoline_kernelINS0_14default_configENS1_27scan_by_key_config_selectorIiiEEZZNS1_16scan_by_key_implILNS1_25lookback_scan_determinismE0ELb0ES3_N6thrust23THRUST_200600_302600_NS6detail15normal_iteratorINS9_10device_ptrIiEEEESE_SE_iNS9_4plusIiEE19head_flag_predicateiEE10hipError_tPvRmT2_T3_T4_T5_mT6_T7_P12ihipStream_tbENKUlT_T0_E_clISt17integral_constantIbLb0EESX_IbLb1EEEEDaST_SU_EUlST_E_NS1_11comp_targetILNS1_3genE5ELNS1_11target_archE942ELNS1_3gpuE9ELNS1_3repE0EEENS1_30default_config_static_selectorELNS0_4arch9wavefront6targetE0EEEvT1_,"axG",@progbits,_ZN7rocprim17ROCPRIM_400000_NS6detail17trampoline_kernelINS0_14default_configENS1_27scan_by_key_config_selectorIiiEEZZNS1_16scan_by_key_implILNS1_25lookback_scan_determinismE0ELb0ES3_N6thrust23THRUST_200600_302600_NS6detail15normal_iteratorINS9_10device_ptrIiEEEESE_SE_iNS9_4plusIiEE19head_flag_predicateiEE10hipError_tPvRmT2_T3_T4_T5_mT6_T7_P12ihipStream_tbENKUlT_T0_E_clISt17integral_constantIbLb0EESX_IbLb1EEEEDaST_SU_EUlST_E_NS1_11comp_targetILNS1_3genE5ELNS1_11target_archE942ELNS1_3gpuE9ELNS1_3repE0EEENS1_30default_config_static_selectorELNS0_4arch9wavefront6targetE0EEEvT1_,comdat
	.protected	_ZN7rocprim17ROCPRIM_400000_NS6detail17trampoline_kernelINS0_14default_configENS1_27scan_by_key_config_selectorIiiEEZZNS1_16scan_by_key_implILNS1_25lookback_scan_determinismE0ELb0ES3_N6thrust23THRUST_200600_302600_NS6detail15normal_iteratorINS9_10device_ptrIiEEEESE_SE_iNS9_4plusIiEE19head_flag_predicateiEE10hipError_tPvRmT2_T3_T4_T5_mT6_T7_P12ihipStream_tbENKUlT_T0_E_clISt17integral_constantIbLb0EESX_IbLb1EEEEDaST_SU_EUlST_E_NS1_11comp_targetILNS1_3genE5ELNS1_11target_archE942ELNS1_3gpuE9ELNS1_3repE0EEENS1_30default_config_static_selectorELNS0_4arch9wavefront6targetE0EEEvT1_ ; -- Begin function _ZN7rocprim17ROCPRIM_400000_NS6detail17trampoline_kernelINS0_14default_configENS1_27scan_by_key_config_selectorIiiEEZZNS1_16scan_by_key_implILNS1_25lookback_scan_determinismE0ELb0ES3_N6thrust23THRUST_200600_302600_NS6detail15normal_iteratorINS9_10device_ptrIiEEEESE_SE_iNS9_4plusIiEE19head_flag_predicateiEE10hipError_tPvRmT2_T3_T4_T5_mT6_T7_P12ihipStream_tbENKUlT_T0_E_clISt17integral_constantIbLb0EESX_IbLb1EEEEDaST_SU_EUlST_E_NS1_11comp_targetILNS1_3genE5ELNS1_11target_archE942ELNS1_3gpuE9ELNS1_3repE0EEENS1_30default_config_static_selectorELNS0_4arch9wavefront6targetE0EEEvT1_
	.globl	_ZN7rocprim17ROCPRIM_400000_NS6detail17trampoline_kernelINS0_14default_configENS1_27scan_by_key_config_selectorIiiEEZZNS1_16scan_by_key_implILNS1_25lookback_scan_determinismE0ELb0ES3_N6thrust23THRUST_200600_302600_NS6detail15normal_iteratorINS9_10device_ptrIiEEEESE_SE_iNS9_4plusIiEE19head_flag_predicateiEE10hipError_tPvRmT2_T3_T4_T5_mT6_T7_P12ihipStream_tbENKUlT_T0_E_clISt17integral_constantIbLb0EESX_IbLb1EEEEDaST_SU_EUlST_E_NS1_11comp_targetILNS1_3genE5ELNS1_11target_archE942ELNS1_3gpuE9ELNS1_3repE0EEENS1_30default_config_static_selectorELNS0_4arch9wavefront6targetE0EEEvT1_
	.p2align	8
	.type	_ZN7rocprim17ROCPRIM_400000_NS6detail17trampoline_kernelINS0_14default_configENS1_27scan_by_key_config_selectorIiiEEZZNS1_16scan_by_key_implILNS1_25lookback_scan_determinismE0ELb0ES3_N6thrust23THRUST_200600_302600_NS6detail15normal_iteratorINS9_10device_ptrIiEEEESE_SE_iNS9_4plusIiEE19head_flag_predicateiEE10hipError_tPvRmT2_T3_T4_T5_mT6_T7_P12ihipStream_tbENKUlT_T0_E_clISt17integral_constantIbLb0EESX_IbLb1EEEEDaST_SU_EUlST_E_NS1_11comp_targetILNS1_3genE5ELNS1_11target_archE942ELNS1_3gpuE9ELNS1_3repE0EEENS1_30default_config_static_selectorELNS0_4arch9wavefront6targetE0EEEvT1_,@function
_ZN7rocprim17ROCPRIM_400000_NS6detail17trampoline_kernelINS0_14default_configENS1_27scan_by_key_config_selectorIiiEEZZNS1_16scan_by_key_implILNS1_25lookback_scan_determinismE0ELb0ES3_N6thrust23THRUST_200600_302600_NS6detail15normal_iteratorINS9_10device_ptrIiEEEESE_SE_iNS9_4plusIiEE19head_flag_predicateiEE10hipError_tPvRmT2_T3_T4_T5_mT6_T7_P12ihipStream_tbENKUlT_T0_E_clISt17integral_constantIbLb0EESX_IbLb1EEEEDaST_SU_EUlST_E_NS1_11comp_targetILNS1_3genE5ELNS1_11target_archE942ELNS1_3gpuE9ELNS1_3repE0EEENS1_30default_config_static_selectorELNS0_4arch9wavefront6targetE0EEEvT1_: ; @_ZN7rocprim17ROCPRIM_400000_NS6detail17trampoline_kernelINS0_14default_configENS1_27scan_by_key_config_selectorIiiEEZZNS1_16scan_by_key_implILNS1_25lookback_scan_determinismE0ELb0ES3_N6thrust23THRUST_200600_302600_NS6detail15normal_iteratorINS9_10device_ptrIiEEEESE_SE_iNS9_4plusIiEE19head_flag_predicateiEE10hipError_tPvRmT2_T3_T4_T5_mT6_T7_P12ihipStream_tbENKUlT_T0_E_clISt17integral_constantIbLb0EESX_IbLb1EEEEDaST_SU_EUlST_E_NS1_11comp_targetILNS1_3genE5ELNS1_11target_archE942ELNS1_3gpuE9ELNS1_3repE0EEENS1_30default_config_static_selectorELNS0_4arch9wavefront6targetE0EEEvT1_
; %bb.0:
	.section	.rodata,"a",@progbits
	.p2align	6, 0x0
	.amdhsa_kernel _ZN7rocprim17ROCPRIM_400000_NS6detail17trampoline_kernelINS0_14default_configENS1_27scan_by_key_config_selectorIiiEEZZNS1_16scan_by_key_implILNS1_25lookback_scan_determinismE0ELb0ES3_N6thrust23THRUST_200600_302600_NS6detail15normal_iteratorINS9_10device_ptrIiEEEESE_SE_iNS9_4plusIiEE19head_flag_predicateiEE10hipError_tPvRmT2_T3_T4_T5_mT6_T7_P12ihipStream_tbENKUlT_T0_E_clISt17integral_constantIbLb0EESX_IbLb1EEEEDaST_SU_EUlST_E_NS1_11comp_targetILNS1_3genE5ELNS1_11target_archE942ELNS1_3gpuE9ELNS1_3repE0EEENS1_30default_config_static_selectorELNS0_4arch9wavefront6targetE0EEEvT1_
		.amdhsa_group_segment_fixed_size 0
		.amdhsa_private_segment_fixed_size 0
		.amdhsa_kernarg_size 112
		.amdhsa_user_sgpr_count 6
		.amdhsa_user_sgpr_private_segment_buffer 1
		.amdhsa_user_sgpr_dispatch_ptr 0
		.amdhsa_user_sgpr_queue_ptr 0
		.amdhsa_user_sgpr_kernarg_segment_ptr 1
		.amdhsa_user_sgpr_dispatch_id 0
		.amdhsa_user_sgpr_flat_scratch_init 0
		.amdhsa_user_sgpr_private_segment_size 0
		.amdhsa_wavefront_size32 1
		.amdhsa_uses_dynamic_stack 0
		.amdhsa_system_sgpr_private_segment_wavefront_offset 0
		.amdhsa_system_sgpr_workgroup_id_x 1
		.amdhsa_system_sgpr_workgroup_id_y 0
		.amdhsa_system_sgpr_workgroup_id_z 0
		.amdhsa_system_sgpr_workgroup_info 0
		.amdhsa_system_vgpr_workitem_id 0
		.amdhsa_next_free_vgpr 1
		.amdhsa_next_free_sgpr 1
		.amdhsa_reserve_vcc 0
		.amdhsa_reserve_flat_scratch 0
		.amdhsa_float_round_mode_32 0
		.amdhsa_float_round_mode_16_64 0
		.amdhsa_float_denorm_mode_32 3
		.amdhsa_float_denorm_mode_16_64 3
		.amdhsa_dx10_clamp 1
		.amdhsa_ieee_mode 1
		.amdhsa_fp16_overflow 0
		.amdhsa_workgroup_processor_mode 1
		.amdhsa_memory_ordered 1
		.amdhsa_forward_progress 1
		.amdhsa_shared_vgpr_count 0
		.amdhsa_exception_fp_ieee_invalid_op 0
		.amdhsa_exception_fp_denorm_src 0
		.amdhsa_exception_fp_ieee_div_zero 0
		.amdhsa_exception_fp_ieee_overflow 0
		.amdhsa_exception_fp_ieee_underflow 0
		.amdhsa_exception_fp_ieee_inexact 0
		.amdhsa_exception_int_div_zero 0
	.end_amdhsa_kernel
	.section	.text._ZN7rocprim17ROCPRIM_400000_NS6detail17trampoline_kernelINS0_14default_configENS1_27scan_by_key_config_selectorIiiEEZZNS1_16scan_by_key_implILNS1_25lookback_scan_determinismE0ELb0ES3_N6thrust23THRUST_200600_302600_NS6detail15normal_iteratorINS9_10device_ptrIiEEEESE_SE_iNS9_4plusIiEE19head_flag_predicateiEE10hipError_tPvRmT2_T3_T4_T5_mT6_T7_P12ihipStream_tbENKUlT_T0_E_clISt17integral_constantIbLb0EESX_IbLb1EEEEDaST_SU_EUlST_E_NS1_11comp_targetILNS1_3genE5ELNS1_11target_archE942ELNS1_3gpuE9ELNS1_3repE0EEENS1_30default_config_static_selectorELNS0_4arch9wavefront6targetE0EEEvT1_,"axG",@progbits,_ZN7rocprim17ROCPRIM_400000_NS6detail17trampoline_kernelINS0_14default_configENS1_27scan_by_key_config_selectorIiiEEZZNS1_16scan_by_key_implILNS1_25lookback_scan_determinismE0ELb0ES3_N6thrust23THRUST_200600_302600_NS6detail15normal_iteratorINS9_10device_ptrIiEEEESE_SE_iNS9_4plusIiEE19head_flag_predicateiEE10hipError_tPvRmT2_T3_T4_T5_mT6_T7_P12ihipStream_tbENKUlT_T0_E_clISt17integral_constantIbLb0EESX_IbLb1EEEEDaST_SU_EUlST_E_NS1_11comp_targetILNS1_3genE5ELNS1_11target_archE942ELNS1_3gpuE9ELNS1_3repE0EEENS1_30default_config_static_selectorELNS0_4arch9wavefront6targetE0EEEvT1_,comdat
.Lfunc_end778:
	.size	_ZN7rocprim17ROCPRIM_400000_NS6detail17trampoline_kernelINS0_14default_configENS1_27scan_by_key_config_selectorIiiEEZZNS1_16scan_by_key_implILNS1_25lookback_scan_determinismE0ELb0ES3_N6thrust23THRUST_200600_302600_NS6detail15normal_iteratorINS9_10device_ptrIiEEEESE_SE_iNS9_4plusIiEE19head_flag_predicateiEE10hipError_tPvRmT2_T3_T4_T5_mT6_T7_P12ihipStream_tbENKUlT_T0_E_clISt17integral_constantIbLb0EESX_IbLb1EEEEDaST_SU_EUlST_E_NS1_11comp_targetILNS1_3genE5ELNS1_11target_archE942ELNS1_3gpuE9ELNS1_3repE0EEENS1_30default_config_static_selectorELNS0_4arch9wavefront6targetE0EEEvT1_, .Lfunc_end778-_ZN7rocprim17ROCPRIM_400000_NS6detail17trampoline_kernelINS0_14default_configENS1_27scan_by_key_config_selectorIiiEEZZNS1_16scan_by_key_implILNS1_25lookback_scan_determinismE0ELb0ES3_N6thrust23THRUST_200600_302600_NS6detail15normal_iteratorINS9_10device_ptrIiEEEESE_SE_iNS9_4plusIiEE19head_flag_predicateiEE10hipError_tPvRmT2_T3_T4_T5_mT6_T7_P12ihipStream_tbENKUlT_T0_E_clISt17integral_constantIbLb0EESX_IbLb1EEEEDaST_SU_EUlST_E_NS1_11comp_targetILNS1_3genE5ELNS1_11target_archE942ELNS1_3gpuE9ELNS1_3repE0EEENS1_30default_config_static_selectorELNS0_4arch9wavefront6targetE0EEEvT1_
                                        ; -- End function
	.set _ZN7rocprim17ROCPRIM_400000_NS6detail17trampoline_kernelINS0_14default_configENS1_27scan_by_key_config_selectorIiiEEZZNS1_16scan_by_key_implILNS1_25lookback_scan_determinismE0ELb0ES3_N6thrust23THRUST_200600_302600_NS6detail15normal_iteratorINS9_10device_ptrIiEEEESE_SE_iNS9_4plusIiEE19head_flag_predicateiEE10hipError_tPvRmT2_T3_T4_T5_mT6_T7_P12ihipStream_tbENKUlT_T0_E_clISt17integral_constantIbLb0EESX_IbLb1EEEEDaST_SU_EUlST_E_NS1_11comp_targetILNS1_3genE5ELNS1_11target_archE942ELNS1_3gpuE9ELNS1_3repE0EEENS1_30default_config_static_selectorELNS0_4arch9wavefront6targetE0EEEvT1_.num_vgpr, 0
	.set _ZN7rocprim17ROCPRIM_400000_NS6detail17trampoline_kernelINS0_14default_configENS1_27scan_by_key_config_selectorIiiEEZZNS1_16scan_by_key_implILNS1_25lookback_scan_determinismE0ELb0ES3_N6thrust23THRUST_200600_302600_NS6detail15normal_iteratorINS9_10device_ptrIiEEEESE_SE_iNS9_4plusIiEE19head_flag_predicateiEE10hipError_tPvRmT2_T3_T4_T5_mT6_T7_P12ihipStream_tbENKUlT_T0_E_clISt17integral_constantIbLb0EESX_IbLb1EEEEDaST_SU_EUlST_E_NS1_11comp_targetILNS1_3genE5ELNS1_11target_archE942ELNS1_3gpuE9ELNS1_3repE0EEENS1_30default_config_static_selectorELNS0_4arch9wavefront6targetE0EEEvT1_.num_agpr, 0
	.set _ZN7rocprim17ROCPRIM_400000_NS6detail17trampoline_kernelINS0_14default_configENS1_27scan_by_key_config_selectorIiiEEZZNS1_16scan_by_key_implILNS1_25lookback_scan_determinismE0ELb0ES3_N6thrust23THRUST_200600_302600_NS6detail15normal_iteratorINS9_10device_ptrIiEEEESE_SE_iNS9_4plusIiEE19head_flag_predicateiEE10hipError_tPvRmT2_T3_T4_T5_mT6_T7_P12ihipStream_tbENKUlT_T0_E_clISt17integral_constantIbLb0EESX_IbLb1EEEEDaST_SU_EUlST_E_NS1_11comp_targetILNS1_3genE5ELNS1_11target_archE942ELNS1_3gpuE9ELNS1_3repE0EEENS1_30default_config_static_selectorELNS0_4arch9wavefront6targetE0EEEvT1_.numbered_sgpr, 0
	.set _ZN7rocprim17ROCPRIM_400000_NS6detail17trampoline_kernelINS0_14default_configENS1_27scan_by_key_config_selectorIiiEEZZNS1_16scan_by_key_implILNS1_25lookback_scan_determinismE0ELb0ES3_N6thrust23THRUST_200600_302600_NS6detail15normal_iteratorINS9_10device_ptrIiEEEESE_SE_iNS9_4plusIiEE19head_flag_predicateiEE10hipError_tPvRmT2_T3_T4_T5_mT6_T7_P12ihipStream_tbENKUlT_T0_E_clISt17integral_constantIbLb0EESX_IbLb1EEEEDaST_SU_EUlST_E_NS1_11comp_targetILNS1_3genE5ELNS1_11target_archE942ELNS1_3gpuE9ELNS1_3repE0EEENS1_30default_config_static_selectorELNS0_4arch9wavefront6targetE0EEEvT1_.num_named_barrier, 0
	.set _ZN7rocprim17ROCPRIM_400000_NS6detail17trampoline_kernelINS0_14default_configENS1_27scan_by_key_config_selectorIiiEEZZNS1_16scan_by_key_implILNS1_25lookback_scan_determinismE0ELb0ES3_N6thrust23THRUST_200600_302600_NS6detail15normal_iteratorINS9_10device_ptrIiEEEESE_SE_iNS9_4plusIiEE19head_flag_predicateiEE10hipError_tPvRmT2_T3_T4_T5_mT6_T7_P12ihipStream_tbENKUlT_T0_E_clISt17integral_constantIbLb0EESX_IbLb1EEEEDaST_SU_EUlST_E_NS1_11comp_targetILNS1_3genE5ELNS1_11target_archE942ELNS1_3gpuE9ELNS1_3repE0EEENS1_30default_config_static_selectorELNS0_4arch9wavefront6targetE0EEEvT1_.private_seg_size, 0
	.set _ZN7rocprim17ROCPRIM_400000_NS6detail17trampoline_kernelINS0_14default_configENS1_27scan_by_key_config_selectorIiiEEZZNS1_16scan_by_key_implILNS1_25lookback_scan_determinismE0ELb0ES3_N6thrust23THRUST_200600_302600_NS6detail15normal_iteratorINS9_10device_ptrIiEEEESE_SE_iNS9_4plusIiEE19head_flag_predicateiEE10hipError_tPvRmT2_T3_T4_T5_mT6_T7_P12ihipStream_tbENKUlT_T0_E_clISt17integral_constantIbLb0EESX_IbLb1EEEEDaST_SU_EUlST_E_NS1_11comp_targetILNS1_3genE5ELNS1_11target_archE942ELNS1_3gpuE9ELNS1_3repE0EEENS1_30default_config_static_selectorELNS0_4arch9wavefront6targetE0EEEvT1_.uses_vcc, 0
	.set _ZN7rocprim17ROCPRIM_400000_NS6detail17trampoline_kernelINS0_14default_configENS1_27scan_by_key_config_selectorIiiEEZZNS1_16scan_by_key_implILNS1_25lookback_scan_determinismE0ELb0ES3_N6thrust23THRUST_200600_302600_NS6detail15normal_iteratorINS9_10device_ptrIiEEEESE_SE_iNS9_4plusIiEE19head_flag_predicateiEE10hipError_tPvRmT2_T3_T4_T5_mT6_T7_P12ihipStream_tbENKUlT_T0_E_clISt17integral_constantIbLb0EESX_IbLb1EEEEDaST_SU_EUlST_E_NS1_11comp_targetILNS1_3genE5ELNS1_11target_archE942ELNS1_3gpuE9ELNS1_3repE0EEENS1_30default_config_static_selectorELNS0_4arch9wavefront6targetE0EEEvT1_.uses_flat_scratch, 0
	.set _ZN7rocprim17ROCPRIM_400000_NS6detail17trampoline_kernelINS0_14default_configENS1_27scan_by_key_config_selectorIiiEEZZNS1_16scan_by_key_implILNS1_25lookback_scan_determinismE0ELb0ES3_N6thrust23THRUST_200600_302600_NS6detail15normal_iteratorINS9_10device_ptrIiEEEESE_SE_iNS9_4plusIiEE19head_flag_predicateiEE10hipError_tPvRmT2_T3_T4_T5_mT6_T7_P12ihipStream_tbENKUlT_T0_E_clISt17integral_constantIbLb0EESX_IbLb1EEEEDaST_SU_EUlST_E_NS1_11comp_targetILNS1_3genE5ELNS1_11target_archE942ELNS1_3gpuE9ELNS1_3repE0EEENS1_30default_config_static_selectorELNS0_4arch9wavefront6targetE0EEEvT1_.has_dyn_sized_stack, 0
	.set _ZN7rocprim17ROCPRIM_400000_NS6detail17trampoline_kernelINS0_14default_configENS1_27scan_by_key_config_selectorIiiEEZZNS1_16scan_by_key_implILNS1_25lookback_scan_determinismE0ELb0ES3_N6thrust23THRUST_200600_302600_NS6detail15normal_iteratorINS9_10device_ptrIiEEEESE_SE_iNS9_4plusIiEE19head_flag_predicateiEE10hipError_tPvRmT2_T3_T4_T5_mT6_T7_P12ihipStream_tbENKUlT_T0_E_clISt17integral_constantIbLb0EESX_IbLb1EEEEDaST_SU_EUlST_E_NS1_11comp_targetILNS1_3genE5ELNS1_11target_archE942ELNS1_3gpuE9ELNS1_3repE0EEENS1_30default_config_static_selectorELNS0_4arch9wavefront6targetE0EEEvT1_.has_recursion, 0
	.set _ZN7rocprim17ROCPRIM_400000_NS6detail17trampoline_kernelINS0_14default_configENS1_27scan_by_key_config_selectorIiiEEZZNS1_16scan_by_key_implILNS1_25lookback_scan_determinismE0ELb0ES3_N6thrust23THRUST_200600_302600_NS6detail15normal_iteratorINS9_10device_ptrIiEEEESE_SE_iNS9_4plusIiEE19head_flag_predicateiEE10hipError_tPvRmT2_T3_T4_T5_mT6_T7_P12ihipStream_tbENKUlT_T0_E_clISt17integral_constantIbLb0EESX_IbLb1EEEEDaST_SU_EUlST_E_NS1_11comp_targetILNS1_3genE5ELNS1_11target_archE942ELNS1_3gpuE9ELNS1_3repE0EEENS1_30default_config_static_selectorELNS0_4arch9wavefront6targetE0EEEvT1_.has_indirect_call, 0
	.section	.AMDGPU.csdata,"",@progbits
; Kernel info:
; codeLenInByte = 0
; TotalNumSgprs: 0
; NumVgprs: 0
; ScratchSize: 0
; MemoryBound: 0
; FloatMode: 240
; IeeeMode: 1
; LDSByteSize: 0 bytes/workgroup (compile time only)
; SGPRBlocks: 0
; VGPRBlocks: 0
; NumSGPRsForWavesPerEU: 1
; NumVGPRsForWavesPerEU: 1
; Occupancy: 16
; WaveLimiterHint : 0
; COMPUTE_PGM_RSRC2:SCRATCH_EN: 0
; COMPUTE_PGM_RSRC2:USER_SGPR: 6
; COMPUTE_PGM_RSRC2:TRAP_HANDLER: 0
; COMPUTE_PGM_RSRC2:TGID_X_EN: 1
; COMPUTE_PGM_RSRC2:TGID_Y_EN: 0
; COMPUTE_PGM_RSRC2:TGID_Z_EN: 0
; COMPUTE_PGM_RSRC2:TIDIG_COMP_CNT: 0
	.section	.text._ZN7rocprim17ROCPRIM_400000_NS6detail17trampoline_kernelINS0_14default_configENS1_27scan_by_key_config_selectorIiiEEZZNS1_16scan_by_key_implILNS1_25lookback_scan_determinismE0ELb0ES3_N6thrust23THRUST_200600_302600_NS6detail15normal_iteratorINS9_10device_ptrIiEEEESE_SE_iNS9_4plusIiEE19head_flag_predicateiEE10hipError_tPvRmT2_T3_T4_T5_mT6_T7_P12ihipStream_tbENKUlT_T0_E_clISt17integral_constantIbLb0EESX_IbLb1EEEEDaST_SU_EUlST_E_NS1_11comp_targetILNS1_3genE4ELNS1_11target_archE910ELNS1_3gpuE8ELNS1_3repE0EEENS1_30default_config_static_selectorELNS0_4arch9wavefront6targetE0EEEvT1_,"axG",@progbits,_ZN7rocprim17ROCPRIM_400000_NS6detail17trampoline_kernelINS0_14default_configENS1_27scan_by_key_config_selectorIiiEEZZNS1_16scan_by_key_implILNS1_25lookback_scan_determinismE0ELb0ES3_N6thrust23THRUST_200600_302600_NS6detail15normal_iteratorINS9_10device_ptrIiEEEESE_SE_iNS9_4plusIiEE19head_flag_predicateiEE10hipError_tPvRmT2_T3_T4_T5_mT6_T7_P12ihipStream_tbENKUlT_T0_E_clISt17integral_constantIbLb0EESX_IbLb1EEEEDaST_SU_EUlST_E_NS1_11comp_targetILNS1_3genE4ELNS1_11target_archE910ELNS1_3gpuE8ELNS1_3repE0EEENS1_30default_config_static_selectorELNS0_4arch9wavefront6targetE0EEEvT1_,comdat
	.protected	_ZN7rocprim17ROCPRIM_400000_NS6detail17trampoline_kernelINS0_14default_configENS1_27scan_by_key_config_selectorIiiEEZZNS1_16scan_by_key_implILNS1_25lookback_scan_determinismE0ELb0ES3_N6thrust23THRUST_200600_302600_NS6detail15normal_iteratorINS9_10device_ptrIiEEEESE_SE_iNS9_4plusIiEE19head_flag_predicateiEE10hipError_tPvRmT2_T3_T4_T5_mT6_T7_P12ihipStream_tbENKUlT_T0_E_clISt17integral_constantIbLb0EESX_IbLb1EEEEDaST_SU_EUlST_E_NS1_11comp_targetILNS1_3genE4ELNS1_11target_archE910ELNS1_3gpuE8ELNS1_3repE0EEENS1_30default_config_static_selectorELNS0_4arch9wavefront6targetE0EEEvT1_ ; -- Begin function _ZN7rocprim17ROCPRIM_400000_NS6detail17trampoline_kernelINS0_14default_configENS1_27scan_by_key_config_selectorIiiEEZZNS1_16scan_by_key_implILNS1_25lookback_scan_determinismE0ELb0ES3_N6thrust23THRUST_200600_302600_NS6detail15normal_iteratorINS9_10device_ptrIiEEEESE_SE_iNS9_4plusIiEE19head_flag_predicateiEE10hipError_tPvRmT2_T3_T4_T5_mT6_T7_P12ihipStream_tbENKUlT_T0_E_clISt17integral_constantIbLb0EESX_IbLb1EEEEDaST_SU_EUlST_E_NS1_11comp_targetILNS1_3genE4ELNS1_11target_archE910ELNS1_3gpuE8ELNS1_3repE0EEENS1_30default_config_static_selectorELNS0_4arch9wavefront6targetE0EEEvT1_
	.globl	_ZN7rocprim17ROCPRIM_400000_NS6detail17trampoline_kernelINS0_14default_configENS1_27scan_by_key_config_selectorIiiEEZZNS1_16scan_by_key_implILNS1_25lookback_scan_determinismE0ELb0ES3_N6thrust23THRUST_200600_302600_NS6detail15normal_iteratorINS9_10device_ptrIiEEEESE_SE_iNS9_4plusIiEE19head_flag_predicateiEE10hipError_tPvRmT2_T3_T4_T5_mT6_T7_P12ihipStream_tbENKUlT_T0_E_clISt17integral_constantIbLb0EESX_IbLb1EEEEDaST_SU_EUlST_E_NS1_11comp_targetILNS1_3genE4ELNS1_11target_archE910ELNS1_3gpuE8ELNS1_3repE0EEENS1_30default_config_static_selectorELNS0_4arch9wavefront6targetE0EEEvT1_
	.p2align	8
	.type	_ZN7rocprim17ROCPRIM_400000_NS6detail17trampoline_kernelINS0_14default_configENS1_27scan_by_key_config_selectorIiiEEZZNS1_16scan_by_key_implILNS1_25lookback_scan_determinismE0ELb0ES3_N6thrust23THRUST_200600_302600_NS6detail15normal_iteratorINS9_10device_ptrIiEEEESE_SE_iNS9_4plusIiEE19head_flag_predicateiEE10hipError_tPvRmT2_T3_T4_T5_mT6_T7_P12ihipStream_tbENKUlT_T0_E_clISt17integral_constantIbLb0EESX_IbLb1EEEEDaST_SU_EUlST_E_NS1_11comp_targetILNS1_3genE4ELNS1_11target_archE910ELNS1_3gpuE8ELNS1_3repE0EEENS1_30default_config_static_selectorELNS0_4arch9wavefront6targetE0EEEvT1_,@function
_ZN7rocprim17ROCPRIM_400000_NS6detail17trampoline_kernelINS0_14default_configENS1_27scan_by_key_config_selectorIiiEEZZNS1_16scan_by_key_implILNS1_25lookback_scan_determinismE0ELb0ES3_N6thrust23THRUST_200600_302600_NS6detail15normal_iteratorINS9_10device_ptrIiEEEESE_SE_iNS9_4plusIiEE19head_flag_predicateiEE10hipError_tPvRmT2_T3_T4_T5_mT6_T7_P12ihipStream_tbENKUlT_T0_E_clISt17integral_constantIbLb0EESX_IbLb1EEEEDaST_SU_EUlST_E_NS1_11comp_targetILNS1_3genE4ELNS1_11target_archE910ELNS1_3gpuE8ELNS1_3repE0EEENS1_30default_config_static_selectorELNS0_4arch9wavefront6targetE0EEEvT1_: ; @_ZN7rocprim17ROCPRIM_400000_NS6detail17trampoline_kernelINS0_14default_configENS1_27scan_by_key_config_selectorIiiEEZZNS1_16scan_by_key_implILNS1_25lookback_scan_determinismE0ELb0ES3_N6thrust23THRUST_200600_302600_NS6detail15normal_iteratorINS9_10device_ptrIiEEEESE_SE_iNS9_4plusIiEE19head_flag_predicateiEE10hipError_tPvRmT2_T3_T4_T5_mT6_T7_P12ihipStream_tbENKUlT_T0_E_clISt17integral_constantIbLb0EESX_IbLb1EEEEDaST_SU_EUlST_E_NS1_11comp_targetILNS1_3genE4ELNS1_11target_archE910ELNS1_3gpuE8ELNS1_3repE0EEENS1_30default_config_static_selectorELNS0_4arch9wavefront6targetE0EEEvT1_
; %bb.0:
	.section	.rodata,"a",@progbits
	.p2align	6, 0x0
	.amdhsa_kernel _ZN7rocprim17ROCPRIM_400000_NS6detail17trampoline_kernelINS0_14default_configENS1_27scan_by_key_config_selectorIiiEEZZNS1_16scan_by_key_implILNS1_25lookback_scan_determinismE0ELb0ES3_N6thrust23THRUST_200600_302600_NS6detail15normal_iteratorINS9_10device_ptrIiEEEESE_SE_iNS9_4plusIiEE19head_flag_predicateiEE10hipError_tPvRmT2_T3_T4_T5_mT6_T7_P12ihipStream_tbENKUlT_T0_E_clISt17integral_constantIbLb0EESX_IbLb1EEEEDaST_SU_EUlST_E_NS1_11comp_targetILNS1_3genE4ELNS1_11target_archE910ELNS1_3gpuE8ELNS1_3repE0EEENS1_30default_config_static_selectorELNS0_4arch9wavefront6targetE0EEEvT1_
		.amdhsa_group_segment_fixed_size 0
		.amdhsa_private_segment_fixed_size 0
		.amdhsa_kernarg_size 112
		.amdhsa_user_sgpr_count 6
		.amdhsa_user_sgpr_private_segment_buffer 1
		.amdhsa_user_sgpr_dispatch_ptr 0
		.amdhsa_user_sgpr_queue_ptr 0
		.amdhsa_user_sgpr_kernarg_segment_ptr 1
		.amdhsa_user_sgpr_dispatch_id 0
		.amdhsa_user_sgpr_flat_scratch_init 0
		.amdhsa_user_sgpr_private_segment_size 0
		.amdhsa_wavefront_size32 1
		.amdhsa_uses_dynamic_stack 0
		.amdhsa_system_sgpr_private_segment_wavefront_offset 0
		.amdhsa_system_sgpr_workgroup_id_x 1
		.amdhsa_system_sgpr_workgroup_id_y 0
		.amdhsa_system_sgpr_workgroup_id_z 0
		.amdhsa_system_sgpr_workgroup_info 0
		.amdhsa_system_vgpr_workitem_id 0
		.amdhsa_next_free_vgpr 1
		.amdhsa_next_free_sgpr 1
		.amdhsa_reserve_vcc 0
		.amdhsa_reserve_flat_scratch 0
		.amdhsa_float_round_mode_32 0
		.amdhsa_float_round_mode_16_64 0
		.amdhsa_float_denorm_mode_32 3
		.amdhsa_float_denorm_mode_16_64 3
		.amdhsa_dx10_clamp 1
		.amdhsa_ieee_mode 1
		.amdhsa_fp16_overflow 0
		.amdhsa_workgroup_processor_mode 1
		.amdhsa_memory_ordered 1
		.amdhsa_forward_progress 1
		.amdhsa_shared_vgpr_count 0
		.amdhsa_exception_fp_ieee_invalid_op 0
		.amdhsa_exception_fp_denorm_src 0
		.amdhsa_exception_fp_ieee_div_zero 0
		.amdhsa_exception_fp_ieee_overflow 0
		.amdhsa_exception_fp_ieee_underflow 0
		.amdhsa_exception_fp_ieee_inexact 0
		.amdhsa_exception_int_div_zero 0
	.end_amdhsa_kernel
	.section	.text._ZN7rocprim17ROCPRIM_400000_NS6detail17trampoline_kernelINS0_14default_configENS1_27scan_by_key_config_selectorIiiEEZZNS1_16scan_by_key_implILNS1_25lookback_scan_determinismE0ELb0ES3_N6thrust23THRUST_200600_302600_NS6detail15normal_iteratorINS9_10device_ptrIiEEEESE_SE_iNS9_4plusIiEE19head_flag_predicateiEE10hipError_tPvRmT2_T3_T4_T5_mT6_T7_P12ihipStream_tbENKUlT_T0_E_clISt17integral_constantIbLb0EESX_IbLb1EEEEDaST_SU_EUlST_E_NS1_11comp_targetILNS1_3genE4ELNS1_11target_archE910ELNS1_3gpuE8ELNS1_3repE0EEENS1_30default_config_static_selectorELNS0_4arch9wavefront6targetE0EEEvT1_,"axG",@progbits,_ZN7rocprim17ROCPRIM_400000_NS6detail17trampoline_kernelINS0_14default_configENS1_27scan_by_key_config_selectorIiiEEZZNS1_16scan_by_key_implILNS1_25lookback_scan_determinismE0ELb0ES3_N6thrust23THRUST_200600_302600_NS6detail15normal_iteratorINS9_10device_ptrIiEEEESE_SE_iNS9_4plusIiEE19head_flag_predicateiEE10hipError_tPvRmT2_T3_T4_T5_mT6_T7_P12ihipStream_tbENKUlT_T0_E_clISt17integral_constantIbLb0EESX_IbLb1EEEEDaST_SU_EUlST_E_NS1_11comp_targetILNS1_3genE4ELNS1_11target_archE910ELNS1_3gpuE8ELNS1_3repE0EEENS1_30default_config_static_selectorELNS0_4arch9wavefront6targetE0EEEvT1_,comdat
.Lfunc_end779:
	.size	_ZN7rocprim17ROCPRIM_400000_NS6detail17trampoline_kernelINS0_14default_configENS1_27scan_by_key_config_selectorIiiEEZZNS1_16scan_by_key_implILNS1_25lookback_scan_determinismE0ELb0ES3_N6thrust23THRUST_200600_302600_NS6detail15normal_iteratorINS9_10device_ptrIiEEEESE_SE_iNS9_4plusIiEE19head_flag_predicateiEE10hipError_tPvRmT2_T3_T4_T5_mT6_T7_P12ihipStream_tbENKUlT_T0_E_clISt17integral_constantIbLb0EESX_IbLb1EEEEDaST_SU_EUlST_E_NS1_11comp_targetILNS1_3genE4ELNS1_11target_archE910ELNS1_3gpuE8ELNS1_3repE0EEENS1_30default_config_static_selectorELNS0_4arch9wavefront6targetE0EEEvT1_, .Lfunc_end779-_ZN7rocprim17ROCPRIM_400000_NS6detail17trampoline_kernelINS0_14default_configENS1_27scan_by_key_config_selectorIiiEEZZNS1_16scan_by_key_implILNS1_25lookback_scan_determinismE0ELb0ES3_N6thrust23THRUST_200600_302600_NS6detail15normal_iteratorINS9_10device_ptrIiEEEESE_SE_iNS9_4plusIiEE19head_flag_predicateiEE10hipError_tPvRmT2_T3_T4_T5_mT6_T7_P12ihipStream_tbENKUlT_T0_E_clISt17integral_constantIbLb0EESX_IbLb1EEEEDaST_SU_EUlST_E_NS1_11comp_targetILNS1_3genE4ELNS1_11target_archE910ELNS1_3gpuE8ELNS1_3repE0EEENS1_30default_config_static_selectorELNS0_4arch9wavefront6targetE0EEEvT1_
                                        ; -- End function
	.set _ZN7rocprim17ROCPRIM_400000_NS6detail17trampoline_kernelINS0_14default_configENS1_27scan_by_key_config_selectorIiiEEZZNS1_16scan_by_key_implILNS1_25lookback_scan_determinismE0ELb0ES3_N6thrust23THRUST_200600_302600_NS6detail15normal_iteratorINS9_10device_ptrIiEEEESE_SE_iNS9_4plusIiEE19head_flag_predicateiEE10hipError_tPvRmT2_T3_T4_T5_mT6_T7_P12ihipStream_tbENKUlT_T0_E_clISt17integral_constantIbLb0EESX_IbLb1EEEEDaST_SU_EUlST_E_NS1_11comp_targetILNS1_3genE4ELNS1_11target_archE910ELNS1_3gpuE8ELNS1_3repE0EEENS1_30default_config_static_selectorELNS0_4arch9wavefront6targetE0EEEvT1_.num_vgpr, 0
	.set _ZN7rocprim17ROCPRIM_400000_NS6detail17trampoline_kernelINS0_14default_configENS1_27scan_by_key_config_selectorIiiEEZZNS1_16scan_by_key_implILNS1_25lookback_scan_determinismE0ELb0ES3_N6thrust23THRUST_200600_302600_NS6detail15normal_iteratorINS9_10device_ptrIiEEEESE_SE_iNS9_4plusIiEE19head_flag_predicateiEE10hipError_tPvRmT2_T3_T4_T5_mT6_T7_P12ihipStream_tbENKUlT_T0_E_clISt17integral_constantIbLb0EESX_IbLb1EEEEDaST_SU_EUlST_E_NS1_11comp_targetILNS1_3genE4ELNS1_11target_archE910ELNS1_3gpuE8ELNS1_3repE0EEENS1_30default_config_static_selectorELNS0_4arch9wavefront6targetE0EEEvT1_.num_agpr, 0
	.set _ZN7rocprim17ROCPRIM_400000_NS6detail17trampoline_kernelINS0_14default_configENS1_27scan_by_key_config_selectorIiiEEZZNS1_16scan_by_key_implILNS1_25lookback_scan_determinismE0ELb0ES3_N6thrust23THRUST_200600_302600_NS6detail15normal_iteratorINS9_10device_ptrIiEEEESE_SE_iNS9_4plusIiEE19head_flag_predicateiEE10hipError_tPvRmT2_T3_T4_T5_mT6_T7_P12ihipStream_tbENKUlT_T0_E_clISt17integral_constantIbLb0EESX_IbLb1EEEEDaST_SU_EUlST_E_NS1_11comp_targetILNS1_3genE4ELNS1_11target_archE910ELNS1_3gpuE8ELNS1_3repE0EEENS1_30default_config_static_selectorELNS0_4arch9wavefront6targetE0EEEvT1_.numbered_sgpr, 0
	.set _ZN7rocprim17ROCPRIM_400000_NS6detail17trampoline_kernelINS0_14default_configENS1_27scan_by_key_config_selectorIiiEEZZNS1_16scan_by_key_implILNS1_25lookback_scan_determinismE0ELb0ES3_N6thrust23THRUST_200600_302600_NS6detail15normal_iteratorINS9_10device_ptrIiEEEESE_SE_iNS9_4plusIiEE19head_flag_predicateiEE10hipError_tPvRmT2_T3_T4_T5_mT6_T7_P12ihipStream_tbENKUlT_T0_E_clISt17integral_constantIbLb0EESX_IbLb1EEEEDaST_SU_EUlST_E_NS1_11comp_targetILNS1_3genE4ELNS1_11target_archE910ELNS1_3gpuE8ELNS1_3repE0EEENS1_30default_config_static_selectorELNS0_4arch9wavefront6targetE0EEEvT1_.num_named_barrier, 0
	.set _ZN7rocprim17ROCPRIM_400000_NS6detail17trampoline_kernelINS0_14default_configENS1_27scan_by_key_config_selectorIiiEEZZNS1_16scan_by_key_implILNS1_25lookback_scan_determinismE0ELb0ES3_N6thrust23THRUST_200600_302600_NS6detail15normal_iteratorINS9_10device_ptrIiEEEESE_SE_iNS9_4plusIiEE19head_flag_predicateiEE10hipError_tPvRmT2_T3_T4_T5_mT6_T7_P12ihipStream_tbENKUlT_T0_E_clISt17integral_constantIbLb0EESX_IbLb1EEEEDaST_SU_EUlST_E_NS1_11comp_targetILNS1_3genE4ELNS1_11target_archE910ELNS1_3gpuE8ELNS1_3repE0EEENS1_30default_config_static_selectorELNS0_4arch9wavefront6targetE0EEEvT1_.private_seg_size, 0
	.set _ZN7rocprim17ROCPRIM_400000_NS6detail17trampoline_kernelINS0_14default_configENS1_27scan_by_key_config_selectorIiiEEZZNS1_16scan_by_key_implILNS1_25lookback_scan_determinismE0ELb0ES3_N6thrust23THRUST_200600_302600_NS6detail15normal_iteratorINS9_10device_ptrIiEEEESE_SE_iNS9_4plusIiEE19head_flag_predicateiEE10hipError_tPvRmT2_T3_T4_T5_mT6_T7_P12ihipStream_tbENKUlT_T0_E_clISt17integral_constantIbLb0EESX_IbLb1EEEEDaST_SU_EUlST_E_NS1_11comp_targetILNS1_3genE4ELNS1_11target_archE910ELNS1_3gpuE8ELNS1_3repE0EEENS1_30default_config_static_selectorELNS0_4arch9wavefront6targetE0EEEvT1_.uses_vcc, 0
	.set _ZN7rocprim17ROCPRIM_400000_NS6detail17trampoline_kernelINS0_14default_configENS1_27scan_by_key_config_selectorIiiEEZZNS1_16scan_by_key_implILNS1_25lookback_scan_determinismE0ELb0ES3_N6thrust23THRUST_200600_302600_NS6detail15normal_iteratorINS9_10device_ptrIiEEEESE_SE_iNS9_4plusIiEE19head_flag_predicateiEE10hipError_tPvRmT2_T3_T4_T5_mT6_T7_P12ihipStream_tbENKUlT_T0_E_clISt17integral_constantIbLb0EESX_IbLb1EEEEDaST_SU_EUlST_E_NS1_11comp_targetILNS1_3genE4ELNS1_11target_archE910ELNS1_3gpuE8ELNS1_3repE0EEENS1_30default_config_static_selectorELNS0_4arch9wavefront6targetE0EEEvT1_.uses_flat_scratch, 0
	.set _ZN7rocprim17ROCPRIM_400000_NS6detail17trampoline_kernelINS0_14default_configENS1_27scan_by_key_config_selectorIiiEEZZNS1_16scan_by_key_implILNS1_25lookback_scan_determinismE0ELb0ES3_N6thrust23THRUST_200600_302600_NS6detail15normal_iteratorINS9_10device_ptrIiEEEESE_SE_iNS9_4plusIiEE19head_flag_predicateiEE10hipError_tPvRmT2_T3_T4_T5_mT6_T7_P12ihipStream_tbENKUlT_T0_E_clISt17integral_constantIbLb0EESX_IbLb1EEEEDaST_SU_EUlST_E_NS1_11comp_targetILNS1_3genE4ELNS1_11target_archE910ELNS1_3gpuE8ELNS1_3repE0EEENS1_30default_config_static_selectorELNS0_4arch9wavefront6targetE0EEEvT1_.has_dyn_sized_stack, 0
	.set _ZN7rocprim17ROCPRIM_400000_NS6detail17trampoline_kernelINS0_14default_configENS1_27scan_by_key_config_selectorIiiEEZZNS1_16scan_by_key_implILNS1_25lookback_scan_determinismE0ELb0ES3_N6thrust23THRUST_200600_302600_NS6detail15normal_iteratorINS9_10device_ptrIiEEEESE_SE_iNS9_4plusIiEE19head_flag_predicateiEE10hipError_tPvRmT2_T3_T4_T5_mT6_T7_P12ihipStream_tbENKUlT_T0_E_clISt17integral_constantIbLb0EESX_IbLb1EEEEDaST_SU_EUlST_E_NS1_11comp_targetILNS1_3genE4ELNS1_11target_archE910ELNS1_3gpuE8ELNS1_3repE0EEENS1_30default_config_static_selectorELNS0_4arch9wavefront6targetE0EEEvT1_.has_recursion, 0
	.set _ZN7rocprim17ROCPRIM_400000_NS6detail17trampoline_kernelINS0_14default_configENS1_27scan_by_key_config_selectorIiiEEZZNS1_16scan_by_key_implILNS1_25lookback_scan_determinismE0ELb0ES3_N6thrust23THRUST_200600_302600_NS6detail15normal_iteratorINS9_10device_ptrIiEEEESE_SE_iNS9_4plusIiEE19head_flag_predicateiEE10hipError_tPvRmT2_T3_T4_T5_mT6_T7_P12ihipStream_tbENKUlT_T0_E_clISt17integral_constantIbLb0EESX_IbLb1EEEEDaST_SU_EUlST_E_NS1_11comp_targetILNS1_3genE4ELNS1_11target_archE910ELNS1_3gpuE8ELNS1_3repE0EEENS1_30default_config_static_selectorELNS0_4arch9wavefront6targetE0EEEvT1_.has_indirect_call, 0
	.section	.AMDGPU.csdata,"",@progbits
; Kernel info:
; codeLenInByte = 0
; TotalNumSgprs: 0
; NumVgprs: 0
; ScratchSize: 0
; MemoryBound: 0
; FloatMode: 240
; IeeeMode: 1
; LDSByteSize: 0 bytes/workgroup (compile time only)
; SGPRBlocks: 0
; VGPRBlocks: 0
; NumSGPRsForWavesPerEU: 1
; NumVGPRsForWavesPerEU: 1
; Occupancy: 16
; WaveLimiterHint : 0
; COMPUTE_PGM_RSRC2:SCRATCH_EN: 0
; COMPUTE_PGM_RSRC2:USER_SGPR: 6
; COMPUTE_PGM_RSRC2:TRAP_HANDLER: 0
; COMPUTE_PGM_RSRC2:TGID_X_EN: 1
; COMPUTE_PGM_RSRC2:TGID_Y_EN: 0
; COMPUTE_PGM_RSRC2:TGID_Z_EN: 0
; COMPUTE_PGM_RSRC2:TIDIG_COMP_CNT: 0
	.section	.text._ZN7rocprim17ROCPRIM_400000_NS6detail17trampoline_kernelINS0_14default_configENS1_27scan_by_key_config_selectorIiiEEZZNS1_16scan_by_key_implILNS1_25lookback_scan_determinismE0ELb0ES3_N6thrust23THRUST_200600_302600_NS6detail15normal_iteratorINS9_10device_ptrIiEEEESE_SE_iNS9_4plusIiEE19head_flag_predicateiEE10hipError_tPvRmT2_T3_T4_T5_mT6_T7_P12ihipStream_tbENKUlT_T0_E_clISt17integral_constantIbLb0EESX_IbLb1EEEEDaST_SU_EUlST_E_NS1_11comp_targetILNS1_3genE3ELNS1_11target_archE908ELNS1_3gpuE7ELNS1_3repE0EEENS1_30default_config_static_selectorELNS0_4arch9wavefront6targetE0EEEvT1_,"axG",@progbits,_ZN7rocprim17ROCPRIM_400000_NS6detail17trampoline_kernelINS0_14default_configENS1_27scan_by_key_config_selectorIiiEEZZNS1_16scan_by_key_implILNS1_25lookback_scan_determinismE0ELb0ES3_N6thrust23THRUST_200600_302600_NS6detail15normal_iteratorINS9_10device_ptrIiEEEESE_SE_iNS9_4plusIiEE19head_flag_predicateiEE10hipError_tPvRmT2_T3_T4_T5_mT6_T7_P12ihipStream_tbENKUlT_T0_E_clISt17integral_constantIbLb0EESX_IbLb1EEEEDaST_SU_EUlST_E_NS1_11comp_targetILNS1_3genE3ELNS1_11target_archE908ELNS1_3gpuE7ELNS1_3repE0EEENS1_30default_config_static_selectorELNS0_4arch9wavefront6targetE0EEEvT1_,comdat
	.protected	_ZN7rocprim17ROCPRIM_400000_NS6detail17trampoline_kernelINS0_14default_configENS1_27scan_by_key_config_selectorIiiEEZZNS1_16scan_by_key_implILNS1_25lookback_scan_determinismE0ELb0ES3_N6thrust23THRUST_200600_302600_NS6detail15normal_iteratorINS9_10device_ptrIiEEEESE_SE_iNS9_4plusIiEE19head_flag_predicateiEE10hipError_tPvRmT2_T3_T4_T5_mT6_T7_P12ihipStream_tbENKUlT_T0_E_clISt17integral_constantIbLb0EESX_IbLb1EEEEDaST_SU_EUlST_E_NS1_11comp_targetILNS1_3genE3ELNS1_11target_archE908ELNS1_3gpuE7ELNS1_3repE0EEENS1_30default_config_static_selectorELNS0_4arch9wavefront6targetE0EEEvT1_ ; -- Begin function _ZN7rocprim17ROCPRIM_400000_NS6detail17trampoline_kernelINS0_14default_configENS1_27scan_by_key_config_selectorIiiEEZZNS1_16scan_by_key_implILNS1_25lookback_scan_determinismE0ELb0ES3_N6thrust23THRUST_200600_302600_NS6detail15normal_iteratorINS9_10device_ptrIiEEEESE_SE_iNS9_4plusIiEE19head_flag_predicateiEE10hipError_tPvRmT2_T3_T4_T5_mT6_T7_P12ihipStream_tbENKUlT_T0_E_clISt17integral_constantIbLb0EESX_IbLb1EEEEDaST_SU_EUlST_E_NS1_11comp_targetILNS1_3genE3ELNS1_11target_archE908ELNS1_3gpuE7ELNS1_3repE0EEENS1_30default_config_static_selectorELNS0_4arch9wavefront6targetE0EEEvT1_
	.globl	_ZN7rocprim17ROCPRIM_400000_NS6detail17trampoline_kernelINS0_14default_configENS1_27scan_by_key_config_selectorIiiEEZZNS1_16scan_by_key_implILNS1_25lookback_scan_determinismE0ELb0ES3_N6thrust23THRUST_200600_302600_NS6detail15normal_iteratorINS9_10device_ptrIiEEEESE_SE_iNS9_4plusIiEE19head_flag_predicateiEE10hipError_tPvRmT2_T3_T4_T5_mT6_T7_P12ihipStream_tbENKUlT_T0_E_clISt17integral_constantIbLb0EESX_IbLb1EEEEDaST_SU_EUlST_E_NS1_11comp_targetILNS1_3genE3ELNS1_11target_archE908ELNS1_3gpuE7ELNS1_3repE0EEENS1_30default_config_static_selectorELNS0_4arch9wavefront6targetE0EEEvT1_
	.p2align	8
	.type	_ZN7rocprim17ROCPRIM_400000_NS6detail17trampoline_kernelINS0_14default_configENS1_27scan_by_key_config_selectorIiiEEZZNS1_16scan_by_key_implILNS1_25lookback_scan_determinismE0ELb0ES3_N6thrust23THRUST_200600_302600_NS6detail15normal_iteratorINS9_10device_ptrIiEEEESE_SE_iNS9_4plusIiEE19head_flag_predicateiEE10hipError_tPvRmT2_T3_T4_T5_mT6_T7_P12ihipStream_tbENKUlT_T0_E_clISt17integral_constantIbLb0EESX_IbLb1EEEEDaST_SU_EUlST_E_NS1_11comp_targetILNS1_3genE3ELNS1_11target_archE908ELNS1_3gpuE7ELNS1_3repE0EEENS1_30default_config_static_selectorELNS0_4arch9wavefront6targetE0EEEvT1_,@function
_ZN7rocprim17ROCPRIM_400000_NS6detail17trampoline_kernelINS0_14default_configENS1_27scan_by_key_config_selectorIiiEEZZNS1_16scan_by_key_implILNS1_25lookback_scan_determinismE0ELb0ES3_N6thrust23THRUST_200600_302600_NS6detail15normal_iteratorINS9_10device_ptrIiEEEESE_SE_iNS9_4plusIiEE19head_flag_predicateiEE10hipError_tPvRmT2_T3_T4_T5_mT6_T7_P12ihipStream_tbENKUlT_T0_E_clISt17integral_constantIbLb0EESX_IbLb1EEEEDaST_SU_EUlST_E_NS1_11comp_targetILNS1_3genE3ELNS1_11target_archE908ELNS1_3gpuE7ELNS1_3repE0EEENS1_30default_config_static_selectorELNS0_4arch9wavefront6targetE0EEEvT1_: ; @_ZN7rocprim17ROCPRIM_400000_NS6detail17trampoline_kernelINS0_14default_configENS1_27scan_by_key_config_selectorIiiEEZZNS1_16scan_by_key_implILNS1_25lookback_scan_determinismE0ELb0ES3_N6thrust23THRUST_200600_302600_NS6detail15normal_iteratorINS9_10device_ptrIiEEEESE_SE_iNS9_4plusIiEE19head_flag_predicateiEE10hipError_tPvRmT2_T3_T4_T5_mT6_T7_P12ihipStream_tbENKUlT_T0_E_clISt17integral_constantIbLb0EESX_IbLb1EEEEDaST_SU_EUlST_E_NS1_11comp_targetILNS1_3genE3ELNS1_11target_archE908ELNS1_3gpuE7ELNS1_3repE0EEENS1_30default_config_static_selectorELNS0_4arch9wavefront6targetE0EEEvT1_
; %bb.0:
	.section	.rodata,"a",@progbits
	.p2align	6, 0x0
	.amdhsa_kernel _ZN7rocprim17ROCPRIM_400000_NS6detail17trampoline_kernelINS0_14default_configENS1_27scan_by_key_config_selectorIiiEEZZNS1_16scan_by_key_implILNS1_25lookback_scan_determinismE0ELb0ES3_N6thrust23THRUST_200600_302600_NS6detail15normal_iteratorINS9_10device_ptrIiEEEESE_SE_iNS9_4plusIiEE19head_flag_predicateiEE10hipError_tPvRmT2_T3_T4_T5_mT6_T7_P12ihipStream_tbENKUlT_T0_E_clISt17integral_constantIbLb0EESX_IbLb1EEEEDaST_SU_EUlST_E_NS1_11comp_targetILNS1_3genE3ELNS1_11target_archE908ELNS1_3gpuE7ELNS1_3repE0EEENS1_30default_config_static_selectorELNS0_4arch9wavefront6targetE0EEEvT1_
		.amdhsa_group_segment_fixed_size 0
		.amdhsa_private_segment_fixed_size 0
		.amdhsa_kernarg_size 112
		.amdhsa_user_sgpr_count 6
		.amdhsa_user_sgpr_private_segment_buffer 1
		.amdhsa_user_sgpr_dispatch_ptr 0
		.amdhsa_user_sgpr_queue_ptr 0
		.amdhsa_user_sgpr_kernarg_segment_ptr 1
		.amdhsa_user_sgpr_dispatch_id 0
		.amdhsa_user_sgpr_flat_scratch_init 0
		.amdhsa_user_sgpr_private_segment_size 0
		.amdhsa_wavefront_size32 1
		.amdhsa_uses_dynamic_stack 0
		.amdhsa_system_sgpr_private_segment_wavefront_offset 0
		.amdhsa_system_sgpr_workgroup_id_x 1
		.amdhsa_system_sgpr_workgroup_id_y 0
		.amdhsa_system_sgpr_workgroup_id_z 0
		.amdhsa_system_sgpr_workgroup_info 0
		.amdhsa_system_vgpr_workitem_id 0
		.amdhsa_next_free_vgpr 1
		.amdhsa_next_free_sgpr 1
		.amdhsa_reserve_vcc 0
		.amdhsa_reserve_flat_scratch 0
		.amdhsa_float_round_mode_32 0
		.amdhsa_float_round_mode_16_64 0
		.amdhsa_float_denorm_mode_32 3
		.amdhsa_float_denorm_mode_16_64 3
		.amdhsa_dx10_clamp 1
		.amdhsa_ieee_mode 1
		.amdhsa_fp16_overflow 0
		.amdhsa_workgroup_processor_mode 1
		.amdhsa_memory_ordered 1
		.amdhsa_forward_progress 1
		.amdhsa_shared_vgpr_count 0
		.amdhsa_exception_fp_ieee_invalid_op 0
		.amdhsa_exception_fp_denorm_src 0
		.amdhsa_exception_fp_ieee_div_zero 0
		.amdhsa_exception_fp_ieee_overflow 0
		.amdhsa_exception_fp_ieee_underflow 0
		.amdhsa_exception_fp_ieee_inexact 0
		.amdhsa_exception_int_div_zero 0
	.end_amdhsa_kernel
	.section	.text._ZN7rocprim17ROCPRIM_400000_NS6detail17trampoline_kernelINS0_14default_configENS1_27scan_by_key_config_selectorIiiEEZZNS1_16scan_by_key_implILNS1_25lookback_scan_determinismE0ELb0ES3_N6thrust23THRUST_200600_302600_NS6detail15normal_iteratorINS9_10device_ptrIiEEEESE_SE_iNS9_4plusIiEE19head_flag_predicateiEE10hipError_tPvRmT2_T3_T4_T5_mT6_T7_P12ihipStream_tbENKUlT_T0_E_clISt17integral_constantIbLb0EESX_IbLb1EEEEDaST_SU_EUlST_E_NS1_11comp_targetILNS1_3genE3ELNS1_11target_archE908ELNS1_3gpuE7ELNS1_3repE0EEENS1_30default_config_static_selectorELNS0_4arch9wavefront6targetE0EEEvT1_,"axG",@progbits,_ZN7rocprim17ROCPRIM_400000_NS6detail17trampoline_kernelINS0_14default_configENS1_27scan_by_key_config_selectorIiiEEZZNS1_16scan_by_key_implILNS1_25lookback_scan_determinismE0ELb0ES3_N6thrust23THRUST_200600_302600_NS6detail15normal_iteratorINS9_10device_ptrIiEEEESE_SE_iNS9_4plusIiEE19head_flag_predicateiEE10hipError_tPvRmT2_T3_T4_T5_mT6_T7_P12ihipStream_tbENKUlT_T0_E_clISt17integral_constantIbLb0EESX_IbLb1EEEEDaST_SU_EUlST_E_NS1_11comp_targetILNS1_3genE3ELNS1_11target_archE908ELNS1_3gpuE7ELNS1_3repE0EEENS1_30default_config_static_selectorELNS0_4arch9wavefront6targetE0EEEvT1_,comdat
.Lfunc_end780:
	.size	_ZN7rocprim17ROCPRIM_400000_NS6detail17trampoline_kernelINS0_14default_configENS1_27scan_by_key_config_selectorIiiEEZZNS1_16scan_by_key_implILNS1_25lookback_scan_determinismE0ELb0ES3_N6thrust23THRUST_200600_302600_NS6detail15normal_iteratorINS9_10device_ptrIiEEEESE_SE_iNS9_4plusIiEE19head_flag_predicateiEE10hipError_tPvRmT2_T3_T4_T5_mT6_T7_P12ihipStream_tbENKUlT_T0_E_clISt17integral_constantIbLb0EESX_IbLb1EEEEDaST_SU_EUlST_E_NS1_11comp_targetILNS1_3genE3ELNS1_11target_archE908ELNS1_3gpuE7ELNS1_3repE0EEENS1_30default_config_static_selectorELNS0_4arch9wavefront6targetE0EEEvT1_, .Lfunc_end780-_ZN7rocprim17ROCPRIM_400000_NS6detail17trampoline_kernelINS0_14default_configENS1_27scan_by_key_config_selectorIiiEEZZNS1_16scan_by_key_implILNS1_25lookback_scan_determinismE0ELb0ES3_N6thrust23THRUST_200600_302600_NS6detail15normal_iteratorINS9_10device_ptrIiEEEESE_SE_iNS9_4plusIiEE19head_flag_predicateiEE10hipError_tPvRmT2_T3_T4_T5_mT6_T7_P12ihipStream_tbENKUlT_T0_E_clISt17integral_constantIbLb0EESX_IbLb1EEEEDaST_SU_EUlST_E_NS1_11comp_targetILNS1_3genE3ELNS1_11target_archE908ELNS1_3gpuE7ELNS1_3repE0EEENS1_30default_config_static_selectorELNS0_4arch9wavefront6targetE0EEEvT1_
                                        ; -- End function
	.set _ZN7rocprim17ROCPRIM_400000_NS6detail17trampoline_kernelINS0_14default_configENS1_27scan_by_key_config_selectorIiiEEZZNS1_16scan_by_key_implILNS1_25lookback_scan_determinismE0ELb0ES3_N6thrust23THRUST_200600_302600_NS6detail15normal_iteratorINS9_10device_ptrIiEEEESE_SE_iNS9_4plusIiEE19head_flag_predicateiEE10hipError_tPvRmT2_T3_T4_T5_mT6_T7_P12ihipStream_tbENKUlT_T0_E_clISt17integral_constantIbLb0EESX_IbLb1EEEEDaST_SU_EUlST_E_NS1_11comp_targetILNS1_3genE3ELNS1_11target_archE908ELNS1_3gpuE7ELNS1_3repE0EEENS1_30default_config_static_selectorELNS0_4arch9wavefront6targetE0EEEvT1_.num_vgpr, 0
	.set _ZN7rocprim17ROCPRIM_400000_NS6detail17trampoline_kernelINS0_14default_configENS1_27scan_by_key_config_selectorIiiEEZZNS1_16scan_by_key_implILNS1_25lookback_scan_determinismE0ELb0ES3_N6thrust23THRUST_200600_302600_NS6detail15normal_iteratorINS9_10device_ptrIiEEEESE_SE_iNS9_4plusIiEE19head_flag_predicateiEE10hipError_tPvRmT2_T3_T4_T5_mT6_T7_P12ihipStream_tbENKUlT_T0_E_clISt17integral_constantIbLb0EESX_IbLb1EEEEDaST_SU_EUlST_E_NS1_11comp_targetILNS1_3genE3ELNS1_11target_archE908ELNS1_3gpuE7ELNS1_3repE0EEENS1_30default_config_static_selectorELNS0_4arch9wavefront6targetE0EEEvT1_.num_agpr, 0
	.set _ZN7rocprim17ROCPRIM_400000_NS6detail17trampoline_kernelINS0_14default_configENS1_27scan_by_key_config_selectorIiiEEZZNS1_16scan_by_key_implILNS1_25lookback_scan_determinismE0ELb0ES3_N6thrust23THRUST_200600_302600_NS6detail15normal_iteratorINS9_10device_ptrIiEEEESE_SE_iNS9_4plusIiEE19head_flag_predicateiEE10hipError_tPvRmT2_T3_T4_T5_mT6_T7_P12ihipStream_tbENKUlT_T0_E_clISt17integral_constantIbLb0EESX_IbLb1EEEEDaST_SU_EUlST_E_NS1_11comp_targetILNS1_3genE3ELNS1_11target_archE908ELNS1_3gpuE7ELNS1_3repE0EEENS1_30default_config_static_selectorELNS0_4arch9wavefront6targetE0EEEvT1_.numbered_sgpr, 0
	.set _ZN7rocprim17ROCPRIM_400000_NS6detail17trampoline_kernelINS0_14default_configENS1_27scan_by_key_config_selectorIiiEEZZNS1_16scan_by_key_implILNS1_25lookback_scan_determinismE0ELb0ES3_N6thrust23THRUST_200600_302600_NS6detail15normal_iteratorINS9_10device_ptrIiEEEESE_SE_iNS9_4plusIiEE19head_flag_predicateiEE10hipError_tPvRmT2_T3_T4_T5_mT6_T7_P12ihipStream_tbENKUlT_T0_E_clISt17integral_constantIbLb0EESX_IbLb1EEEEDaST_SU_EUlST_E_NS1_11comp_targetILNS1_3genE3ELNS1_11target_archE908ELNS1_3gpuE7ELNS1_3repE0EEENS1_30default_config_static_selectorELNS0_4arch9wavefront6targetE0EEEvT1_.num_named_barrier, 0
	.set _ZN7rocprim17ROCPRIM_400000_NS6detail17trampoline_kernelINS0_14default_configENS1_27scan_by_key_config_selectorIiiEEZZNS1_16scan_by_key_implILNS1_25lookback_scan_determinismE0ELb0ES3_N6thrust23THRUST_200600_302600_NS6detail15normal_iteratorINS9_10device_ptrIiEEEESE_SE_iNS9_4plusIiEE19head_flag_predicateiEE10hipError_tPvRmT2_T3_T4_T5_mT6_T7_P12ihipStream_tbENKUlT_T0_E_clISt17integral_constantIbLb0EESX_IbLb1EEEEDaST_SU_EUlST_E_NS1_11comp_targetILNS1_3genE3ELNS1_11target_archE908ELNS1_3gpuE7ELNS1_3repE0EEENS1_30default_config_static_selectorELNS0_4arch9wavefront6targetE0EEEvT1_.private_seg_size, 0
	.set _ZN7rocprim17ROCPRIM_400000_NS6detail17trampoline_kernelINS0_14default_configENS1_27scan_by_key_config_selectorIiiEEZZNS1_16scan_by_key_implILNS1_25lookback_scan_determinismE0ELb0ES3_N6thrust23THRUST_200600_302600_NS6detail15normal_iteratorINS9_10device_ptrIiEEEESE_SE_iNS9_4plusIiEE19head_flag_predicateiEE10hipError_tPvRmT2_T3_T4_T5_mT6_T7_P12ihipStream_tbENKUlT_T0_E_clISt17integral_constantIbLb0EESX_IbLb1EEEEDaST_SU_EUlST_E_NS1_11comp_targetILNS1_3genE3ELNS1_11target_archE908ELNS1_3gpuE7ELNS1_3repE0EEENS1_30default_config_static_selectorELNS0_4arch9wavefront6targetE0EEEvT1_.uses_vcc, 0
	.set _ZN7rocprim17ROCPRIM_400000_NS6detail17trampoline_kernelINS0_14default_configENS1_27scan_by_key_config_selectorIiiEEZZNS1_16scan_by_key_implILNS1_25lookback_scan_determinismE0ELb0ES3_N6thrust23THRUST_200600_302600_NS6detail15normal_iteratorINS9_10device_ptrIiEEEESE_SE_iNS9_4plusIiEE19head_flag_predicateiEE10hipError_tPvRmT2_T3_T4_T5_mT6_T7_P12ihipStream_tbENKUlT_T0_E_clISt17integral_constantIbLb0EESX_IbLb1EEEEDaST_SU_EUlST_E_NS1_11comp_targetILNS1_3genE3ELNS1_11target_archE908ELNS1_3gpuE7ELNS1_3repE0EEENS1_30default_config_static_selectorELNS0_4arch9wavefront6targetE0EEEvT1_.uses_flat_scratch, 0
	.set _ZN7rocprim17ROCPRIM_400000_NS6detail17trampoline_kernelINS0_14default_configENS1_27scan_by_key_config_selectorIiiEEZZNS1_16scan_by_key_implILNS1_25lookback_scan_determinismE0ELb0ES3_N6thrust23THRUST_200600_302600_NS6detail15normal_iteratorINS9_10device_ptrIiEEEESE_SE_iNS9_4plusIiEE19head_flag_predicateiEE10hipError_tPvRmT2_T3_T4_T5_mT6_T7_P12ihipStream_tbENKUlT_T0_E_clISt17integral_constantIbLb0EESX_IbLb1EEEEDaST_SU_EUlST_E_NS1_11comp_targetILNS1_3genE3ELNS1_11target_archE908ELNS1_3gpuE7ELNS1_3repE0EEENS1_30default_config_static_selectorELNS0_4arch9wavefront6targetE0EEEvT1_.has_dyn_sized_stack, 0
	.set _ZN7rocprim17ROCPRIM_400000_NS6detail17trampoline_kernelINS0_14default_configENS1_27scan_by_key_config_selectorIiiEEZZNS1_16scan_by_key_implILNS1_25lookback_scan_determinismE0ELb0ES3_N6thrust23THRUST_200600_302600_NS6detail15normal_iteratorINS9_10device_ptrIiEEEESE_SE_iNS9_4plusIiEE19head_flag_predicateiEE10hipError_tPvRmT2_T3_T4_T5_mT6_T7_P12ihipStream_tbENKUlT_T0_E_clISt17integral_constantIbLb0EESX_IbLb1EEEEDaST_SU_EUlST_E_NS1_11comp_targetILNS1_3genE3ELNS1_11target_archE908ELNS1_3gpuE7ELNS1_3repE0EEENS1_30default_config_static_selectorELNS0_4arch9wavefront6targetE0EEEvT1_.has_recursion, 0
	.set _ZN7rocprim17ROCPRIM_400000_NS6detail17trampoline_kernelINS0_14default_configENS1_27scan_by_key_config_selectorIiiEEZZNS1_16scan_by_key_implILNS1_25lookback_scan_determinismE0ELb0ES3_N6thrust23THRUST_200600_302600_NS6detail15normal_iteratorINS9_10device_ptrIiEEEESE_SE_iNS9_4plusIiEE19head_flag_predicateiEE10hipError_tPvRmT2_T3_T4_T5_mT6_T7_P12ihipStream_tbENKUlT_T0_E_clISt17integral_constantIbLb0EESX_IbLb1EEEEDaST_SU_EUlST_E_NS1_11comp_targetILNS1_3genE3ELNS1_11target_archE908ELNS1_3gpuE7ELNS1_3repE0EEENS1_30default_config_static_selectorELNS0_4arch9wavefront6targetE0EEEvT1_.has_indirect_call, 0
	.section	.AMDGPU.csdata,"",@progbits
; Kernel info:
; codeLenInByte = 0
; TotalNumSgprs: 0
; NumVgprs: 0
; ScratchSize: 0
; MemoryBound: 0
; FloatMode: 240
; IeeeMode: 1
; LDSByteSize: 0 bytes/workgroup (compile time only)
; SGPRBlocks: 0
; VGPRBlocks: 0
; NumSGPRsForWavesPerEU: 1
; NumVGPRsForWavesPerEU: 1
; Occupancy: 16
; WaveLimiterHint : 0
; COMPUTE_PGM_RSRC2:SCRATCH_EN: 0
; COMPUTE_PGM_RSRC2:USER_SGPR: 6
; COMPUTE_PGM_RSRC2:TRAP_HANDLER: 0
; COMPUTE_PGM_RSRC2:TGID_X_EN: 1
; COMPUTE_PGM_RSRC2:TGID_Y_EN: 0
; COMPUTE_PGM_RSRC2:TGID_Z_EN: 0
; COMPUTE_PGM_RSRC2:TIDIG_COMP_CNT: 0
	.section	.text._ZN7rocprim17ROCPRIM_400000_NS6detail17trampoline_kernelINS0_14default_configENS1_27scan_by_key_config_selectorIiiEEZZNS1_16scan_by_key_implILNS1_25lookback_scan_determinismE0ELb0ES3_N6thrust23THRUST_200600_302600_NS6detail15normal_iteratorINS9_10device_ptrIiEEEESE_SE_iNS9_4plusIiEE19head_flag_predicateiEE10hipError_tPvRmT2_T3_T4_T5_mT6_T7_P12ihipStream_tbENKUlT_T0_E_clISt17integral_constantIbLb0EESX_IbLb1EEEEDaST_SU_EUlST_E_NS1_11comp_targetILNS1_3genE2ELNS1_11target_archE906ELNS1_3gpuE6ELNS1_3repE0EEENS1_30default_config_static_selectorELNS0_4arch9wavefront6targetE0EEEvT1_,"axG",@progbits,_ZN7rocprim17ROCPRIM_400000_NS6detail17trampoline_kernelINS0_14default_configENS1_27scan_by_key_config_selectorIiiEEZZNS1_16scan_by_key_implILNS1_25lookback_scan_determinismE0ELb0ES3_N6thrust23THRUST_200600_302600_NS6detail15normal_iteratorINS9_10device_ptrIiEEEESE_SE_iNS9_4plusIiEE19head_flag_predicateiEE10hipError_tPvRmT2_T3_T4_T5_mT6_T7_P12ihipStream_tbENKUlT_T0_E_clISt17integral_constantIbLb0EESX_IbLb1EEEEDaST_SU_EUlST_E_NS1_11comp_targetILNS1_3genE2ELNS1_11target_archE906ELNS1_3gpuE6ELNS1_3repE0EEENS1_30default_config_static_selectorELNS0_4arch9wavefront6targetE0EEEvT1_,comdat
	.protected	_ZN7rocprim17ROCPRIM_400000_NS6detail17trampoline_kernelINS0_14default_configENS1_27scan_by_key_config_selectorIiiEEZZNS1_16scan_by_key_implILNS1_25lookback_scan_determinismE0ELb0ES3_N6thrust23THRUST_200600_302600_NS6detail15normal_iteratorINS9_10device_ptrIiEEEESE_SE_iNS9_4plusIiEE19head_flag_predicateiEE10hipError_tPvRmT2_T3_T4_T5_mT6_T7_P12ihipStream_tbENKUlT_T0_E_clISt17integral_constantIbLb0EESX_IbLb1EEEEDaST_SU_EUlST_E_NS1_11comp_targetILNS1_3genE2ELNS1_11target_archE906ELNS1_3gpuE6ELNS1_3repE0EEENS1_30default_config_static_selectorELNS0_4arch9wavefront6targetE0EEEvT1_ ; -- Begin function _ZN7rocprim17ROCPRIM_400000_NS6detail17trampoline_kernelINS0_14default_configENS1_27scan_by_key_config_selectorIiiEEZZNS1_16scan_by_key_implILNS1_25lookback_scan_determinismE0ELb0ES3_N6thrust23THRUST_200600_302600_NS6detail15normal_iteratorINS9_10device_ptrIiEEEESE_SE_iNS9_4plusIiEE19head_flag_predicateiEE10hipError_tPvRmT2_T3_T4_T5_mT6_T7_P12ihipStream_tbENKUlT_T0_E_clISt17integral_constantIbLb0EESX_IbLb1EEEEDaST_SU_EUlST_E_NS1_11comp_targetILNS1_3genE2ELNS1_11target_archE906ELNS1_3gpuE6ELNS1_3repE0EEENS1_30default_config_static_selectorELNS0_4arch9wavefront6targetE0EEEvT1_
	.globl	_ZN7rocprim17ROCPRIM_400000_NS6detail17trampoline_kernelINS0_14default_configENS1_27scan_by_key_config_selectorIiiEEZZNS1_16scan_by_key_implILNS1_25lookback_scan_determinismE0ELb0ES3_N6thrust23THRUST_200600_302600_NS6detail15normal_iteratorINS9_10device_ptrIiEEEESE_SE_iNS9_4plusIiEE19head_flag_predicateiEE10hipError_tPvRmT2_T3_T4_T5_mT6_T7_P12ihipStream_tbENKUlT_T0_E_clISt17integral_constantIbLb0EESX_IbLb1EEEEDaST_SU_EUlST_E_NS1_11comp_targetILNS1_3genE2ELNS1_11target_archE906ELNS1_3gpuE6ELNS1_3repE0EEENS1_30default_config_static_selectorELNS0_4arch9wavefront6targetE0EEEvT1_
	.p2align	8
	.type	_ZN7rocprim17ROCPRIM_400000_NS6detail17trampoline_kernelINS0_14default_configENS1_27scan_by_key_config_selectorIiiEEZZNS1_16scan_by_key_implILNS1_25lookback_scan_determinismE0ELb0ES3_N6thrust23THRUST_200600_302600_NS6detail15normal_iteratorINS9_10device_ptrIiEEEESE_SE_iNS9_4plusIiEE19head_flag_predicateiEE10hipError_tPvRmT2_T3_T4_T5_mT6_T7_P12ihipStream_tbENKUlT_T0_E_clISt17integral_constantIbLb0EESX_IbLb1EEEEDaST_SU_EUlST_E_NS1_11comp_targetILNS1_3genE2ELNS1_11target_archE906ELNS1_3gpuE6ELNS1_3repE0EEENS1_30default_config_static_selectorELNS0_4arch9wavefront6targetE0EEEvT1_,@function
_ZN7rocprim17ROCPRIM_400000_NS6detail17trampoline_kernelINS0_14default_configENS1_27scan_by_key_config_selectorIiiEEZZNS1_16scan_by_key_implILNS1_25lookback_scan_determinismE0ELb0ES3_N6thrust23THRUST_200600_302600_NS6detail15normal_iteratorINS9_10device_ptrIiEEEESE_SE_iNS9_4plusIiEE19head_flag_predicateiEE10hipError_tPvRmT2_T3_T4_T5_mT6_T7_P12ihipStream_tbENKUlT_T0_E_clISt17integral_constantIbLb0EESX_IbLb1EEEEDaST_SU_EUlST_E_NS1_11comp_targetILNS1_3genE2ELNS1_11target_archE906ELNS1_3gpuE6ELNS1_3repE0EEENS1_30default_config_static_selectorELNS0_4arch9wavefront6targetE0EEEvT1_: ; @_ZN7rocprim17ROCPRIM_400000_NS6detail17trampoline_kernelINS0_14default_configENS1_27scan_by_key_config_selectorIiiEEZZNS1_16scan_by_key_implILNS1_25lookback_scan_determinismE0ELb0ES3_N6thrust23THRUST_200600_302600_NS6detail15normal_iteratorINS9_10device_ptrIiEEEESE_SE_iNS9_4plusIiEE19head_flag_predicateiEE10hipError_tPvRmT2_T3_T4_T5_mT6_T7_P12ihipStream_tbENKUlT_T0_E_clISt17integral_constantIbLb0EESX_IbLb1EEEEDaST_SU_EUlST_E_NS1_11comp_targetILNS1_3genE2ELNS1_11target_archE906ELNS1_3gpuE6ELNS1_3repE0EEENS1_30default_config_static_selectorELNS0_4arch9wavefront6targetE0EEEvT1_
; %bb.0:
	.section	.rodata,"a",@progbits
	.p2align	6, 0x0
	.amdhsa_kernel _ZN7rocprim17ROCPRIM_400000_NS6detail17trampoline_kernelINS0_14default_configENS1_27scan_by_key_config_selectorIiiEEZZNS1_16scan_by_key_implILNS1_25lookback_scan_determinismE0ELb0ES3_N6thrust23THRUST_200600_302600_NS6detail15normal_iteratorINS9_10device_ptrIiEEEESE_SE_iNS9_4plusIiEE19head_flag_predicateiEE10hipError_tPvRmT2_T3_T4_T5_mT6_T7_P12ihipStream_tbENKUlT_T0_E_clISt17integral_constantIbLb0EESX_IbLb1EEEEDaST_SU_EUlST_E_NS1_11comp_targetILNS1_3genE2ELNS1_11target_archE906ELNS1_3gpuE6ELNS1_3repE0EEENS1_30default_config_static_selectorELNS0_4arch9wavefront6targetE0EEEvT1_
		.amdhsa_group_segment_fixed_size 0
		.amdhsa_private_segment_fixed_size 0
		.amdhsa_kernarg_size 112
		.amdhsa_user_sgpr_count 6
		.amdhsa_user_sgpr_private_segment_buffer 1
		.amdhsa_user_sgpr_dispatch_ptr 0
		.amdhsa_user_sgpr_queue_ptr 0
		.amdhsa_user_sgpr_kernarg_segment_ptr 1
		.amdhsa_user_sgpr_dispatch_id 0
		.amdhsa_user_sgpr_flat_scratch_init 0
		.amdhsa_user_sgpr_private_segment_size 0
		.amdhsa_wavefront_size32 1
		.amdhsa_uses_dynamic_stack 0
		.amdhsa_system_sgpr_private_segment_wavefront_offset 0
		.amdhsa_system_sgpr_workgroup_id_x 1
		.amdhsa_system_sgpr_workgroup_id_y 0
		.amdhsa_system_sgpr_workgroup_id_z 0
		.amdhsa_system_sgpr_workgroup_info 0
		.amdhsa_system_vgpr_workitem_id 0
		.amdhsa_next_free_vgpr 1
		.amdhsa_next_free_sgpr 1
		.amdhsa_reserve_vcc 0
		.amdhsa_reserve_flat_scratch 0
		.amdhsa_float_round_mode_32 0
		.amdhsa_float_round_mode_16_64 0
		.amdhsa_float_denorm_mode_32 3
		.amdhsa_float_denorm_mode_16_64 3
		.amdhsa_dx10_clamp 1
		.amdhsa_ieee_mode 1
		.amdhsa_fp16_overflow 0
		.amdhsa_workgroup_processor_mode 1
		.amdhsa_memory_ordered 1
		.amdhsa_forward_progress 1
		.amdhsa_shared_vgpr_count 0
		.amdhsa_exception_fp_ieee_invalid_op 0
		.amdhsa_exception_fp_denorm_src 0
		.amdhsa_exception_fp_ieee_div_zero 0
		.amdhsa_exception_fp_ieee_overflow 0
		.amdhsa_exception_fp_ieee_underflow 0
		.amdhsa_exception_fp_ieee_inexact 0
		.amdhsa_exception_int_div_zero 0
	.end_amdhsa_kernel
	.section	.text._ZN7rocprim17ROCPRIM_400000_NS6detail17trampoline_kernelINS0_14default_configENS1_27scan_by_key_config_selectorIiiEEZZNS1_16scan_by_key_implILNS1_25lookback_scan_determinismE0ELb0ES3_N6thrust23THRUST_200600_302600_NS6detail15normal_iteratorINS9_10device_ptrIiEEEESE_SE_iNS9_4plusIiEE19head_flag_predicateiEE10hipError_tPvRmT2_T3_T4_T5_mT6_T7_P12ihipStream_tbENKUlT_T0_E_clISt17integral_constantIbLb0EESX_IbLb1EEEEDaST_SU_EUlST_E_NS1_11comp_targetILNS1_3genE2ELNS1_11target_archE906ELNS1_3gpuE6ELNS1_3repE0EEENS1_30default_config_static_selectorELNS0_4arch9wavefront6targetE0EEEvT1_,"axG",@progbits,_ZN7rocprim17ROCPRIM_400000_NS6detail17trampoline_kernelINS0_14default_configENS1_27scan_by_key_config_selectorIiiEEZZNS1_16scan_by_key_implILNS1_25lookback_scan_determinismE0ELb0ES3_N6thrust23THRUST_200600_302600_NS6detail15normal_iteratorINS9_10device_ptrIiEEEESE_SE_iNS9_4plusIiEE19head_flag_predicateiEE10hipError_tPvRmT2_T3_T4_T5_mT6_T7_P12ihipStream_tbENKUlT_T0_E_clISt17integral_constantIbLb0EESX_IbLb1EEEEDaST_SU_EUlST_E_NS1_11comp_targetILNS1_3genE2ELNS1_11target_archE906ELNS1_3gpuE6ELNS1_3repE0EEENS1_30default_config_static_selectorELNS0_4arch9wavefront6targetE0EEEvT1_,comdat
.Lfunc_end781:
	.size	_ZN7rocprim17ROCPRIM_400000_NS6detail17trampoline_kernelINS0_14default_configENS1_27scan_by_key_config_selectorIiiEEZZNS1_16scan_by_key_implILNS1_25lookback_scan_determinismE0ELb0ES3_N6thrust23THRUST_200600_302600_NS6detail15normal_iteratorINS9_10device_ptrIiEEEESE_SE_iNS9_4plusIiEE19head_flag_predicateiEE10hipError_tPvRmT2_T3_T4_T5_mT6_T7_P12ihipStream_tbENKUlT_T0_E_clISt17integral_constantIbLb0EESX_IbLb1EEEEDaST_SU_EUlST_E_NS1_11comp_targetILNS1_3genE2ELNS1_11target_archE906ELNS1_3gpuE6ELNS1_3repE0EEENS1_30default_config_static_selectorELNS0_4arch9wavefront6targetE0EEEvT1_, .Lfunc_end781-_ZN7rocprim17ROCPRIM_400000_NS6detail17trampoline_kernelINS0_14default_configENS1_27scan_by_key_config_selectorIiiEEZZNS1_16scan_by_key_implILNS1_25lookback_scan_determinismE0ELb0ES3_N6thrust23THRUST_200600_302600_NS6detail15normal_iteratorINS9_10device_ptrIiEEEESE_SE_iNS9_4plusIiEE19head_flag_predicateiEE10hipError_tPvRmT2_T3_T4_T5_mT6_T7_P12ihipStream_tbENKUlT_T0_E_clISt17integral_constantIbLb0EESX_IbLb1EEEEDaST_SU_EUlST_E_NS1_11comp_targetILNS1_3genE2ELNS1_11target_archE906ELNS1_3gpuE6ELNS1_3repE0EEENS1_30default_config_static_selectorELNS0_4arch9wavefront6targetE0EEEvT1_
                                        ; -- End function
	.set _ZN7rocprim17ROCPRIM_400000_NS6detail17trampoline_kernelINS0_14default_configENS1_27scan_by_key_config_selectorIiiEEZZNS1_16scan_by_key_implILNS1_25lookback_scan_determinismE0ELb0ES3_N6thrust23THRUST_200600_302600_NS6detail15normal_iteratorINS9_10device_ptrIiEEEESE_SE_iNS9_4plusIiEE19head_flag_predicateiEE10hipError_tPvRmT2_T3_T4_T5_mT6_T7_P12ihipStream_tbENKUlT_T0_E_clISt17integral_constantIbLb0EESX_IbLb1EEEEDaST_SU_EUlST_E_NS1_11comp_targetILNS1_3genE2ELNS1_11target_archE906ELNS1_3gpuE6ELNS1_3repE0EEENS1_30default_config_static_selectorELNS0_4arch9wavefront6targetE0EEEvT1_.num_vgpr, 0
	.set _ZN7rocprim17ROCPRIM_400000_NS6detail17trampoline_kernelINS0_14default_configENS1_27scan_by_key_config_selectorIiiEEZZNS1_16scan_by_key_implILNS1_25lookback_scan_determinismE0ELb0ES3_N6thrust23THRUST_200600_302600_NS6detail15normal_iteratorINS9_10device_ptrIiEEEESE_SE_iNS9_4plusIiEE19head_flag_predicateiEE10hipError_tPvRmT2_T3_T4_T5_mT6_T7_P12ihipStream_tbENKUlT_T0_E_clISt17integral_constantIbLb0EESX_IbLb1EEEEDaST_SU_EUlST_E_NS1_11comp_targetILNS1_3genE2ELNS1_11target_archE906ELNS1_3gpuE6ELNS1_3repE0EEENS1_30default_config_static_selectorELNS0_4arch9wavefront6targetE0EEEvT1_.num_agpr, 0
	.set _ZN7rocprim17ROCPRIM_400000_NS6detail17trampoline_kernelINS0_14default_configENS1_27scan_by_key_config_selectorIiiEEZZNS1_16scan_by_key_implILNS1_25lookback_scan_determinismE0ELb0ES3_N6thrust23THRUST_200600_302600_NS6detail15normal_iteratorINS9_10device_ptrIiEEEESE_SE_iNS9_4plusIiEE19head_flag_predicateiEE10hipError_tPvRmT2_T3_T4_T5_mT6_T7_P12ihipStream_tbENKUlT_T0_E_clISt17integral_constantIbLb0EESX_IbLb1EEEEDaST_SU_EUlST_E_NS1_11comp_targetILNS1_3genE2ELNS1_11target_archE906ELNS1_3gpuE6ELNS1_3repE0EEENS1_30default_config_static_selectorELNS0_4arch9wavefront6targetE0EEEvT1_.numbered_sgpr, 0
	.set _ZN7rocprim17ROCPRIM_400000_NS6detail17trampoline_kernelINS0_14default_configENS1_27scan_by_key_config_selectorIiiEEZZNS1_16scan_by_key_implILNS1_25lookback_scan_determinismE0ELb0ES3_N6thrust23THRUST_200600_302600_NS6detail15normal_iteratorINS9_10device_ptrIiEEEESE_SE_iNS9_4plusIiEE19head_flag_predicateiEE10hipError_tPvRmT2_T3_T4_T5_mT6_T7_P12ihipStream_tbENKUlT_T0_E_clISt17integral_constantIbLb0EESX_IbLb1EEEEDaST_SU_EUlST_E_NS1_11comp_targetILNS1_3genE2ELNS1_11target_archE906ELNS1_3gpuE6ELNS1_3repE0EEENS1_30default_config_static_selectorELNS0_4arch9wavefront6targetE0EEEvT1_.num_named_barrier, 0
	.set _ZN7rocprim17ROCPRIM_400000_NS6detail17trampoline_kernelINS0_14default_configENS1_27scan_by_key_config_selectorIiiEEZZNS1_16scan_by_key_implILNS1_25lookback_scan_determinismE0ELb0ES3_N6thrust23THRUST_200600_302600_NS6detail15normal_iteratorINS9_10device_ptrIiEEEESE_SE_iNS9_4plusIiEE19head_flag_predicateiEE10hipError_tPvRmT2_T3_T4_T5_mT6_T7_P12ihipStream_tbENKUlT_T0_E_clISt17integral_constantIbLb0EESX_IbLb1EEEEDaST_SU_EUlST_E_NS1_11comp_targetILNS1_3genE2ELNS1_11target_archE906ELNS1_3gpuE6ELNS1_3repE0EEENS1_30default_config_static_selectorELNS0_4arch9wavefront6targetE0EEEvT1_.private_seg_size, 0
	.set _ZN7rocprim17ROCPRIM_400000_NS6detail17trampoline_kernelINS0_14default_configENS1_27scan_by_key_config_selectorIiiEEZZNS1_16scan_by_key_implILNS1_25lookback_scan_determinismE0ELb0ES3_N6thrust23THRUST_200600_302600_NS6detail15normal_iteratorINS9_10device_ptrIiEEEESE_SE_iNS9_4plusIiEE19head_flag_predicateiEE10hipError_tPvRmT2_T3_T4_T5_mT6_T7_P12ihipStream_tbENKUlT_T0_E_clISt17integral_constantIbLb0EESX_IbLb1EEEEDaST_SU_EUlST_E_NS1_11comp_targetILNS1_3genE2ELNS1_11target_archE906ELNS1_3gpuE6ELNS1_3repE0EEENS1_30default_config_static_selectorELNS0_4arch9wavefront6targetE0EEEvT1_.uses_vcc, 0
	.set _ZN7rocprim17ROCPRIM_400000_NS6detail17trampoline_kernelINS0_14default_configENS1_27scan_by_key_config_selectorIiiEEZZNS1_16scan_by_key_implILNS1_25lookback_scan_determinismE0ELb0ES3_N6thrust23THRUST_200600_302600_NS6detail15normal_iteratorINS9_10device_ptrIiEEEESE_SE_iNS9_4plusIiEE19head_flag_predicateiEE10hipError_tPvRmT2_T3_T4_T5_mT6_T7_P12ihipStream_tbENKUlT_T0_E_clISt17integral_constantIbLb0EESX_IbLb1EEEEDaST_SU_EUlST_E_NS1_11comp_targetILNS1_3genE2ELNS1_11target_archE906ELNS1_3gpuE6ELNS1_3repE0EEENS1_30default_config_static_selectorELNS0_4arch9wavefront6targetE0EEEvT1_.uses_flat_scratch, 0
	.set _ZN7rocprim17ROCPRIM_400000_NS6detail17trampoline_kernelINS0_14default_configENS1_27scan_by_key_config_selectorIiiEEZZNS1_16scan_by_key_implILNS1_25lookback_scan_determinismE0ELb0ES3_N6thrust23THRUST_200600_302600_NS6detail15normal_iteratorINS9_10device_ptrIiEEEESE_SE_iNS9_4plusIiEE19head_flag_predicateiEE10hipError_tPvRmT2_T3_T4_T5_mT6_T7_P12ihipStream_tbENKUlT_T0_E_clISt17integral_constantIbLb0EESX_IbLb1EEEEDaST_SU_EUlST_E_NS1_11comp_targetILNS1_3genE2ELNS1_11target_archE906ELNS1_3gpuE6ELNS1_3repE0EEENS1_30default_config_static_selectorELNS0_4arch9wavefront6targetE0EEEvT1_.has_dyn_sized_stack, 0
	.set _ZN7rocprim17ROCPRIM_400000_NS6detail17trampoline_kernelINS0_14default_configENS1_27scan_by_key_config_selectorIiiEEZZNS1_16scan_by_key_implILNS1_25lookback_scan_determinismE0ELb0ES3_N6thrust23THRUST_200600_302600_NS6detail15normal_iteratorINS9_10device_ptrIiEEEESE_SE_iNS9_4plusIiEE19head_flag_predicateiEE10hipError_tPvRmT2_T3_T4_T5_mT6_T7_P12ihipStream_tbENKUlT_T0_E_clISt17integral_constantIbLb0EESX_IbLb1EEEEDaST_SU_EUlST_E_NS1_11comp_targetILNS1_3genE2ELNS1_11target_archE906ELNS1_3gpuE6ELNS1_3repE0EEENS1_30default_config_static_selectorELNS0_4arch9wavefront6targetE0EEEvT1_.has_recursion, 0
	.set _ZN7rocprim17ROCPRIM_400000_NS6detail17trampoline_kernelINS0_14default_configENS1_27scan_by_key_config_selectorIiiEEZZNS1_16scan_by_key_implILNS1_25lookback_scan_determinismE0ELb0ES3_N6thrust23THRUST_200600_302600_NS6detail15normal_iteratorINS9_10device_ptrIiEEEESE_SE_iNS9_4plusIiEE19head_flag_predicateiEE10hipError_tPvRmT2_T3_T4_T5_mT6_T7_P12ihipStream_tbENKUlT_T0_E_clISt17integral_constantIbLb0EESX_IbLb1EEEEDaST_SU_EUlST_E_NS1_11comp_targetILNS1_3genE2ELNS1_11target_archE906ELNS1_3gpuE6ELNS1_3repE0EEENS1_30default_config_static_selectorELNS0_4arch9wavefront6targetE0EEEvT1_.has_indirect_call, 0
	.section	.AMDGPU.csdata,"",@progbits
; Kernel info:
; codeLenInByte = 0
; TotalNumSgprs: 0
; NumVgprs: 0
; ScratchSize: 0
; MemoryBound: 0
; FloatMode: 240
; IeeeMode: 1
; LDSByteSize: 0 bytes/workgroup (compile time only)
; SGPRBlocks: 0
; VGPRBlocks: 0
; NumSGPRsForWavesPerEU: 1
; NumVGPRsForWavesPerEU: 1
; Occupancy: 16
; WaveLimiterHint : 0
; COMPUTE_PGM_RSRC2:SCRATCH_EN: 0
; COMPUTE_PGM_RSRC2:USER_SGPR: 6
; COMPUTE_PGM_RSRC2:TRAP_HANDLER: 0
; COMPUTE_PGM_RSRC2:TGID_X_EN: 1
; COMPUTE_PGM_RSRC2:TGID_Y_EN: 0
; COMPUTE_PGM_RSRC2:TGID_Z_EN: 0
; COMPUTE_PGM_RSRC2:TIDIG_COMP_CNT: 0
	.section	.text._ZN7rocprim17ROCPRIM_400000_NS6detail17trampoline_kernelINS0_14default_configENS1_27scan_by_key_config_selectorIiiEEZZNS1_16scan_by_key_implILNS1_25lookback_scan_determinismE0ELb0ES3_N6thrust23THRUST_200600_302600_NS6detail15normal_iteratorINS9_10device_ptrIiEEEESE_SE_iNS9_4plusIiEE19head_flag_predicateiEE10hipError_tPvRmT2_T3_T4_T5_mT6_T7_P12ihipStream_tbENKUlT_T0_E_clISt17integral_constantIbLb0EESX_IbLb1EEEEDaST_SU_EUlST_E_NS1_11comp_targetILNS1_3genE10ELNS1_11target_archE1200ELNS1_3gpuE4ELNS1_3repE0EEENS1_30default_config_static_selectorELNS0_4arch9wavefront6targetE0EEEvT1_,"axG",@progbits,_ZN7rocprim17ROCPRIM_400000_NS6detail17trampoline_kernelINS0_14default_configENS1_27scan_by_key_config_selectorIiiEEZZNS1_16scan_by_key_implILNS1_25lookback_scan_determinismE0ELb0ES3_N6thrust23THRUST_200600_302600_NS6detail15normal_iteratorINS9_10device_ptrIiEEEESE_SE_iNS9_4plusIiEE19head_flag_predicateiEE10hipError_tPvRmT2_T3_T4_T5_mT6_T7_P12ihipStream_tbENKUlT_T0_E_clISt17integral_constantIbLb0EESX_IbLb1EEEEDaST_SU_EUlST_E_NS1_11comp_targetILNS1_3genE10ELNS1_11target_archE1200ELNS1_3gpuE4ELNS1_3repE0EEENS1_30default_config_static_selectorELNS0_4arch9wavefront6targetE0EEEvT1_,comdat
	.protected	_ZN7rocprim17ROCPRIM_400000_NS6detail17trampoline_kernelINS0_14default_configENS1_27scan_by_key_config_selectorIiiEEZZNS1_16scan_by_key_implILNS1_25lookback_scan_determinismE0ELb0ES3_N6thrust23THRUST_200600_302600_NS6detail15normal_iteratorINS9_10device_ptrIiEEEESE_SE_iNS9_4plusIiEE19head_flag_predicateiEE10hipError_tPvRmT2_T3_T4_T5_mT6_T7_P12ihipStream_tbENKUlT_T0_E_clISt17integral_constantIbLb0EESX_IbLb1EEEEDaST_SU_EUlST_E_NS1_11comp_targetILNS1_3genE10ELNS1_11target_archE1200ELNS1_3gpuE4ELNS1_3repE0EEENS1_30default_config_static_selectorELNS0_4arch9wavefront6targetE0EEEvT1_ ; -- Begin function _ZN7rocprim17ROCPRIM_400000_NS6detail17trampoline_kernelINS0_14default_configENS1_27scan_by_key_config_selectorIiiEEZZNS1_16scan_by_key_implILNS1_25lookback_scan_determinismE0ELb0ES3_N6thrust23THRUST_200600_302600_NS6detail15normal_iteratorINS9_10device_ptrIiEEEESE_SE_iNS9_4plusIiEE19head_flag_predicateiEE10hipError_tPvRmT2_T3_T4_T5_mT6_T7_P12ihipStream_tbENKUlT_T0_E_clISt17integral_constantIbLb0EESX_IbLb1EEEEDaST_SU_EUlST_E_NS1_11comp_targetILNS1_3genE10ELNS1_11target_archE1200ELNS1_3gpuE4ELNS1_3repE0EEENS1_30default_config_static_selectorELNS0_4arch9wavefront6targetE0EEEvT1_
	.globl	_ZN7rocprim17ROCPRIM_400000_NS6detail17trampoline_kernelINS0_14default_configENS1_27scan_by_key_config_selectorIiiEEZZNS1_16scan_by_key_implILNS1_25lookback_scan_determinismE0ELb0ES3_N6thrust23THRUST_200600_302600_NS6detail15normal_iteratorINS9_10device_ptrIiEEEESE_SE_iNS9_4plusIiEE19head_flag_predicateiEE10hipError_tPvRmT2_T3_T4_T5_mT6_T7_P12ihipStream_tbENKUlT_T0_E_clISt17integral_constantIbLb0EESX_IbLb1EEEEDaST_SU_EUlST_E_NS1_11comp_targetILNS1_3genE10ELNS1_11target_archE1200ELNS1_3gpuE4ELNS1_3repE0EEENS1_30default_config_static_selectorELNS0_4arch9wavefront6targetE0EEEvT1_
	.p2align	8
	.type	_ZN7rocprim17ROCPRIM_400000_NS6detail17trampoline_kernelINS0_14default_configENS1_27scan_by_key_config_selectorIiiEEZZNS1_16scan_by_key_implILNS1_25lookback_scan_determinismE0ELb0ES3_N6thrust23THRUST_200600_302600_NS6detail15normal_iteratorINS9_10device_ptrIiEEEESE_SE_iNS9_4plusIiEE19head_flag_predicateiEE10hipError_tPvRmT2_T3_T4_T5_mT6_T7_P12ihipStream_tbENKUlT_T0_E_clISt17integral_constantIbLb0EESX_IbLb1EEEEDaST_SU_EUlST_E_NS1_11comp_targetILNS1_3genE10ELNS1_11target_archE1200ELNS1_3gpuE4ELNS1_3repE0EEENS1_30default_config_static_selectorELNS0_4arch9wavefront6targetE0EEEvT1_,@function
_ZN7rocprim17ROCPRIM_400000_NS6detail17trampoline_kernelINS0_14default_configENS1_27scan_by_key_config_selectorIiiEEZZNS1_16scan_by_key_implILNS1_25lookback_scan_determinismE0ELb0ES3_N6thrust23THRUST_200600_302600_NS6detail15normal_iteratorINS9_10device_ptrIiEEEESE_SE_iNS9_4plusIiEE19head_flag_predicateiEE10hipError_tPvRmT2_T3_T4_T5_mT6_T7_P12ihipStream_tbENKUlT_T0_E_clISt17integral_constantIbLb0EESX_IbLb1EEEEDaST_SU_EUlST_E_NS1_11comp_targetILNS1_3genE10ELNS1_11target_archE1200ELNS1_3gpuE4ELNS1_3repE0EEENS1_30default_config_static_selectorELNS0_4arch9wavefront6targetE0EEEvT1_: ; @_ZN7rocprim17ROCPRIM_400000_NS6detail17trampoline_kernelINS0_14default_configENS1_27scan_by_key_config_selectorIiiEEZZNS1_16scan_by_key_implILNS1_25lookback_scan_determinismE0ELb0ES3_N6thrust23THRUST_200600_302600_NS6detail15normal_iteratorINS9_10device_ptrIiEEEESE_SE_iNS9_4plusIiEE19head_flag_predicateiEE10hipError_tPvRmT2_T3_T4_T5_mT6_T7_P12ihipStream_tbENKUlT_T0_E_clISt17integral_constantIbLb0EESX_IbLb1EEEEDaST_SU_EUlST_E_NS1_11comp_targetILNS1_3genE10ELNS1_11target_archE1200ELNS1_3gpuE4ELNS1_3repE0EEENS1_30default_config_static_selectorELNS0_4arch9wavefront6targetE0EEEvT1_
; %bb.0:
	.section	.rodata,"a",@progbits
	.p2align	6, 0x0
	.amdhsa_kernel _ZN7rocprim17ROCPRIM_400000_NS6detail17trampoline_kernelINS0_14default_configENS1_27scan_by_key_config_selectorIiiEEZZNS1_16scan_by_key_implILNS1_25lookback_scan_determinismE0ELb0ES3_N6thrust23THRUST_200600_302600_NS6detail15normal_iteratorINS9_10device_ptrIiEEEESE_SE_iNS9_4plusIiEE19head_flag_predicateiEE10hipError_tPvRmT2_T3_T4_T5_mT6_T7_P12ihipStream_tbENKUlT_T0_E_clISt17integral_constantIbLb0EESX_IbLb1EEEEDaST_SU_EUlST_E_NS1_11comp_targetILNS1_3genE10ELNS1_11target_archE1200ELNS1_3gpuE4ELNS1_3repE0EEENS1_30default_config_static_selectorELNS0_4arch9wavefront6targetE0EEEvT1_
		.amdhsa_group_segment_fixed_size 0
		.amdhsa_private_segment_fixed_size 0
		.amdhsa_kernarg_size 112
		.amdhsa_user_sgpr_count 6
		.amdhsa_user_sgpr_private_segment_buffer 1
		.amdhsa_user_sgpr_dispatch_ptr 0
		.amdhsa_user_sgpr_queue_ptr 0
		.amdhsa_user_sgpr_kernarg_segment_ptr 1
		.amdhsa_user_sgpr_dispatch_id 0
		.amdhsa_user_sgpr_flat_scratch_init 0
		.amdhsa_user_sgpr_private_segment_size 0
		.amdhsa_wavefront_size32 1
		.amdhsa_uses_dynamic_stack 0
		.amdhsa_system_sgpr_private_segment_wavefront_offset 0
		.amdhsa_system_sgpr_workgroup_id_x 1
		.amdhsa_system_sgpr_workgroup_id_y 0
		.amdhsa_system_sgpr_workgroup_id_z 0
		.amdhsa_system_sgpr_workgroup_info 0
		.amdhsa_system_vgpr_workitem_id 0
		.amdhsa_next_free_vgpr 1
		.amdhsa_next_free_sgpr 1
		.amdhsa_reserve_vcc 0
		.amdhsa_reserve_flat_scratch 0
		.amdhsa_float_round_mode_32 0
		.amdhsa_float_round_mode_16_64 0
		.amdhsa_float_denorm_mode_32 3
		.amdhsa_float_denorm_mode_16_64 3
		.amdhsa_dx10_clamp 1
		.amdhsa_ieee_mode 1
		.amdhsa_fp16_overflow 0
		.amdhsa_workgroup_processor_mode 1
		.amdhsa_memory_ordered 1
		.amdhsa_forward_progress 1
		.amdhsa_shared_vgpr_count 0
		.amdhsa_exception_fp_ieee_invalid_op 0
		.amdhsa_exception_fp_denorm_src 0
		.amdhsa_exception_fp_ieee_div_zero 0
		.amdhsa_exception_fp_ieee_overflow 0
		.amdhsa_exception_fp_ieee_underflow 0
		.amdhsa_exception_fp_ieee_inexact 0
		.amdhsa_exception_int_div_zero 0
	.end_amdhsa_kernel
	.section	.text._ZN7rocprim17ROCPRIM_400000_NS6detail17trampoline_kernelINS0_14default_configENS1_27scan_by_key_config_selectorIiiEEZZNS1_16scan_by_key_implILNS1_25lookback_scan_determinismE0ELb0ES3_N6thrust23THRUST_200600_302600_NS6detail15normal_iteratorINS9_10device_ptrIiEEEESE_SE_iNS9_4plusIiEE19head_flag_predicateiEE10hipError_tPvRmT2_T3_T4_T5_mT6_T7_P12ihipStream_tbENKUlT_T0_E_clISt17integral_constantIbLb0EESX_IbLb1EEEEDaST_SU_EUlST_E_NS1_11comp_targetILNS1_3genE10ELNS1_11target_archE1200ELNS1_3gpuE4ELNS1_3repE0EEENS1_30default_config_static_selectorELNS0_4arch9wavefront6targetE0EEEvT1_,"axG",@progbits,_ZN7rocprim17ROCPRIM_400000_NS6detail17trampoline_kernelINS0_14default_configENS1_27scan_by_key_config_selectorIiiEEZZNS1_16scan_by_key_implILNS1_25lookback_scan_determinismE0ELb0ES3_N6thrust23THRUST_200600_302600_NS6detail15normal_iteratorINS9_10device_ptrIiEEEESE_SE_iNS9_4plusIiEE19head_flag_predicateiEE10hipError_tPvRmT2_T3_T4_T5_mT6_T7_P12ihipStream_tbENKUlT_T0_E_clISt17integral_constantIbLb0EESX_IbLb1EEEEDaST_SU_EUlST_E_NS1_11comp_targetILNS1_3genE10ELNS1_11target_archE1200ELNS1_3gpuE4ELNS1_3repE0EEENS1_30default_config_static_selectorELNS0_4arch9wavefront6targetE0EEEvT1_,comdat
.Lfunc_end782:
	.size	_ZN7rocprim17ROCPRIM_400000_NS6detail17trampoline_kernelINS0_14default_configENS1_27scan_by_key_config_selectorIiiEEZZNS1_16scan_by_key_implILNS1_25lookback_scan_determinismE0ELb0ES3_N6thrust23THRUST_200600_302600_NS6detail15normal_iteratorINS9_10device_ptrIiEEEESE_SE_iNS9_4plusIiEE19head_flag_predicateiEE10hipError_tPvRmT2_T3_T4_T5_mT6_T7_P12ihipStream_tbENKUlT_T0_E_clISt17integral_constantIbLb0EESX_IbLb1EEEEDaST_SU_EUlST_E_NS1_11comp_targetILNS1_3genE10ELNS1_11target_archE1200ELNS1_3gpuE4ELNS1_3repE0EEENS1_30default_config_static_selectorELNS0_4arch9wavefront6targetE0EEEvT1_, .Lfunc_end782-_ZN7rocprim17ROCPRIM_400000_NS6detail17trampoline_kernelINS0_14default_configENS1_27scan_by_key_config_selectorIiiEEZZNS1_16scan_by_key_implILNS1_25lookback_scan_determinismE0ELb0ES3_N6thrust23THRUST_200600_302600_NS6detail15normal_iteratorINS9_10device_ptrIiEEEESE_SE_iNS9_4plusIiEE19head_flag_predicateiEE10hipError_tPvRmT2_T3_T4_T5_mT6_T7_P12ihipStream_tbENKUlT_T0_E_clISt17integral_constantIbLb0EESX_IbLb1EEEEDaST_SU_EUlST_E_NS1_11comp_targetILNS1_3genE10ELNS1_11target_archE1200ELNS1_3gpuE4ELNS1_3repE0EEENS1_30default_config_static_selectorELNS0_4arch9wavefront6targetE0EEEvT1_
                                        ; -- End function
	.set _ZN7rocprim17ROCPRIM_400000_NS6detail17trampoline_kernelINS0_14default_configENS1_27scan_by_key_config_selectorIiiEEZZNS1_16scan_by_key_implILNS1_25lookback_scan_determinismE0ELb0ES3_N6thrust23THRUST_200600_302600_NS6detail15normal_iteratorINS9_10device_ptrIiEEEESE_SE_iNS9_4plusIiEE19head_flag_predicateiEE10hipError_tPvRmT2_T3_T4_T5_mT6_T7_P12ihipStream_tbENKUlT_T0_E_clISt17integral_constantIbLb0EESX_IbLb1EEEEDaST_SU_EUlST_E_NS1_11comp_targetILNS1_3genE10ELNS1_11target_archE1200ELNS1_3gpuE4ELNS1_3repE0EEENS1_30default_config_static_selectorELNS0_4arch9wavefront6targetE0EEEvT1_.num_vgpr, 0
	.set _ZN7rocprim17ROCPRIM_400000_NS6detail17trampoline_kernelINS0_14default_configENS1_27scan_by_key_config_selectorIiiEEZZNS1_16scan_by_key_implILNS1_25lookback_scan_determinismE0ELb0ES3_N6thrust23THRUST_200600_302600_NS6detail15normal_iteratorINS9_10device_ptrIiEEEESE_SE_iNS9_4plusIiEE19head_flag_predicateiEE10hipError_tPvRmT2_T3_T4_T5_mT6_T7_P12ihipStream_tbENKUlT_T0_E_clISt17integral_constantIbLb0EESX_IbLb1EEEEDaST_SU_EUlST_E_NS1_11comp_targetILNS1_3genE10ELNS1_11target_archE1200ELNS1_3gpuE4ELNS1_3repE0EEENS1_30default_config_static_selectorELNS0_4arch9wavefront6targetE0EEEvT1_.num_agpr, 0
	.set _ZN7rocprim17ROCPRIM_400000_NS6detail17trampoline_kernelINS0_14default_configENS1_27scan_by_key_config_selectorIiiEEZZNS1_16scan_by_key_implILNS1_25lookback_scan_determinismE0ELb0ES3_N6thrust23THRUST_200600_302600_NS6detail15normal_iteratorINS9_10device_ptrIiEEEESE_SE_iNS9_4plusIiEE19head_flag_predicateiEE10hipError_tPvRmT2_T3_T4_T5_mT6_T7_P12ihipStream_tbENKUlT_T0_E_clISt17integral_constantIbLb0EESX_IbLb1EEEEDaST_SU_EUlST_E_NS1_11comp_targetILNS1_3genE10ELNS1_11target_archE1200ELNS1_3gpuE4ELNS1_3repE0EEENS1_30default_config_static_selectorELNS0_4arch9wavefront6targetE0EEEvT1_.numbered_sgpr, 0
	.set _ZN7rocprim17ROCPRIM_400000_NS6detail17trampoline_kernelINS0_14default_configENS1_27scan_by_key_config_selectorIiiEEZZNS1_16scan_by_key_implILNS1_25lookback_scan_determinismE0ELb0ES3_N6thrust23THRUST_200600_302600_NS6detail15normal_iteratorINS9_10device_ptrIiEEEESE_SE_iNS9_4plusIiEE19head_flag_predicateiEE10hipError_tPvRmT2_T3_T4_T5_mT6_T7_P12ihipStream_tbENKUlT_T0_E_clISt17integral_constantIbLb0EESX_IbLb1EEEEDaST_SU_EUlST_E_NS1_11comp_targetILNS1_3genE10ELNS1_11target_archE1200ELNS1_3gpuE4ELNS1_3repE0EEENS1_30default_config_static_selectorELNS0_4arch9wavefront6targetE0EEEvT1_.num_named_barrier, 0
	.set _ZN7rocprim17ROCPRIM_400000_NS6detail17trampoline_kernelINS0_14default_configENS1_27scan_by_key_config_selectorIiiEEZZNS1_16scan_by_key_implILNS1_25lookback_scan_determinismE0ELb0ES3_N6thrust23THRUST_200600_302600_NS6detail15normal_iteratorINS9_10device_ptrIiEEEESE_SE_iNS9_4plusIiEE19head_flag_predicateiEE10hipError_tPvRmT2_T3_T4_T5_mT6_T7_P12ihipStream_tbENKUlT_T0_E_clISt17integral_constantIbLb0EESX_IbLb1EEEEDaST_SU_EUlST_E_NS1_11comp_targetILNS1_3genE10ELNS1_11target_archE1200ELNS1_3gpuE4ELNS1_3repE0EEENS1_30default_config_static_selectorELNS0_4arch9wavefront6targetE0EEEvT1_.private_seg_size, 0
	.set _ZN7rocprim17ROCPRIM_400000_NS6detail17trampoline_kernelINS0_14default_configENS1_27scan_by_key_config_selectorIiiEEZZNS1_16scan_by_key_implILNS1_25lookback_scan_determinismE0ELb0ES3_N6thrust23THRUST_200600_302600_NS6detail15normal_iteratorINS9_10device_ptrIiEEEESE_SE_iNS9_4plusIiEE19head_flag_predicateiEE10hipError_tPvRmT2_T3_T4_T5_mT6_T7_P12ihipStream_tbENKUlT_T0_E_clISt17integral_constantIbLb0EESX_IbLb1EEEEDaST_SU_EUlST_E_NS1_11comp_targetILNS1_3genE10ELNS1_11target_archE1200ELNS1_3gpuE4ELNS1_3repE0EEENS1_30default_config_static_selectorELNS0_4arch9wavefront6targetE0EEEvT1_.uses_vcc, 0
	.set _ZN7rocprim17ROCPRIM_400000_NS6detail17trampoline_kernelINS0_14default_configENS1_27scan_by_key_config_selectorIiiEEZZNS1_16scan_by_key_implILNS1_25lookback_scan_determinismE0ELb0ES3_N6thrust23THRUST_200600_302600_NS6detail15normal_iteratorINS9_10device_ptrIiEEEESE_SE_iNS9_4plusIiEE19head_flag_predicateiEE10hipError_tPvRmT2_T3_T4_T5_mT6_T7_P12ihipStream_tbENKUlT_T0_E_clISt17integral_constantIbLb0EESX_IbLb1EEEEDaST_SU_EUlST_E_NS1_11comp_targetILNS1_3genE10ELNS1_11target_archE1200ELNS1_3gpuE4ELNS1_3repE0EEENS1_30default_config_static_selectorELNS0_4arch9wavefront6targetE0EEEvT1_.uses_flat_scratch, 0
	.set _ZN7rocprim17ROCPRIM_400000_NS6detail17trampoline_kernelINS0_14default_configENS1_27scan_by_key_config_selectorIiiEEZZNS1_16scan_by_key_implILNS1_25lookback_scan_determinismE0ELb0ES3_N6thrust23THRUST_200600_302600_NS6detail15normal_iteratorINS9_10device_ptrIiEEEESE_SE_iNS9_4plusIiEE19head_flag_predicateiEE10hipError_tPvRmT2_T3_T4_T5_mT6_T7_P12ihipStream_tbENKUlT_T0_E_clISt17integral_constantIbLb0EESX_IbLb1EEEEDaST_SU_EUlST_E_NS1_11comp_targetILNS1_3genE10ELNS1_11target_archE1200ELNS1_3gpuE4ELNS1_3repE0EEENS1_30default_config_static_selectorELNS0_4arch9wavefront6targetE0EEEvT1_.has_dyn_sized_stack, 0
	.set _ZN7rocprim17ROCPRIM_400000_NS6detail17trampoline_kernelINS0_14default_configENS1_27scan_by_key_config_selectorIiiEEZZNS1_16scan_by_key_implILNS1_25lookback_scan_determinismE0ELb0ES3_N6thrust23THRUST_200600_302600_NS6detail15normal_iteratorINS9_10device_ptrIiEEEESE_SE_iNS9_4plusIiEE19head_flag_predicateiEE10hipError_tPvRmT2_T3_T4_T5_mT6_T7_P12ihipStream_tbENKUlT_T0_E_clISt17integral_constantIbLb0EESX_IbLb1EEEEDaST_SU_EUlST_E_NS1_11comp_targetILNS1_3genE10ELNS1_11target_archE1200ELNS1_3gpuE4ELNS1_3repE0EEENS1_30default_config_static_selectorELNS0_4arch9wavefront6targetE0EEEvT1_.has_recursion, 0
	.set _ZN7rocprim17ROCPRIM_400000_NS6detail17trampoline_kernelINS0_14default_configENS1_27scan_by_key_config_selectorIiiEEZZNS1_16scan_by_key_implILNS1_25lookback_scan_determinismE0ELb0ES3_N6thrust23THRUST_200600_302600_NS6detail15normal_iteratorINS9_10device_ptrIiEEEESE_SE_iNS9_4plusIiEE19head_flag_predicateiEE10hipError_tPvRmT2_T3_T4_T5_mT6_T7_P12ihipStream_tbENKUlT_T0_E_clISt17integral_constantIbLb0EESX_IbLb1EEEEDaST_SU_EUlST_E_NS1_11comp_targetILNS1_3genE10ELNS1_11target_archE1200ELNS1_3gpuE4ELNS1_3repE0EEENS1_30default_config_static_selectorELNS0_4arch9wavefront6targetE0EEEvT1_.has_indirect_call, 0
	.section	.AMDGPU.csdata,"",@progbits
; Kernel info:
; codeLenInByte = 0
; TotalNumSgprs: 0
; NumVgprs: 0
; ScratchSize: 0
; MemoryBound: 0
; FloatMode: 240
; IeeeMode: 1
; LDSByteSize: 0 bytes/workgroup (compile time only)
; SGPRBlocks: 0
; VGPRBlocks: 0
; NumSGPRsForWavesPerEU: 1
; NumVGPRsForWavesPerEU: 1
; Occupancy: 16
; WaveLimiterHint : 0
; COMPUTE_PGM_RSRC2:SCRATCH_EN: 0
; COMPUTE_PGM_RSRC2:USER_SGPR: 6
; COMPUTE_PGM_RSRC2:TRAP_HANDLER: 0
; COMPUTE_PGM_RSRC2:TGID_X_EN: 1
; COMPUTE_PGM_RSRC2:TGID_Y_EN: 0
; COMPUTE_PGM_RSRC2:TGID_Z_EN: 0
; COMPUTE_PGM_RSRC2:TIDIG_COMP_CNT: 0
	.section	.text._ZN7rocprim17ROCPRIM_400000_NS6detail17trampoline_kernelINS0_14default_configENS1_27scan_by_key_config_selectorIiiEEZZNS1_16scan_by_key_implILNS1_25lookback_scan_determinismE0ELb0ES3_N6thrust23THRUST_200600_302600_NS6detail15normal_iteratorINS9_10device_ptrIiEEEESE_SE_iNS9_4plusIiEE19head_flag_predicateiEE10hipError_tPvRmT2_T3_T4_T5_mT6_T7_P12ihipStream_tbENKUlT_T0_E_clISt17integral_constantIbLb0EESX_IbLb1EEEEDaST_SU_EUlST_E_NS1_11comp_targetILNS1_3genE9ELNS1_11target_archE1100ELNS1_3gpuE3ELNS1_3repE0EEENS1_30default_config_static_selectorELNS0_4arch9wavefront6targetE0EEEvT1_,"axG",@progbits,_ZN7rocprim17ROCPRIM_400000_NS6detail17trampoline_kernelINS0_14default_configENS1_27scan_by_key_config_selectorIiiEEZZNS1_16scan_by_key_implILNS1_25lookback_scan_determinismE0ELb0ES3_N6thrust23THRUST_200600_302600_NS6detail15normal_iteratorINS9_10device_ptrIiEEEESE_SE_iNS9_4plusIiEE19head_flag_predicateiEE10hipError_tPvRmT2_T3_T4_T5_mT6_T7_P12ihipStream_tbENKUlT_T0_E_clISt17integral_constantIbLb0EESX_IbLb1EEEEDaST_SU_EUlST_E_NS1_11comp_targetILNS1_3genE9ELNS1_11target_archE1100ELNS1_3gpuE3ELNS1_3repE0EEENS1_30default_config_static_selectorELNS0_4arch9wavefront6targetE0EEEvT1_,comdat
	.protected	_ZN7rocprim17ROCPRIM_400000_NS6detail17trampoline_kernelINS0_14default_configENS1_27scan_by_key_config_selectorIiiEEZZNS1_16scan_by_key_implILNS1_25lookback_scan_determinismE0ELb0ES3_N6thrust23THRUST_200600_302600_NS6detail15normal_iteratorINS9_10device_ptrIiEEEESE_SE_iNS9_4plusIiEE19head_flag_predicateiEE10hipError_tPvRmT2_T3_T4_T5_mT6_T7_P12ihipStream_tbENKUlT_T0_E_clISt17integral_constantIbLb0EESX_IbLb1EEEEDaST_SU_EUlST_E_NS1_11comp_targetILNS1_3genE9ELNS1_11target_archE1100ELNS1_3gpuE3ELNS1_3repE0EEENS1_30default_config_static_selectorELNS0_4arch9wavefront6targetE0EEEvT1_ ; -- Begin function _ZN7rocprim17ROCPRIM_400000_NS6detail17trampoline_kernelINS0_14default_configENS1_27scan_by_key_config_selectorIiiEEZZNS1_16scan_by_key_implILNS1_25lookback_scan_determinismE0ELb0ES3_N6thrust23THRUST_200600_302600_NS6detail15normal_iteratorINS9_10device_ptrIiEEEESE_SE_iNS9_4plusIiEE19head_flag_predicateiEE10hipError_tPvRmT2_T3_T4_T5_mT6_T7_P12ihipStream_tbENKUlT_T0_E_clISt17integral_constantIbLb0EESX_IbLb1EEEEDaST_SU_EUlST_E_NS1_11comp_targetILNS1_3genE9ELNS1_11target_archE1100ELNS1_3gpuE3ELNS1_3repE0EEENS1_30default_config_static_selectorELNS0_4arch9wavefront6targetE0EEEvT1_
	.globl	_ZN7rocprim17ROCPRIM_400000_NS6detail17trampoline_kernelINS0_14default_configENS1_27scan_by_key_config_selectorIiiEEZZNS1_16scan_by_key_implILNS1_25lookback_scan_determinismE0ELb0ES3_N6thrust23THRUST_200600_302600_NS6detail15normal_iteratorINS9_10device_ptrIiEEEESE_SE_iNS9_4plusIiEE19head_flag_predicateiEE10hipError_tPvRmT2_T3_T4_T5_mT6_T7_P12ihipStream_tbENKUlT_T0_E_clISt17integral_constantIbLb0EESX_IbLb1EEEEDaST_SU_EUlST_E_NS1_11comp_targetILNS1_3genE9ELNS1_11target_archE1100ELNS1_3gpuE3ELNS1_3repE0EEENS1_30default_config_static_selectorELNS0_4arch9wavefront6targetE0EEEvT1_
	.p2align	8
	.type	_ZN7rocprim17ROCPRIM_400000_NS6detail17trampoline_kernelINS0_14default_configENS1_27scan_by_key_config_selectorIiiEEZZNS1_16scan_by_key_implILNS1_25lookback_scan_determinismE0ELb0ES3_N6thrust23THRUST_200600_302600_NS6detail15normal_iteratorINS9_10device_ptrIiEEEESE_SE_iNS9_4plusIiEE19head_flag_predicateiEE10hipError_tPvRmT2_T3_T4_T5_mT6_T7_P12ihipStream_tbENKUlT_T0_E_clISt17integral_constantIbLb0EESX_IbLb1EEEEDaST_SU_EUlST_E_NS1_11comp_targetILNS1_3genE9ELNS1_11target_archE1100ELNS1_3gpuE3ELNS1_3repE0EEENS1_30default_config_static_selectorELNS0_4arch9wavefront6targetE0EEEvT1_,@function
_ZN7rocprim17ROCPRIM_400000_NS6detail17trampoline_kernelINS0_14default_configENS1_27scan_by_key_config_selectorIiiEEZZNS1_16scan_by_key_implILNS1_25lookback_scan_determinismE0ELb0ES3_N6thrust23THRUST_200600_302600_NS6detail15normal_iteratorINS9_10device_ptrIiEEEESE_SE_iNS9_4plusIiEE19head_flag_predicateiEE10hipError_tPvRmT2_T3_T4_T5_mT6_T7_P12ihipStream_tbENKUlT_T0_E_clISt17integral_constantIbLb0EESX_IbLb1EEEEDaST_SU_EUlST_E_NS1_11comp_targetILNS1_3genE9ELNS1_11target_archE1100ELNS1_3gpuE3ELNS1_3repE0EEENS1_30default_config_static_selectorELNS0_4arch9wavefront6targetE0EEEvT1_: ; @_ZN7rocprim17ROCPRIM_400000_NS6detail17trampoline_kernelINS0_14default_configENS1_27scan_by_key_config_selectorIiiEEZZNS1_16scan_by_key_implILNS1_25lookback_scan_determinismE0ELb0ES3_N6thrust23THRUST_200600_302600_NS6detail15normal_iteratorINS9_10device_ptrIiEEEESE_SE_iNS9_4plusIiEE19head_flag_predicateiEE10hipError_tPvRmT2_T3_T4_T5_mT6_T7_P12ihipStream_tbENKUlT_T0_E_clISt17integral_constantIbLb0EESX_IbLb1EEEEDaST_SU_EUlST_E_NS1_11comp_targetILNS1_3genE9ELNS1_11target_archE1100ELNS1_3gpuE3ELNS1_3repE0EEENS1_30default_config_static_selectorELNS0_4arch9wavefront6targetE0EEEvT1_
; %bb.0:
	.section	.rodata,"a",@progbits
	.p2align	6, 0x0
	.amdhsa_kernel _ZN7rocprim17ROCPRIM_400000_NS6detail17trampoline_kernelINS0_14default_configENS1_27scan_by_key_config_selectorIiiEEZZNS1_16scan_by_key_implILNS1_25lookback_scan_determinismE0ELb0ES3_N6thrust23THRUST_200600_302600_NS6detail15normal_iteratorINS9_10device_ptrIiEEEESE_SE_iNS9_4plusIiEE19head_flag_predicateiEE10hipError_tPvRmT2_T3_T4_T5_mT6_T7_P12ihipStream_tbENKUlT_T0_E_clISt17integral_constantIbLb0EESX_IbLb1EEEEDaST_SU_EUlST_E_NS1_11comp_targetILNS1_3genE9ELNS1_11target_archE1100ELNS1_3gpuE3ELNS1_3repE0EEENS1_30default_config_static_selectorELNS0_4arch9wavefront6targetE0EEEvT1_
		.amdhsa_group_segment_fixed_size 0
		.amdhsa_private_segment_fixed_size 0
		.amdhsa_kernarg_size 112
		.amdhsa_user_sgpr_count 6
		.amdhsa_user_sgpr_private_segment_buffer 1
		.amdhsa_user_sgpr_dispatch_ptr 0
		.amdhsa_user_sgpr_queue_ptr 0
		.amdhsa_user_sgpr_kernarg_segment_ptr 1
		.amdhsa_user_sgpr_dispatch_id 0
		.amdhsa_user_sgpr_flat_scratch_init 0
		.amdhsa_user_sgpr_private_segment_size 0
		.amdhsa_wavefront_size32 1
		.amdhsa_uses_dynamic_stack 0
		.amdhsa_system_sgpr_private_segment_wavefront_offset 0
		.amdhsa_system_sgpr_workgroup_id_x 1
		.amdhsa_system_sgpr_workgroup_id_y 0
		.amdhsa_system_sgpr_workgroup_id_z 0
		.amdhsa_system_sgpr_workgroup_info 0
		.amdhsa_system_vgpr_workitem_id 0
		.amdhsa_next_free_vgpr 1
		.amdhsa_next_free_sgpr 1
		.amdhsa_reserve_vcc 0
		.amdhsa_reserve_flat_scratch 0
		.amdhsa_float_round_mode_32 0
		.amdhsa_float_round_mode_16_64 0
		.amdhsa_float_denorm_mode_32 3
		.amdhsa_float_denorm_mode_16_64 3
		.amdhsa_dx10_clamp 1
		.amdhsa_ieee_mode 1
		.amdhsa_fp16_overflow 0
		.amdhsa_workgroup_processor_mode 1
		.amdhsa_memory_ordered 1
		.amdhsa_forward_progress 1
		.amdhsa_shared_vgpr_count 0
		.amdhsa_exception_fp_ieee_invalid_op 0
		.amdhsa_exception_fp_denorm_src 0
		.amdhsa_exception_fp_ieee_div_zero 0
		.amdhsa_exception_fp_ieee_overflow 0
		.amdhsa_exception_fp_ieee_underflow 0
		.amdhsa_exception_fp_ieee_inexact 0
		.amdhsa_exception_int_div_zero 0
	.end_amdhsa_kernel
	.section	.text._ZN7rocprim17ROCPRIM_400000_NS6detail17trampoline_kernelINS0_14default_configENS1_27scan_by_key_config_selectorIiiEEZZNS1_16scan_by_key_implILNS1_25lookback_scan_determinismE0ELb0ES3_N6thrust23THRUST_200600_302600_NS6detail15normal_iteratorINS9_10device_ptrIiEEEESE_SE_iNS9_4plusIiEE19head_flag_predicateiEE10hipError_tPvRmT2_T3_T4_T5_mT6_T7_P12ihipStream_tbENKUlT_T0_E_clISt17integral_constantIbLb0EESX_IbLb1EEEEDaST_SU_EUlST_E_NS1_11comp_targetILNS1_3genE9ELNS1_11target_archE1100ELNS1_3gpuE3ELNS1_3repE0EEENS1_30default_config_static_selectorELNS0_4arch9wavefront6targetE0EEEvT1_,"axG",@progbits,_ZN7rocprim17ROCPRIM_400000_NS6detail17trampoline_kernelINS0_14default_configENS1_27scan_by_key_config_selectorIiiEEZZNS1_16scan_by_key_implILNS1_25lookback_scan_determinismE0ELb0ES3_N6thrust23THRUST_200600_302600_NS6detail15normal_iteratorINS9_10device_ptrIiEEEESE_SE_iNS9_4plusIiEE19head_flag_predicateiEE10hipError_tPvRmT2_T3_T4_T5_mT6_T7_P12ihipStream_tbENKUlT_T0_E_clISt17integral_constantIbLb0EESX_IbLb1EEEEDaST_SU_EUlST_E_NS1_11comp_targetILNS1_3genE9ELNS1_11target_archE1100ELNS1_3gpuE3ELNS1_3repE0EEENS1_30default_config_static_selectorELNS0_4arch9wavefront6targetE0EEEvT1_,comdat
.Lfunc_end783:
	.size	_ZN7rocprim17ROCPRIM_400000_NS6detail17trampoline_kernelINS0_14default_configENS1_27scan_by_key_config_selectorIiiEEZZNS1_16scan_by_key_implILNS1_25lookback_scan_determinismE0ELb0ES3_N6thrust23THRUST_200600_302600_NS6detail15normal_iteratorINS9_10device_ptrIiEEEESE_SE_iNS9_4plusIiEE19head_flag_predicateiEE10hipError_tPvRmT2_T3_T4_T5_mT6_T7_P12ihipStream_tbENKUlT_T0_E_clISt17integral_constantIbLb0EESX_IbLb1EEEEDaST_SU_EUlST_E_NS1_11comp_targetILNS1_3genE9ELNS1_11target_archE1100ELNS1_3gpuE3ELNS1_3repE0EEENS1_30default_config_static_selectorELNS0_4arch9wavefront6targetE0EEEvT1_, .Lfunc_end783-_ZN7rocprim17ROCPRIM_400000_NS6detail17trampoline_kernelINS0_14default_configENS1_27scan_by_key_config_selectorIiiEEZZNS1_16scan_by_key_implILNS1_25lookback_scan_determinismE0ELb0ES3_N6thrust23THRUST_200600_302600_NS6detail15normal_iteratorINS9_10device_ptrIiEEEESE_SE_iNS9_4plusIiEE19head_flag_predicateiEE10hipError_tPvRmT2_T3_T4_T5_mT6_T7_P12ihipStream_tbENKUlT_T0_E_clISt17integral_constantIbLb0EESX_IbLb1EEEEDaST_SU_EUlST_E_NS1_11comp_targetILNS1_3genE9ELNS1_11target_archE1100ELNS1_3gpuE3ELNS1_3repE0EEENS1_30default_config_static_selectorELNS0_4arch9wavefront6targetE0EEEvT1_
                                        ; -- End function
	.set _ZN7rocprim17ROCPRIM_400000_NS6detail17trampoline_kernelINS0_14default_configENS1_27scan_by_key_config_selectorIiiEEZZNS1_16scan_by_key_implILNS1_25lookback_scan_determinismE0ELb0ES3_N6thrust23THRUST_200600_302600_NS6detail15normal_iteratorINS9_10device_ptrIiEEEESE_SE_iNS9_4plusIiEE19head_flag_predicateiEE10hipError_tPvRmT2_T3_T4_T5_mT6_T7_P12ihipStream_tbENKUlT_T0_E_clISt17integral_constantIbLb0EESX_IbLb1EEEEDaST_SU_EUlST_E_NS1_11comp_targetILNS1_3genE9ELNS1_11target_archE1100ELNS1_3gpuE3ELNS1_3repE0EEENS1_30default_config_static_selectorELNS0_4arch9wavefront6targetE0EEEvT1_.num_vgpr, 0
	.set _ZN7rocprim17ROCPRIM_400000_NS6detail17trampoline_kernelINS0_14default_configENS1_27scan_by_key_config_selectorIiiEEZZNS1_16scan_by_key_implILNS1_25lookback_scan_determinismE0ELb0ES3_N6thrust23THRUST_200600_302600_NS6detail15normal_iteratorINS9_10device_ptrIiEEEESE_SE_iNS9_4plusIiEE19head_flag_predicateiEE10hipError_tPvRmT2_T3_T4_T5_mT6_T7_P12ihipStream_tbENKUlT_T0_E_clISt17integral_constantIbLb0EESX_IbLb1EEEEDaST_SU_EUlST_E_NS1_11comp_targetILNS1_3genE9ELNS1_11target_archE1100ELNS1_3gpuE3ELNS1_3repE0EEENS1_30default_config_static_selectorELNS0_4arch9wavefront6targetE0EEEvT1_.num_agpr, 0
	.set _ZN7rocprim17ROCPRIM_400000_NS6detail17trampoline_kernelINS0_14default_configENS1_27scan_by_key_config_selectorIiiEEZZNS1_16scan_by_key_implILNS1_25lookback_scan_determinismE0ELb0ES3_N6thrust23THRUST_200600_302600_NS6detail15normal_iteratorINS9_10device_ptrIiEEEESE_SE_iNS9_4plusIiEE19head_flag_predicateiEE10hipError_tPvRmT2_T3_T4_T5_mT6_T7_P12ihipStream_tbENKUlT_T0_E_clISt17integral_constantIbLb0EESX_IbLb1EEEEDaST_SU_EUlST_E_NS1_11comp_targetILNS1_3genE9ELNS1_11target_archE1100ELNS1_3gpuE3ELNS1_3repE0EEENS1_30default_config_static_selectorELNS0_4arch9wavefront6targetE0EEEvT1_.numbered_sgpr, 0
	.set _ZN7rocprim17ROCPRIM_400000_NS6detail17trampoline_kernelINS0_14default_configENS1_27scan_by_key_config_selectorIiiEEZZNS1_16scan_by_key_implILNS1_25lookback_scan_determinismE0ELb0ES3_N6thrust23THRUST_200600_302600_NS6detail15normal_iteratorINS9_10device_ptrIiEEEESE_SE_iNS9_4plusIiEE19head_flag_predicateiEE10hipError_tPvRmT2_T3_T4_T5_mT6_T7_P12ihipStream_tbENKUlT_T0_E_clISt17integral_constantIbLb0EESX_IbLb1EEEEDaST_SU_EUlST_E_NS1_11comp_targetILNS1_3genE9ELNS1_11target_archE1100ELNS1_3gpuE3ELNS1_3repE0EEENS1_30default_config_static_selectorELNS0_4arch9wavefront6targetE0EEEvT1_.num_named_barrier, 0
	.set _ZN7rocprim17ROCPRIM_400000_NS6detail17trampoline_kernelINS0_14default_configENS1_27scan_by_key_config_selectorIiiEEZZNS1_16scan_by_key_implILNS1_25lookback_scan_determinismE0ELb0ES3_N6thrust23THRUST_200600_302600_NS6detail15normal_iteratorINS9_10device_ptrIiEEEESE_SE_iNS9_4plusIiEE19head_flag_predicateiEE10hipError_tPvRmT2_T3_T4_T5_mT6_T7_P12ihipStream_tbENKUlT_T0_E_clISt17integral_constantIbLb0EESX_IbLb1EEEEDaST_SU_EUlST_E_NS1_11comp_targetILNS1_3genE9ELNS1_11target_archE1100ELNS1_3gpuE3ELNS1_3repE0EEENS1_30default_config_static_selectorELNS0_4arch9wavefront6targetE0EEEvT1_.private_seg_size, 0
	.set _ZN7rocprim17ROCPRIM_400000_NS6detail17trampoline_kernelINS0_14default_configENS1_27scan_by_key_config_selectorIiiEEZZNS1_16scan_by_key_implILNS1_25lookback_scan_determinismE0ELb0ES3_N6thrust23THRUST_200600_302600_NS6detail15normal_iteratorINS9_10device_ptrIiEEEESE_SE_iNS9_4plusIiEE19head_flag_predicateiEE10hipError_tPvRmT2_T3_T4_T5_mT6_T7_P12ihipStream_tbENKUlT_T0_E_clISt17integral_constantIbLb0EESX_IbLb1EEEEDaST_SU_EUlST_E_NS1_11comp_targetILNS1_3genE9ELNS1_11target_archE1100ELNS1_3gpuE3ELNS1_3repE0EEENS1_30default_config_static_selectorELNS0_4arch9wavefront6targetE0EEEvT1_.uses_vcc, 0
	.set _ZN7rocprim17ROCPRIM_400000_NS6detail17trampoline_kernelINS0_14default_configENS1_27scan_by_key_config_selectorIiiEEZZNS1_16scan_by_key_implILNS1_25lookback_scan_determinismE0ELb0ES3_N6thrust23THRUST_200600_302600_NS6detail15normal_iteratorINS9_10device_ptrIiEEEESE_SE_iNS9_4plusIiEE19head_flag_predicateiEE10hipError_tPvRmT2_T3_T4_T5_mT6_T7_P12ihipStream_tbENKUlT_T0_E_clISt17integral_constantIbLb0EESX_IbLb1EEEEDaST_SU_EUlST_E_NS1_11comp_targetILNS1_3genE9ELNS1_11target_archE1100ELNS1_3gpuE3ELNS1_3repE0EEENS1_30default_config_static_selectorELNS0_4arch9wavefront6targetE0EEEvT1_.uses_flat_scratch, 0
	.set _ZN7rocprim17ROCPRIM_400000_NS6detail17trampoline_kernelINS0_14default_configENS1_27scan_by_key_config_selectorIiiEEZZNS1_16scan_by_key_implILNS1_25lookback_scan_determinismE0ELb0ES3_N6thrust23THRUST_200600_302600_NS6detail15normal_iteratorINS9_10device_ptrIiEEEESE_SE_iNS9_4plusIiEE19head_flag_predicateiEE10hipError_tPvRmT2_T3_T4_T5_mT6_T7_P12ihipStream_tbENKUlT_T0_E_clISt17integral_constantIbLb0EESX_IbLb1EEEEDaST_SU_EUlST_E_NS1_11comp_targetILNS1_3genE9ELNS1_11target_archE1100ELNS1_3gpuE3ELNS1_3repE0EEENS1_30default_config_static_selectorELNS0_4arch9wavefront6targetE0EEEvT1_.has_dyn_sized_stack, 0
	.set _ZN7rocprim17ROCPRIM_400000_NS6detail17trampoline_kernelINS0_14default_configENS1_27scan_by_key_config_selectorIiiEEZZNS1_16scan_by_key_implILNS1_25lookback_scan_determinismE0ELb0ES3_N6thrust23THRUST_200600_302600_NS6detail15normal_iteratorINS9_10device_ptrIiEEEESE_SE_iNS9_4plusIiEE19head_flag_predicateiEE10hipError_tPvRmT2_T3_T4_T5_mT6_T7_P12ihipStream_tbENKUlT_T0_E_clISt17integral_constantIbLb0EESX_IbLb1EEEEDaST_SU_EUlST_E_NS1_11comp_targetILNS1_3genE9ELNS1_11target_archE1100ELNS1_3gpuE3ELNS1_3repE0EEENS1_30default_config_static_selectorELNS0_4arch9wavefront6targetE0EEEvT1_.has_recursion, 0
	.set _ZN7rocprim17ROCPRIM_400000_NS6detail17trampoline_kernelINS0_14default_configENS1_27scan_by_key_config_selectorIiiEEZZNS1_16scan_by_key_implILNS1_25lookback_scan_determinismE0ELb0ES3_N6thrust23THRUST_200600_302600_NS6detail15normal_iteratorINS9_10device_ptrIiEEEESE_SE_iNS9_4plusIiEE19head_flag_predicateiEE10hipError_tPvRmT2_T3_T4_T5_mT6_T7_P12ihipStream_tbENKUlT_T0_E_clISt17integral_constantIbLb0EESX_IbLb1EEEEDaST_SU_EUlST_E_NS1_11comp_targetILNS1_3genE9ELNS1_11target_archE1100ELNS1_3gpuE3ELNS1_3repE0EEENS1_30default_config_static_selectorELNS0_4arch9wavefront6targetE0EEEvT1_.has_indirect_call, 0
	.section	.AMDGPU.csdata,"",@progbits
; Kernel info:
; codeLenInByte = 0
; TotalNumSgprs: 0
; NumVgprs: 0
; ScratchSize: 0
; MemoryBound: 0
; FloatMode: 240
; IeeeMode: 1
; LDSByteSize: 0 bytes/workgroup (compile time only)
; SGPRBlocks: 0
; VGPRBlocks: 0
; NumSGPRsForWavesPerEU: 1
; NumVGPRsForWavesPerEU: 1
; Occupancy: 16
; WaveLimiterHint : 0
; COMPUTE_PGM_RSRC2:SCRATCH_EN: 0
; COMPUTE_PGM_RSRC2:USER_SGPR: 6
; COMPUTE_PGM_RSRC2:TRAP_HANDLER: 0
; COMPUTE_PGM_RSRC2:TGID_X_EN: 1
; COMPUTE_PGM_RSRC2:TGID_Y_EN: 0
; COMPUTE_PGM_RSRC2:TGID_Z_EN: 0
; COMPUTE_PGM_RSRC2:TIDIG_COMP_CNT: 0
	.section	.text._ZN7rocprim17ROCPRIM_400000_NS6detail17trampoline_kernelINS0_14default_configENS1_27scan_by_key_config_selectorIiiEEZZNS1_16scan_by_key_implILNS1_25lookback_scan_determinismE0ELb0ES3_N6thrust23THRUST_200600_302600_NS6detail15normal_iteratorINS9_10device_ptrIiEEEESE_SE_iNS9_4plusIiEE19head_flag_predicateiEE10hipError_tPvRmT2_T3_T4_T5_mT6_T7_P12ihipStream_tbENKUlT_T0_E_clISt17integral_constantIbLb0EESX_IbLb1EEEEDaST_SU_EUlST_E_NS1_11comp_targetILNS1_3genE8ELNS1_11target_archE1030ELNS1_3gpuE2ELNS1_3repE0EEENS1_30default_config_static_selectorELNS0_4arch9wavefront6targetE0EEEvT1_,"axG",@progbits,_ZN7rocprim17ROCPRIM_400000_NS6detail17trampoline_kernelINS0_14default_configENS1_27scan_by_key_config_selectorIiiEEZZNS1_16scan_by_key_implILNS1_25lookback_scan_determinismE0ELb0ES3_N6thrust23THRUST_200600_302600_NS6detail15normal_iteratorINS9_10device_ptrIiEEEESE_SE_iNS9_4plusIiEE19head_flag_predicateiEE10hipError_tPvRmT2_T3_T4_T5_mT6_T7_P12ihipStream_tbENKUlT_T0_E_clISt17integral_constantIbLb0EESX_IbLb1EEEEDaST_SU_EUlST_E_NS1_11comp_targetILNS1_3genE8ELNS1_11target_archE1030ELNS1_3gpuE2ELNS1_3repE0EEENS1_30default_config_static_selectorELNS0_4arch9wavefront6targetE0EEEvT1_,comdat
	.protected	_ZN7rocprim17ROCPRIM_400000_NS6detail17trampoline_kernelINS0_14default_configENS1_27scan_by_key_config_selectorIiiEEZZNS1_16scan_by_key_implILNS1_25lookback_scan_determinismE0ELb0ES3_N6thrust23THRUST_200600_302600_NS6detail15normal_iteratorINS9_10device_ptrIiEEEESE_SE_iNS9_4plusIiEE19head_flag_predicateiEE10hipError_tPvRmT2_T3_T4_T5_mT6_T7_P12ihipStream_tbENKUlT_T0_E_clISt17integral_constantIbLb0EESX_IbLb1EEEEDaST_SU_EUlST_E_NS1_11comp_targetILNS1_3genE8ELNS1_11target_archE1030ELNS1_3gpuE2ELNS1_3repE0EEENS1_30default_config_static_selectorELNS0_4arch9wavefront6targetE0EEEvT1_ ; -- Begin function _ZN7rocprim17ROCPRIM_400000_NS6detail17trampoline_kernelINS0_14default_configENS1_27scan_by_key_config_selectorIiiEEZZNS1_16scan_by_key_implILNS1_25lookback_scan_determinismE0ELb0ES3_N6thrust23THRUST_200600_302600_NS6detail15normal_iteratorINS9_10device_ptrIiEEEESE_SE_iNS9_4plusIiEE19head_flag_predicateiEE10hipError_tPvRmT2_T3_T4_T5_mT6_T7_P12ihipStream_tbENKUlT_T0_E_clISt17integral_constantIbLb0EESX_IbLb1EEEEDaST_SU_EUlST_E_NS1_11comp_targetILNS1_3genE8ELNS1_11target_archE1030ELNS1_3gpuE2ELNS1_3repE0EEENS1_30default_config_static_selectorELNS0_4arch9wavefront6targetE0EEEvT1_
	.globl	_ZN7rocprim17ROCPRIM_400000_NS6detail17trampoline_kernelINS0_14default_configENS1_27scan_by_key_config_selectorIiiEEZZNS1_16scan_by_key_implILNS1_25lookback_scan_determinismE0ELb0ES3_N6thrust23THRUST_200600_302600_NS6detail15normal_iteratorINS9_10device_ptrIiEEEESE_SE_iNS9_4plusIiEE19head_flag_predicateiEE10hipError_tPvRmT2_T3_T4_T5_mT6_T7_P12ihipStream_tbENKUlT_T0_E_clISt17integral_constantIbLb0EESX_IbLb1EEEEDaST_SU_EUlST_E_NS1_11comp_targetILNS1_3genE8ELNS1_11target_archE1030ELNS1_3gpuE2ELNS1_3repE0EEENS1_30default_config_static_selectorELNS0_4arch9wavefront6targetE0EEEvT1_
	.p2align	8
	.type	_ZN7rocprim17ROCPRIM_400000_NS6detail17trampoline_kernelINS0_14default_configENS1_27scan_by_key_config_selectorIiiEEZZNS1_16scan_by_key_implILNS1_25lookback_scan_determinismE0ELb0ES3_N6thrust23THRUST_200600_302600_NS6detail15normal_iteratorINS9_10device_ptrIiEEEESE_SE_iNS9_4plusIiEE19head_flag_predicateiEE10hipError_tPvRmT2_T3_T4_T5_mT6_T7_P12ihipStream_tbENKUlT_T0_E_clISt17integral_constantIbLb0EESX_IbLb1EEEEDaST_SU_EUlST_E_NS1_11comp_targetILNS1_3genE8ELNS1_11target_archE1030ELNS1_3gpuE2ELNS1_3repE0EEENS1_30default_config_static_selectorELNS0_4arch9wavefront6targetE0EEEvT1_,@function
_ZN7rocprim17ROCPRIM_400000_NS6detail17trampoline_kernelINS0_14default_configENS1_27scan_by_key_config_selectorIiiEEZZNS1_16scan_by_key_implILNS1_25lookback_scan_determinismE0ELb0ES3_N6thrust23THRUST_200600_302600_NS6detail15normal_iteratorINS9_10device_ptrIiEEEESE_SE_iNS9_4plusIiEE19head_flag_predicateiEE10hipError_tPvRmT2_T3_T4_T5_mT6_T7_P12ihipStream_tbENKUlT_T0_E_clISt17integral_constantIbLb0EESX_IbLb1EEEEDaST_SU_EUlST_E_NS1_11comp_targetILNS1_3genE8ELNS1_11target_archE1030ELNS1_3gpuE2ELNS1_3repE0EEENS1_30default_config_static_selectorELNS0_4arch9wavefront6targetE0EEEvT1_: ; @_ZN7rocprim17ROCPRIM_400000_NS6detail17trampoline_kernelINS0_14default_configENS1_27scan_by_key_config_selectorIiiEEZZNS1_16scan_by_key_implILNS1_25lookback_scan_determinismE0ELb0ES3_N6thrust23THRUST_200600_302600_NS6detail15normal_iteratorINS9_10device_ptrIiEEEESE_SE_iNS9_4plusIiEE19head_flag_predicateiEE10hipError_tPvRmT2_T3_T4_T5_mT6_T7_P12ihipStream_tbENKUlT_T0_E_clISt17integral_constantIbLb0EESX_IbLb1EEEEDaST_SU_EUlST_E_NS1_11comp_targetILNS1_3genE8ELNS1_11target_archE1030ELNS1_3gpuE2ELNS1_3repE0EEENS1_30default_config_static_selectorELNS0_4arch9wavefront6targetE0EEEvT1_
; %bb.0:
	s_clause 0x1
	s_load_dwordx4 s[16:19], s[4:5], 0x28
	s_load_dwordx2 s[24:25], s[4:5], 0x38
	v_cmp_ne_u32_e64 s1, 0, v0
	v_cmp_eq_u32_e64 s0, 0, v0
	s_and_saveexec_b32 s2, s0
	s_cbranch_execz .LBB784_4
; %bb.1:
	s_mov_b32 s6, exec_lo
	s_mov_b32 s3, exec_lo
	v_mbcnt_lo_u32_b32 v1, s6, 0
                                        ; implicit-def: $vgpr2
	v_cmpx_eq_u32_e32 0, v1
	s_cbranch_execz .LBB784_3
; %bb.2:
	s_load_dwordx2 s[8:9], s[4:5], 0x68
	s_bcnt1_i32_b32 s6, s6
	v_mov_b32_e32 v2, 0
	v_mov_b32_e32 v3, s6
	s_waitcnt lgkmcnt(0)
	global_atomic_add v2, v2, v3, s[8:9] glc
.LBB784_3:
	s_or_b32 exec_lo, exec_lo, s3
	s_waitcnt vmcnt(0)
	v_readfirstlane_b32 s3, v2
	v_mov_b32_e32 v2, 0
	v_add_nc_u32_e32 v1, s3, v1
	ds_write_b32 v2, v1
.LBB784_4:
	s_or_b32 exec_lo, exec_lo, s2
	v_mov_b32_e32 v1, 0
	s_clause 0x2
	s_load_dwordx8 s[8:15], s[4:5], 0x0
	s_load_dword s2, s[4:5], 0x40
	s_load_dwordx4 s[20:23], s[4:5], 0x48
	s_waitcnt lgkmcnt(0)
	s_barrier
	buffer_gl0_inv
	ds_read_b32 v1, v1
	s_mov_b32 s3, 0
	s_waitcnt lgkmcnt(0)
	s_barrier
	buffer_gl0_inv
	s_barrier
	buffer_gl0_inv
	s_lshl_b64 s[10:11], s[10:11], 2
	s_mul_i32 s4, s25, s2
	s_add_u32 s6, s8, s10
	s_mul_hi_u32 s5, s24, s2
	s_mul_i32 s19, s24, s2
	s_addc_u32 s7, s9, s11
	v_readfirstlane_b32 s26, v1
	s_add_u32 s12, s12, s10
	s_addc_u32 s13, s13, s11
	s_mul_i32 s2, s26, 0x300
	s_lshl_b64 s[8:9], s[2:3], 2
	s_add_i32 s2, s5, s4
	s_add_u32 s6, s6, s8
	v_add_co_u32 v1, s4, s19, v1
	s_addc_u32 s7, s7, s9
	s_add_u32 s5, s12, s8
	v_add_co_ci_u32_e64 v2, null, s2, 0, s4
	s_addc_u32 s12, s13, s9
	s_add_u32 s20, s20, -1
	s_addc_u32 s21, s21, -1
	s_mul_i32 s19, s20, 0xfffffd00
	v_cmp_le_u64_e64 s2, s[20:21], v[1:2]
	s_and_b32 vcc_lo, exec_lo, s2
	s_cbranch_vccz .LBB784_20
; %bb.5:
	v_mov_b32_e32 v1, s6
	v_mov_b32_e32 v2, s7
	s_add_i32 s13, s19, s18
	v_cmp_gt_u32_e32 vcc_lo, s13, v0
	flat_load_dword v1, v[1:2]
	s_waitcnt vmcnt(0) lgkmcnt(0)
	v_mov_b32_e32 v2, v1
	s_and_saveexec_b32 s3, vcc_lo
	s_cbranch_execz .LBB784_7
; %bb.6:
	v_lshlrev_b32_e32 v2, 2, v0
	v_add_co_u32 v2, s4, s6, v2
	v_add_co_ci_u32_e64 v3, null, s7, 0, s4
	flat_load_dword v2, v[2:3]
.LBB784_7:
	s_or_b32 exec_lo, exec_lo, s3
	v_or_b32_e32 v3, 0x100, v0
	v_cmp_gt_u32_e64 s3, s13, v3
	v_mov_b32_e32 v3, v1
	s_and_saveexec_b32 s4, s3
	s_cbranch_execz .LBB784_9
; %bb.8:
	v_lshlrev_b32_e32 v3, 2, v0
	v_add_co_u32 v3, s20, s6, v3
	v_add_co_ci_u32_e64 v4, null, s7, 0, s20
	flat_load_dword v3, v[3:4] offset:1024
.LBB784_9:
	s_or_b32 exec_lo, exec_lo, s4
	v_or_b32_e32 v4, 0x200, v0
	v_cmp_gt_u32_e64 s4, s13, v4
	v_lshlrev_b32_e32 v8, 2, v4
	s_and_saveexec_b32 s20, s4
	s_cbranch_execz .LBB784_11
; %bb.10:
	v_add_co_u32 v4, s21, s6, v8
	v_add_co_ci_u32_e64 v5, null, s7, 0, s21
	flat_load_dword v1, v[4:5]
.LBB784_11:
	s_or_b32 exec_lo, exec_lo, s20
	v_lshlrev_b32_e32 v9, 2, v0
	v_lshl_add_u32 v7, v0, 3, v9
	s_waitcnt vmcnt(0) lgkmcnt(0)
	ds_write2st64_b32 v9, v2, v3 offset1:4
	ds_write_b32 v9, v1 offset:2048
	s_waitcnt lgkmcnt(0)
	s_barrier
	buffer_gl0_inv
	ds_read_b32 v6, v7 offset:8
	ds_read2_b32 v[4:5], v7 offset1:1
	v_mov_b32_e32 v1, 0
	v_mov_b32_e32 v2, v1
	;; [unrolled: 1-line block ×3, first 2 shown]
	s_waitcnt lgkmcnt(1)
	ds_write_b32 v9, v6 offset:3072
	s_waitcnt lgkmcnt(0)
	s_barrier
	buffer_gl0_inv
	s_barrier
	buffer_gl0_inv
	s_and_saveexec_b32 s20, vcc_lo
	s_cbranch_execnz .LBB784_90
; %bb.12:
	s_or_b32 exec_lo, exec_lo, s20
	s_and_saveexec_b32 s20, s3
	s_cbranch_execnz .LBB784_91
.LBB784_13:
	s_or_b32 exec_lo, exec_lo, s20
	v_mul_u32_u24_e32 v13, 3, v0
	s_and_saveexec_b32 s3, s4
	s_cbranch_execz .LBB784_15
.LBB784_14:
	v_add_co_u32 v10, s4, s5, v8
	v_add_co_ci_u32_e64 v11, null, s12, 0, s4
	flat_load_dword v3, v[10:11]
.LBB784_15:
	s_or_b32 exec_lo, exec_lo, s3
	s_waitcnt vmcnt(0) lgkmcnt(0)
	ds_write2st64_b32 v9, v1, v2 offset1:4
	ds_write_b32 v9, v3 offset:2048
	v_mov_b32_e32 v9, 0
	v_mov_b32_e32 v11, 0
	;; [unrolled: 1-line block ×4, first 2 shown]
	s_mov_b32 s4, 0
	s_mov_b32 s3, 0
	s_mov_b32 s20, exec_lo
	s_waitcnt lgkmcnt(0)
	s_barrier
	buffer_gl0_inv
                                        ; implicit-def: $vgpr2
	v_cmpx_gt_u32_e64 s13, v13
	s_cbranch_execz .LBB784_19
; %bb.16:
	ds_read_b32 v9, v7
	v_cmp_ne_u32_e32 vcc_lo, 0, v4
	v_mov_b32_e32 v11, 0
	v_add_nc_u32_e32 v1, 1, v13
	v_mov_b32_e32 v12, 0
	s_mov_b32 s21, exec_lo
	v_cndmask_b32_e64 v10, 0, 1, vcc_lo
                                        ; implicit-def: $vgpr2
	v_cmpx_gt_u32_e64 s13, v1
	s_xor_b32 s21, exec_lo, s21
	s_cbranch_execz .LBB784_18
; %bb.17:
	ds_read2_b32 v[1:2], v7 offset0:1 offset1:2
	v_add_nc_u32_e32 v3, 2, v13
	v_cmp_ne_u32_e64 s3, 0, v5
	v_cmp_gt_u32_e32 vcc_lo, s13, v3
	v_cndmask_b32_e64 v12, 0, 1, s3
	s_and_b32 s3, vcc_lo, exec_lo
	s_waitcnt lgkmcnt(0)
	v_mov_b32_e32 v11, v1
.LBB784_18:
	s_or_b32 exec_lo, exec_lo, s21
	s_and_b32 s3, s3, exec_lo
.LBB784_19:
	s_or_b32 exec_lo, exec_lo, s20
	v_lshlrev_b32_e32 v18, 2, v0
	s_and_b32 vcc_lo, exec_lo, s4
	s_cbranch_vccnz .LBB784_21
	s_branch .LBB784_22
.LBB784_20:
                                        ; implicit-def: $vgpr6
                                        ; implicit-def: $vgpr2
                                        ; implicit-def: $vgpr9_vgpr10
                                        ; implicit-def: $vgpr11_vgpr12
	v_lshlrev_b32_e32 v18, 2, v0
	s_cbranch_execz .LBB784_22
.LBB784_21:
	v_add_co_u32 v1, s4, s6, v18
	v_add_co_ci_u32_e64 v2, null, s7, 0, s4
	s_waitcnt lgkmcnt(0)
	v_lshl_add_u32 v9, v0, 3, v18
	v_add_co_u32 v3, vcc_lo, 0x800, v1
	v_add_co_ci_u32_e64 v4, null, 0, v2, vcc_lo
	s_or_b32 s3, s3, exec_lo
	s_clause 0x2
	flat_load_dword v5, v[1:2]
	flat_load_dword v1, v[1:2] offset:1024
	flat_load_dword v2, v[3:4]
	s_waitcnt vmcnt(1) lgkmcnt(1)
	ds_write2st64_b32 v18, v5, v1 offset1:4
	s_waitcnt vmcnt(0) lgkmcnt(1)
	ds_write_b32 v18, v2 offset:2048
	s_waitcnt lgkmcnt(0)
	s_barrier
	buffer_gl0_inv
	ds_read_b32 v6, v9 offset:8
	ds_read2_b32 v[3:4], v9 offset1:1
	v_add_co_u32 v1, s4, s5, v18
	v_add_co_ci_u32_e64 v2, null, s12, 0, s4
	v_add_co_u32 v7, vcc_lo, 0x800, v1
	v_add_co_ci_u32_e64 v8, null, 0, v2, vcc_lo
	s_waitcnt lgkmcnt(1)
	ds_write_b32 v18, v6 offset:3072
	s_waitcnt lgkmcnt(0)
	s_barrier
	buffer_gl0_inv
	s_barrier
	buffer_gl0_inv
	s_clause 0x2
	flat_load_dword v5, v[1:2]
	flat_load_dword v1, v[1:2] offset:1024
	flat_load_dword v2, v[7:8]
	v_cmp_ne_u32_e32 vcc_lo, 0, v3
	s_waitcnt vmcnt(1) lgkmcnt(1)
	ds_write2st64_b32 v18, v5, v1 offset1:4
	s_waitcnt vmcnt(0) lgkmcnt(1)
	ds_write_b32 v18, v2 offset:2048
	s_waitcnt lgkmcnt(0)
	s_barrier
	buffer_gl0_inv
	ds_read2_b32 v[7:8], v9 offset1:1
	ds_read_b32 v2, v9 offset:8
	v_cndmask_b32_e64 v10, 0, 1, vcc_lo
	v_cmp_ne_u32_e32 vcc_lo, 0, v4
	v_cndmask_b32_e64 v12, 0, 1, vcc_lo
	s_waitcnt lgkmcnt(1)
	v_mov_b32_e32 v9, v7
	v_mov_b32_e32 v11, v8
.LBB784_22:
	v_mov_b32_e32 v13, 0
	v_mov_b32_e32 v14, 0
	s_and_saveexec_b32 s4, s3
	s_cbranch_execz .LBB784_24
; %bb.23:
	v_cmp_ne_u32_e32 vcc_lo, 0, v6
	s_waitcnt lgkmcnt(0)
	v_mov_b32_e32 v13, v2
	v_cndmask_b32_e64 v14, 0, 1, vcc_lo
.LBB784_24:
	s_or_b32 exec_lo, exec_lo, s4
	v_or_b32_e32 v22, v12, v14
	v_mbcnt_lo_u32_b32 v19, -1, 0
	v_lshrrev_b32_e32 v20, 5, v0
	v_or_b32_e32 v21, 31, v0
	s_cmp_lg_u32 s26, 0
	s_mov_b32 s4, 0
	s_waitcnt lgkmcnt(0)
	s_barrier
	buffer_gl0_inv
	s_cbranch_scc0 .LBB784_50
; %bb.25:
	v_and_b32_e32 v2, 0xff, v22
	v_mov_b32_e32 v1, 0
	s_mov_b32 s5, 1
	v_and_b32_e32 v8, 15, v19
	v_cmp_gt_u64_e64 s3, s[4:5], v[11:12]
	v_cmp_gt_u64_e64 s4, s[4:5], v[13:14]
	v_cmp_eq_u64_e32 vcc_lo, 0, v[1:2]
	v_cndmask_b32_e64 v3, 0, v9, s3
	v_cndmask_b32_e32 v2, 1, v10, vcc_lo
	v_add_nc_u32_e32 v3, v3, v11
	v_and_b32_e32 v4, 0xff, v2
	v_and_b32_e32 v6, 1, v2
	v_cndmask_b32_e64 v3, 0, v3, s4
	v_mov_b32_dpp v5, v4 row_shr:1 row_mask:0xf bank_mask:0xf
	v_cmp_eq_u32_e32 vcc_lo, 1, v6
	v_add_nc_u32_e32 v3, v3, v13
	v_and_b32_e32 v5, 1, v5
	v_mov_b32_dpp v7, v3 row_shr:1 row_mask:0xf bank_mask:0xf
	v_cndmask_b32_e64 v5, v5, 1, vcc_lo
	v_cmp_eq_u16_e32 vcc_lo, 0, v4
	v_cndmask_b32_e32 v6, 0, v7, vcc_lo
	v_cmp_eq_u32_e32 vcc_lo, 0, v8
	v_cndmask_b32_e32 v4, v5, v4, vcc_lo
	v_cndmask_b32_e32 v2, v5, v2, vcc_lo
	v_cndmask_b32_e64 v6, v6, 0, vcc_lo
	v_mov_b32_dpp v5, v4 row_shr:2 row_mask:0xf bank_mask:0xf
	v_and_b32_e32 v7, 1, v2
	v_add_nc_u32_e32 v3, v6, v3
	v_cmp_eq_u16_sdwa s5, v2, v1 src0_sel:BYTE_0 src1_sel:DWORD
	v_and_b32_e32 v5, 1, v5
	v_cmp_eq_u32_e32 vcc_lo, 1, v7
	v_cndmask_b32_e64 v5, v5, 1, vcc_lo
	v_cmp_lt_u32_e32 vcc_lo, 1, v8
	v_cndmask_b32_e32 v7, v2, v5, vcc_lo
	v_cndmask_b32_e32 v4, v4, v5, vcc_lo
	v_mov_b32_dpp v2, v3 row_shr:2 row_mask:0xf bank_mask:0xf
	s_and_b32 vcc_lo, vcc_lo, s5
	v_and_b32_e32 v6, 1, v7
	v_mov_b32_dpp v5, v4 row_shr:4 row_mask:0xf bank_mask:0xf
	v_cndmask_b32_e32 v2, 0, v2, vcc_lo
	v_cmp_eq_u16_sdwa s5, v7, v1 src0_sel:BYTE_0 src1_sel:DWORD
	v_cmp_eq_u32_e32 vcc_lo, 1, v6
	v_and_b32_e32 v5, 1, v5
	v_add_nc_u32_e32 v2, v2, v3
	v_cndmask_b32_e64 v5, v5, 1, vcc_lo
	v_cmp_lt_u32_e32 vcc_lo, 3, v8
	v_cndmask_b32_e32 v3, v7, v5, vcc_lo
	v_cndmask_b32_e32 v4, v4, v5, vcc_lo
	v_mov_b32_dpp v5, v2 row_shr:4 row_mask:0xf bank_mask:0xf
	s_and_b32 vcc_lo, vcc_lo, s5
	v_and_b32_e32 v7, 1, v3
	v_mov_b32_dpp v6, v4 row_shr:8 row_mask:0xf bank_mask:0xf
	v_cndmask_b32_e32 v5, 0, v5, vcc_lo
	v_cmp_eq_u16_sdwa s5, v3, v1 src0_sel:BYTE_0 src1_sel:DWORD
	v_cmp_eq_u32_e32 vcc_lo, 1, v7
	v_and_b32_e32 v6, 1, v6
	v_add_nc_u32_e32 v2, v5, v2
	v_bfe_i32 v7, v19, 4, 1
	v_cndmask_b32_e64 v5, v6, 1, vcc_lo
	v_cmp_lt_u32_e32 vcc_lo, 7, v8
	v_mov_b32_dpp v6, v2 row_shr:8 row_mask:0xf bank_mask:0xf
	s_and_b32 s5, vcc_lo, s5
	v_cndmask_b32_e32 v4, v4, v5, vcc_lo
	v_cndmask_b32_e64 v6, 0, v6, s5
	v_cndmask_b32_e32 v3, v3, v5, vcc_lo
	ds_swizzle_b32 v5, v4 offset:swizzle(BROADCAST,32,15)
	v_add_nc_u32_e32 v2, v6, v2
	v_and_b32_e32 v8, 1, v3
	v_cmp_eq_u16_sdwa vcc_lo, v3, v1 src0_sel:BYTE_0 src1_sel:DWORD
	v_and_b32_e32 v3, 16, v19
	ds_swizzle_b32 v6, v2 offset:swizzle(BROADCAST,32,15)
	v_cmp_eq_u32_e64 s5, 0, v3
	s_waitcnt lgkmcnt(1)
	v_and_b32_e32 v5, 1, v5
	s_waitcnt lgkmcnt(0)
	v_cndmask_b32_e32 v1, 0, v6, vcc_lo
	v_cmp_eq_u32_e32 vcc_lo, 1, v8
	v_and_b32_e32 v1, v7, v1
	v_cndmask_b32_e64 v5, v5, 1, vcc_lo
	v_add_nc_u32_e32 v3, v1, v2
	v_cndmask_b32_e64 v4, v5, v4, s5
	v_lshlrev_b32_e32 v5, 3, v20
	s_mov_b32 s5, exec_lo
	v_cmpx_eq_u32_e64 v0, v21
	s_cbranch_execz .LBB784_27
; %bb.26:
	ds_write_b32 v5, v3
	ds_write_b8 v5, v4 offset:4
.LBB784_27:
	s_or_b32 exec_lo, exec_lo, s5
	s_mov_b32 s5, exec_lo
	s_waitcnt lgkmcnt(0)
	s_barrier
	buffer_gl0_inv
	v_cmpx_gt_u32_e32 8, v0
	s_cbranch_execz .LBB784_33
; %bb.28:
	v_lshlrev_b32_e32 v6, 3, v0
	v_and_b32_e32 v7, 7, v19
	s_mov_b32 s6, exec_lo
	ds_read_b64 v[1:2], v6
	s_waitcnt lgkmcnt(0)
	v_and_b32_e32 v8, 0xffffff00, v2
	v_mov_b32_dpp v16, v1 row_shr:1 row_mask:0xf bank_mask:0xf
	v_mov_b32_dpp v17, v2 row_shr:1 row_mask:0xf bank_mask:0xf
	v_mov_b32_e32 v15, v2
	v_cmpx_ne_u32_e32 0, v7
	s_cbranch_execz .LBB784_30
; %bb.29:
	v_mov_b32_e32 v15, 0
	v_and_b32_e32 v23, 1, v2
	v_and_b32_e32 v17, 1, v17
	v_cmp_eq_u16_sdwa vcc_lo, v2, v15 src0_sel:BYTE_0 src1_sel:DWORD
	v_cndmask_b32_e32 v2, 0, v16, vcc_lo
	v_cmp_eq_u32_e32 vcc_lo, 1, v23
	v_add_nc_u32_e32 v1, v2, v1
	v_cndmask_b32_e64 v16, v17, 1, vcc_lo
	v_or_b32_sdwa v15, v8, v16 dst_sel:DWORD dst_unused:UNUSED_PAD src0_sel:DWORD src1_sel:WORD_0
	v_mov_b32_e32 v2, v16
.LBB784_30:
	s_or_b32 exec_lo, exec_lo, s6
	v_mov_b32_dpp v16, v1 row_shr:2 row_mask:0xf bank_mask:0xf
	v_mov_b32_dpp v17, v15 row_shr:2 row_mask:0xf bank_mask:0xf
	s_mov_b32 s6, exec_lo
	v_cmpx_lt_u32_e32 1, v7
	s_cbranch_execz .LBB784_32
; %bb.31:
	v_mov_b32_e32 v15, 0
	v_and_b32_e32 v23, 1, v2
	v_and_b32_e32 v17, 1, v17
	v_cmp_eq_u16_sdwa vcc_lo, v2, v15 src0_sel:BYTE_0 src1_sel:DWORD
	v_cndmask_b32_e32 v2, 0, v16, vcc_lo
	v_cmp_eq_u32_e32 vcc_lo, 1, v23
	v_add_nc_u32_e32 v1, v2, v1
	v_cndmask_b32_e64 v16, v17, 1, vcc_lo
	v_or_b32_sdwa v15, v8, v16 dst_sel:DWORD dst_unused:UNUSED_PAD src0_sel:DWORD src1_sel:WORD_0
	v_mov_b32_e32 v2, v16
.LBB784_32:
	s_or_b32 exec_lo, exec_lo, s6
	v_mov_b32_dpp v8, v15 row_shr:4 row_mask:0xf bank_mask:0xf
	v_and_b32_e32 v16, 1, v2
	v_mov_b32_e32 v15, 0
	v_and_b32_e32 v8, 1, v8
	v_cmp_eq_u32_e32 vcc_lo, 1, v16
	v_cmp_eq_u16_sdwa s6, v2, v15 src0_sel:BYTE_0 src1_sel:DWORD
	v_cndmask_b32_e64 v8, v8, 1, vcc_lo
	v_cmp_lt_u32_e32 vcc_lo, 3, v7
	v_mov_b32_dpp v7, v1 row_shr:4 row_mask:0xf bank_mask:0xf
	v_cndmask_b32_e32 v2, v2, v8, vcc_lo
	s_and_b32 vcc_lo, vcc_lo, s6
	v_cndmask_b32_e32 v7, 0, v7, vcc_lo
	v_add_nc_u32_e32 v1, v7, v1
	ds_write_b32 v6, v1
	ds_write_b8 v6, v2 offset:4
.LBB784_33:
	s_or_b32 exec_lo, exec_lo, s5
	v_mov_b32_e32 v23, 0
	v_mov_b32_e32 v24, 0
	s_mov_b32 s6, exec_lo
	v_cmp_gt_u32_e32 vcc_lo, 32, v0
	s_waitcnt lgkmcnt(0)
	s_barrier
	buffer_gl0_inv
	v_cmpx_lt_u32_e32 31, v0
	s_cbranch_execz .LBB784_35
; %bb.34:
	v_add_nc_u32_e32 v1, -8, v5
	v_cmp_eq_u32_e64 s5, 0, v4
	v_and_b32_e32 v2, 1, v4
	ds_read_b32 v23, v1
	v_add_nc_u32_e32 v1, -4, v5
	ds_read_u8 v24, v1
	s_waitcnt lgkmcnt(1)
	v_cndmask_b32_e64 v1, 0, v23, s5
	v_cmp_eq_u32_e64 s5, 1, v2
	v_add_nc_u32_e32 v3, v1, v3
	s_waitcnt lgkmcnt(0)
	v_cndmask_b32_e64 v4, v24, 1, s5
.LBB784_35:
	s_or_b32 exec_lo, exec_lo, s6
	v_sub_co_u32 v1, s5, v19, 1
	v_cmp_gt_i32_e64 s6, 0, v1
	v_cndmask_b32_e64 v1, v1, v19, s6
	v_lshlrev_b32_e32 v1, 2, v1
	ds_bpermute_b32 v25, v1, v3
	ds_bpermute_b32 v26, v1, v4
	s_and_saveexec_b32 s7, vcc_lo
	s_cbranch_execz .LBB784_55
; %bb.36:
	v_mov_b32_e32 v4, 0
	ds_read_b64 v[1:2], v4 offset:56
	s_and_saveexec_b32 s6, s5
	s_cbranch_execz .LBB784_38
; %bb.37:
	s_add_i32 s12, s26, 32
	s_mov_b32 s13, 0
	v_mov_b32_e32 v3, 1
	s_lshl_b64 s[12:13], s[12:13], 4
	s_add_u32 s12, s16, s12
	s_addc_u32 s13, s17, s13
	v_mov_b32_e32 v5, s12
	v_mov_b32_e32 v6, s13
	s_waitcnt lgkmcnt(0)
	;;#ASMSTART
	global_store_dwordx4 v[5:6], v[1:4] off	
s_waitcnt vmcnt(0)
	;;#ASMEND
.LBB784_38:
	s_or_b32 exec_lo, exec_lo, s6
	v_xad_u32 v15, v19, -1, s26
	s_mov_b32 s12, 0
	v_add_nc_u32_e32 v3, 32, v15
	v_lshlrev_b64 v[5:6], 4, v[3:4]
	v_add_co_u32 v16, vcc_lo, s16, v5
	v_add_co_ci_u32_e64 v17, null, s17, v6, vcc_lo
	;;#ASMSTART
	global_load_dwordx4 v[5:8], v[16:17] off glc dlc	
s_waitcnt vmcnt(0)
	;;#ASMEND
	v_and_b32_e32 v6, 0xff, v6
	v_cmp_eq_u16_sdwa s13, v7, v4 src0_sel:BYTE_0 src1_sel:DWORD
	s_and_saveexec_b32 s6, s13
	s_cbranch_execz .LBB784_42
; %bb.39:
	v_mov_b32_e32 v3, 0
.LBB784_40:                             ; =>This Inner Loop Header: Depth=1
	;;#ASMSTART
	global_load_dwordx4 v[5:8], v[16:17] off glc dlc	
s_waitcnt vmcnt(0)
	;;#ASMEND
	v_cmp_ne_u16_sdwa s13, v7, v3 src0_sel:BYTE_0 src1_sel:DWORD
	s_or_b32 s12, s13, s12
	s_andn2_b32 exec_lo, exec_lo, s12
	s_cbranch_execnz .LBB784_40
; %bb.41:
	s_or_b32 exec_lo, exec_lo, s12
	v_and_b32_e32 v6, 0xff, v6
.LBB784_42:
	s_or_b32 exec_lo, exec_lo, s6
	v_cmp_ne_u32_e32 vcc_lo, 31, v19
	v_mov_b32_e32 v27, 2
	v_lshlrev_b32_e64 v28, v19, -1
	v_and_b32_e32 v8, 1, v6
	s_mov_b32 s12, 0
	v_add_co_ci_u32_e64 v3, null, 0, v19, vcc_lo
	v_cmp_eq_u16_sdwa s6, v7, v27 src0_sel:BYTE_0 src1_sel:DWORD
	v_cmp_eq_u32_e32 vcc_lo, 1, v8
	s_mov_b32 s13, 1
	v_lshlrev_b32_e32 v17, 2, v3
	v_add_nc_u32_e32 v36, 8, v19
	v_and_or_b32 v4, s6, v28, 0x80000000
	v_cmp_gt_u64_e64 s6, s[12:13], v[5:6]
	v_lshl_or_b32 v37, v19, 2, 64
	ds_bpermute_b32 v3, v17, v6
	ds_bpermute_b32 v16, v17, v5
	v_ffbl_b32_e32 v4, v4
	v_add_nc_u32_e32 v38, 16, v19
	s_waitcnt lgkmcnt(1)
	v_and_b32_e32 v3, 1, v3
	v_cndmask_b32_e64 v3, v3, 1, vcc_lo
	v_cmp_gt_u32_e32 vcc_lo, 30, v19
	v_and_b32_e32 v30, 0xffff, v3
	v_cndmask_b32_e64 v8, 0, 2, vcc_lo
	v_cmp_lt_u32_e32 vcc_lo, v19, v4
	v_add_lshl_u32 v29, v8, v19, 2
	v_cndmask_b32_e32 v8, v6, v30, vcc_lo
	v_cndmask_b32_e32 v3, v6, v3, vcc_lo
	s_and_b32 vcc_lo, vcc_lo, s6
	s_waitcnt lgkmcnt(0)
	v_cndmask_b32_e32 v6, 0, v16, vcc_lo
	ds_bpermute_b32 v30, v29, v8
	v_and_b32_e32 v16, 1, v3
	v_add_nc_u32_e32 v5, v6, v5
	v_cmp_eq_u32_e32 vcc_lo, 1, v16
	v_mov_b32_e32 v16, 0
	ds_bpermute_b32 v6, v29, v5
	v_cmp_eq_u16_sdwa s6, v3, v16 src0_sel:BYTE_0 src1_sel:DWORD
	s_waitcnt lgkmcnt(1)
	v_and_b32_e32 v31, 1, v30
	v_add_nc_u32_e32 v30, 2, v19
	v_cndmask_b32_e64 v32, v31, 1, vcc_lo
	v_cmp_gt_u32_e32 vcc_lo, 28, v19
	v_and_b32_e32 v33, 0xffff, v32
	v_cndmask_b32_e64 v31, 0, 4, vcc_lo
	v_cmp_gt_u32_e32 vcc_lo, v30, v4
	v_add_lshl_u32 v31, v31, v19, 2
	v_cndmask_b32_e32 v8, v33, v8, vcc_lo
	v_cndmask_b32_e32 v34, v32, v3, vcc_lo
	s_waitcnt lgkmcnt(0)
	v_cndmask_b32_e64 v3, 0, v6, s6
	v_add_nc_u32_e32 v32, 4, v19
	ds_bpermute_b32 v6, v31, v8
	v_and_b32_e32 v33, 1, v34
	v_cndmask_b32_e64 v3, v3, 0, vcc_lo
	v_cmp_eq_u16_sdwa s6, v34, v16 src0_sel:BYTE_0 src1_sel:DWORD
	v_cmp_eq_u32_e32 vcc_lo, 1, v33
	v_add_nc_u32_e32 v3, v3, v5
	ds_bpermute_b32 v5, v31, v3
	s_waitcnt lgkmcnt(1)
	v_and_b32_e32 v6, 1, v6
	v_cndmask_b32_e64 v6, v6, 1, vcc_lo
	v_cmp_gt_u32_e32 vcc_lo, 24, v19
	v_and_b32_e32 v35, 0xffff, v6
	v_cndmask_b32_e64 v33, 0, 8, vcc_lo
	v_cmp_gt_u32_e32 vcc_lo, v32, v4
	s_waitcnt lgkmcnt(0)
	v_cndmask_b32_e64 v5, 0, v5, s6
	v_add_lshl_u32 v33, v33, v19, 2
	v_cndmask_b32_e32 v8, v35, v8, vcc_lo
	v_cndmask_b32_e32 v6, v6, v34, vcc_lo
	v_cndmask_b32_e64 v5, v5, 0, vcc_lo
	ds_bpermute_b32 v34, v33, v8
	v_and_b32_e32 v35, 1, v6
	v_add_nc_u32_e32 v3, v5, v3
	v_cmp_eq_u32_e32 vcc_lo, 1, v35
	ds_bpermute_b32 v5, v33, v3
	s_waitcnt lgkmcnt(1)
	v_and_b32_e32 v34, 1, v34
	v_cndmask_b32_e64 v34, v34, 1, vcc_lo
	v_cmp_eq_u16_sdwa vcc_lo, v6, v16 src0_sel:BYTE_0 src1_sel:DWORD
	v_and_b32_e32 v35, 0xffff, v34
	s_waitcnt lgkmcnt(0)
	v_cndmask_b32_e32 v5, 0, v5, vcc_lo
	v_cmp_gt_u32_e32 vcc_lo, v36, v4
	v_cndmask_b32_e64 v5, v5, 0, vcc_lo
	v_cndmask_b32_e32 v8, v35, v8, vcc_lo
	v_cndmask_b32_e32 v6, v34, v6, vcc_lo
	v_add_nc_u32_e32 v3, v5, v3
	ds_bpermute_b32 v5, v37, v8
	v_and_b32_e32 v34, 1, v6
	v_cmp_eq_u16_sdwa vcc_lo, v6, v16 src0_sel:BYTE_0 src1_sel:DWORD
	ds_bpermute_b32 v8, v37, v3
	s_waitcnt lgkmcnt(1)
	v_and_b32_e32 v5, 1, v5
	s_waitcnt lgkmcnt(0)
	v_cndmask_b32_e32 v8, 0, v8, vcc_lo
	v_cmp_eq_u32_e32 vcc_lo, 1, v34
	v_cndmask_b32_e64 v5, v5, 1, vcc_lo
	v_cmp_gt_u32_e32 vcc_lo, v38, v4
	v_cndmask_b32_e32 v4, v5, v6, vcc_lo
	v_cndmask_b32_e64 v5, v8, 0, vcc_lo
	v_add_nc_u32_e32 v3, v5, v3
	s_branch .LBB784_46
.LBB784_43:                             ;   in Loop: Header=BB784_46 Depth=1
	s_or_b32 exec_lo, exec_lo, s20
	v_and_b32_e32 v6, 0xff, v6
.LBB784_44:                             ;   in Loop: Header=BB784_46 Depth=1
	s_or_b32 exec_lo, exec_lo, s6
	ds_bpermute_b32 v3, v17, v6
	v_cmp_eq_u16_sdwa s6, v7, v27 src0_sel:BYTE_0 src1_sel:DWORD
	v_and_b32_e32 v4, 1, v6
	v_subrev_nc_u32_e32 v15, 32, v15
	v_and_or_b32 v8, s6, v28, 0x80000000
	v_cmp_eq_u32_e32 vcc_lo, 1, v4
	v_cmp_gt_u64_e64 s6, s[12:13], v[5:6]
	v_ffbl_b32_e32 v4, v8
	ds_bpermute_b32 v8, v17, v5
	s_waitcnt lgkmcnt(1)
	v_and_b32_e32 v3, 1, v3
	v_cndmask_b32_e64 v3, v3, 1, vcc_lo
	v_cmp_lt_u32_e32 vcc_lo, v19, v4
	v_and_b32_e32 v39, 0xffff, v3
	v_cndmask_b32_e32 v3, v6, v3, vcc_lo
	v_cndmask_b32_e32 v39, v6, v39, vcc_lo
	s_and_b32 vcc_lo, vcc_lo, s6
	v_cmp_eq_u16_sdwa s6, v3, v16 src0_sel:BYTE_0 src1_sel:DWORD
	s_waitcnt lgkmcnt(0)
	v_cndmask_b32_e32 v6, 0, v8, vcc_lo
	v_and_b32_e32 v8, 1, v3
	ds_bpermute_b32 v40, v29, v39
	v_add_nc_u32_e32 v5, v6, v5
	v_cmp_eq_u32_e32 vcc_lo, 1, v8
	ds_bpermute_b32 v6, v29, v5
	s_waitcnt lgkmcnt(1)
	v_and_b32_e32 v40, 1, v40
	v_cndmask_b32_e64 v8, v40, 1, vcc_lo
	v_cmp_gt_u32_e32 vcc_lo, v30, v4
	v_and_b32_e32 v40, 0xffff, v8
	v_cndmask_b32_e32 v8, v8, v3, vcc_lo
	s_waitcnt lgkmcnt(0)
	v_cndmask_b32_e64 v3, 0, v6, s6
	v_cndmask_b32_e32 v39, v40, v39, vcc_lo
	v_and_b32_e32 v40, 1, v8
	v_cndmask_b32_e64 v3, v3, 0, vcc_lo
	v_cmp_eq_u16_sdwa s6, v8, v16 src0_sel:BYTE_0 src1_sel:DWORD
	ds_bpermute_b32 v6, v31, v39
	v_cmp_eq_u32_e32 vcc_lo, 1, v40
	v_add_nc_u32_e32 v3, v3, v5
	ds_bpermute_b32 v5, v31, v3
	s_waitcnt lgkmcnt(1)
	v_and_b32_e32 v6, 1, v6
	v_cndmask_b32_e64 v6, v6, 1, vcc_lo
	v_cmp_gt_u32_e32 vcc_lo, v32, v4
	s_waitcnt lgkmcnt(0)
	v_cndmask_b32_e64 v5, 0, v5, s6
	s_mov_b32 s6, 0
	v_and_b32_e32 v40, 0xffff, v6
	v_cndmask_b32_e32 v6, v6, v8, vcc_lo
	v_cndmask_b32_e64 v5, v5, 0, vcc_lo
	v_cndmask_b32_e32 v8, v40, v39, vcc_lo
	v_and_b32_e32 v40, 1, v6
	v_add_nc_u32_e32 v3, v5, v3
	ds_bpermute_b32 v39, v33, v8
	v_cmp_eq_u32_e32 vcc_lo, 1, v40
	ds_bpermute_b32 v5, v33, v3
	s_waitcnt lgkmcnt(1)
	v_and_b32_e32 v39, 1, v39
	v_cndmask_b32_e64 v39, v39, 1, vcc_lo
	v_cmp_eq_u16_sdwa vcc_lo, v6, v16 src0_sel:BYTE_0 src1_sel:DWORD
	v_and_b32_e32 v40, 0xffff, v39
	s_waitcnt lgkmcnt(0)
	v_cndmask_b32_e32 v5, 0, v5, vcc_lo
	v_cmp_gt_u32_e32 vcc_lo, v36, v4
	v_cndmask_b32_e64 v5, v5, 0, vcc_lo
	v_cndmask_b32_e32 v8, v40, v8, vcc_lo
	v_cndmask_b32_e32 v6, v39, v6, vcc_lo
	v_add_nc_u32_e32 v3, v5, v3
	ds_bpermute_b32 v5, v37, v8
	v_and_b32_e32 v39, 1, v6
	ds_bpermute_b32 v8, v37, v3
	v_cmp_eq_u32_e32 vcc_lo, 1, v39
	s_waitcnt lgkmcnt(1)
	v_cndmask_b32_e64 v5, v5, 1, vcc_lo
	v_cmp_eq_u16_sdwa vcc_lo, v6, v16 src0_sel:BYTE_0 src1_sel:DWORD
	s_waitcnt lgkmcnt(0)
	v_cndmask_b32_e32 v8, 0, v8, vcc_lo
	v_cmp_gt_u32_e32 vcc_lo, v38, v4
	v_cndmask_b32_e32 v4, v5, v6, vcc_lo
	v_cndmask_b32_e64 v5, v8, 0, vcc_lo
	v_cmp_eq_u16_sdwa vcc_lo, v34, v16 src0_sel:BYTE_0 src1_sel:DWORD
	v_and_b32_e32 v4, 1, v4
	v_add_nc_u32_e32 v3, v5, v3
	v_and_b32_e32 v5, 1, v34
	v_cndmask_b32_e32 v3, 0, v3, vcc_lo
	v_cmp_eq_u32_e32 vcc_lo, 1, v5
	v_add_nc_u32_e32 v3, v3, v35
	v_cndmask_b32_e64 v4, v4, 1, vcc_lo
.LBB784_45:                             ;   in Loop: Header=BB784_46 Depth=1
	s_and_b32 vcc_lo, exec_lo, s6
	s_cbranch_vccnz .LBB784_51
.LBB784_46:                             ; =>This Loop Header: Depth=1
                                        ;     Child Loop BB784_49 Depth 2
	v_cmp_ne_u16_sdwa s6, v7, v27 src0_sel:BYTE_0 src1_sel:DWORD
	v_mov_b32_e32 v34, v4
	v_mov_b32_e32 v35, v3
                                        ; implicit-def: $vgpr4
                                        ; implicit-def: $vgpr3
                                        ; implicit-def: $vgpr7
	s_cmp_lg_u32 s6, exec_lo
	s_mov_b32 s6, -1
	s_cbranch_scc1 .LBB784_45
; %bb.47:                               ;   in Loop: Header=BB784_46 Depth=1
	v_lshlrev_b64 v[3:4], 4, v[15:16]
	v_add_co_u32 v3, vcc_lo, s16, v3
	v_add_co_ci_u32_e64 v4, null, s17, v4, vcc_lo
	;;#ASMSTART
	global_load_dwordx4 v[5:8], v[3:4] off glc dlc	
s_waitcnt vmcnt(0)
	;;#ASMEND
	v_and_b32_e32 v6, 0xff, v6
	v_cmp_eq_u16_sdwa s20, v7, v16 src0_sel:BYTE_0 src1_sel:DWORD
	s_and_saveexec_b32 s6, s20
	s_cbranch_execz .LBB784_44
; %bb.48:                               ;   in Loop: Header=BB784_46 Depth=1
	s_mov_b32 s20, 0
.LBB784_49:                             ;   Parent Loop BB784_46 Depth=1
                                        ; =>  This Inner Loop Header: Depth=2
	;;#ASMSTART
	global_load_dwordx4 v[5:8], v[3:4] off glc dlc	
s_waitcnt vmcnt(0)
	;;#ASMEND
	v_cmp_ne_u16_sdwa s21, v7, v16 src0_sel:BYTE_0 src1_sel:DWORD
	s_or_b32 s20, s21, s20
	s_andn2_b32 exec_lo, exec_lo, s20
	s_cbranch_execnz .LBB784_49
	s_branch .LBB784_43
.LBB784_50:
                                        ; implicit-def: $vgpr7
                                        ; implicit-def: $vgpr5
                                        ; implicit-def: $vgpr6
	s_cbranch_execnz .LBB784_56
	s_branch .LBB784_73
.LBB784_51:
	s_and_saveexec_b32 s6, s5
	s_cbranch_execz .LBB784_53
; %bb.52:
	v_mov_b32_e32 v4, 0
	v_and_b32_e32 v3, 1, v2
	s_mov_b32 s13, 0
	s_add_i32 s12, s26, 32
	v_and_b32_e32 v5, 1, v34
	v_cmp_eq_u32_sdwa vcc_lo, v2, v4 src0_sel:BYTE_0 src1_sel:DWORD
	s_lshl_b64 s[12:13], s[12:13], 4
	s_add_u32 s12, s16, s12
	s_addc_u32 s13, s17, s13
	v_cndmask_b32_e32 v2, 0, v35, vcc_lo
	v_cmp_eq_u32_e32 vcc_lo, 1, v3
	v_mov_b32_e32 v3, 2
	v_add_nc_u32_e32 v1, v2, v1
	v_cndmask_b32_e64 v2, v5, 1, vcc_lo
	v_mov_b32_e32 v5, s12
	v_mov_b32_e32 v6, s13
	;;#ASMSTART
	global_store_dwordx4 v[5:6], v[1:4] off	
s_waitcnt vmcnt(0)
	;;#ASMEND
.LBB784_53:
	s_or_b32 exec_lo, exec_lo, s6
	s_and_b32 exec_lo, exec_lo, s0
	s_cbranch_execz .LBB784_55
; %bb.54:
	v_mov_b32_e32 v1, 0
	ds_write_b32 v1, v35 offset:56
	ds_write_b8 v1, v34 offset:60
.LBB784_55:
	s_or_b32 exec_lo, exec_lo, s7
	v_mov_b32_e32 v1, 0
	s_waitcnt lgkmcnt(0)
	v_cndmask_b32_e64 v2, v26, v24, s5
	v_and_b32_e32 v4, 1, v10
	s_barrier
	buffer_gl0_inv
	ds_read_b32 v3, v1 offset:56
	v_and_b32_e32 v2, 1, v2
	v_cmp_eq_u32_e32 vcc_lo, 1, v4
	s_mov_b32 s7, 1
	s_mov_b32 s6, 0
	v_cndmask_b32_e64 v5, v25, v23, s5
	v_cndmask_b32_e64 v2, v2, 1, vcc_lo
	v_cmp_gt_u64_e32 vcc_lo, s[6:7], v[9:10]
	v_cndmask_b32_e64 v2, v2, v10, s0
	v_cndmask_b32_e32 v4, 0, v5, vcc_lo
	v_cmp_eq_u16_sdwa vcc_lo, v2, v1 src0_sel:BYTE_0 src1_sel:DWORD
	v_cndmask_b32_e64 v4, v4, 0, s0
	s_waitcnt lgkmcnt(0)
	v_cndmask_b32_e32 v1, 0, v3, vcc_lo
	v_add3_u32 v7, v4, v9, v1
	v_cndmask_b32_e64 v1, 0, v7, s3
	v_add_nc_u32_e32 v5, v1, v11
	v_cndmask_b32_e64 v1, 0, v5, s4
	v_add_nc_u32_e32 v6, v1, v13
	s_branch .LBB784_73
.LBB784_56:
	s_cmp_lg_u64 s[24:25], 0
	s_cselect_b32 s3, -1, 0
	s_cmp_lg_u64 s[22:23], 0
	s_cselect_b32 s4, -1, 0
	s_and_b32 s3, s3, s4
	s_and_b32 s4, s0, s3
	s_and_saveexec_b32 s3, s4
	s_cbranch_execz .LBB784_58
; %bb.57:
	v_mov_b32_e32 v1, 0
	s_mov_b32 s4, 0
	s_mov_b32 s5, 1
	s_clause 0x1
	global_load_dword v2, v1, s[22:23]
	global_load_ubyte v3, v1, s[22:23] offset:4
	v_cmp_gt_u64_e32 vcc_lo, s[4:5], v[9:10]
	s_waitcnt vmcnt(1)
	v_cndmask_b32_e32 v4, 0, v2, vcc_lo
	v_and_b32_e32 v2, 1, v10
	s_waitcnt vmcnt(0)
	v_and_b32_e32 v3, 1, v3
	v_add_nc_u32_e32 v9, v4, v9
	v_cmp_eq_u64_e32 vcc_lo, 0, v[1:2]
	v_cndmask_b32_e32 v10, 1, v3, vcc_lo
.LBB784_58:
	s_or_b32 exec_lo, exec_lo, s3
	v_and_b32_e32 v2, 0xff, v22
	v_mov_b32_e32 v1, 0
	s_mov_b32 s4, 0
	s_mov_b32 s5, 1
	v_and_b32_e32 v7, 15, v19
	v_cmp_eq_u64_e32 vcc_lo, 0, v[1:2]
	v_cndmask_b32_e32 v2, 1, v10, vcc_lo
	v_cmp_gt_u64_e32 vcc_lo, s[4:5], v[11:12]
	v_and_b32_e32 v3, 0xff, v2
	v_and_b32_e32 v6, 1, v2
	v_cndmask_b32_e32 v5, 0, v9, vcc_lo
	v_mov_b32_dpp v4, v3 row_shr:1 row_mask:0xf bank_mask:0xf
	v_cmp_eq_u32_e64 s3, 1, v6
	v_add_nc_u32_e32 v5, v5, v11
	v_and_b32_e32 v4, 1, v4
	v_cndmask_b32_e64 v4, v4, 1, s3
	v_cmp_gt_u64_e64 s3, s[4:5], v[13:14]
	v_cmp_eq_u32_e64 s4, 0, v7
	v_cmp_eq_u16_e64 s5, 0, v3
	v_cndmask_b32_e64 v8, v4, v3, s4
	v_cndmask_b32_e64 v6, 0, v5, s3
	;; [unrolled: 1-line block ×3, first 2 shown]
	v_mov_b32_dpp v4, v8 row_shr:2 row_mask:0xf bank_mask:0xf
	v_add_nc_u32_e32 v6, v6, v13
	v_and_b32_e32 v14, 1, v2
	v_and_b32_e32 v4, 1, v4
	v_mov_b32_dpp v12, v6 row_shr:1 row_mask:0xf bank_mask:0xf
	v_cndmask_b32_e64 v3, 0, v12, s5
	v_cmp_eq_u32_e64 s5, 1, v14
	v_cndmask_b32_e64 v3, v3, 0, s4
	v_cndmask_b32_e64 v4, v4, 1, s5
	v_cmp_lt_u32_e64 s5, 1, v7
	v_cmp_eq_u16_sdwa s4, v2, v1 src0_sel:BYTE_0 src1_sel:DWORD
	v_add_nc_u32_e32 v3, v3, v6
	v_cndmask_b32_e64 v12, v2, v4, s5
	v_cndmask_b32_e64 v4, v8, v4, s5
	s_and_b32 s4, s5, s4
	v_mov_b32_dpp v2, v3 row_shr:2 row_mask:0xf bank_mask:0xf
	v_and_b32_e32 v14, 1, v12
	v_mov_b32_dpp v8, v4 row_shr:4 row_mask:0xf bank_mask:0xf
	v_cmp_eq_u16_sdwa s5, v12, v1 src0_sel:BYTE_0 src1_sel:DWORD
	v_cndmask_b32_e64 v2, 0, v2, s4
	v_cmp_eq_u32_e64 s4, 1, v14
	v_and_b32_e32 v8, 1, v8
	v_add_nc_u32_e32 v2, v2, v3
	v_cndmask_b32_e64 v8, v8, 1, s4
	v_cmp_lt_u32_e64 s4, 3, v7
	v_cndmask_b32_e64 v3, v12, v8, s4
	v_cndmask_b32_e64 v4, v4, v8, s4
	v_mov_b32_dpp v8, v2 row_shr:4 row_mask:0xf bank_mask:0xf
	s_and_b32 s4, s4, s5
	v_and_b32_e32 v14, 1, v3
	v_mov_b32_dpp v12, v4 row_shr:8 row_mask:0xf bank_mask:0xf
	v_cndmask_b32_e64 v8, 0, v8, s4
	v_cmp_eq_u16_sdwa s5, v3, v1 src0_sel:BYTE_0 src1_sel:DWORD
	v_cmp_eq_u32_e64 s4, 1, v14
	v_and_b32_e32 v12, 1, v12
	v_add_nc_u32_e32 v2, v8, v2
	v_cndmask_b32_e64 v8, v12, 1, s4
	v_cmp_lt_u32_e64 s4, 7, v7
	v_mov_b32_dpp v7, v2 row_shr:8 row_mask:0xf bank_mask:0xf
	v_bfe_i32 v12, v19, 4, 1
	s_and_b32 s5, s4, s5
	v_cndmask_b32_e64 v4, v4, v8, s4
	v_cndmask_b32_e64 v7, 0, v7, s5
	;; [unrolled: 1-line block ×3, first 2 shown]
	s_mov_b32 s5, exec_lo
	v_add_nc_u32_e32 v2, v7, v2
	ds_swizzle_b32 v7, v4 offset:swizzle(BROADCAST,32,15)
	v_and_b32_e32 v14, 1, v3
	v_cmp_eq_u16_sdwa s4, v3, v1 src0_sel:BYTE_0 src1_sel:DWORD
	v_and_b32_e32 v3, 16, v19
	ds_swizzle_b32 v8, v2 offset:swizzle(BROADCAST,32,15)
	s_waitcnt lgkmcnt(1)
	v_and_b32_e32 v7, 1, v7
	s_waitcnt lgkmcnt(0)
	v_cndmask_b32_e64 v1, 0, v8, s4
	v_cmp_eq_u32_e64 s4, 1, v14
	v_and_b32_e32 v1, v12, v1
	v_cndmask_b32_e64 v7, v7, 1, s4
	v_cmp_eq_u32_e64 s4, 0, v3
	v_add_nc_u32_e32 v3, v1, v2
	v_cndmask_b32_e64 v4, v7, v4, s4
	v_cmpx_eq_u32_e64 v0, v21
	s_cbranch_execz .LBB784_60
; %bb.59:
	v_lshlrev_b32_e32 v1, 3, v20
	ds_write_b32 v1, v3
	ds_write_b8 v1, v4 offset:4
.LBB784_60:
	s_or_b32 exec_lo, exec_lo, s5
	s_mov_b32 s5, exec_lo
	s_waitcnt lgkmcnt(0)
	s_barrier
	buffer_gl0_inv
	v_cmpx_gt_u32_e32 8, v0
	s_cbranch_execz .LBB784_66
; %bb.61:
	v_lshlrev_b32_e32 v7, 3, v0
	v_and_b32_e32 v8, 7, v19
	s_mov_b32 s6, exec_lo
	ds_read_b64 v[1:2], v7
	s_waitcnt lgkmcnt(0)
	v_and_b32_e32 v12, 0xffffff00, v2
	v_mov_b32_dpp v15, v1 row_shr:1 row_mask:0xf bank_mask:0xf
	v_mov_b32_dpp v16, v2 row_shr:1 row_mask:0xf bank_mask:0xf
	v_mov_b32_e32 v14, v2
	v_cmpx_ne_u32_e32 0, v8
	s_cbranch_execz .LBB784_63
; %bb.62:
	v_mov_b32_e32 v14, 0
	v_and_b32_e32 v17, 1, v2
	v_and_b32_e32 v16, 1, v16
	v_cmp_eq_u16_sdwa s4, v2, v14 src0_sel:BYTE_0 src1_sel:DWORD
	v_cndmask_b32_e64 v2, 0, v15, s4
	v_cmp_eq_u32_e64 s4, 1, v17
	v_add_nc_u32_e32 v1, v2, v1
	v_cndmask_b32_e64 v15, v16, 1, s4
	v_or_b32_sdwa v14, v12, v15 dst_sel:DWORD dst_unused:UNUSED_PAD src0_sel:DWORD src1_sel:WORD_0
	v_mov_b32_e32 v2, v15
.LBB784_63:
	s_or_b32 exec_lo, exec_lo, s6
	v_mov_b32_dpp v15, v1 row_shr:2 row_mask:0xf bank_mask:0xf
	v_mov_b32_dpp v16, v14 row_shr:2 row_mask:0xf bank_mask:0xf
	s_mov_b32 s6, exec_lo
	v_cmpx_lt_u32_e32 1, v8
	s_cbranch_execz .LBB784_65
; %bb.64:
	v_mov_b32_e32 v14, 0
	v_and_b32_e32 v17, 1, v2
	v_and_b32_e32 v16, 1, v16
	v_cmp_eq_u16_sdwa s4, v2, v14 src0_sel:BYTE_0 src1_sel:DWORD
	v_cndmask_b32_e64 v2, 0, v15, s4
	v_cmp_eq_u32_e64 s4, 1, v17
	v_add_nc_u32_e32 v1, v2, v1
	v_cndmask_b32_e64 v15, v16, 1, s4
	v_or_b32_sdwa v14, v12, v15 dst_sel:DWORD dst_unused:UNUSED_PAD src0_sel:DWORD src1_sel:WORD_0
	v_mov_b32_e32 v2, v15
.LBB784_65:
	s_or_b32 exec_lo, exec_lo, s6
	v_mov_b32_dpp v12, v14 row_shr:4 row_mask:0xf bank_mask:0xf
	v_and_b32_e32 v15, 1, v2
	v_mov_b32_e32 v14, 0
	v_and_b32_e32 v12, 1, v12
	v_cmp_eq_u32_e64 s4, 1, v15
	v_cmp_eq_u16_sdwa s6, v2, v14 src0_sel:BYTE_0 src1_sel:DWORD
	v_cndmask_b32_e64 v12, v12, 1, s4
	v_cmp_lt_u32_e64 s4, 3, v8
	v_mov_b32_dpp v8, v1 row_shr:4 row_mask:0xf bank_mask:0xf
	v_cndmask_b32_e64 v2, v2, v12, s4
	s_and_b32 s4, s4, s6
	v_cndmask_b32_e64 v8, 0, v8, s4
	v_add_nc_u32_e32 v1, v8, v1
	ds_write_b32 v7, v1
	ds_write_b8 v7, v2 offset:4
.LBB784_66:
	s_or_b32 exec_lo, exec_lo, s5
	v_mov_b32_e32 v1, 0
	s_mov_b32 s5, exec_lo
	s_waitcnt lgkmcnt(0)
	s_barrier
	buffer_gl0_inv
	v_cmpx_lt_u32_e32 31, v0
	s_cbranch_execz .LBB784_68
; %bb.67:
	v_lshl_add_u32 v1, v20, 3, -8
	v_cmp_eq_u32_e64 s4, 0, v4
	ds_read_b32 v1, v1
	s_waitcnt lgkmcnt(0)
	v_cndmask_b32_e64 v2, 0, v1, s4
	v_add_nc_u32_e32 v3, v2, v3
.LBB784_68:
	s_or_b32 exec_lo, exec_lo, s5
	v_add_nc_u32_e32 v2, -1, v19
	v_cmp_gt_i32_e64 s4, 0, v2
	v_cndmask_b32_e64 v2, v2, v19, s4
	s_mov_b32 s4, 0
	v_lshlrev_b32_e32 v2, 2, v2
	ds_bpermute_b32 v2, v2, v3
	s_and_saveexec_b32 s6, s1
	s_cbranch_execz .LBB784_70
; %bb.69:
	v_cmp_eq_u32_e64 s1, 0, v19
	s_mov_b32 s5, 1
	;;#ASMSTART
	;;#ASMEND
	s_waitcnt lgkmcnt(0)
	v_cndmask_b32_e64 v1, v2, v1, s1
	v_cmp_gt_u64_e64 s1, s[4:5], v[9:10]
	v_cndmask_b32_e64 v1, 0, v1, s1
	v_add_nc_u32_e32 v9, v1, v9
	v_cndmask_b32_e32 v1, 0, v9, vcc_lo
	v_add_nc_u32_e32 v5, v1, v11
	v_cndmask_b32_e64 v1, 0, v5, s3
	v_add_nc_u32_e32 v6, v1, v13
.LBB784_70:
	s_or_b32 exec_lo, exec_lo, s6
	s_and_saveexec_b32 s1, s0
	s_cbranch_execz .LBB784_72
; %bb.71:
	v_mov_b32_e32 v4, 0
	s_add_u32 s4, s16, 0x200
	s_addc_u32 s5, s17, 0
	v_mov_b32_e32 v3, 2
	v_mov_b32_e32 v8, s5
	ds_read_b32 v1, v4 offset:56
	s_waitcnt lgkmcnt(1)
	ds_read_u8 v2, v4 offset:60
	v_mov_b32_e32 v7, s4
	s_waitcnt lgkmcnt(0)
	;;#ASMSTART
	global_store_dwordx4 v[7:8], v[1:4] off	
s_waitcnt vmcnt(0)
	;;#ASMEND
.LBB784_72:
	s_or_b32 exec_lo, exec_lo, s1
	v_mov_b32_e32 v7, v9
.LBB784_73:
	s_add_u32 s0, s14, s10
	v_mov_b32_e32 v3, 0
	s_addc_u32 s1, s15, s11
	s_add_u32 s0, s0, s8
	s_addc_u32 s1, s1, s9
	s_and_b32 vcc_lo, exec_lo, s2
	s_cbranch_vccz .LBB784_85
; %bb.74:
	v_mul_u32_u24_e32 v1, 3, v0
	v_mov_b32_e32 v4, 0
	s_waitcnt lgkmcnt(0)
	v_mov_b32_e32 v2, 0
	s_add_i32 s19, s19, s18
	s_mov_b32 s2, exec_lo
	v_cmpx_gt_u32_e64 s19, v1
	s_cbranch_execz .LBB784_80
; %bb.75:
	v_add_nc_u32_e32 v3, 1, v1
	v_mov_b32_e32 v2, 0
	v_mov_b32_e32 v4, 0
	s_mov_b32 s3, exec_lo
	v_cmpx_gt_u32_e64 s19, v3
	s_cbranch_execz .LBB784_79
; %bb.76:
	v_add_nc_u32_e32 v2, 2, v1
	v_cmp_gt_u32_e32 vcc_lo, s19, v2
	v_mov_b32_e32 v2, 0
	s_and_saveexec_b32 s4, vcc_lo
; %bb.77:
	v_mov_b32_e32 v2, v6
; %bb.78:
	s_or_b32 exec_lo, exec_lo, s4
	v_mov_b32_e32 v4, v5
.LBB784_79:
	s_or_b32 exec_lo, exec_lo, s3
	v_mov_b32_e32 v3, v7
.LBB784_80:
	s_or_b32 exec_lo, exec_lo, s2
	v_lshlrev_b32_e32 v8, 2, v1
	v_lshlrev_b32_e32 v9, 3, v0
	s_barrier
	buffer_gl0_inv
	ds_write2_b32 v8, v3, v4 offset1:1
	v_sub_nc_u32_e32 v1, v8, v9
	ds_write_b32 v8, v2 offset:8
	s_waitcnt lgkmcnt(0)
	s_barrier
	buffer_gl0_inv
	ds_read2st64_b32 v[1:2], v1 offset0:4 offset1:8
	v_add_co_u32 v3, s2, s0, v18
	v_add_co_ci_u32_e64 v4, null, s1, 0, s2
	s_mov_b32 s2, exec_lo
	v_cmpx_gt_u32_e64 s19, v0
	s_cbranch_execz .LBB784_82
; %bb.81:
	v_sub_nc_u32_e32 v9, 0, v9
	v_add_nc_u32_e32 v8, v8, v9
	ds_read_b32 v8, v8
	s_waitcnt lgkmcnt(0)
	flat_store_dword v[3:4], v8
.LBB784_82:
	s_or_b32 exec_lo, exec_lo, s2
	v_or_b32_e32 v8, 0x100, v0
	s_mov_b32 s2, exec_lo
	v_cmpx_gt_u32_e64 s19, v8
	s_cbranch_execz .LBB784_84
; %bb.83:
	s_waitcnt lgkmcnt(0)
	flat_store_dword v[3:4], v1 offset:1024
.LBB784_84:
	s_or_b32 exec_lo, exec_lo, s2
	s_waitcnt lgkmcnt(0)
	v_or_b32_e32 v1, 0x200, v0
	v_cmp_gt_u32_e64 s2, s19, v1
	s_branch .LBB784_87
.LBB784_85:
	s_mov_b32 s2, 0
                                        ; implicit-def: $vgpr2
	s_cbranch_execz .LBB784_87
; %bb.86:
	v_mul_u32_u24_e32 v1, 12, v0
	s_waitcnt lgkmcnt(0)
	v_lshlrev_b32_e32 v2, 3, v0
	s_waitcnt_vscnt null, 0x0
	s_barrier
	buffer_gl0_inv
	ds_write2_b32 v1, v7, v5 offset1:1
	v_sub_nc_u32_e32 v2, v1, v2
	ds_write_b32 v1, v6 offset:8
	s_waitcnt lgkmcnt(0)
	s_barrier
	buffer_gl0_inv
	ds_read2st64_b32 v[3:4], v2 offset1:4
	ds_read_b32 v2, v2 offset:2048
	v_add_co_u32 v5, s3, s0, v18
	v_add_co_ci_u32_e64 v6, null, s1, 0, s3
	s_or_b32 s2, s2, exec_lo
	s_waitcnt lgkmcnt(1)
	flat_store_dword v[5:6], v3
	flat_store_dword v[5:6], v4 offset:1024
.LBB784_87:
	s_and_saveexec_b32 s3, s2
	s_cbranch_execnz .LBB784_89
; %bb.88:
	s_endpgm
.LBB784_89:
	v_lshlrev_b32_e32 v0, 2, v0
	v_add_co_u32 v0, s0, s0, v0
	v_add_co_ci_u32_e64 v1, null, s1, 0, s0
	v_add_co_u32 v0, vcc_lo, 0x800, v0
	v_add_co_ci_u32_e64 v1, null, 0, v1, vcc_lo
	s_waitcnt lgkmcnt(0)
	flat_store_dword v[0:1], v2
	s_endpgm
.LBB784_90:
	v_add_co_u32 v2, s21, s5, v9
	v_add_co_ci_u32_e64 v3, null, s12, 0, s21
	v_mov_b32_e32 v11, v1
	v_mov_b32_e32 v12, v1
	flat_load_dword v10, v[2:3]
	s_waitcnt vmcnt(0) lgkmcnt(0)
	v_mov_b32_e32 v1, v10
	v_mov_b32_e32 v2, v11
	;; [unrolled: 1-line block ×3, first 2 shown]
	s_or_b32 exec_lo, exec_lo, s20
	s_and_saveexec_b32 s20, s3
	s_cbranch_execz .LBB784_13
.LBB784_91:
	v_add_co_u32 v10, s3, s5, v9
	v_add_co_ci_u32_e64 v11, null, s12, 0, s3
	flat_load_dword v2, v[10:11] offset:1024
	s_or_b32 exec_lo, exec_lo, s20
	v_mul_u32_u24_e32 v13, 3, v0
	s_and_saveexec_b32 s3, s4
	s_cbranch_execnz .LBB784_14
	s_branch .LBB784_15
	.section	.rodata,"a",@progbits
	.p2align	6, 0x0
	.amdhsa_kernel _ZN7rocprim17ROCPRIM_400000_NS6detail17trampoline_kernelINS0_14default_configENS1_27scan_by_key_config_selectorIiiEEZZNS1_16scan_by_key_implILNS1_25lookback_scan_determinismE0ELb0ES3_N6thrust23THRUST_200600_302600_NS6detail15normal_iteratorINS9_10device_ptrIiEEEESE_SE_iNS9_4plusIiEE19head_flag_predicateiEE10hipError_tPvRmT2_T3_T4_T5_mT6_T7_P12ihipStream_tbENKUlT_T0_E_clISt17integral_constantIbLb0EESX_IbLb1EEEEDaST_SU_EUlST_E_NS1_11comp_targetILNS1_3genE8ELNS1_11target_archE1030ELNS1_3gpuE2ELNS1_3repE0EEENS1_30default_config_static_selectorELNS0_4arch9wavefront6targetE0EEEvT1_
		.amdhsa_group_segment_fixed_size 5120
		.amdhsa_private_segment_fixed_size 0
		.amdhsa_kernarg_size 112
		.amdhsa_user_sgpr_count 6
		.amdhsa_user_sgpr_private_segment_buffer 1
		.amdhsa_user_sgpr_dispatch_ptr 0
		.amdhsa_user_sgpr_queue_ptr 0
		.amdhsa_user_sgpr_kernarg_segment_ptr 1
		.amdhsa_user_sgpr_dispatch_id 0
		.amdhsa_user_sgpr_flat_scratch_init 0
		.amdhsa_user_sgpr_private_segment_size 0
		.amdhsa_wavefront_size32 1
		.amdhsa_uses_dynamic_stack 0
		.amdhsa_system_sgpr_private_segment_wavefront_offset 0
		.amdhsa_system_sgpr_workgroup_id_x 1
		.amdhsa_system_sgpr_workgroup_id_y 0
		.amdhsa_system_sgpr_workgroup_id_z 0
		.amdhsa_system_sgpr_workgroup_info 0
		.amdhsa_system_vgpr_workitem_id 0
		.amdhsa_next_free_vgpr 41
		.amdhsa_next_free_sgpr 27
		.amdhsa_reserve_vcc 1
		.amdhsa_reserve_flat_scratch 1
		.amdhsa_float_round_mode_32 0
		.amdhsa_float_round_mode_16_64 0
		.amdhsa_float_denorm_mode_32 3
		.amdhsa_float_denorm_mode_16_64 3
		.amdhsa_dx10_clamp 1
		.amdhsa_ieee_mode 1
		.amdhsa_fp16_overflow 0
		.amdhsa_workgroup_processor_mode 1
		.amdhsa_memory_ordered 1
		.amdhsa_forward_progress 1
		.amdhsa_shared_vgpr_count 0
		.amdhsa_exception_fp_ieee_invalid_op 0
		.amdhsa_exception_fp_denorm_src 0
		.amdhsa_exception_fp_ieee_div_zero 0
		.amdhsa_exception_fp_ieee_overflow 0
		.amdhsa_exception_fp_ieee_underflow 0
		.amdhsa_exception_fp_ieee_inexact 0
		.amdhsa_exception_int_div_zero 0
	.end_amdhsa_kernel
	.section	.text._ZN7rocprim17ROCPRIM_400000_NS6detail17trampoline_kernelINS0_14default_configENS1_27scan_by_key_config_selectorIiiEEZZNS1_16scan_by_key_implILNS1_25lookback_scan_determinismE0ELb0ES3_N6thrust23THRUST_200600_302600_NS6detail15normal_iteratorINS9_10device_ptrIiEEEESE_SE_iNS9_4plusIiEE19head_flag_predicateiEE10hipError_tPvRmT2_T3_T4_T5_mT6_T7_P12ihipStream_tbENKUlT_T0_E_clISt17integral_constantIbLb0EESX_IbLb1EEEEDaST_SU_EUlST_E_NS1_11comp_targetILNS1_3genE8ELNS1_11target_archE1030ELNS1_3gpuE2ELNS1_3repE0EEENS1_30default_config_static_selectorELNS0_4arch9wavefront6targetE0EEEvT1_,"axG",@progbits,_ZN7rocprim17ROCPRIM_400000_NS6detail17trampoline_kernelINS0_14default_configENS1_27scan_by_key_config_selectorIiiEEZZNS1_16scan_by_key_implILNS1_25lookback_scan_determinismE0ELb0ES3_N6thrust23THRUST_200600_302600_NS6detail15normal_iteratorINS9_10device_ptrIiEEEESE_SE_iNS9_4plusIiEE19head_flag_predicateiEE10hipError_tPvRmT2_T3_T4_T5_mT6_T7_P12ihipStream_tbENKUlT_T0_E_clISt17integral_constantIbLb0EESX_IbLb1EEEEDaST_SU_EUlST_E_NS1_11comp_targetILNS1_3genE8ELNS1_11target_archE1030ELNS1_3gpuE2ELNS1_3repE0EEENS1_30default_config_static_selectorELNS0_4arch9wavefront6targetE0EEEvT1_,comdat
.Lfunc_end784:
	.size	_ZN7rocprim17ROCPRIM_400000_NS6detail17trampoline_kernelINS0_14default_configENS1_27scan_by_key_config_selectorIiiEEZZNS1_16scan_by_key_implILNS1_25lookback_scan_determinismE0ELb0ES3_N6thrust23THRUST_200600_302600_NS6detail15normal_iteratorINS9_10device_ptrIiEEEESE_SE_iNS9_4plusIiEE19head_flag_predicateiEE10hipError_tPvRmT2_T3_T4_T5_mT6_T7_P12ihipStream_tbENKUlT_T0_E_clISt17integral_constantIbLb0EESX_IbLb1EEEEDaST_SU_EUlST_E_NS1_11comp_targetILNS1_3genE8ELNS1_11target_archE1030ELNS1_3gpuE2ELNS1_3repE0EEENS1_30default_config_static_selectorELNS0_4arch9wavefront6targetE0EEEvT1_, .Lfunc_end784-_ZN7rocprim17ROCPRIM_400000_NS6detail17trampoline_kernelINS0_14default_configENS1_27scan_by_key_config_selectorIiiEEZZNS1_16scan_by_key_implILNS1_25lookback_scan_determinismE0ELb0ES3_N6thrust23THRUST_200600_302600_NS6detail15normal_iteratorINS9_10device_ptrIiEEEESE_SE_iNS9_4plusIiEE19head_flag_predicateiEE10hipError_tPvRmT2_T3_T4_T5_mT6_T7_P12ihipStream_tbENKUlT_T0_E_clISt17integral_constantIbLb0EESX_IbLb1EEEEDaST_SU_EUlST_E_NS1_11comp_targetILNS1_3genE8ELNS1_11target_archE1030ELNS1_3gpuE2ELNS1_3repE0EEENS1_30default_config_static_selectorELNS0_4arch9wavefront6targetE0EEEvT1_
                                        ; -- End function
	.set _ZN7rocprim17ROCPRIM_400000_NS6detail17trampoline_kernelINS0_14default_configENS1_27scan_by_key_config_selectorIiiEEZZNS1_16scan_by_key_implILNS1_25lookback_scan_determinismE0ELb0ES3_N6thrust23THRUST_200600_302600_NS6detail15normal_iteratorINS9_10device_ptrIiEEEESE_SE_iNS9_4plusIiEE19head_flag_predicateiEE10hipError_tPvRmT2_T3_T4_T5_mT6_T7_P12ihipStream_tbENKUlT_T0_E_clISt17integral_constantIbLb0EESX_IbLb1EEEEDaST_SU_EUlST_E_NS1_11comp_targetILNS1_3genE8ELNS1_11target_archE1030ELNS1_3gpuE2ELNS1_3repE0EEENS1_30default_config_static_selectorELNS0_4arch9wavefront6targetE0EEEvT1_.num_vgpr, 41
	.set _ZN7rocprim17ROCPRIM_400000_NS6detail17trampoline_kernelINS0_14default_configENS1_27scan_by_key_config_selectorIiiEEZZNS1_16scan_by_key_implILNS1_25lookback_scan_determinismE0ELb0ES3_N6thrust23THRUST_200600_302600_NS6detail15normal_iteratorINS9_10device_ptrIiEEEESE_SE_iNS9_4plusIiEE19head_flag_predicateiEE10hipError_tPvRmT2_T3_T4_T5_mT6_T7_P12ihipStream_tbENKUlT_T0_E_clISt17integral_constantIbLb0EESX_IbLb1EEEEDaST_SU_EUlST_E_NS1_11comp_targetILNS1_3genE8ELNS1_11target_archE1030ELNS1_3gpuE2ELNS1_3repE0EEENS1_30default_config_static_selectorELNS0_4arch9wavefront6targetE0EEEvT1_.num_agpr, 0
	.set _ZN7rocprim17ROCPRIM_400000_NS6detail17trampoline_kernelINS0_14default_configENS1_27scan_by_key_config_selectorIiiEEZZNS1_16scan_by_key_implILNS1_25lookback_scan_determinismE0ELb0ES3_N6thrust23THRUST_200600_302600_NS6detail15normal_iteratorINS9_10device_ptrIiEEEESE_SE_iNS9_4plusIiEE19head_flag_predicateiEE10hipError_tPvRmT2_T3_T4_T5_mT6_T7_P12ihipStream_tbENKUlT_T0_E_clISt17integral_constantIbLb0EESX_IbLb1EEEEDaST_SU_EUlST_E_NS1_11comp_targetILNS1_3genE8ELNS1_11target_archE1030ELNS1_3gpuE2ELNS1_3repE0EEENS1_30default_config_static_selectorELNS0_4arch9wavefront6targetE0EEEvT1_.numbered_sgpr, 27
	.set _ZN7rocprim17ROCPRIM_400000_NS6detail17trampoline_kernelINS0_14default_configENS1_27scan_by_key_config_selectorIiiEEZZNS1_16scan_by_key_implILNS1_25lookback_scan_determinismE0ELb0ES3_N6thrust23THRUST_200600_302600_NS6detail15normal_iteratorINS9_10device_ptrIiEEEESE_SE_iNS9_4plusIiEE19head_flag_predicateiEE10hipError_tPvRmT2_T3_T4_T5_mT6_T7_P12ihipStream_tbENKUlT_T0_E_clISt17integral_constantIbLb0EESX_IbLb1EEEEDaST_SU_EUlST_E_NS1_11comp_targetILNS1_3genE8ELNS1_11target_archE1030ELNS1_3gpuE2ELNS1_3repE0EEENS1_30default_config_static_selectorELNS0_4arch9wavefront6targetE0EEEvT1_.num_named_barrier, 0
	.set _ZN7rocprim17ROCPRIM_400000_NS6detail17trampoline_kernelINS0_14default_configENS1_27scan_by_key_config_selectorIiiEEZZNS1_16scan_by_key_implILNS1_25lookback_scan_determinismE0ELb0ES3_N6thrust23THRUST_200600_302600_NS6detail15normal_iteratorINS9_10device_ptrIiEEEESE_SE_iNS9_4plusIiEE19head_flag_predicateiEE10hipError_tPvRmT2_T3_T4_T5_mT6_T7_P12ihipStream_tbENKUlT_T0_E_clISt17integral_constantIbLb0EESX_IbLb1EEEEDaST_SU_EUlST_E_NS1_11comp_targetILNS1_3genE8ELNS1_11target_archE1030ELNS1_3gpuE2ELNS1_3repE0EEENS1_30default_config_static_selectorELNS0_4arch9wavefront6targetE0EEEvT1_.private_seg_size, 0
	.set _ZN7rocprim17ROCPRIM_400000_NS6detail17trampoline_kernelINS0_14default_configENS1_27scan_by_key_config_selectorIiiEEZZNS1_16scan_by_key_implILNS1_25lookback_scan_determinismE0ELb0ES3_N6thrust23THRUST_200600_302600_NS6detail15normal_iteratorINS9_10device_ptrIiEEEESE_SE_iNS9_4plusIiEE19head_flag_predicateiEE10hipError_tPvRmT2_T3_T4_T5_mT6_T7_P12ihipStream_tbENKUlT_T0_E_clISt17integral_constantIbLb0EESX_IbLb1EEEEDaST_SU_EUlST_E_NS1_11comp_targetILNS1_3genE8ELNS1_11target_archE1030ELNS1_3gpuE2ELNS1_3repE0EEENS1_30default_config_static_selectorELNS0_4arch9wavefront6targetE0EEEvT1_.uses_vcc, 1
	.set _ZN7rocprim17ROCPRIM_400000_NS6detail17trampoline_kernelINS0_14default_configENS1_27scan_by_key_config_selectorIiiEEZZNS1_16scan_by_key_implILNS1_25lookback_scan_determinismE0ELb0ES3_N6thrust23THRUST_200600_302600_NS6detail15normal_iteratorINS9_10device_ptrIiEEEESE_SE_iNS9_4plusIiEE19head_flag_predicateiEE10hipError_tPvRmT2_T3_T4_T5_mT6_T7_P12ihipStream_tbENKUlT_T0_E_clISt17integral_constantIbLb0EESX_IbLb1EEEEDaST_SU_EUlST_E_NS1_11comp_targetILNS1_3genE8ELNS1_11target_archE1030ELNS1_3gpuE2ELNS1_3repE0EEENS1_30default_config_static_selectorELNS0_4arch9wavefront6targetE0EEEvT1_.uses_flat_scratch, 1
	.set _ZN7rocprim17ROCPRIM_400000_NS6detail17trampoline_kernelINS0_14default_configENS1_27scan_by_key_config_selectorIiiEEZZNS1_16scan_by_key_implILNS1_25lookback_scan_determinismE0ELb0ES3_N6thrust23THRUST_200600_302600_NS6detail15normal_iteratorINS9_10device_ptrIiEEEESE_SE_iNS9_4plusIiEE19head_flag_predicateiEE10hipError_tPvRmT2_T3_T4_T5_mT6_T7_P12ihipStream_tbENKUlT_T0_E_clISt17integral_constantIbLb0EESX_IbLb1EEEEDaST_SU_EUlST_E_NS1_11comp_targetILNS1_3genE8ELNS1_11target_archE1030ELNS1_3gpuE2ELNS1_3repE0EEENS1_30default_config_static_selectorELNS0_4arch9wavefront6targetE0EEEvT1_.has_dyn_sized_stack, 0
	.set _ZN7rocprim17ROCPRIM_400000_NS6detail17trampoline_kernelINS0_14default_configENS1_27scan_by_key_config_selectorIiiEEZZNS1_16scan_by_key_implILNS1_25lookback_scan_determinismE0ELb0ES3_N6thrust23THRUST_200600_302600_NS6detail15normal_iteratorINS9_10device_ptrIiEEEESE_SE_iNS9_4plusIiEE19head_flag_predicateiEE10hipError_tPvRmT2_T3_T4_T5_mT6_T7_P12ihipStream_tbENKUlT_T0_E_clISt17integral_constantIbLb0EESX_IbLb1EEEEDaST_SU_EUlST_E_NS1_11comp_targetILNS1_3genE8ELNS1_11target_archE1030ELNS1_3gpuE2ELNS1_3repE0EEENS1_30default_config_static_selectorELNS0_4arch9wavefront6targetE0EEEvT1_.has_recursion, 0
	.set _ZN7rocprim17ROCPRIM_400000_NS6detail17trampoline_kernelINS0_14default_configENS1_27scan_by_key_config_selectorIiiEEZZNS1_16scan_by_key_implILNS1_25lookback_scan_determinismE0ELb0ES3_N6thrust23THRUST_200600_302600_NS6detail15normal_iteratorINS9_10device_ptrIiEEEESE_SE_iNS9_4plusIiEE19head_flag_predicateiEE10hipError_tPvRmT2_T3_T4_T5_mT6_T7_P12ihipStream_tbENKUlT_T0_E_clISt17integral_constantIbLb0EESX_IbLb1EEEEDaST_SU_EUlST_E_NS1_11comp_targetILNS1_3genE8ELNS1_11target_archE1030ELNS1_3gpuE2ELNS1_3repE0EEENS1_30default_config_static_selectorELNS0_4arch9wavefront6targetE0EEEvT1_.has_indirect_call, 0
	.section	.AMDGPU.csdata,"",@progbits
; Kernel info:
; codeLenInByte = 6124
; TotalNumSgprs: 29
; NumVgprs: 41
; ScratchSize: 0
; MemoryBound: 0
; FloatMode: 240
; IeeeMode: 1
; LDSByteSize: 5120 bytes/workgroup (compile time only)
; SGPRBlocks: 0
; VGPRBlocks: 5
; NumSGPRsForWavesPerEU: 29
; NumVGPRsForWavesPerEU: 41
; Occupancy: 16
; WaveLimiterHint : 1
; COMPUTE_PGM_RSRC2:SCRATCH_EN: 0
; COMPUTE_PGM_RSRC2:USER_SGPR: 6
; COMPUTE_PGM_RSRC2:TRAP_HANDLER: 0
; COMPUTE_PGM_RSRC2:TGID_X_EN: 1
; COMPUTE_PGM_RSRC2:TGID_Y_EN: 0
; COMPUTE_PGM_RSRC2:TGID_Z_EN: 0
; COMPUTE_PGM_RSRC2:TIDIG_COMP_CNT: 0
	.section	.text._ZN7rocprim17ROCPRIM_400000_NS6detail17trampoline_kernelINS0_14default_configENS1_27scan_by_key_config_selectorIiiEEZZNS1_16scan_by_key_implILNS1_25lookback_scan_determinismE0ELb1ES3_N6thrust23THRUST_200600_302600_NS6detail15normal_iteratorINS9_10device_ptrIiEEEESE_SE_iNS9_4plusIiEE19head_flag_predicateiEE10hipError_tPvRmT2_T3_T4_T5_mT6_T7_P12ihipStream_tbENKUlT_T0_E_clISt17integral_constantIbLb0EESY_EEDaST_SU_EUlST_E_NS1_11comp_targetILNS1_3genE0ELNS1_11target_archE4294967295ELNS1_3gpuE0ELNS1_3repE0EEENS1_30default_config_static_selectorELNS0_4arch9wavefront6targetE0EEEvT1_,"axG",@progbits,_ZN7rocprim17ROCPRIM_400000_NS6detail17trampoline_kernelINS0_14default_configENS1_27scan_by_key_config_selectorIiiEEZZNS1_16scan_by_key_implILNS1_25lookback_scan_determinismE0ELb1ES3_N6thrust23THRUST_200600_302600_NS6detail15normal_iteratorINS9_10device_ptrIiEEEESE_SE_iNS9_4plusIiEE19head_flag_predicateiEE10hipError_tPvRmT2_T3_T4_T5_mT6_T7_P12ihipStream_tbENKUlT_T0_E_clISt17integral_constantIbLb0EESY_EEDaST_SU_EUlST_E_NS1_11comp_targetILNS1_3genE0ELNS1_11target_archE4294967295ELNS1_3gpuE0ELNS1_3repE0EEENS1_30default_config_static_selectorELNS0_4arch9wavefront6targetE0EEEvT1_,comdat
	.protected	_ZN7rocprim17ROCPRIM_400000_NS6detail17trampoline_kernelINS0_14default_configENS1_27scan_by_key_config_selectorIiiEEZZNS1_16scan_by_key_implILNS1_25lookback_scan_determinismE0ELb1ES3_N6thrust23THRUST_200600_302600_NS6detail15normal_iteratorINS9_10device_ptrIiEEEESE_SE_iNS9_4plusIiEE19head_flag_predicateiEE10hipError_tPvRmT2_T3_T4_T5_mT6_T7_P12ihipStream_tbENKUlT_T0_E_clISt17integral_constantIbLb0EESY_EEDaST_SU_EUlST_E_NS1_11comp_targetILNS1_3genE0ELNS1_11target_archE4294967295ELNS1_3gpuE0ELNS1_3repE0EEENS1_30default_config_static_selectorELNS0_4arch9wavefront6targetE0EEEvT1_ ; -- Begin function _ZN7rocprim17ROCPRIM_400000_NS6detail17trampoline_kernelINS0_14default_configENS1_27scan_by_key_config_selectorIiiEEZZNS1_16scan_by_key_implILNS1_25lookback_scan_determinismE0ELb1ES3_N6thrust23THRUST_200600_302600_NS6detail15normal_iteratorINS9_10device_ptrIiEEEESE_SE_iNS9_4plusIiEE19head_flag_predicateiEE10hipError_tPvRmT2_T3_T4_T5_mT6_T7_P12ihipStream_tbENKUlT_T0_E_clISt17integral_constantIbLb0EESY_EEDaST_SU_EUlST_E_NS1_11comp_targetILNS1_3genE0ELNS1_11target_archE4294967295ELNS1_3gpuE0ELNS1_3repE0EEENS1_30default_config_static_selectorELNS0_4arch9wavefront6targetE0EEEvT1_
	.globl	_ZN7rocprim17ROCPRIM_400000_NS6detail17trampoline_kernelINS0_14default_configENS1_27scan_by_key_config_selectorIiiEEZZNS1_16scan_by_key_implILNS1_25lookback_scan_determinismE0ELb1ES3_N6thrust23THRUST_200600_302600_NS6detail15normal_iteratorINS9_10device_ptrIiEEEESE_SE_iNS9_4plusIiEE19head_flag_predicateiEE10hipError_tPvRmT2_T3_T4_T5_mT6_T7_P12ihipStream_tbENKUlT_T0_E_clISt17integral_constantIbLb0EESY_EEDaST_SU_EUlST_E_NS1_11comp_targetILNS1_3genE0ELNS1_11target_archE4294967295ELNS1_3gpuE0ELNS1_3repE0EEENS1_30default_config_static_selectorELNS0_4arch9wavefront6targetE0EEEvT1_
	.p2align	8
	.type	_ZN7rocprim17ROCPRIM_400000_NS6detail17trampoline_kernelINS0_14default_configENS1_27scan_by_key_config_selectorIiiEEZZNS1_16scan_by_key_implILNS1_25lookback_scan_determinismE0ELb1ES3_N6thrust23THRUST_200600_302600_NS6detail15normal_iteratorINS9_10device_ptrIiEEEESE_SE_iNS9_4plusIiEE19head_flag_predicateiEE10hipError_tPvRmT2_T3_T4_T5_mT6_T7_P12ihipStream_tbENKUlT_T0_E_clISt17integral_constantIbLb0EESY_EEDaST_SU_EUlST_E_NS1_11comp_targetILNS1_3genE0ELNS1_11target_archE4294967295ELNS1_3gpuE0ELNS1_3repE0EEENS1_30default_config_static_selectorELNS0_4arch9wavefront6targetE0EEEvT1_,@function
_ZN7rocprim17ROCPRIM_400000_NS6detail17trampoline_kernelINS0_14default_configENS1_27scan_by_key_config_selectorIiiEEZZNS1_16scan_by_key_implILNS1_25lookback_scan_determinismE0ELb1ES3_N6thrust23THRUST_200600_302600_NS6detail15normal_iteratorINS9_10device_ptrIiEEEESE_SE_iNS9_4plusIiEE19head_flag_predicateiEE10hipError_tPvRmT2_T3_T4_T5_mT6_T7_P12ihipStream_tbENKUlT_T0_E_clISt17integral_constantIbLb0EESY_EEDaST_SU_EUlST_E_NS1_11comp_targetILNS1_3genE0ELNS1_11target_archE4294967295ELNS1_3gpuE0ELNS1_3repE0EEENS1_30default_config_static_selectorELNS0_4arch9wavefront6targetE0EEEvT1_: ; @_ZN7rocprim17ROCPRIM_400000_NS6detail17trampoline_kernelINS0_14default_configENS1_27scan_by_key_config_selectorIiiEEZZNS1_16scan_by_key_implILNS1_25lookback_scan_determinismE0ELb1ES3_N6thrust23THRUST_200600_302600_NS6detail15normal_iteratorINS9_10device_ptrIiEEEESE_SE_iNS9_4plusIiEE19head_flag_predicateiEE10hipError_tPvRmT2_T3_T4_T5_mT6_T7_P12ihipStream_tbENKUlT_T0_E_clISt17integral_constantIbLb0EESY_EEDaST_SU_EUlST_E_NS1_11comp_targetILNS1_3genE0ELNS1_11target_archE4294967295ELNS1_3gpuE0ELNS1_3repE0EEENS1_30default_config_static_selectorELNS0_4arch9wavefront6targetE0EEEvT1_
; %bb.0:
	.section	.rodata,"a",@progbits
	.p2align	6, 0x0
	.amdhsa_kernel _ZN7rocprim17ROCPRIM_400000_NS6detail17trampoline_kernelINS0_14default_configENS1_27scan_by_key_config_selectorIiiEEZZNS1_16scan_by_key_implILNS1_25lookback_scan_determinismE0ELb1ES3_N6thrust23THRUST_200600_302600_NS6detail15normal_iteratorINS9_10device_ptrIiEEEESE_SE_iNS9_4plusIiEE19head_flag_predicateiEE10hipError_tPvRmT2_T3_T4_T5_mT6_T7_P12ihipStream_tbENKUlT_T0_E_clISt17integral_constantIbLb0EESY_EEDaST_SU_EUlST_E_NS1_11comp_targetILNS1_3genE0ELNS1_11target_archE4294967295ELNS1_3gpuE0ELNS1_3repE0EEENS1_30default_config_static_selectorELNS0_4arch9wavefront6targetE0EEEvT1_
		.amdhsa_group_segment_fixed_size 0
		.amdhsa_private_segment_fixed_size 0
		.amdhsa_kernarg_size 112
		.amdhsa_user_sgpr_count 6
		.amdhsa_user_sgpr_private_segment_buffer 1
		.amdhsa_user_sgpr_dispatch_ptr 0
		.amdhsa_user_sgpr_queue_ptr 0
		.amdhsa_user_sgpr_kernarg_segment_ptr 1
		.amdhsa_user_sgpr_dispatch_id 0
		.amdhsa_user_sgpr_flat_scratch_init 0
		.amdhsa_user_sgpr_private_segment_size 0
		.amdhsa_wavefront_size32 1
		.amdhsa_uses_dynamic_stack 0
		.amdhsa_system_sgpr_private_segment_wavefront_offset 0
		.amdhsa_system_sgpr_workgroup_id_x 1
		.amdhsa_system_sgpr_workgroup_id_y 0
		.amdhsa_system_sgpr_workgroup_id_z 0
		.amdhsa_system_sgpr_workgroup_info 0
		.amdhsa_system_vgpr_workitem_id 0
		.amdhsa_next_free_vgpr 1
		.amdhsa_next_free_sgpr 1
		.amdhsa_reserve_vcc 0
		.amdhsa_reserve_flat_scratch 0
		.amdhsa_float_round_mode_32 0
		.amdhsa_float_round_mode_16_64 0
		.amdhsa_float_denorm_mode_32 3
		.amdhsa_float_denorm_mode_16_64 3
		.amdhsa_dx10_clamp 1
		.amdhsa_ieee_mode 1
		.amdhsa_fp16_overflow 0
		.amdhsa_workgroup_processor_mode 1
		.amdhsa_memory_ordered 1
		.amdhsa_forward_progress 1
		.amdhsa_shared_vgpr_count 0
		.amdhsa_exception_fp_ieee_invalid_op 0
		.amdhsa_exception_fp_denorm_src 0
		.amdhsa_exception_fp_ieee_div_zero 0
		.amdhsa_exception_fp_ieee_overflow 0
		.amdhsa_exception_fp_ieee_underflow 0
		.amdhsa_exception_fp_ieee_inexact 0
		.amdhsa_exception_int_div_zero 0
	.end_amdhsa_kernel
	.section	.text._ZN7rocprim17ROCPRIM_400000_NS6detail17trampoline_kernelINS0_14default_configENS1_27scan_by_key_config_selectorIiiEEZZNS1_16scan_by_key_implILNS1_25lookback_scan_determinismE0ELb1ES3_N6thrust23THRUST_200600_302600_NS6detail15normal_iteratorINS9_10device_ptrIiEEEESE_SE_iNS9_4plusIiEE19head_flag_predicateiEE10hipError_tPvRmT2_T3_T4_T5_mT6_T7_P12ihipStream_tbENKUlT_T0_E_clISt17integral_constantIbLb0EESY_EEDaST_SU_EUlST_E_NS1_11comp_targetILNS1_3genE0ELNS1_11target_archE4294967295ELNS1_3gpuE0ELNS1_3repE0EEENS1_30default_config_static_selectorELNS0_4arch9wavefront6targetE0EEEvT1_,"axG",@progbits,_ZN7rocprim17ROCPRIM_400000_NS6detail17trampoline_kernelINS0_14default_configENS1_27scan_by_key_config_selectorIiiEEZZNS1_16scan_by_key_implILNS1_25lookback_scan_determinismE0ELb1ES3_N6thrust23THRUST_200600_302600_NS6detail15normal_iteratorINS9_10device_ptrIiEEEESE_SE_iNS9_4plusIiEE19head_flag_predicateiEE10hipError_tPvRmT2_T3_T4_T5_mT6_T7_P12ihipStream_tbENKUlT_T0_E_clISt17integral_constantIbLb0EESY_EEDaST_SU_EUlST_E_NS1_11comp_targetILNS1_3genE0ELNS1_11target_archE4294967295ELNS1_3gpuE0ELNS1_3repE0EEENS1_30default_config_static_selectorELNS0_4arch9wavefront6targetE0EEEvT1_,comdat
.Lfunc_end785:
	.size	_ZN7rocprim17ROCPRIM_400000_NS6detail17trampoline_kernelINS0_14default_configENS1_27scan_by_key_config_selectorIiiEEZZNS1_16scan_by_key_implILNS1_25lookback_scan_determinismE0ELb1ES3_N6thrust23THRUST_200600_302600_NS6detail15normal_iteratorINS9_10device_ptrIiEEEESE_SE_iNS9_4plusIiEE19head_flag_predicateiEE10hipError_tPvRmT2_T3_T4_T5_mT6_T7_P12ihipStream_tbENKUlT_T0_E_clISt17integral_constantIbLb0EESY_EEDaST_SU_EUlST_E_NS1_11comp_targetILNS1_3genE0ELNS1_11target_archE4294967295ELNS1_3gpuE0ELNS1_3repE0EEENS1_30default_config_static_selectorELNS0_4arch9wavefront6targetE0EEEvT1_, .Lfunc_end785-_ZN7rocprim17ROCPRIM_400000_NS6detail17trampoline_kernelINS0_14default_configENS1_27scan_by_key_config_selectorIiiEEZZNS1_16scan_by_key_implILNS1_25lookback_scan_determinismE0ELb1ES3_N6thrust23THRUST_200600_302600_NS6detail15normal_iteratorINS9_10device_ptrIiEEEESE_SE_iNS9_4plusIiEE19head_flag_predicateiEE10hipError_tPvRmT2_T3_T4_T5_mT6_T7_P12ihipStream_tbENKUlT_T0_E_clISt17integral_constantIbLb0EESY_EEDaST_SU_EUlST_E_NS1_11comp_targetILNS1_3genE0ELNS1_11target_archE4294967295ELNS1_3gpuE0ELNS1_3repE0EEENS1_30default_config_static_selectorELNS0_4arch9wavefront6targetE0EEEvT1_
                                        ; -- End function
	.set _ZN7rocprim17ROCPRIM_400000_NS6detail17trampoline_kernelINS0_14default_configENS1_27scan_by_key_config_selectorIiiEEZZNS1_16scan_by_key_implILNS1_25lookback_scan_determinismE0ELb1ES3_N6thrust23THRUST_200600_302600_NS6detail15normal_iteratorINS9_10device_ptrIiEEEESE_SE_iNS9_4plusIiEE19head_flag_predicateiEE10hipError_tPvRmT2_T3_T4_T5_mT6_T7_P12ihipStream_tbENKUlT_T0_E_clISt17integral_constantIbLb0EESY_EEDaST_SU_EUlST_E_NS1_11comp_targetILNS1_3genE0ELNS1_11target_archE4294967295ELNS1_3gpuE0ELNS1_3repE0EEENS1_30default_config_static_selectorELNS0_4arch9wavefront6targetE0EEEvT1_.num_vgpr, 0
	.set _ZN7rocprim17ROCPRIM_400000_NS6detail17trampoline_kernelINS0_14default_configENS1_27scan_by_key_config_selectorIiiEEZZNS1_16scan_by_key_implILNS1_25lookback_scan_determinismE0ELb1ES3_N6thrust23THRUST_200600_302600_NS6detail15normal_iteratorINS9_10device_ptrIiEEEESE_SE_iNS9_4plusIiEE19head_flag_predicateiEE10hipError_tPvRmT2_T3_T4_T5_mT6_T7_P12ihipStream_tbENKUlT_T0_E_clISt17integral_constantIbLb0EESY_EEDaST_SU_EUlST_E_NS1_11comp_targetILNS1_3genE0ELNS1_11target_archE4294967295ELNS1_3gpuE0ELNS1_3repE0EEENS1_30default_config_static_selectorELNS0_4arch9wavefront6targetE0EEEvT1_.num_agpr, 0
	.set _ZN7rocprim17ROCPRIM_400000_NS6detail17trampoline_kernelINS0_14default_configENS1_27scan_by_key_config_selectorIiiEEZZNS1_16scan_by_key_implILNS1_25lookback_scan_determinismE0ELb1ES3_N6thrust23THRUST_200600_302600_NS6detail15normal_iteratorINS9_10device_ptrIiEEEESE_SE_iNS9_4plusIiEE19head_flag_predicateiEE10hipError_tPvRmT2_T3_T4_T5_mT6_T7_P12ihipStream_tbENKUlT_T0_E_clISt17integral_constantIbLb0EESY_EEDaST_SU_EUlST_E_NS1_11comp_targetILNS1_3genE0ELNS1_11target_archE4294967295ELNS1_3gpuE0ELNS1_3repE0EEENS1_30default_config_static_selectorELNS0_4arch9wavefront6targetE0EEEvT1_.numbered_sgpr, 0
	.set _ZN7rocprim17ROCPRIM_400000_NS6detail17trampoline_kernelINS0_14default_configENS1_27scan_by_key_config_selectorIiiEEZZNS1_16scan_by_key_implILNS1_25lookback_scan_determinismE0ELb1ES3_N6thrust23THRUST_200600_302600_NS6detail15normal_iteratorINS9_10device_ptrIiEEEESE_SE_iNS9_4plusIiEE19head_flag_predicateiEE10hipError_tPvRmT2_T3_T4_T5_mT6_T7_P12ihipStream_tbENKUlT_T0_E_clISt17integral_constantIbLb0EESY_EEDaST_SU_EUlST_E_NS1_11comp_targetILNS1_3genE0ELNS1_11target_archE4294967295ELNS1_3gpuE0ELNS1_3repE0EEENS1_30default_config_static_selectorELNS0_4arch9wavefront6targetE0EEEvT1_.num_named_barrier, 0
	.set _ZN7rocprim17ROCPRIM_400000_NS6detail17trampoline_kernelINS0_14default_configENS1_27scan_by_key_config_selectorIiiEEZZNS1_16scan_by_key_implILNS1_25lookback_scan_determinismE0ELb1ES3_N6thrust23THRUST_200600_302600_NS6detail15normal_iteratorINS9_10device_ptrIiEEEESE_SE_iNS9_4plusIiEE19head_flag_predicateiEE10hipError_tPvRmT2_T3_T4_T5_mT6_T7_P12ihipStream_tbENKUlT_T0_E_clISt17integral_constantIbLb0EESY_EEDaST_SU_EUlST_E_NS1_11comp_targetILNS1_3genE0ELNS1_11target_archE4294967295ELNS1_3gpuE0ELNS1_3repE0EEENS1_30default_config_static_selectorELNS0_4arch9wavefront6targetE0EEEvT1_.private_seg_size, 0
	.set _ZN7rocprim17ROCPRIM_400000_NS6detail17trampoline_kernelINS0_14default_configENS1_27scan_by_key_config_selectorIiiEEZZNS1_16scan_by_key_implILNS1_25lookback_scan_determinismE0ELb1ES3_N6thrust23THRUST_200600_302600_NS6detail15normal_iteratorINS9_10device_ptrIiEEEESE_SE_iNS9_4plusIiEE19head_flag_predicateiEE10hipError_tPvRmT2_T3_T4_T5_mT6_T7_P12ihipStream_tbENKUlT_T0_E_clISt17integral_constantIbLb0EESY_EEDaST_SU_EUlST_E_NS1_11comp_targetILNS1_3genE0ELNS1_11target_archE4294967295ELNS1_3gpuE0ELNS1_3repE0EEENS1_30default_config_static_selectorELNS0_4arch9wavefront6targetE0EEEvT1_.uses_vcc, 0
	.set _ZN7rocprim17ROCPRIM_400000_NS6detail17trampoline_kernelINS0_14default_configENS1_27scan_by_key_config_selectorIiiEEZZNS1_16scan_by_key_implILNS1_25lookback_scan_determinismE0ELb1ES3_N6thrust23THRUST_200600_302600_NS6detail15normal_iteratorINS9_10device_ptrIiEEEESE_SE_iNS9_4plusIiEE19head_flag_predicateiEE10hipError_tPvRmT2_T3_T4_T5_mT6_T7_P12ihipStream_tbENKUlT_T0_E_clISt17integral_constantIbLb0EESY_EEDaST_SU_EUlST_E_NS1_11comp_targetILNS1_3genE0ELNS1_11target_archE4294967295ELNS1_3gpuE0ELNS1_3repE0EEENS1_30default_config_static_selectorELNS0_4arch9wavefront6targetE0EEEvT1_.uses_flat_scratch, 0
	.set _ZN7rocprim17ROCPRIM_400000_NS6detail17trampoline_kernelINS0_14default_configENS1_27scan_by_key_config_selectorIiiEEZZNS1_16scan_by_key_implILNS1_25lookback_scan_determinismE0ELb1ES3_N6thrust23THRUST_200600_302600_NS6detail15normal_iteratorINS9_10device_ptrIiEEEESE_SE_iNS9_4plusIiEE19head_flag_predicateiEE10hipError_tPvRmT2_T3_T4_T5_mT6_T7_P12ihipStream_tbENKUlT_T0_E_clISt17integral_constantIbLb0EESY_EEDaST_SU_EUlST_E_NS1_11comp_targetILNS1_3genE0ELNS1_11target_archE4294967295ELNS1_3gpuE0ELNS1_3repE0EEENS1_30default_config_static_selectorELNS0_4arch9wavefront6targetE0EEEvT1_.has_dyn_sized_stack, 0
	.set _ZN7rocprim17ROCPRIM_400000_NS6detail17trampoline_kernelINS0_14default_configENS1_27scan_by_key_config_selectorIiiEEZZNS1_16scan_by_key_implILNS1_25lookback_scan_determinismE0ELb1ES3_N6thrust23THRUST_200600_302600_NS6detail15normal_iteratorINS9_10device_ptrIiEEEESE_SE_iNS9_4plusIiEE19head_flag_predicateiEE10hipError_tPvRmT2_T3_T4_T5_mT6_T7_P12ihipStream_tbENKUlT_T0_E_clISt17integral_constantIbLb0EESY_EEDaST_SU_EUlST_E_NS1_11comp_targetILNS1_3genE0ELNS1_11target_archE4294967295ELNS1_3gpuE0ELNS1_3repE0EEENS1_30default_config_static_selectorELNS0_4arch9wavefront6targetE0EEEvT1_.has_recursion, 0
	.set _ZN7rocprim17ROCPRIM_400000_NS6detail17trampoline_kernelINS0_14default_configENS1_27scan_by_key_config_selectorIiiEEZZNS1_16scan_by_key_implILNS1_25lookback_scan_determinismE0ELb1ES3_N6thrust23THRUST_200600_302600_NS6detail15normal_iteratorINS9_10device_ptrIiEEEESE_SE_iNS9_4plusIiEE19head_flag_predicateiEE10hipError_tPvRmT2_T3_T4_T5_mT6_T7_P12ihipStream_tbENKUlT_T0_E_clISt17integral_constantIbLb0EESY_EEDaST_SU_EUlST_E_NS1_11comp_targetILNS1_3genE0ELNS1_11target_archE4294967295ELNS1_3gpuE0ELNS1_3repE0EEENS1_30default_config_static_selectorELNS0_4arch9wavefront6targetE0EEEvT1_.has_indirect_call, 0
	.section	.AMDGPU.csdata,"",@progbits
; Kernel info:
; codeLenInByte = 0
; TotalNumSgprs: 0
; NumVgprs: 0
; ScratchSize: 0
; MemoryBound: 0
; FloatMode: 240
; IeeeMode: 1
; LDSByteSize: 0 bytes/workgroup (compile time only)
; SGPRBlocks: 0
; VGPRBlocks: 0
; NumSGPRsForWavesPerEU: 1
; NumVGPRsForWavesPerEU: 1
; Occupancy: 16
; WaveLimiterHint : 0
; COMPUTE_PGM_RSRC2:SCRATCH_EN: 0
; COMPUTE_PGM_RSRC2:USER_SGPR: 6
; COMPUTE_PGM_RSRC2:TRAP_HANDLER: 0
; COMPUTE_PGM_RSRC2:TGID_X_EN: 1
; COMPUTE_PGM_RSRC2:TGID_Y_EN: 0
; COMPUTE_PGM_RSRC2:TGID_Z_EN: 0
; COMPUTE_PGM_RSRC2:TIDIG_COMP_CNT: 0
	.section	.text._ZN7rocprim17ROCPRIM_400000_NS6detail17trampoline_kernelINS0_14default_configENS1_27scan_by_key_config_selectorIiiEEZZNS1_16scan_by_key_implILNS1_25lookback_scan_determinismE0ELb1ES3_N6thrust23THRUST_200600_302600_NS6detail15normal_iteratorINS9_10device_ptrIiEEEESE_SE_iNS9_4plusIiEE19head_flag_predicateiEE10hipError_tPvRmT2_T3_T4_T5_mT6_T7_P12ihipStream_tbENKUlT_T0_E_clISt17integral_constantIbLb0EESY_EEDaST_SU_EUlST_E_NS1_11comp_targetILNS1_3genE10ELNS1_11target_archE1201ELNS1_3gpuE5ELNS1_3repE0EEENS1_30default_config_static_selectorELNS0_4arch9wavefront6targetE0EEEvT1_,"axG",@progbits,_ZN7rocprim17ROCPRIM_400000_NS6detail17trampoline_kernelINS0_14default_configENS1_27scan_by_key_config_selectorIiiEEZZNS1_16scan_by_key_implILNS1_25lookback_scan_determinismE0ELb1ES3_N6thrust23THRUST_200600_302600_NS6detail15normal_iteratorINS9_10device_ptrIiEEEESE_SE_iNS9_4plusIiEE19head_flag_predicateiEE10hipError_tPvRmT2_T3_T4_T5_mT6_T7_P12ihipStream_tbENKUlT_T0_E_clISt17integral_constantIbLb0EESY_EEDaST_SU_EUlST_E_NS1_11comp_targetILNS1_3genE10ELNS1_11target_archE1201ELNS1_3gpuE5ELNS1_3repE0EEENS1_30default_config_static_selectorELNS0_4arch9wavefront6targetE0EEEvT1_,comdat
	.protected	_ZN7rocprim17ROCPRIM_400000_NS6detail17trampoline_kernelINS0_14default_configENS1_27scan_by_key_config_selectorIiiEEZZNS1_16scan_by_key_implILNS1_25lookback_scan_determinismE0ELb1ES3_N6thrust23THRUST_200600_302600_NS6detail15normal_iteratorINS9_10device_ptrIiEEEESE_SE_iNS9_4plusIiEE19head_flag_predicateiEE10hipError_tPvRmT2_T3_T4_T5_mT6_T7_P12ihipStream_tbENKUlT_T0_E_clISt17integral_constantIbLb0EESY_EEDaST_SU_EUlST_E_NS1_11comp_targetILNS1_3genE10ELNS1_11target_archE1201ELNS1_3gpuE5ELNS1_3repE0EEENS1_30default_config_static_selectorELNS0_4arch9wavefront6targetE0EEEvT1_ ; -- Begin function _ZN7rocprim17ROCPRIM_400000_NS6detail17trampoline_kernelINS0_14default_configENS1_27scan_by_key_config_selectorIiiEEZZNS1_16scan_by_key_implILNS1_25lookback_scan_determinismE0ELb1ES3_N6thrust23THRUST_200600_302600_NS6detail15normal_iteratorINS9_10device_ptrIiEEEESE_SE_iNS9_4plusIiEE19head_flag_predicateiEE10hipError_tPvRmT2_T3_T4_T5_mT6_T7_P12ihipStream_tbENKUlT_T0_E_clISt17integral_constantIbLb0EESY_EEDaST_SU_EUlST_E_NS1_11comp_targetILNS1_3genE10ELNS1_11target_archE1201ELNS1_3gpuE5ELNS1_3repE0EEENS1_30default_config_static_selectorELNS0_4arch9wavefront6targetE0EEEvT1_
	.globl	_ZN7rocprim17ROCPRIM_400000_NS6detail17trampoline_kernelINS0_14default_configENS1_27scan_by_key_config_selectorIiiEEZZNS1_16scan_by_key_implILNS1_25lookback_scan_determinismE0ELb1ES3_N6thrust23THRUST_200600_302600_NS6detail15normal_iteratorINS9_10device_ptrIiEEEESE_SE_iNS9_4plusIiEE19head_flag_predicateiEE10hipError_tPvRmT2_T3_T4_T5_mT6_T7_P12ihipStream_tbENKUlT_T0_E_clISt17integral_constantIbLb0EESY_EEDaST_SU_EUlST_E_NS1_11comp_targetILNS1_3genE10ELNS1_11target_archE1201ELNS1_3gpuE5ELNS1_3repE0EEENS1_30default_config_static_selectorELNS0_4arch9wavefront6targetE0EEEvT1_
	.p2align	8
	.type	_ZN7rocprim17ROCPRIM_400000_NS6detail17trampoline_kernelINS0_14default_configENS1_27scan_by_key_config_selectorIiiEEZZNS1_16scan_by_key_implILNS1_25lookback_scan_determinismE0ELb1ES3_N6thrust23THRUST_200600_302600_NS6detail15normal_iteratorINS9_10device_ptrIiEEEESE_SE_iNS9_4plusIiEE19head_flag_predicateiEE10hipError_tPvRmT2_T3_T4_T5_mT6_T7_P12ihipStream_tbENKUlT_T0_E_clISt17integral_constantIbLb0EESY_EEDaST_SU_EUlST_E_NS1_11comp_targetILNS1_3genE10ELNS1_11target_archE1201ELNS1_3gpuE5ELNS1_3repE0EEENS1_30default_config_static_selectorELNS0_4arch9wavefront6targetE0EEEvT1_,@function
_ZN7rocprim17ROCPRIM_400000_NS6detail17trampoline_kernelINS0_14default_configENS1_27scan_by_key_config_selectorIiiEEZZNS1_16scan_by_key_implILNS1_25lookback_scan_determinismE0ELb1ES3_N6thrust23THRUST_200600_302600_NS6detail15normal_iteratorINS9_10device_ptrIiEEEESE_SE_iNS9_4plusIiEE19head_flag_predicateiEE10hipError_tPvRmT2_T3_T4_T5_mT6_T7_P12ihipStream_tbENKUlT_T0_E_clISt17integral_constantIbLb0EESY_EEDaST_SU_EUlST_E_NS1_11comp_targetILNS1_3genE10ELNS1_11target_archE1201ELNS1_3gpuE5ELNS1_3repE0EEENS1_30default_config_static_selectorELNS0_4arch9wavefront6targetE0EEEvT1_: ; @_ZN7rocprim17ROCPRIM_400000_NS6detail17trampoline_kernelINS0_14default_configENS1_27scan_by_key_config_selectorIiiEEZZNS1_16scan_by_key_implILNS1_25lookback_scan_determinismE0ELb1ES3_N6thrust23THRUST_200600_302600_NS6detail15normal_iteratorINS9_10device_ptrIiEEEESE_SE_iNS9_4plusIiEE19head_flag_predicateiEE10hipError_tPvRmT2_T3_T4_T5_mT6_T7_P12ihipStream_tbENKUlT_T0_E_clISt17integral_constantIbLb0EESY_EEDaST_SU_EUlST_E_NS1_11comp_targetILNS1_3genE10ELNS1_11target_archE1201ELNS1_3gpuE5ELNS1_3repE0EEENS1_30default_config_static_selectorELNS0_4arch9wavefront6targetE0EEEvT1_
; %bb.0:
	.section	.rodata,"a",@progbits
	.p2align	6, 0x0
	.amdhsa_kernel _ZN7rocprim17ROCPRIM_400000_NS6detail17trampoline_kernelINS0_14default_configENS1_27scan_by_key_config_selectorIiiEEZZNS1_16scan_by_key_implILNS1_25lookback_scan_determinismE0ELb1ES3_N6thrust23THRUST_200600_302600_NS6detail15normal_iteratorINS9_10device_ptrIiEEEESE_SE_iNS9_4plusIiEE19head_flag_predicateiEE10hipError_tPvRmT2_T3_T4_T5_mT6_T7_P12ihipStream_tbENKUlT_T0_E_clISt17integral_constantIbLb0EESY_EEDaST_SU_EUlST_E_NS1_11comp_targetILNS1_3genE10ELNS1_11target_archE1201ELNS1_3gpuE5ELNS1_3repE0EEENS1_30default_config_static_selectorELNS0_4arch9wavefront6targetE0EEEvT1_
		.amdhsa_group_segment_fixed_size 0
		.amdhsa_private_segment_fixed_size 0
		.amdhsa_kernarg_size 112
		.amdhsa_user_sgpr_count 6
		.amdhsa_user_sgpr_private_segment_buffer 1
		.amdhsa_user_sgpr_dispatch_ptr 0
		.amdhsa_user_sgpr_queue_ptr 0
		.amdhsa_user_sgpr_kernarg_segment_ptr 1
		.amdhsa_user_sgpr_dispatch_id 0
		.amdhsa_user_sgpr_flat_scratch_init 0
		.amdhsa_user_sgpr_private_segment_size 0
		.amdhsa_wavefront_size32 1
		.amdhsa_uses_dynamic_stack 0
		.amdhsa_system_sgpr_private_segment_wavefront_offset 0
		.amdhsa_system_sgpr_workgroup_id_x 1
		.amdhsa_system_sgpr_workgroup_id_y 0
		.amdhsa_system_sgpr_workgroup_id_z 0
		.amdhsa_system_sgpr_workgroup_info 0
		.amdhsa_system_vgpr_workitem_id 0
		.amdhsa_next_free_vgpr 1
		.amdhsa_next_free_sgpr 1
		.amdhsa_reserve_vcc 0
		.amdhsa_reserve_flat_scratch 0
		.amdhsa_float_round_mode_32 0
		.amdhsa_float_round_mode_16_64 0
		.amdhsa_float_denorm_mode_32 3
		.amdhsa_float_denorm_mode_16_64 3
		.amdhsa_dx10_clamp 1
		.amdhsa_ieee_mode 1
		.amdhsa_fp16_overflow 0
		.amdhsa_workgroup_processor_mode 1
		.amdhsa_memory_ordered 1
		.amdhsa_forward_progress 1
		.amdhsa_shared_vgpr_count 0
		.amdhsa_exception_fp_ieee_invalid_op 0
		.amdhsa_exception_fp_denorm_src 0
		.amdhsa_exception_fp_ieee_div_zero 0
		.amdhsa_exception_fp_ieee_overflow 0
		.amdhsa_exception_fp_ieee_underflow 0
		.amdhsa_exception_fp_ieee_inexact 0
		.amdhsa_exception_int_div_zero 0
	.end_amdhsa_kernel
	.section	.text._ZN7rocprim17ROCPRIM_400000_NS6detail17trampoline_kernelINS0_14default_configENS1_27scan_by_key_config_selectorIiiEEZZNS1_16scan_by_key_implILNS1_25lookback_scan_determinismE0ELb1ES3_N6thrust23THRUST_200600_302600_NS6detail15normal_iteratorINS9_10device_ptrIiEEEESE_SE_iNS9_4plusIiEE19head_flag_predicateiEE10hipError_tPvRmT2_T3_T4_T5_mT6_T7_P12ihipStream_tbENKUlT_T0_E_clISt17integral_constantIbLb0EESY_EEDaST_SU_EUlST_E_NS1_11comp_targetILNS1_3genE10ELNS1_11target_archE1201ELNS1_3gpuE5ELNS1_3repE0EEENS1_30default_config_static_selectorELNS0_4arch9wavefront6targetE0EEEvT1_,"axG",@progbits,_ZN7rocprim17ROCPRIM_400000_NS6detail17trampoline_kernelINS0_14default_configENS1_27scan_by_key_config_selectorIiiEEZZNS1_16scan_by_key_implILNS1_25lookback_scan_determinismE0ELb1ES3_N6thrust23THRUST_200600_302600_NS6detail15normal_iteratorINS9_10device_ptrIiEEEESE_SE_iNS9_4plusIiEE19head_flag_predicateiEE10hipError_tPvRmT2_T3_T4_T5_mT6_T7_P12ihipStream_tbENKUlT_T0_E_clISt17integral_constantIbLb0EESY_EEDaST_SU_EUlST_E_NS1_11comp_targetILNS1_3genE10ELNS1_11target_archE1201ELNS1_3gpuE5ELNS1_3repE0EEENS1_30default_config_static_selectorELNS0_4arch9wavefront6targetE0EEEvT1_,comdat
.Lfunc_end786:
	.size	_ZN7rocprim17ROCPRIM_400000_NS6detail17trampoline_kernelINS0_14default_configENS1_27scan_by_key_config_selectorIiiEEZZNS1_16scan_by_key_implILNS1_25lookback_scan_determinismE0ELb1ES3_N6thrust23THRUST_200600_302600_NS6detail15normal_iteratorINS9_10device_ptrIiEEEESE_SE_iNS9_4plusIiEE19head_flag_predicateiEE10hipError_tPvRmT2_T3_T4_T5_mT6_T7_P12ihipStream_tbENKUlT_T0_E_clISt17integral_constantIbLb0EESY_EEDaST_SU_EUlST_E_NS1_11comp_targetILNS1_3genE10ELNS1_11target_archE1201ELNS1_3gpuE5ELNS1_3repE0EEENS1_30default_config_static_selectorELNS0_4arch9wavefront6targetE0EEEvT1_, .Lfunc_end786-_ZN7rocprim17ROCPRIM_400000_NS6detail17trampoline_kernelINS0_14default_configENS1_27scan_by_key_config_selectorIiiEEZZNS1_16scan_by_key_implILNS1_25lookback_scan_determinismE0ELb1ES3_N6thrust23THRUST_200600_302600_NS6detail15normal_iteratorINS9_10device_ptrIiEEEESE_SE_iNS9_4plusIiEE19head_flag_predicateiEE10hipError_tPvRmT2_T3_T4_T5_mT6_T7_P12ihipStream_tbENKUlT_T0_E_clISt17integral_constantIbLb0EESY_EEDaST_SU_EUlST_E_NS1_11comp_targetILNS1_3genE10ELNS1_11target_archE1201ELNS1_3gpuE5ELNS1_3repE0EEENS1_30default_config_static_selectorELNS0_4arch9wavefront6targetE0EEEvT1_
                                        ; -- End function
	.set _ZN7rocprim17ROCPRIM_400000_NS6detail17trampoline_kernelINS0_14default_configENS1_27scan_by_key_config_selectorIiiEEZZNS1_16scan_by_key_implILNS1_25lookback_scan_determinismE0ELb1ES3_N6thrust23THRUST_200600_302600_NS6detail15normal_iteratorINS9_10device_ptrIiEEEESE_SE_iNS9_4plusIiEE19head_flag_predicateiEE10hipError_tPvRmT2_T3_T4_T5_mT6_T7_P12ihipStream_tbENKUlT_T0_E_clISt17integral_constantIbLb0EESY_EEDaST_SU_EUlST_E_NS1_11comp_targetILNS1_3genE10ELNS1_11target_archE1201ELNS1_3gpuE5ELNS1_3repE0EEENS1_30default_config_static_selectorELNS0_4arch9wavefront6targetE0EEEvT1_.num_vgpr, 0
	.set _ZN7rocprim17ROCPRIM_400000_NS6detail17trampoline_kernelINS0_14default_configENS1_27scan_by_key_config_selectorIiiEEZZNS1_16scan_by_key_implILNS1_25lookback_scan_determinismE0ELb1ES3_N6thrust23THRUST_200600_302600_NS6detail15normal_iteratorINS9_10device_ptrIiEEEESE_SE_iNS9_4plusIiEE19head_flag_predicateiEE10hipError_tPvRmT2_T3_T4_T5_mT6_T7_P12ihipStream_tbENKUlT_T0_E_clISt17integral_constantIbLb0EESY_EEDaST_SU_EUlST_E_NS1_11comp_targetILNS1_3genE10ELNS1_11target_archE1201ELNS1_3gpuE5ELNS1_3repE0EEENS1_30default_config_static_selectorELNS0_4arch9wavefront6targetE0EEEvT1_.num_agpr, 0
	.set _ZN7rocprim17ROCPRIM_400000_NS6detail17trampoline_kernelINS0_14default_configENS1_27scan_by_key_config_selectorIiiEEZZNS1_16scan_by_key_implILNS1_25lookback_scan_determinismE0ELb1ES3_N6thrust23THRUST_200600_302600_NS6detail15normal_iteratorINS9_10device_ptrIiEEEESE_SE_iNS9_4plusIiEE19head_flag_predicateiEE10hipError_tPvRmT2_T3_T4_T5_mT6_T7_P12ihipStream_tbENKUlT_T0_E_clISt17integral_constantIbLb0EESY_EEDaST_SU_EUlST_E_NS1_11comp_targetILNS1_3genE10ELNS1_11target_archE1201ELNS1_3gpuE5ELNS1_3repE0EEENS1_30default_config_static_selectorELNS0_4arch9wavefront6targetE0EEEvT1_.numbered_sgpr, 0
	.set _ZN7rocprim17ROCPRIM_400000_NS6detail17trampoline_kernelINS0_14default_configENS1_27scan_by_key_config_selectorIiiEEZZNS1_16scan_by_key_implILNS1_25lookback_scan_determinismE0ELb1ES3_N6thrust23THRUST_200600_302600_NS6detail15normal_iteratorINS9_10device_ptrIiEEEESE_SE_iNS9_4plusIiEE19head_flag_predicateiEE10hipError_tPvRmT2_T3_T4_T5_mT6_T7_P12ihipStream_tbENKUlT_T0_E_clISt17integral_constantIbLb0EESY_EEDaST_SU_EUlST_E_NS1_11comp_targetILNS1_3genE10ELNS1_11target_archE1201ELNS1_3gpuE5ELNS1_3repE0EEENS1_30default_config_static_selectorELNS0_4arch9wavefront6targetE0EEEvT1_.num_named_barrier, 0
	.set _ZN7rocprim17ROCPRIM_400000_NS6detail17trampoline_kernelINS0_14default_configENS1_27scan_by_key_config_selectorIiiEEZZNS1_16scan_by_key_implILNS1_25lookback_scan_determinismE0ELb1ES3_N6thrust23THRUST_200600_302600_NS6detail15normal_iteratorINS9_10device_ptrIiEEEESE_SE_iNS9_4plusIiEE19head_flag_predicateiEE10hipError_tPvRmT2_T3_T4_T5_mT6_T7_P12ihipStream_tbENKUlT_T0_E_clISt17integral_constantIbLb0EESY_EEDaST_SU_EUlST_E_NS1_11comp_targetILNS1_3genE10ELNS1_11target_archE1201ELNS1_3gpuE5ELNS1_3repE0EEENS1_30default_config_static_selectorELNS0_4arch9wavefront6targetE0EEEvT1_.private_seg_size, 0
	.set _ZN7rocprim17ROCPRIM_400000_NS6detail17trampoline_kernelINS0_14default_configENS1_27scan_by_key_config_selectorIiiEEZZNS1_16scan_by_key_implILNS1_25lookback_scan_determinismE0ELb1ES3_N6thrust23THRUST_200600_302600_NS6detail15normal_iteratorINS9_10device_ptrIiEEEESE_SE_iNS9_4plusIiEE19head_flag_predicateiEE10hipError_tPvRmT2_T3_T4_T5_mT6_T7_P12ihipStream_tbENKUlT_T0_E_clISt17integral_constantIbLb0EESY_EEDaST_SU_EUlST_E_NS1_11comp_targetILNS1_3genE10ELNS1_11target_archE1201ELNS1_3gpuE5ELNS1_3repE0EEENS1_30default_config_static_selectorELNS0_4arch9wavefront6targetE0EEEvT1_.uses_vcc, 0
	.set _ZN7rocprim17ROCPRIM_400000_NS6detail17trampoline_kernelINS0_14default_configENS1_27scan_by_key_config_selectorIiiEEZZNS1_16scan_by_key_implILNS1_25lookback_scan_determinismE0ELb1ES3_N6thrust23THRUST_200600_302600_NS6detail15normal_iteratorINS9_10device_ptrIiEEEESE_SE_iNS9_4plusIiEE19head_flag_predicateiEE10hipError_tPvRmT2_T3_T4_T5_mT6_T7_P12ihipStream_tbENKUlT_T0_E_clISt17integral_constantIbLb0EESY_EEDaST_SU_EUlST_E_NS1_11comp_targetILNS1_3genE10ELNS1_11target_archE1201ELNS1_3gpuE5ELNS1_3repE0EEENS1_30default_config_static_selectorELNS0_4arch9wavefront6targetE0EEEvT1_.uses_flat_scratch, 0
	.set _ZN7rocprim17ROCPRIM_400000_NS6detail17trampoline_kernelINS0_14default_configENS1_27scan_by_key_config_selectorIiiEEZZNS1_16scan_by_key_implILNS1_25lookback_scan_determinismE0ELb1ES3_N6thrust23THRUST_200600_302600_NS6detail15normal_iteratorINS9_10device_ptrIiEEEESE_SE_iNS9_4plusIiEE19head_flag_predicateiEE10hipError_tPvRmT2_T3_T4_T5_mT6_T7_P12ihipStream_tbENKUlT_T0_E_clISt17integral_constantIbLb0EESY_EEDaST_SU_EUlST_E_NS1_11comp_targetILNS1_3genE10ELNS1_11target_archE1201ELNS1_3gpuE5ELNS1_3repE0EEENS1_30default_config_static_selectorELNS0_4arch9wavefront6targetE0EEEvT1_.has_dyn_sized_stack, 0
	.set _ZN7rocprim17ROCPRIM_400000_NS6detail17trampoline_kernelINS0_14default_configENS1_27scan_by_key_config_selectorIiiEEZZNS1_16scan_by_key_implILNS1_25lookback_scan_determinismE0ELb1ES3_N6thrust23THRUST_200600_302600_NS6detail15normal_iteratorINS9_10device_ptrIiEEEESE_SE_iNS9_4plusIiEE19head_flag_predicateiEE10hipError_tPvRmT2_T3_T4_T5_mT6_T7_P12ihipStream_tbENKUlT_T0_E_clISt17integral_constantIbLb0EESY_EEDaST_SU_EUlST_E_NS1_11comp_targetILNS1_3genE10ELNS1_11target_archE1201ELNS1_3gpuE5ELNS1_3repE0EEENS1_30default_config_static_selectorELNS0_4arch9wavefront6targetE0EEEvT1_.has_recursion, 0
	.set _ZN7rocprim17ROCPRIM_400000_NS6detail17trampoline_kernelINS0_14default_configENS1_27scan_by_key_config_selectorIiiEEZZNS1_16scan_by_key_implILNS1_25lookback_scan_determinismE0ELb1ES3_N6thrust23THRUST_200600_302600_NS6detail15normal_iteratorINS9_10device_ptrIiEEEESE_SE_iNS9_4plusIiEE19head_flag_predicateiEE10hipError_tPvRmT2_T3_T4_T5_mT6_T7_P12ihipStream_tbENKUlT_T0_E_clISt17integral_constantIbLb0EESY_EEDaST_SU_EUlST_E_NS1_11comp_targetILNS1_3genE10ELNS1_11target_archE1201ELNS1_3gpuE5ELNS1_3repE0EEENS1_30default_config_static_selectorELNS0_4arch9wavefront6targetE0EEEvT1_.has_indirect_call, 0
	.section	.AMDGPU.csdata,"",@progbits
; Kernel info:
; codeLenInByte = 0
; TotalNumSgprs: 0
; NumVgprs: 0
; ScratchSize: 0
; MemoryBound: 0
; FloatMode: 240
; IeeeMode: 1
; LDSByteSize: 0 bytes/workgroup (compile time only)
; SGPRBlocks: 0
; VGPRBlocks: 0
; NumSGPRsForWavesPerEU: 1
; NumVGPRsForWavesPerEU: 1
; Occupancy: 16
; WaveLimiterHint : 0
; COMPUTE_PGM_RSRC2:SCRATCH_EN: 0
; COMPUTE_PGM_RSRC2:USER_SGPR: 6
; COMPUTE_PGM_RSRC2:TRAP_HANDLER: 0
; COMPUTE_PGM_RSRC2:TGID_X_EN: 1
; COMPUTE_PGM_RSRC2:TGID_Y_EN: 0
; COMPUTE_PGM_RSRC2:TGID_Z_EN: 0
; COMPUTE_PGM_RSRC2:TIDIG_COMP_CNT: 0
	.section	.text._ZN7rocprim17ROCPRIM_400000_NS6detail17trampoline_kernelINS0_14default_configENS1_27scan_by_key_config_selectorIiiEEZZNS1_16scan_by_key_implILNS1_25lookback_scan_determinismE0ELb1ES3_N6thrust23THRUST_200600_302600_NS6detail15normal_iteratorINS9_10device_ptrIiEEEESE_SE_iNS9_4plusIiEE19head_flag_predicateiEE10hipError_tPvRmT2_T3_T4_T5_mT6_T7_P12ihipStream_tbENKUlT_T0_E_clISt17integral_constantIbLb0EESY_EEDaST_SU_EUlST_E_NS1_11comp_targetILNS1_3genE5ELNS1_11target_archE942ELNS1_3gpuE9ELNS1_3repE0EEENS1_30default_config_static_selectorELNS0_4arch9wavefront6targetE0EEEvT1_,"axG",@progbits,_ZN7rocprim17ROCPRIM_400000_NS6detail17trampoline_kernelINS0_14default_configENS1_27scan_by_key_config_selectorIiiEEZZNS1_16scan_by_key_implILNS1_25lookback_scan_determinismE0ELb1ES3_N6thrust23THRUST_200600_302600_NS6detail15normal_iteratorINS9_10device_ptrIiEEEESE_SE_iNS9_4plusIiEE19head_flag_predicateiEE10hipError_tPvRmT2_T3_T4_T5_mT6_T7_P12ihipStream_tbENKUlT_T0_E_clISt17integral_constantIbLb0EESY_EEDaST_SU_EUlST_E_NS1_11comp_targetILNS1_3genE5ELNS1_11target_archE942ELNS1_3gpuE9ELNS1_3repE0EEENS1_30default_config_static_selectorELNS0_4arch9wavefront6targetE0EEEvT1_,comdat
	.protected	_ZN7rocprim17ROCPRIM_400000_NS6detail17trampoline_kernelINS0_14default_configENS1_27scan_by_key_config_selectorIiiEEZZNS1_16scan_by_key_implILNS1_25lookback_scan_determinismE0ELb1ES3_N6thrust23THRUST_200600_302600_NS6detail15normal_iteratorINS9_10device_ptrIiEEEESE_SE_iNS9_4plusIiEE19head_flag_predicateiEE10hipError_tPvRmT2_T3_T4_T5_mT6_T7_P12ihipStream_tbENKUlT_T0_E_clISt17integral_constantIbLb0EESY_EEDaST_SU_EUlST_E_NS1_11comp_targetILNS1_3genE5ELNS1_11target_archE942ELNS1_3gpuE9ELNS1_3repE0EEENS1_30default_config_static_selectorELNS0_4arch9wavefront6targetE0EEEvT1_ ; -- Begin function _ZN7rocprim17ROCPRIM_400000_NS6detail17trampoline_kernelINS0_14default_configENS1_27scan_by_key_config_selectorIiiEEZZNS1_16scan_by_key_implILNS1_25lookback_scan_determinismE0ELb1ES3_N6thrust23THRUST_200600_302600_NS6detail15normal_iteratorINS9_10device_ptrIiEEEESE_SE_iNS9_4plusIiEE19head_flag_predicateiEE10hipError_tPvRmT2_T3_T4_T5_mT6_T7_P12ihipStream_tbENKUlT_T0_E_clISt17integral_constantIbLb0EESY_EEDaST_SU_EUlST_E_NS1_11comp_targetILNS1_3genE5ELNS1_11target_archE942ELNS1_3gpuE9ELNS1_3repE0EEENS1_30default_config_static_selectorELNS0_4arch9wavefront6targetE0EEEvT1_
	.globl	_ZN7rocprim17ROCPRIM_400000_NS6detail17trampoline_kernelINS0_14default_configENS1_27scan_by_key_config_selectorIiiEEZZNS1_16scan_by_key_implILNS1_25lookback_scan_determinismE0ELb1ES3_N6thrust23THRUST_200600_302600_NS6detail15normal_iteratorINS9_10device_ptrIiEEEESE_SE_iNS9_4plusIiEE19head_flag_predicateiEE10hipError_tPvRmT2_T3_T4_T5_mT6_T7_P12ihipStream_tbENKUlT_T0_E_clISt17integral_constantIbLb0EESY_EEDaST_SU_EUlST_E_NS1_11comp_targetILNS1_3genE5ELNS1_11target_archE942ELNS1_3gpuE9ELNS1_3repE0EEENS1_30default_config_static_selectorELNS0_4arch9wavefront6targetE0EEEvT1_
	.p2align	8
	.type	_ZN7rocprim17ROCPRIM_400000_NS6detail17trampoline_kernelINS0_14default_configENS1_27scan_by_key_config_selectorIiiEEZZNS1_16scan_by_key_implILNS1_25lookback_scan_determinismE0ELb1ES3_N6thrust23THRUST_200600_302600_NS6detail15normal_iteratorINS9_10device_ptrIiEEEESE_SE_iNS9_4plusIiEE19head_flag_predicateiEE10hipError_tPvRmT2_T3_T4_T5_mT6_T7_P12ihipStream_tbENKUlT_T0_E_clISt17integral_constantIbLb0EESY_EEDaST_SU_EUlST_E_NS1_11comp_targetILNS1_3genE5ELNS1_11target_archE942ELNS1_3gpuE9ELNS1_3repE0EEENS1_30default_config_static_selectorELNS0_4arch9wavefront6targetE0EEEvT1_,@function
_ZN7rocprim17ROCPRIM_400000_NS6detail17trampoline_kernelINS0_14default_configENS1_27scan_by_key_config_selectorIiiEEZZNS1_16scan_by_key_implILNS1_25lookback_scan_determinismE0ELb1ES3_N6thrust23THRUST_200600_302600_NS6detail15normal_iteratorINS9_10device_ptrIiEEEESE_SE_iNS9_4plusIiEE19head_flag_predicateiEE10hipError_tPvRmT2_T3_T4_T5_mT6_T7_P12ihipStream_tbENKUlT_T0_E_clISt17integral_constantIbLb0EESY_EEDaST_SU_EUlST_E_NS1_11comp_targetILNS1_3genE5ELNS1_11target_archE942ELNS1_3gpuE9ELNS1_3repE0EEENS1_30default_config_static_selectorELNS0_4arch9wavefront6targetE0EEEvT1_: ; @_ZN7rocprim17ROCPRIM_400000_NS6detail17trampoline_kernelINS0_14default_configENS1_27scan_by_key_config_selectorIiiEEZZNS1_16scan_by_key_implILNS1_25lookback_scan_determinismE0ELb1ES3_N6thrust23THRUST_200600_302600_NS6detail15normal_iteratorINS9_10device_ptrIiEEEESE_SE_iNS9_4plusIiEE19head_flag_predicateiEE10hipError_tPvRmT2_T3_T4_T5_mT6_T7_P12ihipStream_tbENKUlT_T0_E_clISt17integral_constantIbLb0EESY_EEDaST_SU_EUlST_E_NS1_11comp_targetILNS1_3genE5ELNS1_11target_archE942ELNS1_3gpuE9ELNS1_3repE0EEENS1_30default_config_static_selectorELNS0_4arch9wavefront6targetE0EEEvT1_
; %bb.0:
	.section	.rodata,"a",@progbits
	.p2align	6, 0x0
	.amdhsa_kernel _ZN7rocprim17ROCPRIM_400000_NS6detail17trampoline_kernelINS0_14default_configENS1_27scan_by_key_config_selectorIiiEEZZNS1_16scan_by_key_implILNS1_25lookback_scan_determinismE0ELb1ES3_N6thrust23THRUST_200600_302600_NS6detail15normal_iteratorINS9_10device_ptrIiEEEESE_SE_iNS9_4plusIiEE19head_flag_predicateiEE10hipError_tPvRmT2_T3_T4_T5_mT6_T7_P12ihipStream_tbENKUlT_T0_E_clISt17integral_constantIbLb0EESY_EEDaST_SU_EUlST_E_NS1_11comp_targetILNS1_3genE5ELNS1_11target_archE942ELNS1_3gpuE9ELNS1_3repE0EEENS1_30default_config_static_selectorELNS0_4arch9wavefront6targetE0EEEvT1_
		.amdhsa_group_segment_fixed_size 0
		.amdhsa_private_segment_fixed_size 0
		.amdhsa_kernarg_size 112
		.amdhsa_user_sgpr_count 6
		.amdhsa_user_sgpr_private_segment_buffer 1
		.amdhsa_user_sgpr_dispatch_ptr 0
		.amdhsa_user_sgpr_queue_ptr 0
		.amdhsa_user_sgpr_kernarg_segment_ptr 1
		.amdhsa_user_sgpr_dispatch_id 0
		.amdhsa_user_sgpr_flat_scratch_init 0
		.amdhsa_user_sgpr_private_segment_size 0
		.amdhsa_wavefront_size32 1
		.amdhsa_uses_dynamic_stack 0
		.amdhsa_system_sgpr_private_segment_wavefront_offset 0
		.amdhsa_system_sgpr_workgroup_id_x 1
		.amdhsa_system_sgpr_workgroup_id_y 0
		.amdhsa_system_sgpr_workgroup_id_z 0
		.amdhsa_system_sgpr_workgroup_info 0
		.amdhsa_system_vgpr_workitem_id 0
		.amdhsa_next_free_vgpr 1
		.amdhsa_next_free_sgpr 1
		.amdhsa_reserve_vcc 0
		.amdhsa_reserve_flat_scratch 0
		.amdhsa_float_round_mode_32 0
		.amdhsa_float_round_mode_16_64 0
		.amdhsa_float_denorm_mode_32 3
		.amdhsa_float_denorm_mode_16_64 3
		.amdhsa_dx10_clamp 1
		.amdhsa_ieee_mode 1
		.amdhsa_fp16_overflow 0
		.amdhsa_workgroup_processor_mode 1
		.amdhsa_memory_ordered 1
		.amdhsa_forward_progress 1
		.amdhsa_shared_vgpr_count 0
		.amdhsa_exception_fp_ieee_invalid_op 0
		.amdhsa_exception_fp_denorm_src 0
		.amdhsa_exception_fp_ieee_div_zero 0
		.amdhsa_exception_fp_ieee_overflow 0
		.amdhsa_exception_fp_ieee_underflow 0
		.amdhsa_exception_fp_ieee_inexact 0
		.amdhsa_exception_int_div_zero 0
	.end_amdhsa_kernel
	.section	.text._ZN7rocprim17ROCPRIM_400000_NS6detail17trampoline_kernelINS0_14default_configENS1_27scan_by_key_config_selectorIiiEEZZNS1_16scan_by_key_implILNS1_25lookback_scan_determinismE0ELb1ES3_N6thrust23THRUST_200600_302600_NS6detail15normal_iteratorINS9_10device_ptrIiEEEESE_SE_iNS9_4plusIiEE19head_flag_predicateiEE10hipError_tPvRmT2_T3_T4_T5_mT6_T7_P12ihipStream_tbENKUlT_T0_E_clISt17integral_constantIbLb0EESY_EEDaST_SU_EUlST_E_NS1_11comp_targetILNS1_3genE5ELNS1_11target_archE942ELNS1_3gpuE9ELNS1_3repE0EEENS1_30default_config_static_selectorELNS0_4arch9wavefront6targetE0EEEvT1_,"axG",@progbits,_ZN7rocprim17ROCPRIM_400000_NS6detail17trampoline_kernelINS0_14default_configENS1_27scan_by_key_config_selectorIiiEEZZNS1_16scan_by_key_implILNS1_25lookback_scan_determinismE0ELb1ES3_N6thrust23THRUST_200600_302600_NS6detail15normal_iteratorINS9_10device_ptrIiEEEESE_SE_iNS9_4plusIiEE19head_flag_predicateiEE10hipError_tPvRmT2_T3_T4_T5_mT6_T7_P12ihipStream_tbENKUlT_T0_E_clISt17integral_constantIbLb0EESY_EEDaST_SU_EUlST_E_NS1_11comp_targetILNS1_3genE5ELNS1_11target_archE942ELNS1_3gpuE9ELNS1_3repE0EEENS1_30default_config_static_selectorELNS0_4arch9wavefront6targetE0EEEvT1_,comdat
.Lfunc_end787:
	.size	_ZN7rocprim17ROCPRIM_400000_NS6detail17trampoline_kernelINS0_14default_configENS1_27scan_by_key_config_selectorIiiEEZZNS1_16scan_by_key_implILNS1_25lookback_scan_determinismE0ELb1ES3_N6thrust23THRUST_200600_302600_NS6detail15normal_iteratorINS9_10device_ptrIiEEEESE_SE_iNS9_4plusIiEE19head_flag_predicateiEE10hipError_tPvRmT2_T3_T4_T5_mT6_T7_P12ihipStream_tbENKUlT_T0_E_clISt17integral_constantIbLb0EESY_EEDaST_SU_EUlST_E_NS1_11comp_targetILNS1_3genE5ELNS1_11target_archE942ELNS1_3gpuE9ELNS1_3repE0EEENS1_30default_config_static_selectorELNS0_4arch9wavefront6targetE0EEEvT1_, .Lfunc_end787-_ZN7rocprim17ROCPRIM_400000_NS6detail17trampoline_kernelINS0_14default_configENS1_27scan_by_key_config_selectorIiiEEZZNS1_16scan_by_key_implILNS1_25lookback_scan_determinismE0ELb1ES3_N6thrust23THRUST_200600_302600_NS6detail15normal_iteratorINS9_10device_ptrIiEEEESE_SE_iNS9_4plusIiEE19head_flag_predicateiEE10hipError_tPvRmT2_T3_T4_T5_mT6_T7_P12ihipStream_tbENKUlT_T0_E_clISt17integral_constantIbLb0EESY_EEDaST_SU_EUlST_E_NS1_11comp_targetILNS1_3genE5ELNS1_11target_archE942ELNS1_3gpuE9ELNS1_3repE0EEENS1_30default_config_static_selectorELNS0_4arch9wavefront6targetE0EEEvT1_
                                        ; -- End function
	.set _ZN7rocprim17ROCPRIM_400000_NS6detail17trampoline_kernelINS0_14default_configENS1_27scan_by_key_config_selectorIiiEEZZNS1_16scan_by_key_implILNS1_25lookback_scan_determinismE0ELb1ES3_N6thrust23THRUST_200600_302600_NS6detail15normal_iteratorINS9_10device_ptrIiEEEESE_SE_iNS9_4plusIiEE19head_flag_predicateiEE10hipError_tPvRmT2_T3_T4_T5_mT6_T7_P12ihipStream_tbENKUlT_T0_E_clISt17integral_constantIbLb0EESY_EEDaST_SU_EUlST_E_NS1_11comp_targetILNS1_3genE5ELNS1_11target_archE942ELNS1_3gpuE9ELNS1_3repE0EEENS1_30default_config_static_selectorELNS0_4arch9wavefront6targetE0EEEvT1_.num_vgpr, 0
	.set _ZN7rocprim17ROCPRIM_400000_NS6detail17trampoline_kernelINS0_14default_configENS1_27scan_by_key_config_selectorIiiEEZZNS1_16scan_by_key_implILNS1_25lookback_scan_determinismE0ELb1ES3_N6thrust23THRUST_200600_302600_NS6detail15normal_iteratorINS9_10device_ptrIiEEEESE_SE_iNS9_4plusIiEE19head_flag_predicateiEE10hipError_tPvRmT2_T3_T4_T5_mT6_T7_P12ihipStream_tbENKUlT_T0_E_clISt17integral_constantIbLb0EESY_EEDaST_SU_EUlST_E_NS1_11comp_targetILNS1_3genE5ELNS1_11target_archE942ELNS1_3gpuE9ELNS1_3repE0EEENS1_30default_config_static_selectorELNS0_4arch9wavefront6targetE0EEEvT1_.num_agpr, 0
	.set _ZN7rocprim17ROCPRIM_400000_NS6detail17trampoline_kernelINS0_14default_configENS1_27scan_by_key_config_selectorIiiEEZZNS1_16scan_by_key_implILNS1_25lookback_scan_determinismE0ELb1ES3_N6thrust23THRUST_200600_302600_NS6detail15normal_iteratorINS9_10device_ptrIiEEEESE_SE_iNS9_4plusIiEE19head_flag_predicateiEE10hipError_tPvRmT2_T3_T4_T5_mT6_T7_P12ihipStream_tbENKUlT_T0_E_clISt17integral_constantIbLb0EESY_EEDaST_SU_EUlST_E_NS1_11comp_targetILNS1_3genE5ELNS1_11target_archE942ELNS1_3gpuE9ELNS1_3repE0EEENS1_30default_config_static_selectorELNS0_4arch9wavefront6targetE0EEEvT1_.numbered_sgpr, 0
	.set _ZN7rocprim17ROCPRIM_400000_NS6detail17trampoline_kernelINS0_14default_configENS1_27scan_by_key_config_selectorIiiEEZZNS1_16scan_by_key_implILNS1_25lookback_scan_determinismE0ELb1ES3_N6thrust23THRUST_200600_302600_NS6detail15normal_iteratorINS9_10device_ptrIiEEEESE_SE_iNS9_4plusIiEE19head_flag_predicateiEE10hipError_tPvRmT2_T3_T4_T5_mT6_T7_P12ihipStream_tbENKUlT_T0_E_clISt17integral_constantIbLb0EESY_EEDaST_SU_EUlST_E_NS1_11comp_targetILNS1_3genE5ELNS1_11target_archE942ELNS1_3gpuE9ELNS1_3repE0EEENS1_30default_config_static_selectorELNS0_4arch9wavefront6targetE0EEEvT1_.num_named_barrier, 0
	.set _ZN7rocprim17ROCPRIM_400000_NS6detail17trampoline_kernelINS0_14default_configENS1_27scan_by_key_config_selectorIiiEEZZNS1_16scan_by_key_implILNS1_25lookback_scan_determinismE0ELb1ES3_N6thrust23THRUST_200600_302600_NS6detail15normal_iteratorINS9_10device_ptrIiEEEESE_SE_iNS9_4plusIiEE19head_flag_predicateiEE10hipError_tPvRmT2_T3_T4_T5_mT6_T7_P12ihipStream_tbENKUlT_T0_E_clISt17integral_constantIbLb0EESY_EEDaST_SU_EUlST_E_NS1_11comp_targetILNS1_3genE5ELNS1_11target_archE942ELNS1_3gpuE9ELNS1_3repE0EEENS1_30default_config_static_selectorELNS0_4arch9wavefront6targetE0EEEvT1_.private_seg_size, 0
	.set _ZN7rocprim17ROCPRIM_400000_NS6detail17trampoline_kernelINS0_14default_configENS1_27scan_by_key_config_selectorIiiEEZZNS1_16scan_by_key_implILNS1_25lookback_scan_determinismE0ELb1ES3_N6thrust23THRUST_200600_302600_NS6detail15normal_iteratorINS9_10device_ptrIiEEEESE_SE_iNS9_4plusIiEE19head_flag_predicateiEE10hipError_tPvRmT2_T3_T4_T5_mT6_T7_P12ihipStream_tbENKUlT_T0_E_clISt17integral_constantIbLb0EESY_EEDaST_SU_EUlST_E_NS1_11comp_targetILNS1_3genE5ELNS1_11target_archE942ELNS1_3gpuE9ELNS1_3repE0EEENS1_30default_config_static_selectorELNS0_4arch9wavefront6targetE0EEEvT1_.uses_vcc, 0
	.set _ZN7rocprim17ROCPRIM_400000_NS6detail17trampoline_kernelINS0_14default_configENS1_27scan_by_key_config_selectorIiiEEZZNS1_16scan_by_key_implILNS1_25lookback_scan_determinismE0ELb1ES3_N6thrust23THRUST_200600_302600_NS6detail15normal_iteratorINS9_10device_ptrIiEEEESE_SE_iNS9_4plusIiEE19head_flag_predicateiEE10hipError_tPvRmT2_T3_T4_T5_mT6_T7_P12ihipStream_tbENKUlT_T0_E_clISt17integral_constantIbLb0EESY_EEDaST_SU_EUlST_E_NS1_11comp_targetILNS1_3genE5ELNS1_11target_archE942ELNS1_3gpuE9ELNS1_3repE0EEENS1_30default_config_static_selectorELNS0_4arch9wavefront6targetE0EEEvT1_.uses_flat_scratch, 0
	.set _ZN7rocprim17ROCPRIM_400000_NS6detail17trampoline_kernelINS0_14default_configENS1_27scan_by_key_config_selectorIiiEEZZNS1_16scan_by_key_implILNS1_25lookback_scan_determinismE0ELb1ES3_N6thrust23THRUST_200600_302600_NS6detail15normal_iteratorINS9_10device_ptrIiEEEESE_SE_iNS9_4plusIiEE19head_flag_predicateiEE10hipError_tPvRmT2_T3_T4_T5_mT6_T7_P12ihipStream_tbENKUlT_T0_E_clISt17integral_constantIbLb0EESY_EEDaST_SU_EUlST_E_NS1_11comp_targetILNS1_3genE5ELNS1_11target_archE942ELNS1_3gpuE9ELNS1_3repE0EEENS1_30default_config_static_selectorELNS0_4arch9wavefront6targetE0EEEvT1_.has_dyn_sized_stack, 0
	.set _ZN7rocprim17ROCPRIM_400000_NS6detail17trampoline_kernelINS0_14default_configENS1_27scan_by_key_config_selectorIiiEEZZNS1_16scan_by_key_implILNS1_25lookback_scan_determinismE0ELb1ES3_N6thrust23THRUST_200600_302600_NS6detail15normal_iteratorINS9_10device_ptrIiEEEESE_SE_iNS9_4plusIiEE19head_flag_predicateiEE10hipError_tPvRmT2_T3_T4_T5_mT6_T7_P12ihipStream_tbENKUlT_T0_E_clISt17integral_constantIbLb0EESY_EEDaST_SU_EUlST_E_NS1_11comp_targetILNS1_3genE5ELNS1_11target_archE942ELNS1_3gpuE9ELNS1_3repE0EEENS1_30default_config_static_selectorELNS0_4arch9wavefront6targetE0EEEvT1_.has_recursion, 0
	.set _ZN7rocprim17ROCPRIM_400000_NS6detail17trampoline_kernelINS0_14default_configENS1_27scan_by_key_config_selectorIiiEEZZNS1_16scan_by_key_implILNS1_25lookback_scan_determinismE0ELb1ES3_N6thrust23THRUST_200600_302600_NS6detail15normal_iteratorINS9_10device_ptrIiEEEESE_SE_iNS9_4plusIiEE19head_flag_predicateiEE10hipError_tPvRmT2_T3_T4_T5_mT6_T7_P12ihipStream_tbENKUlT_T0_E_clISt17integral_constantIbLb0EESY_EEDaST_SU_EUlST_E_NS1_11comp_targetILNS1_3genE5ELNS1_11target_archE942ELNS1_3gpuE9ELNS1_3repE0EEENS1_30default_config_static_selectorELNS0_4arch9wavefront6targetE0EEEvT1_.has_indirect_call, 0
	.section	.AMDGPU.csdata,"",@progbits
; Kernel info:
; codeLenInByte = 0
; TotalNumSgprs: 0
; NumVgprs: 0
; ScratchSize: 0
; MemoryBound: 0
; FloatMode: 240
; IeeeMode: 1
; LDSByteSize: 0 bytes/workgroup (compile time only)
; SGPRBlocks: 0
; VGPRBlocks: 0
; NumSGPRsForWavesPerEU: 1
; NumVGPRsForWavesPerEU: 1
; Occupancy: 16
; WaveLimiterHint : 0
; COMPUTE_PGM_RSRC2:SCRATCH_EN: 0
; COMPUTE_PGM_RSRC2:USER_SGPR: 6
; COMPUTE_PGM_RSRC2:TRAP_HANDLER: 0
; COMPUTE_PGM_RSRC2:TGID_X_EN: 1
; COMPUTE_PGM_RSRC2:TGID_Y_EN: 0
; COMPUTE_PGM_RSRC2:TGID_Z_EN: 0
; COMPUTE_PGM_RSRC2:TIDIG_COMP_CNT: 0
	.section	.text._ZN7rocprim17ROCPRIM_400000_NS6detail17trampoline_kernelINS0_14default_configENS1_27scan_by_key_config_selectorIiiEEZZNS1_16scan_by_key_implILNS1_25lookback_scan_determinismE0ELb1ES3_N6thrust23THRUST_200600_302600_NS6detail15normal_iteratorINS9_10device_ptrIiEEEESE_SE_iNS9_4plusIiEE19head_flag_predicateiEE10hipError_tPvRmT2_T3_T4_T5_mT6_T7_P12ihipStream_tbENKUlT_T0_E_clISt17integral_constantIbLb0EESY_EEDaST_SU_EUlST_E_NS1_11comp_targetILNS1_3genE4ELNS1_11target_archE910ELNS1_3gpuE8ELNS1_3repE0EEENS1_30default_config_static_selectorELNS0_4arch9wavefront6targetE0EEEvT1_,"axG",@progbits,_ZN7rocprim17ROCPRIM_400000_NS6detail17trampoline_kernelINS0_14default_configENS1_27scan_by_key_config_selectorIiiEEZZNS1_16scan_by_key_implILNS1_25lookback_scan_determinismE0ELb1ES3_N6thrust23THRUST_200600_302600_NS6detail15normal_iteratorINS9_10device_ptrIiEEEESE_SE_iNS9_4plusIiEE19head_flag_predicateiEE10hipError_tPvRmT2_T3_T4_T5_mT6_T7_P12ihipStream_tbENKUlT_T0_E_clISt17integral_constantIbLb0EESY_EEDaST_SU_EUlST_E_NS1_11comp_targetILNS1_3genE4ELNS1_11target_archE910ELNS1_3gpuE8ELNS1_3repE0EEENS1_30default_config_static_selectorELNS0_4arch9wavefront6targetE0EEEvT1_,comdat
	.protected	_ZN7rocprim17ROCPRIM_400000_NS6detail17trampoline_kernelINS0_14default_configENS1_27scan_by_key_config_selectorIiiEEZZNS1_16scan_by_key_implILNS1_25lookback_scan_determinismE0ELb1ES3_N6thrust23THRUST_200600_302600_NS6detail15normal_iteratorINS9_10device_ptrIiEEEESE_SE_iNS9_4plusIiEE19head_flag_predicateiEE10hipError_tPvRmT2_T3_T4_T5_mT6_T7_P12ihipStream_tbENKUlT_T0_E_clISt17integral_constantIbLb0EESY_EEDaST_SU_EUlST_E_NS1_11comp_targetILNS1_3genE4ELNS1_11target_archE910ELNS1_3gpuE8ELNS1_3repE0EEENS1_30default_config_static_selectorELNS0_4arch9wavefront6targetE0EEEvT1_ ; -- Begin function _ZN7rocprim17ROCPRIM_400000_NS6detail17trampoline_kernelINS0_14default_configENS1_27scan_by_key_config_selectorIiiEEZZNS1_16scan_by_key_implILNS1_25lookback_scan_determinismE0ELb1ES3_N6thrust23THRUST_200600_302600_NS6detail15normal_iteratorINS9_10device_ptrIiEEEESE_SE_iNS9_4plusIiEE19head_flag_predicateiEE10hipError_tPvRmT2_T3_T4_T5_mT6_T7_P12ihipStream_tbENKUlT_T0_E_clISt17integral_constantIbLb0EESY_EEDaST_SU_EUlST_E_NS1_11comp_targetILNS1_3genE4ELNS1_11target_archE910ELNS1_3gpuE8ELNS1_3repE0EEENS1_30default_config_static_selectorELNS0_4arch9wavefront6targetE0EEEvT1_
	.globl	_ZN7rocprim17ROCPRIM_400000_NS6detail17trampoline_kernelINS0_14default_configENS1_27scan_by_key_config_selectorIiiEEZZNS1_16scan_by_key_implILNS1_25lookback_scan_determinismE0ELb1ES3_N6thrust23THRUST_200600_302600_NS6detail15normal_iteratorINS9_10device_ptrIiEEEESE_SE_iNS9_4plusIiEE19head_flag_predicateiEE10hipError_tPvRmT2_T3_T4_T5_mT6_T7_P12ihipStream_tbENKUlT_T0_E_clISt17integral_constantIbLb0EESY_EEDaST_SU_EUlST_E_NS1_11comp_targetILNS1_3genE4ELNS1_11target_archE910ELNS1_3gpuE8ELNS1_3repE0EEENS1_30default_config_static_selectorELNS0_4arch9wavefront6targetE0EEEvT1_
	.p2align	8
	.type	_ZN7rocprim17ROCPRIM_400000_NS6detail17trampoline_kernelINS0_14default_configENS1_27scan_by_key_config_selectorIiiEEZZNS1_16scan_by_key_implILNS1_25lookback_scan_determinismE0ELb1ES3_N6thrust23THRUST_200600_302600_NS6detail15normal_iteratorINS9_10device_ptrIiEEEESE_SE_iNS9_4plusIiEE19head_flag_predicateiEE10hipError_tPvRmT2_T3_T4_T5_mT6_T7_P12ihipStream_tbENKUlT_T0_E_clISt17integral_constantIbLb0EESY_EEDaST_SU_EUlST_E_NS1_11comp_targetILNS1_3genE4ELNS1_11target_archE910ELNS1_3gpuE8ELNS1_3repE0EEENS1_30default_config_static_selectorELNS0_4arch9wavefront6targetE0EEEvT1_,@function
_ZN7rocprim17ROCPRIM_400000_NS6detail17trampoline_kernelINS0_14default_configENS1_27scan_by_key_config_selectorIiiEEZZNS1_16scan_by_key_implILNS1_25lookback_scan_determinismE0ELb1ES3_N6thrust23THRUST_200600_302600_NS6detail15normal_iteratorINS9_10device_ptrIiEEEESE_SE_iNS9_4plusIiEE19head_flag_predicateiEE10hipError_tPvRmT2_T3_T4_T5_mT6_T7_P12ihipStream_tbENKUlT_T0_E_clISt17integral_constantIbLb0EESY_EEDaST_SU_EUlST_E_NS1_11comp_targetILNS1_3genE4ELNS1_11target_archE910ELNS1_3gpuE8ELNS1_3repE0EEENS1_30default_config_static_selectorELNS0_4arch9wavefront6targetE0EEEvT1_: ; @_ZN7rocprim17ROCPRIM_400000_NS6detail17trampoline_kernelINS0_14default_configENS1_27scan_by_key_config_selectorIiiEEZZNS1_16scan_by_key_implILNS1_25lookback_scan_determinismE0ELb1ES3_N6thrust23THRUST_200600_302600_NS6detail15normal_iteratorINS9_10device_ptrIiEEEESE_SE_iNS9_4plusIiEE19head_flag_predicateiEE10hipError_tPvRmT2_T3_T4_T5_mT6_T7_P12ihipStream_tbENKUlT_T0_E_clISt17integral_constantIbLb0EESY_EEDaST_SU_EUlST_E_NS1_11comp_targetILNS1_3genE4ELNS1_11target_archE910ELNS1_3gpuE8ELNS1_3repE0EEENS1_30default_config_static_selectorELNS0_4arch9wavefront6targetE0EEEvT1_
; %bb.0:
	.section	.rodata,"a",@progbits
	.p2align	6, 0x0
	.amdhsa_kernel _ZN7rocprim17ROCPRIM_400000_NS6detail17trampoline_kernelINS0_14default_configENS1_27scan_by_key_config_selectorIiiEEZZNS1_16scan_by_key_implILNS1_25lookback_scan_determinismE0ELb1ES3_N6thrust23THRUST_200600_302600_NS6detail15normal_iteratorINS9_10device_ptrIiEEEESE_SE_iNS9_4plusIiEE19head_flag_predicateiEE10hipError_tPvRmT2_T3_T4_T5_mT6_T7_P12ihipStream_tbENKUlT_T0_E_clISt17integral_constantIbLb0EESY_EEDaST_SU_EUlST_E_NS1_11comp_targetILNS1_3genE4ELNS1_11target_archE910ELNS1_3gpuE8ELNS1_3repE0EEENS1_30default_config_static_selectorELNS0_4arch9wavefront6targetE0EEEvT1_
		.amdhsa_group_segment_fixed_size 0
		.amdhsa_private_segment_fixed_size 0
		.amdhsa_kernarg_size 112
		.amdhsa_user_sgpr_count 6
		.amdhsa_user_sgpr_private_segment_buffer 1
		.amdhsa_user_sgpr_dispatch_ptr 0
		.amdhsa_user_sgpr_queue_ptr 0
		.amdhsa_user_sgpr_kernarg_segment_ptr 1
		.amdhsa_user_sgpr_dispatch_id 0
		.amdhsa_user_sgpr_flat_scratch_init 0
		.amdhsa_user_sgpr_private_segment_size 0
		.amdhsa_wavefront_size32 1
		.amdhsa_uses_dynamic_stack 0
		.amdhsa_system_sgpr_private_segment_wavefront_offset 0
		.amdhsa_system_sgpr_workgroup_id_x 1
		.amdhsa_system_sgpr_workgroup_id_y 0
		.amdhsa_system_sgpr_workgroup_id_z 0
		.amdhsa_system_sgpr_workgroup_info 0
		.amdhsa_system_vgpr_workitem_id 0
		.amdhsa_next_free_vgpr 1
		.amdhsa_next_free_sgpr 1
		.amdhsa_reserve_vcc 0
		.amdhsa_reserve_flat_scratch 0
		.amdhsa_float_round_mode_32 0
		.amdhsa_float_round_mode_16_64 0
		.amdhsa_float_denorm_mode_32 3
		.amdhsa_float_denorm_mode_16_64 3
		.amdhsa_dx10_clamp 1
		.amdhsa_ieee_mode 1
		.amdhsa_fp16_overflow 0
		.amdhsa_workgroup_processor_mode 1
		.amdhsa_memory_ordered 1
		.amdhsa_forward_progress 1
		.amdhsa_shared_vgpr_count 0
		.amdhsa_exception_fp_ieee_invalid_op 0
		.amdhsa_exception_fp_denorm_src 0
		.amdhsa_exception_fp_ieee_div_zero 0
		.amdhsa_exception_fp_ieee_overflow 0
		.amdhsa_exception_fp_ieee_underflow 0
		.amdhsa_exception_fp_ieee_inexact 0
		.amdhsa_exception_int_div_zero 0
	.end_amdhsa_kernel
	.section	.text._ZN7rocprim17ROCPRIM_400000_NS6detail17trampoline_kernelINS0_14default_configENS1_27scan_by_key_config_selectorIiiEEZZNS1_16scan_by_key_implILNS1_25lookback_scan_determinismE0ELb1ES3_N6thrust23THRUST_200600_302600_NS6detail15normal_iteratorINS9_10device_ptrIiEEEESE_SE_iNS9_4plusIiEE19head_flag_predicateiEE10hipError_tPvRmT2_T3_T4_T5_mT6_T7_P12ihipStream_tbENKUlT_T0_E_clISt17integral_constantIbLb0EESY_EEDaST_SU_EUlST_E_NS1_11comp_targetILNS1_3genE4ELNS1_11target_archE910ELNS1_3gpuE8ELNS1_3repE0EEENS1_30default_config_static_selectorELNS0_4arch9wavefront6targetE0EEEvT1_,"axG",@progbits,_ZN7rocprim17ROCPRIM_400000_NS6detail17trampoline_kernelINS0_14default_configENS1_27scan_by_key_config_selectorIiiEEZZNS1_16scan_by_key_implILNS1_25lookback_scan_determinismE0ELb1ES3_N6thrust23THRUST_200600_302600_NS6detail15normal_iteratorINS9_10device_ptrIiEEEESE_SE_iNS9_4plusIiEE19head_flag_predicateiEE10hipError_tPvRmT2_T3_T4_T5_mT6_T7_P12ihipStream_tbENKUlT_T0_E_clISt17integral_constantIbLb0EESY_EEDaST_SU_EUlST_E_NS1_11comp_targetILNS1_3genE4ELNS1_11target_archE910ELNS1_3gpuE8ELNS1_3repE0EEENS1_30default_config_static_selectorELNS0_4arch9wavefront6targetE0EEEvT1_,comdat
.Lfunc_end788:
	.size	_ZN7rocprim17ROCPRIM_400000_NS6detail17trampoline_kernelINS0_14default_configENS1_27scan_by_key_config_selectorIiiEEZZNS1_16scan_by_key_implILNS1_25lookback_scan_determinismE0ELb1ES3_N6thrust23THRUST_200600_302600_NS6detail15normal_iteratorINS9_10device_ptrIiEEEESE_SE_iNS9_4plusIiEE19head_flag_predicateiEE10hipError_tPvRmT2_T3_T4_T5_mT6_T7_P12ihipStream_tbENKUlT_T0_E_clISt17integral_constantIbLb0EESY_EEDaST_SU_EUlST_E_NS1_11comp_targetILNS1_3genE4ELNS1_11target_archE910ELNS1_3gpuE8ELNS1_3repE0EEENS1_30default_config_static_selectorELNS0_4arch9wavefront6targetE0EEEvT1_, .Lfunc_end788-_ZN7rocprim17ROCPRIM_400000_NS6detail17trampoline_kernelINS0_14default_configENS1_27scan_by_key_config_selectorIiiEEZZNS1_16scan_by_key_implILNS1_25lookback_scan_determinismE0ELb1ES3_N6thrust23THRUST_200600_302600_NS6detail15normal_iteratorINS9_10device_ptrIiEEEESE_SE_iNS9_4plusIiEE19head_flag_predicateiEE10hipError_tPvRmT2_T3_T4_T5_mT6_T7_P12ihipStream_tbENKUlT_T0_E_clISt17integral_constantIbLb0EESY_EEDaST_SU_EUlST_E_NS1_11comp_targetILNS1_3genE4ELNS1_11target_archE910ELNS1_3gpuE8ELNS1_3repE0EEENS1_30default_config_static_selectorELNS0_4arch9wavefront6targetE0EEEvT1_
                                        ; -- End function
	.set _ZN7rocprim17ROCPRIM_400000_NS6detail17trampoline_kernelINS0_14default_configENS1_27scan_by_key_config_selectorIiiEEZZNS1_16scan_by_key_implILNS1_25lookback_scan_determinismE0ELb1ES3_N6thrust23THRUST_200600_302600_NS6detail15normal_iteratorINS9_10device_ptrIiEEEESE_SE_iNS9_4plusIiEE19head_flag_predicateiEE10hipError_tPvRmT2_T3_T4_T5_mT6_T7_P12ihipStream_tbENKUlT_T0_E_clISt17integral_constantIbLb0EESY_EEDaST_SU_EUlST_E_NS1_11comp_targetILNS1_3genE4ELNS1_11target_archE910ELNS1_3gpuE8ELNS1_3repE0EEENS1_30default_config_static_selectorELNS0_4arch9wavefront6targetE0EEEvT1_.num_vgpr, 0
	.set _ZN7rocprim17ROCPRIM_400000_NS6detail17trampoline_kernelINS0_14default_configENS1_27scan_by_key_config_selectorIiiEEZZNS1_16scan_by_key_implILNS1_25lookback_scan_determinismE0ELb1ES3_N6thrust23THRUST_200600_302600_NS6detail15normal_iteratorINS9_10device_ptrIiEEEESE_SE_iNS9_4plusIiEE19head_flag_predicateiEE10hipError_tPvRmT2_T3_T4_T5_mT6_T7_P12ihipStream_tbENKUlT_T0_E_clISt17integral_constantIbLb0EESY_EEDaST_SU_EUlST_E_NS1_11comp_targetILNS1_3genE4ELNS1_11target_archE910ELNS1_3gpuE8ELNS1_3repE0EEENS1_30default_config_static_selectorELNS0_4arch9wavefront6targetE0EEEvT1_.num_agpr, 0
	.set _ZN7rocprim17ROCPRIM_400000_NS6detail17trampoline_kernelINS0_14default_configENS1_27scan_by_key_config_selectorIiiEEZZNS1_16scan_by_key_implILNS1_25lookback_scan_determinismE0ELb1ES3_N6thrust23THRUST_200600_302600_NS6detail15normal_iteratorINS9_10device_ptrIiEEEESE_SE_iNS9_4plusIiEE19head_flag_predicateiEE10hipError_tPvRmT2_T3_T4_T5_mT6_T7_P12ihipStream_tbENKUlT_T0_E_clISt17integral_constantIbLb0EESY_EEDaST_SU_EUlST_E_NS1_11comp_targetILNS1_3genE4ELNS1_11target_archE910ELNS1_3gpuE8ELNS1_3repE0EEENS1_30default_config_static_selectorELNS0_4arch9wavefront6targetE0EEEvT1_.numbered_sgpr, 0
	.set _ZN7rocprim17ROCPRIM_400000_NS6detail17trampoline_kernelINS0_14default_configENS1_27scan_by_key_config_selectorIiiEEZZNS1_16scan_by_key_implILNS1_25lookback_scan_determinismE0ELb1ES3_N6thrust23THRUST_200600_302600_NS6detail15normal_iteratorINS9_10device_ptrIiEEEESE_SE_iNS9_4plusIiEE19head_flag_predicateiEE10hipError_tPvRmT2_T3_T4_T5_mT6_T7_P12ihipStream_tbENKUlT_T0_E_clISt17integral_constantIbLb0EESY_EEDaST_SU_EUlST_E_NS1_11comp_targetILNS1_3genE4ELNS1_11target_archE910ELNS1_3gpuE8ELNS1_3repE0EEENS1_30default_config_static_selectorELNS0_4arch9wavefront6targetE0EEEvT1_.num_named_barrier, 0
	.set _ZN7rocprim17ROCPRIM_400000_NS6detail17trampoline_kernelINS0_14default_configENS1_27scan_by_key_config_selectorIiiEEZZNS1_16scan_by_key_implILNS1_25lookback_scan_determinismE0ELb1ES3_N6thrust23THRUST_200600_302600_NS6detail15normal_iteratorINS9_10device_ptrIiEEEESE_SE_iNS9_4plusIiEE19head_flag_predicateiEE10hipError_tPvRmT2_T3_T4_T5_mT6_T7_P12ihipStream_tbENKUlT_T0_E_clISt17integral_constantIbLb0EESY_EEDaST_SU_EUlST_E_NS1_11comp_targetILNS1_3genE4ELNS1_11target_archE910ELNS1_3gpuE8ELNS1_3repE0EEENS1_30default_config_static_selectorELNS0_4arch9wavefront6targetE0EEEvT1_.private_seg_size, 0
	.set _ZN7rocprim17ROCPRIM_400000_NS6detail17trampoline_kernelINS0_14default_configENS1_27scan_by_key_config_selectorIiiEEZZNS1_16scan_by_key_implILNS1_25lookback_scan_determinismE0ELb1ES3_N6thrust23THRUST_200600_302600_NS6detail15normal_iteratorINS9_10device_ptrIiEEEESE_SE_iNS9_4plusIiEE19head_flag_predicateiEE10hipError_tPvRmT2_T3_T4_T5_mT6_T7_P12ihipStream_tbENKUlT_T0_E_clISt17integral_constantIbLb0EESY_EEDaST_SU_EUlST_E_NS1_11comp_targetILNS1_3genE4ELNS1_11target_archE910ELNS1_3gpuE8ELNS1_3repE0EEENS1_30default_config_static_selectorELNS0_4arch9wavefront6targetE0EEEvT1_.uses_vcc, 0
	.set _ZN7rocprim17ROCPRIM_400000_NS6detail17trampoline_kernelINS0_14default_configENS1_27scan_by_key_config_selectorIiiEEZZNS1_16scan_by_key_implILNS1_25lookback_scan_determinismE0ELb1ES3_N6thrust23THRUST_200600_302600_NS6detail15normal_iteratorINS9_10device_ptrIiEEEESE_SE_iNS9_4plusIiEE19head_flag_predicateiEE10hipError_tPvRmT2_T3_T4_T5_mT6_T7_P12ihipStream_tbENKUlT_T0_E_clISt17integral_constantIbLb0EESY_EEDaST_SU_EUlST_E_NS1_11comp_targetILNS1_3genE4ELNS1_11target_archE910ELNS1_3gpuE8ELNS1_3repE0EEENS1_30default_config_static_selectorELNS0_4arch9wavefront6targetE0EEEvT1_.uses_flat_scratch, 0
	.set _ZN7rocprim17ROCPRIM_400000_NS6detail17trampoline_kernelINS0_14default_configENS1_27scan_by_key_config_selectorIiiEEZZNS1_16scan_by_key_implILNS1_25lookback_scan_determinismE0ELb1ES3_N6thrust23THRUST_200600_302600_NS6detail15normal_iteratorINS9_10device_ptrIiEEEESE_SE_iNS9_4plusIiEE19head_flag_predicateiEE10hipError_tPvRmT2_T3_T4_T5_mT6_T7_P12ihipStream_tbENKUlT_T0_E_clISt17integral_constantIbLb0EESY_EEDaST_SU_EUlST_E_NS1_11comp_targetILNS1_3genE4ELNS1_11target_archE910ELNS1_3gpuE8ELNS1_3repE0EEENS1_30default_config_static_selectorELNS0_4arch9wavefront6targetE0EEEvT1_.has_dyn_sized_stack, 0
	.set _ZN7rocprim17ROCPRIM_400000_NS6detail17trampoline_kernelINS0_14default_configENS1_27scan_by_key_config_selectorIiiEEZZNS1_16scan_by_key_implILNS1_25lookback_scan_determinismE0ELb1ES3_N6thrust23THRUST_200600_302600_NS6detail15normal_iteratorINS9_10device_ptrIiEEEESE_SE_iNS9_4plusIiEE19head_flag_predicateiEE10hipError_tPvRmT2_T3_T4_T5_mT6_T7_P12ihipStream_tbENKUlT_T0_E_clISt17integral_constantIbLb0EESY_EEDaST_SU_EUlST_E_NS1_11comp_targetILNS1_3genE4ELNS1_11target_archE910ELNS1_3gpuE8ELNS1_3repE0EEENS1_30default_config_static_selectorELNS0_4arch9wavefront6targetE0EEEvT1_.has_recursion, 0
	.set _ZN7rocprim17ROCPRIM_400000_NS6detail17trampoline_kernelINS0_14default_configENS1_27scan_by_key_config_selectorIiiEEZZNS1_16scan_by_key_implILNS1_25lookback_scan_determinismE0ELb1ES3_N6thrust23THRUST_200600_302600_NS6detail15normal_iteratorINS9_10device_ptrIiEEEESE_SE_iNS9_4plusIiEE19head_flag_predicateiEE10hipError_tPvRmT2_T3_T4_T5_mT6_T7_P12ihipStream_tbENKUlT_T0_E_clISt17integral_constantIbLb0EESY_EEDaST_SU_EUlST_E_NS1_11comp_targetILNS1_3genE4ELNS1_11target_archE910ELNS1_3gpuE8ELNS1_3repE0EEENS1_30default_config_static_selectorELNS0_4arch9wavefront6targetE0EEEvT1_.has_indirect_call, 0
	.section	.AMDGPU.csdata,"",@progbits
; Kernel info:
; codeLenInByte = 0
; TotalNumSgprs: 0
; NumVgprs: 0
; ScratchSize: 0
; MemoryBound: 0
; FloatMode: 240
; IeeeMode: 1
; LDSByteSize: 0 bytes/workgroup (compile time only)
; SGPRBlocks: 0
; VGPRBlocks: 0
; NumSGPRsForWavesPerEU: 1
; NumVGPRsForWavesPerEU: 1
; Occupancy: 16
; WaveLimiterHint : 0
; COMPUTE_PGM_RSRC2:SCRATCH_EN: 0
; COMPUTE_PGM_RSRC2:USER_SGPR: 6
; COMPUTE_PGM_RSRC2:TRAP_HANDLER: 0
; COMPUTE_PGM_RSRC2:TGID_X_EN: 1
; COMPUTE_PGM_RSRC2:TGID_Y_EN: 0
; COMPUTE_PGM_RSRC2:TGID_Z_EN: 0
; COMPUTE_PGM_RSRC2:TIDIG_COMP_CNT: 0
	.section	.text._ZN7rocprim17ROCPRIM_400000_NS6detail17trampoline_kernelINS0_14default_configENS1_27scan_by_key_config_selectorIiiEEZZNS1_16scan_by_key_implILNS1_25lookback_scan_determinismE0ELb1ES3_N6thrust23THRUST_200600_302600_NS6detail15normal_iteratorINS9_10device_ptrIiEEEESE_SE_iNS9_4plusIiEE19head_flag_predicateiEE10hipError_tPvRmT2_T3_T4_T5_mT6_T7_P12ihipStream_tbENKUlT_T0_E_clISt17integral_constantIbLb0EESY_EEDaST_SU_EUlST_E_NS1_11comp_targetILNS1_3genE3ELNS1_11target_archE908ELNS1_3gpuE7ELNS1_3repE0EEENS1_30default_config_static_selectorELNS0_4arch9wavefront6targetE0EEEvT1_,"axG",@progbits,_ZN7rocprim17ROCPRIM_400000_NS6detail17trampoline_kernelINS0_14default_configENS1_27scan_by_key_config_selectorIiiEEZZNS1_16scan_by_key_implILNS1_25lookback_scan_determinismE0ELb1ES3_N6thrust23THRUST_200600_302600_NS6detail15normal_iteratorINS9_10device_ptrIiEEEESE_SE_iNS9_4plusIiEE19head_flag_predicateiEE10hipError_tPvRmT2_T3_T4_T5_mT6_T7_P12ihipStream_tbENKUlT_T0_E_clISt17integral_constantIbLb0EESY_EEDaST_SU_EUlST_E_NS1_11comp_targetILNS1_3genE3ELNS1_11target_archE908ELNS1_3gpuE7ELNS1_3repE0EEENS1_30default_config_static_selectorELNS0_4arch9wavefront6targetE0EEEvT1_,comdat
	.protected	_ZN7rocprim17ROCPRIM_400000_NS6detail17trampoline_kernelINS0_14default_configENS1_27scan_by_key_config_selectorIiiEEZZNS1_16scan_by_key_implILNS1_25lookback_scan_determinismE0ELb1ES3_N6thrust23THRUST_200600_302600_NS6detail15normal_iteratorINS9_10device_ptrIiEEEESE_SE_iNS9_4plusIiEE19head_flag_predicateiEE10hipError_tPvRmT2_T3_T4_T5_mT6_T7_P12ihipStream_tbENKUlT_T0_E_clISt17integral_constantIbLb0EESY_EEDaST_SU_EUlST_E_NS1_11comp_targetILNS1_3genE3ELNS1_11target_archE908ELNS1_3gpuE7ELNS1_3repE0EEENS1_30default_config_static_selectorELNS0_4arch9wavefront6targetE0EEEvT1_ ; -- Begin function _ZN7rocprim17ROCPRIM_400000_NS6detail17trampoline_kernelINS0_14default_configENS1_27scan_by_key_config_selectorIiiEEZZNS1_16scan_by_key_implILNS1_25lookback_scan_determinismE0ELb1ES3_N6thrust23THRUST_200600_302600_NS6detail15normal_iteratorINS9_10device_ptrIiEEEESE_SE_iNS9_4plusIiEE19head_flag_predicateiEE10hipError_tPvRmT2_T3_T4_T5_mT6_T7_P12ihipStream_tbENKUlT_T0_E_clISt17integral_constantIbLb0EESY_EEDaST_SU_EUlST_E_NS1_11comp_targetILNS1_3genE3ELNS1_11target_archE908ELNS1_3gpuE7ELNS1_3repE0EEENS1_30default_config_static_selectorELNS0_4arch9wavefront6targetE0EEEvT1_
	.globl	_ZN7rocprim17ROCPRIM_400000_NS6detail17trampoline_kernelINS0_14default_configENS1_27scan_by_key_config_selectorIiiEEZZNS1_16scan_by_key_implILNS1_25lookback_scan_determinismE0ELb1ES3_N6thrust23THRUST_200600_302600_NS6detail15normal_iteratorINS9_10device_ptrIiEEEESE_SE_iNS9_4plusIiEE19head_flag_predicateiEE10hipError_tPvRmT2_T3_T4_T5_mT6_T7_P12ihipStream_tbENKUlT_T0_E_clISt17integral_constantIbLb0EESY_EEDaST_SU_EUlST_E_NS1_11comp_targetILNS1_3genE3ELNS1_11target_archE908ELNS1_3gpuE7ELNS1_3repE0EEENS1_30default_config_static_selectorELNS0_4arch9wavefront6targetE0EEEvT1_
	.p2align	8
	.type	_ZN7rocprim17ROCPRIM_400000_NS6detail17trampoline_kernelINS0_14default_configENS1_27scan_by_key_config_selectorIiiEEZZNS1_16scan_by_key_implILNS1_25lookback_scan_determinismE0ELb1ES3_N6thrust23THRUST_200600_302600_NS6detail15normal_iteratorINS9_10device_ptrIiEEEESE_SE_iNS9_4plusIiEE19head_flag_predicateiEE10hipError_tPvRmT2_T3_T4_T5_mT6_T7_P12ihipStream_tbENKUlT_T0_E_clISt17integral_constantIbLb0EESY_EEDaST_SU_EUlST_E_NS1_11comp_targetILNS1_3genE3ELNS1_11target_archE908ELNS1_3gpuE7ELNS1_3repE0EEENS1_30default_config_static_selectorELNS0_4arch9wavefront6targetE0EEEvT1_,@function
_ZN7rocprim17ROCPRIM_400000_NS6detail17trampoline_kernelINS0_14default_configENS1_27scan_by_key_config_selectorIiiEEZZNS1_16scan_by_key_implILNS1_25lookback_scan_determinismE0ELb1ES3_N6thrust23THRUST_200600_302600_NS6detail15normal_iteratorINS9_10device_ptrIiEEEESE_SE_iNS9_4plusIiEE19head_flag_predicateiEE10hipError_tPvRmT2_T3_T4_T5_mT6_T7_P12ihipStream_tbENKUlT_T0_E_clISt17integral_constantIbLb0EESY_EEDaST_SU_EUlST_E_NS1_11comp_targetILNS1_3genE3ELNS1_11target_archE908ELNS1_3gpuE7ELNS1_3repE0EEENS1_30default_config_static_selectorELNS0_4arch9wavefront6targetE0EEEvT1_: ; @_ZN7rocprim17ROCPRIM_400000_NS6detail17trampoline_kernelINS0_14default_configENS1_27scan_by_key_config_selectorIiiEEZZNS1_16scan_by_key_implILNS1_25lookback_scan_determinismE0ELb1ES3_N6thrust23THRUST_200600_302600_NS6detail15normal_iteratorINS9_10device_ptrIiEEEESE_SE_iNS9_4plusIiEE19head_flag_predicateiEE10hipError_tPvRmT2_T3_T4_T5_mT6_T7_P12ihipStream_tbENKUlT_T0_E_clISt17integral_constantIbLb0EESY_EEDaST_SU_EUlST_E_NS1_11comp_targetILNS1_3genE3ELNS1_11target_archE908ELNS1_3gpuE7ELNS1_3repE0EEENS1_30default_config_static_selectorELNS0_4arch9wavefront6targetE0EEEvT1_
; %bb.0:
	.section	.rodata,"a",@progbits
	.p2align	6, 0x0
	.amdhsa_kernel _ZN7rocprim17ROCPRIM_400000_NS6detail17trampoline_kernelINS0_14default_configENS1_27scan_by_key_config_selectorIiiEEZZNS1_16scan_by_key_implILNS1_25lookback_scan_determinismE0ELb1ES3_N6thrust23THRUST_200600_302600_NS6detail15normal_iteratorINS9_10device_ptrIiEEEESE_SE_iNS9_4plusIiEE19head_flag_predicateiEE10hipError_tPvRmT2_T3_T4_T5_mT6_T7_P12ihipStream_tbENKUlT_T0_E_clISt17integral_constantIbLb0EESY_EEDaST_SU_EUlST_E_NS1_11comp_targetILNS1_3genE3ELNS1_11target_archE908ELNS1_3gpuE7ELNS1_3repE0EEENS1_30default_config_static_selectorELNS0_4arch9wavefront6targetE0EEEvT1_
		.amdhsa_group_segment_fixed_size 0
		.amdhsa_private_segment_fixed_size 0
		.amdhsa_kernarg_size 112
		.amdhsa_user_sgpr_count 6
		.amdhsa_user_sgpr_private_segment_buffer 1
		.amdhsa_user_sgpr_dispatch_ptr 0
		.amdhsa_user_sgpr_queue_ptr 0
		.amdhsa_user_sgpr_kernarg_segment_ptr 1
		.amdhsa_user_sgpr_dispatch_id 0
		.amdhsa_user_sgpr_flat_scratch_init 0
		.amdhsa_user_sgpr_private_segment_size 0
		.amdhsa_wavefront_size32 1
		.amdhsa_uses_dynamic_stack 0
		.amdhsa_system_sgpr_private_segment_wavefront_offset 0
		.amdhsa_system_sgpr_workgroup_id_x 1
		.amdhsa_system_sgpr_workgroup_id_y 0
		.amdhsa_system_sgpr_workgroup_id_z 0
		.amdhsa_system_sgpr_workgroup_info 0
		.amdhsa_system_vgpr_workitem_id 0
		.amdhsa_next_free_vgpr 1
		.amdhsa_next_free_sgpr 1
		.amdhsa_reserve_vcc 0
		.amdhsa_reserve_flat_scratch 0
		.amdhsa_float_round_mode_32 0
		.amdhsa_float_round_mode_16_64 0
		.amdhsa_float_denorm_mode_32 3
		.amdhsa_float_denorm_mode_16_64 3
		.amdhsa_dx10_clamp 1
		.amdhsa_ieee_mode 1
		.amdhsa_fp16_overflow 0
		.amdhsa_workgroup_processor_mode 1
		.amdhsa_memory_ordered 1
		.amdhsa_forward_progress 1
		.amdhsa_shared_vgpr_count 0
		.amdhsa_exception_fp_ieee_invalid_op 0
		.amdhsa_exception_fp_denorm_src 0
		.amdhsa_exception_fp_ieee_div_zero 0
		.amdhsa_exception_fp_ieee_overflow 0
		.amdhsa_exception_fp_ieee_underflow 0
		.amdhsa_exception_fp_ieee_inexact 0
		.amdhsa_exception_int_div_zero 0
	.end_amdhsa_kernel
	.section	.text._ZN7rocprim17ROCPRIM_400000_NS6detail17trampoline_kernelINS0_14default_configENS1_27scan_by_key_config_selectorIiiEEZZNS1_16scan_by_key_implILNS1_25lookback_scan_determinismE0ELb1ES3_N6thrust23THRUST_200600_302600_NS6detail15normal_iteratorINS9_10device_ptrIiEEEESE_SE_iNS9_4plusIiEE19head_flag_predicateiEE10hipError_tPvRmT2_T3_T4_T5_mT6_T7_P12ihipStream_tbENKUlT_T0_E_clISt17integral_constantIbLb0EESY_EEDaST_SU_EUlST_E_NS1_11comp_targetILNS1_3genE3ELNS1_11target_archE908ELNS1_3gpuE7ELNS1_3repE0EEENS1_30default_config_static_selectorELNS0_4arch9wavefront6targetE0EEEvT1_,"axG",@progbits,_ZN7rocprim17ROCPRIM_400000_NS6detail17trampoline_kernelINS0_14default_configENS1_27scan_by_key_config_selectorIiiEEZZNS1_16scan_by_key_implILNS1_25lookback_scan_determinismE0ELb1ES3_N6thrust23THRUST_200600_302600_NS6detail15normal_iteratorINS9_10device_ptrIiEEEESE_SE_iNS9_4plusIiEE19head_flag_predicateiEE10hipError_tPvRmT2_T3_T4_T5_mT6_T7_P12ihipStream_tbENKUlT_T0_E_clISt17integral_constantIbLb0EESY_EEDaST_SU_EUlST_E_NS1_11comp_targetILNS1_3genE3ELNS1_11target_archE908ELNS1_3gpuE7ELNS1_3repE0EEENS1_30default_config_static_selectorELNS0_4arch9wavefront6targetE0EEEvT1_,comdat
.Lfunc_end789:
	.size	_ZN7rocprim17ROCPRIM_400000_NS6detail17trampoline_kernelINS0_14default_configENS1_27scan_by_key_config_selectorIiiEEZZNS1_16scan_by_key_implILNS1_25lookback_scan_determinismE0ELb1ES3_N6thrust23THRUST_200600_302600_NS6detail15normal_iteratorINS9_10device_ptrIiEEEESE_SE_iNS9_4plusIiEE19head_flag_predicateiEE10hipError_tPvRmT2_T3_T4_T5_mT6_T7_P12ihipStream_tbENKUlT_T0_E_clISt17integral_constantIbLb0EESY_EEDaST_SU_EUlST_E_NS1_11comp_targetILNS1_3genE3ELNS1_11target_archE908ELNS1_3gpuE7ELNS1_3repE0EEENS1_30default_config_static_selectorELNS0_4arch9wavefront6targetE0EEEvT1_, .Lfunc_end789-_ZN7rocprim17ROCPRIM_400000_NS6detail17trampoline_kernelINS0_14default_configENS1_27scan_by_key_config_selectorIiiEEZZNS1_16scan_by_key_implILNS1_25lookback_scan_determinismE0ELb1ES3_N6thrust23THRUST_200600_302600_NS6detail15normal_iteratorINS9_10device_ptrIiEEEESE_SE_iNS9_4plusIiEE19head_flag_predicateiEE10hipError_tPvRmT2_T3_T4_T5_mT6_T7_P12ihipStream_tbENKUlT_T0_E_clISt17integral_constantIbLb0EESY_EEDaST_SU_EUlST_E_NS1_11comp_targetILNS1_3genE3ELNS1_11target_archE908ELNS1_3gpuE7ELNS1_3repE0EEENS1_30default_config_static_selectorELNS0_4arch9wavefront6targetE0EEEvT1_
                                        ; -- End function
	.set _ZN7rocprim17ROCPRIM_400000_NS6detail17trampoline_kernelINS0_14default_configENS1_27scan_by_key_config_selectorIiiEEZZNS1_16scan_by_key_implILNS1_25lookback_scan_determinismE0ELb1ES3_N6thrust23THRUST_200600_302600_NS6detail15normal_iteratorINS9_10device_ptrIiEEEESE_SE_iNS9_4plusIiEE19head_flag_predicateiEE10hipError_tPvRmT2_T3_T4_T5_mT6_T7_P12ihipStream_tbENKUlT_T0_E_clISt17integral_constantIbLb0EESY_EEDaST_SU_EUlST_E_NS1_11comp_targetILNS1_3genE3ELNS1_11target_archE908ELNS1_3gpuE7ELNS1_3repE0EEENS1_30default_config_static_selectorELNS0_4arch9wavefront6targetE0EEEvT1_.num_vgpr, 0
	.set _ZN7rocprim17ROCPRIM_400000_NS6detail17trampoline_kernelINS0_14default_configENS1_27scan_by_key_config_selectorIiiEEZZNS1_16scan_by_key_implILNS1_25lookback_scan_determinismE0ELb1ES3_N6thrust23THRUST_200600_302600_NS6detail15normal_iteratorINS9_10device_ptrIiEEEESE_SE_iNS9_4plusIiEE19head_flag_predicateiEE10hipError_tPvRmT2_T3_T4_T5_mT6_T7_P12ihipStream_tbENKUlT_T0_E_clISt17integral_constantIbLb0EESY_EEDaST_SU_EUlST_E_NS1_11comp_targetILNS1_3genE3ELNS1_11target_archE908ELNS1_3gpuE7ELNS1_3repE0EEENS1_30default_config_static_selectorELNS0_4arch9wavefront6targetE0EEEvT1_.num_agpr, 0
	.set _ZN7rocprim17ROCPRIM_400000_NS6detail17trampoline_kernelINS0_14default_configENS1_27scan_by_key_config_selectorIiiEEZZNS1_16scan_by_key_implILNS1_25lookback_scan_determinismE0ELb1ES3_N6thrust23THRUST_200600_302600_NS6detail15normal_iteratorINS9_10device_ptrIiEEEESE_SE_iNS9_4plusIiEE19head_flag_predicateiEE10hipError_tPvRmT2_T3_T4_T5_mT6_T7_P12ihipStream_tbENKUlT_T0_E_clISt17integral_constantIbLb0EESY_EEDaST_SU_EUlST_E_NS1_11comp_targetILNS1_3genE3ELNS1_11target_archE908ELNS1_3gpuE7ELNS1_3repE0EEENS1_30default_config_static_selectorELNS0_4arch9wavefront6targetE0EEEvT1_.numbered_sgpr, 0
	.set _ZN7rocprim17ROCPRIM_400000_NS6detail17trampoline_kernelINS0_14default_configENS1_27scan_by_key_config_selectorIiiEEZZNS1_16scan_by_key_implILNS1_25lookback_scan_determinismE0ELb1ES3_N6thrust23THRUST_200600_302600_NS6detail15normal_iteratorINS9_10device_ptrIiEEEESE_SE_iNS9_4plusIiEE19head_flag_predicateiEE10hipError_tPvRmT2_T3_T4_T5_mT6_T7_P12ihipStream_tbENKUlT_T0_E_clISt17integral_constantIbLb0EESY_EEDaST_SU_EUlST_E_NS1_11comp_targetILNS1_3genE3ELNS1_11target_archE908ELNS1_3gpuE7ELNS1_3repE0EEENS1_30default_config_static_selectorELNS0_4arch9wavefront6targetE0EEEvT1_.num_named_barrier, 0
	.set _ZN7rocprim17ROCPRIM_400000_NS6detail17trampoline_kernelINS0_14default_configENS1_27scan_by_key_config_selectorIiiEEZZNS1_16scan_by_key_implILNS1_25lookback_scan_determinismE0ELb1ES3_N6thrust23THRUST_200600_302600_NS6detail15normal_iteratorINS9_10device_ptrIiEEEESE_SE_iNS9_4plusIiEE19head_flag_predicateiEE10hipError_tPvRmT2_T3_T4_T5_mT6_T7_P12ihipStream_tbENKUlT_T0_E_clISt17integral_constantIbLb0EESY_EEDaST_SU_EUlST_E_NS1_11comp_targetILNS1_3genE3ELNS1_11target_archE908ELNS1_3gpuE7ELNS1_3repE0EEENS1_30default_config_static_selectorELNS0_4arch9wavefront6targetE0EEEvT1_.private_seg_size, 0
	.set _ZN7rocprim17ROCPRIM_400000_NS6detail17trampoline_kernelINS0_14default_configENS1_27scan_by_key_config_selectorIiiEEZZNS1_16scan_by_key_implILNS1_25lookback_scan_determinismE0ELb1ES3_N6thrust23THRUST_200600_302600_NS6detail15normal_iteratorINS9_10device_ptrIiEEEESE_SE_iNS9_4plusIiEE19head_flag_predicateiEE10hipError_tPvRmT2_T3_T4_T5_mT6_T7_P12ihipStream_tbENKUlT_T0_E_clISt17integral_constantIbLb0EESY_EEDaST_SU_EUlST_E_NS1_11comp_targetILNS1_3genE3ELNS1_11target_archE908ELNS1_3gpuE7ELNS1_3repE0EEENS1_30default_config_static_selectorELNS0_4arch9wavefront6targetE0EEEvT1_.uses_vcc, 0
	.set _ZN7rocprim17ROCPRIM_400000_NS6detail17trampoline_kernelINS0_14default_configENS1_27scan_by_key_config_selectorIiiEEZZNS1_16scan_by_key_implILNS1_25lookback_scan_determinismE0ELb1ES3_N6thrust23THRUST_200600_302600_NS6detail15normal_iteratorINS9_10device_ptrIiEEEESE_SE_iNS9_4plusIiEE19head_flag_predicateiEE10hipError_tPvRmT2_T3_T4_T5_mT6_T7_P12ihipStream_tbENKUlT_T0_E_clISt17integral_constantIbLb0EESY_EEDaST_SU_EUlST_E_NS1_11comp_targetILNS1_3genE3ELNS1_11target_archE908ELNS1_3gpuE7ELNS1_3repE0EEENS1_30default_config_static_selectorELNS0_4arch9wavefront6targetE0EEEvT1_.uses_flat_scratch, 0
	.set _ZN7rocprim17ROCPRIM_400000_NS6detail17trampoline_kernelINS0_14default_configENS1_27scan_by_key_config_selectorIiiEEZZNS1_16scan_by_key_implILNS1_25lookback_scan_determinismE0ELb1ES3_N6thrust23THRUST_200600_302600_NS6detail15normal_iteratorINS9_10device_ptrIiEEEESE_SE_iNS9_4plusIiEE19head_flag_predicateiEE10hipError_tPvRmT2_T3_T4_T5_mT6_T7_P12ihipStream_tbENKUlT_T0_E_clISt17integral_constantIbLb0EESY_EEDaST_SU_EUlST_E_NS1_11comp_targetILNS1_3genE3ELNS1_11target_archE908ELNS1_3gpuE7ELNS1_3repE0EEENS1_30default_config_static_selectorELNS0_4arch9wavefront6targetE0EEEvT1_.has_dyn_sized_stack, 0
	.set _ZN7rocprim17ROCPRIM_400000_NS6detail17trampoline_kernelINS0_14default_configENS1_27scan_by_key_config_selectorIiiEEZZNS1_16scan_by_key_implILNS1_25lookback_scan_determinismE0ELb1ES3_N6thrust23THRUST_200600_302600_NS6detail15normal_iteratorINS9_10device_ptrIiEEEESE_SE_iNS9_4plusIiEE19head_flag_predicateiEE10hipError_tPvRmT2_T3_T4_T5_mT6_T7_P12ihipStream_tbENKUlT_T0_E_clISt17integral_constantIbLb0EESY_EEDaST_SU_EUlST_E_NS1_11comp_targetILNS1_3genE3ELNS1_11target_archE908ELNS1_3gpuE7ELNS1_3repE0EEENS1_30default_config_static_selectorELNS0_4arch9wavefront6targetE0EEEvT1_.has_recursion, 0
	.set _ZN7rocprim17ROCPRIM_400000_NS6detail17trampoline_kernelINS0_14default_configENS1_27scan_by_key_config_selectorIiiEEZZNS1_16scan_by_key_implILNS1_25lookback_scan_determinismE0ELb1ES3_N6thrust23THRUST_200600_302600_NS6detail15normal_iteratorINS9_10device_ptrIiEEEESE_SE_iNS9_4plusIiEE19head_flag_predicateiEE10hipError_tPvRmT2_T3_T4_T5_mT6_T7_P12ihipStream_tbENKUlT_T0_E_clISt17integral_constantIbLb0EESY_EEDaST_SU_EUlST_E_NS1_11comp_targetILNS1_3genE3ELNS1_11target_archE908ELNS1_3gpuE7ELNS1_3repE0EEENS1_30default_config_static_selectorELNS0_4arch9wavefront6targetE0EEEvT1_.has_indirect_call, 0
	.section	.AMDGPU.csdata,"",@progbits
; Kernel info:
; codeLenInByte = 0
; TotalNumSgprs: 0
; NumVgprs: 0
; ScratchSize: 0
; MemoryBound: 0
; FloatMode: 240
; IeeeMode: 1
; LDSByteSize: 0 bytes/workgroup (compile time only)
; SGPRBlocks: 0
; VGPRBlocks: 0
; NumSGPRsForWavesPerEU: 1
; NumVGPRsForWavesPerEU: 1
; Occupancy: 16
; WaveLimiterHint : 0
; COMPUTE_PGM_RSRC2:SCRATCH_EN: 0
; COMPUTE_PGM_RSRC2:USER_SGPR: 6
; COMPUTE_PGM_RSRC2:TRAP_HANDLER: 0
; COMPUTE_PGM_RSRC2:TGID_X_EN: 1
; COMPUTE_PGM_RSRC2:TGID_Y_EN: 0
; COMPUTE_PGM_RSRC2:TGID_Z_EN: 0
; COMPUTE_PGM_RSRC2:TIDIG_COMP_CNT: 0
	.section	.text._ZN7rocprim17ROCPRIM_400000_NS6detail17trampoline_kernelINS0_14default_configENS1_27scan_by_key_config_selectorIiiEEZZNS1_16scan_by_key_implILNS1_25lookback_scan_determinismE0ELb1ES3_N6thrust23THRUST_200600_302600_NS6detail15normal_iteratorINS9_10device_ptrIiEEEESE_SE_iNS9_4plusIiEE19head_flag_predicateiEE10hipError_tPvRmT2_T3_T4_T5_mT6_T7_P12ihipStream_tbENKUlT_T0_E_clISt17integral_constantIbLb0EESY_EEDaST_SU_EUlST_E_NS1_11comp_targetILNS1_3genE2ELNS1_11target_archE906ELNS1_3gpuE6ELNS1_3repE0EEENS1_30default_config_static_selectorELNS0_4arch9wavefront6targetE0EEEvT1_,"axG",@progbits,_ZN7rocprim17ROCPRIM_400000_NS6detail17trampoline_kernelINS0_14default_configENS1_27scan_by_key_config_selectorIiiEEZZNS1_16scan_by_key_implILNS1_25lookback_scan_determinismE0ELb1ES3_N6thrust23THRUST_200600_302600_NS6detail15normal_iteratorINS9_10device_ptrIiEEEESE_SE_iNS9_4plusIiEE19head_flag_predicateiEE10hipError_tPvRmT2_T3_T4_T5_mT6_T7_P12ihipStream_tbENKUlT_T0_E_clISt17integral_constantIbLb0EESY_EEDaST_SU_EUlST_E_NS1_11comp_targetILNS1_3genE2ELNS1_11target_archE906ELNS1_3gpuE6ELNS1_3repE0EEENS1_30default_config_static_selectorELNS0_4arch9wavefront6targetE0EEEvT1_,comdat
	.protected	_ZN7rocprim17ROCPRIM_400000_NS6detail17trampoline_kernelINS0_14default_configENS1_27scan_by_key_config_selectorIiiEEZZNS1_16scan_by_key_implILNS1_25lookback_scan_determinismE0ELb1ES3_N6thrust23THRUST_200600_302600_NS6detail15normal_iteratorINS9_10device_ptrIiEEEESE_SE_iNS9_4plusIiEE19head_flag_predicateiEE10hipError_tPvRmT2_T3_T4_T5_mT6_T7_P12ihipStream_tbENKUlT_T0_E_clISt17integral_constantIbLb0EESY_EEDaST_SU_EUlST_E_NS1_11comp_targetILNS1_3genE2ELNS1_11target_archE906ELNS1_3gpuE6ELNS1_3repE0EEENS1_30default_config_static_selectorELNS0_4arch9wavefront6targetE0EEEvT1_ ; -- Begin function _ZN7rocprim17ROCPRIM_400000_NS6detail17trampoline_kernelINS0_14default_configENS1_27scan_by_key_config_selectorIiiEEZZNS1_16scan_by_key_implILNS1_25lookback_scan_determinismE0ELb1ES3_N6thrust23THRUST_200600_302600_NS6detail15normal_iteratorINS9_10device_ptrIiEEEESE_SE_iNS9_4plusIiEE19head_flag_predicateiEE10hipError_tPvRmT2_T3_T4_T5_mT6_T7_P12ihipStream_tbENKUlT_T0_E_clISt17integral_constantIbLb0EESY_EEDaST_SU_EUlST_E_NS1_11comp_targetILNS1_3genE2ELNS1_11target_archE906ELNS1_3gpuE6ELNS1_3repE0EEENS1_30default_config_static_selectorELNS0_4arch9wavefront6targetE0EEEvT1_
	.globl	_ZN7rocprim17ROCPRIM_400000_NS6detail17trampoline_kernelINS0_14default_configENS1_27scan_by_key_config_selectorIiiEEZZNS1_16scan_by_key_implILNS1_25lookback_scan_determinismE0ELb1ES3_N6thrust23THRUST_200600_302600_NS6detail15normal_iteratorINS9_10device_ptrIiEEEESE_SE_iNS9_4plusIiEE19head_flag_predicateiEE10hipError_tPvRmT2_T3_T4_T5_mT6_T7_P12ihipStream_tbENKUlT_T0_E_clISt17integral_constantIbLb0EESY_EEDaST_SU_EUlST_E_NS1_11comp_targetILNS1_3genE2ELNS1_11target_archE906ELNS1_3gpuE6ELNS1_3repE0EEENS1_30default_config_static_selectorELNS0_4arch9wavefront6targetE0EEEvT1_
	.p2align	8
	.type	_ZN7rocprim17ROCPRIM_400000_NS6detail17trampoline_kernelINS0_14default_configENS1_27scan_by_key_config_selectorIiiEEZZNS1_16scan_by_key_implILNS1_25lookback_scan_determinismE0ELb1ES3_N6thrust23THRUST_200600_302600_NS6detail15normal_iteratorINS9_10device_ptrIiEEEESE_SE_iNS9_4plusIiEE19head_flag_predicateiEE10hipError_tPvRmT2_T3_T4_T5_mT6_T7_P12ihipStream_tbENKUlT_T0_E_clISt17integral_constantIbLb0EESY_EEDaST_SU_EUlST_E_NS1_11comp_targetILNS1_3genE2ELNS1_11target_archE906ELNS1_3gpuE6ELNS1_3repE0EEENS1_30default_config_static_selectorELNS0_4arch9wavefront6targetE0EEEvT1_,@function
_ZN7rocprim17ROCPRIM_400000_NS6detail17trampoline_kernelINS0_14default_configENS1_27scan_by_key_config_selectorIiiEEZZNS1_16scan_by_key_implILNS1_25lookback_scan_determinismE0ELb1ES3_N6thrust23THRUST_200600_302600_NS6detail15normal_iteratorINS9_10device_ptrIiEEEESE_SE_iNS9_4plusIiEE19head_flag_predicateiEE10hipError_tPvRmT2_T3_T4_T5_mT6_T7_P12ihipStream_tbENKUlT_T0_E_clISt17integral_constantIbLb0EESY_EEDaST_SU_EUlST_E_NS1_11comp_targetILNS1_3genE2ELNS1_11target_archE906ELNS1_3gpuE6ELNS1_3repE0EEENS1_30default_config_static_selectorELNS0_4arch9wavefront6targetE0EEEvT1_: ; @_ZN7rocprim17ROCPRIM_400000_NS6detail17trampoline_kernelINS0_14default_configENS1_27scan_by_key_config_selectorIiiEEZZNS1_16scan_by_key_implILNS1_25lookback_scan_determinismE0ELb1ES3_N6thrust23THRUST_200600_302600_NS6detail15normal_iteratorINS9_10device_ptrIiEEEESE_SE_iNS9_4plusIiEE19head_flag_predicateiEE10hipError_tPvRmT2_T3_T4_T5_mT6_T7_P12ihipStream_tbENKUlT_T0_E_clISt17integral_constantIbLb0EESY_EEDaST_SU_EUlST_E_NS1_11comp_targetILNS1_3genE2ELNS1_11target_archE906ELNS1_3gpuE6ELNS1_3repE0EEENS1_30default_config_static_selectorELNS0_4arch9wavefront6targetE0EEEvT1_
; %bb.0:
	.section	.rodata,"a",@progbits
	.p2align	6, 0x0
	.amdhsa_kernel _ZN7rocprim17ROCPRIM_400000_NS6detail17trampoline_kernelINS0_14default_configENS1_27scan_by_key_config_selectorIiiEEZZNS1_16scan_by_key_implILNS1_25lookback_scan_determinismE0ELb1ES3_N6thrust23THRUST_200600_302600_NS6detail15normal_iteratorINS9_10device_ptrIiEEEESE_SE_iNS9_4plusIiEE19head_flag_predicateiEE10hipError_tPvRmT2_T3_T4_T5_mT6_T7_P12ihipStream_tbENKUlT_T0_E_clISt17integral_constantIbLb0EESY_EEDaST_SU_EUlST_E_NS1_11comp_targetILNS1_3genE2ELNS1_11target_archE906ELNS1_3gpuE6ELNS1_3repE0EEENS1_30default_config_static_selectorELNS0_4arch9wavefront6targetE0EEEvT1_
		.amdhsa_group_segment_fixed_size 0
		.amdhsa_private_segment_fixed_size 0
		.amdhsa_kernarg_size 112
		.amdhsa_user_sgpr_count 6
		.amdhsa_user_sgpr_private_segment_buffer 1
		.amdhsa_user_sgpr_dispatch_ptr 0
		.amdhsa_user_sgpr_queue_ptr 0
		.amdhsa_user_sgpr_kernarg_segment_ptr 1
		.amdhsa_user_sgpr_dispatch_id 0
		.amdhsa_user_sgpr_flat_scratch_init 0
		.amdhsa_user_sgpr_private_segment_size 0
		.amdhsa_wavefront_size32 1
		.amdhsa_uses_dynamic_stack 0
		.amdhsa_system_sgpr_private_segment_wavefront_offset 0
		.amdhsa_system_sgpr_workgroup_id_x 1
		.amdhsa_system_sgpr_workgroup_id_y 0
		.amdhsa_system_sgpr_workgroup_id_z 0
		.amdhsa_system_sgpr_workgroup_info 0
		.amdhsa_system_vgpr_workitem_id 0
		.amdhsa_next_free_vgpr 1
		.amdhsa_next_free_sgpr 1
		.amdhsa_reserve_vcc 0
		.amdhsa_reserve_flat_scratch 0
		.amdhsa_float_round_mode_32 0
		.amdhsa_float_round_mode_16_64 0
		.amdhsa_float_denorm_mode_32 3
		.amdhsa_float_denorm_mode_16_64 3
		.amdhsa_dx10_clamp 1
		.amdhsa_ieee_mode 1
		.amdhsa_fp16_overflow 0
		.amdhsa_workgroup_processor_mode 1
		.amdhsa_memory_ordered 1
		.amdhsa_forward_progress 1
		.amdhsa_shared_vgpr_count 0
		.amdhsa_exception_fp_ieee_invalid_op 0
		.amdhsa_exception_fp_denorm_src 0
		.amdhsa_exception_fp_ieee_div_zero 0
		.amdhsa_exception_fp_ieee_overflow 0
		.amdhsa_exception_fp_ieee_underflow 0
		.amdhsa_exception_fp_ieee_inexact 0
		.amdhsa_exception_int_div_zero 0
	.end_amdhsa_kernel
	.section	.text._ZN7rocprim17ROCPRIM_400000_NS6detail17trampoline_kernelINS0_14default_configENS1_27scan_by_key_config_selectorIiiEEZZNS1_16scan_by_key_implILNS1_25lookback_scan_determinismE0ELb1ES3_N6thrust23THRUST_200600_302600_NS6detail15normal_iteratorINS9_10device_ptrIiEEEESE_SE_iNS9_4plusIiEE19head_flag_predicateiEE10hipError_tPvRmT2_T3_T4_T5_mT6_T7_P12ihipStream_tbENKUlT_T0_E_clISt17integral_constantIbLb0EESY_EEDaST_SU_EUlST_E_NS1_11comp_targetILNS1_3genE2ELNS1_11target_archE906ELNS1_3gpuE6ELNS1_3repE0EEENS1_30default_config_static_selectorELNS0_4arch9wavefront6targetE0EEEvT1_,"axG",@progbits,_ZN7rocprim17ROCPRIM_400000_NS6detail17trampoline_kernelINS0_14default_configENS1_27scan_by_key_config_selectorIiiEEZZNS1_16scan_by_key_implILNS1_25lookback_scan_determinismE0ELb1ES3_N6thrust23THRUST_200600_302600_NS6detail15normal_iteratorINS9_10device_ptrIiEEEESE_SE_iNS9_4plusIiEE19head_flag_predicateiEE10hipError_tPvRmT2_T3_T4_T5_mT6_T7_P12ihipStream_tbENKUlT_T0_E_clISt17integral_constantIbLb0EESY_EEDaST_SU_EUlST_E_NS1_11comp_targetILNS1_3genE2ELNS1_11target_archE906ELNS1_3gpuE6ELNS1_3repE0EEENS1_30default_config_static_selectorELNS0_4arch9wavefront6targetE0EEEvT1_,comdat
.Lfunc_end790:
	.size	_ZN7rocprim17ROCPRIM_400000_NS6detail17trampoline_kernelINS0_14default_configENS1_27scan_by_key_config_selectorIiiEEZZNS1_16scan_by_key_implILNS1_25lookback_scan_determinismE0ELb1ES3_N6thrust23THRUST_200600_302600_NS6detail15normal_iteratorINS9_10device_ptrIiEEEESE_SE_iNS9_4plusIiEE19head_flag_predicateiEE10hipError_tPvRmT2_T3_T4_T5_mT6_T7_P12ihipStream_tbENKUlT_T0_E_clISt17integral_constantIbLb0EESY_EEDaST_SU_EUlST_E_NS1_11comp_targetILNS1_3genE2ELNS1_11target_archE906ELNS1_3gpuE6ELNS1_3repE0EEENS1_30default_config_static_selectorELNS0_4arch9wavefront6targetE0EEEvT1_, .Lfunc_end790-_ZN7rocprim17ROCPRIM_400000_NS6detail17trampoline_kernelINS0_14default_configENS1_27scan_by_key_config_selectorIiiEEZZNS1_16scan_by_key_implILNS1_25lookback_scan_determinismE0ELb1ES3_N6thrust23THRUST_200600_302600_NS6detail15normal_iteratorINS9_10device_ptrIiEEEESE_SE_iNS9_4plusIiEE19head_flag_predicateiEE10hipError_tPvRmT2_T3_T4_T5_mT6_T7_P12ihipStream_tbENKUlT_T0_E_clISt17integral_constantIbLb0EESY_EEDaST_SU_EUlST_E_NS1_11comp_targetILNS1_3genE2ELNS1_11target_archE906ELNS1_3gpuE6ELNS1_3repE0EEENS1_30default_config_static_selectorELNS0_4arch9wavefront6targetE0EEEvT1_
                                        ; -- End function
	.set _ZN7rocprim17ROCPRIM_400000_NS6detail17trampoline_kernelINS0_14default_configENS1_27scan_by_key_config_selectorIiiEEZZNS1_16scan_by_key_implILNS1_25lookback_scan_determinismE0ELb1ES3_N6thrust23THRUST_200600_302600_NS6detail15normal_iteratorINS9_10device_ptrIiEEEESE_SE_iNS9_4plusIiEE19head_flag_predicateiEE10hipError_tPvRmT2_T3_T4_T5_mT6_T7_P12ihipStream_tbENKUlT_T0_E_clISt17integral_constantIbLb0EESY_EEDaST_SU_EUlST_E_NS1_11comp_targetILNS1_3genE2ELNS1_11target_archE906ELNS1_3gpuE6ELNS1_3repE0EEENS1_30default_config_static_selectorELNS0_4arch9wavefront6targetE0EEEvT1_.num_vgpr, 0
	.set _ZN7rocprim17ROCPRIM_400000_NS6detail17trampoline_kernelINS0_14default_configENS1_27scan_by_key_config_selectorIiiEEZZNS1_16scan_by_key_implILNS1_25lookback_scan_determinismE0ELb1ES3_N6thrust23THRUST_200600_302600_NS6detail15normal_iteratorINS9_10device_ptrIiEEEESE_SE_iNS9_4plusIiEE19head_flag_predicateiEE10hipError_tPvRmT2_T3_T4_T5_mT6_T7_P12ihipStream_tbENKUlT_T0_E_clISt17integral_constantIbLb0EESY_EEDaST_SU_EUlST_E_NS1_11comp_targetILNS1_3genE2ELNS1_11target_archE906ELNS1_3gpuE6ELNS1_3repE0EEENS1_30default_config_static_selectorELNS0_4arch9wavefront6targetE0EEEvT1_.num_agpr, 0
	.set _ZN7rocprim17ROCPRIM_400000_NS6detail17trampoline_kernelINS0_14default_configENS1_27scan_by_key_config_selectorIiiEEZZNS1_16scan_by_key_implILNS1_25lookback_scan_determinismE0ELb1ES3_N6thrust23THRUST_200600_302600_NS6detail15normal_iteratorINS9_10device_ptrIiEEEESE_SE_iNS9_4plusIiEE19head_flag_predicateiEE10hipError_tPvRmT2_T3_T4_T5_mT6_T7_P12ihipStream_tbENKUlT_T0_E_clISt17integral_constantIbLb0EESY_EEDaST_SU_EUlST_E_NS1_11comp_targetILNS1_3genE2ELNS1_11target_archE906ELNS1_3gpuE6ELNS1_3repE0EEENS1_30default_config_static_selectorELNS0_4arch9wavefront6targetE0EEEvT1_.numbered_sgpr, 0
	.set _ZN7rocprim17ROCPRIM_400000_NS6detail17trampoline_kernelINS0_14default_configENS1_27scan_by_key_config_selectorIiiEEZZNS1_16scan_by_key_implILNS1_25lookback_scan_determinismE0ELb1ES3_N6thrust23THRUST_200600_302600_NS6detail15normal_iteratorINS9_10device_ptrIiEEEESE_SE_iNS9_4plusIiEE19head_flag_predicateiEE10hipError_tPvRmT2_T3_T4_T5_mT6_T7_P12ihipStream_tbENKUlT_T0_E_clISt17integral_constantIbLb0EESY_EEDaST_SU_EUlST_E_NS1_11comp_targetILNS1_3genE2ELNS1_11target_archE906ELNS1_3gpuE6ELNS1_3repE0EEENS1_30default_config_static_selectorELNS0_4arch9wavefront6targetE0EEEvT1_.num_named_barrier, 0
	.set _ZN7rocprim17ROCPRIM_400000_NS6detail17trampoline_kernelINS0_14default_configENS1_27scan_by_key_config_selectorIiiEEZZNS1_16scan_by_key_implILNS1_25lookback_scan_determinismE0ELb1ES3_N6thrust23THRUST_200600_302600_NS6detail15normal_iteratorINS9_10device_ptrIiEEEESE_SE_iNS9_4plusIiEE19head_flag_predicateiEE10hipError_tPvRmT2_T3_T4_T5_mT6_T7_P12ihipStream_tbENKUlT_T0_E_clISt17integral_constantIbLb0EESY_EEDaST_SU_EUlST_E_NS1_11comp_targetILNS1_3genE2ELNS1_11target_archE906ELNS1_3gpuE6ELNS1_3repE0EEENS1_30default_config_static_selectorELNS0_4arch9wavefront6targetE0EEEvT1_.private_seg_size, 0
	.set _ZN7rocprim17ROCPRIM_400000_NS6detail17trampoline_kernelINS0_14default_configENS1_27scan_by_key_config_selectorIiiEEZZNS1_16scan_by_key_implILNS1_25lookback_scan_determinismE0ELb1ES3_N6thrust23THRUST_200600_302600_NS6detail15normal_iteratorINS9_10device_ptrIiEEEESE_SE_iNS9_4plusIiEE19head_flag_predicateiEE10hipError_tPvRmT2_T3_T4_T5_mT6_T7_P12ihipStream_tbENKUlT_T0_E_clISt17integral_constantIbLb0EESY_EEDaST_SU_EUlST_E_NS1_11comp_targetILNS1_3genE2ELNS1_11target_archE906ELNS1_3gpuE6ELNS1_3repE0EEENS1_30default_config_static_selectorELNS0_4arch9wavefront6targetE0EEEvT1_.uses_vcc, 0
	.set _ZN7rocprim17ROCPRIM_400000_NS6detail17trampoline_kernelINS0_14default_configENS1_27scan_by_key_config_selectorIiiEEZZNS1_16scan_by_key_implILNS1_25lookback_scan_determinismE0ELb1ES3_N6thrust23THRUST_200600_302600_NS6detail15normal_iteratorINS9_10device_ptrIiEEEESE_SE_iNS9_4plusIiEE19head_flag_predicateiEE10hipError_tPvRmT2_T3_T4_T5_mT6_T7_P12ihipStream_tbENKUlT_T0_E_clISt17integral_constantIbLb0EESY_EEDaST_SU_EUlST_E_NS1_11comp_targetILNS1_3genE2ELNS1_11target_archE906ELNS1_3gpuE6ELNS1_3repE0EEENS1_30default_config_static_selectorELNS0_4arch9wavefront6targetE0EEEvT1_.uses_flat_scratch, 0
	.set _ZN7rocprim17ROCPRIM_400000_NS6detail17trampoline_kernelINS0_14default_configENS1_27scan_by_key_config_selectorIiiEEZZNS1_16scan_by_key_implILNS1_25lookback_scan_determinismE0ELb1ES3_N6thrust23THRUST_200600_302600_NS6detail15normal_iteratorINS9_10device_ptrIiEEEESE_SE_iNS9_4plusIiEE19head_flag_predicateiEE10hipError_tPvRmT2_T3_T4_T5_mT6_T7_P12ihipStream_tbENKUlT_T0_E_clISt17integral_constantIbLb0EESY_EEDaST_SU_EUlST_E_NS1_11comp_targetILNS1_3genE2ELNS1_11target_archE906ELNS1_3gpuE6ELNS1_3repE0EEENS1_30default_config_static_selectorELNS0_4arch9wavefront6targetE0EEEvT1_.has_dyn_sized_stack, 0
	.set _ZN7rocprim17ROCPRIM_400000_NS6detail17trampoline_kernelINS0_14default_configENS1_27scan_by_key_config_selectorIiiEEZZNS1_16scan_by_key_implILNS1_25lookback_scan_determinismE0ELb1ES3_N6thrust23THRUST_200600_302600_NS6detail15normal_iteratorINS9_10device_ptrIiEEEESE_SE_iNS9_4plusIiEE19head_flag_predicateiEE10hipError_tPvRmT2_T3_T4_T5_mT6_T7_P12ihipStream_tbENKUlT_T0_E_clISt17integral_constantIbLb0EESY_EEDaST_SU_EUlST_E_NS1_11comp_targetILNS1_3genE2ELNS1_11target_archE906ELNS1_3gpuE6ELNS1_3repE0EEENS1_30default_config_static_selectorELNS0_4arch9wavefront6targetE0EEEvT1_.has_recursion, 0
	.set _ZN7rocprim17ROCPRIM_400000_NS6detail17trampoline_kernelINS0_14default_configENS1_27scan_by_key_config_selectorIiiEEZZNS1_16scan_by_key_implILNS1_25lookback_scan_determinismE0ELb1ES3_N6thrust23THRUST_200600_302600_NS6detail15normal_iteratorINS9_10device_ptrIiEEEESE_SE_iNS9_4plusIiEE19head_flag_predicateiEE10hipError_tPvRmT2_T3_T4_T5_mT6_T7_P12ihipStream_tbENKUlT_T0_E_clISt17integral_constantIbLb0EESY_EEDaST_SU_EUlST_E_NS1_11comp_targetILNS1_3genE2ELNS1_11target_archE906ELNS1_3gpuE6ELNS1_3repE0EEENS1_30default_config_static_selectorELNS0_4arch9wavefront6targetE0EEEvT1_.has_indirect_call, 0
	.section	.AMDGPU.csdata,"",@progbits
; Kernel info:
; codeLenInByte = 0
; TotalNumSgprs: 0
; NumVgprs: 0
; ScratchSize: 0
; MemoryBound: 0
; FloatMode: 240
; IeeeMode: 1
; LDSByteSize: 0 bytes/workgroup (compile time only)
; SGPRBlocks: 0
; VGPRBlocks: 0
; NumSGPRsForWavesPerEU: 1
; NumVGPRsForWavesPerEU: 1
; Occupancy: 16
; WaveLimiterHint : 0
; COMPUTE_PGM_RSRC2:SCRATCH_EN: 0
; COMPUTE_PGM_RSRC2:USER_SGPR: 6
; COMPUTE_PGM_RSRC2:TRAP_HANDLER: 0
; COMPUTE_PGM_RSRC2:TGID_X_EN: 1
; COMPUTE_PGM_RSRC2:TGID_Y_EN: 0
; COMPUTE_PGM_RSRC2:TGID_Z_EN: 0
; COMPUTE_PGM_RSRC2:TIDIG_COMP_CNT: 0
	.section	.text._ZN7rocprim17ROCPRIM_400000_NS6detail17trampoline_kernelINS0_14default_configENS1_27scan_by_key_config_selectorIiiEEZZNS1_16scan_by_key_implILNS1_25lookback_scan_determinismE0ELb1ES3_N6thrust23THRUST_200600_302600_NS6detail15normal_iteratorINS9_10device_ptrIiEEEESE_SE_iNS9_4plusIiEE19head_flag_predicateiEE10hipError_tPvRmT2_T3_T4_T5_mT6_T7_P12ihipStream_tbENKUlT_T0_E_clISt17integral_constantIbLb0EESY_EEDaST_SU_EUlST_E_NS1_11comp_targetILNS1_3genE10ELNS1_11target_archE1200ELNS1_3gpuE4ELNS1_3repE0EEENS1_30default_config_static_selectorELNS0_4arch9wavefront6targetE0EEEvT1_,"axG",@progbits,_ZN7rocprim17ROCPRIM_400000_NS6detail17trampoline_kernelINS0_14default_configENS1_27scan_by_key_config_selectorIiiEEZZNS1_16scan_by_key_implILNS1_25lookback_scan_determinismE0ELb1ES3_N6thrust23THRUST_200600_302600_NS6detail15normal_iteratorINS9_10device_ptrIiEEEESE_SE_iNS9_4plusIiEE19head_flag_predicateiEE10hipError_tPvRmT2_T3_T4_T5_mT6_T7_P12ihipStream_tbENKUlT_T0_E_clISt17integral_constantIbLb0EESY_EEDaST_SU_EUlST_E_NS1_11comp_targetILNS1_3genE10ELNS1_11target_archE1200ELNS1_3gpuE4ELNS1_3repE0EEENS1_30default_config_static_selectorELNS0_4arch9wavefront6targetE0EEEvT1_,comdat
	.protected	_ZN7rocprim17ROCPRIM_400000_NS6detail17trampoline_kernelINS0_14default_configENS1_27scan_by_key_config_selectorIiiEEZZNS1_16scan_by_key_implILNS1_25lookback_scan_determinismE0ELb1ES3_N6thrust23THRUST_200600_302600_NS6detail15normal_iteratorINS9_10device_ptrIiEEEESE_SE_iNS9_4plusIiEE19head_flag_predicateiEE10hipError_tPvRmT2_T3_T4_T5_mT6_T7_P12ihipStream_tbENKUlT_T0_E_clISt17integral_constantIbLb0EESY_EEDaST_SU_EUlST_E_NS1_11comp_targetILNS1_3genE10ELNS1_11target_archE1200ELNS1_3gpuE4ELNS1_3repE0EEENS1_30default_config_static_selectorELNS0_4arch9wavefront6targetE0EEEvT1_ ; -- Begin function _ZN7rocprim17ROCPRIM_400000_NS6detail17trampoline_kernelINS0_14default_configENS1_27scan_by_key_config_selectorIiiEEZZNS1_16scan_by_key_implILNS1_25lookback_scan_determinismE0ELb1ES3_N6thrust23THRUST_200600_302600_NS6detail15normal_iteratorINS9_10device_ptrIiEEEESE_SE_iNS9_4plusIiEE19head_flag_predicateiEE10hipError_tPvRmT2_T3_T4_T5_mT6_T7_P12ihipStream_tbENKUlT_T0_E_clISt17integral_constantIbLb0EESY_EEDaST_SU_EUlST_E_NS1_11comp_targetILNS1_3genE10ELNS1_11target_archE1200ELNS1_3gpuE4ELNS1_3repE0EEENS1_30default_config_static_selectorELNS0_4arch9wavefront6targetE0EEEvT1_
	.globl	_ZN7rocprim17ROCPRIM_400000_NS6detail17trampoline_kernelINS0_14default_configENS1_27scan_by_key_config_selectorIiiEEZZNS1_16scan_by_key_implILNS1_25lookback_scan_determinismE0ELb1ES3_N6thrust23THRUST_200600_302600_NS6detail15normal_iteratorINS9_10device_ptrIiEEEESE_SE_iNS9_4plusIiEE19head_flag_predicateiEE10hipError_tPvRmT2_T3_T4_T5_mT6_T7_P12ihipStream_tbENKUlT_T0_E_clISt17integral_constantIbLb0EESY_EEDaST_SU_EUlST_E_NS1_11comp_targetILNS1_3genE10ELNS1_11target_archE1200ELNS1_3gpuE4ELNS1_3repE0EEENS1_30default_config_static_selectorELNS0_4arch9wavefront6targetE0EEEvT1_
	.p2align	8
	.type	_ZN7rocprim17ROCPRIM_400000_NS6detail17trampoline_kernelINS0_14default_configENS1_27scan_by_key_config_selectorIiiEEZZNS1_16scan_by_key_implILNS1_25lookback_scan_determinismE0ELb1ES3_N6thrust23THRUST_200600_302600_NS6detail15normal_iteratorINS9_10device_ptrIiEEEESE_SE_iNS9_4plusIiEE19head_flag_predicateiEE10hipError_tPvRmT2_T3_T4_T5_mT6_T7_P12ihipStream_tbENKUlT_T0_E_clISt17integral_constantIbLb0EESY_EEDaST_SU_EUlST_E_NS1_11comp_targetILNS1_3genE10ELNS1_11target_archE1200ELNS1_3gpuE4ELNS1_3repE0EEENS1_30default_config_static_selectorELNS0_4arch9wavefront6targetE0EEEvT1_,@function
_ZN7rocprim17ROCPRIM_400000_NS6detail17trampoline_kernelINS0_14default_configENS1_27scan_by_key_config_selectorIiiEEZZNS1_16scan_by_key_implILNS1_25lookback_scan_determinismE0ELb1ES3_N6thrust23THRUST_200600_302600_NS6detail15normal_iteratorINS9_10device_ptrIiEEEESE_SE_iNS9_4plusIiEE19head_flag_predicateiEE10hipError_tPvRmT2_T3_T4_T5_mT6_T7_P12ihipStream_tbENKUlT_T0_E_clISt17integral_constantIbLb0EESY_EEDaST_SU_EUlST_E_NS1_11comp_targetILNS1_3genE10ELNS1_11target_archE1200ELNS1_3gpuE4ELNS1_3repE0EEENS1_30default_config_static_selectorELNS0_4arch9wavefront6targetE0EEEvT1_: ; @_ZN7rocprim17ROCPRIM_400000_NS6detail17trampoline_kernelINS0_14default_configENS1_27scan_by_key_config_selectorIiiEEZZNS1_16scan_by_key_implILNS1_25lookback_scan_determinismE0ELb1ES3_N6thrust23THRUST_200600_302600_NS6detail15normal_iteratorINS9_10device_ptrIiEEEESE_SE_iNS9_4plusIiEE19head_flag_predicateiEE10hipError_tPvRmT2_T3_T4_T5_mT6_T7_P12ihipStream_tbENKUlT_T0_E_clISt17integral_constantIbLb0EESY_EEDaST_SU_EUlST_E_NS1_11comp_targetILNS1_3genE10ELNS1_11target_archE1200ELNS1_3gpuE4ELNS1_3repE0EEENS1_30default_config_static_selectorELNS0_4arch9wavefront6targetE0EEEvT1_
; %bb.0:
	.section	.rodata,"a",@progbits
	.p2align	6, 0x0
	.amdhsa_kernel _ZN7rocprim17ROCPRIM_400000_NS6detail17trampoline_kernelINS0_14default_configENS1_27scan_by_key_config_selectorIiiEEZZNS1_16scan_by_key_implILNS1_25lookback_scan_determinismE0ELb1ES3_N6thrust23THRUST_200600_302600_NS6detail15normal_iteratorINS9_10device_ptrIiEEEESE_SE_iNS9_4plusIiEE19head_flag_predicateiEE10hipError_tPvRmT2_T3_T4_T5_mT6_T7_P12ihipStream_tbENKUlT_T0_E_clISt17integral_constantIbLb0EESY_EEDaST_SU_EUlST_E_NS1_11comp_targetILNS1_3genE10ELNS1_11target_archE1200ELNS1_3gpuE4ELNS1_3repE0EEENS1_30default_config_static_selectorELNS0_4arch9wavefront6targetE0EEEvT1_
		.amdhsa_group_segment_fixed_size 0
		.amdhsa_private_segment_fixed_size 0
		.amdhsa_kernarg_size 112
		.amdhsa_user_sgpr_count 6
		.amdhsa_user_sgpr_private_segment_buffer 1
		.amdhsa_user_sgpr_dispatch_ptr 0
		.amdhsa_user_sgpr_queue_ptr 0
		.amdhsa_user_sgpr_kernarg_segment_ptr 1
		.amdhsa_user_sgpr_dispatch_id 0
		.amdhsa_user_sgpr_flat_scratch_init 0
		.amdhsa_user_sgpr_private_segment_size 0
		.amdhsa_wavefront_size32 1
		.amdhsa_uses_dynamic_stack 0
		.amdhsa_system_sgpr_private_segment_wavefront_offset 0
		.amdhsa_system_sgpr_workgroup_id_x 1
		.amdhsa_system_sgpr_workgroup_id_y 0
		.amdhsa_system_sgpr_workgroup_id_z 0
		.amdhsa_system_sgpr_workgroup_info 0
		.amdhsa_system_vgpr_workitem_id 0
		.amdhsa_next_free_vgpr 1
		.amdhsa_next_free_sgpr 1
		.amdhsa_reserve_vcc 0
		.amdhsa_reserve_flat_scratch 0
		.amdhsa_float_round_mode_32 0
		.amdhsa_float_round_mode_16_64 0
		.amdhsa_float_denorm_mode_32 3
		.amdhsa_float_denorm_mode_16_64 3
		.amdhsa_dx10_clamp 1
		.amdhsa_ieee_mode 1
		.amdhsa_fp16_overflow 0
		.amdhsa_workgroup_processor_mode 1
		.amdhsa_memory_ordered 1
		.amdhsa_forward_progress 1
		.amdhsa_shared_vgpr_count 0
		.amdhsa_exception_fp_ieee_invalid_op 0
		.amdhsa_exception_fp_denorm_src 0
		.amdhsa_exception_fp_ieee_div_zero 0
		.amdhsa_exception_fp_ieee_overflow 0
		.amdhsa_exception_fp_ieee_underflow 0
		.amdhsa_exception_fp_ieee_inexact 0
		.amdhsa_exception_int_div_zero 0
	.end_amdhsa_kernel
	.section	.text._ZN7rocprim17ROCPRIM_400000_NS6detail17trampoline_kernelINS0_14default_configENS1_27scan_by_key_config_selectorIiiEEZZNS1_16scan_by_key_implILNS1_25lookback_scan_determinismE0ELb1ES3_N6thrust23THRUST_200600_302600_NS6detail15normal_iteratorINS9_10device_ptrIiEEEESE_SE_iNS9_4plusIiEE19head_flag_predicateiEE10hipError_tPvRmT2_T3_T4_T5_mT6_T7_P12ihipStream_tbENKUlT_T0_E_clISt17integral_constantIbLb0EESY_EEDaST_SU_EUlST_E_NS1_11comp_targetILNS1_3genE10ELNS1_11target_archE1200ELNS1_3gpuE4ELNS1_3repE0EEENS1_30default_config_static_selectorELNS0_4arch9wavefront6targetE0EEEvT1_,"axG",@progbits,_ZN7rocprim17ROCPRIM_400000_NS6detail17trampoline_kernelINS0_14default_configENS1_27scan_by_key_config_selectorIiiEEZZNS1_16scan_by_key_implILNS1_25lookback_scan_determinismE0ELb1ES3_N6thrust23THRUST_200600_302600_NS6detail15normal_iteratorINS9_10device_ptrIiEEEESE_SE_iNS9_4plusIiEE19head_flag_predicateiEE10hipError_tPvRmT2_T3_T4_T5_mT6_T7_P12ihipStream_tbENKUlT_T0_E_clISt17integral_constantIbLb0EESY_EEDaST_SU_EUlST_E_NS1_11comp_targetILNS1_3genE10ELNS1_11target_archE1200ELNS1_3gpuE4ELNS1_3repE0EEENS1_30default_config_static_selectorELNS0_4arch9wavefront6targetE0EEEvT1_,comdat
.Lfunc_end791:
	.size	_ZN7rocprim17ROCPRIM_400000_NS6detail17trampoline_kernelINS0_14default_configENS1_27scan_by_key_config_selectorIiiEEZZNS1_16scan_by_key_implILNS1_25lookback_scan_determinismE0ELb1ES3_N6thrust23THRUST_200600_302600_NS6detail15normal_iteratorINS9_10device_ptrIiEEEESE_SE_iNS9_4plusIiEE19head_flag_predicateiEE10hipError_tPvRmT2_T3_T4_T5_mT6_T7_P12ihipStream_tbENKUlT_T0_E_clISt17integral_constantIbLb0EESY_EEDaST_SU_EUlST_E_NS1_11comp_targetILNS1_3genE10ELNS1_11target_archE1200ELNS1_3gpuE4ELNS1_3repE0EEENS1_30default_config_static_selectorELNS0_4arch9wavefront6targetE0EEEvT1_, .Lfunc_end791-_ZN7rocprim17ROCPRIM_400000_NS6detail17trampoline_kernelINS0_14default_configENS1_27scan_by_key_config_selectorIiiEEZZNS1_16scan_by_key_implILNS1_25lookback_scan_determinismE0ELb1ES3_N6thrust23THRUST_200600_302600_NS6detail15normal_iteratorINS9_10device_ptrIiEEEESE_SE_iNS9_4plusIiEE19head_flag_predicateiEE10hipError_tPvRmT2_T3_T4_T5_mT6_T7_P12ihipStream_tbENKUlT_T0_E_clISt17integral_constantIbLb0EESY_EEDaST_SU_EUlST_E_NS1_11comp_targetILNS1_3genE10ELNS1_11target_archE1200ELNS1_3gpuE4ELNS1_3repE0EEENS1_30default_config_static_selectorELNS0_4arch9wavefront6targetE0EEEvT1_
                                        ; -- End function
	.set _ZN7rocprim17ROCPRIM_400000_NS6detail17trampoline_kernelINS0_14default_configENS1_27scan_by_key_config_selectorIiiEEZZNS1_16scan_by_key_implILNS1_25lookback_scan_determinismE0ELb1ES3_N6thrust23THRUST_200600_302600_NS6detail15normal_iteratorINS9_10device_ptrIiEEEESE_SE_iNS9_4plusIiEE19head_flag_predicateiEE10hipError_tPvRmT2_T3_T4_T5_mT6_T7_P12ihipStream_tbENKUlT_T0_E_clISt17integral_constantIbLb0EESY_EEDaST_SU_EUlST_E_NS1_11comp_targetILNS1_3genE10ELNS1_11target_archE1200ELNS1_3gpuE4ELNS1_3repE0EEENS1_30default_config_static_selectorELNS0_4arch9wavefront6targetE0EEEvT1_.num_vgpr, 0
	.set _ZN7rocprim17ROCPRIM_400000_NS6detail17trampoline_kernelINS0_14default_configENS1_27scan_by_key_config_selectorIiiEEZZNS1_16scan_by_key_implILNS1_25lookback_scan_determinismE0ELb1ES3_N6thrust23THRUST_200600_302600_NS6detail15normal_iteratorINS9_10device_ptrIiEEEESE_SE_iNS9_4plusIiEE19head_flag_predicateiEE10hipError_tPvRmT2_T3_T4_T5_mT6_T7_P12ihipStream_tbENKUlT_T0_E_clISt17integral_constantIbLb0EESY_EEDaST_SU_EUlST_E_NS1_11comp_targetILNS1_3genE10ELNS1_11target_archE1200ELNS1_3gpuE4ELNS1_3repE0EEENS1_30default_config_static_selectorELNS0_4arch9wavefront6targetE0EEEvT1_.num_agpr, 0
	.set _ZN7rocprim17ROCPRIM_400000_NS6detail17trampoline_kernelINS0_14default_configENS1_27scan_by_key_config_selectorIiiEEZZNS1_16scan_by_key_implILNS1_25lookback_scan_determinismE0ELb1ES3_N6thrust23THRUST_200600_302600_NS6detail15normal_iteratorINS9_10device_ptrIiEEEESE_SE_iNS9_4plusIiEE19head_flag_predicateiEE10hipError_tPvRmT2_T3_T4_T5_mT6_T7_P12ihipStream_tbENKUlT_T0_E_clISt17integral_constantIbLb0EESY_EEDaST_SU_EUlST_E_NS1_11comp_targetILNS1_3genE10ELNS1_11target_archE1200ELNS1_3gpuE4ELNS1_3repE0EEENS1_30default_config_static_selectorELNS0_4arch9wavefront6targetE0EEEvT1_.numbered_sgpr, 0
	.set _ZN7rocprim17ROCPRIM_400000_NS6detail17trampoline_kernelINS0_14default_configENS1_27scan_by_key_config_selectorIiiEEZZNS1_16scan_by_key_implILNS1_25lookback_scan_determinismE0ELb1ES3_N6thrust23THRUST_200600_302600_NS6detail15normal_iteratorINS9_10device_ptrIiEEEESE_SE_iNS9_4plusIiEE19head_flag_predicateiEE10hipError_tPvRmT2_T3_T4_T5_mT6_T7_P12ihipStream_tbENKUlT_T0_E_clISt17integral_constantIbLb0EESY_EEDaST_SU_EUlST_E_NS1_11comp_targetILNS1_3genE10ELNS1_11target_archE1200ELNS1_3gpuE4ELNS1_3repE0EEENS1_30default_config_static_selectorELNS0_4arch9wavefront6targetE0EEEvT1_.num_named_barrier, 0
	.set _ZN7rocprim17ROCPRIM_400000_NS6detail17trampoline_kernelINS0_14default_configENS1_27scan_by_key_config_selectorIiiEEZZNS1_16scan_by_key_implILNS1_25lookback_scan_determinismE0ELb1ES3_N6thrust23THRUST_200600_302600_NS6detail15normal_iteratorINS9_10device_ptrIiEEEESE_SE_iNS9_4plusIiEE19head_flag_predicateiEE10hipError_tPvRmT2_T3_T4_T5_mT6_T7_P12ihipStream_tbENKUlT_T0_E_clISt17integral_constantIbLb0EESY_EEDaST_SU_EUlST_E_NS1_11comp_targetILNS1_3genE10ELNS1_11target_archE1200ELNS1_3gpuE4ELNS1_3repE0EEENS1_30default_config_static_selectorELNS0_4arch9wavefront6targetE0EEEvT1_.private_seg_size, 0
	.set _ZN7rocprim17ROCPRIM_400000_NS6detail17trampoline_kernelINS0_14default_configENS1_27scan_by_key_config_selectorIiiEEZZNS1_16scan_by_key_implILNS1_25lookback_scan_determinismE0ELb1ES3_N6thrust23THRUST_200600_302600_NS6detail15normal_iteratorINS9_10device_ptrIiEEEESE_SE_iNS9_4plusIiEE19head_flag_predicateiEE10hipError_tPvRmT2_T3_T4_T5_mT6_T7_P12ihipStream_tbENKUlT_T0_E_clISt17integral_constantIbLb0EESY_EEDaST_SU_EUlST_E_NS1_11comp_targetILNS1_3genE10ELNS1_11target_archE1200ELNS1_3gpuE4ELNS1_3repE0EEENS1_30default_config_static_selectorELNS0_4arch9wavefront6targetE0EEEvT1_.uses_vcc, 0
	.set _ZN7rocprim17ROCPRIM_400000_NS6detail17trampoline_kernelINS0_14default_configENS1_27scan_by_key_config_selectorIiiEEZZNS1_16scan_by_key_implILNS1_25lookback_scan_determinismE0ELb1ES3_N6thrust23THRUST_200600_302600_NS6detail15normal_iteratorINS9_10device_ptrIiEEEESE_SE_iNS9_4plusIiEE19head_flag_predicateiEE10hipError_tPvRmT2_T3_T4_T5_mT6_T7_P12ihipStream_tbENKUlT_T0_E_clISt17integral_constantIbLb0EESY_EEDaST_SU_EUlST_E_NS1_11comp_targetILNS1_3genE10ELNS1_11target_archE1200ELNS1_3gpuE4ELNS1_3repE0EEENS1_30default_config_static_selectorELNS0_4arch9wavefront6targetE0EEEvT1_.uses_flat_scratch, 0
	.set _ZN7rocprim17ROCPRIM_400000_NS6detail17trampoline_kernelINS0_14default_configENS1_27scan_by_key_config_selectorIiiEEZZNS1_16scan_by_key_implILNS1_25lookback_scan_determinismE0ELb1ES3_N6thrust23THRUST_200600_302600_NS6detail15normal_iteratorINS9_10device_ptrIiEEEESE_SE_iNS9_4plusIiEE19head_flag_predicateiEE10hipError_tPvRmT2_T3_T4_T5_mT6_T7_P12ihipStream_tbENKUlT_T0_E_clISt17integral_constantIbLb0EESY_EEDaST_SU_EUlST_E_NS1_11comp_targetILNS1_3genE10ELNS1_11target_archE1200ELNS1_3gpuE4ELNS1_3repE0EEENS1_30default_config_static_selectorELNS0_4arch9wavefront6targetE0EEEvT1_.has_dyn_sized_stack, 0
	.set _ZN7rocprim17ROCPRIM_400000_NS6detail17trampoline_kernelINS0_14default_configENS1_27scan_by_key_config_selectorIiiEEZZNS1_16scan_by_key_implILNS1_25lookback_scan_determinismE0ELb1ES3_N6thrust23THRUST_200600_302600_NS6detail15normal_iteratorINS9_10device_ptrIiEEEESE_SE_iNS9_4plusIiEE19head_flag_predicateiEE10hipError_tPvRmT2_T3_T4_T5_mT6_T7_P12ihipStream_tbENKUlT_T0_E_clISt17integral_constantIbLb0EESY_EEDaST_SU_EUlST_E_NS1_11comp_targetILNS1_3genE10ELNS1_11target_archE1200ELNS1_3gpuE4ELNS1_3repE0EEENS1_30default_config_static_selectorELNS0_4arch9wavefront6targetE0EEEvT1_.has_recursion, 0
	.set _ZN7rocprim17ROCPRIM_400000_NS6detail17trampoline_kernelINS0_14default_configENS1_27scan_by_key_config_selectorIiiEEZZNS1_16scan_by_key_implILNS1_25lookback_scan_determinismE0ELb1ES3_N6thrust23THRUST_200600_302600_NS6detail15normal_iteratorINS9_10device_ptrIiEEEESE_SE_iNS9_4plusIiEE19head_flag_predicateiEE10hipError_tPvRmT2_T3_T4_T5_mT6_T7_P12ihipStream_tbENKUlT_T0_E_clISt17integral_constantIbLb0EESY_EEDaST_SU_EUlST_E_NS1_11comp_targetILNS1_3genE10ELNS1_11target_archE1200ELNS1_3gpuE4ELNS1_3repE0EEENS1_30default_config_static_selectorELNS0_4arch9wavefront6targetE0EEEvT1_.has_indirect_call, 0
	.section	.AMDGPU.csdata,"",@progbits
; Kernel info:
; codeLenInByte = 0
; TotalNumSgprs: 0
; NumVgprs: 0
; ScratchSize: 0
; MemoryBound: 0
; FloatMode: 240
; IeeeMode: 1
; LDSByteSize: 0 bytes/workgroup (compile time only)
; SGPRBlocks: 0
; VGPRBlocks: 0
; NumSGPRsForWavesPerEU: 1
; NumVGPRsForWavesPerEU: 1
; Occupancy: 16
; WaveLimiterHint : 0
; COMPUTE_PGM_RSRC2:SCRATCH_EN: 0
; COMPUTE_PGM_RSRC2:USER_SGPR: 6
; COMPUTE_PGM_RSRC2:TRAP_HANDLER: 0
; COMPUTE_PGM_RSRC2:TGID_X_EN: 1
; COMPUTE_PGM_RSRC2:TGID_Y_EN: 0
; COMPUTE_PGM_RSRC2:TGID_Z_EN: 0
; COMPUTE_PGM_RSRC2:TIDIG_COMP_CNT: 0
	.section	.text._ZN7rocprim17ROCPRIM_400000_NS6detail17trampoline_kernelINS0_14default_configENS1_27scan_by_key_config_selectorIiiEEZZNS1_16scan_by_key_implILNS1_25lookback_scan_determinismE0ELb1ES3_N6thrust23THRUST_200600_302600_NS6detail15normal_iteratorINS9_10device_ptrIiEEEESE_SE_iNS9_4plusIiEE19head_flag_predicateiEE10hipError_tPvRmT2_T3_T4_T5_mT6_T7_P12ihipStream_tbENKUlT_T0_E_clISt17integral_constantIbLb0EESY_EEDaST_SU_EUlST_E_NS1_11comp_targetILNS1_3genE9ELNS1_11target_archE1100ELNS1_3gpuE3ELNS1_3repE0EEENS1_30default_config_static_selectorELNS0_4arch9wavefront6targetE0EEEvT1_,"axG",@progbits,_ZN7rocprim17ROCPRIM_400000_NS6detail17trampoline_kernelINS0_14default_configENS1_27scan_by_key_config_selectorIiiEEZZNS1_16scan_by_key_implILNS1_25lookback_scan_determinismE0ELb1ES3_N6thrust23THRUST_200600_302600_NS6detail15normal_iteratorINS9_10device_ptrIiEEEESE_SE_iNS9_4plusIiEE19head_flag_predicateiEE10hipError_tPvRmT2_T3_T4_T5_mT6_T7_P12ihipStream_tbENKUlT_T0_E_clISt17integral_constantIbLb0EESY_EEDaST_SU_EUlST_E_NS1_11comp_targetILNS1_3genE9ELNS1_11target_archE1100ELNS1_3gpuE3ELNS1_3repE0EEENS1_30default_config_static_selectorELNS0_4arch9wavefront6targetE0EEEvT1_,comdat
	.protected	_ZN7rocprim17ROCPRIM_400000_NS6detail17trampoline_kernelINS0_14default_configENS1_27scan_by_key_config_selectorIiiEEZZNS1_16scan_by_key_implILNS1_25lookback_scan_determinismE0ELb1ES3_N6thrust23THRUST_200600_302600_NS6detail15normal_iteratorINS9_10device_ptrIiEEEESE_SE_iNS9_4plusIiEE19head_flag_predicateiEE10hipError_tPvRmT2_T3_T4_T5_mT6_T7_P12ihipStream_tbENKUlT_T0_E_clISt17integral_constantIbLb0EESY_EEDaST_SU_EUlST_E_NS1_11comp_targetILNS1_3genE9ELNS1_11target_archE1100ELNS1_3gpuE3ELNS1_3repE0EEENS1_30default_config_static_selectorELNS0_4arch9wavefront6targetE0EEEvT1_ ; -- Begin function _ZN7rocprim17ROCPRIM_400000_NS6detail17trampoline_kernelINS0_14default_configENS1_27scan_by_key_config_selectorIiiEEZZNS1_16scan_by_key_implILNS1_25lookback_scan_determinismE0ELb1ES3_N6thrust23THRUST_200600_302600_NS6detail15normal_iteratorINS9_10device_ptrIiEEEESE_SE_iNS9_4plusIiEE19head_flag_predicateiEE10hipError_tPvRmT2_T3_T4_T5_mT6_T7_P12ihipStream_tbENKUlT_T0_E_clISt17integral_constantIbLb0EESY_EEDaST_SU_EUlST_E_NS1_11comp_targetILNS1_3genE9ELNS1_11target_archE1100ELNS1_3gpuE3ELNS1_3repE0EEENS1_30default_config_static_selectorELNS0_4arch9wavefront6targetE0EEEvT1_
	.globl	_ZN7rocprim17ROCPRIM_400000_NS6detail17trampoline_kernelINS0_14default_configENS1_27scan_by_key_config_selectorIiiEEZZNS1_16scan_by_key_implILNS1_25lookback_scan_determinismE0ELb1ES3_N6thrust23THRUST_200600_302600_NS6detail15normal_iteratorINS9_10device_ptrIiEEEESE_SE_iNS9_4plusIiEE19head_flag_predicateiEE10hipError_tPvRmT2_T3_T4_T5_mT6_T7_P12ihipStream_tbENKUlT_T0_E_clISt17integral_constantIbLb0EESY_EEDaST_SU_EUlST_E_NS1_11comp_targetILNS1_3genE9ELNS1_11target_archE1100ELNS1_3gpuE3ELNS1_3repE0EEENS1_30default_config_static_selectorELNS0_4arch9wavefront6targetE0EEEvT1_
	.p2align	8
	.type	_ZN7rocprim17ROCPRIM_400000_NS6detail17trampoline_kernelINS0_14default_configENS1_27scan_by_key_config_selectorIiiEEZZNS1_16scan_by_key_implILNS1_25lookback_scan_determinismE0ELb1ES3_N6thrust23THRUST_200600_302600_NS6detail15normal_iteratorINS9_10device_ptrIiEEEESE_SE_iNS9_4plusIiEE19head_flag_predicateiEE10hipError_tPvRmT2_T3_T4_T5_mT6_T7_P12ihipStream_tbENKUlT_T0_E_clISt17integral_constantIbLb0EESY_EEDaST_SU_EUlST_E_NS1_11comp_targetILNS1_3genE9ELNS1_11target_archE1100ELNS1_3gpuE3ELNS1_3repE0EEENS1_30default_config_static_selectorELNS0_4arch9wavefront6targetE0EEEvT1_,@function
_ZN7rocprim17ROCPRIM_400000_NS6detail17trampoline_kernelINS0_14default_configENS1_27scan_by_key_config_selectorIiiEEZZNS1_16scan_by_key_implILNS1_25lookback_scan_determinismE0ELb1ES3_N6thrust23THRUST_200600_302600_NS6detail15normal_iteratorINS9_10device_ptrIiEEEESE_SE_iNS9_4plusIiEE19head_flag_predicateiEE10hipError_tPvRmT2_T3_T4_T5_mT6_T7_P12ihipStream_tbENKUlT_T0_E_clISt17integral_constantIbLb0EESY_EEDaST_SU_EUlST_E_NS1_11comp_targetILNS1_3genE9ELNS1_11target_archE1100ELNS1_3gpuE3ELNS1_3repE0EEENS1_30default_config_static_selectorELNS0_4arch9wavefront6targetE0EEEvT1_: ; @_ZN7rocprim17ROCPRIM_400000_NS6detail17trampoline_kernelINS0_14default_configENS1_27scan_by_key_config_selectorIiiEEZZNS1_16scan_by_key_implILNS1_25lookback_scan_determinismE0ELb1ES3_N6thrust23THRUST_200600_302600_NS6detail15normal_iteratorINS9_10device_ptrIiEEEESE_SE_iNS9_4plusIiEE19head_flag_predicateiEE10hipError_tPvRmT2_T3_T4_T5_mT6_T7_P12ihipStream_tbENKUlT_T0_E_clISt17integral_constantIbLb0EESY_EEDaST_SU_EUlST_E_NS1_11comp_targetILNS1_3genE9ELNS1_11target_archE1100ELNS1_3gpuE3ELNS1_3repE0EEENS1_30default_config_static_selectorELNS0_4arch9wavefront6targetE0EEEvT1_
; %bb.0:
	.section	.rodata,"a",@progbits
	.p2align	6, 0x0
	.amdhsa_kernel _ZN7rocprim17ROCPRIM_400000_NS6detail17trampoline_kernelINS0_14default_configENS1_27scan_by_key_config_selectorIiiEEZZNS1_16scan_by_key_implILNS1_25lookback_scan_determinismE0ELb1ES3_N6thrust23THRUST_200600_302600_NS6detail15normal_iteratorINS9_10device_ptrIiEEEESE_SE_iNS9_4plusIiEE19head_flag_predicateiEE10hipError_tPvRmT2_T3_T4_T5_mT6_T7_P12ihipStream_tbENKUlT_T0_E_clISt17integral_constantIbLb0EESY_EEDaST_SU_EUlST_E_NS1_11comp_targetILNS1_3genE9ELNS1_11target_archE1100ELNS1_3gpuE3ELNS1_3repE0EEENS1_30default_config_static_selectorELNS0_4arch9wavefront6targetE0EEEvT1_
		.amdhsa_group_segment_fixed_size 0
		.amdhsa_private_segment_fixed_size 0
		.amdhsa_kernarg_size 112
		.amdhsa_user_sgpr_count 6
		.amdhsa_user_sgpr_private_segment_buffer 1
		.amdhsa_user_sgpr_dispatch_ptr 0
		.amdhsa_user_sgpr_queue_ptr 0
		.amdhsa_user_sgpr_kernarg_segment_ptr 1
		.amdhsa_user_sgpr_dispatch_id 0
		.amdhsa_user_sgpr_flat_scratch_init 0
		.amdhsa_user_sgpr_private_segment_size 0
		.amdhsa_wavefront_size32 1
		.amdhsa_uses_dynamic_stack 0
		.amdhsa_system_sgpr_private_segment_wavefront_offset 0
		.amdhsa_system_sgpr_workgroup_id_x 1
		.amdhsa_system_sgpr_workgroup_id_y 0
		.amdhsa_system_sgpr_workgroup_id_z 0
		.amdhsa_system_sgpr_workgroup_info 0
		.amdhsa_system_vgpr_workitem_id 0
		.amdhsa_next_free_vgpr 1
		.amdhsa_next_free_sgpr 1
		.amdhsa_reserve_vcc 0
		.amdhsa_reserve_flat_scratch 0
		.amdhsa_float_round_mode_32 0
		.amdhsa_float_round_mode_16_64 0
		.amdhsa_float_denorm_mode_32 3
		.amdhsa_float_denorm_mode_16_64 3
		.amdhsa_dx10_clamp 1
		.amdhsa_ieee_mode 1
		.amdhsa_fp16_overflow 0
		.amdhsa_workgroup_processor_mode 1
		.amdhsa_memory_ordered 1
		.amdhsa_forward_progress 1
		.amdhsa_shared_vgpr_count 0
		.amdhsa_exception_fp_ieee_invalid_op 0
		.amdhsa_exception_fp_denorm_src 0
		.amdhsa_exception_fp_ieee_div_zero 0
		.amdhsa_exception_fp_ieee_overflow 0
		.amdhsa_exception_fp_ieee_underflow 0
		.amdhsa_exception_fp_ieee_inexact 0
		.amdhsa_exception_int_div_zero 0
	.end_amdhsa_kernel
	.section	.text._ZN7rocprim17ROCPRIM_400000_NS6detail17trampoline_kernelINS0_14default_configENS1_27scan_by_key_config_selectorIiiEEZZNS1_16scan_by_key_implILNS1_25lookback_scan_determinismE0ELb1ES3_N6thrust23THRUST_200600_302600_NS6detail15normal_iteratorINS9_10device_ptrIiEEEESE_SE_iNS9_4plusIiEE19head_flag_predicateiEE10hipError_tPvRmT2_T3_T4_T5_mT6_T7_P12ihipStream_tbENKUlT_T0_E_clISt17integral_constantIbLb0EESY_EEDaST_SU_EUlST_E_NS1_11comp_targetILNS1_3genE9ELNS1_11target_archE1100ELNS1_3gpuE3ELNS1_3repE0EEENS1_30default_config_static_selectorELNS0_4arch9wavefront6targetE0EEEvT1_,"axG",@progbits,_ZN7rocprim17ROCPRIM_400000_NS6detail17trampoline_kernelINS0_14default_configENS1_27scan_by_key_config_selectorIiiEEZZNS1_16scan_by_key_implILNS1_25lookback_scan_determinismE0ELb1ES3_N6thrust23THRUST_200600_302600_NS6detail15normal_iteratorINS9_10device_ptrIiEEEESE_SE_iNS9_4plusIiEE19head_flag_predicateiEE10hipError_tPvRmT2_T3_T4_T5_mT6_T7_P12ihipStream_tbENKUlT_T0_E_clISt17integral_constantIbLb0EESY_EEDaST_SU_EUlST_E_NS1_11comp_targetILNS1_3genE9ELNS1_11target_archE1100ELNS1_3gpuE3ELNS1_3repE0EEENS1_30default_config_static_selectorELNS0_4arch9wavefront6targetE0EEEvT1_,comdat
.Lfunc_end792:
	.size	_ZN7rocprim17ROCPRIM_400000_NS6detail17trampoline_kernelINS0_14default_configENS1_27scan_by_key_config_selectorIiiEEZZNS1_16scan_by_key_implILNS1_25lookback_scan_determinismE0ELb1ES3_N6thrust23THRUST_200600_302600_NS6detail15normal_iteratorINS9_10device_ptrIiEEEESE_SE_iNS9_4plusIiEE19head_flag_predicateiEE10hipError_tPvRmT2_T3_T4_T5_mT6_T7_P12ihipStream_tbENKUlT_T0_E_clISt17integral_constantIbLb0EESY_EEDaST_SU_EUlST_E_NS1_11comp_targetILNS1_3genE9ELNS1_11target_archE1100ELNS1_3gpuE3ELNS1_3repE0EEENS1_30default_config_static_selectorELNS0_4arch9wavefront6targetE0EEEvT1_, .Lfunc_end792-_ZN7rocprim17ROCPRIM_400000_NS6detail17trampoline_kernelINS0_14default_configENS1_27scan_by_key_config_selectorIiiEEZZNS1_16scan_by_key_implILNS1_25lookback_scan_determinismE0ELb1ES3_N6thrust23THRUST_200600_302600_NS6detail15normal_iteratorINS9_10device_ptrIiEEEESE_SE_iNS9_4plusIiEE19head_flag_predicateiEE10hipError_tPvRmT2_T3_T4_T5_mT6_T7_P12ihipStream_tbENKUlT_T0_E_clISt17integral_constantIbLb0EESY_EEDaST_SU_EUlST_E_NS1_11comp_targetILNS1_3genE9ELNS1_11target_archE1100ELNS1_3gpuE3ELNS1_3repE0EEENS1_30default_config_static_selectorELNS0_4arch9wavefront6targetE0EEEvT1_
                                        ; -- End function
	.set _ZN7rocprim17ROCPRIM_400000_NS6detail17trampoline_kernelINS0_14default_configENS1_27scan_by_key_config_selectorIiiEEZZNS1_16scan_by_key_implILNS1_25lookback_scan_determinismE0ELb1ES3_N6thrust23THRUST_200600_302600_NS6detail15normal_iteratorINS9_10device_ptrIiEEEESE_SE_iNS9_4plusIiEE19head_flag_predicateiEE10hipError_tPvRmT2_T3_T4_T5_mT6_T7_P12ihipStream_tbENKUlT_T0_E_clISt17integral_constantIbLb0EESY_EEDaST_SU_EUlST_E_NS1_11comp_targetILNS1_3genE9ELNS1_11target_archE1100ELNS1_3gpuE3ELNS1_3repE0EEENS1_30default_config_static_selectorELNS0_4arch9wavefront6targetE0EEEvT1_.num_vgpr, 0
	.set _ZN7rocprim17ROCPRIM_400000_NS6detail17trampoline_kernelINS0_14default_configENS1_27scan_by_key_config_selectorIiiEEZZNS1_16scan_by_key_implILNS1_25lookback_scan_determinismE0ELb1ES3_N6thrust23THRUST_200600_302600_NS6detail15normal_iteratorINS9_10device_ptrIiEEEESE_SE_iNS9_4plusIiEE19head_flag_predicateiEE10hipError_tPvRmT2_T3_T4_T5_mT6_T7_P12ihipStream_tbENKUlT_T0_E_clISt17integral_constantIbLb0EESY_EEDaST_SU_EUlST_E_NS1_11comp_targetILNS1_3genE9ELNS1_11target_archE1100ELNS1_3gpuE3ELNS1_3repE0EEENS1_30default_config_static_selectorELNS0_4arch9wavefront6targetE0EEEvT1_.num_agpr, 0
	.set _ZN7rocprim17ROCPRIM_400000_NS6detail17trampoline_kernelINS0_14default_configENS1_27scan_by_key_config_selectorIiiEEZZNS1_16scan_by_key_implILNS1_25lookback_scan_determinismE0ELb1ES3_N6thrust23THRUST_200600_302600_NS6detail15normal_iteratorINS9_10device_ptrIiEEEESE_SE_iNS9_4plusIiEE19head_flag_predicateiEE10hipError_tPvRmT2_T3_T4_T5_mT6_T7_P12ihipStream_tbENKUlT_T0_E_clISt17integral_constantIbLb0EESY_EEDaST_SU_EUlST_E_NS1_11comp_targetILNS1_3genE9ELNS1_11target_archE1100ELNS1_3gpuE3ELNS1_3repE0EEENS1_30default_config_static_selectorELNS0_4arch9wavefront6targetE0EEEvT1_.numbered_sgpr, 0
	.set _ZN7rocprim17ROCPRIM_400000_NS6detail17trampoline_kernelINS0_14default_configENS1_27scan_by_key_config_selectorIiiEEZZNS1_16scan_by_key_implILNS1_25lookback_scan_determinismE0ELb1ES3_N6thrust23THRUST_200600_302600_NS6detail15normal_iteratorINS9_10device_ptrIiEEEESE_SE_iNS9_4plusIiEE19head_flag_predicateiEE10hipError_tPvRmT2_T3_T4_T5_mT6_T7_P12ihipStream_tbENKUlT_T0_E_clISt17integral_constantIbLb0EESY_EEDaST_SU_EUlST_E_NS1_11comp_targetILNS1_3genE9ELNS1_11target_archE1100ELNS1_3gpuE3ELNS1_3repE0EEENS1_30default_config_static_selectorELNS0_4arch9wavefront6targetE0EEEvT1_.num_named_barrier, 0
	.set _ZN7rocprim17ROCPRIM_400000_NS6detail17trampoline_kernelINS0_14default_configENS1_27scan_by_key_config_selectorIiiEEZZNS1_16scan_by_key_implILNS1_25lookback_scan_determinismE0ELb1ES3_N6thrust23THRUST_200600_302600_NS6detail15normal_iteratorINS9_10device_ptrIiEEEESE_SE_iNS9_4plusIiEE19head_flag_predicateiEE10hipError_tPvRmT2_T3_T4_T5_mT6_T7_P12ihipStream_tbENKUlT_T0_E_clISt17integral_constantIbLb0EESY_EEDaST_SU_EUlST_E_NS1_11comp_targetILNS1_3genE9ELNS1_11target_archE1100ELNS1_3gpuE3ELNS1_3repE0EEENS1_30default_config_static_selectorELNS0_4arch9wavefront6targetE0EEEvT1_.private_seg_size, 0
	.set _ZN7rocprim17ROCPRIM_400000_NS6detail17trampoline_kernelINS0_14default_configENS1_27scan_by_key_config_selectorIiiEEZZNS1_16scan_by_key_implILNS1_25lookback_scan_determinismE0ELb1ES3_N6thrust23THRUST_200600_302600_NS6detail15normal_iteratorINS9_10device_ptrIiEEEESE_SE_iNS9_4plusIiEE19head_flag_predicateiEE10hipError_tPvRmT2_T3_T4_T5_mT6_T7_P12ihipStream_tbENKUlT_T0_E_clISt17integral_constantIbLb0EESY_EEDaST_SU_EUlST_E_NS1_11comp_targetILNS1_3genE9ELNS1_11target_archE1100ELNS1_3gpuE3ELNS1_3repE0EEENS1_30default_config_static_selectorELNS0_4arch9wavefront6targetE0EEEvT1_.uses_vcc, 0
	.set _ZN7rocprim17ROCPRIM_400000_NS6detail17trampoline_kernelINS0_14default_configENS1_27scan_by_key_config_selectorIiiEEZZNS1_16scan_by_key_implILNS1_25lookback_scan_determinismE0ELb1ES3_N6thrust23THRUST_200600_302600_NS6detail15normal_iteratorINS9_10device_ptrIiEEEESE_SE_iNS9_4plusIiEE19head_flag_predicateiEE10hipError_tPvRmT2_T3_T4_T5_mT6_T7_P12ihipStream_tbENKUlT_T0_E_clISt17integral_constantIbLb0EESY_EEDaST_SU_EUlST_E_NS1_11comp_targetILNS1_3genE9ELNS1_11target_archE1100ELNS1_3gpuE3ELNS1_3repE0EEENS1_30default_config_static_selectorELNS0_4arch9wavefront6targetE0EEEvT1_.uses_flat_scratch, 0
	.set _ZN7rocprim17ROCPRIM_400000_NS6detail17trampoline_kernelINS0_14default_configENS1_27scan_by_key_config_selectorIiiEEZZNS1_16scan_by_key_implILNS1_25lookback_scan_determinismE0ELb1ES3_N6thrust23THRUST_200600_302600_NS6detail15normal_iteratorINS9_10device_ptrIiEEEESE_SE_iNS9_4plusIiEE19head_flag_predicateiEE10hipError_tPvRmT2_T3_T4_T5_mT6_T7_P12ihipStream_tbENKUlT_T0_E_clISt17integral_constantIbLb0EESY_EEDaST_SU_EUlST_E_NS1_11comp_targetILNS1_3genE9ELNS1_11target_archE1100ELNS1_3gpuE3ELNS1_3repE0EEENS1_30default_config_static_selectorELNS0_4arch9wavefront6targetE0EEEvT1_.has_dyn_sized_stack, 0
	.set _ZN7rocprim17ROCPRIM_400000_NS6detail17trampoline_kernelINS0_14default_configENS1_27scan_by_key_config_selectorIiiEEZZNS1_16scan_by_key_implILNS1_25lookback_scan_determinismE0ELb1ES3_N6thrust23THRUST_200600_302600_NS6detail15normal_iteratorINS9_10device_ptrIiEEEESE_SE_iNS9_4plusIiEE19head_flag_predicateiEE10hipError_tPvRmT2_T3_T4_T5_mT6_T7_P12ihipStream_tbENKUlT_T0_E_clISt17integral_constantIbLb0EESY_EEDaST_SU_EUlST_E_NS1_11comp_targetILNS1_3genE9ELNS1_11target_archE1100ELNS1_3gpuE3ELNS1_3repE0EEENS1_30default_config_static_selectorELNS0_4arch9wavefront6targetE0EEEvT1_.has_recursion, 0
	.set _ZN7rocprim17ROCPRIM_400000_NS6detail17trampoline_kernelINS0_14default_configENS1_27scan_by_key_config_selectorIiiEEZZNS1_16scan_by_key_implILNS1_25lookback_scan_determinismE0ELb1ES3_N6thrust23THRUST_200600_302600_NS6detail15normal_iteratorINS9_10device_ptrIiEEEESE_SE_iNS9_4plusIiEE19head_flag_predicateiEE10hipError_tPvRmT2_T3_T4_T5_mT6_T7_P12ihipStream_tbENKUlT_T0_E_clISt17integral_constantIbLb0EESY_EEDaST_SU_EUlST_E_NS1_11comp_targetILNS1_3genE9ELNS1_11target_archE1100ELNS1_3gpuE3ELNS1_3repE0EEENS1_30default_config_static_selectorELNS0_4arch9wavefront6targetE0EEEvT1_.has_indirect_call, 0
	.section	.AMDGPU.csdata,"",@progbits
; Kernel info:
; codeLenInByte = 0
; TotalNumSgprs: 0
; NumVgprs: 0
; ScratchSize: 0
; MemoryBound: 0
; FloatMode: 240
; IeeeMode: 1
; LDSByteSize: 0 bytes/workgroup (compile time only)
; SGPRBlocks: 0
; VGPRBlocks: 0
; NumSGPRsForWavesPerEU: 1
; NumVGPRsForWavesPerEU: 1
; Occupancy: 16
; WaveLimiterHint : 0
; COMPUTE_PGM_RSRC2:SCRATCH_EN: 0
; COMPUTE_PGM_RSRC2:USER_SGPR: 6
; COMPUTE_PGM_RSRC2:TRAP_HANDLER: 0
; COMPUTE_PGM_RSRC2:TGID_X_EN: 1
; COMPUTE_PGM_RSRC2:TGID_Y_EN: 0
; COMPUTE_PGM_RSRC2:TGID_Z_EN: 0
; COMPUTE_PGM_RSRC2:TIDIG_COMP_CNT: 0
	.section	.text._ZN7rocprim17ROCPRIM_400000_NS6detail17trampoline_kernelINS0_14default_configENS1_27scan_by_key_config_selectorIiiEEZZNS1_16scan_by_key_implILNS1_25lookback_scan_determinismE0ELb1ES3_N6thrust23THRUST_200600_302600_NS6detail15normal_iteratorINS9_10device_ptrIiEEEESE_SE_iNS9_4plusIiEE19head_flag_predicateiEE10hipError_tPvRmT2_T3_T4_T5_mT6_T7_P12ihipStream_tbENKUlT_T0_E_clISt17integral_constantIbLb0EESY_EEDaST_SU_EUlST_E_NS1_11comp_targetILNS1_3genE8ELNS1_11target_archE1030ELNS1_3gpuE2ELNS1_3repE0EEENS1_30default_config_static_selectorELNS0_4arch9wavefront6targetE0EEEvT1_,"axG",@progbits,_ZN7rocprim17ROCPRIM_400000_NS6detail17trampoline_kernelINS0_14default_configENS1_27scan_by_key_config_selectorIiiEEZZNS1_16scan_by_key_implILNS1_25lookback_scan_determinismE0ELb1ES3_N6thrust23THRUST_200600_302600_NS6detail15normal_iteratorINS9_10device_ptrIiEEEESE_SE_iNS9_4plusIiEE19head_flag_predicateiEE10hipError_tPvRmT2_T3_T4_T5_mT6_T7_P12ihipStream_tbENKUlT_T0_E_clISt17integral_constantIbLb0EESY_EEDaST_SU_EUlST_E_NS1_11comp_targetILNS1_3genE8ELNS1_11target_archE1030ELNS1_3gpuE2ELNS1_3repE0EEENS1_30default_config_static_selectorELNS0_4arch9wavefront6targetE0EEEvT1_,comdat
	.protected	_ZN7rocprim17ROCPRIM_400000_NS6detail17trampoline_kernelINS0_14default_configENS1_27scan_by_key_config_selectorIiiEEZZNS1_16scan_by_key_implILNS1_25lookback_scan_determinismE0ELb1ES3_N6thrust23THRUST_200600_302600_NS6detail15normal_iteratorINS9_10device_ptrIiEEEESE_SE_iNS9_4plusIiEE19head_flag_predicateiEE10hipError_tPvRmT2_T3_T4_T5_mT6_T7_P12ihipStream_tbENKUlT_T0_E_clISt17integral_constantIbLb0EESY_EEDaST_SU_EUlST_E_NS1_11comp_targetILNS1_3genE8ELNS1_11target_archE1030ELNS1_3gpuE2ELNS1_3repE0EEENS1_30default_config_static_selectorELNS0_4arch9wavefront6targetE0EEEvT1_ ; -- Begin function _ZN7rocprim17ROCPRIM_400000_NS6detail17trampoline_kernelINS0_14default_configENS1_27scan_by_key_config_selectorIiiEEZZNS1_16scan_by_key_implILNS1_25lookback_scan_determinismE0ELb1ES3_N6thrust23THRUST_200600_302600_NS6detail15normal_iteratorINS9_10device_ptrIiEEEESE_SE_iNS9_4plusIiEE19head_flag_predicateiEE10hipError_tPvRmT2_T3_T4_T5_mT6_T7_P12ihipStream_tbENKUlT_T0_E_clISt17integral_constantIbLb0EESY_EEDaST_SU_EUlST_E_NS1_11comp_targetILNS1_3genE8ELNS1_11target_archE1030ELNS1_3gpuE2ELNS1_3repE0EEENS1_30default_config_static_selectorELNS0_4arch9wavefront6targetE0EEEvT1_
	.globl	_ZN7rocprim17ROCPRIM_400000_NS6detail17trampoline_kernelINS0_14default_configENS1_27scan_by_key_config_selectorIiiEEZZNS1_16scan_by_key_implILNS1_25lookback_scan_determinismE0ELb1ES3_N6thrust23THRUST_200600_302600_NS6detail15normal_iteratorINS9_10device_ptrIiEEEESE_SE_iNS9_4plusIiEE19head_flag_predicateiEE10hipError_tPvRmT2_T3_T4_T5_mT6_T7_P12ihipStream_tbENKUlT_T0_E_clISt17integral_constantIbLb0EESY_EEDaST_SU_EUlST_E_NS1_11comp_targetILNS1_3genE8ELNS1_11target_archE1030ELNS1_3gpuE2ELNS1_3repE0EEENS1_30default_config_static_selectorELNS0_4arch9wavefront6targetE0EEEvT1_
	.p2align	8
	.type	_ZN7rocprim17ROCPRIM_400000_NS6detail17trampoline_kernelINS0_14default_configENS1_27scan_by_key_config_selectorIiiEEZZNS1_16scan_by_key_implILNS1_25lookback_scan_determinismE0ELb1ES3_N6thrust23THRUST_200600_302600_NS6detail15normal_iteratorINS9_10device_ptrIiEEEESE_SE_iNS9_4plusIiEE19head_flag_predicateiEE10hipError_tPvRmT2_T3_T4_T5_mT6_T7_P12ihipStream_tbENKUlT_T0_E_clISt17integral_constantIbLb0EESY_EEDaST_SU_EUlST_E_NS1_11comp_targetILNS1_3genE8ELNS1_11target_archE1030ELNS1_3gpuE2ELNS1_3repE0EEENS1_30default_config_static_selectorELNS0_4arch9wavefront6targetE0EEEvT1_,@function
_ZN7rocprim17ROCPRIM_400000_NS6detail17trampoline_kernelINS0_14default_configENS1_27scan_by_key_config_selectorIiiEEZZNS1_16scan_by_key_implILNS1_25lookback_scan_determinismE0ELb1ES3_N6thrust23THRUST_200600_302600_NS6detail15normal_iteratorINS9_10device_ptrIiEEEESE_SE_iNS9_4plusIiEE19head_flag_predicateiEE10hipError_tPvRmT2_T3_T4_T5_mT6_T7_P12ihipStream_tbENKUlT_T0_E_clISt17integral_constantIbLb0EESY_EEDaST_SU_EUlST_E_NS1_11comp_targetILNS1_3genE8ELNS1_11target_archE1030ELNS1_3gpuE2ELNS1_3repE0EEENS1_30default_config_static_selectorELNS0_4arch9wavefront6targetE0EEEvT1_: ; @_ZN7rocprim17ROCPRIM_400000_NS6detail17trampoline_kernelINS0_14default_configENS1_27scan_by_key_config_selectorIiiEEZZNS1_16scan_by_key_implILNS1_25lookback_scan_determinismE0ELb1ES3_N6thrust23THRUST_200600_302600_NS6detail15normal_iteratorINS9_10device_ptrIiEEEESE_SE_iNS9_4plusIiEE19head_flag_predicateiEE10hipError_tPvRmT2_T3_T4_T5_mT6_T7_P12ihipStream_tbENKUlT_T0_E_clISt17integral_constantIbLb0EESY_EEDaST_SU_EUlST_E_NS1_11comp_targetILNS1_3genE8ELNS1_11target_archE1030ELNS1_3gpuE2ELNS1_3repE0EEENS1_30default_config_static_selectorELNS0_4arch9wavefront6targetE0EEEvT1_
; %bb.0:
	s_clause 0x5
	s_load_dwordx8 s[8:15], s[4:5], 0x0
	s_load_dwordx2 s[24:25], s[4:5], 0x38
	s_load_dword s2, s[4:5], 0x40
	s_load_dwordx4 s[20:23], s[4:5], 0x48
	s_load_dword s26, s[4:5], 0x20
	s_load_dwordx4 s[16:19], s[4:5], 0x28
	s_mov_b32 s1, 0
	s_mul_i32 s0, s6, 0x300
	s_waitcnt lgkmcnt(0)
	s_barrier
	buffer_gl0_inv
	s_lshl_b64 s[4:5], s[10:11], 2
	s_add_u32 s10, s8, s4
	s_addc_u32 s11, s9, s5
	s_mul_i32 s3, s25, s2
	s_mul_hi_u32 s7, s24, s2
	s_add_u32 s12, s12, s4
	s_addc_u32 s13, s13, s5
	s_lshl_b64 s[8:9], s[0:1], 2
	s_add_i32 s7, s7, s3
	s_add_u32 s10, s10, s8
	s_addc_u32 s11, s11, s9
	s_mul_i32 s0, s24, s2
	s_add_u32 s3, s12, s8
	s_addc_u32 s13, s13, s9
	s_add_u32 s28, s0, s6
	s_addc_u32 s29, s7, 0
	s_add_u32 s20, s20, -1
	s_addc_u32 s21, s21, -1
	s_mul_i32 s12, s20, 0xfffffd00
	v_cmp_ge_u64_e64 s7, s[28:29], s[20:21]
	s_and_b32 vcc_lo, exec_lo, s7
	s_cbranch_vccz .LBB793_20
; %bb.1:
	v_mov_b32_e32 v1, s10
	v_mov_b32_e32 v2, s11
	s_add_i32 s19, s12, s18
	v_cmp_gt_u32_e32 vcc_lo, s19, v0
	flat_load_dword v1, v[1:2]
	s_waitcnt vmcnt(0) lgkmcnt(0)
	v_mov_b32_e32 v2, v1
	s_and_saveexec_b32 s0, vcc_lo
	s_cbranch_execz .LBB793_3
; %bb.2:
	v_lshlrev_b32_e32 v2, 2, v0
	v_add_co_u32 v2, s1, s10, v2
	v_add_co_ci_u32_e64 v3, null, s11, 0, s1
	flat_load_dword v2, v[2:3]
.LBB793_3:
	s_or_b32 exec_lo, exec_lo, s0
	v_or_b32_e32 v3, 0x100, v0
	v_cmp_gt_u32_e64 s0, s19, v3
	v_mov_b32_e32 v3, v1
	s_and_saveexec_b32 s1, s0
	s_cbranch_execz .LBB793_5
; %bb.4:
	v_lshlrev_b32_e32 v3, 2, v0
	v_add_co_u32 v3, s2, s10, v3
	v_add_co_ci_u32_e64 v4, null, s11, 0, s2
	flat_load_dword v3, v[3:4] offset:1024
.LBB793_5:
	s_or_b32 exec_lo, exec_lo, s1
	v_or_b32_e32 v4, 0x200, v0
	v_cmp_gt_u32_e64 s1, s19, v4
	v_lshlrev_b32_e32 v8, 2, v4
	s_and_saveexec_b32 s2, s1
	s_cbranch_execz .LBB793_7
; %bb.6:
	v_add_co_u32 v4, s20, s10, v8
	v_add_co_ci_u32_e64 v5, null, s11, 0, s20
	flat_load_dword v1, v[4:5]
.LBB793_7:
	s_or_b32 exec_lo, exec_lo, s2
	v_mov_b32_e32 v4, s10
	v_lshlrev_b32_e32 v9, 2, v0
	v_mov_b32_e32 v5, s11
	s_mov_b32 s20, exec_lo
	s_waitcnt vmcnt(0) lgkmcnt(0)
	ds_write2st64_b32 v9, v2, v3 offset1:4
	ds_write_b32 v9, v1 offset:2048
	s_waitcnt lgkmcnt(0)
	s_barrier
	buffer_gl0_inv
	flat_load_dword v5, v[4:5]
	v_lshlrev_b32_e32 v1, 3, v0
	v_add_nc_u32_e32 v7, v9, v1
	ds_read2_b32 v[3:4], v7 offset1:1
	ds_read_b32 v6, v7 offset:8
	s_waitcnt lgkmcnt(1)
	ds_write_b32 v9, v3 offset:4096
	s_waitcnt vmcnt(0) lgkmcnt(0)
	s_barrier
	buffer_gl0_inv
	v_cmpx_ne_u32_e32 0xff, v0
; %bb.8:
	v_sub_nc_u32_e32 v1, 0, v1
	v_add_nc_u32_e32 v1, v7, v1
	ds_read_b32 v5, v1 offset:4100
; %bb.9:
	s_or_b32 exec_lo, exec_lo, s20
	v_mov_b32_e32 v1, 0
	s_waitcnt lgkmcnt(0)
	s_barrier
	buffer_gl0_inv
	v_mov_b32_e32 v2, v1
	v_mov_b32_e32 v3, v1
	s_and_saveexec_b32 s2, vcc_lo
	s_cbranch_execnz .LBB793_90
; %bb.10:
	s_or_b32 exec_lo, exec_lo, s2
	s_and_saveexec_b32 s2, s0
	s_cbranch_execnz .LBB793_91
.LBB793_11:
	s_or_b32 exec_lo, exec_lo, s2
	v_mul_u32_u24_e32 v13, 3, v0
	s_and_saveexec_b32 s0, s1
	s_cbranch_execz .LBB793_13
.LBB793_12:
	v_add_co_u32 v10, s1, s3, v8
	v_add_co_ci_u32_e64 v11, null, s13, 0, s1
	flat_load_dword v3, v[10:11]
.LBB793_13:
	s_or_b32 exec_lo, exec_lo, s0
	s_waitcnt vmcnt(0) lgkmcnt(0)
	ds_write2st64_b32 v9, v1, v2 offset1:4
	ds_write_b32 v9, v3 offset:2048
	v_mov_b32_e32 v9, 0
	v_mov_b32_e32 v1, 0
	;; [unrolled: 1-line block ×6, first 2 shown]
	s_mov_b32 s2, 0
	s_mov_b32 s1, 0
	s_mov_b32 s20, exec_lo
	s_waitcnt lgkmcnt(0)
	s_barrier
	buffer_gl0_inv
                                        ; implicit-def: $sgpr0
                                        ; implicit-def: $vgpr3
	v_cmpx_gt_u32_e64 s19, v13
	s_cbranch_execz .LBB793_19
; %bb.14:
	ds_read_b32 v3, v7
	v_cmp_ne_u32_e32 vcc_lo, 0, v4
	v_mov_b32_e32 v1, 0
	v_add_nc_u32_e32 v8, 1, v13
	v_mov_b32_e32 v2, 0
	s_mov_b32 s21, 0
	v_cndmask_b32_e64 v10, 0, 1, vcc_lo
	v_cmp_eq_u32_e32 vcc_lo, 0, v4
	s_mov_b32 s1, exec_lo
                                        ; implicit-def: $sgpr0
	s_waitcnt lgkmcnt(0)
	v_cndmask_b32_e32 v9, s26, v3, vcc_lo
                                        ; implicit-def: $vgpr3
	v_cmpx_gt_u32_e64 s19, v8
	s_cbranch_execz .LBB793_18
; %bb.15:
	ds_read2_b32 v[3:4], v7 offset0:1 offset1:2
	v_cmp_ne_u32_e32 vcc_lo, 0, v6
	v_add_nc_u32_e32 v7, 2, v13
                                        ; implicit-def: $sgpr0
	v_cndmask_b32_e64 v2, 0, 1, vcc_lo
	v_cmp_eq_u32_e32 vcc_lo, 0, v6
	s_waitcnt lgkmcnt(0)
	v_cndmask_b32_e32 v1, s26, v3, vcc_lo
	v_cmp_gt_u32_e32 vcc_lo, s19, v7
	s_mov_b32 s19, 0
                                        ; implicit-def: $vgpr3
	s_and_saveexec_b32 s21, vcc_lo
	s_xor_b32 s21, exec_lo, s21
; %bb.16:
	v_cmp_ne_u32_e64 s0, 0, v5
	s_mov_b32 s19, exec_lo
	v_cndmask_b32_e64 v3, v4, s26, s0
; %bb.17:
	s_or_b32 exec_lo, exec_lo, s21
	s_and_b32 s21, s19, exec_lo
.LBB793_18:
	s_or_b32 exec_lo, exec_lo, s1
	v_mov_b32_e32 v12, v2
	v_mov_b32_e32 v11, v1
	s_and_b32 s1, s21, exec_lo
.LBB793_19:
	s_or_b32 exec_lo, exec_lo, s20
	v_lshlrev_b32_e32 v18, 2, v0
	v_lshlrev_b32_e32 v19, 3, v0
	s_and_b32 vcc_lo, exec_lo, s2
	s_cbranch_vccnz .LBB793_21
	s_branch .LBB793_24
.LBB793_20:
                                        ; implicit-def: $sgpr0
                                        ; implicit-def: $vgpr3
                                        ; implicit-def: $vgpr9_vgpr10
                                        ; implicit-def: $vgpr1_vgpr2
                                        ; implicit-def: $vgpr11_vgpr12
	v_lshlrev_b32_e32 v18, 2, v0
	v_lshlrev_b32_e32 v19, 3, v0
	s_cbranch_execz .LBB793_24
.LBB793_21:
	v_add_co_u32 v1, s0, s10, v18
	v_add_co_ci_u32_e64 v2, null, s11, 0, s0
	v_add_co_u32 v3, vcc_lo, 0x800, v1
	v_add_co_ci_u32_e64 v4, null, 0, v2, vcc_lo
	s_clause 0x2
	flat_load_dword v5, v[1:2]
	flat_load_dword v6, v[1:2] offset:1024
	flat_load_dword v3, v[3:4]
	v_add_co_u32 v1, s0, 0x800, s10
	v_add_co_ci_u32_e64 v2, null, 0, s11, s0
	s_mov_b32 s0, exec_lo
	s_waitcnt vmcnt(1) lgkmcnt(1)
	ds_write2st64_b32 v18, v5, v6 offset1:4
	s_waitcnt vmcnt(0) lgkmcnt(1)
	ds_write_b32 v18, v3 offset:2048
	s_waitcnt lgkmcnt(0)
	s_barrier
	buffer_gl0_inv
	flat_load_dword v4, v[1:2] offset:1024
	v_add_nc_u32_e32 v1, v18, v19
	ds_read2_b32 v[2:3], v1 offset1:1
	ds_read_b32 v5, v1 offset:8
	s_waitcnt lgkmcnt(1)
	ds_write_b32 v18, v2 offset:4096
	s_waitcnt vmcnt(0) lgkmcnt(0)
	s_barrier
	buffer_gl0_inv
	v_cmpx_ne_u32_e32 0xff, v0
; %bb.22:
	v_sub_nc_u32_e32 v2, 0, v19
	v_add_nc_u32_e32 v2, v1, v2
	ds_read_b32 v4, v2 offset:4100
; %bb.23:
	s_or_b32 exec_lo, exec_lo, s0
	v_add_co_u32 v6, s0, s3, v18
	v_add_co_ci_u32_e64 v7, null, s13, 0, s0
	s_waitcnt lgkmcnt(0)
	v_add_co_u32 v8, vcc_lo, 0x800, v6
	v_add_co_ci_u32_e64 v9, null, 0, v7, vcc_lo
	s_barrier
	buffer_gl0_inv
	s_clause 0x2
	flat_load_dword v2, v[6:7]
	flat_load_dword v6, v[6:7] offset:1024
	flat_load_dword v7, v[8:9]
	v_cmp_eq_u32_e32 vcc_lo, 0, v3
	v_cmp_ne_u32_e64 s0, 0, v4
	s_mov_b32 s1, -1
	s_waitcnt vmcnt(1) lgkmcnt(1)
	ds_write2st64_b32 v18, v2, v6 offset1:4
	s_waitcnt vmcnt(0) lgkmcnt(1)
	ds_write_b32 v18, v7 offset:2048
	s_waitcnt lgkmcnt(0)
	s_barrier
	buffer_gl0_inv
	ds_read2_b32 v[6:7], v1 offset1:1
	ds_read_b32 v8, v1 offset:8
	s_waitcnt lgkmcnt(1)
	v_cndmask_b32_e32 v9, s26, v6, vcc_lo
	v_cmp_eq_u32_e32 vcc_lo, 0, v5
	v_cndmask_b32_e32 v1, s26, v7, vcc_lo
	v_cmp_ne_u32_e32 vcc_lo, 0, v5
	v_cndmask_b32_e64 v2, 0, 1, vcc_lo
	v_cmp_ne_u32_e32 vcc_lo, 0, v3
	s_waitcnt lgkmcnt(0)
	v_cndmask_b32_e64 v3, v8, s26, s0
	v_mov_b32_e32 v12, v2
	v_cndmask_b32_e64 v10, 0, 1, vcc_lo
	v_mov_b32_e32 v11, v1
.LBB793_24:
	v_mov_b32_e32 v13, 0
	v_mov_b32_e32 v14, 0
	s_and_saveexec_b32 s2, s1
; %bb.25:
	v_cndmask_b32_e64 v4, 0, 1, s0
	v_mov_b32_e32 v12, v2
	v_mov_b32_e32 v11, v1
	;; [unrolled: 1-line block ×4, first 2 shown]
; %bb.26:
	s_or_b32 exec_lo, exec_lo, s2
	v_or_b32_e32 v23, v12, v14
	v_mbcnt_lo_u32_b32 v20, -1, 0
	v_lshrrev_b32_e32 v21, 5, v0
	v_or_b32_e32 v22, 31, v0
	s_cmp_lg_u32 s6, 0
	s_mov_b32 s2, 0
	s_barrier
	buffer_gl0_inv
	s_cbranch_scc0 .LBB793_52
; %bb.27:
	v_and_b32_e32 v2, 0xff, v23
	v_mov_b32_e32 v1, 0
	s_mov_b32 s3, 1
	v_cmp_gt_u64_e64 s0, s[2:3], v[11:12]
	v_cmp_eq_u64_e32 vcc_lo, 0, v[1:2]
	v_cndmask_b32_e64 v3, 0, v9, s0
	v_cndmask_b32_e32 v2, 1, v10, vcc_lo
	v_cmp_gt_u64_e32 vcc_lo, s[2:3], v[13:14]
	v_add_nc_u32_e32 v3, v3, v11
	v_and_b32_e32 v4, 0xff, v2
	v_and_b32_e32 v6, 1, v2
	v_cndmask_b32_e32 v3, 0, v3, vcc_lo
	v_mov_b32_dpp v5, v4 row_shr:1 row_mask:0xf bank_mask:0xf
	v_cmp_eq_u32_e32 vcc_lo, 1, v6
	v_and_b32_e32 v6, 15, v20
	v_add_nc_u32_e32 v3, v3, v13
	v_and_b32_e32 v5, 1, v5
	v_mov_b32_dpp v7, v3 row_shr:1 row_mask:0xf bank_mask:0xf
	v_cndmask_b32_e64 v5, v5, 1, vcc_lo
	v_cmp_eq_u16_e32 vcc_lo, 0, v4
	v_and_b32_e32 v8, 0xffff, v5
	v_cndmask_b32_e32 v7, 0, v7, vcc_lo
	v_cmp_eq_u32_e32 vcc_lo, 0, v6
	v_cndmask_b32_e32 v4, v8, v4, vcc_lo
	v_cndmask_b32_e32 v2, v5, v2, vcc_lo
	v_cndmask_b32_e64 v7, v7, 0, vcc_lo
	v_mov_b32_dpp v5, v4 row_shr:2 row_mask:0xf bank_mask:0xf
	v_and_b32_e32 v8, 1, v2
	v_add_nc_u32_e32 v3, v7, v3
	v_cmp_eq_u16_sdwa s2, v2, v1 src0_sel:BYTE_0 src1_sel:DWORD
	v_and_b32_e32 v5, 1, v5
	v_cmp_eq_u32_e32 vcc_lo, 1, v8
	v_cndmask_b32_e64 v5, v5, 1, vcc_lo
	v_cmp_lt_u32_e32 vcc_lo, 1, v6
	v_and_b32_e32 v8, 0xffff, v5
	v_cndmask_b32_e32 v5, v2, v5, vcc_lo
	v_mov_b32_dpp v2, v3 row_shr:2 row_mask:0xf bank_mask:0xf
	v_cndmask_b32_e32 v4, v4, v8, vcc_lo
	v_and_b32_e32 v7, 1, v5
	s_and_b32 vcc_lo, vcc_lo, s2
	v_cndmask_b32_e32 v2, 0, v2, vcc_lo
	v_mov_b32_dpp v8, v4 row_shr:4 row_mask:0xf bank_mask:0xf
	v_cmp_eq_u32_e64 s1, 1, v7
	v_cmp_lt_u32_e32 vcc_lo, 3, v6
	v_add_nc_u32_e32 v2, v2, v3
	v_and_b32_e32 v8, 1, v8
	v_cndmask_b32_e64 v7, v8, 1, s1
	v_cmp_eq_u16_sdwa s1, v5, v1 src0_sel:BYTE_0 src1_sel:DWORD
	v_and_b32_e32 v8, 0xffff, v7
	v_cndmask_b32_e32 v3, v5, v7, vcc_lo
	v_mov_b32_dpp v5, v2 row_shr:4 row_mask:0xf bank_mask:0xf
	v_cndmask_b32_e32 v4, v4, v8, vcc_lo
	s_and_b32 vcc_lo, vcc_lo, s1
	v_and_b32_e32 v8, 1, v3
	v_cndmask_b32_e32 v5, 0, v5, vcc_lo
	v_cmp_eq_u16_sdwa s1, v3, v1 src0_sel:BYTE_0 src1_sel:DWORD
	v_mov_b32_dpp v7, v4 row_shr:8 row_mask:0xf bank_mask:0xf
	v_cmp_eq_u32_e32 vcc_lo, 1, v8
	v_add_nc_u32_e32 v2, v5, v2
	v_and_b32_e32 v7, 1, v7
	v_cndmask_b32_e64 v5, v7, 1, vcc_lo
	v_cmp_lt_u32_e32 vcc_lo, 7, v6
	v_mov_b32_dpp v6, v2 row_shr:8 row_mask:0xf bank_mask:0xf
	s_and_b32 s1, vcc_lo, s1
	v_cndmask_b32_e32 v7, v3, v5, vcc_lo
	v_cndmask_b32_e64 v3, 0, v6, s1
	v_and_b32_e32 v5, 0xffff, v5
	v_and_b32_e32 v6, 16, v20
	v_add_nc_u32_e32 v2, v3, v2
	v_cndmask_b32_e32 v3, v4, v5, vcc_lo
	v_cmp_eq_u16_sdwa vcc_lo, v7, v1 src0_sel:BYTE_0 src1_sel:DWORD
	v_bfe_i32 v5, v20, 4, 1
	v_cmp_eq_u32_e64 s1, 0, v6
	ds_swizzle_b32 v4, v2 offset:swizzle(BROADCAST,32,15)
	ds_swizzle_b32 v3, v3 offset:swizzle(BROADCAST,32,15)
	s_waitcnt lgkmcnt(1)
	v_cndmask_b32_e32 v1, 0, v4, vcc_lo
	v_and_b32_e32 v4, 1, v7
	s_waitcnt lgkmcnt(0)
	v_and_b32_e32 v3, 1, v3
	v_and_b32_e32 v1, v5, v1
	v_cmp_eq_u32_e32 vcc_lo, 1, v4
	v_lshlrev_b32_e32 v5, 3, v21
	v_cndmask_b32_e64 v4, v3, 1, vcc_lo
	v_add_nc_u32_e32 v3, v1, v2
	v_cndmask_b32_e64 v4, v4, v7, s1
	s_mov_b32 s1, exec_lo
	v_cmpx_eq_u32_e64 v0, v22
	s_cbranch_execz .LBB793_29
; %bb.28:
	ds_write_b32 v5, v3
	ds_write_b8 v5, v4 offset:4
.LBB793_29:
	s_or_b32 exec_lo, exec_lo, s1
	s_mov_b32 s1, exec_lo
	s_waitcnt lgkmcnt(0)
	s_barrier
	buffer_gl0_inv
	v_cmpx_gt_u32_e32 8, v0
	s_cbranch_execz .LBB793_35
; %bb.30:
	ds_read_b64 v[1:2], v19
	v_and_b32_e32 v6, 7, v20
	s_mov_b32 s2, exec_lo
	s_waitcnt lgkmcnt(0)
	v_and_b32_e32 v7, 0xffffff00, v2
	v_mov_b32_dpp v15, v1 row_shr:1 row_mask:0xf bank_mask:0xf
	v_mov_b32_dpp v16, v2 row_shr:1 row_mask:0xf bank_mask:0xf
	v_mov_b32_e32 v8, v2
	v_cmpx_ne_u32_e32 0, v6
	s_cbranch_execz .LBB793_32
; %bb.31:
	v_mov_b32_e32 v8, 0
	v_and_b32_e32 v17, 1, v2
	v_and_b32_e32 v16, 1, v16
	v_cmp_eq_u16_sdwa vcc_lo, v2, v8 src0_sel:BYTE_0 src1_sel:DWORD
	v_cndmask_b32_e32 v2, 0, v15, vcc_lo
	v_cmp_eq_u32_e32 vcc_lo, 1, v17
	v_add_nc_u32_e32 v1, v2, v1
	v_cndmask_b32_e64 v15, v16, 1, vcc_lo
	v_or_b32_sdwa v8, v7, v15 dst_sel:DWORD dst_unused:UNUSED_PAD src0_sel:DWORD src1_sel:WORD_0
	v_mov_b32_e32 v2, v15
.LBB793_32:
	s_or_b32 exec_lo, exec_lo, s2
	v_mov_b32_dpp v15, v1 row_shr:2 row_mask:0xf bank_mask:0xf
	v_mov_b32_dpp v16, v8 row_shr:2 row_mask:0xf bank_mask:0xf
	s_mov_b32 s2, exec_lo
	v_cmpx_lt_u32_e32 1, v6
	s_cbranch_execz .LBB793_34
; %bb.33:
	v_mov_b32_e32 v8, 0
	v_and_b32_e32 v17, 1, v2
	v_and_b32_e32 v16, 1, v16
	v_cmp_eq_u16_sdwa vcc_lo, v2, v8 src0_sel:BYTE_0 src1_sel:DWORD
	v_cndmask_b32_e32 v2, 0, v15, vcc_lo
	v_cmp_eq_u32_e32 vcc_lo, 1, v17
	v_add_nc_u32_e32 v1, v2, v1
	v_cndmask_b32_e64 v15, v16, 1, vcc_lo
	v_or_b32_sdwa v8, v7, v15 dst_sel:DWORD dst_unused:UNUSED_PAD src0_sel:DWORD src1_sel:WORD_0
	v_mov_b32_e32 v2, v15
.LBB793_34:
	s_or_b32 exec_lo, exec_lo, s2
	v_mov_b32_dpp v7, v8 row_shr:4 row_mask:0xf bank_mask:0xf
	v_and_b32_e32 v15, 1, v2
	v_mov_b32_e32 v8, 0
	v_and_b32_e32 v7, 1, v7
	v_cmp_eq_u32_e32 vcc_lo, 1, v15
	v_cmp_eq_u16_sdwa s2, v2, v8 src0_sel:BYTE_0 src1_sel:DWORD
	v_cndmask_b32_e64 v7, v7, 1, vcc_lo
	v_cmp_lt_u32_e32 vcc_lo, 3, v6
	v_mov_b32_dpp v6, v1 row_shr:4 row_mask:0xf bank_mask:0xf
	v_cndmask_b32_e32 v2, v2, v7, vcc_lo
	s_and_b32 vcc_lo, vcc_lo, s2
	v_cndmask_b32_e32 v6, 0, v6, vcc_lo
	v_add_nc_u32_e32 v1, v6, v1
	ds_write_b32 v19, v1
	ds_write_b8 v19, v2 offset:4
.LBB793_35:
	s_or_b32 exec_lo, exec_lo, s1
	v_mov_b32_e32 v25, 0
	v_mov_b32_e32 v24, 0
	s_mov_b32 s2, exec_lo
	v_cmp_gt_u32_e32 vcc_lo, 32, v0
	s_waitcnt lgkmcnt(0)
	s_barrier
	buffer_gl0_inv
	v_cmpx_lt_u32_e32 31, v0
	s_cbranch_execz .LBB793_37
; %bb.36:
	v_add_nc_u32_e32 v1, -8, v5
	v_and_b32_e32 v2, 1, v4
	ds_read_b32 v24, v1
	v_add_nc_u32_e32 v1, -4, v5
	ds_read_u8 v25, v1
	v_mov_b32_e32 v1, 0
	v_cmp_eq_u16_sdwa s1, v4, v1 src0_sel:BYTE_0 src1_sel:DWORD
	s_waitcnt lgkmcnt(1)
	v_cndmask_b32_e64 v1, 0, v24, s1
	v_cmp_eq_u32_e64 s1, 1, v2
	v_add_nc_u32_e32 v3, v1, v3
	s_waitcnt lgkmcnt(0)
	v_cndmask_b32_e64 v4, v25, 1, s1
.LBB793_37:
	s_or_b32 exec_lo, exec_lo, s2
	v_sub_co_u32 v1, s1, v20, 1
	v_and_b32_e32 v2, 0xff, v4
	v_cmp_gt_i32_e64 s2, 0, v1
	v_cndmask_b32_e64 v1, v1, v20, s2
	v_lshlrev_b32_e32 v1, 2, v1
	ds_bpermute_b32 v26, v1, v3
	ds_bpermute_b32 v27, v1, v2
	s_and_saveexec_b32 s3, vcc_lo
	s_cbranch_execz .LBB793_57
; %bb.38:
	v_mov_b32_e32 v4, 0
	ds_read_b64 v[1:2], v4 offset:56
	s_and_saveexec_b32 s2, s1
	s_cbranch_execz .LBB793_40
; %bb.39:
	s_add_i32 s10, s6, 32
	s_mov_b32 s11, 0
	v_mov_b32_e32 v3, 1
	s_lshl_b64 s[10:11], s[10:11], 4
	s_add_u32 s10, s16, s10
	s_addc_u32 s11, s17, s11
	v_mov_b32_e32 v5, s10
	v_mov_b32_e32 v6, s11
	s_waitcnt lgkmcnt(0)
	;;#ASMSTART
	global_store_dwordx4 v[5:6], v[1:4] off	
s_waitcnt vmcnt(0)
	;;#ASMEND
.LBB793_40:
	s_or_b32 exec_lo, exec_lo, s2
	v_xad_u32 v15, v20, -1, s6
	s_mov_b32 s10, 0
	v_add_nc_u32_e32 v3, 32, v15
	v_lshlrev_b64 v[5:6], 4, v[3:4]
	v_add_co_u32 v16, vcc_lo, s16, v5
	v_add_co_ci_u32_e64 v17, null, s17, v6, vcc_lo
	;;#ASMSTART
	global_load_dwordx4 v[5:8], v[16:17] off glc dlc	
s_waitcnt vmcnt(0)
	;;#ASMEND
	v_and_b32_e32 v6, 0xff, v6
	v_cmp_eq_u16_sdwa s11, v7, v4 src0_sel:BYTE_0 src1_sel:DWORD
	s_and_saveexec_b32 s2, s11
	s_cbranch_execz .LBB793_44
; %bb.41:
	v_mov_b32_e32 v3, 0
.LBB793_42:                             ; =>This Inner Loop Header: Depth=1
	;;#ASMSTART
	global_load_dwordx4 v[5:8], v[16:17] off glc dlc	
s_waitcnt vmcnt(0)
	;;#ASMEND
	v_cmp_ne_u16_sdwa s11, v7, v3 src0_sel:BYTE_0 src1_sel:DWORD
	s_or_b32 s10, s11, s10
	s_andn2_b32 exec_lo, exec_lo, s10
	s_cbranch_execnz .LBB793_42
; %bb.43:
	s_or_b32 exec_lo, exec_lo, s10
	v_and_b32_e32 v6, 0xff, v6
.LBB793_44:
	s_or_b32 exec_lo, exec_lo, s2
	v_cmp_ne_u32_e32 vcc_lo, 31, v20
	v_mov_b32_e32 v28, 2
	v_lshlrev_b32_e64 v29, v20, -1
	v_and_b32_e32 v8, 1, v6
	s_mov_b32 s10, 0
	v_add_co_ci_u32_e64 v3, null, 0, v20, vcc_lo
	v_cmp_eq_u16_sdwa s2, v7, v28 src0_sel:BYTE_0 src1_sel:DWORD
	v_cmp_eq_u32_e32 vcc_lo, 1, v8
	s_mov_b32 s11, 1
	v_lshlrev_b32_e32 v17, 2, v3
	v_add_nc_u32_e32 v37, 8, v20
	v_and_or_b32 v4, s2, v29, 0x80000000
	v_cmp_gt_u64_e64 s2, s[10:11], v[5:6]
	v_lshl_or_b32 v38, v20, 2, 64
	ds_bpermute_b32 v3, v17, v6
	ds_bpermute_b32 v16, v17, v5
	v_ffbl_b32_e32 v4, v4
	v_add_nc_u32_e32 v39, 16, v20
	s_waitcnt lgkmcnt(1)
	v_and_b32_e32 v3, 1, v3
	v_cndmask_b32_e64 v3, v3, 1, vcc_lo
	v_cmp_gt_u32_e32 vcc_lo, 30, v20
	v_and_b32_e32 v31, 0xffff, v3
	v_cndmask_b32_e64 v8, 0, 2, vcc_lo
	v_cmp_lt_u32_e32 vcc_lo, v20, v4
	v_add_lshl_u32 v30, v8, v20, 2
	v_cndmask_b32_e32 v8, v6, v31, vcc_lo
	v_cndmask_b32_e32 v3, v6, v3, vcc_lo
	s_and_b32 vcc_lo, vcc_lo, s2
	s_waitcnt lgkmcnt(0)
	v_cndmask_b32_e32 v6, 0, v16, vcc_lo
	ds_bpermute_b32 v31, v30, v8
	v_and_b32_e32 v16, 1, v3
	v_add_nc_u32_e32 v5, v6, v5
	v_cmp_eq_u32_e32 vcc_lo, 1, v16
	v_mov_b32_e32 v16, 0
	ds_bpermute_b32 v6, v30, v5
	v_cmp_eq_u16_sdwa s2, v3, v16 src0_sel:BYTE_0 src1_sel:DWORD
	s_waitcnt lgkmcnt(1)
	v_and_b32_e32 v32, 1, v31
	v_add_nc_u32_e32 v31, 2, v20
	v_cndmask_b32_e64 v33, v32, 1, vcc_lo
	v_cmp_gt_u32_e32 vcc_lo, 28, v20
	v_and_b32_e32 v34, 0xffff, v33
	v_cndmask_b32_e64 v32, 0, 4, vcc_lo
	v_cmp_gt_u32_e32 vcc_lo, v31, v4
	v_add_lshl_u32 v32, v32, v20, 2
	v_cndmask_b32_e32 v8, v34, v8, vcc_lo
	v_cndmask_b32_e32 v35, v33, v3, vcc_lo
	s_waitcnt lgkmcnt(0)
	v_cndmask_b32_e64 v3, 0, v6, s2
	v_add_nc_u32_e32 v33, 4, v20
	ds_bpermute_b32 v6, v32, v8
	v_and_b32_e32 v34, 1, v35
	v_cndmask_b32_e64 v3, v3, 0, vcc_lo
	v_cmp_eq_u16_sdwa s2, v35, v16 src0_sel:BYTE_0 src1_sel:DWORD
	v_cmp_eq_u32_e32 vcc_lo, 1, v34
	v_add_nc_u32_e32 v3, v3, v5
	ds_bpermute_b32 v5, v32, v3
	s_waitcnt lgkmcnt(1)
	v_and_b32_e32 v6, 1, v6
	v_cndmask_b32_e64 v6, v6, 1, vcc_lo
	v_cmp_gt_u32_e32 vcc_lo, 24, v20
	v_and_b32_e32 v36, 0xffff, v6
	v_cndmask_b32_e64 v34, 0, 8, vcc_lo
	v_cmp_gt_u32_e32 vcc_lo, v33, v4
	s_waitcnt lgkmcnt(0)
	v_cndmask_b32_e64 v5, 0, v5, s2
	v_add_lshl_u32 v34, v34, v20, 2
	v_cndmask_b32_e32 v8, v36, v8, vcc_lo
	v_cndmask_b32_e32 v6, v6, v35, vcc_lo
	v_cndmask_b32_e64 v5, v5, 0, vcc_lo
	ds_bpermute_b32 v35, v34, v8
	v_and_b32_e32 v36, 1, v6
	v_add_nc_u32_e32 v3, v5, v3
	v_cmp_eq_u32_e32 vcc_lo, 1, v36
	ds_bpermute_b32 v5, v34, v3
	s_waitcnt lgkmcnt(1)
	v_and_b32_e32 v35, 1, v35
	v_cndmask_b32_e64 v35, v35, 1, vcc_lo
	v_cmp_eq_u16_sdwa vcc_lo, v6, v16 src0_sel:BYTE_0 src1_sel:DWORD
	v_and_b32_e32 v36, 0xffff, v35
	s_waitcnt lgkmcnt(0)
	v_cndmask_b32_e32 v5, 0, v5, vcc_lo
	v_cmp_gt_u32_e32 vcc_lo, v37, v4
	v_cndmask_b32_e64 v5, v5, 0, vcc_lo
	v_cndmask_b32_e32 v8, v36, v8, vcc_lo
	v_cndmask_b32_e32 v6, v35, v6, vcc_lo
	v_add_nc_u32_e32 v3, v5, v3
	ds_bpermute_b32 v5, v38, v8
	v_and_b32_e32 v35, 1, v6
	v_cmp_eq_u16_sdwa vcc_lo, v6, v16 src0_sel:BYTE_0 src1_sel:DWORD
	ds_bpermute_b32 v8, v38, v3
	s_waitcnt lgkmcnt(1)
	v_and_b32_e32 v5, 1, v5
	s_waitcnt lgkmcnt(0)
	v_cndmask_b32_e32 v8, 0, v8, vcc_lo
	v_cmp_eq_u32_e32 vcc_lo, 1, v35
	v_cndmask_b32_e64 v5, v5, 1, vcc_lo
	v_cmp_gt_u32_e32 vcc_lo, v39, v4
	v_cndmask_b32_e32 v4, v5, v6, vcc_lo
	v_cndmask_b32_e64 v5, v8, 0, vcc_lo
	v_add_nc_u32_e32 v3, v5, v3
	s_branch .LBB793_48
.LBB793_45:                             ;   in Loop: Header=BB793_48 Depth=1
	s_or_b32 exec_lo, exec_lo, s13
	v_and_b32_e32 v6, 0xff, v6
.LBB793_46:                             ;   in Loop: Header=BB793_48 Depth=1
	s_or_b32 exec_lo, exec_lo, s2
	ds_bpermute_b32 v3, v17, v6
	v_cmp_eq_u16_sdwa s2, v7, v28 src0_sel:BYTE_0 src1_sel:DWORD
	v_and_b32_e32 v4, 1, v6
	v_subrev_nc_u32_e32 v15, 32, v15
	v_and_or_b32 v8, s2, v29, 0x80000000
	v_cmp_eq_u32_e32 vcc_lo, 1, v4
	v_cmp_gt_u64_e64 s2, s[10:11], v[5:6]
	v_ffbl_b32_e32 v4, v8
	ds_bpermute_b32 v8, v17, v5
	s_waitcnt lgkmcnt(1)
	v_and_b32_e32 v3, 1, v3
	v_cndmask_b32_e64 v3, v3, 1, vcc_lo
	v_cmp_lt_u32_e32 vcc_lo, v20, v4
	v_and_b32_e32 v40, 0xffff, v3
	v_cndmask_b32_e32 v3, v6, v3, vcc_lo
	v_cndmask_b32_e32 v40, v6, v40, vcc_lo
	s_and_b32 vcc_lo, vcc_lo, s2
	v_cmp_eq_u16_sdwa s2, v3, v16 src0_sel:BYTE_0 src1_sel:DWORD
	s_waitcnt lgkmcnt(0)
	v_cndmask_b32_e32 v6, 0, v8, vcc_lo
	v_and_b32_e32 v8, 1, v3
	ds_bpermute_b32 v41, v30, v40
	v_add_nc_u32_e32 v5, v6, v5
	v_cmp_eq_u32_e32 vcc_lo, 1, v8
	ds_bpermute_b32 v6, v30, v5
	s_waitcnt lgkmcnt(1)
	v_and_b32_e32 v41, 1, v41
	v_cndmask_b32_e64 v8, v41, 1, vcc_lo
	v_cmp_gt_u32_e32 vcc_lo, v31, v4
	v_and_b32_e32 v41, 0xffff, v8
	v_cndmask_b32_e32 v8, v8, v3, vcc_lo
	s_waitcnt lgkmcnt(0)
	v_cndmask_b32_e64 v3, 0, v6, s2
	v_cndmask_b32_e32 v40, v41, v40, vcc_lo
	v_and_b32_e32 v41, 1, v8
	v_cndmask_b32_e64 v3, v3, 0, vcc_lo
	v_cmp_eq_u16_sdwa s2, v8, v16 src0_sel:BYTE_0 src1_sel:DWORD
	ds_bpermute_b32 v6, v32, v40
	v_cmp_eq_u32_e32 vcc_lo, 1, v41
	v_add_nc_u32_e32 v3, v3, v5
	ds_bpermute_b32 v5, v32, v3
	s_waitcnt lgkmcnt(1)
	v_and_b32_e32 v6, 1, v6
	v_cndmask_b32_e64 v6, v6, 1, vcc_lo
	v_cmp_gt_u32_e32 vcc_lo, v33, v4
	s_waitcnt lgkmcnt(0)
	v_cndmask_b32_e64 v5, 0, v5, s2
	s_mov_b32 s2, 0
	v_and_b32_e32 v41, 0xffff, v6
	v_cndmask_b32_e32 v6, v6, v8, vcc_lo
	v_cndmask_b32_e64 v5, v5, 0, vcc_lo
	v_cndmask_b32_e32 v8, v41, v40, vcc_lo
	v_and_b32_e32 v41, 1, v6
	v_add_nc_u32_e32 v3, v5, v3
	ds_bpermute_b32 v40, v34, v8
	v_cmp_eq_u32_e32 vcc_lo, 1, v41
	ds_bpermute_b32 v5, v34, v3
	s_waitcnt lgkmcnt(1)
	v_and_b32_e32 v40, 1, v40
	v_cndmask_b32_e64 v40, v40, 1, vcc_lo
	v_cmp_eq_u16_sdwa vcc_lo, v6, v16 src0_sel:BYTE_0 src1_sel:DWORD
	v_and_b32_e32 v41, 0xffff, v40
	s_waitcnt lgkmcnt(0)
	v_cndmask_b32_e32 v5, 0, v5, vcc_lo
	v_cmp_gt_u32_e32 vcc_lo, v37, v4
	v_cndmask_b32_e64 v5, v5, 0, vcc_lo
	v_cndmask_b32_e32 v8, v41, v8, vcc_lo
	v_cndmask_b32_e32 v6, v40, v6, vcc_lo
	v_add_nc_u32_e32 v3, v5, v3
	ds_bpermute_b32 v5, v38, v8
	v_and_b32_e32 v40, 1, v6
	ds_bpermute_b32 v8, v38, v3
	v_cmp_eq_u32_e32 vcc_lo, 1, v40
	s_waitcnt lgkmcnt(1)
	v_cndmask_b32_e64 v5, v5, 1, vcc_lo
	v_cmp_eq_u16_sdwa vcc_lo, v6, v16 src0_sel:BYTE_0 src1_sel:DWORD
	s_waitcnt lgkmcnt(0)
	v_cndmask_b32_e32 v8, 0, v8, vcc_lo
	v_cmp_gt_u32_e32 vcc_lo, v39, v4
	v_cndmask_b32_e32 v4, v5, v6, vcc_lo
	v_cndmask_b32_e64 v5, v8, 0, vcc_lo
	v_cmp_eq_u16_sdwa vcc_lo, v35, v16 src0_sel:BYTE_0 src1_sel:DWORD
	v_and_b32_e32 v4, 1, v4
	v_add_nc_u32_e32 v3, v5, v3
	v_and_b32_e32 v5, 1, v35
	v_cndmask_b32_e32 v3, 0, v3, vcc_lo
	v_cmp_eq_u32_e32 vcc_lo, 1, v5
	v_add_nc_u32_e32 v3, v3, v36
	v_cndmask_b32_e64 v4, v4, 1, vcc_lo
.LBB793_47:                             ;   in Loop: Header=BB793_48 Depth=1
	s_and_b32 vcc_lo, exec_lo, s2
	s_cbranch_vccnz .LBB793_53
.LBB793_48:                             ; =>This Loop Header: Depth=1
                                        ;     Child Loop BB793_51 Depth 2
	v_cmp_ne_u16_sdwa s2, v7, v28 src0_sel:BYTE_0 src1_sel:DWORD
	v_mov_b32_e32 v35, v4
	v_mov_b32_e32 v36, v3
                                        ; implicit-def: $vgpr4
                                        ; implicit-def: $vgpr3
                                        ; implicit-def: $vgpr7
	s_cmp_lg_u32 s2, exec_lo
	s_mov_b32 s2, -1
	s_cbranch_scc1 .LBB793_47
; %bb.49:                               ;   in Loop: Header=BB793_48 Depth=1
	v_lshlrev_b64 v[3:4], 4, v[15:16]
	v_add_co_u32 v3, vcc_lo, s16, v3
	v_add_co_ci_u32_e64 v4, null, s17, v4, vcc_lo
	;;#ASMSTART
	global_load_dwordx4 v[5:8], v[3:4] off glc dlc	
s_waitcnt vmcnt(0)
	;;#ASMEND
	v_and_b32_e32 v6, 0xff, v6
	v_cmp_eq_u16_sdwa s13, v7, v16 src0_sel:BYTE_0 src1_sel:DWORD
	s_and_saveexec_b32 s2, s13
	s_cbranch_execz .LBB793_46
; %bb.50:                               ;   in Loop: Header=BB793_48 Depth=1
	s_mov_b32 s13, 0
.LBB793_51:                             ;   Parent Loop BB793_48 Depth=1
                                        ; =>  This Inner Loop Header: Depth=2
	;;#ASMSTART
	global_load_dwordx4 v[5:8], v[3:4] off glc dlc	
s_waitcnt vmcnt(0)
	;;#ASMEND
	v_cmp_ne_u16_sdwa s19, v7, v16 src0_sel:BYTE_0 src1_sel:DWORD
	s_or_b32 s13, s19, s13
	s_andn2_b32 exec_lo, exec_lo, s13
	s_cbranch_execnz .LBB793_51
	s_branch .LBB793_45
.LBB793_52:
                                        ; implicit-def: $vgpr6
                                        ; implicit-def: $vgpr5
                                        ; implicit-def: $vgpr7
	s_cbranch_execnz .LBB793_58
	s_branch .LBB793_73
.LBB793_53:
	s_and_saveexec_b32 s2, s1
	s_cbranch_execz .LBB793_55
; %bb.54:
	v_mov_b32_e32 v4, 0
	v_and_b32_e32 v3, 1, v2
	s_mov_b32 s11, 0
	s_add_i32 s10, s6, 32
	v_and_b32_e32 v5, 1, v35
	v_cmp_eq_u32_sdwa vcc_lo, v2, v4 src0_sel:BYTE_0 src1_sel:DWORD
	s_lshl_b64 s[10:11], s[10:11], 4
	s_add_u32 s10, s16, s10
	s_addc_u32 s11, s17, s11
	v_cndmask_b32_e32 v2, 0, v36, vcc_lo
	v_cmp_eq_u32_e32 vcc_lo, 1, v3
	v_mov_b32_e32 v3, 2
	v_add_nc_u32_e32 v1, v2, v1
	v_cndmask_b32_e64 v2, v5, 1, vcc_lo
	v_mov_b32_e32 v5, s10
	v_mov_b32_e32 v6, s11
	;;#ASMSTART
	global_store_dwordx4 v[5:6], v[1:4] off	
s_waitcnt vmcnt(0)
	;;#ASMEND
.LBB793_55:
	s_or_b32 exec_lo, exec_lo, s2
	v_cmp_eq_u32_e32 vcc_lo, 0, v0
	s_and_b32 exec_lo, exec_lo, vcc_lo
	s_cbranch_execz .LBB793_57
; %bb.56:
	v_mov_b32_e32 v1, 0
	ds_write_b32 v1, v36 offset:56
	ds_write_b8 v1, v35 offset:60
.LBB793_57:
	s_or_b32 exec_lo, exec_lo, s3
	v_mov_b32_e32 v1, 0
	s_waitcnt lgkmcnt(0)
	s_barrier
	buffer_gl0_inv
	v_cndmask_b32_e64 v2, v27, v25, s1
	ds_read_b32 v3, v1 offset:56
	v_cndmask_b32_e64 v4, v26, v24, s1
	v_cmp_eq_u16_sdwa vcc_lo, v2, v1 src0_sel:BYTE_0 src1_sel:DWORD
	s_waitcnt lgkmcnt(0)
	v_cndmask_b32_e32 v2, 0, v3, vcc_lo
	v_cmp_eq_u32_e32 vcc_lo, 0, v0
	v_add_nc_u32_e32 v4, v2, v4
	v_and_b32_e32 v2, 0xff, v10
	v_cndmask_b32_e32 v6, v4, v3, vcc_lo
	v_cmp_eq_u64_e32 vcc_lo, 0, v[1:2]
	v_cndmask_b32_e32 v1, 0, v6, vcc_lo
	v_add_nc_u32_e32 v5, v1, v9
	v_cndmask_b32_e64 v1, 0, v5, s0
	v_add_nc_u32_e32 v7, v1, v11
	s_branch .LBB793_73
.LBB793_58:
	s_cmp_eq_u64 s[24:25], 0
	v_mov_b32_e32 v3, s26
	s_cselect_b32 s0, -1, 0
	s_cmp_eq_u64 s[22:23], 0
	s_cselect_b32 s1, -1, 0
	s_or_b32 s0, s0, s1
	s_and_b32 vcc_lo, exec_lo, s0
	s_cbranch_vccnz .LBB793_60
; %bb.59:
	v_mov_b32_e32 v1, 0
	global_load_dword v3, v1, s[22:23]
.LBB793_60:
	v_and_b32_e32 v2, 0xff, v23
	v_mov_b32_e32 v1, 0
	s_mov_b32 s2, 0
	s_mov_b32 s3, 1
	v_cmp_gt_u64_e32 vcc_lo, s[2:3], v[11:12]
	v_cmp_eq_u64_e64 s0, 0, v[1:2]
	v_cndmask_b32_e32 v4, 0, v9, vcc_lo
	v_cndmask_b32_e64 v2, 1, v10, s0
	v_cmp_gt_u64_e64 s0, s[2:3], v[13:14]
	v_add_nc_u32_e32 v4, v4, v11
	v_and_b32_e32 v5, 0xff, v2
	v_and_b32_e32 v7, 1, v2
	v_cndmask_b32_e64 v4, 0, v4, s0
	v_mov_b32_dpp v6, v5 row_shr:1 row_mask:0xf bank_mask:0xf
	v_cmp_eq_u32_e64 s0, 1, v7
	v_and_b32_e32 v7, 15, v20
	v_add_nc_u32_e32 v4, v4, v13
	v_and_b32_e32 v6, 1, v6
	v_mov_b32_dpp v8, v4 row_shr:1 row_mask:0xf bank_mask:0xf
	v_cndmask_b32_e64 v6, v6, 1, s0
	v_cmp_eq_u16_e64 s0, 0, v5
	v_and_b32_e32 v12, 0xffff, v6
	v_cndmask_b32_e64 v8, 0, v8, s0
	v_cmp_eq_u32_e64 s0, 0, v7
	v_cndmask_b32_e64 v5, v12, v5, s0
	v_cndmask_b32_e64 v2, v6, v2, s0
	;; [unrolled: 1-line block ×3, first 2 shown]
	v_mov_b32_dpp v6, v5 row_shr:2 row_mask:0xf bank_mask:0xf
	v_and_b32_e32 v12, 1, v2
	v_add_nc_u32_e32 v4, v8, v4
	v_cmp_eq_u16_sdwa s2, v2, v1 src0_sel:BYTE_0 src1_sel:DWORD
	v_and_b32_e32 v6, 1, v6
	v_cmp_eq_u32_e64 s0, 1, v12
	v_cndmask_b32_e64 v6, v6, 1, s0
	v_cmp_lt_u32_e64 s0, 1, v7
	v_and_b32_e32 v12, 0xffff, v6
	v_cndmask_b32_e64 v6, v2, v6, s0
	v_mov_b32_dpp v2, v4 row_shr:2 row_mask:0xf bank_mask:0xf
	v_cndmask_b32_e64 v5, v5, v12, s0
	v_and_b32_e32 v8, 1, v6
	s_and_b32 s0, s0, s2
	v_cndmask_b32_e64 v2, 0, v2, s0
	v_mov_b32_dpp v12, v5 row_shr:4 row_mask:0xf bank_mask:0xf
	v_cmp_eq_u32_e64 s1, 1, v8
	v_cmp_lt_u32_e64 s0, 3, v7
	v_add_nc_u32_e32 v2, v2, v4
	v_and_b32_e32 v12, 1, v12
	v_cndmask_b32_e64 v8, v12, 1, s1
	v_cmp_eq_u16_sdwa s1, v6, v1 src0_sel:BYTE_0 src1_sel:DWORD
	v_and_b32_e32 v12, 0xffff, v8
	v_cndmask_b32_e64 v4, v6, v8, s0
	v_mov_b32_dpp v6, v2 row_shr:4 row_mask:0xf bank_mask:0xf
	v_cndmask_b32_e64 v5, v5, v12, s0
	s_and_b32 s0, s0, s1
	v_and_b32_e32 v12, 1, v4
	v_cndmask_b32_e64 v6, 0, v6, s0
	v_cmp_eq_u16_sdwa s1, v4, v1 src0_sel:BYTE_0 src1_sel:DWORD
	v_mov_b32_dpp v8, v5 row_shr:8 row_mask:0xf bank_mask:0xf
	v_cmp_eq_u32_e64 s0, 1, v12
	v_add_nc_u32_e32 v2, v6, v2
	v_and_b32_e32 v8, 1, v8
	v_cndmask_b32_e64 v6, v8, 1, s0
	v_cmp_lt_u32_e64 s0, 7, v7
	v_mov_b32_dpp v7, v2 row_shr:8 row_mask:0xf bank_mask:0xf
	s_and_b32 s1, s0, s1
	v_cndmask_b32_e64 v8, v4, v6, s0
	v_cndmask_b32_e64 v4, 0, v7, s1
	v_and_b32_e32 v6, 0xffff, v6
	v_and_b32_e32 v7, 16, v20
	v_add_nc_u32_e32 v2, v4, v2
	v_cndmask_b32_e64 v4, v5, v6, s0
	v_cmp_eq_u16_sdwa s0, v8, v1 src0_sel:BYTE_0 src1_sel:DWORD
	v_bfe_i32 v6, v20, 4, 1
	v_cmp_eq_u32_e64 s1, 0, v7
	ds_swizzle_b32 v5, v2 offset:swizzle(BROADCAST,32,15)
	ds_swizzle_b32 v4, v4 offset:swizzle(BROADCAST,32,15)
	s_waitcnt lgkmcnt(1)
	v_cndmask_b32_e64 v1, 0, v5, s0
	v_and_b32_e32 v5, 1, v8
	s_waitcnt lgkmcnt(0)
	v_and_b32_e32 v4, 1, v4
	v_and_b32_e32 v1, v6, v1
	v_cmp_eq_u32_e64 s0, 1, v5
	v_lshlrev_b32_e32 v6, 3, v21
	v_cndmask_b32_e64 v5, v4, 1, s0
	v_add_nc_u32_e32 v4, v1, v2
	v_cndmask_b32_e64 v5, v5, v8, s1
	s_mov_b32 s1, exec_lo
	v_cmpx_eq_u32_e64 v0, v22
	s_cbranch_execz .LBB793_62
; %bb.61:
	ds_write_b32 v6, v4
	ds_write_b8 v6, v5 offset:4
.LBB793_62:
	s_or_b32 exec_lo, exec_lo, s1
	s_mov_b32 s1, exec_lo
	s_waitcnt vmcnt(0) lgkmcnt(0)
	s_barrier
	buffer_gl0_inv
	v_cmpx_gt_u32_e32 8, v0
	s_cbranch_execz .LBB793_68
; %bb.63:
	ds_read_b64 v[1:2], v19
	v_and_b32_e32 v7, 7, v20
	s_mov_b32 s2, exec_lo
	s_waitcnt lgkmcnt(0)
	v_and_b32_e32 v8, 0xffffff00, v2
	v_mov_b32_dpp v13, v1 row_shr:1 row_mask:0xf bank_mask:0xf
	v_mov_b32_dpp v14, v2 row_shr:1 row_mask:0xf bank_mask:0xf
	v_mov_b32_e32 v12, v2
	v_cmpx_ne_u32_e32 0, v7
	s_cbranch_execz .LBB793_65
; %bb.64:
	v_mov_b32_e32 v12, 0
	v_and_b32_e32 v15, 1, v2
	v_and_b32_e32 v14, 1, v14
	v_cmp_eq_u16_sdwa s0, v2, v12 src0_sel:BYTE_0 src1_sel:DWORD
	v_cndmask_b32_e64 v2, 0, v13, s0
	v_cmp_eq_u32_e64 s0, 1, v15
	v_add_nc_u32_e32 v1, v2, v1
	v_cndmask_b32_e64 v13, v14, 1, s0
	v_or_b32_sdwa v12, v8, v13 dst_sel:DWORD dst_unused:UNUSED_PAD src0_sel:DWORD src1_sel:WORD_0
	v_mov_b32_e32 v2, v13
.LBB793_65:
	s_or_b32 exec_lo, exec_lo, s2
	v_mov_b32_dpp v13, v1 row_shr:2 row_mask:0xf bank_mask:0xf
	v_mov_b32_dpp v14, v12 row_shr:2 row_mask:0xf bank_mask:0xf
	s_mov_b32 s2, exec_lo
	v_cmpx_lt_u32_e32 1, v7
	s_cbranch_execz .LBB793_67
; %bb.66:
	v_mov_b32_e32 v12, 0
	v_and_b32_e32 v15, 1, v2
	v_and_b32_e32 v14, 1, v14
	v_cmp_eq_u16_sdwa s0, v2, v12 src0_sel:BYTE_0 src1_sel:DWORD
	v_cndmask_b32_e64 v2, 0, v13, s0
	v_cmp_eq_u32_e64 s0, 1, v15
	v_add_nc_u32_e32 v1, v2, v1
	v_cndmask_b32_e64 v13, v14, 1, s0
	v_or_b32_sdwa v12, v8, v13 dst_sel:DWORD dst_unused:UNUSED_PAD src0_sel:DWORD src1_sel:WORD_0
	v_mov_b32_e32 v2, v13
.LBB793_67:
	s_or_b32 exec_lo, exec_lo, s2
	v_mov_b32_dpp v8, v12 row_shr:4 row_mask:0xf bank_mask:0xf
	v_and_b32_e32 v13, 1, v2
	v_mov_b32_e32 v12, 0
	v_and_b32_e32 v8, 1, v8
	v_cmp_eq_u32_e64 s0, 1, v13
	v_cmp_eq_u16_sdwa s2, v2, v12 src0_sel:BYTE_0 src1_sel:DWORD
	v_cndmask_b32_e64 v8, v8, 1, s0
	v_cmp_lt_u32_e64 s0, 3, v7
	v_mov_b32_dpp v7, v1 row_shr:4 row_mask:0xf bank_mask:0xf
	v_cndmask_b32_e64 v2, v2, v8, s0
	s_and_b32 s0, s0, s2
	v_cndmask_b32_e64 v7, 0, v7, s0
	v_add_nc_u32_e32 v1, v7, v1
	ds_write_b32 v19, v1
	ds_write_b8 v19, v2 offset:4
.LBB793_68:
	s_or_b32 exec_lo, exec_lo, s1
	v_mov_b32_e32 v2, v3
	s_mov_b32 s1, exec_lo
	s_waitcnt lgkmcnt(0)
	s_barrier
	buffer_gl0_inv
	v_cmpx_lt_u32_e32 31, v0
	s_cbranch_execz .LBB793_70
; %bb.69:
	v_add_nc_u32_e32 v1, -4, v6
	v_add_nc_u32_e32 v2, -8, v6
	ds_read_u8 v1, v1
	ds_read_b32 v2, v2
	s_waitcnt lgkmcnt(1)
	v_cmp_eq_u16_e64 s0, 0, v1
	v_cndmask_b32_e64 v1, 0, v3, s0
	s_waitcnt lgkmcnt(0)
	v_add_nc_u32_e32 v2, v1, v2
.LBB793_70:
	s_or_b32 exec_lo, exec_lo, s1
	v_mov_b32_e32 v1, 0
	v_sub_co_u32 v6, s0, v20, 1
	v_cmp_eq_u16_sdwa s1, v5, v1 src0_sel:BYTE_0 src1_sel:DWORD
	v_cndmask_b32_e64 v5, 0, v2, s1
	v_cmp_gt_i32_e64 s1, 0, v6
	v_add_nc_u32_e32 v4, v5, v4
	v_cndmask_b32_e64 v6, v6, v20, s1
	v_lshlrev_b32_e32 v5, 2, v6
	ds_bpermute_b32 v4, v5, v4
	s_waitcnt lgkmcnt(0)
	v_cndmask_b32_e64 v6, v4, v2, s0
	v_and_b32_e32 v2, 0xff, v10
	v_cmp_eq_u32_e64 s0, 0, v0
	v_cmp_eq_u64_e64 s1, 0, v[1:2]
	v_cndmask_b32_e64 v4, v6, v3, s0
	v_cndmask_b32_e64 v2, 0, v4, s1
	v_add_nc_u32_e32 v5, v2, v9
	v_cndmask_b32_e32 v2, 0, v5, vcc_lo
	s_and_saveexec_b32 s1, s0
	s_cbranch_execz .LBB793_72
; %bb.71:
	ds_read_u8 v4, v1 offset:60
	ds_read_b32 v6, v1 offset:56
	v_mov_b32_e32 v9, v1
	s_add_u32 s2, s16, 0x200
	s_addc_u32 s3, s17, 0
	v_mov_b32_e32 v10, v1
	v_mov_b32_e32 v13, s3
	;; [unrolled: 1-line block ×3, first 2 shown]
	s_waitcnt lgkmcnt(1)
	v_and_b32_e32 v8, 0xffff, v4
	v_cmp_eq_u64_e32 vcc_lo, 0, v[8:9]
	v_mov_b32_e32 v9, 2
	v_cndmask_b32_e32 v4, 0, v3, vcc_lo
	s_waitcnt lgkmcnt(0)
	v_add_nc_u32_e32 v7, v4, v6
	v_mov_b32_e32 v6, v3
	;;#ASMSTART
	global_store_dwordx4 v[12:13], v[7:10] off	
s_waitcnt vmcnt(0)
	;;#ASMEND
.LBB793_72:
	s_or_b32 exec_lo, exec_lo, s1
	v_add_nc_u32_e32 v7, v2, v11
.LBB793_73:
	s_add_u32 s0, s14, s4
	v_mov_b32_e32 v3, 0
	s_addc_u32 s1, s15, s5
	s_add_u32 s0, s0, s8
	s_addc_u32 s1, s1, s9
	s_and_b32 vcc_lo, exec_lo, s7
	s_cbranch_vccz .LBB793_85
; %bb.74:
	v_mul_u32_u24_e32 v1, 3, v0
	v_mov_b32_e32 v4, 0
	v_mov_b32_e32 v2, 0
	s_add_i32 s12, s12, s18
	s_mov_b32 s2, exec_lo
	v_cmpx_gt_u32_e64 s12, v1
	s_cbranch_execz .LBB793_80
; %bb.75:
	v_add_nc_u32_e32 v3, 1, v1
	v_mov_b32_e32 v2, 0
	v_mov_b32_e32 v4, 0
	s_mov_b32 s3, exec_lo
	v_cmpx_gt_u32_e64 s12, v3
	s_cbranch_execz .LBB793_79
; %bb.76:
	v_add_nc_u32_e32 v2, 2, v1
	v_cmp_gt_u32_e32 vcc_lo, s12, v2
	v_mov_b32_e32 v2, 0
	s_and_saveexec_b32 s4, vcc_lo
; %bb.77:
	v_mov_b32_e32 v2, v7
; %bb.78:
	s_or_b32 exec_lo, exec_lo, s4
	v_mov_b32_e32 v4, v5
.LBB793_79:
	s_or_b32 exec_lo, exec_lo, s3
	v_mov_b32_e32 v3, v6
.LBB793_80:
	s_or_b32 exec_lo, exec_lo, s2
	v_lshlrev_b32_e32 v8, 2, v1
	s_barrier
	buffer_gl0_inv
	v_sub_nc_u32_e32 v1, v8, v19
	ds_write2_b32 v8, v3, v4 offset1:1
	ds_write_b32 v8, v2 offset:8
	s_waitcnt lgkmcnt(0)
	s_barrier
	buffer_gl0_inv
	ds_read2st64_b32 v[1:2], v1 offset0:4 offset1:8
	v_add_co_u32 v3, s2, s0, v18
	v_add_co_ci_u32_e64 v4, null, s1, 0, s2
	s_mov_b32 s2, exec_lo
	v_cmpx_gt_u32_e64 s12, v0
	s_cbranch_execz .LBB793_82
; %bb.81:
	v_sub_nc_u32_e32 v9, 0, v19
	v_add_nc_u32_e32 v8, v8, v9
	ds_read_b32 v8, v8
	s_waitcnt lgkmcnt(0)
	flat_store_dword v[3:4], v8
.LBB793_82:
	s_or_b32 exec_lo, exec_lo, s2
	v_or_b32_e32 v8, 0x100, v0
	s_mov_b32 s2, exec_lo
	v_cmpx_gt_u32_e64 s12, v8
	s_cbranch_execz .LBB793_84
; %bb.83:
	s_waitcnt lgkmcnt(0)
	flat_store_dword v[3:4], v1 offset:1024
.LBB793_84:
	s_or_b32 exec_lo, exec_lo, s2
	s_waitcnt lgkmcnt(0)
	v_or_b32_e32 v1, 0x200, v0
	v_cmp_gt_u32_e64 s2, s12, v1
	s_branch .LBB793_87
.LBB793_85:
	s_mov_b32 s2, 0
                                        ; implicit-def: $vgpr2
	s_cbranch_execz .LBB793_87
; %bb.86:
	v_mul_u32_u24_e32 v1, 12, v0
	s_waitcnt_vscnt null, 0x0
	s_barrier
	buffer_gl0_inv
	s_or_b32 s2, s2, exec_lo
	v_sub_nc_u32_e32 v2, v1, v19
	ds_write2_b32 v1, v6, v5 offset1:1
	ds_write_b32 v1, v7 offset:8
	s_waitcnt lgkmcnt(0)
	s_barrier
	buffer_gl0_inv
	ds_read2st64_b32 v[3:4], v2 offset1:4
	ds_read_b32 v2, v2 offset:2048
	v_add_co_u32 v5, s3, s0, v18
	v_add_co_ci_u32_e64 v6, null, s1, 0, s3
	s_waitcnt lgkmcnt(1)
	flat_store_dword v[5:6], v3
	flat_store_dword v[5:6], v4 offset:1024
.LBB793_87:
	s_and_saveexec_b32 s3, s2
	s_cbranch_execnz .LBB793_89
; %bb.88:
	s_endpgm
.LBB793_89:
	v_lshlrev_b32_e32 v0, 2, v0
	v_add_co_u32 v0, s0, s0, v0
	v_add_co_ci_u32_e64 v1, null, s1, 0, s0
	v_add_co_u32 v0, vcc_lo, 0x800, v0
	v_add_co_ci_u32_e64 v1, null, 0, v1, vcc_lo
	s_waitcnt lgkmcnt(2)
	flat_store_dword v[0:1], v2
	s_endpgm
.LBB793_90:
	v_add_co_u32 v2, s20, s3, v9
	v_add_co_ci_u32_e64 v3, null, s13, 0, s20
	v_mov_b32_e32 v11, v1
	v_mov_b32_e32 v12, v1
	flat_load_dword v10, v[2:3]
	s_waitcnt vmcnt(0) lgkmcnt(0)
	v_mov_b32_e32 v1, v10
	v_mov_b32_e32 v2, v11
	;; [unrolled: 1-line block ×3, first 2 shown]
	s_or_b32 exec_lo, exec_lo, s2
	s_and_saveexec_b32 s2, s0
	s_cbranch_execz .LBB793_11
.LBB793_91:
	v_add_co_u32 v10, s0, s3, v9
	v_add_co_ci_u32_e64 v11, null, s13, 0, s0
	flat_load_dword v2, v[10:11] offset:1024
	s_or_b32 exec_lo, exec_lo, s2
	v_mul_u32_u24_e32 v13, 3, v0
	s_and_saveexec_b32 s0, s1
	s_cbranch_execnz .LBB793_12
	s_branch .LBB793_13
	.section	.rodata,"a",@progbits
	.p2align	6, 0x0
	.amdhsa_kernel _ZN7rocprim17ROCPRIM_400000_NS6detail17trampoline_kernelINS0_14default_configENS1_27scan_by_key_config_selectorIiiEEZZNS1_16scan_by_key_implILNS1_25lookback_scan_determinismE0ELb1ES3_N6thrust23THRUST_200600_302600_NS6detail15normal_iteratorINS9_10device_ptrIiEEEESE_SE_iNS9_4plusIiEE19head_flag_predicateiEE10hipError_tPvRmT2_T3_T4_T5_mT6_T7_P12ihipStream_tbENKUlT_T0_E_clISt17integral_constantIbLb0EESY_EEDaST_SU_EUlST_E_NS1_11comp_targetILNS1_3genE8ELNS1_11target_archE1030ELNS1_3gpuE2ELNS1_3repE0EEENS1_30default_config_static_selectorELNS0_4arch9wavefront6targetE0EEEvT1_
		.amdhsa_group_segment_fixed_size 5120
		.amdhsa_private_segment_fixed_size 0
		.amdhsa_kernarg_size 112
		.amdhsa_user_sgpr_count 6
		.amdhsa_user_sgpr_private_segment_buffer 1
		.amdhsa_user_sgpr_dispatch_ptr 0
		.amdhsa_user_sgpr_queue_ptr 0
		.amdhsa_user_sgpr_kernarg_segment_ptr 1
		.amdhsa_user_sgpr_dispatch_id 0
		.amdhsa_user_sgpr_flat_scratch_init 0
		.amdhsa_user_sgpr_private_segment_size 0
		.amdhsa_wavefront_size32 1
		.amdhsa_uses_dynamic_stack 0
		.amdhsa_system_sgpr_private_segment_wavefront_offset 0
		.amdhsa_system_sgpr_workgroup_id_x 1
		.amdhsa_system_sgpr_workgroup_id_y 0
		.amdhsa_system_sgpr_workgroup_id_z 0
		.amdhsa_system_sgpr_workgroup_info 0
		.amdhsa_system_vgpr_workitem_id 0
		.amdhsa_next_free_vgpr 42
		.amdhsa_next_free_sgpr 30
		.amdhsa_reserve_vcc 1
		.amdhsa_reserve_flat_scratch 1
		.amdhsa_float_round_mode_32 0
		.amdhsa_float_round_mode_16_64 0
		.amdhsa_float_denorm_mode_32 3
		.amdhsa_float_denorm_mode_16_64 3
		.amdhsa_dx10_clamp 1
		.amdhsa_ieee_mode 1
		.amdhsa_fp16_overflow 0
		.amdhsa_workgroup_processor_mode 1
		.amdhsa_memory_ordered 1
		.amdhsa_forward_progress 1
		.amdhsa_shared_vgpr_count 0
		.amdhsa_exception_fp_ieee_invalid_op 0
		.amdhsa_exception_fp_denorm_src 0
		.amdhsa_exception_fp_ieee_div_zero 0
		.amdhsa_exception_fp_ieee_overflow 0
		.amdhsa_exception_fp_ieee_underflow 0
		.amdhsa_exception_fp_ieee_inexact 0
		.amdhsa_exception_int_div_zero 0
	.end_amdhsa_kernel
	.section	.text._ZN7rocprim17ROCPRIM_400000_NS6detail17trampoline_kernelINS0_14default_configENS1_27scan_by_key_config_selectorIiiEEZZNS1_16scan_by_key_implILNS1_25lookback_scan_determinismE0ELb1ES3_N6thrust23THRUST_200600_302600_NS6detail15normal_iteratorINS9_10device_ptrIiEEEESE_SE_iNS9_4plusIiEE19head_flag_predicateiEE10hipError_tPvRmT2_T3_T4_T5_mT6_T7_P12ihipStream_tbENKUlT_T0_E_clISt17integral_constantIbLb0EESY_EEDaST_SU_EUlST_E_NS1_11comp_targetILNS1_3genE8ELNS1_11target_archE1030ELNS1_3gpuE2ELNS1_3repE0EEENS1_30default_config_static_selectorELNS0_4arch9wavefront6targetE0EEEvT1_,"axG",@progbits,_ZN7rocprim17ROCPRIM_400000_NS6detail17trampoline_kernelINS0_14default_configENS1_27scan_by_key_config_selectorIiiEEZZNS1_16scan_by_key_implILNS1_25lookback_scan_determinismE0ELb1ES3_N6thrust23THRUST_200600_302600_NS6detail15normal_iteratorINS9_10device_ptrIiEEEESE_SE_iNS9_4plusIiEE19head_flag_predicateiEE10hipError_tPvRmT2_T3_T4_T5_mT6_T7_P12ihipStream_tbENKUlT_T0_E_clISt17integral_constantIbLb0EESY_EEDaST_SU_EUlST_E_NS1_11comp_targetILNS1_3genE8ELNS1_11target_archE1030ELNS1_3gpuE2ELNS1_3repE0EEENS1_30default_config_static_selectorELNS0_4arch9wavefront6targetE0EEEvT1_,comdat
.Lfunc_end793:
	.size	_ZN7rocprim17ROCPRIM_400000_NS6detail17trampoline_kernelINS0_14default_configENS1_27scan_by_key_config_selectorIiiEEZZNS1_16scan_by_key_implILNS1_25lookback_scan_determinismE0ELb1ES3_N6thrust23THRUST_200600_302600_NS6detail15normal_iteratorINS9_10device_ptrIiEEEESE_SE_iNS9_4plusIiEE19head_flag_predicateiEE10hipError_tPvRmT2_T3_T4_T5_mT6_T7_P12ihipStream_tbENKUlT_T0_E_clISt17integral_constantIbLb0EESY_EEDaST_SU_EUlST_E_NS1_11comp_targetILNS1_3genE8ELNS1_11target_archE1030ELNS1_3gpuE2ELNS1_3repE0EEENS1_30default_config_static_selectorELNS0_4arch9wavefront6targetE0EEEvT1_, .Lfunc_end793-_ZN7rocprim17ROCPRIM_400000_NS6detail17trampoline_kernelINS0_14default_configENS1_27scan_by_key_config_selectorIiiEEZZNS1_16scan_by_key_implILNS1_25lookback_scan_determinismE0ELb1ES3_N6thrust23THRUST_200600_302600_NS6detail15normal_iteratorINS9_10device_ptrIiEEEESE_SE_iNS9_4plusIiEE19head_flag_predicateiEE10hipError_tPvRmT2_T3_T4_T5_mT6_T7_P12ihipStream_tbENKUlT_T0_E_clISt17integral_constantIbLb0EESY_EEDaST_SU_EUlST_E_NS1_11comp_targetILNS1_3genE8ELNS1_11target_archE1030ELNS1_3gpuE2ELNS1_3repE0EEENS1_30default_config_static_selectorELNS0_4arch9wavefront6targetE0EEEvT1_
                                        ; -- End function
	.set _ZN7rocprim17ROCPRIM_400000_NS6detail17trampoline_kernelINS0_14default_configENS1_27scan_by_key_config_selectorIiiEEZZNS1_16scan_by_key_implILNS1_25lookback_scan_determinismE0ELb1ES3_N6thrust23THRUST_200600_302600_NS6detail15normal_iteratorINS9_10device_ptrIiEEEESE_SE_iNS9_4plusIiEE19head_flag_predicateiEE10hipError_tPvRmT2_T3_T4_T5_mT6_T7_P12ihipStream_tbENKUlT_T0_E_clISt17integral_constantIbLb0EESY_EEDaST_SU_EUlST_E_NS1_11comp_targetILNS1_3genE8ELNS1_11target_archE1030ELNS1_3gpuE2ELNS1_3repE0EEENS1_30default_config_static_selectorELNS0_4arch9wavefront6targetE0EEEvT1_.num_vgpr, 42
	.set _ZN7rocprim17ROCPRIM_400000_NS6detail17trampoline_kernelINS0_14default_configENS1_27scan_by_key_config_selectorIiiEEZZNS1_16scan_by_key_implILNS1_25lookback_scan_determinismE0ELb1ES3_N6thrust23THRUST_200600_302600_NS6detail15normal_iteratorINS9_10device_ptrIiEEEESE_SE_iNS9_4plusIiEE19head_flag_predicateiEE10hipError_tPvRmT2_T3_T4_T5_mT6_T7_P12ihipStream_tbENKUlT_T0_E_clISt17integral_constantIbLb0EESY_EEDaST_SU_EUlST_E_NS1_11comp_targetILNS1_3genE8ELNS1_11target_archE1030ELNS1_3gpuE2ELNS1_3repE0EEENS1_30default_config_static_selectorELNS0_4arch9wavefront6targetE0EEEvT1_.num_agpr, 0
	.set _ZN7rocprim17ROCPRIM_400000_NS6detail17trampoline_kernelINS0_14default_configENS1_27scan_by_key_config_selectorIiiEEZZNS1_16scan_by_key_implILNS1_25lookback_scan_determinismE0ELb1ES3_N6thrust23THRUST_200600_302600_NS6detail15normal_iteratorINS9_10device_ptrIiEEEESE_SE_iNS9_4plusIiEE19head_flag_predicateiEE10hipError_tPvRmT2_T3_T4_T5_mT6_T7_P12ihipStream_tbENKUlT_T0_E_clISt17integral_constantIbLb0EESY_EEDaST_SU_EUlST_E_NS1_11comp_targetILNS1_3genE8ELNS1_11target_archE1030ELNS1_3gpuE2ELNS1_3repE0EEENS1_30default_config_static_selectorELNS0_4arch9wavefront6targetE0EEEvT1_.numbered_sgpr, 30
	.set _ZN7rocprim17ROCPRIM_400000_NS6detail17trampoline_kernelINS0_14default_configENS1_27scan_by_key_config_selectorIiiEEZZNS1_16scan_by_key_implILNS1_25lookback_scan_determinismE0ELb1ES3_N6thrust23THRUST_200600_302600_NS6detail15normal_iteratorINS9_10device_ptrIiEEEESE_SE_iNS9_4plusIiEE19head_flag_predicateiEE10hipError_tPvRmT2_T3_T4_T5_mT6_T7_P12ihipStream_tbENKUlT_T0_E_clISt17integral_constantIbLb0EESY_EEDaST_SU_EUlST_E_NS1_11comp_targetILNS1_3genE8ELNS1_11target_archE1030ELNS1_3gpuE2ELNS1_3repE0EEENS1_30default_config_static_selectorELNS0_4arch9wavefront6targetE0EEEvT1_.num_named_barrier, 0
	.set _ZN7rocprim17ROCPRIM_400000_NS6detail17trampoline_kernelINS0_14default_configENS1_27scan_by_key_config_selectorIiiEEZZNS1_16scan_by_key_implILNS1_25lookback_scan_determinismE0ELb1ES3_N6thrust23THRUST_200600_302600_NS6detail15normal_iteratorINS9_10device_ptrIiEEEESE_SE_iNS9_4plusIiEE19head_flag_predicateiEE10hipError_tPvRmT2_T3_T4_T5_mT6_T7_P12ihipStream_tbENKUlT_T0_E_clISt17integral_constantIbLb0EESY_EEDaST_SU_EUlST_E_NS1_11comp_targetILNS1_3genE8ELNS1_11target_archE1030ELNS1_3gpuE2ELNS1_3repE0EEENS1_30default_config_static_selectorELNS0_4arch9wavefront6targetE0EEEvT1_.private_seg_size, 0
	.set _ZN7rocprim17ROCPRIM_400000_NS6detail17trampoline_kernelINS0_14default_configENS1_27scan_by_key_config_selectorIiiEEZZNS1_16scan_by_key_implILNS1_25lookback_scan_determinismE0ELb1ES3_N6thrust23THRUST_200600_302600_NS6detail15normal_iteratorINS9_10device_ptrIiEEEESE_SE_iNS9_4plusIiEE19head_flag_predicateiEE10hipError_tPvRmT2_T3_T4_T5_mT6_T7_P12ihipStream_tbENKUlT_T0_E_clISt17integral_constantIbLb0EESY_EEDaST_SU_EUlST_E_NS1_11comp_targetILNS1_3genE8ELNS1_11target_archE1030ELNS1_3gpuE2ELNS1_3repE0EEENS1_30default_config_static_selectorELNS0_4arch9wavefront6targetE0EEEvT1_.uses_vcc, 1
	.set _ZN7rocprim17ROCPRIM_400000_NS6detail17trampoline_kernelINS0_14default_configENS1_27scan_by_key_config_selectorIiiEEZZNS1_16scan_by_key_implILNS1_25lookback_scan_determinismE0ELb1ES3_N6thrust23THRUST_200600_302600_NS6detail15normal_iteratorINS9_10device_ptrIiEEEESE_SE_iNS9_4plusIiEE19head_flag_predicateiEE10hipError_tPvRmT2_T3_T4_T5_mT6_T7_P12ihipStream_tbENKUlT_T0_E_clISt17integral_constantIbLb0EESY_EEDaST_SU_EUlST_E_NS1_11comp_targetILNS1_3genE8ELNS1_11target_archE1030ELNS1_3gpuE2ELNS1_3repE0EEENS1_30default_config_static_selectorELNS0_4arch9wavefront6targetE0EEEvT1_.uses_flat_scratch, 1
	.set _ZN7rocprim17ROCPRIM_400000_NS6detail17trampoline_kernelINS0_14default_configENS1_27scan_by_key_config_selectorIiiEEZZNS1_16scan_by_key_implILNS1_25lookback_scan_determinismE0ELb1ES3_N6thrust23THRUST_200600_302600_NS6detail15normal_iteratorINS9_10device_ptrIiEEEESE_SE_iNS9_4plusIiEE19head_flag_predicateiEE10hipError_tPvRmT2_T3_T4_T5_mT6_T7_P12ihipStream_tbENKUlT_T0_E_clISt17integral_constantIbLb0EESY_EEDaST_SU_EUlST_E_NS1_11comp_targetILNS1_3genE8ELNS1_11target_archE1030ELNS1_3gpuE2ELNS1_3repE0EEENS1_30default_config_static_selectorELNS0_4arch9wavefront6targetE0EEEvT1_.has_dyn_sized_stack, 0
	.set _ZN7rocprim17ROCPRIM_400000_NS6detail17trampoline_kernelINS0_14default_configENS1_27scan_by_key_config_selectorIiiEEZZNS1_16scan_by_key_implILNS1_25lookback_scan_determinismE0ELb1ES3_N6thrust23THRUST_200600_302600_NS6detail15normal_iteratorINS9_10device_ptrIiEEEESE_SE_iNS9_4plusIiEE19head_flag_predicateiEE10hipError_tPvRmT2_T3_T4_T5_mT6_T7_P12ihipStream_tbENKUlT_T0_E_clISt17integral_constantIbLb0EESY_EEDaST_SU_EUlST_E_NS1_11comp_targetILNS1_3genE8ELNS1_11target_archE1030ELNS1_3gpuE2ELNS1_3repE0EEENS1_30default_config_static_selectorELNS0_4arch9wavefront6targetE0EEEvT1_.has_recursion, 0
	.set _ZN7rocprim17ROCPRIM_400000_NS6detail17trampoline_kernelINS0_14default_configENS1_27scan_by_key_config_selectorIiiEEZZNS1_16scan_by_key_implILNS1_25lookback_scan_determinismE0ELb1ES3_N6thrust23THRUST_200600_302600_NS6detail15normal_iteratorINS9_10device_ptrIiEEEESE_SE_iNS9_4plusIiEE19head_flag_predicateiEE10hipError_tPvRmT2_T3_T4_T5_mT6_T7_P12ihipStream_tbENKUlT_T0_E_clISt17integral_constantIbLb0EESY_EEDaST_SU_EUlST_E_NS1_11comp_targetILNS1_3genE8ELNS1_11target_archE1030ELNS1_3gpuE2ELNS1_3repE0EEENS1_30default_config_static_selectorELNS0_4arch9wavefront6targetE0EEEvT1_.has_indirect_call, 0
	.section	.AMDGPU.csdata,"",@progbits
; Kernel info:
; codeLenInByte = 6184
; TotalNumSgprs: 32
; NumVgprs: 42
; ScratchSize: 0
; MemoryBound: 0
; FloatMode: 240
; IeeeMode: 1
; LDSByteSize: 5120 bytes/workgroup (compile time only)
; SGPRBlocks: 0
; VGPRBlocks: 5
; NumSGPRsForWavesPerEU: 32
; NumVGPRsForWavesPerEU: 42
; Occupancy: 16
; WaveLimiterHint : 1
; COMPUTE_PGM_RSRC2:SCRATCH_EN: 0
; COMPUTE_PGM_RSRC2:USER_SGPR: 6
; COMPUTE_PGM_RSRC2:TRAP_HANDLER: 0
; COMPUTE_PGM_RSRC2:TGID_X_EN: 1
; COMPUTE_PGM_RSRC2:TGID_Y_EN: 0
; COMPUTE_PGM_RSRC2:TGID_Z_EN: 0
; COMPUTE_PGM_RSRC2:TIDIG_COMP_CNT: 0
	.section	.text._ZN7rocprim17ROCPRIM_400000_NS6detail17trampoline_kernelINS0_14default_configENS1_27scan_by_key_config_selectorIiiEEZZNS1_16scan_by_key_implILNS1_25lookback_scan_determinismE0ELb1ES3_N6thrust23THRUST_200600_302600_NS6detail15normal_iteratorINS9_10device_ptrIiEEEESE_SE_iNS9_4plusIiEE19head_flag_predicateiEE10hipError_tPvRmT2_T3_T4_T5_mT6_T7_P12ihipStream_tbENKUlT_T0_E_clISt17integral_constantIbLb1EESY_EEDaST_SU_EUlST_E_NS1_11comp_targetILNS1_3genE0ELNS1_11target_archE4294967295ELNS1_3gpuE0ELNS1_3repE0EEENS1_30default_config_static_selectorELNS0_4arch9wavefront6targetE0EEEvT1_,"axG",@progbits,_ZN7rocprim17ROCPRIM_400000_NS6detail17trampoline_kernelINS0_14default_configENS1_27scan_by_key_config_selectorIiiEEZZNS1_16scan_by_key_implILNS1_25lookback_scan_determinismE0ELb1ES3_N6thrust23THRUST_200600_302600_NS6detail15normal_iteratorINS9_10device_ptrIiEEEESE_SE_iNS9_4plusIiEE19head_flag_predicateiEE10hipError_tPvRmT2_T3_T4_T5_mT6_T7_P12ihipStream_tbENKUlT_T0_E_clISt17integral_constantIbLb1EESY_EEDaST_SU_EUlST_E_NS1_11comp_targetILNS1_3genE0ELNS1_11target_archE4294967295ELNS1_3gpuE0ELNS1_3repE0EEENS1_30default_config_static_selectorELNS0_4arch9wavefront6targetE0EEEvT1_,comdat
	.protected	_ZN7rocprim17ROCPRIM_400000_NS6detail17trampoline_kernelINS0_14default_configENS1_27scan_by_key_config_selectorIiiEEZZNS1_16scan_by_key_implILNS1_25lookback_scan_determinismE0ELb1ES3_N6thrust23THRUST_200600_302600_NS6detail15normal_iteratorINS9_10device_ptrIiEEEESE_SE_iNS9_4plusIiEE19head_flag_predicateiEE10hipError_tPvRmT2_T3_T4_T5_mT6_T7_P12ihipStream_tbENKUlT_T0_E_clISt17integral_constantIbLb1EESY_EEDaST_SU_EUlST_E_NS1_11comp_targetILNS1_3genE0ELNS1_11target_archE4294967295ELNS1_3gpuE0ELNS1_3repE0EEENS1_30default_config_static_selectorELNS0_4arch9wavefront6targetE0EEEvT1_ ; -- Begin function _ZN7rocprim17ROCPRIM_400000_NS6detail17trampoline_kernelINS0_14default_configENS1_27scan_by_key_config_selectorIiiEEZZNS1_16scan_by_key_implILNS1_25lookback_scan_determinismE0ELb1ES3_N6thrust23THRUST_200600_302600_NS6detail15normal_iteratorINS9_10device_ptrIiEEEESE_SE_iNS9_4plusIiEE19head_flag_predicateiEE10hipError_tPvRmT2_T3_T4_T5_mT6_T7_P12ihipStream_tbENKUlT_T0_E_clISt17integral_constantIbLb1EESY_EEDaST_SU_EUlST_E_NS1_11comp_targetILNS1_3genE0ELNS1_11target_archE4294967295ELNS1_3gpuE0ELNS1_3repE0EEENS1_30default_config_static_selectorELNS0_4arch9wavefront6targetE0EEEvT1_
	.globl	_ZN7rocprim17ROCPRIM_400000_NS6detail17trampoline_kernelINS0_14default_configENS1_27scan_by_key_config_selectorIiiEEZZNS1_16scan_by_key_implILNS1_25lookback_scan_determinismE0ELb1ES3_N6thrust23THRUST_200600_302600_NS6detail15normal_iteratorINS9_10device_ptrIiEEEESE_SE_iNS9_4plusIiEE19head_flag_predicateiEE10hipError_tPvRmT2_T3_T4_T5_mT6_T7_P12ihipStream_tbENKUlT_T0_E_clISt17integral_constantIbLb1EESY_EEDaST_SU_EUlST_E_NS1_11comp_targetILNS1_3genE0ELNS1_11target_archE4294967295ELNS1_3gpuE0ELNS1_3repE0EEENS1_30default_config_static_selectorELNS0_4arch9wavefront6targetE0EEEvT1_
	.p2align	8
	.type	_ZN7rocprim17ROCPRIM_400000_NS6detail17trampoline_kernelINS0_14default_configENS1_27scan_by_key_config_selectorIiiEEZZNS1_16scan_by_key_implILNS1_25lookback_scan_determinismE0ELb1ES3_N6thrust23THRUST_200600_302600_NS6detail15normal_iteratorINS9_10device_ptrIiEEEESE_SE_iNS9_4plusIiEE19head_flag_predicateiEE10hipError_tPvRmT2_T3_T4_T5_mT6_T7_P12ihipStream_tbENKUlT_T0_E_clISt17integral_constantIbLb1EESY_EEDaST_SU_EUlST_E_NS1_11comp_targetILNS1_3genE0ELNS1_11target_archE4294967295ELNS1_3gpuE0ELNS1_3repE0EEENS1_30default_config_static_selectorELNS0_4arch9wavefront6targetE0EEEvT1_,@function
_ZN7rocprim17ROCPRIM_400000_NS6detail17trampoline_kernelINS0_14default_configENS1_27scan_by_key_config_selectorIiiEEZZNS1_16scan_by_key_implILNS1_25lookback_scan_determinismE0ELb1ES3_N6thrust23THRUST_200600_302600_NS6detail15normal_iteratorINS9_10device_ptrIiEEEESE_SE_iNS9_4plusIiEE19head_flag_predicateiEE10hipError_tPvRmT2_T3_T4_T5_mT6_T7_P12ihipStream_tbENKUlT_T0_E_clISt17integral_constantIbLb1EESY_EEDaST_SU_EUlST_E_NS1_11comp_targetILNS1_3genE0ELNS1_11target_archE4294967295ELNS1_3gpuE0ELNS1_3repE0EEENS1_30default_config_static_selectorELNS0_4arch9wavefront6targetE0EEEvT1_: ; @_ZN7rocprim17ROCPRIM_400000_NS6detail17trampoline_kernelINS0_14default_configENS1_27scan_by_key_config_selectorIiiEEZZNS1_16scan_by_key_implILNS1_25lookback_scan_determinismE0ELb1ES3_N6thrust23THRUST_200600_302600_NS6detail15normal_iteratorINS9_10device_ptrIiEEEESE_SE_iNS9_4plusIiEE19head_flag_predicateiEE10hipError_tPvRmT2_T3_T4_T5_mT6_T7_P12ihipStream_tbENKUlT_T0_E_clISt17integral_constantIbLb1EESY_EEDaST_SU_EUlST_E_NS1_11comp_targetILNS1_3genE0ELNS1_11target_archE4294967295ELNS1_3gpuE0ELNS1_3repE0EEENS1_30default_config_static_selectorELNS0_4arch9wavefront6targetE0EEEvT1_
; %bb.0:
	.section	.rodata,"a",@progbits
	.p2align	6, 0x0
	.amdhsa_kernel _ZN7rocprim17ROCPRIM_400000_NS6detail17trampoline_kernelINS0_14default_configENS1_27scan_by_key_config_selectorIiiEEZZNS1_16scan_by_key_implILNS1_25lookback_scan_determinismE0ELb1ES3_N6thrust23THRUST_200600_302600_NS6detail15normal_iteratorINS9_10device_ptrIiEEEESE_SE_iNS9_4plusIiEE19head_flag_predicateiEE10hipError_tPvRmT2_T3_T4_T5_mT6_T7_P12ihipStream_tbENKUlT_T0_E_clISt17integral_constantIbLb1EESY_EEDaST_SU_EUlST_E_NS1_11comp_targetILNS1_3genE0ELNS1_11target_archE4294967295ELNS1_3gpuE0ELNS1_3repE0EEENS1_30default_config_static_selectorELNS0_4arch9wavefront6targetE0EEEvT1_
		.amdhsa_group_segment_fixed_size 0
		.amdhsa_private_segment_fixed_size 0
		.amdhsa_kernarg_size 112
		.amdhsa_user_sgpr_count 6
		.amdhsa_user_sgpr_private_segment_buffer 1
		.amdhsa_user_sgpr_dispatch_ptr 0
		.amdhsa_user_sgpr_queue_ptr 0
		.amdhsa_user_sgpr_kernarg_segment_ptr 1
		.amdhsa_user_sgpr_dispatch_id 0
		.amdhsa_user_sgpr_flat_scratch_init 0
		.amdhsa_user_sgpr_private_segment_size 0
		.amdhsa_wavefront_size32 1
		.amdhsa_uses_dynamic_stack 0
		.amdhsa_system_sgpr_private_segment_wavefront_offset 0
		.amdhsa_system_sgpr_workgroup_id_x 1
		.amdhsa_system_sgpr_workgroup_id_y 0
		.amdhsa_system_sgpr_workgroup_id_z 0
		.amdhsa_system_sgpr_workgroup_info 0
		.amdhsa_system_vgpr_workitem_id 0
		.amdhsa_next_free_vgpr 1
		.amdhsa_next_free_sgpr 1
		.amdhsa_reserve_vcc 0
		.amdhsa_reserve_flat_scratch 0
		.amdhsa_float_round_mode_32 0
		.amdhsa_float_round_mode_16_64 0
		.amdhsa_float_denorm_mode_32 3
		.amdhsa_float_denorm_mode_16_64 3
		.amdhsa_dx10_clamp 1
		.amdhsa_ieee_mode 1
		.amdhsa_fp16_overflow 0
		.amdhsa_workgroup_processor_mode 1
		.amdhsa_memory_ordered 1
		.amdhsa_forward_progress 1
		.amdhsa_shared_vgpr_count 0
		.amdhsa_exception_fp_ieee_invalid_op 0
		.amdhsa_exception_fp_denorm_src 0
		.amdhsa_exception_fp_ieee_div_zero 0
		.amdhsa_exception_fp_ieee_overflow 0
		.amdhsa_exception_fp_ieee_underflow 0
		.amdhsa_exception_fp_ieee_inexact 0
		.amdhsa_exception_int_div_zero 0
	.end_amdhsa_kernel
	.section	.text._ZN7rocprim17ROCPRIM_400000_NS6detail17trampoline_kernelINS0_14default_configENS1_27scan_by_key_config_selectorIiiEEZZNS1_16scan_by_key_implILNS1_25lookback_scan_determinismE0ELb1ES3_N6thrust23THRUST_200600_302600_NS6detail15normal_iteratorINS9_10device_ptrIiEEEESE_SE_iNS9_4plusIiEE19head_flag_predicateiEE10hipError_tPvRmT2_T3_T4_T5_mT6_T7_P12ihipStream_tbENKUlT_T0_E_clISt17integral_constantIbLb1EESY_EEDaST_SU_EUlST_E_NS1_11comp_targetILNS1_3genE0ELNS1_11target_archE4294967295ELNS1_3gpuE0ELNS1_3repE0EEENS1_30default_config_static_selectorELNS0_4arch9wavefront6targetE0EEEvT1_,"axG",@progbits,_ZN7rocprim17ROCPRIM_400000_NS6detail17trampoline_kernelINS0_14default_configENS1_27scan_by_key_config_selectorIiiEEZZNS1_16scan_by_key_implILNS1_25lookback_scan_determinismE0ELb1ES3_N6thrust23THRUST_200600_302600_NS6detail15normal_iteratorINS9_10device_ptrIiEEEESE_SE_iNS9_4plusIiEE19head_flag_predicateiEE10hipError_tPvRmT2_T3_T4_T5_mT6_T7_P12ihipStream_tbENKUlT_T0_E_clISt17integral_constantIbLb1EESY_EEDaST_SU_EUlST_E_NS1_11comp_targetILNS1_3genE0ELNS1_11target_archE4294967295ELNS1_3gpuE0ELNS1_3repE0EEENS1_30default_config_static_selectorELNS0_4arch9wavefront6targetE0EEEvT1_,comdat
.Lfunc_end794:
	.size	_ZN7rocprim17ROCPRIM_400000_NS6detail17trampoline_kernelINS0_14default_configENS1_27scan_by_key_config_selectorIiiEEZZNS1_16scan_by_key_implILNS1_25lookback_scan_determinismE0ELb1ES3_N6thrust23THRUST_200600_302600_NS6detail15normal_iteratorINS9_10device_ptrIiEEEESE_SE_iNS9_4plusIiEE19head_flag_predicateiEE10hipError_tPvRmT2_T3_T4_T5_mT6_T7_P12ihipStream_tbENKUlT_T0_E_clISt17integral_constantIbLb1EESY_EEDaST_SU_EUlST_E_NS1_11comp_targetILNS1_3genE0ELNS1_11target_archE4294967295ELNS1_3gpuE0ELNS1_3repE0EEENS1_30default_config_static_selectorELNS0_4arch9wavefront6targetE0EEEvT1_, .Lfunc_end794-_ZN7rocprim17ROCPRIM_400000_NS6detail17trampoline_kernelINS0_14default_configENS1_27scan_by_key_config_selectorIiiEEZZNS1_16scan_by_key_implILNS1_25lookback_scan_determinismE0ELb1ES3_N6thrust23THRUST_200600_302600_NS6detail15normal_iteratorINS9_10device_ptrIiEEEESE_SE_iNS9_4plusIiEE19head_flag_predicateiEE10hipError_tPvRmT2_T3_T4_T5_mT6_T7_P12ihipStream_tbENKUlT_T0_E_clISt17integral_constantIbLb1EESY_EEDaST_SU_EUlST_E_NS1_11comp_targetILNS1_3genE0ELNS1_11target_archE4294967295ELNS1_3gpuE0ELNS1_3repE0EEENS1_30default_config_static_selectorELNS0_4arch9wavefront6targetE0EEEvT1_
                                        ; -- End function
	.set _ZN7rocprim17ROCPRIM_400000_NS6detail17trampoline_kernelINS0_14default_configENS1_27scan_by_key_config_selectorIiiEEZZNS1_16scan_by_key_implILNS1_25lookback_scan_determinismE0ELb1ES3_N6thrust23THRUST_200600_302600_NS6detail15normal_iteratorINS9_10device_ptrIiEEEESE_SE_iNS9_4plusIiEE19head_flag_predicateiEE10hipError_tPvRmT2_T3_T4_T5_mT6_T7_P12ihipStream_tbENKUlT_T0_E_clISt17integral_constantIbLb1EESY_EEDaST_SU_EUlST_E_NS1_11comp_targetILNS1_3genE0ELNS1_11target_archE4294967295ELNS1_3gpuE0ELNS1_3repE0EEENS1_30default_config_static_selectorELNS0_4arch9wavefront6targetE0EEEvT1_.num_vgpr, 0
	.set _ZN7rocprim17ROCPRIM_400000_NS6detail17trampoline_kernelINS0_14default_configENS1_27scan_by_key_config_selectorIiiEEZZNS1_16scan_by_key_implILNS1_25lookback_scan_determinismE0ELb1ES3_N6thrust23THRUST_200600_302600_NS6detail15normal_iteratorINS9_10device_ptrIiEEEESE_SE_iNS9_4plusIiEE19head_flag_predicateiEE10hipError_tPvRmT2_T3_T4_T5_mT6_T7_P12ihipStream_tbENKUlT_T0_E_clISt17integral_constantIbLb1EESY_EEDaST_SU_EUlST_E_NS1_11comp_targetILNS1_3genE0ELNS1_11target_archE4294967295ELNS1_3gpuE0ELNS1_3repE0EEENS1_30default_config_static_selectorELNS0_4arch9wavefront6targetE0EEEvT1_.num_agpr, 0
	.set _ZN7rocprim17ROCPRIM_400000_NS6detail17trampoline_kernelINS0_14default_configENS1_27scan_by_key_config_selectorIiiEEZZNS1_16scan_by_key_implILNS1_25lookback_scan_determinismE0ELb1ES3_N6thrust23THRUST_200600_302600_NS6detail15normal_iteratorINS9_10device_ptrIiEEEESE_SE_iNS9_4plusIiEE19head_flag_predicateiEE10hipError_tPvRmT2_T3_T4_T5_mT6_T7_P12ihipStream_tbENKUlT_T0_E_clISt17integral_constantIbLb1EESY_EEDaST_SU_EUlST_E_NS1_11comp_targetILNS1_3genE0ELNS1_11target_archE4294967295ELNS1_3gpuE0ELNS1_3repE0EEENS1_30default_config_static_selectorELNS0_4arch9wavefront6targetE0EEEvT1_.numbered_sgpr, 0
	.set _ZN7rocprim17ROCPRIM_400000_NS6detail17trampoline_kernelINS0_14default_configENS1_27scan_by_key_config_selectorIiiEEZZNS1_16scan_by_key_implILNS1_25lookback_scan_determinismE0ELb1ES3_N6thrust23THRUST_200600_302600_NS6detail15normal_iteratorINS9_10device_ptrIiEEEESE_SE_iNS9_4plusIiEE19head_flag_predicateiEE10hipError_tPvRmT2_T3_T4_T5_mT6_T7_P12ihipStream_tbENKUlT_T0_E_clISt17integral_constantIbLb1EESY_EEDaST_SU_EUlST_E_NS1_11comp_targetILNS1_3genE0ELNS1_11target_archE4294967295ELNS1_3gpuE0ELNS1_3repE0EEENS1_30default_config_static_selectorELNS0_4arch9wavefront6targetE0EEEvT1_.num_named_barrier, 0
	.set _ZN7rocprim17ROCPRIM_400000_NS6detail17trampoline_kernelINS0_14default_configENS1_27scan_by_key_config_selectorIiiEEZZNS1_16scan_by_key_implILNS1_25lookback_scan_determinismE0ELb1ES3_N6thrust23THRUST_200600_302600_NS6detail15normal_iteratorINS9_10device_ptrIiEEEESE_SE_iNS9_4plusIiEE19head_flag_predicateiEE10hipError_tPvRmT2_T3_T4_T5_mT6_T7_P12ihipStream_tbENKUlT_T0_E_clISt17integral_constantIbLb1EESY_EEDaST_SU_EUlST_E_NS1_11comp_targetILNS1_3genE0ELNS1_11target_archE4294967295ELNS1_3gpuE0ELNS1_3repE0EEENS1_30default_config_static_selectorELNS0_4arch9wavefront6targetE0EEEvT1_.private_seg_size, 0
	.set _ZN7rocprim17ROCPRIM_400000_NS6detail17trampoline_kernelINS0_14default_configENS1_27scan_by_key_config_selectorIiiEEZZNS1_16scan_by_key_implILNS1_25lookback_scan_determinismE0ELb1ES3_N6thrust23THRUST_200600_302600_NS6detail15normal_iteratorINS9_10device_ptrIiEEEESE_SE_iNS9_4plusIiEE19head_flag_predicateiEE10hipError_tPvRmT2_T3_T4_T5_mT6_T7_P12ihipStream_tbENKUlT_T0_E_clISt17integral_constantIbLb1EESY_EEDaST_SU_EUlST_E_NS1_11comp_targetILNS1_3genE0ELNS1_11target_archE4294967295ELNS1_3gpuE0ELNS1_3repE0EEENS1_30default_config_static_selectorELNS0_4arch9wavefront6targetE0EEEvT1_.uses_vcc, 0
	.set _ZN7rocprim17ROCPRIM_400000_NS6detail17trampoline_kernelINS0_14default_configENS1_27scan_by_key_config_selectorIiiEEZZNS1_16scan_by_key_implILNS1_25lookback_scan_determinismE0ELb1ES3_N6thrust23THRUST_200600_302600_NS6detail15normal_iteratorINS9_10device_ptrIiEEEESE_SE_iNS9_4plusIiEE19head_flag_predicateiEE10hipError_tPvRmT2_T3_T4_T5_mT6_T7_P12ihipStream_tbENKUlT_T0_E_clISt17integral_constantIbLb1EESY_EEDaST_SU_EUlST_E_NS1_11comp_targetILNS1_3genE0ELNS1_11target_archE4294967295ELNS1_3gpuE0ELNS1_3repE0EEENS1_30default_config_static_selectorELNS0_4arch9wavefront6targetE0EEEvT1_.uses_flat_scratch, 0
	.set _ZN7rocprim17ROCPRIM_400000_NS6detail17trampoline_kernelINS0_14default_configENS1_27scan_by_key_config_selectorIiiEEZZNS1_16scan_by_key_implILNS1_25lookback_scan_determinismE0ELb1ES3_N6thrust23THRUST_200600_302600_NS6detail15normal_iteratorINS9_10device_ptrIiEEEESE_SE_iNS9_4plusIiEE19head_flag_predicateiEE10hipError_tPvRmT2_T3_T4_T5_mT6_T7_P12ihipStream_tbENKUlT_T0_E_clISt17integral_constantIbLb1EESY_EEDaST_SU_EUlST_E_NS1_11comp_targetILNS1_3genE0ELNS1_11target_archE4294967295ELNS1_3gpuE0ELNS1_3repE0EEENS1_30default_config_static_selectorELNS0_4arch9wavefront6targetE0EEEvT1_.has_dyn_sized_stack, 0
	.set _ZN7rocprim17ROCPRIM_400000_NS6detail17trampoline_kernelINS0_14default_configENS1_27scan_by_key_config_selectorIiiEEZZNS1_16scan_by_key_implILNS1_25lookback_scan_determinismE0ELb1ES3_N6thrust23THRUST_200600_302600_NS6detail15normal_iteratorINS9_10device_ptrIiEEEESE_SE_iNS9_4plusIiEE19head_flag_predicateiEE10hipError_tPvRmT2_T3_T4_T5_mT6_T7_P12ihipStream_tbENKUlT_T0_E_clISt17integral_constantIbLb1EESY_EEDaST_SU_EUlST_E_NS1_11comp_targetILNS1_3genE0ELNS1_11target_archE4294967295ELNS1_3gpuE0ELNS1_3repE0EEENS1_30default_config_static_selectorELNS0_4arch9wavefront6targetE0EEEvT1_.has_recursion, 0
	.set _ZN7rocprim17ROCPRIM_400000_NS6detail17trampoline_kernelINS0_14default_configENS1_27scan_by_key_config_selectorIiiEEZZNS1_16scan_by_key_implILNS1_25lookback_scan_determinismE0ELb1ES3_N6thrust23THRUST_200600_302600_NS6detail15normal_iteratorINS9_10device_ptrIiEEEESE_SE_iNS9_4plusIiEE19head_flag_predicateiEE10hipError_tPvRmT2_T3_T4_T5_mT6_T7_P12ihipStream_tbENKUlT_T0_E_clISt17integral_constantIbLb1EESY_EEDaST_SU_EUlST_E_NS1_11comp_targetILNS1_3genE0ELNS1_11target_archE4294967295ELNS1_3gpuE0ELNS1_3repE0EEENS1_30default_config_static_selectorELNS0_4arch9wavefront6targetE0EEEvT1_.has_indirect_call, 0
	.section	.AMDGPU.csdata,"",@progbits
; Kernel info:
; codeLenInByte = 0
; TotalNumSgprs: 0
; NumVgprs: 0
; ScratchSize: 0
; MemoryBound: 0
; FloatMode: 240
; IeeeMode: 1
; LDSByteSize: 0 bytes/workgroup (compile time only)
; SGPRBlocks: 0
; VGPRBlocks: 0
; NumSGPRsForWavesPerEU: 1
; NumVGPRsForWavesPerEU: 1
; Occupancy: 16
; WaveLimiterHint : 0
; COMPUTE_PGM_RSRC2:SCRATCH_EN: 0
; COMPUTE_PGM_RSRC2:USER_SGPR: 6
; COMPUTE_PGM_RSRC2:TRAP_HANDLER: 0
; COMPUTE_PGM_RSRC2:TGID_X_EN: 1
; COMPUTE_PGM_RSRC2:TGID_Y_EN: 0
; COMPUTE_PGM_RSRC2:TGID_Z_EN: 0
; COMPUTE_PGM_RSRC2:TIDIG_COMP_CNT: 0
	.section	.text._ZN7rocprim17ROCPRIM_400000_NS6detail17trampoline_kernelINS0_14default_configENS1_27scan_by_key_config_selectorIiiEEZZNS1_16scan_by_key_implILNS1_25lookback_scan_determinismE0ELb1ES3_N6thrust23THRUST_200600_302600_NS6detail15normal_iteratorINS9_10device_ptrIiEEEESE_SE_iNS9_4plusIiEE19head_flag_predicateiEE10hipError_tPvRmT2_T3_T4_T5_mT6_T7_P12ihipStream_tbENKUlT_T0_E_clISt17integral_constantIbLb1EESY_EEDaST_SU_EUlST_E_NS1_11comp_targetILNS1_3genE10ELNS1_11target_archE1201ELNS1_3gpuE5ELNS1_3repE0EEENS1_30default_config_static_selectorELNS0_4arch9wavefront6targetE0EEEvT1_,"axG",@progbits,_ZN7rocprim17ROCPRIM_400000_NS6detail17trampoline_kernelINS0_14default_configENS1_27scan_by_key_config_selectorIiiEEZZNS1_16scan_by_key_implILNS1_25lookback_scan_determinismE0ELb1ES3_N6thrust23THRUST_200600_302600_NS6detail15normal_iteratorINS9_10device_ptrIiEEEESE_SE_iNS9_4plusIiEE19head_flag_predicateiEE10hipError_tPvRmT2_T3_T4_T5_mT6_T7_P12ihipStream_tbENKUlT_T0_E_clISt17integral_constantIbLb1EESY_EEDaST_SU_EUlST_E_NS1_11comp_targetILNS1_3genE10ELNS1_11target_archE1201ELNS1_3gpuE5ELNS1_3repE0EEENS1_30default_config_static_selectorELNS0_4arch9wavefront6targetE0EEEvT1_,comdat
	.protected	_ZN7rocprim17ROCPRIM_400000_NS6detail17trampoline_kernelINS0_14default_configENS1_27scan_by_key_config_selectorIiiEEZZNS1_16scan_by_key_implILNS1_25lookback_scan_determinismE0ELb1ES3_N6thrust23THRUST_200600_302600_NS6detail15normal_iteratorINS9_10device_ptrIiEEEESE_SE_iNS9_4plusIiEE19head_flag_predicateiEE10hipError_tPvRmT2_T3_T4_T5_mT6_T7_P12ihipStream_tbENKUlT_T0_E_clISt17integral_constantIbLb1EESY_EEDaST_SU_EUlST_E_NS1_11comp_targetILNS1_3genE10ELNS1_11target_archE1201ELNS1_3gpuE5ELNS1_3repE0EEENS1_30default_config_static_selectorELNS0_4arch9wavefront6targetE0EEEvT1_ ; -- Begin function _ZN7rocprim17ROCPRIM_400000_NS6detail17trampoline_kernelINS0_14default_configENS1_27scan_by_key_config_selectorIiiEEZZNS1_16scan_by_key_implILNS1_25lookback_scan_determinismE0ELb1ES3_N6thrust23THRUST_200600_302600_NS6detail15normal_iteratorINS9_10device_ptrIiEEEESE_SE_iNS9_4plusIiEE19head_flag_predicateiEE10hipError_tPvRmT2_T3_T4_T5_mT6_T7_P12ihipStream_tbENKUlT_T0_E_clISt17integral_constantIbLb1EESY_EEDaST_SU_EUlST_E_NS1_11comp_targetILNS1_3genE10ELNS1_11target_archE1201ELNS1_3gpuE5ELNS1_3repE0EEENS1_30default_config_static_selectorELNS0_4arch9wavefront6targetE0EEEvT1_
	.globl	_ZN7rocprim17ROCPRIM_400000_NS6detail17trampoline_kernelINS0_14default_configENS1_27scan_by_key_config_selectorIiiEEZZNS1_16scan_by_key_implILNS1_25lookback_scan_determinismE0ELb1ES3_N6thrust23THRUST_200600_302600_NS6detail15normal_iteratorINS9_10device_ptrIiEEEESE_SE_iNS9_4plusIiEE19head_flag_predicateiEE10hipError_tPvRmT2_T3_T4_T5_mT6_T7_P12ihipStream_tbENKUlT_T0_E_clISt17integral_constantIbLb1EESY_EEDaST_SU_EUlST_E_NS1_11comp_targetILNS1_3genE10ELNS1_11target_archE1201ELNS1_3gpuE5ELNS1_3repE0EEENS1_30default_config_static_selectorELNS0_4arch9wavefront6targetE0EEEvT1_
	.p2align	8
	.type	_ZN7rocprim17ROCPRIM_400000_NS6detail17trampoline_kernelINS0_14default_configENS1_27scan_by_key_config_selectorIiiEEZZNS1_16scan_by_key_implILNS1_25lookback_scan_determinismE0ELb1ES3_N6thrust23THRUST_200600_302600_NS6detail15normal_iteratorINS9_10device_ptrIiEEEESE_SE_iNS9_4plusIiEE19head_flag_predicateiEE10hipError_tPvRmT2_T3_T4_T5_mT6_T7_P12ihipStream_tbENKUlT_T0_E_clISt17integral_constantIbLb1EESY_EEDaST_SU_EUlST_E_NS1_11comp_targetILNS1_3genE10ELNS1_11target_archE1201ELNS1_3gpuE5ELNS1_3repE0EEENS1_30default_config_static_selectorELNS0_4arch9wavefront6targetE0EEEvT1_,@function
_ZN7rocprim17ROCPRIM_400000_NS6detail17trampoline_kernelINS0_14default_configENS1_27scan_by_key_config_selectorIiiEEZZNS1_16scan_by_key_implILNS1_25lookback_scan_determinismE0ELb1ES3_N6thrust23THRUST_200600_302600_NS6detail15normal_iteratorINS9_10device_ptrIiEEEESE_SE_iNS9_4plusIiEE19head_flag_predicateiEE10hipError_tPvRmT2_T3_T4_T5_mT6_T7_P12ihipStream_tbENKUlT_T0_E_clISt17integral_constantIbLb1EESY_EEDaST_SU_EUlST_E_NS1_11comp_targetILNS1_3genE10ELNS1_11target_archE1201ELNS1_3gpuE5ELNS1_3repE0EEENS1_30default_config_static_selectorELNS0_4arch9wavefront6targetE0EEEvT1_: ; @_ZN7rocprim17ROCPRIM_400000_NS6detail17trampoline_kernelINS0_14default_configENS1_27scan_by_key_config_selectorIiiEEZZNS1_16scan_by_key_implILNS1_25lookback_scan_determinismE0ELb1ES3_N6thrust23THRUST_200600_302600_NS6detail15normal_iteratorINS9_10device_ptrIiEEEESE_SE_iNS9_4plusIiEE19head_flag_predicateiEE10hipError_tPvRmT2_T3_T4_T5_mT6_T7_P12ihipStream_tbENKUlT_T0_E_clISt17integral_constantIbLb1EESY_EEDaST_SU_EUlST_E_NS1_11comp_targetILNS1_3genE10ELNS1_11target_archE1201ELNS1_3gpuE5ELNS1_3repE0EEENS1_30default_config_static_selectorELNS0_4arch9wavefront6targetE0EEEvT1_
; %bb.0:
	.section	.rodata,"a",@progbits
	.p2align	6, 0x0
	.amdhsa_kernel _ZN7rocprim17ROCPRIM_400000_NS6detail17trampoline_kernelINS0_14default_configENS1_27scan_by_key_config_selectorIiiEEZZNS1_16scan_by_key_implILNS1_25lookback_scan_determinismE0ELb1ES3_N6thrust23THRUST_200600_302600_NS6detail15normal_iteratorINS9_10device_ptrIiEEEESE_SE_iNS9_4plusIiEE19head_flag_predicateiEE10hipError_tPvRmT2_T3_T4_T5_mT6_T7_P12ihipStream_tbENKUlT_T0_E_clISt17integral_constantIbLb1EESY_EEDaST_SU_EUlST_E_NS1_11comp_targetILNS1_3genE10ELNS1_11target_archE1201ELNS1_3gpuE5ELNS1_3repE0EEENS1_30default_config_static_selectorELNS0_4arch9wavefront6targetE0EEEvT1_
		.amdhsa_group_segment_fixed_size 0
		.amdhsa_private_segment_fixed_size 0
		.amdhsa_kernarg_size 112
		.amdhsa_user_sgpr_count 6
		.amdhsa_user_sgpr_private_segment_buffer 1
		.amdhsa_user_sgpr_dispatch_ptr 0
		.amdhsa_user_sgpr_queue_ptr 0
		.amdhsa_user_sgpr_kernarg_segment_ptr 1
		.amdhsa_user_sgpr_dispatch_id 0
		.amdhsa_user_sgpr_flat_scratch_init 0
		.amdhsa_user_sgpr_private_segment_size 0
		.amdhsa_wavefront_size32 1
		.amdhsa_uses_dynamic_stack 0
		.amdhsa_system_sgpr_private_segment_wavefront_offset 0
		.amdhsa_system_sgpr_workgroup_id_x 1
		.amdhsa_system_sgpr_workgroup_id_y 0
		.amdhsa_system_sgpr_workgroup_id_z 0
		.amdhsa_system_sgpr_workgroup_info 0
		.amdhsa_system_vgpr_workitem_id 0
		.amdhsa_next_free_vgpr 1
		.amdhsa_next_free_sgpr 1
		.amdhsa_reserve_vcc 0
		.amdhsa_reserve_flat_scratch 0
		.amdhsa_float_round_mode_32 0
		.amdhsa_float_round_mode_16_64 0
		.amdhsa_float_denorm_mode_32 3
		.amdhsa_float_denorm_mode_16_64 3
		.amdhsa_dx10_clamp 1
		.amdhsa_ieee_mode 1
		.amdhsa_fp16_overflow 0
		.amdhsa_workgroup_processor_mode 1
		.amdhsa_memory_ordered 1
		.amdhsa_forward_progress 1
		.amdhsa_shared_vgpr_count 0
		.amdhsa_exception_fp_ieee_invalid_op 0
		.amdhsa_exception_fp_denorm_src 0
		.amdhsa_exception_fp_ieee_div_zero 0
		.amdhsa_exception_fp_ieee_overflow 0
		.amdhsa_exception_fp_ieee_underflow 0
		.amdhsa_exception_fp_ieee_inexact 0
		.amdhsa_exception_int_div_zero 0
	.end_amdhsa_kernel
	.section	.text._ZN7rocprim17ROCPRIM_400000_NS6detail17trampoline_kernelINS0_14default_configENS1_27scan_by_key_config_selectorIiiEEZZNS1_16scan_by_key_implILNS1_25lookback_scan_determinismE0ELb1ES3_N6thrust23THRUST_200600_302600_NS6detail15normal_iteratorINS9_10device_ptrIiEEEESE_SE_iNS9_4plusIiEE19head_flag_predicateiEE10hipError_tPvRmT2_T3_T4_T5_mT6_T7_P12ihipStream_tbENKUlT_T0_E_clISt17integral_constantIbLb1EESY_EEDaST_SU_EUlST_E_NS1_11comp_targetILNS1_3genE10ELNS1_11target_archE1201ELNS1_3gpuE5ELNS1_3repE0EEENS1_30default_config_static_selectorELNS0_4arch9wavefront6targetE0EEEvT1_,"axG",@progbits,_ZN7rocprim17ROCPRIM_400000_NS6detail17trampoline_kernelINS0_14default_configENS1_27scan_by_key_config_selectorIiiEEZZNS1_16scan_by_key_implILNS1_25lookback_scan_determinismE0ELb1ES3_N6thrust23THRUST_200600_302600_NS6detail15normal_iteratorINS9_10device_ptrIiEEEESE_SE_iNS9_4plusIiEE19head_flag_predicateiEE10hipError_tPvRmT2_T3_T4_T5_mT6_T7_P12ihipStream_tbENKUlT_T0_E_clISt17integral_constantIbLb1EESY_EEDaST_SU_EUlST_E_NS1_11comp_targetILNS1_3genE10ELNS1_11target_archE1201ELNS1_3gpuE5ELNS1_3repE0EEENS1_30default_config_static_selectorELNS0_4arch9wavefront6targetE0EEEvT1_,comdat
.Lfunc_end795:
	.size	_ZN7rocprim17ROCPRIM_400000_NS6detail17trampoline_kernelINS0_14default_configENS1_27scan_by_key_config_selectorIiiEEZZNS1_16scan_by_key_implILNS1_25lookback_scan_determinismE0ELb1ES3_N6thrust23THRUST_200600_302600_NS6detail15normal_iteratorINS9_10device_ptrIiEEEESE_SE_iNS9_4plusIiEE19head_flag_predicateiEE10hipError_tPvRmT2_T3_T4_T5_mT6_T7_P12ihipStream_tbENKUlT_T0_E_clISt17integral_constantIbLb1EESY_EEDaST_SU_EUlST_E_NS1_11comp_targetILNS1_3genE10ELNS1_11target_archE1201ELNS1_3gpuE5ELNS1_3repE0EEENS1_30default_config_static_selectorELNS0_4arch9wavefront6targetE0EEEvT1_, .Lfunc_end795-_ZN7rocprim17ROCPRIM_400000_NS6detail17trampoline_kernelINS0_14default_configENS1_27scan_by_key_config_selectorIiiEEZZNS1_16scan_by_key_implILNS1_25lookback_scan_determinismE0ELb1ES3_N6thrust23THRUST_200600_302600_NS6detail15normal_iteratorINS9_10device_ptrIiEEEESE_SE_iNS9_4plusIiEE19head_flag_predicateiEE10hipError_tPvRmT2_T3_T4_T5_mT6_T7_P12ihipStream_tbENKUlT_T0_E_clISt17integral_constantIbLb1EESY_EEDaST_SU_EUlST_E_NS1_11comp_targetILNS1_3genE10ELNS1_11target_archE1201ELNS1_3gpuE5ELNS1_3repE0EEENS1_30default_config_static_selectorELNS0_4arch9wavefront6targetE0EEEvT1_
                                        ; -- End function
	.set _ZN7rocprim17ROCPRIM_400000_NS6detail17trampoline_kernelINS0_14default_configENS1_27scan_by_key_config_selectorIiiEEZZNS1_16scan_by_key_implILNS1_25lookback_scan_determinismE0ELb1ES3_N6thrust23THRUST_200600_302600_NS6detail15normal_iteratorINS9_10device_ptrIiEEEESE_SE_iNS9_4plusIiEE19head_flag_predicateiEE10hipError_tPvRmT2_T3_T4_T5_mT6_T7_P12ihipStream_tbENKUlT_T0_E_clISt17integral_constantIbLb1EESY_EEDaST_SU_EUlST_E_NS1_11comp_targetILNS1_3genE10ELNS1_11target_archE1201ELNS1_3gpuE5ELNS1_3repE0EEENS1_30default_config_static_selectorELNS0_4arch9wavefront6targetE0EEEvT1_.num_vgpr, 0
	.set _ZN7rocprim17ROCPRIM_400000_NS6detail17trampoline_kernelINS0_14default_configENS1_27scan_by_key_config_selectorIiiEEZZNS1_16scan_by_key_implILNS1_25lookback_scan_determinismE0ELb1ES3_N6thrust23THRUST_200600_302600_NS6detail15normal_iteratorINS9_10device_ptrIiEEEESE_SE_iNS9_4plusIiEE19head_flag_predicateiEE10hipError_tPvRmT2_T3_T4_T5_mT6_T7_P12ihipStream_tbENKUlT_T0_E_clISt17integral_constantIbLb1EESY_EEDaST_SU_EUlST_E_NS1_11comp_targetILNS1_3genE10ELNS1_11target_archE1201ELNS1_3gpuE5ELNS1_3repE0EEENS1_30default_config_static_selectorELNS0_4arch9wavefront6targetE0EEEvT1_.num_agpr, 0
	.set _ZN7rocprim17ROCPRIM_400000_NS6detail17trampoline_kernelINS0_14default_configENS1_27scan_by_key_config_selectorIiiEEZZNS1_16scan_by_key_implILNS1_25lookback_scan_determinismE0ELb1ES3_N6thrust23THRUST_200600_302600_NS6detail15normal_iteratorINS9_10device_ptrIiEEEESE_SE_iNS9_4plusIiEE19head_flag_predicateiEE10hipError_tPvRmT2_T3_T4_T5_mT6_T7_P12ihipStream_tbENKUlT_T0_E_clISt17integral_constantIbLb1EESY_EEDaST_SU_EUlST_E_NS1_11comp_targetILNS1_3genE10ELNS1_11target_archE1201ELNS1_3gpuE5ELNS1_3repE0EEENS1_30default_config_static_selectorELNS0_4arch9wavefront6targetE0EEEvT1_.numbered_sgpr, 0
	.set _ZN7rocprim17ROCPRIM_400000_NS6detail17trampoline_kernelINS0_14default_configENS1_27scan_by_key_config_selectorIiiEEZZNS1_16scan_by_key_implILNS1_25lookback_scan_determinismE0ELb1ES3_N6thrust23THRUST_200600_302600_NS6detail15normal_iteratorINS9_10device_ptrIiEEEESE_SE_iNS9_4plusIiEE19head_flag_predicateiEE10hipError_tPvRmT2_T3_T4_T5_mT6_T7_P12ihipStream_tbENKUlT_T0_E_clISt17integral_constantIbLb1EESY_EEDaST_SU_EUlST_E_NS1_11comp_targetILNS1_3genE10ELNS1_11target_archE1201ELNS1_3gpuE5ELNS1_3repE0EEENS1_30default_config_static_selectorELNS0_4arch9wavefront6targetE0EEEvT1_.num_named_barrier, 0
	.set _ZN7rocprim17ROCPRIM_400000_NS6detail17trampoline_kernelINS0_14default_configENS1_27scan_by_key_config_selectorIiiEEZZNS1_16scan_by_key_implILNS1_25lookback_scan_determinismE0ELb1ES3_N6thrust23THRUST_200600_302600_NS6detail15normal_iteratorINS9_10device_ptrIiEEEESE_SE_iNS9_4plusIiEE19head_flag_predicateiEE10hipError_tPvRmT2_T3_T4_T5_mT6_T7_P12ihipStream_tbENKUlT_T0_E_clISt17integral_constantIbLb1EESY_EEDaST_SU_EUlST_E_NS1_11comp_targetILNS1_3genE10ELNS1_11target_archE1201ELNS1_3gpuE5ELNS1_3repE0EEENS1_30default_config_static_selectorELNS0_4arch9wavefront6targetE0EEEvT1_.private_seg_size, 0
	.set _ZN7rocprim17ROCPRIM_400000_NS6detail17trampoline_kernelINS0_14default_configENS1_27scan_by_key_config_selectorIiiEEZZNS1_16scan_by_key_implILNS1_25lookback_scan_determinismE0ELb1ES3_N6thrust23THRUST_200600_302600_NS6detail15normal_iteratorINS9_10device_ptrIiEEEESE_SE_iNS9_4plusIiEE19head_flag_predicateiEE10hipError_tPvRmT2_T3_T4_T5_mT6_T7_P12ihipStream_tbENKUlT_T0_E_clISt17integral_constantIbLb1EESY_EEDaST_SU_EUlST_E_NS1_11comp_targetILNS1_3genE10ELNS1_11target_archE1201ELNS1_3gpuE5ELNS1_3repE0EEENS1_30default_config_static_selectorELNS0_4arch9wavefront6targetE0EEEvT1_.uses_vcc, 0
	.set _ZN7rocprim17ROCPRIM_400000_NS6detail17trampoline_kernelINS0_14default_configENS1_27scan_by_key_config_selectorIiiEEZZNS1_16scan_by_key_implILNS1_25lookback_scan_determinismE0ELb1ES3_N6thrust23THRUST_200600_302600_NS6detail15normal_iteratorINS9_10device_ptrIiEEEESE_SE_iNS9_4plusIiEE19head_flag_predicateiEE10hipError_tPvRmT2_T3_T4_T5_mT6_T7_P12ihipStream_tbENKUlT_T0_E_clISt17integral_constantIbLb1EESY_EEDaST_SU_EUlST_E_NS1_11comp_targetILNS1_3genE10ELNS1_11target_archE1201ELNS1_3gpuE5ELNS1_3repE0EEENS1_30default_config_static_selectorELNS0_4arch9wavefront6targetE0EEEvT1_.uses_flat_scratch, 0
	.set _ZN7rocprim17ROCPRIM_400000_NS6detail17trampoline_kernelINS0_14default_configENS1_27scan_by_key_config_selectorIiiEEZZNS1_16scan_by_key_implILNS1_25lookback_scan_determinismE0ELb1ES3_N6thrust23THRUST_200600_302600_NS6detail15normal_iteratorINS9_10device_ptrIiEEEESE_SE_iNS9_4plusIiEE19head_flag_predicateiEE10hipError_tPvRmT2_T3_T4_T5_mT6_T7_P12ihipStream_tbENKUlT_T0_E_clISt17integral_constantIbLb1EESY_EEDaST_SU_EUlST_E_NS1_11comp_targetILNS1_3genE10ELNS1_11target_archE1201ELNS1_3gpuE5ELNS1_3repE0EEENS1_30default_config_static_selectorELNS0_4arch9wavefront6targetE0EEEvT1_.has_dyn_sized_stack, 0
	.set _ZN7rocprim17ROCPRIM_400000_NS6detail17trampoline_kernelINS0_14default_configENS1_27scan_by_key_config_selectorIiiEEZZNS1_16scan_by_key_implILNS1_25lookback_scan_determinismE0ELb1ES3_N6thrust23THRUST_200600_302600_NS6detail15normal_iteratorINS9_10device_ptrIiEEEESE_SE_iNS9_4plusIiEE19head_flag_predicateiEE10hipError_tPvRmT2_T3_T4_T5_mT6_T7_P12ihipStream_tbENKUlT_T0_E_clISt17integral_constantIbLb1EESY_EEDaST_SU_EUlST_E_NS1_11comp_targetILNS1_3genE10ELNS1_11target_archE1201ELNS1_3gpuE5ELNS1_3repE0EEENS1_30default_config_static_selectorELNS0_4arch9wavefront6targetE0EEEvT1_.has_recursion, 0
	.set _ZN7rocprim17ROCPRIM_400000_NS6detail17trampoline_kernelINS0_14default_configENS1_27scan_by_key_config_selectorIiiEEZZNS1_16scan_by_key_implILNS1_25lookback_scan_determinismE0ELb1ES3_N6thrust23THRUST_200600_302600_NS6detail15normal_iteratorINS9_10device_ptrIiEEEESE_SE_iNS9_4plusIiEE19head_flag_predicateiEE10hipError_tPvRmT2_T3_T4_T5_mT6_T7_P12ihipStream_tbENKUlT_T0_E_clISt17integral_constantIbLb1EESY_EEDaST_SU_EUlST_E_NS1_11comp_targetILNS1_3genE10ELNS1_11target_archE1201ELNS1_3gpuE5ELNS1_3repE0EEENS1_30default_config_static_selectorELNS0_4arch9wavefront6targetE0EEEvT1_.has_indirect_call, 0
	.section	.AMDGPU.csdata,"",@progbits
; Kernel info:
; codeLenInByte = 0
; TotalNumSgprs: 0
; NumVgprs: 0
; ScratchSize: 0
; MemoryBound: 0
; FloatMode: 240
; IeeeMode: 1
; LDSByteSize: 0 bytes/workgroup (compile time only)
; SGPRBlocks: 0
; VGPRBlocks: 0
; NumSGPRsForWavesPerEU: 1
; NumVGPRsForWavesPerEU: 1
; Occupancy: 16
; WaveLimiterHint : 0
; COMPUTE_PGM_RSRC2:SCRATCH_EN: 0
; COMPUTE_PGM_RSRC2:USER_SGPR: 6
; COMPUTE_PGM_RSRC2:TRAP_HANDLER: 0
; COMPUTE_PGM_RSRC2:TGID_X_EN: 1
; COMPUTE_PGM_RSRC2:TGID_Y_EN: 0
; COMPUTE_PGM_RSRC2:TGID_Z_EN: 0
; COMPUTE_PGM_RSRC2:TIDIG_COMP_CNT: 0
	.section	.text._ZN7rocprim17ROCPRIM_400000_NS6detail17trampoline_kernelINS0_14default_configENS1_27scan_by_key_config_selectorIiiEEZZNS1_16scan_by_key_implILNS1_25lookback_scan_determinismE0ELb1ES3_N6thrust23THRUST_200600_302600_NS6detail15normal_iteratorINS9_10device_ptrIiEEEESE_SE_iNS9_4plusIiEE19head_flag_predicateiEE10hipError_tPvRmT2_T3_T4_T5_mT6_T7_P12ihipStream_tbENKUlT_T0_E_clISt17integral_constantIbLb1EESY_EEDaST_SU_EUlST_E_NS1_11comp_targetILNS1_3genE5ELNS1_11target_archE942ELNS1_3gpuE9ELNS1_3repE0EEENS1_30default_config_static_selectorELNS0_4arch9wavefront6targetE0EEEvT1_,"axG",@progbits,_ZN7rocprim17ROCPRIM_400000_NS6detail17trampoline_kernelINS0_14default_configENS1_27scan_by_key_config_selectorIiiEEZZNS1_16scan_by_key_implILNS1_25lookback_scan_determinismE0ELb1ES3_N6thrust23THRUST_200600_302600_NS6detail15normal_iteratorINS9_10device_ptrIiEEEESE_SE_iNS9_4plusIiEE19head_flag_predicateiEE10hipError_tPvRmT2_T3_T4_T5_mT6_T7_P12ihipStream_tbENKUlT_T0_E_clISt17integral_constantIbLb1EESY_EEDaST_SU_EUlST_E_NS1_11comp_targetILNS1_3genE5ELNS1_11target_archE942ELNS1_3gpuE9ELNS1_3repE0EEENS1_30default_config_static_selectorELNS0_4arch9wavefront6targetE0EEEvT1_,comdat
	.protected	_ZN7rocprim17ROCPRIM_400000_NS6detail17trampoline_kernelINS0_14default_configENS1_27scan_by_key_config_selectorIiiEEZZNS1_16scan_by_key_implILNS1_25lookback_scan_determinismE0ELb1ES3_N6thrust23THRUST_200600_302600_NS6detail15normal_iteratorINS9_10device_ptrIiEEEESE_SE_iNS9_4plusIiEE19head_flag_predicateiEE10hipError_tPvRmT2_T3_T4_T5_mT6_T7_P12ihipStream_tbENKUlT_T0_E_clISt17integral_constantIbLb1EESY_EEDaST_SU_EUlST_E_NS1_11comp_targetILNS1_3genE5ELNS1_11target_archE942ELNS1_3gpuE9ELNS1_3repE0EEENS1_30default_config_static_selectorELNS0_4arch9wavefront6targetE0EEEvT1_ ; -- Begin function _ZN7rocprim17ROCPRIM_400000_NS6detail17trampoline_kernelINS0_14default_configENS1_27scan_by_key_config_selectorIiiEEZZNS1_16scan_by_key_implILNS1_25lookback_scan_determinismE0ELb1ES3_N6thrust23THRUST_200600_302600_NS6detail15normal_iteratorINS9_10device_ptrIiEEEESE_SE_iNS9_4plusIiEE19head_flag_predicateiEE10hipError_tPvRmT2_T3_T4_T5_mT6_T7_P12ihipStream_tbENKUlT_T0_E_clISt17integral_constantIbLb1EESY_EEDaST_SU_EUlST_E_NS1_11comp_targetILNS1_3genE5ELNS1_11target_archE942ELNS1_3gpuE9ELNS1_3repE0EEENS1_30default_config_static_selectorELNS0_4arch9wavefront6targetE0EEEvT1_
	.globl	_ZN7rocprim17ROCPRIM_400000_NS6detail17trampoline_kernelINS0_14default_configENS1_27scan_by_key_config_selectorIiiEEZZNS1_16scan_by_key_implILNS1_25lookback_scan_determinismE0ELb1ES3_N6thrust23THRUST_200600_302600_NS6detail15normal_iteratorINS9_10device_ptrIiEEEESE_SE_iNS9_4plusIiEE19head_flag_predicateiEE10hipError_tPvRmT2_T3_T4_T5_mT6_T7_P12ihipStream_tbENKUlT_T0_E_clISt17integral_constantIbLb1EESY_EEDaST_SU_EUlST_E_NS1_11comp_targetILNS1_3genE5ELNS1_11target_archE942ELNS1_3gpuE9ELNS1_3repE0EEENS1_30default_config_static_selectorELNS0_4arch9wavefront6targetE0EEEvT1_
	.p2align	8
	.type	_ZN7rocprim17ROCPRIM_400000_NS6detail17trampoline_kernelINS0_14default_configENS1_27scan_by_key_config_selectorIiiEEZZNS1_16scan_by_key_implILNS1_25lookback_scan_determinismE0ELb1ES3_N6thrust23THRUST_200600_302600_NS6detail15normal_iteratorINS9_10device_ptrIiEEEESE_SE_iNS9_4plusIiEE19head_flag_predicateiEE10hipError_tPvRmT2_T3_T4_T5_mT6_T7_P12ihipStream_tbENKUlT_T0_E_clISt17integral_constantIbLb1EESY_EEDaST_SU_EUlST_E_NS1_11comp_targetILNS1_3genE5ELNS1_11target_archE942ELNS1_3gpuE9ELNS1_3repE0EEENS1_30default_config_static_selectorELNS0_4arch9wavefront6targetE0EEEvT1_,@function
_ZN7rocprim17ROCPRIM_400000_NS6detail17trampoline_kernelINS0_14default_configENS1_27scan_by_key_config_selectorIiiEEZZNS1_16scan_by_key_implILNS1_25lookback_scan_determinismE0ELb1ES3_N6thrust23THRUST_200600_302600_NS6detail15normal_iteratorINS9_10device_ptrIiEEEESE_SE_iNS9_4plusIiEE19head_flag_predicateiEE10hipError_tPvRmT2_T3_T4_T5_mT6_T7_P12ihipStream_tbENKUlT_T0_E_clISt17integral_constantIbLb1EESY_EEDaST_SU_EUlST_E_NS1_11comp_targetILNS1_3genE5ELNS1_11target_archE942ELNS1_3gpuE9ELNS1_3repE0EEENS1_30default_config_static_selectorELNS0_4arch9wavefront6targetE0EEEvT1_: ; @_ZN7rocprim17ROCPRIM_400000_NS6detail17trampoline_kernelINS0_14default_configENS1_27scan_by_key_config_selectorIiiEEZZNS1_16scan_by_key_implILNS1_25lookback_scan_determinismE0ELb1ES3_N6thrust23THRUST_200600_302600_NS6detail15normal_iteratorINS9_10device_ptrIiEEEESE_SE_iNS9_4plusIiEE19head_flag_predicateiEE10hipError_tPvRmT2_T3_T4_T5_mT6_T7_P12ihipStream_tbENKUlT_T0_E_clISt17integral_constantIbLb1EESY_EEDaST_SU_EUlST_E_NS1_11comp_targetILNS1_3genE5ELNS1_11target_archE942ELNS1_3gpuE9ELNS1_3repE0EEENS1_30default_config_static_selectorELNS0_4arch9wavefront6targetE0EEEvT1_
; %bb.0:
	.section	.rodata,"a",@progbits
	.p2align	6, 0x0
	.amdhsa_kernel _ZN7rocprim17ROCPRIM_400000_NS6detail17trampoline_kernelINS0_14default_configENS1_27scan_by_key_config_selectorIiiEEZZNS1_16scan_by_key_implILNS1_25lookback_scan_determinismE0ELb1ES3_N6thrust23THRUST_200600_302600_NS6detail15normal_iteratorINS9_10device_ptrIiEEEESE_SE_iNS9_4plusIiEE19head_flag_predicateiEE10hipError_tPvRmT2_T3_T4_T5_mT6_T7_P12ihipStream_tbENKUlT_T0_E_clISt17integral_constantIbLb1EESY_EEDaST_SU_EUlST_E_NS1_11comp_targetILNS1_3genE5ELNS1_11target_archE942ELNS1_3gpuE9ELNS1_3repE0EEENS1_30default_config_static_selectorELNS0_4arch9wavefront6targetE0EEEvT1_
		.amdhsa_group_segment_fixed_size 0
		.amdhsa_private_segment_fixed_size 0
		.amdhsa_kernarg_size 112
		.amdhsa_user_sgpr_count 6
		.amdhsa_user_sgpr_private_segment_buffer 1
		.amdhsa_user_sgpr_dispatch_ptr 0
		.amdhsa_user_sgpr_queue_ptr 0
		.amdhsa_user_sgpr_kernarg_segment_ptr 1
		.amdhsa_user_sgpr_dispatch_id 0
		.amdhsa_user_sgpr_flat_scratch_init 0
		.amdhsa_user_sgpr_private_segment_size 0
		.amdhsa_wavefront_size32 1
		.amdhsa_uses_dynamic_stack 0
		.amdhsa_system_sgpr_private_segment_wavefront_offset 0
		.amdhsa_system_sgpr_workgroup_id_x 1
		.amdhsa_system_sgpr_workgroup_id_y 0
		.amdhsa_system_sgpr_workgroup_id_z 0
		.amdhsa_system_sgpr_workgroup_info 0
		.amdhsa_system_vgpr_workitem_id 0
		.amdhsa_next_free_vgpr 1
		.amdhsa_next_free_sgpr 1
		.amdhsa_reserve_vcc 0
		.amdhsa_reserve_flat_scratch 0
		.amdhsa_float_round_mode_32 0
		.amdhsa_float_round_mode_16_64 0
		.amdhsa_float_denorm_mode_32 3
		.amdhsa_float_denorm_mode_16_64 3
		.amdhsa_dx10_clamp 1
		.amdhsa_ieee_mode 1
		.amdhsa_fp16_overflow 0
		.amdhsa_workgroup_processor_mode 1
		.amdhsa_memory_ordered 1
		.amdhsa_forward_progress 1
		.amdhsa_shared_vgpr_count 0
		.amdhsa_exception_fp_ieee_invalid_op 0
		.amdhsa_exception_fp_denorm_src 0
		.amdhsa_exception_fp_ieee_div_zero 0
		.amdhsa_exception_fp_ieee_overflow 0
		.amdhsa_exception_fp_ieee_underflow 0
		.amdhsa_exception_fp_ieee_inexact 0
		.amdhsa_exception_int_div_zero 0
	.end_amdhsa_kernel
	.section	.text._ZN7rocprim17ROCPRIM_400000_NS6detail17trampoline_kernelINS0_14default_configENS1_27scan_by_key_config_selectorIiiEEZZNS1_16scan_by_key_implILNS1_25lookback_scan_determinismE0ELb1ES3_N6thrust23THRUST_200600_302600_NS6detail15normal_iteratorINS9_10device_ptrIiEEEESE_SE_iNS9_4plusIiEE19head_flag_predicateiEE10hipError_tPvRmT2_T3_T4_T5_mT6_T7_P12ihipStream_tbENKUlT_T0_E_clISt17integral_constantIbLb1EESY_EEDaST_SU_EUlST_E_NS1_11comp_targetILNS1_3genE5ELNS1_11target_archE942ELNS1_3gpuE9ELNS1_3repE0EEENS1_30default_config_static_selectorELNS0_4arch9wavefront6targetE0EEEvT1_,"axG",@progbits,_ZN7rocprim17ROCPRIM_400000_NS6detail17trampoline_kernelINS0_14default_configENS1_27scan_by_key_config_selectorIiiEEZZNS1_16scan_by_key_implILNS1_25lookback_scan_determinismE0ELb1ES3_N6thrust23THRUST_200600_302600_NS6detail15normal_iteratorINS9_10device_ptrIiEEEESE_SE_iNS9_4plusIiEE19head_flag_predicateiEE10hipError_tPvRmT2_T3_T4_T5_mT6_T7_P12ihipStream_tbENKUlT_T0_E_clISt17integral_constantIbLb1EESY_EEDaST_SU_EUlST_E_NS1_11comp_targetILNS1_3genE5ELNS1_11target_archE942ELNS1_3gpuE9ELNS1_3repE0EEENS1_30default_config_static_selectorELNS0_4arch9wavefront6targetE0EEEvT1_,comdat
.Lfunc_end796:
	.size	_ZN7rocprim17ROCPRIM_400000_NS6detail17trampoline_kernelINS0_14default_configENS1_27scan_by_key_config_selectorIiiEEZZNS1_16scan_by_key_implILNS1_25lookback_scan_determinismE0ELb1ES3_N6thrust23THRUST_200600_302600_NS6detail15normal_iteratorINS9_10device_ptrIiEEEESE_SE_iNS9_4plusIiEE19head_flag_predicateiEE10hipError_tPvRmT2_T3_T4_T5_mT6_T7_P12ihipStream_tbENKUlT_T0_E_clISt17integral_constantIbLb1EESY_EEDaST_SU_EUlST_E_NS1_11comp_targetILNS1_3genE5ELNS1_11target_archE942ELNS1_3gpuE9ELNS1_3repE0EEENS1_30default_config_static_selectorELNS0_4arch9wavefront6targetE0EEEvT1_, .Lfunc_end796-_ZN7rocprim17ROCPRIM_400000_NS6detail17trampoline_kernelINS0_14default_configENS1_27scan_by_key_config_selectorIiiEEZZNS1_16scan_by_key_implILNS1_25lookback_scan_determinismE0ELb1ES3_N6thrust23THRUST_200600_302600_NS6detail15normal_iteratorINS9_10device_ptrIiEEEESE_SE_iNS9_4plusIiEE19head_flag_predicateiEE10hipError_tPvRmT2_T3_T4_T5_mT6_T7_P12ihipStream_tbENKUlT_T0_E_clISt17integral_constantIbLb1EESY_EEDaST_SU_EUlST_E_NS1_11comp_targetILNS1_3genE5ELNS1_11target_archE942ELNS1_3gpuE9ELNS1_3repE0EEENS1_30default_config_static_selectorELNS0_4arch9wavefront6targetE0EEEvT1_
                                        ; -- End function
	.set _ZN7rocprim17ROCPRIM_400000_NS6detail17trampoline_kernelINS0_14default_configENS1_27scan_by_key_config_selectorIiiEEZZNS1_16scan_by_key_implILNS1_25lookback_scan_determinismE0ELb1ES3_N6thrust23THRUST_200600_302600_NS6detail15normal_iteratorINS9_10device_ptrIiEEEESE_SE_iNS9_4plusIiEE19head_flag_predicateiEE10hipError_tPvRmT2_T3_T4_T5_mT6_T7_P12ihipStream_tbENKUlT_T0_E_clISt17integral_constantIbLb1EESY_EEDaST_SU_EUlST_E_NS1_11comp_targetILNS1_3genE5ELNS1_11target_archE942ELNS1_3gpuE9ELNS1_3repE0EEENS1_30default_config_static_selectorELNS0_4arch9wavefront6targetE0EEEvT1_.num_vgpr, 0
	.set _ZN7rocprim17ROCPRIM_400000_NS6detail17trampoline_kernelINS0_14default_configENS1_27scan_by_key_config_selectorIiiEEZZNS1_16scan_by_key_implILNS1_25lookback_scan_determinismE0ELb1ES3_N6thrust23THRUST_200600_302600_NS6detail15normal_iteratorINS9_10device_ptrIiEEEESE_SE_iNS9_4plusIiEE19head_flag_predicateiEE10hipError_tPvRmT2_T3_T4_T5_mT6_T7_P12ihipStream_tbENKUlT_T0_E_clISt17integral_constantIbLb1EESY_EEDaST_SU_EUlST_E_NS1_11comp_targetILNS1_3genE5ELNS1_11target_archE942ELNS1_3gpuE9ELNS1_3repE0EEENS1_30default_config_static_selectorELNS0_4arch9wavefront6targetE0EEEvT1_.num_agpr, 0
	.set _ZN7rocprim17ROCPRIM_400000_NS6detail17trampoline_kernelINS0_14default_configENS1_27scan_by_key_config_selectorIiiEEZZNS1_16scan_by_key_implILNS1_25lookback_scan_determinismE0ELb1ES3_N6thrust23THRUST_200600_302600_NS6detail15normal_iteratorINS9_10device_ptrIiEEEESE_SE_iNS9_4plusIiEE19head_flag_predicateiEE10hipError_tPvRmT2_T3_T4_T5_mT6_T7_P12ihipStream_tbENKUlT_T0_E_clISt17integral_constantIbLb1EESY_EEDaST_SU_EUlST_E_NS1_11comp_targetILNS1_3genE5ELNS1_11target_archE942ELNS1_3gpuE9ELNS1_3repE0EEENS1_30default_config_static_selectorELNS0_4arch9wavefront6targetE0EEEvT1_.numbered_sgpr, 0
	.set _ZN7rocprim17ROCPRIM_400000_NS6detail17trampoline_kernelINS0_14default_configENS1_27scan_by_key_config_selectorIiiEEZZNS1_16scan_by_key_implILNS1_25lookback_scan_determinismE0ELb1ES3_N6thrust23THRUST_200600_302600_NS6detail15normal_iteratorINS9_10device_ptrIiEEEESE_SE_iNS9_4plusIiEE19head_flag_predicateiEE10hipError_tPvRmT2_T3_T4_T5_mT6_T7_P12ihipStream_tbENKUlT_T0_E_clISt17integral_constantIbLb1EESY_EEDaST_SU_EUlST_E_NS1_11comp_targetILNS1_3genE5ELNS1_11target_archE942ELNS1_3gpuE9ELNS1_3repE0EEENS1_30default_config_static_selectorELNS0_4arch9wavefront6targetE0EEEvT1_.num_named_barrier, 0
	.set _ZN7rocprim17ROCPRIM_400000_NS6detail17trampoline_kernelINS0_14default_configENS1_27scan_by_key_config_selectorIiiEEZZNS1_16scan_by_key_implILNS1_25lookback_scan_determinismE0ELb1ES3_N6thrust23THRUST_200600_302600_NS6detail15normal_iteratorINS9_10device_ptrIiEEEESE_SE_iNS9_4plusIiEE19head_flag_predicateiEE10hipError_tPvRmT2_T3_T4_T5_mT6_T7_P12ihipStream_tbENKUlT_T0_E_clISt17integral_constantIbLb1EESY_EEDaST_SU_EUlST_E_NS1_11comp_targetILNS1_3genE5ELNS1_11target_archE942ELNS1_3gpuE9ELNS1_3repE0EEENS1_30default_config_static_selectorELNS0_4arch9wavefront6targetE0EEEvT1_.private_seg_size, 0
	.set _ZN7rocprim17ROCPRIM_400000_NS6detail17trampoline_kernelINS0_14default_configENS1_27scan_by_key_config_selectorIiiEEZZNS1_16scan_by_key_implILNS1_25lookback_scan_determinismE0ELb1ES3_N6thrust23THRUST_200600_302600_NS6detail15normal_iteratorINS9_10device_ptrIiEEEESE_SE_iNS9_4plusIiEE19head_flag_predicateiEE10hipError_tPvRmT2_T3_T4_T5_mT6_T7_P12ihipStream_tbENKUlT_T0_E_clISt17integral_constantIbLb1EESY_EEDaST_SU_EUlST_E_NS1_11comp_targetILNS1_3genE5ELNS1_11target_archE942ELNS1_3gpuE9ELNS1_3repE0EEENS1_30default_config_static_selectorELNS0_4arch9wavefront6targetE0EEEvT1_.uses_vcc, 0
	.set _ZN7rocprim17ROCPRIM_400000_NS6detail17trampoline_kernelINS0_14default_configENS1_27scan_by_key_config_selectorIiiEEZZNS1_16scan_by_key_implILNS1_25lookback_scan_determinismE0ELb1ES3_N6thrust23THRUST_200600_302600_NS6detail15normal_iteratorINS9_10device_ptrIiEEEESE_SE_iNS9_4plusIiEE19head_flag_predicateiEE10hipError_tPvRmT2_T3_T4_T5_mT6_T7_P12ihipStream_tbENKUlT_T0_E_clISt17integral_constantIbLb1EESY_EEDaST_SU_EUlST_E_NS1_11comp_targetILNS1_3genE5ELNS1_11target_archE942ELNS1_3gpuE9ELNS1_3repE0EEENS1_30default_config_static_selectorELNS0_4arch9wavefront6targetE0EEEvT1_.uses_flat_scratch, 0
	.set _ZN7rocprim17ROCPRIM_400000_NS6detail17trampoline_kernelINS0_14default_configENS1_27scan_by_key_config_selectorIiiEEZZNS1_16scan_by_key_implILNS1_25lookback_scan_determinismE0ELb1ES3_N6thrust23THRUST_200600_302600_NS6detail15normal_iteratorINS9_10device_ptrIiEEEESE_SE_iNS9_4plusIiEE19head_flag_predicateiEE10hipError_tPvRmT2_T3_T4_T5_mT6_T7_P12ihipStream_tbENKUlT_T0_E_clISt17integral_constantIbLb1EESY_EEDaST_SU_EUlST_E_NS1_11comp_targetILNS1_3genE5ELNS1_11target_archE942ELNS1_3gpuE9ELNS1_3repE0EEENS1_30default_config_static_selectorELNS0_4arch9wavefront6targetE0EEEvT1_.has_dyn_sized_stack, 0
	.set _ZN7rocprim17ROCPRIM_400000_NS6detail17trampoline_kernelINS0_14default_configENS1_27scan_by_key_config_selectorIiiEEZZNS1_16scan_by_key_implILNS1_25lookback_scan_determinismE0ELb1ES3_N6thrust23THRUST_200600_302600_NS6detail15normal_iteratorINS9_10device_ptrIiEEEESE_SE_iNS9_4plusIiEE19head_flag_predicateiEE10hipError_tPvRmT2_T3_T4_T5_mT6_T7_P12ihipStream_tbENKUlT_T0_E_clISt17integral_constantIbLb1EESY_EEDaST_SU_EUlST_E_NS1_11comp_targetILNS1_3genE5ELNS1_11target_archE942ELNS1_3gpuE9ELNS1_3repE0EEENS1_30default_config_static_selectorELNS0_4arch9wavefront6targetE0EEEvT1_.has_recursion, 0
	.set _ZN7rocprim17ROCPRIM_400000_NS6detail17trampoline_kernelINS0_14default_configENS1_27scan_by_key_config_selectorIiiEEZZNS1_16scan_by_key_implILNS1_25lookback_scan_determinismE0ELb1ES3_N6thrust23THRUST_200600_302600_NS6detail15normal_iteratorINS9_10device_ptrIiEEEESE_SE_iNS9_4plusIiEE19head_flag_predicateiEE10hipError_tPvRmT2_T3_T4_T5_mT6_T7_P12ihipStream_tbENKUlT_T0_E_clISt17integral_constantIbLb1EESY_EEDaST_SU_EUlST_E_NS1_11comp_targetILNS1_3genE5ELNS1_11target_archE942ELNS1_3gpuE9ELNS1_3repE0EEENS1_30default_config_static_selectorELNS0_4arch9wavefront6targetE0EEEvT1_.has_indirect_call, 0
	.section	.AMDGPU.csdata,"",@progbits
; Kernel info:
; codeLenInByte = 0
; TotalNumSgprs: 0
; NumVgprs: 0
; ScratchSize: 0
; MemoryBound: 0
; FloatMode: 240
; IeeeMode: 1
; LDSByteSize: 0 bytes/workgroup (compile time only)
; SGPRBlocks: 0
; VGPRBlocks: 0
; NumSGPRsForWavesPerEU: 1
; NumVGPRsForWavesPerEU: 1
; Occupancy: 16
; WaveLimiterHint : 0
; COMPUTE_PGM_RSRC2:SCRATCH_EN: 0
; COMPUTE_PGM_RSRC2:USER_SGPR: 6
; COMPUTE_PGM_RSRC2:TRAP_HANDLER: 0
; COMPUTE_PGM_RSRC2:TGID_X_EN: 1
; COMPUTE_PGM_RSRC2:TGID_Y_EN: 0
; COMPUTE_PGM_RSRC2:TGID_Z_EN: 0
; COMPUTE_PGM_RSRC2:TIDIG_COMP_CNT: 0
	.section	.text._ZN7rocprim17ROCPRIM_400000_NS6detail17trampoline_kernelINS0_14default_configENS1_27scan_by_key_config_selectorIiiEEZZNS1_16scan_by_key_implILNS1_25lookback_scan_determinismE0ELb1ES3_N6thrust23THRUST_200600_302600_NS6detail15normal_iteratorINS9_10device_ptrIiEEEESE_SE_iNS9_4plusIiEE19head_flag_predicateiEE10hipError_tPvRmT2_T3_T4_T5_mT6_T7_P12ihipStream_tbENKUlT_T0_E_clISt17integral_constantIbLb1EESY_EEDaST_SU_EUlST_E_NS1_11comp_targetILNS1_3genE4ELNS1_11target_archE910ELNS1_3gpuE8ELNS1_3repE0EEENS1_30default_config_static_selectorELNS0_4arch9wavefront6targetE0EEEvT1_,"axG",@progbits,_ZN7rocprim17ROCPRIM_400000_NS6detail17trampoline_kernelINS0_14default_configENS1_27scan_by_key_config_selectorIiiEEZZNS1_16scan_by_key_implILNS1_25lookback_scan_determinismE0ELb1ES3_N6thrust23THRUST_200600_302600_NS6detail15normal_iteratorINS9_10device_ptrIiEEEESE_SE_iNS9_4plusIiEE19head_flag_predicateiEE10hipError_tPvRmT2_T3_T4_T5_mT6_T7_P12ihipStream_tbENKUlT_T0_E_clISt17integral_constantIbLb1EESY_EEDaST_SU_EUlST_E_NS1_11comp_targetILNS1_3genE4ELNS1_11target_archE910ELNS1_3gpuE8ELNS1_3repE0EEENS1_30default_config_static_selectorELNS0_4arch9wavefront6targetE0EEEvT1_,comdat
	.protected	_ZN7rocprim17ROCPRIM_400000_NS6detail17trampoline_kernelINS0_14default_configENS1_27scan_by_key_config_selectorIiiEEZZNS1_16scan_by_key_implILNS1_25lookback_scan_determinismE0ELb1ES3_N6thrust23THRUST_200600_302600_NS6detail15normal_iteratorINS9_10device_ptrIiEEEESE_SE_iNS9_4plusIiEE19head_flag_predicateiEE10hipError_tPvRmT2_T3_T4_T5_mT6_T7_P12ihipStream_tbENKUlT_T0_E_clISt17integral_constantIbLb1EESY_EEDaST_SU_EUlST_E_NS1_11comp_targetILNS1_3genE4ELNS1_11target_archE910ELNS1_3gpuE8ELNS1_3repE0EEENS1_30default_config_static_selectorELNS0_4arch9wavefront6targetE0EEEvT1_ ; -- Begin function _ZN7rocprim17ROCPRIM_400000_NS6detail17trampoline_kernelINS0_14default_configENS1_27scan_by_key_config_selectorIiiEEZZNS1_16scan_by_key_implILNS1_25lookback_scan_determinismE0ELb1ES3_N6thrust23THRUST_200600_302600_NS6detail15normal_iteratorINS9_10device_ptrIiEEEESE_SE_iNS9_4plusIiEE19head_flag_predicateiEE10hipError_tPvRmT2_T3_T4_T5_mT6_T7_P12ihipStream_tbENKUlT_T0_E_clISt17integral_constantIbLb1EESY_EEDaST_SU_EUlST_E_NS1_11comp_targetILNS1_3genE4ELNS1_11target_archE910ELNS1_3gpuE8ELNS1_3repE0EEENS1_30default_config_static_selectorELNS0_4arch9wavefront6targetE0EEEvT1_
	.globl	_ZN7rocprim17ROCPRIM_400000_NS6detail17trampoline_kernelINS0_14default_configENS1_27scan_by_key_config_selectorIiiEEZZNS1_16scan_by_key_implILNS1_25lookback_scan_determinismE0ELb1ES3_N6thrust23THRUST_200600_302600_NS6detail15normal_iteratorINS9_10device_ptrIiEEEESE_SE_iNS9_4plusIiEE19head_flag_predicateiEE10hipError_tPvRmT2_T3_T4_T5_mT6_T7_P12ihipStream_tbENKUlT_T0_E_clISt17integral_constantIbLb1EESY_EEDaST_SU_EUlST_E_NS1_11comp_targetILNS1_3genE4ELNS1_11target_archE910ELNS1_3gpuE8ELNS1_3repE0EEENS1_30default_config_static_selectorELNS0_4arch9wavefront6targetE0EEEvT1_
	.p2align	8
	.type	_ZN7rocprim17ROCPRIM_400000_NS6detail17trampoline_kernelINS0_14default_configENS1_27scan_by_key_config_selectorIiiEEZZNS1_16scan_by_key_implILNS1_25lookback_scan_determinismE0ELb1ES3_N6thrust23THRUST_200600_302600_NS6detail15normal_iteratorINS9_10device_ptrIiEEEESE_SE_iNS9_4plusIiEE19head_flag_predicateiEE10hipError_tPvRmT2_T3_T4_T5_mT6_T7_P12ihipStream_tbENKUlT_T0_E_clISt17integral_constantIbLb1EESY_EEDaST_SU_EUlST_E_NS1_11comp_targetILNS1_3genE4ELNS1_11target_archE910ELNS1_3gpuE8ELNS1_3repE0EEENS1_30default_config_static_selectorELNS0_4arch9wavefront6targetE0EEEvT1_,@function
_ZN7rocprim17ROCPRIM_400000_NS6detail17trampoline_kernelINS0_14default_configENS1_27scan_by_key_config_selectorIiiEEZZNS1_16scan_by_key_implILNS1_25lookback_scan_determinismE0ELb1ES3_N6thrust23THRUST_200600_302600_NS6detail15normal_iteratorINS9_10device_ptrIiEEEESE_SE_iNS9_4plusIiEE19head_flag_predicateiEE10hipError_tPvRmT2_T3_T4_T5_mT6_T7_P12ihipStream_tbENKUlT_T0_E_clISt17integral_constantIbLb1EESY_EEDaST_SU_EUlST_E_NS1_11comp_targetILNS1_3genE4ELNS1_11target_archE910ELNS1_3gpuE8ELNS1_3repE0EEENS1_30default_config_static_selectorELNS0_4arch9wavefront6targetE0EEEvT1_: ; @_ZN7rocprim17ROCPRIM_400000_NS6detail17trampoline_kernelINS0_14default_configENS1_27scan_by_key_config_selectorIiiEEZZNS1_16scan_by_key_implILNS1_25lookback_scan_determinismE0ELb1ES3_N6thrust23THRUST_200600_302600_NS6detail15normal_iteratorINS9_10device_ptrIiEEEESE_SE_iNS9_4plusIiEE19head_flag_predicateiEE10hipError_tPvRmT2_T3_T4_T5_mT6_T7_P12ihipStream_tbENKUlT_T0_E_clISt17integral_constantIbLb1EESY_EEDaST_SU_EUlST_E_NS1_11comp_targetILNS1_3genE4ELNS1_11target_archE910ELNS1_3gpuE8ELNS1_3repE0EEENS1_30default_config_static_selectorELNS0_4arch9wavefront6targetE0EEEvT1_
; %bb.0:
	.section	.rodata,"a",@progbits
	.p2align	6, 0x0
	.amdhsa_kernel _ZN7rocprim17ROCPRIM_400000_NS6detail17trampoline_kernelINS0_14default_configENS1_27scan_by_key_config_selectorIiiEEZZNS1_16scan_by_key_implILNS1_25lookback_scan_determinismE0ELb1ES3_N6thrust23THRUST_200600_302600_NS6detail15normal_iteratorINS9_10device_ptrIiEEEESE_SE_iNS9_4plusIiEE19head_flag_predicateiEE10hipError_tPvRmT2_T3_T4_T5_mT6_T7_P12ihipStream_tbENKUlT_T0_E_clISt17integral_constantIbLb1EESY_EEDaST_SU_EUlST_E_NS1_11comp_targetILNS1_3genE4ELNS1_11target_archE910ELNS1_3gpuE8ELNS1_3repE0EEENS1_30default_config_static_selectorELNS0_4arch9wavefront6targetE0EEEvT1_
		.amdhsa_group_segment_fixed_size 0
		.amdhsa_private_segment_fixed_size 0
		.amdhsa_kernarg_size 112
		.amdhsa_user_sgpr_count 6
		.amdhsa_user_sgpr_private_segment_buffer 1
		.amdhsa_user_sgpr_dispatch_ptr 0
		.amdhsa_user_sgpr_queue_ptr 0
		.amdhsa_user_sgpr_kernarg_segment_ptr 1
		.amdhsa_user_sgpr_dispatch_id 0
		.amdhsa_user_sgpr_flat_scratch_init 0
		.amdhsa_user_sgpr_private_segment_size 0
		.amdhsa_wavefront_size32 1
		.amdhsa_uses_dynamic_stack 0
		.amdhsa_system_sgpr_private_segment_wavefront_offset 0
		.amdhsa_system_sgpr_workgroup_id_x 1
		.amdhsa_system_sgpr_workgroup_id_y 0
		.amdhsa_system_sgpr_workgroup_id_z 0
		.amdhsa_system_sgpr_workgroup_info 0
		.amdhsa_system_vgpr_workitem_id 0
		.amdhsa_next_free_vgpr 1
		.amdhsa_next_free_sgpr 1
		.amdhsa_reserve_vcc 0
		.amdhsa_reserve_flat_scratch 0
		.amdhsa_float_round_mode_32 0
		.amdhsa_float_round_mode_16_64 0
		.amdhsa_float_denorm_mode_32 3
		.amdhsa_float_denorm_mode_16_64 3
		.amdhsa_dx10_clamp 1
		.amdhsa_ieee_mode 1
		.amdhsa_fp16_overflow 0
		.amdhsa_workgroup_processor_mode 1
		.amdhsa_memory_ordered 1
		.amdhsa_forward_progress 1
		.amdhsa_shared_vgpr_count 0
		.amdhsa_exception_fp_ieee_invalid_op 0
		.amdhsa_exception_fp_denorm_src 0
		.amdhsa_exception_fp_ieee_div_zero 0
		.amdhsa_exception_fp_ieee_overflow 0
		.amdhsa_exception_fp_ieee_underflow 0
		.amdhsa_exception_fp_ieee_inexact 0
		.amdhsa_exception_int_div_zero 0
	.end_amdhsa_kernel
	.section	.text._ZN7rocprim17ROCPRIM_400000_NS6detail17trampoline_kernelINS0_14default_configENS1_27scan_by_key_config_selectorIiiEEZZNS1_16scan_by_key_implILNS1_25lookback_scan_determinismE0ELb1ES3_N6thrust23THRUST_200600_302600_NS6detail15normal_iteratorINS9_10device_ptrIiEEEESE_SE_iNS9_4plusIiEE19head_flag_predicateiEE10hipError_tPvRmT2_T3_T4_T5_mT6_T7_P12ihipStream_tbENKUlT_T0_E_clISt17integral_constantIbLb1EESY_EEDaST_SU_EUlST_E_NS1_11comp_targetILNS1_3genE4ELNS1_11target_archE910ELNS1_3gpuE8ELNS1_3repE0EEENS1_30default_config_static_selectorELNS0_4arch9wavefront6targetE0EEEvT1_,"axG",@progbits,_ZN7rocprim17ROCPRIM_400000_NS6detail17trampoline_kernelINS0_14default_configENS1_27scan_by_key_config_selectorIiiEEZZNS1_16scan_by_key_implILNS1_25lookback_scan_determinismE0ELb1ES3_N6thrust23THRUST_200600_302600_NS6detail15normal_iteratorINS9_10device_ptrIiEEEESE_SE_iNS9_4plusIiEE19head_flag_predicateiEE10hipError_tPvRmT2_T3_T4_T5_mT6_T7_P12ihipStream_tbENKUlT_T0_E_clISt17integral_constantIbLb1EESY_EEDaST_SU_EUlST_E_NS1_11comp_targetILNS1_3genE4ELNS1_11target_archE910ELNS1_3gpuE8ELNS1_3repE0EEENS1_30default_config_static_selectorELNS0_4arch9wavefront6targetE0EEEvT1_,comdat
.Lfunc_end797:
	.size	_ZN7rocprim17ROCPRIM_400000_NS6detail17trampoline_kernelINS0_14default_configENS1_27scan_by_key_config_selectorIiiEEZZNS1_16scan_by_key_implILNS1_25lookback_scan_determinismE0ELb1ES3_N6thrust23THRUST_200600_302600_NS6detail15normal_iteratorINS9_10device_ptrIiEEEESE_SE_iNS9_4plusIiEE19head_flag_predicateiEE10hipError_tPvRmT2_T3_T4_T5_mT6_T7_P12ihipStream_tbENKUlT_T0_E_clISt17integral_constantIbLb1EESY_EEDaST_SU_EUlST_E_NS1_11comp_targetILNS1_3genE4ELNS1_11target_archE910ELNS1_3gpuE8ELNS1_3repE0EEENS1_30default_config_static_selectorELNS0_4arch9wavefront6targetE0EEEvT1_, .Lfunc_end797-_ZN7rocprim17ROCPRIM_400000_NS6detail17trampoline_kernelINS0_14default_configENS1_27scan_by_key_config_selectorIiiEEZZNS1_16scan_by_key_implILNS1_25lookback_scan_determinismE0ELb1ES3_N6thrust23THRUST_200600_302600_NS6detail15normal_iteratorINS9_10device_ptrIiEEEESE_SE_iNS9_4plusIiEE19head_flag_predicateiEE10hipError_tPvRmT2_T3_T4_T5_mT6_T7_P12ihipStream_tbENKUlT_T0_E_clISt17integral_constantIbLb1EESY_EEDaST_SU_EUlST_E_NS1_11comp_targetILNS1_3genE4ELNS1_11target_archE910ELNS1_3gpuE8ELNS1_3repE0EEENS1_30default_config_static_selectorELNS0_4arch9wavefront6targetE0EEEvT1_
                                        ; -- End function
	.set _ZN7rocprim17ROCPRIM_400000_NS6detail17trampoline_kernelINS0_14default_configENS1_27scan_by_key_config_selectorIiiEEZZNS1_16scan_by_key_implILNS1_25lookback_scan_determinismE0ELb1ES3_N6thrust23THRUST_200600_302600_NS6detail15normal_iteratorINS9_10device_ptrIiEEEESE_SE_iNS9_4plusIiEE19head_flag_predicateiEE10hipError_tPvRmT2_T3_T4_T5_mT6_T7_P12ihipStream_tbENKUlT_T0_E_clISt17integral_constantIbLb1EESY_EEDaST_SU_EUlST_E_NS1_11comp_targetILNS1_3genE4ELNS1_11target_archE910ELNS1_3gpuE8ELNS1_3repE0EEENS1_30default_config_static_selectorELNS0_4arch9wavefront6targetE0EEEvT1_.num_vgpr, 0
	.set _ZN7rocprim17ROCPRIM_400000_NS6detail17trampoline_kernelINS0_14default_configENS1_27scan_by_key_config_selectorIiiEEZZNS1_16scan_by_key_implILNS1_25lookback_scan_determinismE0ELb1ES3_N6thrust23THRUST_200600_302600_NS6detail15normal_iteratorINS9_10device_ptrIiEEEESE_SE_iNS9_4plusIiEE19head_flag_predicateiEE10hipError_tPvRmT2_T3_T4_T5_mT6_T7_P12ihipStream_tbENKUlT_T0_E_clISt17integral_constantIbLb1EESY_EEDaST_SU_EUlST_E_NS1_11comp_targetILNS1_3genE4ELNS1_11target_archE910ELNS1_3gpuE8ELNS1_3repE0EEENS1_30default_config_static_selectorELNS0_4arch9wavefront6targetE0EEEvT1_.num_agpr, 0
	.set _ZN7rocprim17ROCPRIM_400000_NS6detail17trampoline_kernelINS0_14default_configENS1_27scan_by_key_config_selectorIiiEEZZNS1_16scan_by_key_implILNS1_25lookback_scan_determinismE0ELb1ES3_N6thrust23THRUST_200600_302600_NS6detail15normal_iteratorINS9_10device_ptrIiEEEESE_SE_iNS9_4plusIiEE19head_flag_predicateiEE10hipError_tPvRmT2_T3_T4_T5_mT6_T7_P12ihipStream_tbENKUlT_T0_E_clISt17integral_constantIbLb1EESY_EEDaST_SU_EUlST_E_NS1_11comp_targetILNS1_3genE4ELNS1_11target_archE910ELNS1_3gpuE8ELNS1_3repE0EEENS1_30default_config_static_selectorELNS0_4arch9wavefront6targetE0EEEvT1_.numbered_sgpr, 0
	.set _ZN7rocprim17ROCPRIM_400000_NS6detail17trampoline_kernelINS0_14default_configENS1_27scan_by_key_config_selectorIiiEEZZNS1_16scan_by_key_implILNS1_25lookback_scan_determinismE0ELb1ES3_N6thrust23THRUST_200600_302600_NS6detail15normal_iteratorINS9_10device_ptrIiEEEESE_SE_iNS9_4plusIiEE19head_flag_predicateiEE10hipError_tPvRmT2_T3_T4_T5_mT6_T7_P12ihipStream_tbENKUlT_T0_E_clISt17integral_constantIbLb1EESY_EEDaST_SU_EUlST_E_NS1_11comp_targetILNS1_3genE4ELNS1_11target_archE910ELNS1_3gpuE8ELNS1_3repE0EEENS1_30default_config_static_selectorELNS0_4arch9wavefront6targetE0EEEvT1_.num_named_barrier, 0
	.set _ZN7rocprim17ROCPRIM_400000_NS6detail17trampoline_kernelINS0_14default_configENS1_27scan_by_key_config_selectorIiiEEZZNS1_16scan_by_key_implILNS1_25lookback_scan_determinismE0ELb1ES3_N6thrust23THRUST_200600_302600_NS6detail15normal_iteratorINS9_10device_ptrIiEEEESE_SE_iNS9_4plusIiEE19head_flag_predicateiEE10hipError_tPvRmT2_T3_T4_T5_mT6_T7_P12ihipStream_tbENKUlT_T0_E_clISt17integral_constantIbLb1EESY_EEDaST_SU_EUlST_E_NS1_11comp_targetILNS1_3genE4ELNS1_11target_archE910ELNS1_3gpuE8ELNS1_3repE0EEENS1_30default_config_static_selectorELNS0_4arch9wavefront6targetE0EEEvT1_.private_seg_size, 0
	.set _ZN7rocprim17ROCPRIM_400000_NS6detail17trampoline_kernelINS0_14default_configENS1_27scan_by_key_config_selectorIiiEEZZNS1_16scan_by_key_implILNS1_25lookback_scan_determinismE0ELb1ES3_N6thrust23THRUST_200600_302600_NS6detail15normal_iteratorINS9_10device_ptrIiEEEESE_SE_iNS9_4plusIiEE19head_flag_predicateiEE10hipError_tPvRmT2_T3_T4_T5_mT6_T7_P12ihipStream_tbENKUlT_T0_E_clISt17integral_constantIbLb1EESY_EEDaST_SU_EUlST_E_NS1_11comp_targetILNS1_3genE4ELNS1_11target_archE910ELNS1_3gpuE8ELNS1_3repE0EEENS1_30default_config_static_selectorELNS0_4arch9wavefront6targetE0EEEvT1_.uses_vcc, 0
	.set _ZN7rocprim17ROCPRIM_400000_NS6detail17trampoline_kernelINS0_14default_configENS1_27scan_by_key_config_selectorIiiEEZZNS1_16scan_by_key_implILNS1_25lookback_scan_determinismE0ELb1ES3_N6thrust23THRUST_200600_302600_NS6detail15normal_iteratorINS9_10device_ptrIiEEEESE_SE_iNS9_4plusIiEE19head_flag_predicateiEE10hipError_tPvRmT2_T3_T4_T5_mT6_T7_P12ihipStream_tbENKUlT_T0_E_clISt17integral_constantIbLb1EESY_EEDaST_SU_EUlST_E_NS1_11comp_targetILNS1_3genE4ELNS1_11target_archE910ELNS1_3gpuE8ELNS1_3repE0EEENS1_30default_config_static_selectorELNS0_4arch9wavefront6targetE0EEEvT1_.uses_flat_scratch, 0
	.set _ZN7rocprim17ROCPRIM_400000_NS6detail17trampoline_kernelINS0_14default_configENS1_27scan_by_key_config_selectorIiiEEZZNS1_16scan_by_key_implILNS1_25lookback_scan_determinismE0ELb1ES3_N6thrust23THRUST_200600_302600_NS6detail15normal_iteratorINS9_10device_ptrIiEEEESE_SE_iNS9_4plusIiEE19head_flag_predicateiEE10hipError_tPvRmT2_T3_T4_T5_mT6_T7_P12ihipStream_tbENKUlT_T0_E_clISt17integral_constantIbLb1EESY_EEDaST_SU_EUlST_E_NS1_11comp_targetILNS1_3genE4ELNS1_11target_archE910ELNS1_3gpuE8ELNS1_3repE0EEENS1_30default_config_static_selectorELNS0_4arch9wavefront6targetE0EEEvT1_.has_dyn_sized_stack, 0
	.set _ZN7rocprim17ROCPRIM_400000_NS6detail17trampoline_kernelINS0_14default_configENS1_27scan_by_key_config_selectorIiiEEZZNS1_16scan_by_key_implILNS1_25lookback_scan_determinismE0ELb1ES3_N6thrust23THRUST_200600_302600_NS6detail15normal_iteratorINS9_10device_ptrIiEEEESE_SE_iNS9_4plusIiEE19head_flag_predicateiEE10hipError_tPvRmT2_T3_T4_T5_mT6_T7_P12ihipStream_tbENKUlT_T0_E_clISt17integral_constantIbLb1EESY_EEDaST_SU_EUlST_E_NS1_11comp_targetILNS1_3genE4ELNS1_11target_archE910ELNS1_3gpuE8ELNS1_3repE0EEENS1_30default_config_static_selectorELNS0_4arch9wavefront6targetE0EEEvT1_.has_recursion, 0
	.set _ZN7rocprim17ROCPRIM_400000_NS6detail17trampoline_kernelINS0_14default_configENS1_27scan_by_key_config_selectorIiiEEZZNS1_16scan_by_key_implILNS1_25lookback_scan_determinismE0ELb1ES3_N6thrust23THRUST_200600_302600_NS6detail15normal_iteratorINS9_10device_ptrIiEEEESE_SE_iNS9_4plusIiEE19head_flag_predicateiEE10hipError_tPvRmT2_T3_T4_T5_mT6_T7_P12ihipStream_tbENKUlT_T0_E_clISt17integral_constantIbLb1EESY_EEDaST_SU_EUlST_E_NS1_11comp_targetILNS1_3genE4ELNS1_11target_archE910ELNS1_3gpuE8ELNS1_3repE0EEENS1_30default_config_static_selectorELNS0_4arch9wavefront6targetE0EEEvT1_.has_indirect_call, 0
	.section	.AMDGPU.csdata,"",@progbits
; Kernel info:
; codeLenInByte = 0
; TotalNumSgprs: 0
; NumVgprs: 0
; ScratchSize: 0
; MemoryBound: 0
; FloatMode: 240
; IeeeMode: 1
; LDSByteSize: 0 bytes/workgroup (compile time only)
; SGPRBlocks: 0
; VGPRBlocks: 0
; NumSGPRsForWavesPerEU: 1
; NumVGPRsForWavesPerEU: 1
; Occupancy: 16
; WaveLimiterHint : 0
; COMPUTE_PGM_RSRC2:SCRATCH_EN: 0
; COMPUTE_PGM_RSRC2:USER_SGPR: 6
; COMPUTE_PGM_RSRC2:TRAP_HANDLER: 0
; COMPUTE_PGM_RSRC2:TGID_X_EN: 1
; COMPUTE_PGM_RSRC2:TGID_Y_EN: 0
; COMPUTE_PGM_RSRC2:TGID_Z_EN: 0
; COMPUTE_PGM_RSRC2:TIDIG_COMP_CNT: 0
	.section	.text._ZN7rocprim17ROCPRIM_400000_NS6detail17trampoline_kernelINS0_14default_configENS1_27scan_by_key_config_selectorIiiEEZZNS1_16scan_by_key_implILNS1_25lookback_scan_determinismE0ELb1ES3_N6thrust23THRUST_200600_302600_NS6detail15normal_iteratorINS9_10device_ptrIiEEEESE_SE_iNS9_4plusIiEE19head_flag_predicateiEE10hipError_tPvRmT2_T3_T4_T5_mT6_T7_P12ihipStream_tbENKUlT_T0_E_clISt17integral_constantIbLb1EESY_EEDaST_SU_EUlST_E_NS1_11comp_targetILNS1_3genE3ELNS1_11target_archE908ELNS1_3gpuE7ELNS1_3repE0EEENS1_30default_config_static_selectorELNS0_4arch9wavefront6targetE0EEEvT1_,"axG",@progbits,_ZN7rocprim17ROCPRIM_400000_NS6detail17trampoline_kernelINS0_14default_configENS1_27scan_by_key_config_selectorIiiEEZZNS1_16scan_by_key_implILNS1_25lookback_scan_determinismE0ELb1ES3_N6thrust23THRUST_200600_302600_NS6detail15normal_iteratorINS9_10device_ptrIiEEEESE_SE_iNS9_4plusIiEE19head_flag_predicateiEE10hipError_tPvRmT2_T3_T4_T5_mT6_T7_P12ihipStream_tbENKUlT_T0_E_clISt17integral_constantIbLb1EESY_EEDaST_SU_EUlST_E_NS1_11comp_targetILNS1_3genE3ELNS1_11target_archE908ELNS1_3gpuE7ELNS1_3repE0EEENS1_30default_config_static_selectorELNS0_4arch9wavefront6targetE0EEEvT1_,comdat
	.protected	_ZN7rocprim17ROCPRIM_400000_NS6detail17trampoline_kernelINS0_14default_configENS1_27scan_by_key_config_selectorIiiEEZZNS1_16scan_by_key_implILNS1_25lookback_scan_determinismE0ELb1ES3_N6thrust23THRUST_200600_302600_NS6detail15normal_iteratorINS9_10device_ptrIiEEEESE_SE_iNS9_4plusIiEE19head_flag_predicateiEE10hipError_tPvRmT2_T3_T4_T5_mT6_T7_P12ihipStream_tbENKUlT_T0_E_clISt17integral_constantIbLb1EESY_EEDaST_SU_EUlST_E_NS1_11comp_targetILNS1_3genE3ELNS1_11target_archE908ELNS1_3gpuE7ELNS1_3repE0EEENS1_30default_config_static_selectorELNS0_4arch9wavefront6targetE0EEEvT1_ ; -- Begin function _ZN7rocprim17ROCPRIM_400000_NS6detail17trampoline_kernelINS0_14default_configENS1_27scan_by_key_config_selectorIiiEEZZNS1_16scan_by_key_implILNS1_25lookback_scan_determinismE0ELb1ES3_N6thrust23THRUST_200600_302600_NS6detail15normal_iteratorINS9_10device_ptrIiEEEESE_SE_iNS9_4plusIiEE19head_flag_predicateiEE10hipError_tPvRmT2_T3_T4_T5_mT6_T7_P12ihipStream_tbENKUlT_T0_E_clISt17integral_constantIbLb1EESY_EEDaST_SU_EUlST_E_NS1_11comp_targetILNS1_3genE3ELNS1_11target_archE908ELNS1_3gpuE7ELNS1_3repE0EEENS1_30default_config_static_selectorELNS0_4arch9wavefront6targetE0EEEvT1_
	.globl	_ZN7rocprim17ROCPRIM_400000_NS6detail17trampoline_kernelINS0_14default_configENS1_27scan_by_key_config_selectorIiiEEZZNS1_16scan_by_key_implILNS1_25lookback_scan_determinismE0ELb1ES3_N6thrust23THRUST_200600_302600_NS6detail15normal_iteratorINS9_10device_ptrIiEEEESE_SE_iNS9_4plusIiEE19head_flag_predicateiEE10hipError_tPvRmT2_T3_T4_T5_mT6_T7_P12ihipStream_tbENKUlT_T0_E_clISt17integral_constantIbLb1EESY_EEDaST_SU_EUlST_E_NS1_11comp_targetILNS1_3genE3ELNS1_11target_archE908ELNS1_3gpuE7ELNS1_3repE0EEENS1_30default_config_static_selectorELNS0_4arch9wavefront6targetE0EEEvT1_
	.p2align	8
	.type	_ZN7rocprim17ROCPRIM_400000_NS6detail17trampoline_kernelINS0_14default_configENS1_27scan_by_key_config_selectorIiiEEZZNS1_16scan_by_key_implILNS1_25lookback_scan_determinismE0ELb1ES3_N6thrust23THRUST_200600_302600_NS6detail15normal_iteratorINS9_10device_ptrIiEEEESE_SE_iNS9_4plusIiEE19head_flag_predicateiEE10hipError_tPvRmT2_T3_T4_T5_mT6_T7_P12ihipStream_tbENKUlT_T0_E_clISt17integral_constantIbLb1EESY_EEDaST_SU_EUlST_E_NS1_11comp_targetILNS1_3genE3ELNS1_11target_archE908ELNS1_3gpuE7ELNS1_3repE0EEENS1_30default_config_static_selectorELNS0_4arch9wavefront6targetE0EEEvT1_,@function
_ZN7rocprim17ROCPRIM_400000_NS6detail17trampoline_kernelINS0_14default_configENS1_27scan_by_key_config_selectorIiiEEZZNS1_16scan_by_key_implILNS1_25lookback_scan_determinismE0ELb1ES3_N6thrust23THRUST_200600_302600_NS6detail15normal_iteratorINS9_10device_ptrIiEEEESE_SE_iNS9_4plusIiEE19head_flag_predicateiEE10hipError_tPvRmT2_T3_T4_T5_mT6_T7_P12ihipStream_tbENKUlT_T0_E_clISt17integral_constantIbLb1EESY_EEDaST_SU_EUlST_E_NS1_11comp_targetILNS1_3genE3ELNS1_11target_archE908ELNS1_3gpuE7ELNS1_3repE0EEENS1_30default_config_static_selectorELNS0_4arch9wavefront6targetE0EEEvT1_: ; @_ZN7rocprim17ROCPRIM_400000_NS6detail17trampoline_kernelINS0_14default_configENS1_27scan_by_key_config_selectorIiiEEZZNS1_16scan_by_key_implILNS1_25lookback_scan_determinismE0ELb1ES3_N6thrust23THRUST_200600_302600_NS6detail15normal_iteratorINS9_10device_ptrIiEEEESE_SE_iNS9_4plusIiEE19head_flag_predicateiEE10hipError_tPvRmT2_T3_T4_T5_mT6_T7_P12ihipStream_tbENKUlT_T0_E_clISt17integral_constantIbLb1EESY_EEDaST_SU_EUlST_E_NS1_11comp_targetILNS1_3genE3ELNS1_11target_archE908ELNS1_3gpuE7ELNS1_3repE0EEENS1_30default_config_static_selectorELNS0_4arch9wavefront6targetE0EEEvT1_
; %bb.0:
	.section	.rodata,"a",@progbits
	.p2align	6, 0x0
	.amdhsa_kernel _ZN7rocprim17ROCPRIM_400000_NS6detail17trampoline_kernelINS0_14default_configENS1_27scan_by_key_config_selectorIiiEEZZNS1_16scan_by_key_implILNS1_25lookback_scan_determinismE0ELb1ES3_N6thrust23THRUST_200600_302600_NS6detail15normal_iteratorINS9_10device_ptrIiEEEESE_SE_iNS9_4plusIiEE19head_flag_predicateiEE10hipError_tPvRmT2_T3_T4_T5_mT6_T7_P12ihipStream_tbENKUlT_T0_E_clISt17integral_constantIbLb1EESY_EEDaST_SU_EUlST_E_NS1_11comp_targetILNS1_3genE3ELNS1_11target_archE908ELNS1_3gpuE7ELNS1_3repE0EEENS1_30default_config_static_selectorELNS0_4arch9wavefront6targetE0EEEvT1_
		.amdhsa_group_segment_fixed_size 0
		.amdhsa_private_segment_fixed_size 0
		.amdhsa_kernarg_size 112
		.amdhsa_user_sgpr_count 6
		.amdhsa_user_sgpr_private_segment_buffer 1
		.amdhsa_user_sgpr_dispatch_ptr 0
		.amdhsa_user_sgpr_queue_ptr 0
		.amdhsa_user_sgpr_kernarg_segment_ptr 1
		.amdhsa_user_sgpr_dispatch_id 0
		.amdhsa_user_sgpr_flat_scratch_init 0
		.amdhsa_user_sgpr_private_segment_size 0
		.amdhsa_wavefront_size32 1
		.amdhsa_uses_dynamic_stack 0
		.amdhsa_system_sgpr_private_segment_wavefront_offset 0
		.amdhsa_system_sgpr_workgroup_id_x 1
		.amdhsa_system_sgpr_workgroup_id_y 0
		.amdhsa_system_sgpr_workgroup_id_z 0
		.amdhsa_system_sgpr_workgroup_info 0
		.amdhsa_system_vgpr_workitem_id 0
		.amdhsa_next_free_vgpr 1
		.amdhsa_next_free_sgpr 1
		.amdhsa_reserve_vcc 0
		.amdhsa_reserve_flat_scratch 0
		.amdhsa_float_round_mode_32 0
		.amdhsa_float_round_mode_16_64 0
		.amdhsa_float_denorm_mode_32 3
		.amdhsa_float_denorm_mode_16_64 3
		.amdhsa_dx10_clamp 1
		.amdhsa_ieee_mode 1
		.amdhsa_fp16_overflow 0
		.amdhsa_workgroup_processor_mode 1
		.amdhsa_memory_ordered 1
		.amdhsa_forward_progress 1
		.amdhsa_shared_vgpr_count 0
		.amdhsa_exception_fp_ieee_invalid_op 0
		.amdhsa_exception_fp_denorm_src 0
		.amdhsa_exception_fp_ieee_div_zero 0
		.amdhsa_exception_fp_ieee_overflow 0
		.amdhsa_exception_fp_ieee_underflow 0
		.amdhsa_exception_fp_ieee_inexact 0
		.amdhsa_exception_int_div_zero 0
	.end_amdhsa_kernel
	.section	.text._ZN7rocprim17ROCPRIM_400000_NS6detail17trampoline_kernelINS0_14default_configENS1_27scan_by_key_config_selectorIiiEEZZNS1_16scan_by_key_implILNS1_25lookback_scan_determinismE0ELb1ES3_N6thrust23THRUST_200600_302600_NS6detail15normal_iteratorINS9_10device_ptrIiEEEESE_SE_iNS9_4plusIiEE19head_flag_predicateiEE10hipError_tPvRmT2_T3_T4_T5_mT6_T7_P12ihipStream_tbENKUlT_T0_E_clISt17integral_constantIbLb1EESY_EEDaST_SU_EUlST_E_NS1_11comp_targetILNS1_3genE3ELNS1_11target_archE908ELNS1_3gpuE7ELNS1_3repE0EEENS1_30default_config_static_selectorELNS0_4arch9wavefront6targetE0EEEvT1_,"axG",@progbits,_ZN7rocprim17ROCPRIM_400000_NS6detail17trampoline_kernelINS0_14default_configENS1_27scan_by_key_config_selectorIiiEEZZNS1_16scan_by_key_implILNS1_25lookback_scan_determinismE0ELb1ES3_N6thrust23THRUST_200600_302600_NS6detail15normal_iteratorINS9_10device_ptrIiEEEESE_SE_iNS9_4plusIiEE19head_flag_predicateiEE10hipError_tPvRmT2_T3_T4_T5_mT6_T7_P12ihipStream_tbENKUlT_T0_E_clISt17integral_constantIbLb1EESY_EEDaST_SU_EUlST_E_NS1_11comp_targetILNS1_3genE3ELNS1_11target_archE908ELNS1_3gpuE7ELNS1_3repE0EEENS1_30default_config_static_selectorELNS0_4arch9wavefront6targetE0EEEvT1_,comdat
.Lfunc_end798:
	.size	_ZN7rocprim17ROCPRIM_400000_NS6detail17trampoline_kernelINS0_14default_configENS1_27scan_by_key_config_selectorIiiEEZZNS1_16scan_by_key_implILNS1_25lookback_scan_determinismE0ELb1ES3_N6thrust23THRUST_200600_302600_NS6detail15normal_iteratorINS9_10device_ptrIiEEEESE_SE_iNS9_4plusIiEE19head_flag_predicateiEE10hipError_tPvRmT2_T3_T4_T5_mT6_T7_P12ihipStream_tbENKUlT_T0_E_clISt17integral_constantIbLb1EESY_EEDaST_SU_EUlST_E_NS1_11comp_targetILNS1_3genE3ELNS1_11target_archE908ELNS1_3gpuE7ELNS1_3repE0EEENS1_30default_config_static_selectorELNS0_4arch9wavefront6targetE0EEEvT1_, .Lfunc_end798-_ZN7rocprim17ROCPRIM_400000_NS6detail17trampoline_kernelINS0_14default_configENS1_27scan_by_key_config_selectorIiiEEZZNS1_16scan_by_key_implILNS1_25lookback_scan_determinismE0ELb1ES3_N6thrust23THRUST_200600_302600_NS6detail15normal_iteratorINS9_10device_ptrIiEEEESE_SE_iNS9_4plusIiEE19head_flag_predicateiEE10hipError_tPvRmT2_T3_T4_T5_mT6_T7_P12ihipStream_tbENKUlT_T0_E_clISt17integral_constantIbLb1EESY_EEDaST_SU_EUlST_E_NS1_11comp_targetILNS1_3genE3ELNS1_11target_archE908ELNS1_3gpuE7ELNS1_3repE0EEENS1_30default_config_static_selectorELNS0_4arch9wavefront6targetE0EEEvT1_
                                        ; -- End function
	.set _ZN7rocprim17ROCPRIM_400000_NS6detail17trampoline_kernelINS0_14default_configENS1_27scan_by_key_config_selectorIiiEEZZNS1_16scan_by_key_implILNS1_25lookback_scan_determinismE0ELb1ES3_N6thrust23THRUST_200600_302600_NS6detail15normal_iteratorINS9_10device_ptrIiEEEESE_SE_iNS9_4plusIiEE19head_flag_predicateiEE10hipError_tPvRmT2_T3_T4_T5_mT6_T7_P12ihipStream_tbENKUlT_T0_E_clISt17integral_constantIbLb1EESY_EEDaST_SU_EUlST_E_NS1_11comp_targetILNS1_3genE3ELNS1_11target_archE908ELNS1_3gpuE7ELNS1_3repE0EEENS1_30default_config_static_selectorELNS0_4arch9wavefront6targetE0EEEvT1_.num_vgpr, 0
	.set _ZN7rocprim17ROCPRIM_400000_NS6detail17trampoline_kernelINS0_14default_configENS1_27scan_by_key_config_selectorIiiEEZZNS1_16scan_by_key_implILNS1_25lookback_scan_determinismE0ELb1ES3_N6thrust23THRUST_200600_302600_NS6detail15normal_iteratorINS9_10device_ptrIiEEEESE_SE_iNS9_4plusIiEE19head_flag_predicateiEE10hipError_tPvRmT2_T3_T4_T5_mT6_T7_P12ihipStream_tbENKUlT_T0_E_clISt17integral_constantIbLb1EESY_EEDaST_SU_EUlST_E_NS1_11comp_targetILNS1_3genE3ELNS1_11target_archE908ELNS1_3gpuE7ELNS1_3repE0EEENS1_30default_config_static_selectorELNS0_4arch9wavefront6targetE0EEEvT1_.num_agpr, 0
	.set _ZN7rocprim17ROCPRIM_400000_NS6detail17trampoline_kernelINS0_14default_configENS1_27scan_by_key_config_selectorIiiEEZZNS1_16scan_by_key_implILNS1_25lookback_scan_determinismE0ELb1ES3_N6thrust23THRUST_200600_302600_NS6detail15normal_iteratorINS9_10device_ptrIiEEEESE_SE_iNS9_4plusIiEE19head_flag_predicateiEE10hipError_tPvRmT2_T3_T4_T5_mT6_T7_P12ihipStream_tbENKUlT_T0_E_clISt17integral_constantIbLb1EESY_EEDaST_SU_EUlST_E_NS1_11comp_targetILNS1_3genE3ELNS1_11target_archE908ELNS1_3gpuE7ELNS1_3repE0EEENS1_30default_config_static_selectorELNS0_4arch9wavefront6targetE0EEEvT1_.numbered_sgpr, 0
	.set _ZN7rocprim17ROCPRIM_400000_NS6detail17trampoline_kernelINS0_14default_configENS1_27scan_by_key_config_selectorIiiEEZZNS1_16scan_by_key_implILNS1_25lookback_scan_determinismE0ELb1ES3_N6thrust23THRUST_200600_302600_NS6detail15normal_iteratorINS9_10device_ptrIiEEEESE_SE_iNS9_4plusIiEE19head_flag_predicateiEE10hipError_tPvRmT2_T3_T4_T5_mT6_T7_P12ihipStream_tbENKUlT_T0_E_clISt17integral_constantIbLb1EESY_EEDaST_SU_EUlST_E_NS1_11comp_targetILNS1_3genE3ELNS1_11target_archE908ELNS1_3gpuE7ELNS1_3repE0EEENS1_30default_config_static_selectorELNS0_4arch9wavefront6targetE0EEEvT1_.num_named_barrier, 0
	.set _ZN7rocprim17ROCPRIM_400000_NS6detail17trampoline_kernelINS0_14default_configENS1_27scan_by_key_config_selectorIiiEEZZNS1_16scan_by_key_implILNS1_25lookback_scan_determinismE0ELb1ES3_N6thrust23THRUST_200600_302600_NS6detail15normal_iteratorINS9_10device_ptrIiEEEESE_SE_iNS9_4plusIiEE19head_flag_predicateiEE10hipError_tPvRmT2_T3_T4_T5_mT6_T7_P12ihipStream_tbENKUlT_T0_E_clISt17integral_constantIbLb1EESY_EEDaST_SU_EUlST_E_NS1_11comp_targetILNS1_3genE3ELNS1_11target_archE908ELNS1_3gpuE7ELNS1_3repE0EEENS1_30default_config_static_selectorELNS0_4arch9wavefront6targetE0EEEvT1_.private_seg_size, 0
	.set _ZN7rocprim17ROCPRIM_400000_NS6detail17trampoline_kernelINS0_14default_configENS1_27scan_by_key_config_selectorIiiEEZZNS1_16scan_by_key_implILNS1_25lookback_scan_determinismE0ELb1ES3_N6thrust23THRUST_200600_302600_NS6detail15normal_iteratorINS9_10device_ptrIiEEEESE_SE_iNS9_4plusIiEE19head_flag_predicateiEE10hipError_tPvRmT2_T3_T4_T5_mT6_T7_P12ihipStream_tbENKUlT_T0_E_clISt17integral_constantIbLb1EESY_EEDaST_SU_EUlST_E_NS1_11comp_targetILNS1_3genE3ELNS1_11target_archE908ELNS1_3gpuE7ELNS1_3repE0EEENS1_30default_config_static_selectorELNS0_4arch9wavefront6targetE0EEEvT1_.uses_vcc, 0
	.set _ZN7rocprim17ROCPRIM_400000_NS6detail17trampoline_kernelINS0_14default_configENS1_27scan_by_key_config_selectorIiiEEZZNS1_16scan_by_key_implILNS1_25lookback_scan_determinismE0ELb1ES3_N6thrust23THRUST_200600_302600_NS6detail15normal_iteratorINS9_10device_ptrIiEEEESE_SE_iNS9_4plusIiEE19head_flag_predicateiEE10hipError_tPvRmT2_T3_T4_T5_mT6_T7_P12ihipStream_tbENKUlT_T0_E_clISt17integral_constantIbLb1EESY_EEDaST_SU_EUlST_E_NS1_11comp_targetILNS1_3genE3ELNS1_11target_archE908ELNS1_3gpuE7ELNS1_3repE0EEENS1_30default_config_static_selectorELNS0_4arch9wavefront6targetE0EEEvT1_.uses_flat_scratch, 0
	.set _ZN7rocprim17ROCPRIM_400000_NS6detail17trampoline_kernelINS0_14default_configENS1_27scan_by_key_config_selectorIiiEEZZNS1_16scan_by_key_implILNS1_25lookback_scan_determinismE0ELb1ES3_N6thrust23THRUST_200600_302600_NS6detail15normal_iteratorINS9_10device_ptrIiEEEESE_SE_iNS9_4plusIiEE19head_flag_predicateiEE10hipError_tPvRmT2_T3_T4_T5_mT6_T7_P12ihipStream_tbENKUlT_T0_E_clISt17integral_constantIbLb1EESY_EEDaST_SU_EUlST_E_NS1_11comp_targetILNS1_3genE3ELNS1_11target_archE908ELNS1_3gpuE7ELNS1_3repE0EEENS1_30default_config_static_selectorELNS0_4arch9wavefront6targetE0EEEvT1_.has_dyn_sized_stack, 0
	.set _ZN7rocprim17ROCPRIM_400000_NS6detail17trampoline_kernelINS0_14default_configENS1_27scan_by_key_config_selectorIiiEEZZNS1_16scan_by_key_implILNS1_25lookback_scan_determinismE0ELb1ES3_N6thrust23THRUST_200600_302600_NS6detail15normal_iteratorINS9_10device_ptrIiEEEESE_SE_iNS9_4plusIiEE19head_flag_predicateiEE10hipError_tPvRmT2_T3_T4_T5_mT6_T7_P12ihipStream_tbENKUlT_T0_E_clISt17integral_constantIbLb1EESY_EEDaST_SU_EUlST_E_NS1_11comp_targetILNS1_3genE3ELNS1_11target_archE908ELNS1_3gpuE7ELNS1_3repE0EEENS1_30default_config_static_selectorELNS0_4arch9wavefront6targetE0EEEvT1_.has_recursion, 0
	.set _ZN7rocprim17ROCPRIM_400000_NS6detail17trampoline_kernelINS0_14default_configENS1_27scan_by_key_config_selectorIiiEEZZNS1_16scan_by_key_implILNS1_25lookback_scan_determinismE0ELb1ES3_N6thrust23THRUST_200600_302600_NS6detail15normal_iteratorINS9_10device_ptrIiEEEESE_SE_iNS9_4plusIiEE19head_flag_predicateiEE10hipError_tPvRmT2_T3_T4_T5_mT6_T7_P12ihipStream_tbENKUlT_T0_E_clISt17integral_constantIbLb1EESY_EEDaST_SU_EUlST_E_NS1_11comp_targetILNS1_3genE3ELNS1_11target_archE908ELNS1_3gpuE7ELNS1_3repE0EEENS1_30default_config_static_selectorELNS0_4arch9wavefront6targetE0EEEvT1_.has_indirect_call, 0
	.section	.AMDGPU.csdata,"",@progbits
; Kernel info:
; codeLenInByte = 0
; TotalNumSgprs: 0
; NumVgprs: 0
; ScratchSize: 0
; MemoryBound: 0
; FloatMode: 240
; IeeeMode: 1
; LDSByteSize: 0 bytes/workgroup (compile time only)
; SGPRBlocks: 0
; VGPRBlocks: 0
; NumSGPRsForWavesPerEU: 1
; NumVGPRsForWavesPerEU: 1
; Occupancy: 16
; WaveLimiterHint : 0
; COMPUTE_PGM_RSRC2:SCRATCH_EN: 0
; COMPUTE_PGM_RSRC2:USER_SGPR: 6
; COMPUTE_PGM_RSRC2:TRAP_HANDLER: 0
; COMPUTE_PGM_RSRC2:TGID_X_EN: 1
; COMPUTE_PGM_RSRC2:TGID_Y_EN: 0
; COMPUTE_PGM_RSRC2:TGID_Z_EN: 0
; COMPUTE_PGM_RSRC2:TIDIG_COMP_CNT: 0
	.section	.text._ZN7rocprim17ROCPRIM_400000_NS6detail17trampoline_kernelINS0_14default_configENS1_27scan_by_key_config_selectorIiiEEZZNS1_16scan_by_key_implILNS1_25lookback_scan_determinismE0ELb1ES3_N6thrust23THRUST_200600_302600_NS6detail15normal_iteratorINS9_10device_ptrIiEEEESE_SE_iNS9_4plusIiEE19head_flag_predicateiEE10hipError_tPvRmT2_T3_T4_T5_mT6_T7_P12ihipStream_tbENKUlT_T0_E_clISt17integral_constantIbLb1EESY_EEDaST_SU_EUlST_E_NS1_11comp_targetILNS1_3genE2ELNS1_11target_archE906ELNS1_3gpuE6ELNS1_3repE0EEENS1_30default_config_static_selectorELNS0_4arch9wavefront6targetE0EEEvT1_,"axG",@progbits,_ZN7rocprim17ROCPRIM_400000_NS6detail17trampoline_kernelINS0_14default_configENS1_27scan_by_key_config_selectorIiiEEZZNS1_16scan_by_key_implILNS1_25lookback_scan_determinismE0ELb1ES3_N6thrust23THRUST_200600_302600_NS6detail15normal_iteratorINS9_10device_ptrIiEEEESE_SE_iNS9_4plusIiEE19head_flag_predicateiEE10hipError_tPvRmT2_T3_T4_T5_mT6_T7_P12ihipStream_tbENKUlT_T0_E_clISt17integral_constantIbLb1EESY_EEDaST_SU_EUlST_E_NS1_11comp_targetILNS1_3genE2ELNS1_11target_archE906ELNS1_3gpuE6ELNS1_3repE0EEENS1_30default_config_static_selectorELNS0_4arch9wavefront6targetE0EEEvT1_,comdat
	.protected	_ZN7rocprim17ROCPRIM_400000_NS6detail17trampoline_kernelINS0_14default_configENS1_27scan_by_key_config_selectorIiiEEZZNS1_16scan_by_key_implILNS1_25lookback_scan_determinismE0ELb1ES3_N6thrust23THRUST_200600_302600_NS6detail15normal_iteratorINS9_10device_ptrIiEEEESE_SE_iNS9_4plusIiEE19head_flag_predicateiEE10hipError_tPvRmT2_T3_T4_T5_mT6_T7_P12ihipStream_tbENKUlT_T0_E_clISt17integral_constantIbLb1EESY_EEDaST_SU_EUlST_E_NS1_11comp_targetILNS1_3genE2ELNS1_11target_archE906ELNS1_3gpuE6ELNS1_3repE0EEENS1_30default_config_static_selectorELNS0_4arch9wavefront6targetE0EEEvT1_ ; -- Begin function _ZN7rocprim17ROCPRIM_400000_NS6detail17trampoline_kernelINS0_14default_configENS1_27scan_by_key_config_selectorIiiEEZZNS1_16scan_by_key_implILNS1_25lookback_scan_determinismE0ELb1ES3_N6thrust23THRUST_200600_302600_NS6detail15normal_iteratorINS9_10device_ptrIiEEEESE_SE_iNS9_4plusIiEE19head_flag_predicateiEE10hipError_tPvRmT2_T3_T4_T5_mT6_T7_P12ihipStream_tbENKUlT_T0_E_clISt17integral_constantIbLb1EESY_EEDaST_SU_EUlST_E_NS1_11comp_targetILNS1_3genE2ELNS1_11target_archE906ELNS1_3gpuE6ELNS1_3repE0EEENS1_30default_config_static_selectorELNS0_4arch9wavefront6targetE0EEEvT1_
	.globl	_ZN7rocprim17ROCPRIM_400000_NS6detail17trampoline_kernelINS0_14default_configENS1_27scan_by_key_config_selectorIiiEEZZNS1_16scan_by_key_implILNS1_25lookback_scan_determinismE0ELb1ES3_N6thrust23THRUST_200600_302600_NS6detail15normal_iteratorINS9_10device_ptrIiEEEESE_SE_iNS9_4plusIiEE19head_flag_predicateiEE10hipError_tPvRmT2_T3_T4_T5_mT6_T7_P12ihipStream_tbENKUlT_T0_E_clISt17integral_constantIbLb1EESY_EEDaST_SU_EUlST_E_NS1_11comp_targetILNS1_3genE2ELNS1_11target_archE906ELNS1_3gpuE6ELNS1_3repE0EEENS1_30default_config_static_selectorELNS0_4arch9wavefront6targetE0EEEvT1_
	.p2align	8
	.type	_ZN7rocprim17ROCPRIM_400000_NS6detail17trampoline_kernelINS0_14default_configENS1_27scan_by_key_config_selectorIiiEEZZNS1_16scan_by_key_implILNS1_25lookback_scan_determinismE0ELb1ES3_N6thrust23THRUST_200600_302600_NS6detail15normal_iteratorINS9_10device_ptrIiEEEESE_SE_iNS9_4plusIiEE19head_flag_predicateiEE10hipError_tPvRmT2_T3_T4_T5_mT6_T7_P12ihipStream_tbENKUlT_T0_E_clISt17integral_constantIbLb1EESY_EEDaST_SU_EUlST_E_NS1_11comp_targetILNS1_3genE2ELNS1_11target_archE906ELNS1_3gpuE6ELNS1_3repE0EEENS1_30default_config_static_selectorELNS0_4arch9wavefront6targetE0EEEvT1_,@function
_ZN7rocprim17ROCPRIM_400000_NS6detail17trampoline_kernelINS0_14default_configENS1_27scan_by_key_config_selectorIiiEEZZNS1_16scan_by_key_implILNS1_25lookback_scan_determinismE0ELb1ES3_N6thrust23THRUST_200600_302600_NS6detail15normal_iteratorINS9_10device_ptrIiEEEESE_SE_iNS9_4plusIiEE19head_flag_predicateiEE10hipError_tPvRmT2_T3_T4_T5_mT6_T7_P12ihipStream_tbENKUlT_T0_E_clISt17integral_constantIbLb1EESY_EEDaST_SU_EUlST_E_NS1_11comp_targetILNS1_3genE2ELNS1_11target_archE906ELNS1_3gpuE6ELNS1_3repE0EEENS1_30default_config_static_selectorELNS0_4arch9wavefront6targetE0EEEvT1_: ; @_ZN7rocprim17ROCPRIM_400000_NS6detail17trampoline_kernelINS0_14default_configENS1_27scan_by_key_config_selectorIiiEEZZNS1_16scan_by_key_implILNS1_25lookback_scan_determinismE0ELb1ES3_N6thrust23THRUST_200600_302600_NS6detail15normal_iteratorINS9_10device_ptrIiEEEESE_SE_iNS9_4plusIiEE19head_flag_predicateiEE10hipError_tPvRmT2_T3_T4_T5_mT6_T7_P12ihipStream_tbENKUlT_T0_E_clISt17integral_constantIbLb1EESY_EEDaST_SU_EUlST_E_NS1_11comp_targetILNS1_3genE2ELNS1_11target_archE906ELNS1_3gpuE6ELNS1_3repE0EEENS1_30default_config_static_selectorELNS0_4arch9wavefront6targetE0EEEvT1_
; %bb.0:
	.section	.rodata,"a",@progbits
	.p2align	6, 0x0
	.amdhsa_kernel _ZN7rocprim17ROCPRIM_400000_NS6detail17trampoline_kernelINS0_14default_configENS1_27scan_by_key_config_selectorIiiEEZZNS1_16scan_by_key_implILNS1_25lookback_scan_determinismE0ELb1ES3_N6thrust23THRUST_200600_302600_NS6detail15normal_iteratorINS9_10device_ptrIiEEEESE_SE_iNS9_4plusIiEE19head_flag_predicateiEE10hipError_tPvRmT2_T3_T4_T5_mT6_T7_P12ihipStream_tbENKUlT_T0_E_clISt17integral_constantIbLb1EESY_EEDaST_SU_EUlST_E_NS1_11comp_targetILNS1_3genE2ELNS1_11target_archE906ELNS1_3gpuE6ELNS1_3repE0EEENS1_30default_config_static_selectorELNS0_4arch9wavefront6targetE0EEEvT1_
		.amdhsa_group_segment_fixed_size 0
		.amdhsa_private_segment_fixed_size 0
		.amdhsa_kernarg_size 112
		.amdhsa_user_sgpr_count 6
		.amdhsa_user_sgpr_private_segment_buffer 1
		.amdhsa_user_sgpr_dispatch_ptr 0
		.amdhsa_user_sgpr_queue_ptr 0
		.amdhsa_user_sgpr_kernarg_segment_ptr 1
		.amdhsa_user_sgpr_dispatch_id 0
		.amdhsa_user_sgpr_flat_scratch_init 0
		.amdhsa_user_sgpr_private_segment_size 0
		.amdhsa_wavefront_size32 1
		.amdhsa_uses_dynamic_stack 0
		.amdhsa_system_sgpr_private_segment_wavefront_offset 0
		.amdhsa_system_sgpr_workgroup_id_x 1
		.amdhsa_system_sgpr_workgroup_id_y 0
		.amdhsa_system_sgpr_workgroup_id_z 0
		.amdhsa_system_sgpr_workgroup_info 0
		.amdhsa_system_vgpr_workitem_id 0
		.amdhsa_next_free_vgpr 1
		.amdhsa_next_free_sgpr 1
		.amdhsa_reserve_vcc 0
		.amdhsa_reserve_flat_scratch 0
		.amdhsa_float_round_mode_32 0
		.amdhsa_float_round_mode_16_64 0
		.amdhsa_float_denorm_mode_32 3
		.amdhsa_float_denorm_mode_16_64 3
		.amdhsa_dx10_clamp 1
		.amdhsa_ieee_mode 1
		.amdhsa_fp16_overflow 0
		.amdhsa_workgroup_processor_mode 1
		.amdhsa_memory_ordered 1
		.amdhsa_forward_progress 1
		.amdhsa_shared_vgpr_count 0
		.amdhsa_exception_fp_ieee_invalid_op 0
		.amdhsa_exception_fp_denorm_src 0
		.amdhsa_exception_fp_ieee_div_zero 0
		.amdhsa_exception_fp_ieee_overflow 0
		.amdhsa_exception_fp_ieee_underflow 0
		.amdhsa_exception_fp_ieee_inexact 0
		.amdhsa_exception_int_div_zero 0
	.end_amdhsa_kernel
	.section	.text._ZN7rocprim17ROCPRIM_400000_NS6detail17trampoline_kernelINS0_14default_configENS1_27scan_by_key_config_selectorIiiEEZZNS1_16scan_by_key_implILNS1_25lookback_scan_determinismE0ELb1ES3_N6thrust23THRUST_200600_302600_NS6detail15normal_iteratorINS9_10device_ptrIiEEEESE_SE_iNS9_4plusIiEE19head_flag_predicateiEE10hipError_tPvRmT2_T3_T4_T5_mT6_T7_P12ihipStream_tbENKUlT_T0_E_clISt17integral_constantIbLb1EESY_EEDaST_SU_EUlST_E_NS1_11comp_targetILNS1_3genE2ELNS1_11target_archE906ELNS1_3gpuE6ELNS1_3repE0EEENS1_30default_config_static_selectorELNS0_4arch9wavefront6targetE0EEEvT1_,"axG",@progbits,_ZN7rocprim17ROCPRIM_400000_NS6detail17trampoline_kernelINS0_14default_configENS1_27scan_by_key_config_selectorIiiEEZZNS1_16scan_by_key_implILNS1_25lookback_scan_determinismE0ELb1ES3_N6thrust23THRUST_200600_302600_NS6detail15normal_iteratorINS9_10device_ptrIiEEEESE_SE_iNS9_4plusIiEE19head_flag_predicateiEE10hipError_tPvRmT2_T3_T4_T5_mT6_T7_P12ihipStream_tbENKUlT_T0_E_clISt17integral_constantIbLb1EESY_EEDaST_SU_EUlST_E_NS1_11comp_targetILNS1_3genE2ELNS1_11target_archE906ELNS1_3gpuE6ELNS1_3repE0EEENS1_30default_config_static_selectorELNS0_4arch9wavefront6targetE0EEEvT1_,comdat
.Lfunc_end799:
	.size	_ZN7rocprim17ROCPRIM_400000_NS6detail17trampoline_kernelINS0_14default_configENS1_27scan_by_key_config_selectorIiiEEZZNS1_16scan_by_key_implILNS1_25lookback_scan_determinismE0ELb1ES3_N6thrust23THRUST_200600_302600_NS6detail15normal_iteratorINS9_10device_ptrIiEEEESE_SE_iNS9_4plusIiEE19head_flag_predicateiEE10hipError_tPvRmT2_T3_T4_T5_mT6_T7_P12ihipStream_tbENKUlT_T0_E_clISt17integral_constantIbLb1EESY_EEDaST_SU_EUlST_E_NS1_11comp_targetILNS1_3genE2ELNS1_11target_archE906ELNS1_3gpuE6ELNS1_3repE0EEENS1_30default_config_static_selectorELNS0_4arch9wavefront6targetE0EEEvT1_, .Lfunc_end799-_ZN7rocprim17ROCPRIM_400000_NS6detail17trampoline_kernelINS0_14default_configENS1_27scan_by_key_config_selectorIiiEEZZNS1_16scan_by_key_implILNS1_25lookback_scan_determinismE0ELb1ES3_N6thrust23THRUST_200600_302600_NS6detail15normal_iteratorINS9_10device_ptrIiEEEESE_SE_iNS9_4plusIiEE19head_flag_predicateiEE10hipError_tPvRmT2_T3_T4_T5_mT6_T7_P12ihipStream_tbENKUlT_T0_E_clISt17integral_constantIbLb1EESY_EEDaST_SU_EUlST_E_NS1_11comp_targetILNS1_3genE2ELNS1_11target_archE906ELNS1_3gpuE6ELNS1_3repE0EEENS1_30default_config_static_selectorELNS0_4arch9wavefront6targetE0EEEvT1_
                                        ; -- End function
	.set _ZN7rocprim17ROCPRIM_400000_NS6detail17trampoline_kernelINS0_14default_configENS1_27scan_by_key_config_selectorIiiEEZZNS1_16scan_by_key_implILNS1_25lookback_scan_determinismE0ELb1ES3_N6thrust23THRUST_200600_302600_NS6detail15normal_iteratorINS9_10device_ptrIiEEEESE_SE_iNS9_4plusIiEE19head_flag_predicateiEE10hipError_tPvRmT2_T3_T4_T5_mT6_T7_P12ihipStream_tbENKUlT_T0_E_clISt17integral_constantIbLb1EESY_EEDaST_SU_EUlST_E_NS1_11comp_targetILNS1_3genE2ELNS1_11target_archE906ELNS1_3gpuE6ELNS1_3repE0EEENS1_30default_config_static_selectorELNS0_4arch9wavefront6targetE0EEEvT1_.num_vgpr, 0
	.set _ZN7rocprim17ROCPRIM_400000_NS6detail17trampoline_kernelINS0_14default_configENS1_27scan_by_key_config_selectorIiiEEZZNS1_16scan_by_key_implILNS1_25lookback_scan_determinismE0ELb1ES3_N6thrust23THRUST_200600_302600_NS6detail15normal_iteratorINS9_10device_ptrIiEEEESE_SE_iNS9_4plusIiEE19head_flag_predicateiEE10hipError_tPvRmT2_T3_T4_T5_mT6_T7_P12ihipStream_tbENKUlT_T0_E_clISt17integral_constantIbLb1EESY_EEDaST_SU_EUlST_E_NS1_11comp_targetILNS1_3genE2ELNS1_11target_archE906ELNS1_3gpuE6ELNS1_3repE0EEENS1_30default_config_static_selectorELNS0_4arch9wavefront6targetE0EEEvT1_.num_agpr, 0
	.set _ZN7rocprim17ROCPRIM_400000_NS6detail17trampoline_kernelINS0_14default_configENS1_27scan_by_key_config_selectorIiiEEZZNS1_16scan_by_key_implILNS1_25lookback_scan_determinismE0ELb1ES3_N6thrust23THRUST_200600_302600_NS6detail15normal_iteratorINS9_10device_ptrIiEEEESE_SE_iNS9_4plusIiEE19head_flag_predicateiEE10hipError_tPvRmT2_T3_T4_T5_mT6_T7_P12ihipStream_tbENKUlT_T0_E_clISt17integral_constantIbLb1EESY_EEDaST_SU_EUlST_E_NS1_11comp_targetILNS1_3genE2ELNS1_11target_archE906ELNS1_3gpuE6ELNS1_3repE0EEENS1_30default_config_static_selectorELNS0_4arch9wavefront6targetE0EEEvT1_.numbered_sgpr, 0
	.set _ZN7rocprim17ROCPRIM_400000_NS6detail17trampoline_kernelINS0_14default_configENS1_27scan_by_key_config_selectorIiiEEZZNS1_16scan_by_key_implILNS1_25lookback_scan_determinismE0ELb1ES3_N6thrust23THRUST_200600_302600_NS6detail15normal_iteratorINS9_10device_ptrIiEEEESE_SE_iNS9_4plusIiEE19head_flag_predicateiEE10hipError_tPvRmT2_T3_T4_T5_mT6_T7_P12ihipStream_tbENKUlT_T0_E_clISt17integral_constantIbLb1EESY_EEDaST_SU_EUlST_E_NS1_11comp_targetILNS1_3genE2ELNS1_11target_archE906ELNS1_3gpuE6ELNS1_3repE0EEENS1_30default_config_static_selectorELNS0_4arch9wavefront6targetE0EEEvT1_.num_named_barrier, 0
	.set _ZN7rocprim17ROCPRIM_400000_NS6detail17trampoline_kernelINS0_14default_configENS1_27scan_by_key_config_selectorIiiEEZZNS1_16scan_by_key_implILNS1_25lookback_scan_determinismE0ELb1ES3_N6thrust23THRUST_200600_302600_NS6detail15normal_iteratorINS9_10device_ptrIiEEEESE_SE_iNS9_4plusIiEE19head_flag_predicateiEE10hipError_tPvRmT2_T3_T4_T5_mT6_T7_P12ihipStream_tbENKUlT_T0_E_clISt17integral_constantIbLb1EESY_EEDaST_SU_EUlST_E_NS1_11comp_targetILNS1_3genE2ELNS1_11target_archE906ELNS1_3gpuE6ELNS1_3repE0EEENS1_30default_config_static_selectorELNS0_4arch9wavefront6targetE0EEEvT1_.private_seg_size, 0
	.set _ZN7rocprim17ROCPRIM_400000_NS6detail17trampoline_kernelINS0_14default_configENS1_27scan_by_key_config_selectorIiiEEZZNS1_16scan_by_key_implILNS1_25lookback_scan_determinismE0ELb1ES3_N6thrust23THRUST_200600_302600_NS6detail15normal_iteratorINS9_10device_ptrIiEEEESE_SE_iNS9_4plusIiEE19head_flag_predicateiEE10hipError_tPvRmT2_T3_T4_T5_mT6_T7_P12ihipStream_tbENKUlT_T0_E_clISt17integral_constantIbLb1EESY_EEDaST_SU_EUlST_E_NS1_11comp_targetILNS1_3genE2ELNS1_11target_archE906ELNS1_3gpuE6ELNS1_3repE0EEENS1_30default_config_static_selectorELNS0_4arch9wavefront6targetE0EEEvT1_.uses_vcc, 0
	.set _ZN7rocprim17ROCPRIM_400000_NS6detail17trampoline_kernelINS0_14default_configENS1_27scan_by_key_config_selectorIiiEEZZNS1_16scan_by_key_implILNS1_25lookback_scan_determinismE0ELb1ES3_N6thrust23THRUST_200600_302600_NS6detail15normal_iteratorINS9_10device_ptrIiEEEESE_SE_iNS9_4plusIiEE19head_flag_predicateiEE10hipError_tPvRmT2_T3_T4_T5_mT6_T7_P12ihipStream_tbENKUlT_T0_E_clISt17integral_constantIbLb1EESY_EEDaST_SU_EUlST_E_NS1_11comp_targetILNS1_3genE2ELNS1_11target_archE906ELNS1_3gpuE6ELNS1_3repE0EEENS1_30default_config_static_selectorELNS0_4arch9wavefront6targetE0EEEvT1_.uses_flat_scratch, 0
	.set _ZN7rocprim17ROCPRIM_400000_NS6detail17trampoline_kernelINS0_14default_configENS1_27scan_by_key_config_selectorIiiEEZZNS1_16scan_by_key_implILNS1_25lookback_scan_determinismE0ELb1ES3_N6thrust23THRUST_200600_302600_NS6detail15normal_iteratorINS9_10device_ptrIiEEEESE_SE_iNS9_4plusIiEE19head_flag_predicateiEE10hipError_tPvRmT2_T3_T4_T5_mT6_T7_P12ihipStream_tbENKUlT_T0_E_clISt17integral_constantIbLb1EESY_EEDaST_SU_EUlST_E_NS1_11comp_targetILNS1_3genE2ELNS1_11target_archE906ELNS1_3gpuE6ELNS1_3repE0EEENS1_30default_config_static_selectorELNS0_4arch9wavefront6targetE0EEEvT1_.has_dyn_sized_stack, 0
	.set _ZN7rocprim17ROCPRIM_400000_NS6detail17trampoline_kernelINS0_14default_configENS1_27scan_by_key_config_selectorIiiEEZZNS1_16scan_by_key_implILNS1_25lookback_scan_determinismE0ELb1ES3_N6thrust23THRUST_200600_302600_NS6detail15normal_iteratorINS9_10device_ptrIiEEEESE_SE_iNS9_4plusIiEE19head_flag_predicateiEE10hipError_tPvRmT2_T3_T4_T5_mT6_T7_P12ihipStream_tbENKUlT_T0_E_clISt17integral_constantIbLb1EESY_EEDaST_SU_EUlST_E_NS1_11comp_targetILNS1_3genE2ELNS1_11target_archE906ELNS1_3gpuE6ELNS1_3repE0EEENS1_30default_config_static_selectorELNS0_4arch9wavefront6targetE0EEEvT1_.has_recursion, 0
	.set _ZN7rocprim17ROCPRIM_400000_NS6detail17trampoline_kernelINS0_14default_configENS1_27scan_by_key_config_selectorIiiEEZZNS1_16scan_by_key_implILNS1_25lookback_scan_determinismE0ELb1ES3_N6thrust23THRUST_200600_302600_NS6detail15normal_iteratorINS9_10device_ptrIiEEEESE_SE_iNS9_4plusIiEE19head_flag_predicateiEE10hipError_tPvRmT2_T3_T4_T5_mT6_T7_P12ihipStream_tbENKUlT_T0_E_clISt17integral_constantIbLb1EESY_EEDaST_SU_EUlST_E_NS1_11comp_targetILNS1_3genE2ELNS1_11target_archE906ELNS1_3gpuE6ELNS1_3repE0EEENS1_30default_config_static_selectorELNS0_4arch9wavefront6targetE0EEEvT1_.has_indirect_call, 0
	.section	.AMDGPU.csdata,"",@progbits
; Kernel info:
; codeLenInByte = 0
; TotalNumSgprs: 0
; NumVgprs: 0
; ScratchSize: 0
; MemoryBound: 0
; FloatMode: 240
; IeeeMode: 1
; LDSByteSize: 0 bytes/workgroup (compile time only)
; SGPRBlocks: 0
; VGPRBlocks: 0
; NumSGPRsForWavesPerEU: 1
; NumVGPRsForWavesPerEU: 1
; Occupancy: 16
; WaveLimiterHint : 0
; COMPUTE_PGM_RSRC2:SCRATCH_EN: 0
; COMPUTE_PGM_RSRC2:USER_SGPR: 6
; COMPUTE_PGM_RSRC2:TRAP_HANDLER: 0
; COMPUTE_PGM_RSRC2:TGID_X_EN: 1
; COMPUTE_PGM_RSRC2:TGID_Y_EN: 0
; COMPUTE_PGM_RSRC2:TGID_Z_EN: 0
; COMPUTE_PGM_RSRC2:TIDIG_COMP_CNT: 0
	.section	.text._ZN7rocprim17ROCPRIM_400000_NS6detail17trampoline_kernelINS0_14default_configENS1_27scan_by_key_config_selectorIiiEEZZNS1_16scan_by_key_implILNS1_25lookback_scan_determinismE0ELb1ES3_N6thrust23THRUST_200600_302600_NS6detail15normal_iteratorINS9_10device_ptrIiEEEESE_SE_iNS9_4plusIiEE19head_flag_predicateiEE10hipError_tPvRmT2_T3_T4_T5_mT6_T7_P12ihipStream_tbENKUlT_T0_E_clISt17integral_constantIbLb1EESY_EEDaST_SU_EUlST_E_NS1_11comp_targetILNS1_3genE10ELNS1_11target_archE1200ELNS1_3gpuE4ELNS1_3repE0EEENS1_30default_config_static_selectorELNS0_4arch9wavefront6targetE0EEEvT1_,"axG",@progbits,_ZN7rocprim17ROCPRIM_400000_NS6detail17trampoline_kernelINS0_14default_configENS1_27scan_by_key_config_selectorIiiEEZZNS1_16scan_by_key_implILNS1_25lookback_scan_determinismE0ELb1ES3_N6thrust23THRUST_200600_302600_NS6detail15normal_iteratorINS9_10device_ptrIiEEEESE_SE_iNS9_4plusIiEE19head_flag_predicateiEE10hipError_tPvRmT2_T3_T4_T5_mT6_T7_P12ihipStream_tbENKUlT_T0_E_clISt17integral_constantIbLb1EESY_EEDaST_SU_EUlST_E_NS1_11comp_targetILNS1_3genE10ELNS1_11target_archE1200ELNS1_3gpuE4ELNS1_3repE0EEENS1_30default_config_static_selectorELNS0_4arch9wavefront6targetE0EEEvT1_,comdat
	.protected	_ZN7rocprim17ROCPRIM_400000_NS6detail17trampoline_kernelINS0_14default_configENS1_27scan_by_key_config_selectorIiiEEZZNS1_16scan_by_key_implILNS1_25lookback_scan_determinismE0ELb1ES3_N6thrust23THRUST_200600_302600_NS6detail15normal_iteratorINS9_10device_ptrIiEEEESE_SE_iNS9_4plusIiEE19head_flag_predicateiEE10hipError_tPvRmT2_T3_T4_T5_mT6_T7_P12ihipStream_tbENKUlT_T0_E_clISt17integral_constantIbLb1EESY_EEDaST_SU_EUlST_E_NS1_11comp_targetILNS1_3genE10ELNS1_11target_archE1200ELNS1_3gpuE4ELNS1_3repE0EEENS1_30default_config_static_selectorELNS0_4arch9wavefront6targetE0EEEvT1_ ; -- Begin function _ZN7rocprim17ROCPRIM_400000_NS6detail17trampoline_kernelINS0_14default_configENS1_27scan_by_key_config_selectorIiiEEZZNS1_16scan_by_key_implILNS1_25lookback_scan_determinismE0ELb1ES3_N6thrust23THRUST_200600_302600_NS6detail15normal_iteratorINS9_10device_ptrIiEEEESE_SE_iNS9_4plusIiEE19head_flag_predicateiEE10hipError_tPvRmT2_T3_T4_T5_mT6_T7_P12ihipStream_tbENKUlT_T0_E_clISt17integral_constantIbLb1EESY_EEDaST_SU_EUlST_E_NS1_11comp_targetILNS1_3genE10ELNS1_11target_archE1200ELNS1_3gpuE4ELNS1_3repE0EEENS1_30default_config_static_selectorELNS0_4arch9wavefront6targetE0EEEvT1_
	.globl	_ZN7rocprim17ROCPRIM_400000_NS6detail17trampoline_kernelINS0_14default_configENS1_27scan_by_key_config_selectorIiiEEZZNS1_16scan_by_key_implILNS1_25lookback_scan_determinismE0ELb1ES3_N6thrust23THRUST_200600_302600_NS6detail15normal_iteratorINS9_10device_ptrIiEEEESE_SE_iNS9_4plusIiEE19head_flag_predicateiEE10hipError_tPvRmT2_T3_T4_T5_mT6_T7_P12ihipStream_tbENKUlT_T0_E_clISt17integral_constantIbLb1EESY_EEDaST_SU_EUlST_E_NS1_11comp_targetILNS1_3genE10ELNS1_11target_archE1200ELNS1_3gpuE4ELNS1_3repE0EEENS1_30default_config_static_selectorELNS0_4arch9wavefront6targetE0EEEvT1_
	.p2align	8
	.type	_ZN7rocprim17ROCPRIM_400000_NS6detail17trampoline_kernelINS0_14default_configENS1_27scan_by_key_config_selectorIiiEEZZNS1_16scan_by_key_implILNS1_25lookback_scan_determinismE0ELb1ES3_N6thrust23THRUST_200600_302600_NS6detail15normal_iteratorINS9_10device_ptrIiEEEESE_SE_iNS9_4plusIiEE19head_flag_predicateiEE10hipError_tPvRmT2_T3_T4_T5_mT6_T7_P12ihipStream_tbENKUlT_T0_E_clISt17integral_constantIbLb1EESY_EEDaST_SU_EUlST_E_NS1_11comp_targetILNS1_3genE10ELNS1_11target_archE1200ELNS1_3gpuE4ELNS1_3repE0EEENS1_30default_config_static_selectorELNS0_4arch9wavefront6targetE0EEEvT1_,@function
_ZN7rocprim17ROCPRIM_400000_NS6detail17trampoline_kernelINS0_14default_configENS1_27scan_by_key_config_selectorIiiEEZZNS1_16scan_by_key_implILNS1_25lookback_scan_determinismE0ELb1ES3_N6thrust23THRUST_200600_302600_NS6detail15normal_iteratorINS9_10device_ptrIiEEEESE_SE_iNS9_4plusIiEE19head_flag_predicateiEE10hipError_tPvRmT2_T3_T4_T5_mT6_T7_P12ihipStream_tbENKUlT_T0_E_clISt17integral_constantIbLb1EESY_EEDaST_SU_EUlST_E_NS1_11comp_targetILNS1_3genE10ELNS1_11target_archE1200ELNS1_3gpuE4ELNS1_3repE0EEENS1_30default_config_static_selectorELNS0_4arch9wavefront6targetE0EEEvT1_: ; @_ZN7rocprim17ROCPRIM_400000_NS6detail17trampoline_kernelINS0_14default_configENS1_27scan_by_key_config_selectorIiiEEZZNS1_16scan_by_key_implILNS1_25lookback_scan_determinismE0ELb1ES3_N6thrust23THRUST_200600_302600_NS6detail15normal_iteratorINS9_10device_ptrIiEEEESE_SE_iNS9_4plusIiEE19head_flag_predicateiEE10hipError_tPvRmT2_T3_T4_T5_mT6_T7_P12ihipStream_tbENKUlT_T0_E_clISt17integral_constantIbLb1EESY_EEDaST_SU_EUlST_E_NS1_11comp_targetILNS1_3genE10ELNS1_11target_archE1200ELNS1_3gpuE4ELNS1_3repE0EEENS1_30default_config_static_selectorELNS0_4arch9wavefront6targetE0EEEvT1_
; %bb.0:
	.section	.rodata,"a",@progbits
	.p2align	6, 0x0
	.amdhsa_kernel _ZN7rocprim17ROCPRIM_400000_NS6detail17trampoline_kernelINS0_14default_configENS1_27scan_by_key_config_selectorIiiEEZZNS1_16scan_by_key_implILNS1_25lookback_scan_determinismE0ELb1ES3_N6thrust23THRUST_200600_302600_NS6detail15normal_iteratorINS9_10device_ptrIiEEEESE_SE_iNS9_4plusIiEE19head_flag_predicateiEE10hipError_tPvRmT2_T3_T4_T5_mT6_T7_P12ihipStream_tbENKUlT_T0_E_clISt17integral_constantIbLb1EESY_EEDaST_SU_EUlST_E_NS1_11comp_targetILNS1_3genE10ELNS1_11target_archE1200ELNS1_3gpuE4ELNS1_3repE0EEENS1_30default_config_static_selectorELNS0_4arch9wavefront6targetE0EEEvT1_
		.amdhsa_group_segment_fixed_size 0
		.amdhsa_private_segment_fixed_size 0
		.amdhsa_kernarg_size 112
		.amdhsa_user_sgpr_count 6
		.amdhsa_user_sgpr_private_segment_buffer 1
		.amdhsa_user_sgpr_dispatch_ptr 0
		.amdhsa_user_sgpr_queue_ptr 0
		.amdhsa_user_sgpr_kernarg_segment_ptr 1
		.amdhsa_user_sgpr_dispatch_id 0
		.amdhsa_user_sgpr_flat_scratch_init 0
		.amdhsa_user_sgpr_private_segment_size 0
		.amdhsa_wavefront_size32 1
		.amdhsa_uses_dynamic_stack 0
		.amdhsa_system_sgpr_private_segment_wavefront_offset 0
		.amdhsa_system_sgpr_workgroup_id_x 1
		.amdhsa_system_sgpr_workgroup_id_y 0
		.amdhsa_system_sgpr_workgroup_id_z 0
		.amdhsa_system_sgpr_workgroup_info 0
		.amdhsa_system_vgpr_workitem_id 0
		.amdhsa_next_free_vgpr 1
		.amdhsa_next_free_sgpr 1
		.amdhsa_reserve_vcc 0
		.amdhsa_reserve_flat_scratch 0
		.amdhsa_float_round_mode_32 0
		.amdhsa_float_round_mode_16_64 0
		.amdhsa_float_denorm_mode_32 3
		.amdhsa_float_denorm_mode_16_64 3
		.amdhsa_dx10_clamp 1
		.amdhsa_ieee_mode 1
		.amdhsa_fp16_overflow 0
		.amdhsa_workgroup_processor_mode 1
		.amdhsa_memory_ordered 1
		.amdhsa_forward_progress 1
		.amdhsa_shared_vgpr_count 0
		.amdhsa_exception_fp_ieee_invalid_op 0
		.amdhsa_exception_fp_denorm_src 0
		.amdhsa_exception_fp_ieee_div_zero 0
		.amdhsa_exception_fp_ieee_overflow 0
		.amdhsa_exception_fp_ieee_underflow 0
		.amdhsa_exception_fp_ieee_inexact 0
		.amdhsa_exception_int_div_zero 0
	.end_amdhsa_kernel
	.section	.text._ZN7rocprim17ROCPRIM_400000_NS6detail17trampoline_kernelINS0_14default_configENS1_27scan_by_key_config_selectorIiiEEZZNS1_16scan_by_key_implILNS1_25lookback_scan_determinismE0ELb1ES3_N6thrust23THRUST_200600_302600_NS6detail15normal_iteratorINS9_10device_ptrIiEEEESE_SE_iNS9_4plusIiEE19head_flag_predicateiEE10hipError_tPvRmT2_T3_T4_T5_mT6_T7_P12ihipStream_tbENKUlT_T0_E_clISt17integral_constantIbLb1EESY_EEDaST_SU_EUlST_E_NS1_11comp_targetILNS1_3genE10ELNS1_11target_archE1200ELNS1_3gpuE4ELNS1_3repE0EEENS1_30default_config_static_selectorELNS0_4arch9wavefront6targetE0EEEvT1_,"axG",@progbits,_ZN7rocprim17ROCPRIM_400000_NS6detail17trampoline_kernelINS0_14default_configENS1_27scan_by_key_config_selectorIiiEEZZNS1_16scan_by_key_implILNS1_25lookback_scan_determinismE0ELb1ES3_N6thrust23THRUST_200600_302600_NS6detail15normal_iteratorINS9_10device_ptrIiEEEESE_SE_iNS9_4plusIiEE19head_flag_predicateiEE10hipError_tPvRmT2_T3_T4_T5_mT6_T7_P12ihipStream_tbENKUlT_T0_E_clISt17integral_constantIbLb1EESY_EEDaST_SU_EUlST_E_NS1_11comp_targetILNS1_3genE10ELNS1_11target_archE1200ELNS1_3gpuE4ELNS1_3repE0EEENS1_30default_config_static_selectorELNS0_4arch9wavefront6targetE0EEEvT1_,comdat
.Lfunc_end800:
	.size	_ZN7rocprim17ROCPRIM_400000_NS6detail17trampoline_kernelINS0_14default_configENS1_27scan_by_key_config_selectorIiiEEZZNS1_16scan_by_key_implILNS1_25lookback_scan_determinismE0ELb1ES3_N6thrust23THRUST_200600_302600_NS6detail15normal_iteratorINS9_10device_ptrIiEEEESE_SE_iNS9_4plusIiEE19head_flag_predicateiEE10hipError_tPvRmT2_T3_T4_T5_mT6_T7_P12ihipStream_tbENKUlT_T0_E_clISt17integral_constantIbLb1EESY_EEDaST_SU_EUlST_E_NS1_11comp_targetILNS1_3genE10ELNS1_11target_archE1200ELNS1_3gpuE4ELNS1_3repE0EEENS1_30default_config_static_selectorELNS0_4arch9wavefront6targetE0EEEvT1_, .Lfunc_end800-_ZN7rocprim17ROCPRIM_400000_NS6detail17trampoline_kernelINS0_14default_configENS1_27scan_by_key_config_selectorIiiEEZZNS1_16scan_by_key_implILNS1_25lookback_scan_determinismE0ELb1ES3_N6thrust23THRUST_200600_302600_NS6detail15normal_iteratorINS9_10device_ptrIiEEEESE_SE_iNS9_4plusIiEE19head_flag_predicateiEE10hipError_tPvRmT2_T3_T4_T5_mT6_T7_P12ihipStream_tbENKUlT_T0_E_clISt17integral_constantIbLb1EESY_EEDaST_SU_EUlST_E_NS1_11comp_targetILNS1_3genE10ELNS1_11target_archE1200ELNS1_3gpuE4ELNS1_3repE0EEENS1_30default_config_static_selectorELNS0_4arch9wavefront6targetE0EEEvT1_
                                        ; -- End function
	.set _ZN7rocprim17ROCPRIM_400000_NS6detail17trampoline_kernelINS0_14default_configENS1_27scan_by_key_config_selectorIiiEEZZNS1_16scan_by_key_implILNS1_25lookback_scan_determinismE0ELb1ES3_N6thrust23THRUST_200600_302600_NS6detail15normal_iteratorINS9_10device_ptrIiEEEESE_SE_iNS9_4plusIiEE19head_flag_predicateiEE10hipError_tPvRmT2_T3_T4_T5_mT6_T7_P12ihipStream_tbENKUlT_T0_E_clISt17integral_constantIbLb1EESY_EEDaST_SU_EUlST_E_NS1_11comp_targetILNS1_3genE10ELNS1_11target_archE1200ELNS1_3gpuE4ELNS1_3repE0EEENS1_30default_config_static_selectorELNS0_4arch9wavefront6targetE0EEEvT1_.num_vgpr, 0
	.set _ZN7rocprim17ROCPRIM_400000_NS6detail17trampoline_kernelINS0_14default_configENS1_27scan_by_key_config_selectorIiiEEZZNS1_16scan_by_key_implILNS1_25lookback_scan_determinismE0ELb1ES3_N6thrust23THRUST_200600_302600_NS6detail15normal_iteratorINS9_10device_ptrIiEEEESE_SE_iNS9_4plusIiEE19head_flag_predicateiEE10hipError_tPvRmT2_T3_T4_T5_mT6_T7_P12ihipStream_tbENKUlT_T0_E_clISt17integral_constantIbLb1EESY_EEDaST_SU_EUlST_E_NS1_11comp_targetILNS1_3genE10ELNS1_11target_archE1200ELNS1_3gpuE4ELNS1_3repE0EEENS1_30default_config_static_selectorELNS0_4arch9wavefront6targetE0EEEvT1_.num_agpr, 0
	.set _ZN7rocprim17ROCPRIM_400000_NS6detail17trampoline_kernelINS0_14default_configENS1_27scan_by_key_config_selectorIiiEEZZNS1_16scan_by_key_implILNS1_25lookback_scan_determinismE0ELb1ES3_N6thrust23THRUST_200600_302600_NS6detail15normal_iteratorINS9_10device_ptrIiEEEESE_SE_iNS9_4plusIiEE19head_flag_predicateiEE10hipError_tPvRmT2_T3_T4_T5_mT6_T7_P12ihipStream_tbENKUlT_T0_E_clISt17integral_constantIbLb1EESY_EEDaST_SU_EUlST_E_NS1_11comp_targetILNS1_3genE10ELNS1_11target_archE1200ELNS1_3gpuE4ELNS1_3repE0EEENS1_30default_config_static_selectorELNS0_4arch9wavefront6targetE0EEEvT1_.numbered_sgpr, 0
	.set _ZN7rocprim17ROCPRIM_400000_NS6detail17trampoline_kernelINS0_14default_configENS1_27scan_by_key_config_selectorIiiEEZZNS1_16scan_by_key_implILNS1_25lookback_scan_determinismE0ELb1ES3_N6thrust23THRUST_200600_302600_NS6detail15normal_iteratorINS9_10device_ptrIiEEEESE_SE_iNS9_4plusIiEE19head_flag_predicateiEE10hipError_tPvRmT2_T3_T4_T5_mT6_T7_P12ihipStream_tbENKUlT_T0_E_clISt17integral_constantIbLb1EESY_EEDaST_SU_EUlST_E_NS1_11comp_targetILNS1_3genE10ELNS1_11target_archE1200ELNS1_3gpuE4ELNS1_3repE0EEENS1_30default_config_static_selectorELNS0_4arch9wavefront6targetE0EEEvT1_.num_named_barrier, 0
	.set _ZN7rocprim17ROCPRIM_400000_NS6detail17trampoline_kernelINS0_14default_configENS1_27scan_by_key_config_selectorIiiEEZZNS1_16scan_by_key_implILNS1_25lookback_scan_determinismE0ELb1ES3_N6thrust23THRUST_200600_302600_NS6detail15normal_iteratorINS9_10device_ptrIiEEEESE_SE_iNS9_4plusIiEE19head_flag_predicateiEE10hipError_tPvRmT2_T3_T4_T5_mT6_T7_P12ihipStream_tbENKUlT_T0_E_clISt17integral_constantIbLb1EESY_EEDaST_SU_EUlST_E_NS1_11comp_targetILNS1_3genE10ELNS1_11target_archE1200ELNS1_3gpuE4ELNS1_3repE0EEENS1_30default_config_static_selectorELNS0_4arch9wavefront6targetE0EEEvT1_.private_seg_size, 0
	.set _ZN7rocprim17ROCPRIM_400000_NS6detail17trampoline_kernelINS0_14default_configENS1_27scan_by_key_config_selectorIiiEEZZNS1_16scan_by_key_implILNS1_25lookback_scan_determinismE0ELb1ES3_N6thrust23THRUST_200600_302600_NS6detail15normal_iteratorINS9_10device_ptrIiEEEESE_SE_iNS9_4plusIiEE19head_flag_predicateiEE10hipError_tPvRmT2_T3_T4_T5_mT6_T7_P12ihipStream_tbENKUlT_T0_E_clISt17integral_constantIbLb1EESY_EEDaST_SU_EUlST_E_NS1_11comp_targetILNS1_3genE10ELNS1_11target_archE1200ELNS1_3gpuE4ELNS1_3repE0EEENS1_30default_config_static_selectorELNS0_4arch9wavefront6targetE0EEEvT1_.uses_vcc, 0
	.set _ZN7rocprim17ROCPRIM_400000_NS6detail17trampoline_kernelINS0_14default_configENS1_27scan_by_key_config_selectorIiiEEZZNS1_16scan_by_key_implILNS1_25lookback_scan_determinismE0ELb1ES3_N6thrust23THRUST_200600_302600_NS6detail15normal_iteratorINS9_10device_ptrIiEEEESE_SE_iNS9_4plusIiEE19head_flag_predicateiEE10hipError_tPvRmT2_T3_T4_T5_mT6_T7_P12ihipStream_tbENKUlT_T0_E_clISt17integral_constantIbLb1EESY_EEDaST_SU_EUlST_E_NS1_11comp_targetILNS1_3genE10ELNS1_11target_archE1200ELNS1_3gpuE4ELNS1_3repE0EEENS1_30default_config_static_selectorELNS0_4arch9wavefront6targetE0EEEvT1_.uses_flat_scratch, 0
	.set _ZN7rocprim17ROCPRIM_400000_NS6detail17trampoline_kernelINS0_14default_configENS1_27scan_by_key_config_selectorIiiEEZZNS1_16scan_by_key_implILNS1_25lookback_scan_determinismE0ELb1ES3_N6thrust23THRUST_200600_302600_NS6detail15normal_iteratorINS9_10device_ptrIiEEEESE_SE_iNS9_4plusIiEE19head_flag_predicateiEE10hipError_tPvRmT2_T3_T4_T5_mT6_T7_P12ihipStream_tbENKUlT_T0_E_clISt17integral_constantIbLb1EESY_EEDaST_SU_EUlST_E_NS1_11comp_targetILNS1_3genE10ELNS1_11target_archE1200ELNS1_3gpuE4ELNS1_3repE0EEENS1_30default_config_static_selectorELNS0_4arch9wavefront6targetE0EEEvT1_.has_dyn_sized_stack, 0
	.set _ZN7rocprim17ROCPRIM_400000_NS6detail17trampoline_kernelINS0_14default_configENS1_27scan_by_key_config_selectorIiiEEZZNS1_16scan_by_key_implILNS1_25lookback_scan_determinismE0ELb1ES3_N6thrust23THRUST_200600_302600_NS6detail15normal_iteratorINS9_10device_ptrIiEEEESE_SE_iNS9_4plusIiEE19head_flag_predicateiEE10hipError_tPvRmT2_T3_T4_T5_mT6_T7_P12ihipStream_tbENKUlT_T0_E_clISt17integral_constantIbLb1EESY_EEDaST_SU_EUlST_E_NS1_11comp_targetILNS1_3genE10ELNS1_11target_archE1200ELNS1_3gpuE4ELNS1_3repE0EEENS1_30default_config_static_selectorELNS0_4arch9wavefront6targetE0EEEvT1_.has_recursion, 0
	.set _ZN7rocprim17ROCPRIM_400000_NS6detail17trampoline_kernelINS0_14default_configENS1_27scan_by_key_config_selectorIiiEEZZNS1_16scan_by_key_implILNS1_25lookback_scan_determinismE0ELb1ES3_N6thrust23THRUST_200600_302600_NS6detail15normal_iteratorINS9_10device_ptrIiEEEESE_SE_iNS9_4plusIiEE19head_flag_predicateiEE10hipError_tPvRmT2_T3_T4_T5_mT6_T7_P12ihipStream_tbENKUlT_T0_E_clISt17integral_constantIbLb1EESY_EEDaST_SU_EUlST_E_NS1_11comp_targetILNS1_3genE10ELNS1_11target_archE1200ELNS1_3gpuE4ELNS1_3repE0EEENS1_30default_config_static_selectorELNS0_4arch9wavefront6targetE0EEEvT1_.has_indirect_call, 0
	.section	.AMDGPU.csdata,"",@progbits
; Kernel info:
; codeLenInByte = 0
; TotalNumSgprs: 0
; NumVgprs: 0
; ScratchSize: 0
; MemoryBound: 0
; FloatMode: 240
; IeeeMode: 1
; LDSByteSize: 0 bytes/workgroup (compile time only)
; SGPRBlocks: 0
; VGPRBlocks: 0
; NumSGPRsForWavesPerEU: 1
; NumVGPRsForWavesPerEU: 1
; Occupancy: 16
; WaveLimiterHint : 0
; COMPUTE_PGM_RSRC2:SCRATCH_EN: 0
; COMPUTE_PGM_RSRC2:USER_SGPR: 6
; COMPUTE_PGM_RSRC2:TRAP_HANDLER: 0
; COMPUTE_PGM_RSRC2:TGID_X_EN: 1
; COMPUTE_PGM_RSRC2:TGID_Y_EN: 0
; COMPUTE_PGM_RSRC2:TGID_Z_EN: 0
; COMPUTE_PGM_RSRC2:TIDIG_COMP_CNT: 0
	.section	.text._ZN7rocprim17ROCPRIM_400000_NS6detail17trampoline_kernelINS0_14default_configENS1_27scan_by_key_config_selectorIiiEEZZNS1_16scan_by_key_implILNS1_25lookback_scan_determinismE0ELb1ES3_N6thrust23THRUST_200600_302600_NS6detail15normal_iteratorINS9_10device_ptrIiEEEESE_SE_iNS9_4plusIiEE19head_flag_predicateiEE10hipError_tPvRmT2_T3_T4_T5_mT6_T7_P12ihipStream_tbENKUlT_T0_E_clISt17integral_constantIbLb1EESY_EEDaST_SU_EUlST_E_NS1_11comp_targetILNS1_3genE9ELNS1_11target_archE1100ELNS1_3gpuE3ELNS1_3repE0EEENS1_30default_config_static_selectorELNS0_4arch9wavefront6targetE0EEEvT1_,"axG",@progbits,_ZN7rocprim17ROCPRIM_400000_NS6detail17trampoline_kernelINS0_14default_configENS1_27scan_by_key_config_selectorIiiEEZZNS1_16scan_by_key_implILNS1_25lookback_scan_determinismE0ELb1ES3_N6thrust23THRUST_200600_302600_NS6detail15normal_iteratorINS9_10device_ptrIiEEEESE_SE_iNS9_4plusIiEE19head_flag_predicateiEE10hipError_tPvRmT2_T3_T4_T5_mT6_T7_P12ihipStream_tbENKUlT_T0_E_clISt17integral_constantIbLb1EESY_EEDaST_SU_EUlST_E_NS1_11comp_targetILNS1_3genE9ELNS1_11target_archE1100ELNS1_3gpuE3ELNS1_3repE0EEENS1_30default_config_static_selectorELNS0_4arch9wavefront6targetE0EEEvT1_,comdat
	.protected	_ZN7rocprim17ROCPRIM_400000_NS6detail17trampoline_kernelINS0_14default_configENS1_27scan_by_key_config_selectorIiiEEZZNS1_16scan_by_key_implILNS1_25lookback_scan_determinismE0ELb1ES3_N6thrust23THRUST_200600_302600_NS6detail15normal_iteratorINS9_10device_ptrIiEEEESE_SE_iNS9_4plusIiEE19head_flag_predicateiEE10hipError_tPvRmT2_T3_T4_T5_mT6_T7_P12ihipStream_tbENKUlT_T0_E_clISt17integral_constantIbLb1EESY_EEDaST_SU_EUlST_E_NS1_11comp_targetILNS1_3genE9ELNS1_11target_archE1100ELNS1_3gpuE3ELNS1_3repE0EEENS1_30default_config_static_selectorELNS0_4arch9wavefront6targetE0EEEvT1_ ; -- Begin function _ZN7rocprim17ROCPRIM_400000_NS6detail17trampoline_kernelINS0_14default_configENS1_27scan_by_key_config_selectorIiiEEZZNS1_16scan_by_key_implILNS1_25lookback_scan_determinismE0ELb1ES3_N6thrust23THRUST_200600_302600_NS6detail15normal_iteratorINS9_10device_ptrIiEEEESE_SE_iNS9_4plusIiEE19head_flag_predicateiEE10hipError_tPvRmT2_T3_T4_T5_mT6_T7_P12ihipStream_tbENKUlT_T0_E_clISt17integral_constantIbLb1EESY_EEDaST_SU_EUlST_E_NS1_11comp_targetILNS1_3genE9ELNS1_11target_archE1100ELNS1_3gpuE3ELNS1_3repE0EEENS1_30default_config_static_selectorELNS0_4arch9wavefront6targetE0EEEvT1_
	.globl	_ZN7rocprim17ROCPRIM_400000_NS6detail17trampoline_kernelINS0_14default_configENS1_27scan_by_key_config_selectorIiiEEZZNS1_16scan_by_key_implILNS1_25lookback_scan_determinismE0ELb1ES3_N6thrust23THRUST_200600_302600_NS6detail15normal_iteratorINS9_10device_ptrIiEEEESE_SE_iNS9_4plusIiEE19head_flag_predicateiEE10hipError_tPvRmT2_T3_T4_T5_mT6_T7_P12ihipStream_tbENKUlT_T0_E_clISt17integral_constantIbLb1EESY_EEDaST_SU_EUlST_E_NS1_11comp_targetILNS1_3genE9ELNS1_11target_archE1100ELNS1_3gpuE3ELNS1_3repE0EEENS1_30default_config_static_selectorELNS0_4arch9wavefront6targetE0EEEvT1_
	.p2align	8
	.type	_ZN7rocprim17ROCPRIM_400000_NS6detail17trampoline_kernelINS0_14default_configENS1_27scan_by_key_config_selectorIiiEEZZNS1_16scan_by_key_implILNS1_25lookback_scan_determinismE0ELb1ES3_N6thrust23THRUST_200600_302600_NS6detail15normal_iteratorINS9_10device_ptrIiEEEESE_SE_iNS9_4plusIiEE19head_flag_predicateiEE10hipError_tPvRmT2_T3_T4_T5_mT6_T7_P12ihipStream_tbENKUlT_T0_E_clISt17integral_constantIbLb1EESY_EEDaST_SU_EUlST_E_NS1_11comp_targetILNS1_3genE9ELNS1_11target_archE1100ELNS1_3gpuE3ELNS1_3repE0EEENS1_30default_config_static_selectorELNS0_4arch9wavefront6targetE0EEEvT1_,@function
_ZN7rocprim17ROCPRIM_400000_NS6detail17trampoline_kernelINS0_14default_configENS1_27scan_by_key_config_selectorIiiEEZZNS1_16scan_by_key_implILNS1_25lookback_scan_determinismE0ELb1ES3_N6thrust23THRUST_200600_302600_NS6detail15normal_iteratorINS9_10device_ptrIiEEEESE_SE_iNS9_4plusIiEE19head_flag_predicateiEE10hipError_tPvRmT2_T3_T4_T5_mT6_T7_P12ihipStream_tbENKUlT_T0_E_clISt17integral_constantIbLb1EESY_EEDaST_SU_EUlST_E_NS1_11comp_targetILNS1_3genE9ELNS1_11target_archE1100ELNS1_3gpuE3ELNS1_3repE0EEENS1_30default_config_static_selectorELNS0_4arch9wavefront6targetE0EEEvT1_: ; @_ZN7rocprim17ROCPRIM_400000_NS6detail17trampoline_kernelINS0_14default_configENS1_27scan_by_key_config_selectorIiiEEZZNS1_16scan_by_key_implILNS1_25lookback_scan_determinismE0ELb1ES3_N6thrust23THRUST_200600_302600_NS6detail15normal_iteratorINS9_10device_ptrIiEEEESE_SE_iNS9_4plusIiEE19head_flag_predicateiEE10hipError_tPvRmT2_T3_T4_T5_mT6_T7_P12ihipStream_tbENKUlT_T0_E_clISt17integral_constantIbLb1EESY_EEDaST_SU_EUlST_E_NS1_11comp_targetILNS1_3genE9ELNS1_11target_archE1100ELNS1_3gpuE3ELNS1_3repE0EEENS1_30default_config_static_selectorELNS0_4arch9wavefront6targetE0EEEvT1_
; %bb.0:
	.section	.rodata,"a",@progbits
	.p2align	6, 0x0
	.amdhsa_kernel _ZN7rocprim17ROCPRIM_400000_NS6detail17trampoline_kernelINS0_14default_configENS1_27scan_by_key_config_selectorIiiEEZZNS1_16scan_by_key_implILNS1_25lookback_scan_determinismE0ELb1ES3_N6thrust23THRUST_200600_302600_NS6detail15normal_iteratorINS9_10device_ptrIiEEEESE_SE_iNS9_4plusIiEE19head_flag_predicateiEE10hipError_tPvRmT2_T3_T4_T5_mT6_T7_P12ihipStream_tbENKUlT_T0_E_clISt17integral_constantIbLb1EESY_EEDaST_SU_EUlST_E_NS1_11comp_targetILNS1_3genE9ELNS1_11target_archE1100ELNS1_3gpuE3ELNS1_3repE0EEENS1_30default_config_static_selectorELNS0_4arch9wavefront6targetE0EEEvT1_
		.amdhsa_group_segment_fixed_size 0
		.amdhsa_private_segment_fixed_size 0
		.amdhsa_kernarg_size 112
		.amdhsa_user_sgpr_count 6
		.amdhsa_user_sgpr_private_segment_buffer 1
		.amdhsa_user_sgpr_dispatch_ptr 0
		.amdhsa_user_sgpr_queue_ptr 0
		.amdhsa_user_sgpr_kernarg_segment_ptr 1
		.amdhsa_user_sgpr_dispatch_id 0
		.amdhsa_user_sgpr_flat_scratch_init 0
		.amdhsa_user_sgpr_private_segment_size 0
		.amdhsa_wavefront_size32 1
		.amdhsa_uses_dynamic_stack 0
		.amdhsa_system_sgpr_private_segment_wavefront_offset 0
		.amdhsa_system_sgpr_workgroup_id_x 1
		.amdhsa_system_sgpr_workgroup_id_y 0
		.amdhsa_system_sgpr_workgroup_id_z 0
		.amdhsa_system_sgpr_workgroup_info 0
		.amdhsa_system_vgpr_workitem_id 0
		.amdhsa_next_free_vgpr 1
		.amdhsa_next_free_sgpr 1
		.amdhsa_reserve_vcc 0
		.amdhsa_reserve_flat_scratch 0
		.amdhsa_float_round_mode_32 0
		.amdhsa_float_round_mode_16_64 0
		.amdhsa_float_denorm_mode_32 3
		.amdhsa_float_denorm_mode_16_64 3
		.amdhsa_dx10_clamp 1
		.amdhsa_ieee_mode 1
		.amdhsa_fp16_overflow 0
		.amdhsa_workgroup_processor_mode 1
		.amdhsa_memory_ordered 1
		.amdhsa_forward_progress 1
		.amdhsa_shared_vgpr_count 0
		.amdhsa_exception_fp_ieee_invalid_op 0
		.amdhsa_exception_fp_denorm_src 0
		.amdhsa_exception_fp_ieee_div_zero 0
		.amdhsa_exception_fp_ieee_overflow 0
		.amdhsa_exception_fp_ieee_underflow 0
		.amdhsa_exception_fp_ieee_inexact 0
		.amdhsa_exception_int_div_zero 0
	.end_amdhsa_kernel
	.section	.text._ZN7rocprim17ROCPRIM_400000_NS6detail17trampoline_kernelINS0_14default_configENS1_27scan_by_key_config_selectorIiiEEZZNS1_16scan_by_key_implILNS1_25lookback_scan_determinismE0ELb1ES3_N6thrust23THRUST_200600_302600_NS6detail15normal_iteratorINS9_10device_ptrIiEEEESE_SE_iNS9_4plusIiEE19head_flag_predicateiEE10hipError_tPvRmT2_T3_T4_T5_mT6_T7_P12ihipStream_tbENKUlT_T0_E_clISt17integral_constantIbLb1EESY_EEDaST_SU_EUlST_E_NS1_11comp_targetILNS1_3genE9ELNS1_11target_archE1100ELNS1_3gpuE3ELNS1_3repE0EEENS1_30default_config_static_selectorELNS0_4arch9wavefront6targetE0EEEvT1_,"axG",@progbits,_ZN7rocprim17ROCPRIM_400000_NS6detail17trampoline_kernelINS0_14default_configENS1_27scan_by_key_config_selectorIiiEEZZNS1_16scan_by_key_implILNS1_25lookback_scan_determinismE0ELb1ES3_N6thrust23THRUST_200600_302600_NS6detail15normal_iteratorINS9_10device_ptrIiEEEESE_SE_iNS9_4plusIiEE19head_flag_predicateiEE10hipError_tPvRmT2_T3_T4_T5_mT6_T7_P12ihipStream_tbENKUlT_T0_E_clISt17integral_constantIbLb1EESY_EEDaST_SU_EUlST_E_NS1_11comp_targetILNS1_3genE9ELNS1_11target_archE1100ELNS1_3gpuE3ELNS1_3repE0EEENS1_30default_config_static_selectorELNS0_4arch9wavefront6targetE0EEEvT1_,comdat
.Lfunc_end801:
	.size	_ZN7rocprim17ROCPRIM_400000_NS6detail17trampoline_kernelINS0_14default_configENS1_27scan_by_key_config_selectorIiiEEZZNS1_16scan_by_key_implILNS1_25lookback_scan_determinismE0ELb1ES3_N6thrust23THRUST_200600_302600_NS6detail15normal_iteratorINS9_10device_ptrIiEEEESE_SE_iNS9_4plusIiEE19head_flag_predicateiEE10hipError_tPvRmT2_T3_T4_T5_mT6_T7_P12ihipStream_tbENKUlT_T0_E_clISt17integral_constantIbLb1EESY_EEDaST_SU_EUlST_E_NS1_11comp_targetILNS1_3genE9ELNS1_11target_archE1100ELNS1_3gpuE3ELNS1_3repE0EEENS1_30default_config_static_selectorELNS0_4arch9wavefront6targetE0EEEvT1_, .Lfunc_end801-_ZN7rocprim17ROCPRIM_400000_NS6detail17trampoline_kernelINS0_14default_configENS1_27scan_by_key_config_selectorIiiEEZZNS1_16scan_by_key_implILNS1_25lookback_scan_determinismE0ELb1ES3_N6thrust23THRUST_200600_302600_NS6detail15normal_iteratorINS9_10device_ptrIiEEEESE_SE_iNS9_4plusIiEE19head_flag_predicateiEE10hipError_tPvRmT2_T3_T4_T5_mT6_T7_P12ihipStream_tbENKUlT_T0_E_clISt17integral_constantIbLb1EESY_EEDaST_SU_EUlST_E_NS1_11comp_targetILNS1_3genE9ELNS1_11target_archE1100ELNS1_3gpuE3ELNS1_3repE0EEENS1_30default_config_static_selectorELNS0_4arch9wavefront6targetE0EEEvT1_
                                        ; -- End function
	.set _ZN7rocprim17ROCPRIM_400000_NS6detail17trampoline_kernelINS0_14default_configENS1_27scan_by_key_config_selectorIiiEEZZNS1_16scan_by_key_implILNS1_25lookback_scan_determinismE0ELb1ES3_N6thrust23THRUST_200600_302600_NS6detail15normal_iteratorINS9_10device_ptrIiEEEESE_SE_iNS9_4plusIiEE19head_flag_predicateiEE10hipError_tPvRmT2_T3_T4_T5_mT6_T7_P12ihipStream_tbENKUlT_T0_E_clISt17integral_constantIbLb1EESY_EEDaST_SU_EUlST_E_NS1_11comp_targetILNS1_3genE9ELNS1_11target_archE1100ELNS1_3gpuE3ELNS1_3repE0EEENS1_30default_config_static_selectorELNS0_4arch9wavefront6targetE0EEEvT1_.num_vgpr, 0
	.set _ZN7rocprim17ROCPRIM_400000_NS6detail17trampoline_kernelINS0_14default_configENS1_27scan_by_key_config_selectorIiiEEZZNS1_16scan_by_key_implILNS1_25lookback_scan_determinismE0ELb1ES3_N6thrust23THRUST_200600_302600_NS6detail15normal_iteratorINS9_10device_ptrIiEEEESE_SE_iNS9_4plusIiEE19head_flag_predicateiEE10hipError_tPvRmT2_T3_T4_T5_mT6_T7_P12ihipStream_tbENKUlT_T0_E_clISt17integral_constantIbLb1EESY_EEDaST_SU_EUlST_E_NS1_11comp_targetILNS1_3genE9ELNS1_11target_archE1100ELNS1_3gpuE3ELNS1_3repE0EEENS1_30default_config_static_selectorELNS0_4arch9wavefront6targetE0EEEvT1_.num_agpr, 0
	.set _ZN7rocprim17ROCPRIM_400000_NS6detail17trampoline_kernelINS0_14default_configENS1_27scan_by_key_config_selectorIiiEEZZNS1_16scan_by_key_implILNS1_25lookback_scan_determinismE0ELb1ES3_N6thrust23THRUST_200600_302600_NS6detail15normal_iteratorINS9_10device_ptrIiEEEESE_SE_iNS9_4plusIiEE19head_flag_predicateiEE10hipError_tPvRmT2_T3_T4_T5_mT6_T7_P12ihipStream_tbENKUlT_T0_E_clISt17integral_constantIbLb1EESY_EEDaST_SU_EUlST_E_NS1_11comp_targetILNS1_3genE9ELNS1_11target_archE1100ELNS1_3gpuE3ELNS1_3repE0EEENS1_30default_config_static_selectorELNS0_4arch9wavefront6targetE0EEEvT1_.numbered_sgpr, 0
	.set _ZN7rocprim17ROCPRIM_400000_NS6detail17trampoline_kernelINS0_14default_configENS1_27scan_by_key_config_selectorIiiEEZZNS1_16scan_by_key_implILNS1_25lookback_scan_determinismE0ELb1ES3_N6thrust23THRUST_200600_302600_NS6detail15normal_iteratorINS9_10device_ptrIiEEEESE_SE_iNS9_4plusIiEE19head_flag_predicateiEE10hipError_tPvRmT2_T3_T4_T5_mT6_T7_P12ihipStream_tbENKUlT_T0_E_clISt17integral_constantIbLb1EESY_EEDaST_SU_EUlST_E_NS1_11comp_targetILNS1_3genE9ELNS1_11target_archE1100ELNS1_3gpuE3ELNS1_3repE0EEENS1_30default_config_static_selectorELNS0_4arch9wavefront6targetE0EEEvT1_.num_named_barrier, 0
	.set _ZN7rocprim17ROCPRIM_400000_NS6detail17trampoline_kernelINS0_14default_configENS1_27scan_by_key_config_selectorIiiEEZZNS1_16scan_by_key_implILNS1_25lookback_scan_determinismE0ELb1ES3_N6thrust23THRUST_200600_302600_NS6detail15normal_iteratorINS9_10device_ptrIiEEEESE_SE_iNS9_4plusIiEE19head_flag_predicateiEE10hipError_tPvRmT2_T3_T4_T5_mT6_T7_P12ihipStream_tbENKUlT_T0_E_clISt17integral_constantIbLb1EESY_EEDaST_SU_EUlST_E_NS1_11comp_targetILNS1_3genE9ELNS1_11target_archE1100ELNS1_3gpuE3ELNS1_3repE0EEENS1_30default_config_static_selectorELNS0_4arch9wavefront6targetE0EEEvT1_.private_seg_size, 0
	.set _ZN7rocprim17ROCPRIM_400000_NS6detail17trampoline_kernelINS0_14default_configENS1_27scan_by_key_config_selectorIiiEEZZNS1_16scan_by_key_implILNS1_25lookback_scan_determinismE0ELb1ES3_N6thrust23THRUST_200600_302600_NS6detail15normal_iteratorINS9_10device_ptrIiEEEESE_SE_iNS9_4plusIiEE19head_flag_predicateiEE10hipError_tPvRmT2_T3_T4_T5_mT6_T7_P12ihipStream_tbENKUlT_T0_E_clISt17integral_constantIbLb1EESY_EEDaST_SU_EUlST_E_NS1_11comp_targetILNS1_3genE9ELNS1_11target_archE1100ELNS1_3gpuE3ELNS1_3repE0EEENS1_30default_config_static_selectorELNS0_4arch9wavefront6targetE0EEEvT1_.uses_vcc, 0
	.set _ZN7rocprim17ROCPRIM_400000_NS6detail17trampoline_kernelINS0_14default_configENS1_27scan_by_key_config_selectorIiiEEZZNS1_16scan_by_key_implILNS1_25lookback_scan_determinismE0ELb1ES3_N6thrust23THRUST_200600_302600_NS6detail15normal_iteratorINS9_10device_ptrIiEEEESE_SE_iNS9_4plusIiEE19head_flag_predicateiEE10hipError_tPvRmT2_T3_T4_T5_mT6_T7_P12ihipStream_tbENKUlT_T0_E_clISt17integral_constantIbLb1EESY_EEDaST_SU_EUlST_E_NS1_11comp_targetILNS1_3genE9ELNS1_11target_archE1100ELNS1_3gpuE3ELNS1_3repE0EEENS1_30default_config_static_selectorELNS0_4arch9wavefront6targetE0EEEvT1_.uses_flat_scratch, 0
	.set _ZN7rocprim17ROCPRIM_400000_NS6detail17trampoline_kernelINS0_14default_configENS1_27scan_by_key_config_selectorIiiEEZZNS1_16scan_by_key_implILNS1_25lookback_scan_determinismE0ELb1ES3_N6thrust23THRUST_200600_302600_NS6detail15normal_iteratorINS9_10device_ptrIiEEEESE_SE_iNS9_4plusIiEE19head_flag_predicateiEE10hipError_tPvRmT2_T3_T4_T5_mT6_T7_P12ihipStream_tbENKUlT_T0_E_clISt17integral_constantIbLb1EESY_EEDaST_SU_EUlST_E_NS1_11comp_targetILNS1_3genE9ELNS1_11target_archE1100ELNS1_3gpuE3ELNS1_3repE0EEENS1_30default_config_static_selectorELNS0_4arch9wavefront6targetE0EEEvT1_.has_dyn_sized_stack, 0
	.set _ZN7rocprim17ROCPRIM_400000_NS6detail17trampoline_kernelINS0_14default_configENS1_27scan_by_key_config_selectorIiiEEZZNS1_16scan_by_key_implILNS1_25lookback_scan_determinismE0ELb1ES3_N6thrust23THRUST_200600_302600_NS6detail15normal_iteratorINS9_10device_ptrIiEEEESE_SE_iNS9_4plusIiEE19head_flag_predicateiEE10hipError_tPvRmT2_T3_T4_T5_mT6_T7_P12ihipStream_tbENKUlT_T0_E_clISt17integral_constantIbLb1EESY_EEDaST_SU_EUlST_E_NS1_11comp_targetILNS1_3genE9ELNS1_11target_archE1100ELNS1_3gpuE3ELNS1_3repE0EEENS1_30default_config_static_selectorELNS0_4arch9wavefront6targetE0EEEvT1_.has_recursion, 0
	.set _ZN7rocprim17ROCPRIM_400000_NS6detail17trampoline_kernelINS0_14default_configENS1_27scan_by_key_config_selectorIiiEEZZNS1_16scan_by_key_implILNS1_25lookback_scan_determinismE0ELb1ES3_N6thrust23THRUST_200600_302600_NS6detail15normal_iteratorINS9_10device_ptrIiEEEESE_SE_iNS9_4plusIiEE19head_flag_predicateiEE10hipError_tPvRmT2_T3_T4_T5_mT6_T7_P12ihipStream_tbENKUlT_T0_E_clISt17integral_constantIbLb1EESY_EEDaST_SU_EUlST_E_NS1_11comp_targetILNS1_3genE9ELNS1_11target_archE1100ELNS1_3gpuE3ELNS1_3repE0EEENS1_30default_config_static_selectorELNS0_4arch9wavefront6targetE0EEEvT1_.has_indirect_call, 0
	.section	.AMDGPU.csdata,"",@progbits
; Kernel info:
; codeLenInByte = 0
; TotalNumSgprs: 0
; NumVgprs: 0
; ScratchSize: 0
; MemoryBound: 0
; FloatMode: 240
; IeeeMode: 1
; LDSByteSize: 0 bytes/workgroup (compile time only)
; SGPRBlocks: 0
; VGPRBlocks: 0
; NumSGPRsForWavesPerEU: 1
; NumVGPRsForWavesPerEU: 1
; Occupancy: 16
; WaveLimiterHint : 0
; COMPUTE_PGM_RSRC2:SCRATCH_EN: 0
; COMPUTE_PGM_RSRC2:USER_SGPR: 6
; COMPUTE_PGM_RSRC2:TRAP_HANDLER: 0
; COMPUTE_PGM_RSRC2:TGID_X_EN: 1
; COMPUTE_PGM_RSRC2:TGID_Y_EN: 0
; COMPUTE_PGM_RSRC2:TGID_Z_EN: 0
; COMPUTE_PGM_RSRC2:TIDIG_COMP_CNT: 0
	.section	.text._ZN7rocprim17ROCPRIM_400000_NS6detail17trampoline_kernelINS0_14default_configENS1_27scan_by_key_config_selectorIiiEEZZNS1_16scan_by_key_implILNS1_25lookback_scan_determinismE0ELb1ES3_N6thrust23THRUST_200600_302600_NS6detail15normal_iteratorINS9_10device_ptrIiEEEESE_SE_iNS9_4plusIiEE19head_flag_predicateiEE10hipError_tPvRmT2_T3_T4_T5_mT6_T7_P12ihipStream_tbENKUlT_T0_E_clISt17integral_constantIbLb1EESY_EEDaST_SU_EUlST_E_NS1_11comp_targetILNS1_3genE8ELNS1_11target_archE1030ELNS1_3gpuE2ELNS1_3repE0EEENS1_30default_config_static_selectorELNS0_4arch9wavefront6targetE0EEEvT1_,"axG",@progbits,_ZN7rocprim17ROCPRIM_400000_NS6detail17trampoline_kernelINS0_14default_configENS1_27scan_by_key_config_selectorIiiEEZZNS1_16scan_by_key_implILNS1_25lookback_scan_determinismE0ELb1ES3_N6thrust23THRUST_200600_302600_NS6detail15normal_iteratorINS9_10device_ptrIiEEEESE_SE_iNS9_4plusIiEE19head_flag_predicateiEE10hipError_tPvRmT2_T3_T4_T5_mT6_T7_P12ihipStream_tbENKUlT_T0_E_clISt17integral_constantIbLb1EESY_EEDaST_SU_EUlST_E_NS1_11comp_targetILNS1_3genE8ELNS1_11target_archE1030ELNS1_3gpuE2ELNS1_3repE0EEENS1_30default_config_static_selectorELNS0_4arch9wavefront6targetE0EEEvT1_,comdat
	.protected	_ZN7rocprim17ROCPRIM_400000_NS6detail17trampoline_kernelINS0_14default_configENS1_27scan_by_key_config_selectorIiiEEZZNS1_16scan_by_key_implILNS1_25lookback_scan_determinismE0ELb1ES3_N6thrust23THRUST_200600_302600_NS6detail15normal_iteratorINS9_10device_ptrIiEEEESE_SE_iNS9_4plusIiEE19head_flag_predicateiEE10hipError_tPvRmT2_T3_T4_T5_mT6_T7_P12ihipStream_tbENKUlT_T0_E_clISt17integral_constantIbLb1EESY_EEDaST_SU_EUlST_E_NS1_11comp_targetILNS1_3genE8ELNS1_11target_archE1030ELNS1_3gpuE2ELNS1_3repE0EEENS1_30default_config_static_selectorELNS0_4arch9wavefront6targetE0EEEvT1_ ; -- Begin function _ZN7rocprim17ROCPRIM_400000_NS6detail17trampoline_kernelINS0_14default_configENS1_27scan_by_key_config_selectorIiiEEZZNS1_16scan_by_key_implILNS1_25lookback_scan_determinismE0ELb1ES3_N6thrust23THRUST_200600_302600_NS6detail15normal_iteratorINS9_10device_ptrIiEEEESE_SE_iNS9_4plusIiEE19head_flag_predicateiEE10hipError_tPvRmT2_T3_T4_T5_mT6_T7_P12ihipStream_tbENKUlT_T0_E_clISt17integral_constantIbLb1EESY_EEDaST_SU_EUlST_E_NS1_11comp_targetILNS1_3genE8ELNS1_11target_archE1030ELNS1_3gpuE2ELNS1_3repE0EEENS1_30default_config_static_selectorELNS0_4arch9wavefront6targetE0EEEvT1_
	.globl	_ZN7rocprim17ROCPRIM_400000_NS6detail17trampoline_kernelINS0_14default_configENS1_27scan_by_key_config_selectorIiiEEZZNS1_16scan_by_key_implILNS1_25lookback_scan_determinismE0ELb1ES3_N6thrust23THRUST_200600_302600_NS6detail15normal_iteratorINS9_10device_ptrIiEEEESE_SE_iNS9_4plusIiEE19head_flag_predicateiEE10hipError_tPvRmT2_T3_T4_T5_mT6_T7_P12ihipStream_tbENKUlT_T0_E_clISt17integral_constantIbLb1EESY_EEDaST_SU_EUlST_E_NS1_11comp_targetILNS1_3genE8ELNS1_11target_archE1030ELNS1_3gpuE2ELNS1_3repE0EEENS1_30default_config_static_selectorELNS0_4arch9wavefront6targetE0EEEvT1_
	.p2align	8
	.type	_ZN7rocprim17ROCPRIM_400000_NS6detail17trampoline_kernelINS0_14default_configENS1_27scan_by_key_config_selectorIiiEEZZNS1_16scan_by_key_implILNS1_25lookback_scan_determinismE0ELb1ES3_N6thrust23THRUST_200600_302600_NS6detail15normal_iteratorINS9_10device_ptrIiEEEESE_SE_iNS9_4plusIiEE19head_flag_predicateiEE10hipError_tPvRmT2_T3_T4_T5_mT6_T7_P12ihipStream_tbENKUlT_T0_E_clISt17integral_constantIbLb1EESY_EEDaST_SU_EUlST_E_NS1_11comp_targetILNS1_3genE8ELNS1_11target_archE1030ELNS1_3gpuE2ELNS1_3repE0EEENS1_30default_config_static_selectorELNS0_4arch9wavefront6targetE0EEEvT1_,@function
_ZN7rocprim17ROCPRIM_400000_NS6detail17trampoline_kernelINS0_14default_configENS1_27scan_by_key_config_selectorIiiEEZZNS1_16scan_by_key_implILNS1_25lookback_scan_determinismE0ELb1ES3_N6thrust23THRUST_200600_302600_NS6detail15normal_iteratorINS9_10device_ptrIiEEEESE_SE_iNS9_4plusIiEE19head_flag_predicateiEE10hipError_tPvRmT2_T3_T4_T5_mT6_T7_P12ihipStream_tbENKUlT_T0_E_clISt17integral_constantIbLb1EESY_EEDaST_SU_EUlST_E_NS1_11comp_targetILNS1_3genE8ELNS1_11target_archE1030ELNS1_3gpuE2ELNS1_3repE0EEENS1_30default_config_static_selectorELNS0_4arch9wavefront6targetE0EEEvT1_: ; @_ZN7rocprim17ROCPRIM_400000_NS6detail17trampoline_kernelINS0_14default_configENS1_27scan_by_key_config_selectorIiiEEZZNS1_16scan_by_key_implILNS1_25lookback_scan_determinismE0ELb1ES3_N6thrust23THRUST_200600_302600_NS6detail15normal_iteratorINS9_10device_ptrIiEEEESE_SE_iNS9_4plusIiEE19head_flag_predicateiEE10hipError_tPvRmT2_T3_T4_T5_mT6_T7_P12ihipStream_tbENKUlT_T0_E_clISt17integral_constantIbLb1EESY_EEDaST_SU_EUlST_E_NS1_11comp_targetILNS1_3genE8ELNS1_11target_archE1030ELNS1_3gpuE2ELNS1_3repE0EEENS1_30default_config_static_selectorELNS0_4arch9wavefront6targetE0EEEvT1_
; %bb.0:
	s_endpgm
	.section	.rodata,"a",@progbits
	.p2align	6, 0x0
	.amdhsa_kernel _ZN7rocprim17ROCPRIM_400000_NS6detail17trampoline_kernelINS0_14default_configENS1_27scan_by_key_config_selectorIiiEEZZNS1_16scan_by_key_implILNS1_25lookback_scan_determinismE0ELb1ES3_N6thrust23THRUST_200600_302600_NS6detail15normal_iteratorINS9_10device_ptrIiEEEESE_SE_iNS9_4plusIiEE19head_flag_predicateiEE10hipError_tPvRmT2_T3_T4_T5_mT6_T7_P12ihipStream_tbENKUlT_T0_E_clISt17integral_constantIbLb1EESY_EEDaST_SU_EUlST_E_NS1_11comp_targetILNS1_3genE8ELNS1_11target_archE1030ELNS1_3gpuE2ELNS1_3repE0EEENS1_30default_config_static_selectorELNS0_4arch9wavefront6targetE0EEEvT1_
		.amdhsa_group_segment_fixed_size 0
		.amdhsa_private_segment_fixed_size 0
		.amdhsa_kernarg_size 112
		.amdhsa_user_sgpr_count 6
		.amdhsa_user_sgpr_private_segment_buffer 1
		.amdhsa_user_sgpr_dispatch_ptr 0
		.amdhsa_user_sgpr_queue_ptr 0
		.amdhsa_user_sgpr_kernarg_segment_ptr 1
		.amdhsa_user_sgpr_dispatch_id 0
		.amdhsa_user_sgpr_flat_scratch_init 0
		.amdhsa_user_sgpr_private_segment_size 0
		.amdhsa_wavefront_size32 1
		.amdhsa_uses_dynamic_stack 0
		.amdhsa_system_sgpr_private_segment_wavefront_offset 0
		.amdhsa_system_sgpr_workgroup_id_x 1
		.amdhsa_system_sgpr_workgroup_id_y 0
		.amdhsa_system_sgpr_workgroup_id_z 0
		.amdhsa_system_sgpr_workgroup_info 0
		.amdhsa_system_vgpr_workitem_id 0
		.amdhsa_next_free_vgpr 1
		.amdhsa_next_free_sgpr 1
		.amdhsa_reserve_vcc 0
		.amdhsa_reserve_flat_scratch 0
		.amdhsa_float_round_mode_32 0
		.amdhsa_float_round_mode_16_64 0
		.amdhsa_float_denorm_mode_32 3
		.amdhsa_float_denorm_mode_16_64 3
		.amdhsa_dx10_clamp 1
		.amdhsa_ieee_mode 1
		.amdhsa_fp16_overflow 0
		.amdhsa_workgroup_processor_mode 1
		.amdhsa_memory_ordered 1
		.amdhsa_forward_progress 1
		.amdhsa_shared_vgpr_count 0
		.amdhsa_exception_fp_ieee_invalid_op 0
		.amdhsa_exception_fp_denorm_src 0
		.amdhsa_exception_fp_ieee_div_zero 0
		.amdhsa_exception_fp_ieee_overflow 0
		.amdhsa_exception_fp_ieee_underflow 0
		.amdhsa_exception_fp_ieee_inexact 0
		.amdhsa_exception_int_div_zero 0
	.end_amdhsa_kernel
	.section	.text._ZN7rocprim17ROCPRIM_400000_NS6detail17trampoline_kernelINS0_14default_configENS1_27scan_by_key_config_selectorIiiEEZZNS1_16scan_by_key_implILNS1_25lookback_scan_determinismE0ELb1ES3_N6thrust23THRUST_200600_302600_NS6detail15normal_iteratorINS9_10device_ptrIiEEEESE_SE_iNS9_4plusIiEE19head_flag_predicateiEE10hipError_tPvRmT2_T3_T4_T5_mT6_T7_P12ihipStream_tbENKUlT_T0_E_clISt17integral_constantIbLb1EESY_EEDaST_SU_EUlST_E_NS1_11comp_targetILNS1_3genE8ELNS1_11target_archE1030ELNS1_3gpuE2ELNS1_3repE0EEENS1_30default_config_static_selectorELNS0_4arch9wavefront6targetE0EEEvT1_,"axG",@progbits,_ZN7rocprim17ROCPRIM_400000_NS6detail17trampoline_kernelINS0_14default_configENS1_27scan_by_key_config_selectorIiiEEZZNS1_16scan_by_key_implILNS1_25lookback_scan_determinismE0ELb1ES3_N6thrust23THRUST_200600_302600_NS6detail15normal_iteratorINS9_10device_ptrIiEEEESE_SE_iNS9_4plusIiEE19head_flag_predicateiEE10hipError_tPvRmT2_T3_T4_T5_mT6_T7_P12ihipStream_tbENKUlT_T0_E_clISt17integral_constantIbLb1EESY_EEDaST_SU_EUlST_E_NS1_11comp_targetILNS1_3genE8ELNS1_11target_archE1030ELNS1_3gpuE2ELNS1_3repE0EEENS1_30default_config_static_selectorELNS0_4arch9wavefront6targetE0EEEvT1_,comdat
.Lfunc_end802:
	.size	_ZN7rocprim17ROCPRIM_400000_NS6detail17trampoline_kernelINS0_14default_configENS1_27scan_by_key_config_selectorIiiEEZZNS1_16scan_by_key_implILNS1_25lookback_scan_determinismE0ELb1ES3_N6thrust23THRUST_200600_302600_NS6detail15normal_iteratorINS9_10device_ptrIiEEEESE_SE_iNS9_4plusIiEE19head_flag_predicateiEE10hipError_tPvRmT2_T3_T4_T5_mT6_T7_P12ihipStream_tbENKUlT_T0_E_clISt17integral_constantIbLb1EESY_EEDaST_SU_EUlST_E_NS1_11comp_targetILNS1_3genE8ELNS1_11target_archE1030ELNS1_3gpuE2ELNS1_3repE0EEENS1_30default_config_static_selectorELNS0_4arch9wavefront6targetE0EEEvT1_, .Lfunc_end802-_ZN7rocprim17ROCPRIM_400000_NS6detail17trampoline_kernelINS0_14default_configENS1_27scan_by_key_config_selectorIiiEEZZNS1_16scan_by_key_implILNS1_25lookback_scan_determinismE0ELb1ES3_N6thrust23THRUST_200600_302600_NS6detail15normal_iteratorINS9_10device_ptrIiEEEESE_SE_iNS9_4plusIiEE19head_flag_predicateiEE10hipError_tPvRmT2_T3_T4_T5_mT6_T7_P12ihipStream_tbENKUlT_T0_E_clISt17integral_constantIbLb1EESY_EEDaST_SU_EUlST_E_NS1_11comp_targetILNS1_3genE8ELNS1_11target_archE1030ELNS1_3gpuE2ELNS1_3repE0EEENS1_30default_config_static_selectorELNS0_4arch9wavefront6targetE0EEEvT1_
                                        ; -- End function
	.set _ZN7rocprim17ROCPRIM_400000_NS6detail17trampoline_kernelINS0_14default_configENS1_27scan_by_key_config_selectorIiiEEZZNS1_16scan_by_key_implILNS1_25lookback_scan_determinismE0ELb1ES3_N6thrust23THRUST_200600_302600_NS6detail15normal_iteratorINS9_10device_ptrIiEEEESE_SE_iNS9_4plusIiEE19head_flag_predicateiEE10hipError_tPvRmT2_T3_T4_T5_mT6_T7_P12ihipStream_tbENKUlT_T0_E_clISt17integral_constantIbLb1EESY_EEDaST_SU_EUlST_E_NS1_11comp_targetILNS1_3genE8ELNS1_11target_archE1030ELNS1_3gpuE2ELNS1_3repE0EEENS1_30default_config_static_selectorELNS0_4arch9wavefront6targetE0EEEvT1_.num_vgpr, 0
	.set _ZN7rocprim17ROCPRIM_400000_NS6detail17trampoline_kernelINS0_14default_configENS1_27scan_by_key_config_selectorIiiEEZZNS1_16scan_by_key_implILNS1_25lookback_scan_determinismE0ELb1ES3_N6thrust23THRUST_200600_302600_NS6detail15normal_iteratorINS9_10device_ptrIiEEEESE_SE_iNS9_4plusIiEE19head_flag_predicateiEE10hipError_tPvRmT2_T3_T4_T5_mT6_T7_P12ihipStream_tbENKUlT_T0_E_clISt17integral_constantIbLb1EESY_EEDaST_SU_EUlST_E_NS1_11comp_targetILNS1_3genE8ELNS1_11target_archE1030ELNS1_3gpuE2ELNS1_3repE0EEENS1_30default_config_static_selectorELNS0_4arch9wavefront6targetE0EEEvT1_.num_agpr, 0
	.set _ZN7rocprim17ROCPRIM_400000_NS6detail17trampoline_kernelINS0_14default_configENS1_27scan_by_key_config_selectorIiiEEZZNS1_16scan_by_key_implILNS1_25lookback_scan_determinismE0ELb1ES3_N6thrust23THRUST_200600_302600_NS6detail15normal_iteratorINS9_10device_ptrIiEEEESE_SE_iNS9_4plusIiEE19head_flag_predicateiEE10hipError_tPvRmT2_T3_T4_T5_mT6_T7_P12ihipStream_tbENKUlT_T0_E_clISt17integral_constantIbLb1EESY_EEDaST_SU_EUlST_E_NS1_11comp_targetILNS1_3genE8ELNS1_11target_archE1030ELNS1_3gpuE2ELNS1_3repE0EEENS1_30default_config_static_selectorELNS0_4arch9wavefront6targetE0EEEvT1_.numbered_sgpr, 0
	.set _ZN7rocprim17ROCPRIM_400000_NS6detail17trampoline_kernelINS0_14default_configENS1_27scan_by_key_config_selectorIiiEEZZNS1_16scan_by_key_implILNS1_25lookback_scan_determinismE0ELb1ES3_N6thrust23THRUST_200600_302600_NS6detail15normal_iteratorINS9_10device_ptrIiEEEESE_SE_iNS9_4plusIiEE19head_flag_predicateiEE10hipError_tPvRmT2_T3_T4_T5_mT6_T7_P12ihipStream_tbENKUlT_T0_E_clISt17integral_constantIbLb1EESY_EEDaST_SU_EUlST_E_NS1_11comp_targetILNS1_3genE8ELNS1_11target_archE1030ELNS1_3gpuE2ELNS1_3repE0EEENS1_30default_config_static_selectorELNS0_4arch9wavefront6targetE0EEEvT1_.num_named_barrier, 0
	.set _ZN7rocprim17ROCPRIM_400000_NS6detail17trampoline_kernelINS0_14default_configENS1_27scan_by_key_config_selectorIiiEEZZNS1_16scan_by_key_implILNS1_25lookback_scan_determinismE0ELb1ES3_N6thrust23THRUST_200600_302600_NS6detail15normal_iteratorINS9_10device_ptrIiEEEESE_SE_iNS9_4plusIiEE19head_flag_predicateiEE10hipError_tPvRmT2_T3_T4_T5_mT6_T7_P12ihipStream_tbENKUlT_T0_E_clISt17integral_constantIbLb1EESY_EEDaST_SU_EUlST_E_NS1_11comp_targetILNS1_3genE8ELNS1_11target_archE1030ELNS1_3gpuE2ELNS1_3repE0EEENS1_30default_config_static_selectorELNS0_4arch9wavefront6targetE0EEEvT1_.private_seg_size, 0
	.set _ZN7rocprim17ROCPRIM_400000_NS6detail17trampoline_kernelINS0_14default_configENS1_27scan_by_key_config_selectorIiiEEZZNS1_16scan_by_key_implILNS1_25lookback_scan_determinismE0ELb1ES3_N6thrust23THRUST_200600_302600_NS6detail15normal_iteratorINS9_10device_ptrIiEEEESE_SE_iNS9_4plusIiEE19head_flag_predicateiEE10hipError_tPvRmT2_T3_T4_T5_mT6_T7_P12ihipStream_tbENKUlT_T0_E_clISt17integral_constantIbLb1EESY_EEDaST_SU_EUlST_E_NS1_11comp_targetILNS1_3genE8ELNS1_11target_archE1030ELNS1_3gpuE2ELNS1_3repE0EEENS1_30default_config_static_selectorELNS0_4arch9wavefront6targetE0EEEvT1_.uses_vcc, 0
	.set _ZN7rocprim17ROCPRIM_400000_NS6detail17trampoline_kernelINS0_14default_configENS1_27scan_by_key_config_selectorIiiEEZZNS1_16scan_by_key_implILNS1_25lookback_scan_determinismE0ELb1ES3_N6thrust23THRUST_200600_302600_NS6detail15normal_iteratorINS9_10device_ptrIiEEEESE_SE_iNS9_4plusIiEE19head_flag_predicateiEE10hipError_tPvRmT2_T3_T4_T5_mT6_T7_P12ihipStream_tbENKUlT_T0_E_clISt17integral_constantIbLb1EESY_EEDaST_SU_EUlST_E_NS1_11comp_targetILNS1_3genE8ELNS1_11target_archE1030ELNS1_3gpuE2ELNS1_3repE0EEENS1_30default_config_static_selectorELNS0_4arch9wavefront6targetE0EEEvT1_.uses_flat_scratch, 0
	.set _ZN7rocprim17ROCPRIM_400000_NS6detail17trampoline_kernelINS0_14default_configENS1_27scan_by_key_config_selectorIiiEEZZNS1_16scan_by_key_implILNS1_25lookback_scan_determinismE0ELb1ES3_N6thrust23THRUST_200600_302600_NS6detail15normal_iteratorINS9_10device_ptrIiEEEESE_SE_iNS9_4plusIiEE19head_flag_predicateiEE10hipError_tPvRmT2_T3_T4_T5_mT6_T7_P12ihipStream_tbENKUlT_T0_E_clISt17integral_constantIbLb1EESY_EEDaST_SU_EUlST_E_NS1_11comp_targetILNS1_3genE8ELNS1_11target_archE1030ELNS1_3gpuE2ELNS1_3repE0EEENS1_30default_config_static_selectorELNS0_4arch9wavefront6targetE0EEEvT1_.has_dyn_sized_stack, 0
	.set _ZN7rocprim17ROCPRIM_400000_NS6detail17trampoline_kernelINS0_14default_configENS1_27scan_by_key_config_selectorIiiEEZZNS1_16scan_by_key_implILNS1_25lookback_scan_determinismE0ELb1ES3_N6thrust23THRUST_200600_302600_NS6detail15normal_iteratorINS9_10device_ptrIiEEEESE_SE_iNS9_4plusIiEE19head_flag_predicateiEE10hipError_tPvRmT2_T3_T4_T5_mT6_T7_P12ihipStream_tbENKUlT_T0_E_clISt17integral_constantIbLb1EESY_EEDaST_SU_EUlST_E_NS1_11comp_targetILNS1_3genE8ELNS1_11target_archE1030ELNS1_3gpuE2ELNS1_3repE0EEENS1_30default_config_static_selectorELNS0_4arch9wavefront6targetE0EEEvT1_.has_recursion, 0
	.set _ZN7rocprim17ROCPRIM_400000_NS6detail17trampoline_kernelINS0_14default_configENS1_27scan_by_key_config_selectorIiiEEZZNS1_16scan_by_key_implILNS1_25lookback_scan_determinismE0ELb1ES3_N6thrust23THRUST_200600_302600_NS6detail15normal_iteratorINS9_10device_ptrIiEEEESE_SE_iNS9_4plusIiEE19head_flag_predicateiEE10hipError_tPvRmT2_T3_T4_T5_mT6_T7_P12ihipStream_tbENKUlT_T0_E_clISt17integral_constantIbLb1EESY_EEDaST_SU_EUlST_E_NS1_11comp_targetILNS1_3genE8ELNS1_11target_archE1030ELNS1_3gpuE2ELNS1_3repE0EEENS1_30default_config_static_selectorELNS0_4arch9wavefront6targetE0EEEvT1_.has_indirect_call, 0
	.section	.AMDGPU.csdata,"",@progbits
; Kernel info:
; codeLenInByte = 4
; TotalNumSgprs: 0
; NumVgprs: 0
; ScratchSize: 0
; MemoryBound: 0
; FloatMode: 240
; IeeeMode: 1
; LDSByteSize: 0 bytes/workgroup (compile time only)
; SGPRBlocks: 0
; VGPRBlocks: 0
; NumSGPRsForWavesPerEU: 1
; NumVGPRsForWavesPerEU: 1
; Occupancy: 16
; WaveLimiterHint : 0
; COMPUTE_PGM_RSRC2:SCRATCH_EN: 0
; COMPUTE_PGM_RSRC2:USER_SGPR: 6
; COMPUTE_PGM_RSRC2:TRAP_HANDLER: 0
; COMPUTE_PGM_RSRC2:TGID_X_EN: 1
; COMPUTE_PGM_RSRC2:TGID_Y_EN: 0
; COMPUTE_PGM_RSRC2:TGID_Z_EN: 0
; COMPUTE_PGM_RSRC2:TIDIG_COMP_CNT: 0
	.section	.text._ZN7rocprim17ROCPRIM_400000_NS6detail17trampoline_kernelINS0_14default_configENS1_27scan_by_key_config_selectorIiiEEZZNS1_16scan_by_key_implILNS1_25lookback_scan_determinismE0ELb1ES3_N6thrust23THRUST_200600_302600_NS6detail15normal_iteratorINS9_10device_ptrIiEEEESE_SE_iNS9_4plusIiEE19head_flag_predicateiEE10hipError_tPvRmT2_T3_T4_T5_mT6_T7_P12ihipStream_tbENKUlT_T0_E_clISt17integral_constantIbLb1EESX_IbLb0EEEEDaST_SU_EUlST_E_NS1_11comp_targetILNS1_3genE0ELNS1_11target_archE4294967295ELNS1_3gpuE0ELNS1_3repE0EEENS1_30default_config_static_selectorELNS0_4arch9wavefront6targetE0EEEvT1_,"axG",@progbits,_ZN7rocprim17ROCPRIM_400000_NS6detail17trampoline_kernelINS0_14default_configENS1_27scan_by_key_config_selectorIiiEEZZNS1_16scan_by_key_implILNS1_25lookback_scan_determinismE0ELb1ES3_N6thrust23THRUST_200600_302600_NS6detail15normal_iteratorINS9_10device_ptrIiEEEESE_SE_iNS9_4plusIiEE19head_flag_predicateiEE10hipError_tPvRmT2_T3_T4_T5_mT6_T7_P12ihipStream_tbENKUlT_T0_E_clISt17integral_constantIbLb1EESX_IbLb0EEEEDaST_SU_EUlST_E_NS1_11comp_targetILNS1_3genE0ELNS1_11target_archE4294967295ELNS1_3gpuE0ELNS1_3repE0EEENS1_30default_config_static_selectorELNS0_4arch9wavefront6targetE0EEEvT1_,comdat
	.protected	_ZN7rocprim17ROCPRIM_400000_NS6detail17trampoline_kernelINS0_14default_configENS1_27scan_by_key_config_selectorIiiEEZZNS1_16scan_by_key_implILNS1_25lookback_scan_determinismE0ELb1ES3_N6thrust23THRUST_200600_302600_NS6detail15normal_iteratorINS9_10device_ptrIiEEEESE_SE_iNS9_4plusIiEE19head_flag_predicateiEE10hipError_tPvRmT2_T3_T4_T5_mT6_T7_P12ihipStream_tbENKUlT_T0_E_clISt17integral_constantIbLb1EESX_IbLb0EEEEDaST_SU_EUlST_E_NS1_11comp_targetILNS1_3genE0ELNS1_11target_archE4294967295ELNS1_3gpuE0ELNS1_3repE0EEENS1_30default_config_static_selectorELNS0_4arch9wavefront6targetE0EEEvT1_ ; -- Begin function _ZN7rocprim17ROCPRIM_400000_NS6detail17trampoline_kernelINS0_14default_configENS1_27scan_by_key_config_selectorIiiEEZZNS1_16scan_by_key_implILNS1_25lookback_scan_determinismE0ELb1ES3_N6thrust23THRUST_200600_302600_NS6detail15normal_iteratorINS9_10device_ptrIiEEEESE_SE_iNS9_4plusIiEE19head_flag_predicateiEE10hipError_tPvRmT2_T3_T4_T5_mT6_T7_P12ihipStream_tbENKUlT_T0_E_clISt17integral_constantIbLb1EESX_IbLb0EEEEDaST_SU_EUlST_E_NS1_11comp_targetILNS1_3genE0ELNS1_11target_archE4294967295ELNS1_3gpuE0ELNS1_3repE0EEENS1_30default_config_static_selectorELNS0_4arch9wavefront6targetE0EEEvT1_
	.globl	_ZN7rocprim17ROCPRIM_400000_NS6detail17trampoline_kernelINS0_14default_configENS1_27scan_by_key_config_selectorIiiEEZZNS1_16scan_by_key_implILNS1_25lookback_scan_determinismE0ELb1ES3_N6thrust23THRUST_200600_302600_NS6detail15normal_iteratorINS9_10device_ptrIiEEEESE_SE_iNS9_4plusIiEE19head_flag_predicateiEE10hipError_tPvRmT2_T3_T4_T5_mT6_T7_P12ihipStream_tbENKUlT_T0_E_clISt17integral_constantIbLb1EESX_IbLb0EEEEDaST_SU_EUlST_E_NS1_11comp_targetILNS1_3genE0ELNS1_11target_archE4294967295ELNS1_3gpuE0ELNS1_3repE0EEENS1_30default_config_static_selectorELNS0_4arch9wavefront6targetE0EEEvT1_
	.p2align	8
	.type	_ZN7rocprim17ROCPRIM_400000_NS6detail17trampoline_kernelINS0_14default_configENS1_27scan_by_key_config_selectorIiiEEZZNS1_16scan_by_key_implILNS1_25lookback_scan_determinismE0ELb1ES3_N6thrust23THRUST_200600_302600_NS6detail15normal_iteratorINS9_10device_ptrIiEEEESE_SE_iNS9_4plusIiEE19head_flag_predicateiEE10hipError_tPvRmT2_T3_T4_T5_mT6_T7_P12ihipStream_tbENKUlT_T0_E_clISt17integral_constantIbLb1EESX_IbLb0EEEEDaST_SU_EUlST_E_NS1_11comp_targetILNS1_3genE0ELNS1_11target_archE4294967295ELNS1_3gpuE0ELNS1_3repE0EEENS1_30default_config_static_selectorELNS0_4arch9wavefront6targetE0EEEvT1_,@function
_ZN7rocprim17ROCPRIM_400000_NS6detail17trampoline_kernelINS0_14default_configENS1_27scan_by_key_config_selectorIiiEEZZNS1_16scan_by_key_implILNS1_25lookback_scan_determinismE0ELb1ES3_N6thrust23THRUST_200600_302600_NS6detail15normal_iteratorINS9_10device_ptrIiEEEESE_SE_iNS9_4plusIiEE19head_flag_predicateiEE10hipError_tPvRmT2_T3_T4_T5_mT6_T7_P12ihipStream_tbENKUlT_T0_E_clISt17integral_constantIbLb1EESX_IbLb0EEEEDaST_SU_EUlST_E_NS1_11comp_targetILNS1_3genE0ELNS1_11target_archE4294967295ELNS1_3gpuE0ELNS1_3repE0EEENS1_30default_config_static_selectorELNS0_4arch9wavefront6targetE0EEEvT1_: ; @_ZN7rocprim17ROCPRIM_400000_NS6detail17trampoline_kernelINS0_14default_configENS1_27scan_by_key_config_selectorIiiEEZZNS1_16scan_by_key_implILNS1_25lookback_scan_determinismE0ELb1ES3_N6thrust23THRUST_200600_302600_NS6detail15normal_iteratorINS9_10device_ptrIiEEEESE_SE_iNS9_4plusIiEE19head_flag_predicateiEE10hipError_tPvRmT2_T3_T4_T5_mT6_T7_P12ihipStream_tbENKUlT_T0_E_clISt17integral_constantIbLb1EESX_IbLb0EEEEDaST_SU_EUlST_E_NS1_11comp_targetILNS1_3genE0ELNS1_11target_archE4294967295ELNS1_3gpuE0ELNS1_3repE0EEENS1_30default_config_static_selectorELNS0_4arch9wavefront6targetE0EEEvT1_
; %bb.0:
	.section	.rodata,"a",@progbits
	.p2align	6, 0x0
	.amdhsa_kernel _ZN7rocprim17ROCPRIM_400000_NS6detail17trampoline_kernelINS0_14default_configENS1_27scan_by_key_config_selectorIiiEEZZNS1_16scan_by_key_implILNS1_25lookback_scan_determinismE0ELb1ES3_N6thrust23THRUST_200600_302600_NS6detail15normal_iteratorINS9_10device_ptrIiEEEESE_SE_iNS9_4plusIiEE19head_flag_predicateiEE10hipError_tPvRmT2_T3_T4_T5_mT6_T7_P12ihipStream_tbENKUlT_T0_E_clISt17integral_constantIbLb1EESX_IbLb0EEEEDaST_SU_EUlST_E_NS1_11comp_targetILNS1_3genE0ELNS1_11target_archE4294967295ELNS1_3gpuE0ELNS1_3repE0EEENS1_30default_config_static_selectorELNS0_4arch9wavefront6targetE0EEEvT1_
		.amdhsa_group_segment_fixed_size 0
		.amdhsa_private_segment_fixed_size 0
		.amdhsa_kernarg_size 112
		.amdhsa_user_sgpr_count 6
		.amdhsa_user_sgpr_private_segment_buffer 1
		.amdhsa_user_sgpr_dispatch_ptr 0
		.amdhsa_user_sgpr_queue_ptr 0
		.amdhsa_user_sgpr_kernarg_segment_ptr 1
		.amdhsa_user_sgpr_dispatch_id 0
		.amdhsa_user_sgpr_flat_scratch_init 0
		.amdhsa_user_sgpr_private_segment_size 0
		.amdhsa_wavefront_size32 1
		.amdhsa_uses_dynamic_stack 0
		.amdhsa_system_sgpr_private_segment_wavefront_offset 0
		.amdhsa_system_sgpr_workgroup_id_x 1
		.amdhsa_system_sgpr_workgroup_id_y 0
		.amdhsa_system_sgpr_workgroup_id_z 0
		.amdhsa_system_sgpr_workgroup_info 0
		.amdhsa_system_vgpr_workitem_id 0
		.amdhsa_next_free_vgpr 1
		.amdhsa_next_free_sgpr 1
		.amdhsa_reserve_vcc 0
		.amdhsa_reserve_flat_scratch 0
		.amdhsa_float_round_mode_32 0
		.amdhsa_float_round_mode_16_64 0
		.amdhsa_float_denorm_mode_32 3
		.amdhsa_float_denorm_mode_16_64 3
		.amdhsa_dx10_clamp 1
		.amdhsa_ieee_mode 1
		.amdhsa_fp16_overflow 0
		.amdhsa_workgroup_processor_mode 1
		.amdhsa_memory_ordered 1
		.amdhsa_forward_progress 1
		.amdhsa_shared_vgpr_count 0
		.amdhsa_exception_fp_ieee_invalid_op 0
		.amdhsa_exception_fp_denorm_src 0
		.amdhsa_exception_fp_ieee_div_zero 0
		.amdhsa_exception_fp_ieee_overflow 0
		.amdhsa_exception_fp_ieee_underflow 0
		.amdhsa_exception_fp_ieee_inexact 0
		.amdhsa_exception_int_div_zero 0
	.end_amdhsa_kernel
	.section	.text._ZN7rocprim17ROCPRIM_400000_NS6detail17trampoline_kernelINS0_14default_configENS1_27scan_by_key_config_selectorIiiEEZZNS1_16scan_by_key_implILNS1_25lookback_scan_determinismE0ELb1ES3_N6thrust23THRUST_200600_302600_NS6detail15normal_iteratorINS9_10device_ptrIiEEEESE_SE_iNS9_4plusIiEE19head_flag_predicateiEE10hipError_tPvRmT2_T3_T4_T5_mT6_T7_P12ihipStream_tbENKUlT_T0_E_clISt17integral_constantIbLb1EESX_IbLb0EEEEDaST_SU_EUlST_E_NS1_11comp_targetILNS1_3genE0ELNS1_11target_archE4294967295ELNS1_3gpuE0ELNS1_3repE0EEENS1_30default_config_static_selectorELNS0_4arch9wavefront6targetE0EEEvT1_,"axG",@progbits,_ZN7rocprim17ROCPRIM_400000_NS6detail17trampoline_kernelINS0_14default_configENS1_27scan_by_key_config_selectorIiiEEZZNS1_16scan_by_key_implILNS1_25lookback_scan_determinismE0ELb1ES3_N6thrust23THRUST_200600_302600_NS6detail15normal_iteratorINS9_10device_ptrIiEEEESE_SE_iNS9_4plusIiEE19head_flag_predicateiEE10hipError_tPvRmT2_T3_T4_T5_mT6_T7_P12ihipStream_tbENKUlT_T0_E_clISt17integral_constantIbLb1EESX_IbLb0EEEEDaST_SU_EUlST_E_NS1_11comp_targetILNS1_3genE0ELNS1_11target_archE4294967295ELNS1_3gpuE0ELNS1_3repE0EEENS1_30default_config_static_selectorELNS0_4arch9wavefront6targetE0EEEvT1_,comdat
.Lfunc_end803:
	.size	_ZN7rocprim17ROCPRIM_400000_NS6detail17trampoline_kernelINS0_14default_configENS1_27scan_by_key_config_selectorIiiEEZZNS1_16scan_by_key_implILNS1_25lookback_scan_determinismE0ELb1ES3_N6thrust23THRUST_200600_302600_NS6detail15normal_iteratorINS9_10device_ptrIiEEEESE_SE_iNS9_4plusIiEE19head_flag_predicateiEE10hipError_tPvRmT2_T3_T4_T5_mT6_T7_P12ihipStream_tbENKUlT_T0_E_clISt17integral_constantIbLb1EESX_IbLb0EEEEDaST_SU_EUlST_E_NS1_11comp_targetILNS1_3genE0ELNS1_11target_archE4294967295ELNS1_3gpuE0ELNS1_3repE0EEENS1_30default_config_static_selectorELNS0_4arch9wavefront6targetE0EEEvT1_, .Lfunc_end803-_ZN7rocprim17ROCPRIM_400000_NS6detail17trampoline_kernelINS0_14default_configENS1_27scan_by_key_config_selectorIiiEEZZNS1_16scan_by_key_implILNS1_25lookback_scan_determinismE0ELb1ES3_N6thrust23THRUST_200600_302600_NS6detail15normal_iteratorINS9_10device_ptrIiEEEESE_SE_iNS9_4plusIiEE19head_flag_predicateiEE10hipError_tPvRmT2_T3_T4_T5_mT6_T7_P12ihipStream_tbENKUlT_T0_E_clISt17integral_constantIbLb1EESX_IbLb0EEEEDaST_SU_EUlST_E_NS1_11comp_targetILNS1_3genE0ELNS1_11target_archE4294967295ELNS1_3gpuE0ELNS1_3repE0EEENS1_30default_config_static_selectorELNS0_4arch9wavefront6targetE0EEEvT1_
                                        ; -- End function
	.set _ZN7rocprim17ROCPRIM_400000_NS6detail17trampoline_kernelINS0_14default_configENS1_27scan_by_key_config_selectorIiiEEZZNS1_16scan_by_key_implILNS1_25lookback_scan_determinismE0ELb1ES3_N6thrust23THRUST_200600_302600_NS6detail15normal_iteratorINS9_10device_ptrIiEEEESE_SE_iNS9_4plusIiEE19head_flag_predicateiEE10hipError_tPvRmT2_T3_T4_T5_mT6_T7_P12ihipStream_tbENKUlT_T0_E_clISt17integral_constantIbLb1EESX_IbLb0EEEEDaST_SU_EUlST_E_NS1_11comp_targetILNS1_3genE0ELNS1_11target_archE4294967295ELNS1_3gpuE0ELNS1_3repE0EEENS1_30default_config_static_selectorELNS0_4arch9wavefront6targetE0EEEvT1_.num_vgpr, 0
	.set _ZN7rocprim17ROCPRIM_400000_NS6detail17trampoline_kernelINS0_14default_configENS1_27scan_by_key_config_selectorIiiEEZZNS1_16scan_by_key_implILNS1_25lookback_scan_determinismE0ELb1ES3_N6thrust23THRUST_200600_302600_NS6detail15normal_iteratorINS9_10device_ptrIiEEEESE_SE_iNS9_4plusIiEE19head_flag_predicateiEE10hipError_tPvRmT2_T3_T4_T5_mT6_T7_P12ihipStream_tbENKUlT_T0_E_clISt17integral_constantIbLb1EESX_IbLb0EEEEDaST_SU_EUlST_E_NS1_11comp_targetILNS1_3genE0ELNS1_11target_archE4294967295ELNS1_3gpuE0ELNS1_3repE0EEENS1_30default_config_static_selectorELNS0_4arch9wavefront6targetE0EEEvT1_.num_agpr, 0
	.set _ZN7rocprim17ROCPRIM_400000_NS6detail17trampoline_kernelINS0_14default_configENS1_27scan_by_key_config_selectorIiiEEZZNS1_16scan_by_key_implILNS1_25lookback_scan_determinismE0ELb1ES3_N6thrust23THRUST_200600_302600_NS6detail15normal_iteratorINS9_10device_ptrIiEEEESE_SE_iNS9_4plusIiEE19head_flag_predicateiEE10hipError_tPvRmT2_T3_T4_T5_mT6_T7_P12ihipStream_tbENKUlT_T0_E_clISt17integral_constantIbLb1EESX_IbLb0EEEEDaST_SU_EUlST_E_NS1_11comp_targetILNS1_3genE0ELNS1_11target_archE4294967295ELNS1_3gpuE0ELNS1_3repE0EEENS1_30default_config_static_selectorELNS0_4arch9wavefront6targetE0EEEvT1_.numbered_sgpr, 0
	.set _ZN7rocprim17ROCPRIM_400000_NS6detail17trampoline_kernelINS0_14default_configENS1_27scan_by_key_config_selectorIiiEEZZNS1_16scan_by_key_implILNS1_25lookback_scan_determinismE0ELb1ES3_N6thrust23THRUST_200600_302600_NS6detail15normal_iteratorINS9_10device_ptrIiEEEESE_SE_iNS9_4plusIiEE19head_flag_predicateiEE10hipError_tPvRmT2_T3_T4_T5_mT6_T7_P12ihipStream_tbENKUlT_T0_E_clISt17integral_constantIbLb1EESX_IbLb0EEEEDaST_SU_EUlST_E_NS1_11comp_targetILNS1_3genE0ELNS1_11target_archE4294967295ELNS1_3gpuE0ELNS1_3repE0EEENS1_30default_config_static_selectorELNS0_4arch9wavefront6targetE0EEEvT1_.num_named_barrier, 0
	.set _ZN7rocprim17ROCPRIM_400000_NS6detail17trampoline_kernelINS0_14default_configENS1_27scan_by_key_config_selectorIiiEEZZNS1_16scan_by_key_implILNS1_25lookback_scan_determinismE0ELb1ES3_N6thrust23THRUST_200600_302600_NS6detail15normal_iteratorINS9_10device_ptrIiEEEESE_SE_iNS9_4plusIiEE19head_flag_predicateiEE10hipError_tPvRmT2_T3_T4_T5_mT6_T7_P12ihipStream_tbENKUlT_T0_E_clISt17integral_constantIbLb1EESX_IbLb0EEEEDaST_SU_EUlST_E_NS1_11comp_targetILNS1_3genE0ELNS1_11target_archE4294967295ELNS1_3gpuE0ELNS1_3repE0EEENS1_30default_config_static_selectorELNS0_4arch9wavefront6targetE0EEEvT1_.private_seg_size, 0
	.set _ZN7rocprim17ROCPRIM_400000_NS6detail17trampoline_kernelINS0_14default_configENS1_27scan_by_key_config_selectorIiiEEZZNS1_16scan_by_key_implILNS1_25lookback_scan_determinismE0ELb1ES3_N6thrust23THRUST_200600_302600_NS6detail15normal_iteratorINS9_10device_ptrIiEEEESE_SE_iNS9_4plusIiEE19head_flag_predicateiEE10hipError_tPvRmT2_T3_T4_T5_mT6_T7_P12ihipStream_tbENKUlT_T0_E_clISt17integral_constantIbLb1EESX_IbLb0EEEEDaST_SU_EUlST_E_NS1_11comp_targetILNS1_3genE0ELNS1_11target_archE4294967295ELNS1_3gpuE0ELNS1_3repE0EEENS1_30default_config_static_selectorELNS0_4arch9wavefront6targetE0EEEvT1_.uses_vcc, 0
	.set _ZN7rocprim17ROCPRIM_400000_NS6detail17trampoline_kernelINS0_14default_configENS1_27scan_by_key_config_selectorIiiEEZZNS1_16scan_by_key_implILNS1_25lookback_scan_determinismE0ELb1ES3_N6thrust23THRUST_200600_302600_NS6detail15normal_iteratorINS9_10device_ptrIiEEEESE_SE_iNS9_4plusIiEE19head_flag_predicateiEE10hipError_tPvRmT2_T3_T4_T5_mT6_T7_P12ihipStream_tbENKUlT_T0_E_clISt17integral_constantIbLb1EESX_IbLb0EEEEDaST_SU_EUlST_E_NS1_11comp_targetILNS1_3genE0ELNS1_11target_archE4294967295ELNS1_3gpuE0ELNS1_3repE0EEENS1_30default_config_static_selectorELNS0_4arch9wavefront6targetE0EEEvT1_.uses_flat_scratch, 0
	.set _ZN7rocprim17ROCPRIM_400000_NS6detail17trampoline_kernelINS0_14default_configENS1_27scan_by_key_config_selectorIiiEEZZNS1_16scan_by_key_implILNS1_25lookback_scan_determinismE0ELb1ES3_N6thrust23THRUST_200600_302600_NS6detail15normal_iteratorINS9_10device_ptrIiEEEESE_SE_iNS9_4plusIiEE19head_flag_predicateiEE10hipError_tPvRmT2_T3_T4_T5_mT6_T7_P12ihipStream_tbENKUlT_T0_E_clISt17integral_constantIbLb1EESX_IbLb0EEEEDaST_SU_EUlST_E_NS1_11comp_targetILNS1_3genE0ELNS1_11target_archE4294967295ELNS1_3gpuE0ELNS1_3repE0EEENS1_30default_config_static_selectorELNS0_4arch9wavefront6targetE0EEEvT1_.has_dyn_sized_stack, 0
	.set _ZN7rocprim17ROCPRIM_400000_NS6detail17trampoline_kernelINS0_14default_configENS1_27scan_by_key_config_selectorIiiEEZZNS1_16scan_by_key_implILNS1_25lookback_scan_determinismE0ELb1ES3_N6thrust23THRUST_200600_302600_NS6detail15normal_iteratorINS9_10device_ptrIiEEEESE_SE_iNS9_4plusIiEE19head_flag_predicateiEE10hipError_tPvRmT2_T3_T4_T5_mT6_T7_P12ihipStream_tbENKUlT_T0_E_clISt17integral_constantIbLb1EESX_IbLb0EEEEDaST_SU_EUlST_E_NS1_11comp_targetILNS1_3genE0ELNS1_11target_archE4294967295ELNS1_3gpuE0ELNS1_3repE0EEENS1_30default_config_static_selectorELNS0_4arch9wavefront6targetE0EEEvT1_.has_recursion, 0
	.set _ZN7rocprim17ROCPRIM_400000_NS6detail17trampoline_kernelINS0_14default_configENS1_27scan_by_key_config_selectorIiiEEZZNS1_16scan_by_key_implILNS1_25lookback_scan_determinismE0ELb1ES3_N6thrust23THRUST_200600_302600_NS6detail15normal_iteratorINS9_10device_ptrIiEEEESE_SE_iNS9_4plusIiEE19head_flag_predicateiEE10hipError_tPvRmT2_T3_T4_T5_mT6_T7_P12ihipStream_tbENKUlT_T0_E_clISt17integral_constantIbLb1EESX_IbLb0EEEEDaST_SU_EUlST_E_NS1_11comp_targetILNS1_3genE0ELNS1_11target_archE4294967295ELNS1_3gpuE0ELNS1_3repE0EEENS1_30default_config_static_selectorELNS0_4arch9wavefront6targetE0EEEvT1_.has_indirect_call, 0
	.section	.AMDGPU.csdata,"",@progbits
; Kernel info:
; codeLenInByte = 0
; TotalNumSgprs: 0
; NumVgprs: 0
; ScratchSize: 0
; MemoryBound: 0
; FloatMode: 240
; IeeeMode: 1
; LDSByteSize: 0 bytes/workgroup (compile time only)
; SGPRBlocks: 0
; VGPRBlocks: 0
; NumSGPRsForWavesPerEU: 1
; NumVGPRsForWavesPerEU: 1
; Occupancy: 16
; WaveLimiterHint : 0
; COMPUTE_PGM_RSRC2:SCRATCH_EN: 0
; COMPUTE_PGM_RSRC2:USER_SGPR: 6
; COMPUTE_PGM_RSRC2:TRAP_HANDLER: 0
; COMPUTE_PGM_RSRC2:TGID_X_EN: 1
; COMPUTE_PGM_RSRC2:TGID_Y_EN: 0
; COMPUTE_PGM_RSRC2:TGID_Z_EN: 0
; COMPUTE_PGM_RSRC2:TIDIG_COMP_CNT: 0
	.section	.text._ZN7rocprim17ROCPRIM_400000_NS6detail17trampoline_kernelINS0_14default_configENS1_27scan_by_key_config_selectorIiiEEZZNS1_16scan_by_key_implILNS1_25lookback_scan_determinismE0ELb1ES3_N6thrust23THRUST_200600_302600_NS6detail15normal_iteratorINS9_10device_ptrIiEEEESE_SE_iNS9_4plusIiEE19head_flag_predicateiEE10hipError_tPvRmT2_T3_T4_T5_mT6_T7_P12ihipStream_tbENKUlT_T0_E_clISt17integral_constantIbLb1EESX_IbLb0EEEEDaST_SU_EUlST_E_NS1_11comp_targetILNS1_3genE10ELNS1_11target_archE1201ELNS1_3gpuE5ELNS1_3repE0EEENS1_30default_config_static_selectorELNS0_4arch9wavefront6targetE0EEEvT1_,"axG",@progbits,_ZN7rocprim17ROCPRIM_400000_NS6detail17trampoline_kernelINS0_14default_configENS1_27scan_by_key_config_selectorIiiEEZZNS1_16scan_by_key_implILNS1_25lookback_scan_determinismE0ELb1ES3_N6thrust23THRUST_200600_302600_NS6detail15normal_iteratorINS9_10device_ptrIiEEEESE_SE_iNS9_4plusIiEE19head_flag_predicateiEE10hipError_tPvRmT2_T3_T4_T5_mT6_T7_P12ihipStream_tbENKUlT_T0_E_clISt17integral_constantIbLb1EESX_IbLb0EEEEDaST_SU_EUlST_E_NS1_11comp_targetILNS1_3genE10ELNS1_11target_archE1201ELNS1_3gpuE5ELNS1_3repE0EEENS1_30default_config_static_selectorELNS0_4arch9wavefront6targetE0EEEvT1_,comdat
	.protected	_ZN7rocprim17ROCPRIM_400000_NS6detail17trampoline_kernelINS0_14default_configENS1_27scan_by_key_config_selectorIiiEEZZNS1_16scan_by_key_implILNS1_25lookback_scan_determinismE0ELb1ES3_N6thrust23THRUST_200600_302600_NS6detail15normal_iteratorINS9_10device_ptrIiEEEESE_SE_iNS9_4plusIiEE19head_flag_predicateiEE10hipError_tPvRmT2_T3_T4_T5_mT6_T7_P12ihipStream_tbENKUlT_T0_E_clISt17integral_constantIbLb1EESX_IbLb0EEEEDaST_SU_EUlST_E_NS1_11comp_targetILNS1_3genE10ELNS1_11target_archE1201ELNS1_3gpuE5ELNS1_3repE0EEENS1_30default_config_static_selectorELNS0_4arch9wavefront6targetE0EEEvT1_ ; -- Begin function _ZN7rocprim17ROCPRIM_400000_NS6detail17trampoline_kernelINS0_14default_configENS1_27scan_by_key_config_selectorIiiEEZZNS1_16scan_by_key_implILNS1_25lookback_scan_determinismE0ELb1ES3_N6thrust23THRUST_200600_302600_NS6detail15normal_iteratorINS9_10device_ptrIiEEEESE_SE_iNS9_4plusIiEE19head_flag_predicateiEE10hipError_tPvRmT2_T3_T4_T5_mT6_T7_P12ihipStream_tbENKUlT_T0_E_clISt17integral_constantIbLb1EESX_IbLb0EEEEDaST_SU_EUlST_E_NS1_11comp_targetILNS1_3genE10ELNS1_11target_archE1201ELNS1_3gpuE5ELNS1_3repE0EEENS1_30default_config_static_selectorELNS0_4arch9wavefront6targetE0EEEvT1_
	.globl	_ZN7rocprim17ROCPRIM_400000_NS6detail17trampoline_kernelINS0_14default_configENS1_27scan_by_key_config_selectorIiiEEZZNS1_16scan_by_key_implILNS1_25lookback_scan_determinismE0ELb1ES3_N6thrust23THRUST_200600_302600_NS6detail15normal_iteratorINS9_10device_ptrIiEEEESE_SE_iNS9_4plusIiEE19head_flag_predicateiEE10hipError_tPvRmT2_T3_T4_T5_mT6_T7_P12ihipStream_tbENKUlT_T0_E_clISt17integral_constantIbLb1EESX_IbLb0EEEEDaST_SU_EUlST_E_NS1_11comp_targetILNS1_3genE10ELNS1_11target_archE1201ELNS1_3gpuE5ELNS1_3repE0EEENS1_30default_config_static_selectorELNS0_4arch9wavefront6targetE0EEEvT1_
	.p2align	8
	.type	_ZN7rocprim17ROCPRIM_400000_NS6detail17trampoline_kernelINS0_14default_configENS1_27scan_by_key_config_selectorIiiEEZZNS1_16scan_by_key_implILNS1_25lookback_scan_determinismE0ELb1ES3_N6thrust23THRUST_200600_302600_NS6detail15normal_iteratorINS9_10device_ptrIiEEEESE_SE_iNS9_4plusIiEE19head_flag_predicateiEE10hipError_tPvRmT2_T3_T4_T5_mT6_T7_P12ihipStream_tbENKUlT_T0_E_clISt17integral_constantIbLb1EESX_IbLb0EEEEDaST_SU_EUlST_E_NS1_11comp_targetILNS1_3genE10ELNS1_11target_archE1201ELNS1_3gpuE5ELNS1_3repE0EEENS1_30default_config_static_selectorELNS0_4arch9wavefront6targetE0EEEvT1_,@function
_ZN7rocprim17ROCPRIM_400000_NS6detail17trampoline_kernelINS0_14default_configENS1_27scan_by_key_config_selectorIiiEEZZNS1_16scan_by_key_implILNS1_25lookback_scan_determinismE0ELb1ES3_N6thrust23THRUST_200600_302600_NS6detail15normal_iteratorINS9_10device_ptrIiEEEESE_SE_iNS9_4plusIiEE19head_flag_predicateiEE10hipError_tPvRmT2_T3_T4_T5_mT6_T7_P12ihipStream_tbENKUlT_T0_E_clISt17integral_constantIbLb1EESX_IbLb0EEEEDaST_SU_EUlST_E_NS1_11comp_targetILNS1_3genE10ELNS1_11target_archE1201ELNS1_3gpuE5ELNS1_3repE0EEENS1_30default_config_static_selectorELNS0_4arch9wavefront6targetE0EEEvT1_: ; @_ZN7rocprim17ROCPRIM_400000_NS6detail17trampoline_kernelINS0_14default_configENS1_27scan_by_key_config_selectorIiiEEZZNS1_16scan_by_key_implILNS1_25lookback_scan_determinismE0ELb1ES3_N6thrust23THRUST_200600_302600_NS6detail15normal_iteratorINS9_10device_ptrIiEEEESE_SE_iNS9_4plusIiEE19head_flag_predicateiEE10hipError_tPvRmT2_T3_T4_T5_mT6_T7_P12ihipStream_tbENKUlT_T0_E_clISt17integral_constantIbLb1EESX_IbLb0EEEEDaST_SU_EUlST_E_NS1_11comp_targetILNS1_3genE10ELNS1_11target_archE1201ELNS1_3gpuE5ELNS1_3repE0EEENS1_30default_config_static_selectorELNS0_4arch9wavefront6targetE0EEEvT1_
; %bb.0:
	.section	.rodata,"a",@progbits
	.p2align	6, 0x0
	.amdhsa_kernel _ZN7rocprim17ROCPRIM_400000_NS6detail17trampoline_kernelINS0_14default_configENS1_27scan_by_key_config_selectorIiiEEZZNS1_16scan_by_key_implILNS1_25lookback_scan_determinismE0ELb1ES3_N6thrust23THRUST_200600_302600_NS6detail15normal_iteratorINS9_10device_ptrIiEEEESE_SE_iNS9_4plusIiEE19head_flag_predicateiEE10hipError_tPvRmT2_T3_T4_T5_mT6_T7_P12ihipStream_tbENKUlT_T0_E_clISt17integral_constantIbLb1EESX_IbLb0EEEEDaST_SU_EUlST_E_NS1_11comp_targetILNS1_3genE10ELNS1_11target_archE1201ELNS1_3gpuE5ELNS1_3repE0EEENS1_30default_config_static_selectorELNS0_4arch9wavefront6targetE0EEEvT1_
		.amdhsa_group_segment_fixed_size 0
		.amdhsa_private_segment_fixed_size 0
		.amdhsa_kernarg_size 112
		.amdhsa_user_sgpr_count 6
		.amdhsa_user_sgpr_private_segment_buffer 1
		.amdhsa_user_sgpr_dispatch_ptr 0
		.amdhsa_user_sgpr_queue_ptr 0
		.amdhsa_user_sgpr_kernarg_segment_ptr 1
		.amdhsa_user_sgpr_dispatch_id 0
		.amdhsa_user_sgpr_flat_scratch_init 0
		.amdhsa_user_sgpr_private_segment_size 0
		.amdhsa_wavefront_size32 1
		.amdhsa_uses_dynamic_stack 0
		.amdhsa_system_sgpr_private_segment_wavefront_offset 0
		.amdhsa_system_sgpr_workgroup_id_x 1
		.amdhsa_system_sgpr_workgroup_id_y 0
		.amdhsa_system_sgpr_workgroup_id_z 0
		.amdhsa_system_sgpr_workgroup_info 0
		.amdhsa_system_vgpr_workitem_id 0
		.amdhsa_next_free_vgpr 1
		.amdhsa_next_free_sgpr 1
		.amdhsa_reserve_vcc 0
		.amdhsa_reserve_flat_scratch 0
		.amdhsa_float_round_mode_32 0
		.amdhsa_float_round_mode_16_64 0
		.amdhsa_float_denorm_mode_32 3
		.amdhsa_float_denorm_mode_16_64 3
		.amdhsa_dx10_clamp 1
		.amdhsa_ieee_mode 1
		.amdhsa_fp16_overflow 0
		.amdhsa_workgroup_processor_mode 1
		.amdhsa_memory_ordered 1
		.amdhsa_forward_progress 1
		.amdhsa_shared_vgpr_count 0
		.amdhsa_exception_fp_ieee_invalid_op 0
		.amdhsa_exception_fp_denorm_src 0
		.amdhsa_exception_fp_ieee_div_zero 0
		.amdhsa_exception_fp_ieee_overflow 0
		.amdhsa_exception_fp_ieee_underflow 0
		.amdhsa_exception_fp_ieee_inexact 0
		.amdhsa_exception_int_div_zero 0
	.end_amdhsa_kernel
	.section	.text._ZN7rocprim17ROCPRIM_400000_NS6detail17trampoline_kernelINS0_14default_configENS1_27scan_by_key_config_selectorIiiEEZZNS1_16scan_by_key_implILNS1_25lookback_scan_determinismE0ELb1ES3_N6thrust23THRUST_200600_302600_NS6detail15normal_iteratorINS9_10device_ptrIiEEEESE_SE_iNS9_4plusIiEE19head_flag_predicateiEE10hipError_tPvRmT2_T3_T4_T5_mT6_T7_P12ihipStream_tbENKUlT_T0_E_clISt17integral_constantIbLb1EESX_IbLb0EEEEDaST_SU_EUlST_E_NS1_11comp_targetILNS1_3genE10ELNS1_11target_archE1201ELNS1_3gpuE5ELNS1_3repE0EEENS1_30default_config_static_selectorELNS0_4arch9wavefront6targetE0EEEvT1_,"axG",@progbits,_ZN7rocprim17ROCPRIM_400000_NS6detail17trampoline_kernelINS0_14default_configENS1_27scan_by_key_config_selectorIiiEEZZNS1_16scan_by_key_implILNS1_25lookback_scan_determinismE0ELb1ES3_N6thrust23THRUST_200600_302600_NS6detail15normal_iteratorINS9_10device_ptrIiEEEESE_SE_iNS9_4plusIiEE19head_flag_predicateiEE10hipError_tPvRmT2_T3_T4_T5_mT6_T7_P12ihipStream_tbENKUlT_T0_E_clISt17integral_constantIbLb1EESX_IbLb0EEEEDaST_SU_EUlST_E_NS1_11comp_targetILNS1_3genE10ELNS1_11target_archE1201ELNS1_3gpuE5ELNS1_3repE0EEENS1_30default_config_static_selectorELNS0_4arch9wavefront6targetE0EEEvT1_,comdat
.Lfunc_end804:
	.size	_ZN7rocprim17ROCPRIM_400000_NS6detail17trampoline_kernelINS0_14default_configENS1_27scan_by_key_config_selectorIiiEEZZNS1_16scan_by_key_implILNS1_25lookback_scan_determinismE0ELb1ES3_N6thrust23THRUST_200600_302600_NS6detail15normal_iteratorINS9_10device_ptrIiEEEESE_SE_iNS9_4plusIiEE19head_flag_predicateiEE10hipError_tPvRmT2_T3_T4_T5_mT6_T7_P12ihipStream_tbENKUlT_T0_E_clISt17integral_constantIbLb1EESX_IbLb0EEEEDaST_SU_EUlST_E_NS1_11comp_targetILNS1_3genE10ELNS1_11target_archE1201ELNS1_3gpuE5ELNS1_3repE0EEENS1_30default_config_static_selectorELNS0_4arch9wavefront6targetE0EEEvT1_, .Lfunc_end804-_ZN7rocprim17ROCPRIM_400000_NS6detail17trampoline_kernelINS0_14default_configENS1_27scan_by_key_config_selectorIiiEEZZNS1_16scan_by_key_implILNS1_25lookback_scan_determinismE0ELb1ES3_N6thrust23THRUST_200600_302600_NS6detail15normal_iteratorINS9_10device_ptrIiEEEESE_SE_iNS9_4plusIiEE19head_flag_predicateiEE10hipError_tPvRmT2_T3_T4_T5_mT6_T7_P12ihipStream_tbENKUlT_T0_E_clISt17integral_constantIbLb1EESX_IbLb0EEEEDaST_SU_EUlST_E_NS1_11comp_targetILNS1_3genE10ELNS1_11target_archE1201ELNS1_3gpuE5ELNS1_3repE0EEENS1_30default_config_static_selectorELNS0_4arch9wavefront6targetE0EEEvT1_
                                        ; -- End function
	.set _ZN7rocprim17ROCPRIM_400000_NS6detail17trampoline_kernelINS0_14default_configENS1_27scan_by_key_config_selectorIiiEEZZNS1_16scan_by_key_implILNS1_25lookback_scan_determinismE0ELb1ES3_N6thrust23THRUST_200600_302600_NS6detail15normal_iteratorINS9_10device_ptrIiEEEESE_SE_iNS9_4plusIiEE19head_flag_predicateiEE10hipError_tPvRmT2_T3_T4_T5_mT6_T7_P12ihipStream_tbENKUlT_T0_E_clISt17integral_constantIbLb1EESX_IbLb0EEEEDaST_SU_EUlST_E_NS1_11comp_targetILNS1_3genE10ELNS1_11target_archE1201ELNS1_3gpuE5ELNS1_3repE0EEENS1_30default_config_static_selectorELNS0_4arch9wavefront6targetE0EEEvT1_.num_vgpr, 0
	.set _ZN7rocprim17ROCPRIM_400000_NS6detail17trampoline_kernelINS0_14default_configENS1_27scan_by_key_config_selectorIiiEEZZNS1_16scan_by_key_implILNS1_25lookback_scan_determinismE0ELb1ES3_N6thrust23THRUST_200600_302600_NS6detail15normal_iteratorINS9_10device_ptrIiEEEESE_SE_iNS9_4plusIiEE19head_flag_predicateiEE10hipError_tPvRmT2_T3_T4_T5_mT6_T7_P12ihipStream_tbENKUlT_T0_E_clISt17integral_constantIbLb1EESX_IbLb0EEEEDaST_SU_EUlST_E_NS1_11comp_targetILNS1_3genE10ELNS1_11target_archE1201ELNS1_3gpuE5ELNS1_3repE0EEENS1_30default_config_static_selectorELNS0_4arch9wavefront6targetE0EEEvT1_.num_agpr, 0
	.set _ZN7rocprim17ROCPRIM_400000_NS6detail17trampoline_kernelINS0_14default_configENS1_27scan_by_key_config_selectorIiiEEZZNS1_16scan_by_key_implILNS1_25lookback_scan_determinismE0ELb1ES3_N6thrust23THRUST_200600_302600_NS6detail15normal_iteratorINS9_10device_ptrIiEEEESE_SE_iNS9_4plusIiEE19head_flag_predicateiEE10hipError_tPvRmT2_T3_T4_T5_mT6_T7_P12ihipStream_tbENKUlT_T0_E_clISt17integral_constantIbLb1EESX_IbLb0EEEEDaST_SU_EUlST_E_NS1_11comp_targetILNS1_3genE10ELNS1_11target_archE1201ELNS1_3gpuE5ELNS1_3repE0EEENS1_30default_config_static_selectorELNS0_4arch9wavefront6targetE0EEEvT1_.numbered_sgpr, 0
	.set _ZN7rocprim17ROCPRIM_400000_NS6detail17trampoline_kernelINS0_14default_configENS1_27scan_by_key_config_selectorIiiEEZZNS1_16scan_by_key_implILNS1_25lookback_scan_determinismE0ELb1ES3_N6thrust23THRUST_200600_302600_NS6detail15normal_iteratorINS9_10device_ptrIiEEEESE_SE_iNS9_4plusIiEE19head_flag_predicateiEE10hipError_tPvRmT2_T3_T4_T5_mT6_T7_P12ihipStream_tbENKUlT_T0_E_clISt17integral_constantIbLb1EESX_IbLb0EEEEDaST_SU_EUlST_E_NS1_11comp_targetILNS1_3genE10ELNS1_11target_archE1201ELNS1_3gpuE5ELNS1_3repE0EEENS1_30default_config_static_selectorELNS0_4arch9wavefront6targetE0EEEvT1_.num_named_barrier, 0
	.set _ZN7rocprim17ROCPRIM_400000_NS6detail17trampoline_kernelINS0_14default_configENS1_27scan_by_key_config_selectorIiiEEZZNS1_16scan_by_key_implILNS1_25lookback_scan_determinismE0ELb1ES3_N6thrust23THRUST_200600_302600_NS6detail15normal_iteratorINS9_10device_ptrIiEEEESE_SE_iNS9_4plusIiEE19head_flag_predicateiEE10hipError_tPvRmT2_T3_T4_T5_mT6_T7_P12ihipStream_tbENKUlT_T0_E_clISt17integral_constantIbLb1EESX_IbLb0EEEEDaST_SU_EUlST_E_NS1_11comp_targetILNS1_3genE10ELNS1_11target_archE1201ELNS1_3gpuE5ELNS1_3repE0EEENS1_30default_config_static_selectorELNS0_4arch9wavefront6targetE0EEEvT1_.private_seg_size, 0
	.set _ZN7rocprim17ROCPRIM_400000_NS6detail17trampoline_kernelINS0_14default_configENS1_27scan_by_key_config_selectorIiiEEZZNS1_16scan_by_key_implILNS1_25lookback_scan_determinismE0ELb1ES3_N6thrust23THRUST_200600_302600_NS6detail15normal_iteratorINS9_10device_ptrIiEEEESE_SE_iNS9_4plusIiEE19head_flag_predicateiEE10hipError_tPvRmT2_T3_T4_T5_mT6_T7_P12ihipStream_tbENKUlT_T0_E_clISt17integral_constantIbLb1EESX_IbLb0EEEEDaST_SU_EUlST_E_NS1_11comp_targetILNS1_3genE10ELNS1_11target_archE1201ELNS1_3gpuE5ELNS1_3repE0EEENS1_30default_config_static_selectorELNS0_4arch9wavefront6targetE0EEEvT1_.uses_vcc, 0
	.set _ZN7rocprim17ROCPRIM_400000_NS6detail17trampoline_kernelINS0_14default_configENS1_27scan_by_key_config_selectorIiiEEZZNS1_16scan_by_key_implILNS1_25lookback_scan_determinismE0ELb1ES3_N6thrust23THRUST_200600_302600_NS6detail15normal_iteratorINS9_10device_ptrIiEEEESE_SE_iNS9_4plusIiEE19head_flag_predicateiEE10hipError_tPvRmT2_T3_T4_T5_mT6_T7_P12ihipStream_tbENKUlT_T0_E_clISt17integral_constantIbLb1EESX_IbLb0EEEEDaST_SU_EUlST_E_NS1_11comp_targetILNS1_3genE10ELNS1_11target_archE1201ELNS1_3gpuE5ELNS1_3repE0EEENS1_30default_config_static_selectorELNS0_4arch9wavefront6targetE0EEEvT1_.uses_flat_scratch, 0
	.set _ZN7rocprim17ROCPRIM_400000_NS6detail17trampoline_kernelINS0_14default_configENS1_27scan_by_key_config_selectorIiiEEZZNS1_16scan_by_key_implILNS1_25lookback_scan_determinismE0ELb1ES3_N6thrust23THRUST_200600_302600_NS6detail15normal_iteratorINS9_10device_ptrIiEEEESE_SE_iNS9_4plusIiEE19head_flag_predicateiEE10hipError_tPvRmT2_T3_T4_T5_mT6_T7_P12ihipStream_tbENKUlT_T0_E_clISt17integral_constantIbLb1EESX_IbLb0EEEEDaST_SU_EUlST_E_NS1_11comp_targetILNS1_3genE10ELNS1_11target_archE1201ELNS1_3gpuE5ELNS1_3repE0EEENS1_30default_config_static_selectorELNS0_4arch9wavefront6targetE0EEEvT1_.has_dyn_sized_stack, 0
	.set _ZN7rocprim17ROCPRIM_400000_NS6detail17trampoline_kernelINS0_14default_configENS1_27scan_by_key_config_selectorIiiEEZZNS1_16scan_by_key_implILNS1_25lookback_scan_determinismE0ELb1ES3_N6thrust23THRUST_200600_302600_NS6detail15normal_iteratorINS9_10device_ptrIiEEEESE_SE_iNS9_4plusIiEE19head_flag_predicateiEE10hipError_tPvRmT2_T3_T4_T5_mT6_T7_P12ihipStream_tbENKUlT_T0_E_clISt17integral_constantIbLb1EESX_IbLb0EEEEDaST_SU_EUlST_E_NS1_11comp_targetILNS1_3genE10ELNS1_11target_archE1201ELNS1_3gpuE5ELNS1_3repE0EEENS1_30default_config_static_selectorELNS0_4arch9wavefront6targetE0EEEvT1_.has_recursion, 0
	.set _ZN7rocprim17ROCPRIM_400000_NS6detail17trampoline_kernelINS0_14default_configENS1_27scan_by_key_config_selectorIiiEEZZNS1_16scan_by_key_implILNS1_25lookback_scan_determinismE0ELb1ES3_N6thrust23THRUST_200600_302600_NS6detail15normal_iteratorINS9_10device_ptrIiEEEESE_SE_iNS9_4plusIiEE19head_flag_predicateiEE10hipError_tPvRmT2_T3_T4_T5_mT6_T7_P12ihipStream_tbENKUlT_T0_E_clISt17integral_constantIbLb1EESX_IbLb0EEEEDaST_SU_EUlST_E_NS1_11comp_targetILNS1_3genE10ELNS1_11target_archE1201ELNS1_3gpuE5ELNS1_3repE0EEENS1_30default_config_static_selectorELNS0_4arch9wavefront6targetE0EEEvT1_.has_indirect_call, 0
	.section	.AMDGPU.csdata,"",@progbits
; Kernel info:
; codeLenInByte = 0
; TotalNumSgprs: 0
; NumVgprs: 0
; ScratchSize: 0
; MemoryBound: 0
; FloatMode: 240
; IeeeMode: 1
; LDSByteSize: 0 bytes/workgroup (compile time only)
; SGPRBlocks: 0
; VGPRBlocks: 0
; NumSGPRsForWavesPerEU: 1
; NumVGPRsForWavesPerEU: 1
; Occupancy: 16
; WaveLimiterHint : 0
; COMPUTE_PGM_RSRC2:SCRATCH_EN: 0
; COMPUTE_PGM_RSRC2:USER_SGPR: 6
; COMPUTE_PGM_RSRC2:TRAP_HANDLER: 0
; COMPUTE_PGM_RSRC2:TGID_X_EN: 1
; COMPUTE_PGM_RSRC2:TGID_Y_EN: 0
; COMPUTE_PGM_RSRC2:TGID_Z_EN: 0
; COMPUTE_PGM_RSRC2:TIDIG_COMP_CNT: 0
	.section	.text._ZN7rocprim17ROCPRIM_400000_NS6detail17trampoline_kernelINS0_14default_configENS1_27scan_by_key_config_selectorIiiEEZZNS1_16scan_by_key_implILNS1_25lookback_scan_determinismE0ELb1ES3_N6thrust23THRUST_200600_302600_NS6detail15normal_iteratorINS9_10device_ptrIiEEEESE_SE_iNS9_4plusIiEE19head_flag_predicateiEE10hipError_tPvRmT2_T3_T4_T5_mT6_T7_P12ihipStream_tbENKUlT_T0_E_clISt17integral_constantIbLb1EESX_IbLb0EEEEDaST_SU_EUlST_E_NS1_11comp_targetILNS1_3genE5ELNS1_11target_archE942ELNS1_3gpuE9ELNS1_3repE0EEENS1_30default_config_static_selectorELNS0_4arch9wavefront6targetE0EEEvT1_,"axG",@progbits,_ZN7rocprim17ROCPRIM_400000_NS6detail17trampoline_kernelINS0_14default_configENS1_27scan_by_key_config_selectorIiiEEZZNS1_16scan_by_key_implILNS1_25lookback_scan_determinismE0ELb1ES3_N6thrust23THRUST_200600_302600_NS6detail15normal_iteratorINS9_10device_ptrIiEEEESE_SE_iNS9_4plusIiEE19head_flag_predicateiEE10hipError_tPvRmT2_T3_T4_T5_mT6_T7_P12ihipStream_tbENKUlT_T0_E_clISt17integral_constantIbLb1EESX_IbLb0EEEEDaST_SU_EUlST_E_NS1_11comp_targetILNS1_3genE5ELNS1_11target_archE942ELNS1_3gpuE9ELNS1_3repE0EEENS1_30default_config_static_selectorELNS0_4arch9wavefront6targetE0EEEvT1_,comdat
	.protected	_ZN7rocprim17ROCPRIM_400000_NS6detail17trampoline_kernelINS0_14default_configENS1_27scan_by_key_config_selectorIiiEEZZNS1_16scan_by_key_implILNS1_25lookback_scan_determinismE0ELb1ES3_N6thrust23THRUST_200600_302600_NS6detail15normal_iteratorINS9_10device_ptrIiEEEESE_SE_iNS9_4plusIiEE19head_flag_predicateiEE10hipError_tPvRmT2_T3_T4_T5_mT6_T7_P12ihipStream_tbENKUlT_T0_E_clISt17integral_constantIbLb1EESX_IbLb0EEEEDaST_SU_EUlST_E_NS1_11comp_targetILNS1_3genE5ELNS1_11target_archE942ELNS1_3gpuE9ELNS1_3repE0EEENS1_30default_config_static_selectorELNS0_4arch9wavefront6targetE0EEEvT1_ ; -- Begin function _ZN7rocprim17ROCPRIM_400000_NS6detail17trampoline_kernelINS0_14default_configENS1_27scan_by_key_config_selectorIiiEEZZNS1_16scan_by_key_implILNS1_25lookback_scan_determinismE0ELb1ES3_N6thrust23THRUST_200600_302600_NS6detail15normal_iteratorINS9_10device_ptrIiEEEESE_SE_iNS9_4plusIiEE19head_flag_predicateiEE10hipError_tPvRmT2_T3_T4_T5_mT6_T7_P12ihipStream_tbENKUlT_T0_E_clISt17integral_constantIbLb1EESX_IbLb0EEEEDaST_SU_EUlST_E_NS1_11comp_targetILNS1_3genE5ELNS1_11target_archE942ELNS1_3gpuE9ELNS1_3repE0EEENS1_30default_config_static_selectorELNS0_4arch9wavefront6targetE0EEEvT1_
	.globl	_ZN7rocprim17ROCPRIM_400000_NS6detail17trampoline_kernelINS0_14default_configENS1_27scan_by_key_config_selectorIiiEEZZNS1_16scan_by_key_implILNS1_25lookback_scan_determinismE0ELb1ES3_N6thrust23THRUST_200600_302600_NS6detail15normal_iteratorINS9_10device_ptrIiEEEESE_SE_iNS9_4plusIiEE19head_flag_predicateiEE10hipError_tPvRmT2_T3_T4_T5_mT6_T7_P12ihipStream_tbENKUlT_T0_E_clISt17integral_constantIbLb1EESX_IbLb0EEEEDaST_SU_EUlST_E_NS1_11comp_targetILNS1_3genE5ELNS1_11target_archE942ELNS1_3gpuE9ELNS1_3repE0EEENS1_30default_config_static_selectorELNS0_4arch9wavefront6targetE0EEEvT1_
	.p2align	8
	.type	_ZN7rocprim17ROCPRIM_400000_NS6detail17trampoline_kernelINS0_14default_configENS1_27scan_by_key_config_selectorIiiEEZZNS1_16scan_by_key_implILNS1_25lookback_scan_determinismE0ELb1ES3_N6thrust23THRUST_200600_302600_NS6detail15normal_iteratorINS9_10device_ptrIiEEEESE_SE_iNS9_4plusIiEE19head_flag_predicateiEE10hipError_tPvRmT2_T3_T4_T5_mT6_T7_P12ihipStream_tbENKUlT_T0_E_clISt17integral_constantIbLb1EESX_IbLb0EEEEDaST_SU_EUlST_E_NS1_11comp_targetILNS1_3genE5ELNS1_11target_archE942ELNS1_3gpuE9ELNS1_3repE0EEENS1_30default_config_static_selectorELNS0_4arch9wavefront6targetE0EEEvT1_,@function
_ZN7rocprim17ROCPRIM_400000_NS6detail17trampoline_kernelINS0_14default_configENS1_27scan_by_key_config_selectorIiiEEZZNS1_16scan_by_key_implILNS1_25lookback_scan_determinismE0ELb1ES3_N6thrust23THRUST_200600_302600_NS6detail15normal_iteratorINS9_10device_ptrIiEEEESE_SE_iNS9_4plusIiEE19head_flag_predicateiEE10hipError_tPvRmT2_T3_T4_T5_mT6_T7_P12ihipStream_tbENKUlT_T0_E_clISt17integral_constantIbLb1EESX_IbLb0EEEEDaST_SU_EUlST_E_NS1_11comp_targetILNS1_3genE5ELNS1_11target_archE942ELNS1_3gpuE9ELNS1_3repE0EEENS1_30default_config_static_selectorELNS0_4arch9wavefront6targetE0EEEvT1_: ; @_ZN7rocprim17ROCPRIM_400000_NS6detail17trampoline_kernelINS0_14default_configENS1_27scan_by_key_config_selectorIiiEEZZNS1_16scan_by_key_implILNS1_25lookback_scan_determinismE0ELb1ES3_N6thrust23THRUST_200600_302600_NS6detail15normal_iteratorINS9_10device_ptrIiEEEESE_SE_iNS9_4plusIiEE19head_flag_predicateiEE10hipError_tPvRmT2_T3_T4_T5_mT6_T7_P12ihipStream_tbENKUlT_T0_E_clISt17integral_constantIbLb1EESX_IbLb0EEEEDaST_SU_EUlST_E_NS1_11comp_targetILNS1_3genE5ELNS1_11target_archE942ELNS1_3gpuE9ELNS1_3repE0EEENS1_30default_config_static_selectorELNS0_4arch9wavefront6targetE0EEEvT1_
; %bb.0:
	.section	.rodata,"a",@progbits
	.p2align	6, 0x0
	.amdhsa_kernel _ZN7rocprim17ROCPRIM_400000_NS6detail17trampoline_kernelINS0_14default_configENS1_27scan_by_key_config_selectorIiiEEZZNS1_16scan_by_key_implILNS1_25lookback_scan_determinismE0ELb1ES3_N6thrust23THRUST_200600_302600_NS6detail15normal_iteratorINS9_10device_ptrIiEEEESE_SE_iNS9_4plusIiEE19head_flag_predicateiEE10hipError_tPvRmT2_T3_T4_T5_mT6_T7_P12ihipStream_tbENKUlT_T0_E_clISt17integral_constantIbLb1EESX_IbLb0EEEEDaST_SU_EUlST_E_NS1_11comp_targetILNS1_3genE5ELNS1_11target_archE942ELNS1_3gpuE9ELNS1_3repE0EEENS1_30default_config_static_selectorELNS0_4arch9wavefront6targetE0EEEvT1_
		.amdhsa_group_segment_fixed_size 0
		.amdhsa_private_segment_fixed_size 0
		.amdhsa_kernarg_size 112
		.amdhsa_user_sgpr_count 6
		.amdhsa_user_sgpr_private_segment_buffer 1
		.amdhsa_user_sgpr_dispatch_ptr 0
		.amdhsa_user_sgpr_queue_ptr 0
		.amdhsa_user_sgpr_kernarg_segment_ptr 1
		.amdhsa_user_sgpr_dispatch_id 0
		.amdhsa_user_sgpr_flat_scratch_init 0
		.amdhsa_user_sgpr_private_segment_size 0
		.amdhsa_wavefront_size32 1
		.amdhsa_uses_dynamic_stack 0
		.amdhsa_system_sgpr_private_segment_wavefront_offset 0
		.amdhsa_system_sgpr_workgroup_id_x 1
		.amdhsa_system_sgpr_workgroup_id_y 0
		.amdhsa_system_sgpr_workgroup_id_z 0
		.amdhsa_system_sgpr_workgroup_info 0
		.amdhsa_system_vgpr_workitem_id 0
		.amdhsa_next_free_vgpr 1
		.amdhsa_next_free_sgpr 1
		.amdhsa_reserve_vcc 0
		.amdhsa_reserve_flat_scratch 0
		.amdhsa_float_round_mode_32 0
		.amdhsa_float_round_mode_16_64 0
		.amdhsa_float_denorm_mode_32 3
		.amdhsa_float_denorm_mode_16_64 3
		.amdhsa_dx10_clamp 1
		.amdhsa_ieee_mode 1
		.amdhsa_fp16_overflow 0
		.amdhsa_workgroup_processor_mode 1
		.amdhsa_memory_ordered 1
		.amdhsa_forward_progress 1
		.amdhsa_shared_vgpr_count 0
		.amdhsa_exception_fp_ieee_invalid_op 0
		.amdhsa_exception_fp_denorm_src 0
		.amdhsa_exception_fp_ieee_div_zero 0
		.amdhsa_exception_fp_ieee_overflow 0
		.amdhsa_exception_fp_ieee_underflow 0
		.amdhsa_exception_fp_ieee_inexact 0
		.amdhsa_exception_int_div_zero 0
	.end_amdhsa_kernel
	.section	.text._ZN7rocprim17ROCPRIM_400000_NS6detail17trampoline_kernelINS0_14default_configENS1_27scan_by_key_config_selectorIiiEEZZNS1_16scan_by_key_implILNS1_25lookback_scan_determinismE0ELb1ES3_N6thrust23THRUST_200600_302600_NS6detail15normal_iteratorINS9_10device_ptrIiEEEESE_SE_iNS9_4plusIiEE19head_flag_predicateiEE10hipError_tPvRmT2_T3_T4_T5_mT6_T7_P12ihipStream_tbENKUlT_T0_E_clISt17integral_constantIbLb1EESX_IbLb0EEEEDaST_SU_EUlST_E_NS1_11comp_targetILNS1_3genE5ELNS1_11target_archE942ELNS1_3gpuE9ELNS1_3repE0EEENS1_30default_config_static_selectorELNS0_4arch9wavefront6targetE0EEEvT1_,"axG",@progbits,_ZN7rocprim17ROCPRIM_400000_NS6detail17trampoline_kernelINS0_14default_configENS1_27scan_by_key_config_selectorIiiEEZZNS1_16scan_by_key_implILNS1_25lookback_scan_determinismE0ELb1ES3_N6thrust23THRUST_200600_302600_NS6detail15normal_iteratorINS9_10device_ptrIiEEEESE_SE_iNS9_4plusIiEE19head_flag_predicateiEE10hipError_tPvRmT2_T3_T4_T5_mT6_T7_P12ihipStream_tbENKUlT_T0_E_clISt17integral_constantIbLb1EESX_IbLb0EEEEDaST_SU_EUlST_E_NS1_11comp_targetILNS1_3genE5ELNS1_11target_archE942ELNS1_3gpuE9ELNS1_3repE0EEENS1_30default_config_static_selectorELNS0_4arch9wavefront6targetE0EEEvT1_,comdat
.Lfunc_end805:
	.size	_ZN7rocprim17ROCPRIM_400000_NS6detail17trampoline_kernelINS0_14default_configENS1_27scan_by_key_config_selectorIiiEEZZNS1_16scan_by_key_implILNS1_25lookback_scan_determinismE0ELb1ES3_N6thrust23THRUST_200600_302600_NS6detail15normal_iteratorINS9_10device_ptrIiEEEESE_SE_iNS9_4plusIiEE19head_flag_predicateiEE10hipError_tPvRmT2_T3_T4_T5_mT6_T7_P12ihipStream_tbENKUlT_T0_E_clISt17integral_constantIbLb1EESX_IbLb0EEEEDaST_SU_EUlST_E_NS1_11comp_targetILNS1_3genE5ELNS1_11target_archE942ELNS1_3gpuE9ELNS1_3repE0EEENS1_30default_config_static_selectorELNS0_4arch9wavefront6targetE0EEEvT1_, .Lfunc_end805-_ZN7rocprim17ROCPRIM_400000_NS6detail17trampoline_kernelINS0_14default_configENS1_27scan_by_key_config_selectorIiiEEZZNS1_16scan_by_key_implILNS1_25lookback_scan_determinismE0ELb1ES3_N6thrust23THRUST_200600_302600_NS6detail15normal_iteratorINS9_10device_ptrIiEEEESE_SE_iNS9_4plusIiEE19head_flag_predicateiEE10hipError_tPvRmT2_T3_T4_T5_mT6_T7_P12ihipStream_tbENKUlT_T0_E_clISt17integral_constantIbLb1EESX_IbLb0EEEEDaST_SU_EUlST_E_NS1_11comp_targetILNS1_3genE5ELNS1_11target_archE942ELNS1_3gpuE9ELNS1_3repE0EEENS1_30default_config_static_selectorELNS0_4arch9wavefront6targetE0EEEvT1_
                                        ; -- End function
	.set _ZN7rocprim17ROCPRIM_400000_NS6detail17trampoline_kernelINS0_14default_configENS1_27scan_by_key_config_selectorIiiEEZZNS1_16scan_by_key_implILNS1_25lookback_scan_determinismE0ELb1ES3_N6thrust23THRUST_200600_302600_NS6detail15normal_iteratorINS9_10device_ptrIiEEEESE_SE_iNS9_4plusIiEE19head_flag_predicateiEE10hipError_tPvRmT2_T3_T4_T5_mT6_T7_P12ihipStream_tbENKUlT_T0_E_clISt17integral_constantIbLb1EESX_IbLb0EEEEDaST_SU_EUlST_E_NS1_11comp_targetILNS1_3genE5ELNS1_11target_archE942ELNS1_3gpuE9ELNS1_3repE0EEENS1_30default_config_static_selectorELNS0_4arch9wavefront6targetE0EEEvT1_.num_vgpr, 0
	.set _ZN7rocprim17ROCPRIM_400000_NS6detail17trampoline_kernelINS0_14default_configENS1_27scan_by_key_config_selectorIiiEEZZNS1_16scan_by_key_implILNS1_25lookback_scan_determinismE0ELb1ES3_N6thrust23THRUST_200600_302600_NS6detail15normal_iteratorINS9_10device_ptrIiEEEESE_SE_iNS9_4plusIiEE19head_flag_predicateiEE10hipError_tPvRmT2_T3_T4_T5_mT6_T7_P12ihipStream_tbENKUlT_T0_E_clISt17integral_constantIbLb1EESX_IbLb0EEEEDaST_SU_EUlST_E_NS1_11comp_targetILNS1_3genE5ELNS1_11target_archE942ELNS1_3gpuE9ELNS1_3repE0EEENS1_30default_config_static_selectorELNS0_4arch9wavefront6targetE0EEEvT1_.num_agpr, 0
	.set _ZN7rocprim17ROCPRIM_400000_NS6detail17trampoline_kernelINS0_14default_configENS1_27scan_by_key_config_selectorIiiEEZZNS1_16scan_by_key_implILNS1_25lookback_scan_determinismE0ELb1ES3_N6thrust23THRUST_200600_302600_NS6detail15normal_iteratorINS9_10device_ptrIiEEEESE_SE_iNS9_4plusIiEE19head_flag_predicateiEE10hipError_tPvRmT2_T3_T4_T5_mT6_T7_P12ihipStream_tbENKUlT_T0_E_clISt17integral_constantIbLb1EESX_IbLb0EEEEDaST_SU_EUlST_E_NS1_11comp_targetILNS1_3genE5ELNS1_11target_archE942ELNS1_3gpuE9ELNS1_3repE0EEENS1_30default_config_static_selectorELNS0_4arch9wavefront6targetE0EEEvT1_.numbered_sgpr, 0
	.set _ZN7rocprim17ROCPRIM_400000_NS6detail17trampoline_kernelINS0_14default_configENS1_27scan_by_key_config_selectorIiiEEZZNS1_16scan_by_key_implILNS1_25lookback_scan_determinismE0ELb1ES3_N6thrust23THRUST_200600_302600_NS6detail15normal_iteratorINS9_10device_ptrIiEEEESE_SE_iNS9_4plusIiEE19head_flag_predicateiEE10hipError_tPvRmT2_T3_T4_T5_mT6_T7_P12ihipStream_tbENKUlT_T0_E_clISt17integral_constantIbLb1EESX_IbLb0EEEEDaST_SU_EUlST_E_NS1_11comp_targetILNS1_3genE5ELNS1_11target_archE942ELNS1_3gpuE9ELNS1_3repE0EEENS1_30default_config_static_selectorELNS0_4arch9wavefront6targetE0EEEvT1_.num_named_barrier, 0
	.set _ZN7rocprim17ROCPRIM_400000_NS6detail17trampoline_kernelINS0_14default_configENS1_27scan_by_key_config_selectorIiiEEZZNS1_16scan_by_key_implILNS1_25lookback_scan_determinismE0ELb1ES3_N6thrust23THRUST_200600_302600_NS6detail15normal_iteratorINS9_10device_ptrIiEEEESE_SE_iNS9_4plusIiEE19head_flag_predicateiEE10hipError_tPvRmT2_T3_T4_T5_mT6_T7_P12ihipStream_tbENKUlT_T0_E_clISt17integral_constantIbLb1EESX_IbLb0EEEEDaST_SU_EUlST_E_NS1_11comp_targetILNS1_3genE5ELNS1_11target_archE942ELNS1_3gpuE9ELNS1_3repE0EEENS1_30default_config_static_selectorELNS0_4arch9wavefront6targetE0EEEvT1_.private_seg_size, 0
	.set _ZN7rocprim17ROCPRIM_400000_NS6detail17trampoline_kernelINS0_14default_configENS1_27scan_by_key_config_selectorIiiEEZZNS1_16scan_by_key_implILNS1_25lookback_scan_determinismE0ELb1ES3_N6thrust23THRUST_200600_302600_NS6detail15normal_iteratorINS9_10device_ptrIiEEEESE_SE_iNS9_4plusIiEE19head_flag_predicateiEE10hipError_tPvRmT2_T3_T4_T5_mT6_T7_P12ihipStream_tbENKUlT_T0_E_clISt17integral_constantIbLb1EESX_IbLb0EEEEDaST_SU_EUlST_E_NS1_11comp_targetILNS1_3genE5ELNS1_11target_archE942ELNS1_3gpuE9ELNS1_3repE0EEENS1_30default_config_static_selectorELNS0_4arch9wavefront6targetE0EEEvT1_.uses_vcc, 0
	.set _ZN7rocprim17ROCPRIM_400000_NS6detail17trampoline_kernelINS0_14default_configENS1_27scan_by_key_config_selectorIiiEEZZNS1_16scan_by_key_implILNS1_25lookback_scan_determinismE0ELb1ES3_N6thrust23THRUST_200600_302600_NS6detail15normal_iteratorINS9_10device_ptrIiEEEESE_SE_iNS9_4plusIiEE19head_flag_predicateiEE10hipError_tPvRmT2_T3_T4_T5_mT6_T7_P12ihipStream_tbENKUlT_T0_E_clISt17integral_constantIbLb1EESX_IbLb0EEEEDaST_SU_EUlST_E_NS1_11comp_targetILNS1_3genE5ELNS1_11target_archE942ELNS1_3gpuE9ELNS1_3repE0EEENS1_30default_config_static_selectorELNS0_4arch9wavefront6targetE0EEEvT1_.uses_flat_scratch, 0
	.set _ZN7rocprim17ROCPRIM_400000_NS6detail17trampoline_kernelINS0_14default_configENS1_27scan_by_key_config_selectorIiiEEZZNS1_16scan_by_key_implILNS1_25lookback_scan_determinismE0ELb1ES3_N6thrust23THRUST_200600_302600_NS6detail15normal_iteratorINS9_10device_ptrIiEEEESE_SE_iNS9_4plusIiEE19head_flag_predicateiEE10hipError_tPvRmT2_T3_T4_T5_mT6_T7_P12ihipStream_tbENKUlT_T0_E_clISt17integral_constantIbLb1EESX_IbLb0EEEEDaST_SU_EUlST_E_NS1_11comp_targetILNS1_3genE5ELNS1_11target_archE942ELNS1_3gpuE9ELNS1_3repE0EEENS1_30default_config_static_selectorELNS0_4arch9wavefront6targetE0EEEvT1_.has_dyn_sized_stack, 0
	.set _ZN7rocprim17ROCPRIM_400000_NS6detail17trampoline_kernelINS0_14default_configENS1_27scan_by_key_config_selectorIiiEEZZNS1_16scan_by_key_implILNS1_25lookback_scan_determinismE0ELb1ES3_N6thrust23THRUST_200600_302600_NS6detail15normal_iteratorINS9_10device_ptrIiEEEESE_SE_iNS9_4plusIiEE19head_flag_predicateiEE10hipError_tPvRmT2_T3_T4_T5_mT6_T7_P12ihipStream_tbENKUlT_T0_E_clISt17integral_constantIbLb1EESX_IbLb0EEEEDaST_SU_EUlST_E_NS1_11comp_targetILNS1_3genE5ELNS1_11target_archE942ELNS1_3gpuE9ELNS1_3repE0EEENS1_30default_config_static_selectorELNS0_4arch9wavefront6targetE0EEEvT1_.has_recursion, 0
	.set _ZN7rocprim17ROCPRIM_400000_NS6detail17trampoline_kernelINS0_14default_configENS1_27scan_by_key_config_selectorIiiEEZZNS1_16scan_by_key_implILNS1_25lookback_scan_determinismE0ELb1ES3_N6thrust23THRUST_200600_302600_NS6detail15normal_iteratorINS9_10device_ptrIiEEEESE_SE_iNS9_4plusIiEE19head_flag_predicateiEE10hipError_tPvRmT2_T3_T4_T5_mT6_T7_P12ihipStream_tbENKUlT_T0_E_clISt17integral_constantIbLb1EESX_IbLb0EEEEDaST_SU_EUlST_E_NS1_11comp_targetILNS1_3genE5ELNS1_11target_archE942ELNS1_3gpuE9ELNS1_3repE0EEENS1_30default_config_static_selectorELNS0_4arch9wavefront6targetE0EEEvT1_.has_indirect_call, 0
	.section	.AMDGPU.csdata,"",@progbits
; Kernel info:
; codeLenInByte = 0
; TotalNumSgprs: 0
; NumVgprs: 0
; ScratchSize: 0
; MemoryBound: 0
; FloatMode: 240
; IeeeMode: 1
; LDSByteSize: 0 bytes/workgroup (compile time only)
; SGPRBlocks: 0
; VGPRBlocks: 0
; NumSGPRsForWavesPerEU: 1
; NumVGPRsForWavesPerEU: 1
; Occupancy: 16
; WaveLimiterHint : 0
; COMPUTE_PGM_RSRC2:SCRATCH_EN: 0
; COMPUTE_PGM_RSRC2:USER_SGPR: 6
; COMPUTE_PGM_RSRC2:TRAP_HANDLER: 0
; COMPUTE_PGM_RSRC2:TGID_X_EN: 1
; COMPUTE_PGM_RSRC2:TGID_Y_EN: 0
; COMPUTE_PGM_RSRC2:TGID_Z_EN: 0
; COMPUTE_PGM_RSRC2:TIDIG_COMP_CNT: 0
	.section	.text._ZN7rocprim17ROCPRIM_400000_NS6detail17trampoline_kernelINS0_14default_configENS1_27scan_by_key_config_selectorIiiEEZZNS1_16scan_by_key_implILNS1_25lookback_scan_determinismE0ELb1ES3_N6thrust23THRUST_200600_302600_NS6detail15normal_iteratorINS9_10device_ptrIiEEEESE_SE_iNS9_4plusIiEE19head_flag_predicateiEE10hipError_tPvRmT2_T3_T4_T5_mT6_T7_P12ihipStream_tbENKUlT_T0_E_clISt17integral_constantIbLb1EESX_IbLb0EEEEDaST_SU_EUlST_E_NS1_11comp_targetILNS1_3genE4ELNS1_11target_archE910ELNS1_3gpuE8ELNS1_3repE0EEENS1_30default_config_static_selectorELNS0_4arch9wavefront6targetE0EEEvT1_,"axG",@progbits,_ZN7rocprim17ROCPRIM_400000_NS6detail17trampoline_kernelINS0_14default_configENS1_27scan_by_key_config_selectorIiiEEZZNS1_16scan_by_key_implILNS1_25lookback_scan_determinismE0ELb1ES3_N6thrust23THRUST_200600_302600_NS6detail15normal_iteratorINS9_10device_ptrIiEEEESE_SE_iNS9_4plusIiEE19head_flag_predicateiEE10hipError_tPvRmT2_T3_T4_T5_mT6_T7_P12ihipStream_tbENKUlT_T0_E_clISt17integral_constantIbLb1EESX_IbLb0EEEEDaST_SU_EUlST_E_NS1_11comp_targetILNS1_3genE4ELNS1_11target_archE910ELNS1_3gpuE8ELNS1_3repE0EEENS1_30default_config_static_selectorELNS0_4arch9wavefront6targetE0EEEvT1_,comdat
	.protected	_ZN7rocprim17ROCPRIM_400000_NS6detail17trampoline_kernelINS0_14default_configENS1_27scan_by_key_config_selectorIiiEEZZNS1_16scan_by_key_implILNS1_25lookback_scan_determinismE0ELb1ES3_N6thrust23THRUST_200600_302600_NS6detail15normal_iteratorINS9_10device_ptrIiEEEESE_SE_iNS9_4plusIiEE19head_flag_predicateiEE10hipError_tPvRmT2_T3_T4_T5_mT6_T7_P12ihipStream_tbENKUlT_T0_E_clISt17integral_constantIbLb1EESX_IbLb0EEEEDaST_SU_EUlST_E_NS1_11comp_targetILNS1_3genE4ELNS1_11target_archE910ELNS1_3gpuE8ELNS1_3repE0EEENS1_30default_config_static_selectorELNS0_4arch9wavefront6targetE0EEEvT1_ ; -- Begin function _ZN7rocprim17ROCPRIM_400000_NS6detail17trampoline_kernelINS0_14default_configENS1_27scan_by_key_config_selectorIiiEEZZNS1_16scan_by_key_implILNS1_25lookback_scan_determinismE0ELb1ES3_N6thrust23THRUST_200600_302600_NS6detail15normal_iteratorINS9_10device_ptrIiEEEESE_SE_iNS9_4plusIiEE19head_flag_predicateiEE10hipError_tPvRmT2_T3_T4_T5_mT6_T7_P12ihipStream_tbENKUlT_T0_E_clISt17integral_constantIbLb1EESX_IbLb0EEEEDaST_SU_EUlST_E_NS1_11comp_targetILNS1_3genE4ELNS1_11target_archE910ELNS1_3gpuE8ELNS1_3repE0EEENS1_30default_config_static_selectorELNS0_4arch9wavefront6targetE0EEEvT1_
	.globl	_ZN7rocprim17ROCPRIM_400000_NS6detail17trampoline_kernelINS0_14default_configENS1_27scan_by_key_config_selectorIiiEEZZNS1_16scan_by_key_implILNS1_25lookback_scan_determinismE0ELb1ES3_N6thrust23THRUST_200600_302600_NS6detail15normal_iteratorINS9_10device_ptrIiEEEESE_SE_iNS9_4plusIiEE19head_flag_predicateiEE10hipError_tPvRmT2_T3_T4_T5_mT6_T7_P12ihipStream_tbENKUlT_T0_E_clISt17integral_constantIbLb1EESX_IbLb0EEEEDaST_SU_EUlST_E_NS1_11comp_targetILNS1_3genE4ELNS1_11target_archE910ELNS1_3gpuE8ELNS1_3repE0EEENS1_30default_config_static_selectorELNS0_4arch9wavefront6targetE0EEEvT1_
	.p2align	8
	.type	_ZN7rocprim17ROCPRIM_400000_NS6detail17trampoline_kernelINS0_14default_configENS1_27scan_by_key_config_selectorIiiEEZZNS1_16scan_by_key_implILNS1_25lookback_scan_determinismE0ELb1ES3_N6thrust23THRUST_200600_302600_NS6detail15normal_iteratorINS9_10device_ptrIiEEEESE_SE_iNS9_4plusIiEE19head_flag_predicateiEE10hipError_tPvRmT2_T3_T4_T5_mT6_T7_P12ihipStream_tbENKUlT_T0_E_clISt17integral_constantIbLb1EESX_IbLb0EEEEDaST_SU_EUlST_E_NS1_11comp_targetILNS1_3genE4ELNS1_11target_archE910ELNS1_3gpuE8ELNS1_3repE0EEENS1_30default_config_static_selectorELNS0_4arch9wavefront6targetE0EEEvT1_,@function
_ZN7rocprim17ROCPRIM_400000_NS6detail17trampoline_kernelINS0_14default_configENS1_27scan_by_key_config_selectorIiiEEZZNS1_16scan_by_key_implILNS1_25lookback_scan_determinismE0ELb1ES3_N6thrust23THRUST_200600_302600_NS6detail15normal_iteratorINS9_10device_ptrIiEEEESE_SE_iNS9_4plusIiEE19head_flag_predicateiEE10hipError_tPvRmT2_T3_T4_T5_mT6_T7_P12ihipStream_tbENKUlT_T0_E_clISt17integral_constantIbLb1EESX_IbLb0EEEEDaST_SU_EUlST_E_NS1_11comp_targetILNS1_3genE4ELNS1_11target_archE910ELNS1_3gpuE8ELNS1_3repE0EEENS1_30default_config_static_selectorELNS0_4arch9wavefront6targetE0EEEvT1_: ; @_ZN7rocprim17ROCPRIM_400000_NS6detail17trampoline_kernelINS0_14default_configENS1_27scan_by_key_config_selectorIiiEEZZNS1_16scan_by_key_implILNS1_25lookback_scan_determinismE0ELb1ES3_N6thrust23THRUST_200600_302600_NS6detail15normal_iteratorINS9_10device_ptrIiEEEESE_SE_iNS9_4plusIiEE19head_flag_predicateiEE10hipError_tPvRmT2_T3_T4_T5_mT6_T7_P12ihipStream_tbENKUlT_T0_E_clISt17integral_constantIbLb1EESX_IbLb0EEEEDaST_SU_EUlST_E_NS1_11comp_targetILNS1_3genE4ELNS1_11target_archE910ELNS1_3gpuE8ELNS1_3repE0EEENS1_30default_config_static_selectorELNS0_4arch9wavefront6targetE0EEEvT1_
; %bb.0:
	.section	.rodata,"a",@progbits
	.p2align	6, 0x0
	.amdhsa_kernel _ZN7rocprim17ROCPRIM_400000_NS6detail17trampoline_kernelINS0_14default_configENS1_27scan_by_key_config_selectorIiiEEZZNS1_16scan_by_key_implILNS1_25lookback_scan_determinismE0ELb1ES3_N6thrust23THRUST_200600_302600_NS6detail15normal_iteratorINS9_10device_ptrIiEEEESE_SE_iNS9_4plusIiEE19head_flag_predicateiEE10hipError_tPvRmT2_T3_T4_T5_mT6_T7_P12ihipStream_tbENKUlT_T0_E_clISt17integral_constantIbLb1EESX_IbLb0EEEEDaST_SU_EUlST_E_NS1_11comp_targetILNS1_3genE4ELNS1_11target_archE910ELNS1_3gpuE8ELNS1_3repE0EEENS1_30default_config_static_selectorELNS0_4arch9wavefront6targetE0EEEvT1_
		.amdhsa_group_segment_fixed_size 0
		.amdhsa_private_segment_fixed_size 0
		.amdhsa_kernarg_size 112
		.amdhsa_user_sgpr_count 6
		.amdhsa_user_sgpr_private_segment_buffer 1
		.amdhsa_user_sgpr_dispatch_ptr 0
		.amdhsa_user_sgpr_queue_ptr 0
		.amdhsa_user_sgpr_kernarg_segment_ptr 1
		.amdhsa_user_sgpr_dispatch_id 0
		.amdhsa_user_sgpr_flat_scratch_init 0
		.amdhsa_user_sgpr_private_segment_size 0
		.amdhsa_wavefront_size32 1
		.amdhsa_uses_dynamic_stack 0
		.amdhsa_system_sgpr_private_segment_wavefront_offset 0
		.amdhsa_system_sgpr_workgroup_id_x 1
		.amdhsa_system_sgpr_workgroup_id_y 0
		.amdhsa_system_sgpr_workgroup_id_z 0
		.amdhsa_system_sgpr_workgroup_info 0
		.amdhsa_system_vgpr_workitem_id 0
		.amdhsa_next_free_vgpr 1
		.amdhsa_next_free_sgpr 1
		.amdhsa_reserve_vcc 0
		.amdhsa_reserve_flat_scratch 0
		.amdhsa_float_round_mode_32 0
		.amdhsa_float_round_mode_16_64 0
		.amdhsa_float_denorm_mode_32 3
		.amdhsa_float_denorm_mode_16_64 3
		.amdhsa_dx10_clamp 1
		.amdhsa_ieee_mode 1
		.amdhsa_fp16_overflow 0
		.amdhsa_workgroup_processor_mode 1
		.amdhsa_memory_ordered 1
		.amdhsa_forward_progress 1
		.amdhsa_shared_vgpr_count 0
		.amdhsa_exception_fp_ieee_invalid_op 0
		.amdhsa_exception_fp_denorm_src 0
		.amdhsa_exception_fp_ieee_div_zero 0
		.amdhsa_exception_fp_ieee_overflow 0
		.amdhsa_exception_fp_ieee_underflow 0
		.amdhsa_exception_fp_ieee_inexact 0
		.amdhsa_exception_int_div_zero 0
	.end_amdhsa_kernel
	.section	.text._ZN7rocprim17ROCPRIM_400000_NS6detail17trampoline_kernelINS0_14default_configENS1_27scan_by_key_config_selectorIiiEEZZNS1_16scan_by_key_implILNS1_25lookback_scan_determinismE0ELb1ES3_N6thrust23THRUST_200600_302600_NS6detail15normal_iteratorINS9_10device_ptrIiEEEESE_SE_iNS9_4plusIiEE19head_flag_predicateiEE10hipError_tPvRmT2_T3_T4_T5_mT6_T7_P12ihipStream_tbENKUlT_T0_E_clISt17integral_constantIbLb1EESX_IbLb0EEEEDaST_SU_EUlST_E_NS1_11comp_targetILNS1_3genE4ELNS1_11target_archE910ELNS1_3gpuE8ELNS1_3repE0EEENS1_30default_config_static_selectorELNS0_4arch9wavefront6targetE0EEEvT1_,"axG",@progbits,_ZN7rocprim17ROCPRIM_400000_NS6detail17trampoline_kernelINS0_14default_configENS1_27scan_by_key_config_selectorIiiEEZZNS1_16scan_by_key_implILNS1_25lookback_scan_determinismE0ELb1ES3_N6thrust23THRUST_200600_302600_NS6detail15normal_iteratorINS9_10device_ptrIiEEEESE_SE_iNS9_4plusIiEE19head_flag_predicateiEE10hipError_tPvRmT2_T3_T4_T5_mT6_T7_P12ihipStream_tbENKUlT_T0_E_clISt17integral_constantIbLb1EESX_IbLb0EEEEDaST_SU_EUlST_E_NS1_11comp_targetILNS1_3genE4ELNS1_11target_archE910ELNS1_3gpuE8ELNS1_3repE0EEENS1_30default_config_static_selectorELNS0_4arch9wavefront6targetE0EEEvT1_,comdat
.Lfunc_end806:
	.size	_ZN7rocprim17ROCPRIM_400000_NS6detail17trampoline_kernelINS0_14default_configENS1_27scan_by_key_config_selectorIiiEEZZNS1_16scan_by_key_implILNS1_25lookback_scan_determinismE0ELb1ES3_N6thrust23THRUST_200600_302600_NS6detail15normal_iteratorINS9_10device_ptrIiEEEESE_SE_iNS9_4plusIiEE19head_flag_predicateiEE10hipError_tPvRmT2_T3_T4_T5_mT6_T7_P12ihipStream_tbENKUlT_T0_E_clISt17integral_constantIbLb1EESX_IbLb0EEEEDaST_SU_EUlST_E_NS1_11comp_targetILNS1_3genE4ELNS1_11target_archE910ELNS1_3gpuE8ELNS1_3repE0EEENS1_30default_config_static_selectorELNS0_4arch9wavefront6targetE0EEEvT1_, .Lfunc_end806-_ZN7rocprim17ROCPRIM_400000_NS6detail17trampoline_kernelINS0_14default_configENS1_27scan_by_key_config_selectorIiiEEZZNS1_16scan_by_key_implILNS1_25lookback_scan_determinismE0ELb1ES3_N6thrust23THRUST_200600_302600_NS6detail15normal_iteratorINS9_10device_ptrIiEEEESE_SE_iNS9_4plusIiEE19head_flag_predicateiEE10hipError_tPvRmT2_T3_T4_T5_mT6_T7_P12ihipStream_tbENKUlT_T0_E_clISt17integral_constantIbLb1EESX_IbLb0EEEEDaST_SU_EUlST_E_NS1_11comp_targetILNS1_3genE4ELNS1_11target_archE910ELNS1_3gpuE8ELNS1_3repE0EEENS1_30default_config_static_selectorELNS0_4arch9wavefront6targetE0EEEvT1_
                                        ; -- End function
	.set _ZN7rocprim17ROCPRIM_400000_NS6detail17trampoline_kernelINS0_14default_configENS1_27scan_by_key_config_selectorIiiEEZZNS1_16scan_by_key_implILNS1_25lookback_scan_determinismE0ELb1ES3_N6thrust23THRUST_200600_302600_NS6detail15normal_iteratorINS9_10device_ptrIiEEEESE_SE_iNS9_4plusIiEE19head_flag_predicateiEE10hipError_tPvRmT2_T3_T4_T5_mT6_T7_P12ihipStream_tbENKUlT_T0_E_clISt17integral_constantIbLb1EESX_IbLb0EEEEDaST_SU_EUlST_E_NS1_11comp_targetILNS1_3genE4ELNS1_11target_archE910ELNS1_3gpuE8ELNS1_3repE0EEENS1_30default_config_static_selectorELNS0_4arch9wavefront6targetE0EEEvT1_.num_vgpr, 0
	.set _ZN7rocprim17ROCPRIM_400000_NS6detail17trampoline_kernelINS0_14default_configENS1_27scan_by_key_config_selectorIiiEEZZNS1_16scan_by_key_implILNS1_25lookback_scan_determinismE0ELb1ES3_N6thrust23THRUST_200600_302600_NS6detail15normal_iteratorINS9_10device_ptrIiEEEESE_SE_iNS9_4plusIiEE19head_flag_predicateiEE10hipError_tPvRmT2_T3_T4_T5_mT6_T7_P12ihipStream_tbENKUlT_T0_E_clISt17integral_constantIbLb1EESX_IbLb0EEEEDaST_SU_EUlST_E_NS1_11comp_targetILNS1_3genE4ELNS1_11target_archE910ELNS1_3gpuE8ELNS1_3repE0EEENS1_30default_config_static_selectorELNS0_4arch9wavefront6targetE0EEEvT1_.num_agpr, 0
	.set _ZN7rocprim17ROCPRIM_400000_NS6detail17trampoline_kernelINS0_14default_configENS1_27scan_by_key_config_selectorIiiEEZZNS1_16scan_by_key_implILNS1_25lookback_scan_determinismE0ELb1ES3_N6thrust23THRUST_200600_302600_NS6detail15normal_iteratorINS9_10device_ptrIiEEEESE_SE_iNS9_4plusIiEE19head_flag_predicateiEE10hipError_tPvRmT2_T3_T4_T5_mT6_T7_P12ihipStream_tbENKUlT_T0_E_clISt17integral_constantIbLb1EESX_IbLb0EEEEDaST_SU_EUlST_E_NS1_11comp_targetILNS1_3genE4ELNS1_11target_archE910ELNS1_3gpuE8ELNS1_3repE0EEENS1_30default_config_static_selectorELNS0_4arch9wavefront6targetE0EEEvT1_.numbered_sgpr, 0
	.set _ZN7rocprim17ROCPRIM_400000_NS6detail17trampoline_kernelINS0_14default_configENS1_27scan_by_key_config_selectorIiiEEZZNS1_16scan_by_key_implILNS1_25lookback_scan_determinismE0ELb1ES3_N6thrust23THRUST_200600_302600_NS6detail15normal_iteratorINS9_10device_ptrIiEEEESE_SE_iNS9_4plusIiEE19head_flag_predicateiEE10hipError_tPvRmT2_T3_T4_T5_mT6_T7_P12ihipStream_tbENKUlT_T0_E_clISt17integral_constantIbLb1EESX_IbLb0EEEEDaST_SU_EUlST_E_NS1_11comp_targetILNS1_3genE4ELNS1_11target_archE910ELNS1_3gpuE8ELNS1_3repE0EEENS1_30default_config_static_selectorELNS0_4arch9wavefront6targetE0EEEvT1_.num_named_barrier, 0
	.set _ZN7rocprim17ROCPRIM_400000_NS6detail17trampoline_kernelINS0_14default_configENS1_27scan_by_key_config_selectorIiiEEZZNS1_16scan_by_key_implILNS1_25lookback_scan_determinismE0ELb1ES3_N6thrust23THRUST_200600_302600_NS6detail15normal_iteratorINS9_10device_ptrIiEEEESE_SE_iNS9_4plusIiEE19head_flag_predicateiEE10hipError_tPvRmT2_T3_T4_T5_mT6_T7_P12ihipStream_tbENKUlT_T0_E_clISt17integral_constantIbLb1EESX_IbLb0EEEEDaST_SU_EUlST_E_NS1_11comp_targetILNS1_3genE4ELNS1_11target_archE910ELNS1_3gpuE8ELNS1_3repE0EEENS1_30default_config_static_selectorELNS0_4arch9wavefront6targetE0EEEvT1_.private_seg_size, 0
	.set _ZN7rocprim17ROCPRIM_400000_NS6detail17trampoline_kernelINS0_14default_configENS1_27scan_by_key_config_selectorIiiEEZZNS1_16scan_by_key_implILNS1_25lookback_scan_determinismE0ELb1ES3_N6thrust23THRUST_200600_302600_NS6detail15normal_iteratorINS9_10device_ptrIiEEEESE_SE_iNS9_4plusIiEE19head_flag_predicateiEE10hipError_tPvRmT2_T3_T4_T5_mT6_T7_P12ihipStream_tbENKUlT_T0_E_clISt17integral_constantIbLb1EESX_IbLb0EEEEDaST_SU_EUlST_E_NS1_11comp_targetILNS1_3genE4ELNS1_11target_archE910ELNS1_3gpuE8ELNS1_3repE0EEENS1_30default_config_static_selectorELNS0_4arch9wavefront6targetE0EEEvT1_.uses_vcc, 0
	.set _ZN7rocprim17ROCPRIM_400000_NS6detail17trampoline_kernelINS0_14default_configENS1_27scan_by_key_config_selectorIiiEEZZNS1_16scan_by_key_implILNS1_25lookback_scan_determinismE0ELb1ES3_N6thrust23THRUST_200600_302600_NS6detail15normal_iteratorINS9_10device_ptrIiEEEESE_SE_iNS9_4plusIiEE19head_flag_predicateiEE10hipError_tPvRmT2_T3_T4_T5_mT6_T7_P12ihipStream_tbENKUlT_T0_E_clISt17integral_constantIbLb1EESX_IbLb0EEEEDaST_SU_EUlST_E_NS1_11comp_targetILNS1_3genE4ELNS1_11target_archE910ELNS1_3gpuE8ELNS1_3repE0EEENS1_30default_config_static_selectorELNS0_4arch9wavefront6targetE0EEEvT1_.uses_flat_scratch, 0
	.set _ZN7rocprim17ROCPRIM_400000_NS6detail17trampoline_kernelINS0_14default_configENS1_27scan_by_key_config_selectorIiiEEZZNS1_16scan_by_key_implILNS1_25lookback_scan_determinismE0ELb1ES3_N6thrust23THRUST_200600_302600_NS6detail15normal_iteratorINS9_10device_ptrIiEEEESE_SE_iNS9_4plusIiEE19head_flag_predicateiEE10hipError_tPvRmT2_T3_T4_T5_mT6_T7_P12ihipStream_tbENKUlT_T0_E_clISt17integral_constantIbLb1EESX_IbLb0EEEEDaST_SU_EUlST_E_NS1_11comp_targetILNS1_3genE4ELNS1_11target_archE910ELNS1_3gpuE8ELNS1_3repE0EEENS1_30default_config_static_selectorELNS0_4arch9wavefront6targetE0EEEvT1_.has_dyn_sized_stack, 0
	.set _ZN7rocprim17ROCPRIM_400000_NS6detail17trampoline_kernelINS0_14default_configENS1_27scan_by_key_config_selectorIiiEEZZNS1_16scan_by_key_implILNS1_25lookback_scan_determinismE0ELb1ES3_N6thrust23THRUST_200600_302600_NS6detail15normal_iteratorINS9_10device_ptrIiEEEESE_SE_iNS9_4plusIiEE19head_flag_predicateiEE10hipError_tPvRmT2_T3_T4_T5_mT6_T7_P12ihipStream_tbENKUlT_T0_E_clISt17integral_constantIbLb1EESX_IbLb0EEEEDaST_SU_EUlST_E_NS1_11comp_targetILNS1_3genE4ELNS1_11target_archE910ELNS1_3gpuE8ELNS1_3repE0EEENS1_30default_config_static_selectorELNS0_4arch9wavefront6targetE0EEEvT1_.has_recursion, 0
	.set _ZN7rocprim17ROCPRIM_400000_NS6detail17trampoline_kernelINS0_14default_configENS1_27scan_by_key_config_selectorIiiEEZZNS1_16scan_by_key_implILNS1_25lookback_scan_determinismE0ELb1ES3_N6thrust23THRUST_200600_302600_NS6detail15normal_iteratorINS9_10device_ptrIiEEEESE_SE_iNS9_4plusIiEE19head_flag_predicateiEE10hipError_tPvRmT2_T3_T4_T5_mT6_T7_P12ihipStream_tbENKUlT_T0_E_clISt17integral_constantIbLb1EESX_IbLb0EEEEDaST_SU_EUlST_E_NS1_11comp_targetILNS1_3genE4ELNS1_11target_archE910ELNS1_3gpuE8ELNS1_3repE0EEENS1_30default_config_static_selectorELNS0_4arch9wavefront6targetE0EEEvT1_.has_indirect_call, 0
	.section	.AMDGPU.csdata,"",@progbits
; Kernel info:
; codeLenInByte = 0
; TotalNumSgprs: 0
; NumVgprs: 0
; ScratchSize: 0
; MemoryBound: 0
; FloatMode: 240
; IeeeMode: 1
; LDSByteSize: 0 bytes/workgroup (compile time only)
; SGPRBlocks: 0
; VGPRBlocks: 0
; NumSGPRsForWavesPerEU: 1
; NumVGPRsForWavesPerEU: 1
; Occupancy: 16
; WaveLimiterHint : 0
; COMPUTE_PGM_RSRC2:SCRATCH_EN: 0
; COMPUTE_PGM_RSRC2:USER_SGPR: 6
; COMPUTE_PGM_RSRC2:TRAP_HANDLER: 0
; COMPUTE_PGM_RSRC2:TGID_X_EN: 1
; COMPUTE_PGM_RSRC2:TGID_Y_EN: 0
; COMPUTE_PGM_RSRC2:TGID_Z_EN: 0
; COMPUTE_PGM_RSRC2:TIDIG_COMP_CNT: 0
	.section	.text._ZN7rocprim17ROCPRIM_400000_NS6detail17trampoline_kernelINS0_14default_configENS1_27scan_by_key_config_selectorIiiEEZZNS1_16scan_by_key_implILNS1_25lookback_scan_determinismE0ELb1ES3_N6thrust23THRUST_200600_302600_NS6detail15normal_iteratorINS9_10device_ptrIiEEEESE_SE_iNS9_4plusIiEE19head_flag_predicateiEE10hipError_tPvRmT2_T3_T4_T5_mT6_T7_P12ihipStream_tbENKUlT_T0_E_clISt17integral_constantIbLb1EESX_IbLb0EEEEDaST_SU_EUlST_E_NS1_11comp_targetILNS1_3genE3ELNS1_11target_archE908ELNS1_3gpuE7ELNS1_3repE0EEENS1_30default_config_static_selectorELNS0_4arch9wavefront6targetE0EEEvT1_,"axG",@progbits,_ZN7rocprim17ROCPRIM_400000_NS6detail17trampoline_kernelINS0_14default_configENS1_27scan_by_key_config_selectorIiiEEZZNS1_16scan_by_key_implILNS1_25lookback_scan_determinismE0ELb1ES3_N6thrust23THRUST_200600_302600_NS6detail15normal_iteratorINS9_10device_ptrIiEEEESE_SE_iNS9_4plusIiEE19head_flag_predicateiEE10hipError_tPvRmT2_T3_T4_T5_mT6_T7_P12ihipStream_tbENKUlT_T0_E_clISt17integral_constantIbLb1EESX_IbLb0EEEEDaST_SU_EUlST_E_NS1_11comp_targetILNS1_3genE3ELNS1_11target_archE908ELNS1_3gpuE7ELNS1_3repE0EEENS1_30default_config_static_selectorELNS0_4arch9wavefront6targetE0EEEvT1_,comdat
	.protected	_ZN7rocprim17ROCPRIM_400000_NS6detail17trampoline_kernelINS0_14default_configENS1_27scan_by_key_config_selectorIiiEEZZNS1_16scan_by_key_implILNS1_25lookback_scan_determinismE0ELb1ES3_N6thrust23THRUST_200600_302600_NS6detail15normal_iteratorINS9_10device_ptrIiEEEESE_SE_iNS9_4plusIiEE19head_flag_predicateiEE10hipError_tPvRmT2_T3_T4_T5_mT6_T7_P12ihipStream_tbENKUlT_T0_E_clISt17integral_constantIbLb1EESX_IbLb0EEEEDaST_SU_EUlST_E_NS1_11comp_targetILNS1_3genE3ELNS1_11target_archE908ELNS1_3gpuE7ELNS1_3repE0EEENS1_30default_config_static_selectorELNS0_4arch9wavefront6targetE0EEEvT1_ ; -- Begin function _ZN7rocprim17ROCPRIM_400000_NS6detail17trampoline_kernelINS0_14default_configENS1_27scan_by_key_config_selectorIiiEEZZNS1_16scan_by_key_implILNS1_25lookback_scan_determinismE0ELb1ES3_N6thrust23THRUST_200600_302600_NS6detail15normal_iteratorINS9_10device_ptrIiEEEESE_SE_iNS9_4plusIiEE19head_flag_predicateiEE10hipError_tPvRmT2_T3_T4_T5_mT6_T7_P12ihipStream_tbENKUlT_T0_E_clISt17integral_constantIbLb1EESX_IbLb0EEEEDaST_SU_EUlST_E_NS1_11comp_targetILNS1_3genE3ELNS1_11target_archE908ELNS1_3gpuE7ELNS1_3repE0EEENS1_30default_config_static_selectorELNS0_4arch9wavefront6targetE0EEEvT1_
	.globl	_ZN7rocprim17ROCPRIM_400000_NS6detail17trampoline_kernelINS0_14default_configENS1_27scan_by_key_config_selectorIiiEEZZNS1_16scan_by_key_implILNS1_25lookback_scan_determinismE0ELb1ES3_N6thrust23THRUST_200600_302600_NS6detail15normal_iteratorINS9_10device_ptrIiEEEESE_SE_iNS9_4plusIiEE19head_flag_predicateiEE10hipError_tPvRmT2_T3_T4_T5_mT6_T7_P12ihipStream_tbENKUlT_T0_E_clISt17integral_constantIbLb1EESX_IbLb0EEEEDaST_SU_EUlST_E_NS1_11comp_targetILNS1_3genE3ELNS1_11target_archE908ELNS1_3gpuE7ELNS1_3repE0EEENS1_30default_config_static_selectorELNS0_4arch9wavefront6targetE0EEEvT1_
	.p2align	8
	.type	_ZN7rocprim17ROCPRIM_400000_NS6detail17trampoline_kernelINS0_14default_configENS1_27scan_by_key_config_selectorIiiEEZZNS1_16scan_by_key_implILNS1_25lookback_scan_determinismE0ELb1ES3_N6thrust23THRUST_200600_302600_NS6detail15normal_iteratorINS9_10device_ptrIiEEEESE_SE_iNS9_4plusIiEE19head_flag_predicateiEE10hipError_tPvRmT2_T3_T4_T5_mT6_T7_P12ihipStream_tbENKUlT_T0_E_clISt17integral_constantIbLb1EESX_IbLb0EEEEDaST_SU_EUlST_E_NS1_11comp_targetILNS1_3genE3ELNS1_11target_archE908ELNS1_3gpuE7ELNS1_3repE0EEENS1_30default_config_static_selectorELNS0_4arch9wavefront6targetE0EEEvT1_,@function
_ZN7rocprim17ROCPRIM_400000_NS6detail17trampoline_kernelINS0_14default_configENS1_27scan_by_key_config_selectorIiiEEZZNS1_16scan_by_key_implILNS1_25lookback_scan_determinismE0ELb1ES3_N6thrust23THRUST_200600_302600_NS6detail15normal_iteratorINS9_10device_ptrIiEEEESE_SE_iNS9_4plusIiEE19head_flag_predicateiEE10hipError_tPvRmT2_T3_T4_T5_mT6_T7_P12ihipStream_tbENKUlT_T0_E_clISt17integral_constantIbLb1EESX_IbLb0EEEEDaST_SU_EUlST_E_NS1_11comp_targetILNS1_3genE3ELNS1_11target_archE908ELNS1_3gpuE7ELNS1_3repE0EEENS1_30default_config_static_selectorELNS0_4arch9wavefront6targetE0EEEvT1_: ; @_ZN7rocprim17ROCPRIM_400000_NS6detail17trampoline_kernelINS0_14default_configENS1_27scan_by_key_config_selectorIiiEEZZNS1_16scan_by_key_implILNS1_25lookback_scan_determinismE0ELb1ES3_N6thrust23THRUST_200600_302600_NS6detail15normal_iteratorINS9_10device_ptrIiEEEESE_SE_iNS9_4plusIiEE19head_flag_predicateiEE10hipError_tPvRmT2_T3_T4_T5_mT6_T7_P12ihipStream_tbENKUlT_T0_E_clISt17integral_constantIbLb1EESX_IbLb0EEEEDaST_SU_EUlST_E_NS1_11comp_targetILNS1_3genE3ELNS1_11target_archE908ELNS1_3gpuE7ELNS1_3repE0EEENS1_30default_config_static_selectorELNS0_4arch9wavefront6targetE0EEEvT1_
; %bb.0:
	.section	.rodata,"a",@progbits
	.p2align	6, 0x0
	.amdhsa_kernel _ZN7rocprim17ROCPRIM_400000_NS6detail17trampoline_kernelINS0_14default_configENS1_27scan_by_key_config_selectorIiiEEZZNS1_16scan_by_key_implILNS1_25lookback_scan_determinismE0ELb1ES3_N6thrust23THRUST_200600_302600_NS6detail15normal_iteratorINS9_10device_ptrIiEEEESE_SE_iNS9_4plusIiEE19head_flag_predicateiEE10hipError_tPvRmT2_T3_T4_T5_mT6_T7_P12ihipStream_tbENKUlT_T0_E_clISt17integral_constantIbLb1EESX_IbLb0EEEEDaST_SU_EUlST_E_NS1_11comp_targetILNS1_3genE3ELNS1_11target_archE908ELNS1_3gpuE7ELNS1_3repE0EEENS1_30default_config_static_selectorELNS0_4arch9wavefront6targetE0EEEvT1_
		.amdhsa_group_segment_fixed_size 0
		.amdhsa_private_segment_fixed_size 0
		.amdhsa_kernarg_size 112
		.amdhsa_user_sgpr_count 6
		.amdhsa_user_sgpr_private_segment_buffer 1
		.amdhsa_user_sgpr_dispatch_ptr 0
		.amdhsa_user_sgpr_queue_ptr 0
		.amdhsa_user_sgpr_kernarg_segment_ptr 1
		.amdhsa_user_sgpr_dispatch_id 0
		.amdhsa_user_sgpr_flat_scratch_init 0
		.amdhsa_user_sgpr_private_segment_size 0
		.amdhsa_wavefront_size32 1
		.amdhsa_uses_dynamic_stack 0
		.amdhsa_system_sgpr_private_segment_wavefront_offset 0
		.amdhsa_system_sgpr_workgroup_id_x 1
		.amdhsa_system_sgpr_workgroup_id_y 0
		.amdhsa_system_sgpr_workgroup_id_z 0
		.amdhsa_system_sgpr_workgroup_info 0
		.amdhsa_system_vgpr_workitem_id 0
		.amdhsa_next_free_vgpr 1
		.amdhsa_next_free_sgpr 1
		.amdhsa_reserve_vcc 0
		.amdhsa_reserve_flat_scratch 0
		.amdhsa_float_round_mode_32 0
		.amdhsa_float_round_mode_16_64 0
		.amdhsa_float_denorm_mode_32 3
		.amdhsa_float_denorm_mode_16_64 3
		.amdhsa_dx10_clamp 1
		.amdhsa_ieee_mode 1
		.amdhsa_fp16_overflow 0
		.amdhsa_workgroup_processor_mode 1
		.amdhsa_memory_ordered 1
		.amdhsa_forward_progress 1
		.amdhsa_shared_vgpr_count 0
		.amdhsa_exception_fp_ieee_invalid_op 0
		.amdhsa_exception_fp_denorm_src 0
		.amdhsa_exception_fp_ieee_div_zero 0
		.amdhsa_exception_fp_ieee_overflow 0
		.amdhsa_exception_fp_ieee_underflow 0
		.amdhsa_exception_fp_ieee_inexact 0
		.amdhsa_exception_int_div_zero 0
	.end_amdhsa_kernel
	.section	.text._ZN7rocprim17ROCPRIM_400000_NS6detail17trampoline_kernelINS0_14default_configENS1_27scan_by_key_config_selectorIiiEEZZNS1_16scan_by_key_implILNS1_25lookback_scan_determinismE0ELb1ES3_N6thrust23THRUST_200600_302600_NS6detail15normal_iteratorINS9_10device_ptrIiEEEESE_SE_iNS9_4plusIiEE19head_flag_predicateiEE10hipError_tPvRmT2_T3_T4_T5_mT6_T7_P12ihipStream_tbENKUlT_T0_E_clISt17integral_constantIbLb1EESX_IbLb0EEEEDaST_SU_EUlST_E_NS1_11comp_targetILNS1_3genE3ELNS1_11target_archE908ELNS1_3gpuE7ELNS1_3repE0EEENS1_30default_config_static_selectorELNS0_4arch9wavefront6targetE0EEEvT1_,"axG",@progbits,_ZN7rocprim17ROCPRIM_400000_NS6detail17trampoline_kernelINS0_14default_configENS1_27scan_by_key_config_selectorIiiEEZZNS1_16scan_by_key_implILNS1_25lookback_scan_determinismE0ELb1ES3_N6thrust23THRUST_200600_302600_NS6detail15normal_iteratorINS9_10device_ptrIiEEEESE_SE_iNS9_4plusIiEE19head_flag_predicateiEE10hipError_tPvRmT2_T3_T4_T5_mT6_T7_P12ihipStream_tbENKUlT_T0_E_clISt17integral_constantIbLb1EESX_IbLb0EEEEDaST_SU_EUlST_E_NS1_11comp_targetILNS1_3genE3ELNS1_11target_archE908ELNS1_3gpuE7ELNS1_3repE0EEENS1_30default_config_static_selectorELNS0_4arch9wavefront6targetE0EEEvT1_,comdat
.Lfunc_end807:
	.size	_ZN7rocprim17ROCPRIM_400000_NS6detail17trampoline_kernelINS0_14default_configENS1_27scan_by_key_config_selectorIiiEEZZNS1_16scan_by_key_implILNS1_25lookback_scan_determinismE0ELb1ES3_N6thrust23THRUST_200600_302600_NS6detail15normal_iteratorINS9_10device_ptrIiEEEESE_SE_iNS9_4plusIiEE19head_flag_predicateiEE10hipError_tPvRmT2_T3_T4_T5_mT6_T7_P12ihipStream_tbENKUlT_T0_E_clISt17integral_constantIbLb1EESX_IbLb0EEEEDaST_SU_EUlST_E_NS1_11comp_targetILNS1_3genE3ELNS1_11target_archE908ELNS1_3gpuE7ELNS1_3repE0EEENS1_30default_config_static_selectorELNS0_4arch9wavefront6targetE0EEEvT1_, .Lfunc_end807-_ZN7rocprim17ROCPRIM_400000_NS6detail17trampoline_kernelINS0_14default_configENS1_27scan_by_key_config_selectorIiiEEZZNS1_16scan_by_key_implILNS1_25lookback_scan_determinismE0ELb1ES3_N6thrust23THRUST_200600_302600_NS6detail15normal_iteratorINS9_10device_ptrIiEEEESE_SE_iNS9_4plusIiEE19head_flag_predicateiEE10hipError_tPvRmT2_T3_T4_T5_mT6_T7_P12ihipStream_tbENKUlT_T0_E_clISt17integral_constantIbLb1EESX_IbLb0EEEEDaST_SU_EUlST_E_NS1_11comp_targetILNS1_3genE3ELNS1_11target_archE908ELNS1_3gpuE7ELNS1_3repE0EEENS1_30default_config_static_selectorELNS0_4arch9wavefront6targetE0EEEvT1_
                                        ; -- End function
	.set _ZN7rocprim17ROCPRIM_400000_NS6detail17trampoline_kernelINS0_14default_configENS1_27scan_by_key_config_selectorIiiEEZZNS1_16scan_by_key_implILNS1_25lookback_scan_determinismE0ELb1ES3_N6thrust23THRUST_200600_302600_NS6detail15normal_iteratorINS9_10device_ptrIiEEEESE_SE_iNS9_4plusIiEE19head_flag_predicateiEE10hipError_tPvRmT2_T3_T4_T5_mT6_T7_P12ihipStream_tbENKUlT_T0_E_clISt17integral_constantIbLb1EESX_IbLb0EEEEDaST_SU_EUlST_E_NS1_11comp_targetILNS1_3genE3ELNS1_11target_archE908ELNS1_3gpuE7ELNS1_3repE0EEENS1_30default_config_static_selectorELNS0_4arch9wavefront6targetE0EEEvT1_.num_vgpr, 0
	.set _ZN7rocprim17ROCPRIM_400000_NS6detail17trampoline_kernelINS0_14default_configENS1_27scan_by_key_config_selectorIiiEEZZNS1_16scan_by_key_implILNS1_25lookback_scan_determinismE0ELb1ES3_N6thrust23THRUST_200600_302600_NS6detail15normal_iteratorINS9_10device_ptrIiEEEESE_SE_iNS9_4plusIiEE19head_flag_predicateiEE10hipError_tPvRmT2_T3_T4_T5_mT6_T7_P12ihipStream_tbENKUlT_T0_E_clISt17integral_constantIbLb1EESX_IbLb0EEEEDaST_SU_EUlST_E_NS1_11comp_targetILNS1_3genE3ELNS1_11target_archE908ELNS1_3gpuE7ELNS1_3repE0EEENS1_30default_config_static_selectorELNS0_4arch9wavefront6targetE0EEEvT1_.num_agpr, 0
	.set _ZN7rocprim17ROCPRIM_400000_NS6detail17trampoline_kernelINS0_14default_configENS1_27scan_by_key_config_selectorIiiEEZZNS1_16scan_by_key_implILNS1_25lookback_scan_determinismE0ELb1ES3_N6thrust23THRUST_200600_302600_NS6detail15normal_iteratorINS9_10device_ptrIiEEEESE_SE_iNS9_4plusIiEE19head_flag_predicateiEE10hipError_tPvRmT2_T3_T4_T5_mT6_T7_P12ihipStream_tbENKUlT_T0_E_clISt17integral_constantIbLb1EESX_IbLb0EEEEDaST_SU_EUlST_E_NS1_11comp_targetILNS1_3genE3ELNS1_11target_archE908ELNS1_3gpuE7ELNS1_3repE0EEENS1_30default_config_static_selectorELNS0_4arch9wavefront6targetE0EEEvT1_.numbered_sgpr, 0
	.set _ZN7rocprim17ROCPRIM_400000_NS6detail17trampoline_kernelINS0_14default_configENS1_27scan_by_key_config_selectorIiiEEZZNS1_16scan_by_key_implILNS1_25lookback_scan_determinismE0ELb1ES3_N6thrust23THRUST_200600_302600_NS6detail15normal_iteratorINS9_10device_ptrIiEEEESE_SE_iNS9_4plusIiEE19head_flag_predicateiEE10hipError_tPvRmT2_T3_T4_T5_mT6_T7_P12ihipStream_tbENKUlT_T0_E_clISt17integral_constantIbLb1EESX_IbLb0EEEEDaST_SU_EUlST_E_NS1_11comp_targetILNS1_3genE3ELNS1_11target_archE908ELNS1_3gpuE7ELNS1_3repE0EEENS1_30default_config_static_selectorELNS0_4arch9wavefront6targetE0EEEvT1_.num_named_barrier, 0
	.set _ZN7rocprim17ROCPRIM_400000_NS6detail17trampoline_kernelINS0_14default_configENS1_27scan_by_key_config_selectorIiiEEZZNS1_16scan_by_key_implILNS1_25lookback_scan_determinismE0ELb1ES3_N6thrust23THRUST_200600_302600_NS6detail15normal_iteratorINS9_10device_ptrIiEEEESE_SE_iNS9_4plusIiEE19head_flag_predicateiEE10hipError_tPvRmT2_T3_T4_T5_mT6_T7_P12ihipStream_tbENKUlT_T0_E_clISt17integral_constantIbLb1EESX_IbLb0EEEEDaST_SU_EUlST_E_NS1_11comp_targetILNS1_3genE3ELNS1_11target_archE908ELNS1_3gpuE7ELNS1_3repE0EEENS1_30default_config_static_selectorELNS0_4arch9wavefront6targetE0EEEvT1_.private_seg_size, 0
	.set _ZN7rocprim17ROCPRIM_400000_NS6detail17trampoline_kernelINS0_14default_configENS1_27scan_by_key_config_selectorIiiEEZZNS1_16scan_by_key_implILNS1_25lookback_scan_determinismE0ELb1ES3_N6thrust23THRUST_200600_302600_NS6detail15normal_iteratorINS9_10device_ptrIiEEEESE_SE_iNS9_4plusIiEE19head_flag_predicateiEE10hipError_tPvRmT2_T3_T4_T5_mT6_T7_P12ihipStream_tbENKUlT_T0_E_clISt17integral_constantIbLb1EESX_IbLb0EEEEDaST_SU_EUlST_E_NS1_11comp_targetILNS1_3genE3ELNS1_11target_archE908ELNS1_3gpuE7ELNS1_3repE0EEENS1_30default_config_static_selectorELNS0_4arch9wavefront6targetE0EEEvT1_.uses_vcc, 0
	.set _ZN7rocprim17ROCPRIM_400000_NS6detail17trampoline_kernelINS0_14default_configENS1_27scan_by_key_config_selectorIiiEEZZNS1_16scan_by_key_implILNS1_25lookback_scan_determinismE0ELb1ES3_N6thrust23THRUST_200600_302600_NS6detail15normal_iteratorINS9_10device_ptrIiEEEESE_SE_iNS9_4plusIiEE19head_flag_predicateiEE10hipError_tPvRmT2_T3_T4_T5_mT6_T7_P12ihipStream_tbENKUlT_T0_E_clISt17integral_constantIbLb1EESX_IbLb0EEEEDaST_SU_EUlST_E_NS1_11comp_targetILNS1_3genE3ELNS1_11target_archE908ELNS1_3gpuE7ELNS1_3repE0EEENS1_30default_config_static_selectorELNS0_4arch9wavefront6targetE0EEEvT1_.uses_flat_scratch, 0
	.set _ZN7rocprim17ROCPRIM_400000_NS6detail17trampoline_kernelINS0_14default_configENS1_27scan_by_key_config_selectorIiiEEZZNS1_16scan_by_key_implILNS1_25lookback_scan_determinismE0ELb1ES3_N6thrust23THRUST_200600_302600_NS6detail15normal_iteratorINS9_10device_ptrIiEEEESE_SE_iNS9_4plusIiEE19head_flag_predicateiEE10hipError_tPvRmT2_T3_T4_T5_mT6_T7_P12ihipStream_tbENKUlT_T0_E_clISt17integral_constantIbLb1EESX_IbLb0EEEEDaST_SU_EUlST_E_NS1_11comp_targetILNS1_3genE3ELNS1_11target_archE908ELNS1_3gpuE7ELNS1_3repE0EEENS1_30default_config_static_selectorELNS0_4arch9wavefront6targetE0EEEvT1_.has_dyn_sized_stack, 0
	.set _ZN7rocprim17ROCPRIM_400000_NS6detail17trampoline_kernelINS0_14default_configENS1_27scan_by_key_config_selectorIiiEEZZNS1_16scan_by_key_implILNS1_25lookback_scan_determinismE0ELb1ES3_N6thrust23THRUST_200600_302600_NS6detail15normal_iteratorINS9_10device_ptrIiEEEESE_SE_iNS9_4plusIiEE19head_flag_predicateiEE10hipError_tPvRmT2_T3_T4_T5_mT6_T7_P12ihipStream_tbENKUlT_T0_E_clISt17integral_constantIbLb1EESX_IbLb0EEEEDaST_SU_EUlST_E_NS1_11comp_targetILNS1_3genE3ELNS1_11target_archE908ELNS1_3gpuE7ELNS1_3repE0EEENS1_30default_config_static_selectorELNS0_4arch9wavefront6targetE0EEEvT1_.has_recursion, 0
	.set _ZN7rocprim17ROCPRIM_400000_NS6detail17trampoline_kernelINS0_14default_configENS1_27scan_by_key_config_selectorIiiEEZZNS1_16scan_by_key_implILNS1_25lookback_scan_determinismE0ELb1ES3_N6thrust23THRUST_200600_302600_NS6detail15normal_iteratorINS9_10device_ptrIiEEEESE_SE_iNS9_4plusIiEE19head_flag_predicateiEE10hipError_tPvRmT2_T3_T4_T5_mT6_T7_P12ihipStream_tbENKUlT_T0_E_clISt17integral_constantIbLb1EESX_IbLb0EEEEDaST_SU_EUlST_E_NS1_11comp_targetILNS1_3genE3ELNS1_11target_archE908ELNS1_3gpuE7ELNS1_3repE0EEENS1_30default_config_static_selectorELNS0_4arch9wavefront6targetE0EEEvT1_.has_indirect_call, 0
	.section	.AMDGPU.csdata,"",@progbits
; Kernel info:
; codeLenInByte = 0
; TotalNumSgprs: 0
; NumVgprs: 0
; ScratchSize: 0
; MemoryBound: 0
; FloatMode: 240
; IeeeMode: 1
; LDSByteSize: 0 bytes/workgroup (compile time only)
; SGPRBlocks: 0
; VGPRBlocks: 0
; NumSGPRsForWavesPerEU: 1
; NumVGPRsForWavesPerEU: 1
; Occupancy: 16
; WaveLimiterHint : 0
; COMPUTE_PGM_RSRC2:SCRATCH_EN: 0
; COMPUTE_PGM_RSRC2:USER_SGPR: 6
; COMPUTE_PGM_RSRC2:TRAP_HANDLER: 0
; COMPUTE_PGM_RSRC2:TGID_X_EN: 1
; COMPUTE_PGM_RSRC2:TGID_Y_EN: 0
; COMPUTE_PGM_RSRC2:TGID_Z_EN: 0
; COMPUTE_PGM_RSRC2:TIDIG_COMP_CNT: 0
	.section	.text._ZN7rocprim17ROCPRIM_400000_NS6detail17trampoline_kernelINS0_14default_configENS1_27scan_by_key_config_selectorIiiEEZZNS1_16scan_by_key_implILNS1_25lookback_scan_determinismE0ELb1ES3_N6thrust23THRUST_200600_302600_NS6detail15normal_iteratorINS9_10device_ptrIiEEEESE_SE_iNS9_4plusIiEE19head_flag_predicateiEE10hipError_tPvRmT2_T3_T4_T5_mT6_T7_P12ihipStream_tbENKUlT_T0_E_clISt17integral_constantIbLb1EESX_IbLb0EEEEDaST_SU_EUlST_E_NS1_11comp_targetILNS1_3genE2ELNS1_11target_archE906ELNS1_3gpuE6ELNS1_3repE0EEENS1_30default_config_static_selectorELNS0_4arch9wavefront6targetE0EEEvT1_,"axG",@progbits,_ZN7rocprim17ROCPRIM_400000_NS6detail17trampoline_kernelINS0_14default_configENS1_27scan_by_key_config_selectorIiiEEZZNS1_16scan_by_key_implILNS1_25lookback_scan_determinismE0ELb1ES3_N6thrust23THRUST_200600_302600_NS6detail15normal_iteratorINS9_10device_ptrIiEEEESE_SE_iNS9_4plusIiEE19head_flag_predicateiEE10hipError_tPvRmT2_T3_T4_T5_mT6_T7_P12ihipStream_tbENKUlT_T0_E_clISt17integral_constantIbLb1EESX_IbLb0EEEEDaST_SU_EUlST_E_NS1_11comp_targetILNS1_3genE2ELNS1_11target_archE906ELNS1_3gpuE6ELNS1_3repE0EEENS1_30default_config_static_selectorELNS0_4arch9wavefront6targetE0EEEvT1_,comdat
	.protected	_ZN7rocprim17ROCPRIM_400000_NS6detail17trampoline_kernelINS0_14default_configENS1_27scan_by_key_config_selectorIiiEEZZNS1_16scan_by_key_implILNS1_25lookback_scan_determinismE0ELb1ES3_N6thrust23THRUST_200600_302600_NS6detail15normal_iteratorINS9_10device_ptrIiEEEESE_SE_iNS9_4plusIiEE19head_flag_predicateiEE10hipError_tPvRmT2_T3_T4_T5_mT6_T7_P12ihipStream_tbENKUlT_T0_E_clISt17integral_constantIbLb1EESX_IbLb0EEEEDaST_SU_EUlST_E_NS1_11comp_targetILNS1_3genE2ELNS1_11target_archE906ELNS1_3gpuE6ELNS1_3repE0EEENS1_30default_config_static_selectorELNS0_4arch9wavefront6targetE0EEEvT1_ ; -- Begin function _ZN7rocprim17ROCPRIM_400000_NS6detail17trampoline_kernelINS0_14default_configENS1_27scan_by_key_config_selectorIiiEEZZNS1_16scan_by_key_implILNS1_25lookback_scan_determinismE0ELb1ES3_N6thrust23THRUST_200600_302600_NS6detail15normal_iteratorINS9_10device_ptrIiEEEESE_SE_iNS9_4plusIiEE19head_flag_predicateiEE10hipError_tPvRmT2_T3_T4_T5_mT6_T7_P12ihipStream_tbENKUlT_T0_E_clISt17integral_constantIbLb1EESX_IbLb0EEEEDaST_SU_EUlST_E_NS1_11comp_targetILNS1_3genE2ELNS1_11target_archE906ELNS1_3gpuE6ELNS1_3repE0EEENS1_30default_config_static_selectorELNS0_4arch9wavefront6targetE0EEEvT1_
	.globl	_ZN7rocprim17ROCPRIM_400000_NS6detail17trampoline_kernelINS0_14default_configENS1_27scan_by_key_config_selectorIiiEEZZNS1_16scan_by_key_implILNS1_25lookback_scan_determinismE0ELb1ES3_N6thrust23THRUST_200600_302600_NS6detail15normal_iteratorINS9_10device_ptrIiEEEESE_SE_iNS9_4plusIiEE19head_flag_predicateiEE10hipError_tPvRmT2_T3_T4_T5_mT6_T7_P12ihipStream_tbENKUlT_T0_E_clISt17integral_constantIbLb1EESX_IbLb0EEEEDaST_SU_EUlST_E_NS1_11comp_targetILNS1_3genE2ELNS1_11target_archE906ELNS1_3gpuE6ELNS1_3repE0EEENS1_30default_config_static_selectorELNS0_4arch9wavefront6targetE0EEEvT1_
	.p2align	8
	.type	_ZN7rocprim17ROCPRIM_400000_NS6detail17trampoline_kernelINS0_14default_configENS1_27scan_by_key_config_selectorIiiEEZZNS1_16scan_by_key_implILNS1_25lookback_scan_determinismE0ELb1ES3_N6thrust23THRUST_200600_302600_NS6detail15normal_iteratorINS9_10device_ptrIiEEEESE_SE_iNS9_4plusIiEE19head_flag_predicateiEE10hipError_tPvRmT2_T3_T4_T5_mT6_T7_P12ihipStream_tbENKUlT_T0_E_clISt17integral_constantIbLb1EESX_IbLb0EEEEDaST_SU_EUlST_E_NS1_11comp_targetILNS1_3genE2ELNS1_11target_archE906ELNS1_3gpuE6ELNS1_3repE0EEENS1_30default_config_static_selectorELNS0_4arch9wavefront6targetE0EEEvT1_,@function
_ZN7rocprim17ROCPRIM_400000_NS6detail17trampoline_kernelINS0_14default_configENS1_27scan_by_key_config_selectorIiiEEZZNS1_16scan_by_key_implILNS1_25lookback_scan_determinismE0ELb1ES3_N6thrust23THRUST_200600_302600_NS6detail15normal_iteratorINS9_10device_ptrIiEEEESE_SE_iNS9_4plusIiEE19head_flag_predicateiEE10hipError_tPvRmT2_T3_T4_T5_mT6_T7_P12ihipStream_tbENKUlT_T0_E_clISt17integral_constantIbLb1EESX_IbLb0EEEEDaST_SU_EUlST_E_NS1_11comp_targetILNS1_3genE2ELNS1_11target_archE906ELNS1_3gpuE6ELNS1_3repE0EEENS1_30default_config_static_selectorELNS0_4arch9wavefront6targetE0EEEvT1_: ; @_ZN7rocprim17ROCPRIM_400000_NS6detail17trampoline_kernelINS0_14default_configENS1_27scan_by_key_config_selectorIiiEEZZNS1_16scan_by_key_implILNS1_25lookback_scan_determinismE0ELb1ES3_N6thrust23THRUST_200600_302600_NS6detail15normal_iteratorINS9_10device_ptrIiEEEESE_SE_iNS9_4plusIiEE19head_flag_predicateiEE10hipError_tPvRmT2_T3_T4_T5_mT6_T7_P12ihipStream_tbENKUlT_T0_E_clISt17integral_constantIbLb1EESX_IbLb0EEEEDaST_SU_EUlST_E_NS1_11comp_targetILNS1_3genE2ELNS1_11target_archE906ELNS1_3gpuE6ELNS1_3repE0EEENS1_30default_config_static_selectorELNS0_4arch9wavefront6targetE0EEEvT1_
; %bb.0:
	.section	.rodata,"a",@progbits
	.p2align	6, 0x0
	.amdhsa_kernel _ZN7rocprim17ROCPRIM_400000_NS6detail17trampoline_kernelINS0_14default_configENS1_27scan_by_key_config_selectorIiiEEZZNS1_16scan_by_key_implILNS1_25lookback_scan_determinismE0ELb1ES3_N6thrust23THRUST_200600_302600_NS6detail15normal_iteratorINS9_10device_ptrIiEEEESE_SE_iNS9_4plusIiEE19head_flag_predicateiEE10hipError_tPvRmT2_T3_T4_T5_mT6_T7_P12ihipStream_tbENKUlT_T0_E_clISt17integral_constantIbLb1EESX_IbLb0EEEEDaST_SU_EUlST_E_NS1_11comp_targetILNS1_3genE2ELNS1_11target_archE906ELNS1_3gpuE6ELNS1_3repE0EEENS1_30default_config_static_selectorELNS0_4arch9wavefront6targetE0EEEvT1_
		.amdhsa_group_segment_fixed_size 0
		.amdhsa_private_segment_fixed_size 0
		.amdhsa_kernarg_size 112
		.amdhsa_user_sgpr_count 6
		.amdhsa_user_sgpr_private_segment_buffer 1
		.amdhsa_user_sgpr_dispatch_ptr 0
		.amdhsa_user_sgpr_queue_ptr 0
		.amdhsa_user_sgpr_kernarg_segment_ptr 1
		.amdhsa_user_sgpr_dispatch_id 0
		.amdhsa_user_sgpr_flat_scratch_init 0
		.amdhsa_user_sgpr_private_segment_size 0
		.amdhsa_wavefront_size32 1
		.amdhsa_uses_dynamic_stack 0
		.amdhsa_system_sgpr_private_segment_wavefront_offset 0
		.amdhsa_system_sgpr_workgroup_id_x 1
		.amdhsa_system_sgpr_workgroup_id_y 0
		.amdhsa_system_sgpr_workgroup_id_z 0
		.amdhsa_system_sgpr_workgroup_info 0
		.amdhsa_system_vgpr_workitem_id 0
		.amdhsa_next_free_vgpr 1
		.amdhsa_next_free_sgpr 1
		.amdhsa_reserve_vcc 0
		.amdhsa_reserve_flat_scratch 0
		.amdhsa_float_round_mode_32 0
		.amdhsa_float_round_mode_16_64 0
		.amdhsa_float_denorm_mode_32 3
		.amdhsa_float_denorm_mode_16_64 3
		.amdhsa_dx10_clamp 1
		.amdhsa_ieee_mode 1
		.amdhsa_fp16_overflow 0
		.amdhsa_workgroup_processor_mode 1
		.amdhsa_memory_ordered 1
		.amdhsa_forward_progress 1
		.amdhsa_shared_vgpr_count 0
		.amdhsa_exception_fp_ieee_invalid_op 0
		.amdhsa_exception_fp_denorm_src 0
		.amdhsa_exception_fp_ieee_div_zero 0
		.amdhsa_exception_fp_ieee_overflow 0
		.amdhsa_exception_fp_ieee_underflow 0
		.amdhsa_exception_fp_ieee_inexact 0
		.amdhsa_exception_int_div_zero 0
	.end_amdhsa_kernel
	.section	.text._ZN7rocprim17ROCPRIM_400000_NS6detail17trampoline_kernelINS0_14default_configENS1_27scan_by_key_config_selectorIiiEEZZNS1_16scan_by_key_implILNS1_25lookback_scan_determinismE0ELb1ES3_N6thrust23THRUST_200600_302600_NS6detail15normal_iteratorINS9_10device_ptrIiEEEESE_SE_iNS9_4plusIiEE19head_flag_predicateiEE10hipError_tPvRmT2_T3_T4_T5_mT6_T7_P12ihipStream_tbENKUlT_T0_E_clISt17integral_constantIbLb1EESX_IbLb0EEEEDaST_SU_EUlST_E_NS1_11comp_targetILNS1_3genE2ELNS1_11target_archE906ELNS1_3gpuE6ELNS1_3repE0EEENS1_30default_config_static_selectorELNS0_4arch9wavefront6targetE0EEEvT1_,"axG",@progbits,_ZN7rocprim17ROCPRIM_400000_NS6detail17trampoline_kernelINS0_14default_configENS1_27scan_by_key_config_selectorIiiEEZZNS1_16scan_by_key_implILNS1_25lookback_scan_determinismE0ELb1ES3_N6thrust23THRUST_200600_302600_NS6detail15normal_iteratorINS9_10device_ptrIiEEEESE_SE_iNS9_4plusIiEE19head_flag_predicateiEE10hipError_tPvRmT2_T3_T4_T5_mT6_T7_P12ihipStream_tbENKUlT_T0_E_clISt17integral_constantIbLb1EESX_IbLb0EEEEDaST_SU_EUlST_E_NS1_11comp_targetILNS1_3genE2ELNS1_11target_archE906ELNS1_3gpuE6ELNS1_3repE0EEENS1_30default_config_static_selectorELNS0_4arch9wavefront6targetE0EEEvT1_,comdat
.Lfunc_end808:
	.size	_ZN7rocprim17ROCPRIM_400000_NS6detail17trampoline_kernelINS0_14default_configENS1_27scan_by_key_config_selectorIiiEEZZNS1_16scan_by_key_implILNS1_25lookback_scan_determinismE0ELb1ES3_N6thrust23THRUST_200600_302600_NS6detail15normal_iteratorINS9_10device_ptrIiEEEESE_SE_iNS9_4plusIiEE19head_flag_predicateiEE10hipError_tPvRmT2_T3_T4_T5_mT6_T7_P12ihipStream_tbENKUlT_T0_E_clISt17integral_constantIbLb1EESX_IbLb0EEEEDaST_SU_EUlST_E_NS1_11comp_targetILNS1_3genE2ELNS1_11target_archE906ELNS1_3gpuE6ELNS1_3repE0EEENS1_30default_config_static_selectorELNS0_4arch9wavefront6targetE0EEEvT1_, .Lfunc_end808-_ZN7rocprim17ROCPRIM_400000_NS6detail17trampoline_kernelINS0_14default_configENS1_27scan_by_key_config_selectorIiiEEZZNS1_16scan_by_key_implILNS1_25lookback_scan_determinismE0ELb1ES3_N6thrust23THRUST_200600_302600_NS6detail15normal_iteratorINS9_10device_ptrIiEEEESE_SE_iNS9_4plusIiEE19head_flag_predicateiEE10hipError_tPvRmT2_T3_T4_T5_mT6_T7_P12ihipStream_tbENKUlT_T0_E_clISt17integral_constantIbLb1EESX_IbLb0EEEEDaST_SU_EUlST_E_NS1_11comp_targetILNS1_3genE2ELNS1_11target_archE906ELNS1_3gpuE6ELNS1_3repE0EEENS1_30default_config_static_selectorELNS0_4arch9wavefront6targetE0EEEvT1_
                                        ; -- End function
	.set _ZN7rocprim17ROCPRIM_400000_NS6detail17trampoline_kernelINS0_14default_configENS1_27scan_by_key_config_selectorIiiEEZZNS1_16scan_by_key_implILNS1_25lookback_scan_determinismE0ELb1ES3_N6thrust23THRUST_200600_302600_NS6detail15normal_iteratorINS9_10device_ptrIiEEEESE_SE_iNS9_4plusIiEE19head_flag_predicateiEE10hipError_tPvRmT2_T3_T4_T5_mT6_T7_P12ihipStream_tbENKUlT_T0_E_clISt17integral_constantIbLb1EESX_IbLb0EEEEDaST_SU_EUlST_E_NS1_11comp_targetILNS1_3genE2ELNS1_11target_archE906ELNS1_3gpuE6ELNS1_3repE0EEENS1_30default_config_static_selectorELNS0_4arch9wavefront6targetE0EEEvT1_.num_vgpr, 0
	.set _ZN7rocprim17ROCPRIM_400000_NS6detail17trampoline_kernelINS0_14default_configENS1_27scan_by_key_config_selectorIiiEEZZNS1_16scan_by_key_implILNS1_25lookback_scan_determinismE0ELb1ES3_N6thrust23THRUST_200600_302600_NS6detail15normal_iteratorINS9_10device_ptrIiEEEESE_SE_iNS9_4plusIiEE19head_flag_predicateiEE10hipError_tPvRmT2_T3_T4_T5_mT6_T7_P12ihipStream_tbENKUlT_T0_E_clISt17integral_constantIbLb1EESX_IbLb0EEEEDaST_SU_EUlST_E_NS1_11comp_targetILNS1_3genE2ELNS1_11target_archE906ELNS1_3gpuE6ELNS1_3repE0EEENS1_30default_config_static_selectorELNS0_4arch9wavefront6targetE0EEEvT1_.num_agpr, 0
	.set _ZN7rocprim17ROCPRIM_400000_NS6detail17trampoline_kernelINS0_14default_configENS1_27scan_by_key_config_selectorIiiEEZZNS1_16scan_by_key_implILNS1_25lookback_scan_determinismE0ELb1ES3_N6thrust23THRUST_200600_302600_NS6detail15normal_iteratorINS9_10device_ptrIiEEEESE_SE_iNS9_4plusIiEE19head_flag_predicateiEE10hipError_tPvRmT2_T3_T4_T5_mT6_T7_P12ihipStream_tbENKUlT_T0_E_clISt17integral_constantIbLb1EESX_IbLb0EEEEDaST_SU_EUlST_E_NS1_11comp_targetILNS1_3genE2ELNS1_11target_archE906ELNS1_3gpuE6ELNS1_3repE0EEENS1_30default_config_static_selectorELNS0_4arch9wavefront6targetE0EEEvT1_.numbered_sgpr, 0
	.set _ZN7rocprim17ROCPRIM_400000_NS6detail17trampoline_kernelINS0_14default_configENS1_27scan_by_key_config_selectorIiiEEZZNS1_16scan_by_key_implILNS1_25lookback_scan_determinismE0ELb1ES3_N6thrust23THRUST_200600_302600_NS6detail15normal_iteratorINS9_10device_ptrIiEEEESE_SE_iNS9_4plusIiEE19head_flag_predicateiEE10hipError_tPvRmT2_T3_T4_T5_mT6_T7_P12ihipStream_tbENKUlT_T0_E_clISt17integral_constantIbLb1EESX_IbLb0EEEEDaST_SU_EUlST_E_NS1_11comp_targetILNS1_3genE2ELNS1_11target_archE906ELNS1_3gpuE6ELNS1_3repE0EEENS1_30default_config_static_selectorELNS0_4arch9wavefront6targetE0EEEvT1_.num_named_barrier, 0
	.set _ZN7rocprim17ROCPRIM_400000_NS6detail17trampoline_kernelINS0_14default_configENS1_27scan_by_key_config_selectorIiiEEZZNS1_16scan_by_key_implILNS1_25lookback_scan_determinismE0ELb1ES3_N6thrust23THRUST_200600_302600_NS6detail15normal_iteratorINS9_10device_ptrIiEEEESE_SE_iNS9_4plusIiEE19head_flag_predicateiEE10hipError_tPvRmT2_T3_T4_T5_mT6_T7_P12ihipStream_tbENKUlT_T0_E_clISt17integral_constantIbLb1EESX_IbLb0EEEEDaST_SU_EUlST_E_NS1_11comp_targetILNS1_3genE2ELNS1_11target_archE906ELNS1_3gpuE6ELNS1_3repE0EEENS1_30default_config_static_selectorELNS0_4arch9wavefront6targetE0EEEvT1_.private_seg_size, 0
	.set _ZN7rocprim17ROCPRIM_400000_NS6detail17trampoline_kernelINS0_14default_configENS1_27scan_by_key_config_selectorIiiEEZZNS1_16scan_by_key_implILNS1_25lookback_scan_determinismE0ELb1ES3_N6thrust23THRUST_200600_302600_NS6detail15normal_iteratorINS9_10device_ptrIiEEEESE_SE_iNS9_4plusIiEE19head_flag_predicateiEE10hipError_tPvRmT2_T3_T4_T5_mT6_T7_P12ihipStream_tbENKUlT_T0_E_clISt17integral_constantIbLb1EESX_IbLb0EEEEDaST_SU_EUlST_E_NS1_11comp_targetILNS1_3genE2ELNS1_11target_archE906ELNS1_3gpuE6ELNS1_3repE0EEENS1_30default_config_static_selectorELNS0_4arch9wavefront6targetE0EEEvT1_.uses_vcc, 0
	.set _ZN7rocprim17ROCPRIM_400000_NS6detail17trampoline_kernelINS0_14default_configENS1_27scan_by_key_config_selectorIiiEEZZNS1_16scan_by_key_implILNS1_25lookback_scan_determinismE0ELb1ES3_N6thrust23THRUST_200600_302600_NS6detail15normal_iteratorINS9_10device_ptrIiEEEESE_SE_iNS9_4plusIiEE19head_flag_predicateiEE10hipError_tPvRmT2_T3_T4_T5_mT6_T7_P12ihipStream_tbENKUlT_T0_E_clISt17integral_constantIbLb1EESX_IbLb0EEEEDaST_SU_EUlST_E_NS1_11comp_targetILNS1_3genE2ELNS1_11target_archE906ELNS1_3gpuE6ELNS1_3repE0EEENS1_30default_config_static_selectorELNS0_4arch9wavefront6targetE0EEEvT1_.uses_flat_scratch, 0
	.set _ZN7rocprim17ROCPRIM_400000_NS6detail17trampoline_kernelINS0_14default_configENS1_27scan_by_key_config_selectorIiiEEZZNS1_16scan_by_key_implILNS1_25lookback_scan_determinismE0ELb1ES3_N6thrust23THRUST_200600_302600_NS6detail15normal_iteratorINS9_10device_ptrIiEEEESE_SE_iNS9_4plusIiEE19head_flag_predicateiEE10hipError_tPvRmT2_T3_T4_T5_mT6_T7_P12ihipStream_tbENKUlT_T0_E_clISt17integral_constantIbLb1EESX_IbLb0EEEEDaST_SU_EUlST_E_NS1_11comp_targetILNS1_3genE2ELNS1_11target_archE906ELNS1_3gpuE6ELNS1_3repE0EEENS1_30default_config_static_selectorELNS0_4arch9wavefront6targetE0EEEvT1_.has_dyn_sized_stack, 0
	.set _ZN7rocprim17ROCPRIM_400000_NS6detail17trampoline_kernelINS0_14default_configENS1_27scan_by_key_config_selectorIiiEEZZNS1_16scan_by_key_implILNS1_25lookback_scan_determinismE0ELb1ES3_N6thrust23THRUST_200600_302600_NS6detail15normal_iteratorINS9_10device_ptrIiEEEESE_SE_iNS9_4plusIiEE19head_flag_predicateiEE10hipError_tPvRmT2_T3_T4_T5_mT6_T7_P12ihipStream_tbENKUlT_T0_E_clISt17integral_constantIbLb1EESX_IbLb0EEEEDaST_SU_EUlST_E_NS1_11comp_targetILNS1_3genE2ELNS1_11target_archE906ELNS1_3gpuE6ELNS1_3repE0EEENS1_30default_config_static_selectorELNS0_4arch9wavefront6targetE0EEEvT1_.has_recursion, 0
	.set _ZN7rocprim17ROCPRIM_400000_NS6detail17trampoline_kernelINS0_14default_configENS1_27scan_by_key_config_selectorIiiEEZZNS1_16scan_by_key_implILNS1_25lookback_scan_determinismE0ELb1ES3_N6thrust23THRUST_200600_302600_NS6detail15normal_iteratorINS9_10device_ptrIiEEEESE_SE_iNS9_4plusIiEE19head_flag_predicateiEE10hipError_tPvRmT2_T3_T4_T5_mT6_T7_P12ihipStream_tbENKUlT_T0_E_clISt17integral_constantIbLb1EESX_IbLb0EEEEDaST_SU_EUlST_E_NS1_11comp_targetILNS1_3genE2ELNS1_11target_archE906ELNS1_3gpuE6ELNS1_3repE0EEENS1_30default_config_static_selectorELNS0_4arch9wavefront6targetE0EEEvT1_.has_indirect_call, 0
	.section	.AMDGPU.csdata,"",@progbits
; Kernel info:
; codeLenInByte = 0
; TotalNumSgprs: 0
; NumVgprs: 0
; ScratchSize: 0
; MemoryBound: 0
; FloatMode: 240
; IeeeMode: 1
; LDSByteSize: 0 bytes/workgroup (compile time only)
; SGPRBlocks: 0
; VGPRBlocks: 0
; NumSGPRsForWavesPerEU: 1
; NumVGPRsForWavesPerEU: 1
; Occupancy: 16
; WaveLimiterHint : 0
; COMPUTE_PGM_RSRC2:SCRATCH_EN: 0
; COMPUTE_PGM_RSRC2:USER_SGPR: 6
; COMPUTE_PGM_RSRC2:TRAP_HANDLER: 0
; COMPUTE_PGM_RSRC2:TGID_X_EN: 1
; COMPUTE_PGM_RSRC2:TGID_Y_EN: 0
; COMPUTE_PGM_RSRC2:TGID_Z_EN: 0
; COMPUTE_PGM_RSRC2:TIDIG_COMP_CNT: 0
	.section	.text._ZN7rocprim17ROCPRIM_400000_NS6detail17trampoline_kernelINS0_14default_configENS1_27scan_by_key_config_selectorIiiEEZZNS1_16scan_by_key_implILNS1_25lookback_scan_determinismE0ELb1ES3_N6thrust23THRUST_200600_302600_NS6detail15normal_iteratorINS9_10device_ptrIiEEEESE_SE_iNS9_4plusIiEE19head_flag_predicateiEE10hipError_tPvRmT2_T3_T4_T5_mT6_T7_P12ihipStream_tbENKUlT_T0_E_clISt17integral_constantIbLb1EESX_IbLb0EEEEDaST_SU_EUlST_E_NS1_11comp_targetILNS1_3genE10ELNS1_11target_archE1200ELNS1_3gpuE4ELNS1_3repE0EEENS1_30default_config_static_selectorELNS0_4arch9wavefront6targetE0EEEvT1_,"axG",@progbits,_ZN7rocprim17ROCPRIM_400000_NS6detail17trampoline_kernelINS0_14default_configENS1_27scan_by_key_config_selectorIiiEEZZNS1_16scan_by_key_implILNS1_25lookback_scan_determinismE0ELb1ES3_N6thrust23THRUST_200600_302600_NS6detail15normal_iteratorINS9_10device_ptrIiEEEESE_SE_iNS9_4plusIiEE19head_flag_predicateiEE10hipError_tPvRmT2_T3_T4_T5_mT6_T7_P12ihipStream_tbENKUlT_T0_E_clISt17integral_constantIbLb1EESX_IbLb0EEEEDaST_SU_EUlST_E_NS1_11comp_targetILNS1_3genE10ELNS1_11target_archE1200ELNS1_3gpuE4ELNS1_3repE0EEENS1_30default_config_static_selectorELNS0_4arch9wavefront6targetE0EEEvT1_,comdat
	.protected	_ZN7rocprim17ROCPRIM_400000_NS6detail17trampoline_kernelINS0_14default_configENS1_27scan_by_key_config_selectorIiiEEZZNS1_16scan_by_key_implILNS1_25lookback_scan_determinismE0ELb1ES3_N6thrust23THRUST_200600_302600_NS6detail15normal_iteratorINS9_10device_ptrIiEEEESE_SE_iNS9_4plusIiEE19head_flag_predicateiEE10hipError_tPvRmT2_T3_T4_T5_mT6_T7_P12ihipStream_tbENKUlT_T0_E_clISt17integral_constantIbLb1EESX_IbLb0EEEEDaST_SU_EUlST_E_NS1_11comp_targetILNS1_3genE10ELNS1_11target_archE1200ELNS1_3gpuE4ELNS1_3repE0EEENS1_30default_config_static_selectorELNS0_4arch9wavefront6targetE0EEEvT1_ ; -- Begin function _ZN7rocprim17ROCPRIM_400000_NS6detail17trampoline_kernelINS0_14default_configENS1_27scan_by_key_config_selectorIiiEEZZNS1_16scan_by_key_implILNS1_25lookback_scan_determinismE0ELb1ES3_N6thrust23THRUST_200600_302600_NS6detail15normal_iteratorINS9_10device_ptrIiEEEESE_SE_iNS9_4plusIiEE19head_flag_predicateiEE10hipError_tPvRmT2_T3_T4_T5_mT6_T7_P12ihipStream_tbENKUlT_T0_E_clISt17integral_constantIbLb1EESX_IbLb0EEEEDaST_SU_EUlST_E_NS1_11comp_targetILNS1_3genE10ELNS1_11target_archE1200ELNS1_3gpuE4ELNS1_3repE0EEENS1_30default_config_static_selectorELNS0_4arch9wavefront6targetE0EEEvT1_
	.globl	_ZN7rocprim17ROCPRIM_400000_NS6detail17trampoline_kernelINS0_14default_configENS1_27scan_by_key_config_selectorIiiEEZZNS1_16scan_by_key_implILNS1_25lookback_scan_determinismE0ELb1ES3_N6thrust23THRUST_200600_302600_NS6detail15normal_iteratorINS9_10device_ptrIiEEEESE_SE_iNS9_4plusIiEE19head_flag_predicateiEE10hipError_tPvRmT2_T3_T4_T5_mT6_T7_P12ihipStream_tbENKUlT_T0_E_clISt17integral_constantIbLb1EESX_IbLb0EEEEDaST_SU_EUlST_E_NS1_11comp_targetILNS1_3genE10ELNS1_11target_archE1200ELNS1_3gpuE4ELNS1_3repE0EEENS1_30default_config_static_selectorELNS0_4arch9wavefront6targetE0EEEvT1_
	.p2align	8
	.type	_ZN7rocprim17ROCPRIM_400000_NS6detail17trampoline_kernelINS0_14default_configENS1_27scan_by_key_config_selectorIiiEEZZNS1_16scan_by_key_implILNS1_25lookback_scan_determinismE0ELb1ES3_N6thrust23THRUST_200600_302600_NS6detail15normal_iteratorINS9_10device_ptrIiEEEESE_SE_iNS9_4plusIiEE19head_flag_predicateiEE10hipError_tPvRmT2_T3_T4_T5_mT6_T7_P12ihipStream_tbENKUlT_T0_E_clISt17integral_constantIbLb1EESX_IbLb0EEEEDaST_SU_EUlST_E_NS1_11comp_targetILNS1_3genE10ELNS1_11target_archE1200ELNS1_3gpuE4ELNS1_3repE0EEENS1_30default_config_static_selectorELNS0_4arch9wavefront6targetE0EEEvT1_,@function
_ZN7rocprim17ROCPRIM_400000_NS6detail17trampoline_kernelINS0_14default_configENS1_27scan_by_key_config_selectorIiiEEZZNS1_16scan_by_key_implILNS1_25lookback_scan_determinismE0ELb1ES3_N6thrust23THRUST_200600_302600_NS6detail15normal_iteratorINS9_10device_ptrIiEEEESE_SE_iNS9_4plusIiEE19head_flag_predicateiEE10hipError_tPvRmT2_T3_T4_T5_mT6_T7_P12ihipStream_tbENKUlT_T0_E_clISt17integral_constantIbLb1EESX_IbLb0EEEEDaST_SU_EUlST_E_NS1_11comp_targetILNS1_3genE10ELNS1_11target_archE1200ELNS1_3gpuE4ELNS1_3repE0EEENS1_30default_config_static_selectorELNS0_4arch9wavefront6targetE0EEEvT1_: ; @_ZN7rocprim17ROCPRIM_400000_NS6detail17trampoline_kernelINS0_14default_configENS1_27scan_by_key_config_selectorIiiEEZZNS1_16scan_by_key_implILNS1_25lookback_scan_determinismE0ELb1ES3_N6thrust23THRUST_200600_302600_NS6detail15normal_iteratorINS9_10device_ptrIiEEEESE_SE_iNS9_4plusIiEE19head_flag_predicateiEE10hipError_tPvRmT2_T3_T4_T5_mT6_T7_P12ihipStream_tbENKUlT_T0_E_clISt17integral_constantIbLb1EESX_IbLb0EEEEDaST_SU_EUlST_E_NS1_11comp_targetILNS1_3genE10ELNS1_11target_archE1200ELNS1_3gpuE4ELNS1_3repE0EEENS1_30default_config_static_selectorELNS0_4arch9wavefront6targetE0EEEvT1_
; %bb.0:
	.section	.rodata,"a",@progbits
	.p2align	6, 0x0
	.amdhsa_kernel _ZN7rocprim17ROCPRIM_400000_NS6detail17trampoline_kernelINS0_14default_configENS1_27scan_by_key_config_selectorIiiEEZZNS1_16scan_by_key_implILNS1_25lookback_scan_determinismE0ELb1ES3_N6thrust23THRUST_200600_302600_NS6detail15normal_iteratorINS9_10device_ptrIiEEEESE_SE_iNS9_4plusIiEE19head_flag_predicateiEE10hipError_tPvRmT2_T3_T4_T5_mT6_T7_P12ihipStream_tbENKUlT_T0_E_clISt17integral_constantIbLb1EESX_IbLb0EEEEDaST_SU_EUlST_E_NS1_11comp_targetILNS1_3genE10ELNS1_11target_archE1200ELNS1_3gpuE4ELNS1_3repE0EEENS1_30default_config_static_selectorELNS0_4arch9wavefront6targetE0EEEvT1_
		.amdhsa_group_segment_fixed_size 0
		.amdhsa_private_segment_fixed_size 0
		.amdhsa_kernarg_size 112
		.amdhsa_user_sgpr_count 6
		.amdhsa_user_sgpr_private_segment_buffer 1
		.amdhsa_user_sgpr_dispatch_ptr 0
		.amdhsa_user_sgpr_queue_ptr 0
		.amdhsa_user_sgpr_kernarg_segment_ptr 1
		.amdhsa_user_sgpr_dispatch_id 0
		.amdhsa_user_sgpr_flat_scratch_init 0
		.amdhsa_user_sgpr_private_segment_size 0
		.amdhsa_wavefront_size32 1
		.amdhsa_uses_dynamic_stack 0
		.amdhsa_system_sgpr_private_segment_wavefront_offset 0
		.amdhsa_system_sgpr_workgroup_id_x 1
		.amdhsa_system_sgpr_workgroup_id_y 0
		.amdhsa_system_sgpr_workgroup_id_z 0
		.amdhsa_system_sgpr_workgroup_info 0
		.amdhsa_system_vgpr_workitem_id 0
		.amdhsa_next_free_vgpr 1
		.amdhsa_next_free_sgpr 1
		.amdhsa_reserve_vcc 0
		.amdhsa_reserve_flat_scratch 0
		.amdhsa_float_round_mode_32 0
		.amdhsa_float_round_mode_16_64 0
		.amdhsa_float_denorm_mode_32 3
		.amdhsa_float_denorm_mode_16_64 3
		.amdhsa_dx10_clamp 1
		.amdhsa_ieee_mode 1
		.amdhsa_fp16_overflow 0
		.amdhsa_workgroup_processor_mode 1
		.amdhsa_memory_ordered 1
		.amdhsa_forward_progress 1
		.amdhsa_shared_vgpr_count 0
		.amdhsa_exception_fp_ieee_invalid_op 0
		.amdhsa_exception_fp_denorm_src 0
		.amdhsa_exception_fp_ieee_div_zero 0
		.amdhsa_exception_fp_ieee_overflow 0
		.amdhsa_exception_fp_ieee_underflow 0
		.amdhsa_exception_fp_ieee_inexact 0
		.amdhsa_exception_int_div_zero 0
	.end_amdhsa_kernel
	.section	.text._ZN7rocprim17ROCPRIM_400000_NS6detail17trampoline_kernelINS0_14default_configENS1_27scan_by_key_config_selectorIiiEEZZNS1_16scan_by_key_implILNS1_25lookback_scan_determinismE0ELb1ES3_N6thrust23THRUST_200600_302600_NS6detail15normal_iteratorINS9_10device_ptrIiEEEESE_SE_iNS9_4plusIiEE19head_flag_predicateiEE10hipError_tPvRmT2_T3_T4_T5_mT6_T7_P12ihipStream_tbENKUlT_T0_E_clISt17integral_constantIbLb1EESX_IbLb0EEEEDaST_SU_EUlST_E_NS1_11comp_targetILNS1_3genE10ELNS1_11target_archE1200ELNS1_3gpuE4ELNS1_3repE0EEENS1_30default_config_static_selectorELNS0_4arch9wavefront6targetE0EEEvT1_,"axG",@progbits,_ZN7rocprim17ROCPRIM_400000_NS6detail17trampoline_kernelINS0_14default_configENS1_27scan_by_key_config_selectorIiiEEZZNS1_16scan_by_key_implILNS1_25lookback_scan_determinismE0ELb1ES3_N6thrust23THRUST_200600_302600_NS6detail15normal_iteratorINS9_10device_ptrIiEEEESE_SE_iNS9_4plusIiEE19head_flag_predicateiEE10hipError_tPvRmT2_T3_T4_T5_mT6_T7_P12ihipStream_tbENKUlT_T0_E_clISt17integral_constantIbLb1EESX_IbLb0EEEEDaST_SU_EUlST_E_NS1_11comp_targetILNS1_3genE10ELNS1_11target_archE1200ELNS1_3gpuE4ELNS1_3repE0EEENS1_30default_config_static_selectorELNS0_4arch9wavefront6targetE0EEEvT1_,comdat
.Lfunc_end809:
	.size	_ZN7rocprim17ROCPRIM_400000_NS6detail17trampoline_kernelINS0_14default_configENS1_27scan_by_key_config_selectorIiiEEZZNS1_16scan_by_key_implILNS1_25lookback_scan_determinismE0ELb1ES3_N6thrust23THRUST_200600_302600_NS6detail15normal_iteratorINS9_10device_ptrIiEEEESE_SE_iNS9_4plusIiEE19head_flag_predicateiEE10hipError_tPvRmT2_T3_T4_T5_mT6_T7_P12ihipStream_tbENKUlT_T0_E_clISt17integral_constantIbLb1EESX_IbLb0EEEEDaST_SU_EUlST_E_NS1_11comp_targetILNS1_3genE10ELNS1_11target_archE1200ELNS1_3gpuE4ELNS1_3repE0EEENS1_30default_config_static_selectorELNS0_4arch9wavefront6targetE0EEEvT1_, .Lfunc_end809-_ZN7rocprim17ROCPRIM_400000_NS6detail17trampoline_kernelINS0_14default_configENS1_27scan_by_key_config_selectorIiiEEZZNS1_16scan_by_key_implILNS1_25lookback_scan_determinismE0ELb1ES3_N6thrust23THRUST_200600_302600_NS6detail15normal_iteratorINS9_10device_ptrIiEEEESE_SE_iNS9_4plusIiEE19head_flag_predicateiEE10hipError_tPvRmT2_T3_T4_T5_mT6_T7_P12ihipStream_tbENKUlT_T0_E_clISt17integral_constantIbLb1EESX_IbLb0EEEEDaST_SU_EUlST_E_NS1_11comp_targetILNS1_3genE10ELNS1_11target_archE1200ELNS1_3gpuE4ELNS1_3repE0EEENS1_30default_config_static_selectorELNS0_4arch9wavefront6targetE0EEEvT1_
                                        ; -- End function
	.set _ZN7rocprim17ROCPRIM_400000_NS6detail17trampoline_kernelINS0_14default_configENS1_27scan_by_key_config_selectorIiiEEZZNS1_16scan_by_key_implILNS1_25lookback_scan_determinismE0ELb1ES3_N6thrust23THRUST_200600_302600_NS6detail15normal_iteratorINS9_10device_ptrIiEEEESE_SE_iNS9_4plusIiEE19head_flag_predicateiEE10hipError_tPvRmT2_T3_T4_T5_mT6_T7_P12ihipStream_tbENKUlT_T0_E_clISt17integral_constantIbLb1EESX_IbLb0EEEEDaST_SU_EUlST_E_NS1_11comp_targetILNS1_3genE10ELNS1_11target_archE1200ELNS1_3gpuE4ELNS1_3repE0EEENS1_30default_config_static_selectorELNS0_4arch9wavefront6targetE0EEEvT1_.num_vgpr, 0
	.set _ZN7rocprim17ROCPRIM_400000_NS6detail17trampoline_kernelINS0_14default_configENS1_27scan_by_key_config_selectorIiiEEZZNS1_16scan_by_key_implILNS1_25lookback_scan_determinismE0ELb1ES3_N6thrust23THRUST_200600_302600_NS6detail15normal_iteratorINS9_10device_ptrIiEEEESE_SE_iNS9_4plusIiEE19head_flag_predicateiEE10hipError_tPvRmT2_T3_T4_T5_mT6_T7_P12ihipStream_tbENKUlT_T0_E_clISt17integral_constantIbLb1EESX_IbLb0EEEEDaST_SU_EUlST_E_NS1_11comp_targetILNS1_3genE10ELNS1_11target_archE1200ELNS1_3gpuE4ELNS1_3repE0EEENS1_30default_config_static_selectorELNS0_4arch9wavefront6targetE0EEEvT1_.num_agpr, 0
	.set _ZN7rocprim17ROCPRIM_400000_NS6detail17trampoline_kernelINS0_14default_configENS1_27scan_by_key_config_selectorIiiEEZZNS1_16scan_by_key_implILNS1_25lookback_scan_determinismE0ELb1ES3_N6thrust23THRUST_200600_302600_NS6detail15normal_iteratorINS9_10device_ptrIiEEEESE_SE_iNS9_4plusIiEE19head_flag_predicateiEE10hipError_tPvRmT2_T3_T4_T5_mT6_T7_P12ihipStream_tbENKUlT_T0_E_clISt17integral_constantIbLb1EESX_IbLb0EEEEDaST_SU_EUlST_E_NS1_11comp_targetILNS1_3genE10ELNS1_11target_archE1200ELNS1_3gpuE4ELNS1_3repE0EEENS1_30default_config_static_selectorELNS0_4arch9wavefront6targetE0EEEvT1_.numbered_sgpr, 0
	.set _ZN7rocprim17ROCPRIM_400000_NS6detail17trampoline_kernelINS0_14default_configENS1_27scan_by_key_config_selectorIiiEEZZNS1_16scan_by_key_implILNS1_25lookback_scan_determinismE0ELb1ES3_N6thrust23THRUST_200600_302600_NS6detail15normal_iteratorINS9_10device_ptrIiEEEESE_SE_iNS9_4plusIiEE19head_flag_predicateiEE10hipError_tPvRmT2_T3_T4_T5_mT6_T7_P12ihipStream_tbENKUlT_T0_E_clISt17integral_constantIbLb1EESX_IbLb0EEEEDaST_SU_EUlST_E_NS1_11comp_targetILNS1_3genE10ELNS1_11target_archE1200ELNS1_3gpuE4ELNS1_3repE0EEENS1_30default_config_static_selectorELNS0_4arch9wavefront6targetE0EEEvT1_.num_named_barrier, 0
	.set _ZN7rocprim17ROCPRIM_400000_NS6detail17trampoline_kernelINS0_14default_configENS1_27scan_by_key_config_selectorIiiEEZZNS1_16scan_by_key_implILNS1_25lookback_scan_determinismE0ELb1ES3_N6thrust23THRUST_200600_302600_NS6detail15normal_iteratorINS9_10device_ptrIiEEEESE_SE_iNS9_4plusIiEE19head_flag_predicateiEE10hipError_tPvRmT2_T3_T4_T5_mT6_T7_P12ihipStream_tbENKUlT_T0_E_clISt17integral_constantIbLb1EESX_IbLb0EEEEDaST_SU_EUlST_E_NS1_11comp_targetILNS1_3genE10ELNS1_11target_archE1200ELNS1_3gpuE4ELNS1_3repE0EEENS1_30default_config_static_selectorELNS0_4arch9wavefront6targetE0EEEvT1_.private_seg_size, 0
	.set _ZN7rocprim17ROCPRIM_400000_NS6detail17trampoline_kernelINS0_14default_configENS1_27scan_by_key_config_selectorIiiEEZZNS1_16scan_by_key_implILNS1_25lookback_scan_determinismE0ELb1ES3_N6thrust23THRUST_200600_302600_NS6detail15normal_iteratorINS9_10device_ptrIiEEEESE_SE_iNS9_4plusIiEE19head_flag_predicateiEE10hipError_tPvRmT2_T3_T4_T5_mT6_T7_P12ihipStream_tbENKUlT_T0_E_clISt17integral_constantIbLb1EESX_IbLb0EEEEDaST_SU_EUlST_E_NS1_11comp_targetILNS1_3genE10ELNS1_11target_archE1200ELNS1_3gpuE4ELNS1_3repE0EEENS1_30default_config_static_selectorELNS0_4arch9wavefront6targetE0EEEvT1_.uses_vcc, 0
	.set _ZN7rocprim17ROCPRIM_400000_NS6detail17trampoline_kernelINS0_14default_configENS1_27scan_by_key_config_selectorIiiEEZZNS1_16scan_by_key_implILNS1_25lookback_scan_determinismE0ELb1ES3_N6thrust23THRUST_200600_302600_NS6detail15normal_iteratorINS9_10device_ptrIiEEEESE_SE_iNS9_4plusIiEE19head_flag_predicateiEE10hipError_tPvRmT2_T3_T4_T5_mT6_T7_P12ihipStream_tbENKUlT_T0_E_clISt17integral_constantIbLb1EESX_IbLb0EEEEDaST_SU_EUlST_E_NS1_11comp_targetILNS1_3genE10ELNS1_11target_archE1200ELNS1_3gpuE4ELNS1_3repE0EEENS1_30default_config_static_selectorELNS0_4arch9wavefront6targetE0EEEvT1_.uses_flat_scratch, 0
	.set _ZN7rocprim17ROCPRIM_400000_NS6detail17trampoline_kernelINS0_14default_configENS1_27scan_by_key_config_selectorIiiEEZZNS1_16scan_by_key_implILNS1_25lookback_scan_determinismE0ELb1ES3_N6thrust23THRUST_200600_302600_NS6detail15normal_iteratorINS9_10device_ptrIiEEEESE_SE_iNS9_4plusIiEE19head_flag_predicateiEE10hipError_tPvRmT2_T3_T4_T5_mT6_T7_P12ihipStream_tbENKUlT_T0_E_clISt17integral_constantIbLb1EESX_IbLb0EEEEDaST_SU_EUlST_E_NS1_11comp_targetILNS1_3genE10ELNS1_11target_archE1200ELNS1_3gpuE4ELNS1_3repE0EEENS1_30default_config_static_selectorELNS0_4arch9wavefront6targetE0EEEvT1_.has_dyn_sized_stack, 0
	.set _ZN7rocprim17ROCPRIM_400000_NS6detail17trampoline_kernelINS0_14default_configENS1_27scan_by_key_config_selectorIiiEEZZNS1_16scan_by_key_implILNS1_25lookback_scan_determinismE0ELb1ES3_N6thrust23THRUST_200600_302600_NS6detail15normal_iteratorINS9_10device_ptrIiEEEESE_SE_iNS9_4plusIiEE19head_flag_predicateiEE10hipError_tPvRmT2_T3_T4_T5_mT6_T7_P12ihipStream_tbENKUlT_T0_E_clISt17integral_constantIbLb1EESX_IbLb0EEEEDaST_SU_EUlST_E_NS1_11comp_targetILNS1_3genE10ELNS1_11target_archE1200ELNS1_3gpuE4ELNS1_3repE0EEENS1_30default_config_static_selectorELNS0_4arch9wavefront6targetE0EEEvT1_.has_recursion, 0
	.set _ZN7rocprim17ROCPRIM_400000_NS6detail17trampoline_kernelINS0_14default_configENS1_27scan_by_key_config_selectorIiiEEZZNS1_16scan_by_key_implILNS1_25lookback_scan_determinismE0ELb1ES3_N6thrust23THRUST_200600_302600_NS6detail15normal_iteratorINS9_10device_ptrIiEEEESE_SE_iNS9_4plusIiEE19head_flag_predicateiEE10hipError_tPvRmT2_T3_T4_T5_mT6_T7_P12ihipStream_tbENKUlT_T0_E_clISt17integral_constantIbLb1EESX_IbLb0EEEEDaST_SU_EUlST_E_NS1_11comp_targetILNS1_3genE10ELNS1_11target_archE1200ELNS1_3gpuE4ELNS1_3repE0EEENS1_30default_config_static_selectorELNS0_4arch9wavefront6targetE0EEEvT1_.has_indirect_call, 0
	.section	.AMDGPU.csdata,"",@progbits
; Kernel info:
; codeLenInByte = 0
; TotalNumSgprs: 0
; NumVgprs: 0
; ScratchSize: 0
; MemoryBound: 0
; FloatMode: 240
; IeeeMode: 1
; LDSByteSize: 0 bytes/workgroup (compile time only)
; SGPRBlocks: 0
; VGPRBlocks: 0
; NumSGPRsForWavesPerEU: 1
; NumVGPRsForWavesPerEU: 1
; Occupancy: 16
; WaveLimiterHint : 0
; COMPUTE_PGM_RSRC2:SCRATCH_EN: 0
; COMPUTE_PGM_RSRC2:USER_SGPR: 6
; COMPUTE_PGM_RSRC2:TRAP_HANDLER: 0
; COMPUTE_PGM_RSRC2:TGID_X_EN: 1
; COMPUTE_PGM_RSRC2:TGID_Y_EN: 0
; COMPUTE_PGM_RSRC2:TGID_Z_EN: 0
; COMPUTE_PGM_RSRC2:TIDIG_COMP_CNT: 0
	.section	.text._ZN7rocprim17ROCPRIM_400000_NS6detail17trampoline_kernelINS0_14default_configENS1_27scan_by_key_config_selectorIiiEEZZNS1_16scan_by_key_implILNS1_25lookback_scan_determinismE0ELb1ES3_N6thrust23THRUST_200600_302600_NS6detail15normal_iteratorINS9_10device_ptrIiEEEESE_SE_iNS9_4plusIiEE19head_flag_predicateiEE10hipError_tPvRmT2_T3_T4_T5_mT6_T7_P12ihipStream_tbENKUlT_T0_E_clISt17integral_constantIbLb1EESX_IbLb0EEEEDaST_SU_EUlST_E_NS1_11comp_targetILNS1_3genE9ELNS1_11target_archE1100ELNS1_3gpuE3ELNS1_3repE0EEENS1_30default_config_static_selectorELNS0_4arch9wavefront6targetE0EEEvT1_,"axG",@progbits,_ZN7rocprim17ROCPRIM_400000_NS6detail17trampoline_kernelINS0_14default_configENS1_27scan_by_key_config_selectorIiiEEZZNS1_16scan_by_key_implILNS1_25lookback_scan_determinismE0ELb1ES3_N6thrust23THRUST_200600_302600_NS6detail15normal_iteratorINS9_10device_ptrIiEEEESE_SE_iNS9_4plusIiEE19head_flag_predicateiEE10hipError_tPvRmT2_T3_T4_T5_mT6_T7_P12ihipStream_tbENKUlT_T0_E_clISt17integral_constantIbLb1EESX_IbLb0EEEEDaST_SU_EUlST_E_NS1_11comp_targetILNS1_3genE9ELNS1_11target_archE1100ELNS1_3gpuE3ELNS1_3repE0EEENS1_30default_config_static_selectorELNS0_4arch9wavefront6targetE0EEEvT1_,comdat
	.protected	_ZN7rocprim17ROCPRIM_400000_NS6detail17trampoline_kernelINS0_14default_configENS1_27scan_by_key_config_selectorIiiEEZZNS1_16scan_by_key_implILNS1_25lookback_scan_determinismE0ELb1ES3_N6thrust23THRUST_200600_302600_NS6detail15normal_iteratorINS9_10device_ptrIiEEEESE_SE_iNS9_4plusIiEE19head_flag_predicateiEE10hipError_tPvRmT2_T3_T4_T5_mT6_T7_P12ihipStream_tbENKUlT_T0_E_clISt17integral_constantIbLb1EESX_IbLb0EEEEDaST_SU_EUlST_E_NS1_11comp_targetILNS1_3genE9ELNS1_11target_archE1100ELNS1_3gpuE3ELNS1_3repE0EEENS1_30default_config_static_selectorELNS0_4arch9wavefront6targetE0EEEvT1_ ; -- Begin function _ZN7rocprim17ROCPRIM_400000_NS6detail17trampoline_kernelINS0_14default_configENS1_27scan_by_key_config_selectorIiiEEZZNS1_16scan_by_key_implILNS1_25lookback_scan_determinismE0ELb1ES3_N6thrust23THRUST_200600_302600_NS6detail15normal_iteratorINS9_10device_ptrIiEEEESE_SE_iNS9_4plusIiEE19head_flag_predicateiEE10hipError_tPvRmT2_T3_T4_T5_mT6_T7_P12ihipStream_tbENKUlT_T0_E_clISt17integral_constantIbLb1EESX_IbLb0EEEEDaST_SU_EUlST_E_NS1_11comp_targetILNS1_3genE9ELNS1_11target_archE1100ELNS1_3gpuE3ELNS1_3repE0EEENS1_30default_config_static_selectorELNS0_4arch9wavefront6targetE0EEEvT1_
	.globl	_ZN7rocprim17ROCPRIM_400000_NS6detail17trampoline_kernelINS0_14default_configENS1_27scan_by_key_config_selectorIiiEEZZNS1_16scan_by_key_implILNS1_25lookback_scan_determinismE0ELb1ES3_N6thrust23THRUST_200600_302600_NS6detail15normal_iteratorINS9_10device_ptrIiEEEESE_SE_iNS9_4plusIiEE19head_flag_predicateiEE10hipError_tPvRmT2_T3_T4_T5_mT6_T7_P12ihipStream_tbENKUlT_T0_E_clISt17integral_constantIbLb1EESX_IbLb0EEEEDaST_SU_EUlST_E_NS1_11comp_targetILNS1_3genE9ELNS1_11target_archE1100ELNS1_3gpuE3ELNS1_3repE0EEENS1_30default_config_static_selectorELNS0_4arch9wavefront6targetE0EEEvT1_
	.p2align	8
	.type	_ZN7rocprim17ROCPRIM_400000_NS6detail17trampoline_kernelINS0_14default_configENS1_27scan_by_key_config_selectorIiiEEZZNS1_16scan_by_key_implILNS1_25lookback_scan_determinismE0ELb1ES3_N6thrust23THRUST_200600_302600_NS6detail15normal_iteratorINS9_10device_ptrIiEEEESE_SE_iNS9_4plusIiEE19head_flag_predicateiEE10hipError_tPvRmT2_T3_T4_T5_mT6_T7_P12ihipStream_tbENKUlT_T0_E_clISt17integral_constantIbLb1EESX_IbLb0EEEEDaST_SU_EUlST_E_NS1_11comp_targetILNS1_3genE9ELNS1_11target_archE1100ELNS1_3gpuE3ELNS1_3repE0EEENS1_30default_config_static_selectorELNS0_4arch9wavefront6targetE0EEEvT1_,@function
_ZN7rocprim17ROCPRIM_400000_NS6detail17trampoline_kernelINS0_14default_configENS1_27scan_by_key_config_selectorIiiEEZZNS1_16scan_by_key_implILNS1_25lookback_scan_determinismE0ELb1ES3_N6thrust23THRUST_200600_302600_NS6detail15normal_iteratorINS9_10device_ptrIiEEEESE_SE_iNS9_4plusIiEE19head_flag_predicateiEE10hipError_tPvRmT2_T3_T4_T5_mT6_T7_P12ihipStream_tbENKUlT_T0_E_clISt17integral_constantIbLb1EESX_IbLb0EEEEDaST_SU_EUlST_E_NS1_11comp_targetILNS1_3genE9ELNS1_11target_archE1100ELNS1_3gpuE3ELNS1_3repE0EEENS1_30default_config_static_selectorELNS0_4arch9wavefront6targetE0EEEvT1_: ; @_ZN7rocprim17ROCPRIM_400000_NS6detail17trampoline_kernelINS0_14default_configENS1_27scan_by_key_config_selectorIiiEEZZNS1_16scan_by_key_implILNS1_25lookback_scan_determinismE0ELb1ES3_N6thrust23THRUST_200600_302600_NS6detail15normal_iteratorINS9_10device_ptrIiEEEESE_SE_iNS9_4plusIiEE19head_flag_predicateiEE10hipError_tPvRmT2_T3_T4_T5_mT6_T7_P12ihipStream_tbENKUlT_T0_E_clISt17integral_constantIbLb1EESX_IbLb0EEEEDaST_SU_EUlST_E_NS1_11comp_targetILNS1_3genE9ELNS1_11target_archE1100ELNS1_3gpuE3ELNS1_3repE0EEENS1_30default_config_static_selectorELNS0_4arch9wavefront6targetE0EEEvT1_
; %bb.0:
	.section	.rodata,"a",@progbits
	.p2align	6, 0x0
	.amdhsa_kernel _ZN7rocprim17ROCPRIM_400000_NS6detail17trampoline_kernelINS0_14default_configENS1_27scan_by_key_config_selectorIiiEEZZNS1_16scan_by_key_implILNS1_25lookback_scan_determinismE0ELb1ES3_N6thrust23THRUST_200600_302600_NS6detail15normal_iteratorINS9_10device_ptrIiEEEESE_SE_iNS9_4plusIiEE19head_flag_predicateiEE10hipError_tPvRmT2_T3_T4_T5_mT6_T7_P12ihipStream_tbENKUlT_T0_E_clISt17integral_constantIbLb1EESX_IbLb0EEEEDaST_SU_EUlST_E_NS1_11comp_targetILNS1_3genE9ELNS1_11target_archE1100ELNS1_3gpuE3ELNS1_3repE0EEENS1_30default_config_static_selectorELNS0_4arch9wavefront6targetE0EEEvT1_
		.amdhsa_group_segment_fixed_size 0
		.amdhsa_private_segment_fixed_size 0
		.amdhsa_kernarg_size 112
		.amdhsa_user_sgpr_count 6
		.amdhsa_user_sgpr_private_segment_buffer 1
		.amdhsa_user_sgpr_dispatch_ptr 0
		.amdhsa_user_sgpr_queue_ptr 0
		.amdhsa_user_sgpr_kernarg_segment_ptr 1
		.amdhsa_user_sgpr_dispatch_id 0
		.amdhsa_user_sgpr_flat_scratch_init 0
		.amdhsa_user_sgpr_private_segment_size 0
		.amdhsa_wavefront_size32 1
		.amdhsa_uses_dynamic_stack 0
		.amdhsa_system_sgpr_private_segment_wavefront_offset 0
		.amdhsa_system_sgpr_workgroup_id_x 1
		.amdhsa_system_sgpr_workgroup_id_y 0
		.amdhsa_system_sgpr_workgroup_id_z 0
		.amdhsa_system_sgpr_workgroup_info 0
		.amdhsa_system_vgpr_workitem_id 0
		.amdhsa_next_free_vgpr 1
		.amdhsa_next_free_sgpr 1
		.amdhsa_reserve_vcc 0
		.amdhsa_reserve_flat_scratch 0
		.amdhsa_float_round_mode_32 0
		.amdhsa_float_round_mode_16_64 0
		.amdhsa_float_denorm_mode_32 3
		.amdhsa_float_denorm_mode_16_64 3
		.amdhsa_dx10_clamp 1
		.amdhsa_ieee_mode 1
		.amdhsa_fp16_overflow 0
		.amdhsa_workgroup_processor_mode 1
		.amdhsa_memory_ordered 1
		.amdhsa_forward_progress 1
		.amdhsa_shared_vgpr_count 0
		.amdhsa_exception_fp_ieee_invalid_op 0
		.amdhsa_exception_fp_denorm_src 0
		.amdhsa_exception_fp_ieee_div_zero 0
		.amdhsa_exception_fp_ieee_overflow 0
		.amdhsa_exception_fp_ieee_underflow 0
		.amdhsa_exception_fp_ieee_inexact 0
		.amdhsa_exception_int_div_zero 0
	.end_amdhsa_kernel
	.section	.text._ZN7rocprim17ROCPRIM_400000_NS6detail17trampoline_kernelINS0_14default_configENS1_27scan_by_key_config_selectorIiiEEZZNS1_16scan_by_key_implILNS1_25lookback_scan_determinismE0ELb1ES3_N6thrust23THRUST_200600_302600_NS6detail15normal_iteratorINS9_10device_ptrIiEEEESE_SE_iNS9_4plusIiEE19head_flag_predicateiEE10hipError_tPvRmT2_T3_T4_T5_mT6_T7_P12ihipStream_tbENKUlT_T0_E_clISt17integral_constantIbLb1EESX_IbLb0EEEEDaST_SU_EUlST_E_NS1_11comp_targetILNS1_3genE9ELNS1_11target_archE1100ELNS1_3gpuE3ELNS1_3repE0EEENS1_30default_config_static_selectorELNS0_4arch9wavefront6targetE0EEEvT1_,"axG",@progbits,_ZN7rocprim17ROCPRIM_400000_NS6detail17trampoline_kernelINS0_14default_configENS1_27scan_by_key_config_selectorIiiEEZZNS1_16scan_by_key_implILNS1_25lookback_scan_determinismE0ELb1ES3_N6thrust23THRUST_200600_302600_NS6detail15normal_iteratorINS9_10device_ptrIiEEEESE_SE_iNS9_4plusIiEE19head_flag_predicateiEE10hipError_tPvRmT2_T3_T4_T5_mT6_T7_P12ihipStream_tbENKUlT_T0_E_clISt17integral_constantIbLb1EESX_IbLb0EEEEDaST_SU_EUlST_E_NS1_11comp_targetILNS1_3genE9ELNS1_11target_archE1100ELNS1_3gpuE3ELNS1_3repE0EEENS1_30default_config_static_selectorELNS0_4arch9wavefront6targetE0EEEvT1_,comdat
.Lfunc_end810:
	.size	_ZN7rocprim17ROCPRIM_400000_NS6detail17trampoline_kernelINS0_14default_configENS1_27scan_by_key_config_selectorIiiEEZZNS1_16scan_by_key_implILNS1_25lookback_scan_determinismE0ELb1ES3_N6thrust23THRUST_200600_302600_NS6detail15normal_iteratorINS9_10device_ptrIiEEEESE_SE_iNS9_4plusIiEE19head_flag_predicateiEE10hipError_tPvRmT2_T3_T4_T5_mT6_T7_P12ihipStream_tbENKUlT_T0_E_clISt17integral_constantIbLb1EESX_IbLb0EEEEDaST_SU_EUlST_E_NS1_11comp_targetILNS1_3genE9ELNS1_11target_archE1100ELNS1_3gpuE3ELNS1_3repE0EEENS1_30default_config_static_selectorELNS0_4arch9wavefront6targetE0EEEvT1_, .Lfunc_end810-_ZN7rocprim17ROCPRIM_400000_NS6detail17trampoline_kernelINS0_14default_configENS1_27scan_by_key_config_selectorIiiEEZZNS1_16scan_by_key_implILNS1_25lookback_scan_determinismE0ELb1ES3_N6thrust23THRUST_200600_302600_NS6detail15normal_iteratorINS9_10device_ptrIiEEEESE_SE_iNS9_4plusIiEE19head_flag_predicateiEE10hipError_tPvRmT2_T3_T4_T5_mT6_T7_P12ihipStream_tbENKUlT_T0_E_clISt17integral_constantIbLb1EESX_IbLb0EEEEDaST_SU_EUlST_E_NS1_11comp_targetILNS1_3genE9ELNS1_11target_archE1100ELNS1_3gpuE3ELNS1_3repE0EEENS1_30default_config_static_selectorELNS0_4arch9wavefront6targetE0EEEvT1_
                                        ; -- End function
	.set _ZN7rocprim17ROCPRIM_400000_NS6detail17trampoline_kernelINS0_14default_configENS1_27scan_by_key_config_selectorIiiEEZZNS1_16scan_by_key_implILNS1_25lookback_scan_determinismE0ELb1ES3_N6thrust23THRUST_200600_302600_NS6detail15normal_iteratorINS9_10device_ptrIiEEEESE_SE_iNS9_4plusIiEE19head_flag_predicateiEE10hipError_tPvRmT2_T3_T4_T5_mT6_T7_P12ihipStream_tbENKUlT_T0_E_clISt17integral_constantIbLb1EESX_IbLb0EEEEDaST_SU_EUlST_E_NS1_11comp_targetILNS1_3genE9ELNS1_11target_archE1100ELNS1_3gpuE3ELNS1_3repE0EEENS1_30default_config_static_selectorELNS0_4arch9wavefront6targetE0EEEvT1_.num_vgpr, 0
	.set _ZN7rocprim17ROCPRIM_400000_NS6detail17trampoline_kernelINS0_14default_configENS1_27scan_by_key_config_selectorIiiEEZZNS1_16scan_by_key_implILNS1_25lookback_scan_determinismE0ELb1ES3_N6thrust23THRUST_200600_302600_NS6detail15normal_iteratorINS9_10device_ptrIiEEEESE_SE_iNS9_4plusIiEE19head_flag_predicateiEE10hipError_tPvRmT2_T3_T4_T5_mT6_T7_P12ihipStream_tbENKUlT_T0_E_clISt17integral_constantIbLb1EESX_IbLb0EEEEDaST_SU_EUlST_E_NS1_11comp_targetILNS1_3genE9ELNS1_11target_archE1100ELNS1_3gpuE3ELNS1_3repE0EEENS1_30default_config_static_selectorELNS0_4arch9wavefront6targetE0EEEvT1_.num_agpr, 0
	.set _ZN7rocprim17ROCPRIM_400000_NS6detail17trampoline_kernelINS0_14default_configENS1_27scan_by_key_config_selectorIiiEEZZNS1_16scan_by_key_implILNS1_25lookback_scan_determinismE0ELb1ES3_N6thrust23THRUST_200600_302600_NS6detail15normal_iteratorINS9_10device_ptrIiEEEESE_SE_iNS9_4plusIiEE19head_flag_predicateiEE10hipError_tPvRmT2_T3_T4_T5_mT6_T7_P12ihipStream_tbENKUlT_T0_E_clISt17integral_constantIbLb1EESX_IbLb0EEEEDaST_SU_EUlST_E_NS1_11comp_targetILNS1_3genE9ELNS1_11target_archE1100ELNS1_3gpuE3ELNS1_3repE0EEENS1_30default_config_static_selectorELNS0_4arch9wavefront6targetE0EEEvT1_.numbered_sgpr, 0
	.set _ZN7rocprim17ROCPRIM_400000_NS6detail17trampoline_kernelINS0_14default_configENS1_27scan_by_key_config_selectorIiiEEZZNS1_16scan_by_key_implILNS1_25lookback_scan_determinismE0ELb1ES3_N6thrust23THRUST_200600_302600_NS6detail15normal_iteratorINS9_10device_ptrIiEEEESE_SE_iNS9_4plusIiEE19head_flag_predicateiEE10hipError_tPvRmT2_T3_T4_T5_mT6_T7_P12ihipStream_tbENKUlT_T0_E_clISt17integral_constantIbLb1EESX_IbLb0EEEEDaST_SU_EUlST_E_NS1_11comp_targetILNS1_3genE9ELNS1_11target_archE1100ELNS1_3gpuE3ELNS1_3repE0EEENS1_30default_config_static_selectorELNS0_4arch9wavefront6targetE0EEEvT1_.num_named_barrier, 0
	.set _ZN7rocprim17ROCPRIM_400000_NS6detail17trampoline_kernelINS0_14default_configENS1_27scan_by_key_config_selectorIiiEEZZNS1_16scan_by_key_implILNS1_25lookback_scan_determinismE0ELb1ES3_N6thrust23THRUST_200600_302600_NS6detail15normal_iteratorINS9_10device_ptrIiEEEESE_SE_iNS9_4plusIiEE19head_flag_predicateiEE10hipError_tPvRmT2_T3_T4_T5_mT6_T7_P12ihipStream_tbENKUlT_T0_E_clISt17integral_constantIbLb1EESX_IbLb0EEEEDaST_SU_EUlST_E_NS1_11comp_targetILNS1_3genE9ELNS1_11target_archE1100ELNS1_3gpuE3ELNS1_3repE0EEENS1_30default_config_static_selectorELNS0_4arch9wavefront6targetE0EEEvT1_.private_seg_size, 0
	.set _ZN7rocprim17ROCPRIM_400000_NS6detail17trampoline_kernelINS0_14default_configENS1_27scan_by_key_config_selectorIiiEEZZNS1_16scan_by_key_implILNS1_25lookback_scan_determinismE0ELb1ES3_N6thrust23THRUST_200600_302600_NS6detail15normal_iteratorINS9_10device_ptrIiEEEESE_SE_iNS9_4plusIiEE19head_flag_predicateiEE10hipError_tPvRmT2_T3_T4_T5_mT6_T7_P12ihipStream_tbENKUlT_T0_E_clISt17integral_constantIbLb1EESX_IbLb0EEEEDaST_SU_EUlST_E_NS1_11comp_targetILNS1_3genE9ELNS1_11target_archE1100ELNS1_3gpuE3ELNS1_3repE0EEENS1_30default_config_static_selectorELNS0_4arch9wavefront6targetE0EEEvT1_.uses_vcc, 0
	.set _ZN7rocprim17ROCPRIM_400000_NS6detail17trampoline_kernelINS0_14default_configENS1_27scan_by_key_config_selectorIiiEEZZNS1_16scan_by_key_implILNS1_25lookback_scan_determinismE0ELb1ES3_N6thrust23THRUST_200600_302600_NS6detail15normal_iteratorINS9_10device_ptrIiEEEESE_SE_iNS9_4plusIiEE19head_flag_predicateiEE10hipError_tPvRmT2_T3_T4_T5_mT6_T7_P12ihipStream_tbENKUlT_T0_E_clISt17integral_constantIbLb1EESX_IbLb0EEEEDaST_SU_EUlST_E_NS1_11comp_targetILNS1_3genE9ELNS1_11target_archE1100ELNS1_3gpuE3ELNS1_3repE0EEENS1_30default_config_static_selectorELNS0_4arch9wavefront6targetE0EEEvT1_.uses_flat_scratch, 0
	.set _ZN7rocprim17ROCPRIM_400000_NS6detail17trampoline_kernelINS0_14default_configENS1_27scan_by_key_config_selectorIiiEEZZNS1_16scan_by_key_implILNS1_25lookback_scan_determinismE0ELb1ES3_N6thrust23THRUST_200600_302600_NS6detail15normal_iteratorINS9_10device_ptrIiEEEESE_SE_iNS9_4plusIiEE19head_flag_predicateiEE10hipError_tPvRmT2_T3_T4_T5_mT6_T7_P12ihipStream_tbENKUlT_T0_E_clISt17integral_constantIbLb1EESX_IbLb0EEEEDaST_SU_EUlST_E_NS1_11comp_targetILNS1_3genE9ELNS1_11target_archE1100ELNS1_3gpuE3ELNS1_3repE0EEENS1_30default_config_static_selectorELNS0_4arch9wavefront6targetE0EEEvT1_.has_dyn_sized_stack, 0
	.set _ZN7rocprim17ROCPRIM_400000_NS6detail17trampoline_kernelINS0_14default_configENS1_27scan_by_key_config_selectorIiiEEZZNS1_16scan_by_key_implILNS1_25lookback_scan_determinismE0ELb1ES3_N6thrust23THRUST_200600_302600_NS6detail15normal_iteratorINS9_10device_ptrIiEEEESE_SE_iNS9_4plusIiEE19head_flag_predicateiEE10hipError_tPvRmT2_T3_T4_T5_mT6_T7_P12ihipStream_tbENKUlT_T0_E_clISt17integral_constantIbLb1EESX_IbLb0EEEEDaST_SU_EUlST_E_NS1_11comp_targetILNS1_3genE9ELNS1_11target_archE1100ELNS1_3gpuE3ELNS1_3repE0EEENS1_30default_config_static_selectorELNS0_4arch9wavefront6targetE0EEEvT1_.has_recursion, 0
	.set _ZN7rocprim17ROCPRIM_400000_NS6detail17trampoline_kernelINS0_14default_configENS1_27scan_by_key_config_selectorIiiEEZZNS1_16scan_by_key_implILNS1_25lookback_scan_determinismE0ELb1ES3_N6thrust23THRUST_200600_302600_NS6detail15normal_iteratorINS9_10device_ptrIiEEEESE_SE_iNS9_4plusIiEE19head_flag_predicateiEE10hipError_tPvRmT2_T3_T4_T5_mT6_T7_P12ihipStream_tbENKUlT_T0_E_clISt17integral_constantIbLb1EESX_IbLb0EEEEDaST_SU_EUlST_E_NS1_11comp_targetILNS1_3genE9ELNS1_11target_archE1100ELNS1_3gpuE3ELNS1_3repE0EEENS1_30default_config_static_selectorELNS0_4arch9wavefront6targetE0EEEvT1_.has_indirect_call, 0
	.section	.AMDGPU.csdata,"",@progbits
; Kernel info:
; codeLenInByte = 0
; TotalNumSgprs: 0
; NumVgprs: 0
; ScratchSize: 0
; MemoryBound: 0
; FloatMode: 240
; IeeeMode: 1
; LDSByteSize: 0 bytes/workgroup (compile time only)
; SGPRBlocks: 0
; VGPRBlocks: 0
; NumSGPRsForWavesPerEU: 1
; NumVGPRsForWavesPerEU: 1
; Occupancy: 16
; WaveLimiterHint : 0
; COMPUTE_PGM_RSRC2:SCRATCH_EN: 0
; COMPUTE_PGM_RSRC2:USER_SGPR: 6
; COMPUTE_PGM_RSRC2:TRAP_HANDLER: 0
; COMPUTE_PGM_RSRC2:TGID_X_EN: 1
; COMPUTE_PGM_RSRC2:TGID_Y_EN: 0
; COMPUTE_PGM_RSRC2:TGID_Z_EN: 0
; COMPUTE_PGM_RSRC2:TIDIG_COMP_CNT: 0
	.section	.text._ZN7rocprim17ROCPRIM_400000_NS6detail17trampoline_kernelINS0_14default_configENS1_27scan_by_key_config_selectorIiiEEZZNS1_16scan_by_key_implILNS1_25lookback_scan_determinismE0ELb1ES3_N6thrust23THRUST_200600_302600_NS6detail15normal_iteratorINS9_10device_ptrIiEEEESE_SE_iNS9_4plusIiEE19head_flag_predicateiEE10hipError_tPvRmT2_T3_T4_T5_mT6_T7_P12ihipStream_tbENKUlT_T0_E_clISt17integral_constantIbLb1EESX_IbLb0EEEEDaST_SU_EUlST_E_NS1_11comp_targetILNS1_3genE8ELNS1_11target_archE1030ELNS1_3gpuE2ELNS1_3repE0EEENS1_30default_config_static_selectorELNS0_4arch9wavefront6targetE0EEEvT1_,"axG",@progbits,_ZN7rocprim17ROCPRIM_400000_NS6detail17trampoline_kernelINS0_14default_configENS1_27scan_by_key_config_selectorIiiEEZZNS1_16scan_by_key_implILNS1_25lookback_scan_determinismE0ELb1ES3_N6thrust23THRUST_200600_302600_NS6detail15normal_iteratorINS9_10device_ptrIiEEEESE_SE_iNS9_4plusIiEE19head_flag_predicateiEE10hipError_tPvRmT2_T3_T4_T5_mT6_T7_P12ihipStream_tbENKUlT_T0_E_clISt17integral_constantIbLb1EESX_IbLb0EEEEDaST_SU_EUlST_E_NS1_11comp_targetILNS1_3genE8ELNS1_11target_archE1030ELNS1_3gpuE2ELNS1_3repE0EEENS1_30default_config_static_selectorELNS0_4arch9wavefront6targetE0EEEvT1_,comdat
	.protected	_ZN7rocprim17ROCPRIM_400000_NS6detail17trampoline_kernelINS0_14default_configENS1_27scan_by_key_config_selectorIiiEEZZNS1_16scan_by_key_implILNS1_25lookback_scan_determinismE0ELb1ES3_N6thrust23THRUST_200600_302600_NS6detail15normal_iteratorINS9_10device_ptrIiEEEESE_SE_iNS9_4plusIiEE19head_flag_predicateiEE10hipError_tPvRmT2_T3_T4_T5_mT6_T7_P12ihipStream_tbENKUlT_T0_E_clISt17integral_constantIbLb1EESX_IbLb0EEEEDaST_SU_EUlST_E_NS1_11comp_targetILNS1_3genE8ELNS1_11target_archE1030ELNS1_3gpuE2ELNS1_3repE0EEENS1_30default_config_static_selectorELNS0_4arch9wavefront6targetE0EEEvT1_ ; -- Begin function _ZN7rocprim17ROCPRIM_400000_NS6detail17trampoline_kernelINS0_14default_configENS1_27scan_by_key_config_selectorIiiEEZZNS1_16scan_by_key_implILNS1_25lookback_scan_determinismE0ELb1ES3_N6thrust23THRUST_200600_302600_NS6detail15normal_iteratorINS9_10device_ptrIiEEEESE_SE_iNS9_4plusIiEE19head_flag_predicateiEE10hipError_tPvRmT2_T3_T4_T5_mT6_T7_P12ihipStream_tbENKUlT_T0_E_clISt17integral_constantIbLb1EESX_IbLb0EEEEDaST_SU_EUlST_E_NS1_11comp_targetILNS1_3genE8ELNS1_11target_archE1030ELNS1_3gpuE2ELNS1_3repE0EEENS1_30default_config_static_selectorELNS0_4arch9wavefront6targetE0EEEvT1_
	.globl	_ZN7rocprim17ROCPRIM_400000_NS6detail17trampoline_kernelINS0_14default_configENS1_27scan_by_key_config_selectorIiiEEZZNS1_16scan_by_key_implILNS1_25lookback_scan_determinismE0ELb1ES3_N6thrust23THRUST_200600_302600_NS6detail15normal_iteratorINS9_10device_ptrIiEEEESE_SE_iNS9_4plusIiEE19head_flag_predicateiEE10hipError_tPvRmT2_T3_T4_T5_mT6_T7_P12ihipStream_tbENKUlT_T0_E_clISt17integral_constantIbLb1EESX_IbLb0EEEEDaST_SU_EUlST_E_NS1_11comp_targetILNS1_3genE8ELNS1_11target_archE1030ELNS1_3gpuE2ELNS1_3repE0EEENS1_30default_config_static_selectorELNS0_4arch9wavefront6targetE0EEEvT1_
	.p2align	8
	.type	_ZN7rocprim17ROCPRIM_400000_NS6detail17trampoline_kernelINS0_14default_configENS1_27scan_by_key_config_selectorIiiEEZZNS1_16scan_by_key_implILNS1_25lookback_scan_determinismE0ELb1ES3_N6thrust23THRUST_200600_302600_NS6detail15normal_iteratorINS9_10device_ptrIiEEEESE_SE_iNS9_4plusIiEE19head_flag_predicateiEE10hipError_tPvRmT2_T3_T4_T5_mT6_T7_P12ihipStream_tbENKUlT_T0_E_clISt17integral_constantIbLb1EESX_IbLb0EEEEDaST_SU_EUlST_E_NS1_11comp_targetILNS1_3genE8ELNS1_11target_archE1030ELNS1_3gpuE2ELNS1_3repE0EEENS1_30default_config_static_selectorELNS0_4arch9wavefront6targetE0EEEvT1_,@function
_ZN7rocprim17ROCPRIM_400000_NS6detail17trampoline_kernelINS0_14default_configENS1_27scan_by_key_config_selectorIiiEEZZNS1_16scan_by_key_implILNS1_25lookback_scan_determinismE0ELb1ES3_N6thrust23THRUST_200600_302600_NS6detail15normal_iteratorINS9_10device_ptrIiEEEESE_SE_iNS9_4plusIiEE19head_flag_predicateiEE10hipError_tPvRmT2_T3_T4_T5_mT6_T7_P12ihipStream_tbENKUlT_T0_E_clISt17integral_constantIbLb1EESX_IbLb0EEEEDaST_SU_EUlST_E_NS1_11comp_targetILNS1_3genE8ELNS1_11target_archE1030ELNS1_3gpuE2ELNS1_3repE0EEENS1_30default_config_static_selectorELNS0_4arch9wavefront6targetE0EEEvT1_: ; @_ZN7rocprim17ROCPRIM_400000_NS6detail17trampoline_kernelINS0_14default_configENS1_27scan_by_key_config_selectorIiiEEZZNS1_16scan_by_key_implILNS1_25lookback_scan_determinismE0ELb1ES3_N6thrust23THRUST_200600_302600_NS6detail15normal_iteratorINS9_10device_ptrIiEEEESE_SE_iNS9_4plusIiEE19head_flag_predicateiEE10hipError_tPvRmT2_T3_T4_T5_mT6_T7_P12ihipStream_tbENKUlT_T0_E_clISt17integral_constantIbLb1EESX_IbLb0EEEEDaST_SU_EUlST_E_NS1_11comp_targetILNS1_3genE8ELNS1_11target_archE1030ELNS1_3gpuE2ELNS1_3repE0EEENS1_30default_config_static_selectorELNS0_4arch9wavefront6targetE0EEEvT1_
; %bb.0:
	s_endpgm
	.section	.rodata,"a",@progbits
	.p2align	6, 0x0
	.amdhsa_kernel _ZN7rocprim17ROCPRIM_400000_NS6detail17trampoline_kernelINS0_14default_configENS1_27scan_by_key_config_selectorIiiEEZZNS1_16scan_by_key_implILNS1_25lookback_scan_determinismE0ELb1ES3_N6thrust23THRUST_200600_302600_NS6detail15normal_iteratorINS9_10device_ptrIiEEEESE_SE_iNS9_4plusIiEE19head_flag_predicateiEE10hipError_tPvRmT2_T3_T4_T5_mT6_T7_P12ihipStream_tbENKUlT_T0_E_clISt17integral_constantIbLb1EESX_IbLb0EEEEDaST_SU_EUlST_E_NS1_11comp_targetILNS1_3genE8ELNS1_11target_archE1030ELNS1_3gpuE2ELNS1_3repE0EEENS1_30default_config_static_selectorELNS0_4arch9wavefront6targetE0EEEvT1_
		.amdhsa_group_segment_fixed_size 0
		.amdhsa_private_segment_fixed_size 0
		.amdhsa_kernarg_size 112
		.amdhsa_user_sgpr_count 6
		.amdhsa_user_sgpr_private_segment_buffer 1
		.amdhsa_user_sgpr_dispatch_ptr 0
		.amdhsa_user_sgpr_queue_ptr 0
		.amdhsa_user_sgpr_kernarg_segment_ptr 1
		.amdhsa_user_sgpr_dispatch_id 0
		.amdhsa_user_sgpr_flat_scratch_init 0
		.amdhsa_user_sgpr_private_segment_size 0
		.amdhsa_wavefront_size32 1
		.amdhsa_uses_dynamic_stack 0
		.amdhsa_system_sgpr_private_segment_wavefront_offset 0
		.amdhsa_system_sgpr_workgroup_id_x 1
		.amdhsa_system_sgpr_workgroup_id_y 0
		.amdhsa_system_sgpr_workgroup_id_z 0
		.amdhsa_system_sgpr_workgroup_info 0
		.amdhsa_system_vgpr_workitem_id 0
		.amdhsa_next_free_vgpr 1
		.amdhsa_next_free_sgpr 1
		.amdhsa_reserve_vcc 0
		.amdhsa_reserve_flat_scratch 0
		.amdhsa_float_round_mode_32 0
		.amdhsa_float_round_mode_16_64 0
		.amdhsa_float_denorm_mode_32 3
		.amdhsa_float_denorm_mode_16_64 3
		.amdhsa_dx10_clamp 1
		.amdhsa_ieee_mode 1
		.amdhsa_fp16_overflow 0
		.amdhsa_workgroup_processor_mode 1
		.amdhsa_memory_ordered 1
		.amdhsa_forward_progress 1
		.amdhsa_shared_vgpr_count 0
		.amdhsa_exception_fp_ieee_invalid_op 0
		.amdhsa_exception_fp_denorm_src 0
		.amdhsa_exception_fp_ieee_div_zero 0
		.amdhsa_exception_fp_ieee_overflow 0
		.amdhsa_exception_fp_ieee_underflow 0
		.amdhsa_exception_fp_ieee_inexact 0
		.amdhsa_exception_int_div_zero 0
	.end_amdhsa_kernel
	.section	.text._ZN7rocprim17ROCPRIM_400000_NS6detail17trampoline_kernelINS0_14default_configENS1_27scan_by_key_config_selectorIiiEEZZNS1_16scan_by_key_implILNS1_25lookback_scan_determinismE0ELb1ES3_N6thrust23THRUST_200600_302600_NS6detail15normal_iteratorINS9_10device_ptrIiEEEESE_SE_iNS9_4plusIiEE19head_flag_predicateiEE10hipError_tPvRmT2_T3_T4_T5_mT6_T7_P12ihipStream_tbENKUlT_T0_E_clISt17integral_constantIbLb1EESX_IbLb0EEEEDaST_SU_EUlST_E_NS1_11comp_targetILNS1_3genE8ELNS1_11target_archE1030ELNS1_3gpuE2ELNS1_3repE0EEENS1_30default_config_static_selectorELNS0_4arch9wavefront6targetE0EEEvT1_,"axG",@progbits,_ZN7rocprim17ROCPRIM_400000_NS6detail17trampoline_kernelINS0_14default_configENS1_27scan_by_key_config_selectorIiiEEZZNS1_16scan_by_key_implILNS1_25lookback_scan_determinismE0ELb1ES3_N6thrust23THRUST_200600_302600_NS6detail15normal_iteratorINS9_10device_ptrIiEEEESE_SE_iNS9_4plusIiEE19head_flag_predicateiEE10hipError_tPvRmT2_T3_T4_T5_mT6_T7_P12ihipStream_tbENKUlT_T0_E_clISt17integral_constantIbLb1EESX_IbLb0EEEEDaST_SU_EUlST_E_NS1_11comp_targetILNS1_3genE8ELNS1_11target_archE1030ELNS1_3gpuE2ELNS1_3repE0EEENS1_30default_config_static_selectorELNS0_4arch9wavefront6targetE0EEEvT1_,comdat
.Lfunc_end811:
	.size	_ZN7rocprim17ROCPRIM_400000_NS6detail17trampoline_kernelINS0_14default_configENS1_27scan_by_key_config_selectorIiiEEZZNS1_16scan_by_key_implILNS1_25lookback_scan_determinismE0ELb1ES3_N6thrust23THRUST_200600_302600_NS6detail15normal_iteratorINS9_10device_ptrIiEEEESE_SE_iNS9_4plusIiEE19head_flag_predicateiEE10hipError_tPvRmT2_T3_T4_T5_mT6_T7_P12ihipStream_tbENKUlT_T0_E_clISt17integral_constantIbLb1EESX_IbLb0EEEEDaST_SU_EUlST_E_NS1_11comp_targetILNS1_3genE8ELNS1_11target_archE1030ELNS1_3gpuE2ELNS1_3repE0EEENS1_30default_config_static_selectorELNS0_4arch9wavefront6targetE0EEEvT1_, .Lfunc_end811-_ZN7rocprim17ROCPRIM_400000_NS6detail17trampoline_kernelINS0_14default_configENS1_27scan_by_key_config_selectorIiiEEZZNS1_16scan_by_key_implILNS1_25lookback_scan_determinismE0ELb1ES3_N6thrust23THRUST_200600_302600_NS6detail15normal_iteratorINS9_10device_ptrIiEEEESE_SE_iNS9_4plusIiEE19head_flag_predicateiEE10hipError_tPvRmT2_T3_T4_T5_mT6_T7_P12ihipStream_tbENKUlT_T0_E_clISt17integral_constantIbLb1EESX_IbLb0EEEEDaST_SU_EUlST_E_NS1_11comp_targetILNS1_3genE8ELNS1_11target_archE1030ELNS1_3gpuE2ELNS1_3repE0EEENS1_30default_config_static_selectorELNS0_4arch9wavefront6targetE0EEEvT1_
                                        ; -- End function
	.set _ZN7rocprim17ROCPRIM_400000_NS6detail17trampoline_kernelINS0_14default_configENS1_27scan_by_key_config_selectorIiiEEZZNS1_16scan_by_key_implILNS1_25lookback_scan_determinismE0ELb1ES3_N6thrust23THRUST_200600_302600_NS6detail15normal_iteratorINS9_10device_ptrIiEEEESE_SE_iNS9_4plusIiEE19head_flag_predicateiEE10hipError_tPvRmT2_T3_T4_T5_mT6_T7_P12ihipStream_tbENKUlT_T0_E_clISt17integral_constantIbLb1EESX_IbLb0EEEEDaST_SU_EUlST_E_NS1_11comp_targetILNS1_3genE8ELNS1_11target_archE1030ELNS1_3gpuE2ELNS1_3repE0EEENS1_30default_config_static_selectorELNS0_4arch9wavefront6targetE0EEEvT1_.num_vgpr, 0
	.set _ZN7rocprim17ROCPRIM_400000_NS6detail17trampoline_kernelINS0_14default_configENS1_27scan_by_key_config_selectorIiiEEZZNS1_16scan_by_key_implILNS1_25lookback_scan_determinismE0ELb1ES3_N6thrust23THRUST_200600_302600_NS6detail15normal_iteratorINS9_10device_ptrIiEEEESE_SE_iNS9_4plusIiEE19head_flag_predicateiEE10hipError_tPvRmT2_T3_T4_T5_mT6_T7_P12ihipStream_tbENKUlT_T0_E_clISt17integral_constantIbLb1EESX_IbLb0EEEEDaST_SU_EUlST_E_NS1_11comp_targetILNS1_3genE8ELNS1_11target_archE1030ELNS1_3gpuE2ELNS1_3repE0EEENS1_30default_config_static_selectorELNS0_4arch9wavefront6targetE0EEEvT1_.num_agpr, 0
	.set _ZN7rocprim17ROCPRIM_400000_NS6detail17trampoline_kernelINS0_14default_configENS1_27scan_by_key_config_selectorIiiEEZZNS1_16scan_by_key_implILNS1_25lookback_scan_determinismE0ELb1ES3_N6thrust23THRUST_200600_302600_NS6detail15normal_iteratorINS9_10device_ptrIiEEEESE_SE_iNS9_4plusIiEE19head_flag_predicateiEE10hipError_tPvRmT2_T3_T4_T5_mT6_T7_P12ihipStream_tbENKUlT_T0_E_clISt17integral_constantIbLb1EESX_IbLb0EEEEDaST_SU_EUlST_E_NS1_11comp_targetILNS1_3genE8ELNS1_11target_archE1030ELNS1_3gpuE2ELNS1_3repE0EEENS1_30default_config_static_selectorELNS0_4arch9wavefront6targetE0EEEvT1_.numbered_sgpr, 0
	.set _ZN7rocprim17ROCPRIM_400000_NS6detail17trampoline_kernelINS0_14default_configENS1_27scan_by_key_config_selectorIiiEEZZNS1_16scan_by_key_implILNS1_25lookback_scan_determinismE0ELb1ES3_N6thrust23THRUST_200600_302600_NS6detail15normal_iteratorINS9_10device_ptrIiEEEESE_SE_iNS9_4plusIiEE19head_flag_predicateiEE10hipError_tPvRmT2_T3_T4_T5_mT6_T7_P12ihipStream_tbENKUlT_T0_E_clISt17integral_constantIbLb1EESX_IbLb0EEEEDaST_SU_EUlST_E_NS1_11comp_targetILNS1_3genE8ELNS1_11target_archE1030ELNS1_3gpuE2ELNS1_3repE0EEENS1_30default_config_static_selectorELNS0_4arch9wavefront6targetE0EEEvT1_.num_named_barrier, 0
	.set _ZN7rocprim17ROCPRIM_400000_NS6detail17trampoline_kernelINS0_14default_configENS1_27scan_by_key_config_selectorIiiEEZZNS1_16scan_by_key_implILNS1_25lookback_scan_determinismE0ELb1ES3_N6thrust23THRUST_200600_302600_NS6detail15normal_iteratorINS9_10device_ptrIiEEEESE_SE_iNS9_4plusIiEE19head_flag_predicateiEE10hipError_tPvRmT2_T3_T4_T5_mT6_T7_P12ihipStream_tbENKUlT_T0_E_clISt17integral_constantIbLb1EESX_IbLb0EEEEDaST_SU_EUlST_E_NS1_11comp_targetILNS1_3genE8ELNS1_11target_archE1030ELNS1_3gpuE2ELNS1_3repE0EEENS1_30default_config_static_selectorELNS0_4arch9wavefront6targetE0EEEvT1_.private_seg_size, 0
	.set _ZN7rocprim17ROCPRIM_400000_NS6detail17trampoline_kernelINS0_14default_configENS1_27scan_by_key_config_selectorIiiEEZZNS1_16scan_by_key_implILNS1_25lookback_scan_determinismE0ELb1ES3_N6thrust23THRUST_200600_302600_NS6detail15normal_iteratorINS9_10device_ptrIiEEEESE_SE_iNS9_4plusIiEE19head_flag_predicateiEE10hipError_tPvRmT2_T3_T4_T5_mT6_T7_P12ihipStream_tbENKUlT_T0_E_clISt17integral_constantIbLb1EESX_IbLb0EEEEDaST_SU_EUlST_E_NS1_11comp_targetILNS1_3genE8ELNS1_11target_archE1030ELNS1_3gpuE2ELNS1_3repE0EEENS1_30default_config_static_selectorELNS0_4arch9wavefront6targetE0EEEvT1_.uses_vcc, 0
	.set _ZN7rocprim17ROCPRIM_400000_NS6detail17trampoline_kernelINS0_14default_configENS1_27scan_by_key_config_selectorIiiEEZZNS1_16scan_by_key_implILNS1_25lookback_scan_determinismE0ELb1ES3_N6thrust23THRUST_200600_302600_NS6detail15normal_iteratorINS9_10device_ptrIiEEEESE_SE_iNS9_4plusIiEE19head_flag_predicateiEE10hipError_tPvRmT2_T3_T4_T5_mT6_T7_P12ihipStream_tbENKUlT_T0_E_clISt17integral_constantIbLb1EESX_IbLb0EEEEDaST_SU_EUlST_E_NS1_11comp_targetILNS1_3genE8ELNS1_11target_archE1030ELNS1_3gpuE2ELNS1_3repE0EEENS1_30default_config_static_selectorELNS0_4arch9wavefront6targetE0EEEvT1_.uses_flat_scratch, 0
	.set _ZN7rocprim17ROCPRIM_400000_NS6detail17trampoline_kernelINS0_14default_configENS1_27scan_by_key_config_selectorIiiEEZZNS1_16scan_by_key_implILNS1_25lookback_scan_determinismE0ELb1ES3_N6thrust23THRUST_200600_302600_NS6detail15normal_iteratorINS9_10device_ptrIiEEEESE_SE_iNS9_4plusIiEE19head_flag_predicateiEE10hipError_tPvRmT2_T3_T4_T5_mT6_T7_P12ihipStream_tbENKUlT_T0_E_clISt17integral_constantIbLb1EESX_IbLb0EEEEDaST_SU_EUlST_E_NS1_11comp_targetILNS1_3genE8ELNS1_11target_archE1030ELNS1_3gpuE2ELNS1_3repE0EEENS1_30default_config_static_selectorELNS0_4arch9wavefront6targetE0EEEvT1_.has_dyn_sized_stack, 0
	.set _ZN7rocprim17ROCPRIM_400000_NS6detail17trampoline_kernelINS0_14default_configENS1_27scan_by_key_config_selectorIiiEEZZNS1_16scan_by_key_implILNS1_25lookback_scan_determinismE0ELb1ES3_N6thrust23THRUST_200600_302600_NS6detail15normal_iteratorINS9_10device_ptrIiEEEESE_SE_iNS9_4plusIiEE19head_flag_predicateiEE10hipError_tPvRmT2_T3_T4_T5_mT6_T7_P12ihipStream_tbENKUlT_T0_E_clISt17integral_constantIbLb1EESX_IbLb0EEEEDaST_SU_EUlST_E_NS1_11comp_targetILNS1_3genE8ELNS1_11target_archE1030ELNS1_3gpuE2ELNS1_3repE0EEENS1_30default_config_static_selectorELNS0_4arch9wavefront6targetE0EEEvT1_.has_recursion, 0
	.set _ZN7rocprim17ROCPRIM_400000_NS6detail17trampoline_kernelINS0_14default_configENS1_27scan_by_key_config_selectorIiiEEZZNS1_16scan_by_key_implILNS1_25lookback_scan_determinismE0ELb1ES3_N6thrust23THRUST_200600_302600_NS6detail15normal_iteratorINS9_10device_ptrIiEEEESE_SE_iNS9_4plusIiEE19head_flag_predicateiEE10hipError_tPvRmT2_T3_T4_T5_mT6_T7_P12ihipStream_tbENKUlT_T0_E_clISt17integral_constantIbLb1EESX_IbLb0EEEEDaST_SU_EUlST_E_NS1_11comp_targetILNS1_3genE8ELNS1_11target_archE1030ELNS1_3gpuE2ELNS1_3repE0EEENS1_30default_config_static_selectorELNS0_4arch9wavefront6targetE0EEEvT1_.has_indirect_call, 0
	.section	.AMDGPU.csdata,"",@progbits
; Kernel info:
; codeLenInByte = 4
; TotalNumSgprs: 0
; NumVgprs: 0
; ScratchSize: 0
; MemoryBound: 0
; FloatMode: 240
; IeeeMode: 1
; LDSByteSize: 0 bytes/workgroup (compile time only)
; SGPRBlocks: 0
; VGPRBlocks: 0
; NumSGPRsForWavesPerEU: 1
; NumVGPRsForWavesPerEU: 1
; Occupancy: 16
; WaveLimiterHint : 0
; COMPUTE_PGM_RSRC2:SCRATCH_EN: 0
; COMPUTE_PGM_RSRC2:USER_SGPR: 6
; COMPUTE_PGM_RSRC2:TRAP_HANDLER: 0
; COMPUTE_PGM_RSRC2:TGID_X_EN: 1
; COMPUTE_PGM_RSRC2:TGID_Y_EN: 0
; COMPUTE_PGM_RSRC2:TGID_Z_EN: 0
; COMPUTE_PGM_RSRC2:TIDIG_COMP_CNT: 0
	.section	.text._ZN7rocprim17ROCPRIM_400000_NS6detail17trampoline_kernelINS0_14default_configENS1_27scan_by_key_config_selectorIiiEEZZNS1_16scan_by_key_implILNS1_25lookback_scan_determinismE0ELb1ES3_N6thrust23THRUST_200600_302600_NS6detail15normal_iteratorINS9_10device_ptrIiEEEESE_SE_iNS9_4plusIiEE19head_flag_predicateiEE10hipError_tPvRmT2_T3_T4_T5_mT6_T7_P12ihipStream_tbENKUlT_T0_E_clISt17integral_constantIbLb0EESX_IbLb1EEEEDaST_SU_EUlST_E_NS1_11comp_targetILNS1_3genE0ELNS1_11target_archE4294967295ELNS1_3gpuE0ELNS1_3repE0EEENS1_30default_config_static_selectorELNS0_4arch9wavefront6targetE0EEEvT1_,"axG",@progbits,_ZN7rocprim17ROCPRIM_400000_NS6detail17trampoline_kernelINS0_14default_configENS1_27scan_by_key_config_selectorIiiEEZZNS1_16scan_by_key_implILNS1_25lookback_scan_determinismE0ELb1ES3_N6thrust23THRUST_200600_302600_NS6detail15normal_iteratorINS9_10device_ptrIiEEEESE_SE_iNS9_4plusIiEE19head_flag_predicateiEE10hipError_tPvRmT2_T3_T4_T5_mT6_T7_P12ihipStream_tbENKUlT_T0_E_clISt17integral_constantIbLb0EESX_IbLb1EEEEDaST_SU_EUlST_E_NS1_11comp_targetILNS1_3genE0ELNS1_11target_archE4294967295ELNS1_3gpuE0ELNS1_3repE0EEENS1_30default_config_static_selectorELNS0_4arch9wavefront6targetE0EEEvT1_,comdat
	.protected	_ZN7rocprim17ROCPRIM_400000_NS6detail17trampoline_kernelINS0_14default_configENS1_27scan_by_key_config_selectorIiiEEZZNS1_16scan_by_key_implILNS1_25lookback_scan_determinismE0ELb1ES3_N6thrust23THRUST_200600_302600_NS6detail15normal_iteratorINS9_10device_ptrIiEEEESE_SE_iNS9_4plusIiEE19head_flag_predicateiEE10hipError_tPvRmT2_T3_T4_T5_mT6_T7_P12ihipStream_tbENKUlT_T0_E_clISt17integral_constantIbLb0EESX_IbLb1EEEEDaST_SU_EUlST_E_NS1_11comp_targetILNS1_3genE0ELNS1_11target_archE4294967295ELNS1_3gpuE0ELNS1_3repE0EEENS1_30default_config_static_selectorELNS0_4arch9wavefront6targetE0EEEvT1_ ; -- Begin function _ZN7rocprim17ROCPRIM_400000_NS6detail17trampoline_kernelINS0_14default_configENS1_27scan_by_key_config_selectorIiiEEZZNS1_16scan_by_key_implILNS1_25lookback_scan_determinismE0ELb1ES3_N6thrust23THRUST_200600_302600_NS6detail15normal_iteratorINS9_10device_ptrIiEEEESE_SE_iNS9_4plusIiEE19head_flag_predicateiEE10hipError_tPvRmT2_T3_T4_T5_mT6_T7_P12ihipStream_tbENKUlT_T0_E_clISt17integral_constantIbLb0EESX_IbLb1EEEEDaST_SU_EUlST_E_NS1_11comp_targetILNS1_3genE0ELNS1_11target_archE4294967295ELNS1_3gpuE0ELNS1_3repE0EEENS1_30default_config_static_selectorELNS0_4arch9wavefront6targetE0EEEvT1_
	.globl	_ZN7rocprim17ROCPRIM_400000_NS6detail17trampoline_kernelINS0_14default_configENS1_27scan_by_key_config_selectorIiiEEZZNS1_16scan_by_key_implILNS1_25lookback_scan_determinismE0ELb1ES3_N6thrust23THRUST_200600_302600_NS6detail15normal_iteratorINS9_10device_ptrIiEEEESE_SE_iNS9_4plusIiEE19head_flag_predicateiEE10hipError_tPvRmT2_T3_T4_T5_mT6_T7_P12ihipStream_tbENKUlT_T0_E_clISt17integral_constantIbLb0EESX_IbLb1EEEEDaST_SU_EUlST_E_NS1_11comp_targetILNS1_3genE0ELNS1_11target_archE4294967295ELNS1_3gpuE0ELNS1_3repE0EEENS1_30default_config_static_selectorELNS0_4arch9wavefront6targetE0EEEvT1_
	.p2align	8
	.type	_ZN7rocprim17ROCPRIM_400000_NS6detail17trampoline_kernelINS0_14default_configENS1_27scan_by_key_config_selectorIiiEEZZNS1_16scan_by_key_implILNS1_25lookback_scan_determinismE0ELb1ES3_N6thrust23THRUST_200600_302600_NS6detail15normal_iteratorINS9_10device_ptrIiEEEESE_SE_iNS9_4plusIiEE19head_flag_predicateiEE10hipError_tPvRmT2_T3_T4_T5_mT6_T7_P12ihipStream_tbENKUlT_T0_E_clISt17integral_constantIbLb0EESX_IbLb1EEEEDaST_SU_EUlST_E_NS1_11comp_targetILNS1_3genE0ELNS1_11target_archE4294967295ELNS1_3gpuE0ELNS1_3repE0EEENS1_30default_config_static_selectorELNS0_4arch9wavefront6targetE0EEEvT1_,@function
_ZN7rocprim17ROCPRIM_400000_NS6detail17trampoline_kernelINS0_14default_configENS1_27scan_by_key_config_selectorIiiEEZZNS1_16scan_by_key_implILNS1_25lookback_scan_determinismE0ELb1ES3_N6thrust23THRUST_200600_302600_NS6detail15normal_iteratorINS9_10device_ptrIiEEEESE_SE_iNS9_4plusIiEE19head_flag_predicateiEE10hipError_tPvRmT2_T3_T4_T5_mT6_T7_P12ihipStream_tbENKUlT_T0_E_clISt17integral_constantIbLb0EESX_IbLb1EEEEDaST_SU_EUlST_E_NS1_11comp_targetILNS1_3genE0ELNS1_11target_archE4294967295ELNS1_3gpuE0ELNS1_3repE0EEENS1_30default_config_static_selectorELNS0_4arch9wavefront6targetE0EEEvT1_: ; @_ZN7rocprim17ROCPRIM_400000_NS6detail17trampoline_kernelINS0_14default_configENS1_27scan_by_key_config_selectorIiiEEZZNS1_16scan_by_key_implILNS1_25lookback_scan_determinismE0ELb1ES3_N6thrust23THRUST_200600_302600_NS6detail15normal_iteratorINS9_10device_ptrIiEEEESE_SE_iNS9_4plusIiEE19head_flag_predicateiEE10hipError_tPvRmT2_T3_T4_T5_mT6_T7_P12ihipStream_tbENKUlT_T0_E_clISt17integral_constantIbLb0EESX_IbLb1EEEEDaST_SU_EUlST_E_NS1_11comp_targetILNS1_3genE0ELNS1_11target_archE4294967295ELNS1_3gpuE0ELNS1_3repE0EEENS1_30default_config_static_selectorELNS0_4arch9wavefront6targetE0EEEvT1_
; %bb.0:
	.section	.rodata,"a",@progbits
	.p2align	6, 0x0
	.amdhsa_kernel _ZN7rocprim17ROCPRIM_400000_NS6detail17trampoline_kernelINS0_14default_configENS1_27scan_by_key_config_selectorIiiEEZZNS1_16scan_by_key_implILNS1_25lookback_scan_determinismE0ELb1ES3_N6thrust23THRUST_200600_302600_NS6detail15normal_iteratorINS9_10device_ptrIiEEEESE_SE_iNS9_4plusIiEE19head_flag_predicateiEE10hipError_tPvRmT2_T3_T4_T5_mT6_T7_P12ihipStream_tbENKUlT_T0_E_clISt17integral_constantIbLb0EESX_IbLb1EEEEDaST_SU_EUlST_E_NS1_11comp_targetILNS1_3genE0ELNS1_11target_archE4294967295ELNS1_3gpuE0ELNS1_3repE0EEENS1_30default_config_static_selectorELNS0_4arch9wavefront6targetE0EEEvT1_
		.amdhsa_group_segment_fixed_size 0
		.amdhsa_private_segment_fixed_size 0
		.amdhsa_kernarg_size 112
		.amdhsa_user_sgpr_count 6
		.amdhsa_user_sgpr_private_segment_buffer 1
		.amdhsa_user_sgpr_dispatch_ptr 0
		.amdhsa_user_sgpr_queue_ptr 0
		.amdhsa_user_sgpr_kernarg_segment_ptr 1
		.amdhsa_user_sgpr_dispatch_id 0
		.amdhsa_user_sgpr_flat_scratch_init 0
		.amdhsa_user_sgpr_private_segment_size 0
		.amdhsa_wavefront_size32 1
		.amdhsa_uses_dynamic_stack 0
		.amdhsa_system_sgpr_private_segment_wavefront_offset 0
		.amdhsa_system_sgpr_workgroup_id_x 1
		.amdhsa_system_sgpr_workgroup_id_y 0
		.amdhsa_system_sgpr_workgroup_id_z 0
		.amdhsa_system_sgpr_workgroup_info 0
		.amdhsa_system_vgpr_workitem_id 0
		.amdhsa_next_free_vgpr 1
		.amdhsa_next_free_sgpr 1
		.amdhsa_reserve_vcc 0
		.amdhsa_reserve_flat_scratch 0
		.amdhsa_float_round_mode_32 0
		.amdhsa_float_round_mode_16_64 0
		.amdhsa_float_denorm_mode_32 3
		.amdhsa_float_denorm_mode_16_64 3
		.amdhsa_dx10_clamp 1
		.amdhsa_ieee_mode 1
		.amdhsa_fp16_overflow 0
		.amdhsa_workgroup_processor_mode 1
		.amdhsa_memory_ordered 1
		.amdhsa_forward_progress 1
		.amdhsa_shared_vgpr_count 0
		.amdhsa_exception_fp_ieee_invalid_op 0
		.amdhsa_exception_fp_denorm_src 0
		.amdhsa_exception_fp_ieee_div_zero 0
		.amdhsa_exception_fp_ieee_overflow 0
		.amdhsa_exception_fp_ieee_underflow 0
		.amdhsa_exception_fp_ieee_inexact 0
		.amdhsa_exception_int_div_zero 0
	.end_amdhsa_kernel
	.section	.text._ZN7rocprim17ROCPRIM_400000_NS6detail17trampoline_kernelINS0_14default_configENS1_27scan_by_key_config_selectorIiiEEZZNS1_16scan_by_key_implILNS1_25lookback_scan_determinismE0ELb1ES3_N6thrust23THRUST_200600_302600_NS6detail15normal_iteratorINS9_10device_ptrIiEEEESE_SE_iNS9_4plusIiEE19head_flag_predicateiEE10hipError_tPvRmT2_T3_T4_T5_mT6_T7_P12ihipStream_tbENKUlT_T0_E_clISt17integral_constantIbLb0EESX_IbLb1EEEEDaST_SU_EUlST_E_NS1_11comp_targetILNS1_3genE0ELNS1_11target_archE4294967295ELNS1_3gpuE0ELNS1_3repE0EEENS1_30default_config_static_selectorELNS0_4arch9wavefront6targetE0EEEvT1_,"axG",@progbits,_ZN7rocprim17ROCPRIM_400000_NS6detail17trampoline_kernelINS0_14default_configENS1_27scan_by_key_config_selectorIiiEEZZNS1_16scan_by_key_implILNS1_25lookback_scan_determinismE0ELb1ES3_N6thrust23THRUST_200600_302600_NS6detail15normal_iteratorINS9_10device_ptrIiEEEESE_SE_iNS9_4plusIiEE19head_flag_predicateiEE10hipError_tPvRmT2_T3_T4_T5_mT6_T7_P12ihipStream_tbENKUlT_T0_E_clISt17integral_constantIbLb0EESX_IbLb1EEEEDaST_SU_EUlST_E_NS1_11comp_targetILNS1_3genE0ELNS1_11target_archE4294967295ELNS1_3gpuE0ELNS1_3repE0EEENS1_30default_config_static_selectorELNS0_4arch9wavefront6targetE0EEEvT1_,comdat
.Lfunc_end812:
	.size	_ZN7rocprim17ROCPRIM_400000_NS6detail17trampoline_kernelINS0_14default_configENS1_27scan_by_key_config_selectorIiiEEZZNS1_16scan_by_key_implILNS1_25lookback_scan_determinismE0ELb1ES3_N6thrust23THRUST_200600_302600_NS6detail15normal_iteratorINS9_10device_ptrIiEEEESE_SE_iNS9_4plusIiEE19head_flag_predicateiEE10hipError_tPvRmT2_T3_T4_T5_mT6_T7_P12ihipStream_tbENKUlT_T0_E_clISt17integral_constantIbLb0EESX_IbLb1EEEEDaST_SU_EUlST_E_NS1_11comp_targetILNS1_3genE0ELNS1_11target_archE4294967295ELNS1_3gpuE0ELNS1_3repE0EEENS1_30default_config_static_selectorELNS0_4arch9wavefront6targetE0EEEvT1_, .Lfunc_end812-_ZN7rocprim17ROCPRIM_400000_NS6detail17trampoline_kernelINS0_14default_configENS1_27scan_by_key_config_selectorIiiEEZZNS1_16scan_by_key_implILNS1_25lookback_scan_determinismE0ELb1ES3_N6thrust23THRUST_200600_302600_NS6detail15normal_iteratorINS9_10device_ptrIiEEEESE_SE_iNS9_4plusIiEE19head_flag_predicateiEE10hipError_tPvRmT2_T3_T4_T5_mT6_T7_P12ihipStream_tbENKUlT_T0_E_clISt17integral_constantIbLb0EESX_IbLb1EEEEDaST_SU_EUlST_E_NS1_11comp_targetILNS1_3genE0ELNS1_11target_archE4294967295ELNS1_3gpuE0ELNS1_3repE0EEENS1_30default_config_static_selectorELNS0_4arch9wavefront6targetE0EEEvT1_
                                        ; -- End function
	.set _ZN7rocprim17ROCPRIM_400000_NS6detail17trampoline_kernelINS0_14default_configENS1_27scan_by_key_config_selectorIiiEEZZNS1_16scan_by_key_implILNS1_25lookback_scan_determinismE0ELb1ES3_N6thrust23THRUST_200600_302600_NS6detail15normal_iteratorINS9_10device_ptrIiEEEESE_SE_iNS9_4plusIiEE19head_flag_predicateiEE10hipError_tPvRmT2_T3_T4_T5_mT6_T7_P12ihipStream_tbENKUlT_T0_E_clISt17integral_constantIbLb0EESX_IbLb1EEEEDaST_SU_EUlST_E_NS1_11comp_targetILNS1_3genE0ELNS1_11target_archE4294967295ELNS1_3gpuE0ELNS1_3repE0EEENS1_30default_config_static_selectorELNS0_4arch9wavefront6targetE0EEEvT1_.num_vgpr, 0
	.set _ZN7rocprim17ROCPRIM_400000_NS6detail17trampoline_kernelINS0_14default_configENS1_27scan_by_key_config_selectorIiiEEZZNS1_16scan_by_key_implILNS1_25lookback_scan_determinismE0ELb1ES3_N6thrust23THRUST_200600_302600_NS6detail15normal_iteratorINS9_10device_ptrIiEEEESE_SE_iNS9_4plusIiEE19head_flag_predicateiEE10hipError_tPvRmT2_T3_T4_T5_mT6_T7_P12ihipStream_tbENKUlT_T0_E_clISt17integral_constantIbLb0EESX_IbLb1EEEEDaST_SU_EUlST_E_NS1_11comp_targetILNS1_3genE0ELNS1_11target_archE4294967295ELNS1_3gpuE0ELNS1_3repE0EEENS1_30default_config_static_selectorELNS0_4arch9wavefront6targetE0EEEvT1_.num_agpr, 0
	.set _ZN7rocprim17ROCPRIM_400000_NS6detail17trampoline_kernelINS0_14default_configENS1_27scan_by_key_config_selectorIiiEEZZNS1_16scan_by_key_implILNS1_25lookback_scan_determinismE0ELb1ES3_N6thrust23THRUST_200600_302600_NS6detail15normal_iteratorINS9_10device_ptrIiEEEESE_SE_iNS9_4plusIiEE19head_flag_predicateiEE10hipError_tPvRmT2_T3_T4_T5_mT6_T7_P12ihipStream_tbENKUlT_T0_E_clISt17integral_constantIbLb0EESX_IbLb1EEEEDaST_SU_EUlST_E_NS1_11comp_targetILNS1_3genE0ELNS1_11target_archE4294967295ELNS1_3gpuE0ELNS1_3repE0EEENS1_30default_config_static_selectorELNS0_4arch9wavefront6targetE0EEEvT1_.numbered_sgpr, 0
	.set _ZN7rocprim17ROCPRIM_400000_NS6detail17trampoline_kernelINS0_14default_configENS1_27scan_by_key_config_selectorIiiEEZZNS1_16scan_by_key_implILNS1_25lookback_scan_determinismE0ELb1ES3_N6thrust23THRUST_200600_302600_NS6detail15normal_iteratorINS9_10device_ptrIiEEEESE_SE_iNS9_4plusIiEE19head_flag_predicateiEE10hipError_tPvRmT2_T3_T4_T5_mT6_T7_P12ihipStream_tbENKUlT_T0_E_clISt17integral_constantIbLb0EESX_IbLb1EEEEDaST_SU_EUlST_E_NS1_11comp_targetILNS1_3genE0ELNS1_11target_archE4294967295ELNS1_3gpuE0ELNS1_3repE0EEENS1_30default_config_static_selectorELNS0_4arch9wavefront6targetE0EEEvT1_.num_named_barrier, 0
	.set _ZN7rocprim17ROCPRIM_400000_NS6detail17trampoline_kernelINS0_14default_configENS1_27scan_by_key_config_selectorIiiEEZZNS1_16scan_by_key_implILNS1_25lookback_scan_determinismE0ELb1ES3_N6thrust23THRUST_200600_302600_NS6detail15normal_iteratorINS9_10device_ptrIiEEEESE_SE_iNS9_4plusIiEE19head_flag_predicateiEE10hipError_tPvRmT2_T3_T4_T5_mT6_T7_P12ihipStream_tbENKUlT_T0_E_clISt17integral_constantIbLb0EESX_IbLb1EEEEDaST_SU_EUlST_E_NS1_11comp_targetILNS1_3genE0ELNS1_11target_archE4294967295ELNS1_3gpuE0ELNS1_3repE0EEENS1_30default_config_static_selectorELNS0_4arch9wavefront6targetE0EEEvT1_.private_seg_size, 0
	.set _ZN7rocprim17ROCPRIM_400000_NS6detail17trampoline_kernelINS0_14default_configENS1_27scan_by_key_config_selectorIiiEEZZNS1_16scan_by_key_implILNS1_25lookback_scan_determinismE0ELb1ES3_N6thrust23THRUST_200600_302600_NS6detail15normal_iteratorINS9_10device_ptrIiEEEESE_SE_iNS9_4plusIiEE19head_flag_predicateiEE10hipError_tPvRmT2_T3_T4_T5_mT6_T7_P12ihipStream_tbENKUlT_T0_E_clISt17integral_constantIbLb0EESX_IbLb1EEEEDaST_SU_EUlST_E_NS1_11comp_targetILNS1_3genE0ELNS1_11target_archE4294967295ELNS1_3gpuE0ELNS1_3repE0EEENS1_30default_config_static_selectorELNS0_4arch9wavefront6targetE0EEEvT1_.uses_vcc, 0
	.set _ZN7rocprim17ROCPRIM_400000_NS6detail17trampoline_kernelINS0_14default_configENS1_27scan_by_key_config_selectorIiiEEZZNS1_16scan_by_key_implILNS1_25lookback_scan_determinismE0ELb1ES3_N6thrust23THRUST_200600_302600_NS6detail15normal_iteratorINS9_10device_ptrIiEEEESE_SE_iNS9_4plusIiEE19head_flag_predicateiEE10hipError_tPvRmT2_T3_T4_T5_mT6_T7_P12ihipStream_tbENKUlT_T0_E_clISt17integral_constantIbLb0EESX_IbLb1EEEEDaST_SU_EUlST_E_NS1_11comp_targetILNS1_3genE0ELNS1_11target_archE4294967295ELNS1_3gpuE0ELNS1_3repE0EEENS1_30default_config_static_selectorELNS0_4arch9wavefront6targetE0EEEvT1_.uses_flat_scratch, 0
	.set _ZN7rocprim17ROCPRIM_400000_NS6detail17trampoline_kernelINS0_14default_configENS1_27scan_by_key_config_selectorIiiEEZZNS1_16scan_by_key_implILNS1_25lookback_scan_determinismE0ELb1ES3_N6thrust23THRUST_200600_302600_NS6detail15normal_iteratorINS9_10device_ptrIiEEEESE_SE_iNS9_4plusIiEE19head_flag_predicateiEE10hipError_tPvRmT2_T3_T4_T5_mT6_T7_P12ihipStream_tbENKUlT_T0_E_clISt17integral_constantIbLb0EESX_IbLb1EEEEDaST_SU_EUlST_E_NS1_11comp_targetILNS1_3genE0ELNS1_11target_archE4294967295ELNS1_3gpuE0ELNS1_3repE0EEENS1_30default_config_static_selectorELNS0_4arch9wavefront6targetE0EEEvT1_.has_dyn_sized_stack, 0
	.set _ZN7rocprim17ROCPRIM_400000_NS6detail17trampoline_kernelINS0_14default_configENS1_27scan_by_key_config_selectorIiiEEZZNS1_16scan_by_key_implILNS1_25lookback_scan_determinismE0ELb1ES3_N6thrust23THRUST_200600_302600_NS6detail15normal_iteratorINS9_10device_ptrIiEEEESE_SE_iNS9_4plusIiEE19head_flag_predicateiEE10hipError_tPvRmT2_T3_T4_T5_mT6_T7_P12ihipStream_tbENKUlT_T0_E_clISt17integral_constantIbLb0EESX_IbLb1EEEEDaST_SU_EUlST_E_NS1_11comp_targetILNS1_3genE0ELNS1_11target_archE4294967295ELNS1_3gpuE0ELNS1_3repE0EEENS1_30default_config_static_selectorELNS0_4arch9wavefront6targetE0EEEvT1_.has_recursion, 0
	.set _ZN7rocprim17ROCPRIM_400000_NS6detail17trampoline_kernelINS0_14default_configENS1_27scan_by_key_config_selectorIiiEEZZNS1_16scan_by_key_implILNS1_25lookback_scan_determinismE0ELb1ES3_N6thrust23THRUST_200600_302600_NS6detail15normal_iteratorINS9_10device_ptrIiEEEESE_SE_iNS9_4plusIiEE19head_flag_predicateiEE10hipError_tPvRmT2_T3_T4_T5_mT6_T7_P12ihipStream_tbENKUlT_T0_E_clISt17integral_constantIbLb0EESX_IbLb1EEEEDaST_SU_EUlST_E_NS1_11comp_targetILNS1_3genE0ELNS1_11target_archE4294967295ELNS1_3gpuE0ELNS1_3repE0EEENS1_30default_config_static_selectorELNS0_4arch9wavefront6targetE0EEEvT1_.has_indirect_call, 0
	.section	.AMDGPU.csdata,"",@progbits
; Kernel info:
; codeLenInByte = 0
; TotalNumSgprs: 0
; NumVgprs: 0
; ScratchSize: 0
; MemoryBound: 0
; FloatMode: 240
; IeeeMode: 1
; LDSByteSize: 0 bytes/workgroup (compile time only)
; SGPRBlocks: 0
; VGPRBlocks: 0
; NumSGPRsForWavesPerEU: 1
; NumVGPRsForWavesPerEU: 1
; Occupancy: 16
; WaveLimiterHint : 0
; COMPUTE_PGM_RSRC2:SCRATCH_EN: 0
; COMPUTE_PGM_RSRC2:USER_SGPR: 6
; COMPUTE_PGM_RSRC2:TRAP_HANDLER: 0
; COMPUTE_PGM_RSRC2:TGID_X_EN: 1
; COMPUTE_PGM_RSRC2:TGID_Y_EN: 0
; COMPUTE_PGM_RSRC2:TGID_Z_EN: 0
; COMPUTE_PGM_RSRC2:TIDIG_COMP_CNT: 0
	.section	.text._ZN7rocprim17ROCPRIM_400000_NS6detail17trampoline_kernelINS0_14default_configENS1_27scan_by_key_config_selectorIiiEEZZNS1_16scan_by_key_implILNS1_25lookback_scan_determinismE0ELb1ES3_N6thrust23THRUST_200600_302600_NS6detail15normal_iteratorINS9_10device_ptrIiEEEESE_SE_iNS9_4plusIiEE19head_flag_predicateiEE10hipError_tPvRmT2_T3_T4_T5_mT6_T7_P12ihipStream_tbENKUlT_T0_E_clISt17integral_constantIbLb0EESX_IbLb1EEEEDaST_SU_EUlST_E_NS1_11comp_targetILNS1_3genE10ELNS1_11target_archE1201ELNS1_3gpuE5ELNS1_3repE0EEENS1_30default_config_static_selectorELNS0_4arch9wavefront6targetE0EEEvT1_,"axG",@progbits,_ZN7rocprim17ROCPRIM_400000_NS6detail17trampoline_kernelINS0_14default_configENS1_27scan_by_key_config_selectorIiiEEZZNS1_16scan_by_key_implILNS1_25lookback_scan_determinismE0ELb1ES3_N6thrust23THRUST_200600_302600_NS6detail15normal_iteratorINS9_10device_ptrIiEEEESE_SE_iNS9_4plusIiEE19head_flag_predicateiEE10hipError_tPvRmT2_T3_T4_T5_mT6_T7_P12ihipStream_tbENKUlT_T0_E_clISt17integral_constantIbLb0EESX_IbLb1EEEEDaST_SU_EUlST_E_NS1_11comp_targetILNS1_3genE10ELNS1_11target_archE1201ELNS1_3gpuE5ELNS1_3repE0EEENS1_30default_config_static_selectorELNS0_4arch9wavefront6targetE0EEEvT1_,comdat
	.protected	_ZN7rocprim17ROCPRIM_400000_NS6detail17trampoline_kernelINS0_14default_configENS1_27scan_by_key_config_selectorIiiEEZZNS1_16scan_by_key_implILNS1_25lookback_scan_determinismE0ELb1ES3_N6thrust23THRUST_200600_302600_NS6detail15normal_iteratorINS9_10device_ptrIiEEEESE_SE_iNS9_4plusIiEE19head_flag_predicateiEE10hipError_tPvRmT2_T3_T4_T5_mT6_T7_P12ihipStream_tbENKUlT_T0_E_clISt17integral_constantIbLb0EESX_IbLb1EEEEDaST_SU_EUlST_E_NS1_11comp_targetILNS1_3genE10ELNS1_11target_archE1201ELNS1_3gpuE5ELNS1_3repE0EEENS1_30default_config_static_selectorELNS0_4arch9wavefront6targetE0EEEvT1_ ; -- Begin function _ZN7rocprim17ROCPRIM_400000_NS6detail17trampoline_kernelINS0_14default_configENS1_27scan_by_key_config_selectorIiiEEZZNS1_16scan_by_key_implILNS1_25lookback_scan_determinismE0ELb1ES3_N6thrust23THRUST_200600_302600_NS6detail15normal_iteratorINS9_10device_ptrIiEEEESE_SE_iNS9_4plusIiEE19head_flag_predicateiEE10hipError_tPvRmT2_T3_T4_T5_mT6_T7_P12ihipStream_tbENKUlT_T0_E_clISt17integral_constantIbLb0EESX_IbLb1EEEEDaST_SU_EUlST_E_NS1_11comp_targetILNS1_3genE10ELNS1_11target_archE1201ELNS1_3gpuE5ELNS1_3repE0EEENS1_30default_config_static_selectorELNS0_4arch9wavefront6targetE0EEEvT1_
	.globl	_ZN7rocprim17ROCPRIM_400000_NS6detail17trampoline_kernelINS0_14default_configENS1_27scan_by_key_config_selectorIiiEEZZNS1_16scan_by_key_implILNS1_25lookback_scan_determinismE0ELb1ES3_N6thrust23THRUST_200600_302600_NS6detail15normal_iteratorINS9_10device_ptrIiEEEESE_SE_iNS9_4plusIiEE19head_flag_predicateiEE10hipError_tPvRmT2_T3_T4_T5_mT6_T7_P12ihipStream_tbENKUlT_T0_E_clISt17integral_constantIbLb0EESX_IbLb1EEEEDaST_SU_EUlST_E_NS1_11comp_targetILNS1_3genE10ELNS1_11target_archE1201ELNS1_3gpuE5ELNS1_3repE0EEENS1_30default_config_static_selectorELNS0_4arch9wavefront6targetE0EEEvT1_
	.p2align	8
	.type	_ZN7rocprim17ROCPRIM_400000_NS6detail17trampoline_kernelINS0_14default_configENS1_27scan_by_key_config_selectorIiiEEZZNS1_16scan_by_key_implILNS1_25lookback_scan_determinismE0ELb1ES3_N6thrust23THRUST_200600_302600_NS6detail15normal_iteratorINS9_10device_ptrIiEEEESE_SE_iNS9_4plusIiEE19head_flag_predicateiEE10hipError_tPvRmT2_T3_T4_T5_mT6_T7_P12ihipStream_tbENKUlT_T0_E_clISt17integral_constantIbLb0EESX_IbLb1EEEEDaST_SU_EUlST_E_NS1_11comp_targetILNS1_3genE10ELNS1_11target_archE1201ELNS1_3gpuE5ELNS1_3repE0EEENS1_30default_config_static_selectorELNS0_4arch9wavefront6targetE0EEEvT1_,@function
_ZN7rocprim17ROCPRIM_400000_NS6detail17trampoline_kernelINS0_14default_configENS1_27scan_by_key_config_selectorIiiEEZZNS1_16scan_by_key_implILNS1_25lookback_scan_determinismE0ELb1ES3_N6thrust23THRUST_200600_302600_NS6detail15normal_iteratorINS9_10device_ptrIiEEEESE_SE_iNS9_4plusIiEE19head_flag_predicateiEE10hipError_tPvRmT2_T3_T4_T5_mT6_T7_P12ihipStream_tbENKUlT_T0_E_clISt17integral_constantIbLb0EESX_IbLb1EEEEDaST_SU_EUlST_E_NS1_11comp_targetILNS1_3genE10ELNS1_11target_archE1201ELNS1_3gpuE5ELNS1_3repE0EEENS1_30default_config_static_selectorELNS0_4arch9wavefront6targetE0EEEvT1_: ; @_ZN7rocprim17ROCPRIM_400000_NS6detail17trampoline_kernelINS0_14default_configENS1_27scan_by_key_config_selectorIiiEEZZNS1_16scan_by_key_implILNS1_25lookback_scan_determinismE0ELb1ES3_N6thrust23THRUST_200600_302600_NS6detail15normal_iteratorINS9_10device_ptrIiEEEESE_SE_iNS9_4plusIiEE19head_flag_predicateiEE10hipError_tPvRmT2_T3_T4_T5_mT6_T7_P12ihipStream_tbENKUlT_T0_E_clISt17integral_constantIbLb0EESX_IbLb1EEEEDaST_SU_EUlST_E_NS1_11comp_targetILNS1_3genE10ELNS1_11target_archE1201ELNS1_3gpuE5ELNS1_3repE0EEENS1_30default_config_static_selectorELNS0_4arch9wavefront6targetE0EEEvT1_
; %bb.0:
	.section	.rodata,"a",@progbits
	.p2align	6, 0x0
	.amdhsa_kernel _ZN7rocprim17ROCPRIM_400000_NS6detail17trampoline_kernelINS0_14default_configENS1_27scan_by_key_config_selectorIiiEEZZNS1_16scan_by_key_implILNS1_25lookback_scan_determinismE0ELb1ES3_N6thrust23THRUST_200600_302600_NS6detail15normal_iteratorINS9_10device_ptrIiEEEESE_SE_iNS9_4plusIiEE19head_flag_predicateiEE10hipError_tPvRmT2_T3_T4_T5_mT6_T7_P12ihipStream_tbENKUlT_T0_E_clISt17integral_constantIbLb0EESX_IbLb1EEEEDaST_SU_EUlST_E_NS1_11comp_targetILNS1_3genE10ELNS1_11target_archE1201ELNS1_3gpuE5ELNS1_3repE0EEENS1_30default_config_static_selectorELNS0_4arch9wavefront6targetE0EEEvT1_
		.amdhsa_group_segment_fixed_size 0
		.amdhsa_private_segment_fixed_size 0
		.amdhsa_kernarg_size 112
		.amdhsa_user_sgpr_count 6
		.amdhsa_user_sgpr_private_segment_buffer 1
		.amdhsa_user_sgpr_dispatch_ptr 0
		.amdhsa_user_sgpr_queue_ptr 0
		.amdhsa_user_sgpr_kernarg_segment_ptr 1
		.amdhsa_user_sgpr_dispatch_id 0
		.amdhsa_user_sgpr_flat_scratch_init 0
		.amdhsa_user_sgpr_private_segment_size 0
		.amdhsa_wavefront_size32 1
		.amdhsa_uses_dynamic_stack 0
		.amdhsa_system_sgpr_private_segment_wavefront_offset 0
		.amdhsa_system_sgpr_workgroup_id_x 1
		.amdhsa_system_sgpr_workgroup_id_y 0
		.amdhsa_system_sgpr_workgroup_id_z 0
		.amdhsa_system_sgpr_workgroup_info 0
		.amdhsa_system_vgpr_workitem_id 0
		.amdhsa_next_free_vgpr 1
		.amdhsa_next_free_sgpr 1
		.amdhsa_reserve_vcc 0
		.amdhsa_reserve_flat_scratch 0
		.amdhsa_float_round_mode_32 0
		.amdhsa_float_round_mode_16_64 0
		.amdhsa_float_denorm_mode_32 3
		.amdhsa_float_denorm_mode_16_64 3
		.amdhsa_dx10_clamp 1
		.amdhsa_ieee_mode 1
		.amdhsa_fp16_overflow 0
		.amdhsa_workgroup_processor_mode 1
		.amdhsa_memory_ordered 1
		.amdhsa_forward_progress 1
		.amdhsa_shared_vgpr_count 0
		.amdhsa_exception_fp_ieee_invalid_op 0
		.amdhsa_exception_fp_denorm_src 0
		.amdhsa_exception_fp_ieee_div_zero 0
		.amdhsa_exception_fp_ieee_overflow 0
		.amdhsa_exception_fp_ieee_underflow 0
		.amdhsa_exception_fp_ieee_inexact 0
		.amdhsa_exception_int_div_zero 0
	.end_amdhsa_kernel
	.section	.text._ZN7rocprim17ROCPRIM_400000_NS6detail17trampoline_kernelINS0_14default_configENS1_27scan_by_key_config_selectorIiiEEZZNS1_16scan_by_key_implILNS1_25lookback_scan_determinismE0ELb1ES3_N6thrust23THRUST_200600_302600_NS6detail15normal_iteratorINS9_10device_ptrIiEEEESE_SE_iNS9_4plusIiEE19head_flag_predicateiEE10hipError_tPvRmT2_T3_T4_T5_mT6_T7_P12ihipStream_tbENKUlT_T0_E_clISt17integral_constantIbLb0EESX_IbLb1EEEEDaST_SU_EUlST_E_NS1_11comp_targetILNS1_3genE10ELNS1_11target_archE1201ELNS1_3gpuE5ELNS1_3repE0EEENS1_30default_config_static_selectorELNS0_4arch9wavefront6targetE0EEEvT1_,"axG",@progbits,_ZN7rocprim17ROCPRIM_400000_NS6detail17trampoline_kernelINS0_14default_configENS1_27scan_by_key_config_selectorIiiEEZZNS1_16scan_by_key_implILNS1_25lookback_scan_determinismE0ELb1ES3_N6thrust23THRUST_200600_302600_NS6detail15normal_iteratorINS9_10device_ptrIiEEEESE_SE_iNS9_4plusIiEE19head_flag_predicateiEE10hipError_tPvRmT2_T3_T4_T5_mT6_T7_P12ihipStream_tbENKUlT_T0_E_clISt17integral_constantIbLb0EESX_IbLb1EEEEDaST_SU_EUlST_E_NS1_11comp_targetILNS1_3genE10ELNS1_11target_archE1201ELNS1_3gpuE5ELNS1_3repE0EEENS1_30default_config_static_selectorELNS0_4arch9wavefront6targetE0EEEvT1_,comdat
.Lfunc_end813:
	.size	_ZN7rocprim17ROCPRIM_400000_NS6detail17trampoline_kernelINS0_14default_configENS1_27scan_by_key_config_selectorIiiEEZZNS1_16scan_by_key_implILNS1_25lookback_scan_determinismE0ELb1ES3_N6thrust23THRUST_200600_302600_NS6detail15normal_iteratorINS9_10device_ptrIiEEEESE_SE_iNS9_4plusIiEE19head_flag_predicateiEE10hipError_tPvRmT2_T3_T4_T5_mT6_T7_P12ihipStream_tbENKUlT_T0_E_clISt17integral_constantIbLb0EESX_IbLb1EEEEDaST_SU_EUlST_E_NS1_11comp_targetILNS1_3genE10ELNS1_11target_archE1201ELNS1_3gpuE5ELNS1_3repE0EEENS1_30default_config_static_selectorELNS0_4arch9wavefront6targetE0EEEvT1_, .Lfunc_end813-_ZN7rocprim17ROCPRIM_400000_NS6detail17trampoline_kernelINS0_14default_configENS1_27scan_by_key_config_selectorIiiEEZZNS1_16scan_by_key_implILNS1_25lookback_scan_determinismE0ELb1ES3_N6thrust23THRUST_200600_302600_NS6detail15normal_iteratorINS9_10device_ptrIiEEEESE_SE_iNS9_4plusIiEE19head_flag_predicateiEE10hipError_tPvRmT2_T3_T4_T5_mT6_T7_P12ihipStream_tbENKUlT_T0_E_clISt17integral_constantIbLb0EESX_IbLb1EEEEDaST_SU_EUlST_E_NS1_11comp_targetILNS1_3genE10ELNS1_11target_archE1201ELNS1_3gpuE5ELNS1_3repE0EEENS1_30default_config_static_selectorELNS0_4arch9wavefront6targetE0EEEvT1_
                                        ; -- End function
	.set _ZN7rocprim17ROCPRIM_400000_NS6detail17trampoline_kernelINS0_14default_configENS1_27scan_by_key_config_selectorIiiEEZZNS1_16scan_by_key_implILNS1_25lookback_scan_determinismE0ELb1ES3_N6thrust23THRUST_200600_302600_NS6detail15normal_iteratorINS9_10device_ptrIiEEEESE_SE_iNS9_4plusIiEE19head_flag_predicateiEE10hipError_tPvRmT2_T3_T4_T5_mT6_T7_P12ihipStream_tbENKUlT_T0_E_clISt17integral_constantIbLb0EESX_IbLb1EEEEDaST_SU_EUlST_E_NS1_11comp_targetILNS1_3genE10ELNS1_11target_archE1201ELNS1_3gpuE5ELNS1_3repE0EEENS1_30default_config_static_selectorELNS0_4arch9wavefront6targetE0EEEvT1_.num_vgpr, 0
	.set _ZN7rocprim17ROCPRIM_400000_NS6detail17trampoline_kernelINS0_14default_configENS1_27scan_by_key_config_selectorIiiEEZZNS1_16scan_by_key_implILNS1_25lookback_scan_determinismE0ELb1ES3_N6thrust23THRUST_200600_302600_NS6detail15normal_iteratorINS9_10device_ptrIiEEEESE_SE_iNS9_4plusIiEE19head_flag_predicateiEE10hipError_tPvRmT2_T3_T4_T5_mT6_T7_P12ihipStream_tbENKUlT_T0_E_clISt17integral_constantIbLb0EESX_IbLb1EEEEDaST_SU_EUlST_E_NS1_11comp_targetILNS1_3genE10ELNS1_11target_archE1201ELNS1_3gpuE5ELNS1_3repE0EEENS1_30default_config_static_selectorELNS0_4arch9wavefront6targetE0EEEvT1_.num_agpr, 0
	.set _ZN7rocprim17ROCPRIM_400000_NS6detail17trampoline_kernelINS0_14default_configENS1_27scan_by_key_config_selectorIiiEEZZNS1_16scan_by_key_implILNS1_25lookback_scan_determinismE0ELb1ES3_N6thrust23THRUST_200600_302600_NS6detail15normal_iteratorINS9_10device_ptrIiEEEESE_SE_iNS9_4plusIiEE19head_flag_predicateiEE10hipError_tPvRmT2_T3_T4_T5_mT6_T7_P12ihipStream_tbENKUlT_T0_E_clISt17integral_constantIbLb0EESX_IbLb1EEEEDaST_SU_EUlST_E_NS1_11comp_targetILNS1_3genE10ELNS1_11target_archE1201ELNS1_3gpuE5ELNS1_3repE0EEENS1_30default_config_static_selectorELNS0_4arch9wavefront6targetE0EEEvT1_.numbered_sgpr, 0
	.set _ZN7rocprim17ROCPRIM_400000_NS6detail17trampoline_kernelINS0_14default_configENS1_27scan_by_key_config_selectorIiiEEZZNS1_16scan_by_key_implILNS1_25lookback_scan_determinismE0ELb1ES3_N6thrust23THRUST_200600_302600_NS6detail15normal_iteratorINS9_10device_ptrIiEEEESE_SE_iNS9_4plusIiEE19head_flag_predicateiEE10hipError_tPvRmT2_T3_T4_T5_mT6_T7_P12ihipStream_tbENKUlT_T0_E_clISt17integral_constantIbLb0EESX_IbLb1EEEEDaST_SU_EUlST_E_NS1_11comp_targetILNS1_3genE10ELNS1_11target_archE1201ELNS1_3gpuE5ELNS1_3repE0EEENS1_30default_config_static_selectorELNS0_4arch9wavefront6targetE0EEEvT1_.num_named_barrier, 0
	.set _ZN7rocprim17ROCPRIM_400000_NS6detail17trampoline_kernelINS0_14default_configENS1_27scan_by_key_config_selectorIiiEEZZNS1_16scan_by_key_implILNS1_25lookback_scan_determinismE0ELb1ES3_N6thrust23THRUST_200600_302600_NS6detail15normal_iteratorINS9_10device_ptrIiEEEESE_SE_iNS9_4plusIiEE19head_flag_predicateiEE10hipError_tPvRmT2_T3_T4_T5_mT6_T7_P12ihipStream_tbENKUlT_T0_E_clISt17integral_constantIbLb0EESX_IbLb1EEEEDaST_SU_EUlST_E_NS1_11comp_targetILNS1_3genE10ELNS1_11target_archE1201ELNS1_3gpuE5ELNS1_3repE0EEENS1_30default_config_static_selectorELNS0_4arch9wavefront6targetE0EEEvT1_.private_seg_size, 0
	.set _ZN7rocprim17ROCPRIM_400000_NS6detail17trampoline_kernelINS0_14default_configENS1_27scan_by_key_config_selectorIiiEEZZNS1_16scan_by_key_implILNS1_25lookback_scan_determinismE0ELb1ES3_N6thrust23THRUST_200600_302600_NS6detail15normal_iteratorINS9_10device_ptrIiEEEESE_SE_iNS9_4plusIiEE19head_flag_predicateiEE10hipError_tPvRmT2_T3_T4_T5_mT6_T7_P12ihipStream_tbENKUlT_T0_E_clISt17integral_constantIbLb0EESX_IbLb1EEEEDaST_SU_EUlST_E_NS1_11comp_targetILNS1_3genE10ELNS1_11target_archE1201ELNS1_3gpuE5ELNS1_3repE0EEENS1_30default_config_static_selectorELNS0_4arch9wavefront6targetE0EEEvT1_.uses_vcc, 0
	.set _ZN7rocprim17ROCPRIM_400000_NS6detail17trampoline_kernelINS0_14default_configENS1_27scan_by_key_config_selectorIiiEEZZNS1_16scan_by_key_implILNS1_25lookback_scan_determinismE0ELb1ES3_N6thrust23THRUST_200600_302600_NS6detail15normal_iteratorINS9_10device_ptrIiEEEESE_SE_iNS9_4plusIiEE19head_flag_predicateiEE10hipError_tPvRmT2_T3_T4_T5_mT6_T7_P12ihipStream_tbENKUlT_T0_E_clISt17integral_constantIbLb0EESX_IbLb1EEEEDaST_SU_EUlST_E_NS1_11comp_targetILNS1_3genE10ELNS1_11target_archE1201ELNS1_3gpuE5ELNS1_3repE0EEENS1_30default_config_static_selectorELNS0_4arch9wavefront6targetE0EEEvT1_.uses_flat_scratch, 0
	.set _ZN7rocprim17ROCPRIM_400000_NS6detail17trampoline_kernelINS0_14default_configENS1_27scan_by_key_config_selectorIiiEEZZNS1_16scan_by_key_implILNS1_25lookback_scan_determinismE0ELb1ES3_N6thrust23THRUST_200600_302600_NS6detail15normal_iteratorINS9_10device_ptrIiEEEESE_SE_iNS9_4plusIiEE19head_flag_predicateiEE10hipError_tPvRmT2_T3_T4_T5_mT6_T7_P12ihipStream_tbENKUlT_T0_E_clISt17integral_constantIbLb0EESX_IbLb1EEEEDaST_SU_EUlST_E_NS1_11comp_targetILNS1_3genE10ELNS1_11target_archE1201ELNS1_3gpuE5ELNS1_3repE0EEENS1_30default_config_static_selectorELNS0_4arch9wavefront6targetE0EEEvT1_.has_dyn_sized_stack, 0
	.set _ZN7rocprim17ROCPRIM_400000_NS6detail17trampoline_kernelINS0_14default_configENS1_27scan_by_key_config_selectorIiiEEZZNS1_16scan_by_key_implILNS1_25lookback_scan_determinismE0ELb1ES3_N6thrust23THRUST_200600_302600_NS6detail15normal_iteratorINS9_10device_ptrIiEEEESE_SE_iNS9_4plusIiEE19head_flag_predicateiEE10hipError_tPvRmT2_T3_T4_T5_mT6_T7_P12ihipStream_tbENKUlT_T0_E_clISt17integral_constantIbLb0EESX_IbLb1EEEEDaST_SU_EUlST_E_NS1_11comp_targetILNS1_3genE10ELNS1_11target_archE1201ELNS1_3gpuE5ELNS1_3repE0EEENS1_30default_config_static_selectorELNS0_4arch9wavefront6targetE0EEEvT1_.has_recursion, 0
	.set _ZN7rocprim17ROCPRIM_400000_NS6detail17trampoline_kernelINS0_14default_configENS1_27scan_by_key_config_selectorIiiEEZZNS1_16scan_by_key_implILNS1_25lookback_scan_determinismE0ELb1ES3_N6thrust23THRUST_200600_302600_NS6detail15normal_iteratorINS9_10device_ptrIiEEEESE_SE_iNS9_4plusIiEE19head_flag_predicateiEE10hipError_tPvRmT2_T3_T4_T5_mT6_T7_P12ihipStream_tbENKUlT_T0_E_clISt17integral_constantIbLb0EESX_IbLb1EEEEDaST_SU_EUlST_E_NS1_11comp_targetILNS1_3genE10ELNS1_11target_archE1201ELNS1_3gpuE5ELNS1_3repE0EEENS1_30default_config_static_selectorELNS0_4arch9wavefront6targetE0EEEvT1_.has_indirect_call, 0
	.section	.AMDGPU.csdata,"",@progbits
; Kernel info:
; codeLenInByte = 0
; TotalNumSgprs: 0
; NumVgprs: 0
; ScratchSize: 0
; MemoryBound: 0
; FloatMode: 240
; IeeeMode: 1
; LDSByteSize: 0 bytes/workgroup (compile time only)
; SGPRBlocks: 0
; VGPRBlocks: 0
; NumSGPRsForWavesPerEU: 1
; NumVGPRsForWavesPerEU: 1
; Occupancy: 16
; WaveLimiterHint : 0
; COMPUTE_PGM_RSRC2:SCRATCH_EN: 0
; COMPUTE_PGM_RSRC2:USER_SGPR: 6
; COMPUTE_PGM_RSRC2:TRAP_HANDLER: 0
; COMPUTE_PGM_RSRC2:TGID_X_EN: 1
; COMPUTE_PGM_RSRC2:TGID_Y_EN: 0
; COMPUTE_PGM_RSRC2:TGID_Z_EN: 0
; COMPUTE_PGM_RSRC2:TIDIG_COMP_CNT: 0
	.section	.text._ZN7rocprim17ROCPRIM_400000_NS6detail17trampoline_kernelINS0_14default_configENS1_27scan_by_key_config_selectorIiiEEZZNS1_16scan_by_key_implILNS1_25lookback_scan_determinismE0ELb1ES3_N6thrust23THRUST_200600_302600_NS6detail15normal_iteratorINS9_10device_ptrIiEEEESE_SE_iNS9_4plusIiEE19head_flag_predicateiEE10hipError_tPvRmT2_T3_T4_T5_mT6_T7_P12ihipStream_tbENKUlT_T0_E_clISt17integral_constantIbLb0EESX_IbLb1EEEEDaST_SU_EUlST_E_NS1_11comp_targetILNS1_3genE5ELNS1_11target_archE942ELNS1_3gpuE9ELNS1_3repE0EEENS1_30default_config_static_selectorELNS0_4arch9wavefront6targetE0EEEvT1_,"axG",@progbits,_ZN7rocprim17ROCPRIM_400000_NS6detail17trampoline_kernelINS0_14default_configENS1_27scan_by_key_config_selectorIiiEEZZNS1_16scan_by_key_implILNS1_25lookback_scan_determinismE0ELb1ES3_N6thrust23THRUST_200600_302600_NS6detail15normal_iteratorINS9_10device_ptrIiEEEESE_SE_iNS9_4plusIiEE19head_flag_predicateiEE10hipError_tPvRmT2_T3_T4_T5_mT6_T7_P12ihipStream_tbENKUlT_T0_E_clISt17integral_constantIbLb0EESX_IbLb1EEEEDaST_SU_EUlST_E_NS1_11comp_targetILNS1_3genE5ELNS1_11target_archE942ELNS1_3gpuE9ELNS1_3repE0EEENS1_30default_config_static_selectorELNS0_4arch9wavefront6targetE0EEEvT1_,comdat
	.protected	_ZN7rocprim17ROCPRIM_400000_NS6detail17trampoline_kernelINS0_14default_configENS1_27scan_by_key_config_selectorIiiEEZZNS1_16scan_by_key_implILNS1_25lookback_scan_determinismE0ELb1ES3_N6thrust23THRUST_200600_302600_NS6detail15normal_iteratorINS9_10device_ptrIiEEEESE_SE_iNS9_4plusIiEE19head_flag_predicateiEE10hipError_tPvRmT2_T3_T4_T5_mT6_T7_P12ihipStream_tbENKUlT_T0_E_clISt17integral_constantIbLb0EESX_IbLb1EEEEDaST_SU_EUlST_E_NS1_11comp_targetILNS1_3genE5ELNS1_11target_archE942ELNS1_3gpuE9ELNS1_3repE0EEENS1_30default_config_static_selectorELNS0_4arch9wavefront6targetE0EEEvT1_ ; -- Begin function _ZN7rocprim17ROCPRIM_400000_NS6detail17trampoline_kernelINS0_14default_configENS1_27scan_by_key_config_selectorIiiEEZZNS1_16scan_by_key_implILNS1_25lookback_scan_determinismE0ELb1ES3_N6thrust23THRUST_200600_302600_NS6detail15normal_iteratorINS9_10device_ptrIiEEEESE_SE_iNS9_4plusIiEE19head_flag_predicateiEE10hipError_tPvRmT2_T3_T4_T5_mT6_T7_P12ihipStream_tbENKUlT_T0_E_clISt17integral_constantIbLb0EESX_IbLb1EEEEDaST_SU_EUlST_E_NS1_11comp_targetILNS1_3genE5ELNS1_11target_archE942ELNS1_3gpuE9ELNS1_3repE0EEENS1_30default_config_static_selectorELNS0_4arch9wavefront6targetE0EEEvT1_
	.globl	_ZN7rocprim17ROCPRIM_400000_NS6detail17trampoline_kernelINS0_14default_configENS1_27scan_by_key_config_selectorIiiEEZZNS1_16scan_by_key_implILNS1_25lookback_scan_determinismE0ELb1ES3_N6thrust23THRUST_200600_302600_NS6detail15normal_iteratorINS9_10device_ptrIiEEEESE_SE_iNS9_4plusIiEE19head_flag_predicateiEE10hipError_tPvRmT2_T3_T4_T5_mT6_T7_P12ihipStream_tbENKUlT_T0_E_clISt17integral_constantIbLb0EESX_IbLb1EEEEDaST_SU_EUlST_E_NS1_11comp_targetILNS1_3genE5ELNS1_11target_archE942ELNS1_3gpuE9ELNS1_3repE0EEENS1_30default_config_static_selectorELNS0_4arch9wavefront6targetE0EEEvT1_
	.p2align	8
	.type	_ZN7rocprim17ROCPRIM_400000_NS6detail17trampoline_kernelINS0_14default_configENS1_27scan_by_key_config_selectorIiiEEZZNS1_16scan_by_key_implILNS1_25lookback_scan_determinismE0ELb1ES3_N6thrust23THRUST_200600_302600_NS6detail15normal_iteratorINS9_10device_ptrIiEEEESE_SE_iNS9_4plusIiEE19head_flag_predicateiEE10hipError_tPvRmT2_T3_T4_T5_mT6_T7_P12ihipStream_tbENKUlT_T0_E_clISt17integral_constantIbLb0EESX_IbLb1EEEEDaST_SU_EUlST_E_NS1_11comp_targetILNS1_3genE5ELNS1_11target_archE942ELNS1_3gpuE9ELNS1_3repE0EEENS1_30default_config_static_selectorELNS0_4arch9wavefront6targetE0EEEvT1_,@function
_ZN7rocprim17ROCPRIM_400000_NS6detail17trampoline_kernelINS0_14default_configENS1_27scan_by_key_config_selectorIiiEEZZNS1_16scan_by_key_implILNS1_25lookback_scan_determinismE0ELb1ES3_N6thrust23THRUST_200600_302600_NS6detail15normal_iteratorINS9_10device_ptrIiEEEESE_SE_iNS9_4plusIiEE19head_flag_predicateiEE10hipError_tPvRmT2_T3_T4_T5_mT6_T7_P12ihipStream_tbENKUlT_T0_E_clISt17integral_constantIbLb0EESX_IbLb1EEEEDaST_SU_EUlST_E_NS1_11comp_targetILNS1_3genE5ELNS1_11target_archE942ELNS1_3gpuE9ELNS1_3repE0EEENS1_30default_config_static_selectorELNS0_4arch9wavefront6targetE0EEEvT1_: ; @_ZN7rocprim17ROCPRIM_400000_NS6detail17trampoline_kernelINS0_14default_configENS1_27scan_by_key_config_selectorIiiEEZZNS1_16scan_by_key_implILNS1_25lookback_scan_determinismE0ELb1ES3_N6thrust23THRUST_200600_302600_NS6detail15normal_iteratorINS9_10device_ptrIiEEEESE_SE_iNS9_4plusIiEE19head_flag_predicateiEE10hipError_tPvRmT2_T3_T4_T5_mT6_T7_P12ihipStream_tbENKUlT_T0_E_clISt17integral_constantIbLb0EESX_IbLb1EEEEDaST_SU_EUlST_E_NS1_11comp_targetILNS1_3genE5ELNS1_11target_archE942ELNS1_3gpuE9ELNS1_3repE0EEENS1_30default_config_static_selectorELNS0_4arch9wavefront6targetE0EEEvT1_
; %bb.0:
	.section	.rodata,"a",@progbits
	.p2align	6, 0x0
	.amdhsa_kernel _ZN7rocprim17ROCPRIM_400000_NS6detail17trampoline_kernelINS0_14default_configENS1_27scan_by_key_config_selectorIiiEEZZNS1_16scan_by_key_implILNS1_25lookback_scan_determinismE0ELb1ES3_N6thrust23THRUST_200600_302600_NS6detail15normal_iteratorINS9_10device_ptrIiEEEESE_SE_iNS9_4plusIiEE19head_flag_predicateiEE10hipError_tPvRmT2_T3_T4_T5_mT6_T7_P12ihipStream_tbENKUlT_T0_E_clISt17integral_constantIbLb0EESX_IbLb1EEEEDaST_SU_EUlST_E_NS1_11comp_targetILNS1_3genE5ELNS1_11target_archE942ELNS1_3gpuE9ELNS1_3repE0EEENS1_30default_config_static_selectorELNS0_4arch9wavefront6targetE0EEEvT1_
		.amdhsa_group_segment_fixed_size 0
		.amdhsa_private_segment_fixed_size 0
		.amdhsa_kernarg_size 112
		.amdhsa_user_sgpr_count 6
		.amdhsa_user_sgpr_private_segment_buffer 1
		.amdhsa_user_sgpr_dispatch_ptr 0
		.amdhsa_user_sgpr_queue_ptr 0
		.amdhsa_user_sgpr_kernarg_segment_ptr 1
		.amdhsa_user_sgpr_dispatch_id 0
		.amdhsa_user_sgpr_flat_scratch_init 0
		.amdhsa_user_sgpr_private_segment_size 0
		.amdhsa_wavefront_size32 1
		.amdhsa_uses_dynamic_stack 0
		.amdhsa_system_sgpr_private_segment_wavefront_offset 0
		.amdhsa_system_sgpr_workgroup_id_x 1
		.amdhsa_system_sgpr_workgroup_id_y 0
		.amdhsa_system_sgpr_workgroup_id_z 0
		.amdhsa_system_sgpr_workgroup_info 0
		.amdhsa_system_vgpr_workitem_id 0
		.amdhsa_next_free_vgpr 1
		.amdhsa_next_free_sgpr 1
		.amdhsa_reserve_vcc 0
		.amdhsa_reserve_flat_scratch 0
		.amdhsa_float_round_mode_32 0
		.amdhsa_float_round_mode_16_64 0
		.amdhsa_float_denorm_mode_32 3
		.amdhsa_float_denorm_mode_16_64 3
		.amdhsa_dx10_clamp 1
		.amdhsa_ieee_mode 1
		.amdhsa_fp16_overflow 0
		.amdhsa_workgroup_processor_mode 1
		.amdhsa_memory_ordered 1
		.amdhsa_forward_progress 1
		.amdhsa_shared_vgpr_count 0
		.amdhsa_exception_fp_ieee_invalid_op 0
		.amdhsa_exception_fp_denorm_src 0
		.amdhsa_exception_fp_ieee_div_zero 0
		.amdhsa_exception_fp_ieee_overflow 0
		.amdhsa_exception_fp_ieee_underflow 0
		.amdhsa_exception_fp_ieee_inexact 0
		.amdhsa_exception_int_div_zero 0
	.end_amdhsa_kernel
	.section	.text._ZN7rocprim17ROCPRIM_400000_NS6detail17trampoline_kernelINS0_14default_configENS1_27scan_by_key_config_selectorIiiEEZZNS1_16scan_by_key_implILNS1_25lookback_scan_determinismE0ELb1ES3_N6thrust23THRUST_200600_302600_NS6detail15normal_iteratorINS9_10device_ptrIiEEEESE_SE_iNS9_4plusIiEE19head_flag_predicateiEE10hipError_tPvRmT2_T3_T4_T5_mT6_T7_P12ihipStream_tbENKUlT_T0_E_clISt17integral_constantIbLb0EESX_IbLb1EEEEDaST_SU_EUlST_E_NS1_11comp_targetILNS1_3genE5ELNS1_11target_archE942ELNS1_3gpuE9ELNS1_3repE0EEENS1_30default_config_static_selectorELNS0_4arch9wavefront6targetE0EEEvT1_,"axG",@progbits,_ZN7rocprim17ROCPRIM_400000_NS6detail17trampoline_kernelINS0_14default_configENS1_27scan_by_key_config_selectorIiiEEZZNS1_16scan_by_key_implILNS1_25lookback_scan_determinismE0ELb1ES3_N6thrust23THRUST_200600_302600_NS6detail15normal_iteratorINS9_10device_ptrIiEEEESE_SE_iNS9_4plusIiEE19head_flag_predicateiEE10hipError_tPvRmT2_T3_T4_T5_mT6_T7_P12ihipStream_tbENKUlT_T0_E_clISt17integral_constantIbLb0EESX_IbLb1EEEEDaST_SU_EUlST_E_NS1_11comp_targetILNS1_3genE5ELNS1_11target_archE942ELNS1_3gpuE9ELNS1_3repE0EEENS1_30default_config_static_selectorELNS0_4arch9wavefront6targetE0EEEvT1_,comdat
.Lfunc_end814:
	.size	_ZN7rocprim17ROCPRIM_400000_NS6detail17trampoline_kernelINS0_14default_configENS1_27scan_by_key_config_selectorIiiEEZZNS1_16scan_by_key_implILNS1_25lookback_scan_determinismE0ELb1ES3_N6thrust23THRUST_200600_302600_NS6detail15normal_iteratorINS9_10device_ptrIiEEEESE_SE_iNS9_4plusIiEE19head_flag_predicateiEE10hipError_tPvRmT2_T3_T4_T5_mT6_T7_P12ihipStream_tbENKUlT_T0_E_clISt17integral_constantIbLb0EESX_IbLb1EEEEDaST_SU_EUlST_E_NS1_11comp_targetILNS1_3genE5ELNS1_11target_archE942ELNS1_3gpuE9ELNS1_3repE0EEENS1_30default_config_static_selectorELNS0_4arch9wavefront6targetE0EEEvT1_, .Lfunc_end814-_ZN7rocprim17ROCPRIM_400000_NS6detail17trampoline_kernelINS0_14default_configENS1_27scan_by_key_config_selectorIiiEEZZNS1_16scan_by_key_implILNS1_25lookback_scan_determinismE0ELb1ES3_N6thrust23THRUST_200600_302600_NS6detail15normal_iteratorINS9_10device_ptrIiEEEESE_SE_iNS9_4plusIiEE19head_flag_predicateiEE10hipError_tPvRmT2_T3_T4_T5_mT6_T7_P12ihipStream_tbENKUlT_T0_E_clISt17integral_constantIbLb0EESX_IbLb1EEEEDaST_SU_EUlST_E_NS1_11comp_targetILNS1_3genE5ELNS1_11target_archE942ELNS1_3gpuE9ELNS1_3repE0EEENS1_30default_config_static_selectorELNS0_4arch9wavefront6targetE0EEEvT1_
                                        ; -- End function
	.set _ZN7rocprim17ROCPRIM_400000_NS6detail17trampoline_kernelINS0_14default_configENS1_27scan_by_key_config_selectorIiiEEZZNS1_16scan_by_key_implILNS1_25lookback_scan_determinismE0ELb1ES3_N6thrust23THRUST_200600_302600_NS6detail15normal_iteratorINS9_10device_ptrIiEEEESE_SE_iNS9_4plusIiEE19head_flag_predicateiEE10hipError_tPvRmT2_T3_T4_T5_mT6_T7_P12ihipStream_tbENKUlT_T0_E_clISt17integral_constantIbLb0EESX_IbLb1EEEEDaST_SU_EUlST_E_NS1_11comp_targetILNS1_3genE5ELNS1_11target_archE942ELNS1_3gpuE9ELNS1_3repE0EEENS1_30default_config_static_selectorELNS0_4arch9wavefront6targetE0EEEvT1_.num_vgpr, 0
	.set _ZN7rocprim17ROCPRIM_400000_NS6detail17trampoline_kernelINS0_14default_configENS1_27scan_by_key_config_selectorIiiEEZZNS1_16scan_by_key_implILNS1_25lookback_scan_determinismE0ELb1ES3_N6thrust23THRUST_200600_302600_NS6detail15normal_iteratorINS9_10device_ptrIiEEEESE_SE_iNS9_4plusIiEE19head_flag_predicateiEE10hipError_tPvRmT2_T3_T4_T5_mT6_T7_P12ihipStream_tbENKUlT_T0_E_clISt17integral_constantIbLb0EESX_IbLb1EEEEDaST_SU_EUlST_E_NS1_11comp_targetILNS1_3genE5ELNS1_11target_archE942ELNS1_3gpuE9ELNS1_3repE0EEENS1_30default_config_static_selectorELNS0_4arch9wavefront6targetE0EEEvT1_.num_agpr, 0
	.set _ZN7rocprim17ROCPRIM_400000_NS6detail17trampoline_kernelINS0_14default_configENS1_27scan_by_key_config_selectorIiiEEZZNS1_16scan_by_key_implILNS1_25lookback_scan_determinismE0ELb1ES3_N6thrust23THRUST_200600_302600_NS6detail15normal_iteratorINS9_10device_ptrIiEEEESE_SE_iNS9_4plusIiEE19head_flag_predicateiEE10hipError_tPvRmT2_T3_T4_T5_mT6_T7_P12ihipStream_tbENKUlT_T0_E_clISt17integral_constantIbLb0EESX_IbLb1EEEEDaST_SU_EUlST_E_NS1_11comp_targetILNS1_3genE5ELNS1_11target_archE942ELNS1_3gpuE9ELNS1_3repE0EEENS1_30default_config_static_selectorELNS0_4arch9wavefront6targetE0EEEvT1_.numbered_sgpr, 0
	.set _ZN7rocprim17ROCPRIM_400000_NS6detail17trampoline_kernelINS0_14default_configENS1_27scan_by_key_config_selectorIiiEEZZNS1_16scan_by_key_implILNS1_25lookback_scan_determinismE0ELb1ES3_N6thrust23THRUST_200600_302600_NS6detail15normal_iteratorINS9_10device_ptrIiEEEESE_SE_iNS9_4plusIiEE19head_flag_predicateiEE10hipError_tPvRmT2_T3_T4_T5_mT6_T7_P12ihipStream_tbENKUlT_T0_E_clISt17integral_constantIbLb0EESX_IbLb1EEEEDaST_SU_EUlST_E_NS1_11comp_targetILNS1_3genE5ELNS1_11target_archE942ELNS1_3gpuE9ELNS1_3repE0EEENS1_30default_config_static_selectorELNS0_4arch9wavefront6targetE0EEEvT1_.num_named_barrier, 0
	.set _ZN7rocprim17ROCPRIM_400000_NS6detail17trampoline_kernelINS0_14default_configENS1_27scan_by_key_config_selectorIiiEEZZNS1_16scan_by_key_implILNS1_25lookback_scan_determinismE0ELb1ES3_N6thrust23THRUST_200600_302600_NS6detail15normal_iteratorINS9_10device_ptrIiEEEESE_SE_iNS9_4plusIiEE19head_flag_predicateiEE10hipError_tPvRmT2_T3_T4_T5_mT6_T7_P12ihipStream_tbENKUlT_T0_E_clISt17integral_constantIbLb0EESX_IbLb1EEEEDaST_SU_EUlST_E_NS1_11comp_targetILNS1_3genE5ELNS1_11target_archE942ELNS1_3gpuE9ELNS1_3repE0EEENS1_30default_config_static_selectorELNS0_4arch9wavefront6targetE0EEEvT1_.private_seg_size, 0
	.set _ZN7rocprim17ROCPRIM_400000_NS6detail17trampoline_kernelINS0_14default_configENS1_27scan_by_key_config_selectorIiiEEZZNS1_16scan_by_key_implILNS1_25lookback_scan_determinismE0ELb1ES3_N6thrust23THRUST_200600_302600_NS6detail15normal_iteratorINS9_10device_ptrIiEEEESE_SE_iNS9_4plusIiEE19head_flag_predicateiEE10hipError_tPvRmT2_T3_T4_T5_mT6_T7_P12ihipStream_tbENKUlT_T0_E_clISt17integral_constantIbLb0EESX_IbLb1EEEEDaST_SU_EUlST_E_NS1_11comp_targetILNS1_3genE5ELNS1_11target_archE942ELNS1_3gpuE9ELNS1_3repE0EEENS1_30default_config_static_selectorELNS0_4arch9wavefront6targetE0EEEvT1_.uses_vcc, 0
	.set _ZN7rocprim17ROCPRIM_400000_NS6detail17trampoline_kernelINS0_14default_configENS1_27scan_by_key_config_selectorIiiEEZZNS1_16scan_by_key_implILNS1_25lookback_scan_determinismE0ELb1ES3_N6thrust23THRUST_200600_302600_NS6detail15normal_iteratorINS9_10device_ptrIiEEEESE_SE_iNS9_4plusIiEE19head_flag_predicateiEE10hipError_tPvRmT2_T3_T4_T5_mT6_T7_P12ihipStream_tbENKUlT_T0_E_clISt17integral_constantIbLb0EESX_IbLb1EEEEDaST_SU_EUlST_E_NS1_11comp_targetILNS1_3genE5ELNS1_11target_archE942ELNS1_3gpuE9ELNS1_3repE0EEENS1_30default_config_static_selectorELNS0_4arch9wavefront6targetE0EEEvT1_.uses_flat_scratch, 0
	.set _ZN7rocprim17ROCPRIM_400000_NS6detail17trampoline_kernelINS0_14default_configENS1_27scan_by_key_config_selectorIiiEEZZNS1_16scan_by_key_implILNS1_25lookback_scan_determinismE0ELb1ES3_N6thrust23THRUST_200600_302600_NS6detail15normal_iteratorINS9_10device_ptrIiEEEESE_SE_iNS9_4plusIiEE19head_flag_predicateiEE10hipError_tPvRmT2_T3_T4_T5_mT6_T7_P12ihipStream_tbENKUlT_T0_E_clISt17integral_constantIbLb0EESX_IbLb1EEEEDaST_SU_EUlST_E_NS1_11comp_targetILNS1_3genE5ELNS1_11target_archE942ELNS1_3gpuE9ELNS1_3repE0EEENS1_30default_config_static_selectorELNS0_4arch9wavefront6targetE0EEEvT1_.has_dyn_sized_stack, 0
	.set _ZN7rocprim17ROCPRIM_400000_NS6detail17trampoline_kernelINS0_14default_configENS1_27scan_by_key_config_selectorIiiEEZZNS1_16scan_by_key_implILNS1_25lookback_scan_determinismE0ELb1ES3_N6thrust23THRUST_200600_302600_NS6detail15normal_iteratorINS9_10device_ptrIiEEEESE_SE_iNS9_4plusIiEE19head_flag_predicateiEE10hipError_tPvRmT2_T3_T4_T5_mT6_T7_P12ihipStream_tbENKUlT_T0_E_clISt17integral_constantIbLb0EESX_IbLb1EEEEDaST_SU_EUlST_E_NS1_11comp_targetILNS1_3genE5ELNS1_11target_archE942ELNS1_3gpuE9ELNS1_3repE0EEENS1_30default_config_static_selectorELNS0_4arch9wavefront6targetE0EEEvT1_.has_recursion, 0
	.set _ZN7rocprim17ROCPRIM_400000_NS6detail17trampoline_kernelINS0_14default_configENS1_27scan_by_key_config_selectorIiiEEZZNS1_16scan_by_key_implILNS1_25lookback_scan_determinismE0ELb1ES3_N6thrust23THRUST_200600_302600_NS6detail15normal_iteratorINS9_10device_ptrIiEEEESE_SE_iNS9_4plusIiEE19head_flag_predicateiEE10hipError_tPvRmT2_T3_T4_T5_mT6_T7_P12ihipStream_tbENKUlT_T0_E_clISt17integral_constantIbLb0EESX_IbLb1EEEEDaST_SU_EUlST_E_NS1_11comp_targetILNS1_3genE5ELNS1_11target_archE942ELNS1_3gpuE9ELNS1_3repE0EEENS1_30default_config_static_selectorELNS0_4arch9wavefront6targetE0EEEvT1_.has_indirect_call, 0
	.section	.AMDGPU.csdata,"",@progbits
; Kernel info:
; codeLenInByte = 0
; TotalNumSgprs: 0
; NumVgprs: 0
; ScratchSize: 0
; MemoryBound: 0
; FloatMode: 240
; IeeeMode: 1
; LDSByteSize: 0 bytes/workgroup (compile time only)
; SGPRBlocks: 0
; VGPRBlocks: 0
; NumSGPRsForWavesPerEU: 1
; NumVGPRsForWavesPerEU: 1
; Occupancy: 16
; WaveLimiterHint : 0
; COMPUTE_PGM_RSRC2:SCRATCH_EN: 0
; COMPUTE_PGM_RSRC2:USER_SGPR: 6
; COMPUTE_PGM_RSRC2:TRAP_HANDLER: 0
; COMPUTE_PGM_RSRC2:TGID_X_EN: 1
; COMPUTE_PGM_RSRC2:TGID_Y_EN: 0
; COMPUTE_PGM_RSRC2:TGID_Z_EN: 0
; COMPUTE_PGM_RSRC2:TIDIG_COMP_CNT: 0
	.section	.text._ZN7rocprim17ROCPRIM_400000_NS6detail17trampoline_kernelINS0_14default_configENS1_27scan_by_key_config_selectorIiiEEZZNS1_16scan_by_key_implILNS1_25lookback_scan_determinismE0ELb1ES3_N6thrust23THRUST_200600_302600_NS6detail15normal_iteratorINS9_10device_ptrIiEEEESE_SE_iNS9_4plusIiEE19head_flag_predicateiEE10hipError_tPvRmT2_T3_T4_T5_mT6_T7_P12ihipStream_tbENKUlT_T0_E_clISt17integral_constantIbLb0EESX_IbLb1EEEEDaST_SU_EUlST_E_NS1_11comp_targetILNS1_3genE4ELNS1_11target_archE910ELNS1_3gpuE8ELNS1_3repE0EEENS1_30default_config_static_selectorELNS0_4arch9wavefront6targetE0EEEvT1_,"axG",@progbits,_ZN7rocprim17ROCPRIM_400000_NS6detail17trampoline_kernelINS0_14default_configENS1_27scan_by_key_config_selectorIiiEEZZNS1_16scan_by_key_implILNS1_25lookback_scan_determinismE0ELb1ES3_N6thrust23THRUST_200600_302600_NS6detail15normal_iteratorINS9_10device_ptrIiEEEESE_SE_iNS9_4plusIiEE19head_flag_predicateiEE10hipError_tPvRmT2_T3_T4_T5_mT6_T7_P12ihipStream_tbENKUlT_T0_E_clISt17integral_constantIbLb0EESX_IbLb1EEEEDaST_SU_EUlST_E_NS1_11comp_targetILNS1_3genE4ELNS1_11target_archE910ELNS1_3gpuE8ELNS1_3repE0EEENS1_30default_config_static_selectorELNS0_4arch9wavefront6targetE0EEEvT1_,comdat
	.protected	_ZN7rocprim17ROCPRIM_400000_NS6detail17trampoline_kernelINS0_14default_configENS1_27scan_by_key_config_selectorIiiEEZZNS1_16scan_by_key_implILNS1_25lookback_scan_determinismE0ELb1ES3_N6thrust23THRUST_200600_302600_NS6detail15normal_iteratorINS9_10device_ptrIiEEEESE_SE_iNS9_4plusIiEE19head_flag_predicateiEE10hipError_tPvRmT2_T3_T4_T5_mT6_T7_P12ihipStream_tbENKUlT_T0_E_clISt17integral_constantIbLb0EESX_IbLb1EEEEDaST_SU_EUlST_E_NS1_11comp_targetILNS1_3genE4ELNS1_11target_archE910ELNS1_3gpuE8ELNS1_3repE0EEENS1_30default_config_static_selectorELNS0_4arch9wavefront6targetE0EEEvT1_ ; -- Begin function _ZN7rocprim17ROCPRIM_400000_NS6detail17trampoline_kernelINS0_14default_configENS1_27scan_by_key_config_selectorIiiEEZZNS1_16scan_by_key_implILNS1_25lookback_scan_determinismE0ELb1ES3_N6thrust23THRUST_200600_302600_NS6detail15normal_iteratorINS9_10device_ptrIiEEEESE_SE_iNS9_4plusIiEE19head_flag_predicateiEE10hipError_tPvRmT2_T3_T4_T5_mT6_T7_P12ihipStream_tbENKUlT_T0_E_clISt17integral_constantIbLb0EESX_IbLb1EEEEDaST_SU_EUlST_E_NS1_11comp_targetILNS1_3genE4ELNS1_11target_archE910ELNS1_3gpuE8ELNS1_3repE0EEENS1_30default_config_static_selectorELNS0_4arch9wavefront6targetE0EEEvT1_
	.globl	_ZN7rocprim17ROCPRIM_400000_NS6detail17trampoline_kernelINS0_14default_configENS1_27scan_by_key_config_selectorIiiEEZZNS1_16scan_by_key_implILNS1_25lookback_scan_determinismE0ELb1ES3_N6thrust23THRUST_200600_302600_NS6detail15normal_iteratorINS9_10device_ptrIiEEEESE_SE_iNS9_4plusIiEE19head_flag_predicateiEE10hipError_tPvRmT2_T3_T4_T5_mT6_T7_P12ihipStream_tbENKUlT_T0_E_clISt17integral_constantIbLb0EESX_IbLb1EEEEDaST_SU_EUlST_E_NS1_11comp_targetILNS1_3genE4ELNS1_11target_archE910ELNS1_3gpuE8ELNS1_3repE0EEENS1_30default_config_static_selectorELNS0_4arch9wavefront6targetE0EEEvT1_
	.p2align	8
	.type	_ZN7rocprim17ROCPRIM_400000_NS6detail17trampoline_kernelINS0_14default_configENS1_27scan_by_key_config_selectorIiiEEZZNS1_16scan_by_key_implILNS1_25lookback_scan_determinismE0ELb1ES3_N6thrust23THRUST_200600_302600_NS6detail15normal_iteratorINS9_10device_ptrIiEEEESE_SE_iNS9_4plusIiEE19head_flag_predicateiEE10hipError_tPvRmT2_T3_T4_T5_mT6_T7_P12ihipStream_tbENKUlT_T0_E_clISt17integral_constantIbLb0EESX_IbLb1EEEEDaST_SU_EUlST_E_NS1_11comp_targetILNS1_3genE4ELNS1_11target_archE910ELNS1_3gpuE8ELNS1_3repE0EEENS1_30default_config_static_selectorELNS0_4arch9wavefront6targetE0EEEvT1_,@function
_ZN7rocprim17ROCPRIM_400000_NS6detail17trampoline_kernelINS0_14default_configENS1_27scan_by_key_config_selectorIiiEEZZNS1_16scan_by_key_implILNS1_25lookback_scan_determinismE0ELb1ES3_N6thrust23THRUST_200600_302600_NS6detail15normal_iteratorINS9_10device_ptrIiEEEESE_SE_iNS9_4plusIiEE19head_flag_predicateiEE10hipError_tPvRmT2_T3_T4_T5_mT6_T7_P12ihipStream_tbENKUlT_T0_E_clISt17integral_constantIbLb0EESX_IbLb1EEEEDaST_SU_EUlST_E_NS1_11comp_targetILNS1_3genE4ELNS1_11target_archE910ELNS1_3gpuE8ELNS1_3repE0EEENS1_30default_config_static_selectorELNS0_4arch9wavefront6targetE0EEEvT1_: ; @_ZN7rocprim17ROCPRIM_400000_NS6detail17trampoline_kernelINS0_14default_configENS1_27scan_by_key_config_selectorIiiEEZZNS1_16scan_by_key_implILNS1_25lookback_scan_determinismE0ELb1ES3_N6thrust23THRUST_200600_302600_NS6detail15normal_iteratorINS9_10device_ptrIiEEEESE_SE_iNS9_4plusIiEE19head_flag_predicateiEE10hipError_tPvRmT2_T3_T4_T5_mT6_T7_P12ihipStream_tbENKUlT_T0_E_clISt17integral_constantIbLb0EESX_IbLb1EEEEDaST_SU_EUlST_E_NS1_11comp_targetILNS1_3genE4ELNS1_11target_archE910ELNS1_3gpuE8ELNS1_3repE0EEENS1_30default_config_static_selectorELNS0_4arch9wavefront6targetE0EEEvT1_
; %bb.0:
	.section	.rodata,"a",@progbits
	.p2align	6, 0x0
	.amdhsa_kernel _ZN7rocprim17ROCPRIM_400000_NS6detail17trampoline_kernelINS0_14default_configENS1_27scan_by_key_config_selectorIiiEEZZNS1_16scan_by_key_implILNS1_25lookback_scan_determinismE0ELb1ES3_N6thrust23THRUST_200600_302600_NS6detail15normal_iteratorINS9_10device_ptrIiEEEESE_SE_iNS9_4plusIiEE19head_flag_predicateiEE10hipError_tPvRmT2_T3_T4_T5_mT6_T7_P12ihipStream_tbENKUlT_T0_E_clISt17integral_constantIbLb0EESX_IbLb1EEEEDaST_SU_EUlST_E_NS1_11comp_targetILNS1_3genE4ELNS1_11target_archE910ELNS1_3gpuE8ELNS1_3repE0EEENS1_30default_config_static_selectorELNS0_4arch9wavefront6targetE0EEEvT1_
		.amdhsa_group_segment_fixed_size 0
		.amdhsa_private_segment_fixed_size 0
		.amdhsa_kernarg_size 112
		.amdhsa_user_sgpr_count 6
		.amdhsa_user_sgpr_private_segment_buffer 1
		.amdhsa_user_sgpr_dispatch_ptr 0
		.amdhsa_user_sgpr_queue_ptr 0
		.amdhsa_user_sgpr_kernarg_segment_ptr 1
		.amdhsa_user_sgpr_dispatch_id 0
		.amdhsa_user_sgpr_flat_scratch_init 0
		.amdhsa_user_sgpr_private_segment_size 0
		.amdhsa_wavefront_size32 1
		.amdhsa_uses_dynamic_stack 0
		.amdhsa_system_sgpr_private_segment_wavefront_offset 0
		.amdhsa_system_sgpr_workgroup_id_x 1
		.amdhsa_system_sgpr_workgroup_id_y 0
		.amdhsa_system_sgpr_workgroup_id_z 0
		.amdhsa_system_sgpr_workgroup_info 0
		.amdhsa_system_vgpr_workitem_id 0
		.amdhsa_next_free_vgpr 1
		.amdhsa_next_free_sgpr 1
		.amdhsa_reserve_vcc 0
		.amdhsa_reserve_flat_scratch 0
		.amdhsa_float_round_mode_32 0
		.amdhsa_float_round_mode_16_64 0
		.amdhsa_float_denorm_mode_32 3
		.amdhsa_float_denorm_mode_16_64 3
		.amdhsa_dx10_clamp 1
		.amdhsa_ieee_mode 1
		.amdhsa_fp16_overflow 0
		.amdhsa_workgroup_processor_mode 1
		.amdhsa_memory_ordered 1
		.amdhsa_forward_progress 1
		.amdhsa_shared_vgpr_count 0
		.amdhsa_exception_fp_ieee_invalid_op 0
		.amdhsa_exception_fp_denorm_src 0
		.amdhsa_exception_fp_ieee_div_zero 0
		.amdhsa_exception_fp_ieee_overflow 0
		.amdhsa_exception_fp_ieee_underflow 0
		.amdhsa_exception_fp_ieee_inexact 0
		.amdhsa_exception_int_div_zero 0
	.end_amdhsa_kernel
	.section	.text._ZN7rocprim17ROCPRIM_400000_NS6detail17trampoline_kernelINS0_14default_configENS1_27scan_by_key_config_selectorIiiEEZZNS1_16scan_by_key_implILNS1_25lookback_scan_determinismE0ELb1ES3_N6thrust23THRUST_200600_302600_NS6detail15normal_iteratorINS9_10device_ptrIiEEEESE_SE_iNS9_4plusIiEE19head_flag_predicateiEE10hipError_tPvRmT2_T3_T4_T5_mT6_T7_P12ihipStream_tbENKUlT_T0_E_clISt17integral_constantIbLb0EESX_IbLb1EEEEDaST_SU_EUlST_E_NS1_11comp_targetILNS1_3genE4ELNS1_11target_archE910ELNS1_3gpuE8ELNS1_3repE0EEENS1_30default_config_static_selectorELNS0_4arch9wavefront6targetE0EEEvT1_,"axG",@progbits,_ZN7rocprim17ROCPRIM_400000_NS6detail17trampoline_kernelINS0_14default_configENS1_27scan_by_key_config_selectorIiiEEZZNS1_16scan_by_key_implILNS1_25lookback_scan_determinismE0ELb1ES3_N6thrust23THRUST_200600_302600_NS6detail15normal_iteratorINS9_10device_ptrIiEEEESE_SE_iNS9_4plusIiEE19head_flag_predicateiEE10hipError_tPvRmT2_T3_T4_T5_mT6_T7_P12ihipStream_tbENKUlT_T0_E_clISt17integral_constantIbLb0EESX_IbLb1EEEEDaST_SU_EUlST_E_NS1_11comp_targetILNS1_3genE4ELNS1_11target_archE910ELNS1_3gpuE8ELNS1_3repE0EEENS1_30default_config_static_selectorELNS0_4arch9wavefront6targetE0EEEvT1_,comdat
.Lfunc_end815:
	.size	_ZN7rocprim17ROCPRIM_400000_NS6detail17trampoline_kernelINS0_14default_configENS1_27scan_by_key_config_selectorIiiEEZZNS1_16scan_by_key_implILNS1_25lookback_scan_determinismE0ELb1ES3_N6thrust23THRUST_200600_302600_NS6detail15normal_iteratorINS9_10device_ptrIiEEEESE_SE_iNS9_4plusIiEE19head_flag_predicateiEE10hipError_tPvRmT2_T3_T4_T5_mT6_T7_P12ihipStream_tbENKUlT_T0_E_clISt17integral_constantIbLb0EESX_IbLb1EEEEDaST_SU_EUlST_E_NS1_11comp_targetILNS1_3genE4ELNS1_11target_archE910ELNS1_3gpuE8ELNS1_3repE0EEENS1_30default_config_static_selectorELNS0_4arch9wavefront6targetE0EEEvT1_, .Lfunc_end815-_ZN7rocprim17ROCPRIM_400000_NS6detail17trampoline_kernelINS0_14default_configENS1_27scan_by_key_config_selectorIiiEEZZNS1_16scan_by_key_implILNS1_25lookback_scan_determinismE0ELb1ES3_N6thrust23THRUST_200600_302600_NS6detail15normal_iteratorINS9_10device_ptrIiEEEESE_SE_iNS9_4plusIiEE19head_flag_predicateiEE10hipError_tPvRmT2_T3_T4_T5_mT6_T7_P12ihipStream_tbENKUlT_T0_E_clISt17integral_constantIbLb0EESX_IbLb1EEEEDaST_SU_EUlST_E_NS1_11comp_targetILNS1_3genE4ELNS1_11target_archE910ELNS1_3gpuE8ELNS1_3repE0EEENS1_30default_config_static_selectorELNS0_4arch9wavefront6targetE0EEEvT1_
                                        ; -- End function
	.set _ZN7rocprim17ROCPRIM_400000_NS6detail17trampoline_kernelINS0_14default_configENS1_27scan_by_key_config_selectorIiiEEZZNS1_16scan_by_key_implILNS1_25lookback_scan_determinismE0ELb1ES3_N6thrust23THRUST_200600_302600_NS6detail15normal_iteratorINS9_10device_ptrIiEEEESE_SE_iNS9_4plusIiEE19head_flag_predicateiEE10hipError_tPvRmT2_T3_T4_T5_mT6_T7_P12ihipStream_tbENKUlT_T0_E_clISt17integral_constantIbLb0EESX_IbLb1EEEEDaST_SU_EUlST_E_NS1_11comp_targetILNS1_3genE4ELNS1_11target_archE910ELNS1_3gpuE8ELNS1_3repE0EEENS1_30default_config_static_selectorELNS0_4arch9wavefront6targetE0EEEvT1_.num_vgpr, 0
	.set _ZN7rocprim17ROCPRIM_400000_NS6detail17trampoline_kernelINS0_14default_configENS1_27scan_by_key_config_selectorIiiEEZZNS1_16scan_by_key_implILNS1_25lookback_scan_determinismE0ELb1ES3_N6thrust23THRUST_200600_302600_NS6detail15normal_iteratorINS9_10device_ptrIiEEEESE_SE_iNS9_4plusIiEE19head_flag_predicateiEE10hipError_tPvRmT2_T3_T4_T5_mT6_T7_P12ihipStream_tbENKUlT_T0_E_clISt17integral_constantIbLb0EESX_IbLb1EEEEDaST_SU_EUlST_E_NS1_11comp_targetILNS1_3genE4ELNS1_11target_archE910ELNS1_3gpuE8ELNS1_3repE0EEENS1_30default_config_static_selectorELNS0_4arch9wavefront6targetE0EEEvT1_.num_agpr, 0
	.set _ZN7rocprim17ROCPRIM_400000_NS6detail17trampoline_kernelINS0_14default_configENS1_27scan_by_key_config_selectorIiiEEZZNS1_16scan_by_key_implILNS1_25lookback_scan_determinismE0ELb1ES3_N6thrust23THRUST_200600_302600_NS6detail15normal_iteratorINS9_10device_ptrIiEEEESE_SE_iNS9_4plusIiEE19head_flag_predicateiEE10hipError_tPvRmT2_T3_T4_T5_mT6_T7_P12ihipStream_tbENKUlT_T0_E_clISt17integral_constantIbLb0EESX_IbLb1EEEEDaST_SU_EUlST_E_NS1_11comp_targetILNS1_3genE4ELNS1_11target_archE910ELNS1_3gpuE8ELNS1_3repE0EEENS1_30default_config_static_selectorELNS0_4arch9wavefront6targetE0EEEvT1_.numbered_sgpr, 0
	.set _ZN7rocprim17ROCPRIM_400000_NS6detail17trampoline_kernelINS0_14default_configENS1_27scan_by_key_config_selectorIiiEEZZNS1_16scan_by_key_implILNS1_25lookback_scan_determinismE0ELb1ES3_N6thrust23THRUST_200600_302600_NS6detail15normal_iteratorINS9_10device_ptrIiEEEESE_SE_iNS9_4plusIiEE19head_flag_predicateiEE10hipError_tPvRmT2_T3_T4_T5_mT6_T7_P12ihipStream_tbENKUlT_T0_E_clISt17integral_constantIbLb0EESX_IbLb1EEEEDaST_SU_EUlST_E_NS1_11comp_targetILNS1_3genE4ELNS1_11target_archE910ELNS1_3gpuE8ELNS1_3repE0EEENS1_30default_config_static_selectorELNS0_4arch9wavefront6targetE0EEEvT1_.num_named_barrier, 0
	.set _ZN7rocprim17ROCPRIM_400000_NS6detail17trampoline_kernelINS0_14default_configENS1_27scan_by_key_config_selectorIiiEEZZNS1_16scan_by_key_implILNS1_25lookback_scan_determinismE0ELb1ES3_N6thrust23THRUST_200600_302600_NS6detail15normal_iteratorINS9_10device_ptrIiEEEESE_SE_iNS9_4plusIiEE19head_flag_predicateiEE10hipError_tPvRmT2_T3_T4_T5_mT6_T7_P12ihipStream_tbENKUlT_T0_E_clISt17integral_constantIbLb0EESX_IbLb1EEEEDaST_SU_EUlST_E_NS1_11comp_targetILNS1_3genE4ELNS1_11target_archE910ELNS1_3gpuE8ELNS1_3repE0EEENS1_30default_config_static_selectorELNS0_4arch9wavefront6targetE0EEEvT1_.private_seg_size, 0
	.set _ZN7rocprim17ROCPRIM_400000_NS6detail17trampoline_kernelINS0_14default_configENS1_27scan_by_key_config_selectorIiiEEZZNS1_16scan_by_key_implILNS1_25lookback_scan_determinismE0ELb1ES3_N6thrust23THRUST_200600_302600_NS6detail15normal_iteratorINS9_10device_ptrIiEEEESE_SE_iNS9_4plusIiEE19head_flag_predicateiEE10hipError_tPvRmT2_T3_T4_T5_mT6_T7_P12ihipStream_tbENKUlT_T0_E_clISt17integral_constantIbLb0EESX_IbLb1EEEEDaST_SU_EUlST_E_NS1_11comp_targetILNS1_3genE4ELNS1_11target_archE910ELNS1_3gpuE8ELNS1_3repE0EEENS1_30default_config_static_selectorELNS0_4arch9wavefront6targetE0EEEvT1_.uses_vcc, 0
	.set _ZN7rocprim17ROCPRIM_400000_NS6detail17trampoline_kernelINS0_14default_configENS1_27scan_by_key_config_selectorIiiEEZZNS1_16scan_by_key_implILNS1_25lookback_scan_determinismE0ELb1ES3_N6thrust23THRUST_200600_302600_NS6detail15normal_iteratorINS9_10device_ptrIiEEEESE_SE_iNS9_4plusIiEE19head_flag_predicateiEE10hipError_tPvRmT2_T3_T4_T5_mT6_T7_P12ihipStream_tbENKUlT_T0_E_clISt17integral_constantIbLb0EESX_IbLb1EEEEDaST_SU_EUlST_E_NS1_11comp_targetILNS1_3genE4ELNS1_11target_archE910ELNS1_3gpuE8ELNS1_3repE0EEENS1_30default_config_static_selectorELNS0_4arch9wavefront6targetE0EEEvT1_.uses_flat_scratch, 0
	.set _ZN7rocprim17ROCPRIM_400000_NS6detail17trampoline_kernelINS0_14default_configENS1_27scan_by_key_config_selectorIiiEEZZNS1_16scan_by_key_implILNS1_25lookback_scan_determinismE0ELb1ES3_N6thrust23THRUST_200600_302600_NS6detail15normal_iteratorINS9_10device_ptrIiEEEESE_SE_iNS9_4plusIiEE19head_flag_predicateiEE10hipError_tPvRmT2_T3_T4_T5_mT6_T7_P12ihipStream_tbENKUlT_T0_E_clISt17integral_constantIbLb0EESX_IbLb1EEEEDaST_SU_EUlST_E_NS1_11comp_targetILNS1_3genE4ELNS1_11target_archE910ELNS1_3gpuE8ELNS1_3repE0EEENS1_30default_config_static_selectorELNS0_4arch9wavefront6targetE0EEEvT1_.has_dyn_sized_stack, 0
	.set _ZN7rocprim17ROCPRIM_400000_NS6detail17trampoline_kernelINS0_14default_configENS1_27scan_by_key_config_selectorIiiEEZZNS1_16scan_by_key_implILNS1_25lookback_scan_determinismE0ELb1ES3_N6thrust23THRUST_200600_302600_NS6detail15normal_iteratorINS9_10device_ptrIiEEEESE_SE_iNS9_4plusIiEE19head_flag_predicateiEE10hipError_tPvRmT2_T3_T4_T5_mT6_T7_P12ihipStream_tbENKUlT_T0_E_clISt17integral_constantIbLb0EESX_IbLb1EEEEDaST_SU_EUlST_E_NS1_11comp_targetILNS1_3genE4ELNS1_11target_archE910ELNS1_3gpuE8ELNS1_3repE0EEENS1_30default_config_static_selectorELNS0_4arch9wavefront6targetE0EEEvT1_.has_recursion, 0
	.set _ZN7rocprim17ROCPRIM_400000_NS6detail17trampoline_kernelINS0_14default_configENS1_27scan_by_key_config_selectorIiiEEZZNS1_16scan_by_key_implILNS1_25lookback_scan_determinismE0ELb1ES3_N6thrust23THRUST_200600_302600_NS6detail15normal_iteratorINS9_10device_ptrIiEEEESE_SE_iNS9_4plusIiEE19head_flag_predicateiEE10hipError_tPvRmT2_T3_T4_T5_mT6_T7_P12ihipStream_tbENKUlT_T0_E_clISt17integral_constantIbLb0EESX_IbLb1EEEEDaST_SU_EUlST_E_NS1_11comp_targetILNS1_3genE4ELNS1_11target_archE910ELNS1_3gpuE8ELNS1_3repE0EEENS1_30default_config_static_selectorELNS0_4arch9wavefront6targetE0EEEvT1_.has_indirect_call, 0
	.section	.AMDGPU.csdata,"",@progbits
; Kernel info:
; codeLenInByte = 0
; TotalNumSgprs: 0
; NumVgprs: 0
; ScratchSize: 0
; MemoryBound: 0
; FloatMode: 240
; IeeeMode: 1
; LDSByteSize: 0 bytes/workgroup (compile time only)
; SGPRBlocks: 0
; VGPRBlocks: 0
; NumSGPRsForWavesPerEU: 1
; NumVGPRsForWavesPerEU: 1
; Occupancy: 16
; WaveLimiterHint : 0
; COMPUTE_PGM_RSRC2:SCRATCH_EN: 0
; COMPUTE_PGM_RSRC2:USER_SGPR: 6
; COMPUTE_PGM_RSRC2:TRAP_HANDLER: 0
; COMPUTE_PGM_RSRC2:TGID_X_EN: 1
; COMPUTE_PGM_RSRC2:TGID_Y_EN: 0
; COMPUTE_PGM_RSRC2:TGID_Z_EN: 0
; COMPUTE_PGM_RSRC2:TIDIG_COMP_CNT: 0
	.section	.text._ZN7rocprim17ROCPRIM_400000_NS6detail17trampoline_kernelINS0_14default_configENS1_27scan_by_key_config_selectorIiiEEZZNS1_16scan_by_key_implILNS1_25lookback_scan_determinismE0ELb1ES3_N6thrust23THRUST_200600_302600_NS6detail15normal_iteratorINS9_10device_ptrIiEEEESE_SE_iNS9_4plusIiEE19head_flag_predicateiEE10hipError_tPvRmT2_T3_T4_T5_mT6_T7_P12ihipStream_tbENKUlT_T0_E_clISt17integral_constantIbLb0EESX_IbLb1EEEEDaST_SU_EUlST_E_NS1_11comp_targetILNS1_3genE3ELNS1_11target_archE908ELNS1_3gpuE7ELNS1_3repE0EEENS1_30default_config_static_selectorELNS0_4arch9wavefront6targetE0EEEvT1_,"axG",@progbits,_ZN7rocprim17ROCPRIM_400000_NS6detail17trampoline_kernelINS0_14default_configENS1_27scan_by_key_config_selectorIiiEEZZNS1_16scan_by_key_implILNS1_25lookback_scan_determinismE0ELb1ES3_N6thrust23THRUST_200600_302600_NS6detail15normal_iteratorINS9_10device_ptrIiEEEESE_SE_iNS9_4plusIiEE19head_flag_predicateiEE10hipError_tPvRmT2_T3_T4_T5_mT6_T7_P12ihipStream_tbENKUlT_T0_E_clISt17integral_constantIbLb0EESX_IbLb1EEEEDaST_SU_EUlST_E_NS1_11comp_targetILNS1_3genE3ELNS1_11target_archE908ELNS1_3gpuE7ELNS1_3repE0EEENS1_30default_config_static_selectorELNS0_4arch9wavefront6targetE0EEEvT1_,comdat
	.protected	_ZN7rocprim17ROCPRIM_400000_NS6detail17trampoline_kernelINS0_14default_configENS1_27scan_by_key_config_selectorIiiEEZZNS1_16scan_by_key_implILNS1_25lookback_scan_determinismE0ELb1ES3_N6thrust23THRUST_200600_302600_NS6detail15normal_iteratorINS9_10device_ptrIiEEEESE_SE_iNS9_4plusIiEE19head_flag_predicateiEE10hipError_tPvRmT2_T3_T4_T5_mT6_T7_P12ihipStream_tbENKUlT_T0_E_clISt17integral_constantIbLb0EESX_IbLb1EEEEDaST_SU_EUlST_E_NS1_11comp_targetILNS1_3genE3ELNS1_11target_archE908ELNS1_3gpuE7ELNS1_3repE0EEENS1_30default_config_static_selectorELNS0_4arch9wavefront6targetE0EEEvT1_ ; -- Begin function _ZN7rocprim17ROCPRIM_400000_NS6detail17trampoline_kernelINS0_14default_configENS1_27scan_by_key_config_selectorIiiEEZZNS1_16scan_by_key_implILNS1_25lookback_scan_determinismE0ELb1ES3_N6thrust23THRUST_200600_302600_NS6detail15normal_iteratorINS9_10device_ptrIiEEEESE_SE_iNS9_4plusIiEE19head_flag_predicateiEE10hipError_tPvRmT2_T3_T4_T5_mT6_T7_P12ihipStream_tbENKUlT_T0_E_clISt17integral_constantIbLb0EESX_IbLb1EEEEDaST_SU_EUlST_E_NS1_11comp_targetILNS1_3genE3ELNS1_11target_archE908ELNS1_3gpuE7ELNS1_3repE0EEENS1_30default_config_static_selectorELNS0_4arch9wavefront6targetE0EEEvT1_
	.globl	_ZN7rocprim17ROCPRIM_400000_NS6detail17trampoline_kernelINS0_14default_configENS1_27scan_by_key_config_selectorIiiEEZZNS1_16scan_by_key_implILNS1_25lookback_scan_determinismE0ELb1ES3_N6thrust23THRUST_200600_302600_NS6detail15normal_iteratorINS9_10device_ptrIiEEEESE_SE_iNS9_4plusIiEE19head_flag_predicateiEE10hipError_tPvRmT2_T3_T4_T5_mT6_T7_P12ihipStream_tbENKUlT_T0_E_clISt17integral_constantIbLb0EESX_IbLb1EEEEDaST_SU_EUlST_E_NS1_11comp_targetILNS1_3genE3ELNS1_11target_archE908ELNS1_3gpuE7ELNS1_3repE0EEENS1_30default_config_static_selectorELNS0_4arch9wavefront6targetE0EEEvT1_
	.p2align	8
	.type	_ZN7rocprim17ROCPRIM_400000_NS6detail17trampoline_kernelINS0_14default_configENS1_27scan_by_key_config_selectorIiiEEZZNS1_16scan_by_key_implILNS1_25lookback_scan_determinismE0ELb1ES3_N6thrust23THRUST_200600_302600_NS6detail15normal_iteratorINS9_10device_ptrIiEEEESE_SE_iNS9_4plusIiEE19head_flag_predicateiEE10hipError_tPvRmT2_T3_T4_T5_mT6_T7_P12ihipStream_tbENKUlT_T0_E_clISt17integral_constantIbLb0EESX_IbLb1EEEEDaST_SU_EUlST_E_NS1_11comp_targetILNS1_3genE3ELNS1_11target_archE908ELNS1_3gpuE7ELNS1_3repE0EEENS1_30default_config_static_selectorELNS0_4arch9wavefront6targetE0EEEvT1_,@function
_ZN7rocprim17ROCPRIM_400000_NS6detail17trampoline_kernelINS0_14default_configENS1_27scan_by_key_config_selectorIiiEEZZNS1_16scan_by_key_implILNS1_25lookback_scan_determinismE0ELb1ES3_N6thrust23THRUST_200600_302600_NS6detail15normal_iteratorINS9_10device_ptrIiEEEESE_SE_iNS9_4plusIiEE19head_flag_predicateiEE10hipError_tPvRmT2_T3_T4_T5_mT6_T7_P12ihipStream_tbENKUlT_T0_E_clISt17integral_constantIbLb0EESX_IbLb1EEEEDaST_SU_EUlST_E_NS1_11comp_targetILNS1_3genE3ELNS1_11target_archE908ELNS1_3gpuE7ELNS1_3repE0EEENS1_30default_config_static_selectorELNS0_4arch9wavefront6targetE0EEEvT1_: ; @_ZN7rocprim17ROCPRIM_400000_NS6detail17trampoline_kernelINS0_14default_configENS1_27scan_by_key_config_selectorIiiEEZZNS1_16scan_by_key_implILNS1_25lookback_scan_determinismE0ELb1ES3_N6thrust23THRUST_200600_302600_NS6detail15normal_iteratorINS9_10device_ptrIiEEEESE_SE_iNS9_4plusIiEE19head_flag_predicateiEE10hipError_tPvRmT2_T3_T4_T5_mT6_T7_P12ihipStream_tbENKUlT_T0_E_clISt17integral_constantIbLb0EESX_IbLb1EEEEDaST_SU_EUlST_E_NS1_11comp_targetILNS1_3genE3ELNS1_11target_archE908ELNS1_3gpuE7ELNS1_3repE0EEENS1_30default_config_static_selectorELNS0_4arch9wavefront6targetE0EEEvT1_
; %bb.0:
	.section	.rodata,"a",@progbits
	.p2align	6, 0x0
	.amdhsa_kernel _ZN7rocprim17ROCPRIM_400000_NS6detail17trampoline_kernelINS0_14default_configENS1_27scan_by_key_config_selectorIiiEEZZNS1_16scan_by_key_implILNS1_25lookback_scan_determinismE0ELb1ES3_N6thrust23THRUST_200600_302600_NS6detail15normal_iteratorINS9_10device_ptrIiEEEESE_SE_iNS9_4plusIiEE19head_flag_predicateiEE10hipError_tPvRmT2_T3_T4_T5_mT6_T7_P12ihipStream_tbENKUlT_T0_E_clISt17integral_constantIbLb0EESX_IbLb1EEEEDaST_SU_EUlST_E_NS1_11comp_targetILNS1_3genE3ELNS1_11target_archE908ELNS1_3gpuE7ELNS1_3repE0EEENS1_30default_config_static_selectorELNS0_4arch9wavefront6targetE0EEEvT1_
		.amdhsa_group_segment_fixed_size 0
		.amdhsa_private_segment_fixed_size 0
		.amdhsa_kernarg_size 112
		.amdhsa_user_sgpr_count 6
		.amdhsa_user_sgpr_private_segment_buffer 1
		.amdhsa_user_sgpr_dispatch_ptr 0
		.amdhsa_user_sgpr_queue_ptr 0
		.amdhsa_user_sgpr_kernarg_segment_ptr 1
		.amdhsa_user_sgpr_dispatch_id 0
		.amdhsa_user_sgpr_flat_scratch_init 0
		.amdhsa_user_sgpr_private_segment_size 0
		.amdhsa_wavefront_size32 1
		.amdhsa_uses_dynamic_stack 0
		.amdhsa_system_sgpr_private_segment_wavefront_offset 0
		.amdhsa_system_sgpr_workgroup_id_x 1
		.amdhsa_system_sgpr_workgroup_id_y 0
		.amdhsa_system_sgpr_workgroup_id_z 0
		.amdhsa_system_sgpr_workgroup_info 0
		.amdhsa_system_vgpr_workitem_id 0
		.amdhsa_next_free_vgpr 1
		.amdhsa_next_free_sgpr 1
		.amdhsa_reserve_vcc 0
		.amdhsa_reserve_flat_scratch 0
		.amdhsa_float_round_mode_32 0
		.amdhsa_float_round_mode_16_64 0
		.amdhsa_float_denorm_mode_32 3
		.amdhsa_float_denorm_mode_16_64 3
		.amdhsa_dx10_clamp 1
		.amdhsa_ieee_mode 1
		.amdhsa_fp16_overflow 0
		.amdhsa_workgroup_processor_mode 1
		.amdhsa_memory_ordered 1
		.amdhsa_forward_progress 1
		.amdhsa_shared_vgpr_count 0
		.amdhsa_exception_fp_ieee_invalid_op 0
		.amdhsa_exception_fp_denorm_src 0
		.amdhsa_exception_fp_ieee_div_zero 0
		.amdhsa_exception_fp_ieee_overflow 0
		.amdhsa_exception_fp_ieee_underflow 0
		.amdhsa_exception_fp_ieee_inexact 0
		.amdhsa_exception_int_div_zero 0
	.end_amdhsa_kernel
	.section	.text._ZN7rocprim17ROCPRIM_400000_NS6detail17trampoline_kernelINS0_14default_configENS1_27scan_by_key_config_selectorIiiEEZZNS1_16scan_by_key_implILNS1_25lookback_scan_determinismE0ELb1ES3_N6thrust23THRUST_200600_302600_NS6detail15normal_iteratorINS9_10device_ptrIiEEEESE_SE_iNS9_4plusIiEE19head_flag_predicateiEE10hipError_tPvRmT2_T3_T4_T5_mT6_T7_P12ihipStream_tbENKUlT_T0_E_clISt17integral_constantIbLb0EESX_IbLb1EEEEDaST_SU_EUlST_E_NS1_11comp_targetILNS1_3genE3ELNS1_11target_archE908ELNS1_3gpuE7ELNS1_3repE0EEENS1_30default_config_static_selectorELNS0_4arch9wavefront6targetE0EEEvT1_,"axG",@progbits,_ZN7rocprim17ROCPRIM_400000_NS6detail17trampoline_kernelINS0_14default_configENS1_27scan_by_key_config_selectorIiiEEZZNS1_16scan_by_key_implILNS1_25lookback_scan_determinismE0ELb1ES3_N6thrust23THRUST_200600_302600_NS6detail15normal_iteratorINS9_10device_ptrIiEEEESE_SE_iNS9_4plusIiEE19head_flag_predicateiEE10hipError_tPvRmT2_T3_T4_T5_mT6_T7_P12ihipStream_tbENKUlT_T0_E_clISt17integral_constantIbLb0EESX_IbLb1EEEEDaST_SU_EUlST_E_NS1_11comp_targetILNS1_3genE3ELNS1_11target_archE908ELNS1_3gpuE7ELNS1_3repE0EEENS1_30default_config_static_selectorELNS0_4arch9wavefront6targetE0EEEvT1_,comdat
.Lfunc_end816:
	.size	_ZN7rocprim17ROCPRIM_400000_NS6detail17trampoline_kernelINS0_14default_configENS1_27scan_by_key_config_selectorIiiEEZZNS1_16scan_by_key_implILNS1_25lookback_scan_determinismE0ELb1ES3_N6thrust23THRUST_200600_302600_NS6detail15normal_iteratorINS9_10device_ptrIiEEEESE_SE_iNS9_4plusIiEE19head_flag_predicateiEE10hipError_tPvRmT2_T3_T4_T5_mT6_T7_P12ihipStream_tbENKUlT_T0_E_clISt17integral_constantIbLb0EESX_IbLb1EEEEDaST_SU_EUlST_E_NS1_11comp_targetILNS1_3genE3ELNS1_11target_archE908ELNS1_3gpuE7ELNS1_3repE0EEENS1_30default_config_static_selectorELNS0_4arch9wavefront6targetE0EEEvT1_, .Lfunc_end816-_ZN7rocprim17ROCPRIM_400000_NS6detail17trampoline_kernelINS0_14default_configENS1_27scan_by_key_config_selectorIiiEEZZNS1_16scan_by_key_implILNS1_25lookback_scan_determinismE0ELb1ES3_N6thrust23THRUST_200600_302600_NS6detail15normal_iteratorINS9_10device_ptrIiEEEESE_SE_iNS9_4plusIiEE19head_flag_predicateiEE10hipError_tPvRmT2_T3_T4_T5_mT6_T7_P12ihipStream_tbENKUlT_T0_E_clISt17integral_constantIbLb0EESX_IbLb1EEEEDaST_SU_EUlST_E_NS1_11comp_targetILNS1_3genE3ELNS1_11target_archE908ELNS1_3gpuE7ELNS1_3repE0EEENS1_30default_config_static_selectorELNS0_4arch9wavefront6targetE0EEEvT1_
                                        ; -- End function
	.set _ZN7rocprim17ROCPRIM_400000_NS6detail17trampoline_kernelINS0_14default_configENS1_27scan_by_key_config_selectorIiiEEZZNS1_16scan_by_key_implILNS1_25lookback_scan_determinismE0ELb1ES3_N6thrust23THRUST_200600_302600_NS6detail15normal_iteratorINS9_10device_ptrIiEEEESE_SE_iNS9_4plusIiEE19head_flag_predicateiEE10hipError_tPvRmT2_T3_T4_T5_mT6_T7_P12ihipStream_tbENKUlT_T0_E_clISt17integral_constantIbLb0EESX_IbLb1EEEEDaST_SU_EUlST_E_NS1_11comp_targetILNS1_3genE3ELNS1_11target_archE908ELNS1_3gpuE7ELNS1_3repE0EEENS1_30default_config_static_selectorELNS0_4arch9wavefront6targetE0EEEvT1_.num_vgpr, 0
	.set _ZN7rocprim17ROCPRIM_400000_NS6detail17trampoline_kernelINS0_14default_configENS1_27scan_by_key_config_selectorIiiEEZZNS1_16scan_by_key_implILNS1_25lookback_scan_determinismE0ELb1ES3_N6thrust23THRUST_200600_302600_NS6detail15normal_iteratorINS9_10device_ptrIiEEEESE_SE_iNS9_4plusIiEE19head_flag_predicateiEE10hipError_tPvRmT2_T3_T4_T5_mT6_T7_P12ihipStream_tbENKUlT_T0_E_clISt17integral_constantIbLb0EESX_IbLb1EEEEDaST_SU_EUlST_E_NS1_11comp_targetILNS1_3genE3ELNS1_11target_archE908ELNS1_3gpuE7ELNS1_3repE0EEENS1_30default_config_static_selectorELNS0_4arch9wavefront6targetE0EEEvT1_.num_agpr, 0
	.set _ZN7rocprim17ROCPRIM_400000_NS6detail17trampoline_kernelINS0_14default_configENS1_27scan_by_key_config_selectorIiiEEZZNS1_16scan_by_key_implILNS1_25lookback_scan_determinismE0ELb1ES3_N6thrust23THRUST_200600_302600_NS6detail15normal_iteratorINS9_10device_ptrIiEEEESE_SE_iNS9_4plusIiEE19head_flag_predicateiEE10hipError_tPvRmT2_T3_T4_T5_mT6_T7_P12ihipStream_tbENKUlT_T0_E_clISt17integral_constantIbLb0EESX_IbLb1EEEEDaST_SU_EUlST_E_NS1_11comp_targetILNS1_3genE3ELNS1_11target_archE908ELNS1_3gpuE7ELNS1_3repE0EEENS1_30default_config_static_selectorELNS0_4arch9wavefront6targetE0EEEvT1_.numbered_sgpr, 0
	.set _ZN7rocprim17ROCPRIM_400000_NS6detail17trampoline_kernelINS0_14default_configENS1_27scan_by_key_config_selectorIiiEEZZNS1_16scan_by_key_implILNS1_25lookback_scan_determinismE0ELb1ES3_N6thrust23THRUST_200600_302600_NS6detail15normal_iteratorINS9_10device_ptrIiEEEESE_SE_iNS9_4plusIiEE19head_flag_predicateiEE10hipError_tPvRmT2_T3_T4_T5_mT6_T7_P12ihipStream_tbENKUlT_T0_E_clISt17integral_constantIbLb0EESX_IbLb1EEEEDaST_SU_EUlST_E_NS1_11comp_targetILNS1_3genE3ELNS1_11target_archE908ELNS1_3gpuE7ELNS1_3repE0EEENS1_30default_config_static_selectorELNS0_4arch9wavefront6targetE0EEEvT1_.num_named_barrier, 0
	.set _ZN7rocprim17ROCPRIM_400000_NS6detail17trampoline_kernelINS0_14default_configENS1_27scan_by_key_config_selectorIiiEEZZNS1_16scan_by_key_implILNS1_25lookback_scan_determinismE0ELb1ES3_N6thrust23THRUST_200600_302600_NS6detail15normal_iteratorINS9_10device_ptrIiEEEESE_SE_iNS9_4plusIiEE19head_flag_predicateiEE10hipError_tPvRmT2_T3_T4_T5_mT6_T7_P12ihipStream_tbENKUlT_T0_E_clISt17integral_constantIbLb0EESX_IbLb1EEEEDaST_SU_EUlST_E_NS1_11comp_targetILNS1_3genE3ELNS1_11target_archE908ELNS1_3gpuE7ELNS1_3repE0EEENS1_30default_config_static_selectorELNS0_4arch9wavefront6targetE0EEEvT1_.private_seg_size, 0
	.set _ZN7rocprim17ROCPRIM_400000_NS6detail17trampoline_kernelINS0_14default_configENS1_27scan_by_key_config_selectorIiiEEZZNS1_16scan_by_key_implILNS1_25lookback_scan_determinismE0ELb1ES3_N6thrust23THRUST_200600_302600_NS6detail15normal_iteratorINS9_10device_ptrIiEEEESE_SE_iNS9_4plusIiEE19head_flag_predicateiEE10hipError_tPvRmT2_T3_T4_T5_mT6_T7_P12ihipStream_tbENKUlT_T0_E_clISt17integral_constantIbLb0EESX_IbLb1EEEEDaST_SU_EUlST_E_NS1_11comp_targetILNS1_3genE3ELNS1_11target_archE908ELNS1_3gpuE7ELNS1_3repE0EEENS1_30default_config_static_selectorELNS0_4arch9wavefront6targetE0EEEvT1_.uses_vcc, 0
	.set _ZN7rocprim17ROCPRIM_400000_NS6detail17trampoline_kernelINS0_14default_configENS1_27scan_by_key_config_selectorIiiEEZZNS1_16scan_by_key_implILNS1_25lookback_scan_determinismE0ELb1ES3_N6thrust23THRUST_200600_302600_NS6detail15normal_iteratorINS9_10device_ptrIiEEEESE_SE_iNS9_4plusIiEE19head_flag_predicateiEE10hipError_tPvRmT2_T3_T4_T5_mT6_T7_P12ihipStream_tbENKUlT_T0_E_clISt17integral_constantIbLb0EESX_IbLb1EEEEDaST_SU_EUlST_E_NS1_11comp_targetILNS1_3genE3ELNS1_11target_archE908ELNS1_3gpuE7ELNS1_3repE0EEENS1_30default_config_static_selectorELNS0_4arch9wavefront6targetE0EEEvT1_.uses_flat_scratch, 0
	.set _ZN7rocprim17ROCPRIM_400000_NS6detail17trampoline_kernelINS0_14default_configENS1_27scan_by_key_config_selectorIiiEEZZNS1_16scan_by_key_implILNS1_25lookback_scan_determinismE0ELb1ES3_N6thrust23THRUST_200600_302600_NS6detail15normal_iteratorINS9_10device_ptrIiEEEESE_SE_iNS9_4plusIiEE19head_flag_predicateiEE10hipError_tPvRmT2_T3_T4_T5_mT6_T7_P12ihipStream_tbENKUlT_T0_E_clISt17integral_constantIbLb0EESX_IbLb1EEEEDaST_SU_EUlST_E_NS1_11comp_targetILNS1_3genE3ELNS1_11target_archE908ELNS1_3gpuE7ELNS1_3repE0EEENS1_30default_config_static_selectorELNS0_4arch9wavefront6targetE0EEEvT1_.has_dyn_sized_stack, 0
	.set _ZN7rocprim17ROCPRIM_400000_NS6detail17trampoline_kernelINS0_14default_configENS1_27scan_by_key_config_selectorIiiEEZZNS1_16scan_by_key_implILNS1_25lookback_scan_determinismE0ELb1ES3_N6thrust23THRUST_200600_302600_NS6detail15normal_iteratorINS9_10device_ptrIiEEEESE_SE_iNS9_4plusIiEE19head_flag_predicateiEE10hipError_tPvRmT2_T3_T4_T5_mT6_T7_P12ihipStream_tbENKUlT_T0_E_clISt17integral_constantIbLb0EESX_IbLb1EEEEDaST_SU_EUlST_E_NS1_11comp_targetILNS1_3genE3ELNS1_11target_archE908ELNS1_3gpuE7ELNS1_3repE0EEENS1_30default_config_static_selectorELNS0_4arch9wavefront6targetE0EEEvT1_.has_recursion, 0
	.set _ZN7rocprim17ROCPRIM_400000_NS6detail17trampoline_kernelINS0_14default_configENS1_27scan_by_key_config_selectorIiiEEZZNS1_16scan_by_key_implILNS1_25lookback_scan_determinismE0ELb1ES3_N6thrust23THRUST_200600_302600_NS6detail15normal_iteratorINS9_10device_ptrIiEEEESE_SE_iNS9_4plusIiEE19head_flag_predicateiEE10hipError_tPvRmT2_T3_T4_T5_mT6_T7_P12ihipStream_tbENKUlT_T0_E_clISt17integral_constantIbLb0EESX_IbLb1EEEEDaST_SU_EUlST_E_NS1_11comp_targetILNS1_3genE3ELNS1_11target_archE908ELNS1_3gpuE7ELNS1_3repE0EEENS1_30default_config_static_selectorELNS0_4arch9wavefront6targetE0EEEvT1_.has_indirect_call, 0
	.section	.AMDGPU.csdata,"",@progbits
; Kernel info:
; codeLenInByte = 0
; TotalNumSgprs: 0
; NumVgprs: 0
; ScratchSize: 0
; MemoryBound: 0
; FloatMode: 240
; IeeeMode: 1
; LDSByteSize: 0 bytes/workgroup (compile time only)
; SGPRBlocks: 0
; VGPRBlocks: 0
; NumSGPRsForWavesPerEU: 1
; NumVGPRsForWavesPerEU: 1
; Occupancy: 16
; WaveLimiterHint : 0
; COMPUTE_PGM_RSRC2:SCRATCH_EN: 0
; COMPUTE_PGM_RSRC2:USER_SGPR: 6
; COMPUTE_PGM_RSRC2:TRAP_HANDLER: 0
; COMPUTE_PGM_RSRC2:TGID_X_EN: 1
; COMPUTE_PGM_RSRC2:TGID_Y_EN: 0
; COMPUTE_PGM_RSRC2:TGID_Z_EN: 0
; COMPUTE_PGM_RSRC2:TIDIG_COMP_CNT: 0
	.section	.text._ZN7rocprim17ROCPRIM_400000_NS6detail17trampoline_kernelINS0_14default_configENS1_27scan_by_key_config_selectorIiiEEZZNS1_16scan_by_key_implILNS1_25lookback_scan_determinismE0ELb1ES3_N6thrust23THRUST_200600_302600_NS6detail15normal_iteratorINS9_10device_ptrIiEEEESE_SE_iNS9_4plusIiEE19head_flag_predicateiEE10hipError_tPvRmT2_T3_T4_T5_mT6_T7_P12ihipStream_tbENKUlT_T0_E_clISt17integral_constantIbLb0EESX_IbLb1EEEEDaST_SU_EUlST_E_NS1_11comp_targetILNS1_3genE2ELNS1_11target_archE906ELNS1_3gpuE6ELNS1_3repE0EEENS1_30default_config_static_selectorELNS0_4arch9wavefront6targetE0EEEvT1_,"axG",@progbits,_ZN7rocprim17ROCPRIM_400000_NS6detail17trampoline_kernelINS0_14default_configENS1_27scan_by_key_config_selectorIiiEEZZNS1_16scan_by_key_implILNS1_25lookback_scan_determinismE0ELb1ES3_N6thrust23THRUST_200600_302600_NS6detail15normal_iteratorINS9_10device_ptrIiEEEESE_SE_iNS9_4plusIiEE19head_flag_predicateiEE10hipError_tPvRmT2_T3_T4_T5_mT6_T7_P12ihipStream_tbENKUlT_T0_E_clISt17integral_constantIbLb0EESX_IbLb1EEEEDaST_SU_EUlST_E_NS1_11comp_targetILNS1_3genE2ELNS1_11target_archE906ELNS1_3gpuE6ELNS1_3repE0EEENS1_30default_config_static_selectorELNS0_4arch9wavefront6targetE0EEEvT1_,comdat
	.protected	_ZN7rocprim17ROCPRIM_400000_NS6detail17trampoline_kernelINS0_14default_configENS1_27scan_by_key_config_selectorIiiEEZZNS1_16scan_by_key_implILNS1_25lookback_scan_determinismE0ELb1ES3_N6thrust23THRUST_200600_302600_NS6detail15normal_iteratorINS9_10device_ptrIiEEEESE_SE_iNS9_4plusIiEE19head_flag_predicateiEE10hipError_tPvRmT2_T3_T4_T5_mT6_T7_P12ihipStream_tbENKUlT_T0_E_clISt17integral_constantIbLb0EESX_IbLb1EEEEDaST_SU_EUlST_E_NS1_11comp_targetILNS1_3genE2ELNS1_11target_archE906ELNS1_3gpuE6ELNS1_3repE0EEENS1_30default_config_static_selectorELNS0_4arch9wavefront6targetE0EEEvT1_ ; -- Begin function _ZN7rocprim17ROCPRIM_400000_NS6detail17trampoline_kernelINS0_14default_configENS1_27scan_by_key_config_selectorIiiEEZZNS1_16scan_by_key_implILNS1_25lookback_scan_determinismE0ELb1ES3_N6thrust23THRUST_200600_302600_NS6detail15normal_iteratorINS9_10device_ptrIiEEEESE_SE_iNS9_4plusIiEE19head_flag_predicateiEE10hipError_tPvRmT2_T3_T4_T5_mT6_T7_P12ihipStream_tbENKUlT_T0_E_clISt17integral_constantIbLb0EESX_IbLb1EEEEDaST_SU_EUlST_E_NS1_11comp_targetILNS1_3genE2ELNS1_11target_archE906ELNS1_3gpuE6ELNS1_3repE0EEENS1_30default_config_static_selectorELNS0_4arch9wavefront6targetE0EEEvT1_
	.globl	_ZN7rocprim17ROCPRIM_400000_NS6detail17trampoline_kernelINS0_14default_configENS1_27scan_by_key_config_selectorIiiEEZZNS1_16scan_by_key_implILNS1_25lookback_scan_determinismE0ELb1ES3_N6thrust23THRUST_200600_302600_NS6detail15normal_iteratorINS9_10device_ptrIiEEEESE_SE_iNS9_4plusIiEE19head_flag_predicateiEE10hipError_tPvRmT2_T3_T4_T5_mT6_T7_P12ihipStream_tbENKUlT_T0_E_clISt17integral_constantIbLb0EESX_IbLb1EEEEDaST_SU_EUlST_E_NS1_11comp_targetILNS1_3genE2ELNS1_11target_archE906ELNS1_3gpuE6ELNS1_3repE0EEENS1_30default_config_static_selectorELNS0_4arch9wavefront6targetE0EEEvT1_
	.p2align	8
	.type	_ZN7rocprim17ROCPRIM_400000_NS6detail17trampoline_kernelINS0_14default_configENS1_27scan_by_key_config_selectorIiiEEZZNS1_16scan_by_key_implILNS1_25lookback_scan_determinismE0ELb1ES3_N6thrust23THRUST_200600_302600_NS6detail15normal_iteratorINS9_10device_ptrIiEEEESE_SE_iNS9_4plusIiEE19head_flag_predicateiEE10hipError_tPvRmT2_T3_T4_T5_mT6_T7_P12ihipStream_tbENKUlT_T0_E_clISt17integral_constantIbLb0EESX_IbLb1EEEEDaST_SU_EUlST_E_NS1_11comp_targetILNS1_3genE2ELNS1_11target_archE906ELNS1_3gpuE6ELNS1_3repE0EEENS1_30default_config_static_selectorELNS0_4arch9wavefront6targetE0EEEvT1_,@function
_ZN7rocprim17ROCPRIM_400000_NS6detail17trampoline_kernelINS0_14default_configENS1_27scan_by_key_config_selectorIiiEEZZNS1_16scan_by_key_implILNS1_25lookback_scan_determinismE0ELb1ES3_N6thrust23THRUST_200600_302600_NS6detail15normal_iteratorINS9_10device_ptrIiEEEESE_SE_iNS9_4plusIiEE19head_flag_predicateiEE10hipError_tPvRmT2_T3_T4_T5_mT6_T7_P12ihipStream_tbENKUlT_T0_E_clISt17integral_constantIbLb0EESX_IbLb1EEEEDaST_SU_EUlST_E_NS1_11comp_targetILNS1_3genE2ELNS1_11target_archE906ELNS1_3gpuE6ELNS1_3repE0EEENS1_30default_config_static_selectorELNS0_4arch9wavefront6targetE0EEEvT1_: ; @_ZN7rocprim17ROCPRIM_400000_NS6detail17trampoline_kernelINS0_14default_configENS1_27scan_by_key_config_selectorIiiEEZZNS1_16scan_by_key_implILNS1_25lookback_scan_determinismE0ELb1ES3_N6thrust23THRUST_200600_302600_NS6detail15normal_iteratorINS9_10device_ptrIiEEEESE_SE_iNS9_4plusIiEE19head_flag_predicateiEE10hipError_tPvRmT2_T3_T4_T5_mT6_T7_P12ihipStream_tbENKUlT_T0_E_clISt17integral_constantIbLb0EESX_IbLb1EEEEDaST_SU_EUlST_E_NS1_11comp_targetILNS1_3genE2ELNS1_11target_archE906ELNS1_3gpuE6ELNS1_3repE0EEENS1_30default_config_static_selectorELNS0_4arch9wavefront6targetE0EEEvT1_
; %bb.0:
	.section	.rodata,"a",@progbits
	.p2align	6, 0x0
	.amdhsa_kernel _ZN7rocprim17ROCPRIM_400000_NS6detail17trampoline_kernelINS0_14default_configENS1_27scan_by_key_config_selectorIiiEEZZNS1_16scan_by_key_implILNS1_25lookback_scan_determinismE0ELb1ES3_N6thrust23THRUST_200600_302600_NS6detail15normal_iteratorINS9_10device_ptrIiEEEESE_SE_iNS9_4plusIiEE19head_flag_predicateiEE10hipError_tPvRmT2_T3_T4_T5_mT6_T7_P12ihipStream_tbENKUlT_T0_E_clISt17integral_constantIbLb0EESX_IbLb1EEEEDaST_SU_EUlST_E_NS1_11comp_targetILNS1_3genE2ELNS1_11target_archE906ELNS1_3gpuE6ELNS1_3repE0EEENS1_30default_config_static_selectorELNS0_4arch9wavefront6targetE0EEEvT1_
		.amdhsa_group_segment_fixed_size 0
		.amdhsa_private_segment_fixed_size 0
		.amdhsa_kernarg_size 112
		.amdhsa_user_sgpr_count 6
		.amdhsa_user_sgpr_private_segment_buffer 1
		.amdhsa_user_sgpr_dispatch_ptr 0
		.amdhsa_user_sgpr_queue_ptr 0
		.amdhsa_user_sgpr_kernarg_segment_ptr 1
		.amdhsa_user_sgpr_dispatch_id 0
		.amdhsa_user_sgpr_flat_scratch_init 0
		.amdhsa_user_sgpr_private_segment_size 0
		.amdhsa_wavefront_size32 1
		.amdhsa_uses_dynamic_stack 0
		.amdhsa_system_sgpr_private_segment_wavefront_offset 0
		.amdhsa_system_sgpr_workgroup_id_x 1
		.amdhsa_system_sgpr_workgroup_id_y 0
		.amdhsa_system_sgpr_workgroup_id_z 0
		.amdhsa_system_sgpr_workgroup_info 0
		.amdhsa_system_vgpr_workitem_id 0
		.amdhsa_next_free_vgpr 1
		.amdhsa_next_free_sgpr 1
		.amdhsa_reserve_vcc 0
		.amdhsa_reserve_flat_scratch 0
		.amdhsa_float_round_mode_32 0
		.amdhsa_float_round_mode_16_64 0
		.amdhsa_float_denorm_mode_32 3
		.amdhsa_float_denorm_mode_16_64 3
		.amdhsa_dx10_clamp 1
		.amdhsa_ieee_mode 1
		.amdhsa_fp16_overflow 0
		.amdhsa_workgroup_processor_mode 1
		.amdhsa_memory_ordered 1
		.amdhsa_forward_progress 1
		.amdhsa_shared_vgpr_count 0
		.amdhsa_exception_fp_ieee_invalid_op 0
		.amdhsa_exception_fp_denorm_src 0
		.amdhsa_exception_fp_ieee_div_zero 0
		.amdhsa_exception_fp_ieee_overflow 0
		.amdhsa_exception_fp_ieee_underflow 0
		.amdhsa_exception_fp_ieee_inexact 0
		.amdhsa_exception_int_div_zero 0
	.end_amdhsa_kernel
	.section	.text._ZN7rocprim17ROCPRIM_400000_NS6detail17trampoline_kernelINS0_14default_configENS1_27scan_by_key_config_selectorIiiEEZZNS1_16scan_by_key_implILNS1_25lookback_scan_determinismE0ELb1ES3_N6thrust23THRUST_200600_302600_NS6detail15normal_iteratorINS9_10device_ptrIiEEEESE_SE_iNS9_4plusIiEE19head_flag_predicateiEE10hipError_tPvRmT2_T3_T4_T5_mT6_T7_P12ihipStream_tbENKUlT_T0_E_clISt17integral_constantIbLb0EESX_IbLb1EEEEDaST_SU_EUlST_E_NS1_11comp_targetILNS1_3genE2ELNS1_11target_archE906ELNS1_3gpuE6ELNS1_3repE0EEENS1_30default_config_static_selectorELNS0_4arch9wavefront6targetE0EEEvT1_,"axG",@progbits,_ZN7rocprim17ROCPRIM_400000_NS6detail17trampoline_kernelINS0_14default_configENS1_27scan_by_key_config_selectorIiiEEZZNS1_16scan_by_key_implILNS1_25lookback_scan_determinismE0ELb1ES3_N6thrust23THRUST_200600_302600_NS6detail15normal_iteratorINS9_10device_ptrIiEEEESE_SE_iNS9_4plusIiEE19head_flag_predicateiEE10hipError_tPvRmT2_T3_T4_T5_mT6_T7_P12ihipStream_tbENKUlT_T0_E_clISt17integral_constantIbLb0EESX_IbLb1EEEEDaST_SU_EUlST_E_NS1_11comp_targetILNS1_3genE2ELNS1_11target_archE906ELNS1_3gpuE6ELNS1_3repE0EEENS1_30default_config_static_selectorELNS0_4arch9wavefront6targetE0EEEvT1_,comdat
.Lfunc_end817:
	.size	_ZN7rocprim17ROCPRIM_400000_NS6detail17trampoline_kernelINS0_14default_configENS1_27scan_by_key_config_selectorIiiEEZZNS1_16scan_by_key_implILNS1_25lookback_scan_determinismE0ELb1ES3_N6thrust23THRUST_200600_302600_NS6detail15normal_iteratorINS9_10device_ptrIiEEEESE_SE_iNS9_4plusIiEE19head_flag_predicateiEE10hipError_tPvRmT2_T3_T4_T5_mT6_T7_P12ihipStream_tbENKUlT_T0_E_clISt17integral_constantIbLb0EESX_IbLb1EEEEDaST_SU_EUlST_E_NS1_11comp_targetILNS1_3genE2ELNS1_11target_archE906ELNS1_3gpuE6ELNS1_3repE0EEENS1_30default_config_static_selectorELNS0_4arch9wavefront6targetE0EEEvT1_, .Lfunc_end817-_ZN7rocprim17ROCPRIM_400000_NS6detail17trampoline_kernelINS0_14default_configENS1_27scan_by_key_config_selectorIiiEEZZNS1_16scan_by_key_implILNS1_25lookback_scan_determinismE0ELb1ES3_N6thrust23THRUST_200600_302600_NS6detail15normal_iteratorINS9_10device_ptrIiEEEESE_SE_iNS9_4plusIiEE19head_flag_predicateiEE10hipError_tPvRmT2_T3_T4_T5_mT6_T7_P12ihipStream_tbENKUlT_T0_E_clISt17integral_constantIbLb0EESX_IbLb1EEEEDaST_SU_EUlST_E_NS1_11comp_targetILNS1_3genE2ELNS1_11target_archE906ELNS1_3gpuE6ELNS1_3repE0EEENS1_30default_config_static_selectorELNS0_4arch9wavefront6targetE0EEEvT1_
                                        ; -- End function
	.set _ZN7rocprim17ROCPRIM_400000_NS6detail17trampoline_kernelINS0_14default_configENS1_27scan_by_key_config_selectorIiiEEZZNS1_16scan_by_key_implILNS1_25lookback_scan_determinismE0ELb1ES3_N6thrust23THRUST_200600_302600_NS6detail15normal_iteratorINS9_10device_ptrIiEEEESE_SE_iNS9_4plusIiEE19head_flag_predicateiEE10hipError_tPvRmT2_T3_T4_T5_mT6_T7_P12ihipStream_tbENKUlT_T0_E_clISt17integral_constantIbLb0EESX_IbLb1EEEEDaST_SU_EUlST_E_NS1_11comp_targetILNS1_3genE2ELNS1_11target_archE906ELNS1_3gpuE6ELNS1_3repE0EEENS1_30default_config_static_selectorELNS0_4arch9wavefront6targetE0EEEvT1_.num_vgpr, 0
	.set _ZN7rocprim17ROCPRIM_400000_NS6detail17trampoline_kernelINS0_14default_configENS1_27scan_by_key_config_selectorIiiEEZZNS1_16scan_by_key_implILNS1_25lookback_scan_determinismE0ELb1ES3_N6thrust23THRUST_200600_302600_NS6detail15normal_iteratorINS9_10device_ptrIiEEEESE_SE_iNS9_4plusIiEE19head_flag_predicateiEE10hipError_tPvRmT2_T3_T4_T5_mT6_T7_P12ihipStream_tbENKUlT_T0_E_clISt17integral_constantIbLb0EESX_IbLb1EEEEDaST_SU_EUlST_E_NS1_11comp_targetILNS1_3genE2ELNS1_11target_archE906ELNS1_3gpuE6ELNS1_3repE0EEENS1_30default_config_static_selectorELNS0_4arch9wavefront6targetE0EEEvT1_.num_agpr, 0
	.set _ZN7rocprim17ROCPRIM_400000_NS6detail17trampoline_kernelINS0_14default_configENS1_27scan_by_key_config_selectorIiiEEZZNS1_16scan_by_key_implILNS1_25lookback_scan_determinismE0ELb1ES3_N6thrust23THRUST_200600_302600_NS6detail15normal_iteratorINS9_10device_ptrIiEEEESE_SE_iNS9_4plusIiEE19head_flag_predicateiEE10hipError_tPvRmT2_T3_T4_T5_mT6_T7_P12ihipStream_tbENKUlT_T0_E_clISt17integral_constantIbLb0EESX_IbLb1EEEEDaST_SU_EUlST_E_NS1_11comp_targetILNS1_3genE2ELNS1_11target_archE906ELNS1_3gpuE6ELNS1_3repE0EEENS1_30default_config_static_selectorELNS0_4arch9wavefront6targetE0EEEvT1_.numbered_sgpr, 0
	.set _ZN7rocprim17ROCPRIM_400000_NS6detail17trampoline_kernelINS0_14default_configENS1_27scan_by_key_config_selectorIiiEEZZNS1_16scan_by_key_implILNS1_25lookback_scan_determinismE0ELb1ES3_N6thrust23THRUST_200600_302600_NS6detail15normal_iteratorINS9_10device_ptrIiEEEESE_SE_iNS9_4plusIiEE19head_flag_predicateiEE10hipError_tPvRmT2_T3_T4_T5_mT6_T7_P12ihipStream_tbENKUlT_T0_E_clISt17integral_constantIbLb0EESX_IbLb1EEEEDaST_SU_EUlST_E_NS1_11comp_targetILNS1_3genE2ELNS1_11target_archE906ELNS1_3gpuE6ELNS1_3repE0EEENS1_30default_config_static_selectorELNS0_4arch9wavefront6targetE0EEEvT1_.num_named_barrier, 0
	.set _ZN7rocprim17ROCPRIM_400000_NS6detail17trampoline_kernelINS0_14default_configENS1_27scan_by_key_config_selectorIiiEEZZNS1_16scan_by_key_implILNS1_25lookback_scan_determinismE0ELb1ES3_N6thrust23THRUST_200600_302600_NS6detail15normal_iteratorINS9_10device_ptrIiEEEESE_SE_iNS9_4plusIiEE19head_flag_predicateiEE10hipError_tPvRmT2_T3_T4_T5_mT6_T7_P12ihipStream_tbENKUlT_T0_E_clISt17integral_constantIbLb0EESX_IbLb1EEEEDaST_SU_EUlST_E_NS1_11comp_targetILNS1_3genE2ELNS1_11target_archE906ELNS1_3gpuE6ELNS1_3repE0EEENS1_30default_config_static_selectorELNS0_4arch9wavefront6targetE0EEEvT1_.private_seg_size, 0
	.set _ZN7rocprim17ROCPRIM_400000_NS6detail17trampoline_kernelINS0_14default_configENS1_27scan_by_key_config_selectorIiiEEZZNS1_16scan_by_key_implILNS1_25lookback_scan_determinismE0ELb1ES3_N6thrust23THRUST_200600_302600_NS6detail15normal_iteratorINS9_10device_ptrIiEEEESE_SE_iNS9_4plusIiEE19head_flag_predicateiEE10hipError_tPvRmT2_T3_T4_T5_mT6_T7_P12ihipStream_tbENKUlT_T0_E_clISt17integral_constantIbLb0EESX_IbLb1EEEEDaST_SU_EUlST_E_NS1_11comp_targetILNS1_3genE2ELNS1_11target_archE906ELNS1_3gpuE6ELNS1_3repE0EEENS1_30default_config_static_selectorELNS0_4arch9wavefront6targetE0EEEvT1_.uses_vcc, 0
	.set _ZN7rocprim17ROCPRIM_400000_NS6detail17trampoline_kernelINS0_14default_configENS1_27scan_by_key_config_selectorIiiEEZZNS1_16scan_by_key_implILNS1_25lookback_scan_determinismE0ELb1ES3_N6thrust23THRUST_200600_302600_NS6detail15normal_iteratorINS9_10device_ptrIiEEEESE_SE_iNS9_4plusIiEE19head_flag_predicateiEE10hipError_tPvRmT2_T3_T4_T5_mT6_T7_P12ihipStream_tbENKUlT_T0_E_clISt17integral_constantIbLb0EESX_IbLb1EEEEDaST_SU_EUlST_E_NS1_11comp_targetILNS1_3genE2ELNS1_11target_archE906ELNS1_3gpuE6ELNS1_3repE0EEENS1_30default_config_static_selectorELNS0_4arch9wavefront6targetE0EEEvT1_.uses_flat_scratch, 0
	.set _ZN7rocprim17ROCPRIM_400000_NS6detail17trampoline_kernelINS0_14default_configENS1_27scan_by_key_config_selectorIiiEEZZNS1_16scan_by_key_implILNS1_25lookback_scan_determinismE0ELb1ES3_N6thrust23THRUST_200600_302600_NS6detail15normal_iteratorINS9_10device_ptrIiEEEESE_SE_iNS9_4plusIiEE19head_flag_predicateiEE10hipError_tPvRmT2_T3_T4_T5_mT6_T7_P12ihipStream_tbENKUlT_T0_E_clISt17integral_constantIbLb0EESX_IbLb1EEEEDaST_SU_EUlST_E_NS1_11comp_targetILNS1_3genE2ELNS1_11target_archE906ELNS1_3gpuE6ELNS1_3repE0EEENS1_30default_config_static_selectorELNS0_4arch9wavefront6targetE0EEEvT1_.has_dyn_sized_stack, 0
	.set _ZN7rocprim17ROCPRIM_400000_NS6detail17trampoline_kernelINS0_14default_configENS1_27scan_by_key_config_selectorIiiEEZZNS1_16scan_by_key_implILNS1_25lookback_scan_determinismE0ELb1ES3_N6thrust23THRUST_200600_302600_NS6detail15normal_iteratorINS9_10device_ptrIiEEEESE_SE_iNS9_4plusIiEE19head_flag_predicateiEE10hipError_tPvRmT2_T3_T4_T5_mT6_T7_P12ihipStream_tbENKUlT_T0_E_clISt17integral_constantIbLb0EESX_IbLb1EEEEDaST_SU_EUlST_E_NS1_11comp_targetILNS1_3genE2ELNS1_11target_archE906ELNS1_3gpuE6ELNS1_3repE0EEENS1_30default_config_static_selectorELNS0_4arch9wavefront6targetE0EEEvT1_.has_recursion, 0
	.set _ZN7rocprim17ROCPRIM_400000_NS6detail17trampoline_kernelINS0_14default_configENS1_27scan_by_key_config_selectorIiiEEZZNS1_16scan_by_key_implILNS1_25lookback_scan_determinismE0ELb1ES3_N6thrust23THRUST_200600_302600_NS6detail15normal_iteratorINS9_10device_ptrIiEEEESE_SE_iNS9_4plusIiEE19head_flag_predicateiEE10hipError_tPvRmT2_T3_T4_T5_mT6_T7_P12ihipStream_tbENKUlT_T0_E_clISt17integral_constantIbLb0EESX_IbLb1EEEEDaST_SU_EUlST_E_NS1_11comp_targetILNS1_3genE2ELNS1_11target_archE906ELNS1_3gpuE6ELNS1_3repE0EEENS1_30default_config_static_selectorELNS0_4arch9wavefront6targetE0EEEvT1_.has_indirect_call, 0
	.section	.AMDGPU.csdata,"",@progbits
; Kernel info:
; codeLenInByte = 0
; TotalNumSgprs: 0
; NumVgprs: 0
; ScratchSize: 0
; MemoryBound: 0
; FloatMode: 240
; IeeeMode: 1
; LDSByteSize: 0 bytes/workgroup (compile time only)
; SGPRBlocks: 0
; VGPRBlocks: 0
; NumSGPRsForWavesPerEU: 1
; NumVGPRsForWavesPerEU: 1
; Occupancy: 16
; WaveLimiterHint : 0
; COMPUTE_PGM_RSRC2:SCRATCH_EN: 0
; COMPUTE_PGM_RSRC2:USER_SGPR: 6
; COMPUTE_PGM_RSRC2:TRAP_HANDLER: 0
; COMPUTE_PGM_RSRC2:TGID_X_EN: 1
; COMPUTE_PGM_RSRC2:TGID_Y_EN: 0
; COMPUTE_PGM_RSRC2:TGID_Z_EN: 0
; COMPUTE_PGM_RSRC2:TIDIG_COMP_CNT: 0
	.section	.text._ZN7rocprim17ROCPRIM_400000_NS6detail17trampoline_kernelINS0_14default_configENS1_27scan_by_key_config_selectorIiiEEZZNS1_16scan_by_key_implILNS1_25lookback_scan_determinismE0ELb1ES3_N6thrust23THRUST_200600_302600_NS6detail15normal_iteratorINS9_10device_ptrIiEEEESE_SE_iNS9_4plusIiEE19head_flag_predicateiEE10hipError_tPvRmT2_T3_T4_T5_mT6_T7_P12ihipStream_tbENKUlT_T0_E_clISt17integral_constantIbLb0EESX_IbLb1EEEEDaST_SU_EUlST_E_NS1_11comp_targetILNS1_3genE10ELNS1_11target_archE1200ELNS1_3gpuE4ELNS1_3repE0EEENS1_30default_config_static_selectorELNS0_4arch9wavefront6targetE0EEEvT1_,"axG",@progbits,_ZN7rocprim17ROCPRIM_400000_NS6detail17trampoline_kernelINS0_14default_configENS1_27scan_by_key_config_selectorIiiEEZZNS1_16scan_by_key_implILNS1_25lookback_scan_determinismE0ELb1ES3_N6thrust23THRUST_200600_302600_NS6detail15normal_iteratorINS9_10device_ptrIiEEEESE_SE_iNS9_4plusIiEE19head_flag_predicateiEE10hipError_tPvRmT2_T3_T4_T5_mT6_T7_P12ihipStream_tbENKUlT_T0_E_clISt17integral_constantIbLb0EESX_IbLb1EEEEDaST_SU_EUlST_E_NS1_11comp_targetILNS1_3genE10ELNS1_11target_archE1200ELNS1_3gpuE4ELNS1_3repE0EEENS1_30default_config_static_selectorELNS0_4arch9wavefront6targetE0EEEvT1_,comdat
	.protected	_ZN7rocprim17ROCPRIM_400000_NS6detail17trampoline_kernelINS0_14default_configENS1_27scan_by_key_config_selectorIiiEEZZNS1_16scan_by_key_implILNS1_25lookback_scan_determinismE0ELb1ES3_N6thrust23THRUST_200600_302600_NS6detail15normal_iteratorINS9_10device_ptrIiEEEESE_SE_iNS9_4plusIiEE19head_flag_predicateiEE10hipError_tPvRmT2_T3_T4_T5_mT6_T7_P12ihipStream_tbENKUlT_T0_E_clISt17integral_constantIbLb0EESX_IbLb1EEEEDaST_SU_EUlST_E_NS1_11comp_targetILNS1_3genE10ELNS1_11target_archE1200ELNS1_3gpuE4ELNS1_3repE0EEENS1_30default_config_static_selectorELNS0_4arch9wavefront6targetE0EEEvT1_ ; -- Begin function _ZN7rocprim17ROCPRIM_400000_NS6detail17trampoline_kernelINS0_14default_configENS1_27scan_by_key_config_selectorIiiEEZZNS1_16scan_by_key_implILNS1_25lookback_scan_determinismE0ELb1ES3_N6thrust23THRUST_200600_302600_NS6detail15normal_iteratorINS9_10device_ptrIiEEEESE_SE_iNS9_4plusIiEE19head_flag_predicateiEE10hipError_tPvRmT2_T3_T4_T5_mT6_T7_P12ihipStream_tbENKUlT_T0_E_clISt17integral_constantIbLb0EESX_IbLb1EEEEDaST_SU_EUlST_E_NS1_11comp_targetILNS1_3genE10ELNS1_11target_archE1200ELNS1_3gpuE4ELNS1_3repE0EEENS1_30default_config_static_selectorELNS0_4arch9wavefront6targetE0EEEvT1_
	.globl	_ZN7rocprim17ROCPRIM_400000_NS6detail17trampoline_kernelINS0_14default_configENS1_27scan_by_key_config_selectorIiiEEZZNS1_16scan_by_key_implILNS1_25lookback_scan_determinismE0ELb1ES3_N6thrust23THRUST_200600_302600_NS6detail15normal_iteratorINS9_10device_ptrIiEEEESE_SE_iNS9_4plusIiEE19head_flag_predicateiEE10hipError_tPvRmT2_T3_T4_T5_mT6_T7_P12ihipStream_tbENKUlT_T0_E_clISt17integral_constantIbLb0EESX_IbLb1EEEEDaST_SU_EUlST_E_NS1_11comp_targetILNS1_3genE10ELNS1_11target_archE1200ELNS1_3gpuE4ELNS1_3repE0EEENS1_30default_config_static_selectorELNS0_4arch9wavefront6targetE0EEEvT1_
	.p2align	8
	.type	_ZN7rocprim17ROCPRIM_400000_NS6detail17trampoline_kernelINS0_14default_configENS1_27scan_by_key_config_selectorIiiEEZZNS1_16scan_by_key_implILNS1_25lookback_scan_determinismE0ELb1ES3_N6thrust23THRUST_200600_302600_NS6detail15normal_iteratorINS9_10device_ptrIiEEEESE_SE_iNS9_4plusIiEE19head_flag_predicateiEE10hipError_tPvRmT2_T3_T4_T5_mT6_T7_P12ihipStream_tbENKUlT_T0_E_clISt17integral_constantIbLb0EESX_IbLb1EEEEDaST_SU_EUlST_E_NS1_11comp_targetILNS1_3genE10ELNS1_11target_archE1200ELNS1_3gpuE4ELNS1_3repE0EEENS1_30default_config_static_selectorELNS0_4arch9wavefront6targetE0EEEvT1_,@function
_ZN7rocprim17ROCPRIM_400000_NS6detail17trampoline_kernelINS0_14default_configENS1_27scan_by_key_config_selectorIiiEEZZNS1_16scan_by_key_implILNS1_25lookback_scan_determinismE0ELb1ES3_N6thrust23THRUST_200600_302600_NS6detail15normal_iteratorINS9_10device_ptrIiEEEESE_SE_iNS9_4plusIiEE19head_flag_predicateiEE10hipError_tPvRmT2_T3_T4_T5_mT6_T7_P12ihipStream_tbENKUlT_T0_E_clISt17integral_constantIbLb0EESX_IbLb1EEEEDaST_SU_EUlST_E_NS1_11comp_targetILNS1_3genE10ELNS1_11target_archE1200ELNS1_3gpuE4ELNS1_3repE0EEENS1_30default_config_static_selectorELNS0_4arch9wavefront6targetE0EEEvT1_: ; @_ZN7rocprim17ROCPRIM_400000_NS6detail17trampoline_kernelINS0_14default_configENS1_27scan_by_key_config_selectorIiiEEZZNS1_16scan_by_key_implILNS1_25lookback_scan_determinismE0ELb1ES3_N6thrust23THRUST_200600_302600_NS6detail15normal_iteratorINS9_10device_ptrIiEEEESE_SE_iNS9_4plusIiEE19head_flag_predicateiEE10hipError_tPvRmT2_T3_T4_T5_mT6_T7_P12ihipStream_tbENKUlT_T0_E_clISt17integral_constantIbLb0EESX_IbLb1EEEEDaST_SU_EUlST_E_NS1_11comp_targetILNS1_3genE10ELNS1_11target_archE1200ELNS1_3gpuE4ELNS1_3repE0EEENS1_30default_config_static_selectorELNS0_4arch9wavefront6targetE0EEEvT1_
; %bb.0:
	.section	.rodata,"a",@progbits
	.p2align	6, 0x0
	.amdhsa_kernel _ZN7rocprim17ROCPRIM_400000_NS6detail17trampoline_kernelINS0_14default_configENS1_27scan_by_key_config_selectorIiiEEZZNS1_16scan_by_key_implILNS1_25lookback_scan_determinismE0ELb1ES3_N6thrust23THRUST_200600_302600_NS6detail15normal_iteratorINS9_10device_ptrIiEEEESE_SE_iNS9_4plusIiEE19head_flag_predicateiEE10hipError_tPvRmT2_T3_T4_T5_mT6_T7_P12ihipStream_tbENKUlT_T0_E_clISt17integral_constantIbLb0EESX_IbLb1EEEEDaST_SU_EUlST_E_NS1_11comp_targetILNS1_3genE10ELNS1_11target_archE1200ELNS1_3gpuE4ELNS1_3repE0EEENS1_30default_config_static_selectorELNS0_4arch9wavefront6targetE0EEEvT1_
		.amdhsa_group_segment_fixed_size 0
		.amdhsa_private_segment_fixed_size 0
		.amdhsa_kernarg_size 112
		.amdhsa_user_sgpr_count 6
		.amdhsa_user_sgpr_private_segment_buffer 1
		.amdhsa_user_sgpr_dispatch_ptr 0
		.amdhsa_user_sgpr_queue_ptr 0
		.amdhsa_user_sgpr_kernarg_segment_ptr 1
		.amdhsa_user_sgpr_dispatch_id 0
		.amdhsa_user_sgpr_flat_scratch_init 0
		.amdhsa_user_sgpr_private_segment_size 0
		.amdhsa_wavefront_size32 1
		.amdhsa_uses_dynamic_stack 0
		.amdhsa_system_sgpr_private_segment_wavefront_offset 0
		.amdhsa_system_sgpr_workgroup_id_x 1
		.amdhsa_system_sgpr_workgroup_id_y 0
		.amdhsa_system_sgpr_workgroup_id_z 0
		.amdhsa_system_sgpr_workgroup_info 0
		.amdhsa_system_vgpr_workitem_id 0
		.amdhsa_next_free_vgpr 1
		.amdhsa_next_free_sgpr 1
		.amdhsa_reserve_vcc 0
		.amdhsa_reserve_flat_scratch 0
		.amdhsa_float_round_mode_32 0
		.amdhsa_float_round_mode_16_64 0
		.amdhsa_float_denorm_mode_32 3
		.amdhsa_float_denorm_mode_16_64 3
		.amdhsa_dx10_clamp 1
		.amdhsa_ieee_mode 1
		.amdhsa_fp16_overflow 0
		.amdhsa_workgroup_processor_mode 1
		.amdhsa_memory_ordered 1
		.amdhsa_forward_progress 1
		.amdhsa_shared_vgpr_count 0
		.amdhsa_exception_fp_ieee_invalid_op 0
		.amdhsa_exception_fp_denorm_src 0
		.amdhsa_exception_fp_ieee_div_zero 0
		.amdhsa_exception_fp_ieee_overflow 0
		.amdhsa_exception_fp_ieee_underflow 0
		.amdhsa_exception_fp_ieee_inexact 0
		.amdhsa_exception_int_div_zero 0
	.end_amdhsa_kernel
	.section	.text._ZN7rocprim17ROCPRIM_400000_NS6detail17trampoline_kernelINS0_14default_configENS1_27scan_by_key_config_selectorIiiEEZZNS1_16scan_by_key_implILNS1_25lookback_scan_determinismE0ELb1ES3_N6thrust23THRUST_200600_302600_NS6detail15normal_iteratorINS9_10device_ptrIiEEEESE_SE_iNS9_4plusIiEE19head_flag_predicateiEE10hipError_tPvRmT2_T3_T4_T5_mT6_T7_P12ihipStream_tbENKUlT_T0_E_clISt17integral_constantIbLb0EESX_IbLb1EEEEDaST_SU_EUlST_E_NS1_11comp_targetILNS1_3genE10ELNS1_11target_archE1200ELNS1_3gpuE4ELNS1_3repE0EEENS1_30default_config_static_selectorELNS0_4arch9wavefront6targetE0EEEvT1_,"axG",@progbits,_ZN7rocprim17ROCPRIM_400000_NS6detail17trampoline_kernelINS0_14default_configENS1_27scan_by_key_config_selectorIiiEEZZNS1_16scan_by_key_implILNS1_25lookback_scan_determinismE0ELb1ES3_N6thrust23THRUST_200600_302600_NS6detail15normal_iteratorINS9_10device_ptrIiEEEESE_SE_iNS9_4plusIiEE19head_flag_predicateiEE10hipError_tPvRmT2_T3_T4_T5_mT6_T7_P12ihipStream_tbENKUlT_T0_E_clISt17integral_constantIbLb0EESX_IbLb1EEEEDaST_SU_EUlST_E_NS1_11comp_targetILNS1_3genE10ELNS1_11target_archE1200ELNS1_3gpuE4ELNS1_3repE0EEENS1_30default_config_static_selectorELNS0_4arch9wavefront6targetE0EEEvT1_,comdat
.Lfunc_end818:
	.size	_ZN7rocprim17ROCPRIM_400000_NS6detail17trampoline_kernelINS0_14default_configENS1_27scan_by_key_config_selectorIiiEEZZNS1_16scan_by_key_implILNS1_25lookback_scan_determinismE0ELb1ES3_N6thrust23THRUST_200600_302600_NS6detail15normal_iteratorINS9_10device_ptrIiEEEESE_SE_iNS9_4plusIiEE19head_flag_predicateiEE10hipError_tPvRmT2_T3_T4_T5_mT6_T7_P12ihipStream_tbENKUlT_T0_E_clISt17integral_constantIbLb0EESX_IbLb1EEEEDaST_SU_EUlST_E_NS1_11comp_targetILNS1_3genE10ELNS1_11target_archE1200ELNS1_3gpuE4ELNS1_3repE0EEENS1_30default_config_static_selectorELNS0_4arch9wavefront6targetE0EEEvT1_, .Lfunc_end818-_ZN7rocprim17ROCPRIM_400000_NS6detail17trampoline_kernelINS0_14default_configENS1_27scan_by_key_config_selectorIiiEEZZNS1_16scan_by_key_implILNS1_25lookback_scan_determinismE0ELb1ES3_N6thrust23THRUST_200600_302600_NS6detail15normal_iteratorINS9_10device_ptrIiEEEESE_SE_iNS9_4plusIiEE19head_flag_predicateiEE10hipError_tPvRmT2_T3_T4_T5_mT6_T7_P12ihipStream_tbENKUlT_T0_E_clISt17integral_constantIbLb0EESX_IbLb1EEEEDaST_SU_EUlST_E_NS1_11comp_targetILNS1_3genE10ELNS1_11target_archE1200ELNS1_3gpuE4ELNS1_3repE0EEENS1_30default_config_static_selectorELNS0_4arch9wavefront6targetE0EEEvT1_
                                        ; -- End function
	.set _ZN7rocprim17ROCPRIM_400000_NS6detail17trampoline_kernelINS0_14default_configENS1_27scan_by_key_config_selectorIiiEEZZNS1_16scan_by_key_implILNS1_25lookback_scan_determinismE0ELb1ES3_N6thrust23THRUST_200600_302600_NS6detail15normal_iteratorINS9_10device_ptrIiEEEESE_SE_iNS9_4plusIiEE19head_flag_predicateiEE10hipError_tPvRmT2_T3_T4_T5_mT6_T7_P12ihipStream_tbENKUlT_T0_E_clISt17integral_constantIbLb0EESX_IbLb1EEEEDaST_SU_EUlST_E_NS1_11comp_targetILNS1_3genE10ELNS1_11target_archE1200ELNS1_3gpuE4ELNS1_3repE0EEENS1_30default_config_static_selectorELNS0_4arch9wavefront6targetE0EEEvT1_.num_vgpr, 0
	.set _ZN7rocprim17ROCPRIM_400000_NS6detail17trampoline_kernelINS0_14default_configENS1_27scan_by_key_config_selectorIiiEEZZNS1_16scan_by_key_implILNS1_25lookback_scan_determinismE0ELb1ES3_N6thrust23THRUST_200600_302600_NS6detail15normal_iteratorINS9_10device_ptrIiEEEESE_SE_iNS9_4plusIiEE19head_flag_predicateiEE10hipError_tPvRmT2_T3_T4_T5_mT6_T7_P12ihipStream_tbENKUlT_T0_E_clISt17integral_constantIbLb0EESX_IbLb1EEEEDaST_SU_EUlST_E_NS1_11comp_targetILNS1_3genE10ELNS1_11target_archE1200ELNS1_3gpuE4ELNS1_3repE0EEENS1_30default_config_static_selectorELNS0_4arch9wavefront6targetE0EEEvT1_.num_agpr, 0
	.set _ZN7rocprim17ROCPRIM_400000_NS6detail17trampoline_kernelINS0_14default_configENS1_27scan_by_key_config_selectorIiiEEZZNS1_16scan_by_key_implILNS1_25lookback_scan_determinismE0ELb1ES3_N6thrust23THRUST_200600_302600_NS6detail15normal_iteratorINS9_10device_ptrIiEEEESE_SE_iNS9_4plusIiEE19head_flag_predicateiEE10hipError_tPvRmT2_T3_T4_T5_mT6_T7_P12ihipStream_tbENKUlT_T0_E_clISt17integral_constantIbLb0EESX_IbLb1EEEEDaST_SU_EUlST_E_NS1_11comp_targetILNS1_3genE10ELNS1_11target_archE1200ELNS1_3gpuE4ELNS1_3repE0EEENS1_30default_config_static_selectorELNS0_4arch9wavefront6targetE0EEEvT1_.numbered_sgpr, 0
	.set _ZN7rocprim17ROCPRIM_400000_NS6detail17trampoline_kernelINS0_14default_configENS1_27scan_by_key_config_selectorIiiEEZZNS1_16scan_by_key_implILNS1_25lookback_scan_determinismE0ELb1ES3_N6thrust23THRUST_200600_302600_NS6detail15normal_iteratorINS9_10device_ptrIiEEEESE_SE_iNS9_4plusIiEE19head_flag_predicateiEE10hipError_tPvRmT2_T3_T4_T5_mT6_T7_P12ihipStream_tbENKUlT_T0_E_clISt17integral_constantIbLb0EESX_IbLb1EEEEDaST_SU_EUlST_E_NS1_11comp_targetILNS1_3genE10ELNS1_11target_archE1200ELNS1_3gpuE4ELNS1_3repE0EEENS1_30default_config_static_selectorELNS0_4arch9wavefront6targetE0EEEvT1_.num_named_barrier, 0
	.set _ZN7rocprim17ROCPRIM_400000_NS6detail17trampoline_kernelINS0_14default_configENS1_27scan_by_key_config_selectorIiiEEZZNS1_16scan_by_key_implILNS1_25lookback_scan_determinismE0ELb1ES3_N6thrust23THRUST_200600_302600_NS6detail15normal_iteratorINS9_10device_ptrIiEEEESE_SE_iNS9_4plusIiEE19head_flag_predicateiEE10hipError_tPvRmT2_T3_T4_T5_mT6_T7_P12ihipStream_tbENKUlT_T0_E_clISt17integral_constantIbLb0EESX_IbLb1EEEEDaST_SU_EUlST_E_NS1_11comp_targetILNS1_3genE10ELNS1_11target_archE1200ELNS1_3gpuE4ELNS1_3repE0EEENS1_30default_config_static_selectorELNS0_4arch9wavefront6targetE0EEEvT1_.private_seg_size, 0
	.set _ZN7rocprim17ROCPRIM_400000_NS6detail17trampoline_kernelINS0_14default_configENS1_27scan_by_key_config_selectorIiiEEZZNS1_16scan_by_key_implILNS1_25lookback_scan_determinismE0ELb1ES3_N6thrust23THRUST_200600_302600_NS6detail15normal_iteratorINS9_10device_ptrIiEEEESE_SE_iNS9_4plusIiEE19head_flag_predicateiEE10hipError_tPvRmT2_T3_T4_T5_mT6_T7_P12ihipStream_tbENKUlT_T0_E_clISt17integral_constantIbLb0EESX_IbLb1EEEEDaST_SU_EUlST_E_NS1_11comp_targetILNS1_3genE10ELNS1_11target_archE1200ELNS1_3gpuE4ELNS1_3repE0EEENS1_30default_config_static_selectorELNS0_4arch9wavefront6targetE0EEEvT1_.uses_vcc, 0
	.set _ZN7rocprim17ROCPRIM_400000_NS6detail17trampoline_kernelINS0_14default_configENS1_27scan_by_key_config_selectorIiiEEZZNS1_16scan_by_key_implILNS1_25lookback_scan_determinismE0ELb1ES3_N6thrust23THRUST_200600_302600_NS6detail15normal_iteratorINS9_10device_ptrIiEEEESE_SE_iNS9_4plusIiEE19head_flag_predicateiEE10hipError_tPvRmT2_T3_T4_T5_mT6_T7_P12ihipStream_tbENKUlT_T0_E_clISt17integral_constantIbLb0EESX_IbLb1EEEEDaST_SU_EUlST_E_NS1_11comp_targetILNS1_3genE10ELNS1_11target_archE1200ELNS1_3gpuE4ELNS1_3repE0EEENS1_30default_config_static_selectorELNS0_4arch9wavefront6targetE0EEEvT1_.uses_flat_scratch, 0
	.set _ZN7rocprim17ROCPRIM_400000_NS6detail17trampoline_kernelINS0_14default_configENS1_27scan_by_key_config_selectorIiiEEZZNS1_16scan_by_key_implILNS1_25lookback_scan_determinismE0ELb1ES3_N6thrust23THRUST_200600_302600_NS6detail15normal_iteratorINS9_10device_ptrIiEEEESE_SE_iNS9_4plusIiEE19head_flag_predicateiEE10hipError_tPvRmT2_T3_T4_T5_mT6_T7_P12ihipStream_tbENKUlT_T0_E_clISt17integral_constantIbLb0EESX_IbLb1EEEEDaST_SU_EUlST_E_NS1_11comp_targetILNS1_3genE10ELNS1_11target_archE1200ELNS1_3gpuE4ELNS1_3repE0EEENS1_30default_config_static_selectorELNS0_4arch9wavefront6targetE0EEEvT1_.has_dyn_sized_stack, 0
	.set _ZN7rocprim17ROCPRIM_400000_NS6detail17trampoline_kernelINS0_14default_configENS1_27scan_by_key_config_selectorIiiEEZZNS1_16scan_by_key_implILNS1_25lookback_scan_determinismE0ELb1ES3_N6thrust23THRUST_200600_302600_NS6detail15normal_iteratorINS9_10device_ptrIiEEEESE_SE_iNS9_4plusIiEE19head_flag_predicateiEE10hipError_tPvRmT2_T3_T4_T5_mT6_T7_P12ihipStream_tbENKUlT_T0_E_clISt17integral_constantIbLb0EESX_IbLb1EEEEDaST_SU_EUlST_E_NS1_11comp_targetILNS1_3genE10ELNS1_11target_archE1200ELNS1_3gpuE4ELNS1_3repE0EEENS1_30default_config_static_selectorELNS0_4arch9wavefront6targetE0EEEvT1_.has_recursion, 0
	.set _ZN7rocprim17ROCPRIM_400000_NS6detail17trampoline_kernelINS0_14default_configENS1_27scan_by_key_config_selectorIiiEEZZNS1_16scan_by_key_implILNS1_25lookback_scan_determinismE0ELb1ES3_N6thrust23THRUST_200600_302600_NS6detail15normal_iteratorINS9_10device_ptrIiEEEESE_SE_iNS9_4plusIiEE19head_flag_predicateiEE10hipError_tPvRmT2_T3_T4_T5_mT6_T7_P12ihipStream_tbENKUlT_T0_E_clISt17integral_constantIbLb0EESX_IbLb1EEEEDaST_SU_EUlST_E_NS1_11comp_targetILNS1_3genE10ELNS1_11target_archE1200ELNS1_3gpuE4ELNS1_3repE0EEENS1_30default_config_static_selectorELNS0_4arch9wavefront6targetE0EEEvT1_.has_indirect_call, 0
	.section	.AMDGPU.csdata,"",@progbits
; Kernel info:
; codeLenInByte = 0
; TotalNumSgprs: 0
; NumVgprs: 0
; ScratchSize: 0
; MemoryBound: 0
; FloatMode: 240
; IeeeMode: 1
; LDSByteSize: 0 bytes/workgroup (compile time only)
; SGPRBlocks: 0
; VGPRBlocks: 0
; NumSGPRsForWavesPerEU: 1
; NumVGPRsForWavesPerEU: 1
; Occupancy: 16
; WaveLimiterHint : 0
; COMPUTE_PGM_RSRC2:SCRATCH_EN: 0
; COMPUTE_PGM_RSRC2:USER_SGPR: 6
; COMPUTE_PGM_RSRC2:TRAP_HANDLER: 0
; COMPUTE_PGM_RSRC2:TGID_X_EN: 1
; COMPUTE_PGM_RSRC2:TGID_Y_EN: 0
; COMPUTE_PGM_RSRC2:TGID_Z_EN: 0
; COMPUTE_PGM_RSRC2:TIDIG_COMP_CNT: 0
	.section	.text._ZN7rocprim17ROCPRIM_400000_NS6detail17trampoline_kernelINS0_14default_configENS1_27scan_by_key_config_selectorIiiEEZZNS1_16scan_by_key_implILNS1_25lookback_scan_determinismE0ELb1ES3_N6thrust23THRUST_200600_302600_NS6detail15normal_iteratorINS9_10device_ptrIiEEEESE_SE_iNS9_4plusIiEE19head_flag_predicateiEE10hipError_tPvRmT2_T3_T4_T5_mT6_T7_P12ihipStream_tbENKUlT_T0_E_clISt17integral_constantIbLb0EESX_IbLb1EEEEDaST_SU_EUlST_E_NS1_11comp_targetILNS1_3genE9ELNS1_11target_archE1100ELNS1_3gpuE3ELNS1_3repE0EEENS1_30default_config_static_selectorELNS0_4arch9wavefront6targetE0EEEvT1_,"axG",@progbits,_ZN7rocprim17ROCPRIM_400000_NS6detail17trampoline_kernelINS0_14default_configENS1_27scan_by_key_config_selectorIiiEEZZNS1_16scan_by_key_implILNS1_25lookback_scan_determinismE0ELb1ES3_N6thrust23THRUST_200600_302600_NS6detail15normal_iteratorINS9_10device_ptrIiEEEESE_SE_iNS9_4plusIiEE19head_flag_predicateiEE10hipError_tPvRmT2_T3_T4_T5_mT6_T7_P12ihipStream_tbENKUlT_T0_E_clISt17integral_constantIbLb0EESX_IbLb1EEEEDaST_SU_EUlST_E_NS1_11comp_targetILNS1_3genE9ELNS1_11target_archE1100ELNS1_3gpuE3ELNS1_3repE0EEENS1_30default_config_static_selectorELNS0_4arch9wavefront6targetE0EEEvT1_,comdat
	.protected	_ZN7rocprim17ROCPRIM_400000_NS6detail17trampoline_kernelINS0_14default_configENS1_27scan_by_key_config_selectorIiiEEZZNS1_16scan_by_key_implILNS1_25lookback_scan_determinismE0ELb1ES3_N6thrust23THRUST_200600_302600_NS6detail15normal_iteratorINS9_10device_ptrIiEEEESE_SE_iNS9_4plusIiEE19head_flag_predicateiEE10hipError_tPvRmT2_T3_T4_T5_mT6_T7_P12ihipStream_tbENKUlT_T0_E_clISt17integral_constantIbLb0EESX_IbLb1EEEEDaST_SU_EUlST_E_NS1_11comp_targetILNS1_3genE9ELNS1_11target_archE1100ELNS1_3gpuE3ELNS1_3repE0EEENS1_30default_config_static_selectorELNS0_4arch9wavefront6targetE0EEEvT1_ ; -- Begin function _ZN7rocprim17ROCPRIM_400000_NS6detail17trampoline_kernelINS0_14default_configENS1_27scan_by_key_config_selectorIiiEEZZNS1_16scan_by_key_implILNS1_25lookback_scan_determinismE0ELb1ES3_N6thrust23THRUST_200600_302600_NS6detail15normal_iteratorINS9_10device_ptrIiEEEESE_SE_iNS9_4plusIiEE19head_flag_predicateiEE10hipError_tPvRmT2_T3_T4_T5_mT6_T7_P12ihipStream_tbENKUlT_T0_E_clISt17integral_constantIbLb0EESX_IbLb1EEEEDaST_SU_EUlST_E_NS1_11comp_targetILNS1_3genE9ELNS1_11target_archE1100ELNS1_3gpuE3ELNS1_3repE0EEENS1_30default_config_static_selectorELNS0_4arch9wavefront6targetE0EEEvT1_
	.globl	_ZN7rocprim17ROCPRIM_400000_NS6detail17trampoline_kernelINS0_14default_configENS1_27scan_by_key_config_selectorIiiEEZZNS1_16scan_by_key_implILNS1_25lookback_scan_determinismE0ELb1ES3_N6thrust23THRUST_200600_302600_NS6detail15normal_iteratorINS9_10device_ptrIiEEEESE_SE_iNS9_4plusIiEE19head_flag_predicateiEE10hipError_tPvRmT2_T3_T4_T5_mT6_T7_P12ihipStream_tbENKUlT_T0_E_clISt17integral_constantIbLb0EESX_IbLb1EEEEDaST_SU_EUlST_E_NS1_11comp_targetILNS1_3genE9ELNS1_11target_archE1100ELNS1_3gpuE3ELNS1_3repE0EEENS1_30default_config_static_selectorELNS0_4arch9wavefront6targetE0EEEvT1_
	.p2align	8
	.type	_ZN7rocprim17ROCPRIM_400000_NS6detail17trampoline_kernelINS0_14default_configENS1_27scan_by_key_config_selectorIiiEEZZNS1_16scan_by_key_implILNS1_25lookback_scan_determinismE0ELb1ES3_N6thrust23THRUST_200600_302600_NS6detail15normal_iteratorINS9_10device_ptrIiEEEESE_SE_iNS9_4plusIiEE19head_flag_predicateiEE10hipError_tPvRmT2_T3_T4_T5_mT6_T7_P12ihipStream_tbENKUlT_T0_E_clISt17integral_constantIbLb0EESX_IbLb1EEEEDaST_SU_EUlST_E_NS1_11comp_targetILNS1_3genE9ELNS1_11target_archE1100ELNS1_3gpuE3ELNS1_3repE0EEENS1_30default_config_static_selectorELNS0_4arch9wavefront6targetE0EEEvT1_,@function
_ZN7rocprim17ROCPRIM_400000_NS6detail17trampoline_kernelINS0_14default_configENS1_27scan_by_key_config_selectorIiiEEZZNS1_16scan_by_key_implILNS1_25lookback_scan_determinismE0ELb1ES3_N6thrust23THRUST_200600_302600_NS6detail15normal_iteratorINS9_10device_ptrIiEEEESE_SE_iNS9_4plusIiEE19head_flag_predicateiEE10hipError_tPvRmT2_T3_T4_T5_mT6_T7_P12ihipStream_tbENKUlT_T0_E_clISt17integral_constantIbLb0EESX_IbLb1EEEEDaST_SU_EUlST_E_NS1_11comp_targetILNS1_3genE9ELNS1_11target_archE1100ELNS1_3gpuE3ELNS1_3repE0EEENS1_30default_config_static_selectorELNS0_4arch9wavefront6targetE0EEEvT1_: ; @_ZN7rocprim17ROCPRIM_400000_NS6detail17trampoline_kernelINS0_14default_configENS1_27scan_by_key_config_selectorIiiEEZZNS1_16scan_by_key_implILNS1_25lookback_scan_determinismE0ELb1ES3_N6thrust23THRUST_200600_302600_NS6detail15normal_iteratorINS9_10device_ptrIiEEEESE_SE_iNS9_4plusIiEE19head_flag_predicateiEE10hipError_tPvRmT2_T3_T4_T5_mT6_T7_P12ihipStream_tbENKUlT_T0_E_clISt17integral_constantIbLb0EESX_IbLb1EEEEDaST_SU_EUlST_E_NS1_11comp_targetILNS1_3genE9ELNS1_11target_archE1100ELNS1_3gpuE3ELNS1_3repE0EEENS1_30default_config_static_selectorELNS0_4arch9wavefront6targetE0EEEvT1_
; %bb.0:
	.section	.rodata,"a",@progbits
	.p2align	6, 0x0
	.amdhsa_kernel _ZN7rocprim17ROCPRIM_400000_NS6detail17trampoline_kernelINS0_14default_configENS1_27scan_by_key_config_selectorIiiEEZZNS1_16scan_by_key_implILNS1_25lookback_scan_determinismE0ELb1ES3_N6thrust23THRUST_200600_302600_NS6detail15normal_iteratorINS9_10device_ptrIiEEEESE_SE_iNS9_4plusIiEE19head_flag_predicateiEE10hipError_tPvRmT2_T3_T4_T5_mT6_T7_P12ihipStream_tbENKUlT_T0_E_clISt17integral_constantIbLb0EESX_IbLb1EEEEDaST_SU_EUlST_E_NS1_11comp_targetILNS1_3genE9ELNS1_11target_archE1100ELNS1_3gpuE3ELNS1_3repE0EEENS1_30default_config_static_selectorELNS0_4arch9wavefront6targetE0EEEvT1_
		.amdhsa_group_segment_fixed_size 0
		.amdhsa_private_segment_fixed_size 0
		.amdhsa_kernarg_size 112
		.amdhsa_user_sgpr_count 6
		.amdhsa_user_sgpr_private_segment_buffer 1
		.amdhsa_user_sgpr_dispatch_ptr 0
		.amdhsa_user_sgpr_queue_ptr 0
		.amdhsa_user_sgpr_kernarg_segment_ptr 1
		.amdhsa_user_sgpr_dispatch_id 0
		.amdhsa_user_sgpr_flat_scratch_init 0
		.amdhsa_user_sgpr_private_segment_size 0
		.amdhsa_wavefront_size32 1
		.amdhsa_uses_dynamic_stack 0
		.amdhsa_system_sgpr_private_segment_wavefront_offset 0
		.amdhsa_system_sgpr_workgroup_id_x 1
		.amdhsa_system_sgpr_workgroup_id_y 0
		.amdhsa_system_sgpr_workgroup_id_z 0
		.amdhsa_system_sgpr_workgroup_info 0
		.amdhsa_system_vgpr_workitem_id 0
		.amdhsa_next_free_vgpr 1
		.amdhsa_next_free_sgpr 1
		.amdhsa_reserve_vcc 0
		.amdhsa_reserve_flat_scratch 0
		.amdhsa_float_round_mode_32 0
		.amdhsa_float_round_mode_16_64 0
		.amdhsa_float_denorm_mode_32 3
		.amdhsa_float_denorm_mode_16_64 3
		.amdhsa_dx10_clamp 1
		.amdhsa_ieee_mode 1
		.amdhsa_fp16_overflow 0
		.amdhsa_workgroup_processor_mode 1
		.amdhsa_memory_ordered 1
		.amdhsa_forward_progress 1
		.amdhsa_shared_vgpr_count 0
		.amdhsa_exception_fp_ieee_invalid_op 0
		.amdhsa_exception_fp_denorm_src 0
		.amdhsa_exception_fp_ieee_div_zero 0
		.amdhsa_exception_fp_ieee_overflow 0
		.amdhsa_exception_fp_ieee_underflow 0
		.amdhsa_exception_fp_ieee_inexact 0
		.amdhsa_exception_int_div_zero 0
	.end_amdhsa_kernel
	.section	.text._ZN7rocprim17ROCPRIM_400000_NS6detail17trampoline_kernelINS0_14default_configENS1_27scan_by_key_config_selectorIiiEEZZNS1_16scan_by_key_implILNS1_25lookback_scan_determinismE0ELb1ES3_N6thrust23THRUST_200600_302600_NS6detail15normal_iteratorINS9_10device_ptrIiEEEESE_SE_iNS9_4plusIiEE19head_flag_predicateiEE10hipError_tPvRmT2_T3_T4_T5_mT6_T7_P12ihipStream_tbENKUlT_T0_E_clISt17integral_constantIbLb0EESX_IbLb1EEEEDaST_SU_EUlST_E_NS1_11comp_targetILNS1_3genE9ELNS1_11target_archE1100ELNS1_3gpuE3ELNS1_3repE0EEENS1_30default_config_static_selectorELNS0_4arch9wavefront6targetE0EEEvT1_,"axG",@progbits,_ZN7rocprim17ROCPRIM_400000_NS6detail17trampoline_kernelINS0_14default_configENS1_27scan_by_key_config_selectorIiiEEZZNS1_16scan_by_key_implILNS1_25lookback_scan_determinismE0ELb1ES3_N6thrust23THRUST_200600_302600_NS6detail15normal_iteratorINS9_10device_ptrIiEEEESE_SE_iNS9_4plusIiEE19head_flag_predicateiEE10hipError_tPvRmT2_T3_T4_T5_mT6_T7_P12ihipStream_tbENKUlT_T0_E_clISt17integral_constantIbLb0EESX_IbLb1EEEEDaST_SU_EUlST_E_NS1_11comp_targetILNS1_3genE9ELNS1_11target_archE1100ELNS1_3gpuE3ELNS1_3repE0EEENS1_30default_config_static_selectorELNS0_4arch9wavefront6targetE0EEEvT1_,comdat
.Lfunc_end819:
	.size	_ZN7rocprim17ROCPRIM_400000_NS6detail17trampoline_kernelINS0_14default_configENS1_27scan_by_key_config_selectorIiiEEZZNS1_16scan_by_key_implILNS1_25lookback_scan_determinismE0ELb1ES3_N6thrust23THRUST_200600_302600_NS6detail15normal_iteratorINS9_10device_ptrIiEEEESE_SE_iNS9_4plusIiEE19head_flag_predicateiEE10hipError_tPvRmT2_T3_T4_T5_mT6_T7_P12ihipStream_tbENKUlT_T0_E_clISt17integral_constantIbLb0EESX_IbLb1EEEEDaST_SU_EUlST_E_NS1_11comp_targetILNS1_3genE9ELNS1_11target_archE1100ELNS1_3gpuE3ELNS1_3repE0EEENS1_30default_config_static_selectorELNS0_4arch9wavefront6targetE0EEEvT1_, .Lfunc_end819-_ZN7rocprim17ROCPRIM_400000_NS6detail17trampoline_kernelINS0_14default_configENS1_27scan_by_key_config_selectorIiiEEZZNS1_16scan_by_key_implILNS1_25lookback_scan_determinismE0ELb1ES3_N6thrust23THRUST_200600_302600_NS6detail15normal_iteratorINS9_10device_ptrIiEEEESE_SE_iNS9_4plusIiEE19head_flag_predicateiEE10hipError_tPvRmT2_T3_T4_T5_mT6_T7_P12ihipStream_tbENKUlT_T0_E_clISt17integral_constantIbLb0EESX_IbLb1EEEEDaST_SU_EUlST_E_NS1_11comp_targetILNS1_3genE9ELNS1_11target_archE1100ELNS1_3gpuE3ELNS1_3repE0EEENS1_30default_config_static_selectorELNS0_4arch9wavefront6targetE0EEEvT1_
                                        ; -- End function
	.set _ZN7rocprim17ROCPRIM_400000_NS6detail17trampoline_kernelINS0_14default_configENS1_27scan_by_key_config_selectorIiiEEZZNS1_16scan_by_key_implILNS1_25lookback_scan_determinismE0ELb1ES3_N6thrust23THRUST_200600_302600_NS6detail15normal_iteratorINS9_10device_ptrIiEEEESE_SE_iNS9_4plusIiEE19head_flag_predicateiEE10hipError_tPvRmT2_T3_T4_T5_mT6_T7_P12ihipStream_tbENKUlT_T0_E_clISt17integral_constantIbLb0EESX_IbLb1EEEEDaST_SU_EUlST_E_NS1_11comp_targetILNS1_3genE9ELNS1_11target_archE1100ELNS1_3gpuE3ELNS1_3repE0EEENS1_30default_config_static_selectorELNS0_4arch9wavefront6targetE0EEEvT1_.num_vgpr, 0
	.set _ZN7rocprim17ROCPRIM_400000_NS6detail17trampoline_kernelINS0_14default_configENS1_27scan_by_key_config_selectorIiiEEZZNS1_16scan_by_key_implILNS1_25lookback_scan_determinismE0ELb1ES3_N6thrust23THRUST_200600_302600_NS6detail15normal_iteratorINS9_10device_ptrIiEEEESE_SE_iNS9_4plusIiEE19head_flag_predicateiEE10hipError_tPvRmT2_T3_T4_T5_mT6_T7_P12ihipStream_tbENKUlT_T0_E_clISt17integral_constantIbLb0EESX_IbLb1EEEEDaST_SU_EUlST_E_NS1_11comp_targetILNS1_3genE9ELNS1_11target_archE1100ELNS1_3gpuE3ELNS1_3repE0EEENS1_30default_config_static_selectorELNS0_4arch9wavefront6targetE0EEEvT1_.num_agpr, 0
	.set _ZN7rocprim17ROCPRIM_400000_NS6detail17trampoline_kernelINS0_14default_configENS1_27scan_by_key_config_selectorIiiEEZZNS1_16scan_by_key_implILNS1_25lookback_scan_determinismE0ELb1ES3_N6thrust23THRUST_200600_302600_NS6detail15normal_iteratorINS9_10device_ptrIiEEEESE_SE_iNS9_4plusIiEE19head_flag_predicateiEE10hipError_tPvRmT2_T3_T4_T5_mT6_T7_P12ihipStream_tbENKUlT_T0_E_clISt17integral_constantIbLb0EESX_IbLb1EEEEDaST_SU_EUlST_E_NS1_11comp_targetILNS1_3genE9ELNS1_11target_archE1100ELNS1_3gpuE3ELNS1_3repE0EEENS1_30default_config_static_selectorELNS0_4arch9wavefront6targetE0EEEvT1_.numbered_sgpr, 0
	.set _ZN7rocprim17ROCPRIM_400000_NS6detail17trampoline_kernelINS0_14default_configENS1_27scan_by_key_config_selectorIiiEEZZNS1_16scan_by_key_implILNS1_25lookback_scan_determinismE0ELb1ES3_N6thrust23THRUST_200600_302600_NS6detail15normal_iteratorINS9_10device_ptrIiEEEESE_SE_iNS9_4plusIiEE19head_flag_predicateiEE10hipError_tPvRmT2_T3_T4_T5_mT6_T7_P12ihipStream_tbENKUlT_T0_E_clISt17integral_constantIbLb0EESX_IbLb1EEEEDaST_SU_EUlST_E_NS1_11comp_targetILNS1_3genE9ELNS1_11target_archE1100ELNS1_3gpuE3ELNS1_3repE0EEENS1_30default_config_static_selectorELNS0_4arch9wavefront6targetE0EEEvT1_.num_named_barrier, 0
	.set _ZN7rocprim17ROCPRIM_400000_NS6detail17trampoline_kernelINS0_14default_configENS1_27scan_by_key_config_selectorIiiEEZZNS1_16scan_by_key_implILNS1_25lookback_scan_determinismE0ELb1ES3_N6thrust23THRUST_200600_302600_NS6detail15normal_iteratorINS9_10device_ptrIiEEEESE_SE_iNS9_4plusIiEE19head_flag_predicateiEE10hipError_tPvRmT2_T3_T4_T5_mT6_T7_P12ihipStream_tbENKUlT_T0_E_clISt17integral_constantIbLb0EESX_IbLb1EEEEDaST_SU_EUlST_E_NS1_11comp_targetILNS1_3genE9ELNS1_11target_archE1100ELNS1_3gpuE3ELNS1_3repE0EEENS1_30default_config_static_selectorELNS0_4arch9wavefront6targetE0EEEvT1_.private_seg_size, 0
	.set _ZN7rocprim17ROCPRIM_400000_NS6detail17trampoline_kernelINS0_14default_configENS1_27scan_by_key_config_selectorIiiEEZZNS1_16scan_by_key_implILNS1_25lookback_scan_determinismE0ELb1ES3_N6thrust23THRUST_200600_302600_NS6detail15normal_iteratorINS9_10device_ptrIiEEEESE_SE_iNS9_4plusIiEE19head_flag_predicateiEE10hipError_tPvRmT2_T3_T4_T5_mT6_T7_P12ihipStream_tbENKUlT_T0_E_clISt17integral_constantIbLb0EESX_IbLb1EEEEDaST_SU_EUlST_E_NS1_11comp_targetILNS1_3genE9ELNS1_11target_archE1100ELNS1_3gpuE3ELNS1_3repE0EEENS1_30default_config_static_selectorELNS0_4arch9wavefront6targetE0EEEvT1_.uses_vcc, 0
	.set _ZN7rocprim17ROCPRIM_400000_NS6detail17trampoline_kernelINS0_14default_configENS1_27scan_by_key_config_selectorIiiEEZZNS1_16scan_by_key_implILNS1_25lookback_scan_determinismE0ELb1ES3_N6thrust23THRUST_200600_302600_NS6detail15normal_iteratorINS9_10device_ptrIiEEEESE_SE_iNS9_4plusIiEE19head_flag_predicateiEE10hipError_tPvRmT2_T3_T4_T5_mT6_T7_P12ihipStream_tbENKUlT_T0_E_clISt17integral_constantIbLb0EESX_IbLb1EEEEDaST_SU_EUlST_E_NS1_11comp_targetILNS1_3genE9ELNS1_11target_archE1100ELNS1_3gpuE3ELNS1_3repE0EEENS1_30default_config_static_selectorELNS0_4arch9wavefront6targetE0EEEvT1_.uses_flat_scratch, 0
	.set _ZN7rocprim17ROCPRIM_400000_NS6detail17trampoline_kernelINS0_14default_configENS1_27scan_by_key_config_selectorIiiEEZZNS1_16scan_by_key_implILNS1_25lookback_scan_determinismE0ELb1ES3_N6thrust23THRUST_200600_302600_NS6detail15normal_iteratorINS9_10device_ptrIiEEEESE_SE_iNS9_4plusIiEE19head_flag_predicateiEE10hipError_tPvRmT2_T3_T4_T5_mT6_T7_P12ihipStream_tbENKUlT_T0_E_clISt17integral_constantIbLb0EESX_IbLb1EEEEDaST_SU_EUlST_E_NS1_11comp_targetILNS1_3genE9ELNS1_11target_archE1100ELNS1_3gpuE3ELNS1_3repE0EEENS1_30default_config_static_selectorELNS0_4arch9wavefront6targetE0EEEvT1_.has_dyn_sized_stack, 0
	.set _ZN7rocprim17ROCPRIM_400000_NS6detail17trampoline_kernelINS0_14default_configENS1_27scan_by_key_config_selectorIiiEEZZNS1_16scan_by_key_implILNS1_25lookback_scan_determinismE0ELb1ES3_N6thrust23THRUST_200600_302600_NS6detail15normal_iteratorINS9_10device_ptrIiEEEESE_SE_iNS9_4plusIiEE19head_flag_predicateiEE10hipError_tPvRmT2_T3_T4_T5_mT6_T7_P12ihipStream_tbENKUlT_T0_E_clISt17integral_constantIbLb0EESX_IbLb1EEEEDaST_SU_EUlST_E_NS1_11comp_targetILNS1_3genE9ELNS1_11target_archE1100ELNS1_3gpuE3ELNS1_3repE0EEENS1_30default_config_static_selectorELNS0_4arch9wavefront6targetE0EEEvT1_.has_recursion, 0
	.set _ZN7rocprim17ROCPRIM_400000_NS6detail17trampoline_kernelINS0_14default_configENS1_27scan_by_key_config_selectorIiiEEZZNS1_16scan_by_key_implILNS1_25lookback_scan_determinismE0ELb1ES3_N6thrust23THRUST_200600_302600_NS6detail15normal_iteratorINS9_10device_ptrIiEEEESE_SE_iNS9_4plusIiEE19head_flag_predicateiEE10hipError_tPvRmT2_T3_T4_T5_mT6_T7_P12ihipStream_tbENKUlT_T0_E_clISt17integral_constantIbLb0EESX_IbLb1EEEEDaST_SU_EUlST_E_NS1_11comp_targetILNS1_3genE9ELNS1_11target_archE1100ELNS1_3gpuE3ELNS1_3repE0EEENS1_30default_config_static_selectorELNS0_4arch9wavefront6targetE0EEEvT1_.has_indirect_call, 0
	.section	.AMDGPU.csdata,"",@progbits
; Kernel info:
; codeLenInByte = 0
; TotalNumSgprs: 0
; NumVgprs: 0
; ScratchSize: 0
; MemoryBound: 0
; FloatMode: 240
; IeeeMode: 1
; LDSByteSize: 0 bytes/workgroup (compile time only)
; SGPRBlocks: 0
; VGPRBlocks: 0
; NumSGPRsForWavesPerEU: 1
; NumVGPRsForWavesPerEU: 1
; Occupancy: 16
; WaveLimiterHint : 0
; COMPUTE_PGM_RSRC2:SCRATCH_EN: 0
; COMPUTE_PGM_RSRC2:USER_SGPR: 6
; COMPUTE_PGM_RSRC2:TRAP_HANDLER: 0
; COMPUTE_PGM_RSRC2:TGID_X_EN: 1
; COMPUTE_PGM_RSRC2:TGID_Y_EN: 0
; COMPUTE_PGM_RSRC2:TGID_Z_EN: 0
; COMPUTE_PGM_RSRC2:TIDIG_COMP_CNT: 0
	.section	.text._ZN7rocprim17ROCPRIM_400000_NS6detail17trampoline_kernelINS0_14default_configENS1_27scan_by_key_config_selectorIiiEEZZNS1_16scan_by_key_implILNS1_25lookback_scan_determinismE0ELb1ES3_N6thrust23THRUST_200600_302600_NS6detail15normal_iteratorINS9_10device_ptrIiEEEESE_SE_iNS9_4plusIiEE19head_flag_predicateiEE10hipError_tPvRmT2_T3_T4_T5_mT6_T7_P12ihipStream_tbENKUlT_T0_E_clISt17integral_constantIbLb0EESX_IbLb1EEEEDaST_SU_EUlST_E_NS1_11comp_targetILNS1_3genE8ELNS1_11target_archE1030ELNS1_3gpuE2ELNS1_3repE0EEENS1_30default_config_static_selectorELNS0_4arch9wavefront6targetE0EEEvT1_,"axG",@progbits,_ZN7rocprim17ROCPRIM_400000_NS6detail17trampoline_kernelINS0_14default_configENS1_27scan_by_key_config_selectorIiiEEZZNS1_16scan_by_key_implILNS1_25lookback_scan_determinismE0ELb1ES3_N6thrust23THRUST_200600_302600_NS6detail15normal_iteratorINS9_10device_ptrIiEEEESE_SE_iNS9_4plusIiEE19head_flag_predicateiEE10hipError_tPvRmT2_T3_T4_T5_mT6_T7_P12ihipStream_tbENKUlT_T0_E_clISt17integral_constantIbLb0EESX_IbLb1EEEEDaST_SU_EUlST_E_NS1_11comp_targetILNS1_3genE8ELNS1_11target_archE1030ELNS1_3gpuE2ELNS1_3repE0EEENS1_30default_config_static_selectorELNS0_4arch9wavefront6targetE0EEEvT1_,comdat
	.protected	_ZN7rocprim17ROCPRIM_400000_NS6detail17trampoline_kernelINS0_14default_configENS1_27scan_by_key_config_selectorIiiEEZZNS1_16scan_by_key_implILNS1_25lookback_scan_determinismE0ELb1ES3_N6thrust23THRUST_200600_302600_NS6detail15normal_iteratorINS9_10device_ptrIiEEEESE_SE_iNS9_4plusIiEE19head_flag_predicateiEE10hipError_tPvRmT2_T3_T4_T5_mT6_T7_P12ihipStream_tbENKUlT_T0_E_clISt17integral_constantIbLb0EESX_IbLb1EEEEDaST_SU_EUlST_E_NS1_11comp_targetILNS1_3genE8ELNS1_11target_archE1030ELNS1_3gpuE2ELNS1_3repE0EEENS1_30default_config_static_selectorELNS0_4arch9wavefront6targetE0EEEvT1_ ; -- Begin function _ZN7rocprim17ROCPRIM_400000_NS6detail17trampoline_kernelINS0_14default_configENS1_27scan_by_key_config_selectorIiiEEZZNS1_16scan_by_key_implILNS1_25lookback_scan_determinismE0ELb1ES3_N6thrust23THRUST_200600_302600_NS6detail15normal_iteratorINS9_10device_ptrIiEEEESE_SE_iNS9_4plusIiEE19head_flag_predicateiEE10hipError_tPvRmT2_T3_T4_T5_mT6_T7_P12ihipStream_tbENKUlT_T0_E_clISt17integral_constantIbLb0EESX_IbLb1EEEEDaST_SU_EUlST_E_NS1_11comp_targetILNS1_3genE8ELNS1_11target_archE1030ELNS1_3gpuE2ELNS1_3repE0EEENS1_30default_config_static_selectorELNS0_4arch9wavefront6targetE0EEEvT1_
	.globl	_ZN7rocprim17ROCPRIM_400000_NS6detail17trampoline_kernelINS0_14default_configENS1_27scan_by_key_config_selectorIiiEEZZNS1_16scan_by_key_implILNS1_25lookback_scan_determinismE0ELb1ES3_N6thrust23THRUST_200600_302600_NS6detail15normal_iteratorINS9_10device_ptrIiEEEESE_SE_iNS9_4plusIiEE19head_flag_predicateiEE10hipError_tPvRmT2_T3_T4_T5_mT6_T7_P12ihipStream_tbENKUlT_T0_E_clISt17integral_constantIbLb0EESX_IbLb1EEEEDaST_SU_EUlST_E_NS1_11comp_targetILNS1_3genE8ELNS1_11target_archE1030ELNS1_3gpuE2ELNS1_3repE0EEENS1_30default_config_static_selectorELNS0_4arch9wavefront6targetE0EEEvT1_
	.p2align	8
	.type	_ZN7rocprim17ROCPRIM_400000_NS6detail17trampoline_kernelINS0_14default_configENS1_27scan_by_key_config_selectorIiiEEZZNS1_16scan_by_key_implILNS1_25lookback_scan_determinismE0ELb1ES3_N6thrust23THRUST_200600_302600_NS6detail15normal_iteratorINS9_10device_ptrIiEEEESE_SE_iNS9_4plusIiEE19head_flag_predicateiEE10hipError_tPvRmT2_T3_T4_T5_mT6_T7_P12ihipStream_tbENKUlT_T0_E_clISt17integral_constantIbLb0EESX_IbLb1EEEEDaST_SU_EUlST_E_NS1_11comp_targetILNS1_3genE8ELNS1_11target_archE1030ELNS1_3gpuE2ELNS1_3repE0EEENS1_30default_config_static_selectorELNS0_4arch9wavefront6targetE0EEEvT1_,@function
_ZN7rocprim17ROCPRIM_400000_NS6detail17trampoline_kernelINS0_14default_configENS1_27scan_by_key_config_selectorIiiEEZZNS1_16scan_by_key_implILNS1_25lookback_scan_determinismE0ELb1ES3_N6thrust23THRUST_200600_302600_NS6detail15normal_iteratorINS9_10device_ptrIiEEEESE_SE_iNS9_4plusIiEE19head_flag_predicateiEE10hipError_tPvRmT2_T3_T4_T5_mT6_T7_P12ihipStream_tbENKUlT_T0_E_clISt17integral_constantIbLb0EESX_IbLb1EEEEDaST_SU_EUlST_E_NS1_11comp_targetILNS1_3genE8ELNS1_11target_archE1030ELNS1_3gpuE2ELNS1_3repE0EEENS1_30default_config_static_selectorELNS0_4arch9wavefront6targetE0EEEvT1_: ; @_ZN7rocprim17ROCPRIM_400000_NS6detail17trampoline_kernelINS0_14default_configENS1_27scan_by_key_config_selectorIiiEEZZNS1_16scan_by_key_implILNS1_25lookback_scan_determinismE0ELb1ES3_N6thrust23THRUST_200600_302600_NS6detail15normal_iteratorINS9_10device_ptrIiEEEESE_SE_iNS9_4plusIiEE19head_flag_predicateiEE10hipError_tPvRmT2_T3_T4_T5_mT6_T7_P12ihipStream_tbENKUlT_T0_E_clISt17integral_constantIbLb0EESX_IbLb1EEEEDaST_SU_EUlST_E_NS1_11comp_targetILNS1_3genE8ELNS1_11target_archE1030ELNS1_3gpuE2ELNS1_3repE0EEENS1_30default_config_static_selectorELNS0_4arch9wavefront6targetE0EEEvT1_
; %bb.0:
	s_clause 0x2
	s_load_dword s22, s[4:5], 0x20
	s_load_dwordx4 s[16:19], s[4:5], 0x28
	s_load_dwordx2 s[20:21], s[4:5], 0x38
	v_cmp_eq_u32_e64 s0, 0, v0
	s_and_saveexec_b32 s1, s0
	s_cbranch_execz .LBB820_4
; %bb.1:
	s_mov_b32 s3, exec_lo
	s_mov_b32 s2, exec_lo
	v_mbcnt_lo_u32_b32 v1, s3, 0
                                        ; implicit-def: $vgpr2
	v_cmpx_eq_u32_e32 0, v1
	s_cbranch_execz .LBB820_3
; %bb.2:
	s_load_dwordx2 s[6:7], s[4:5], 0x68
	s_bcnt1_i32_b32 s3, s3
	v_mov_b32_e32 v2, 0
	v_mov_b32_e32 v3, s3
	s_waitcnt lgkmcnt(0)
	global_atomic_add v2, v2, v3, s[6:7] glc
.LBB820_3:
	s_or_b32 exec_lo, exec_lo, s2
	s_waitcnt vmcnt(0)
	v_readfirstlane_b32 s2, v2
	v_mov_b32_e32 v2, 0
	v_add_nc_u32_e32 v1, s2, v1
	ds_write_b32 v2, v1
.LBB820_4:
	s_or_b32 exec_lo, exec_lo, s1
	v_mov_b32_e32 v2, 0
	s_clause 0x2
	s_load_dwordx8 s[8:15], s[4:5], 0x0
	s_load_dword s1, s[4:5], 0x40
	s_load_dwordx4 s[4:7], s[4:5], 0x48
	s_waitcnt lgkmcnt(0)
	s_barrier
	buffer_gl0_inv
	ds_read_b32 v5, v2
	s_waitcnt lgkmcnt(0)
	s_barrier
	buffer_gl0_inv
	s_barrier
	buffer_gl0_inv
	s_lshl_b64 s[10:11], s[10:11], 2
	s_mul_i32 s2, s21, s1
	s_add_u32 s8, s8, s10
	s_mul_hi_u32 s3, s20, s1
	s_mul_i32 s1, s20, s1
	s_addc_u32 s9, s9, s11
	v_mul_lo_u32 v1, 0x300, v5
	s_add_u32 s12, s12, s10
	s_addc_u32 s19, s13, s11
	s_add_i32 s3, s3, s2
	v_add_co_u32 v3, s1, s1, v5
	v_add_co_ci_u32_e64 v4, null, s3, 0, s1
	v_lshlrev_b64 v[9:10], 2, v[1:2]
	s_add_u32 s2, s4, -1
	s_addc_u32 s3, s5, -1
	v_readfirstlane_b32 s13, v5
	v_cmp_le_u64_e64 s1, s[2:3], v[3:4]
	v_add_co_u32 v4, vcc_lo, s8, v9
	v_add_co_ci_u32_e64 v5, null, s9, v10, vcc_lo
	v_add_co_u32 v8, vcc_lo, s12, v9
	v_add_co_ci_u32_e64 v15, null, s19, v10, vcc_lo
	s_and_b32 vcc_lo, exec_lo, s1
	s_mul_i32 s12, s2, 0xfffffd00
	s_cbranch_vccz .LBB820_24
; %bb.5:
	flat_load_dword v1, v[4:5]
	s_add_i32 s5, s12, s18
	v_cmp_gt_u32_e32 vcc_lo, s5, v0
	s_waitcnt vmcnt(0) lgkmcnt(0)
	v_mov_b32_e32 v2, v1
	s_and_saveexec_b32 s3, vcc_lo
	s_cbranch_execz .LBB820_7
; %bb.6:
	v_lshlrev_b32_e32 v2, 2, v0
	v_add_co_u32 v2, s2, v4, v2
	v_add_co_ci_u32_e64 v3, null, 0, v5, s2
	flat_load_dword v2, v[2:3]
.LBB820_7:
	s_or_b32 exec_lo, exec_lo, s3
	v_or_b32_e32 v3, 0x100, v0
	v_cmp_gt_u32_e64 s2, s5, v3
	v_mov_b32_e32 v3, v1
	s_and_saveexec_b32 s4, s2
	s_cbranch_execz .LBB820_9
; %bb.8:
	v_lshlrev_b32_e32 v3, 2, v0
	v_add_co_u32 v6, s3, v4, v3
	v_add_co_ci_u32_e64 v7, null, 0, v5, s3
	flat_load_dword v3, v[6:7] offset:1024
.LBB820_9:
	s_or_b32 exec_lo, exec_lo, s4
	v_or_b32_e32 v6, 0x200, v0
	v_cmp_gt_u32_e64 s3, s5, v6
	v_lshlrev_b32_e32 v11, 2, v6
	s_and_saveexec_b32 s8, s3
	s_cbranch_execz .LBB820_11
; %bb.10:
	v_add_co_u32 v6, s4, v4, v11
	v_add_co_ci_u32_e64 v7, null, 0, v5, s4
	flat_load_dword v1, v[6:7]
.LBB820_11:
	s_or_b32 exec_lo, exec_lo, s8
	v_lshlrev_b32_e32 v12, 2, v0
	s_mov_b32 s8, exec_lo
	s_waitcnt vmcnt(0) lgkmcnt(0)
	ds_write2st64_b32 v12, v2, v3 offset1:4
	ds_write_b32 v12, v1 offset:2048
	s_waitcnt lgkmcnt(0)
	s_barrier
	buffer_gl0_inv
	flat_load_dword v16, v[4:5]
	v_lshlrev_b32_e32 v1, 3, v0
	v_add_nc_u32_e32 v18, v12, v1
	ds_read2_b32 v[6:7], v18 offset1:1
	ds_read_b32 v17, v18 offset:8
	s_waitcnt lgkmcnt(1)
	ds_write_b32 v12, v6 offset:4096
	s_waitcnt vmcnt(0) lgkmcnt(0)
	s_barrier
	buffer_gl0_inv
	v_cmpx_ne_u32_e32 0xff, v0
; %bb.12:
	v_sub_nc_u32_e32 v1, 0, v1
	v_add_nc_u32_e32 v1, v18, v1
	ds_read_b32 v16, v1 offset:4100
; %bb.13:
	s_or_b32 exec_lo, exec_lo, s8
	v_mov_b32_e32 v1, 0
	s_waitcnt lgkmcnt(0)
	s_barrier
	buffer_gl0_inv
	v_mov_b32_e32 v2, v1
	v_mov_b32_e32 v3, v1
	s_and_saveexec_b32 s4, vcc_lo
	s_cbranch_execnz .LBB820_94
; %bb.14:
	s_or_b32 exec_lo, exec_lo, s4
	s_and_saveexec_b32 s4, s2
	s_cbranch_execnz .LBB820_95
.LBB820_15:
	s_or_b32 exec_lo, exec_lo, s4
	v_mul_u32_u24_e32 v19, 3, v0
	s_and_saveexec_b32 s2, s3
	s_cbranch_execz .LBB820_17
.LBB820_16:
	v_add_co_u32 v13, vcc_lo, v8, v11
	v_add_co_ci_u32_e64 v14, null, 0, v15, vcc_lo
	flat_load_dword v3, v[13:14]
.LBB820_17:
	s_or_b32 exec_lo, exec_lo, s2
	s_waitcnt vmcnt(0) lgkmcnt(0)
	ds_write2st64_b32 v12, v1, v2 offset1:4
	ds_write_b32 v12, v3 offset:2048
	v_mov_b32_e32 v11, 0
	v_mov_b32_e32 v1, 0
	;; [unrolled: 1-line block ×6, first 2 shown]
	s_mov_b32 s3, 0
	s_mov_b32 s8, 0
	s_mov_b32 s4, exec_lo
	s_waitcnt lgkmcnt(0)
	s_barrier
	buffer_gl0_inv
                                        ; implicit-def: $sgpr2
                                        ; implicit-def: $vgpr3
	v_cmpx_gt_u32_e64 s5, v19
	s_cbranch_execz .LBB820_23
; %bb.18:
	ds_read_b32 v3, v18
	v_cmp_ne_u32_e32 vcc_lo, 0, v7
	v_mov_b32_e32 v1, 0
	v_add_nc_u32_e32 v6, 1, v19
	v_mov_b32_e32 v2, 0
	s_mov_b32 s9, 0
	v_cndmask_b32_e64 v12, 0, 1, vcc_lo
	v_cmp_eq_u32_e32 vcc_lo, 0, v7
	s_mov_b32 s8, exec_lo
                                        ; implicit-def: $sgpr2
	s_waitcnt lgkmcnt(0)
	v_cndmask_b32_e32 v11, s22, v3, vcc_lo
                                        ; implicit-def: $vgpr3
	v_cmpx_gt_u32_e64 s5, v6
	s_cbranch_execz .LBB820_22
; %bb.19:
	ds_read2_b32 v[6:7], v18 offset0:1 offset1:2
	v_cmp_ne_u32_e32 vcc_lo, 0, v17
	v_add_nc_u32_e32 v3, 2, v19
                                        ; implicit-def: $sgpr2
	v_cndmask_b32_e64 v2, 0, 1, vcc_lo
	v_cmp_eq_u32_e32 vcc_lo, 0, v17
	s_waitcnt lgkmcnt(0)
	v_cndmask_b32_e32 v1, s22, v6, vcc_lo
	v_cmp_gt_u32_e32 vcc_lo, s5, v3
	s_mov_b32 s5, 0
                                        ; implicit-def: $vgpr3
	s_and_saveexec_b32 s9, vcc_lo
	s_xor_b32 s9, exec_lo, s9
; %bb.20:
	v_cmp_ne_u32_e64 s2, 0, v16
	s_mov_b32 s5, exec_lo
	v_cndmask_b32_e64 v3, v7, s22, s2
; %bb.21:
	s_or_b32 exec_lo, exec_lo, s9
	s_and_b32 s9, s5, exec_lo
.LBB820_22:
	s_or_b32 exec_lo, exec_lo, s8
	v_mov_b32_e32 v14, v2
	v_mov_b32_e32 v13, v1
	s_and_b32 s8, s9, exec_lo
.LBB820_23:
	s_or_b32 exec_lo, exec_lo, s4
	v_lshlrev_b32_e32 v20, 2, v0
	v_lshlrev_b32_e32 v21, 3, v0
	s_and_b32 vcc_lo, exec_lo, s3
	s_cbranch_vccnz .LBB820_25
	s_branch .LBB820_28
.LBB820_24:
	s_mov_b32 s8, 0
                                        ; implicit-def: $sgpr2
                                        ; implicit-def: $vgpr3
                                        ; implicit-def: $vgpr11_vgpr12
                                        ; implicit-def: $vgpr1_vgpr2
                                        ; implicit-def: $vgpr13_vgpr14
	v_lshlrev_b32_e32 v20, 2, v0
	v_lshlrev_b32_e32 v21, 3, v0
	s_cbranch_execz .LBB820_28
.LBB820_25:
	v_add_co_u32 v1, vcc_lo, v4, v20
	v_add_co_ci_u32_e64 v2, null, 0, v5, vcc_lo
	s_mov_b32 s2, exec_lo
	v_add_co_u32 v6, vcc_lo, 0x800, v1
	v_add_co_ci_u32_e64 v7, null, 0, v2, vcc_lo
	s_clause 0x2
	flat_load_dword v3, v[1:2]
	flat_load_dword v11, v[1:2] offset:1024
	flat_load_dword v6, v[6:7]
	v_add_co_u32 v1, vcc_lo, 0x800, v4
	v_add_co_ci_u32_e64 v2, null, 0, v5, vcc_lo
	s_waitcnt vmcnt(1) lgkmcnt(1)
	ds_write2st64_b32 v20, v3, v11 offset1:4
	s_waitcnt vmcnt(0) lgkmcnt(1)
	ds_write_b32 v20, v6 offset:2048
	s_waitcnt lgkmcnt(0)
	s_barrier
	buffer_gl0_inv
	flat_load_dword v4, v[1:2] offset:1024
	v_add_nc_u32_e32 v1, v20, v21
	ds_read2_b32 v[2:3], v1 offset1:1
	ds_read_b32 v5, v1 offset:8
	s_waitcnt lgkmcnt(1)
	ds_write_b32 v20, v2 offset:4096
	s_waitcnt vmcnt(0) lgkmcnt(0)
	s_barrier
	buffer_gl0_inv
	v_cmpx_ne_u32_e32 0xff, v0
; %bb.26:
	v_sub_nc_u32_e32 v2, 0, v21
	v_add_nc_u32_e32 v2, v1, v2
	ds_read_b32 v4, v2 offset:4100
; %bb.27:
	s_or_b32 exec_lo, exec_lo, s2
	v_add_co_u32 v6, vcc_lo, v8, v20
	v_add_co_ci_u32_e64 v7, null, 0, v15, vcc_lo
	s_waitcnt lgkmcnt(0)
	v_add_co_u32 v11, vcc_lo, 0x800, v6
	v_add_co_ci_u32_e64 v12, null, 0, v7, vcc_lo
	s_barrier
	buffer_gl0_inv
	s_clause 0x2
	flat_load_dword v2, v[6:7]
	flat_load_dword v6, v[6:7] offset:1024
	flat_load_dword v7, v[11:12]
	v_cmp_eq_u32_e32 vcc_lo, 0, v3
	v_cmp_ne_u32_e64 s2, 0, v4
	s_mov_b32 s8, -1
	s_waitcnt vmcnt(1) lgkmcnt(1)
	ds_write2st64_b32 v20, v2, v6 offset1:4
	s_waitcnt vmcnt(0) lgkmcnt(1)
	ds_write_b32 v20, v7 offset:2048
	s_waitcnt lgkmcnt(0)
	s_barrier
	buffer_gl0_inv
	ds_read2_b32 v[6:7], v1 offset1:1
	ds_read_b32 v8, v1 offset:8
	s_waitcnt lgkmcnt(1)
	v_cndmask_b32_e32 v11, s22, v6, vcc_lo
	v_cmp_eq_u32_e32 vcc_lo, 0, v5
	v_cndmask_b32_e32 v1, s22, v7, vcc_lo
	v_cmp_ne_u32_e32 vcc_lo, 0, v5
	v_cndmask_b32_e64 v2, 0, 1, vcc_lo
	v_cmp_ne_u32_e32 vcc_lo, 0, v3
	s_waitcnt lgkmcnt(0)
	v_cndmask_b32_e64 v3, v8, s22, s2
	v_mov_b32_e32 v14, v2
	v_cndmask_b32_e64 v12, 0, 1, vcc_lo
	v_mov_b32_e32 v13, v1
.LBB820_28:
	v_mov_b32_e32 v15, 0
	v_mov_b32_e32 v16, 0
	s_and_saveexec_b32 s3, s8
; %bb.29:
	v_cndmask_b32_e64 v4, 0, 1, s2
	v_mov_b32_e32 v14, v2
	v_mov_b32_e32 v13, v1
	;; [unrolled: 1-line block ×4, first 2 shown]
; %bb.30:
	s_or_b32 exec_lo, exec_lo, s3
	v_or_b32_e32 v25, v14, v16
	v_mbcnt_lo_u32_b32 v22, -1, 0
	v_lshrrev_b32_e32 v23, 5, v0
	v_or_b32_e32 v24, 31, v0
	s_cmp_lg_u32 s13, 0
	s_mov_b32 s4, 0
	s_barrier
	buffer_gl0_inv
	s_cbranch_scc0 .LBB820_56
; %bb.31:
	v_and_b32_e32 v2, 0xff, v25
	v_mov_b32_e32 v1, 0
	s_mov_b32 s5, 1
	v_cmp_gt_u64_e64 s2, s[4:5], v[13:14]
	v_cmp_eq_u64_e32 vcc_lo, 0, v[1:2]
	v_cndmask_b32_e64 v3, 0, v11, s2
	v_cndmask_b32_e32 v2, 1, v12, vcc_lo
	v_cmp_gt_u64_e32 vcc_lo, s[4:5], v[15:16]
	v_add_nc_u32_e32 v3, v3, v13
	v_and_b32_e32 v4, 0xff, v2
	v_and_b32_e32 v6, 1, v2
	v_cndmask_b32_e32 v3, 0, v3, vcc_lo
	v_mov_b32_dpp v5, v4 row_shr:1 row_mask:0xf bank_mask:0xf
	v_cmp_eq_u32_e32 vcc_lo, 1, v6
	v_and_b32_e32 v6, 15, v22
	v_add_nc_u32_e32 v3, v3, v15
	v_and_b32_e32 v5, 1, v5
	v_mov_b32_dpp v7, v3 row_shr:1 row_mask:0xf bank_mask:0xf
	v_cndmask_b32_e64 v5, v5, 1, vcc_lo
	v_cmp_eq_u16_e32 vcc_lo, 0, v4
	v_and_b32_e32 v8, 0xffff, v5
	v_cndmask_b32_e32 v7, 0, v7, vcc_lo
	v_cmp_eq_u32_e32 vcc_lo, 0, v6
	v_cndmask_b32_e32 v4, v8, v4, vcc_lo
	v_cndmask_b32_e32 v2, v5, v2, vcc_lo
	v_cndmask_b32_e64 v7, v7, 0, vcc_lo
	v_mov_b32_dpp v5, v4 row_shr:2 row_mask:0xf bank_mask:0xf
	v_and_b32_e32 v8, 1, v2
	v_add_nc_u32_e32 v3, v7, v3
	v_cmp_eq_u16_sdwa s4, v2, v1 src0_sel:BYTE_0 src1_sel:DWORD
	v_and_b32_e32 v5, 1, v5
	v_cmp_eq_u32_e32 vcc_lo, 1, v8
	v_cndmask_b32_e64 v5, v5, 1, vcc_lo
	v_cmp_lt_u32_e32 vcc_lo, 1, v6
	v_and_b32_e32 v8, 0xffff, v5
	v_cndmask_b32_e32 v5, v2, v5, vcc_lo
	v_mov_b32_dpp v2, v3 row_shr:2 row_mask:0xf bank_mask:0xf
	v_cndmask_b32_e32 v4, v4, v8, vcc_lo
	v_and_b32_e32 v7, 1, v5
	s_and_b32 vcc_lo, vcc_lo, s4
	v_cndmask_b32_e32 v2, 0, v2, vcc_lo
	v_mov_b32_dpp v8, v4 row_shr:4 row_mask:0xf bank_mask:0xf
	v_cmp_eq_u32_e64 s3, 1, v7
	v_cmp_lt_u32_e32 vcc_lo, 3, v6
	v_add_nc_u32_e32 v2, v2, v3
	v_and_b32_e32 v8, 1, v8
	v_cndmask_b32_e64 v7, v8, 1, s3
	v_cmp_eq_u16_sdwa s3, v5, v1 src0_sel:BYTE_0 src1_sel:DWORD
	v_and_b32_e32 v8, 0xffff, v7
	v_cndmask_b32_e32 v3, v5, v7, vcc_lo
	v_mov_b32_dpp v5, v2 row_shr:4 row_mask:0xf bank_mask:0xf
	v_cndmask_b32_e32 v4, v4, v8, vcc_lo
	s_and_b32 vcc_lo, vcc_lo, s3
	v_and_b32_e32 v8, 1, v3
	v_cndmask_b32_e32 v5, 0, v5, vcc_lo
	v_cmp_eq_u16_sdwa s3, v3, v1 src0_sel:BYTE_0 src1_sel:DWORD
	v_mov_b32_dpp v7, v4 row_shr:8 row_mask:0xf bank_mask:0xf
	v_cmp_eq_u32_e32 vcc_lo, 1, v8
	v_add_nc_u32_e32 v2, v5, v2
	v_and_b32_e32 v7, 1, v7
	v_cndmask_b32_e64 v5, v7, 1, vcc_lo
	v_cmp_lt_u32_e32 vcc_lo, 7, v6
	v_mov_b32_dpp v6, v2 row_shr:8 row_mask:0xf bank_mask:0xf
	s_and_b32 s3, vcc_lo, s3
	v_cndmask_b32_e32 v7, v3, v5, vcc_lo
	v_cndmask_b32_e64 v3, 0, v6, s3
	v_and_b32_e32 v5, 0xffff, v5
	v_and_b32_e32 v6, 16, v22
	v_add_nc_u32_e32 v2, v3, v2
	v_cndmask_b32_e32 v3, v4, v5, vcc_lo
	v_cmp_eq_u16_sdwa vcc_lo, v7, v1 src0_sel:BYTE_0 src1_sel:DWORD
	v_bfe_i32 v5, v22, 4, 1
	v_cmp_eq_u32_e64 s3, 0, v6
	ds_swizzle_b32 v4, v2 offset:swizzle(BROADCAST,32,15)
	ds_swizzle_b32 v3, v3 offset:swizzle(BROADCAST,32,15)
	s_waitcnt lgkmcnt(1)
	v_cndmask_b32_e32 v1, 0, v4, vcc_lo
	v_and_b32_e32 v4, 1, v7
	s_waitcnt lgkmcnt(0)
	v_and_b32_e32 v3, 1, v3
	v_and_b32_e32 v1, v5, v1
	v_cmp_eq_u32_e32 vcc_lo, 1, v4
	v_lshlrev_b32_e32 v5, 3, v23
	v_cndmask_b32_e64 v4, v3, 1, vcc_lo
	v_add_nc_u32_e32 v3, v1, v2
	v_cndmask_b32_e64 v4, v4, v7, s3
	s_mov_b32 s3, exec_lo
	v_cmpx_eq_u32_e64 v0, v24
	s_cbranch_execz .LBB820_33
; %bb.32:
	ds_write_b32 v5, v3
	ds_write_b8 v5, v4 offset:4
.LBB820_33:
	s_or_b32 exec_lo, exec_lo, s3
	s_mov_b32 s3, exec_lo
	s_waitcnt lgkmcnt(0)
	s_barrier
	buffer_gl0_inv
	v_cmpx_gt_u32_e32 8, v0
	s_cbranch_execz .LBB820_39
; %bb.34:
	ds_read_b64 v[1:2], v21
	v_and_b32_e32 v6, 7, v22
	s_mov_b32 s4, exec_lo
	s_waitcnt lgkmcnt(0)
	v_and_b32_e32 v7, 0xffffff00, v2
	v_mov_b32_dpp v17, v1 row_shr:1 row_mask:0xf bank_mask:0xf
	v_mov_b32_dpp v18, v2 row_shr:1 row_mask:0xf bank_mask:0xf
	v_mov_b32_e32 v8, v2
	v_cmpx_ne_u32_e32 0, v6
	s_cbranch_execz .LBB820_36
; %bb.35:
	v_mov_b32_e32 v8, 0
	v_and_b32_e32 v19, 1, v2
	v_and_b32_e32 v18, 1, v18
	v_cmp_eq_u16_sdwa vcc_lo, v2, v8 src0_sel:BYTE_0 src1_sel:DWORD
	v_cndmask_b32_e32 v2, 0, v17, vcc_lo
	v_cmp_eq_u32_e32 vcc_lo, 1, v19
	v_add_nc_u32_e32 v1, v2, v1
	v_cndmask_b32_e64 v17, v18, 1, vcc_lo
	v_or_b32_sdwa v8, v7, v17 dst_sel:DWORD dst_unused:UNUSED_PAD src0_sel:DWORD src1_sel:WORD_0
	v_mov_b32_e32 v2, v17
.LBB820_36:
	s_or_b32 exec_lo, exec_lo, s4
	v_mov_b32_dpp v17, v1 row_shr:2 row_mask:0xf bank_mask:0xf
	v_mov_b32_dpp v18, v8 row_shr:2 row_mask:0xf bank_mask:0xf
	s_mov_b32 s4, exec_lo
	v_cmpx_lt_u32_e32 1, v6
	s_cbranch_execz .LBB820_38
; %bb.37:
	v_mov_b32_e32 v8, 0
	v_and_b32_e32 v19, 1, v2
	v_and_b32_e32 v18, 1, v18
	v_cmp_eq_u16_sdwa vcc_lo, v2, v8 src0_sel:BYTE_0 src1_sel:DWORD
	v_cndmask_b32_e32 v2, 0, v17, vcc_lo
	v_cmp_eq_u32_e32 vcc_lo, 1, v19
	v_add_nc_u32_e32 v1, v2, v1
	v_cndmask_b32_e64 v17, v18, 1, vcc_lo
	v_or_b32_sdwa v8, v7, v17 dst_sel:DWORD dst_unused:UNUSED_PAD src0_sel:DWORD src1_sel:WORD_0
	v_mov_b32_e32 v2, v17
.LBB820_38:
	s_or_b32 exec_lo, exec_lo, s4
	v_mov_b32_dpp v7, v8 row_shr:4 row_mask:0xf bank_mask:0xf
	v_and_b32_e32 v17, 1, v2
	v_mov_b32_e32 v8, 0
	v_and_b32_e32 v7, 1, v7
	v_cmp_eq_u32_e32 vcc_lo, 1, v17
	v_cmp_eq_u16_sdwa s4, v2, v8 src0_sel:BYTE_0 src1_sel:DWORD
	v_cndmask_b32_e64 v7, v7, 1, vcc_lo
	v_cmp_lt_u32_e32 vcc_lo, 3, v6
	v_mov_b32_dpp v6, v1 row_shr:4 row_mask:0xf bank_mask:0xf
	v_cndmask_b32_e32 v2, v2, v7, vcc_lo
	s_and_b32 vcc_lo, vcc_lo, s4
	v_cndmask_b32_e32 v6, 0, v6, vcc_lo
	v_add_nc_u32_e32 v1, v6, v1
	ds_write_b32 v21, v1
	ds_write_b8 v21, v2 offset:4
.LBB820_39:
	s_or_b32 exec_lo, exec_lo, s3
	v_mov_b32_e32 v27, 0
	v_mov_b32_e32 v26, 0
	s_mov_b32 s4, exec_lo
	v_cmp_gt_u32_e32 vcc_lo, 32, v0
	s_waitcnt lgkmcnt(0)
	s_barrier
	buffer_gl0_inv
	v_cmpx_lt_u32_e32 31, v0
	s_cbranch_execz .LBB820_41
; %bb.40:
	v_add_nc_u32_e32 v1, -8, v5
	v_and_b32_e32 v2, 1, v4
	ds_read_b32 v26, v1
	v_add_nc_u32_e32 v1, -4, v5
	ds_read_u8 v27, v1
	v_mov_b32_e32 v1, 0
	v_cmp_eq_u16_sdwa s3, v4, v1 src0_sel:BYTE_0 src1_sel:DWORD
	s_waitcnt lgkmcnt(1)
	v_cndmask_b32_e64 v1, 0, v26, s3
	v_cmp_eq_u32_e64 s3, 1, v2
	v_add_nc_u32_e32 v3, v1, v3
	s_waitcnt lgkmcnt(0)
	v_cndmask_b32_e64 v4, v27, 1, s3
.LBB820_41:
	s_or_b32 exec_lo, exec_lo, s4
	v_sub_co_u32 v1, s3, v22, 1
	v_and_b32_e32 v2, 0xff, v4
	v_cmp_gt_i32_e64 s4, 0, v1
	v_cndmask_b32_e64 v1, v1, v22, s4
	v_lshlrev_b32_e32 v1, 2, v1
	ds_bpermute_b32 v28, v1, v3
	ds_bpermute_b32 v29, v1, v2
	s_and_saveexec_b32 s5, vcc_lo
	s_cbranch_execz .LBB820_61
; %bb.42:
	v_mov_b32_e32 v4, 0
	ds_read_b64 v[1:2], v4 offset:56
	s_and_saveexec_b32 s4, s3
	s_cbranch_execz .LBB820_44
; %bb.43:
	s_add_i32 s8, s13, 32
	s_mov_b32 s9, 0
	v_mov_b32_e32 v3, 1
	s_lshl_b64 s[8:9], s[8:9], 4
	s_add_u32 s8, s16, s8
	s_addc_u32 s9, s17, s9
	v_mov_b32_e32 v5, s8
	v_mov_b32_e32 v6, s9
	s_waitcnt lgkmcnt(0)
	;;#ASMSTART
	global_store_dwordx4 v[5:6], v[1:4] off	
s_waitcnt vmcnt(0)
	;;#ASMEND
.LBB820_44:
	s_or_b32 exec_lo, exec_lo, s4
	v_xad_u32 v17, v22, -1, s13
	s_mov_b32 s8, 0
	v_add_nc_u32_e32 v3, 32, v17
	v_lshlrev_b64 v[5:6], 4, v[3:4]
	v_add_co_u32 v18, vcc_lo, s16, v5
	v_add_co_ci_u32_e64 v19, null, s17, v6, vcc_lo
	;;#ASMSTART
	global_load_dwordx4 v[5:8], v[18:19] off glc dlc	
s_waitcnt vmcnt(0)
	;;#ASMEND
	v_and_b32_e32 v6, 0xff, v6
	v_cmp_eq_u16_sdwa s9, v7, v4 src0_sel:BYTE_0 src1_sel:DWORD
	s_and_saveexec_b32 s4, s9
	s_cbranch_execz .LBB820_48
; %bb.45:
	v_mov_b32_e32 v3, 0
.LBB820_46:                             ; =>This Inner Loop Header: Depth=1
	;;#ASMSTART
	global_load_dwordx4 v[5:8], v[18:19] off glc dlc	
s_waitcnt vmcnt(0)
	;;#ASMEND
	v_cmp_ne_u16_sdwa s9, v7, v3 src0_sel:BYTE_0 src1_sel:DWORD
	s_or_b32 s8, s9, s8
	s_andn2_b32 exec_lo, exec_lo, s8
	s_cbranch_execnz .LBB820_46
; %bb.47:
	s_or_b32 exec_lo, exec_lo, s8
	v_and_b32_e32 v6, 0xff, v6
.LBB820_48:
	s_or_b32 exec_lo, exec_lo, s4
	v_cmp_ne_u32_e32 vcc_lo, 31, v22
	v_mov_b32_e32 v30, 2
	v_lshlrev_b32_e64 v31, v22, -1
	v_and_b32_e32 v8, 1, v6
	s_mov_b32 s8, 0
	v_add_co_ci_u32_e64 v3, null, 0, v22, vcc_lo
	v_cmp_eq_u16_sdwa s4, v7, v30 src0_sel:BYTE_0 src1_sel:DWORD
	v_cmp_eq_u32_e32 vcc_lo, 1, v8
	s_mov_b32 s9, 1
	v_lshlrev_b32_e32 v19, 2, v3
	v_add_nc_u32_e32 v39, 8, v22
	v_and_or_b32 v4, s4, v31, 0x80000000
	v_cmp_gt_u64_e64 s4, s[8:9], v[5:6]
	v_lshl_or_b32 v40, v22, 2, 64
	ds_bpermute_b32 v3, v19, v6
	ds_bpermute_b32 v18, v19, v5
	v_ffbl_b32_e32 v4, v4
	v_add_nc_u32_e32 v41, 16, v22
	s_waitcnt lgkmcnt(1)
	v_and_b32_e32 v3, 1, v3
	v_cndmask_b32_e64 v3, v3, 1, vcc_lo
	v_cmp_gt_u32_e32 vcc_lo, 30, v22
	v_and_b32_e32 v33, 0xffff, v3
	v_cndmask_b32_e64 v8, 0, 2, vcc_lo
	v_cmp_lt_u32_e32 vcc_lo, v22, v4
	v_add_lshl_u32 v32, v8, v22, 2
	v_cndmask_b32_e32 v8, v6, v33, vcc_lo
	v_cndmask_b32_e32 v3, v6, v3, vcc_lo
	s_and_b32 vcc_lo, vcc_lo, s4
	s_waitcnt lgkmcnt(0)
	v_cndmask_b32_e32 v6, 0, v18, vcc_lo
	ds_bpermute_b32 v33, v32, v8
	v_and_b32_e32 v18, 1, v3
	v_add_nc_u32_e32 v5, v6, v5
	v_cmp_eq_u32_e32 vcc_lo, 1, v18
	v_mov_b32_e32 v18, 0
	ds_bpermute_b32 v6, v32, v5
	v_cmp_eq_u16_sdwa s4, v3, v18 src0_sel:BYTE_0 src1_sel:DWORD
	s_waitcnt lgkmcnt(1)
	v_and_b32_e32 v34, 1, v33
	v_add_nc_u32_e32 v33, 2, v22
	v_cndmask_b32_e64 v35, v34, 1, vcc_lo
	v_cmp_gt_u32_e32 vcc_lo, 28, v22
	v_and_b32_e32 v36, 0xffff, v35
	v_cndmask_b32_e64 v34, 0, 4, vcc_lo
	v_cmp_gt_u32_e32 vcc_lo, v33, v4
	v_add_lshl_u32 v34, v34, v22, 2
	v_cndmask_b32_e32 v8, v36, v8, vcc_lo
	v_cndmask_b32_e32 v37, v35, v3, vcc_lo
	s_waitcnt lgkmcnt(0)
	v_cndmask_b32_e64 v3, 0, v6, s4
	v_add_nc_u32_e32 v35, 4, v22
	ds_bpermute_b32 v6, v34, v8
	v_and_b32_e32 v36, 1, v37
	v_cndmask_b32_e64 v3, v3, 0, vcc_lo
	v_cmp_eq_u16_sdwa s4, v37, v18 src0_sel:BYTE_0 src1_sel:DWORD
	v_cmp_eq_u32_e32 vcc_lo, 1, v36
	v_add_nc_u32_e32 v3, v3, v5
	ds_bpermute_b32 v5, v34, v3
	s_waitcnt lgkmcnt(1)
	v_and_b32_e32 v6, 1, v6
	v_cndmask_b32_e64 v6, v6, 1, vcc_lo
	v_cmp_gt_u32_e32 vcc_lo, 24, v22
	v_and_b32_e32 v38, 0xffff, v6
	v_cndmask_b32_e64 v36, 0, 8, vcc_lo
	v_cmp_gt_u32_e32 vcc_lo, v35, v4
	s_waitcnt lgkmcnt(0)
	v_cndmask_b32_e64 v5, 0, v5, s4
	v_add_lshl_u32 v36, v36, v22, 2
	v_cndmask_b32_e32 v8, v38, v8, vcc_lo
	v_cndmask_b32_e32 v6, v6, v37, vcc_lo
	v_cndmask_b32_e64 v5, v5, 0, vcc_lo
	ds_bpermute_b32 v37, v36, v8
	v_and_b32_e32 v38, 1, v6
	v_add_nc_u32_e32 v3, v5, v3
	v_cmp_eq_u32_e32 vcc_lo, 1, v38
	ds_bpermute_b32 v5, v36, v3
	s_waitcnt lgkmcnt(1)
	v_and_b32_e32 v37, 1, v37
	v_cndmask_b32_e64 v37, v37, 1, vcc_lo
	v_cmp_eq_u16_sdwa vcc_lo, v6, v18 src0_sel:BYTE_0 src1_sel:DWORD
	v_and_b32_e32 v38, 0xffff, v37
	s_waitcnt lgkmcnt(0)
	v_cndmask_b32_e32 v5, 0, v5, vcc_lo
	v_cmp_gt_u32_e32 vcc_lo, v39, v4
	v_cndmask_b32_e64 v5, v5, 0, vcc_lo
	v_cndmask_b32_e32 v8, v38, v8, vcc_lo
	v_cndmask_b32_e32 v6, v37, v6, vcc_lo
	v_add_nc_u32_e32 v3, v5, v3
	ds_bpermute_b32 v5, v40, v8
	v_and_b32_e32 v37, 1, v6
	v_cmp_eq_u16_sdwa vcc_lo, v6, v18 src0_sel:BYTE_0 src1_sel:DWORD
	ds_bpermute_b32 v8, v40, v3
	s_waitcnt lgkmcnt(1)
	v_and_b32_e32 v5, 1, v5
	s_waitcnt lgkmcnt(0)
	v_cndmask_b32_e32 v8, 0, v8, vcc_lo
	v_cmp_eq_u32_e32 vcc_lo, 1, v37
	v_cndmask_b32_e64 v5, v5, 1, vcc_lo
	v_cmp_gt_u32_e32 vcc_lo, v41, v4
	v_cndmask_b32_e32 v4, v5, v6, vcc_lo
	v_cndmask_b32_e64 v5, v8, 0, vcc_lo
	v_add_nc_u32_e32 v3, v5, v3
	s_branch .LBB820_52
.LBB820_49:                             ;   in Loop: Header=BB820_52 Depth=1
	s_or_b32 exec_lo, exec_lo, s19
	v_and_b32_e32 v6, 0xff, v6
.LBB820_50:                             ;   in Loop: Header=BB820_52 Depth=1
	s_or_b32 exec_lo, exec_lo, s4
	ds_bpermute_b32 v3, v19, v6
	v_cmp_eq_u16_sdwa s4, v7, v30 src0_sel:BYTE_0 src1_sel:DWORD
	v_and_b32_e32 v4, 1, v6
	v_subrev_nc_u32_e32 v17, 32, v17
	v_and_or_b32 v8, s4, v31, 0x80000000
	v_cmp_eq_u32_e32 vcc_lo, 1, v4
	v_cmp_gt_u64_e64 s4, s[8:9], v[5:6]
	v_ffbl_b32_e32 v4, v8
	ds_bpermute_b32 v8, v19, v5
	s_waitcnt lgkmcnt(1)
	v_and_b32_e32 v3, 1, v3
	v_cndmask_b32_e64 v3, v3, 1, vcc_lo
	v_cmp_lt_u32_e32 vcc_lo, v22, v4
	v_and_b32_e32 v42, 0xffff, v3
	v_cndmask_b32_e32 v3, v6, v3, vcc_lo
	v_cndmask_b32_e32 v42, v6, v42, vcc_lo
	s_and_b32 vcc_lo, vcc_lo, s4
	v_cmp_eq_u16_sdwa s4, v3, v18 src0_sel:BYTE_0 src1_sel:DWORD
	s_waitcnt lgkmcnt(0)
	v_cndmask_b32_e32 v6, 0, v8, vcc_lo
	v_and_b32_e32 v8, 1, v3
	ds_bpermute_b32 v43, v32, v42
	v_add_nc_u32_e32 v5, v6, v5
	v_cmp_eq_u32_e32 vcc_lo, 1, v8
	ds_bpermute_b32 v6, v32, v5
	s_waitcnt lgkmcnt(1)
	v_and_b32_e32 v43, 1, v43
	v_cndmask_b32_e64 v8, v43, 1, vcc_lo
	v_cmp_gt_u32_e32 vcc_lo, v33, v4
	v_and_b32_e32 v43, 0xffff, v8
	v_cndmask_b32_e32 v8, v8, v3, vcc_lo
	s_waitcnt lgkmcnt(0)
	v_cndmask_b32_e64 v3, 0, v6, s4
	v_cndmask_b32_e32 v42, v43, v42, vcc_lo
	v_and_b32_e32 v43, 1, v8
	v_cndmask_b32_e64 v3, v3, 0, vcc_lo
	v_cmp_eq_u16_sdwa s4, v8, v18 src0_sel:BYTE_0 src1_sel:DWORD
	ds_bpermute_b32 v6, v34, v42
	v_cmp_eq_u32_e32 vcc_lo, 1, v43
	v_add_nc_u32_e32 v3, v3, v5
	ds_bpermute_b32 v5, v34, v3
	s_waitcnt lgkmcnt(1)
	v_and_b32_e32 v6, 1, v6
	v_cndmask_b32_e64 v6, v6, 1, vcc_lo
	v_cmp_gt_u32_e32 vcc_lo, v35, v4
	s_waitcnt lgkmcnt(0)
	v_cndmask_b32_e64 v5, 0, v5, s4
	s_mov_b32 s4, 0
	v_and_b32_e32 v43, 0xffff, v6
	v_cndmask_b32_e32 v6, v6, v8, vcc_lo
	v_cndmask_b32_e64 v5, v5, 0, vcc_lo
	v_cndmask_b32_e32 v8, v43, v42, vcc_lo
	v_and_b32_e32 v43, 1, v6
	v_add_nc_u32_e32 v3, v5, v3
	ds_bpermute_b32 v42, v36, v8
	v_cmp_eq_u32_e32 vcc_lo, 1, v43
	ds_bpermute_b32 v5, v36, v3
	s_waitcnt lgkmcnt(1)
	v_and_b32_e32 v42, 1, v42
	v_cndmask_b32_e64 v42, v42, 1, vcc_lo
	v_cmp_eq_u16_sdwa vcc_lo, v6, v18 src0_sel:BYTE_0 src1_sel:DWORD
	v_and_b32_e32 v43, 0xffff, v42
	s_waitcnt lgkmcnt(0)
	v_cndmask_b32_e32 v5, 0, v5, vcc_lo
	v_cmp_gt_u32_e32 vcc_lo, v39, v4
	v_cndmask_b32_e64 v5, v5, 0, vcc_lo
	v_cndmask_b32_e32 v8, v43, v8, vcc_lo
	v_cndmask_b32_e32 v6, v42, v6, vcc_lo
	v_add_nc_u32_e32 v3, v5, v3
	ds_bpermute_b32 v5, v40, v8
	v_and_b32_e32 v42, 1, v6
	ds_bpermute_b32 v8, v40, v3
	v_cmp_eq_u32_e32 vcc_lo, 1, v42
	s_waitcnt lgkmcnt(1)
	v_cndmask_b32_e64 v5, v5, 1, vcc_lo
	v_cmp_eq_u16_sdwa vcc_lo, v6, v18 src0_sel:BYTE_0 src1_sel:DWORD
	s_waitcnt lgkmcnt(0)
	v_cndmask_b32_e32 v8, 0, v8, vcc_lo
	v_cmp_gt_u32_e32 vcc_lo, v41, v4
	v_cndmask_b32_e32 v4, v5, v6, vcc_lo
	v_cndmask_b32_e64 v5, v8, 0, vcc_lo
	v_cmp_eq_u16_sdwa vcc_lo, v37, v18 src0_sel:BYTE_0 src1_sel:DWORD
	v_and_b32_e32 v4, 1, v4
	v_add_nc_u32_e32 v3, v5, v3
	v_and_b32_e32 v5, 1, v37
	v_cndmask_b32_e32 v3, 0, v3, vcc_lo
	v_cmp_eq_u32_e32 vcc_lo, 1, v5
	v_add_nc_u32_e32 v3, v3, v38
	v_cndmask_b32_e64 v4, v4, 1, vcc_lo
.LBB820_51:                             ;   in Loop: Header=BB820_52 Depth=1
	s_and_b32 vcc_lo, exec_lo, s4
	s_cbranch_vccnz .LBB820_57
.LBB820_52:                             ; =>This Loop Header: Depth=1
                                        ;     Child Loop BB820_55 Depth 2
	v_cmp_ne_u16_sdwa s4, v7, v30 src0_sel:BYTE_0 src1_sel:DWORD
	v_mov_b32_e32 v37, v4
	v_mov_b32_e32 v38, v3
                                        ; implicit-def: $vgpr4
                                        ; implicit-def: $vgpr3
                                        ; implicit-def: $vgpr7
	s_cmp_lg_u32 s4, exec_lo
	s_mov_b32 s4, -1
	s_cbranch_scc1 .LBB820_51
; %bb.53:                               ;   in Loop: Header=BB820_52 Depth=1
	v_lshlrev_b64 v[3:4], 4, v[17:18]
	v_add_co_u32 v3, vcc_lo, s16, v3
	v_add_co_ci_u32_e64 v4, null, s17, v4, vcc_lo
	;;#ASMSTART
	global_load_dwordx4 v[5:8], v[3:4] off glc dlc	
s_waitcnt vmcnt(0)
	;;#ASMEND
	v_and_b32_e32 v6, 0xff, v6
	v_cmp_eq_u16_sdwa s19, v7, v18 src0_sel:BYTE_0 src1_sel:DWORD
	s_and_saveexec_b32 s4, s19
	s_cbranch_execz .LBB820_50
; %bb.54:                               ;   in Loop: Header=BB820_52 Depth=1
	s_mov_b32 s19, 0
.LBB820_55:                             ;   Parent Loop BB820_52 Depth=1
                                        ; =>  This Inner Loop Header: Depth=2
	;;#ASMSTART
	global_load_dwordx4 v[5:8], v[3:4] off glc dlc	
s_waitcnt vmcnt(0)
	;;#ASMEND
	v_cmp_ne_u16_sdwa s23, v7, v18 src0_sel:BYTE_0 src1_sel:DWORD
	s_or_b32 s19, s23, s19
	s_andn2_b32 exec_lo, exec_lo, s19
	s_cbranch_execnz .LBB820_55
	s_branch .LBB820_49
.LBB820_56:
                                        ; implicit-def: $vgpr6
                                        ; implicit-def: $vgpr5
                                        ; implicit-def: $vgpr7
	s_cbranch_execnz .LBB820_62
	s_branch .LBB820_77
.LBB820_57:
	s_and_saveexec_b32 s4, s3
	s_cbranch_execz .LBB820_59
; %bb.58:
	v_mov_b32_e32 v4, 0
	v_and_b32_e32 v3, 1, v2
	s_mov_b32 s9, 0
	s_add_i32 s8, s13, 32
	v_and_b32_e32 v5, 1, v37
	v_cmp_eq_u32_sdwa vcc_lo, v2, v4 src0_sel:BYTE_0 src1_sel:DWORD
	s_lshl_b64 s[8:9], s[8:9], 4
	s_add_u32 s8, s16, s8
	s_addc_u32 s9, s17, s9
	v_cndmask_b32_e32 v2, 0, v38, vcc_lo
	v_cmp_eq_u32_e32 vcc_lo, 1, v3
	v_mov_b32_e32 v3, 2
	v_add_nc_u32_e32 v1, v2, v1
	v_cndmask_b32_e64 v2, v5, 1, vcc_lo
	v_mov_b32_e32 v5, s8
	v_mov_b32_e32 v6, s9
	;;#ASMSTART
	global_store_dwordx4 v[5:6], v[1:4] off	
s_waitcnt vmcnt(0)
	;;#ASMEND
.LBB820_59:
	s_or_b32 exec_lo, exec_lo, s4
	s_and_b32 exec_lo, exec_lo, s0
	s_cbranch_execz .LBB820_61
; %bb.60:
	v_mov_b32_e32 v1, 0
	ds_write_b32 v1, v38 offset:56
	ds_write_b8 v1, v37 offset:60
.LBB820_61:
	s_or_b32 exec_lo, exec_lo, s5
	v_mov_b32_e32 v1, 0
	s_waitcnt lgkmcnt(0)
	s_barrier
	buffer_gl0_inv
	v_cndmask_b32_e64 v2, v29, v27, s3
	ds_read_b32 v3, v1 offset:56
	v_cndmask_b32_e64 v4, v28, v26, s3
	v_cmp_eq_u16_sdwa vcc_lo, v2, v1 src0_sel:BYTE_0 src1_sel:DWORD
	s_waitcnt lgkmcnt(0)
	v_cndmask_b32_e32 v2, 0, v3, vcc_lo
	v_add_nc_u32_e32 v4, v2, v4
	v_and_b32_e32 v2, 0xff, v12
	v_cndmask_b32_e64 v6, v4, v3, s0
	v_cmp_eq_u64_e32 vcc_lo, 0, v[1:2]
	v_cndmask_b32_e32 v1, 0, v6, vcc_lo
	v_add_nc_u32_e32 v5, v1, v11
	v_cndmask_b32_e64 v1, 0, v5, s2
	v_add_nc_u32_e32 v7, v1, v13
	s_branch .LBB820_77
.LBB820_62:
	s_cmp_eq_u64 s[20:21], 0
	v_mov_b32_e32 v3, s22
	s_cselect_b32 s2, -1, 0
	s_cmp_eq_u64 s[6:7], 0
	s_cselect_b32 s3, -1, 0
	s_or_b32 s2, s2, s3
	s_and_b32 vcc_lo, exec_lo, s2
	s_cbranch_vccnz .LBB820_64
; %bb.63:
	v_mov_b32_e32 v1, 0
	global_load_dword v3, v1, s[6:7]
.LBB820_64:
	v_and_b32_e32 v2, 0xff, v25
	v_mov_b32_e32 v1, 0
	s_mov_b32 s4, 0
	s_mov_b32 s5, 1
	v_cmp_gt_u64_e32 vcc_lo, s[4:5], v[13:14]
	v_cmp_eq_u64_e64 s2, 0, v[1:2]
	v_cndmask_b32_e32 v4, 0, v11, vcc_lo
	v_cndmask_b32_e64 v2, 1, v12, s2
	v_cmp_gt_u64_e64 s2, s[4:5], v[15:16]
	v_add_nc_u32_e32 v4, v4, v13
	v_and_b32_e32 v5, 0xff, v2
	v_and_b32_e32 v7, 1, v2
	v_cndmask_b32_e64 v4, 0, v4, s2
	v_mov_b32_dpp v6, v5 row_shr:1 row_mask:0xf bank_mask:0xf
	v_cmp_eq_u32_e64 s2, 1, v7
	v_and_b32_e32 v7, 15, v22
	v_add_nc_u32_e32 v4, v4, v15
	v_and_b32_e32 v6, 1, v6
	v_mov_b32_dpp v8, v4 row_shr:1 row_mask:0xf bank_mask:0xf
	v_cndmask_b32_e64 v6, v6, 1, s2
	v_cmp_eq_u16_e64 s2, 0, v5
	v_and_b32_e32 v14, 0xffff, v6
	v_cndmask_b32_e64 v8, 0, v8, s2
	v_cmp_eq_u32_e64 s2, 0, v7
	v_cndmask_b32_e64 v5, v14, v5, s2
	v_cndmask_b32_e64 v2, v6, v2, s2
	;; [unrolled: 1-line block ×3, first 2 shown]
	v_mov_b32_dpp v6, v5 row_shr:2 row_mask:0xf bank_mask:0xf
	v_and_b32_e32 v14, 1, v2
	v_add_nc_u32_e32 v4, v8, v4
	v_cmp_eq_u16_sdwa s4, v2, v1 src0_sel:BYTE_0 src1_sel:DWORD
	v_and_b32_e32 v6, 1, v6
	v_cmp_eq_u32_e64 s2, 1, v14
	v_cndmask_b32_e64 v6, v6, 1, s2
	v_cmp_lt_u32_e64 s2, 1, v7
	v_and_b32_e32 v14, 0xffff, v6
	v_cndmask_b32_e64 v6, v2, v6, s2
	v_mov_b32_dpp v2, v4 row_shr:2 row_mask:0xf bank_mask:0xf
	v_cndmask_b32_e64 v5, v5, v14, s2
	v_and_b32_e32 v8, 1, v6
	s_and_b32 s2, s2, s4
	v_cndmask_b32_e64 v2, 0, v2, s2
	v_mov_b32_dpp v14, v5 row_shr:4 row_mask:0xf bank_mask:0xf
	v_cmp_eq_u32_e64 s3, 1, v8
	v_cmp_lt_u32_e64 s2, 3, v7
	v_add_nc_u32_e32 v2, v2, v4
	v_and_b32_e32 v14, 1, v14
	v_cndmask_b32_e64 v8, v14, 1, s3
	v_cmp_eq_u16_sdwa s3, v6, v1 src0_sel:BYTE_0 src1_sel:DWORD
	v_and_b32_e32 v14, 0xffff, v8
	v_cndmask_b32_e64 v4, v6, v8, s2
	v_mov_b32_dpp v6, v2 row_shr:4 row_mask:0xf bank_mask:0xf
	v_cndmask_b32_e64 v5, v5, v14, s2
	s_and_b32 s2, s2, s3
	v_and_b32_e32 v14, 1, v4
	v_cndmask_b32_e64 v6, 0, v6, s2
	v_cmp_eq_u16_sdwa s3, v4, v1 src0_sel:BYTE_0 src1_sel:DWORD
	v_mov_b32_dpp v8, v5 row_shr:8 row_mask:0xf bank_mask:0xf
	v_cmp_eq_u32_e64 s2, 1, v14
	v_add_nc_u32_e32 v2, v6, v2
	v_and_b32_e32 v8, 1, v8
	v_cndmask_b32_e64 v6, v8, 1, s2
	v_cmp_lt_u32_e64 s2, 7, v7
	v_mov_b32_dpp v7, v2 row_shr:8 row_mask:0xf bank_mask:0xf
	s_and_b32 s3, s2, s3
	v_cndmask_b32_e64 v8, v4, v6, s2
	v_cndmask_b32_e64 v4, 0, v7, s3
	v_and_b32_e32 v6, 0xffff, v6
	v_and_b32_e32 v7, 16, v22
	v_add_nc_u32_e32 v2, v4, v2
	v_cndmask_b32_e64 v4, v5, v6, s2
	v_cmp_eq_u16_sdwa s2, v8, v1 src0_sel:BYTE_0 src1_sel:DWORD
	v_bfe_i32 v6, v22, 4, 1
	v_cmp_eq_u32_e64 s3, 0, v7
	ds_swizzle_b32 v5, v2 offset:swizzle(BROADCAST,32,15)
	ds_swizzle_b32 v4, v4 offset:swizzle(BROADCAST,32,15)
	s_waitcnt lgkmcnt(1)
	v_cndmask_b32_e64 v1, 0, v5, s2
	v_and_b32_e32 v5, 1, v8
	s_waitcnt lgkmcnt(0)
	v_and_b32_e32 v4, 1, v4
	v_and_b32_e32 v1, v6, v1
	v_cmp_eq_u32_e64 s2, 1, v5
	v_lshlrev_b32_e32 v6, 3, v23
	v_cndmask_b32_e64 v5, v4, 1, s2
	v_add_nc_u32_e32 v4, v1, v2
	v_cndmask_b32_e64 v5, v5, v8, s3
	s_mov_b32 s3, exec_lo
	v_cmpx_eq_u32_e64 v0, v24
	s_cbranch_execz .LBB820_66
; %bb.65:
	ds_write_b32 v6, v4
	ds_write_b8 v6, v5 offset:4
.LBB820_66:
	s_or_b32 exec_lo, exec_lo, s3
	s_mov_b32 s3, exec_lo
	s_waitcnt vmcnt(0) lgkmcnt(0)
	s_barrier
	buffer_gl0_inv
	v_cmpx_gt_u32_e32 8, v0
	s_cbranch_execz .LBB820_72
; %bb.67:
	ds_read_b64 v[1:2], v21
	v_and_b32_e32 v7, 7, v22
	s_mov_b32 s4, exec_lo
	s_waitcnt lgkmcnt(0)
	v_and_b32_e32 v8, 0xffffff00, v2
	v_mov_b32_dpp v15, v1 row_shr:1 row_mask:0xf bank_mask:0xf
	v_mov_b32_dpp v16, v2 row_shr:1 row_mask:0xf bank_mask:0xf
	v_mov_b32_e32 v14, v2
	v_cmpx_ne_u32_e32 0, v7
	s_cbranch_execz .LBB820_69
; %bb.68:
	v_mov_b32_e32 v14, 0
	v_and_b32_e32 v17, 1, v2
	v_and_b32_e32 v16, 1, v16
	v_cmp_eq_u16_sdwa s2, v2, v14 src0_sel:BYTE_0 src1_sel:DWORD
	v_cndmask_b32_e64 v2, 0, v15, s2
	v_cmp_eq_u32_e64 s2, 1, v17
	v_add_nc_u32_e32 v1, v2, v1
	v_cndmask_b32_e64 v15, v16, 1, s2
	v_or_b32_sdwa v14, v8, v15 dst_sel:DWORD dst_unused:UNUSED_PAD src0_sel:DWORD src1_sel:WORD_0
	v_mov_b32_e32 v2, v15
.LBB820_69:
	s_or_b32 exec_lo, exec_lo, s4
	v_mov_b32_dpp v15, v1 row_shr:2 row_mask:0xf bank_mask:0xf
	v_mov_b32_dpp v16, v14 row_shr:2 row_mask:0xf bank_mask:0xf
	s_mov_b32 s4, exec_lo
	v_cmpx_lt_u32_e32 1, v7
	s_cbranch_execz .LBB820_71
; %bb.70:
	v_mov_b32_e32 v14, 0
	v_and_b32_e32 v17, 1, v2
	v_and_b32_e32 v16, 1, v16
	v_cmp_eq_u16_sdwa s2, v2, v14 src0_sel:BYTE_0 src1_sel:DWORD
	v_cndmask_b32_e64 v2, 0, v15, s2
	v_cmp_eq_u32_e64 s2, 1, v17
	v_add_nc_u32_e32 v1, v2, v1
	v_cndmask_b32_e64 v15, v16, 1, s2
	v_or_b32_sdwa v14, v8, v15 dst_sel:DWORD dst_unused:UNUSED_PAD src0_sel:DWORD src1_sel:WORD_0
	v_mov_b32_e32 v2, v15
.LBB820_71:
	s_or_b32 exec_lo, exec_lo, s4
	v_mov_b32_dpp v8, v14 row_shr:4 row_mask:0xf bank_mask:0xf
	v_and_b32_e32 v15, 1, v2
	v_mov_b32_e32 v14, 0
	v_and_b32_e32 v8, 1, v8
	v_cmp_eq_u32_e64 s2, 1, v15
	v_cmp_eq_u16_sdwa s4, v2, v14 src0_sel:BYTE_0 src1_sel:DWORD
	v_cndmask_b32_e64 v8, v8, 1, s2
	v_cmp_lt_u32_e64 s2, 3, v7
	v_mov_b32_dpp v7, v1 row_shr:4 row_mask:0xf bank_mask:0xf
	v_cndmask_b32_e64 v2, v2, v8, s2
	s_and_b32 s2, s2, s4
	v_cndmask_b32_e64 v7, 0, v7, s2
	v_add_nc_u32_e32 v1, v7, v1
	ds_write_b32 v21, v1
	ds_write_b8 v21, v2 offset:4
.LBB820_72:
	s_or_b32 exec_lo, exec_lo, s3
	v_mov_b32_e32 v2, v3
	s_mov_b32 s3, exec_lo
	s_waitcnt lgkmcnt(0)
	s_barrier
	buffer_gl0_inv
	v_cmpx_lt_u32_e32 31, v0
	s_cbranch_execz .LBB820_74
; %bb.73:
	v_add_nc_u32_e32 v1, -4, v6
	v_add_nc_u32_e32 v2, -8, v6
	ds_read_u8 v1, v1
	ds_read_b32 v2, v2
	s_waitcnt lgkmcnt(1)
	v_cmp_eq_u16_e64 s2, 0, v1
	v_cndmask_b32_e64 v1, 0, v3, s2
	s_waitcnt lgkmcnt(0)
	v_add_nc_u32_e32 v2, v1, v2
.LBB820_74:
	s_or_b32 exec_lo, exec_lo, s3
	v_mov_b32_e32 v1, 0
	v_sub_co_u32 v6, s2, v22, 1
	v_cmp_eq_u16_sdwa s3, v5, v1 src0_sel:BYTE_0 src1_sel:DWORD
	v_cndmask_b32_e64 v5, 0, v2, s3
	v_cmp_gt_i32_e64 s3, 0, v6
	v_add_nc_u32_e32 v4, v5, v4
	v_cndmask_b32_e64 v6, v6, v22, s3
	v_lshlrev_b32_e32 v5, 2, v6
	ds_bpermute_b32 v4, v5, v4
	s_waitcnt lgkmcnt(0)
	v_cndmask_b32_e64 v6, v4, v2, s2
	v_and_b32_e32 v2, 0xff, v12
	v_cndmask_b32_e64 v4, v6, v3, s0
	v_cmp_eq_u64_e64 s2, 0, v[1:2]
	v_cndmask_b32_e64 v2, 0, v4, s2
	v_add_nc_u32_e32 v5, v2, v11
	v_cndmask_b32_e32 v2, 0, v5, vcc_lo
	s_and_saveexec_b32 s2, s0
	s_cbranch_execz .LBB820_76
; %bb.75:
	ds_read_u8 v4, v1 offset:60
	ds_read_b32 v6, v1 offset:56
	v_mov_b32_e32 v16, v1
	s_add_u32 s4, s16, 0x200
	s_addc_u32 s5, s17, 0
	v_mov_b32_e32 v17, v1
	v_mov_b32_e32 v8, s5
	;; [unrolled: 1-line block ×3, first 2 shown]
	s_waitcnt lgkmcnt(1)
	v_and_b32_e32 v15, 0xffff, v4
	v_cmp_eq_u64_e32 vcc_lo, 0, v[15:16]
	v_mov_b32_e32 v16, 2
	v_cndmask_b32_e32 v4, 0, v3, vcc_lo
	s_waitcnt lgkmcnt(0)
	v_add_nc_u32_e32 v14, v4, v6
	v_mov_b32_e32 v6, v3
	;;#ASMSTART
	global_store_dwordx4 v[7:8], v[14:17] off	
s_waitcnt vmcnt(0)
	;;#ASMEND
.LBB820_76:
	s_or_b32 exec_lo, exec_lo, s2
	v_add_nc_u32_e32 v7, v2, v13
.LBB820_77:
	s_add_u32 s0, s14, s10
	s_addc_u32 s2, s15, s11
	v_add_co_u32 v8, vcc_lo, s0, v9
	v_add_co_ci_u32_e64 v9, null, s2, v10, vcc_lo
	v_mov_b32_e32 v3, 0
	s_and_b32 vcc_lo, exec_lo, s1
	s_cbranch_vccz .LBB820_89
; %bb.78:
	v_mul_u32_u24_e32 v1, 3, v0
	v_mov_b32_e32 v4, 0
	v_mov_b32_e32 v2, 0
	s_add_i32 s12, s12, s18
	s_mov_b32 s0, exec_lo
	v_cmpx_gt_u32_e64 s12, v1
	s_cbranch_execz .LBB820_84
; %bb.79:
	v_add_nc_u32_e32 v3, 1, v1
	v_mov_b32_e32 v2, 0
	v_mov_b32_e32 v4, 0
	s_mov_b32 s1, exec_lo
	v_cmpx_gt_u32_e64 s12, v3
	s_cbranch_execz .LBB820_83
; %bb.80:
	v_add_nc_u32_e32 v2, 2, v1
	v_cmp_gt_u32_e32 vcc_lo, s12, v2
	v_mov_b32_e32 v2, 0
	s_and_saveexec_b32 s2, vcc_lo
; %bb.81:
	v_mov_b32_e32 v2, v7
; %bb.82:
	s_or_b32 exec_lo, exec_lo, s2
	v_mov_b32_e32 v4, v5
.LBB820_83:
	s_or_b32 exec_lo, exec_lo, s1
	v_mov_b32_e32 v3, v6
.LBB820_84:
	s_or_b32 exec_lo, exec_lo, s0
	v_lshlrev_b32_e32 v10, 2, v1
	s_barrier
	buffer_gl0_inv
	s_mov_b32 s0, exec_lo
	v_sub_nc_u32_e32 v1, v10, v21
	ds_write2_b32 v10, v3, v4 offset1:1
	ds_write_b32 v10, v2 offset:8
	s_waitcnt lgkmcnt(0)
	s_barrier
	buffer_gl0_inv
	ds_read2st64_b32 v[1:2], v1 offset0:4 offset1:8
	v_add_co_u32 v3, vcc_lo, v8, v20
	v_add_co_ci_u32_e64 v4, null, 0, v9, vcc_lo
	v_cmpx_gt_u32_e64 s12, v0
	s_cbranch_execz .LBB820_86
; %bb.85:
	v_sub_nc_u32_e32 v11, 0, v21
	v_add_nc_u32_e32 v10, v10, v11
	ds_read_b32 v10, v10
	s_waitcnt lgkmcnt(0)
	flat_store_dword v[3:4], v10
.LBB820_86:
	s_or_b32 exec_lo, exec_lo, s0
	v_or_b32_e32 v10, 0x100, v0
	s_mov_b32 s0, exec_lo
	v_cmpx_gt_u32_e64 s12, v10
	s_cbranch_execz .LBB820_88
; %bb.87:
	s_waitcnt lgkmcnt(0)
	flat_store_dword v[3:4], v1 offset:1024
.LBB820_88:
	s_or_b32 exec_lo, exec_lo, s0
	s_waitcnt lgkmcnt(0)
	v_or_b32_e32 v1, 0x200, v0
	v_cmp_gt_u32_e64 s0, s12, v1
	s_branch .LBB820_91
.LBB820_89:
	s_mov_b32 s0, 0
                                        ; implicit-def: $vgpr2
	s_cbranch_execz .LBB820_91
; %bb.90:
	v_mul_u32_u24_e32 v1, 12, v0
	s_waitcnt_vscnt null, 0x0
	s_barrier
	buffer_gl0_inv
	s_or_b32 s0, s0, exec_lo
	v_sub_nc_u32_e32 v2, v1, v21
	ds_write2_b32 v1, v6, v5 offset1:1
	ds_write_b32 v1, v7 offset:8
	s_waitcnt lgkmcnt(0)
	s_barrier
	buffer_gl0_inv
	ds_read2st64_b32 v[3:4], v2 offset1:4
	ds_read_b32 v2, v2 offset:2048
	v_add_co_u32 v5, vcc_lo, v8, v20
	v_add_co_ci_u32_e64 v6, null, 0, v9, vcc_lo
	s_waitcnt lgkmcnt(1)
	flat_store_dword v[5:6], v3
	flat_store_dword v[5:6], v4 offset:1024
.LBB820_91:
	s_and_saveexec_b32 s1, s0
	s_cbranch_execnz .LBB820_93
; %bb.92:
	s_endpgm
.LBB820_93:
	v_lshlrev_b32_e32 v0, 2, v0
	v_add_co_u32 v0, vcc_lo, v8, v0
	v_add_co_ci_u32_e64 v1, null, 0, v9, vcc_lo
	v_add_co_u32 v0, vcc_lo, 0x800, v0
	v_add_co_ci_u32_e64 v1, null, 0, v1, vcc_lo
	s_waitcnt lgkmcnt(2)
	flat_store_dword v[0:1], v2
	s_endpgm
.LBB820_94:
	v_add_co_u32 v2, vcc_lo, v8, v12
	v_add_co_ci_u32_e64 v3, null, 0, v15, vcc_lo
	v_mov_b32_e32 v20, v1
	v_mov_b32_e32 v21, v1
	flat_load_dword v19, v[2:3]
	s_waitcnt vmcnt(0) lgkmcnt(0)
	v_mov_b32_e32 v1, v19
	v_mov_b32_e32 v2, v20
	;; [unrolled: 1-line block ×3, first 2 shown]
	s_or_b32 exec_lo, exec_lo, s4
	s_and_saveexec_b32 s4, s2
	s_cbranch_execz .LBB820_15
.LBB820_95:
	v_add_co_u32 v13, vcc_lo, v8, v12
	v_add_co_ci_u32_e64 v14, null, 0, v15, vcc_lo
	flat_load_dword v2, v[13:14] offset:1024
	s_or_b32 exec_lo, exec_lo, s4
	v_mul_u32_u24_e32 v19, 3, v0
	s_and_saveexec_b32 s2, s3
	s_cbranch_execnz .LBB820_16
	s_branch .LBB820_17
	.section	.rodata,"a",@progbits
	.p2align	6, 0x0
	.amdhsa_kernel _ZN7rocprim17ROCPRIM_400000_NS6detail17trampoline_kernelINS0_14default_configENS1_27scan_by_key_config_selectorIiiEEZZNS1_16scan_by_key_implILNS1_25lookback_scan_determinismE0ELb1ES3_N6thrust23THRUST_200600_302600_NS6detail15normal_iteratorINS9_10device_ptrIiEEEESE_SE_iNS9_4plusIiEE19head_flag_predicateiEE10hipError_tPvRmT2_T3_T4_T5_mT6_T7_P12ihipStream_tbENKUlT_T0_E_clISt17integral_constantIbLb0EESX_IbLb1EEEEDaST_SU_EUlST_E_NS1_11comp_targetILNS1_3genE8ELNS1_11target_archE1030ELNS1_3gpuE2ELNS1_3repE0EEENS1_30default_config_static_selectorELNS0_4arch9wavefront6targetE0EEEvT1_
		.amdhsa_group_segment_fixed_size 5120
		.amdhsa_private_segment_fixed_size 0
		.amdhsa_kernarg_size 112
		.amdhsa_user_sgpr_count 6
		.amdhsa_user_sgpr_private_segment_buffer 1
		.amdhsa_user_sgpr_dispatch_ptr 0
		.amdhsa_user_sgpr_queue_ptr 0
		.amdhsa_user_sgpr_kernarg_segment_ptr 1
		.amdhsa_user_sgpr_dispatch_id 0
		.amdhsa_user_sgpr_flat_scratch_init 0
		.amdhsa_user_sgpr_private_segment_size 0
		.amdhsa_wavefront_size32 1
		.amdhsa_uses_dynamic_stack 0
		.amdhsa_system_sgpr_private_segment_wavefront_offset 0
		.amdhsa_system_sgpr_workgroup_id_x 1
		.amdhsa_system_sgpr_workgroup_id_y 0
		.amdhsa_system_sgpr_workgroup_id_z 0
		.amdhsa_system_sgpr_workgroup_info 0
		.amdhsa_system_vgpr_workitem_id 0
		.amdhsa_next_free_vgpr 44
		.amdhsa_next_free_sgpr 24
		.amdhsa_reserve_vcc 1
		.amdhsa_reserve_flat_scratch 1
		.amdhsa_float_round_mode_32 0
		.amdhsa_float_round_mode_16_64 0
		.amdhsa_float_denorm_mode_32 3
		.amdhsa_float_denorm_mode_16_64 3
		.amdhsa_dx10_clamp 1
		.amdhsa_ieee_mode 1
		.amdhsa_fp16_overflow 0
		.amdhsa_workgroup_processor_mode 1
		.amdhsa_memory_ordered 1
		.amdhsa_forward_progress 1
		.amdhsa_shared_vgpr_count 0
		.amdhsa_exception_fp_ieee_invalid_op 0
		.amdhsa_exception_fp_denorm_src 0
		.amdhsa_exception_fp_ieee_div_zero 0
		.amdhsa_exception_fp_ieee_overflow 0
		.amdhsa_exception_fp_ieee_underflow 0
		.amdhsa_exception_fp_ieee_inexact 0
		.amdhsa_exception_int_div_zero 0
	.end_amdhsa_kernel
	.section	.text._ZN7rocprim17ROCPRIM_400000_NS6detail17trampoline_kernelINS0_14default_configENS1_27scan_by_key_config_selectorIiiEEZZNS1_16scan_by_key_implILNS1_25lookback_scan_determinismE0ELb1ES3_N6thrust23THRUST_200600_302600_NS6detail15normal_iteratorINS9_10device_ptrIiEEEESE_SE_iNS9_4plusIiEE19head_flag_predicateiEE10hipError_tPvRmT2_T3_T4_T5_mT6_T7_P12ihipStream_tbENKUlT_T0_E_clISt17integral_constantIbLb0EESX_IbLb1EEEEDaST_SU_EUlST_E_NS1_11comp_targetILNS1_3genE8ELNS1_11target_archE1030ELNS1_3gpuE2ELNS1_3repE0EEENS1_30default_config_static_selectorELNS0_4arch9wavefront6targetE0EEEvT1_,"axG",@progbits,_ZN7rocprim17ROCPRIM_400000_NS6detail17trampoline_kernelINS0_14default_configENS1_27scan_by_key_config_selectorIiiEEZZNS1_16scan_by_key_implILNS1_25lookback_scan_determinismE0ELb1ES3_N6thrust23THRUST_200600_302600_NS6detail15normal_iteratorINS9_10device_ptrIiEEEESE_SE_iNS9_4plusIiEE19head_flag_predicateiEE10hipError_tPvRmT2_T3_T4_T5_mT6_T7_P12ihipStream_tbENKUlT_T0_E_clISt17integral_constantIbLb0EESX_IbLb1EEEEDaST_SU_EUlST_E_NS1_11comp_targetILNS1_3genE8ELNS1_11target_archE1030ELNS1_3gpuE2ELNS1_3repE0EEENS1_30default_config_static_selectorELNS0_4arch9wavefront6targetE0EEEvT1_,comdat
.Lfunc_end820:
	.size	_ZN7rocprim17ROCPRIM_400000_NS6detail17trampoline_kernelINS0_14default_configENS1_27scan_by_key_config_selectorIiiEEZZNS1_16scan_by_key_implILNS1_25lookback_scan_determinismE0ELb1ES3_N6thrust23THRUST_200600_302600_NS6detail15normal_iteratorINS9_10device_ptrIiEEEESE_SE_iNS9_4plusIiEE19head_flag_predicateiEE10hipError_tPvRmT2_T3_T4_T5_mT6_T7_P12ihipStream_tbENKUlT_T0_E_clISt17integral_constantIbLb0EESX_IbLb1EEEEDaST_SU_EUlST_E_NS1_11comp_targetILNS1_3genE8ELNS1_11target_archE1030ELNS1_3gpuE2ELNS1_3repE0EEENS1_30default_config_static_selectorELNS0_4arch9wavefront6targetE0EEEvT1_, .Lfunc_end820-_ZN7rocprim17ROCPRIM_400000_NS6detail17trampoline_kernelINS0_14default_configENS1_27scan_by_key_config_selectorIiiEEZZNS1_16scan_by_key_implILNS1_25lookback_scan_determinismE0ELb1ES3_N6thrust23THRUST_200600_302600_NS6detail15normal_iteratorINS9_10device_ptrIiEEEESE_SE_iNS9_4plusIiEE19head_flag_predicateiEE10hipError_tPvRmT2_T3_T4_T5_mT6_T7_P12ihipStream_tbENKUlT_T0_E_clISt17integral_constantIbLb0EESX_IbLb1EEEEDaST_SU_EUlST_E_NS1_11comp_targetILNS1_3genE8ELNS1_11target_archE1030ELNS1_3gpuE2ELNS1_3repE0EEENS1_30default_config_static_selectorELNS0_4arch9wavefront6targetE0EEEvT1_
                                        ; -- End function
	.set _ZN7rocprim17ROCPRIM_400000_NS6detail17trampoline_kernelINS0_14default_configENS1_27scan_by_key_config_selectorIiiEEZZNS1_16scan_by_key_implILNS1_25lookback_scan_determinismE0ELb1ES3_N6thrust23THRUST_200600_302600_NS6detail15normal_iteratorINS9_10device_ptrIiEEEESE_SE_iNS9_4plusIiEE19head_flag_predicateiEE10hipError_tPvRmT2_T3_T4_T5_mT6_T7_P12ihipStream_tbENKUlT_T0_E_clISt17integral_constantIbLb0EESX_IbLb1EEEEDaST_SU_EUlST_E_NS1_11comp_targetILNS1_3genE8ELNS1_11target_archE1030ELNS1_3gpuE2ELNS1_3repE0EEENS1_30default_config_static_selectorELNS0_4arch9wavefront6targetE0EEEvT1_.num_vgpr, 44
	.set _ZN7rocprim17ROCPRIM_400000_NS6detail17trampoline_kernelINS0_14default_configENS1_27scan_by_key_config_selectorIiiEEZZNS1_16scan_by_key_implILNS1_25lookback_scan_determinismE0ELb1ES3_N6thrust23THRUST_200600_302600_NS6detail15normal_iteratorINS9_10device_ptrIiEEEESE_SE_iNS9_4plusIiEE19head_flag_predicateiEE10hipError_tPvRmT2_T3_T4_T5_mT6_T7_P12ihipStream_tbENKUlT_T0_E_clISt17integral_constantIbLb0EESX_IbLb1EEEEDaST_SU_EUlST_E_NS1_11comp_targetILNS1_3genE8ELNS1_11target_archE1030ELNS1_3gpuE2ELNS1_3repE0EEENS1_30default_config_static_selectorELNS0_4arch9wavefront6targetE0EEEvT1_.num_agpr, 0
	.set _ZN7rocprim17ROCPRIM_400000_NS6detail17trampoline_kernelINS0_14default_configENS1_27scan_by_key_config_selectorIiiEEZZNS1_16scan_by_key_implILNS1_25lookback_scan_determinismE0ELb1ES3_N6thrust23THRUST_200600_302600_NS6detail15normal_iteratorINS9_10device_ptrIiEEEESE_SE_iNS9_4plusIiEE19head_flag_predicateiEE10hipError_tPvRmT2_T3_T4_T5_mT6_T7_P12ihipStream_tbENKUlT_T0_E_clISt17integral_constantIbLb0EESX_IbLb1EEEEDaST_SU_EUlST_E_NS1_11comp_targetILNS1_3genE8ELNS1_11target_archE1030ELNS1_3gpuE2ELNS1_3repE0EEENS1_30default_config_static_selectorELNS0_4arch9wavefront6targetE0EEEvT1_.numbered_sgpr, 24
	.set _ZN7rocprim17ROCPRIM_400000_NS6detail17trampoline_kernelINS0_14default_configENS1_27scan_by_key_config_selectorIiiEEZZNS1_16scan_by_key_implILNS1_25lookback_scan_determinismE0ELb1ES3_N6thrust23THRUST_200600_302600_NS6detail15normal_iteratorINS9_10device_ptrIiEEEESE_SE_iNS9_4plusIiEE19head_flag_predicateiEE10hipError_tPvRmT2_T3_T4_T5_mT6_T7_P12ihipStream_tbENKUlT_T0_E_clISt17integral_constantIbLb0EESX_IbLb1EEEEDaST_SU_EUlST_E_NS1_11comp_targetILNS1_3genE8ELNS1_11target_archE1030ELNS1_3gpuE2ELNS1_3repE0EEENS1_30default_config_static_selectorELNS0_4arch9wavefront6targetE0EEEvT1_.num_named_barrier, 0
	.set _ZN7rocprim17ROCPRIM_400000_NS6detail17trampoline_kernelINS0_14default_configENS1_27scan_by_key_config_selectorIiiEEZZNS1_16scan_by_key_implILNS1_25lookback_scan_determinismE0ELb1ES3_N6thrust23THRUST_200600_302600_NS6detail15normal_iteratorINS9_10device_ptrIiEEEESE_SE_iNS9_4plusIiEE19head_flag_predicateiEE10hipError_tPvRmT2_T3_T4_T5_mT6_T7_P12ihipStream_tbENKUlT_T0_E_clISt17integral_constantIbLb0EESX_IbLb1EEEEDaST_SU_EUlST_E_NS1_11comp_targetILNS1_3genE8ELNS1_11target_archE1030ELNS1_3gpuE2ELNS1_3repE0EEENS1_30default_config_static_selectorELNS0_4arch9wavefront6targetE0EEEvT1_.private_seg_size, 0
	.set _ZN7rocprim17ROCPRIM_400000_NS6detail17trampoline_kernelINS0_14default_configENS1_27scan_by_key_config_selectorIiiEEZZNS1_16scan_by_key_implILNS1_25lookback_scan_determinismE0ELb1ES3_N6thrust23THRUST_200600_302600_NS6detail15normal_iteratorINS9_10device_ptrIiEEEESE_SE_iNS9_4plusIiEE19head_flag_predicateiEE10hipError_tPvRmT2_T3_T4_T5_mT6_T7_P12ihipStream_tbENKUlT_T0_E_clISt17integral_constantIbLb0EESX_IbLb1EEEEDaST_SU_EUlST_E_NS1_11comp_targetILNS1_3genE8ELNS1_11target_archE1030ELNS1_3gpuE2ELNS1_3repE0EEENS1_30default_config_static_selectorELNS0_4arch9wavefront6targetE0EEEvT1_.uses_vcc, 1
	.set _ZN7rocprim17ROCPRIM_400000_NS6detail17trampoline_kernelINS0_14default_configENS1_27scan_by_key_config_selectorIiiEEZZNS1_16scan_by_key_implILNS1_25lookback_scan_determinismE0ELb1ES3_N6thrust23THRUST_200600_302600_NS6detail15normal_iteratorINS9_10device_ptrIiEEEESE_SE_iNS9_4plusIiEE19head_flag_predicateiEE10hipError_tPvRmT2_T3_T4_T5_mT6_T7_P12ihipStream_tbENKUlT_T0_E_clISt17integral_constantIbLb0EESX_IbLb1EEEEDaST_SU_EUlST_E_NS1_11comp_targetILNS1_3genE8ELNS1_11target_archE1030ELNS1_3gpuE2ELNS1_3repE0EEENS1_30default_config_static_selectorELNS0_4arch9wavefront6targetE0EEEvT1_.uses_flat_scratch, 1
	.set _ZN7rocprim17ROCPRIM_400000_NS6detail17trampoline_kernelINS0_14default_configENS1_27scan_by_key_config_selectorIiiEEZZNS1_16scan_by_key_implILNS1_25lookback_scan_determinismE0ELb1ES3_N6thrust23THRUST_200600_302600_NS6detail15normal_iteratorINS9_10device_ptrIiEEEESE_SE_iNS9_4plusIiEE19head_flag_predicateiEE10hipError_tPvRmT2_T3_T4_T5_mT6_T7_P12ihipStream_tbENKUlT_T0_E_clISt17integral_constantIbLb0EESX_IbLb1EEEEDaST_SU_EUlST_E_NS1_11comp_targetILNS1_3genE8ELNS1_11target_archE1030ELNS1_3gpuE2ELNS1_3repE0EEENS1_30default_config_static_selectorELNS0_4arch9wavefront6targetE0EEEvT1_.has_dyn_sized_stack, 0
	.set _ZN7rocprim17ROCPRIM_400000_NS6detail17trampoline_kernelINS0_14default_configENS1_27scan_by_key_config_selectorIiiEEZZNS1_16scan_by_key_implILNS1_25lookback_scan_determinismE0ELb1ES3_N6thrust23THRUST_200600_302600_NS6detail15normal_iteratorINS9_10device_ptrIiEEEESE_SE_iNS9_4plusIiEE19head_flag_predicateiEE10hipError_tPvRmT2_T3_T4_T5_mT6_T7_P12ihipStream_tbENKUlT_T0_E_clISt17integral_constantIbLb0EESX_IbLb1EEEEDaST_SU_EUlST_E_NS1_11comp_targetILNS1_3genE8ELNS1_11target_archE1030ELNS1_3gpuE2ELNS1_3repE0EEENS1_30default_config_static_selectorELNS0_4arch9wavefront6targetE0EEEvT1_.has_recursion, 0
	.set _ZN7rocprim17ROCPRIM_400000_NS6detail17trampoline_kernelINS0_14default_configENS1_27scan_by_key_config_selectorIiiEEZZNS1_16scan_by_key_implILNS1_25lookback_scan_determinismE0ELb1ES3_N6thrust23THRUST_200600_302600_NS6detail15normal_iteratorINS9_10device_ptrIiEEEESE_SE_iNS9_4plusIiEE19head_flag_predicateiEE10hipError_tPvRmT2_T3_T4_T5_mT6_T7_P12ihipStream_tbENKUlT_T0_E_clISt17integral_constantIbLb0EESX_IbLb1EEEEDaST_SU_EUlST_E_NS1_11comp_targetILNS1_3genE8ELNS1_11target_archE1030ELNS1_3gpuE2ELNS1_3repE0EEENS1_30default_config_static_selectorELNS0_4arch9wavefront6targetE0EEEvT1_.has_indirect_call, 0
	.section	.AMDGPU.csdata,"",@progbits
; Kernel info:
; codeLenInByte = 6348
; TotalNumSgprs: 26
; NumVgprs: 44
; ScratchSize: 0
; MemoryBound: 0
; FloatMode: 240
; IeeeMode: 1
; LDSByteSize: 5120 bytes/workgroup (compile time only)
; SGPRBlocks: 0
; VGPRBlocks: 5
; NumSGPRsForWavesPerEU: 26
; NumVGPRsForWavesPerEU: 44
; Occupancy: 16
; WaveLimiterHint : 1
; COMPUTE_PGM_RSRC2:SCRATCH_EN: 0
; COMPUTE_PGM_RSRC2:USER_SGPR: 6
; COMPUTE_PGM_RSRC2:TRAP_HANDLER: 0
; COMPUTE_PGM_RSRC2:TGID_X_EN: 1
; COMPUTE_PGM_RSRC2:TGID_Y_EN: 0
; COMPUTE_PGM_RSRC2:TGID_Z_EN: 0
; COMPUTE_PGM_RSRC2:TIDIG_COMP_CNT: 0
	.section	.text._ZN7rocprim17ROCPRIM_400000_NS6detail17trampoline_kernelINS0_14default_configENS1_27scan_by_key_config_selectorIssEEZZNS1_16scan_by_key_implILNS1_25lookback_scan_determinismE0ELb0ES3_N6thrust23THRUST_200600_302600_NS6detail15normal_iteratorINS9_10device_ptrIsEEEESE_SE_sNS9_4plusIsEE19head_flag_predicatesEE10hipError_tPvRmT2_T3_T4_T5_mT6_T7_P12ihipStream_tbENKUlT_T0_E_clISt17integral_constantIbLb0EESY_EEDaST_SU_EUlST_E_NS1_11comp_targetILNS1_3genE0ELNS1_11target_archE4294967295ELNS1_3gpuE0ELNS1_3repE0EEENS1_30default_config_static_selectorELNS0_4arch9wavefront6targetE0EEEvT1_,"axG",@progbits,_ZN7rocprim17ROCPRIM_400000_NS6detail17trampoline_kernelINS0_14default_configENS1_27scan_by_key_config_selectorIssEEZZNS1_16scan_by_key_implILNS1_25lookback_scan_determinismE0ELb0ES3_N6thrust23THRUST_200600_302600_NS6detail15normal_iteratorINS9_10device_ptrIsEEEESE_SE_sNS9_4plusIsEE19head_flag_predicatesEE10hipError_tPvRmT2_T3_T4_T5_mT6_T7_P12ihipStream_tbENKUlT_T0_E_clISt17integral_constantIbLb0EESY_EEDaST_SU_EUlST_E_NS1_11comp_targetILNS1_3genE0ELNS1_11target_archE4294967295ELNS1_3gpuE0ELNS1_3repE0EEENS1_30default_config_static_selectorELNS0_4arch9wavefront6targetE0EEEvT1_,comdat
	.protected	_ZN7rocprim17ROCPRIM_400000_NS6detail17trampoline_kernelINS0_14default_configENS1_27scan_by_key_config_selectorIssEEZZNS1_16scan_by_key_implILNS1_25lookback_scan_determinismE0ELb0ES3_N6thrust23THRUST_200600_302600_NS6detail15normal_iteratorINS9_10device_ptrIsEEEESE_SE_sNS9_4plusIsEE19head_flag_predicatesEE10hipError_tPvRmT2_T3_T4_T5_mT6_T7_P12ihipStream_tbENKUlT_T0_E_clISt17integral_constantIbLb0EESY_EEDaST_SU_EUlST_E_NS1_11comp_targetILNS1_3genE0ELNS1_11target_archE4294967295ELNS1_3gpuE0ELNS1_3repE0EEENS1_30default_config_static_selectorELNS0_4arch9wavefront6targetE0EEEvT1_ ; -- Begin function _ZN7rocprim17ROCPRIM_400000_NS6detail17trampoline_kernelINS0_14default_configENS1_27scan_by_key_config_selectorIssEEZZNS1_16scan_by_key_implILNS1_25lookback_scan_determinismE0ELb0ES3_N6thrust23THRUST_200600_302600_NS6detail15normal_iteratorINS9_10device_ptrIsEEEESE_SE_sNS9_4plusIsEE19head_flag_predicatesEE10hipError_tPvRmT2_T3_T4_T5_mT6_T7_P12ihipStream_tbENKUlT_T0_E_clISt17integral_constantIbLb0EESY_EEDaST_SU_EUlST_E_NS1_11comp_targetILNS1_3genE0ELNS1_11target_archE4294967295ELNS1_3gpuE0ELNS1_3repE0EEENS1_30default_config_static_selectorELNS0_4arch9wavefront6targetE0EEEvT1_
	.globl	_ZN7rocprim17ROCPRIM_400000_NS6detail17trampoline_kernelINS0_14default_configENS1_27scan_by_key_config_selectorIssEEZZNS1_16scan_by_key_implILNS1_25lookback_scan_determinismE0ELb0ES3_N6thrust23THRUST_200600_302600_NS6detail15normal_iteratorINS9_10device_ptrIsEEEESE_SE_sNS9_4plusIsEE19head_flag_predicatesEE10hipError_tPvRmT2_T3_T4_T5_mT6_T7_P12ihipStream_tbENKUlT_T0_E_clISt17integral_constantIbLb0EESY_EEDaST_SU_EUlST_E_NS1_11comp_targetILNS1_3genE0ELNS1_11target_archE4294967295ELNS1_3gpuE0ELNS1_3repE0EEENS1_30default_config_static_selectorELNS0_4arch9wavefront6targetE0EEEvT1_
	.p2align	8
	.type	_ZN7rocprim17ROCPRIM_400000_NS6detail17trampoline_kernelINS0_14default_configENS1_27scan_by_key_config_selectorIssEEZZNS1_16scan_by_key_implILNS1_25lookback_scan_determinismE0ELb0ES3_N6thrust23THRUST_200600_302600_NS6detail15normal_iteratorINS9_10device_ptrIsEEEESE_SE_sNS9_4plusIsEE19head_flag_predicatesEE10hipError_tPvRmT2_T3_T4_T5_mT6_T7_P12ihipStream_tbENKUlT_T0_E_clISt17integral_constantIbLb0EESY_EEDaST_SU_EUlST_E_NS1_11comp_targetILNS1_3genE0ELNS1_11target_archE4294967295ELNS1_3gpuE0ELNS1_3repE0EEENS1_30default_config_static_selectorELNS0_4arch9wavefront6targetE0EEEvT1_,@function
_ZN7rocprim17ROCPRIM_400000_NS6detail17trampoline_kernelINS0_14default_configENS1_27scan_by_key_config_selectorIssEEZZNS1_16scan_by_key_implILNS1_25lookback_scan_determinismE0ELb0ES3_N6thrust23THRUST_200600_302600_NS6detail15normal_iteratorINS9_10device_ptrIsEEEESE_SE_sNS9_4plusIsEE19head_flag_predicatesEE10hipError_tPvRmT2_T3_T4_T5_mT6_T7_P12ihipStream_tbENKUlT_T0_E_clISt17integral_constantIbLb0EESY_EEDaST_SU_EUlST_E_NS1_11comp_targetILNS1_3genE0ELNS1_11target_archE4294967295ELNS1_3gpuE0ELNS1_3repE0EEENS1_30default_config_static_selectorELNS0_4arch9wavefront6targetE0EEEvT1_: ; @_ZN7rocprim17ROCPRIM_400000_NS6detail17trampoline_kernelINS0_14default_configENS1_27scan_by_key_config_selectorIssEEZZNS1_16scan_by_key_implILNS1_25lookback_scan_determinismE0ELb0ES3_N6thrust23THRUST_200600_302600_NS6detail15normal_iteratorINS9_10device_ptrIsEEEESE_SE_sNS9_4plusIsEE19head_flag_predicatesEE10hipError_tPvRmT2_T3_T4_T5_mT6_T7_P12ihipStream_tbENKUlT_T0_E_clISt17integral_constantIbLb0EESY_EEDaST_SU_EUlST_E_NS1_11comp_targetILNS1_3genE0ELNS1_11target_archE4294967295ELNS1_3gpuE0ELNS1_3repE0EEENS1_30default_config_static_selectorELNS0_4arch9wavefront6targetE0EEEvT1_
; %bb.0:
	.section	.rodata,"a",@progbits
	.p2align	6, 0x0
	.amdhsa_kernel _ZN7rocprim17ROCPRIM_400000_NS6detail17trampoline_kernelINS0_14default_configENS1_27scan_by_key_config_selectorIssEEZZNS1_16scan_by_key_implILNS1_25lookback_scan_determinismE0ELb0ES3_N6thrust23THRUST_200600_302600_NS6detail15normal_iteratorINS9_10device_ptrIsEEEESE_SE_sNS9_4plusIsEE19head_flag_predicatesEE10hipError_tPvRmT2_T3_T4_T5_mT6_T7_P12ihipStream_tbENKUlT_T0_E_clISt17integral_constantIbLb0EESY_EEDaST_SU_EUlST_E_NS1_11comp_targetILNS1_3genE0ELNS1_11target_archE4294967295ELNS1_3gpuE0ELNS1_3repE0EEENS1_30default_config_static_selectorELNS0_4arch9wavefront6targetE0EEEvT1_
		.amdhsa_group_segment_fixed_size 0
		.amdhsa_private_segment_fixed_size 0
		.amdhsa_kernarg_size 112
		.amdhsa_user_sgpr_count 6
		.amdhsa_user_sgpr_private_segment_buffer 1
		.amdhsa_user_sgpr_dispatch_ptr 0
		.amdhsa_user_sgpr_queue_ptr 0
		.amdhsa_user_sgpr_kernarg_segment_ptr 1
		.amdhsa_user_sgpr_dispatch_id 0
		.amdhsa_user_sgpr_flat_scratch_init 0
		.amdhsa_user_sgpr_private_segment_size 0
		.amdhsa_wavefront_size32 1
		.amdhsa_uses_dynamic_stack 0
		.amdhsa_system_sgpr_private_segment_wavefront_offset 0
		.amdhsa_system_sgpr_workgroup_id_x 1
		.amdhsa_system_sgpr_workgroup_id_y 0
		.amdhsa_system_sgpr_workgroup_id_z 0
		.amdhsa_system_sgpr_workgroup_info 0
		.amdhsa_system_vgpr_workitem_id 0
		.amdhsa_next_free_vgpr 1
		.amdhsa_next_free_sgpr 1
		.amdhsa_reserve_vcc 0
		.amdhsa_reserve_flat_scratch 0
		.amdhsa_float_round_mode_32 0
		.amdhsa_float_round_mode_16_64 0
		.amdhsa_float_denorm_mode_32 3
		.amdhsa_float_denorm_mode_16_64 3
		.amdhsa_dx10_clamp 1
		.amdhsa_ieee_mode 1
		.amdhsa_fp16_overflow 0
		.amdhsa_workgroup_processor_mode 1
		.amdhsa_memory_ordered 1
		.amdhsa_forward_progress 1
		.amdhsa_shared_vgpr_count 0
		.amdhsa_exception_fp_ieee_invalid_op 0
		.amdhsa_exception_fp_denorm_src 0
		.amdhsa_exception_fp_ieee_div_zero 0
		.amdhsa_exception_fp_ieee_overflow 0
		.amdhsa_exception_fp_ieee_underflow 0
		.amdhsa_exception_fp_ieee_inexact 0
		.amdhsa_exception_int_div_zero 0
	.end_amdhsa_kernel
	.section	.text._ZN7rocprim17ROCPRIM_400000_NS6detail17trampoline_kernelINS0_14default_configENS1_27scan_by_key_config_selectorIssEEZZNS1_16scan_by_key_implILNS1_25lookback_scan_determinismE0ELb0ES3_N6thrust23THRUST_200600_302600_NS6detail15normal_iteratorINS9_10device_ptrIsEEEESE_SE_sNS9_4plusIsEE19head_flag_predicatesEE10hipError_tPvRmT2_T3_T4_T5_mT6_T7_P12ihipStream_tbENKUlT_T0_E_clISt17integral_constantIbLb0EESY_EEDaST_SU_EUlST_E_NS1_11comp_targetILNS1_3genE0ELNS1_11target_archE4294967295ELNS1_3gpuE0ELNS1_3repE0EEENS1_30default_config_static_selectorELNS0_4arch9wavefront6targetE0EEEvT1_,"axG",@progbits,_ZN7rocprim17ROCPRIM_400000_NS6detail17trampoline_kernelINS0_14default_configENS1_27scan_by_key_config_selectorIssEEZZNS1_16scan_by_key_implILNS1_25lookback_scan_determinismE0ELb0ES3_N6thrust23THRUST_200600_302600_NS6detail15normal_iteratorINS9_10device_ptrIsEEEESE_SE_sNS9_4plusIsEE19head_flag_predicatesEE10hipError_tPvRmT2_T3_T4_T5_mT6_T7_P12ihipStream_tbENKUlT_T0_E_clISt17integral_constantIbLb0EESY_EEDaST_SU_EUlST_E_NS1_11comp_targetILNS1_3genE0ELNS1_11target_archE4294967295ELNS1_3gpuE0ELNS1_3repE0EEENS1_30default_config_static_selectorELNS0_4arch9wavefront6targetE0EEEvT1_,comdat
.Lfunc_end821:
	.size	_ZN7rocprim17ROCPRIM_400000_NS6detail17trampoline_kernelINS0_14default_configENS1_27scan_by_key_config_selectorIssEEZZNS1_16scan_by_key_implILNS1_25lookback_scan_determinismE0ELb0ES3_N6thrust23THRUST_200600_302600_NS6detail15normal_iteratorINS9_10device_ptrIsEEEESE_SE_sNS9_4plusIsEE19head_flag_predicatesEE10hipError_tPvRmT2_T3_T4_T5_mT6_T7_P12ihipStream_tbENKUlT_T0_E_clISt17integral_constantIbLb0EESY_EEDaST_SU_EUlST_E_NS1_11comp_targetILNS1_3genE0ELNS1_11target_archE4294967295ELNS1_3gpuE0ELNS1_3repE0EEENS1_30default_config_static_selectorELNS0_4arch9wavefront6targetE0EEEvT1_, .Lfunc_end821-_ZN7rocprim17ROCPRIM_400000_NS6detail17trampoline_kernelINS0_14default_configENS1_27scan_by_key_config_selectorIssEEZZNS1_16scan_by_key_implILNS1_25lookback_scan_determinismE0ELb0ES3_N6thrust23THRUST_200600_302600_NS6detail15normal_iteratorINS9_10device_ptrIsEEEESE_SE_sNS9_4plusIsEE19head_flag_predicatesEE10hipError_tPvRmT2_T3_T4_T5_mT6_T7_P12ihipStream_tbENKUlT_T0_E_clISt17integral_constantIbLb0EESY_EEDaST_SU_EUlST_E_NS1_11comp_targetILNS1_3genE0ELNS1_11target_archE4294967295ELNS1_3gpuE0ELNS1_3repE0EEENS1_30default_config_static_selectorELNS0_4arch9wavefront6targetE0EEEvT1_
                                        ; -- End function
	.set _ZN7rocprim17ROCPRIM_400000_NS6detail17trampoline_kernelINS0_14default_configENS1_27scan_by_key_config_selectorIssEEZZNS1_16scan_by_key_implILNS1_25lookback_scan_determinismE0ELb0ES3_N6thrust23THRUST_200600_302600_NS6detail15normal_iteratorINS9_10device_ptrIsEEEESE_SE_sNS9_4plusIsEE19head_flag_predicatesEE10hipError_tPvRmT2_T3_T4_T5_mT6_T7_P12ihipStream_tbENKUlT_T0_E_clISt17integral_constantIbLb0EESY_EEDaST_SU_EUlST_E_NS1_11comp_targetILNS1_3genE0ELNS1_11target_archE4294967295ELNS1_3gpuE0ELNS1_3repE0EEENS1_30default_config_static_selectorELNS0_4arch9wavefront6targetE0EEEvT1_.num_vgpr, 0
	.set _ZN7rocprim17ROCPRIM_400000_NS6detail17trampoline_kernelINS0_14default_configENS1_27scan_by_key_config_selectorIssEEZZNS1_16scan_by_key_implILNS1_25lookback_scan_determinismE0ELb0ES3_N6thrust23THRUST_200600_302600_NS6detail15normal_iteratorINS9_10device_ptrIsEEEESE_SE_sNS9_4plusIsEE19head_flag_predicatesEE10hipError_tPvRmT2_T3_T4_T5_mT6_T7_P12ihipStream_tbENKUlT_T0_E_clISt17integral_constantIbLb0EESY_EEDaST_SU_EUlST_E_NS1_11comp_targetILNS1_3genE0ELNS1_11target_archE4294967295ELNS1_3gpuE0ELNS1_3repE0EEENS1_30default_config_static_selectorELNS0_4arch9wavefront6targetE0EEEvT1_.num_agpr, 0
	.set _ZN7rocprim17ROCPRIM_400000_NS6detail17trampoline_kernelINS0_14default_configENS1_27scan_by_key_config_selectorIssEEZZNS1_16scan_by_key_implILNS1_25lookback_scan_determinismE0ELb0ES3_N6thrust23THRUST_200600_302600_NS6detail15normal_iteratorINS9_10device_ptrIsEEEESE_SE_sNS9_4plusIsEE19head_flag_predicatesEE10hipError_tPvRmT2_T3_T4_T5_mT6_T7_P12ihipStream_tbENKUlT_T0_E_clISt17integral_constantIbLb0EESY_EEDaST_SU_EUlST_E_NS1_11comp_targetILNS1_3genE0ELNS1_11target_archE4294967295ELNS1_3gpuE0ELNS1_3repE0EEENS1_30default_config_static_selectorELNS0_4arch9wavefront6targetE0EEEvT1_.numbered_sgpr, 0
	.set _ZN7rocprim17ROCPRIM_400000_NS6detail17trampoline_kernelINS0_14default_configENS1_27scan_by_key_config_selectorIssEEZZNS1_16scan_by_key_implILNS1_25lookback_scan_determinismE0ELb0ES3_N6thrust23THRUST_200600_302600_NS6detail15normal_iteratorINS9_10device_ptrIsEEEESE_SE_sNS9_4plusIsEE19head_flag_predicatesEE10hipError_tPvRmT2_T3_T4_T5_mT6_T7_P12ihipStream_tbENKUlT_T0_E_clISt17integral_constantIbLb0EESY_EEDaST_SU_EUlST_E_NS1_11comp_targetILNS1_3genE0ELNS1_11target_archE4294967295ELNS1_3gpuE0ELNS1_3repE0EEENS1_30default_config_static_selectorELNS0_4arch9wavefront6targetE0EEEvT1_.num_named_barrier, 0
	.set _ZN7rocprim17ROCPRIM_400000_NS6detail17trampoline_kernelINS0_14default_configENS1_27scan_by_key_config_selectorIssEEZZNS1_16scan_by_key_implILNS1_25lookback_scan_determinismE0ELb0ES3_N6thrust23THRUST_200600_302600_NS6detail15normal_iteratorINS9_10device_ptrIsEEEESE_SE_sNS9_4plusIsEE19head_flag_predicatesEE10hipError_tPvRmT2_T3_T4_T5_mT6_T7_P12ihipStream_tbENKUlT_T0_E_clISt17integral_constantIbLb0EESY_EEDaST_SU_EUlST_E_NS1_11comp_targetILNS1_3genE0ELNS1_11target_archE4294967295ELNS1_3gpuE0ELNS1_3repE0EEENS1_30default_config_static_selectorELNS0_4arch9wavefront6targetE0EEEvT1_.private_seg_size, 0
	.set _ZN7rocprim17ROCPRIM_400000_NS6detail17trampoline_kernelINS0_14default_configENS1_27scan_by_key_config_selectorIssEEZZNS1_16scan_by_key_implILNS1_25lookback_scan_determinismE0ELb0ES3_N6thrust23THRUST_200600_302600_NS6detail15normal_iteratorINS9_10device_ptrIsEEEESE_SE_sNS9_4plusIsEE19head_flag_predicatesEE10hipError_tPvRmT2_T3_T4_T5_mT6_T7_P12ihipStream_tbENKUlT_T0_E_clISt17integral_constantIbLb0EESY_EEDaST_SU_EUlST_E_NS1_11comp_targetILNS1_3genE0ELNS1_11target_archE4294967295ELNS1_3gpuE0ELNS1_3repE0EEENS1_30default_config_static_selectorELNS0_4arch9wavefront6targetE0EEEvT1_.uses_vcc, 0
	.set _ZN7rocprim17ROCPRIM_400000_NS6detail17trampoline_kernelINS0_14default_configENS1_27scan_by_key_config_selectorIssEEZZNS1_16scan_by_key_implILNS1_25lookback_scan_determinismE0ELb0ES3_N6thrust23THRUST_200600_302600_NS6detail15normal_iteratorINS9_10device_ptrIsEEEESE_SE_sNS9_4plusIsEE19head_flag_predicatesEE10hipError_tPvRmT2_T3_T4_T5_mT6_T7_P12ihipStream_tbENKUlT_T0_E_clISt17integral_constantIbLb0EESY_EEDaST_SU_EUlST_E_NS1_11comp_targetILNS1_3genE0ELNS1_11target_archE4294967295ELNS1_3gpuE0ELNS1_3repE0EEENS1_30default_config_static_selectorELNS0_4arch9wavefront6targetE0EEEvT1_.uses_flat_scratch, 0
	.set _ZN7rocprim17ROCPRIM_400000_NS6detail17trampoline_kernelINS0_14default_configENS1_27scan_by_key_config_selectorIssEEZZNS1_16scan_by_key_implILNS1_25lookback_scan_determinismE0ELb0ES3_N6thrust23THRUST_200600_302600_NS6detail15normal_iteratorINS9_10device_ptrIsEEEESE_SE_sNS9_4plusIsEE19head_flag_predicatesEE10hipError_tPvRmT2_T3_T4_T5_mT6_T7_P12ihipStream_tbENKUlT_T0_E_clISt17integral_constantIbLb0EESY_EEDaST_SU_EUlST_E_NS1_11comp_targetILNS1_3genE0ELNS1_11target_archE4294967295ELNS1_3gpuE0ELNS1_3repE0EEENS1_30default_config_static_selectorELNS0_4arch9wavefront6targetE0EEEvT1_.has_dyn_sized_stack, 0
	.set _ZN7rocprim17ROCPRIM_400000_NS6detail17trampoline_kernelINS0_14default_configENS1_27scan_by_key_config_selectorIssEEZZNS1_16scan_by_key_implILNS1_25lookback_scan_determinismE0ELb0ES3_N6thrust23THRUST_200600_302600_NS6detail15normal_iteratorINS9_10device_ptrIsEEEESE_SE_sNS9_4plusIsEE19head_flag_predicatesEE10hipError_tPvRmT2_T3_T4_T5_mT6_T7_P12ihipStream_tbENKUlT_T0_E_clISt17integral_constantIbLb0EESY_EEDaST_SU_EUlST_E_NS1_11comp_targetILNS1_3genE0ELNS1_11target_archE4294967295ELNS1_3gpuE0ELNS1_3repE0EEENS1_30default_config_static_selectorELNS0_4arch9wavefront6targetE0EEEvT1_.has_recursion, 0
	.set _ZN7rocprim17ROCPRIM_400000_NS6detail17trampoline_kernelINS0_14default_configENS1_27scan_by_key_config_selectorIssEEZZNS1_16scan_by_key_implILNS1_25lookback_scan_determinismE0ELb0ES3_N6thrust23THRUST_200600_302600_NS6detail15normal_iteratorINS9_10device_ptrIsEEEESE_SE_sNS9_4plusIsEE19head_flag_predicatesEE10hipError_tPvRmT2_T3_T4_T5_mT6_T7_P12ihipStream_tbENKUlT_T0_E_clISt17integral_constantIbLb0EESY_EEDaST_SU_EUlST_E_NS1_11comp_targetILNS1_3genE0ELNS1_11target_archE4294967295ELNS1_3gpuE0ELNS1_3repE0EEENS1_30default_config_static_selectorELNS0_4arch9wavefront6targetE0EEEvT1_.has_indirect_call, 0
	.section	.AMDGPU.csdata,"",@progbits
; Kernel info:
; codeLenInByte = 0
; TotalNumSgprs: 0
; NumVgprs: 0
; ScratchSize: 0
; MemoryBound: 0
; FloatMode: 240
; IeeeMode: 1
; LDSByteSize: 0 bytes/workgroup (compile time only)
; SGPRBlocks: 0
; VGPRBlocks: 0
; NumSGPRsForWavesPerEU: 1
; NumVGPRsForWavesPerEU: 1
; Occupancy: 16
; WaveLimiterHint : 0
; COMPUTE_PGM_RSRC2:SCRATCH_EN: 0
; COMPUTE_PGM_RSRC2:USER_SGPR: 6
; COMPUTE_PGM_RSRC2:TRAP_HANDLER: 0
; COMPUTE_PGM_RSRC2:TGID_X_EN: 1
; COMPUTE_PGM_RSRC2:TGID_Y_EN: 0
; COMPUTE_PGM_RSRC2:TGID_Z_EN: 0
; COMPUTE_PGM_RSRC2:TIDIG_COMP_CNT: 0
	.section	.text._ZN7rocprim17ROCPRIM_400000_NS6detail17trampoline_kernelINS0_14default_configENS1_27scan_by_key_config_selectorIssEEZZNS1_16scan_by_key_implILNS1_25lookback_scan_determinismE0ELb0ES3_N6thrust23THRUST_200600_302600_NS6detail15normal_iteratorINS9_10device_ptrIsEEEESE_SE_sNS9_4plusIsEE19head_flag_predicatesEE10hipError_tPvRmT2_T3_T4_T5_mT6_T7_P12ihipStream_tbENKUlT_T0_E_clISt17integral_constantIbLb0EESY_EEDaST_SU_EUlST_E_NS1_11comp_targetILNS1_3genE10ELNS1_11target_archE1201ELNS1_3gpuE5ELNS1_3repE0EEENS1_30default_config_static_selectorELNS0_4arch9wavefront6targetE0EEEvT1_,"axG",@progbits,_ZN7rocprim17ROCPRIM_400000_NS6detail17trampoline_kernelINS0_14default_configENS1_27scan_by_key_config_selectorIssEEZZNS1_16scan_by_key_implILNS1_25lookback_scan_determinismE0ELb0ES3_N6thrust23THRUST_200600_302600_NS6detail15normal_iteratorINS9_10device_ptrIsEEEESE_SE_sNS9_4plusIsEE19head_flag_predicatesEE10hipError_tPvRmT2_T3_T4_T5_mT6_T7_P12ihipStream_tbENKUlT_T0_E_clISt17integral_constantIbLb0EESY_EEDaST_SU_EUlST_E_NS1_11comp_targetILNS1_3genE10ELNS1_11target_archE1201ELNS1_3gpuE5ELNS1_3repE0EEENS1_30default_config_static_selectorELNS0_4arch9wavefront6targetE0EEEvT1_,comdat
	.protected	_ZN7rocprim17ROCPRIM_400000_NS6detail17trampoline_kernelINS0_14default_configENS1_27scan_by_key_config_selectorIssEEZZNS1_16scan_by_key_implILNS1_25lookback_scan_determinismE0ELb0ES3_N6thrust23THRUST_200600_302600_NS6detail15normal_iteratorINS9_10device_ptrIsEEEESE_SE_sNS9_4plusIsEE19head_flag_predicatesEE10hipError_tPvRmT2_T3_T4_T5_mT6_T7_P12ihipStream_tbENKUlT_T0_E_clISt17integral_constantIbLb0EESY_EEDaST_SU_EUlST_E_NS1_11comp_targetILNS1_3genE10ELNS1_11target_archE1201ELNS1_3gpuE5ELNS1_3repE0EEENS1_30default_config_static_selectorELNS0_4arch9wavefront6targetE0EEEvT1_ ; -- Begin function _ZN7rocprim17ROCPRIM_400000_NS6detail17trampoline_kernelINS0_14default_configENS1_27scan_by_key_config_selectorIssEEZZNS1_16scan_by_key_implILNS1_25lookback_scan_determinismE0ELb0ES3_N6thrust23THRUST_200600_302600_NS6detail15normal_iteratorINS9_10device_ptrIsEEEESE_SE_sNS9_4plusIsEE19head_flag_predicatesEE10hipError_tPvRmT2_T3_T4_T5_mT6_T7_P12ihipStream_tbENKUlT_T0_E_clISt17integral_constantIbLb0EESY_EEDaST_SU_EUlST_E_NS1_11comp_targetILNS1_3genE10ELNS1_11target_archE1201ELNS1_3gpuE5ELNS1_3repE0EEENS1_30default_config_static_selectorELNS0_4arch9wavefront6targetE0EEEvT1_
	.globl	_ZN7rocprim17ROCPRIM_400000_NS6detail17trampoline_kernelINS0_14default_configENS1_27scan_by_key_config_selectorIssEEZZNS1_16scan_by_key_implILNS1_25lookback_scan_determinismE0ELb0ES3_N6thrust23THRUST_200600_302600_NS6detail15normal_iteratorINS9_10device_ptrIsEEEESE_SE_sNS9_4plusIsEE19head_flag_predicatesEE10hipError_tPvRmT2_T3_T4_T5_mT6_T7_P12ihipStream_tbENKUlT_T0_E_clISt17integral_constantIbLb0EESY_EEDaST_SU_EUlST_E_NS1_11comp_targetILNS1_3genE10ELNS1_11target_archE1201ELNS1_3gpuE5ELNS1_3repE0EEENS1_30default_config_static_selectorELNS0_4arch9wavefront6targetE0EEEvT1_
	.p2align	8
	.type	_ZN7rocprim17ROCPRIM_400000_NS6detail17trampoline_kernelINS0_14default_configENS1_27scan_by_key_config_selectorIssEEZZNS1_16scan_by_key_implILNS1_25lookback_scan_determinismE0ELb0ES3_N6thrust23THRUST_200600_302600_NS6detail15normal_iteratorINS9_10device_ptrIsEEEESE_SE_sNS9_4plusIsEE19head_flag_predicatesEE10hipError_tPvRmT2_T3_T4_T5_mT6_T7_P12ihipStream_tbENKUlT_T0_E_clISt17integral_constantIbLb0EESY_EEDaST_SU_EUlST_E_NS1_11comp_targetILNS1_3genE10ELNS1_11target_archE1201ELNS1_3gpuE5ELNS1_3repE0EEENS1_30default_config_static_selectorELNS0_4arch9wavefront6targetE0EEEvT1_,@function
_ZN7rocprim17ROCPRIM_400000_NS6detail17trampoline_kernelINS0_14default_configENS1_27scan_by_key_config_selectorIssEEZZNS1_16scan_by_key_implILNS1_25lookback_scan_determinismE0ELb0ES3_N6thrust23THRUST_200600_302600_NS6detail15normal_iteratorINS9_10device_ptrIsEEEESE_SE_sNS9_4plusIsEE19head_flag_predicatesEE10hipError_tPvRmT2_T3_T4_T5_mT6_T7_P12ihipStream_tbENKUlT_T0_E_clISt17integral_constantIbLb0EESY_EEDaST_SU_EUlST_E_NS1_11comp_targetILNS1_3genE10ELNS1_11target_archE1201ELNS1_3gpuE5ELNS1_3repE0EEENS1_30default_config_static_selectorELNS0_4arch9wavefront6targetE0EEEvT1_: ; @_ZN7rocprim17ROCPRIM_400000_NS6detail17trampoline_kernelINS0_14default_configENS1_27scan_by_key_config_selectorIssEEZZNS1_16scan_by_key_implILNS1_25lookback_scan_determinismE0ELb0ES3_N6thrust23THRUST_200600_302600_NS6detail15normal_iteratorINS9_10device_ptrIsEEEESE_SE_sNS9_4plusIsEE19head_flag_predicatesEE10hipError_tPvRmT2_T3_T4_T5_mT6_T7_P12ihipStream_tbENKUlT_T0_E_clISt17integral_constantIbLb0EESY_EEDaST_SU_EUlST_E_NS1_11comp_targetILNS1_3genE10ELNS1_11target_archE1201ELNS1_3gpuE5ELNS1_3repE0EEENS1_30default_config_static_selectorELNS0_4arch9wavefront6targetE0EEEvT1_
; %bb.0:
	.section	.rodata,"a",@progbits
	.p2align	6, 0x0
	.amdhsa_kernel _ZN7rocprim17ROCPRIM_400000_NS6detail17trampoline_kernelINS0_14default_configENS1_27scan_by_key_config_selectorIssEEZZNS1_16scan_by_key_implILNS1_25lookback_scan_determinismE0ELb0ES3_N6thrust23THRUST_200600_302600_NS6detail15normal_iteratorINS9_10device_ptrIsEEEESE_SE_sNS9_4plusIsEE19head_flag_predicatesEE10hipError_tPvRmT2_T3_T4_T5_mT6_T7_P12ihipStream_tbENKUlT_T0_E_clISt17integral_constantIbLb0EESY_EEDaST_SU_EUlST_E_NS1_11comp_targetILNS1_3genE10ELNS1_11target_archE1201ELNS1_3gpuE5ELNS1_3repE0EEENS1_30default_config_static_selectorELNS0_4arch9wavefront6targetE0EEEvT1_
		.amdhsa_group_segment_fixed_size 0
		.amdhsa_private_segment_fixed_size 0
		.amdhsa_kernarg_size 112
		.amdhsa_user_sgpr_count 6
		.amdhsa_user_sgpr_private_segment_buffer 1
		.amdhsa_user_sgpr_dispatch_ptr 0
		.amdhsa_user_sgpr_queue_ptr 0
		.amdhsa_user_sgpr_kernarg_segment_ptr 1
		.amdhsa_user_sgpr_dispatch_id 0
		.amdhsa_user_sgpr_flat_scratch_init 0
		.amdhsa_user_sgpr_private_segment_size 0
		.amdhsa_wavefront_size32 1
		.amdhsa_uses_dynamic_stack 0
		.amdhsa_system_sgpr_private_segment_wavefront_offset 0
		.amdhsa_system_sgpr_workgroup_id_x 1
		.amdhsa_system_sgpr_workgroup_id_y 0
		.amdhsa_system_sgpr_workgroup_id_z 0
		.amdhsa_system_sgpr_workgroup_info 0
		.amdhsa_system_vgpr_workitem_id 0
		.amdhsa_next_free_vgpr 1
		.amdhsa_next_free_sgpr 1
		.amdhsa_reserve_vcc 0
		.amdhsa_reserve_flat_scratch 0
		.amdhsa_float_round_mode_32 0
		.amdhsa_float_round_mode_16_64 0
		.amdhsa_float_denorm_mode_32 3
		.amdhsa_float_denorm_mode_16_64 3
		.amdhsa_dx10_clamp 1
		.amdhsa_ieee_mode 1
		.amdhsa_fp16_overflow 0
		.amdhsa_workgroup_processor_mode 1
		.amdhsa_memory_ordered 1
		.amdhsa_forward_progress 1
		.amdhsa_shared_vgpr_count 0
		.amdhsa_exception_fp_ieee_invalid_op 0
		.amdhsa_exception_fp_denorm_src 0
		.amdhsa_exception_fp_ieee_div_zero 0
		.amdhsa_exception_fp_ieee_overflow 0
		.amdhsa_exception_fp_ieee_underflow 0
		.amdhsa_exception_fp_ieee_inexact 0
		.amdhsa_exception_int_div_zero 0
	.end_amdhsa_kernel
	.section	.text._ZN7rocprim17ROCPRIM_400000_NS6detail17trampoline_kernelINS0_14default_configENS1_27scan_by_key_config_selectorIssEEZZNS1_16scan_by_key_implILNS1_25lookback_scan_determinismE0ELb0ES3_N6thrust23THRUST_200600_302600_NS6detail15normal_iteratorINS9_10device_ptrIsEEEESE_SE_sNS9_4plusIsEE19head_flag_predicatesEE10hipError_tPvRmT2_T3_T4_T5_mT6_T7_P12ihipStream_tbENKUlT_T0_E_clISt17integral_constantIbLb0EESY_EEDaST_SU_EUlST_E_NS1_11comp_targetILNS1_3genE10ELNS1_11target_archE1201ELNS1_3gpuE5ELNS1_3repE0EEENS1_30default_config_static_selectorELNS0_4arch9wavefront6targetE0EEEvT1_,"axG",@progbits,_ZN7rocprim17ROCPRIM_400000_NS6detail17trampoline_kernelINS0_14default_configENS1_27scan_by_key_config_selectorIssEEZZNS1_16scan_by_key_implILNS1_25lookback_scan_determinismE0ELb0ES3_N6thrust23THRUST_200600_302600_NS6detail15normal_iteratorINS9_10device_ptrIsEEEESE_SE_sNS9_4plusIsEE19head_flag_predicatesEE10hipError_tPvRmT2_T3_T4_T5_mT6_T7_P12ihipStream_tbENKUlT_T0_E_clISt17integral_constantIbLb0EESY_EEDaST_SU_EUlST_E_NS1_11comp_targetILNS1_3genE10ELNS1_11target_archE1201ELNS1_3gpuE5ELNS1_3repE0EEENS1_30default_config_static_selectorELNS0_4arch9wavefront6targetE0EEEvT1_,comdat
.Lfunc_end822:
	.size	_ZN7rocprim17ROCPRIM_400000_NS6detail17trampoline_kernelINS0_14default_configENS1_27scan_by_key_config_selectorIssEEZZNS1_16scan_by_key_implILNS1_25lookback_scan_determinismE0ELb0ES3_N6thrust23THRUST_200600_302600_NS6detail15normal_iteratorINS9_10device_ptrIsEEEESE_SE_sNS9_4plusIsEE19head_flag_predicatesEE10hipError_tPvRmT2_T3_T4_T5_mT6_T7_P12ihipStream_tbENKUlT_T0_E_clISt17integral_constantIbLb0EESY_EEDaST_SU_EUlST_E_NS1_11comp_targetILNS1_3genE10ELNS1_11target_archE1201ELNS1_3gpuE5ELNS1_3repE0EEENS1_30default_config_static_selectorELNS0_4arch9wavefront6targetE0EEEvT1_, .Lfunc_end822-_ZN7rocprim17ROCPRIM_400000_NS6detail17trampoline_kernelINS0_14default_configENS1_27scan_by_key_config_selectorIssEEZZNS1_16scan_by_key_implILNS1_25lookback_scan_determinismE0ELb0ES3_N6thrust23THRUST_200600_302600_NS6detail15normal_iteratorINS9_10device_ptrIsEEEESE_SE_sNS9_4plusIsEE19head_flag_predicatesEE10hipError_tPvRmT2_T3_T4_T5_mT6_T7_P12ihipStream_tbENKUlT_T0_E_clISt17integral_constantIbLb0EESY_EEDaST_SU_EUlST_E_NS1_11comp_targetILNS1_3genE10ELNS1_11target_archE1201ELNS1_3gpuE5ELNS1_3repE0EEENS1_30default_config_static_selectorELNS0_4arch9wavefront6targetE0EEEvT1_
                                        ; -- End function
	.set _ZN7rocprim17ROCPRIM_400000_NS6detail17trampoline_kernelINS0_14default_configENS1_27scan_by_key_config_selectorIssEEZZNS1_16scan_by_key_implILNS1_25lookback_scan_determinismE0ELb0ES3_N6thrust23THRUST_200600_302600_NS6detail15normal_iteratorINS9_10device_ptrIsEEEESE_SE_sNS9_4plusIsEE19head_flag_predicatesEE10hipError_tPvRmT2_T3_T4_T5_mT6_T7_P12ihipStream_tbENKUlT_T0_E_clISt17integral_constantIbLb0EESY_EEDaST_SU_EUlST_E_NS1_11comp_targetILNS1_3genE10ELNS1_11target_archE1201ELNS1_3gpuE5ELNS1_3repE0EEENS1_30default_config_static_selectorELNS0_4arch9wavefront6targetE0EEEvT1_.num_vgpr, 0
	.set _ZN7rocprim17ROCPRIM_400000_NS6detail17trampoline_kernelINS0_14default_configENS1_27scan_by_key_config_selectorIssEEZZNS1_16scan_by_key_implILNS1_25lookback_scan_determinismE0ELb0ES3_N6thrust23THRUST_200600_302600_NS6detail15normal_iteratorINS9_10device_ptrIsEEEESE_SE_sNS9_4plusIsEE19head_flag_predicatesEE10hipError_tPvRmT2_T3_T4_T5_mT6_T7_P12ihipStream_tbENKUlT_T0_E_clISt17integral_constantIbLb0EESY_EEDaST_SU_EUlST_E_NS1_11comp_targetILNS1_3genE10ELNS1_11target_archE1201ELNS1_3gpuE5ELNS1_3repE0EEENS1_30default_config_static_selectorELNS0_4arch9wavefront6targetE0EEEvT1_.num_agpr, 0
	.set _ZN7rocprim17ROCPRIM_400000_NS6detail17trampoline_kernelINS0_14default_configENS1_27scan_by_key_config_selectorIssEEZZNS1_16scan_by_key_implILNS1_25lookback_scan_determinismE0ELb0ES3_N6thrust23THRUST_200600_302600_NS6detail15normal_iteratorINS9_10device_ptrIsEEEESE_SE_sNS9_4plusIsEE19head_flag_predicatesEE10hipError_tPvRmT2_T3_T4_T5_mT6_T7_P12ihipStream_tbENKUlT_T0_E_clISt17integral_constantIbLb0EESY_EEDaST_SU_EUlST_E_NS1_11comp_targetILNS1_3genE10ELNS1_11target_archE1201ELNS1_3gpuE5ELNS1_3repE0EEENS1_30default_config_static_selectorELNS0_4arch9wavefront6targetE0EEEvT1_.numbered_sgpr, 0
	.set _ZN7rocprim17ROCPRIM_400000_NS6detail17trampoline_kernelINS0_14default_configENS1_27scan_by_key_config_selectorIssEEZZNS1_16scan_by_key_implILNS1_25lookback_scan_determinismE0ELb0ES3_N6thrust23THRUST_200600_302600_NS6detail15normal_iteratorINS9_10device_ptrIsEEEESE_SE_sNS9_4plusIsEE19head_flag_predicatesEE10hipError_tPvRmT2_T3_T4_T5_mT6_T7_P12ihipStream_tbENKUlT_T0_E_clISt17integral_constantIbLb0EESY_EEDaST_SU_EUlST_E_NS1_11comp_targetILNS1_3genE10ELNS1_11target_archE1201ELNS1_3gpuE5ELNS1_3repE0EEENS1_30default_config_static_selectorELNS0_4arch9wavefront6targetE0EEEvT1_.num_named_barrier, 0
	.set _ZN7rocprim17ROCPRIM_400000_NS6detail17trampoline_kernelINS0_14default_configENS1_27scan_by_key_config_selectorIssEEZZNS1_16scan_by_key_implILNS1_25lookback_scan_determinismE0ELb0ES3_N6thrust23THRUST_200600_302600_NS6detail15normal_iteratorINS9_10device_ptrIsEEEESE_SE_sNS9_4plusIsEE19head_flag_predicatesEE10hipError_tPvRmT2_T3_T4_T5_mT6_T7_P12ihipStream_tbENKUlT_T0_E_clISt17integral_constantIbLb0EESY_EEDaST_SU_EUlST_E_NS1_11comp_targetILNS1_3genE10ELNS1_11target_archE1201ELNS1_3gpuE5ELNS1_3repE0EEENS1_30default_config_static_selectorELNS0_4arch9wavefront6targetE0EEEvT1_.private_seg_size, 0
	.set _ZN7rocprim17ROCPRIM_400000_NS6detail17trampoline_kernelINS0_14default_configENS1_27scan_by_key_config_selectorIssEEZZNS1_16scan_by_key_implILNS1_25lookback_scan_determinismE0ELb0ES3_N6thrust23THRUST_200600_302600_NS6detail15normal_iteratorINS9_10device_ptrIsEEEESE_SE_sNS9_4plusIsEE19head_flag_predicatesEE10hipError_tPvRmT2_T3_T4_T5_mT6_T7_P12ihipStream_tbENKUlT_T0_E_clISt17integral_constantIbLb0EESY_EEDaST_SU_EUlST_E_NS1_11comp_targetILNS1_3genE10ELNS1_11target_archE1201ELNS1_3gpuE5ELNS1_3repE0EEENS1_30default_config_static_selectorELNS0_4arch9wavefront6targetE0EEEvT1_.uses_vcc, 0
	.set _ZN7rocprim17ROCPRIM_400000_NS6detail17trampoline_kernelINS0_14default_configENS1_27scan_by_key_config_selectorIssEEZZNS1_16scan_by_key_implILNS1_25lookback_scan_determinismE0ELb0ES3_N6thrust23THRUST_200600_302600_NS6detail15normal_iteratorINS9_10device_ptrIsEEEESE_SE_sNS9_4plusIsEE19head_flag_predicatesEE10hipError_tPvRmT2_T3_T4_T5_mT6_T7_P12ihipStream_tbENKUlT_T0_E_clISt17integral_constantIbLb0EESY_EEDaST_SU_EUlST_E_NS1_11comp_targetILNS1_3genE10ELNS1_11target_archE1201ELNS1_3gpuE5ELNS1_3repE0EEENS1_30default_config_static_selectorELNS0_4arch9wavefront6targetE0EEEvT1_.uses_flat_scratch, 0
	.set _ZN7rocprim17ROCPRIM_400000_NS6detail17trampoline_kernelINS0_14default_configENS1_27scan_by_key_config_selectorIssEEZZNS1_16scan_by_key_implILNS1_25lookback_scan_determinismE0ELb0ES3_N6thrust23THRUST_200600_302600_NS6detail15normal_iteratorINS9_10device_ptrIsEEEESE_SE_sNS9_4plusIsEE19head_flag_predicatesEE10hipError_tPvRmT2_T3_T4_T5_mT6_T7_P12ihipStream_tbENKUlT_T0_E_clISt17integral_constantIbLb0EESY_EEDaST_SU_EUlST_E_NS1_11comp_targetILNS1_3genE10ELNS1_11target_archE1201ELNS1_3gpuE5ELNS1_3repE0EEENS1_30default_config_static_selectorELNS0_4arch9wavefront6targetE0EEEvT1_.has_dyn_sized_stack, 0
	.set _ZN7rocprim17ROCPRIM_400000_NS6detail17trampoline_kernelINS0_14default_configENS1_27scan_by_key_config_selectorIssEEZZNS1_16scan_by_key_implILNS1_25lookback_scan_determinismE0ELb0ES3_N6thrust23THRUST_200600_302600_NS6detail15normal_iteratorINS9_10device_ptrIsEEEESE_SE_sNS9_4plusIsEE19head_flag_predicatesEE10hipError_tPvRmT2_T3_T4_T5_mT6_T7_P12ihipStream_tbENKUlT_T0_E_clISt17integral_constantIbLb0EESY_EEDaST_SU_EUlST_E_NS1_11comp_targetILNS1_3genE10ELNS1_11target_archE1201ELNS1_3gpuE5ELNS1_3repE0EEENS1_30default_config_static_selectorELNS0_4arch9wavefront6targetE0EEEvT1_.has_recursion, 0
	.set _ZN7rocprim17ROCPRIM_400000_NS6detail17trampoline_kernelINS0_14default_configENS1_27scan_by_key_config_selectorIssEEZZNS1_16scan_by_key_implILNS1_25lookback_scan_determinismE0ELb0ES3_N6thrust23THRUST_200600_302600_NS6detail15normal_iteratorINS9_10device_ptrIsEEEESE_SE_sNS9_4plusIsEE19head_flag_predicatesEE10hipError_tPvRmT2_T3_T4_T5_mT6_T7_P12ihipStream_tbENKUlT_T0_E_clISt17integral_constantIbLb0EESY_EEDaST_SU_EUlST_E_NS1_11comp_targetILNS1_3genE10ELNS1_11target_archE1201ELNS1_3gpuE5ELNS1_3repE0EEENS1_30default_config_static_selectorELNS0_4arch9wavefront6targetE0EEEvT1_.has_indirect_call, 0
	.section	.AMDGPU.csdata,"",@progbits
; Kernel info:
; codeLenInByte = 0
; TotalNumSgprs: 0
; NumVgprs: 0
; ScratchSize: 0
; MemoryBound: 0
; FloatMode: 240
; IeeeMode: 1
; LDSByteSize: 0 bytes/workgroup (compile time only)
; SGPRBlocks: 0
; VGPRBlocks: 0
; NumSGPRsForWavesPerEU: 1
; NumVGPRsForWavesPerEU: 1
; Occupancy: 16
; WaveLimiterHint : 0
; COMPUTE_PGM_RSRC2:SCRATCH_EN: 0
; COMPUTE_PGM_RSRC2:USER_SGPR: 6
; COMPUTE_PGM_RSRC2:TRAP_HANDLER: 0
; COMPUTE_PGM_RSRC2:TGID_X_EN: 1
; COMPUTE_PGM_RSRC2:TGID_Y_EN: 0
; COMPUTE_PGM_RSRC2:TGID_Z_EN: 0
; COMPUTE_PGM_RSRC2:TIDIG_COMP_CNT: 0
	.section	.text._ZN7rocprim17ROCPRIM_400000_NS6detail17trampoline_kernelINS0_14default_configENS1_27scan_by_key_config_selectorIssEEZZNS1_16scan_by_key_implILNS1_25lookback_scan_determinismE0ELb0ES3_N6thrust23THRUST_200600_302600_NS6detail15normal_iteratorINS9_10device_ptrIsEEEESE_SE_sNS9_4plusIsEE19head_flag_predicatesEE10hipError_tPvRmT2_T3_T4_T5_mT6_T7_P12ihipStream_tbENKUlT_T0_E_clISt17integral_constantIbLb0EESY_EEDaST_SU_EUlST_E_NS1_11comp_targetILNS1_3genE5ELNS1_11target_archE942ELNS1_3gpuE9ELNS1_3repE0EEENS1_30default_config_static_selectorELNS0_4arch9wavefront6targetE0EEEvT1_,"axG",@progbits,_ZN7rocprim17ROCPRIM_400000_NS6detail17trampoline_kernelINS0_14default_configENS1_27scan_by_key_config_selectorIssEEZZNS1_16scan_by_key_implILNS1_25lookback_scan_determinismE0ELb0ES3_N6thrust23THRUST_200600_302600_NS6detail15normal_iteratorINS9_10device_ptrIsEEEESE_SE_sNS9_4plusIsEE19head_flag_predicatesEE10hipError_tPvRmT2_T3_T4_T5_mT6_T7_P12ihipStream_tbENKUlT_T0_E_clISt17integral_constantIbLb0EESY_EEDaST_SU_EUlST_E_NS1_11comp_targetILNS1_3genE5ELNS1_11target_archE942ELNS1_3gpuE9ELNS1_3repE0EEENS1_30default_config_static_selectorELNS0_4arch9wavefront6targetE0EEEvT1_,comdat
	.protected	_ZN7rocprim17ROCPRIM_400000_NS6detail17trampoline_kernelINS0_14default_configENS1_27scan_by_key_config_selectorIssEEZZNS1_16scan_by_key_implILNS1_25lookback_scan_determinismE0ELb0ES3_N6thrust23THRUST_200600_302600_NS6detail15normal_iteratorINS9_10device_ptrIsEEEESE_SE_sNS9_4plusIsEE19head_flag_predicatesEE10hipError_tPvRmT2_T3_T4_T5_mT6_T7_P12ihipStream_tbENKUlT_T0_E_clISt17integral_constantIbLb0EESY_EEDaST_SU_EUlST_E_NS1_11comp_targetILNS1_3genE5ELNS1_11target_archE942ELNS1_3gpuE9ELNS1_3repE0EEENS1_30default_config_static_selectorELNS0_4arch9wavefront6targetE0EEEvT1_ ; -- Begin function _ZN7rocprim17ROCPRIM_400000_NS6detail17trampoline_kernelINS0_14default_configENS1_27scan_by_key_config_selectorIssEEZZNS1_16scan_by_key_implILNS1_25lookback_scan_determinismE0ELb0ES3_N6thrust23THRUST_200600_302600_NS6detail15normal_iteratorINS9_10device_ptrIsEEEESE_SE_sNS9_4plusIsEE19head_flag_predicatesEE10hipError_tPvRmT2_T3_T4_T5_mT6_T7_P12ihipStream_tbENKUlT_T0_E_clISt17integral_constantIbLb0EESY_EEDaST_SU_EUlST_E_NS1_11comp_targetILNS1_3genE5ELNS1_11target_archE942ELNS1_3gpuE9ELNS1_3repE0EEENS1_30default_config_static_selectorELNS0_4arch9wavefront6targetE0EEEvT1_
	.globl	_ZN7rocprim17ROCPRIM_400000_NS6detail17trampoline_kernelINS0_14default_configENS1_27scan_by_key_config_selectorIssEEZZNS1_16scan_by_key_implILNS1_25lookback_scan_determinismE0ELb0ES3_N6thrust23THRUST_200600_302600_NS6detail15normal_iteratorINS9_10device_ptrIsEEEESE_SE_sNS9_4plusIsEE19head_flag_predicatesEE10hipError_tPvRmT2_T3_T4_T5_mT6_T7_P12ihipStream_tbENKUlT_T0_E_clISt17integral_constantIbLb0EESY_EEDaST_SU_EUlST_E_NS1_11comp_targetILNS1_3genE5ELNS1_11target_archE942ELNS1_3gpuE9ELNS1_3repE0EEENS1_30default_config_static_selectorELNS0_4arch9wavefront6targetE0EEEvT1_
	.p2align	8
	.type	_ZN7rocprim17ROCPRIM_400000_NS6detail17trampoline_kernelINS0_14default_configENS1_27scan_by_key_config_selectorIssEEZZNS1_16scan_by_key_implILNS1_25lookback_scan_determinismE0ELb0ES3_N6thrust23THRUST_200600_302600_NS6detail15normal_iteratorINS9_10device_ptrIsEEEESE_SE_sNS9_4plusIsEE19head_flag_predicatesEE10hipError_tPvRmT2_T3_T4_T5_mT6_T7_P12ihipStream_tbENKUlT_T0_E_clISt17integral_constantIbLb0EESY_EEDaST_SU_EUlST_E_NS1_11comp_targetILNS1_3genE5ELNS1_11target_archE942ELNS1_3gpuE9ELNS1_3repE0EEENS1_30default_config_static_selectorELNS0_4arch9wavefront6targetE0EEEvT1_,@function
_ZN7rocprim17ROCPRIM_400000_NS6detail17trampoline_kernelINS0_14default_configENS1_27scan_by_key_config_selectorIssEEZZNS1_16scan_by_key_implILNS1_25lookback_scan_determinismE0ELb0ES3_N6thrust23THRUST_200600_302600_NS6detail15normal_iteratorINS9_10device_ptrIsEEEESE_SE_sNS9_4plusIsEE19head_flag_predicatesEE10hipError_tPvRmT2_T3_T4_T5_mT6_T7_P12ihipStream_tbENKUlT_T0_E_clISt17integral_constantIbLb0EESY_EEDaST_SU_EUlST_E_NS1_11comp_targetILNS1_3genE5ELNS1_11target_archE942ELNS1_3gpuE9ELNS1_3repE0EEENS1_30default_config_static_selectorELNS0_4arch9wavefront6targetE0EEEvT1_: ; @_ZN7rocprim17ROCPRIM_400000_NS6detail17trampoline_kernelINS0_14default_configENS1_27scan_by_key_config_selectorIssEEZZNS1_16scan_by_key_implILNS1_25lookback_scan_determinismE0ELb0ES3_N6thrust23THRUST_200600_302600_NS6detail15normal_iteratorINS9_10device_ptrIsEEEESE_SE_sNS9_4plusIsEE19head_flag_predicatesEE10hipError_tPvRmT2_T3_T4_T5_mT6_T7_P12ihipStream_tbENKUlT_T0_E_clISt17integral_constantIbLb0EESY_EEDaST_SU_EUlST_E_NS1_11comp_targetILNS1_3genE5ELNS1_11target_archE942ELNS1_3gpuE9ELNS1_3repE0EEENS1_30default_config_static_selectorELNS0_4arch9wavefront6targetE0EEEvT1_
; %bb.0:
	.section	.rodata,"a",@progbits
	.p2align	6, 0x0
	.amdhsa_kernel _ZN7rocprim17ROCPRIM_400000_NS6detail17trampoline_kernelINS0_14default_configENS1_27scan_by_key_config_selectorIssEEZZNS1_16scan_by_key_implILNS1_25lookback_scan_determinismE0ELb0ES3_N6thrust23THRUST_200600_302600_NS6detail15normal_iteratorINS9_10device_ptrIsEEEESE_SE_sNS9_4plusIsEE19head_flag_predicatesEE10hipError_tPvRmT2_T3_T4_T5_mT6_T7_P12ihipStream_tbENKUlT_T0_E_clISt17integral_constantIbLb0EESY_EEDaST_SU_EUlST_E_NS1_11comp_targetILNS1_3genE5ELNS1_11target_archE942ELNS1_3gpuE9ELNS1_3repE0EEENS1_30default_config_static_selectorELNS0_4arch9wavefront6targetE0EEEvT1_
		.amdhsa_group_segment_fixed_size 0
		.amdhsa_private_segment_fixed_size 0
		.amdhsa_kernarg_size 112
		.amdhsa_user_sgpr_count 6
		.amdhsa_user_sgpr_private_segment_buffer 1
		.amdhsa_user_sgpr_dispatch_ptr 0
		.amdhsa_user_sgpr_queue_ptr 0
		.amdhsa_user_sgpr_kernarg_segment_ptr 1
		.amdhsa_user_sgpr_dispatch_id 0
		.amdhsa_user_sgpr_flat_scratch_init 0
		.amdhsa_user_sgpr_private_segment_size 0
		.amdhsa_wavefront_size32 1
		.amdhsa_uses_dynamic_stack 0
		.amdhsa_system_sgpr_private_segment_wavefront_offset 0
		.amdhsa_system_sgpr_workgroup_id_x 1
		.amdhsa_system_sgpr_workgroup_id_y 0
		.amdhsa_system_sgpr_workgroup_id_z 0
		.amdhsa_system_sgpr_workgroup_info 0
		.amdhsa_system_vgpr_workitem_id 0
		.amdhsa_next_free_vgpr 1
		.amdhsa_next_free_sgpr 1
		.amdhsa_reserve_vcc 0
		.amdhsa_reserve_flat_scratch 0
		.amdhsa_float_round_mode_32 0
		.amdhsa_float_round_mode_16_64 0
		.amdhsa_float_denorm_mode_32 3
		.amdhsa_float_denorm_mode_16_64 3
		.amdhsa_dx10_clamp 1
		.amdhsa_ieee_mode 1
		.amdhsa_fp16_overflow 0
		.amdhsa_workgroup_processor_mode 1
		.amdhsa_memory_ordered 1
		.amdhsa_forward_progress 1
		.amdhsa_shared_vgpr_count 0
		.amdhsa_exception_fp_ieee_invalid_op 0
		.amdhsa_exception_fp_denorm_src 0
		.amdhsa_exception_fp_ieee_div_zero 0
		.amdhsa_exception_fp_ieee_overflow 0
		.amdhsa_exception_fp_ieee_underflow 0
		.amdhsa_exception_fp_ieee_inexact 0
		.amdhsa_exception_int_div_zero 0
	.end_amdhsa_kernel
	.section	.text._ZN7rocprim17ROCPRIM_400000_NS6detail17trampoline_kernelINS0_14default_configENS1_27scan_by_key_config_selectorIssEEZZNS1_16scan_by_key_implILNS1_25lookback_scan_determinismE0ELb0ES3_N6thrust23THRUST_200600_302600_NS6detail15normal_iteratorINS9_10device_ptrIsEEEESE_SE_sNS9_4plusIsEE19head_flag_predicatesEE10hipError_tPvRmT2_T3_T4_T5_mT6_T7_P12ihipStream_tbENKUlT_T0_E_clISt17integral_constantIbLb0EESY_EEDaST_SU_EUlST_E_NS1_11comp_targetILNS1_3genE5ELNS1_11target_archE942ELNS1_3gpuE9ELNS1_3repE0EEENS1_30default_config_static_selectorELNS0_4arch9wavefront6targetE0EEEvT1_,"axG",@progbits,_ZN7rocprim17ROCPRIM_400000_NS6detail17trampoline_kernelINS0_14default_configENS1_27scan_by_key_config_selectorIssEEZZNS1_16scan_by_key_implILNS1_25lookback_scan_determinismE0ELb0ES3_N6thrust23THRUST_200600_302600_NS6detail15normal_iteratorINS9_10device_ptrIsEEEESE_SE_sNS9_4plusIsEE19head_flag_predicatesEE10hipError_tPvRmT2_T3_T4_T5_mT6_T7_P12ihipStream_tbENKUlT_T0_E_clISt17integral_constantIbLb0EESY_EEDaST_SU_EUlST_E_NS1_11comp_targetILNS1_3genE5ELNS1_11target_archE942ELNS1_3gpuE9ELNS1_3repE0EEENS1_30default_config_static_selectorELNS0_4arch9wavefront6targetE0EEEvT1_,comdat
.Lfunc_end823:
	.size	_ZN7rocprim17ROCPRIM_400000_NS6detail17trampoline_kernelINS0_14default_configENS1_27scan_by_key_config_selectorIssEEZZNS1_16scan_by_key_implILNS1_25lookback_scan_determinismE0ELb0ES3_N6thrust23THRUST_200600_302600_NS6detail15normal_iteratorINS9_10device_ptrIsEEEESE_SE_sNS9_4plusIsEE19head_flag_predicatesEE10hipError_tPvRmT2_T3_T4_T5_mT6_T7_P12ihipStream_tbENKUlT_T0_E_clISt17integral_constantIbLb0EESY_EEDaST_SU_EUlST_E_NS1_11comp_targetILNS1_3genE5ELNS1_11target_archE942ELNS1_3gpuE9ELNS1_3repE0EEENS1_30default_config_static_selectorELNS0_4arch9wavefront6targetE0EEEvT1_, .Lfunc_end823-_ZN7rocprim17ROCPRIM_400000_NS6detail17trampoline_kernelINS0_14default_configENS1_27scan_by_key_config_selectorIssEEZZNS1_16scan_by_key_implILNS1_25lookback_scan_determinismE0ELb0ES3_N6thrust23THRUST_200600_302600_NS6detail15normal_iteratorINS9_10device_ptrIsEEEESE_SE_sNS9_4plusIsEE19head_flag_predicatesEE10hipError_tPvRmT2_T3_T4_T5_mT6_T7_P12ihipStream_tbENKUlT_T0_E_clISt17integral_constantIbLb0EESY_EEDaST_SU_EUlST_E_NS1_11comp_targetILNS1_3genE5ELNS1_11target_archE942ELNS1_3gpuE9ELNS1_3repE0EEENS1_30default_config_static_selectorELNS0_4arch9wavefront6targetE0EEEvT1_
                                        ; -- End function
	.set _ZN7rocprim17ROCPRIM_400000_NS6detail17trampoline_kernelINS0_14default_configENS1_27scan_by_key_config_selectorIssEEZZNS1_16scan_by_key_implILNS1_25lookback_scan_determinismE0ELb0ES3_N6thrust23THRUST_200600_302600_NS6detail15normal_iteratorINS9_10device_ptrIsEEEESE_SE_sNS9_4plusIsEE19head_flag_predicatesEE10hipError_tPvRmT2_T3_T4_T5_mT6_T7_P12ihipStream_tbENKUlT_T0_E_clISt17integral_constantIbLb0EESY_EEDaST_SU_EUlST_E_NS1_11comp_targetILNS1_3genE5ELNS1_11target_archE942ELNS1_3gpuE9ELNS1_3repE0EEENS1_30default_config_static_selectorELNS0_4arch9wavefront6targetE0EEEvT1_.num_vgpr, 0
	.set _ZN7rocprim17ROCPRIM_400000_NS6detail17trampoline_kernelINS0_14default_configENS1_27scan_by_key_config_selectorIssEEZZNS1_16scan_by_key_implILNS1_25lookback_scan_determinismE0ELb0ES3_N6thrust23THRUST_200600_302600_NS6detail15normal_iteratorINS9_10device_ptrIsEEEESE_SE_sNS9_4plusIsEE19head_flag_predicatesEE10hipError_tPvRmT2_T3_T4_T5_mT6_T7_P12ihipStream_tbENKUlT_T0_E_clISt17integral_constantIbLb0EESY_EEDaST_SU_EUlST_E_NS1_11comp_targetILNS1_3genE5ELNS1_11target_archE942ELNS1_3gpuE9ELNS1_3repE0EEENS1_30default_config_static_selectorELNS0_4arch9wavefront6targetE0EEEvT1_.num_agpr, 0
	.set _ZN7rocprim17ROCPRIM_400000_NS6detail17trampoline_kernelINS0_14default_configENS1_27scan_by_key_config_selectorIssEEZZNS1_16scan_by_key_implILNS1_25lookback_scan_determinismE0ELb0ES3_N6thrust23THRUST_200600_302600_NS6detail15normal_iteratorINS9_10device_ptrIsEEEESE_SE_sNS9_4plusIsEE19head_flag_predicatesEE10hipError_tPvRmT2_T3_T4_T5_mT6_T7_P12ihipStream_tbENKUlT_T0_E_clISt17integral_constantIbLb0EESY_EEDaST_SU_EUlST_E_NS1_11comp_targetILNS1_3genE5ELNS1_11target_archE942ELNS1_3gpuE9ELNS1_3repE0EEENS1_30default_config_static_selectorELNS0_4arch9wavefront6targetE0EEEvT1_.numbered_sgpr, 0
	.set _ZN7rocprim17ROCPRIM_400000_NS6detail17trampoline_kernelINS0_14default_configENS1_27scan_by_key_config_selectorIssEEZZNS1_16scan_by_key_implILNS1_25lookback_scan_determinismE0ELb0ES3_N6thrust23THRUST_200600_302600_NS6detail15normal_iteratorINS9_10device_ptrIsEEEESE_SE_sNS9_4plusIsEE19head_flag_predicatesEE10hipError_tPvRmT2_T3_T4_T5_mT6_T7_P12ihipStream_tbENKUlT_T0_E_clISt17integral_constantIbLb0EESY_EEDaST_SU_EUlST_E_NS1_11comp_targetILNS1_3genE5ELNS1_11target_archE942ELNS1_3gpuE9ELNS1_3repE0EEENS1_30default_config_static_selectorELNS0_4arch9wavefront6targetE0EEEvT1_.num_named_barrier, 0
	.set _ZN7rocprim17ROCPRIM_400000_NS6detail17trampoline_kernelINS0_14default_configENS1_27scan_by_key_config_selectorIssEEZZNS1_16scan_by_key_implILNS1_25lookback_scan_determinismE0ELb0ES3_N6thrust23THRUST_200600_302600_NS6detail15normal_iteratorINS9_10device_ptrIsEEEESE_SE_sNS9_4plusIsEE19head_flag_predicatesEE10hipError_tPvRmT2_T3_T4_T5_mT6_T7_P12ihipStream_tbENKUlT_T0_E_clISt17integral_constantIbLb0EESY_EEDaST_SU_EUlST_E_NS1_11comp_targetILNS1_3genE5ELNS1_11target_archE942ELNS1_3gpuE9ELNS1_3repE0EEENS1_30default_config_static_selectorELNS0_4arch9wavefront6targetE0EEEvT1_.private_seg_size, 0
	.set _ZN7rocprim17ROCPRIM_400000_NS6detail17trampoline_kernelINS0_14default_configENS1_27scan_by_key_config_selectorIssEEZZNS1_16scan_by_key_implILNS1_25lookback_scan_determinismE0ELb0ES3_N6thrust23THRUST_200600_302600_NS6detail15normal_iteratorINS9_10device_ptrIsEEEESE_SE_sNS9_4plusIsEE19head_flag_predicatesEE10hipError_tPvRmT2_T3_T4_T5_mT6_T7_P12ihipStream_tbENKUlT_T0_E_clISt17integral_constantIbLb0EESY_EEDaST_SU_EUlST_E_NS1_11comp_targetILNS1_3genE5ELNS1_11target_archE942ELNS1_3gpuE9ELNS1_3repE0EEENS1_30default_config_static_selectorELNS0_4arch9wavefront6targetE0EEEvT1_.uses_vcc, 0
	.set _ZN7rocprim17ROCPRIM_400000_NS6detail17trampoline_kernelINS0_14default_configENS1_27scan_by_key_config_selectorIssEEZZNS1_16scan_by_key_implILNS1_25lookback_scan_determinismE0ELb0ES3_N6thrust23THRUST_200600_302600_NS6detail15normal_iteratorINS9_10device_ptrIsEEEESE_SE_sNS9_4plusIsEE19head_flag_predicatesEE10hipError_tPvRmT2_T3_T4_T5_mT6_T7_P12ihipStream_tbENKUlT_T0_E_clISt17integral_constantIbLb0EESY_EEDaST_SU_EUlST_E_NS1_11comp_targetILNS1_3genE5ELNS1_11target_archE942ELNS1_3gpuE9ELNS1_3repE0EEENS1_30default_config_static_selectorELNS0_4arch9wavefront6targetE0EEEvT1_.uses_flat_scratch, 0
	.set _ZN7rocprim17ROCPRIM_400000_NS6detail17trampoline_kernelINS0_14default_configENS1_27scan_by_key_config_selectorIssEEZZNS1_16scan_by_key_implILNS1_25lookback_scan_determinismE0ELb0ES3_N6thrust23THRUST_200600_302600_NS6detail15normal_iteratorINS9_10device_ptrIsEEEESE_SE_sNS9_4plusIsEE19head_flag_predicatesEE10hipError_tPvRmT2_T3_T4_T5_mT6_T7_P12ihipStream_tbENKUlT_T0_E_clISt17integral_constantIbLb0EESY_EEDaST_SU_EUlST_E_NS1_11comp_targetILNS1_3genE5ELNS1_11target_archE942ELNS1_3gpuE9ELNS1_3repE0EEENS1_30default_config_static_selectorELNS0_4arch9wavefront6targetE0EEEvT1_.has_dyn_sized_stack, 0
	.set _ZN7rocprim17ROCPRIM_400000_NS6detail17trampoline_kernelINS0_14default_configENS1_27scan_by_key_config_selectorIssEEZZNS1_16scan_by_key_implILNS1_25lookback_scan_determinismE0ELb0ES3_N6thrust23THRUST_200600_302600_NS6detail15normal_iteratorINS9_10device_ptrIsEEEESE_SE_sNS9_4plusIsEE19head_flag_predicatesEE10hipError_tPvRmT2_T3_T4_T5_mT6_T7_P12ihipStream_tbENKUlT_T0_E_clISt17integral_constantIbLb0EESY_EEDaST_SU_EUlST_E_NS1_11comp_targetILNS1_3genE5ELNS1_11target_archE942ELNS1_3gpuE9ELNS1_3repE0EEENS1_30default_config_static_selectorELNS0_4arch9wavefront6targetE0EEEvT1_.has_recursion, 0
	.set _ZN7rocprim17ROCPRIM_400000_NS6detail17trampoline_kernelINS0_14default_configENS1_27scan_by_key_config_selectorIssEEZZNS1_16scan_by_key_implILNS1_25lookback_scan_determinismE0ELb0ES3_N6thrust23THRUST_200600_302600_NS6detail15normal_iteratorINS9_10device_ptrIsEEEESE_SE_sNS9_4plusIsEE19head_flag_predicatesEE10hipError_tPvRmT2_T3_T4_T5_mT6_T7_P12ihipStream_tbENKUlT_T0_E_clISt17integral_constantIbLb0EESY_EEDaST_SU_EUlST_E_NS1_11comp_targetILNS1_3genE5ELNS1_11target_archE942ELNS1_3gpuE9ELNS1_3repE0EEENS1_30default_config_static_selectorELNS0_4arch9wavefront6targetE0EEEvT1_.has_indirect_call, 0
	.section	.AMDGPU.csdata,"",@progbits
; Kernel info:
; codeLenInByte = 0
; TotalNumSgprs: 0
; NumVgprs: 0
; ScratchSize: 0
; MemoryBound: 0
; FloatMode: 240
; IeeeMode: 1
; LDSByteSize: 0 bytes/workgroup (compile time only)
; SGPRBlocks: 0
; VGPRBlocks: 0
; NumSGPRsForWavesPerEU: 1
; NumVGPRsForWavesPerEU: 1
; Occupancy: 16
; WaveLimiterHint : 0
; COMPUTE_PGM_RSRC2:SCRATCH_EN: 0
; COMPUTE_PGM_RSRC2:USER_SGPR: 6
; COMPUTE_PGM_RSRC2:TRAP_HANDLER: 0
; COMPUTE_PGM_RSRC2:TGID_X_EN: 1
; COMPUTE_PGM_RSRC2:TGID_Y_EN: 0
; COMPUTE_PGM_RSRC2:TGID_Z_EN: 0
; COMPUTE_PGM_RSRC2:TIDIG_COMP_CNT: 0
	.section	.text._ZN7rocprim17ROCPRIM_400000_NS6detail17trampoline_kernelINS0_14default_configENS1_27scan_by_key_config_selectorIssEEZZNS1_16scan_by_key_implILNS1_25lookback_scan_determinismE0ELb0ES3_N6thrust23THRUST_200600_302600_NS6detail15normal_iteratorINS9_10device_ptrIsEEEESE_SE_sNS9_4plusIsEE19head_flag_predicatesEE10hipError_tPvRmT2_T3_T4_T5_mT6_T7_P12ihipStream_tbENKUlT_T0_E_clISt17integral_constantIbLb0EESY_EEDaST_SU_EUlST_E_NS1_11comp_targetILNS1_3genE4ELNS1_11target_archE910ELNS1_3gpuE8ELNS1_3repE0EEENS1_30default_config_static_selectorELNS0_4arch9wavefront6targetE0EEEvT1_,"axG",@progbits,_ZN7rocprim17ROCPRIM_400000_NS6detail17trampoline_kernelINS0_14default_configENS1_27scan_by_key_config_selectorIssEEZZNS1_16scan_by_key_implILNS1_25lookback_scan_determinismE0ELb0ES3_N6thrust23THRUST_200600_302600_NS6detail15normal_iteratorINS9_10device_ptrIsEEEESE_SE_sNS9_4plusIsEE19head_flag_predicatesEE10hipError_tPvRmT2_T3_T4_T5_mT6_T7_P12ihipStream_tbENKUlT_T0_E_clISt17integral_constantIbLb0EESY_EEDaST_SU_EUlST_E_NS1_11comp_targetILNS1_3genE4ELNS1_11target_archE910ELNS1_3gpuE8ELNS1_3repE0EEENS1_30default_config_static_selectorELNS0_4arch9wavefront6targetE0EEEvT1_,comdat
	.protected	_ZN7rocprim17ROCPRIM_400000_NS6detail17trampoline_kernelINS0_14default_configENS1_27scan_by_key_config_selectorIssEEZZNS1_16scan_by_key_implILNS1_25lookback_scan_determinismE0ELb0ES3_N6thrust23THRUST_200600_302600_NS6detail15normal_iteratorINS9_10device_ptrIsEEEESE_SE_sNS9_4plusIsEE19head_flag_predicatesEE10hipError_tPvRmT2_T3_T4_T5_mT6_T7_P12ihipStream_tbENKUlT_T0_E_clISt17integral_constantIbLb0EESY_EEDaST_SU_EUlST_E_NS1_11comp_targetILNS1_3genE4ELNS1_11target_archE910ELNS1_3gpuE8ELNS1_3repE0EEENS1_30default_config_static_selectorELNS0_4arch9wavefront6targetE0EEEvT1_ ; -- Begin function _ZN7rocprim17ROCPRIM_400000_NS6detail17trampoline_kernelINS0_14default_configENS1_27scan_by_key_config_selectorIssEEZZNS1_16scan_by_key_implILNS1_25lookback_scan_determinismE0ELb0ES3_N6thrust23THRUST_200600_302600_NS6detail15normal_iteratorINS9_10device_ptrIsEEEESE_SE_sNS9_4plusIsEE19head_flag_predicatesEE10hipError_tPvRmT2_T3_T4_T5_mT6_T7_P12ihipStream_tbENKUlT_T0_E_clISt17integral_constantIbLb0EESY_EEDaST_SU_EUlST_E_NS1_11comp_targetILNS1_3genE4ELNS1_11target_archE910ELNS1_3gpuE8ELNS1_3repE0EEENS1_30default_config_static_selectorELNS0_4arch9wavefront6targetE0EEEvT1_
	.globl	_ZN7rocprim17ROCPRIM_400000_NS6detail17trampoline_kernelINS0_14default_configENS1_27scan_by_key_config_selectorIssEEZZNS1_16scan_by_key_implILNS1_25lookback_scan_determinismE0ELb0ES3_N6thrust23THRUST_200600_302600_NS6detail15normal_iteratorINS9_10device_ptrIsEEEESE_SE_sNS9_4plusIsEE19head_flag_predicatesEE10hipError_tPvRmT2_T3_T4_T5_mT6_T7_P12ihipStream_tbENKUlT_T0_E_clISt17integral_constantIbLb0EESY_EEDaST_SU_EUlST_E_NS1_11comp_targetILNS1_3genE4ELNS1_11target_archE910ELNS1_3gpuE8ELNS1_3repE0EEENS1_30default_config_static_selectorELNS0_4arch9wavefront6targetE0EEEvT1_
	.p2align	8
	.type	_ZN7rocprim17ROCPRIM_400000_NS6detail17trampoline_kernelINS0_14default_configENS1_27scan_by_key_config_selectorIssEEZZNS1_16scan_by_key_implILNS1_25lookback_scan_determinismE0ELb0ES3_N6thrust23THRUST_200600_302600_NS6detail15normal_iteratorINS9_10device_ptrIsEEEESE_SE_sNS9_4plusIsEE19head_flag_predicatesEE10hipError_tPvRmT2_T3_T4_T5_mT6_T7_P12ihipStream_tbENKUlT_T0_E_clISt17integral_constantIbLb0EESY_EEDaST_SU_EUlST_E_NS1_11comp_targetILNS1_3genE4ELNS1_11target_archE910ELNS1_3gpuE8ELNS1_3repE0EEENS1_30default_config_static_selectorELNS0_4arch9wavefront6targetE0EEEvT1_,@function
_ZN7rocprim17ROCPRIM_400000_NS6detail17trampoline_kernelINS0_14default_configENS1_27scan_by_key_config_selectorIssEEZZNS1_16scan_by_key_implILNS1_25lookback_scan_determinismE0ELb0ES3_N6thrust23THRUST_200600_302600_NS6detail15normal_iteratorINS9_10device_ptrIsEEEESE_SE_sNS9_4plusIsEE19head_flag_predicatesEE10hipError_tPvRmT2_T3_T4_T5_mT6_T7_P12ihipStream_tbENKUlT_T0_E_clISt17integral_constantIbLb0EESY_EEDaST_SU_EUlST_E_NS1_11comp_targetILNS1_3genE4ELNS1_11target_archE910ELNS1_3gpuE8ELNS1_3repE0EEENS1_30default_config_static_selectorELNS0_4arch9wavefront6targetE0EEEvT1_: ; @_ZN7rocprim17ROCPRIM_400000_NS6detail17trampoline_kernelINS0_14default_configENS1_27scan_by_key_config_selectorIssEEZZNS1_16scan_by_key_implILNS1_25lookback_scan_determinismE0ELb0ES3_N6thrust23THRUST_200600_302600_NS6detail15normal_iteratorINS9_10device_ptrIsEEEESE_SE_sNS9_4plusIsEE19head_flag_predicatesEE10hipError_tPvRmT2_T3_T4_T5_mT6_T7_P12ihipStream_tbENKUlT_T0_E_clISt17integral_constantIbLb0EESY_EEDaST_SU_EUlST_E_NS1_11comp_targetILNS1_3genE4ELNS1_11target_archE910ELNS1_3gpuE8ELNS1_3repE0EEENS1_30default_config_static_selectorELNS0_4arch9wavefront6targetE0EEEvT1_
; %bb.0:
	.section	.rodata,"a",@progbits
	.p2align	6, 0x0
	.amdhsa_kernel _ZN7rocprim17ROCPRIM_400000_NS6detail17trampoline_kernelINS0_14default_configENS1_27scan_by_key_config_selectorIssEEZZNS1_16scan_by_key_implILNS1_25lookback_scan_determinismE0ELb0ES3_N6thrust23THRUST_200600_302600_NS6detail15normal_iteratorINS9_10device_ptrIsEEEESE_SE_sNS9_4plusIsEE19head_flag_predicatesEE10hipError_tPvRmT2_T3_T4_T5_mT6_T7_P12ihipStream_tbENKUlT_T0_E_clISt17integral_constantIbLb0EESY_EEDaST_SU_EUlST_E_NS1_11comp_targetILNS1_3genE4ELNS1_11target_archE910ELNS1_3gpuE8ELNS1_3repE0EEENS1_30default_config_static_selectorELNS0_4arch9wavefront6targetE0EEEvT1_
		.amdhsa_group_segment_fixed_size 0
		.amdhsa_private_segment_fixed_size 0
		.amdhsa_kernarg_size 112
		.amdhsa_user_sgpr_count 6
		.amdhsa_user_sgpr_private_segment_buffer 1
		.amdhsa_user_sgpr_dispatch_ptr 0
		.amdhsa_user_sgpr_queue_ptr 0
		.amdhsa_user_sgpr_kernarg_segment_ptr 1
		.amdhsa_user_sgpr_dispatch_id 0
		.amdhsa_user_sgpr_flat_scratch_init 0
		.amdhsa_user_sgpr_private_segment_size 0
		.amdhsa_wavefront_size32 1
		.amdhsa_uses_dynamic_stack 0
		.amdhsa_system_sgpr_private_segment_wavefront_offset 0
		.amdhsa_system_sgpr_workgroup_id_x 1
		.amdhsa_system_sgpr_workgroup_id_y 0
		.amdhsa_system_sgpr_workgroup_id_z 0
		.amdhsa_system_sgpr_workgroup_info 0
		.amdhsa_system_vgpr_workitem_id 0
		.amdhsa_next_free_vgpr 1
		.amdhsa_next_free_sgpr 1
		.amdhsa_reserve_vcc 0
		.amdhsa_reserve_flat_scratch 0
		.amdhsa_float_round_mode_32 0
		.amdhsa_float_round_mode_16_64 0
		.amdhsa_float_denorm_mode_32 3
		.amdhsa_float_denorm_mode_16_64 3
		.amdhsa_dx10_clamp 1
		.amdhsa_ieee_mode 1
		.amdhsa_fp16_overflow 0
		.amdhsa_workgroup_processor_mode 1
		.amdhsa_memory_ordered 1
		.amdhsa_forward_progress 1
		.amdhsa_shared_vgpr_count 0
		.amdhsa_exception_fp_ieee_invalid_op 0
		.amdhsa_exception_fp_denorm_src 0
		.amdhsa_exception_fp_ieee_div_zero 0
		.amdhsa_exception_fp_ieee_overflow 0
		.amdhsa_exception_fp_ieee_underflow 0
		.amdhsa_exception_fp_ieee_inexact 0
		.amdhsa_exception_int_div_zero 0
	.end_amdhsa_kernel
	.section	.text._ZN7rocprim17ROCPRIM_400000_NS6detail17trampoline_kernelINS0_14default_configENS1_27scan_by_key_config_selectorIssEEZZNS1_16scan_by_key_implILNS1_25lookback_scan_determinismE0ELb0ES3_N6thrust23THRUST_200600_302600_NS6detail15normal_iteratorINS9_10device_ptrIsEEEESE_SE_sNS9_4plusIsEE19head_flag_predicatesEE10hipError_tPvRmT2_T3_T4_T5_mT6_T7_P12ihipStream_tbENKUlT_T0_E_clISt17integral_constantIbLb0EESY_EEDaST_SU_EUlST_E_NS1_11comp_targetILNS1_3genE4ELNS1_11target_archE910ELNS1_3gpuE8ELNS1_3repE0EEENS1_30default_config_static_selectorELNS0_4arch9wavefront6targetE0EEEvT1_,"axG",@progbits,_ZN7rocprim17ROCPRIM_400000_NS6detail17trampoline_kernelINS0_14default_configENS1_27scan_by_key_config_selectorIssEEZZNS1_16scan_by_key_implILNS1_25lookback_scan_determinismE0ELb0ES3_N6thrust23THRUST_200600_302600_NS6detail15normal_iteratorINS9_10device_ptrIsEEEESE_SE_sNS9_4plusIsEE19head_flag_predicatesEE10hipError_tPvRmT2_T3_T4_T5_mT6_T7_P12ihipStream_tbENKUlT_T0_E_clISt17integral_constantIbLb0EESY_EEDaST_SU_EUlST_E_NS1_11comp_targetILNS1_3genE4ELNS1_11target_archE910ELNS1_3gpuE8ELNS1_3repE0EEENS1_30default_config_static_selectorELNS0_4arch9wavefront6targetE0EEEvT1_,comdat
.Lfunc_end824:
	.size	_ZN7rocprim17ROCPRIM_400000_NS6detail17trampoline_kernelINS0_14default_configENS1_27scan_by_key_config_selectorIssEEZZNS1_16scan_by_key_implILNS1_25lookback_scan_determinismE0ELb0ES3_N6thrust23THRUST_200600_302600_NS6detail15normal_iteratorINS9_10device_ptrIsEEEESE_SE_sNS9_4plusIsEE19head_flag_predicatesEE10hipError_tPvRmT2_T3_T4_T5_mT6_T7_P12ihipStream_tbENKUlT_T0_E_clISt17integral_constantIbLb0EESY_EEDaST_SU_EUlST_E_NS1_11comp_targetILNS1_3genE4ELNS1_11target_archE910ELNS1_3gpuE8ELNS1_3repE0EEENS1_30default_config_static_selectorELNS0_4arch9wavefront6targetE0EEEvT1_, .Lfunc_end824-_ZN7rocprim17ROCPRIM_400000_NS6detail17trampoline_kernelINS0_14default_configENS1_27scan_by_key_config_selectorIssEEZZNS1_16scan_by_key_implILNS1_25lookback_scan_determinismE0ELb0ES3_N6thrust23THRUST_200600_302600_NS6detail15normal_iteratorINS9_10device_ptrIsEEEESE_SE_sNS9_4plusIsEE19head_flag_predicatesEE10hipError_tPvRmT2_T3_T4_T5_mT6_T7_P12ihipStream_tbENKUlT_T0_E_clISt17integral_constantIbLb0EESY_EEDaST_SU_EUlST_E_NS1_11comp_targetILNS1_3genE4ELNS1_11target_archE910ELNS1_3gpuE8ELNS1_3repE0EEENS1_30default_config_static_selectorELNS0_4arch9wavefront6targetE0EEEvT1_
                                        ; -- End function
	.set _ZN7rocprim17ROCPRIM_400000_NS6detail17trampoline_kernelINS0_14default_configENS1_27scan_by_key_config_selectorIssEEZZNS1_16scan_by_key_implILNS1_25lookback_scan_determinismE0ELb0ES3_N6thrust23THRUST_200600_302600_NS6detail15normal_iteratorINS9_10device_ptrIsEEEESE_SE_sNS9_4plusIsEE19head_flag_predicatesEE10hipError_tPvRmT2_T3_T4_T5_mT6_T7_P12ihipStream_tbENKUlT_T0_E_clISt17integral_constantIbLb0EESY_EEDaST_SU_EUlST_E_NS1_11comp_targetILNS1_3genE4ELNS1_11target_archE910ELNS1_3gpuE8ELNS1_3repE0EEENS1_30default_config_static_selectorELNS0_4arch9wavefront6targetE0EEEvT1_.num_vgpr, 0
	.set _ZN7rocprim17ROCPRIM_400000_NS6detail17trampoline_kernelINS0_14default_configENS1_27scan_by_key_config_selectorIssEEZZNS1_16scan_by_key_implILNS1_25lookback_scan_determinismE0ELb0ES3_N6thrust23THRUST_200600_302600_NS6detail15normal_iteratorINS9_10device_ptrIsEEEESE_SE_sNS9_4plusIsEE19head_flag_predicatesEE10hipError_tPvRmT2_T3_T4_T5_mT6_T7_P12ihipStream_tbENKUlT_T0_E_clISt17integral_constantIbLb0EESY_EEDaST_SU_EUlST_E_NS1_11comp_targetILNS1_3genE4ELNS1_11target_archE910ELNS1_3gpuE8ELNS1_3repE0EEENS1_30default_config_static_selectorELNS0_4arch9wavefront6targetE0EEEvT1_.num_agpr, 0
	.set _ZN7rocprim17ROCPRIM_400000_NS6detail17trampoline_kernelINS0_14default_configENS1_27scan_by_key_config_selectorIssEEZZNS1_16scan_by_key_implILNS1_25lookback_scan_determinismE0ELb0ES3_N6thrust23THRUST_200600_302600_NS6detail15normal_iteratorINS9_10device_ptrIsEEEESE_SE_sNS9_4plusIsEE19head_flag_predicatesEE10hipError_tPvRmT2_T3_T4_T5_mT6_T7_P12ihipStream_tbENKUlT_T0_E_clISt17integral_constantIbLb0EESY_EEDaST_SU_EUlST_E_NS1_11comp_targetILNS1_3genE4ELNS1_11target_archE910ELNS1_3gpuE8ELNS1_3repE0EEENS1_30default_config_static_selectorELNS0_4arch9wavefront6targetE0EEEvT1_.numbered_sgpr, 0
	.set _ZN7rocprim17ROCPRIM_400000_NS6detail17trampoline_kernelINS0_14default_configENS1_27scan_by_key_config_selectorIssEEZZNS1_16scan_by_key_implILNS1_25lookback_scan_determinismE0ELb0ES3_N6thrust23THRUST_200600_302600_NS6detail15normal_iteratorINS9_10device_ptrIsEEEESE_SE_sNS9_4plusIsEE19head_flag_predicatesEE10hipError_tPvRmT2_T3_T4_T5_mT6_T7_P12ihipStream_tbENKUlT_T0_E_clISt17integral_constantIbLb0EESY_EEDaST_SU_EUlST_E_NS1_11comp_targetILNS1_3genE4ELNS1_11target_archE910ELNS1_3gpuE8ELNS1_3repE0EEENS1_30default_config_static_selectorELNS0_4arch9wavefront6targetE0EEEvT1_.num_named_barrier, 0
	.set _ZN7rocprim17ROCPRIM_400000_NS6detail17trampoline_kernelINS0_14default_configENS1_27scan_by_key_config_selectorIssEEZZNS1_16scan_by_key_implILNS1_25lookback_scan_determinismE0ELb0ES3_N6thrust23THRUST_200600_302600_NS6detail15normal_iteratorINS9_10device_ptrIsEEEESE_SE_sNS9_4plusIsEE19head_flag_predicatesEE10hipError_tPvRmT2_T3_T4_T5_mT6_T7_P12ihipStream_tbENKUlT_T0_E_clISt17integral_constantIbLb0EESY_EEDaST_SU_EUlST_E_NS1_11comp_targetILNS1_3genE4ELNS1_11target_archE910ELNS1_3gpuE8ELNS1_3repE0EEENS1_30default_config_static_selectorELNS0_4arch9wavefront6targetE0EEEvT1_.private_seg_size, 0
	.set _ZN7rocprim17ROCPRIM_400000_NS6detail17trampoline_kernelINS0_14default_configENS1_27scan_by_key_config_selectorIssEEZZNS1_16scan_by_key_implILNS1_25lookback_scan_determinismE0ELb0ES3_N6thrust23THRUST_200600_302600_NS6detail15normal_iteratorINS9_10device_ptrIsEEEESE_SE_sNS9_4plusIsEE19head_flag_predicatesEE10hipError_tPvRmT2_T3_T4_T5_mT6_T7_P12ihipStream_tbENKUlT_T0_E_clISt17integral_constantIbLb0EESY_EEDaST_SU_EUlST_E_NS1_11comp_targetILNS1_3genE4ELNS1_11target_archE910ELNS1_3gpuE8ELNS1_3repE0EEENS1_30default_config_static_selectorELNS0_4arch9wavefront6targetE0EEEvT1_.uses_vcc, 0
	.set _ZN7rocprim17ROCPRIM_400000_NS6detail17trampoline_kernelINS0_14default_configENS1_27scan_by_key_config_selectorIssEEZZNS1_16scan_by_key_implILNS1_25lookback_scan_determinismE0ELb0ES3_N6thrust23THRUST_200600_302600_NS6detail15normal_iteratorINS9_10device_ptrIsEEEESE_SE_sNS9_4plusIsEE19head_flag_predicatesEE10hipError_tPvRmT2_T3_T4_T5_mT6_T7_P12ihipStream_tbENKUlT_T0_E_clISt17integral_constantIbLb0EESY_EEDaST_SU_EUlST_E_NS1_11comp_targetILNS1_3genE4ELNS1_11target_archE910ELNS1_3gpuE8ELNS1_3repE0EEENS1_30default_config_static_selectorELNS0_4arch9wavefront6targetE0EEEvT1_.uses_flat_scratch, 0
	.set _ZN7rocprim17ROCPRIM_400000_NS6detail17trampoline_kernelINS0_14default_configENS1_27scan_by_key_config_selectorIssEEZZNS1_16scan_by_key_implILNS1_25lookback_scan_determinismE0ELb0ES3_N6thrust23THRUST_200600_302600_NS6detail15normal_iteratorINS9_10device_ptrIsEEEESE_SE_sNS9_4plusIsEE19head_flag_predicatesEE10hipError_tPvRmT2_T3_T4_T5_mT6_T7_P12ihipStream_tbENKUlT_T0_E_clISt17integral_constantIbLb0EESY_EEDaST_SU_EUlST_E_NS1_11comp_targetILNS1_3genE4ELNS1_11target_archE910ELNS1_3gpuE8ELNS1_3repE0EEENS1_30default_config_static_selectorELNS0_4arch9wavefront6targetE0EEEvT1_.has_dyn_sized_stack, 0
	.set _ZN7rocprim17ROCPRIM_400000_NS6detail17trampoline_kernelINS0_14default_configENS1_27scan_by_key_config_selectorIssEEZZNS1_16scan_by_key_implILNS1_25lookback_scan_determinismE0ELb0ES3_N6thrust23THRUST_200600_302600_NS6detail15normal_iteratorINS9_10device_ptrIsEEEESE_SE_sNS9_4plusIsEE19head_flag_predicatesEE10hipError_tPvRmT2_T3_T4_T5_mT6_T7_P12ihipStream_tbENKUlT_T0_E_clISt17integral_constantIbLb0EESY_EEDaST_SU_EUlST_E_NS1_11comp_targetILNS1_3genE4ELNS1_11target_archE910ELNS1_3gpuE8ELNS1_3repE0EEENS1_30default_config_static_selectorELNS0_4arch9wavefront6targetE0EEEvT1_.has_recursion, 0
	.set _ZN7rocprim17ROCPRIM_400000_NS6detail17trampoline_kernelINS0_14default_configENS1_27scan_by_key_config_selectorIssEEZZNS1_16scan_by_key_implILNS1_25lookback_scan_determinismE0ELb0ES3_N6thrust23THRUST_200600_302600_NS6detail15normal_iteratorINS9_10device_ptrIsEEEESE_SE_sNS9_4plusIsEE19head_flag_predicatesEE10hipError_tPvRmT2_T3_T4_T5_mT6_T7_P12ihipStream_tbENKUlT_T0_E_clISt17integral_constantIbLb0EESY_EEDaST_SU_EUlST_E_NS1_11comp_targetILNS1_3genE4ELNS1_11target_archE910ELNS1_3gpuE8ELNS1_3repE0EEENS1_30default_config_static_selectorELNS0_4arch9wavefront6targetE0EEEvT1_.has_indirect_call, 0
	.section	.AMDGPU.csdata,"",@progbits
; Kernel info:
; codeLenInByte = 0
; TotalNumSgprs: 0
; NumVgprs: 0
; ScratchSize: 0
; MemoryBound: 0
; FloatMode: 240
; IeeeMode: 1
; LDSByteSize: 0 bytes/workgroup (compile time only)
; SGPRBlocks: 0
; VGPRBlocks: 0
; NumSGPRsForWavesPerEU: 1
; NumVGPRsForWavesPerEU: 1
; Occupancy: 16
; WaveLimiterHint : 0
; COMPUTE_PGM_RSRC2:SCRATCH_EN: 0
; COMPUTE_PGM_RSRC2:USER_SGPR: 6
; COMPUTE_PGM_RSRC2:TRAP_HANDLER: 0
; COMPUTE_PGM_RSRC2:TGID_X_EN: 1
; COMPUTE_PGM_RSRC2:TGID_Y_EN: 0
; COMPUTE_PGM_RSRC2:TGID_Z_EN: 0
; COMPUTE_PGM_RSRC2:TIDIG_COMP_CNT: 0
	.section	.text._ZN7rocprim17ROCPRIM_400000_NS6detail17trampoline_kernelINS0_14default_configENS1_27scan_by_key_config_selectorIssEEZZNS1_16scan_by_key_implILNS1_25lookback_scan_determinismE0ELb0ES3_N6thrust23THRUST_200600_302600_NS6detail15normal_iteratorINS9_10device_ptrIsEEEESE_SE_sNS9_4plusIsEE19head_flag_predicatesEE10hipError_tPvRmT2_T3_T4_T5_mT6_T7_P12ihipStream_tbENKUlT_T0_E_clISt17integral_constantIbLb0EESY_EEDaST_SU_EUlST_E_NS1_11comp_targetILNS1_3genE3ELNS1_11target_archE908ELNS1_3gpuE7ELNS1_3repE0EEENS1_30default_config_static_selectorELNS0_4arch9wavefront6targetE0EEEvT1_,"axG",@progbits,_ZN7rocprim17ROCPRIM_400000_NS6detail17trampoline_kernelINS0_14default_configENS1_27scan_by_key_config_selectorIssEEZZNS1_16scan_by_key_implILNS1_25lookback_scan_determinismE0ELb0ES3_N6thrust23THRUST_200600_302600_NS6detail15normal_iteratorINS9_10device_ptrIsEEEESE_SE_sNS9_4plusIsEE19head_flag_predicatesEE10hipError_tPvRmT2_T3_T4_T5_mT6_T7_P12ihipStream_tbENKUlT_T0_E_clISt17integral_constantIbLb0EESY_EEDaST_SU_EUlST_E_NS1_11comp_targetILNS1_3genE3ELNS1_11target_archE908ELNS1_3gpuE7ELNS1_3repE0EEENS1_30default_config_static_selectorELNS0_4arch9wavefront6targetE0EEEvT1_,comdat
	.protected	_ZN7rocprim17ROCPRIM_400000_NS6detail17trampoline_kernelINS0_14default_configENS1_27scan_by_key_config_selectorIssEEZZNS1_16scan_by_key_implILNS1_25lookback_scan_determinismE0ELb0ES3_N6thrust23THRUST_200600_302600_NS6detail15normal_iteratorINS9_10device_ptrIsEEEESE_SE_sNS9_4plusIsEE19head_flag_predicatesEE10hipError_tPvRmT2_T3_T4_T5_mT6_T7_P12ihipStream_tbENKUlT_T0_E_clISt17integral_constantIbLb0EESY_EEDaST_SU_EUlST_E_NS1_11comp_targetILNS1_3genE3ELNS1_11target_archE908ELNS1_3gpuE7ELNS1_3repE0EEENS1_30default_config_static_selectorELNS0_4arch9wavefront6targetE0EEEvT1_ ; -- Begin function _ZN7rocprim17ROCPRIM_400000_NS6detail17trampoline_kernelINS0_14default_configENS1_27scan_by_key_config_selectorIssEEZZNS1_16scan_by_key_implILNS1_25lookback_scan_determinismE0ELb0ES3_N6thrust23THRUST_200600_302600_NS6detail15normal_iteratorINS9_10device_ptrIsEEEESE_SE_sNS9_4plusIsEE19head_flag_predicatesEE10hipError_tPvRmT2_T3_T4_T5_mT6_T7_P12ihipStream_tbENKUlT_T0_E_clISt17integral_constantIbLb0EESY_EEDaST_SU_EUlST_E_NS1_11comp_targetILNS1_3genE3ELNS1_11target_archE908ELNS1_3gpuE7ELNS1_3repE0EEENS1_30default_config_static_selectorELNS0_4arch9wavefront6targetE0EEEvT1_
	.globl	_ZN7rocprim17ROCPRIM_400000_NS6detail17trampoline_kernelINS0_14default_configENS1_27scan_by_key_config_selectorIssEEZZNS1_16scan_by_key_implILNS1_25lookback_scan_determinismE0ELb0ES3_N6thrust23THRUST_200600_302600_NS6detail15normal_iteratorINS9_10device_ptrIsEEEESE_SE_sNS9_4plusIsEE19head_flag_predicatesEE10hipError_tPvRmT2_T3_T4_T5_mT6_T7_P12ihipStream_tbENKUlT_T0_E_clISt17integral_constantIbLb0EESY_EEDaST_SU_EUlST_E_NS1_11comp_targetILNS1_3genE3ELNS1_11target_archE908ELNS1_3gpuE7ELNS1_3repE0EEENS1_30default_config_static_selectorELNS0_4arch9wavefront6targetE0EEEvT1_
	.p2align	8
	.type	_ZN7rocprim17ROCPRIM_400000_NS6detail17trampoline_kernelINS0_14default_configENS1_27scan_by_key_config_selectorIssEEZZNS1_16scan_by_key_implILNS1_25lookback_scan_determinismE0ELb0ES3_N6thrust23THRUST_200600_302600_NS6detail15normal_iteratorINS9_10device_ptrIsEEEESE_SE_sNS9_4plusIsEE19head_flag_predicatesEE10hipError_tPvRmT2_T3_T4_T5_mT6_T7_P12ihipStream_tbENKUlT_T0_E_clISt17integral_constantIbLb0EESY_EEDaST_SU_EUlST_E_NS1_11comp_targetILNS1_3genE3ELNS1_11target_archE908ELNS1_3gpuE7ELNS1_3repE0EEENS1_30default_config_static_selectorELNS0_4arch9wavefront6targetE0EEEvT1_,@function
_ZN7rocprim17ROCPRIM_400000_NS6detail17trampoline_kernelINS0_14default_configENS1_27scan_by_key_config_selectorIssEEZZNS1_16scan_by_key_implILNS1_25lookback_scan_determinismE0ELb0ES3_N6thrust23THRUST_200600_302600_NS6detail15normal_iteratorINS9_10device_ptrIsEEEESE_SE_sNS9_4plusIsEE19head_flag_predicatesEE10hipError_tPvRmT2_T3_T4_T5_mT6_T7_P12ihipStream_tbENKUlT_T0_E_clISt17integral_constantIbLb0EESY_EEDaST_SU_EUlST_E_NS1_11comp_targetILNS1_3genE3ELNS1_11target_archE908ELNS1_3gpuE7ELNS1_3repE0EEENS1_30default_config_static_selectorELNS0_4arch9wavefront6targetE0EEEvT1_: ; @_ZN7rocprim17ROCPRIM_400000_NS6detail17trampoline_kernelINS0_14default_configENS1_27scan_by_key_config_selectorIssEEZZNS1_16scan_by_key_implILNS1_25lookback_scan_determinismE0ELb0ES3_N6thrust23THRUST_200600_302600_NS6detail15normal_iteratorINS9_10device_ptrIsEEEESE_SE_sNS9_4plusIsEE19head_flag_predicatesEE10hipError_tPvRmT2_T3_T4_T5_mT6_T7_P12ihipStream_tbENKUlT_T0_E_clISt17integral_constantIbLb0EESY_EEDaST_SU_EUlST_E_NS1_11comp_targetILNS1_3genE3ELNS1_11target_archE908ELNS1_3gpuE7ELNS1_3repE0EEENS1_30default_config_static_selectorELNS0_4arch9wavefront6targetE0EEEvT1_
; %bb.0:
	.section	.rodata,"a",@progbits
	.p2align	6, 0x0
	.amdhsa_kernel _ZN7rocprim17ROCPRIM_400000_NS6detail17trampoline_kernelINS0_14default_configENS1_27scan_by_key_config_selectorIssEEZZNS1_16scan_by_key_implILNS1_25lookback_scan_determinismE0ELb0ES3_N6thrust23THRUST_200600_302600_NS6detail15normal_iteratorINS9_10device_ptrIsEEEESE_SE_sNS9_4plusIsEE19head_flag_predicatesEE10hipError_tPvRmT2_T3_T4_T5_mT6_T7_P12ihipStream_tbENKUlT_T0_E_clISt17integral_constantIbLb0EESY_EEDaST_SU_EUlST_E_NS1_11comp_targetILNS1_3genE3ELNS1_11target_archE908ELNS1_3gpuE7ELNS1_3repE0EEENS1_30default_config_static_selectorELNS0_4arch9wavefront6targetE0EEEvT1_
		.amdhsa_group_segment_fixed_size 0
		.amdhsa_private_segment_fixed_size 0
		.amdhsa_kernarg_size 112
		.amdhsa_user_sgpr_count 6
		.amdhsa_user_sgpr_private_segment_buffer 1
		.amdhsa_user_sgpr_dispatch_ptr 0
		.amdhsa_user_sgpr_queue_ptr 0
		.amdhsa_user_sgpr_kernarg_segment_ptr 1
		.amdhsa_user_sgpr_dispatch_id 0
		.amdhsa_user_sgpr_flat_scratch_init 0
		.amdhsa_user_sgpr_private_segment_size 0
		.amdhsa_wavefront_size32 1
		.amdhsa_uses_dynamic_stack 0
		.amdhsa_system_sgpr_private_segment_wavefront_offset 0
		.amdhsa_system_sgpr_workgroup_id_x 1
		.amdhsa_system_sgpr_workgroup_id_y 0
		.amdhsa_system_sgpr_workgroup_id_z 0
		.amdhsa_system_sgpr_workgroup_info 0
		.amdhsa_system_vgpr_workitem_id 0
		.amdhsa_next_free_vgpr 1
		.amdhsa_next_free_sgpr 1
		.amdhsa_reserve_vcc 0
		.amdhsa_reserve_flat_scratch 0
		.amdhsa_float_round_mode_32 0
		.amdhsa_float_round_mode_16_64 0
		.amdhsa_float_denorm_mode_32 3
		.amdhsa_float_denorm_mode_16_64 3
		.amdhsa_dx10_clamp 1
		.amdhsa_ieee_mode 1
		.amdhsa_fp16_overflow 0
		.amdhsa_workgroup_processor_mode 1
		.amdhsa_memory_ordered 1
		.amdhsa_forward_progress 1
		.amdhsa_shared_vgpr_count 0
		.amdhsa_exception_fp_ieee_invalid_op 0
		.amdhsa_exception_fp_denorm_src 0
		.amdhsa_exception_fp_ieee_div_zero 0
		.amdhsa_exception_fp_ieee_overflow 0
		.amdhsa_exception_fp_ieee_underflow 0
		.amdhsa_exception_fp_ieee_inexact 0
		.amdhsa_exception_int_div_zero 0
	.end_amdhsa_kernel
	.section	.text._ZN7rocprim17ROCPRIM_400000_NS6detail17trampoline_kernelINS0_14default_configENS1_27scan_by_key_config_selectorIssEEZZNS1_16scan_by_key_implILNS1_25lookback_scan_determinismE0ELb0ES3_N6thrust23THRUST_200600_302600_NS6detail15normal_iteratorINS9_10device_ptrIsEEEESE_SE_sNS9_4plusIsEE19head_flag_predicatesEE10hipError_tPvRmT2_T3_T4_T5_mT6_T7_P12ihipStream_tbENKUlT_T0_E_clISt17integral_constantIbLb0EESY_EEDaST_SU_EUlST_E_NS1_11comp_targetILNS1_3genE3ELNS1_11target_archE908ELNS1_3gpuE7ELNS1_3repE0EEENS1_30default_config_static_selectorELNS0_4arch9wavefront6targetE0EEEvT1_,"axG",@progbits,_ZN7rocprim17ROCPRIM_400000_NS6detail17trampoline_kernelINS0_14default_configENS1_27scan_by_key_config_selectorIssEEZZNS1_16scan_by_key_implILNS1_25lookback_scan_determinismE0ELb0ES3_N6thrust23THRUST_200600_302600_NS6detail15normal_iteratorINS9_10device_ptrIsEEEESE_SE_sNS9_4plusIsEE19head_flag_predicatesEE10hipError_tPvRmT2_T3_T4_T5_mT6_T7_P12ihipStream_tbENKUlT_T0_E_clISt17integral_constantIbLb0EESY_EEDaST_SU_EUlST_E_NS1_11comp_targetILNS1_3genE3ELNS1_11target_archE908ELNS1_3gpuE7ELNS1_3repE0EEENS1_30default_config_static_selectorELNS0_4arch9wavefront6targetE0EEEvT1_,comdat
.Lfunc_end825:
	.size	_ZN7rocprim17ROCPRIM_400000_NS6detail17trampoline_kernelINS0_14default_configENS1_27scan_by_key_config_selectorIssEEZZNS1_16scan_by_key_implILNS1_25lookback_scan_determinismE0ELb0ES3_N6thrust23THRUST_200600_302600_NS6detail15normal_iteratorINS9_10device_ptrIsEEEESE_SE_sNS9_4plusIsEE19head_flag_predicatesEE10hipError_tPvRmT2_T3_T4_T5_mT6_T7_P12ihipStream_tbENKUlT_T0_E_clISt17integral_constantIbLb0EESY_EEDaST_SU_EUlST_E_NS1_11comp_targetILNS1_3genE3ELNS1_11target_archE908ELNS1_3gpuE7ELNS1_3repE0EEENS1_30default_config_static_selectorELNS0_4arch9wavefront6targetE0EEEvT1_, .Lfunc_end825-_ZN7rocprim17ROCPRIM_400000_NS6detail17trampoline_kernelINS0_14default_configENS1_27scan_by_key_config_selectorIssEEZZNS1_16scan_by_key_implILNS1_25lookback_scan_determinismE0ELb0ES3_N6thrust23THRUST_200600_302600_NS6detail15normal_iteratorINS9_10device_ptrIsEEEESE_SE_sNS9_4plusIsEE19head_flag_predicatesEE10hipError_tPvRmT2_T3_T4_T5_mT6_T7_P12ihipStream_tbENKUlT_T0_E_clISt17integral_constantIbLb0EESY_EEDaST_SU_EUlST_E_NS1_11comp_targetILNS1_3genE3ELNS1_11target_archE908ELNS1_3gpuE7ELNS1_3repE0EEENS1_30default_config_static_selectorELNS0_4arch9wavefront6targetE0EEEvT1_
                                        ; -- End function
	.set _ZN7rocprim17ROCPRIM_400000_NS6detail17trampoline_kernelINS0_14default_configENS1_27scan_by_key_config_selectorIssEEZZNS1_16scan_by_key_implILNS1_25lookback_scan_determinismE0ELb0ES3_N6thrust23THRUST_200600_302600_NS6detail15normal_iteratorINS9_10device_ptrIsEEEESE_SE_sNS9_4plusIsEE19head_flag_predicatesEE10hipError_tPvRmT2_T3_T4_T5_mT6_T7_P12ihipStream_tbENKUlT_T0_E_clISt17integral_constantIbLb0EESY_EEDaST_SU_EUlST_E_NS1_11comp_targetILNS1_3genE3ELNS1_11target_archE908ELNS1_3gpuE7ELNS1_3repE0EEENS1_30default_config_static_selectorELNS0_4arch9wavefront6targetE0EEEvT1_.num_vgpr, 0
	.set _ZN7rocprim17ROCPRIM_400000_NS6detail17trampoline_kernelINS0_14default_configENS1_27scan_by_key_config_selectorIssEEZZNS1_16scan_by_key_implILNS1_25lookback_scan_determinismE0ELb0ES3_N6thrust23THRUST_200600_302600_NS6detail15normal_iteratorINS9_10device_ptrIsEEEESE_SE_sNS9_4plusIsEE19head_flag_predicatesEE10hipError_tPvRmT2_T3_T4_T5_mT6_T7_P12ihipStream_tbENKUlT_T0_E_clISt17integral_constantIbLb0EESY_EEDaST_SU_EUlST_E_NS1_11comp_targetILNS1_3genE3ELNS1_11target_archE908ELNS1_3gpuE7ELNS1_3repE0EEENS1_30default_config_static_selectorELNS0_4arch9wavefront6targetE0EEEvT1_.num_agpr, 0
	.set _ZN7rocprim17ROCPRIM_400000_NS6detail17trampoline_kernelINS0_14default_configENS1_27scan_by_key_config_selectorIssEEZZNS1_16scan_by_key_implILNS1_25lookback_scan_determinismE0ELb0ES3_N6thrust23THRUST_200600_302600_NS6detail15normal_iteratorINS9_10device_ptrIsEEEESE_SE_sNS9_4plusIsEE19head_flag_predicatesEE10hipError_tPvRmT2_T3_T4_T5_mT6_T7_P12ihipStream_tbENKUlT_T0_E_clISt17integral_constantIbLb0EESY_EEDaST_SU_EUlST_E_NS1_11comp_targetILNS1_3genE3ELNS1_11target_archE908ELNS1_3gpuE7ELNS1_3repE0EEENS1_30default_config_static_selectorELNS0_4arch9wavefront6targetE0EEEvT1_.numbered_sgpr, 0
	.set _ZN7rocprim17ROCPRIM_400000_NS6detail17trampoline_kernelINS0_14default_configENS1_27scan_by_key_config_selectorIssEEZZNS1_16scan_by_key_implILNS1_25lookback_scan_determinismE0ELb0ES3_N6thrust23THRUST_200600_302600_NS6detail15normal_iteratorINS9_10device_ptrIsEEEESE_SE_sNS9_4plusIsEE19head_flag_predicatesEE10hipError_tPvRmT2_T3_T4_T5_mT6_T7_P12ihipStream_tbENKUlT_T0_E_clISt17integral_constantIbLb0EESY_EEDaST_SU_EUlST_E_NS1_11comp_targetILNS1_3genE3ELNS1_11target_archE908ELNS1_3gpuE7ELNS1_3repE0EEENS1_30default_config_static_selectorELNS0_4arch9wavefront6targetE0EEEvT1_.num_named_barrier, 0
	.set _ZN7rocprim17ROCPRIM_400000_NS6detail17trampoline_kernelINS0_14default_configENS1_27scan_by_key_config_selectorIssEEZZNS1_16scan_by_key_implILNS1_25lookback_scan_determinismE0ELb0ES3_N6thrust23THRUST_200600_302600_NS6detail15normal_iteratorINS9_10device_ptrIsEEEESE_SE_sNS9_4plusIsEE19head_flag_predicatesEE10hipError_tPvRmT2_T3_T4_T5_mT6_T7_P12ihipStream_tbENKUlT_T0_E_clISt17integral_constantIbLb0EESY_EEDaST_SU_EUlST_E_NS1_11comp_targetILNS1_3genE3ELNS1_11target_archE908ELNS1_3gpuE7ELNS1_3repE0EEENS1_30default_config_static_selectorELNS0_4arch9wavefront6targetE0EEEvT1_.private_seg_size, 0
	.set _ZN7rocprim17ROCPRIM_400000_NS6detail17trampoline_kernelINS0_14default_configENS1_27scan_by_key_config_selectorIssEEZZNS1_16scan_by_key_implILNS1_25lookback_scan_determinismE0ELb0ES3_N6thrust23THRUST_200600_302600_NS6detail15normal_iteratorINS9_10device_ptrIsEEEESE_SE_sNS9_4plusIsEE19head_flag_predicatesEE10hipError_tPvRmT2_T3_T4_T5_mT6_T7_P12ihipStream_tbENKUlT_T0_E_clISt17integral_constantIbLb0EESY_EEDaST_SU_EUlST_E_NS1_11comp_targetILNS1_3genE3ELNS1_11target_archE908ELNS1_3gpuE7ELNS1_3repE0EEENS1_30default_config_static_selectorELNS0_4arch9wavefront6targetE0EEEvT1_.uses_vcc, 0
	.set _ZN7rocprim17ROCPRIM_400000_NS6detail17trampoline_kernelINS0_14default_configENS1_27scan_by_key_config_selectorIssEEZZNS1_16scan_by_key_implILNS1_25lookback_scan_determinismE0ELb0ES3_N6thrust23THRUST_200600_302600_NS6detail15normal_iteratorINS9_10device_ptrIsEEEESE_SE_sNS9_4plusIsEE19head_flag_predicatesEE10hipError_tPvRmT2_T3_T4_T5_mT6_T7_P12ihipStream_tbENKUlT_T0_E_clISt17integral_constantIbLb0EESY_EEDaST_SU_EUlST_E_NS1_11comp_targetILNS1_3genE3ELNS1_11target_archE908ELNS1_3gpuE7ELNS1_3repE0EEENS1_30default_config_static_selectorELNS0_4arch9wavefront6targetE0EEEvT1_.uses_flat_scratch, 0
	.set _ZN7rocprim17ROCPRIM_400000_NS6detail17trampoline_kernelINS0_14default_configENS1_27scan_by_key_config_selectorIssEEZZNS1_16scan_by_key_implILNS1_25lookback_scan_determinismE0ELb0ES3_N6thrust23THRUST_200600_302600_NS6detail15normal_iteratorINS9_10device_ptrIsEEEESE_SE_sNS9_4plusIsEE19head_flag_predicatesEE10hipError_tPvRmT2_T3_T4_T5_mT6_T7_P12ihipStream_tbENKUlT_T0_E_clISt17integral_constantIbLb0EESY_EEDaST_SU_EUlST_E_NS1_11comp_targetILNS1_3genE3ELNS1_11target_archE908ELNS1_3gpuE7ELNS1_3repE0EEENS1_30default_config_static_selectorELNS0_4arch9wavefront6targetE0EEEvT1_.has_dyn_sized_stack, 0
	.set _ZN7rocprim17ROCPRIM_400000_NS6detail17trampoline_kernelINS0_14default_configENS1_27scan_by_key_config_selectorIssEEZZNS1_16scan_by_key_implILNS1_25lookback_scan_determinismE0ELb0ES3_N6thrust23THRUST_200600_302600_NS6detail15normal_iteratorINS9_10device_ptrIsEEEESE_SE_sNS9_4plusIsEE19head_flag_predicatesEE10hipError_tPvRmT2_T3_T4_T5_mT6_T7_P12ihipStream_tbENKUlT_T0_E_clISt17integral_constantIbLb0EESY_EEDaST_SU_EUlST_E_NS1_11comp_targetILNS1_3genE3ELNS1_11target_archE908ELNS1_3gpuE7ELNS1_3repE0EEENS1_30default_config_static_selectorELNS0_4arch9wavefront6targetE0EEEvT1_.has_recursion, 0
	.set _ZN7rocprim17ROCPRIM_400000_NS6detail17trampoline_kernelINS0_14default_configENS1_27scan_by_key_config_selectorIssEEZZNS1_16scan_by_key_implILNS1_25lookback_scan_determinismE0ELb0ES3_N6thrust23THRUST_200600_302600_NS6detail15normal_iteratorINS9_10device_ptrIsEEEESE_SE_sNS9_4plusIsEE19head_flag_predicatesEE10hipError_tPvRmT2_T3_T4_T5_mT6_T7_P12ihipStream_tbENKUlT_T0_E_clISt17integral_constantIbLb0EESY_EEDaST_SU_EUlST_E_NS1_11comp_targetILNS1_3genE3ELNS1_11target_archE908ELNS1_3gpuE7ELNS1_3repE0EEENS1_30default_config_static_selectorELNS0_4arch9wavefront6targetE0EEEvT1_.has_indirect_call, 0
	.section	.AMDGPU.csdata,"",@progbits
; Kernel info:
; codeLenInByte = 0
; TotalNumSgprs: 0
; NumVgprs: 0
; ScratchSize: 0
; MemoryBound: 0
; FloatMode: 240
; IeeeMode: 1
; LDSByteSize: 0 bytes/workgroup (compile time only)
; SGPRBlocks: 0
; VGPRBlocks: 0
; NumSGPRsForWavesPerEU: 1
; NumVGPRsForWavesPerEU: 1
; Occupancy: 16
; WaveLimiterHint : 0
; COMPUTE_PGM_RSRC2:SCRATCH_EN: 0
; COMPUTE_PGM_RSRC2:USER_SGPR: 6
; COMPUTE_PGM_RSRC2:TRAP_HANDLER: 0
; COMPUTE_PGM_RSRC2:TGID_X_EN: 1
; COMPUTE_PGM_RSRC2:TGID_Y_EN: 0
; COMPUTE_PGM_RSRC2:TGID_Z_EN: 0
; COMPUTE_PGM_RSRC2:TIDIG_COMP_CNT: 0
	.section	.text._ZN7rocprim17ROCPRIM_400000_NS6detail17trampoline_kernelINS0_14default_configENS1_27scan_by_key_config_selectorIssEEZZNS1_16scan_by_key_implILNS1_25lookback_scan_determinismE0ELb0ES3_N6thrust23THRUST_200600_302600_NS6detail15normal_iteratorINS9_10device_ptrIsEEEESE_SE_sNS9_4plusIsEE19head_flag_predicatesEE10hipError_tPvRmT2_T3_T4_T5_mT6_T7_P12ihipStream_tbENKUlT_T0_E_clISt17integral_constantIbLb0EESY_EEDaST_SU_EUlST_E_NS1_11comp_targetILNS1_3genE2ELNS1_11target_archE906ELNS1_3gpuE6ELNS1_3repE0EEENS1_30default_config_static_selectorELNS0_4arch9wavefront6targetE0EEEvT1_,"axG",@progbits,_ZN7rocprim17ROCPRIM_400000_NS6detail17trampoline_kernelINS0_14default_configENS1_27scan_by_key_config_selectorIssEEZZNS1_16scan_by_key_implILNS1_25lookback_scan_determinismE0ELb0ES3_N6thrust23THRUST_200600_302600_NS6detail15normal_iteratorINS9_10device_ptrIsEEEESE_SE_sNS9_4plusIsEE19head_flag_predicatesEE10hipError_tPvRmT2_T3_T4_T5_mT6_T7_P12ihipStream_tbENKUlT_T0_E_clISt17integral_constantIbLb0EESY_EEDaST_SU_EUlST_E_NS1_11comp_targetILNS1_3genE2ELNS1_11target_archE906ELNS1_3gpuE6ELNS1_3repE0EEENS1_30default_config_static_selectorELNS0_4arch9wavefront6targetE0EEEvT1_,comdat
	.protected	_ZN7rocprim17ROCPRIM_400000_NS6detail17trampoline_kernelINS0_14default_configENS1_27scan_by_key_config_selectorIssEEZZNS1_16scan_by_key_implILNS1_25lookback_scan_determinismE0ELb0ES3_N6thrust23THRUST_200600_302600_NS6detail15normal_iteratorINS9_10device_ptrIsEEEESE_SE_sNS9_4plusIsEE19head_flag_predicatesEE10hipError_tPvRmT2_T3_T4_T5_mT6_T7_P12ihipStream_tbENKUlT_T0_E_clISt17integral_constantIbLb0EESY_EEDaST_SU_EUlST_E_NS1_11comp_targetILNS1_3genE2ELNS1_11target_archE906ELNS1_3gpuE6ELNS1_3repE0EEENS1_30default_config_static_selectorELNS0_4arch9wavefront6targetE0EEEvT1_ ; -- Begin function _ZN7rocprim17ROCPRIM_400000_NS6detail17trampoline_kernelINS0_14default_configENS1_27scan_by_key_config_selectorIssEEZZNS1_16scan_by_key_implILNS1_25lookback_scan_determinismE0ELb0ES3_N6thrust23THRUST_200600_302600_NS6detail15normal_iteratorINS9_10device_ptrIsEEEESE_SE_sNS9_4plusIsEE19head_flag_predicatesEE10hipError_tPvRmT2_T3_T4_T5_mT6_T7_P12ihipStream_tbENKUlT_T0_E_clISt17integral_constantIbLb0EESY_EEDaST_SU_EUlST_E_NS1_11comp_targetILNS1_3genE2ELNS1_11target_archE906ELNS1_3gpuE6ELNS1_3repE0EEENS1_30default_config_static_selectorELNS0_4arch9wavefront6targetE0EEEvT1_
	.globl	_ZN7rocprim17ROCPRIM_400000_NS6detail17trampoline_kernelINS0_14default_configENS1_27scan_by_key_config_selectorIssEEZZNS1_16scan_by_key_implILNS1_25lookback_scan_determinismE0ELb0ES3_N6thrust23THRUST_200600_302600_NS6detail15normal_iteratorINS9_10device_ptrIsEEEESE_SE_sNS9_4plusIsEE19head_flag_predicatesEE10hipError_tPvRmT2_T3_T4_T5_mT6_T7_P12ihipStream_tbENKUlT_T0_E_clISt17integral_constantIbLb0EESY_EEDaST_SU_EUlST_E_NS1_11comp_targetILNS1_3genE2ELNS1_11target_archE906ELNS1_3gpuE6ELNS1_3repE0EEENS1_30default_config_static_selectorELNS0_4arch9wavefront6targetE0EEEvT1_
	.p2align	8
	.type	_ZN7rocprim17ROCPRIM_400000_NS6detail17trampoline_kernelINS0_14default_configENS1_27scan_by_key_config_selectorIssEEZZNS1_16scan_by_key_implILNS1_25lookback_scan_determinismE0ELb0ES3_N6thrust23THRUST_200600_302600_NS6detail15normal_iteratorINS9_10device_ptrIsEEEESE_SE_sNS9_4plusIsEE19head_flag_predicatesEE10hipError_tPvRmT2_T3_T4_T5_mT6_T7_P12ihipStream_tbENKUlT_T0_E_clISt17integral_constantIbLb0EESY_EEDaST_SU_EUlST_E_NS1_11comp_targetILNS1_3genE2ELNS1_11target_archE906ELNS1_3gpuE6ELNS1_3repE0EEENS1_30default_config_static_selectorELNS0_4arch9wavefront6targetE0EEEvT1_,@function
_ZN7rocprim17ROCPRIM_400000_NS6detail17trampoline_kernelINS0_14default_configENS1_27scan_by_key_config_selectorIssEEZZNS1_16scan_by_key_implILNS1_25lookback_scan_determinismE0ELb0ES3_N6thrust23THRUST_200600_302600_NS6detail15normal_iteratorINS9_10device_ptrIsEEEESE_SE_sNS9_4plusIsEE19head_flag_predicatesEE10hipError_tPvRmT2_T3_T4_T5_mT6_T7_P12ihipStream_tbENKUlT_T0_E_clISt17integral_constantIbLb0EESY_EEDaST_SU_EUlST_E_NS1_11comp_targetILNS1_3genE2ELNS1_11target_archE906ELNS1_3gpuE6ELNS1_3repE0EEENS1_30default_config_static_selectorELNS0_4arch9wavefront6targetE0EEEvT1_: ; @_ZN7rocprim17ROCPRIM_400000_NS6detail17trampoline_kernelINS0_14default_configENS1_27scan_by_key_config_selectorIssEEZZNS1_16scan_by_key_implILNS1_25lookback_scan_determinismE0ELb0ES3_N6thrust23THRUST_200600_302600_NS6detail15normal_iteratorINS9_10device_ptrIsEEEESE_SE_sNS9_4plusIsEE19head_flag_predicatesEE10hipError_tPvRmT2_T3_T4_T5_mT6_T7_P12ihipStream_tbENKUlT_T0_E_clISt17integral_constantIbLb0EESY_EEDaST_SU_EUlST_E_NS1_11comp_targetILNS1_3genE2ELNS1_11target_archE906ELNS1_3gpuE6ELNS1_3repE0EEENS1_30default_config_static_selectorELNS0_4arch9wavefront6targetE0EEEvT1_
; %bb.0:
	.section	.rodata,"a",@progbits
	.p2align	6, 0x0
	.amdhsa_kernel _ZN7rocprim17ROCPRIM_400000_NS6detail17trampoline_kernelINS0_14default_configENS1_27scan_by_key_config_selectorIssEEZZNS1_16scan_by_key_implILNS1_25lookback_scan_determinismE0ELb0ES3_N6thrust23THRUST_200600_302600_NS6detail15normal_iteratorINS9_10device_ptrIsEEEESE_SE_sNS9_4plusIsEE19head_flag_predicatesEE10hipError_tPvRmT2_T3_T4_T5_mT6_T7_P12ihipStream_tbENKUlT_T0_E_clISt17integral_constantIbLb0EESY_EEDaST_SU_EUlST_E_NS1_11comp_targetILNS1_3genE2ELNS1_11target_archE906ELNS1_3gpuE6ELNS1_3repE0EEENS1_30default_config_static_selectorELNS0_4arch9wavefront6targetE0EEEvT1_
		.amdhsa_group_segment_fixed_size 0
		.amdhsa_private_segment_fixed_size 0
		.amdhsa_kernarg_size 112
		.amdhsa_user_sgpr_count 6
		.amdhsa_user_sgpr_private_segment_buffer 1
		.amdhsa_user_sgpr_dispatch_ptr 0
		.amdhsa_user_sgpr_queue_ptr 0
		.amdhsa_user_sgpr_kernarg_segment_ptr 1
		.amdhsa_user_sgpr_dispatch_id 0
		.amdhsa_user_sgpr_flat_scratch_init 0
		.amdhsa_user_sgpr_private_segment_size 0
		.amdhsa_wavefront_size32 1
		.amdhsa_uses_dynamic_stack 0
		.amdhsa_system_sgpr_private_segment_wavefront_offset 0
		.amdhsa_system_sgpr_workgroup_id_x 1
		.amdhsa_system_sgpr_workgroup_id_y 0
		.amdhsa_system_sgpr_workgroup_id_z 0
		.amdhsa_system_sgpr_workgroup_info 0
		.amdhsa_system_vgpr_workitem_id 0
		.amdhsa_next_free_vgpr 1
		.amdhsa_next_free_sgpr 1
		.amdhsa_reserve_vcc 0
		.amdhsa_reserve_flat_scratch 0
		.amdhsa_float_round_mode_32 0
		.amdhsa_float_round_mode_16_64 0
		.amdhsa_float_denorm_mode_32 3
		.amdhsa_float_denorm_mode_16_64 3
		.amdhsa_dx10_clamp 1
		.amdhsa_ieee_mode 1
		.amdhsa_fp16_overflow 0
		.amdhsa_workgroup_processor_mode 1
		.amdhsa_memory_ordered 1
		.amdhsa_forward_progress 1
		.amdhsa_shared_vgpr_count 0
		.amdhsa_exception_fp_ieee_invalid_op 0
		.amdhsa_exception_fp_denorm_src 0
		.amdhsa_exception_fp_ieee_div_zero 0
		.amdhsa_exception_fp_ieee_overflow 0
		.amdhsa_exception_fp_ieee_underflow 0
		.amdhsa_exception_fp_ieee_inexact 0
		.amdhsa_exception_int_div_zero 0
	.end_amdhsa_kernel
	.section	.text._ZN7rocprim17ROCPRIM_400000_NS6detail17trampoline_kernelINS0_14default_configENS1_27scan_by_key_config_selectorIssEEZZNS1_16scan_by_key_implILNS1_25lookback_scan_determinismE0ELb0ES3_N6thrust23THRUST_200600_302600_NS6detail15normal_iteratorINS9_10device_ptrIsEEEESE_SE_sNS9_4plusIsEE19head_flag_predicatesEE10hipError_tPvRmT2_T3_T4_T5_mT6_T7_P12ihipStream_tbENKUlT_T0_E_clISt17integral_constantIbLb0EESY_EEDaST_SU_EUlST_E_NS1_11comp_targetILNS1_3genE2ELNS1_11target_archE906ELNS1_3gpuE6ELNS1_3repE0EEENS1_30default_config_static_selectorELNS0_4arch9wavefront6targetE0EEEvT1_,"axG",@progbits,_ZN7rocprim17ROCPRIM_400000_NS6detail17trampoline_kernelINS0_14default_configENS1_27scan_by_key_config_selectorIssEEZZNS1_16scan_by_key_implILNS1_25lookback_scan_determinismE0ELb0ES3_N6thrust23THRUST_200600_302600_NS6detail15normal_iteratorINS9_10device_ptrIsEEEESE_SE_sNS9_4plusIsEE19head_flag_predicatesEE10hipError_tPvRmT2_T3_T4_T5_mT6_T7_P12ihipStream_tbENKUlT_T0_E_clISt17integral_constantIbLb0EESY_EEDaST_SU_EUlST_E_NS1_11comp_targetILNS1_3genE2ELNS1_11target_archE906ELNS1_3gpuE6ELNS1_3repE0EEENS1_30default_config_static_selectorELNS0_4arch9wavefront6targetE0EEEvT1_,comdat
.Lfunc_end826:
	.size	_ZN7rocprim17ROCPRIM_400000_NS6detail17trampoline_kernelINS0_14default_configENS1_27scan_by_key_config_selectorIssEEZZNS1_16scan_by_key_implILNS1_25lookback_scan_determinismE0ELb0ES3_N6thrust23THRUST_200600_302600_NS6detail15normal_iteratorINS9_10device_ptrIsEEEESE_SE_sNS9_4plusIsEE19head_flag_predicatesEE10hipError_tPvRmT2_T3_T4_T5_mT6_T7_P12ihipStream_tbENKUlT_T0_E_clISt17integral_constantIbLb0EESY_EEDaST_SU_EUlST_E_NS1_11comp_targetILNS1_3genE2ELNS1_11target_archE906ELNS1_3gpuE6ELNS1_3repE0EEENS1_30default_config_static_selectorELNS0_4arch9wavefront6targetE0EEEvT1_, .Lfunc_end826-_ZN7rocprim17ROCPRIM_400000_NS6detail17trampoline_kernelINS0_14default_configENS1_27scan_by_key_config_selectorIssEEZZNS1_16scan_by_key_implILNS1_25lookback_scan_determinismE0ELb0ES3_N6thrust23THRUST_200600_302600_NS6detail15normal_iteratorINS9_10device_ptrIsEEEESE_SE_sNS9_4plusIsEE19head_flag_predicatesEE10hipError_tPvRmT2_T3_T4_T5_mT6_T7_P12ihipStream_tbENKUlT_T0_E_clISt17integral_constantIbLb0EESY_EEDaST_SU_EUlST_E_NS1_11comp_targetILNS1_3genE2ELNS1_11target_archE906ELNS1_3gpuE6ELNS1_3repE0EEENS1_30default_config_static_selectorELNS0_4arch9wavefront6targetE0EEEvT1_
                                        ; -- End function
	.set _ZN7rocprim17ROCPRIM_400000_NS6detail17trampoline_kernelINS0_14default_configENS1_27scan_by_key_config_selectorIssEEZZNS1_16scan_by_key_implILNS1_25lookback_scan_determinismE0ELb0ES3_N6thrust23THRUST_200600_302600_NS6detail15normal_iteratorINS9_10device_ptrIsEEEESE_SE_sNS9_4plusIsEE19head_flag_predicatesEE10hipError_tPvRmT2_T3_T4_T5_mT6_T7_P12ihipStream_tbENKUlT_T0_E_clISt17integral_constantIbLb0EESY_EEDaST_SU_EUlST_E_NS1_11comp_targetILNS1_3genE2ELNS1_11target_archE906ELNS1_3gpuE6ELNS1_3repE0EEENS1_30default_config_static_selectorELNS0_4arch9wavefront6targetE0EEEvT1_.num_vgpr, 0
	.set _ZN7rocprim17ROCPRIM_400000_NS6detail17trampoline_kernelINS0_14default_configENS1_27scan_by_key_config_selectorIssEEZZNS1_16scan_by_key_implILNS1_25lookback_scan_determinismE0ELb0ES3_N6thrust23THRUST_200600_302600_NS6detail15normal_iteratorINS9_10device_ptrIsEEEESE_SE_sNS9_4plusIsEE19head_flag_predicatesEE10hipError_tPvRmT2_T3_T4_T5_mT6_T7_P12ihipStream_tbENKUlT_T0_E_clISt17integral_constantIbLb0EESY_EEDaST_SU_EUlST_E_NS1_11comp_targetILNS1_3genE2ELNS1_11target_archE906ELNS1_3gpuE6ELNS1_3repE0EEENS1_30default_config_static_selectorELNS0_4arch9wavefront6targetE0EEEvT1_.num_agpr, 0
	.set _ZN7rocprim17ROCPRIM_400000_NS6detail17trampoline_kernelINS0_14default_configENS1_27scan_by_key_config_selectorIssEEZZNS1_16scan_by_key_implILNS1_25lookback_scan_determinismE0ELb0ES3_N6thrust23THRUST_200600_302600_NS6detail15normal_iteratorINS9_10device_ptrIsEEEESE_SE_sNS9_4plusIsEE19head_flag_predicatesEE10hipError_tPvRmT2_T3_T4_T5_mT6_T7_P12ihipStream_tbENKUlT_T0_E_clISt17integral_constantIbLb0EESY_EEDaST_SU_EUlST_E_NS1_11comp_targetILNS1_3genE2ELNS1_11target_archE906ELNS1_3gpuE6ELNS1_3repE0EEENS1_30default_config_static_selectorELNS0_4arch9wavefront6targetE0EEEvT1_.numbered_sgpr, 0
	.set _ZN7rocprim17ROCPRIM_400000_NS6detail17trampoline_kernelINS0_14default_configENS1_27scan_by_key_config_selectorIssEEZZNS1_16scan_by_key_implILNS1_25lookback_scan_determinismE0ELb0ES3_N6thrust23THRUST_200600_302600_NS6detail15normal_iteratorINS9_10device_ptrIsEEEESE_SE_sNS9_4plusIsEE19head_flag_predicatesEE10hipError_tPvRmT2_T3_T4_T5_mT6_T7_P12ihipStream_tbENKUlT_T0_E_clISt17integral_constantIbLb0EESY_EEDaST_SU_EUlST_E_NS1_11comp_targetILNS1_3genE2ELNS1_11target_archE906ELNS1_3gpuE6ELNS1_3repE0EEENS1_30default_config_static_selectorELNS0_4arch9wavefront6targetE0EEEvT1_.num_named_barrier, 0
	.set _ZN7rocprim17ROCPRIM_400000_NS6detail17trampoline_kernelINS0_14default_configENS1_27scan_by_key_config_selectorIssEEZZNS1_16scan_by_key_implILNS1_25lookback_scan_determinismE0ELb0ES3_N6thrust23THRUST_200600_302600_NS6detail15normal_iteratorINS9_10device_ptrIsEEEESE_SE_sNS9_4plusIsEE19head_flag_predicatesEE10hipError_tPvRmT2_T3_T4_T5_mT6_T7_P12ihipStream_tbENKUlT_T0_E_clISt17integral_constantIbLb0EESY_EEDaST_SU_EUlST_E_NS1_11comp_targetILNS1_3genE2ELNS1_11target_archE906ELNS1_3gpuE6ELNS1_3repE0EEENS1_30default_config_static_selectorELNS0_4arch9wavefront6targetE0EEEvT1_.private_seg_size, 0
	.set _ZN7rocprim17ROCPRIM_400000_NS6detail17trampoline_kernelINS0_14default_configENS1_27scan_by_key_config_selectorIssEEZZNS1_16scan_by_key_implILNS1_25lookback_scan_determinismE0ELb0ES3_N6thrust23THRUST_200600_302600_NS6detail15normal_iteratorINS9_10device_ptrIsEEEESE_SE_sNS9_4plusIsEE19head_flag_predicatesEE10hipError_tPvRmT2_T3_T4_T5_mT6_T7_P12ihipStream_tbENKUlT_T0_E_clISt17integral_constantIbLb0EESY_EEDaST_SU_EUlST_E_NS1_11comp_targetILNS1_3genE2ELNS1_11target_archE906ELNS1_3gpuE6ELNS1_3repE0EEENS1_30default_config_static_selectorELNS0_4arch9wavefront6targetE0EEEvT1_.uses_vcc, 0
	.set _ZN7rocprim17ROCPRIM_400000_NS6detail17trampoline_kernelINS0_14default_configENS1_27scan_by_key_config_selectorIssEEZZNS1_16scan_by_key_implILNS1_25lookback_scan_determinismE0ELb0ES3_N6thrust23THRUST_200600_302600_NS6detail15normal_iteratorINS9_10device_ptrIsEEEESE_SE_sNS9_4plusIsEE19head_flag_predicatesEE10hipError_tPvRmT2_T3_T4_T5_mT6_T7_P12ihipStream_tbENKUlT_T0_E_clISt17integral_constantIbLb0EESY_EEDaST_SU_EUlST_E_NS1_11comp_targetILNS1_3genE2ELNS1_11target_archE906ELNS1_3gpuE6ELNS1_3repE0EEENS1_30default_config_static_selectorELNS0_4arch9wavefront6targetE0EEEvT1_.uses_flat_scratch, 0
	.set _ZN7rocprim17ROCPRIM_400000_NS6detail17trampoline_kernelINS0_14default_configENS1_27scan_by_key_config_selectorIssEEZZNS1_16scan_by_key_implILNS1_25lookback_scan_determinismE0ELb0ES3_N6thrust23THRUST_200600_302600_NS6detail15normal_iteratorINS9_10device_ptrIsEEEESE_SE_sNS9_4plusIsEE19head_flag_predicatesEE10hipError_tPvRmT2_T3_T4_T5_mT6_T7_P12ihipStream_tbENKUlT_T0_E_clISt17integral_constantIbLb0EESY_EEDaST_SU_EUlST_E_NS1_11comp_targetILNS1_3genE2ELNS1_11target_archE906ELNS1_3gpuE6ELNS1_3repE0EEENS1_30default_config_static_selectorELNS0_4arch9wavefront6targetE0EEEvT1_.has_dyn_sized_stack, 0
	.set _ZN7rocprim17ROCPRIM_400000_NS6detail17trampoline_kernelINS0_14default_configENS1_27scan_by_key_config_selectorIssEEZZNS1_16scan_by_key_implILNS1_25lookback_scan_determinismE0ELb0ES3_N6thrust23THRUST_200600_302600_NS6detail15normal_iteratorINS9_10device_ptrIsEEEESE_SE_sNS9_4plusIsEE19head_flag_predicatesEE10hipError_tPvRmT2_T3_T4_T5_mT6_T7_P12ihipStream_tbENKUlT_T0_E_clISt17integral_constantIbLb0EESY_EEDaST_SU_EUlST_E_NS1_11comp_targetILNS1_3genE2ELNS1_11target_archE906ELNS1_3gpuE6ELNS1_3repE0EEENS1_30default_config_static_selectorELNS0_4arch9wavefront6targetE0EEEvT1_.has_recursion, 0
	.set _ZN7rocprim17ROCPRIM_400000_NS6detail17trampoline_kernelINS0_14default_configENS1_27scan_by_key_config_selectorIssEEZZNS1_16scan_by_key_implILNS1_25lookback_scan_determinismE0ELb0ES3_N6thrust23THRUST_200600_302600_NS6detail15normal_iteratorINS9_10device_ptrIsEEEESE_SE_sNS9_4plusIsEE19head_flag_predicatesEE10hipError_tPvRmT2_T3_T4_T5_mT6_T7_P12ihipStream_tbENKUlT_T0_E_clISt17integral_constantIbLb0EESY_EEDaST_SU_EUlST_E_NS1_11comp_targetILNS1_3genE2ELNS1_11target_archE906ELNS1_3gpuE6ELNS1_3repE0EEENS1_30default_config_static_selectorELNS0_4arch9wavefront6targetE0EEEvT1_.has_indirect_call, 0
	.section	.AMDGPU.csdata,"",@progbits
; Kernel info:
; codeLenInByte = 0
; TotalNumSgprs: 0
; NumVgprs: 0
; ScratchSize: 0
; MemoryBound: 0
; FloatMode: 240
; IeeeMode: 1
; LDSByteSize: 0 bytes/workgroup (compile time only)
; SGPRBlocks: 0
; VGPRBlocks: 0
; NumSGPRsForWavesPerEU: 1
; NumVGPRsForWavesPerEU: 1
; Occupancy: 16
; WaveLimiterHint : 0
; COMPUTE_PGM_RSRC2:SCRATCH_EN: 0
; COMPUTE_PGM_RSRC2:USER_SGPR: 6
; COMPUTE_PGM_RSRC2:TRAP_HANDLER: 0
; COMPUTE_PGM_RSRC2:TGID_X_EN: 1
; COMPUTE_PGM_RSRC2:TGID_Y_EN: 0
; COMPUTE_PGM_RSRC2:TGID_Z_EN: 0
; COMPUTE_PGM_RSRC2:TIDIG_COMP_CNT: 0
	.section	.text._ZN7rocprim17ROCPRIM_400000_NS6detail17trampoline_kernelINS0_14default_configENS1_27scan_by_key_config_selectorIssEEZZNS1_16scan_by_key_implILNS1_25lookback_scan_determinismE0ELb0ES3_N6thrust23THRUST_200600_302600_NS6detail15normal_iteratorINS9_10device_ptrIsEEEESE_SE_sNS9_4plusIsEE19head_flag_predicatesEE10hipError_tPvRmT2_T3_T4_T5_mT6_T7_P12ihipStream_tbENKUlT_T0_E_clISt17integral_constantIbLb0EESY_EEDaST_SU_EUlST_E_NS1_11comp_targetILNS1_3genE10ELNS1_11target_archE1200ELNS1_3gpuE4ELNS1_3repE0EEENS1_30default_config_static_selectorELNS0_4arch9wavefront6targetE0EEEvT1_,"axG",@progbits,_ZN7rocprim17ROCPRIM_400000_NS6detail17trampoline_kernelINS0_14default_configENS1_27scan_by_key_config_selectorIssEEZZNS1_16scan_by_key_implILNS1_25lookback_scan_determinismE0ELb0ES3_N6thrust23THRUST_200600_302600_NS6detail15normal_iteratorINS9_10device_ptrIsEEEESE_SE_sNS9_4plusIsEE19head_flag_predicatesEE10hipError_tPvRmT2_T3_T4_T5_mT6_T7_P12ihipStream_tbENKUlT_T0_E_clISt17integral_constantIbLb0EESY_EEDaST_SU_EUlST_E_NS1_11comp_targetILNS1_3genE10ELNS1_11target_archE1200ELNS1_3gpuE4ELNS1_3repE0EEENS1_30default_config_static_selectorELNS0_4arch9wavefront6targetE0EEEvT1_,comdat
	.protected	_ZN7rocprim17ROCPRIM_400000_NS6detail17trampoline_kernelINS0_14default_configENS1_27scan_by_key_config_selectorIssEEZZNS1_16scan_by_key_implILNS1_25lookback_scan_determinismE0ELb0ES3_N6thrust23THRUST_200600_302600_NS6detail15normal_iteratorINS9_10device_ptrIsEEEESE_SE_sNS9_4plusIsEE19head_flag_predicatesEE10hipError_tPvRmT2_T3_T4_T5_mT6_T7_P12ihipStream_tbENKUlT_T0_E_clISt17integral_constantIbLb0EESY_EEDaST_SU_EUlST_E_NS1_11comp_targetILNS1_3genE10ELNS1_11target_archE1200ELNS1_3gpuE4ELNS1_3repE0EEENS1_30default_config_static_selectorELNS0_4arch9wavefront6targetE0EEEvT1_ ; -- Begin function _ZN7rocprim17ROCPRIM_400000_NS6detail17trampoline_kernelINS0_14default_configENS1_27scan_by_key_config_selectorIssEEZZNS1_16scan_by_key_implILNS1_25lookback_scan_determinismE0ELb0ES3_N6thrust23THRUST_200600_302600_NS6detail15normal_iteratorINS9_10device_ptrIsEEEESE_SE_sNS9_4plusIsEE19head_flag_predicatesEE10hipError_tPvRmT2_T3_T4_T5_mT6_T7_P12ihipStream_tbENKUlT_T0_E_clISt17integral_constantIbLb0EESY_EEDaST_SU_EUlST_E_NS1_11comp_targetILNS1_3genE10ELNS1_11target_archE1200ELNS1_3gpuE4ELNS1_3repE0EEENS1_30default_config_static_selectorELNS0_4arch9wavefront6targetE0EEEvT1_
	.globl	_ZN7rocprim17ROCPRIM_400000_NS6detail17trampoline_kernelINS0_14default_configENS1_27scan_by_key_config_selectorIssEEZZNS1_16scan_by_key_implILNS1_25lookback_scan_determinismE0ELb0ES3_N6thrust23THRUST_200600_302600_NS6detail15normal_iteratorINS9_10device_ptrIsEEEESE_SE_sNS9_4plusIsEE19head_flag_predicatesEE10hipError_tPvRmT2_T3_T4_T5_mT6_T7_P12ihipStream_tbENKUlT_T0_E_clISt17integral_constantIbLb0EESY_EEDaST_SU_EUlST_E_NS1_11comp_targetILNS1_3genE10ELNS1_11target_archE1200ELNS1_3gpuE4ELNS1_3repE0EEENS1_30default_config_static_selectorELNS0_4arch9wavefront6targetE0EEEvT1_
	.p2align	8
	.type	_ZN7rocprim17ROCPRIM_400000_NS6detail17trampoline_kernelINS0_14default_configENS1_27scan_by_key_config_selectorIssEEZZNS1_16scan_by_key_implILNS1_25lookback_scan_determinismE0ELb0ES3_N6thrust23THRUST_200600_302600_NS6detail15normal_iteratorINS9_10device_ptrIsEEEESE_SE_sNS9_4plusIsEE19head_flag_predicatesEE10hipError_tPvRmT2_T3_T4_T5_mT6_T7_P12ihipStream_tbENKUlT_T0_E_clISt17integral_constantIbLb0EESY_EEDaST_SU_EUlST_E_NS1_11comp_targetILNS1_3genE10ELNS1_11target_archE1200ELNS1_3gpuE4ELNS1_3repE0EEENS1_30default_config_static_selectorELNS0_4arch9wavefront6targetE0EEEvT1_,@function
_ZN7rocprim17ROCPRIM_400000_NS6detail17trampoline_kernelINS0_14default_configENS1_27scan_by_key_config_selectorIssEEZZNS1_16scan_by_key_implILNS1_25lookback_scan_determinismE0ELb0ES3_N6thrust23THRUST_200600_302600_NS6detail15normal_iteratorINS9_10device_ptrIsEEEESE_SE_sNS9_4plusIsEE19head_flag_predicatesEE10hipError_tPvRmT2_T3_T4_T5_mT6_T7_P12ihipStream_tbENKUlT_T0_E_clISt17integral_constantIbLb0EESY_EEDaST_SU_EUlST_E_NS1_11comp_targetILNS1_3genE10ELNS1_11target_archE1200ELNS1_3gpuE4ELNS1_3repE0EEENS1_30default_config_static_selectorELNS0_4arch9wavefront6targetE0EEEvT1_: ; @_ZN7rocprim17ROCPRIM_400000_NS6detail17trampoline_kernelINS0_14default_configENS1_27scan_by_key_config_selectorIssEEZZNS1_16scan_by_key_implILNS1_25lookback_scan_determinismE0ELb0ES3_N6thrust23THRUST_200600_302600_NS6detail15normal_iteratorINS9_10device_ptrIsEEEESE_SE_sNS9_4plusIsEE19head_flag_predicatesEE10hipError_tPvRmT2_T3_T4_T5_mT6_T7_P12ihipStream_tbENKUlT_T0_E_clISt17integral_constantIbLb0EESY_EEDaST_SU_EUlST_E_NS1_11comp_targetILNS1_3genE10ELNS1_11target_archE1200ELNS1_3gpuE4ELNS1_3repE0EEENS1_30default_config_static_selectorELNS0_4arch9wavefront6targetE0EEEvT1_
; %bb.0:
	.section	.rodata,"a",@progbits
	.p2align	6, 0x0
	.amdhsa_kernel _ZN7rocprim17ROCPRIM_400000_NS6detail17trampoline_kernelINS0_14default_configENS1_27scan_by_key_config_selectorIssEEZZNS1_16scan_by_key_implILNS1_25lookback_scan_determinismE0ELb0ES3_N6thrust23THRUST_200600_302600_NS6detail15normal_iteratorINS9_10device_ptrIsEEEESE_SE_sNS9_4plusIsEE19head_flag_predicatesEE10hipError_tPvRmT2_T3_T4_T5_mT6_T7_P12ihipStream_tbENKUlT_T0_E_clISt17integral_constantIbLb0EESY_EEDaST_SU_EUlST_E_NS1_11comp_targetILNS1_3genE10ELNS1_11target_archE1200ELNS1_3gpuE4ELNS1_3repE0EEENS1_30default_config_static_selectorELNS0_4arch9wavefront6targetE0EEEvT1_
		.amdhsa_group_segment_fixed_size 0
		.amdhsa_private_segment_fixed_size 0
		.amdhsa_kernarg_size 112
		.amdhsa_user_sgpr_count 6
		.amdhsa_user_sgpr_private_segment_buffer 1
		.amdhsa_user_sgpr_dispatch_ptr 0
		.amdhsa_user_sgpr_queue_ptr 0
		.amdhsa_user_sgpr_kernarg_segment_ptr 1
		.amdhsa_user_sgpr_dispatch_id 0
		.amdhsa_user_sgpr_flat_scratch_init 0
		.amdhsa_user_sgpr_private_segment_size 0
		.amdhsa_wavefront_size32 1
		.amdhsa_uses_dynamic_stack 0
		.amdhsa_system_sgpr_private_segment_wavefront_offset 0
		.amdhsa_system_sgpr_workgroup_id_x 1
		.amdhsa_system_sgpr_workgroup_id_y 0
		.amdhsa_system_sgpr_workgroup_id_z 0
		.amdhsa_system_sgpr_workgroup_info 0
		.amdhsa_system_vgpr_workitem_id 0
		.amdhsa_next_free_vgpr 1
		.amdhsa_next_free_sgpr 1
		.amdhsa_reserve_vcc 0
		.amdhsa_reserve_flat_scratch 0
		.amdhsa_float_round_mode_32 0
		.amdhsa_float_round_mode_16_64 0
		.amdhsa_float_denorm_mode_32 3
		.amdhsa_float_denorm_mode_16_64 3
		.amdhsa_dx10_clamp 1
		.amdhsa_ieee_mode 1
		.amdhsa_fp16_overflow 0
		.amdhsa_workgroup_processor_mode 1
		.amdhsa_memory_ordered 1
		.amdhsa_forward_progress 1
		.amdhsa_shared_vgpr_count 0
		.amdhsa_exception_fp_ieee_invalid_op 0
		.amdhsa_exception_fp_denorm_src 0
		.amdhsa_exception_fp_ieee_div_zero 0
		.amdhsa_exception_fp_ieee_overflow 0
		.amdhsa_exception_fp_ieee_underflow 0
		.amdhsa_exception_fp_ieee_inexact 0
		.amdhsa_exception_int_div_zero 0
	.end_amdhsa_kernel
	.section	.text._ZN7rocprim17ROCPRIM_400000_NS6detail17trampoline_kernelINS0_14default_configENS1_27scan_by_key_config_selectorIssEEZZNS1_16scan_by_key_implILNS1_25lookback_scan_determinismE0ELb0ES3_N6thrust23THRUST_200600_302600_NS6detail15normal_iteratorINS9_10device_ptrIsEEEESE_SE_sNS9_4plusIsEE19head_flag_predicatesEE10hipError_tPvRmT2_T3_T4_T5_mT6_T7_P12ihipStream_tbENKUlT_T0_E_clISt17integral_constantIbLb0EESY_EEDaST_SU_EUlST_E_NS1_11comp_targetILNS1_3genE10ELNS1_11target_archE1200ELNS1_3gpuE4ELNS1_3repE0EEENS1_30default_config_static_selectorELNS0_4arch9wavefront6targetE0EEEvT1_,"axG",@progbits,_ZN7rocprim17ROCPRIM_400000_NS6detail17trampoline_kernelINS0_14default_configENS1_27scan_by_key_config_selectorIssEEZZNS1_16scan_by_key_implILNS1_25lookback_scan_determinismE0ELb0ES3_N6thrust23THRUST_200600_302600_NS6detail15normal_iteratorINS9_10device_ptrIsEEEESE_SE_sNS9_4plusIsEE19head_flag_predicatesEE10hipError_tPvRmT2_T3_T4_T5_mT6_T7_P12ihipStream_tbENKUlT_T0_E_clISt17integral_constantIbLb0EESY_EEDaST_SU_EUlST_E_NS1_11comp_targetILNS1_3genE10ELNS1_11target_archE1200ELNS1_3gpuE4ELNS1_3repE0EEENS1_30default_config_static_selectorELNS0_4arch9wavefront6targetE0EEEvT1_,comdat
.Lfunc_end827:
	.size	_ZN7rocprim17ROCPRIM_400000_NS6detail17trampoline_kernelINS0_14default_configENS1_27scan_by_key_config_selectorIssEEZZNS1_16scan_by_key_implILNS1_25lookback_scan_determinismE0ELb0ES3_N6thrust23THRUST_200600_302600_NS6detail15normal_iteratorINS9_10device_ptrIsEEEESE_SE_sNS9_4plusIsEE19head_flag_predicatesEE10hipError_tPvRmT2_T3_T4_T5_mT6_T7_P12ihipStream_tbENKUlT_T0_E_clISt17integral_constantIbLb0EESY_EEDaST_SU_EUlST_E_NS1_11comp_targetILNS1_3genE10ELNS1_11target_archE1200ELNS1_3gpuE4ELNS1_3repE0EEENS1_30default_config_static_selectorELNS0_4arch9wavefront6targetE0EEEvT1_, .Lfunc_end827-_ZN7rocprim17ROCPRIM_400000_NS6detail17trampoline_kernelINS0_14default_configENS1_27scan_by_key_config_selectorIssEEZZNS1_16scan_by_key_implILNS1_25lookback_scan_determinismE0ELb0ES3_N6thrust23THRUST_200600_302600_NS6detail15normal_iteratorINS9_10device_ptrIsEEEESE_SE_sNS9_4plusIsEE19head_flag_predicatesEE10hipError_tPvRmT2_T3_T4_T5_mT6_T7_P12ihipStream_tbENKUlT_T0_E_clISt17integral_constantIbLb0EESY_EEDaST_SU_EUlST_E_NS1_11comp_targetILNS1_3genE10ELNS1_11target_archE1200ELNS1_3gpuE4ELNS1_3repE0EEENS1_30default_config_static_selectorELNS0_4arch9wavefront6targetE0EEEvT1_
                                        ; -- End function
	.set _ZN7rocprim17ROCPRIM_400000_NS6detail17trampoline_kernelINS0_14default_configENS1_27scan_by_key_config_selectorIssEEZZNS1_16scan_by_key_implILNS1_25lookback_scan_determinismE0ELb0ES3_N6thrust23THRUST_200600_302600_NS6detail15normal_iteratorINS9_10device_ptrIsEEEESE_SE_sNS9_4plusIsEE19head_flag_predicatesEE10hipError_tPvRmT2_T3_T4_T5_mT6_T7_P12ihipStream_tbENKUlT_T0_E_clISt17integral_constantIbLb0EESY_EEDaST_SU_EUlST_E_NS1_11comp_targetILNS1_3genE10ELNS1_11target_archE1200ELNS1_3gpuE4ELNS1_3repE0EEENS1_30default_config_static_selectorELNS0_4arch9wavefront6targetE0EEEvT1_.num_vgpr, 0
	.set _ZN7rocprim17ROCPRIM_400000_NS6detail17trampoline_kernelINS0_14default_configENS1_27scan_by_key_config_selectorIssEEZZNS1_16scan_by_key_implILNS1_25lookback_scan_determinismE0ELb0ES3_N6thrust23THRUST_200600_302600_NS6detail15normal_iteratorINS9_10device_ptrIsEEEESE_SE_sNS9_4plusIsEE19head_flag_predicatesEE10hipError_tPvRmT2_T3_T4_T5_mT6_T7_P12ihipStream_tbENKUlT_T0_E_clISt17integral_constantIbLb0EESY_EEDaST_SU_EUlST_E_NS1_11comp_targetILNS1_3genE10ELNS1_11target_archE1200ELNS1_3gpuE4ELNS1_3repE0EEENS1_30default_config_static_selectorELNS0_4arch9wavefront6targetE0EEEvT1_.num_agpr, 0
	.set _ZN7rocprim17ROCPRIM_400000_NS6detail17trampoline_kernelINS0_14default_configENS1_27scan_by_key_config_selectorIssEEZZNS1_16scan_by_key_implILNS1_25lookback_scan_determinismE0ELb0ES3_N6thrust23THRUST_200600_302600_NS6detail15normal_iteratorINS9_10device_ptrIsEEEESE_SE_sNS9_4plusIsEE19head_flag_predicatesEE10hipError_tPvRmT2_T3_T4_T5_mT6_T7_P12ihipStream_tbENKUlT_T0_E_clISt17integral_constantIbLb0EESY_EEDaST_SU_EUlST_E_NS1_11comp_targetILNS1_3genE10ELNS1_11target_archE1200ELNS1_3gpuE4ELNS1_3repE0EEENS1_30default_config_static_selectorELNS0_4arch9wavefront6targetE0EEEvT1_.numbered_sgpr, 0
	.set _ZN7rocprim17ROCPRIM_400000_NS6detail17trampoline_kernelINS0_14default_configENS1_27scan_by_key_config_selectorIssEEZZNS1_16scan_by_key_implILNS1_25lookback_scan_determinismE0ELb0ES3_N6thrust23THRUST_200600_302600_NS6detail15normal_iteratorINS9_10device_ptrIsEEEESE_SE_sNS9_4plusIsEE19head_flag_predicatesEE10hipError_tPvRmT2_T3_T4_T5_mT6_T7_P12ihipStream_tbENKUlT_T0_E_clISt17integral_constantIbLb0EESY_EEDaST_SU_EUlST_E_NS1_11comp_targetILNS1_3genE10ELNS1_11target_archE1200ELNS1_3gpuE4ELNS1_3repE0EEENS1_30default_config_static_selectorELNS0_4arch9wavefront6targetE0EEEvT1_.num_named_barrier, 0
	.set _ZN7rocprim17ROCPRIM_400000_NS6detail17trampoline_kernelINS0_14default_configENS1_27scan_by_key_config_selectorIssEEZZNS1_16scan_by_key_implILNS1_25lookback_scan_determinismE0ELb0ES3_N6thrust23THRUST_200600_302600_NS6detail15normal_iteratorINS9_10device_ptrIsEEEESE_SE_sNS9_4plusIsEE19head_flag_predicatesEE10hipError_tPvRmT2_T3_T4_T5_mT6_T7_P12ihipStream_tbENKUlT_T0_E_clISt17integral_constantIbLb0EESY_EEDaST_SU_EUlST_E_NS1_11comp_targetILNS1_3genE10ELNS1_11target_archE1200ELNS1_3gpuE4ELNS1_3repE0EEENS1_30default_config_static_selectorELNS0_4arch9wavefront6targetE0EEEvT1_.private_seg_size, 0
	.set _ZN7rocprim17ROCPRIM_400000_NS6detail17trampoline_kernelINS0_14default_configENS1_27scan_by_key_config_selectorIssEEZZNS1_16scan_by_key_implILNS1_25lookback_scan_determinismE0ELb0ES3_N6thrust23THRUST_200600_302600_NS6detail15normal_iteratorINS9_10device_ptrIsEEEESE_SE_sNS9_4plusIsEE19head_flag_predicatesEE10hipError_tPvRmT2_T3_T4_T5_mT6_T7_P12ihipStream_tbENKUlT_T0_E_clISt17integral_constantIbLb0EESY_EEDaST_SU_EUlST_E_NS1_11comp_targetILNS1_3genE10ELNS1_11target_archE1200ELNS1_3gpuE4ELNS1_3repE0EEENS1_30default_config_static_selectorELNS0_4arch9wavefront6targetE0EEEvT1_.uses_vcc, 0
	.set _ZN7rocprim17ROCPRIM_400000_NS6detail17trampoline_kernelINS0_14default_configENS1_27scan_by_key_config_selectorIssEEZZNS1_16scan_by_key_implILNS1_25lookback_scan_determinismE0ELb0ES3_N6thrust23THRUST_200600_302600_NS6detail15normal_iteratorINS9_10device_ptrIsEEEESE_SE_sNS9_4plusIsEE19head_flag_predicatesEE10hipError_tPvRmT2_T3_T4_T5_mT6_T7_P12ihipStream_tbENKUlT_T0_E_clISt17integral_constantIbLb0EESY_EEDaST_SU_EUlST_E_NS1_11comp_targetILNS1_3genE10ELNS1_11target_archE1200ELNS1_3gpuE4ELNS1_3repE0EEENS1_30default_config_static_selectorELNS0_4arch9wavefront6targetE0EEEvT1_.uses_flat_scratch, 0
	.set _ZN7rocprim17ROCPRIM_400000_NS6detail17trampoline_kernelINS0_14default_configENS1_27scan_by_key_config_selectorIssEEZZNS1_16scan_by_key_implILNS1_25lookback_scan_determinismE0ELb0ES3_N6thrust23THRUST_200600_302600_NS6detail15normal_iteratorINS9_10device_ptrIsEEEESE_SE_sNS9_4plusIsEE19head_flag_predicatesEE10hipError_tPvRmT2_T3_T4_T5_mT6_T7_P12ihipStream_tbENKUlT_T0_E_clISt17integral_constantIbLb0EESY_EEDaST_SU_EUlST_E_NS1_11comp_targetILNS1_3genE10ELNS1_11target_archE1200ELNS1_3gpuE4ELNS1_3repE0EEENS1_30default_config_static_selectorELNS0_4arch9wavefront6targetE0EEEvT1_.has_dyn_sized_stack, 0
	.set _ZN7rocprim17ROCPRIM_400000_NS6detail17trampoline_kernelINS0_14default_configENS1_27scan_by_key_config_selectorIssEEZZNS1_16scan_by_key_implILNS1_25lookback_scan_determinismE0ELb0ES3_N6thrust23THRUST_200600_302600_NS6detail15normal_iteratorINS9_10device_ptrIsEEEESE_SE_sNS9_4plusIsEE19head_flag_predicatesEE10hipError_tPvRmT2_T3_T4_T5_mT6_T7_P12ihipStream_tbENKUlT_T0_E_clISt17integral_constantIbLb0EESY_EEDaST_SU_EUlST_E_NS1_11comp_targetILNS1_3genE10ELNS1_11target_archE1200ELNS1_3gpuE4ELNS1_3repE0EEENS1_30default_config_static_selectorELNS0_4arch9wavefront6targetE0EEEvT1_.has_recursion, 0
	.set _ZN7rocprim17ROCPRIM_400000_NS6detail17trampoline_kernelINS0_14default_configENS1_27scan_by_key_config_selectorIssEEZZNS1_16scan_by_key_implILNS1_25lookback_scan_determinismE0ELb0ES3_N6thrust23THRUST_200600_302600_NS6detail15normal_iteratorINS9_10device_ptrIsEEEESE_SE_sNS9_4plusIsEE19head_flag_predicatesEE10hipError_tPvRmT2_T3_T4_T5_mT6_T7_P12ihipStream_tbENKUlT_T0_E_clISt17integral_constantIbLb0EESY_EEDaST_SU_EUlST_E_NS1_11comp_targetILNS1_3genE10ELNS1_11target_archE1200ELNS1_3gpuE4ELNS1_3repE0EEENS1_30default_config_static_selectorELNS0_4arch9wavefront6targetE0EEEvT1_.has_indirect_call, 0
	.section	.AMDGPU.csdata,"",@progbits
; Kernel info:
; codeLenInByte = 0
; TotalNumSgprs: 0
; NumVgprs: 0
; ScratchSize: 0
; MemoryBound: 0
; FloatMode: 240
; IeeeMode: 1
; LDSByteSize: 0 bytes/workgroup (compile time only)
; SGPRBlocks: 0
; VGPRBlocks: 0
; NumSGPRsForWavesPerEU: 1
; NumVGPRsForWavesPerEU: 1
; Occupancy: 16
; WaveLimiterHint : 0
; COMPUTE_PGM_RSRC2:SCRATCH_EN: 0
; COMPUTE_PGM_RSRC2:USER_SGPR: 6
; COMPUTE_PGM_RSRC2:TRAP_HANDLER: 0
; COMPUTE_PGM_RSRC2:TGID_X_EN: 1
; COMPUTE_PGM_RSRC2:TGID_Y_EN: 0
; COMPUTE_PGM_RSRC2:TGID_Z_EN: 0
; COMPUTE_PGM_RSRC2:TIDIG_COMP_CNT: 0
	.section	.text._ZN7rocprim17ROCPRIM_400000_NS6detail17trampoline_kernelINS0_14default_configENS1_27scan_by_key_config_selectorIssEEZZNS1_16scan_by_key_implILNS1_25lookback_scan_determinismE0ELb0ES3_N6thrust23THRUST_200600_302600_NS6detail15normal_iteratorINS9_10device_ptrIsEEEESE_SE_sNS9_4plusIsEE19head_flag_predicatesEE10hipError_tPvRmT2_T3_T4_T5_mT6_T7_P12ihipStream_tbENKUlT_T0_E_clISt17integral_constantIbLb0EESY_EEDaST_SU_EUlST_E_NS1_11comp_targetILNS1_3genE9ELNS1_11target_archE1100ELNS1_3gpuE3ELNS1_3repE0EEENS1_30default_config_static_selectorELNS0_4arch9wavefront6targetE0EEEvT1_,"axG",@progbits,_ZN7rocprim17ROCPRIM_400000_NS6detail17trampoline_kernelINS0_14default_configENS1_27scan_by_key_config_selectorIssEEZZNS1_16scan_by_key_implILNS1_25lookback_scan_determinismE0ELb0ES3_N6thrust23THRUST_200600_302600_NS6detail15normal_iteratorINS9_10device_ptrIsEEEESE_SE_sNS9_4plusIsEE19head_flag_predicatesEE10hipError_tPvRmT2_T3_T4_T5_mT6_T7_P12ihipStream_tbENKUlT_T0_E_clISt17integral_constantIbLb0EESY_EEDaST_SU_EUlST_E_NS1_11comp_targetILNS1_3genE9ELNS1_11target_archE1100ELNS1_3gpuE3ELNS1_3repE0EEENS1_30default_config_static_selectorELNS0_4arch9wavefront6targetE0EEEvT1_,comdat
	.protected	_ZN7rocprim17ROCPRIM_400000_NS6detail17trampoline_kernelINS0_14default_configENS1_27scan_by_key_config_selectorIssEEZZNS1_16scan_by_key_implILNS1_25lookback_scan_determinismE0ELb0ES3_N6thrust23THRUST_200600_302600_NS6detail15normal_iteratorINS9_10device_ptrIsEEEESE_SE_sNS9_4plusIsEE19head_flag_predicatesEE10hipError_tPvRmT2_T3_T4_T5_mT6_T7_P12ihipStream_tbENKUlT_T0_E_clISt17integral_constantIbLb0EESY_EEDaST_SU_EUlST_E_NS1_11comp_targetILNS1_3genE9ELNS1_11target_archE1100ELNS1_3gpuE3ELNS1_3repE0EEENS1_30default_config_static_selectorELNS0_4arch9wavefront6targetE0EEEvT1_ ; -- Begin function _ZN7rocprim17ROCPRIM_400000_NS6detail17trampoline_kernelINS0_14default_configENS1_27scan_by_key_config_selectorIssEEZZNS1_16scan_by_key_implILNS1_25lookback_scan_determinismE0ELb0ES3_N6thrust23THRUST_200600_302600_NS6detail15normal_iteratorINS9_10device_ptrIsEEEESE_SE_sNS9_4plusIsEE19head_flag_predicatesEE10hipError_tPvRmT2_T3_T4_T5_mT6_T7_P12ihipStream_tbENKUlT_T0_E_clISt17integral_constantIbLb0EESY_EEDaST_SU_EUlST_E_NS1_11comp_targetILNS1_3genE9ELNS1_11target_archE1100ELNS1_3gpuE3ELNS1_3repE0EEENS1_30default_config_static_selectorELNS0_4arch9wavefront6targetE0EEEvT1_
	.globl	_ZN7rocprim17ROCPRIM_400000_NS6detail17trampoline_kernelINS0_14default_configENS1_27scan_by_key_config_selectorIssEEZZNS1_16scan_by_key_implILNS1_25lookback_scan_determinismE0ELb0ES3_N6thrust23THRUST_200600_302600_NS6detail15normal_iteratorINS9_10device_ptrIsEEEESE_SE_sNS9_4plusIsEE19head_flag_predicatesEE10hipError_tPvRmT2_T3_T4_T5_mT6_T7_P12ihipStream_tbENKUlT_T0_E_clISt17integral_constantIbLb0EESY_EEDaST_SU_EUlST_E_NS1_11comp_targetILNS1_3genE9ELNS1_11target_archE1100ELNS1_3gpuE3ELNS1_3repE0EEENS1_30default_config_static_selectorELNS0_4arch9wavefront6targetE0EEEvT1_
	.p2align	8
	.type	_ZN7rocprim17ROCPRIM_400000_NS6detail17trampoline_kernelINS0_14default_configENS1_27scan_by_key_config_selectorIssEEZZNS1_16scan_by_key_implILNS1_25lookback_scan_determinismE0ELb0ES3_N6thrust23THRUST_200600_302600_NS6detail15normal_iteratorINS9_10device_ptrIsEEEESE_SE_sNS9_4plusIsEE19head_flag_predicatesEE10hipError_tPvRmT2_T3_T4_T5_mT6_T7_P12ihipStream_tbENKUlT_T0_E_clISt17integral_constantIbLb0EESY_EEDaST_SU_EUlST_E_NS1_11comp_targetILNS1_3genE9ELNS1_11target_archE1100ELNS1_3gpuE3ELNS1_3repE0EEENS1_30default_config_static_selectorELNS0_4arch9wavefront6targetE0EEEvT1_,@function
_ZN7rocprim17ROCPRIM_400000_NS6detail17trampoline_kernelINS0_14default_configENS1_27scan_by_key_config_selectorIssEEZZNS1_16scan_by_key_implILNS1_25lookback_scan_determinismE0ELb0ES3_N6thrust23THRUST_200600_302600_NS6detail15normal_iteratorINS9_10device_ptrIsEEEESE_SE_sNS9_4plusIsEE19head_flag_predicatesEE10hipError_tPvRmT2_T3_T4_T5_mT6_T7_P12ihipStream_tbENKUlT_T0_E_clISt17integral_constantIbLb0EESY_EEDaST_SU_EUlST_E_NS1_11comp_targetILNS1_3genE9ELNS1_11target_archE1100ELNS1_3gpuE3ELNS1_3repE0EEENS1_30default_config_static_selectorELNS0_4arch9wavefront6targetE0EEEvT1_: ; @_ZN7rocprim17ROCPRIM_400000_NS6detail17trampoline_kernelINS0_14default_configENS1_27scan_by_key_config_selectorIssEEZZNS1_16scan_by_key_implILNS1_25lookback_scan_determinismE0ELb0ES3_N6thrust23THRUST_200600_302600_NS6detail15normal_iteratorINS9_10device_ptrIsEEEESE_SE_sNS9_4plusIsEE19head_flag_predicatesEE10hipError_tPvRmT2_T3_T4_T5_mT6_T7_P12ihipStream_tbENKUlT_T0_E_clISt17integral_constantIbLb0EESY_EEDaST_SU_EUlST_E_NS1_11comp_targetILNS1_3genE9ELNS1_11target_archE1100ELNS1_3gpuE3ELNS1_3repE0EEENS1_30default_config_static_selectorELNS0_4arch9wavefront6targetE0EEEvT1_
; %bb.0:
	.section	.rodata,"a",@progbits
	.p2align	6, 0x0
	.amdhsa_kernel _ZN7rocprim17ROCPRIM_400000_NS6detail17trampoline_kernelINS0_14default_configENS1_27scan_by_key_config_selectorIssEEZZNS1_16scan_by_key_implILNS1_25lookback_scan_determinismE0ELb0ES3_N6thrust23THRUST_200600_302600_NS6detail15normal_iteratorINS9_10device_ptrIsEEEESE_SE_sNS9_4plusIsEE19head_flag_predicatesEE10hipError_tPvRmT2_T3_T4_T5_mT6_T7_P12ihipStream_tbENKUlT_T0_E_clISt17integral_constantIbLb0EESY_EEDaST_SU_EUlST_E_NS1_11comp_targetILNS1_3genE9ELNS1_11target_archE1100ELNS1_3gpuE3ELNS1_3repE0EEENS1_30default_config_static_selectorELNS0_4arch9wavefront6targetE0EEEvT1_
		.amdhsa_group_segment_fixed_size 0
		.amdhsa_private_segment_fixed_size 0
		.amdhsa_kernarg_size 112
		.amdhsa_user_sgpr_count 6
		.amdhsa_user_sgpr_private_segment_buffer 1
		.amdhsa_user_sgpr_dispatch_ptr 0
		.amdhsa_user_sgpr_queue_ptr 0
		.amdhsa_user_sgpr_kernarg_segment_ptr 1
		.amdhsa_user_sgpr_dispatch_id 0
		.amdhsa_user_sgpr_flat_scratch_init 0
		.amdhsa_user_sgpr_private_segment_size 0
		.amdhsa_wavefront_size32 1
		.amdhsa_uses_dynamic_stack 0
		.amdhsa_system_sgpr_private_segment_wavefront_offset 0
		.amdhsa_system_sgpr_workgroup_id_x 1
		.amdhsa_system_sgpr_workgroup_id_y 0
		.amdhsa_system_sgpr_workgroup_id_z 0
		.amdhsa_system_sgpr_workgroup_info 0
		.amdhsa_system_vgpr_workitem_id 0
		.amdhsa_next_free_vgpr 1
		.amdhsa_next_free_sgpr 1
		.amdhsa_reserve_vcc 0
		.amdhsa_reserve_flat_scratch 0
		.amdhsa_float_round_mode_32 0
		.amdhsa_float_round_mode_16_64 0
		.amdhsa_float_denorm_mode_32 3
		.amdhsa_float_denorm_mode_16_64 3
		.amdhsa_dx10_clamp 1
		.amdhsa_ieee_mode 1
		.amdhsa_fp16_overflow 0
		.amdhsa_workgroup_processor_mode 1
		.amdhsa_memory_ordered 1
		.amdhsa_forward_progress 1
		.amdhsa_shared_vgpr_count 0
		.amdhsa_exception_fp_ieee_invalid_op 0
		.amdhsa_exception_fp_denorm_src 0
		.amdhsa_exception_fp_ieee_div_zero 0
		.amdhsa_exception_fp_ieee_overflow 0
		.amdhsa_exception_fp_ieee_underflow 0
		.amdhsa_exception_fp_ieee_inexact 0
		.amdhsa_exception_int_div_zero 0
	.end_amdhsa_kernel
	.section	.text._ZN7rocprim17ROCPRIM_400000_NS6detail17trampoline_kernelINS0_14default_configENS1_27scan_by_key_config_selectorIssEEZZNS1_16scan_by_key_implILNS1_25lookback_scan_determinismE0ELb0ES3_N6thrust23THRUST_200600_302600_NS6detail15normal_iteratorINS9_10device_ptrIsEEEESE_SE_sNS9_4plusIsEE19head_flag_predicatesEE10hipError_tPvRmT2_T3_T4_T5_mT6_T7_P12ihipStream_tbENKUlT_T0_E_clISt17integral_constantIbLb0EESY_EEDaST_SU_EUlST_E_NS1_11comp_targetILNS1_3genE9ELNS1_11target_archE1100ELNS1_3gpuE3ELNS1_3repE0EEENS1_30default_config_static_selectorELNS0_4arch9wavefront6targetE0EEEvT1_,"axG",@progbits,_ZN7rocprim17ROCPRIM_400000_NS6detail17trampoline_kernelINS0_14default_configENS1_27scan_by_key_config_selectorIssEEZZNS1_16scan_by_key_implILNS1_25lookback_scan_determinismE0ELb0ES3_N6thrust23THRUST_200600_302600_NS6detail15normal_iteratorINS9_10device_ptrIsEEEESE_SE_sNS9_4plusIsEE19head_flag_predicatesEE10hipError_tPvRmT2_T3_T4_T5_mT6_T7_P12ihipStream_tbENKUlT_T0_E_clISt17integral_constantIbLb0EESY_EEDaST_SU_EUlST_E_NS1_11comp_targetILNS1_3genE9ELNS1_11target_archE1100ELNS1_3gpuE3ELNS1_3repE0EEENS1_30default_config_static_selectorELNS0_4arch9wavefront6targetE0EEEvT1_,comdat
.Lfunc_end828:
	.size	_ZN7rocprim17ROCPRIM_400000_NS6detail17trampoline_kernelINS0_14default_configENS1_27scan_by_key_config_selectorIssEEZZNS1_16scan_by_key_implILNS1_25lookback_scan_determinismE0ELb0ES3_N6thrust23THRUST_200600_302600_NS6detail15normal_iteratorINS9_10device_ptrIsEEEESE_SE_sNS9_4plusIsEE19head_flag_predicatesEE10hipError_tPvRmT2_T3_T4_T5_mT6_T7_P12ihipStream_tbENKUlT_T0_E_clISt17integral_constantIbLb0EESY_EEDaST_SU_EUlST_E_NS1_11comp_targetILNS1_3genE9ELNS1_11target_archE1100ELNS1_3gpuE3ELNS1_3repE0EEENS1_30default_config_static_selectorELNS0_4arch9wavefront6targetE0EEEvT1_, .Lfunc_end828-_ZN7rocprim17ROCPRIM_400000_NS6detail17trampoline_kernelINS0_14default_configENS1_27scan_by_key_config_selectorIssEEZZNS1_16scan_by_key_implILNS1_25lookback_scan_determinismE0ELb0ES3_N6thrust23THRUST_200600_302600_NS6detail15normal_iteratorINS9_10device_ptrIsEEEESE_SE_sNS9_4plusIsEE19head_flag_predicatesEE10hipError_tPvRmT2_T3_T4_T5_mT6_T7_P12ihipStream_tbENKUlT_T0_E_clISt17integral_constantIbLb0EESY_EEDaST_SU_EUlST_E_NS1_11comp_targetILNS1_3genE9ELNS1_11target_archE1100ELNS1_3gpuE3ELNS1_3repE0EEENS1_30default_config_static_selectorELNS0_4arch9wavefront6targetE0EEEvT1_
                                        ; -- End function
	.set _ZN7rocprim17ROCPRIM_400000_NS6detail17trampoline_kernelINS0_14default_configENS1_27scan_by_key_config_selectorIssEEZZNS1_16scan_by_key_implILNS1_25lookback_scan_determinismE0ELb0ES3_N6thrust23THRUST_200600_302600_NS6detail15normal_iteratorINS9_10device_ptrIsEEEESE_SE_sNS9_4plusIsEE19head_flag_predicatesEE10hipError_tPvRmT2_T3_T4_T5_mT6_T7_P12ihipStream_tbENKUlT_T0_E_clISt17integral_constantIbLb0EESY_EEDaST_SU_EUlST_E_NS1_11comp_targetILNS1_3genE9ELNS1_11target_archE1100ELNS1_3gpuE3ELNS1_3repE0EEENS1_30default_config_static_selectorELNS0_4arch9wavefront6targetE0EEEvT1_.num_vgpr, 0
	.set _ZN7rocprim17ROCPRIM_400000_NS6detail17trampoline_kernelINS0_14default_configENS1_27scan_by_key_config_selectorIssEEZZNS1_16scan_by_key_implILNS1_25lookback_scan_determinismE0ELb0ES3_N6thrust23THRUST_200600_302600_NS6detail15normal_iteratorINS9_10device_ptrIsEEEESE_SE_sNS9_4plusIsEE19head_flag_predicatesEE10hipError_tPvRmT2_T3_T4_T5_mT6_T7_P12ihipStream_tbENKUlT_T0_E_clISt17integral_constantIbLb0EESY_EEDaST_SU_EUlST_E_NS1_11comp_targetILNS1_3genE9ELNS1_11target_archE1100ELNS1_3gpuE3ELNS1_3repE0EEENS1_30default_config_static_selectorELNS0_4arch9wavefront6targetE0EEEvT1_.num_agpr, 0
	.set _ZN7rocprim17ROCPRIM_400000_NS6detail17trampoline_kernelINS0_14default_configENS1_27scan_by_key_config_selectorIssEEZZNS1_16scan_by_key_implILNS1_25lookback_scan_determinismE0ELb0ES3_N6thrust23THRUST_200600_302600_NS6detail15normal_iteratorINS9_10device_ptrIsEEEESE_SE_sNS9_4plusIsEE19head_flag_predicatesEE10hipError_tPvRmT2_T3_T4_T5_mT6_T7_P12ihipStream_tbENKUlT_T0_E_clISt17integral_constantIbLb0EESY_EEDaST_SU_EUlST_E_NS1_11comp_targetILNS1_3genE9ELNS1_11target_archE1100ELNS1_3gpuE3ELNS1_3repE0EEENS1_30default_config_static_selectorELNS0_4arch9wavefront6targetE0EEEvT1_.numbered_sgpr, 0
	.set _ZN7rocprim17ROCPRIM_400000_NS6detail17trampoline_kernelINS0_14default_configENS1_27scan_by_key_config_selectorIssEEZZNS1_16scan_by_key_implILNS1_25lookback_scan_determinismE0ELb0ES3_N6thrust23THRUST_200600_302600_NS6detail15normal_iteratorINS9_10device_ptrIsEEEESE_SE_sNS9_4plusIsEE19head_flag_predicatesEE10hipError_tPvRmT2_T3_T4_T5_mT6_T7_P12ihipStream_tbENKUlT_T0_E_clISt17integral_constantIbLb0EESY_EEDaST_SU_EUlST_E_NS1_11comp_targetILNS1_3genE9ELNS1_11target_archE1100ELNS1_3gpuE3ELNS1_3repE0EEENS1_30default_config_static_selectorELNS0_4arch9wavefront6targetE0EEEvT1_.num_named_barrier, 0
	.set _ZN7rocprim17ROCPRIM_400000_NS6detail17trampoline_kernelINS0_14default_configENS1_27scan_by_key_config_selectorIssEEZZNS1_16scan_by_key_implILNS1_25lookback_scan_determinismE0ELb0ES3_N6thrust23THRUST_200600_302600_NS6detail15normal_iteratorINS9_10device_ptrIsEEEESE_SE_sNS9_4plusIsEE19head_flag_predicatesEE10hipError_tPvRmT2_T3_T4_T5_mT6_T7_P12ihipStream_tbENKUlT_T0_E_clISt17integral_constantIbLb0EESY_EEDaST_SU_EUlST_E_NS1_11comp_targetILNS1_3genE9ELNS1_11target_archE1100ELNS1_3gpuE3ELNS1_3repE0EEENS1_30default_config_static_selectorELNS0_4arch9wavefront6targetE0EEEvT1_.private_seg_size, 0
	.set _ZN7rocprim17ROCPRIM_400000_NS6detail17trampoline_kernelINS0_14default_configENS1_27scan_by_key_config_selectorIssEEZZNS1_16scan_by_key_implILNS1_25lookback_scan_determinismE0ELb0ES3_N6thrust23THRUST_200600_302600_NS6detail15normal_iteratorINS9_10device_ptrIsEEEESE_SE_sNS9_4plusIsEE19head_flag_predicatesEE10hipError_tPvRmT2_T3_T4_T5_mT6_T7_P12ihipStream_tbENKUlT_T0_E_clISt17integral_constantIbLb0EESY_EEDaST_SU_EUlST_E_NS1_11comp_targetILNS1_3genE9ELNS1_11target_archE1100ELNS1_3gpuE3ELNS1_3repE0EEENS1_30default_config_static_selectorELNS0_4arch9wavefront6targetE0EEEvT1_.uses_vcc, 0
	.set _ZN7rocprim17ROCPRIM_400000_NS6detail17trampoline_kernelINS0_14default_configENS1_27scan_by_key_config_selectorIssEEZZNS1_16scan_by_key_implILNS1_25lookback_scan_determinismE0ELb0ES3_N6thrust23THRUST_200600_302600_NS6detail15normal_iteratorINS9_10device_ptrIsEEEESE_SE_sNS9_4plusIsEE19head_flag_predicatesEE10hipError_tPvRmT2_T3_T4_T5_mT6_T7_P12ihipStream_tbENKUlT_T0_E_clISt17integral_constantIbLb0EESY_EEDaST_SU_EUlST_E_NS1_11comp_targetILNS1_3genE9ELNS1_11target_archE1100ELNS1_3gpuE3ELNS1_3repE0EEENS1_30default_config_static_selectorELNS0_4arch9wavefront6targetE0EEEvT1_.uses_flat_scratch, 0
	.set _ZN7rocprim17ROCPRIM_400000_NS6detail17trampoline_kernelINS0_14default_configENS1_27scan_by_key_config_selectorIssEEZZNS1_16scan_by_key_implILNS1_25lookback_scan_determinismE0ELb0ES3_N6thrust23THRUST_200600_302600_NS6detail15normal_iteratorINS9_10device_ptrIsEEEESE_SE_sNS9_4plusIsEE19head_flag_predicatesEE10hipError_tPvRmT2_T3_T4_T5_mT6_T7_P12ihipStream_tbENKUlT_T0_E_clISt17integral_constantIbLb0EESY_EEDaST_SU_EUlST_E_NS1_11comp_targetILNS1_3genE9ELNS1_11target_archE1100ELNS1_3gpuE3ELNS1_3repE0EEENS1_30default_config_static_selectorELNS0_4arch9wavefront6targetE0EEEvT1_.has_dyn_sized_stack, 0
	.set _ZN7rocprim17ROCPRIM_400000_NS6detail17trampoline_kernelINS0_14default_configENS1_27scan_by_key_config_selectorIssEEZZNS1_16scan_by_key_implILNS1_25lookback_scan_determinismE0ELb0ES3_N6thrust23THRUST_200600_302600_NS6detail15normal_iteratorINS9_10device_ptrIsEEEESE_SE_sNS9_4plusIsEE19head_flag_predicatesEE10hipError_tPvRmT2_T3_T4_T5_mT6_T7_P12ihipStream_tbENKUlT_T0_E_clISt17integral_constantIbLb0EESY_EEDaST_SU_EUlST_E_NS1_11comp_targetILNS1_3genE9ELNS1_11target_archE1100ELNS1_3gpuE3ELNS1_3repE0EEENS1_30default_config_static_selectorELNS0_4arch9wavefront6targetE0EEEvT1_.has_recursion, 0
	.set _ZN7rocprim17ROCPRIM_400000_NS6detail17trampoline_kernelINS0_14default_configENS1_27scan_by_key_config_selectorIssEEZZNS1_16scan_by_key_implILNS1_25lookback_scan_determinismE0ELb0ES3_N6thrust23THRUST_200600_302600_NS6detail15normal_iteratorINS9_10device_ptrIsEEEESE_SE_sNS9_4plusIsEE19head_flag_predicatesEE10hipError_tPvRmT2_T3_T4_T5_mT6_T7_P12ihipStream_tbENKUlT_T0_E_clISt17integral_constantIbLb0EESY_EEDaST_SU_EUlST_E_NS1_11comp_targetILNS1_3genE9ELNS1_11target_archE1100ELNS1_3gpuE3ELNS1_3repE0EEENS1_30default_config_static_selectorELNS0_4arch9wavefront6targetE0EEEvT1_.has_indirect_call, 0
	.section	.AMDGPU.csdata,"",@progbits
; Kernel info:
; codeLenInByte = 0
; TotalNumSgprs: 0
; NumVgprs: 0
; ScratchSize: 0
; MemoryBound: 0
; FloatMode: 240
; IeeeMode: 1
; LDSByteSize: 0 bytes/workgroup (compile time only)
; SGPRBlocks: 0
; VGPRBlocks: 0
; NumSGPRsForWavesPerEU: 1
; NumVGPRsForWavesPerEU: 1
; Occupancy: 16
; WaveLimiterHint : 0
; COMPUTE_PGM_RSRC2:SCRATCH_EN: 0
; COMPUTE_PGM_RSRC2:USER_SGPR: 6
; COMPUTE_PGM_RSRC2:TRAP_HANDLER: 0
; COMPUTE_PGM_RSRC2:TGID_X_EN: 1
; COMPUTE_PGM_RSRC2:TGID_Y_EN: 0
; COMPUTE_PGM_RSRC2:TGID_Z_EN: 0
; COMPUTE_PGM_RSRC2:TIDIG_COMP_CNT: 0
	.section	.text._ZN7rocprim17ROCPRIM_400000_NS6detail17trampoline_kernelINS0_14default_configENS1_27scan_by_key_config_selectorIssEEZZNS1_16scan_by_key_implILNS1_25lookback_scan_determinismE0ELb0ES3_N6thrust23THRUST_200600_302600_NS6detail15normal_iteratorINS9_10device_ptrIsEEEESE_SE_sNS9_4plusIsEE19head_flag_predicatesEE10hipError_tPvRmT2_T3_T4_T5_mT6_T7_P12ihipStream_tbENKUlT_T0_E_clISt17integral_constantIbLb0EESY_EEDaST_SU_EUlST_E_NS1_11comp_targetILNS1_3genE8ELNS1_11target_archE1030ELNS1_3gpuE2ELNS1_3repE0EEENS1_30default_config_static_selectorELNS0_4arch9wavefront6targetE0EEEvT1_,"axG",@progbits,_ZN7rocprim17ROCPRIM_400000_NS6detail17trampoline_kernelINS0_14default_configENS1_27scan_by_key_config_selectorIssEEZZNS1_16scan_by_key_implILNS1_25lookback_scan_determinismE0ELb0ES3_N6thrust23THRUST_200600_302600_NS6detail15normal_iteratorINS9_10device_ptrIsEEEESE_SE_sNS9_4plusIsEE19head_flag_predicatesEE10hipError_tPvRmT2_T3_T4_T5_mT6_T7_P12ihipStream_tbENKUlT_T0_E_clISt17integral_constantIbLb0EESY_EEDaST_SU_EUlST_E_NS1_11comp_targetILNS1_3genE8ELNS1_11target_archE1030ELNS1_3gpuE2ELNS1_3repE0EEENS1_30default_config_static_selectorELNS0_4arch9wavefront6targetE0EEEvT1_,comdat
	.protected	_ZN7rocprim17ROCPRIM_400000_NS6detail17trampoline_kernelINS0_14default_configENS1_27scan_by_key_config_selectorIssEEZZNS1_16scan_by_key_implILNS1_25lookback_scan_determinismE0ELb0ES3_N6thrust23THRUST_200600_302600_NS6detail15normal_iteratorINS9_10device_ptrIsEEEESE_SE_sNS9_4plusIsEE19head_flag_predicatesEE10hipError_tPvRmT2_T3_T4_T5_mT6_T7_P12ihipStream_tbENKUlT_T0_E_clISt17integral_constantIbLb0EESY_EEDaST_SU_EUlST_E_NS1_11comp_targetILNS1_3genE8ELNS1_11target_archE1030ELNS1_3gpuE2ELNS1_3repE0EEENS1_30default_config_static_selectorELNS0_4arch9wavefront6targetE0EEEvT1_ ; -- Begin function _ZN7rocprim17ROCPRIM_400000_NS6detail17trampoline_kernelINS0_14default_configENS1_27scan_by_key_config_selectorIssEEZZNS1_16scan_by_key_implILNS1_25lookback_scan_determinismE0ELb0ES3_N6thrust23THRUST_200600_302600_NS6detail15normal_iteratorINS9_10device_ptrIsEEEESE_SE_sNS9_4plusIsEE19head_flag_predicatesEE10hipError_tPvRmT2_T3_T4_T5_mT6_T7_P12ihipStream_tbENKUlT_T0_E_clISt17integral_constantIbLb0EESY_EEDaST_SU_EUlST_E_NS1_11comp_targetILNS1_3genE8ELNS1_11target_archE1030ELNS1_3gpuE2ELNS1_3repE0EEENS1_30default_config_static_selectorELNS0_4arch9wavefront6targetE0EEEvT1_
	.globl	_ZN7rocprim17ROCPRIM_400000_NS6detail17trampoline_kernelINS0_14default_configENS1_27scan_by_key_config_selectorIssEEZZNS1_16scan_by_key_implILNS1_25lookback_scan_determinismE0ELb0ES3_N6thrust23THRUST_200600_302600_NS6detail15normal_iteratorINS9_10device_ptrIsEEEESE_SE_sNS9_4plusIsEE19head_flag_predicatesEE10hipError_tPvRmT2_T3_T4_T5_mT6_T7_P12ihipStream_tbENKUlT_T0_E_clISt17integral_constantIbLb0EESY_EEDaST_SU_EUlST_E_NS1_11comp_targetILNS1_3genE8ELNS1_11target_archE1030ELNS1_3gpuE2ELNS1_3repE0EEENS1_30default_config_static_selectorELNS0_4arch9wavefront6targetE0EEEvT1_
	.p2align	8
	.type	_ZN7rocprim17ROCPRIM_400000_NS6detail17trampoline_kernelINS0_14default_configENS1_27scan_by_key_config_selectorIssEEZZNS1_16scan_by_key_implILNS1_25lookback_scan_determinismE0ELb0ES3_N6thrust23THRUST_200600_302600_NS6detail15normal_iteratorINS9_10device_ptrIsEEEESE_SE_sNS9_4plusIsEE19head_flag_predicatesEE10hipError_tPvRmT2_T3_T4_T5_mT6_T7_P12ihipStream_tbENKUlT_T0_E_clISt17integral_constantIbLb0EESY_EEDaST_SU_EUlST_E_NS1_11comp_targetILNS1_3genE8ELNS1_11target_archE1030ELNS1_3gpuE2ELNS1_3repE0EEENS1_30default_config_static_selectorELNS0_4arch9wavefront6targetE0EEEvT1_,@function
_ZN7rocprim17ROCPRIM_400000_NS6detail17trampoline_kernelINS0_14default_configENS1_27scan_by_key_config_selectorIssEEZZNS1_16scan_by_key_implILNS1_25lookback_scan_determinismE0ELb0ES3_N6thrust23THRUST_200600_302600_NS6detail15normal_iteratorINS9_10device_ptrIsEEEESE_SE_sNS9_4plusIsEE19head_flag_predicatesEE10hipError_tPvRmT2_T3_T4_T5_mT6_T7_P12ihipStream_tbENKUlT_T0_E_clISt17integral_constantIbLb0EESY_EEDaST_SU_EUlST_E_NS1_11comp_targetILNS1_3genE8ELNS1_11target_archE1030ELNS1_3gpuE2ELNS1_3repE0EEENS1_30default_config_static_selectorELNS0_4arch9wavefront6targetE0EEEvT1_: ; @_ZN7rocprim17ROCPRIM_400000_NS6detail17trampoline_kernelINS0_14default_configENS1_27scan_by_key_config_selectorIssEEZZNS1_16scan_by_key_implILNS1_25lookback_scan_determinismE0ELb0ES3_N6thrust23THRUST_200600_302600_NS6detail15normal_iteratorINS9_10device_ptrIsEEEESE_SE_sNS9_4plusIsEE19head_flag_predicatesEE10hipError_tPvRmT2_T3_T4_T5_mT6_T7_P12ihipStream_tbENKUlT_T0_E_clISt17integral_constantIbLb0EESY_EEDaST_SU_EUlST_E_NS1_11comp_targetILNS1_3genE8ELNS1_11target_archE1030ELNS1_3gpuE2ELNS1_3repE0EEENS1_30default_config_static_selectorELNS0_4arch9wavefront6targetE0EEEvT1_
; %bb.0:
	s_clause 0x4
	s_load_dwordx8 s[8:15], s[4:5], 0x0
	s_load_dwordx2 s[26:27], s[4:5], 0x38
	s_load_dword s2, s[4:5], 0x40
	s_load_dwordx4 s[20:23], s[4:5], 0x48
	s_load_dwordx4 s[16:19], s[4:5], 0x28
	s_mov_b32 s1, 0
	s_mul_i32 s0, s6, 0x280
	s_waitcnt lgkmcnt(0)
	s_barrier
	buffer_gl0_inv
	s_lshl_b64 s[24:25], s[10:11], 1
	s_add_u32 s5, s8, s24
	s_addc_u32 s7, s9, s25
	s_mul_i32 s3, s27, s2
	s_mul_hi_u32 s4, s26, s2
	s_add_u32 s8, s12, s24
	s_addc_u32 s9, s13, s25
	s_lshl_b64 s[12:13], s[0:1], 1
	s_add_i32 s4, s4, s3
	s_add_u32 s10, s5, s12
	s_addc_u32 s11, s7, s13
	s_mul_i32 s0, s26, s2
	s_add_u32 s29, s8, s12
	s_addc_u32 s30, s9, s13
	s_add_u32 s2, s0, s6
	s_addc_u32 s3, s4, 0
	s_add_u32 s4, s20, -1
	s_addc_u32 s5, s21, -1
	s_mul_i32 s28, s4, 0xfffffd80
	v_cmp_ge_u64_e64 s19, s[2:3], s[4:5]
	s_and_b32 vcc_lo, exec_lo, s19
	s_cbranch_vccz .LBB829_51
; %bb.1:
	v_mov_b32_e32 v1, s10
	v_mov_b32_e32 v2, s11
	s_add_i32 s20, s28, s18
	v_cmp_gt_u32_e64 s9, s20, v0
	flat_load_ushort v1, v[1:2]
	s_waitcnt vmcnt(0) lgkmcnt(0)
	v_mov_b32_e32 v2, v1
	s_and_saveexec_b32 s0, s9
	s_cbranch_execz .LBB829_3
; %bb.2:
	v_lshlrev_b32_e32 v2, 1, v0
	v_add_co_u32 v2, s1, s10, v2
	v_add_co_ci_u32_e64 v3, null, s11, 0, s1
	flat_load_ushort v2, v[2:3]
.LBB829_3:
	s_or_b32 exec_lo, exec_lo, s0
	v_or_b32_e32 v3, 64, v0
	v_cmp_gt_u32_e64 s8, s20, v3
	v_mov_b32_e32 v3, v1
	s_and_saveexec_b32 s0, s8
	s_cbranch_execz .LBB829_5
; %bb.4:
	v_lshlrev_b32_e32 v3, 1, v0
	v_add_co_u32 v3, s1, s10, v3
	v_add_co_ci_u32_e64 v4, null, s11, 0, s1
	flat_load_ushort v3, v[3:4] offset:128
.LBB829_5:
	s_or_b32 exec_lo, exec_lo, s0
	v_or_b32_e32 v4, 0x80, v0
	v_cmp_gt_u32_e64 s7, s20, v4
	v_mov_b32_e32 v4, v1
	s_and_saveexec_b32 s0, s7
	s_cbranch_execz .LBB829_7
; %bb.6:
	v_lshlrev_b32_e32 v4, 1, v0
	v_add_co_u32 v4, s1, s10, v4
	v_add_co_ci_u32_e64 v5, null, s11, 0, s1
	flat_load_ushort v4, v[4:5] offset:256
.LBB829_7:
	s_or_b32 exec_lo, exec_lo, s0
	v_or_b32_e32 v5, 0xc0, v0
	v_cmp_gt_u32_e64 s5, s20, v5
	v_mov_b32_e32 v5, v1
	s_and_saveexec_b32 s0, s5
	s_cbranch_execz .LBB829_9
; %bb.8:
	v_lshlrev_b32_e32 v5, 1, v0
	v_add_co_u32 v5, s1, s10, v5
	v_add_co_ci_u32_e64 v6, null, s11, 0, s1
	flat_load_ushort v5, v[5:6] offset:384
.LBB829_9:
	s_or_b32 exec_lo, exec_lo, s0
	v_or_b32_e32 v6, 0x100, v0
	v_cmp_gt_u32_e64 s4, s20, v6
	v_mov_b32_e32 v6, v1
	s_and_saveexec_b32 s0, s4
	s_cbranch_execz .LBB829_11
; %bb.10:
	v_lshlrev_b32_e32 v6, 1, v0
	v_add_co_u32 v6, s1, s10, v6
	v_add_co_ci_u32_e64 v7, null, s11, 0, s1
	flat_load_ushort v6, v[6:7] offset:512
.LBB829_11:
	s_or_b32 exec_lo, exec_lo, s0
	v_or_b32_e32 v7, 0x140, v0
	v_cmp_gt_u32_e64 s3, s20, v7
	v_mov_b32_e32 v7, v1
	s_and_saveexec_b32 s0, s3
	s_cbranch_execz .LBB829_13
; %bb.12:
	v_lshlrev_b32_e32 v7, 1, v0
	v_add_co_u32 v7, s1, s10, v7
	v_add_co_ci_u32_e64 v8, null, s11, 0, s1
	flat_load_ushort v7, v[7:8] offset:640
.LBB829_13:
	s_or_b32 exec_lo, exec_lo, s0
	v_or_b32_e32 v8, 0x180, v0
	v_cmp_gt_u32_e64 s2, s20, v8
	v_mov_b32_e32 v8, v1
	s_and_saveexec_b32 s0, s2
	s_cbranch_execz .LBB829_15
; %bb.14:
	v_lshlrev_b32_e32 v8, 1, v0
	v_add_co_u32 v8, s1, s10, v8
	v_add_co_ci_u32_e64 v9, null, s11, 0, s1
	flat_load_ushort v8, v[8:9] offset:768
.LBB829_15:
	s_or_b32 exec_lo, exec_lo, s0
	v_or_b32_e32 v9, 0x1c0, v0
	v_cmp_gt_u32_e64 s1, s20, v9
	v_mov_b32_e32 v9, v1
	s_and_saveexec_b32 s0, s1
	s_cbranch_execz .LBB829_17
; %bb.16:
	v_lshlrev_b32_e32 v9, 1, v0
	v_add_co_u32 v9, s21, s10, v9
	v_add_co_ci_u32_e64 v10, null, s11, 0, s21
	flat_load_ushort v9, v[9:10] offset:896
.LBB829_17:
	s_or_b32 exec_lo, exec_lo, s0
	v_or_b32_e32 v10, 0x200, v0
	v_cmp_gt_u32_e64 s0, s20, v10
	v_mov_b32_e32 v10, v1
	s_and_saveexec_b32 s21, s0
	s_cbranch_execz .LBB829_19
; %bb.18:
	v_lshlrev_b32_e32 v10, 1, v0
	v_add_co_u32 v10, s31, s10, v10
	v_add_co_ci_u32_e64 v11, null, s11, 0, s31
	flat_load_ushort v10, v[10:11] offset:1024
.LBB829_19:
	s_or_b32 exec_lo, exec_lo, s21
	v_or_b32_e32 v11, 0x240, v0
	v_cmp_gt_u32_e32 vcc_lo, s20, v11
	s_and_saveexec_b32 s21, vcc_lo
	s_cbranch_execz .LBB829_21
; %bb.20:
	v_lshlrev_b32_e32 v1, 1, v0
	v_add_co_u32 v11, s31, s10, v1
	v_add_co_ci_u32_e64 v12, null, s11, 0, s31
	flat_load_ushort v1, v[11:12] offset:1152
.LBB829_21:
	s_or_b32 exec_lo, exec_lo, s21
	v_lshlrev_b32_e32 v13, 1, v0
	s_waitcnt vmcnt(0) lgkmcnt(0)
	ds_write_b16 v13, v2
	ds_write_b16 v13, v3 offset:128
	ds_write_b16 v13, v4 offset:256
	;; [unrolled: 1-line block ×8, first 2 shown]
	v_mad_u32_u24 v23, v0, 18, v13
	ds_write_b16 v13, v1 offset:1152
	s_waitcnt lgkmcnt(0)
	s_barrier
	buffer_gl0_inv
	ds_read_b32 v24, v23 offset:16
	ds_read2_b32 v[11:12], v23 offset1:1
	ds_read2_b32 v[9:10], v23 offset0:2 offset1:3
	v_mov_b32_e32 v1, 0
	v_mad_i32_i24 v6, 0xffffffee, v0, v23
	v_mov_b32_e32 v2, v1
	v_mov_b32_e32 v3, v1
	;; [unrolled: 1-line block ×4, first 2 shown]
	s_waitcnt lgkmcnt(2)
	v_lshrrev_b32_e32 v22, 16, v24
	ds_write_b16 v6, v22 offset:1280
	s_waitcnt lgkmcnt(0)
	s_barrier
	buffer_gl0_inv
	s_barrier
	buffer_gl0_inv
	s_and_saveexec_b32 s21, s9
	s_cbranch_execnz .LBB829_175
; %bb.22:
	s_or_b32 exec_lo, exec_lo, s21
	s_and_saveexec_b32 s9, s8
	s_cbranch_execnz .LBB829_176
.LBB829_23:
	s_or_b32 exec_lo, exec_lo, s9
	s_and_saveexec_b32 s8, s7
	s_cbranch_execnz .LBB829_177
.LBB829_24:
	s_or_b32 exec_lo, exec_lo, s8
	s_and_saveexec_b32 s7, s5
	s_cbranch_execnz .LBB829_178
.LBB829_25:
	s_or_b32 exec_lo, exec_lo, s7
	s_and_saveexec_b32 s5, s4
	s_cbranch_execnz .LBB829_179
.LBB829_26:
	s_or_b32 exec_lo, exec_lo, s5
	s_and_saveexec_b32 s4, s3
	s_cbranch_execnz .LBB829_180
.LBB829_27:
	s_or_b32 exec_lo, exec_lo, s4
	s_and_saveexec_b32 s3, s2
	s_cbranch_execnz .LBB829_181
.LBB829_28:
	s_or_b32 exec_lo, exec_lo, s3
	s_and_saveexec_b32 s2, s1
	s_cbranch_execnz .LBB829_182
.LBB829_29:
	s_or_b32 exec_lo, exec_lo, s2
	s_and_saveexec_b32 s1, s0
	s_cbranch_execnz .LBB829_183
.LBB829_30:
	s_or_b32 exec_lo, exec_lo, s1
	v_mul_u32_u24_e32 v29, 10, v0
	s_and_saveexec_b32 s0, vcc_lo
	s_cbranch_execz .LBB829_32
.LBB829_31:
	v_add_co_u32 v6, s1, s29, v13
	v_add_co_ci_u32_e64 v7, null, s30, 0, s1
	s_waitcnt vmcnt(0) lgkmcnt(0)
	flat_load_short_d16_hi v5, v[6:7] offset:1152
.LBB829_32:
	s_or_b32 exec_lo, exec_lo, s0
	s_waitcnt vmcnt(0) lgkmcnt(0)
	ds_write_b16 v13, v1
	ds_write_b16_d16_hi v13, v1 offset:128
	ds_write_b16 v13, v2 offset:256
	ds_write_b16_d16_hi v13, v2 offset:384
	ds_write_b16 v13, v3 offset:512
	ds_write_b16_d16_hi v13, v3 offset:640
	ds_write_b16 v13, v4 offset:768
	ds_write_b16_d16_hi v13, v4 offset:896
	ds_write_b16 v13, v5 offset:1024
	ds_write_b16_d16_hi v13, v5 offset:1152
	v_cmp_gt_u32_e32 vcc_lo, s20, v29
	v_mov_b32_e32 v5, 0
	v_mov_b32_e32 v6, 0
	;; [unrolled: 1-line block ×17, first 2 shown]
	s_mov_b32 s0, 0
	s_mov_b32 s1, 0
	s_waitcnt lgkmcnt(0)
	s_barrier
	buffer_gl0_inv
                                        ; implicit-def: $vgpr7
	s_and_saveexec_b32 s2, vcc_lo
	s_cbranch_execz .LBB829_50
; %bb.33:
	ds_read_u16 v20, v23
	v_or_b32_e32 v1, 1, v29
	v_cmp_eq_u16_e32 vcc_lo, 0, v11
	v_mov_b32_e32 v5, 0
	v_mov_b32_e32 v6, 0
	;; [unrolled: 1-line block ×4, first 2 shown]
	v_cndmask_b32_e64 v26, 0x10000, 0, vcc_lo
	v_cmp_gt_u32_e32 vcc_lo, s20, v1
	v_mov_b32_e32 v27, 0
	v_mov_b32_e32 v28, 0
	;; [unrolled: 1-line block ×11, first 2 shown]
	s_mov_b32 s3, 0
                                        ; implicit-def: $vgpr7
	s_and_saveexec_b32 s1, vcc_lo
	s_cbranch_execz .LBB829_49
; %bb.34:
	ds_read_b128 v[1:4], v23 offset:2
	v_mov_b32_e32 v5, 0
	v_add_nc_u32_e32 v6, 2, v29
	v_mov_b32_e32 v8, 0
	v_mov_b32_e32 v25, 0
	;; [unrolled: 1-line block ×3, first 2 shown]
	v_cmp_eq_u16_sdwa s3, v11, v5 src0_sel:WORD_1 src1_sel:DWORD
	v_cmp_gt_u32_e32 vcc_lo, s20, v6
	v_mov_b32_e32 v6, 0
	v_mov_b32_e32 v28, 0
	;; [unrolled: 1-line block ×3, first 2 shown]
	v_cndmask_b32_e64 v11, 0x10000, 0, s3
	v_mov_b32_e32 v18, 0
	v_mov_b32_e32 v17, 0
	;; [unrolled: 1-line block ×6, first 2 shown]
	s_mov_b32 s4, 0
                                        ; implicit-def: $vgpr7
	s_and_saveexec_b32 s3, vcc_lo
	s_cbranch_execz .LBB829_48
; %bb.35:
	v_add_nc_u32_e32 v7, 3, v29
	v_cmp_eq_u16_e32 vcc_lo, 0, v12
	v_mov_b32_e32 v5, 0
	v_mov_b32_e32 v6, 0
	v_mov_b32_e32 v8, 0
	v_mov_b32_e32 v25, 0
	v_cndmask_b32_e64 v19, 0x10000, 0, vcc_lo
	v_cmp_gt_u32_e32 vcc_lo, s20, v7
	v_mov_b32_e32 v27, 0
	v_mov_b32_e32 v18, 0
	v_mov_b32_e32 v17, 0
	v_mov_b32_e32 v15, 0
	v_mov_b32_e32 v14, 0
	v_mov_b32_e32 v16, 0
	v_mov_b32_e32 v13, 0
	s_mov_b32 s5, 0
                                        ; implicit-def: $vgpr7
	s_and_saveexec_b32 s4, vcc_lo
	s_cbranch_execz .LBB829_47
; %bb.36:
	v_mov_b32_e32 v5, 0
	v_add_nc_u32_e32 v7, 4, v29
	v_mov_b32_e32 v6, 0
	v_mov_b32_e32 v8, 0
	;; [unrolled: 1-line block ×3, first 2 shown]
	v_cmp_eq_u16_sdwa s5, v12, v5 src0_sel:WORD_1 src1_sel:DWORD
	v_cmp_gt_u32_e32 vcc_lo, s20, v7
	v_mov_b32_e32 v17, 0
	v_mov_b32_e32 v15, 0
	;; [unrolled: 1-line block ×3, first 2 shown]
	v_cndmask_b32_e64 v12, 0x10000, 0, s5
	v_mov_b32_e32 v16, 0
	v_mov_b32_e32 v13, 0
	s_mov_b32 s7, 0
                                        ; implicit-def: $vgpr7
	s_and_saveexec_b32 s5, vcc_lo
	s_cbranch_execz .LBB829_46
; %bb.37:
	v_add_nc_u32_e32 v7, 5, v29
	v_cmp_eq_u16_e32 vcc_lo, 0, v9
	v_mov_b32_e32 v5, 0
	v_mov_b32_e32 v6, 0
	;; [unrolled: 1-line block ×4, first 2 shown]
	v_cndmask_b32_e64 v17, 0x10000, 0, vcc_lo
	v_cmp_gt_u32_e32 vcc_lo, s20, v7
	v_mov_b32_e32 v14, 0
	v_mov_b32_e32 v16, 0
	;; [unrolled: 1-line block ×3, first 2 shown]
	s_mov_b32 s8, 0
                                        ; implicit-def: $vgpr7
	s_and_saveexec_b32 s7, vcc_lo
	s_cbranch_execz .LBB829_45
; %bb.38:
	v_mov_b32_e32 v5, 0
	v_add_nc_u32_e32 v7, 6, v29
	v_mov_b32_e32 v6, 0
	v_mov_b32_e32 v14, 0
	;; [unrolled: 1-line block ×3, first 2 shown]
	v_cmp_eq_u16_sdwa s8, v9, v5 src0_sel:WORD_1 src1_sel:DWORD
	v_cmp_gt_u32_e32 vcc_lo, s20, v7
	s_mov_b32 s9, 0
                                        ; implicit-def: $vgpr7
	v_cndmask_b32_e64 v8, 0x10000, 0, s8
	s_and_saveexec_b32 s8, vcc_lo
	s_cbranch_execz .LBB829_44
; %bb.39:
	v_add_nc_u32_e32 v7, 7, v29
	v_cmp_eq_u16_e32 vcc_lo, 0, v10
	v_mov_b32_e32 v5, 0
	v_mov_b32_e32 v13, 0
	s_mov_b32 s21, 0
	v_cndmask_b32_e64 v6, 0x10000, 0, vcc_lo
	v_cmp_gt_u32_e32 vcc_lo, s20, v7
                                        ; implicit-def: $vgpr7
	s_and_saveexec_b32 s9, vcc_lo
	s_cbranch_execz .LBB829_43
; %bb.40:
	v_mov_b32_e32 v13, 0
	v_add_nc_u32_e32 v7, 8, v29
	v_cmp_eq_u16_sdwa s21, v10, v13 src0_sel:WORD_1 src1_sel:DWORD
	v_cmp_gt_u32_e32 vcc_lo, s20, v7
                                        ; implicit-def: $vgpr7
	v_cndmask_b32_e64 v5, 0x10000, 0, s21
	s_mov_b32 s21, 0
	s_and_saveexec_b32 s31, vcc_lo
	s_xor_b32 s31, exec_lo, s31
	s_cbranch_execz .LBB829_42
; %bb.41:
	ds_read_u16 v7, v23 offset:18
	v_cmp_eq_u16_e32 vcc_lo, 0, v24
	v_add_nc_u32_e32 v9, 9, v29
	v_cndmask_b32_e64 v10, 0x10000, 0, vcc_lo
	v_cmp_gt_u32_e32 vcc_lo, s20, v9
	s_waitcnt lgkmcnt(1)
	v_or_b32_sdwa v13, v10, v4 dst_sel:DWORD dst_unused:UNUSED_PAD src0_sel:DWORD src1_sel:WORD_1
	s_and_b32 s21, vcc_lo, exec_lo
.LBB829_42:
	s_or_b32 exec_lo, exec_lo, s31
	s_waitcnt lgkmcnt(0)
	v_and_or_b32 v5, 0xffff, v4, v5
	s_and_b32 s21, s21, exec_lo
.LBB829_43:
	s_or_b32 exec_lo, exec_lo, s9
	s_waitcnt lgkmcnt(0)
	v_or_b32_sdwa v6, v6, v3 dst_sel:DWORD dst_unused:UNUSED_PAD src0_sel:DWORD src1_sel:WORD_1
	s_and_b32 s9, s21, exec_lo
	v_mov_b32_e32 v14, v6
.LBB829_44:
	s_or_b32 exec_lo, exec_lo, s8
	s_waitcnt lgkmcnt(0)
	v_and_or_b32 v8, 0xffff, v3, v8
	v_mov_b32_e32 v16, v5
	s_and_b32 s8, s9, exec_lo
	v_mov_b32_e32 v15, v8
.LBB829_45:
	s_or_b32 exec_lo, exec_lo, s7
	s_waitcnt lgkmcnt(0)
	v_or_b32_sdwa v25, v17, v2 dst_sel:DWORD dst_unused:UNUSED_PAD src0_sel:DWORD src1_sel:WORD_1
	s_and_b32 s7, s8, exec_lo
	v_mov_b32_e32 v17, v25
.LBB829_46:
	s_or_b32 exec_lo, exec_lo, s5
	s_waitcnt lgkmcnt(0)
	v_and_or_b32 v27, 0xffff, v2, v12
	s_and_b32 s5, s7, exec_lo
	v_mov_b32_e32 v18, v27
.LBB829_47:
	s_or_b32 exec_lo, exec_lo, s4
	s_waitcnt lgkmcnt(0)
	v_or_b32_sdwa v28, v19, v1 dst_sel:DWORD dst_unused:UNUSED_PAD src0_sel:DWORD src1_sel:WORD_1
	s_and_b32 s4, s5, exec_lo
	v_mov_b32_e32 v19, v28
.LBB829_48:
	s_or_b32 exec_lo, exec_lo, s3
	s_waitcnt lgkmcnt(0)
	v_and_or_b32 v1, 0xffff, v1, v11
	s_and_b32 s3, s4, exec_lo
	v_mov_b32_e32 v21, v1
.LBB829_49:
	s_or_b32 exec_lo, exec_lo, s1
	s_waitcnt lgkmcnt(0)
	v_or_b32_e32 v2, v26, v20
	s_and_b32 s1, s3, exec_lo
	v_mov_b32_e32 v20, v2
.LBB829_50:
	s_or_b32 exec_lo, exec_lo, s2
	v_lshlrev_b32_e32 v9, 1, v0
	s_and_b32 vcc_lo, exec_lo, s0
	s_cbranch_vccnz .LBB829_52
	s_branch .LBB829_53
.LBB829_51:
                                        ; implicit-def: $vgpr5
                                        ; implicit-def: $vgpr6
                                        ; implicit-def: $vgpr8
                                        ; implicit-def: $vgpr25
                                        ; implicit-def: $vgpr27
                                        ; implicit-def: $vgpr28
                                        ; implicit-def: $vgpr1
                                        ; implicit-def: $vgpr2
                                        ; implicit-def: $vgpr22
                                        ; implicit-def: $vgpr7
                                        ; implicit-def: $vgpr20
                                        ; implicit-def: $vgpr21
                                        ; implicit-def: $vgpr19
                                        ; implicit-def: $vgpr18
                                        ; implicit-def: $vgpr17
                                        ; implicit-def: $vgpr15
                                        ; implicit-def: $vgpr14
                                        ; implicit-def: $vgpr16
                                        ; implicit-def: $vgpr13
	v_lshlrev_b32_e32 v9, 1, v0
	s_cbranch_execz .LBB829_53
.LBB829_52:
	v_add_co_u32 v1, s0, s10, v9
	v_add_co_ci_u32_e64 v2, null, s11, 0, s0
	v_mad_u32_u24 v13, v0, 18, v9
	v_mov_b32_e32 v19, 0
	s_or_b32 s1, s1, exec_lo
	s_clause 0x9
	flat_load_ushort v3, v[1:2]
	flat_load_ushort v4, v[1:2] offset:128
	flat_load_ushort v5, v[1:2] offset:256
	;; [unrolled: 1-line block ×9, first 2 shown]
	s_waitcnt vmcnt(9) lgkmcnt(9)
	ds_write_b16 v9, v3
	s_waitcnt vmcnt(8) lgkmcnt(9)
	ds_write_b16 v9, v4 offset:128
	s_waitcnt vmcnt(7) lgkmcnt(9)
	ds_write_b16 v9, v5 offset:256
	;; [unrolled: 2-line block ×9, first 2 shown]
	s_waitcnt lgkmcnt(0)
	s_barrier
	buffer_gl0_inv
	ds_read_b32 v7, v13 offset:16
	v_add_co_u32 v5, s0, s29, v9
	v_mad_i32_i24 v8, 0xffffffee, v0, v13
	v_add_co_ci_u32_e64 v6, null, s30, 0, s0
	ds_read2_b32 v[1:2], v13 offset1:1
	ds_read2_b32 v[3:4], v13 offset0:2 offset1:3
	s_waitcnt lgkmcnt(2)
	v_lshrrev_b32_e32 v22, 16, v7
	ds_write_b16 v8, v22 offset:1280
	s_waitcnt lgkmcnt(0)
	s_barrier
	buffer_gl0_inv
	s_barrier
	buffer_gl0_inv
	s_clause 0x9
	flat_load_ushort v8, v[5:6]
	flat_load_ushort v10, v[5:6] offset:128
	flat_load_ushort v11, v[5:6] offset:256
	;; [unrolled: 1-line block ×9, first 2 shown]
	v_cmp_eq_u16_e32 vcc_lo, 0, v1
	v_cmp_eq_u16_sdwa s0, v1, v19 src0_sel:WORD_1 src1_sel:DWORD
	s_waitcnt vmcnt(9) lgkmcnt(9)
	ds_write_b16 v9, v8
	s_waitcnt vmcnt(8) lgkmcnt(9)
	ds_write_b16 v9, v10 offset:128
	s_waitcnt vmcnt(7) lgkmcnt(9)
	ds_write_b16 v9, v11 offset:256
	;; [unrolled: 2-line block ×9, first 2 shown]
	s_waitcnt lgkmcnt(0)
	s_barrier
	buffer_gl0_inv
	ds_read2_b32 v[5:6], v13 offset1:1
	ds_read_b32 v12, v13 offset:16
	ds_read2_b32 v[10:11], v13 offset0:2 offset1:3
	v_cndmask_b32_e64 v8, 0x10000, 0, vcc_lo
	v_cndmask_b32_e64 v1, 0x10000, 0, s0
	v_cmp_eq_u16_e32 vcc_lo, 0, v2
	v_cmp_eq_u16_sdwa s0, v2, v19 src0_sel:WORD_1 src1_sel:DWORD
	v_cndmask_b32_e64 v13, 0x10000, 0, vcc_lo
	v_cndmask_b32_e64 v14, 0x10000, 0, s0
	v_cmp_eq_u16_e32 vcc_lo, 0, v3
	v_cmp_eq_u16_sdwa s0, v3, v19 src0_sel:WORD_1 src1_sel:DWORD
	;; [unrolled: 4-line block ×3, first 2 shown]
	s_waitcnt lgkmcnt(2)
	v_or_b32_sdwa v1, v1, v5 dst_sel:DWORD dst_unused:UNUSED_PAD src0_sel:DWORD src1_sel:WORD_1
	v_or_b32_sdwa v2, v8, v5 dst_sel:DWORD dst_unused:UNUSED_PAD src0_sel:DWORD src1_sel:WORD_0
	v_or_b32_sdwa v27, v14, v6 dst_sel:DWORD dst_unused:UNUSED_PAD src0_sel:DWORD src1_sel:WORD_1
	v_cndmask_b32_e64 v16, 0x10000, 0, vcc_lo
	v_cndmask_b32_e64 v4, 0x10000, 0, s0
	v_cmp_eq_u16_e32 vcc_lo, 0, v7
	v_or_b32_sdwa v28, v13, v6 dst_sel:DWORD dst_unused:UNUSED_PAD src0_sel:DWORD src1_sel:WORD_0
	s_waitcnt lgkmcnt(0)
	v_or_b32_sdwa v8, v3, v10 dst_sel:DWORD dst_unused:UNUSED_PAD src0_sel:DWORD src1_sel:WORD_1
	v_or_b32_sdwa v25, v15, v10 dst_sel:DWORD dst_unused:UNUSED_PAD src0_sel:DWORD src1_sel:WORD_0
	v_or_b32_sdwa v5, v4, v11 dst_sel:DWORD dst_unused:UNUSED_PAD src0_sel:DWORD src1_sel:WORD_1
	v_cndmask_b32_e64 v17, 0x10000, 0, vcc_lo
	v_or_b32_sdwa v6, v16, v11 dst_sel:DWORD dst_unused:UNUSED_PAD src0_sel:DWORD src1_sel:WORD_0
	v_lshrrev_b32_e32 v7, 16, v12
	v_mov_b32_e32 v20, v2
	v_mov_b32_e32 v21, v1
	v_and_or_b32 v13, 0xffff, v12, v17
	v_mov_b32_e32 v19, v28
	v_mov_b32_e32 v18, v27
	;; [unrolled: 1-line block ×6, first 2 shown]
.LBB829_53:
	v_mov_b32_e32 v10, 0
	s_and_saveexec_b32 s0, s1
	s_cbranch_execz .LBB829_55
; %bb.54:
	v_cmp_eq_u16_e32 vcc_lo, 0, v22
	v_mov_b32_e32 v16, v5
	v_mov_b32_e32 v14, v6
	v_mov_b32_e32 v15, v8
	v_mov_b32_e32 v17, v25
	v_cndmask_b32_e64 v3, 0x10000, 0, vcc_lo
	v_mov_b32_e32 v18, v27
	v_mov_b32_e32 v19, v28
	;; [unrolled: 1-line block ×4, first 2 shown]
	v_or_b32_sdwa v10, v3, v7 dst_sel:DWORD dst_unused:UNUSED_PAD src0_sel:DWORD src1_sel:WORD_0
.LBB829_55:
	s_or_b32 exec_lo, exec_lo, s0
	v_or3_b32 v1, v16, v13, v14
	v_cmp_gt_u32_e64 s9, 0x10000, v21
	v_cmp_gt_u32_e64 s8, 0x10000, v19
	;; [unrolled: 1-line block ×8, first 2 shown]
	v_or3_b32 v12, v1, v15, v17
	v_cmp_gt_u32_e64 s1, 0x10000, v10
	v_lshrrev_b32_e32 v11, 3, v0
	s_cmp_lg_u32 s6, 0
	v_cmp_gt_u32_e32 vcc_lo, 32, v0
	s_barrier
	buffer_gl0_inv
	s_cbranch_scc0 .LBB829_105
; %bb.56:
	v_cndmask_b32_e64 v1, 0, v20, s9
	v_or3_b32 v2, v12, v18, v19
	v_and_b32_e32 v3, 4, v11
	v_lshrrev_b32_e32 v22, 16, v20
	v_add_nc_u16 v1, v1, v21
	v_or3_b32 v2, v2, v21, v10
	v_lshl_add_u32 v3, v0, 2, v3
	v_cndmask_b32_e64 v1, 0, v1, s8
	v_and_b32_e32 v2, 0xff0000, v2
	v_add_nc_u16 v1, v1, v19
	v_cmp_eq_u32_e64 s10, 0, v2
	v_cndmask_b32_e64 v1, 0, v1, s7
	v_cndmask_b32_e64 v23, 1, v22, s10
	v_add_nc_u16 v1, v1, v18
	v_cndmask_b32_e64 v1, 0, v1, s5
	v_add_nc_u16 v1, v1, v17
	;; [unrolled: 2-line block ×7, first 2 shown]
	ds_write_b8 v3, v23 offset:2
	ds_write_b16 v3, v24
	s_waitcnt lgkmcnt(0)
	s_barrier
	buffer_gl0_inv
	s_and_saveexec_b32 s11, vcc_lo
	s_cbranch_execz .LBB829_68
; %bb.57:
	v_lshrrev_b32_e32 v1, 2, v0
	v_lshlrev_b32_e32 v2, 3, v0
	s_mov_b32 s20, exec_lo
	v_and_b32_e32 v1, 12, v1
	v_add_nc_u32_e32 v1, v1, v2
	ds_read_u8 v3, v1 offset:6
	ds_read_b32 v2, v1
	ds_read_u16 v4, v1 offset:4
	s_waitcnt lgkmcnt(2)
	v_cmp_eq_u16_e64 s10, 0, v3
	v_and_b32_e32 v6, 1, v3
	s_waitcnt lgkmcnt(1)
	v_and_b32_e32 v3, 0x10000, v2
	v_cndmask_b32_e64 v5, 0, v2, s10
	v_cmp_eq_u32_e64 s10, 1, v6
	v_mbcnt_lo_u32_b32 v6, -1, 0
	s_waitcnt lgkmcnt(0)
	v_add_nc_u16 v5, v5, v4
	v_and_b32_e32 v4, 0xff000000, v2
	v_cndmask_b32_e64 v7, v3, 0x10000, s10
	v_and_b32_e32 v8, 0xffff, v5
	v_or_b32_e32 v25, v7, v4
	v_or3_b32 v26, v4, v8, v7
	v_and_b32_e32 v7, 15, v6
	v_lshrrev_b32_e32 v8, 16, v25
	v_mov_b32_dpp v27, v26 row_shr:1 row_mask:0xf bank_mask:0xf
	v_cmpx_ne_u32_e32 0, v7
	s_cbranch_execz .LBB829_59
; %bb.58:
	v_mov_b32_e32 v8, 0xff
	v_mov_b32_e32 v26, 1
	v_and_b32_sdwa v8, v25, v8 dst_sel:DWORD dst_unused:UNUSED_PAD src0_sel:WORD_1 src1_sel:DWORD
	v_and_b32_e32 v25, 0x10000, v25
	v_and_b32_sdwa v26, v27, v26 dst_sel:DWORD dst_unused:UNUSED_PAD src0_sel:WORD_1 src1_sel:DWORD
	v_cmp_eq_u16_e64 s10, 0, v8
	v_cndmask_b32_e64 v27, 0, v27, s10
	v_cmp_ne_u32_e64 s10, 0, v25
	v_add_nc_u16 v5, v27, v5
	v_cndmask_b32_e64 v8, v26, 1, s10
	v_and_b32_e32 v26, 0xffff, v5
	v_lshlrev_b32_e32 v25, 16, v8
	v_or3_b32 v26, v25, v26, v4
.LBB829_59:
	s_or_b32 exec_lo, exec_lo, s20
	v_lshrrev_b32_e32 v25, 16, v26
	v_mov_b32_dpp v27, v26 row_shr:2 row_mask:0xf bank_mask:0xf
	s_mov_b32 s20, exec_lo
	v_cmpx_lt_u32_e32 1, v7
	s_cbranch_execz .LBB829_61
; %bb.60:
	v_mov_b32_e32 v28, 0
	v_mov_b32_e32 v8, 1
	v_and_b32_e32 v26, 0x10000, v26
	v_cmp_eq_u16_sdwa s10, v25, v28 src0_sel:BYTE_0 src1_sel:DWORD
	v_and_b32_sdwa v8, v27, v8 dst_sel:DWORD dst_unused:UNUSED_PAD src0_sel:WORD_1 src1_sel:DWORD
	v_cndmask_b32_e64 v25, 0, v27, s10
	v_cmp_ne_u32_e64 s10, 0, v26
	v_add_nc_u16 v5, v25, v5
	v_cndmask_b32_e64 v8, v8, 1, s10
	v_and_b32_e32 v26, 0xffff, v5
	v_lshlrev_b32_e32 v25, 16, v8
	v_or3_b32 v26, v25, v26, v4
	v_mov_b32_e32 v25, v8
.LBB829_61:
	s_or_b32 exec_lo, exec_lo, s20
	v_mov_b32_dpp v27, v26 row_shr:4 row_mask:0xf bank_mask:0xf
	s_mov_b32 s20, exec_lo
	v_cmpx_lt_u32_e32 3, v7
	s_cbranch_execz .LBB829_63
; %bb.62:
	v_mov_b32_e32 v26, 0
	v_mov_b32_e32 v8, 1
	v_and_b32_e32 v28, 1, v25
	v_cmp_eq_u16_sdwa s10, v25, v26 src0_sel:BYTE_0 src1_sel:DWORD
	v_and_b32_sdwa v8, v27, v8 dst_sel:DWORD dst_unused:UNUSED_PAD src0_sel:WORD_1 src1_sel:DWORD
	v_cndmask_b32_e64 v25, 0, v27, s10
	v_cmp_eq_u32_e64 s10, 1, v28
	v_add_nc_u16 v5, v25, v5
	v_cndmask_b32_e64 v8, v8, 1, s10
	v_and_b32_e32 v26, 0xffff, v5
	v_lshlrev_b32_e32 v25, 16, v8
	v_or3_b32 v26, v25, v26, v4
	v_mov_b32_e32 v25, v8
.LBB829_63:
	s_or_b32 exec_lo, exec_lo, s20
	v_mov_b32_dpp v27, v26 row_shr:8 row_mask:0xf bank_mask:0xf
	s_mov_b32 s20, exec_lo
	v_cmpx_lt_u32_e32 7, v7
	s_cbranch_execz .LBB829_65
; %bb.64:
	v_mov_b32_e32 v8, 0
	v_mov_b32_e32 v7, 1
	v_and_b32_e32 v26, 1, v25
	v_cmp_eq_u16_sdwa s10, v25, v8 src0_sel:BYTE_0 src1_sel:DWORD
	v_and_b32_sdwa v7, v27, v7 dst_sel:DWORD dst_unused:UNUSED_PAD src0_sel:WORD_1 src1_sel:DWORD
	v_cndmask_b32_e64 v25, 0, v27, s10
	v_cmp_eq_u32_e64 s10, 1, v26
	v_add_nc_u16 v5, v25, v5
	v_cndmask_b32_e64 v8, v7, 1, s10
	v_and_b32_e32 v25, 0xffff, v5
	v_lshlrev_b32_e32 v7, 16, v8
	v_or3_b32 v26, v7, v25, v4
	v_mov_b32_e32 v25, v8
.LBB829_65:
	s_or_b32 exec_lo, exec_lo, s20
	ds_swizzle_b32 v7, v26 offset:swizzle(BROADCAST,32,15)
	v_and_b32_e32 v26, 16, v6
	s_mov_b32 s20, exec_lo
	v_cmpx_ne_u32_e32 0, v26
	s_cbranch_execz .LBB829_67
; %bb.66:
	v_mov_b32_e32 v8, 0
	v_mov_b32_e32 v26, 1
	v_cmp_eq_u16_sdwa s10, v25, v8 src0_sel:BYTE_0 src1_sel:DWORD
	v_and_b32_e32 v25, 1, v25
	s_waitcnt lgkmcnt(0)
	v_cndmask_b32_e64 v8, 0, v7, s10
	v_and_b32_sdwa v7, v7, v26 dst_sel:DWORD dst_unused:UNUSED_PAD src0_sel:WORD_1 src1_sel:DWORD
	v_cmp_eq_u32_e64 s10, 1, v25
	v_add_nc_u16 v5, v8, v5
	v_cndmask_b32_e64 v8, v7, 1, s10
.LBB829_67:
	s_or_b32 exec_lo, exec_lo, s20
	s_waitcnt lgkmcnt(0)
	v_and_b32_e32 v7, 0xff, v8
	v_add_nc_u32_e32 v8, -1, v6
	v_and_b32_e32 v5, 0xffff, v5
	; wave barrier
	v_lshlrev_b32_e32 v7, 16, v7
	v_cmp_gt_i32_e64 s10, 0, v8
	v_or3_b32 v4, v7, v5, v4
	v_cndmask_b32_e64 v6, v8, v6, s10
	v_lshlrev_b32_e32 v5, 2, v6
	v_mov_b32_e32 v6, 1
	ds_bpermute_b32 v4, v5, v4
	v_and_b32_e32 v5, 0xff0000, v2
	v_cmp_eq_u32_e64 s10, 0, v5
	s_waitcnt lgkmcnt(0)
	v_cndmask_b32_e64 v5, 0, v4, s10
	v_and_b32_sdwa v4, v4, v6 dst_sel:DWORD dst_unused:UNUSED_PAD src0_sel:WORD_1 src1_sel:DWORD
	v_cmp_eq_u32_e64 s10, 0, v3
	v_add_nc_u16 v2, v5, v2
	v_cndmask_b32_e64 v3, 1, v4, s10
	v_cmp_eq_u32_e64 s10, 0, v0
	v_cndmask_b32_e64 v2, v2, v24, s10
	v_cndmask_b32_e64 v3, v3, v23, s10
	ds_write_b16 v1, v2
	ds_write_b8 v1, v3 offset:2
	; wave barrier
	ds_read_u8 v4, v1 offset:6
	ds_read_u16 v5, v1 offset:4
	s_waitcnt lgkmcnt(1)
	v_cmp_eq_u16_e64 s10, 0, v4
	v_and_b32_e32 v4, 1, v4
	v_cndmask_b32_e64 v2, 0, v2, s10
	v_cmp_eq_u32_e64 s10, 1, v4
	s_waitcnt lgkmcnt(0)
	v_add_nc_u16 v2, v2, v5
	v_cndmask_b32_e64 v3, v3, 1, s10
	ds_write_b16 v1, v2 offset:4
	ds_write_b8 v1, v3 offset:6
.LBB829_68:
	s_or_b32 exec_lo, exec_lo, s11
	v_cmp_eq_u32_e64 s10, 0, v0
	s_mov_b32 s20, exec_lo
	s_waitcnt lgkmcnt(0)
	s_barrier
	buffer_gl0_inv
	v_cmpx_ne_u32_e32 0, v0
	s_cbranch_execz .LBB829_70
; %bb.69:
	v_add_nc_u32_e32 v1, -1, v0
	v_lshrrev_b32_e32 v2, 3, v1
	v_and_b32_e32 v2, 0x1ffffffc, v2
	v_lshl_add_u32 v1, v1, 2, v2
	ds_read_u16 v24, v1
	ds_read_u8 v23, v1 offset:2
.LBB829_70:
	s_or_b32 exec_lo, exec_lo, s20
	s_and_saveexec_b32 s29, vcc_lo
	s_cbranch_execz .LBB829_110
; %bb.71:
	v_mov_b32_e32 v6, 0
	v_mbcnt_lo_u32_b32 v25, -1, 0
	s_mov_b32 s21, 0
	ds_read_b32 v1, v6 offset:256
	v_cmp_eq_u32_e64 s11, 0, v25
	s_and_saveexec_b32 s30, s11
	s_cbranch_execz .LBB829_73
; %bb.72:
	s_add_i32 s20, s6, 32
	v_mov_b32_e32 v2, 1
	s_lshl_b64 s[20:21], s[20:21], 3
	s_add_u32 s20, s16, s20
	s_addc_u32 s21, s17, s21
	s_waitcnt lgkmcnt(0)
	global_store_dwordx2 v6, v[1:2], s[20:21]
.LBB829_73:
	s_or_b32 exec_lo, exec_lo, s30
	v_xad_u32 v2, v25, -1, s6
	v_add_nc_u32_e32 v5, 32, v2
	v_lshlrev_b64 v[3:4], 3, v[5:6]
	v_add_co_u32 v7, vcc_lo, s16, v3
	v_add_co_ci_u32_e64 v8, null, s17, v4, vcc_lo
	global_load_dwordx2 v[4:5], v[7:8], off glc dlc
	s_waitcnt vmcnt(0)
	v_cmp_eq_u16_sdwa s21, v5, v6 src0_sel:BYTE_0 src1_sel:DWORD
	s_and_saveexec_b32 s20, s21
	s_cbranch_execz .LBB829_77
; %bb.74:
	v_mov_b32_e32 v3, 0
	s_mov_b32 s21, 0
.LBB829_75:                             ; =>This Inner Loop Header: Depth=1
	global_load_dwordx2 v[4:5], v[7:8], off glc dlc
	s_waitcnt vmcnt(0)
	v_cmp_ne_u16_sdwa s30, v5, v3 src0_sel:BYTE_0 src1_sel:DWORD
	s_or_b32 s21, s30, s21
	s_andn2_b32 exec_lo, exec_lo, s21
	s_cbranch_execnz .LBB829_75
; %bb.76:
	s_or_b32 exec_lo, exec_lo, s21
.LBB829_77:
	s_or_b32 exec_lo, exec_lo, s20
	v_cmp_ne_u32_e32 vcc_lo, 31, v25
	v_and_b32_e32 v33, 0xffffff, v4
	v_mov_b32_e32 v6, 2
	v_lshlrev_b32_e64 v26, v25, -1
	v_bfe_u32 v7, v4, 16, 8
	v_add_co_ci_u32_e64 v3, null, 0, v25, vcc_lo
	v_cmp_eq_u16_sdwa s20, v5, v6 src0_sel:BYTE_0 src1_sel:DWORD
	v_lshrrev_b32_e32 v6, 16, v4
	v_lshlrev_b32_e32 v8, 2, v3
	v_and_or_b32 v3, s20, v26, 0x80000000
	s_mov_b32 s20, exec_lo
	ds_bpermute_b32 v27, v8, v33
	v_ffbl_b32_e32 v3, v3
	v_cmpx_lt_u32_e64 v25, v3
	s_cbranch_execz .LBB829_79
; %bb.78:
	v_and_b32_e32 v6, 0xff0000, v4
	v_mov_b32_e32 v7, 1
	v_and_b32_e32 v28, 0x10000, v6
	v_cmp_eq_u32_e32 vcc_lo, 0, v6
	s_waitcnt lgkmcnt(0)
	v_and_b32_sdwa v7, v27, v7 dst_sel:DWORD dst_unused:UNUSED_PAD src0_sel:WORD_1 src1_sel:DWORD
	v_cndmask_b32_e32 v27, 0, v27, vcc_lo
	v_cmp_ne_u32_e32 vcc_lo, 0, v28
	v_add_nc_u16 v4, v27, v4
	v_cndmask_b32_e64 v6, v7, 1, vcc_lo
	v_lshlrev_b32_e32 v7, 16, v6
	v_or_b32_sdwa v33, v7, v4 dst_sel:DWORD dst_unused:UNUSED_PAD src0_sel:DWORD src1_sel:WORD_0
	v_mov_b32_e32 v7, v6
.LBB829_79:
	s_or_b32 exec_lo, exec_lo, s20
	v_cmp_gt_u32_e32 vcc_lo, 30, v25
	v_add_nc_u32_e32 v28, 2, v25
	s_mov_b32 s20, exec_lo
	s_waitcnt lgkmcnt(0)
	v_cndmask_b32_e64 v27, 0, 2, vcc_lo
	v_add_lshl_u32 v27, v27, v25, 2
	ds_bpermute_b32 v29, v27, v33
	v_cmpx_le_u32_e64 v28, v3
	s_cbranch_execz .LBB829_81
; %bb.80:
	v_mov_b32_e32 v6, 1
	v_and_b32_e32 v30, 1, v7
	v_cmp_eq_u16_e32 vcc_lo, 0, v7
	s_waitcnt lgkmcnt(0)
	v_and_b32_sdwa v6, v29, v6 dst_sel:DWORD dst_unused:UNUSED_PAD src0_sel:WORD_1 src1_sel:DWORD
	v_cndmask_b32_e32 v7, 0, v29, vcc_lo
	v_cmp_eq_u32_e32 vcc_lo, 1, v30
	v_add_nc_u16 v4, v7, v4
	v_cndmask_b32_e64 v6, v6, 1, vcc_lo
	v_lshlrev_b32_e32 v7, 16, v6
	v_or_b32_sdwa v33, v7, v4 dst_sel:DWORD dst_unused:UNUSED_PAD src0_sel:DWORD src1_sel:WORD_0
	v_mov_b32_e32 v7, v6
.LBB829_81:
	s_or_b32 exec_lo, exec_lo, s20
	v_cmp_gt_u32_e32 vcc_lo, 28, v25
	v_add_nc_u32_e32 v30, 4, v25
	s_mov_b32 s20, exec_lo
	s_waitcnt lgkmcnt(0)
	v_cndmask_b32_e64 v29, 0, 4, vcc_lo
	v_add_lshl_u32 v29, v29, v25, 2
	ds_bpermute_b32 v31, v29, v33
	v_cmpx_le_u32_e64 v30, v3
	s_cbranch_execz .LBB829_83
; %bb.82:
	v_mov_b32_e32 v6, 1
	v_and_b32_e32 v32, 1, v7
	v_cmp_eq_u16_e32 vcc_lo, 0, v7
	s_waitcnt lgkmcnt(0)
	v_and_b32_sdwa v6, v31, v6 dst_sel:DWORD dst_unused:UNUSED_PAD src0_sel:WORD_1 src1_sel:DWORD
	v_cndmask_b32_e32 v7, 0, v31, vcc_lo
	v_cmp_eq_u32_e32 vcc_lo, 1, v32
	v_add_nc_u16 v4, v7, v4
	v_cndmask_b32_e64 v6, v6, 1, vcc_lo
	v_lshlrev_b32_e32 v7, 16, v6
	v_or_b32_sdwa v33, v7, v4 dst_sel:DWORD dst_unused:UNUSED_PAD src0_sel:DWORD src1_sel:WORD_0
	v_mov_b32_e32 v7, v6
.LBB829_83:
	s_or_b32 exec_lo, exec_lo, s20
	v_cmp_gt_u32_e32 vcc_lo, 24, v25
	v_add_nc_u32_e32 v32, 8, v25
	s_mov_b32 s20, exec_lo
	s_waitcnt lgkmcnt(0)
	v_cndmask_b32_e64 v31, 0, 8, vcc_lo
	v_add_lshl_u32 v31, v31, v25, 2
	ds_bpermute_b32 v34, v31, v33
	v_cmpx_le_u32_e64 v32, v3
	s_cbranch_execz .LBB829_85
; %bb.84:
	v_mov_b32_e32 v6, 1
	v_and_b32_e32 v33, 1, v7
	v_cmp_eq_u16_e32 vcc_lo, 0, v7
	s_waitcnt lgkmcnt(0)
	v_and_b32_sdwa v6, v34, v6 dst_sel:DWORD dst_unused:UNUSED_PAD src0_sel:WORD_1 src1_sel:DWORD
	v_cndmask_b32_e32 v7, 0, v34, vcc_lo
	v_cmp_eq_u32_e32 vcc_lo, 1, v33
	v_add_nc_u16 v4, v7, v4
	v_cndmask_b32_e64 v6, v6, 1, vcc_lo
	v_lshlrev_b32_e32 v7, 16, v6
	v_or_b32_sdwa v33, v7, v4 dst_sel:DWORD dst_unused:UNUSED_PAD src0_sel:DWORD src1_sel:WORD_0
	v_mov_b32_e32 v7, v6
.LBB829_85:
	s_or_b32 exec_lo, exec_lo, s20
	v_lshl_or_b32 v35, v25, 2, 64
	v_add_nc_u32_e32 v36, 16, v25
	s_mov_b32 s20, exec_lo
	ds_bpermute_b32 v33, v35, v33
	v_cmpx_le_u32_e64 v36, v3
	s_cbranch_execz .LBB829_87
; %bb.86:
	v_mov_b32_e32 v3, 1
	v_cmp_eq_u16_e32 vcc_lo, 0, v7
	v_and_b32_e32 v7, 1, v7
	s_waitcnt lgkmcnt(0)
	v_and_b32_sdwa v3, v33, v3 dst_sel:DWORD dst_unused:UNUSED_PAD src0_sel:WORD_1 src1_sel:DWORD
	v_cndmask_b32_e32 v6, 0, v33, vcc_lo
	v_cmp_eq_u32_e32 vcc_lo, 1, v7
	v_add_nc_u16 v4, v6, v4
	v_cndmask_b32_e64 v6, v3, 1, vcc_lo
.LBB829_87:
	s_or_b32 exec_lo, exec_lo, s20
	v_mov_b32_e32 v3, 0
	v_mov_b32_e32 v37, 2
	;; [unrolled: 1-line block ×3, first 2 shown]
	s_branch .LBB829_90
.LBB829_88:                             ;   in Loop: Header=BB829_90 Depth=1
	s_or_b32 exec_lo, exec_lo, s20
	v_cmp_eq_u16_sdwa vcc_lo, v33, v3 src0_sel:BYTE_0 src1_sel:DWORD
	v_and_b32_e32 v6, 1, v33
	v_and_b32_e32 v7, 1, v7
	v_subrev_nc_u32_e32 v2, 32, v2
	s_mov_b32 s20, 0
	v_cndmask_b32_e32 v4, 0, v4, vcc_lo
	v_cmp_eq_u32_e32 vcc_lo, 1, v6
	v_add_nc_u16 v4, v4, v34
	v_cndmask_b32_e64 v6, v7, 1, vcc_lo
.LBB829_89:                             ;   in Loop: Header=BB829_90 Depth=1
	s_and_b32 vcc_lo, exec_lo, s20
	s_cbranch_vccnz .LBB829_106
.LBB829_90:                             ; =>This Loop Header: Depth=1
                                        ;     Child Loop BB829_93 Depth 2
	v_cmp_ne_u16_sdwa s20, v5, v37 src0_sel:BYTE_0 src1_sel:DWORD
	s_waitcnt lgkmcnt(0)
	v_mov_b32_e32 v33, v6
	v_mov_b32_e32 v34, v4
                                        ; implicit-def: $vgpr6
                                        ; implicit-def: $vgpr4
	s_cmp_lg_u32 s20, exec_lo
	s_mov_b32 s20, -1
	s_cbranch_scc1 .LBB829_89
; %bb.91:                               ;   in Loop: Header=BB829_90 Depth=1
	v_lshlrev_b64 v[4:5], 3, v[2:3]
	v_add_co_u32 v6, vcc_lo, s16, v4
	v_add_co_ci_u32_e64 v7, null, s17, v5, vcc_lo
	global_load_dwordx2 v[4:5], v[6:7], off glc dlc
	s_waitcnt vmcnt(0)
	v_cmp_eq_u16_sdwa s21, v5, v3 src0_sel:BYTE_0 src1_sel:DWORD
	s_and_saveexec_b32 s20, s21
	s_cbranch_execz .LBB829_95
; %bb.92:                               ;   in Loop: Header=BB829_90 Depth=1
	s_mov_b32 s21, 0
.LBB829_93:                             ;   Parent Loop BB829_90 Depth=1
                                        ; =>  This Inner Loop Header: Depth=2
	global_load_dwordx2 v[4:5], v[6:7], off glc dlc
	s_waitcnt vmcnt(0)
	v_cmp_ne_u16_sdwa s30, v5, v3 src0_sel:BYTE_0 src1_sel:DWORD
	s_or_b32 s21, s30, s21
	s_andn2_b32 exec_lo, exec_lo, s21
	s_cbranch_execnz .LBB829_93
; %bb.94:                               ;   in Loop: Header=BB829_90 Depth=1
	s_or_b32 exec_lo, exec_lo, s21
.LBB829_95:                             ;   in Loop: Header=BB829_90 Depth=1
	s_or_b32 exec_lo, exec_lo, s20
	v_and_b32_e32 v40, 0xffffff, v4
	v_cmp_eq_u16_sdwa s20, v5, v37 src0_sel:BYTE_0 src1_sel:DWORD
	v_lshrrev_b32_e32 v7, 16, v4
	v_bfe_u32 v39, v4, 16, 8
	ds_bpermute_b32 v41, v8, v40
	v_and_or_b32 v6, s20, v26, 0x80000000
	s_mov_b32 s20, exec_lo
	v_ffbl_b32_e32 v6, v6
	v_cmpx_lt_u32_e64 v25, v6
	s_cbranch_execz .LBB829_97
; %bb.96:                               ;   in Loop: Header=BB829_90 Depth=1
	v_and_b32_e32 v7, 0xff0000, v4
	s_waitcnt lgkmcnt(0)
	v_and_b32_sdwa v40, v41, v38 dst_sel:DWORD dst_unused:UNUSED_PAD src0_sel:WORD_1 src1_sel:DWORD
	v_and_b32_e32 v39, 0x10000, v7
	v_cmp_eq_u32_e32 vcc_lo, 0, v7
	v_cndmask_b32_e32 v41, 0, v41, vcc_lo
	v_cmp_ne_u32_e32 vcc_lo, 0, v39
	v_add_nc_u16 v4, v41, v4
	v_cndmask_b32_e64 v7, v40, 1, vcc_lo
	v_lshlrev_b32_e32 v39, 16, v7
	v_or_b32_sdwa v40, v39, v4 dst_sel:DWORD dst_unused:UNUSED_PAD src0_sel:DWORD src1_sel:WORD_0
	v_mov_b32_e32 v39, v7
.LBB829_97:                             ;   in Loop: Header=BB829_90 Depth=1
	s_or_b32 exec_lo, exec_lo, s20
	s_waitcnt lgkmcnt(0)
	ds_bpermute_b32 v41, v27, v40
	s_mov_b32 s20, exec_lo
	v_cmpx_le_u32_e64 v28, v6
	s_cbranch_execz .LBB829_99
; %bb.98:                               ;   in Loop: Header=BB829_90 Depth=1
	v_and_b32_e32 v7, 1, v39
	v_cmp_eq_u16_e32 vcc_lo, 0, v39
	s_waitcnt lgkmcnt(0)
	v_and_b32_sdwa v40, v41, v38 dst_sel:DWORD dst_unused:UNUSED_PAD src0_sel:WORD_1 src1_sel:DWORD
	v_cndmask_b32_e32 v39, 0, v41, vcc_lo
	v_cmp_eq_u32_e32 vcc_lo, 1, v7
	v_add_nc_u16 v4, v39, v4
	v_cndmask_b32_e64 v7, v40, 1, vcc_lo
	v_lshlrev_b32_e32 v39, 16, v7
	v_or_b32_sdwa v40, v39, v4 dst_sel:DWORD dst_unused:UNUSED_PAD src0_sel:DWORD src1_sel:WORD_0
	v_mov_b32_e32 v39, v7
.LBB829_99:                             ;   in Loop: Header=BB829_90 Depth=1
	s_or_b32 exec_lo, exec_lo, s20
	s_waitcnt lgkmcnt(0)
	ds_bpermute_b32 v41, v29, v40
	s_mov_b32 s20, exec_lo
	v_cmpx_le_u32_e64 v30, v6
	s_cbranch_execz .LBB829_101
; %bb.100:                              ;   in Loop: Header=BB829_90 Depth=1
	v_and_b32_e32 v7, 1, v39
	v_cmp_eq_u16_e32 vcc_lo, 0, v39
	s_waitcnt lgkmcnt(0)
	v_and_b32_sdwa v40, v41, v38 dst_sel:DWORD dst_unused:UNUSED_PAD src0_sel:WORD_1 src1_sel:DWORD
	v_cndmask_b32_e32 v39, 0, v41, vcc_lo
	v_cmp_eq_u32_e32 vcc_lo, 1, v7
	v_add_nc_u16 v4, v39, v4
	v_cndmask_b32_e64 v7, v40, 1, vcc_lo
	v_lshlrev_b32_e32 v39, 16, v7
	v_or_b32_sdwa v40, v39, v4 dst_sel:DWORD dst_unused:UNUSED_PAD src0_sel:DWORD src1_sel:WORD_0
	v_mov_b32_e32 v39, v7
.LBB829_101:                            ;   in Loop: Header=BB829_90 Depth=1
	s_or_b32 exec_lo, exec_lo, s20
	s_waitcnt lgkmcnt(0)
	ds_bpermute_b32 v41, v31, v40
	s_mov_b32 s20, exec_lo
	v_cmpx_le_u32_e64 v32, v6
	s_cbranch_execz .LBB829_103
; %bb.102:                              ;   in Loop: Header=BB829_90 Depth=1
	v_and_b32_e32 v7, 1, v39
	v_cmp_eq_u16_e32 vcc_lo, 0, v39
	s_waitcnt lgkmcnt(0)
	v_and_b32_sdwa v40, v41, v38 dst_sel:DWORD dst_unused:UNUSED_PAD src0_sel:WORD_1 src1_sel:DWORD
	v_cndmask_b32_e32 v39, 0, v41, vcc_lo
	v_cmp_eq_u32_e32 vcc_lo, 1, v7
	v_add_nc_u16 v4, v39, v4
	v_cndmask_b32_e64 v7, v40, 1, vcc_lo
	v_lshlrev_b32_e32 v39, 16, v7
	v_or_b32_sdwa v40, v39, v4 dst_sel:DWORD dst_unused:UNUSED_PAD src0_sel:DWORD src1_sel:WORD_0
	v_mov_b32_e32 v39, v7
.LBB829_103:                            ;   in Loop: Header=BB829_90 Depth=1
	s_or_b32 exec_lo, exec_lo, s20
	ds_bpermute_b32 v40, v35, v40
	s_mov_b32 s20, exec_lo
	v_cmpx_le_u32_e64 v36, v6
	s_cbranch_execz .LBB829_88
; %bb.104:                              ;   in Loop: Header=BB829_90 Depth=1
	v_cmp_eq_u16_e32 vcc_lo, 0, v39
	v_and_b32_e32 v7, 1, v39
	s_waitcnt lgkmcnt(0)
	v_lshrrev_b32_e32 v39, 16, v40
	v_cndmask_b32_e32 v6, 0, v40, vcc_lo
	v_cmp_eq_u32_e32 vcc_lo, 1, v7
	v_add_nc_u16 v4, v6, v4
	v_cndmask_b32_e64 v7, v39, 1, vcc_lo
	s_branch .LBB829_88
.LBB829_105:
                                        ; implicit-def: $vgpr25
                                        ; implicit-def: $vgpr3
                                        ; implicit-def: $vgpr4
                                        ; implicit-def: $vgpr5
                                        ; implicit-def: $vgpr6
                                        ; implicit-def: $vgpr7
                                        ; implicit-def: $vgpr8
                                        ; implicit-def: $vgpr22
                                        ; implicit-def: $vgpr23
                                        ; implicit-def: $vgpr24
	s_cbranch_execnz .LBB829_111
	s_branch .LBB829_130
.LBB829_106:
	s_and_saveexec_b32 s20, s11
	s_cbranch_execz .LBB829_108
; %bb.107:
	v_and_b32_e32 v2, 0xff0000, v1
	v_mov_b32_e32 v3, 1
	v_and_b32_e32 v4, 0x10000, v1
	s_mov_b32 s31, 0
	s_add_i32 s30, s6, 32
	v_cmp_eq_u32_e32 vcc_lo, 0, v2
	v_and_b32_sdwa v3, v33, v3 dst_sel:WORD_1 dst_unused:UNUSED_PAD src0_sel:DWORD src1_sel:DWORD
	s_lshl_b64 s[30:31], s[30:31], 3
	s_add_u32 s30, s16, s30
	v_cndmask_b32_e32 v2, 0, v34, vcc_lo
	v_cmp_eq_u32_e32 vcc_lo, 0, v4
	s_addc_u32 s31, s17, s31
	v_add_nc_u16 v1, v2, v1
	v_cndmask_b32_e32 v2, 0x10000, v3, vcc_lo
	v_mov_b32_e32 v3, 0
	v_or_b32_sdwa v1, v2, v1 dst_sel:DWORD dst_unused:UNUSED_PAD src0_sel:DWORD src1_sel:WORD_0
	v_mov_b32_e32 v2, 2
	global_store_dwordx2 v3, v[1:2], s[30:31]
.LBB829_108:
	s_or_b32 exec_lo, exec_lo, s20
	s_and_b32 exec_lo, exec_lo, s10
	s_cbranch_execz .LBB829_110
; %bb.109:
	v_mov_b32_e32 v1, 0
	ds_write_b16 v1, v34
	ds_write_b8 v1, v33 offset:2
.LBB829_110:
	s_or_b32 exec_lo, exec_lo, s29
	v_mov_b32_e32 v1, 0
	v_and_b32_e32 v3, 0x10000, v20
	v_cmp_gt_u32_e32 vcc_lo, 0x10000, v20
	s_waitcnt lgkmcnt(0)
	s_waitcnt_vscnt null, 0x0
	s_barrier
	buffer_gl0_inv
	ds_read_b32 v2, v1
	v_cndmask_b32_e32 v4, 0, v24, vcc_lo
	v_cmp_ne_u32_e32 vcc_lo, 0, v3
	v_cndmask_b32_e64 v4, v4, 0, s10
	v_cndmask_b32_e64 v3, v23, 1, vcc_lo
	v_add_nc_u16 v4, v4, v20
	v_cndmask_b32_e64 v3, v3, v22, s10
	v_cmp_eq_u16_sdwa vcc_lo, v3, v1 src0_sel:BYTE_0 src1_sel:DWORD
	s_waitcnt lgkmcnt(0)
	v_cndmask_b32_e32 v1, 0, v2, vcc_lo
	v_add_nc_u16 v1, v4, v1
	v_cndmask_b32_e64 v2, 0, v1, s9
	v_and_b32_e32 v25, 0xffff, v1
	v_add_nc_u16 v3, v2, v21
	v_cndmask_b32_e64 v2, 0, v3, s8
	v_add_nc_u16 v4, v2, v19
	v_cndmask_b32_e64 v2, 0, v4, s7
	;; [unrolled: 2-line block ×8, first 2 shown]
	v_add_nc_u16 v24, v2, v10
	s_branch .LBB829_130
.LBB829_111:
	s_cmp_lg_u64 s[26:27], 0
	v_cmp_eq_u32_e32 vcc_lo, 0, v0
	s_cselect_b32 s1, -1, 0
	s_cmp_lg_u64 s[22:23], 0
	v_cmp_ne_u32_e64 s0, 0, v0
	s_cselect_b32 s2, -1, 0
	s_and_b32 s1, s1, s2
	s_and_b32 s1, vcc_lo, s1
	s_and_saveexec_b32 s2, s1
	s_cbranch_execz .LBB829_113
; %bb.112:
	v_mov_b32_e32 v1, 0
	v_mov_b32_e32 v3, 1
	v_cmp_gt_u32_e64 s1, 0x10000, v20
	v_and_b32_e32 v4, 0x10000, v20
	s_clause 0x1
	global_load_ushort v2, v1, s[22:23]
	global_load_ubyte v1, v1, s[22:23] offset:2
	s_waitcnt vmcnt(1)
	v_cndmask_b32_e64 v2, 0, v2, s1
	s_waitcnt vmcnt(0)
	v_and_b32_sdwa v1, v1, v3 dst_sel:WORD_1 dst_unused:UNUSED_PAD src0_sel:DWORD src1_sel:DWORD
	v_cmp_eq_u32_e64 s1, 0, v4
	v_add_nc_u16 v2, v2, v20
	v_cndmask_b32_e64 v1, 0x10000, v1, s1
	v_or_b32_sdwa v20, v1, v2 dst_sel:DWORD dst_unused:UNUSED_PAD src0_sel:DWORD src1_sel:WORD_0
.LBB829_113:
	s_or_b32 exec_lo, exec_lo, s2
	v_cmp_gt_u32_e64 s1, 0x10000, v21
	v_cmp_gt_u32_e64 s2, 0x10000, v19
	;; [unrolled: 1-line block ×5, first 2 shown]
	v_cndmask_b32_e64 v1, 0, v20, s1
	v_cmp_gt_u32_e64 s6, 0x10000, v14
	v_cmp_gt_u32_e64 s7, 0x10000, v16
	;; [unrolled: 1-line block ×4, first 2 shown]
	v_add_nc_u16 v3, v1, v21
	v_and_b32_e32 v11, 4, v11
	s_mov_b32 s11, exec_lo
	v_cndmask_b32_e64 v1, 0, v3, s2
	v_lshl_add_u32 v11, v0, 2, v11
	v_add_nc_u16 v4, v1, v19
	v_cndmask_b32_e64 v1, 0, v4, s3
	v_add_nc_u16 v5, v1, v18
	v_cndmask_b32_e64 v1, 0, v5, s4
	;; [unrolled: 2-line block ×5, first 2 shown]
	v_add_nc_u16 v22, v1, v16
	v_or3_b32 v1, v12, v18, v19
	v_cndmask_b32_e64 v2, 0, v22, s8
	v_or3_b32 v1, v1, v21, v10
	v_add_nc_u16 v23, v2, v13
	v_and_b32_e32 v1, 0xff0000, v1
	v_lshrrev_b32_e32 v2, 16, v20
	v_cndmask_b32_e64 v12, 0, v23, s9
	v_cmp_eq_u32_e64 s10, 0, v1
	v_add_nc_u16 v24, v12, v10
	v_cndmask_b32_e64 v1, 1, v2, s10
	ds_write_b8 v11, v1 offset:2
	ds_write_b16 v11, v24
	s_waitcnt lgkmcnt(0)
	s_barrier
	buffer_gl0_inv
	v_cmpx_gt_u32_e32 32, v0
	s_cbranch_execz .LBB829_125
; %bb.114:
	v_lshrrev_b32_e32 v2, 2, v0
	v_lshlrev_b32_e32 v11, 3, v0
	s_mov_b32 s20, exec_lo
	v_and_b32_e32 v2, 12, v2
	v_add_nc_u32_e32 v2, v2, v11
	ds_read_u8 v12, v2 offset:6
	ds_read_b32 v11, v2
	ds_read_u16 v25, v2 offset:4
	s_waitcnt lgkmcnt(2)
	v_cmp_eq_u16_e64 s10, 0, v12
	v_and_b32_e32 v27, 1, v12
	s_waitcnt lgkmcnt(1)
	v_and_b32_e32 v12, 0x10000, v11
	v_cndmask_b32_e64 v26, 0, v11, s10
	v_cmp_eq_u32_e64 s10, 1, v27
	v_mbcnt_lo_u32_b32 v27, -1, 0
	s_waitcnt lgkmcnt(0)
	v_add_nc_u16 v26, v26, v25
	v_and_b32_e32 v25, 0xff000000, v11
	v_cndmask_b32_e64 v28, v12, 0x10000, s10
	v_and_b32_e32 v29, 0xffff, v26
	v_or_b32_e32 v30, v28, v25
	v_or3_b32 v31, v25, v29, v28
	v_and_b32_e32 v28, 15, v27
	v_lshrrev_b32_e32 v29, 16, v30
	v_mov_b32_dpp v32, v31 row_shr:1 row_mask:0xf bank_mask:0xf
	v_cmpx_ne_u32_e32 0, v28
	s_cbranch_execz .LBB829_116
; %bb.115:
	v_mov_b32_e32 v29, 0xff
	v_mov_b32_e32 v31, 1
	v_and_b32_sdwa v29, v30, v29 dst_sel:DWORD dst_unused:UNUSED_PAD src0_sel:WORD_1 src1_sel:DWORD
	v_and_b32_e32 v30, 0x10000, v30
	v_and_b32_sdwa v31, v32, v31 dst_sel:DWORD dst_unused:UNUSED_PAD src0_sel:WORD_1 src1_sel:DWORD
	v_cmp_eq_u16_e64 s10, 0, v29
	v_cndmask_b32_e64 v32, 0, v32, s10
	v_cmp_ne_u32_e64 s10, 0, v30
	v_add_nc_u16 v26, v32, v26
	v_cndmask_b32_e64 v29, v31, 1, s10
	v_and_b32_e32 v31, 0xffff, v26
	v_lshlrev_b32_e32 v30, 16, v29
	v_or3_b32 v31, v30, v31, v25
.LBB829_116:
	s_or_b32 exec_lo, exec_lo, s20
	v_lshrrev_b32_e32 v30, 16, v31
	v_mov_b32_dpp v32, v31 row_shr:2 row_mask:0xf bank_mask:0xf
	s_mov_b32 s20, exec_lo
	v_cmpx_lt_u32_e32 1, v28
	s_cbranch_execz .LBB829_118
; %bb.117:
	v_mov_b32_e32 v33, 0
	v_mov_b32_e32 v29, 1
	v_and_b32_e32 v31, 0x10000, v31
	v_cmp_eq_u16_sdwa s10, v30, v33 src0_sel:BYTE_0 src1_sel:DWORD
	v_and_b32_sdwa v29, v32, v29 dst_sel:DWORD dst_unused:UNUSED_PAD src0_sel:WORD_1 src1_sel:DWORD
	v_cndmask_b32_e64 v30, 0, v32, s10
	v_cmp_ne_u32_e64 s10, 0, v31
	v_add_nc_u16 v26, v30, v26
	v_cndmask_b32_e64 v29, v29, 1, s10
	v_and_b32_e32 v31, 0xffff, v26
	v_lshlrev_b32_e32 v30, 16, v29
	v_or3_b32 v31, v30, v31, v25
	v_mov_b32_e32 v30, v29
.LBB829_118:
	s_or_b32 exec_lo, exec_lo, s20
	v_mov_b32_dpp v32, v31 row_shr:4 row_mask:0xf bank_mask:0xf
	s_mov_b32 s20, exec_lo
	v_cmpx_lt_u32_e32 3, v28
	s_cbranch_execz .LBB829_120
; %bb.119:
	v_mov_b32_e32 v31, 0
	v_mov_b32_e32 v29, 1
	v_and_b32_e32 v33, 1, v30
	v_cmp_eq_u16_sdwa s10, v30, v31 src0_sel:BYTE_0 src1_sel:DWORD
	v_and_b32_sdwa v29, v32, v29 dst_sel:DWORD dst_unused:UNUSED_PAD src0_sel:WORD_1 src1_sel:DWORD
	v_cndmask_b32_e64 v30, 0, v32, s10
	v_cmp_eq_u32_e64 s10, 1, v33
	v_add_nc_u16 v26, v30, v26
	v_cndmask_b32_e64 v29, v29, 1, s10
	v_and_b32_e32 v31, 0xffff, v26
	v_lshlrev_b32_e32 v30, 16, v29
	v_or3_b32 v31, v30, v31, v25
	v_mov_b32_e32 v30, v29
.LBB829_120:
	s_or_b32 exec_lo, exec_lo, s20
	v_mov_b32_dpp v32, v31 row_shr:8 row_mask:0xf bank_mask:0xf
	s_mov_b32 s20, exec_lo
	v_cmpx_lt_u32_e32 7, v28
	s_cbranch_execz .LBB829_122
; %bb.121:
	v_mov_b32_e32 v29, 0
	v_mov_b32_e32 v28, 1
	v_and_b32_e32 v31, 1, v30
	v_cmp_eq_u16_sdwa s10, v30, v29 src0_sel:BYTE_0 src1_sel:DWORD
	v_and_b32_sdwa v28, v32, v28 dst_sel:DWORD dst_unused:UNUSED_PAD src0_sel:WORD_1 src1_sel:DWORD
	v_cndmask_b32_e64 v30, 0, v32, s10
	v_cmp_eq_u32_e64 s10, 1, v31
	v_add_nc_u16 v26, v30, v26
	v_cndmask_b32_e64 v29, v28, 1, s10
	v_and_b32_e32 v30, 0xffff, v26
	v_lshlrev_b32_e32 v28, 16, v29
	v_or3_b32 v31, v28, v30, v25
	v_mov_b32_e32 v30, v29
.LBB829_122:
	s_or_b32 exec_lo, exec_lo, s20
	ds_swizzle_b32 v28, v31 offset:swizzle(BROADCAST,32,15)
	v_and_b32_e32 v31, 16, v27
	s_mov_b32 s20, exec_lo
	v_cmpx_ne_u32_e32 0, v31
	s_cbranch_execz .LBB829_124
; %bb.123:
	v_mov_b32_e32 v29, 0
	v_mov_b32_e32 v31, 1
	v_cmp_eq_u16_sdwa s10, v30, v29 src0_sel:BYTE_0 src1_sel:DWORD
	v_and_b32_e32 v30, 1, v30
	s_waitcnt lgkmcnt(0)
	v_cndmask_b32_e64 v29, 0, v28, s10
	v_and_b32_sdwa v28, v28, v31 dst_sel:DWORD dst_unused:UNUSED_PAD src0_sel:WORD_1 src1_sel:DWORD
	v_cmp_eq_u32_e64 s10, 1, v30
	v_add_nc_u16 v26, v29, v26
	v_cndmask_b32_e64 v29, v28, 1, s10
.LBB829_124:
	s_or_b32 exec_lo, exec_lo, s20
	s_waitcnt lgkmcnt(0)
	v_and_b32_e32 v28, 0xff, v29
	v_add_nc_u32_e32 v29, -1, v27
	v_and_b32_e32 v26, 0xffff, v26
	; wave barrier
	v_lshlrev_b32_e32 v28, 16, v28
	v_cmp_gt_i32_e64 s10, 0, v29
	v_or3_b32 v25, v28, v26, v25
	v_cndmask_b32_e64 v27, v29, v27, s10
	v_lshlrev_b32_e32 v26, 2, v27
	v_mov_b32_e32 v27, 1
	ds_bpermute_b32 v25, v26, v25
	v_and_b32_e32 v26, 0xff0000, v11
	v_cmp_eq_u32_e64 s10, 0, v26
	s_waitcnt lgkmcnt(0)
	v_cndmask_b32_e64 v26, 0, v25, s10
	v_and_b32_sdwa v25, v25, v27 dst_sel:DWORD dst_unused:UNUSED_PAD src0_sel:WORD_1 src1_sel:DWORD
	v_cmp_eq_u32_e64 s10, 0, v12
	v_add_nc_u16 v11, v26, v11
	v_cndmask_b32_e64 v12, 1, v25, s10
	v_cndmask_b32_e32 v11, v11, v24, vcc_lo
	v_cndmask_b32_e32 v1, v12, v1, vcc_lo
	ds_write_b16 v2, v11
	ds_write_b8 v2, v1 offset:2
	; wave barrier
	ds_read_u8 v12, v2 offset:6
	ds_read_u16 v25, v2 offset:4
	s_waitcnt lgkmcnt(1)
	v_cmp_eq_u16_e64 s10, 0, v12
	v_and_b32_e32 v12, 1, v12
	v_cndmask_b32_e64 v11, 0, v11, s10
	v_cmp_eq_u32_e64 s10, 1, v12
	s_waitcnt lgkmcnt(0)
	v_add_nc_u16 v11, v11, v25
	v_cndmask_b32_e64 v1, v1, 1, s10
	ds_write_b16 v2, v11 offset:4
	ds_write_b8 v2, v1 offset:6
.LBB829_125:
	s_or_b32 exec_lo, exec_lo, s11
	s_waitcnt lgkmcnt(0)
	s_barrier
	buffer_gl0_inv
	s_and_saveexec_b32 s10, s0
	s_cbranch_execz .LBB829_127
; %bb.126:
	v_add_nc_u32_e32 v1, -1, v0
	v_cmp_gt_u32_e64 s0, 0x10000, v20
	v_lshrrev_b32_e32 v2, 3, v1
	v_and_b32_e32 v2, 0x1ffffffc, v2
	v_lshl_add_u32 v1, v1, 2, v2
	ds_read_u16 v1, v1
	;;#ASMSTART
	;;#ASMEND
	s_waitcnt lgkmcnt(0)
	v_cndmask_b32_e64 v1, 0, v1, s0
	v_add_nc_u32_e32 v20, v1, v20
	v_cndmask_b32_e64 v1, 0, v20, s1
	v_add_nc_u16 v3, v1, v21
	v_cndmask_b32_e64 v1, 0, v3, s2
	v_add_nc_u16 v4, v1, v19
	;; [unrolled: 2-line block ×9, first 2 shown]
.LBB829_127:
	s_or_b32 exec_lo, exec_lo, s10
	s_and_saveexec_b32 s0, vcc_lo
	s_cbranch_execz .LBB829_129
; %bb.128:
	v_mov_b32_e32 v10, 0
	ds_read_u8 v1, v10 offset:258
	ds_read_u16 v2, v10 offset:256
	s_waitcnt lgkmcnt(1)
	v_lshlrev_b32_e32 v1, 16, v1
	s_waitcnt lgkmcnt(0)
	v_or_b32_e32 v1, v1, v2
	v_mov_b32_e32 v2, 2
	global_store_dwordx2 v10, v[1:2], s[16:17] offset:256
.LBB829_129:
	s_or_b32 exec_lo, exec_lo, s0
	v_mov_b32_e32 v25, v20
.LBB829_130:
	s_add_u32 s0, s14, s24
	v_mov_b32_e32 v1, 0
	s_addc_u32 s1, s15, s25
	s_add_u32 s0, s0, s12
	s_addc_u32 s1, s1, s13
	s_and_b32 vcc_lo, exec_lo, s19
	s_cbranch_vccz .LBB829_170
; %bb.131:
	v_mul_u32_u24_e32 v2, 10, v0
	v_mov_b32_e32 v10, 0
	v_mov_b32_e32 v11, 0
	v_mov_b32_e32 v12, 0
	v_mov_b32_e32 v13, 0
	s_add_i32 s28, s28, s18
	s_mov_b32 s2, exec_lo
	v_cmpx_gt_u32_e64 s28, v2
	s_cbranch_execz .LBB829_151
; %bb.132:
	v_or_b32_e32 v13, 1, v2
	v_and_b32_e32 v1, 0xffff, v25
	v_mov_b32_e32 v10, 0
	v_mov_b32_e32 v11, 0
	;; [unrolled: 1-line block ×3, first 2 shown]
	v_cmp_gt_u32_e32 vcc_lo, s28, v13
	v_mov_b32_e32 v13, 0
	s_and_saveexec_b32 s3, vcc_lo
	s_cbranch_execz .LBB829_150
; %bb.133:
	v_perm_b32 v1, v3, v1, 0x5040100
	v_add_nc_u32_e32 v14, 2, v2
	v_mov_b32_e32 v13, 0
	v_mov_b32_e32 v12, 0
	;; [unrolled: 1-line block ×4, first 2 shown]
	s_mov_b32 s4, exec_lo
	v_cmpx_gt_u32_e64 s28, v14
	s_cbranch_execz .LBB829_149
; %bb.134:
	v_add_nc_u32_e32 v14, 3, v2
	v_bfi_b32 v10, 0xffff, v4, 0
	v_mov_b32_e32 v13, 0
	v_mov_b32_e32 v12, 0
	;; [unrolled: 1-line block ×3, first 2 shown]
	s_mov_b32 s5, exec_lo
	v_cmpx_gt_u32_e64 s28, v14
	s_cbranch_execz .LBB829_148
; %bb.135:
	v_add_nc_u32_e32 v14, 4, v2
	v_perm_b32 v10, v5, v10, 0x5040100
	v_mov_b32_e32 v13, 0
	v_mov_b32_e32 v12, 0
	;; [unrolled: 1-line block ×3, first 2 shown]
	s_mov_b32 s6, exec_lo
	v_cmpx_gt_u32_e64 s28, v14
	s_cbranch_execz .LBB829_147
; %bb.136:
	v_add_nc_u32_e32 v14, 5, v2
	v_bfi_b32 v11, 0xffff, v6, 0
	v_mov_b32_e32 v13, 0
	v_mov_b32_e32 v12, 0
	s_mov_b32 s7, exec_lo
	v_cmpx_gt_u32_e64 s28, v14
	s_cbranch_execz .LBB829_146
; %bb.137:
	v_add_nc_u32_e32 v14, 6, v2
	v_perm_b32 v11, v7, v11, 0x5040100
	v_mov_b32_e32 v13, 0
	v_mov_b32_e32 v12, 0
	s_mov_b32 s8, exec_lo
	v_cmpx_gt_u32_e64 s28, v14
	s_cbranch_execz .LBB829_145
; %bb.138:
	v_add_nc_u32_e32 v14, 7, v2
	v_bfi_b32 v12, 0xffff, v8, 0
	v_mov_b32_e32 v13, 0
	s_mov_b32 s9, exec_lo
	v_cmpx_gt_u32_e64 s28, v14
	s_cbranch_execz .LBB829_144
; %bb.139:
	v_add_nc_u32_e32 v14, 8, v2
	v_perm_b32 v12, v22, v12, 0x5040100
	v_mov_b32_e32 v13, 0
	s_mov_b32 s10, exec_lo
	v_cmpx_gt_u32_e64 s28, v14
	s_cbranch_execz .LBB829_143
; %bb.140:
	v_add_nc_u32_e32 v14, 9, v2
	v_bfi_b32 v13, 0xffff, v23, 0
	s_mov_b32 s11, exec_lo
	v_cmpx_gt_u32_e64 s28, v14
; %bb.141:
	v_perm_b32 v13, v24, v13, 0x5040100
; %bb.142:
	s_or_b32 exec_lo, exec_lo, s11
.LBB829_143:
	s_or_b32 exec_lo, exec_lo, s10
.LBB829_144:
	s_or_b32 exec_lo, exec_lo, s9
.LBB829_145:
	s_or_b32 exec_lo, exec_lo, s8
.LBB829_146:
	s_or_b32 exec_lo, exec_lo, s7
.LBB829_147:
	s_or_b32 exec_lo, exec_lo, s6
.LBB829_148:
	s_or_b32 exec_lo, exec_lo, s5
.LBB829_149:
	s_or_b32 exec_lo, exec_lo, s4
.LBB829_150:
	s_or_b32 exec_lo, exec_lo, s3
.LBB829_151:
	s_or_b32 exec_lo, exec_lo, s2
	v_lshlrev_b32_e32 v18, 1, v2
	s_waitcnt_vscnt null, 0x0
	s_barrier
	buffer_gl0_inv
	ds_write2_b32 v18, v1, v10 offset1:1
	ds_write2_b32 v18, v11, v12 offset0:2 offset1:3
	v_mad_i32_i24 v1, 0xffffffee, v0, v18
	ds_write_b32 v18, v13 offset:16
	s_waitcnt lgkmcnt(0)
	s_barrier
	buffer_gl0_inv
	ds_read_u16 v19, v1 offset:128
	ds_read_u16 v17, v1 offset:256
	;; [unrolled: 1-line block ×9, first 2 shown]
	v_add_co_u32 v1, s2, s0, v9
	v_add_co_ci_u32_e64 v2, null, s1, 0, s2
	s_mov_b32 s2, exec_lo
	v_cmpx_gt_u32_e64 s28, v0
	s_cbranch_execz .LBB829_153
; %bb.152:
	v_mul_i32_i24_e32 v20, 0xffffffee, v0
	v_add_nc_u32_e32 v18, v18, v20
	ds_read_u16 v18, v18
	s_waitcnt lgkmcnt(0)
	flat_store_short v[1:2], v18
.LBB829_153:
	s_or_b32 exec_lo, exec_lo, s2
	v_or_b32_e32 v18, 64, v0
	s_mov_b32 s2, exec_lo
	v_cmpx_gt_u32_e64 s28, v18
	s_cbranch_execz .LBB829_155
; %bb.154:
	s_waitcnt lgkmcnt(8)
	flat_store_short v[1:2], v19 offset:128
.LBB829_155:
	s_or_b32 exec_lo, exec_lo, s2
	v_or_b32_e32 v18, 0x80, v0
	s_mov_b32 s2, exec_lo
	v_cmpx_gt_u32_e64 s28, v18
	s_cbranch_execz .LBB829_157
; %bb.156:
	s_waitcnt lgkmcnt(7)
	flat_store_short v[1:2], v17 offset:256
.LBB829_157:
	s_or_b32 exec_lo, exec_lo, s2
	s_waitcnt lgkmcnt(7)
	v_or_b32_e32 v17, 0xc0, v0
	s_mov_b32 s2, exec_lo
	v_cmpx_gt_u32_e64 s28, v17
	s_cbranch_execz .LBB829_159
; %bb.158:
	s_waitcnt lgkmcnt(6)
	flat_store_short v[1:2], v16 offset:384
.LBB829_159:
	s_or_b32 exec_lo, exec_lo, s2
	s_waitcnt lgkmcnt(6)
	;; [unrolled: 10-line block ×6, first 2 shown]
	v_or_b32_e32 v12, 0x200, v0
	s_mov_b32 s2, exec_lo
	v_cmpx_gt_u32_e64 s28, v12
	s_cbranch_execz .LBB829_169
; %bb.168:
	s_waitcnt lgkmcnt(1)
	flat_store_short v[1:2], v11 offset:1024
.LBB829_169:
	s_or_b32 exec_lo, exec_lo, s2
	v_or_b32_e32 v1, 0x240, v0
	v_cmp_gt_u32_e64 s2, s28, v1
	s_branch .LBB829_172
.LBB829_170:
	s_mov_b32 s2, 0
                                        ; implicit-def: $vgpr10
	s_cbranch_execz .LBB829_172
; %bb.171:
	v_mul_u32_u24_e32 v1, 20, v0
	v_perm_b32 v2, v5, v4, 0x5040100
	v_perm_b32 v3, v3, v25, 0x5040100
	v_perm_b32 v5, v7, v6, 0x5040100
	v_mul_i32_i24_e32 v6, 0xffffffee, v0
	v_perm_b32 v4, v22, v8, 0x5040100
	s_waitcnt lgkmcnt(0)
	s_waitcnt_vscnt null, 0x0
	s_barrier
	v_perm_b32 v7, v24, v23, 0x5040100
	buffer_gl0_inv
	ds_write2_b32 v1, v3, v2 offset1:1
	ds_write2_b32 v1, v5, v4 offset0:2 offset1:3
	v_mad_u32_u24 v2, v0, 20, v6
	s_or_b32 s2, s2, exec_lo
	ds_write_b32 v1, v7 offset:16
	s_waitcnt lgkmcnt(0)
	s_barrier
	buffer_gl0_inv
	ds_read_u16 v3, v2
	ds_read_u16 v4, v2 offset:128
	ds_read_u16 v5, v2 offset:256
	;; [unrolled: 1-line block ×9, first 2 shown]
	v_add_co_u32 v1, s3, s0, v9
	v_add_co_ci_u32_e64 v2, null, s1, 0, s3
	s_waitcnt lgkmcnt(9)
	flat_store_short v[1:2], v3
	s_waitcnt lgkmcnt(9)
	flat_store_short v[1:2], v4 offset:128
	s_waitcnt lgkmcnt(9)
	flat_store_short v[1:2], v5 offset:256
	;; [unrolled: 2-line block ×8, first 2 shown]
.LBB829_172:
	s_and_saveexec_b32 s3, s2
	s_cbranch_execnz .LBB829_174
; %bb.173:
	s_endpgm
.LBB829_174:
	v_lshlrev_b32_e32 v0, 1, v0
	v_add_co_u32 v0, s0, s0, v0
	v_add_co_ci_u32_e64 v1, null, s1, 0, s0
	s_waitcnt lgkmcnt(0)
	flat_store_short v[0:1], v10 offset:1152
	s_endpgm
.LBB829_175:
	v_add_co_u32 v3, s9, s29, v13
	v_add_co_ci_u32_e64 v4, null, s30, 0, s9
	v_mov_b32_e32 v2, v1
	v_mov_b32_e32 v5, v1
	;; [unrolled: 1-line block ×3, first 2 shown]
	flat_load_short_d16 v2, v[3:4]
	v_mov_b32_e32 v3, v1
	v_mov_b32_e32 v4, v1
	s_waitcnt vmcnt(0) lgkmcnt(0)
	v_mov_b32_e32 v1, v2
	v_mov_b32_e32 v2, v3
	;; [unrolled: 1-line block ×8, first 2 shown]
	s_or_b32 exec_lo, exec_lo, s21
	s_and_saveexec_b32 s9, s8
	s_cbranch_execz .LBB829_23
.LBB829_176:
	v_add_co_u32 v6, s8, s29, v13
	v_add_co_ci_u32_e64 v7, null, s30, 0, s8
	flat_load_short_d16_hi v1, v[6:7] offset:128
	s_or_b32 exec_lo, exec_lo, s9
	s_and_saveexec_b32 s8, s7
	s_cbranch_execz .LBB829_24
.LBB829_177:
	v_add_co_u32 v6, s7, s29, v13
	v_add_co_ci_u32_e64 v7, null, s30, 0, s7
	flat_load_short_d16 v2, v[6:7] offset:256
	s_or_b32 exec_lo, exec_lo, s8
	s_and_saveexec_b32 s7, s5
	s_cbranch_execz .LBB829_25
.LBB829_178:
	v_add_co_u32 v6, s5, s29, v13
	v_add_co_ci_u32_e64 v7, null, s30, 0, s5
	s_waitcnt vmcnt(0) lgkmcnt(0)
	flat_load_short_d16_hi v2, v[6:7] offset:384
	s_or_b32 exec_lo, exec_lo, s7
	s_and_saveexec_b32 s5, s4
	s_cbranch_execz .LBB829_26
.LBB829_179:
	v_add_co_u32 v6, s4, s29, v13
	v_add_co_ci_u32_e64 v7, null, s30, 0, s4
	flat_load_short_d16 v3, v[6:7] offset:512
	s_or_b32 exec_lo, exec_lo, s5
	s_and_saveexec_b32 s4, s3
	s_cbranch_execz .LBB829_27
.LBB829_180:
	v_add_co_u32 v6, s3, s29, v13
	v_add_co_ci_u32_e64 v7, null, s30, 0, s3
	s_waitcnt vmcnt(0) lgkmcnt(0)
	flat_load_short_d16_hi v3, v[6:7] offset:640
	s_or_b32 exec_lo, exec_lo, s4
	s_and_saveexec_b32 s3, s2
	s_cbranch_execz .LBB829_28
.LBB829_181:
	v_add_co_u32 v6, s2, s29, v13
	v_add_co_ci_u32_e64 v7, null, s30, 0, s2
	flat_load_short_d16 v4, v[6:7] offset:768
	s_or_b32 exec_lo, exec_lo, s3
	s_and_saveexec_b32 s2, s1
	s_cbranch_execz .LBB829_29
.LBB829_182:
	v_add_co_u32 v6, s1, s29, v13
	v_add_co_ci_u32_e64 v7, null, s30, 0, s1
	s_waitcnt vmcnt(0) lgkmcnt(0)
	flat_load_short_d16_hi v4, v[6:7] offset:896
	s_or_b32 exec_lo, exec_lo, s2
	s_and_saveexec_b32 s1, s0
	s_cbranch_execz .LBB829_30
.LBB829_183:
	v_add_co_u32 v6, s0, s29, v13
	v_add_co_ci_u32_e64 v7, null, s30, 0, s0
	flat_load_short_d16 v5, v[6:7] offset:1024
	s_or_b32 exec_lo, exec_lo, s1
	v_mul_u32_u24_e32 v29, 10, v0
	s_and_saveexec_b32 s0, vcc_lo
	s_cbranch_execnz .LBB829_31
	s_branch .LBB829_32
	.section	.rodata,"a",@progbits
	.p2align	6, 0x0
	.amdhsa_kernel _ZN7rocprim17ROCPRIM_400000_NS6detail17trampoline_kernelINS0_14default_configENS1_27scan_by_key_config_selectorIssEEZZNS1_16scan_by_key_implILNS1_25lookback_scan_determinismE0ELb0ES3_N6thrust23THRUST_200600_302600_NS6detail15normal_iteratorINS9_10device_ptrIsEEEESE_SE_sNS9_4plusIsEE19head_flag_predicatesEE10hipError_tPvRmT2_T3_T4_T5_mT6_T7_P12ihipStream_tbENKUlT_T0_E_clISt17integral_constantIbLb0EESY_EEDaST_SU_EUlST_E_NS1_11comp_targetILNS1_3genE8ELNS1_11target_archE1030ELNS1_3gpuE2ELNS1_3repE0EEENS1_30default_config_static_selectorELNS0_4arch9wavefront6targetE0EEEvT1_
		.amdhsa_group_segment_fixed_size 1536
		.amdhsa_private_segment_fixed_size 0
		.amdhsa_kernarg_size 112
		.amdhsa_user_sgpr_count 6
		.amdhsa_user_sgpr_private_segment_buffer 1
		.amdhsa_user_sgpr_dispatch_ptr 0
		.amdhsa_user_sgpr_queue_ptr 0
		.amdhsa_user_sgpr_kernarg_segment_ptr 1
		.amdhsa_user_sgpr_dispatch_id 0
		.amdhsa_user_sgpr_flat_scratch_init 0
		.amdhsa_user_sgpr_private_segment_size 0
		.amdhsa_wavefront_size32 1
		.amdhsa_uses_dynamic_stack 0
		.amdhsa_system_sgpr_private_segment_wavefront_offset 0
		.amdhsa_system_sgpr_workgroup_id_x 1
		.amdhsa_system_sgpr_workgroup_id_y 0
		.amdhsa_system_sgpr_workgroup_id_z 0
		.amdhsa_system_sgpr_workgroup_info 0
		.amdhsa_system_vgpr_workitem_id 0
		.amdhsa_next_free_vgpr 42
		.amdhsa_next_free_sgpr 32
		.amdhsa_reserve_vcc 1
		.amdhsa_reserve_flat_scratch 1
		.amdhsa_float_round_mode_32 0
		.amdhsa_float_round_mode_16_64 0
		.amdhsa_float_denorm_mode_32 3
		.amdhsa_float_denorm_mode_16_64 3
		.amdhsa_dx10_clamp 1
		.amdhsa_ieee_mode 1
		.amdhsa_fp16_overflow 0
		.amdhsa_workgroup_processor_mode 1
		.amdhsa_memory_ordered 1
		.amdhsa_forward_progress 1
		.amdhsa_shared_vgpr_count 0
		.amdhsa_exception_fp_ieee_invalid_op 0
		.amdhsa_exception_fp_denorm_src 0
		.amdhsa_exception_fp_ieee_div_zero 0
		.amdhsa_exception_fp_ieee_overflow 0
		.amdhsa_exception_fp_ieee_underflow 0
		.amdhsa_exception_fp_ieee_inexact 0
		.amdhsa_exception_int_div_zero 0
	.end_amdhsa_kernel
	.section	.text._ZN7rocprim17ROCPRIM_400000_NS6detail17trampoline_kernelINS0_14default_configENS1_27scan_by_key_config_selectorIssEEZZNS1_16scan_by_key_implILNS1_25lookback_scan_determinismE0ELb0ES3_N6thrust23THRUST_200600_302600_NS6detail15normal_iteratorINS9_10device_ptrIsEEEESE_SE_sNS9_4plusIsEE19head_flag_predicatesEE10hipError_tPvRmT2_T3_T4_T5_mT6_T7_P12ihipStream_tbENKUlT_T0_E_clISt17integral_constantIbLb0EESY_EEDaST_SU_EUlST_E_NS1_11comp_targetILNS1_3genE8ELNS1_11target_archE1030ELNS1_3gpuE2ELNS1_3repE0EEENS1_30default_config_static_selectorELNS0_4arch9wavefront6targetE0EEEvT1_,"axG",@progbits,_ZN7rocprim17ROCPRIM_400000_NS6detail17trampoline_kernelINS0_14default_configENS1_27scan_by_key_config_selectorIssEEZZNS1_16scan_by_key_implILNS1_25lookback_scan_determinismE0ELb0ES3_N6thrust23THRUST_200600_302600_NS6detail15normal_iteratorINS9_10device_ptrIsEEEESE_SE_sNS9_4plusIsEE19head_flag_predicatesEE10hipError_tPvRmT2_T3_T4_T5_mT6_T7_P12ihipStream_tbENKUlT_T0_E_clISt17integral_constantIbLb0EESY_EEDaST_SU_EUlST_E_NS1_11comp_targetILNS1_3genE8ELNS1_11target_archE1030ELNS1_3gpuE2ELNS1_3repE0EEENS1_30default_config_static_selectorELNS0_4arch9wavefront6targetE0EEEvT1_,comdat
.Lfunc_end829:
	.size	_ZN7rocprim17ROCPRIM_400000_NS6detail17trampoline_kernelINS0_14default_configENS1_27scan_by_key_config_selectorIssEEZZNS1_16scan_by_key_implILNS1_25lookback_scan_determinismE0ELb0ES3_N6thrust23THRUST_200600_302600_NS6detail15normal_iteratorINS9_10device_ptrIsEEEESE_SE_sNS9_4plusIsEE19head_flag_predicatesEE10hipError_tPvRmT2_T3_T4_T5_mT6_T7_P12ihipStream_tbENKUlT_T0_E_clISt17integral_constantIbLb0EESY_EEDaST_SU_EUlST_E_NS1_11comp_targetILNS1_3genE8ELNS1_11target_archE1030ELNS1_3gpuE2ELNS1_3repE0EEENS1_30default_config_static_selectorELNS0_4arch9wavefront6targetE0EEEvT1_, .Lfunc_end829-_ZN7rocprim17ROCPRIM_400000_NS6detail17trampoline_kernelINS0_14default_configENS1_27scan_by_key_config_selectorIssEEZZNS1_16scan_by_key_implILNS1_25lookback_scan_determinismE0ELb0ES3_N6thrust23THRUST_200600_302600_NS6detail15normal_iteratorINS9_10device_ptrIsEEEESE_SE_sNS9_4plusIsEE19head_flag_predicatesEE10hipError_tPvRmT2_T3_T4_T5_mT6_T7_P12ihipStream_tbENKUlT_T0_E_clISt17integral_constantIbLb0EESY_EEDaST_SU_EUlST_E_NS1_11comp_targetILNS1_3genE8ELNS1_11target_archE1030ELNS1_3gpuE2ELNS1_3repE0EEENS1_30default_config_static_selectorELNS0_4arch9wavefront6targetE0EEEvT1_
                                        ; -- End function
	.set _ZN7rocprim17ROCPRIM_400000_NS6detail17trampoline_kernelINS0_14default_configENS1_27scan_by_key_config_selectorIssEEZZNS1_16scan_by_key_implILNS1_25lookback_scan_determinismE0ELb0ES3_N6thrust23THRUST_200600_302600_NS6detail15normal_iteratorINS9_10device_ptrIsEEEESE_SE_sNS9_4plusIsEE19head_flag_predicatesEE10hipError_tPvRmT2_T3_T4_T5_mT6_T7_P12ihipStream_tbENKUlT_T0_E_clISt17integral_constantIbLb0EESY_EEDaST_SU_EUlST_E_NS1_11comp_targetILNS1_3genE8ELNS1_11target_archE1030ELNS1_3gpuE2ELNS1_3repE0EEENS1_30default_config_static_selectorELNS0_4arch9wavefront6targetE0EEEvT1_.num_vgpr, 42
	.set _ZN7rocprim17ROCPRIM_400000_NS6detail17trampoline_kernelINS0_14default_configENS1_27scan_by_key_config_selectorIssEEZZNS1_16scan_by_key_implILNS1_25lookback_scan_determinismE0ELb0ES3_N6thrust23THRUST_200600_302600_NS6detail15normal_iteratorINS9_10device_ptrIsEEEESE_SE_sNS9_4plusIsEE19head_flag_predicatesEE10hipError_tPvRmT2_T3_T4_T5_mT6_T7_P12ihipStream_tbENKUlT_T0_E_clISt17integral_constantIbLb0EESY_EEDaST_SU_EUlST_E_NS1_11comp_targetILNS1_3genE8ELNS1_11target_archE1030ELNS1_3gpuE2ELNS1_3repE0EEENS1_30default_config_static_selectorELNS0_4arch9wavefront6targetE0EEEvT1_.num_agpr, 0
	.set _ZN7rocprim17ROCPRIM_400000_NS6detail17trampoline_kernelINS0_14default_configENS1_27scan_by_key_config_selectorIssEEZZNS1_16scan_by_key_implILNS1_25lookback_scan_determinismE0ELb0ES3_N6thrust23THRUST_200600_302600_NS6detail15normal_iteratorINS9_10device_ptrIsEEEESE_SE_sNS9_4plusIsEE19head_flag_predicatesEE10hipError_tPvRmT2_T3_T4_T5_mT6_T7_P12ihipStream_tbENKUlT_T0_E_clISt17integral_constantIbLb0EESY_EEDaST_SU_EUlST_E_NS1_11comp_targetILNS1_3genE8ELNS1_11target_archE1030ELNS1_3gpuE2ELNS1_3repE0EEENS1_30default_config_static_selectorELNS0_4arch9wavefront6targetE0EEEvT1_.numbered_sgpr, 32
	.set _ZN7rocprim17ROCPRIM_400000_NS6detail17trampoline_kernelINS0_14default_configENS1_27scan_by_key_config_selectorIssEEZZNS1_16scan_by_key_implILNS1_25lookback_scan_determinismE0ELb0ES3_N6thrust23THRUST_200600_302600_NS6detail15normal_iteratorINS9_10device_ptrIsEEEESE_SE_sNS9_4plusIsEE19head_flag_predicatesEE10hipError_tPvRmT2_T3_T4_T5_mT6_T7_P12ihipStream_tbENKUlT_T0_E_clISt17integral_constantIbLb0EESY_EEDaST_SU_EUlST_E_NS1_11comp_targetILNS1_3genE8ELNS1_11target_archE1030ELNS1_3gpuE2ELNS1_3repE0EEENS1_30default_config_static_selectorELNS0_4arch9wavefront6targetE0EEEvT1_.num_named_barrier, 0
	.set _ZN7rocprim17ROCPRIM_400000_NS6detail17trampoline_kernelINS0_14default_configENS1_27scan_by_key_config_selectorIssEEZZNS1_16scan_by_key_implILNS1_25lookback_scan_determinismE0ELb0ES3_N6thrust23THRUST_200600_302600_NS6detail15normal_iteratorINS9_10device_ptrIsEEEESE_SE_sNS9_4plusIsEE19head_flag_predicatesEE10hipError_tPvRmT2_T3_T4_T5_mT6_T7_P12ihipStream_tbENKUlT_T0_E_clISt17integral_constantIbLb0EESY_EEDaST_SU_EUlST_E_NS1_11comp_targetILNS1_3genE8ELNS1_11target_archE1030ELNS1_3gpuE2ELNS1_3repE0EEENS1_30default_config_static_selectorELNS0_4arch9wavefront6targetE0EEEvT1_.private_seg_size, 0
	.set _ZN7rocprim17ROCPRIM_400000_NS6detail17trampoline_kernelINS0_14default_configENS1_27scan_by_key_config_selectorIssEEZZNS1_16scan_by_key_implILNS1_25lookback_scan_determinismE0ELb0ES3_N6thrust23THRUST_200600_302600_NS6detail15normal_iteratorINS9_10device_ptrIsEEEESE_SE_sNS9_4plusIsEE19head_flag_predicatesEE10hipError_tPvRmT2_T3_T4_T5_mT6_T7_P12ihipStream_tbENKUlT_T0_E_clISt17integral_constantIbLb0EESY_EEDaST_SU_EUlST_E_NS1_11comp_targetILNS1_3genE8ELNS1_11target_archE1030ELNS1_3gpuE2ELNS1_3repE0EEENS1_30default_config_static_selectorELNS0_4arch9wavefront6targetE0EEEvT1_.uses_vcc, 1
	.set _ZN7rocprim17ROCPRIM_400000_NS6detail17trampoline_kernelINS0_14default_configENS1_27scan_by_key_config_selectorIssEEZZNS1_16scan_by_key_implILNS1_25lookback_scan_determinismE0ELb0ES3_N6thrust23THRUST_200600_302600_NS6detail15normal_iteratorINS9_10device_ptrIsEEEESE_SE_sNS9_4plusIsEE19head_flag_predicatesEE10hipError_tPvRmT2_T3_T4_T5_mT6_T7_P12ihipStream_tbENKUlT_T0_E_clISt17integral_constantIbLb0EESY_EEDaST_SU_EUlST_E_NS1_11comp_targetILNS1_3genE8ELNS1_11target_archE1030ELNS1_3gpuE2ELNS1_3repE0EEENS1_30default_config_static_selectorELNS0_4arch9wavefront6targetE0EEEvT1_.uses_flat_scratch, 1
	.set _ZN7rocprim17ROCPRIM_400000_NS6detail17trampoline_kernelINS0_14default_configENS1_27scan_by_key_config_selectorIssEEZZNS1_16scan_by_key_implILNS1_25lookback_scan_determinismE0ELb0ES3_N6thrust23THRUST_200600_302600_NS6detail15normal_iteratorINS9_10device_ptrIsEEEESE_SE_sNS9_4plusIsEE19head_flag_predicatesEE10hipError_tPvRmT2_T3_T4_T5_mT6_T7_P12ihipStream_tbENKUlT_T0_E_clISt17integral_constantIbLb0EESY_EEDaST_SU_EUlST_E_NS1_11comp_targetILNS1_3genE8ELNS1_11target_archE1030ELNS1_3gpuE2ELNS1_3repE0EEENS1_30default_config_static_selectorELNS0_4arch9wavefront6targetE0EEEvT1_.has_dyn_sized_stack, 0
	.set _ZN7rocprim17ROCPRIM_400000_NS6detail17trampoline_kernelINS0_14default_configENS1_27scan_by_key_config_selectorIssEEZZNS1_16scan_by_key_implILNS1_25lookback_scan_determinismE0ELb0ES3_N6thrust23THRUST_200600_302600_NS6detail15normal_iteratorINS9_10device_ptrIsEEEESE_SE_sNS9_4plusIsEE19head_flag_predicatesEE10hipError_tPvRmT2_T3_T4_T5_mT6_T7_P12ihipStream_tbENKUlT_T0_E_clISt17integral_constantIbLb0EESY_EEDaST_SU_EUlST_E_NS1_11comp_targetILNS1_3genE8ELNS1_11target_archE1030ELNS1_3gpuE2ELNS1_3repE0EEENS1_30default_config_static_selectorELNS0_4arch9wavefront6targetE0EEEvT1_.has_recursion, 0
	.set _ZN7rocprim17ROCPRIM_400000_NS6detail17trampoline_kernelINS0_14default_configENS1_27scan_by_key_config_selectorIssEEZZNS1_16scan_by_key_implILNS1_25lookback_scan_determinismE0ELb0ES3_N6thrust23THRUST_200600_302600_NS6detail15normal_iteratorINS9_10device_ptrIsEEEESE_SE_sNS9_4plusIsEE19head_flag_predicatesEE10hipError_tPvRmT2_T3_T4_T5_mT6_T7_P12ihipStream_tbENKUlT_T0_E_clISt17integral_constantIbLb0EESY_EEDaST_SU_EUlST_E_NS1_11comp_targetILNS1_3genE8ELNS1_11target_archE1030ELNS1_3gpuE2ELNS1_3repE0EEENS1_30default_config_static_selectorELNS0_4arch9wavefront6targetE0EEEvT1_.has_indirect_call, 0
	.section	.AMDGPU.csdata,"",@progbits
; Kernel info:
; codeLenInByte = 10068
; TotalNumSgprs: 34
; NumVgprs: 42
; ScratchSize: 0
; MemoryBound: 0
; FloatMode: 240
; IeeeMode: 1
; LDSByteSize: 1536 bytes/workgroup (compile time only)
; SGPRBlocks: 0
; VGPRBlocks: 5
; NumSGPRsForWavesPerEU: 34
; NumVGPRsForWavesPerEU: 42
; Occupancy: 16
; WaveLimiterHint : 1
; COMPUTE_PGM_RSRC2:SCRATCH_EN: 0
; COMPUTE_PGM_RSRC2:USER_SGPR: 6
; COMPUTE_PGM_RSRC2:TRAP_HANDLER: 0
; COMPUTE_PGM_RSRC2:TGID_X_EN: 1
; COMPUTE_PGM_RSRC2:TGID_Y_EN: 0
; COMPUTE_PGM_RSRC2:TGID_Z_EN: 0
; COMPUTE_PGM_RSRC2:TIDIG_COMP_CNT: 0
	.section	.text._ZN7rocprim17ROCPRIM_400000_NS6detail17trampoline_kernelINS0_14default_configENS1_27scan_by_key_config_selectorIssEEZZNS1_16scan_by_key_implILNS1_25lookback_scan_determinismE0ELb0ES3_N6thrust23THRUST_200600_302600_NS6detail15normal_iteratorINS9_10device_ptrIsEEEESE_SE_sNS9_4plusIsEE19head_flag_predicatesEE10hipError_tPvRmT2_T3_T4_T5_mT6_T7_P12ihipStream_tbENKUlT_T0_E_clISt17integral_constantIbLb1EESY_EEDaST_SU_EUlST_E_NS1_11comp_targetILNS1_3genE0ELNS1_11target_archE4294967295ELNS1_3gpuE0ELNS1_3repE0EEENS1_30default_config_static_selectorELNS0_4arch9wavefront6targetE0EEEvT1_,"axG",@progbits,_ZN7rocprim17ROCPRIM_400000_NS6detail17trampoline_kernelINS0_14default_configENS1_27scan_by_key_config_selectorIssEEZZNS1_16scan_by_key_implILNS1_25lookback_scan_determinismE0ELb0ES3_N6thrust23THRUST_200600_302600_NS6detail15normal_iteratorINS9_10device_ptrIsEEEESE_SE_sNS9_4plusIsEE19head_flag_predicatesEE10hipError_tPvRmT2_T3_T4_T5_mT6_T7_P12ihipStream_tbENKUlT_T0_E_clISt17integral_constantIbLb1EESY_EEDaST_SU_EUlST_E_NS1_11comp_targetILNS1_3genE0ELNS1_11target_archE4294967295ELNS1_3gpuE0ELNS1_3repE0EEENS1_30default_config_static_selectorELNS0_4arch9wavefront6targetE0EEEvT1_,comdat
	.protected	_ZN7rocprim17ROCPRIM_400000_NS6detail17trampoline_kernelINS0_14default_configENS1_27scan_by_key_config_selectorIssEEZZNS1_16scan_by_key_implILNS1_25lookback_scan_determinismE0ELb0ES3_N6thrust23THRUST_200600_302600_NS6detail15normal_iteratorINS9_10device_ptrIsEEEESE_SE_sNS9_4plusIsEE19head_flag_predicatesEE10hipError_tPvRmT2_T3_T4_T5_mT6_T7_P12ihipStream_tbENKUlT_T0_E_clISt17integral_constantIbLb1EESY_EEDaST_SU_EUlST_E_NS1_11comp_targetILNS1_3genE0ELNS1_11target_archE4294967295ELNS1_3gpuE0ELNS1_3repE0EEENS1_30default_config_static_selectorELNS0_4arch9wavefront6targetE0EEEvT1_ ; -- Begin function _ZN7rocprim17ROCPRIM_400000_NS6detail17trampoline_kernelINS0_14default_configENS1_27scan_by_key_config_selectorIssEEZZNS1_16scan_by_key_implILNS1_25lookback_scan_determinismE0ELb0ES3_N6thrust23THRUST_200600_302600_NS6detail15normal_iteratorINS9_10device_ptrIsEEEESE_SE_sNS9_4plusIsEE19head_flag_predicatesEE10hipError_tPvRmT2_T3_T4_T5_mT6_T7_P12ihipStream_tbENKUlT_T0_E_clISt17integral_constantIbLb1EESY_EEDaST_SU_EUlST_E_NS1_11comp_targetILNS1_3genE0ELNS1_11target_archE4294967295ELNS1_3gpuE0ELNS1_3repE0EEENS1_30default_config_static_selectorELNS0_4arch9wavefront6targetE0EEEvT1_
	.globl	_ZN7rocprim17ROCPRIM_400000_NS6detail17trampoline_kernelINS0_14default_configENS1_27scan_by_key_config_selectorIssEEZZNS1_16scan_by_key_implILNS1_25lookback_scan_determinismE0ELb0ES3_N6thrust23THRUST_200600_302600_NS6detail15normal_iteratorINS9_10device_ptrIsEEEESE_SE_sNS9_4plusIsEE19head_flag_predicatesEE10hipError_tPvRmT2_T3_T4_T5_mT6_T7_P12ihipStream_tbENKUlT_T0_E_clISt17integral_constantIbLb1EESY_EEDaST_SU_EUlST_E_NS1_11comp_targetILNS1_3genE0ELNS1_11target_archE4294967295ELNS1_3gpuE0ELNS1_3repE0EEENS1_30default_config_static_selectorELNS0_4arch9wavefront6targetE0EEEvT1_
	.p2align	8
	.type	_ZN7rocprim17ROCPRIM_400000_NS6detail17trampoline_kernelINS0_14default_configENS1_27scan_by_key_config_selectorIssEEZZNS1_16scan_by_key_implILNS1_25lookback_scan_determinismE0ELb0ES3_N6thrust23THRUST_200600_302600_NS6detail15normal_iteratorINS9_10device_ptrIsEEEESE_SE_sNS9_4plusIsEE19head_flag_predicatesEE10hipError_tPvRmT2_T3_T4_T5_mT6_T7_P12ihipStream_tbENKUlT_T0_E_clISt17integral_constantIbLb1EESY_EEDaST_SU_EUlST_E_NS1_11comp_targetILNS1_3genE0ELNS1_11target_archE4294967295ELNS1_3gpuE0ELNS1_3repE0EEENS1_30default_config_static_selectorELNS0_4arch9wavefront6targetE0EEEvT1_,@function
_ZN7rocprim17ROCPRIM_400000_NS6detail17trampoline_kernelINS0_14default_configENS1_27scan_by_key_config_selectorIssEEZZNS1_16scan_by_key_implILNS1_25lookback_scan_determinismE0ELb0ES3_N6thrust23THRUST_200600_302600_NS6detail15normal_iteratorINS9_10device_ptrIsEEEESE_SE_sNS9_4plusIsEE19head_flag_predicatesEE10hipError_tPvRmT2_T3_T4_T5_mT6_T7_P12ihipStream_tbENKUlT_T0_E_clISt17integral_constantIbLb1EESY_EEDaST_SU_EUlST_E_NS1_11comp_targetILNS1_3genE0ELNS1_11target_archE4294967295ELNS1_3gpuE0ELNS1_3repE0EEENS1_30default_config_static_selectorELNS0_4arch9wavefront6targetE0EEEvT1_: ; @_ZN7rocprim17ROCPRIM_400000_NS6detail17trampoline_kernelINS0_14default_configENS1_27scan_by_key_config_selectorIssEEZZNS1_16scan_by_key_implILNS1_25lookback_scan_determinismE0ELb0ES3_N6thrust23THRUST_200600_302600_NS6detail15normal_iteratorINS9_10device_ptrIsEEEESE_SE_sNS9_4plusIsEE19head_flag_predicatesEE10hipError_tPvRmT2_T3_T4_T5_mT6_T7_P12ihipStream_tbENKUlT_T0_E_clISt17integral_constantIbLb1EESY_EEDaST_SU_EUlST_E_NS1_11comp_targetILNS1_3genE0ELNS1_11target_archE4294967295ELNS1_3gpuE0ELNS1_3repE0EEENS1_30default_config_static_selectorELNS0_4arch9wavefront6targetE0EEEvT1_
; %bb.0:
	.section	.rodata,"a",@progbits
	.p2align	6, 0x0
	.amdhsa_kernel _ZN7rocprim17ROCPRIM_400000_NS6detail17trampoline_kernelINS0_14default_configENS1_27scan_by_key_config_selectorIssEEZZNS1_16scan_by_key_implILNS1_25lookback_scan_determinismE0ELb0ES3_N6thrust23THRUST_200600_302600_NS6detail15normal_iteratorINS9_10device_ptrIsEEEESE_SE_sNS9_4plusIsEE19head_flag_predicatesEE10hipError_tPvRmT2_T3_T4_T5_mT6_T7_P12ihipStream_tbENKUlT_T0_E_clISt17integral_constantIbLb1EESY_EEDaST_SU_EUlST_E_NS1_11comp_targetILNS1_3genE0ELNS1_11target_archE4294967295ELNS1_3gpuE0ELNS1_3repE0EEENS1_30default_config_static_selectorELNS0_4arch9wavefront6targetE0EEEvT1_
		.amdhsa_group_segment_fixed_size 0
		.amdhsa_private_segment_fixed_size 0
		.amdhsa_kernarg_size 112
		.amdhsa_user_sgpr_count 6
		.amdhsa_user_sgpr_private_segment_buffer 1
		.amdhsa_user_sgpr_dispatch_ptr 0
		.amdhsa_user_sgpr_queue_ptr 0
		.amdhsa_user_sgpr_kernarg_segment_ptr 1
		.amdhsa_user_sgpr_dispatch_id 0
		.amdhsa_user_sgpr_flat_scratch_init 0
		.amdhsa_user_sgpr_private_segment_size 0
		.amdhsa_wavefront_size32 1
		.amdhsa_uses_dynamic_stack 0
		.amdhsa_system_sgpr_private_segment_wavefront_offset 0
		.amdhsa_system_sgpr_workgroup_id_x 1
		.amdhsa_system_sgpr_workgroup_id_y 0
		.amdhsa_system_sgpr_workgroup_id_z 0
		.amdhsa_system_sgpr_workgroup_info 0
		.amdhsa_system_vgpr_workitem_id 0
		.amdhsa_next_free_vgpr 1
		.amdhsa_next_free_sgpr 1
		.amdhsa_reserve_vcc 0
		.amdhsa_reserve_flat_scratch 0
		.amdhsa_float_round_mode_32 0
		.amdhsa_float_round_mode_16_64 0
		.amdhsa_float_denorm_mode_32 3
		.amdhsa_float_denorm_mode_16_64 3
		.amdhsa_dx10_clamp 1
		.amdhsa_ieee_mode 1
		.amdhsa_fp16_overflow 0
		.amdhsa_workgroup_processor_mode 1
		.amdhsa_memory_ordered 1
		.amdhsa_forward_progress 1
		.amdhsa_shared_vgpr_count 0
		.amdhsa_exception_fp_ieee_invalid_op 0
		.amdhsa_exception_fp_denorm_src 0
		.amdhsa_exception_fp_ieee_div_zero 0
		.amdhsa_exception_fp_ieee_overflow 0
		.amdhsa_exception_fp_ieee_underflow 0
		.amdhsa_exception_fp_ieee_inexact 0
		.amdhsa_exception_int_div_zero 0
	.end_amdhsa_kernel
	.section	.text._ZN7rocprim17ROCPRIM_400000_NS6detail17trampoline_kernelINS0_14default_configENS1_27scan_by_key_config_selectorIssEEZZNS1_16scan_by_key_implILNS1_25lookback_scan_determinismE0ELb0ES3_N6thrust23THRUST_200600_302600_NS6detail15normal_iteratorINS9_10device_ptrIsEEEESE_SE_sNS9_4plusIsEE19head_flag_predicatesEE10hipError_tPvRmT2_T3_T4_T5_mT6_T7_P12ihipStream_tbENKUlT_T0_E_clISt17integral_constantIbLb1EESY_EEDaST_SU_EUlST_E_NS1_11comp_targetILNS1_3genE0ELNS1_11target_archE4294967295ELNS1_3gpuE0ELNS1_3repE0EEENS1_30default_config_static_selectorELNS0_4arch9wavefront6targetE0EEEvT1_,"axG",@progbits,_ZN7rocprim17ROCPRIM_400000_NS6detail17trampoline_kernelINS0_14default_configENS1_27scan_by_key_config_selectorIssEEZZNS1_16scan_by_key_implILNS1_25lookback_scan_determinismE0ELb0ES3_N6thrust23THRUST_200600_302600_NS6detail15normal_iteratorINS9_10device_ptrIsEEEESE_SE_sNS9_4plusIsEE19head_flag_predicatesEE10hipError_tPvRmT2_T3_T4_T5_mT6_T7_P12ihipStream_tbENKUlT_T0_E_clISt17integral_constantIbLb1EESY_EEDaST_SU_EUlST_E_NS1_11comp_targetILNS1_3genE0ELNS1_11target_archE4294967295ELNS1_3gpuE0ELNS1_3repE0EEENS1_30default_config_static_selectorELNS0_4arch9wavefront6targetE0EEEvT1_,comdat
.Lfunc_end830:
	.size	_ZN7rocprim17ROCPRIM_400000_NS6detail17trampoline_kernelINS0_14default_configENS1_27scan_by_key_config_selectorIssEEZZNS1_16scan_by_key_implILNS1_25lookback_scan_determinismE0ELb0ES3_N6thrust23THRUST_200600_302600_NS6detail15normal_iteratorINS9_10device_ptrIsEEEESE_SE_sNS9_4plusIsEE19head_flag_predicatesEE10hipError_tPvRmT2_T3_T4_T5_mT6_T7_P12ihipStream_tbENKUlT_T0_E_clISt17integral_constantIbLb1EESY_EEDaST_SU_EUlST_E_NS1_11comp_targetILNS1_3genE0ELNS1_11target_archE4294967295ELNS1_3gpuE0ELNS1_3repE0EEENS1_30default_config_static_selectorELNS0_4arch9wavefront6targetE0EEEvT1_, .Lfunc_end830-_ZN7rocprim17ROCPRIM_400000_NS6detail17trampoline_kernelINS0_14default_configENS1_27scan_by_key_config_selectorIssEEZZNS1_16scan_by_key_implILNS1_25lookback_scan_determinismE0ELb0ES3_N6thrust23THRUST_200600_302600_NS6detail15normal_iteratorINS9_10device_ptrIsEEEESE_SE_sNS9_4plusIsEE19head_flag_predicatesEE10hipError_tPvRmT2_T3_T4_T5_mT6_T7_P12ihipStream_tbENKUlT_T0_E_clISt17integral_constantIbLb1EESY_EEDaST_SU_EUlST_E_NS1_11comp_targetILNS1_3genE0ELNS1_11target_archE4294967295ELNS1_3gpuE0ELNS1_3repE0EEENS1_30default_config_static_selectorELNS0_4arch9wavefront6targetE0EEEvT1_
                                        ; -- End function
	.set _ZN7rocprim17ROCPRIM_400000_NS6detail17trampoline_kernelINS0_14default_configENS1_27scan_by_key_config_selectorIssEEZZNS1_16scan_by_key_implILNS1_25lookback_scan_determinismE0ELb0ES3_N6thrust23THRUST_200600_302600_NS6detail15normal_iteratorINS9_10device_ptrIsEEEESE_SE_sNS9_4plusIsEE19head_flag_predicatesEE10hipError_tPvRmT2_T3_T4_T5_mT6_T7_P12ihipStream_tbENKUlT_T0_E_clISt17integral_constantIbLb1EESY_EEDaST_SU_EUlST_E_NS1_11comp_targetILNS1_3genE0ELNS1_11target_archE4294967295ELNS1_3gpuE0ELNS1_3repE0EEENS1_30default_config_static_selectorELNS0_4arch9wavefront6targetE0EEEvT1_.num_vgpr, 0
	.set _ZN7rocprim17ROCPRIM_400000_NS6detail17trampoline_kernelINS0_14default_configENS1_27scan_by_key_config_selectorIssEEZZNS1_16scan_by_key_implILNS1_25lookback_scan_determinismE0ELb0ES3_N6thrust23THRUST_200600_302600_NS6detail15normal_iteratorINS9_10device_ptrIsEEEESE_SE_sNS9_4plusIsEE19head_flag_predicatesEE10hipError_tPvRmT2_T3_T4_T5_mT6_T7_P12ihipStream_tbENKUlT_T0_E_clISt17integral_constantIbLb1EESY_EEDaST_SU_EUlST_E_NS1_11comp_targetILNS1_3genE0ELNS1_11target_archE4294967295ELNS1_3gpuE0ELNS1_3repE0EEENS1_30default_config_static_selectorELNS0_4arch9wavefront6targetE0EEEvT1_.num_agpr, 0
	.set _ZN7rocprim17ROCPRIM_400000_NS6detail17trampoline_kernelINS0_14default_configENS1_27scan_by_key_config_selectorIssEEZZNS1_16scan_by_key_implILNS1_25lookback_scan_determinismE0ELb0ES3_N6thrust23THRUST_200600_302600_NS6detail15normal_iteratorINS9_10device_ptrIsEEEESE_SE_sNS9_4plusIsEE19head_flag_predicatesEE10hipError_tPvRmT2_T3_T4_T5_mT6_T7_P12ihipStream_tbENKUlT_T0_E_clISt17integral_constantIbLb1EESY_EEDaST_SU_EUlST_E_NS1_11comp_targetILNS1_3genE0ELNS1_11target_archE4294967295ELNS1_3gpuE0ELNS1_3repE0EEENS1_30default_config_static_selectorELNS0_4arch9wavefront6targetE0EEEvT1_.numbered_sgpr, 0
	.set _ZN7rocprim17ROCPRIM_400000_NS6detail17trampoline_kernelINS0_14default_configENS1_27scan_by_key_config_selectorIssEEZZNS1_16scan_by_key_implILNS1_25lookback_scan_determinismE0ELb0ES3_N6thrust23THRUST_200600_302600_NS6detail15normal_iteratorINS9_10device_ptrIsEEEESE_SE_sNS9_4plusIsEE19head_flag_predicatesEE10hipError_tPvRmT2_T3_T4_T5_mT6_T7_P12ihipStream_tbENKUlT_T0_E_clISt17integral_constantIbLb1EESY_EEDaST_SU_EUlST_E_NS1_11comp_targetILNS1_3genE0ELNS1_11target_archE4294967295ELNS1_3gpuE0ELNS1_3repE0EEENS1_30default_config_static_selectorELNS0_4arch9wavefront6targetE0EEEvT1_.num_named_barrier, 0
	.set _ZN7rocprim17ROCPRIM_400000_NS6detail17trampoline_kernelINS0_14default_configENS1_27scan_by_key_config_selectorIssEEZZNS1_16scan_by_key_implILNS1_25lookback_scan_determinismE0ELb0ES3_N6thrust23THRUST_200600_302600_NS6detail15normal_iteratorINS9_10device_ptrIsEEEESE_SE_sNS9_4plusIsEE19head_flag_predicatesEE10hipError_tPvRmT2_T3_T4_T5_mT6_T7_P12ihipStream_tbENKUlT_T0_E_clISt17integral_constantIbLb1EESY_EEDaST_SU_EUlST_E_NS1_11comp_targetILNS1_3genE0ELNS1_11target_archE4294967295ELNS1_3gpuE0ELNS1_3repE0EEENS1_30default_config_static_selectorELNS0_4arch9wavefront6targetE0EEEvT1_.private_seg_size, 0
	.set _ZN7rocprim17ROCPRIM_400000_NS6detail17trampoline_kernelINS0_14default_configENS1_27scan_by_key_config_selectorIssEEZZNS1_16scan_by_key_implILNS1_25lookback_scan_determinismE0ELb0ES3_N6thrust23THRUST_200600_302600_NS6detail15normal_iteratorINS9_10device_ptrIsEEEESE_SE_sNS9_4plusIsEE19head_flag_predicatesEE10hipError_tPvRmT2_T3_T4_T5_mT6_T7_P12ihipStream_tbENKUlT_T0_E_clISt17integral_constantIbLb1EESY_EEDaST_SU_EUlST_E_NS1_11comp_targetILNS1_3genE0ELNS1_11target_archE4294967295ELNS1_3gpuE0ELNS1_3repE0EEENS1_30default_config_static_selectorELNS0_4arch9wavefront6targetE0EEEvT1_.uses_vcc, 0
	.set _ZN7rocprim17ROCPRIM_400000_NS6detail17trampoline_kernelINS0_14default_configENS1_27scan_by_key_config_selectorIssEEZZNS1_16scan_by_key_implILNS1_25lookback_scan_determinismE0ELb0ES3_N6thrust23THRUST_200600_302600_NS6detail15normal_iteratorINS9_10device_ptrIsEEEESE_SE_sNS9_4plusIsEE19head_flag_predicatesEE10hipError_tPvRmT2_T3_T4_T5_mT6_T7_P12ihipStream_tbENKUlT_T0_E_clISt17integral_constantIbLb1EESY_EEDaST_SU_EUlST_E_NS1_11comp_targetILNS1_3genE0ELNS1_11target_archE4294967295ELNS1_3gpuE0ELNS1_3repE0EEENS1_30default_config_static_selectorELNS0_4arch9wavefront6targetE0EEEvT1_.uses_flat_scratch, 0
	.set _ZN7rocprim17ROCPRIM_400000_NS6detail17trampoline_kernelINS0_14default_configENS1_27scan_by_key_config_selectorIssEEZZNS1_16scan_by_key_implILNS1_25lookback_scan_determinismE0ELb0ES3_N6thrust23THRUST_200600_302600_NS6detail15normal_iteratorINS9_10device_ptrIsEEEESE_SE_sNS9_4plusIsEE19head_flag_predicatesEE10hipError_tPvRmT2_T3_T4_T5_mT6_T7_P12ihipStream_tbENKUlT_T0_E_clISt17integral_constantIbLb1EESY_EEDaST_SU_EUlST_E_NS1_11comp_targetILNS1_3genE0ELNS1_11target_archE4294967295ELNS1_3gpuE0ELNS1_3repE0EEENS1_30default_config_static_selectorELNS0_4arch9wavefront6targetE0EEEvT1_.has_dyn_sized_stack, 0
	.set _ZN7rocprim17ROCPRIM_400000_NS6detail17trampoline_kernelINS0_14default_configENS1_27scan_by_key_config_selectorIssEEZZNS1_16scan_by_key_implILNS1_25lookback_scan_determinismE0ELb0ES3_N6thrust23THRUST_200600_302600_NS6detail15normal_iteratorINS9_10device_ptrIsEEEESE_SE_sNS9_4plusIsEE19head_flag_predicatesEE10hipError_tPvRmT2_T3_T4_T5_mT6_T7_P12ihipStream_tbENKUlT_T0_E_clISt17integral_constantIbLb1EESY_EEDaST_SU_EUlST_E_NS1_11comp_targetILNS1_3genE0ELNS1_11target_archE4294967295ELNS1_3gpuE0ELNS1_3repE0EEENS1_30default_config_static_selectorELNS0_4arch9wavefront6targetE0EEEvT1_.has_recursion, 0
	.set _ZN7rocprim17ROCPRIM_400000_NS6detail17trampoline_kernelINS0_14default_configENS1_27scan_by_key_config_selectorIssEEZZNS1_16scan_by_key_implILNS1_25lookback_scan_determinismE0ELb0ES3_N6thrust23THRUST_200600_302600_NS6detail15normal_iteratorINS9_10device_ptrIsEEEESE_SE_sNS9_4plusIsEE19head_flag_predicatesEE10hipError_tPvRmT2_T3_T4_T5_mT6_T7_P12ihipStream_tbENKUlT_T0_E_clISt17integral_constantIbLb1EESY_EEDaST_SU_EUlST_E_NS1_11comp_targetILNS1_3genE0ELNS1_11target_archE4294967295ELNS1_3gpuE0ELNS1_3repE0EEENS1_30default_config_static_selectorELNS0_4arch9wavefront6targetE0EEEvT1_.has_indirect_call, 0
	.section	.AMDGPU.csdata,"",@progbits
; Kernel info:
; codeLenInByte = 0
; TotalNumSgprs: 0
; NumVgprs: 0
; ScratchSize: 0
; MemoryBound: 0
; FloatMode: 240
; IeeeMode: 1
; LDSByteSize: 0 bytes/workgroup (compile time only)
; SGPRBlocks: 0
; VGPRBlocks: 0
; NumSGPRsForWavesPerEU: 1
; NumVGPRsForWavesPerEU: 1
; Occupancy: 16
; WaveLimiterHint : 0
; COMPUTE_PGM_RSRC2:SCRATCH_EN: 0
; COMPUTE_PGM_RSRC2:USER_SGPR: 6
; COMPUTE_PGM_RSRC2:TRAP_HANDLER: 0
; COMPUTE_PGM_RSRC2:TGID_X_EN: 1
; COMPUTE_PGM_RSRC2:TGID_Y_EN: 0
; COMPUTE_PGM_RSRC2:TGID_Z_EN: 0
; COMPUTE_PGM_RSRC2:TIDIG_COMP_CNT: 0
	.section	.text._ZN7rocprim17ROCPRIM_400000_NS6detail17trampoline_kernelINS0_14default_configENS1_27scan_by_key_config_selectorIssEEZZNS1_16scan_by_key_implILNS1_25lookback_scan_determinismE0ELb0ES3_N6thrust23THRUST_200600_302600_NS6detail15normal_iteratorINS9_10device_ptrIsEEEESE_SE_sNS9_4plusIsEE19head_flag_predicatesEE10hipError_tPvRmT2_T3_T4_T5_mT6_T7_P12ihipStream_tbENKUlT_T0_E_clISt17integral_constantIbLb1EESY_EEDaST_SU_EUlST_E_NS1_11comp_targetILNS1_3genE10ELNS1_11target_archE1201ELNS1_3gpuE5ELNS1_3repE0EEENS1_30default_config_static_selectorELNS0_4arch9wavefront6targetE0EEEvT1_,"axG",@progbits,_ZN7rocprim17ROCPRIM_400000_NS6detail17trampoline_kernelINS0_14default_configENS1_27scan_by_key_config_selectorIssEEZZNS1_16scan_by_key_implILNS1_25lookback_scan_determinismE0ELb0ES3_N6thrust23THRUST_200600_302600_NS6detail15normal_iteratorINS9_10device_ptrIsEEEESE_SE_sNS9_4plusIsEE19head_flag_predicatesEE10hipError_tPvRmT2_T3_T4_T5_mT6_T7_P12ihipStream_tbENKUlT_T0_E_clISt17integral_constantIbLb1EESY_EEDaST_SU_EUlST_E_NS1_11comp_targetILNS1_3genE10ELNS1_11target_archE1201ELNS1_3gpuE5ELNS1_3repE0EEENS1_30default_config_static_selectorELNS0_4arch9wavefront6targetE0EEEvT1_,comdat
	.protected	_ZN7rocprim17ROCPRIM_400000_NS6detail17trampoline_kernelINS0_14default_configENS1_27scan_by_key_config_selectorIssEEZZNS1_16scan_by_key_implILNS1_25lookback_scan_determinismE0ELb0ES3_N6thrust23THRUST_200600_302600_NS6detail15normal_iteratorINS9_10device_ptrIsEEEESE_SE_sNS9_4plusIsEE19head_flag_predicatesEE10hipError_tPvRmT2_T3_T4_T5_mT6_T7_P12ihipStream_tbENKUlT_T0_E_clISt17integral_constantIbLb1EESY_EEDaST_SU_EUlST_E_NS1_11comp_targetILNS1_3genE10ELNS1_11target_archE1201ELNS1_3gpuE5ELNS1_3repE0EEENS1_30default_config_static_selectorELNS0_4arch9wavefront6targetE0EEEvT1_ ; -- Begin function _ZN7rocprim17ROCPRIM_400000_NS6detail17trampoline_kernelINS0_14default_configENS1_27scan_by_key_config_selectorIssEEZZNS1_16scan_by_key_implILNS1_25lookback_scan_determinismE0ELb0ES3_N6thrust23THRUST_200600_302600_NS6detail15normal_iteratorINS9_10device_ptrIsEEEESE_SE_sNS9_4plusIsEE19head_flag_predicatesEE10hipError_tPvRmT2_T3_T4_T5_mT6_T7_P12ihipStream_tbENKUlT_T0_E_clISt17integral_constantIbLb1EESY_EEDaST_SU_EUlST_E_NS1_11comp_targetILNS1_3genE10ELNS1_11target_archE1201ELNS1_3gpuE5ELNS1_3repE0EEENS1_30default_config_static_selectorELNS0_4arch9wavefront6targetE0EEEvT1_
	.globl	_ZN7rocprim17ROCPRIM_400000_NS6detail17trampoline_kernelINS0_14default_configENS1_27scan_by_key_config_selectorIssEEZZNS1_16scan_by_key_implILNS1_25lookback_scan_determinismE0ELb0ES3_N6thrust23THRUST_200600_302600_NS6detail15normal_iteratorINS9_10device_ptrIsEEEESE_SE_sNS9_4plusIsEE19head_flag_predicatesEE10hipError_tPvRmT2_T3_T4_T5_mT6_T7_P12ihipStream_tbENKUlT_T0_E_clISt17integral_constantIbLb1EESY_EEDaST_SU_EUlST_E_NS1_11comp_targetILNS1_3genE10ELNS1_11target_archE1201ELNS1_3gpuE5ELNS1_3repE0EEENS1_30default_config_static_selectorELNS0_4arch9wavefront6targetE0EEEvT1_
	.p2align	8
	.type	_ZN7rocprim17ROCPRIM_400000_NS6detail17trampoline_kernelINS0_14default_configENS1_27scan_by_key_config_selectorIssEEZZNS1_16scan_by_key_implILNS1_25lookback_scan_determinismE0ELb0ES3_N6thrust23THRUST_200600_302600_NS6detail15normal_iteratorINS9_10device_ptrIsEEEESE_SE_sNS9_4plusIsEE19head_flag_predicatesEE10hipError_tPvRmT2_T3_T4_T5_mT6_T7_P12ihipStream_tbENKUlT_T0_E_clISt17integral_constantIbLb1EESY_EEDaST_SU_EUlST_E_NS1_11comp_targetILNS1_3genE10ELNS1_11target_archE1201ELNS1_3gpuE5ELNS1_3repE0EEENS1_30default_config_static_selectorELNS0_4arch9wavefront6targetE0EEEvT1_,@function
_ZN7rocprim17ROCPRIM_400000_NS6detail17trampoline_kernelINS0_14default_configENS1_27scan_by_key_config_selectorIssEEZZNS1_16scan_by_key_implILNS1_25lookback_scan_determinismE0ELb0ES3_N6thrust23THRUST_200600_302600_NS6detail15normal_iteratorINS9_10device_ptrIsEEEESE_SE_sNS9_4plusIsEE19head_flag_predicatesEE10hipError_tPvRmT2_T3_T4_T5_mT6_T7_P12ihipStream_tbENKUlT_T0_E_clISt17integral_constantIbLb1EESY_EEDaST_SU_EUlST_E_NS1_11comp_targetILNS1_3genE10ELNS1_11target_archE1201ELNS1_3gpuE5ELNS1_3repE0EEENS1_30default_config_static_selectorELNS0_4arch9wavefront6targetE0EEEvT1_: ; @_ZN7rocprim17ROCPRIM_400000_NS6detail17trampoline_kernelINS0_14default_configENS1_27scan_by_key_config_selectorIssEEZZNS1_16scan_by_key_implILNS1_25lookback_scan_determinismE0ELb0ES3_N6thrust23THRUST_200600_302600_NS6detail15normal_iteratorINS9_10device_ptrIsEEEESE_SE_sNS9_4plusIsEE19head_flag_predicatesEE10hipError_tPvRmT2_T3_T4_T5_mT6_T7_P12ihipStream_tbENKUlT_T0_E_clISt17integral_constantIbLb1EESY_EEDaST_SU_EUlST_E_NS1_11comp_targetILNS1_3genE10ELNS1_11target_archE1201ELNS1_3gpuE5ELNS1_3repE0EEENS1_30default_config_static_selectorELNS0_4arch9wavefront6targetE0EEEvT1_
; %bb.0:
	.section	.rodata,"a",@progbits
	.p2align	6, 0x0
	.amdhsa_kernel _ZN7rocprim17ROCPRIM_400000_NS6detail17trampoline_kernelINS0_14default_configENS1_27scan_by_key_config_selectorIssEEZZNS1_16scan_by_key_implILNS1_25lookback_scan_determinismE0ELb0ES3_N6thrust23THRUST_200600_302600_NS6detail15normal_iteratorINS9_10device_ptrIsEEEESE_SE_sNS9_4plusIsEE19head_flag_predicatesEE10hipError_tPvRmT2_T3_T4_T5_mT6_T7_P12ihipStream_tbENKUlT_T0_E_clISt17integral_constantIbLb1EESY_EEDaST_SU_EUlST_E_NS1_11comp_targetILNS1_3genE10ELNS1_11target_archE1201ELNS1_3gpuE5ELNS1_3repE0EEENS1_30default_config_static_selectorELNS0_4arch9wavefront6targetE0EEEvT1_
		.amdhsa_group_segment_fixed_size 0
		.amdhsa_private_segment_fixed_size 0
		.amdhsa_kernarg_size 112
		.amdhsa_user_sgpr_count 6
		.amdhsa_user_sgpr_private_segment_buffer 1
		.amdhsa_user_sgpr_dispatch_ptr 0
		.amdhsa_user_sgpr_queue_ptr 0
		.amdhsa_user_sgpr_kernarg_segment_ptr 1
		.amdhsa_user_sgpr_dispatch_id 0
		.amdhsa_user_sgpr_flat_scratch_init 0
		.amdhsa_user_sgpr_private_segment_size 0
		.amdhsa_wavefront_size32 1
		.amdhsa_uses_dynamic_stack 0
		.amdhsa_system_sgpr_private_segment_wavefront_offset 0
		.amdhsa_system_sgpr_workgroup_id_x 1
		.amdhsa_system_sgpr_workgroup_id_y 0
		.amdhsa_system_sgpr_workgroup_id_z 0
		.amdhsa_system_sgpr_workgroup_info 0
		.amdhsa_system_vgpr_workitem_id 0
		.amdhsa_next_free_vgpr 1
		.amdhsa_next_free_sgpr 1
		.amdhsa_reserve_vcc 0
		.amdhsa_reserve_flat_scratch 0
		.amdhsa_float_round_mode_32 0
		.amdhsa_float_round_mode_16_64 0
		.amdhsa_float_denorm_mode_32 3
		.amdhsa_float_denorm_mode_16_64 3
		.amdhsa_dx10_clamp 1
		.amdhsa_ieee_mode 1
		.amdhsa_fp16_overflow 0
		.amdhsa_workgroup_processor_mode 1
		.amdhsa_memory_ordered 1
		.amdhsa_forward_progress 1
		.amdhsa_shared_vgpr_count 0
		.amdhsa_exception_fp_ieee_invalid_op 0
		.amdhsa_exception_fp_denorm_src 0
		.amdhsa_exception_fp_ieee_div_zero 0
		.amdhsa_exception_fp_ieee_overflow 0
		.amdhsa_exception_fp_ieee_underflow 0
		.amdhsa_exception_fp_ieee_inexact 0
		.amdhsa_exception_int_div_zero 0
	.end_amdhsa_kernel
	.section	.text._ZN7rocprim17ROCPRIM_400000_NS6detail17trampoline_kernelINS0_14default_configENS1_27scan_by_key_config_selectorIssEEZZNS1_16scan_by_key_implILNS1_25lookback_scan_determinismE0ELb0ES3_N6thrust23THRUST_200600_302600_NS6detail15normal_iteratorINS9_10device_ptrIsEEEESE_SE_sNS9_4plusIsEE19head_flag_predicatesEE10hipError_tPvRmT2_T3_T4_T5_mT6_T7_P12ihipStream_tbENKUlT_T0_E_clISt17integral_constantIbLb1EESY_EEDaST_SU_EUlST_E_NS1_11comp_targetILNS1_3genE10ELNS1_11target_archE1201ELNS1_3gpuE5ELNS1_3repE0EEENS1_30default_config_static_selectorELNS0_4arch9wavefront6targetE0EEEvT1_,"axG",@progbits,_ZN7rocprim17ROCPRIM_400000_NS6detail17trampoline_kernelINS0_14default_configENS1_27scan_by_key_config_selectorIssEEZZNS1_16scan_by_key_implILNS1_25lookback_scan_determinismE0ELb0ES3_N6thrust23THRUST_200600_302600_NS6detail15normal_iteratorINS9_10device_ptrIsEEEESE_SE_sNS9_4plusIsEE19head_flag_predicatesEE10hipError_tPvRmT2_T3_T4_T5_mT6_T7_P12ihipStream_tbENKUlT_T0_E_clISt17integral_constantIbLb1EESY_EEDaST_SU_EUlST_E_NS1_11comp_targetILNS1_3genE10ELNS1_11target_archE1201ELNS1_3gpuE5ELNS1_3repE0EEENS1_30default_config_static_selectorELNS0_4arch9wavefront6targetE0EEEvT1_,comdat
.Lfunc_end831:
	.size	_ZN7rocprim17ROCPRIM_400000_NS6detail17trampoline_kernelINS0_14default_configENS1_27scan_by_key_config_selectorIssEEZZNS1_16scan_by_key_implILNS1_25lookback_scan_determinismE0ELb0ES3_N6thrust23THRUST_200600_302600_NS6detail15normal_iteratorINS9_10device_ptrIsEEEESE_SE_sNS9_4plusIsEE19head_flag_predicatesEE10hipError_tPvRmT2_T3_T4_T5_mT6_T7_P12ihipStream_tbENKUlT_T0_E_clISt17integral_constantIbLb1EESY_EEDaST_SU_EUlST_E_NS1_11comp_targetILNS1_3genE10ELNS1_11target_archE1201ELNS1_3gpuE5ELNS1_3repE0EEENS1_30default_config_static_selectorELNS0_4arch9wavefront6targetE0EEEvT1_, .Lfunc_end831-_ZN7rocprim17ROCPRIM_400000_NS6detail17trampoline_kernelINS0_14default_configENS1_27scan_by_key_config_selectorIssEEZZNS1_16scan_by_key_implILNS1_25lookback_scan_determinismE0ELb0ES3_N6thrust23THRUST_200600_302600_NS6detail15normal_iteratorINS9_10device_ptrIsEEEESE_SE_sNS9_4plusIsEE19head_flag_predicatesEE10hipError_tPvRmT2_T3_T4_T5_mT6_T7_P12ihipStream_tbENKUlT_T0_E_clISt17integral_constantIbLb1EESY_EEDaST_SU_EUlST_E_NS1_11comp_targetILNS1_3genE10ELNS1_11target_archE1201ELNS1_3gpuE5ELNS1_3repE0EEENS1_30default_config_static_selectorELNS0_4arch9wavefront6targetE0EEEvT1_
                                        ; -- End function
	.set _ZN7rocprim17ROCPRIM_400000_NS6detail17trampoline_kernelINS0_14default_configENS1_27scan_by_key_config_selectorIssEEZZNS1_16scan_by_key_implILNS1_25lookback_scan_determinismE0ELb0ES3_N6thrust23THRUST_200600_302600_NS6detail15normal_iteratorINS9_10device_ptrIsEEEESE_SE_sNS9_4plusIsEE19head_flag_predicatesEE10hipError_tPvRmT2_T3_T4_T5_mT6_T7_P12ihipStream_tbENKUlT_T0_E_clISt17integral_constantIbLb1EESY_EEDaST_SU_EUlST_E_NS1_11comp_targetILNS1_3genE10ELNS1_11target_archE1201ELNS1_3gpuE5ELNS1_3repE0EEENS1_30default_config_static_selectorELNS0_4arch9wavefront6targetE0EEEvT1_.num_vgpr, 0
	.set _ZN7rocprim17ROCPRIM_400000_NS6detail17trampoline_kernelINS0_14default_configENS1_27scan_by_key_config_selectorIssEEZZNS1_16scan_by_key_implILNS1_25lookback_scan_determinismE0ELb0ES3_N6thrust23THRUST_200600_302600_NS6detail15normal_iteratorINS9_10device_ptrIsEEEESE_SE_sNS9_4plusIsEE19head_flag_predicatesEE10hipError_tPvRmT2_T3_T4_T5_mT6_T7_P12ihipStream_tbENKUlT_T0_E_clISt17integral_constantIbLb1EESY_EEDaST_SU_EUlST_E_NS1_11comp_targetILNS1_3genE10ELNS1_11target_archE1201ELNS1_3gpuE5ELNS1_3repE0EEENS1_30default_config_static_selectorELNS0_4arch9wavefront6targetE0EEEvT1_.num_agpr, 0
	.set _ZN7rocprim17ROCPRIM_400000_NS6detail17trampoline_kernelINS0_14default_configENS1_27scan_by_key_config_selectorIssEEZZNS1_16scan_by_key_implILNS1_25lookback_scan_determinismE0ELb0ES3_N6thrust23THRUST_200600_302600_NS6detail15normal_iteratorINS9_10device_ptrIsEEEESE_SE_sNS9_4plusIsEE19head_flag_predicatesEE10hipError_tPvRmT2_T3_T4_T5_mT6_T7_P12ihipStream_tbENKUlT_T0_E_clISt17integral_constantIbLb1EESY_EEDaST_SU_EUlST_E_NS1_11comp_targetILNS1_3genE10ELNS1_11target_archE1201ELNS1_3gpuE5ELNS1_3repE0EEENS1_30default_config_static_selectorELNS0_4arch9wavefront6targetE0EEEvT1_.numbered_sgpr, 0
	.set _ZN7rocprim17ROCPRIM_400000_NS6detail17trampoline_kernelINS0_14default_configENS1_27scan_by_key_config_selectorIssEEZZNS1_16scan_by_key_implILNS1_25lookback_scan_determinismE0ELb0ES3_N6thrust23THRUST_200600_302600_NS6detail15normal_iteratorINS9_10device_ptrIsEEEESE_SE_sNS9_4plusIsEE19head_flag_predicatesEE10hipError_tPvRmT2_T3_T4_T5_mT6_T7_P12ihipStream_tbENKUlT_T0_E_clISt17integral_constantIbLb1EESY_EEDaST_SU_EUlST_E_NS1_11comp_targetILNS1_3genE10ELNS1_11target_archE1201ELNS1_3gpuE5ELNS1_3repE0EEENS1_30default_config_static_selectorELNS0_4arch9wavefront6targetE0EEEvT1_.num_named_barrier, 0
	.set _ZN7rocprim17ROCPRIM_400000_NS6detail17trampoline_kernelINS0_14default_configENS1_27scan_by_key_config_selectorIssEEZZNS1_16scan_by_key_implILNS1_25lookback_scan_determinismE0ELb0ES3_N6thrust23THRUST_200600_302600_NS6detail15normal_iteratorINS9_10device_ptrIsEEEESE_SE_sNS9_4plusIsEE19head_flag_predicatesEE10hipError_tPvRmT2_T3_T4_T5_mT6_T7_P12ihipStream_tbENKUlT_T0_E_clISt17integral_constantIbLb1EESY_EEDaST_SU_EUlST_E_NS1_11comp_targetILNS1_3genE10ELNS1_11target_archE1201ELNS1_3gpuE5ELNS1_3repE0EEENS1_30default_config_static_selectorELNS0_4arch9wavefront6targetE0EEEvT1_.private_seg_size, 0
	.set _ZN7rocprim17ROCPRIM_400000_NS6detail17trampoline_kernelINS0_14default_configENS1_27scan_by_key_config_selectorIssEEZZNS1_16scan_by_key_implILNS1_25lookback_scan_determinismE0ELb0ES3_N6thrust23THRUST_200600_302600_NS6detail15normal_iteratorINS9_10device_ptrIsEEEESE_SE_sNS9_4plusIsEE19head_flag_predicatesEE10hipError_tPvRmT2_T3_T4_T5_mT6_T7_P12ihipStream_tbENKUlT_T0_E_clISt17integral_constantIbLb1EESY_EEDaST_SU_EUlST_E_NS1_11comp_targetILNS1_3genE10ELNS1_11target_archE1201ELNS1_3gpuE5ELNS1_3repE0EEENS1_30default_config_static_selectorELNS0_4arch9wavefront6targetE0EEEvT1_.uses_vcc, 0
	.set _ZN7rocprim17ROCPRIM_400000_NS6detail17trampoline_kernelINS0_14default_configENS1_27scan_by_key_config_selectorIssEEZZNS1_16scan_by_key_implILNS1_25lookback_scan_determinismE0ELb0ES3_N6thrust23THRUST_200600_302600_NS6detail15normal_iteratorINS9_10device_ptrIsEEEESE_SE_sNS9_4plusIsEE19head_flag_predicatesEE10hipError_tPvRmT2_T3_T4_T5_mT6_T7_P12ihipStream_tbENKUlT_T0_E_clISt17integral_constantIbLb1EESY_EEDaST_SU_EUlST_E_NS1_11comp_targetILNS1_3genE10ELNS1_11target_archE1201ELNS1_3gpuE5ELNS1_3repE0EEENS1_30default_config_static_selectorELNS0_4arch9wavefront6targetE0EEEvT1_.uses_flat_scratch, 0
	.set _ZN7rocprim17ROCPRIM_400000_NS6detail17trampoline_kernelINS0_14default_configENS1_27scan_by_key_config_selectorIssEEZZNS1_16scan_by_key_implILNS1_25lookback_scan_determinismE0ELb0ES3_N6thrust23THRUST_200600_302600_NS6detail15normal_iteratorINS9_10device_ptrIsEEEESE_SE_sNS9_4plusIsEE19head_flag_predicatesEE10hipError_tPvRmT2_T3_T4_T5_mT6_T7_P12ihipStream_tbENKUlT_T0_E_clISt17integral_constantIbLb1EESY_EEDaST_SU_EUlST_E_NS1_11comp_targetILNS1_3genE10ELNS1_11target_archE1201ELNS1_3gpuE5ELNS1_3repE0EEENS1_30default_config_static_selectorELNS0_4arch9wavefront6targetE0EEEvT1_.has_dyn_sized_stack, 0
	.set _ZN7rocprim17ROCPRIM_400000_NS6detail17trampoline_kernelINS0_14default_configENS1_27scan_by_key_config_selectorIssEEZZNS1_16scan_by_key_implILNS1_25lookback_scan_determinismE0ELb0ES3_N6thrust23THRUST_200600_302600_NS6detail15normal_iteratorINS9_10device_ptrIsEEEESE_SE_sNS9_4plusIsEE19head_flag_predicatesEE10hipError_tPvRmT2_T3_T4_T5_mT6_T7_P12ihipStream_tbENKUlT_T0_E_clISt17integral_constantIbLb1EESY_EEDaST_SU_EUlST_E_NS1_11comp_targetILNS1_3genE10ELNS1_11target_archE1201ELNS1_3gpuE5ELNS1_3repE0EEENS1_30default_config_static_selectorELNS0_4arch9wavefront6targetE0EEEvT1_.has_recursion, 0
	.set _ZN7rocprim17ROCPRIM_400000_NS6detail17trampoline_kernelINS0_14default_configENS1_27scan_by_key_config_selectorIssEEZZNS1_16scan_by_key_implILNS1_25lookback_scan_determinismE0ELb0ES3_N6thrust23THRUST_200600_302600_NS6detail15normal_iteratorINS9_10device_ptrIsEEEESE_SE_sNS9_4plusIsEE19head_flag_predicatesEE10hipError_tPvRmT2_T3_T4_T5_mT6_T7_P12ihipStream_tbENKUlT_T0_E_clISt17integral_constantIbLb1EESY_EEDaST_SU_EUlST_E_NS1_11comp_targetILNS1_3genE10ELNS1_11target_archE1201ELNS1_3gpuE5ELNS1_3repE0EEENS1_30default_config_static_selectorELNS0_4arch9wavefront6targetE0EEEvT1_.has_indirect_call, 0
	.section	.AMDGPU.csdata,"",@progbits
; Kernel info:
; codeLenInByte = 0
; TotalNumSgprs: 0
; NumVgprs: 0
; ScratchSize: 0
; MemoryBound: 0
; FloatMode: 240
; IeeeMode: 1
; LDSByteSize: 0 bytes/workgroup (compile time only)
; SGPRBlocks: 0
; VGPRBlocks: 0
; NumSGPRsForWavesPerEU: 1
; NumVGPRsForWavesPerEU: 1
; Occupancy: 16
; WaveLimiterHint : 0
; COMPUTE_PGM_RSRC2:SCRATCH_EN: 0
; COMPUTE_PGM_RSRC2:USER_SGPR: 6
; COMPUTE_PGM_RSRC2:TRAP_HANDLER: 0
; COMPUTE_PGM_RSRC2:TGID_X_EN: 1
; COMPUTE_PGM_RSRC2:TGID_Y_EN: 0
; COMPUTE_PGM_RSRC2:TGID_Z_EN: 0
; COMPUTE_PGM_RSRC2:TIDIG_COMP_CNT: 0
	.section	.text._ZN7rocprim17ROCPRIM_400000_NS6detail17trampoline_kernelINS0_14default_configENS1_27scan_by_key_config_selectorIssEEZZNS1_16scan_by_key_implILNS1_25lookback_scan_determinismE0ELb0ES3_N6thrust23THRUST_200600_302600_NS6detail15normal_iteratorINS9_10device_ptrIsEEEESE_SE_sNS9_4plusIsEE19head_flag_predicatesEE10hipError_tPvRmT2_T3_T4_T5_mT6_T7_P12ihipStream_tbENKUlT_T0_E_clISt17integral_constantIbLb1EESY_EEDaST_SU_EUlST_E_NS1_11comp_targetILNS1_3genE5ELNS1_11target_archE942ELNS1_3gpuE9ELNS1_3repE0EEENS1_30default_config_static_selectorELNS0_4arch9wavefront6targetE0EEEvT1_,"axG",@progbits,_ZN7rocprim17ROCPRIM_400000_NS6detail17trampoline_kernelINS0_14default_configENS1_27scan_by_key_config_selectorIssEEZZNS1_16scan_by_key_implILNS1_25lookback_scan_determinismE0ELb0ES3_N6thrust23THRUST_200600_302600_NS6detail15normal_iteratorINS9_10device_ptrIsEEEESE_SE_sNS9_4plusIsEE19head_flag_predicatesEE10hipError_tPvRmT2_T3_T4_T5_mT6_T7_P12ihipStream_tbENKUlT_T0_E_clISt17integral_constantIbLb1EESY_EEDaST_SU_EUlST_E_NS1_11comp_targetILNS1_3genE5ELNS1_11target_archE942ELNS1_3gpuE9ELNS1_3repE0EEENS1_30default_config_static_selectorELNS0_4arch9wavefront6targetE0EEEvT1_,comdat
	.protected	_ZN7rocprim17ROCPRIM_400000_NS6detail17trampoline_kernelINS0_14default_configENS1_27scan_by_key_config_selectorIssEEZZNS1_16scan_by_key_implILNS1_25lookback_scan_determinismE0ELb0ES3_N6thrust23THRUST_200600_302600_NS6detail15normal_iteratorINS9_10device_ptrIsEEEESE_SE_sNS9_4plusIsEE19head_flag_predicatesEE10hipError_tPvRmT2_T3_T4_T5_mT6_T7_P12ihipStream_tbENKUlT_T0_E_clISt17integral_constantIbLb1EESY_EEDaST_SU_EUlST_E_NS1_11comp_targetILNS1_3genE5ELNS1_11target_archE942ELNS1_3gpuE9ELNS1_3repE0EEENS1_30default_config_static_selectorELNS0_4arch9wavefront6targetE0EEEvT1_ ; -- Begin function _ZN7rocprim17ROCPRIM_400000_NS6detail17trampoline_kernelINS0_14default_configENS1_27scan_by_key_config_selectorIssEEZZNS1_16scan_by_key_implILNS1_25lookback_scan_determinismE0ELb0ES3_N6thrust23THRUST_200600_302600_NS6detail15normal_iteratorINS9_10device_ptrIsEEEESE_SE_sNS9_4plusIsEE19head_flag_predicatesEE10hipError_tPvRmT2_T3_T4_T5_mT6_T7_P12ihipStream_tbENKUlT_T0_E_clISt17integral_constantIbLb1EESY_EEDaST_SU_EUlST_E_NS1_11comp_targetILNS1_3genE5ELNS1_11target_archE942ELNS1_3gpuE9ELNS1_3repE0EEENS1_30default_config_static_selectorELNS0_4arch9wavefront6targetE0EEEvT1_
	.globl	_ZN7rocprim17ROCPRIM_400000_NS6detail17trampoline_kernelINS0_14default_configENS1_27scan_by_key_config_selectorIssEEZZNS1_16scan_by_key_implILNS1_25lookback_scan_determinismE0ELb0ES3_N6thrust23THRUST_200600_302600_NS6detail15normal_iteratorINS9_10device_ptrIsEEEESE_SE_sNS9_4plusIsEE19head_flag_predicatesEE10hipError_tPvRmT2_T3_T4_T5_mT6_T7_P12ihipStream_tbENKUlT_T0_E_clISt17integral_constantIbLb1EESY_EEDaST_SU_EUlST_E_NS1_11comp_targetILNS1_3genE5ELNS1_11target_archE942ELNS1_3gpuE9ELNS1_3repE0EEENS1_30default_config_static_selectorELNS0_4arch9wavefront6targetE0EEEvT1_
	.p2align	8
	.type	_ZN7rocprim17ROCPRIM_400000_NS6detail17trampoline_kernelINS0_14default_configENS1_27scan_by_key_config_selectorIssEEZZNS1_16scan_by_key_implILNS1_25lookback_scan_determinismE0ELb0ES3_N6thrust23THRUST_200600_302600_NS6detail15normal_iteratorINS9_10device_ptrIsEEEESE_SE_sNS9_4plusIsEE19head_flag_predicatesEE10hipError_tPvRmT2_T3_T4_T5_mT6_T7_P12ihipStream_tbENKUlT_T0_E_clISt17integral_constantIbLb1EESY_EEDaST_SU_EUlST_E_NS1_11comp_targetILNS1_3genE5ELNS1_11target_archE942ELNS1_3gpuE9ELNS1_3repE0EEENS1_30default_config_static_selectorELNS0_4arch9wavefront6targetE0EEEvT1_,@function
_ZN7rocprim17ROCPRIM_400000_NS6detail17trampoline_kernelINS0_14default_configENS1_27scan_by_key_config_selectorIssEEZZNS1_16scan_by_key_implILNS1_25lookback_scan_determinismE0ELb0ES3_N6thrust23THRUST_200600_302600_NS6detail15normal_iteratorINS9_10device_ptrIsEEEESE_SE_sNS9_4plusIsEE19head_flag_predicatesEE10hipError_tPvRmT2_T3_T4_T5_mT6_T7_P12ihipStream_tbENKUlT_T0_E_clISt17integral_constantIbLb1EESY_EEDaST_SU_EUlST_E_NS1_11comp_targetILNS1_3genE5ELNS1_11target_archE942ELNS1_3gpuE9ELNS1_3repE0EEENS1_30default_config_static_selectorELNS0_4arch9wavefront6targetE0EEEvT1_: ; @_ZN7rocprim17ROCPRIM_400000_NS6detail17trampoline_kernelINS0_14default_configENS1_27scan_by_key_config_selectorIssEEZZNS1_16scan_by_key_implILNS1_25lookback_scan_determinismE0ELb0ES3_N6thrust23THRUST_200600_302600_NS6detail15normal_iteratorINS9_10device_ptrIsEEEESE_SE_sNS9_4plusIsEE19head_flag_predicatesEE10hipError_tPvRmT2_T3_T4_T5_mT6_T7_P12ihipStream_tbENKUlT_T0_E_clISt17integral_constantIbLb1EESY_EEDaST_SU_EUlST_E_NS1_11comp_targetILNS1_3genE5ELNS1_11target_archE942ELNS1_3gpuE9ELNS1_3repE0EEENS1_30default_config_static_selectorELNS0_4arch9wavefront6targetE0EEEvT1_
; %bb.0:
	.section	.rodata,"a",@progbits
	.p2align	6, 0x0
	.amdhsa_kernel _ZN7rocprim17ROCPRIM_400000_NS6detail17trampoline_kernelINS0_14default_configENS1_27scan_by_key_config_selectorIssEEZZNS1_16scan_by_key_implILNS1_25lookback_scan_determinismE0ELb0ES3_N6thrust23THRUST_200600_302600_NS6detail15normal_iteratorINS9_10device_ptrIsEEEESE_SE_sNS9_4plusIsEE19head_flag_predicatesEE10hipError_tPvRmT2_T3_T4_T5_mT6_T7_P12ihipStream_tbENKUlT_T0_E_clISt17integral_constantIbLb1EESY_EEDaST_SU_EUlST_E_NS1_11comp_targetILNS1_3genE5ELNS1_11target_archE942ELNS1_3gpuE9ELNS1_3repE0EEENS1_30default_config_static_selectorELNS0_4arch9wavefront6targetE0EEEvT1_
		.amdhsa_group_segment_fixed_size 0
		.amdhsa_private_segment_fixed_size 0
		.amdhsa_kernarg_size 112
		.amdhsa_user_sgpr_count 6
		.amdhsa_user_sgpr_private_segment_buffer 1
		.amdhsa_user_sgpr_dispatch_ptr 0
		.amdhsa_user_sgpr_queue_ptr 0
		.amdhsa_user_sgpr_kernarg_segment_ptr 1
		.amdhsa_user_sgpr_dispatch_id 0
		.amdhsa_user_sgpr_flat_scratch_init 0
		.amdhsa_user_sgpr_private_segment_size 0
		.amdhsa_wavefront_size32 1
		.amdhsa_uses_dynamic_stack 0
		.amdhsa_system_sgpr_private_segment_wavefront_offset 0
		.amdhsa_system_sgpr_workgroup_id_x 1
		.amdhsa_system_sgpr_workgroup_id_y 0
		.amdhsa_system_sgpr_workgroup_id_z 0
		.amdhsa_system_sgpr_workgroup_info 0
		.amdhsa_system_vgpr_workitem_id 0
		.amdhsa_next_free_vgpr 1
		.amdhsa_next_free_sgpr 1
		.amdhsa_reserve_vcc 0
		.amdhsa_reserve_flat_scratch 0
		.amdhsa_float_round_mode_32 0
		.amdhsa_float_round_mode_16_64 0
		.amdhsa_float_denorm_mode_32 3
		.amdhsa_float_denorm_mode_16_64 3
		.amdhsa_dx10_clamp 1
		.amdhsa_ieee_mode 1
		.amdhsa_fp16_overflow 0
		.amdhsa_workgroup_processor_mode 1
		.amdhsa_memory_ordered 1
		.amdhsa_forward_progress 1
		.amdhsa_shared_vgpr_count 0
		.amdhsa_exception_fp_ieee_invalid_op 0
		.amdhsa_exception_fp_denorm_src 0
		.amdhsa_exception_fp_ieee_div_zero 0
		.amdhsa_exception_fp_ieee_overflow 0
		.amdhsa_exception_fp_ieee_underflow 0
		.amdhsa_exception_fp_ieee_inexact 0
		.amdhsa_exception_int_div_zero 0
	.end_amdhsa_kernel
	.section	.text._ZN7rocprim17ROCPRIM_400000_NS6detail17trampoline_kernelINS0_14default_configENS1_27scan_by_key_config_selectorIssEEZZNS1_16scan_by_key_implILNS1_25lookback_scan_determinismE0ELb0ES3_N6thrust23THRUST_200600_302600_NS6detail15normal_iteratorINS9_10device_ptrIsEEEESE_SE_sNS9_4plusIsEE19head_flag_predicatesEE10hipError_tPvRmT2_T3_T4_T5_mT6_T7_P12ihipStream_tbENKUlT_T0_E_clISt17integral_constantIbLb1EESY_EEDaST_SU_EUlST_E_NS1_11comp_targetILNS1_3genE5ELNS1_11target_archE942ELNS1_3gpuE9ELNS1_3repE0EEENS1_30default_config_static_selectorELNS0_4arch9wavefront6targetE0EEEvT1_,"axG",@progbits,_ZN7rocprim17ROCPRIM_400000_NS6detail17trampoline_kernelINS0_14default_configENS1_27scan_by_key_config_selectorIssEEZZNS1_16scan_by_key_implILNS1_25lookback_scan_determinismE0ELb0ES3_N6thrust23THRUST_200600_302600_NS6detail15normal_iteratorINS9_10device_ptrIsEEEESE_SE_sNS9_4plusIsEE19head_flag_predicatesEE10hipError_tPvRmT2_T3_T4_T5_mT6_T7_P12ihipStream_tbENKUlT_T0_E_clISt17integral_constantIbLb1EESY_EEDaST_SU_EUlST_E_NS1_11comp_targetILNS1_3genE5ELNS1_11target_archE942ELNS1_3gpuE9ELNS1_3repE0EEENS1_30default_config_static_selectorELNS0_4arch9wavefront6targetE0EEEvT1_,comdat
.Lfunc_end832:
	.size	_ZN7rocprim17ROCPRIM_400000_NS6detail17trampoline_kernelINS0_14default_configENS1_27scan_by_key_config_selectorIssEEZZNS1_16scan_by_key_implILNS1_25lookback_scan_determinismE0ELb0ES3_N6thrust23THRUST_200600_302600_NS6detail15normal_iteratorINS9_10device_ptrIsEEEESE_SE_sNS9_4plusIsEE19head_flag_predicatesEE10hipError_tPvRmT2_T3_T4_T5_mT6_T7_P12ihipStream_tbENKUlT_T0_E_clISt17integral_constantIbLb1EESY_EEDaST_SU_EUlST_E_NS1_11comp_targetILNS1_3genE5ELNS1_11target_archE942ELNS1_3gpuE9ELNS1_3repE0EEENS1_30default_config_static_selectorELNS0_4arch9wavefront6targetE0EEEvT1_, .Lfunc_end832-_ZN7rocprim17ROCPRIM_400000_NS6detail17trampoline_kernelINS0_14default_configENS1_27scan_by_key_config_selectorIssEEZZNS1_16scan_by_key_implILNS1_25lookback_scan_determinismE0ELb0ES3_N6thrust23THRUST_200600_302600_NS6detail15normal_iteratorINS9_10device_ptrIsEEEESE_SE_sNS9_4plusIsEE19head_flag_predicatesEE10hipError_tPvRmT2_T3_T4_T5_mT6_T7_P12ihipStream_tbENKUlT_T0_E_clISt17integral_constantIbLb1EESY_EEDaST_SU_EUlST_E_NS1_11comp_targetILNS1_3genE5ELNS1_11target_archE942ELNS1_3gpuE9ELNS1_3repE0EEENS1_30default_config_static_selectorELNS0_4arch9wavefront6targetE0EEEvT1_
                                        ; -- End function
	.set _ZN7rocprim17ROCPRIM_400000_NS6detail17trampoline_kernelINS0_14default_configENS1_27scan_by_key_config_selectorIssEEZZNS1_16scan_by_key_implILNS1_25lookback_scan_determinismE0ELb0ES3_N6thrust23THRUST_200600_302600_NS6detail15normal_iteratorINS9_10device_ptrIsEEEESE_SE_sNS9_4plusIsEE19head_flag_predicatesEE10hipError_tPvRmT2_T3_T4_T5_mT6_T7_P12ihipStream_tbENKUlT_T0_E_clISt17integral_constantIbLb1EESY_EEDaST_SU_EUlST_E_NS1_11comp_targetILNS1_3genE5ELNS1_11target_archE942ELNS1_3gpuE9ELNS1_3repE0EEENS1_30default_config_static_selectorELNS0_4arch9wavefront6targetE0EEEvT1_.num_vgpr, 0
	.set _ZN7rocprim17ROCPRIM_400000_NS6detail17trampoline_kernelINS0_14default_configENS1_27scan_by_key_config_selectorIssEEZZNS1_16scan_by_key_implILNS1_25lookback_scan_determinismE0ELb0ES3_N6thrust23THRUST_200600_302600_NS6detail15normal_iteratorINS9_10device_ptrIsEEEESE_SE_sNS9_4plusIsEE19head_flag_predicatesEE10hipError_tPvRmT2_T3_T4_T5_mT6_T7_P12ihipStream_tbENKUlT_T0_E_clISt17integral_constantIbLb1EESY_EEDaST_SU_EUlST_E_NS1_11comp_targetILNS1_3genE5ELNS1_11target_archE942ELNS1_3gpuE9ELNS1_3repE0EEENS1_30default_config_static_selectorELNS0_4arch9wavefront6targetE0EEEvT1_.num_agpr, 0
	.set _ZN7rocprim17ROCPRIM_400000_NS6detail17trampoline_kernelINS0_14default_configENS1_27scan_by_key_config_selectorIssEEZZNS1_16scan_by_key_implILNS1_25lookback_scan_determinismE0ELb0ES3_N6thrust23THRUST_200600_302600_NS6detail15normal_iteratorINS9_10device_ptrIsEEEESE_SE_sNS9_4plusIsEE19head_flag_predicatesEE10hipError_tPvRmT2_T3_T4_T5_mT6_T7_P12ihipStream_tbENKUlT_T0_E_clISt17integral_constantIbLb1EESY_EEDaST_SU_EUlST_E_NS1_11comp_targetILNS1_3genE5ELNS1_11target_archE942ELNS1_3gpuE9ELNS1_3repE0EEENS1_30default_config_static_selectorELNS0_4arch9wavefront6targetE0EEEvT1_.numbered_sgpr, 0
	.set _ZN7rocprim17ROCPRIM_400000_NS6detail17trampoline_kernelINS0_14default_configENS1_27scan_by_key_config_selectorIssEEZZNS1_16scan_by_key_implILNS1_25lookback_scan_determinismE0ELb0ES3_N6thrust23THRUST_200600_302600_NS6detail15normal_iteratorINS9_10device_ptrIsEEEESE_SE_sNS9_4plusIsEE19head_flag_predicatesEE10hipError_tPvRmT2_T3_T4_T5_mT6_T7_P12ihipStream_tbENKUlT_T0_E_clISt17integral_constantIbLb1EESY_EEDaST_SU_EUlST_E_NS1_11comp_targetILNS1_3genE5ELNS1_11target_archE942ELNS1_3gpuE9ELNS1_3repE0EEENS1_30default_config_static_selectorELNS0_4arch9wavefront6targetE0EEEvT1_.num_named_barrier, 0
	.set _ZN7rocprim17ROCPRIM_400000_NS6detail17trampoline_kernelINS0_14default_configENS1_27scan_by_key_config_selectorIssEEZZNS1_16scan_by_key_implILNS1_25lookback_scan_determinismE0ELb0ES3_N6thrust23THRUST_200600_302600_NS6detail15normal_iteratorINS9_10device_ptrIsEEEESE_SE_sNS9_4plusIsEE19head_flag_predicatesEE10hipError_tPvRmT2_T3_T4_T5_mT6_T7_P12ihipStream_tbENKUlT_T0_E_clISt17integral_constantIbLb1EESY_EEDaST_SU_EUlST_E_NS1_11comp_targetILNS1_3genE5ELNS1_11target_archE942ELNS1_3gpuE9ELNS1_3repE0EEENS1_30default_config_static_selectorELNS0_4arch9wavefront6targetE0EEEvT1_.private_seg_size, 0
	.set _ZN7rocprim17ROCPRIM_400000_NS6detail17trampoline_kernelINS0_14default_configENS1_27scan_by_key_config_selectorIssEEZZNS1_16scan_by_key_implILNS1_25lookback_scan_determinismE0ELb0ES3_N6thrust23THRUST_200600_302600_NS6detail15normal_iteratorINS9_10device_ptrIsEEEESE_SE_sNS9_4plusIsEE19head_flag_predicatesEE10hipError_tPvRmT2_T3_T4_T5_mT6_T7_P12ihipStream_tbENKUlT_T0_E_clISt17integral_constantIbLb1EESY_EEDaST_SU_EUlST_E_NS1_11comp_targetILNS1_3genE5ELNS1_11target_archE942ELNS1_3gpuE9ELNS1_3repE0EEENS1_30default_config_static_selectorELNS0_4arch9wavefront6targetE0EEEvT1_.uses_vcc, 0
	.set _ZN7rocprim17ROCPRIM_400000_NS6detail17trampoline_kernelINS0_14default_configENS1_27scan_by_key_config_selectorIssEEZZNS1_16scan_by_key_implILNS1_25lookback_scan_determinismE0ELb0ES3_N6thrust23THRUST_200600_302600_NS6detail15normal_iteratorINS9_10device_ptrIsEEEESE_SE_sNS9_4plusIsEE19head_flag_predicatesEE10hipError_tPvRmT2_T3_T4_T5_mT6_T7_P12ihipStream_tbENKUlT_T0_E_clISt17integral_constantIbLb1EESY_EEDaST_SU_EUlST_E_NS1_11comp_targetILNS1_3genE5ELNS1_11target_archE942ELNS1_3gpuE9ELNS1_3repE0EEENS1_30default_config_static_selectorELNS0_4arch9wavefront6targetE0EEEvT1_.uses_flat_scratch, 0
	.set _ZN7rocprim17ROCPRIM_400000_NS6detail17trampoline_kernelINS0_14default_configENS1_27scan_by_key_config_selectorIssEEZZNS1_16scan_by_key_implILNS1_25lookback_scan_determinismE0ELb0ES3_N6thrust23THRUST_200600_302600_NS6detail15normal_iteratorINS9_10device_ptrIsEEEESE_SE_sNS9_4plusIsEE19head_flag_predicatesEE10hipError_tPvRmT2_T3_T4_T5_mT6_T7_P12ihipStream_tbENKUlT_T0_E_clISt17integral_constantIbLb1EESY_EEDaST_SU_EUlST_E_NS1_11comp_targetILNS1_3genE5ELNS1_11target_archE942ELNS1_3gpuE9ELNS1_3repE0EEENS1_30default_config_static_selectorELNS0_4arch9wavefront6targetE0EEEvT1_.has_dyn_sized_stack, 0
	.set _ZN7rocprim17ROCPRIM_400000_NS6detail17trampoline_kernelINS0_14default_configENS1_27scan_by_key_config_selectorIssEEZZNS1_16scan_by_key_implILNS1_25lookback_scan_determinismE0ELb0ES3_N6thrust23THRUST_200600_302600_NS6detail15normal_iteratorINS9_10device_ptrIsEEEESE_SE_sNS9_4plusIsEE19head_flag_predicatesEE10hipError_tPvRmT2_T3_T4_T5_mT6_T7_P12ihipStream_tbENKUlT_T0_E_clISt17integral_constantIbLb1EESY_EEDaST_SU_EUlST_E_NS1_11comp_targetILNS1_3genE5ELNS1_11target_archE942ELNS1_3gpuE9ELNS1_3repE0EEENS1_30default_config_static_selectorELNS0_4arch9wavefront6targetE0EEEvT1_.has_recursion, 0
	.set _ZN7rocprim17ROCPRIM_400000_NS6detail17trampoline_kernelINS0_14default_configENS1_27scan_by_key_config_selectorIssEEZZNS1_16scan_by_key_implILNS1_25lookback_scan_determinismE0ELb0ES3_N6thrust23THRUST_200600_302600_NS6detail15normal_iteratorINS9_10device_ptrIsEEEESE_SE_sNS9_4plusIsEE19head_flag_predicatesEE10hipError_tPvRmT2_T3_T4_T5_mT6_T7_P12ihipStream_tbENKUlT_T0_E_clISt17integral_constantIbLb1EESY_EEDaST_SU_EUlST_E_NS1_11comp_targetILNS1_3genE5ELNS1_11target_archE942ELNS1_3gpuE9ELNS1_3repE0EEENS1_30default_config_static_selectorELNS0_4arch9wavefront6targetE0EEEvT1_.has_indirect_call, 0
	.section	.AMDGPU.csdata,"",@progbits
; Kernel info:
; codeLenInByte = 0
; TotalNumSgprs: 0
; NumVgprs: 0
; ScratchSize: 0
; MemoryBound: 0
; FloatMode: 240
; IeeeMode: 1
; LDSByteSize: 0 bytes/workgroup (compile time only)
; SGPRBlocks: 0
; VGPRBlocks: 0
; NumSGPRsForWavesPerEU: 1
; NumVGPRsForWavesPerEU: 1
; Occupancy: 16
; WaveLimiterHint : 0
; COMPUTE_PGM_RSRC2:SCRATCH_EN: 0
; COMPUTE_PGM_RSRC2:USER_SGPR: 6
; COMPUTE_PGM_RSRC2:TRAP_HANDLER: 0
; COMPUTE_PGM_RSRC2:TGID_X_EN: 1
; COMPUTE_PGM_RSRC2:TGID_Y_EN: 0
; COMPUTE_PGM_RSRC2:TGID_Z_EN: 0
; COMPUTE_PGM_RSRC2:TIDIG_COMP_CNT: 0
	.section	.text._ZN7rocprim17ROCPRIM_400000_NS6detail17trampoline_kernelINS0_14default_configENS1_27scan_by_key_config_selectorIssEEZZNS1_16scan_by_key_implILNS1_25lookback_scan_determinismE0ELb0ES3_N6thrust23THRUST_200600_302600_NS6detail15normal_iteratorINS9_10device_ptrIsEEEESE_SE_sNS9_4plusIsEE19head_flag_predicatesEE10hipError_tPvRmT2_T3_T4_T5_mT6_T7_P12ihipStream_tbENKUlT_T0_E_clISt17integral_constantIbLb1EESY_EEDaST_SU_EUlST_E_NS1_11comp_targetILNS1_3genE4ELNS1_11target_archE910ELNS1_3gpuE8ELNS1_3repE0EEENS1_30default_config_static_selectorELNS0_4arch9wavefront6targetE0EEEvT1_,"axG",@progbits,_ZN7rocprim17ROCPRIM_400000_NS6detail17trampoline_kernelINS0_14default_configENS1_27scan_by_key_config_selectorIssEEZZNS1_16scan_by_key_implILNS1_25lookback_scan_determinismE0ELb0ES3_N6thrust23THRUST_200600_302600_NS6detail15normal_iteratorINS9_10device_ptrIsEEEESE_SE_sNS9_4plusIsEE19head_flag_predicatesEE10hipError_tPvRmT2_T3_T4_T5_mT6_T7_P12ihipStream_tbENKUlT_T0_E_clISt17integral_constantIbLb1EESY_EEDaST_SU_EUlST_E_NS1_11comp_targetILNS1_3genE4ELNS1_11target_archE910ELNS1_3gpuE8ELNS1_3repE0EEENS1_30default_config_static_selectorELNS0_4arch9wavefront6targetE0EEEvT1_,comdat
	.protected	_ZN7rocprim17ROCPRIM_400000_NS6detail17trampoline_kernelINS0_14default_configENS1_27scan_by_key_config_selectorIssEEZZNS1_16scan_by_key_implILNS1_25lookback_scan_determinismE0ELb0ES3_N6thrust23THRUST_200600_302600_NS6detail15normal_iteratorINS9_10device_ptrIsEEEESE_SE_sNS9_4plusIsEE19head_flag_predicatesEE10hipError_tPvRmT2_T3_T4_T5_mT6_T7_P12ihipStream_tbENKUlT_T0_E_clISt17integral_constantIbLb1EESY_EEDaST_SU_EUlST_E_NS1_11comp_targetILNS1_3genE4ELNS1_11target_archE910ELNS1_3gpuE8ELNS1_3repE0EEENS1_30default_config_static_selectorELNS0_4arch9wavefront6targetE0EEEvT1_ ; -- Begin function _ZN7rocprim17ROCPRIM_400000_NS6detail17trampoline_kernelINS0_14default_configENS1_27scan_by_key_config_selectorIssEEZZNS1_16scan_by_key_implILNS1_25lookback_scan_determinismE0ELb0ES3_N6thrust23THRUST_200600_302600_NS6detail15normal_iteratorINS9_10device_ptrIsEEEESE_SE_sNS9_4plusIsEE19head_flag_predicatesEE10hipError_tPvRmT2_T3_T4_T5_mT6_T7_P12ihipStream_tbENKUlT_T0_E_clISt17integral_constantIbLb1EESY_EEDaST_SU_EUlST_E_NS1_11comp_targetILNS1_3genE4ELNS1_11target_archE910ELNS1_3gpuE8ELNS1_3repE0EEENS1_30default_config_static_selectorELNS0_4arch9wavefront6targetE0EEEvT1_
	.globl	_ZN7rocprim17ROCPRIM_400000_NS6detail17trampoline_kernelINS0_14default_configENS1_27scan_by_key_config_selectorIssEEZZNS1_16scan_by_key_implILNS1_25lookback_scan_determinismE0ELb0ES3_N6thrust23THRUST_200600_302600_NS6detail15normal_iteratorINS9_10device_ptrIsEEEESE_SE_sNS9_4plusIsEE19head_flag_predicatesEE10hipError_tPvRmT2_T3_T4_T5_mT6_T7_P12ihipStream_tbENKUlT_T0_E_clISt17integral_constantIbLb1EESY_EEDaST_SU_EUlST_E_NS1_11comp_targetILNS1_3genE4ELNS1_11target_archE910ELNS1_3gpuE8ELNS1_3repE0EEENS1_30default_config_static_selectorELNS0_4arch9wavefront6targetE0EEEvT1_
	.p2align	8
	.type	_ZN7rocprim17ROCPRIM_400000_NS6detail17trampoline_kernelINS0_14default_configENS1_27scan_by_key_config_selectorIssEEZZNS1_16scan_by_key_implILNS1_25lookback_scan_determinismE0ELb0ES3_N6thrust23THRUST_200600_302600_NS6detail15normal_iteratorINS9_10device_ptrIsEEEESE_SE_sNS9_4plusIsEE19head_flag_predicatesEE10hipError_tPvRmT2_T3_T4_T5_mT6_T7_P12ihipStream_tbENKUlT_T0_E_clISt17integral_constantIbLb1EESY_EEDaST_SU_EUlST_E_NS1_11comp_targetILNS1_3genE4ELNS1_11target_archE910ELNS1_3gpuE8ELNS1_3repE0EEENS1_30default_config_static_selectorELNS0_4arch9wavefront6targetE0EEEvT1_,@function
_ZN7rocprim17ROCPRIM_400000_NS6detail17trampoline_kernelINS0_14default_configENS1_27scan_by_key_config_selectorIssEEZZNS1_16scan_by_key_implILNS1_25lookback_scan_determinismE0ELb0ES3_N6thrust23THRUST_200600_302600_NS6detail15normal_iteratorINS9_10device_ptrIsEEEESE_SE_sNS9_4plusIsEE19head_flag_predicatesEE10hipError_tPvRmT2_T3_T4_T5_mT6_T7_P12ihipStream_tbENKUlT_T0_E_clISt17integral_constantIbLb1EESY_EEDaST_SU_EUlST_E_NS1_11comp_targetILNS1_3genE4ELNS1_11target_archE910ELNS1_3gpuE8ELNS1_3repE0EEENS1_30default_config_static_selectorELNS0_4arch9wavefront6targetE0EEEvT1_: ; @_ZN7rocprim17ROCPRIM_400000_NS6detail17trampoline_kernelINS0_14default_configENS1_27scan_by_key_config_selectorIssEEZZNS1_16scan_by_key_implILNS1_25lookback_scan_determinismE0ELb0ES3_N6thrust23THRUST_200600_302600_NS6detail15normal_iteratorINS9_10device_ptrIsEEEESE_SE_sNS9_4plusIsEE19head_flag_predicatesEE10hipError_tPvRmT2_T3_T4_T5_mT6_T7_P12ihipStream_tbENKUlT_T0_E_clISt17integral_constantIbLb1EESY_EEDaST_SU_EUlST_E_NS1_11comp_targetILNS1_3genE4ELNS1_11target_archE910ELNS1_3gpuE8ELNS1_3repE0EEENS1_30default_config_static_selectorELNS0_4arch9wavefront6targetE0EEEvT1_
; %bb.0:
	.section	.rodata,"a",@progbits
	.p2align	6, 0x0
	.amdhsa_kernel _ZN7rocprim17ROCPRIM_400000_NS6detail17trampoline_kernelINS0_14default_configENS1_27scan_by_key_config_selectorIssEEZZNS1_16scan_by_key_implILNS1_25lookback_scan_determinismE0ELb0ES3_N6thrust23THRUST_200600_302600_NS6detail15normal_iteratorINS9_10device_ptrIsEEEESE_SE_sNS9_4plusIsEE19head_flag_predicatesEE10hipError_tPvRmT2_T3_T4_T5_mT6_T7_P12ihipStream_tbENKUlT_T0_E_clISt17integral_constantIbLb1EESY_EEDaST_SU_EUlST_E_NS1_11comp_targetILNS1_3genE4ELNS1_11target_archE910ELNS1_3gpuE8ELNS1_3repE0EEENS1_30default_config_static_selectorELNS0_4arch9wavefront6targetE0EEEvT1_
		.amdhsa_group_segment_fixed_size 0
		.amdhsa_private_segment_fixed_size 0
		.amdhsa_kernarg_size 112
		.amdhsa_user_sgpr_count 6
		.amdhsa_user_sgpr_private_segment_buffer 1
		.amdhsa_user_sgpr_dispatch_ptr 0
		.amdhsa_user_sgpr_queue_ptr 0
		.amdhsa_user_sgpr_kernarg_segment_ptr 1
		.amdhsa_user_sgpr_dispatch_id 0
		.amdhsa_user_sgpr_flat_scratch_init 0
		.amdhsa_user_sgpr_private_segment_size 0
		.amdhsa_wavefront_size32 1
		.amdhsa_uses_dynamic_stack 0
		.amdhsa_system_sgpr_private_segment_wavefront_offset 0
		.amdhsa_system_sgpr_workgroup_id_x 1
		.amdhsa_system_sgpr_workgroup_id_y 0
		.amdhsa_system_sgpr_workgroup_id_z 0
		.amdhsa_system_sgpr_workgroup_info 0
		.amdhsa_system_vgpr_workitem_id 0
		.amdhsa_next_free_vgpr 1
		.amdhsa_next_free_sgpr 1
		.amdhsa_reserve_vcc 0
		.amdhsa_reserve_flat_scratch 0
		.amdhsa_float_round_mode_32 0
		.amdhsa_float_round_mode_16_64 0
		.amdhsa_float_denorm_mode_32 3
		.amdhsa_float_denorm_mode_16_64 3
		.amdhsa_dx10_clamp 1
		.amdhsa_ieee_mode 1
		.amdhsa_fp16_overflow 0
		.amdhsa_workgroup_processor_mode 1
		.amdhsa_memory_ordered 1
		.amdhsa_forward_progress 1
		.amdhsa_shared_vgpr_count 0
		.amdhsa_exception_fp_ieee_invalid_op 0
		.amdhsa_exception_fp_denorm_src 0
		.amdhsa_exception_fp_ieee_div_zero 0
		.amdhsa_exception_fp_ieee_overflow 0
		.amdhsa_exception_fp_ieee_underflow 0
		.amdhsa_exception_fp_ieee_inexact 0
		.amdhsa_exception_int_div_zero 0
	.end_amdhsa_kernel
	.section	.text._ZN7rocprim17ROCPRIM_400000_NS6detail17trampoline_kernelINS0_14default_configENS1_27scan_by_key_config_selectorIssEEZZNS1_16scan_by_key_implILNS1_25lookback_scan_determinismE0ELb0ES3_N6thrust23THRUST_200600_302600_NS6detail15normal_iteratorINS9_10device_ptrIsEEEESE_SE_sNS9_4plusIsEE19head_flag_predicatesEE10hipError_tPvRmT2_T3_T4_T5_mT6_T7_P12ihipStream_tbENKUlT_T0_E_clISt17integral_constantIbLb1EESY_EEDaST_SU_EUlST_E_NS1_11comp_targetILNS1_3genE4ELNS1_11target_archE910ELNS1_3gpuE8ELNS1_3repE0EEENS1_30default_config_static_selectorELNS0_4arch9wavefront6targetE0EEEvT1_,"axG",@progbits,_ZN7rocprim17ROCPRIM_400000_NS6detail17trampoline_kernelINS0_14default_configENS1_27scan_by_key_config_selectorIssEEZZNS1_16scan_by_key_implILNS1_25lookback_scan_determinismE0ELb0ES3_N6thrust23THRUST_200600_302600_NS6detail15normal_iteratorINS9_10device_ptrIsEEEESE_SE_sNS9_4plusIsEE19head_flag_predicatesEE10hipError_tPvRmT2_T3_T4_T5_mT6_T7_P12ihipStream_tbENKUlT_T0_E_clISt17integral_constantIbLb1EESY_EEDaST_SU_EUlST_E_NS1_11comp_targetILNS1_3genE4ELNS1_11target_archE910ELNS1_3gpuE8ELNS1_3repE0EEENS1_30default_config_static_selectorELNS0_4arch9wavefront6targetE0EEEvT1_,comdat
.Lfunc_end833:
	.size	_ZN7rocprim17ROCPRIM_400000_NS6detail17trampoline_kernelINS0_14default_configENS1_27scan_by_key_config_selectorIssEEZZNS1_16scan_by_key_implILNS1_25lookback_scan_determinismE0ELb0ES3_N6thrust23THRUST_200600_302600_NS6detail15normal_iteratorINS9_10device_ptrIsEEEESE_SE_sNS9_4plusIsEE19head_flag_predicatesEE10hipError_tPvRmT2_T3_T4_T5_mT6_T7_P12ihipStream_tbENKUlT_T0_E_clISt17integral_constantIbLb1EESY_EEDaST_SU_EUlST_E_NS1_11comp_targetILNS1_3genE4ELNS1_11target_archE910ELNS1_3gpuE8ELNS1_3repE0EEENS1_30default_config_static_selectorELNS0_4arch9wavefront6targetE0EEEvT1_, .Lfunc_end833-_ZN7rocprim17ROCPRIM_400000_NS6detail17trampoline_kernelINS0_14default_configENS1_27scan_by_key_config_selectorIssEEZZNS1_16scan_by_key_implILNS1_25lookback_scan_determinismE0ELb0ES3_N6thrust23THRUST_200600_302600_NS6detail15normal_iteratorINS9_10device_ptrIsEEEESE_SE_sNS9_4plusIsEE19head_flag_predicatesEE10hipError_tPvRmT2_T3_T4_T5_mT6_T7_P12ihipStream_tbENKUlT_T0_E_clISt17integral_constantIbLb1EESY_EEDaST_SU_EUlST_E_NS1_11comp_targetILNS1_3genE4ELNS1_11target_archE910ELNS1_3gpuE8ELNS1_3repE0EEENS1_30default_config_static_selectorELNS0_4arch9wavefront6targetE0EEEvT1_
                                        ; -- End function
	.set _ZN7rocprim17ROCPRIM_400000_NS6detail17trampoline_kernelINS0_14default_configENS1_27scan_by_key_config_selectorIssEEZZNS1_16scan_by_key_implILNS1_25lookback_scan_determinismE0ELb0ES3_N6thrust23THRUST_200600_302600_NS6detail15normal_iteratorINS9_10device_ptrIsEEEESE_SE_sNS9_4plusIsEE19head_flag_predicatesEE10hipError_tPvRmT2_T3_T4_T5_mT6_T7_P12ihipStream_tbENKUlT_T0_E_clISt17integral_constantIbLb1EESY_EEDaST_SU_EUlST_E_NS1_11comp_targetILNS1_3genE4ELNS1_11target_archE910ELNS1_3gpuE8ELNS1_3repE0EEENS1_30default_config_static_selectorELNS0_4arch9wavefront6targetE0EEEvT1_.num_vgpr, 0
	.set _ZN7rocprim17ROCPRIM_400000_NS6detail17trampoline_kernelINS0_14default_configENS1_27scan_by_key_config_selectorIssEEZZNS1_16scan_by_key_implILNS1_25lookback_scan_determinismE0ELb0ES3_N6thrust23THRUST_200600_302600_NS6detail15normal_iteratorINS9_10device_ptrIsEEEESE_SE_sNS9_4plusIsEE19head_flag_predicatesEE10hipError_tPvRmT2_T3_T4_T5_mT6_T7_P12ihipStream_tbENKUlT_T0_E_clISt17integral_constantIbLb1EESY_EEDaST_SU_EUlST_E_NS1_11comp_targetILNS1_3genE4ELNS1_11target_archE910ELNS1_3gpuE8ELNS1_3repE0EEENS1_30default_config_static_selectorELNS0_4arch9wavefront6targetE0EEEvT1_.num_agpr, 0
	.set _ZN7rocprim17ROCPRIM_400000_NS6detail17trampoline_kernelINS0_14default_configENS1_27scan_by_key_config_selectorIssEEZZNS1_16scan_by_key_implILNS1_25lookback_scan_determinismE0ELb0ES3_N6thrust23THRUST_200600_302600_NS6detail15normal_iteratorINS9_10device_ptrIsEEEESE_SE_sNS9_4plusIsEE19head_flag_predicatesEE10hipError_tPvRmT2_T3_T4_T5_mT6_T7_P12ihipStream_tbENKUlT_T0_E_clISt17integral_constantIbLb1EESY_EEDaST_SU_EUlST_E_NS1_11comp_targetILNS1_3genE4ELNS1_11target_archE910ELNS1_3gpuE8ELNS1_3repE0EEENS1_30default_config_static_selectorELNS0_4arch9wavefront6targetE0EEEvT1_.numbered_sgpr, 0
	.set _ZN7rocprim17ROCPRIM_400000_NS6detail17trampoline_kernelINS0_14default_configENS1_27scan_by_key_config_selectorIssEEZZNS1_16scan_by_key_implILNS1_25lookback_scan_determinismE0ELb0ES3_N6thrust23THRUST_200600_302600_NS6detail15normal_iteratorINS9_10device_ptrIsEEEESE_SE_sNS9_4plusIsEE19head_flag_predicatesEE10hipError_tPvRmT2_T3_T4_T5_mT6_T7_P12ihipStream_tbENKUlT_T0_E_clISt17integral_constantIbLb1EESY_EEDaST_SU_EUlST_E_NS1_11comp_targetILNS1_3genE4ELNS1_11target_archE910ELNS1_3gpuE8ELNS1_3repE0EEENS1_30default_config_static_selectorELNS0_4arch9wavefront6targetE0EEEvT1_.num_named_barrier, 0
	.set _ZN7rocprim17ROCPRIM_400000_NS6detail17trampoline_kernelINS0_14default_configENS1_27scan_by_key_config_selectorIssEEZZNS1_16scan_by_key_implILNS1_25lookback_scan_determinismE0ELb0ES3_N6thrust23THRUST_200600_302600_NS6detail15normal_iteratorINS9_10device_ptrIsEEEESE_SE_sNS9_4plusIsEE19head_flag_predicatesEE10hipError_tPvRmT2_T3_T4_T5_mT6_T7_P12ihipStream_tbENKUlT_T0_E_clISt17integral_constantIbLb1EESY_EEDaST_SU_EUlST_E_NS1_11comp_targetILNS1_3genE4ELNS1_11target_archE910ELNS1_3gpuE8ELNS1_3repE0EEENS1_30default_config_static_selectorELNS0_4arch9wavefront6targetE0EEEvT1_.private_seg_size, 0
	.set _ZN7rocprim17ROCPRIM_400000_NS6detail17trampoline_kernelINS0_14default_configENS1_27scan_by_key_config_selectorIssEEZZNS1_16scan_by_key_implILNS1_25lookback_scan_determinismE0ELb0ES3_N6thrust23THRUST_200600_302600_NS6detail15normal_iteratorINS9_10device_ptrIsEEEESE_SE_sNS9_4plusIsEE19head_flag_predicatesEE10hipError_tPvRmT2_T3_T4_T5_mT6_T7_P12ihipStream_tbENKUlT_T0_E_clISt17integral_constantIbLb1EESY_EEDaST_SU_EUlST_E_NS1_11comp_targetILNS1_3genE4ELNS1_11target_archE910ELNS1_3gpuE8ELNS1_3repE0EEENS1_30default_config_static_selectorELNS0_4arch9wavefront6targetE0EEEvT1_.uses_vcc, 0
	.set _ZN7rocprim17ROCPRIM_400000_NS6detail17trampoline_kernelINS0_14default_configENS1_27scan_by_key_config_selectorIssEEZZNS1_16scan_by_key_implILNS1_25lookback_scan_determinismE0ELb0ES3_N6thrust23THRUST_200600_302600_NS6detail15normal_iteratorINS9_10device_ptrIsEEEESE_SE_sNS9_4plusIsEE19head_flag_predicatesEE10hipError_tPvRmT2_T3_T4_T5_mT6_T7_P12ihipStream_tbENKUlT_T0_E_clISt17integral_constantIbLb1EESY_EEDaST_SU_EUlST_E_NS1_11comp_targetILNS1_3genE4ELNS1_11target_archE910ELNS1_3gpuE8ELNS1_3repE0EEENS1_30default_config_static_selectorELNS0_4arch9wavefront6targetE0EEEvT1_.uses_flat_scratch, 0
	.set _ZN7rocprim17ROCPRIM_400000_NS6detail17trampoline_kernelINS0_14default_configENS1_27scan_by_key_config_selectorIssEEZZNS1_16scan_by_key_implILNS1_25lookback_scan_determinismE0ELb0ES3_N6thrust23THRUST_200600_302600_NS6detail15normal_iteratorINS9_10device_ptrIsEEEESE_SE_sNS9_4plusIsEE19head_flag_predicatesEE10hipError_tPvRmT2_T3_T4_T5_mT6_T7_P12ihipStream_tbENKUlT_T0_E_clISt17integral_constantIbLb1EESY_EEDaST_SU_EUlST_E_NS1_11comp_targetILNS1_3genE4ELNS1_11target_archE910ELNS1_3gpuE8ELNS1_3repE0EEENS1_30default_config_static_selectorELNS0_4arch9wavefront6targetE0EEEvT1_.has_dyn_sized_stack, 0
	.set _ZN7rocprim17ROCPRIM_400000_NS6detail17trampoline_kernelINS0_14default_configENS1_27scan_by_key_config_selectorIssEEZZNS1_16scan_by_key_implILNS1_25lookback_scan_determinismE0ELb0ES3_N6thrust23THRUST_200600_302600_NS6detail15normal_iteratorINS9_10device_ptrIsEEEESE_SE_sNS9_4plusIsEE19head_flag_predicatesEE10hipError_tPvRmT2_T3_T4_T5_mT6_T7_P12ihipStream_tbENKUlT_T0_E_clISt17integral_constantIbLb1EESY_EEDaST_SU_EUlST_E_NS1_11comp_targetILNS1_3genE4ELNS1_11target_archE910ELNS1_3gpuE8ELNS1_3repE0EEENS1_30default_config_static_selectorELNS0_4arch9wavefront6targetE0EEEvT1_.has_recursion, 0
	.set _ZN7rocprim17ROCPRIM_400000_NS6detail17trampoline_kernelINS0_14default_configENS1_27scan_by_key_config_selectorIssEEZZNS1_16scan_by_key_implILNS1_25lookback_scan_determinismE0ELb0ES3_N6thrust23THRUST_200600_302600_NS6detail15normal_iteratorINS9_10device_ptrIsEEEESE_SE_sNS9_4plusIsEE19head_flag_predicatesEE10hipError_tPvRmT2_T3_T4_T5_mT6_T7_P12ihipStream_tbENKUlT_T0_E_clISt17integral_constantIbLb1EESY_EEDaST_SU_EUlST_E_NS1_11comp_targetILNS1_3genE4ELNS1_11target_archE910ELNS1_3gpuE8ELNS1_3repE0EEENS1_30default_config_static_selectorELNS0_4arch9wavefront6targetE0EEEvT1_.has_indirect_call, 0
	.section	.AMDGPU.csdata,"",@progbits
; Kernel info:
; codeLenInByte = 0
; TotalNumSgprs: 0
; NumVgprs: 0
; ScratchSize: 0
; MemoryBound: 0
; FloatMode: 240
; IeeeMode: 1
; LDSByteSize: 0 bytes/workgroup (compile time only)
; SGPRBlocks: 0
; VGPRBlocks: 0
; NumSGPRsForWavesPerEU: 1
; NumVGPRsForWavesPerEU: 1
; Occupancy: 16
; WaveLimiterHint : 0
; COMPUTE_PGM_RSRC2:SCRATCH_EN: 0
; COMPUTE_PGM_RSRC2:USER_SGPR: 6
; COMPUTE_PGM_RSRC2:TRAP_HANDLER: 0
; COMPUTE_PGM_RSRC2:TGID_X_EN: 1
; COMPUTE_PGM_RSRC2:TGID_Y_EN: 0
; COMPUTE_PGM_RSRC2:TGID_Z_EN: 0
; COMPUTE_PGM_RSRC2:TIDIG_COMP_CNT: 0
	.section	.text._ZN7rocprim17ROCPRIM_400000_NS6detail17trampoline_kernelINS0_14default_configENS1_27scan_by_key_config_selectorIssEEZZNS1_16scan_by_key_implILNS1_25lookback_scan_determinismE0ELb0ES3_N6thrust23THRUST_200600_302600_NS6detail15normal_iteratorINS9_10device_ptrIsEEEESE_SE_sNS9_4plusIsEE19head_flag_predicatesEE10hipError_tPvRmT2_T3_T4_T5_mT6_T7_P12ihipStream_tbENKUlT_T0_E_clISt17integral_constantIbLb1EESY_EEDaST_SU_EUlST_E_NS1_11comp_targetILNS1_3genE3ELNS1_11target_archE908ELNS1_3gpuE7ELNS1_3repE0EEENS1_30default_config_static_selectorELNS0_4arch9wavefront6targetE0EEEvT1_,"axG",@progbits,_ZN7rocprim17ROCPRIM_400000_NS6detail17trampoline_kernelINS0_14default_configENS1_27scan_by_key_config_selectorIssEEZZNS1_16scan_by_key_implILNS1_25lookback_scan_determinismE0ELb0ES3_N6thrust23THRUST_200600_302600_NS6detail15normal_iteratorINS9_10device_ptrIsEEEESE_SE_sNS9_4plusIsEE19head_flag_predicatesEE10hipError_tPvRmT2_T3_T4_T5_mT6_T7_P12ihipStream_tbENKUlT_T0_E_clISt17integral_constantIbLb1EESY_EEDaST_SU_EUlST_E_NS1_11comp_targetILNS1_3genE3ELNS1_11target_archE908ELNS1_3gpuE7ELNS1_3repE0EEENS1_30default_config_static_selectorELNS0_4arch9wavefront6targetE0EEEvT1_,comdat
	.protected	_ZN7rocprim17ROCPRIM_400000_NS6detail17trampoline_kernelINS0_14default_configENS1_27scan_by_key_config_selectorIssEEZZNS1_16scan_by_key_implILNS1_25lookback_scan_determinismE0ELb0ES3_N6thrust23THRUST_200600_302600_NS6detail15normal_iteratorINS9_10device_ptrIsEEEESE_SE_sNS9_4plusIsEE19head_flag_predicatesEE10hipError_tPvRmT2_T3_T4_T5_mT6_T7_P12ihipStream_tbENKUlT_T0_E_clISt17integral_constantIbLb1EESY_EEDaST_SU_EUlST_E_NS1_11comp_targetILNS1_3genE3ELNS1_11target_archE908ELNS1_3gpuE7ELNS1_3repE0EEENS1_30default_config_static_selectorELNS0_4arch9wavefront6targetE0EEEvT1_ ; -- Begin function _ZN7rocprim17ROCPRIM_400000_NS6detail17trampoline_kernelINS0_14default_configENS1_27scan_by_key_config_selectorIssEEZZNS1_16scan_by_key_implILNS1_25lookback_scan_determinismE0ELb0ES3_N6thrust23THRUST_200600_302600_NS6detail15normal_iteratorINS9_10device_ptrIsEEEESE_SE_sNS9_4plusIsEE19head_flag_predicatesEE10hipError_tPvRmT2_T3_T4_T5_mT6_T7_P12ihipStream_tbENKUlT_T0_E_clISt17integral_constantIbLb1EESY_EEDaST_SU_EUlST_E_NS1_11comp_targetILNS1_3genE3ELNS1_11target_archE908ELNS1_3gpuE7ELNS1_3repE0EEENS1_30default_config_static_selectorELNS0_4arch9wavefront6targetE0EEEvT1_
	.globl	_ZN7rocprim17ROCPRIM_400000_NS6detail17trampoline_kernelINS0_14default_configENS1_27scan_by_key_config_selectorIssEEZZNS1_16scan_by_key_implILNS1_25lookback_scan_determinismE0ELb0ES3_N6thrust23THRUST_200600_302600_NS6detail15normal_iteratorINS9_10device_ptrIsEEEESE_SE_sNS9_4plusIsEE19head_flag_predicatesEE10hipError_tPvRmT2_T3_T4_T5_mT6_T7_P12ihipStream_tbENKUlT_T0_E_clISt17integral_constantIbLb1EESY_EEDaST_SU_EUlST_E_NS1_11comp_targetILNS1_3genE3ELNS1_11target_archE908ELNS1_3gpuE7ELNS1_3repE0EEENS1_30default_config_static_selectorELNS0_4arch9wavefront6targetE0EEEvT1_
	.p2align	8
	.type	_ZN7rocprim17ROCPRIM_400000_NS6detail17trampoline_kernelINS0_14default_configENS1_27scan_by_key_config_selectorIssEEZZNS1_16scan_by_key_implILNS1_25lookback_scan_determinismE0ELb0ES3_N6thrust23THRUST_200600_302600_NS6detail15normal_iteratorINS9_10device_ptrIsEEEESE_SE_sNS9_4plusIsEE19head_flag_predicatesEE10hipError_tPvRmT2_T3_T4_T5_mT6_T7_P12ihipStream_tbENKUlT_T0_E_clISt17integral_constantIbLb1EESY_EEDaST_SU_EUlST_E_NS1_11comp_targetILNS1_3genE3ELNS1_11target_archE908ELNS1_3gpuE7ELNS1_3repE0EEENS1_30default_config_static_selectorELNS0_4arch9wavefront6targetE0EEEvT1_,@function
_ZN7rocprim17ROCPRIM_400000_NS6detail17trampoline_kernelINS0_14default_configENS1_27scan_by_key_config_selectorIssEEZZNS1_16scan_by_key_implILNS1_25lookback_scan_determinismE0ELb0ES3_N6thrust23THRUST_200600_302600_NS6detail15normal_iteratorINS9_10device_ptrIsEEEESE_SE_sNS9_4plusIsEE19head_flag_predicatesEE10hipError_tPvRmT2_T3_T4_T5_mT6_T7_P12ihipStream_tbENKUlT_T0_E_clISt17integral_constantIbLb1EESY_EEDaST_SU_EUlST_E_NS1_11comp_targetILNS1_3genE3ELNS1_11target_archE908ELNS1_3gpuE7ELNS1_3repE0EEENS1_30default_config_static_selectorELNS0_4arch9wavefront6targetE0EEEvT1_: ; @_ZN7rocprim17ROCPRIM_400000_NS6detail17trampoline_kernelINS0_14default_configENS1_27scan_by_key_config_selectorIssEEZZNS1_16scan_by_key_implILNS1_25lookback_scan_determinismE0ELb0ES3_N6thrust23THRUST_200600_302600_NS6detail15normal_iteratorINS9_10device_ptrIsEEEESE_SE_sNS9_4plusIsEE19head_flag_predicatesEE10hipError_tPvRmT2_T3_T4_T5_mT6_T7_P12ihipStream_tbENKUlT_T0_E_clISt17integral_constantIbLb1EESY_EEDaST_SU_EUlST_E_NS1_11comp_targetILNS1_3genE3ELNS1_11target_archE908ELNS1_3gpuE7ELNS1_3repE0EEENS1_30default_config_static_selectorELNS0_4arch9wavefront6targetE0EEEvT1_
; %bb.0:
	.section	.rodata,"a",@progbits
	.p2align	6, 0x0
	.amdhsa_kernel _ZN7rocprim17ROCPRIM_400000_NS6detail17trampoline_kernelINS0_14default_configENS1_27scan_by_key_config_selectorIssEEZZNS1_16scan_by_key_implILNS1_25lookback_scan_determinismE0ELb0ES3_N6thrust23THRUST_200600_302600_NS6detail15normal_iteratorINS9_10device_ptrIsEEEESE_SE_sNS9_4plusIsEE19head_flag_predicatesEE10hipError_tPvRmT2_T3_T4_T5_mT6_T7_P12ihipStream_tbENKUlT_T0_E_clISt17integral_constantIbLb1EESY_EEDaST_SU_EUlST_E_NS1_11comp_targetILNS1_3genE3ELNS1_11target_archE908ELNS1_3gpuE7ELNS1_3repE0EEENS1_30default_config_static_selectorELNS0_4arch9wavefront6targetE0EEEvT1_
		.amdhsa_group_segment_fixed_size 0
		.amdhsa_private_segment_fixed_size 0
		.amdhsa_kernarg_size 112
		.amdhsa_user_sgpr_count 6
		.amdhsa_user_sgpr_private_segment_buffer 1
		.amdhsa_user_sgpr_dispatch_ptr 0
		.amdhsa_user_sgpr_queue_ptr 0
		.amdhsa_user_sgpr_kernarg_segment_ptr 1
		.amdhsa_user_sgpr_dispatch_id 0
		.amdhsa_user_sgpr_flat_scratch_init 0
		.amdhsa_user_sgpr_private_segment_size 0
		.amdhsa_wavefront_size32 1
		.amdhsa_uses_dynamic_stack 0
		.amdhsa_system_sgpr_private_segment_wavefront_offset 0
		.amdhsa_system_sgpr_workgroup_id_x 1
		.amdhsa_system_sgpr_workgroup_id_y 0
		.amdhsa_system_sgpr_workgroup_id_z 0
		.amdhsa_system_sgpr_workgroup_info 0
		.amdhsa_system_vgpr_workitem_id 0
		.amdhsa_next_free_vgpr 1
		.amdhsa_next_free_sgpr 1
		.amdhsa_reserve_vcc 0
		.amdhsa_reserve_flat_scratch 0
		.amdhsa_float_round_mode_32 0
		.amdhsa_float_round_mode_16_64 0
		.amdhsa_float_denorm_mode_32 3
		.amdhsa_float_denorm_mode_16_64 3
		.amdhsa_dx10_clamp 1
		.amdhsa_ieee_mode 1
		.amdhsa_fp16_overflow 0
		.amdhsa_workgroup_processor_mode 1
		.amdhsa_memory_ordered 1
		.amdhsa_forward_progress 1
		.amdhsa_shared_vgpr_count 0
		.amdhsa_exception_fp_ieee_invalid_op 0
		.amdhsa_exception_fp_denorm_src 0
		.amdhsa_exception_fp_ieee_div_zero 0
		.amdhsa_exception_fp_ieee_overflow 0
		.amdhsa_exception_fp_ieee_underflow 0
		.amdhsa_exception_fp_ieee_inexact 0
		.amdhsa_exception_int_div_zero 0
	.end_amdhsa_kernel
	.section	.text._ZN7rocprim17ROCPRIM_400000_NS6detail17trampoline_kernelINS0_14default_configENS1_27scan_by_key_config_selectorIssEEZZNS1_16scan_by_key_implILNS1_25lookback_scan_determinismE0ELb0ES3_N6thrust23THRUST_200600_302600_NS6detail15normal_iteratorINS9_10device_ptrIsEEEESE_SE_sNS9_4plusIsEE19head_flag_predicatesEE10hipError_tPvRmT2_T3_T4_T5_mT6_T7_P12ihipStream_tbENKUlT_T0_E_clISt17integral_constantIbLb1EESY_EEDaST_SU_EUlST_E_NS1_11comp_targetILNS1_3genE3ELNS1_11target_archE908ELNS1_3gpuE7ELNS1_3repE0EEENS1_30default_config_static_selectorELNS0_4arch9wavefront6targetE0EEEvT1_,"axG",@progbits,_ZN7rocprim17ROCPRIM_400000_NS6detail17trampoline_kernelINS0_14default_configENS1_27scan_by_key_config_selectorIssEEZZNS1_16scan_by_key_implILNS1_25lookback_scan_determinismE0ELb0ES3_N6thrust23THRUST_200600_302600_NS6detail15normal_iteratorINS9_10device_ptrIsEEEESE_SE_sNS9_4plusIsEE19head_flag_predicatesEE10hipError_tPvRmT2_T3_T4_T5_mT6_T7_P12ihipStream_tbENKUlT_T0_E_clISt17integral_constantIbLb1EESY_EEDaST_SU_EUlST_E_NS1_11comp_targetILNS1_3genE3ELNS1_11target_archE908ELNS1_3gpuE7ELNS1_3repE0EEENS1_30default_config_static_selectorELNS0_4arch9wavefront6targetE0EEEvT1_,comdat
.Lfunc_end834:
	.size	_ZN7rocprim17ROCPRIM_400000_NS6detail17trampoline_kernelINS0_14default_configENS1_27scan_by_key_config_selectorIssEEZZNS1_16scan_by_key_implILNS1_25lookback_scan_determinismE0ELb0ES3_N6thrust23THRUST_200600_302600_NS6detail15normal_iteratorINS9_10device_ptrIsEEEESE_SE_sNS9_4plusIsEE19head_flag_predicatesEE10hipError_tPvRmT2_T3_T4_T5_mT6_T7_P12ihipStream_tbENKUlT_T0_E_clISt17integral_constantIbLb1EESY_EEDaST_SU_EUlST_E_NS1_11comp_targetILNS1_3genE3ELNS1_11target_archE908ELNS1_3gpuE7ELNS1_3repE0EEENS1_30default_config_static_selectorELNS0_4arch9wavefront6targetE0EEEvT1_, .Lfunc_end834-_ZN7rocprim17ROCPRIM_400000_NS6detail17trampoline_kernelINS0_14default_configENS1_27scan_by_key_config_selectorIssEEZZNS1_16scan_by_key_implILNS1_25lookback_scan_determinismE0ELb0ES3_N6thrust23THRUST_200600_302600_NS6detail15normal_iteratorINS9_10device_ptrIsEEEESE_SE_sNS9_4plusIsEE19head_flag_predicatesEE10hipError_tPvRmT2_T3_T4_T5_mT6_T7_P12ihipStream_tbENKUlT_T0_E_clISt17integral_constantIbLb1EESY_EEDaST_SU_EUlST_E_NS1_11comp_targetILNS1_3genE3ELNS1_11target_archE908ELNS1_3gpuE7ELNS1_3repE0EEENS1_30default_config_static_selectorELNS0_4arch9wavefront6targetE0EEEvT1_
                                        ; -- End function
	.set _ZN7rocprim17ROCPRIM_400000_NS6detail17trampoline_kernelINS0_14default_configENS1_27scan_by_key_config_selectorIssEEZZNS1_16scan_by_key_implILNS1_25lookback_scan_determinismE0ELb0ES3_N6thrust23THRUST_200600_302600_NS6detail15normal_iteratorINS9_10device_ptrIsEEEESE_SE_sNS9_4plusIsEE19head_flag_predicatesEE10hipError_tPvRmT2_T3_T4_T5_mT6_T7_P12ihipStream_tbENKUlT_T0_E_clISt17integral_constantIbLb1EESY_EEDaST_SU_EUlST_E_NS1_11comp_targetILNS1_3genE3ELNS1_11target_archE908ELNS1_3gpuE7ELNS1_3repE0EEENS1_30default_config_static_selectorELNS0_4arch9wavefront6targetE0EEEvT1_.num_vgpr, 0
	.set _ZN7rocprim17ROCPRIM_400000_NS6detail17trampoline_kernelINS0_14default_configENS1_27scan_by_key_config_selectorIssEEZZNS1_16scan_by_key_implILNS1_25lookback_scan_determinismE0ELb0ES3_N6thrust23THRUST_200600_302600_NS6detail15normal_iteratorINS9_10device_ptrIsEEEESE_SE_sNS9_4plusIsEE19head_flag_predicatesEE10hipError_tPvRmT2_T3_T4_T5_mT6_T7_P12ihipStream_tbENKUlT_T0_E_clISt17integral_constantIbLb1EESY_EEDaST_SU_EUlST_E_NS1_11comp_targetILNS1_3genE3ELNS1_11target_archE908ELNS1_3gpuE7ELNS1_3repE0EEENS1_30default_config_static_selectorELNS0_4arch9wavefront6targetE0EEEvT1_.num_agpr, 0
	.set _ZN7rocprim17ROCPRIM_400000_NS6detail17trampoline_kernelINS0_14default_configENS1_27scan_by_key_config_selectorIssEEZZNS1_16scan_by_key_implILNS1_25lookback_scan_determinismE0ELb0ES3_N6thrust23THRUST_200600_302600_NS6detail15normal_iteratorINS9_10device_ptrIsEEEESE_SE_sNS9_4plusIsEE19head_flag_predicatesEE10hipError_tPvRmT2_T3_T4_T5_mT6_T7_P12ihipStream_tbENKUlT_T0_E_clISt17integral_constantIbLb1EESY_EEDaST_SU_EUlST_E_NS1_11comp_targetILNS1_3genE3ELNS1_11target_archE908ELNS1_3gpuE7ELNS1_3repE0EEENS1_30default_config_static_selectorELNS0_4arch9wavefront6targetE0EEEvT1_.numbered_sgpr, 0
	.set _ZN7rocprim17ROCPRIM_400000_NS6detail17trampoline_kernelINS0_14default_configENS1_27scan_by_key_config_selectorIssEEZZNS1_16scan_by_key_implILNS1_25lookback_scan_determinismE0ELb0ES3_N6thrust23THRUST_200600_302600_NS6detail15normal_iteratorINS9_10device_ptrIsEEEESE_SE_sNS9_4plusIsEE19head_flag_predicatesEE10hipError_tPvRmT2_T3_T4_T5_mT6_T7_P12ihipStream_tbENKUlT_T0_E_clISt17integral_constantIbLb1EESY_EEDaST_SU_EUlST_E_NS1_11comp_targetILNS1_3genE3ELNS1_11target_archE908ELNS1_3gpuE7ELNS1_3repE0EEENS1_30default_config_static_selectorELNS0_4arch9wavefront6targetE0EEEvT1_.num_named_barrier, 0
	.set _ZN7rocprim17ROCPRIM_400000_NS6detail17trampoline_kernelINS0_14default_configENS1_27scan_by_key_config_selectorIssEEZZNS1_16scan_by_key_implILNS1_25lookback_scan_determinismE0ELb0ES3_N6thrust23THRUST_200600_302600_NS6detail15normal_iteratorINS9_10device_ptrIsEEEESE_SE_sNS9_4plusIsEE19head_flag_predicatesEE10hipError_tPvRmT2_T3_T4_T5_mT6_T7_P12ihipStream_tbENKUlT_T0_E_clISt17integral_constantIbLb1EESY_EEDaST_SU_EUlST_E_NS1_11comp_targetILNS1_3genE3ELNS1_11target_archE908ELNS1_3gpuE7ELNS1_3repE0EEENS1_30default_config_static_selectorELNS0_4arch9wavefront6targetE0EEEvT1_.private_seg_size, 0
	.set _ZN7rocprim17ROCPRIM_400000_NS6detail17trampoline_kernelINS0_14default_configENS1_27scan_by_key_config_selectorIssEEZZNS1_16scan_by_key_implILNS1_25lookback_scan_determinismE0ELb0ES3_N6thrust23THRUST_200600_302600_NS6detail15normal_iteratorINS9_10device_ptrIsEEEESE_SE_sNS9_4plusIsEE19head_flag_predicatesEE10hipError_tPvRmT2_T3_T4_T5_mT6_T7_P12ihipStream_tbENKUlT_T0_E_clISt17integral_constantIbLb1EESY_EEDaST_SU_EUlST_E_NS1_11comp_targetILNS1_3genE3ELNS1_11target_archE908ELNS1_3gpuE7ELNS1_3repE0EEENS1_30default_config_static_selectorELNS0_4arch9wavefront6targetE0EEEvT1_.uses_vcc, 0
	.set _ZN7rocprim17ROCPRIM_400000_NS6detail17trampoline_kernelINS0_14default_configENS1_27scan_by_key_config_selectorIssEEZZNS1_16scan_by_key_implILNS1_25lookback_scan_determinismE0ELb0ES3_N6thrust23THRUST_200600_302600_NS6detail15normal_iteratorINS9_10device_ptrIsEEEESE_SE_sNS9_4plusIsEE19head_flag_predicatesEE10hipError_tPvRmT2_T3_T4_T5_mT6_T7_P12ihipStream_tbENKUlT_T0_E_clISt17integral_constantIbLb1EESY_EEDaST_SU_EUlST_E_NS1_11comp_targetILNS1_3genE3ELNS1_11target_archE908ELNS1_3gpuE7ELNS1_3repE0EEENS1_30default_config_static_selectorELNS0_4arch9wavefront6targetE0EEEvT1_.uses_flat_scratch, 0
	.set _ZN7rocprim17ROCPRIM_400000_NS6detail17trampoline_kernelINS0_14default_configENS1_27scan_by_key_config_selectorIssEEZZNS1_16scan_by_key_implILNS1_25lookback_scan_determinismE0ELb0ES3_N6thrust23THRUST_200600_302600_NS6detail15normal_iteratorINS9_10device_ptrIsEEEESE_SE_sNS9_4plusIsEE19head_flag_predicatesEE10hipError_tPvRmT2_T3_T4_T5_mT6_T7_P12ihipStream_tbENKUlT_T0_E_clISt17integral_constantIbLb1EESY_EEDaST_SU_EUlST_E_NS1_11comp_targetILNS1_3genE3ELNS1_11target_archE908ELNS1_3gpuE7ELNS1_3repE0EEENS1_30default_config_static_selectorELNS0_4arch9wavefront6targetE0EEEvT1_.has_dyn_sized_stack, 0
	.set _ZN7rocprim17ROCPRIM_400000_NS6detail17trampoline_kernelINS0_14default_configENS1_27scan_by_key_config_selectorIssEEZZNS1_16scan_by_key_implILNS1_25lookback_scan_determinismE0ELb0ES3_N6thrust23THRUST_200600_302600_NS6detail15normal_iteratorINS9_10device_ptrIsEEEESE_SE_sNS9_4plusIsEE19head_flag_predicatesEE10hipError_tPvRmT2_T3_T4_T5_mT6_T7_P12ihipStream_tbENKUlT_T0_E_clISt17integral_constantIbLb1EESY_EEDaST_SU_EUlST_E_NS1_11comp_targetILNS1_3genE3ELNS1_11target_archE908ELNS1_3gpuE7ELNS1_3repE0EEENS1_30default_config_static_selectorELNS0_4arch9wavefront6targetE0EEEvT1_.has_recursion, 0
	.set _ZN7rocprim17ROCPRIM_400000_NS6detail17trampoline_kernelINS0_14default_configENS1_27scan_by_key_config_selectorIssEEZZNS1_16scan_by_key_implILNS1_25lookback_scan_determinismE0ELb0ES3_N6thrust23THRUST_200600_302600_NS6detail15normal_iteratorINS9_10device_ptrIsEEEESE_SE_sNS9_4plusIsEE19head_flag_predicatesEE10hipError_tPvRmT2_T3_T4_T5_mT6_T7_P12ihipStream_tbENKUlT_T0_E_clISt17integral_constantIbLb1EESY_EEDaST_SU_EUlST_E_NS1_11comp_targetILNS1_3genE3ELNS1_11target_archE908ELNS1_3gpuE7ELNS1_3repE0EEENS1_30default_config_static_selectorELNS0_4arch9wavefront6targetE0EEEvT1_.has_indirect_call, 0
	.section	.AMDGPU.csdata,"",@progbits
; Kernel info:
; codeLenInByte = 0
; TotalNumSgprs: 0
; NumVgprs: 0
; ScratchSize: 0
; MemoryBound: 0
; FloatMode: 240
; IeeeMode: 1
; LDSByteSize: 0 bytes/workgroup (compile time only)
; SGPRBlocks: 0
; VGPRBlocks: 0
; NumSGPRsForWavesPerEU: 1
; NumVGPRsForWavesPerEU: 1
; Occupancy: 16
; WaveLimiterHint : 0
; COMPUTE_PGM_RSRC2:SCRATCH_EN: 0
; COMPUTE_PGM_RSRC2:USER_SGPR: 6
; COMPUTE_PGM_RSRC2:TRAP_HANDLER: 0
; COMPUTE_PGM_RSRC2:TGID_X_EN: 1
; COMPUTE_PGM_RSRC2:TGID_Y_EN: 0
; COMPUTE_PGM_RSRC2:TGID_Z_EN: 0
; COMPUTE_PGM_RSRC2:TIDIG_COMP_CNT: 0
	.section	.text._ZN7rocprim17ROCPRIM_400000_NS6detail17trampoline_kernelINS0_14default_configENS1_27scan_by_key_config_selectorIssEEZZNS1_16scan_by_key_implILNS1_25lookback_scan_determinismE0ELb0ES3_N6thrust23THRUST_200600_302600_NS6detail15normal_iteratorINS9_10device_ptrIsEEEESE_SE_sNS9_4plusIsEE19head_flag_predicatesEE10hipError_tPvRmT2_T3_T4_T5_mT6_T7_P12ihipStream_tbENKUlT_T0_E_clISt17integral_constantIbLb1EESY_EEDaST_SU_EUlST_E_NS1_11comp_targetILNS1_3genE2ELNS1_11target_archE906ELNS1_3gpuE6ELNS1_3repE0EEENS1_30default_config_static_selectorELNS0_4arch9wavefront6targetE0EEEvT1_,"axG",@progbits,_ZN7rocprim17ROCPRIM_400000_NS6detail17trampoline_kernelINS0_14default_configENS1_27scan_by_key_config_selectorIssEEZZNS1_16scan_by_key_implILNS1_25lookback_scan_determinismE0ELb0ES3_N6thrust23THRUST_200600_302600_NS6detail15normal_iteratorINS9_10device_ptrIsEEEESE_SE_sNS9_4plusIsEE19head_flag_predicatesEE10hipError_tPvRmT2_T3_T4_T5_mT6_T7_P12ihipStream_tbENKUlT_T0_E_clISt17integral_constantIbLb1EESY_EEDaST_SU_EUlST_E_NS1_11comp_targetILNS1_3genE2ELNS1_11target_archE906ELNS1_3gpuE6ELNS1_3repE0EEENS1_30default_config_static_selectorELNS0_4arch9wavefront6targetE0EEEvT1_,comdat
	.protected	_ZN7rocprim17ROCPRIM_400000_NS6detail17trampoline_kernelINS0_14default_configENS1_27scan_by_key_config_selectorIssEEZZNS1_16scan_by_key_implILNS1_25lookback_scan_determinismE0ELb0ES3_N6thrust23THRUST_200600_302600_NS6detail15normal_iteratorINS9_10device_ptrIsEEEESE_SE_sNS9_4plusIsEE19head_flag_predicatesEE10hipError_tPvRmT2_T3_T4_T5_mT6_T7_P12ihipStream_tbENKUlT_T0_E_clISt17integral_constantIbLb1EESY_EEDaST_SU_EUlST_E_NS1_11comp_targetILNS1_3genE2ELNS1_11target_archE906ELNS1_3gpuE6ELNS1_3repE0EEENS1_30default_config_static_selectorELNS0_4arch9wavefront6targetE0EEEvT1_ ; -- Begin function _ZN7rocprim17ROCPRIM_400000_NS6detail17trampoline_kernelINS0_14default_configENS1_27scan_by_key_config_selectorIssEEZZNS1_16scan_by_key_implILNS1_25lookback_scan_determinismE0ELb0ES3_N6thrust23THRUST_200600_302600_NS6detail15normal_iteratorINS9_10device_ptrIsEEEESE_SE_sNS9_4plusIsEE19head_flag_predicatesEE10hipError_tPvRmT2_T3_T4_T5_mT6_T7_P12ihipStream_tbENKUlT_T0_E_clISt17integral_constantIbLb1EESY_EEDaST_SU_EUlST_E_NS1_11comp_targetILNS1_3genE2ELNS1_11target_archE906ELNS1_3gpuE6ELNS1_3repE0EEENS1_30default_config_static_selectorELNS0_4arch9wavefront6targetE0EEEvT1_
	.globl	_ZN7rocprim17ROCPRIM_400000_NS6detail17trampoline_kernelINS0_14default_configENS1_27scan_by_key_config_selectorIssEEZZNS1_16scan_by_key_implILNS1_25lookback_scan_determinismE0ELb0ES3_N6thrust23THRUST_200600_302600_NS6detail15normal_iteratorINS9_10device_ptrIsEEEESE_SE_sNS9_4plusIsEE19head_flag_predicatesEE10hipError_tPvRmT2_T3_T4_T5_mT6_T7_P12ihipStream_tbENKUlT_T0_E_clISt17integral_constantIbLb1EESY_EEDaST_SU_EUlST_E_NS1_11comp_targetILNS1_3genE2ELNS1_11target_archE906ELNS1_3gpuE6ELNS1_3repE0EEENS1_30default_config_static_selectorELNS0_4arch9wavefront6targetE0EEEvT1_
	.p2align	8
	.type	_ZN7rocprim17ROCPRIM_400000_NS6detail17trampoline_kernelINS0_14default_configENS1_27scan_by_key_config_selectorIssEEZZNS1_16scan_by_key_implILNS1_25lookback_scan_determinismE0ELb0ES3_N6thrust23THRUST_200600_302600_NS6detail15normal_iteratorINS9_10device_ptrIsEEEESE_SE_sNS9_4plusIsEE19head_flag_predicatesEE10hipError_tPvRmT2_T3_T4_T5_mT6_T7_P12ihipStream_tbENKUlT_T0_E_clISt17integral_constantIbLb1EESY_EEDaST_SU_EUlST_E_NS1_11comp_targetILNS1_3genE2ELNS1_11target_archE906ELNS1_3gpuE6ELNS1_3repE0EEENS1_30default_config_static_selectorELNS0_4arch9wavefront6targetE0EEEvT1_,@function
_ZN7rocprim17ROCPRIM_400000_NS6detail17trampoline_kernelINS0_14default_configENS1_27scan_by_key_config_selectorIssEEZZNS1_16scan_by_key_implILNS1_25lookback_scan_determinismE0ELb0ES3_N6thrust23THRUST_200600_302600_NS6detail15normal_iteratorINS9_10device_ptrIsEEEESE_SE_sNS9_4plusIsEE19head_flag_predicatesEE10hipError_tPvRmT2_T3_T4_T5_mT6_T7_P12ihipStream_tbENKUlT_T0_E_clISt17integral_constantIbLb1EESY_EEDaST_SU_EUlST_E_NS1_11comp_targetILNS1_3genE2ELNS1_11target_archE906ELNS1_3gpuE6ELNS1_3repE0EEENS1_30default_config_static_selectorELNS0_4arch9wavefront6targetE0EEEvT1_: ; @_ZN7rocprim17ROCPRIM_400000_NS6detail17trampoline_kernelINS0_14default_configENS1_27scan_by_key_config_selectorIssEEZZNS1_16scan_by_key_implILNS1_25lookback_scan_determinismE0ELb0ES3_N6thrust23THRUST_200600_302600_NS6detail15normal_iteratorINS9_10device_ptrIsEEEESE_SE_sNS9_4plusIsEE19head_flag_predicatesEE10hipError_tPvRmT2_T3_T4_T5_mT6_T7_P12ihipStream_tbENKUlT_T0_E_clISt17integral_constantIbLb1EESY_EEDaST_SU_EUlST_E_NS1_11comp_targetILNS1_3genE2ELNS1_11target_archE906ELNS1_3gpuE6ELNS1_3repE0EEENS1_30default_config_static_selectorELNS0_4arch9wavefront6targetE0EEEvT1_
; %bb.0:
	.section	.rodata,"a",@progbits
	.p2align	6, 0x0
	.amdhsa_kernel _ZN7rocprim17ROCPRIM_400000_NS6detail17trampoline_kernelINS0_14default_configENS1_27scan_by_key_config_selectorIssEEZZNS1_16scan_by_key_implILNS1_25lookback_scan_determinismE0ELb0ES3_N6thrust23THRUST_200600_302600_NS6detail15normal_iteratorINS9_10device_ptrIsEEEESE_SE_sNS9_4plusIsEE19head_flag_predicatesEE10hipError_tPvRmT2_T3_T4_T5_mT6_T7_P12ihipStream_tbENKUlT_T0_E_clISt17integral_constantIbLb1EESY_EEDaST_SU_EUlST_E_NS1_11comp_targetILNS1_3genE2ELNS1_11target_archE906ELNS1_3gpuE6ELNS1_3repE0EEENS1_30default_config_static_selectorELNS0_4arch9wavefront6targetE0EEEvT1_
		.amdhsa_group_segment_fixed_size 0
		.amdhsa_private_segment_fixed_size 0
		.amdhsa_kernarg_size 112
		.amdhsa_user_sgpr_count 6
		.amdhsa_user_sgpr_private_segment_buffer 1
		.amdhsa_user_sgpr_dispatch_ptr 0
		.amdhsa_user_sgpr_queue_ptr 0
		.amdhsa_user_sgpr_kernarg_segment_ptr 1
		.amdhsa_user_sgpr_dispatch_id 0
		.amdhsa_user_sgpr_flat_scratch_init 0
		.amdhsa_user_sgpr_private_segment_size 0
		.amdhsa_wavefront_size32 1
		.amdhsa_uses_dynamic_stack 0
		.amdhsa_system_sgpr_private_segment_wavefront_offset 0
		.amdhsa_system_sgpr_workgroup_id_x 1
		.amdhsa_system_sgpr_workgroup_id_y 0
		.amdhsa_system_sgpr_workgroup_id_z 0
		.amdhsa_system_sgpr_workgroup_info 0
		.amdhsa_system_vgpr_workitem_id 0
		.amdhsa_next_free_vgpr 1
		.amdhsa_next_free_sgpr 1
		.amdhsa_reserve_vcc 0
		.amdhsa_reserve_flat_scratch 0
		.amdhsa_float_round_mode_32 0
		.amdhsa_float_round_mode_16_64 0
		.amdhsa_float_denorm_mode_32 3
		.amdhsa_float_denorm_mode_16_64 3
		.amdhsa_dx10_clamp 1
		.amdhsa_ieee_mode 1
		.amdhsa_fp16_overflow 0
		.amdhsa_workgroup_processor_mode 1
		.amdhsa_memory_ordered 1
		.amdhsa_forward_progress 1
		.amdhsa_shared_vgpr_count 0
		.amdhsa_exception_fp_ieee_invalid_op 0
		.amdhsa_exception_fp_denorm_src 0
		.amdhsa_exception_fp_ieee_div_zero 0
		.amdhsa_exception_fp_ieee_overflow 0
		.amdhsa_exception_fp_ieee_underflow 0
		.amdhsa_exception_fp_ieee_inexact 0
		.amdhsa_exception_int_div_zero 0
	.end_amdhsa_kernel
	.section	.text._ZN7rocprim17ROCPRIM_400000_NS6detail17trampoline_kernelINS0_14default_configENS1_27scan_by_key_config_selectorIssEEZZNS1_16scan_by_key_implILNS1_25lookback_scan_determinismE0ELb0ES3_N6thrust23THRUST_200600_302600_NS6detail15normal_iteratorINS9_10device_ptrIsEEEESE_SE_sNS9_4plusIsEE19head_flag_predicatesEE10hipError_tPvRmT2_T3_T4_T5_mT6_T7_P12ihipStream_tbENKUlT_T0_E_clISt17integral_constantIbLb1EESY_EEDaST_SU_EUlST_E_NS1_11comp_targetILNS1_3genE2ELNS1_11target_archE906ELNS1_3gpuE6ELNS1_3repE0EEENS1_30default_config_static_selectorELNS0_4arch9wavefront6targetE0EEEvT1_,"axG",@progbits,_ZN7rocprim17ROCPRIM_400000_NS6detail17trampoline_kernelINS0_14default_configENS1_27scan_by_key_config_selectorIssEEZZNS1_16scan_by_key_implILNS1_25lookback_scan_determinismE0ELb0ES3_N6thrust23THRUST_200600_302600_NS6detail15normal_iteratorINS9_10device_ptrIsEEEESE_SE_sNS9_4plusIsEE19head_flag_predicatesEE10hipError_tPvRmT2_T3_T4_T5_mT6_T7_P12ihipStream_tbENKUlT_T0_E_clISt17integral_constantIbLb1EESY_EEDaST_SU_EUlST_E_NS1_11comp_targetILNS1_3genE2ELNS1_11target_archE906ELNS1_3gpuE6ELNS1_3repE0EEENS1_30default_config_static_selectorELNS0_4arch9wavefront6targetE0EEEvT1_,comdat
.Lfunc_end835:
	.size	_ZN7rocprim17ROCPRIM_400000_NS6detail17trampoline_kernelINS0_14default_configENS1_27scan_by_key_config_selectorIssEEZZNS1_16scan_by_key_implILNS1_25lookback_scan_determinismE0ELb0ES3_N6thrust23THRUST_200600_302600_NS6detail15normal_iteratorINS9_10device_ptrIsEEEESE_SE_sNS9_4plusIsEE19head_flag_predicatesEE10hipError_tPvRmT2_T3_T4_T5_mT6_T7_P12ihipStream_tbENKUlT_T0_E_clISt17integral_constantIbLb1EESY_EEDaST_SU_EUlST_E_NS1_11comp_targetILNS1_3genE2ELNS1_11target_archE906ELNS1_3gpuE6ELNS1_3repE0EEENS1_30default_config_static_selectorELNS0_4arch9wavefront6targetE0EEEvT1_, .Lfunc_end835-_ZN7rocprim17ROCPRIM_400000_NS6detail17trampoline_kernelINS0_14default_configENS1_27scan_by_key_config_selectorIssEEZZNS1_16scan_by_key_implILNS1_25lookback_scan_determinismE0ELb0ES3_N6thrust23THRUST_200600_302600_NS6detail15normal_iteratorINS9_10device_ptrIsEEEESE_SE_sNS9_4plusIsEE19head_flag_predicatesEE10hipError_tPvRmT2_T3_T4_T5_mT6_T7_P12ihipStream_tbENKUlT_T0_E_clISt17integral_constantIbLb1EESY_EEDaST_SU_EUlST_E_NS1_11comp_targetILNS1_3genE2ELNS1_11target_archE906ELNS1_3gpuE6ELNS1_3repE0EEENS1_30default_config_static_selectorELNS0_4arch9wavefront6targetE0EEEvT1_
                                        ; -- End function
	.set _ZN7rocprim17ROCPRIM_400000_NS6detail17trampoline_kernelINS0_14default_configENS1_27scan_by_key_config_selectorIssEEZZNS1_16scan_by_key_implILNS1_25lookback_scan_determinismE0ELb0ES3_N6thrust23THRUST_200600_302600_NS6detail15normal_iteratorINS9_10device_ptrIsEEEESE_SE_sNS9_4plusIsEE19head_flag_predicatesEE10hipError_tPvRmT2_T3_T4_T5_mT6_T7_P12ihipStream_tbENKUlT_T0_E_clISt17integral_constantIbLb1EESY_EEDaST_SU_EUlST_E_NS1_11comp_targetILNS1_3genE2ELNS1_11target_archE906ELNS1_3gpuE6ELNS1_3repE0EEENS1_30default_config_static_selectorELNS0_4arch9wavefront6targetE0EEEvT1_.num_vgpr, 0
	.set _ZN7rocprim17ROCPRIM_400000_NS6detail17trampoline_kernelINS0_14default_configENS1_27scan_by_key_config_selectorIssEEZZNS1_16scan_by_key_implILNS1_25lookback_scan_determinismE0ELb0ES3_N6thrust23THRUST_200600_302600_NS6detail15normal_iteratorINS9_10device_ptrIsEEEESE_SE_sNS9_4plusIsEE19head_flag_predicatesEE10hipError_tPvRmT2_T3_T4_T5_mT6_T7_P12ihipStream_tbENKUlT_T0_E_clISt17integral_constantIbLb1EESY_EEDaST_SU_EUlST_E_NS1_11comp_targetILNS1_3genE2ELNS1_11target_archE906ELNS1_3gpuE6ELNS1_3repE0EEENS1_30default_config_static_selectorELNS0_4arch9wavefront6targetE0EEEvT1_.num_agpr, 0
	.set _ZN7rocprim17ROCPRIM_400000_NS6detail17trampoline_kernelINS0_14default_configENS1_27scan_by_key_config_selectorIssEEZZNS1_16scan_by_key_implILNS1_25lookback_scan_determinismE0ELb0ES3_N6thrust23THRUST_200600_302600_NS6detail15normal_iteratorINS9_10device_ptrIsEEEESE_SE_sNS9_4plusIsEE19head_flag_predicatesEE10hipError_tPvRmT2_T3_T4_T5_mT6_T7_P12ihipStream_tbENKUlT_T0_E_clISt17integral_constantIbLb1EESY_EEDaST_SU_EUlST_E_NS1_11comp_targetILNS1_3genE2ELNS1_11target_archE906ELNS1_3gpuE6ELNS1_3repE0EEENS1_30default_config_static_selectorELNS0_4arch9wavefront6targetE0EEEvT1_.numbered_sgpr, 0
	.set _ZN7rocprim17ROCPRIM_400000_NS6detail17trampoline_kernelINS0_14default_configENS1_27scan_by_key_config_selectorIssEEZZNS1_16scan_by_key_implILNS1_25lookback_scan_determinismE0ELb0ES3_N6thrust23THRUST_200600_302600_NS6detail15normal_iteratorINS9_10device_ptrIsEEEESE_SE_sNS9_4plusIsEE19head_flag_predicatesEE10hipError_tPvRmT2_T3_T4_T5_mT6_T7_P12ihipStream_tbENKUlT_T0_E_clISt17integral_constantIbLb1EESY_EEDaST_SU_EUlST_E_NS1_11comp_targetILNS1_3genE2ELNS1_11target_archE906ELNS1_3gpuE6ELNS1_3repE0EEENS1_30default_config_static_selectorELNS0_4arch9wavefront6targetE0EEEvT1_.num_named_barrier, 0
	.set _ZN7rocprim17ROCPRIM_400000_NS6detail17trampoline_kernelINS0_14default_configENS1_27scan_by_key_config_selectorIssEEZZNS1_16scan_by_key_implILNS1_25lookback_scan_determinismE0ELb0ES3_N6thrust23THRUST_200600_302600_NS6detail15normal_iteratorINS9_10device_ptrIsEEEESE_SE_sNS9_4plusIsEE19head_flag_predicatesEE10hipError_tPvRmT2_T3_T4_T5_mT6_T7_P12ihipStream_tbENKUlT_T0_E_clISt17integral_constantIbLb1EESY_EEDaST_SU_EUlST_E_NS1_11comp_targetILNS1_3genE2ELNS1_11target_archE906ELNS1_3gpuE6ELNS1_3repE0EEENS1_30default_config_static_selectorELNS0_4arch9wavefront6targetE0EEEvT1_.private_seg_size, 0
	.set _ZN7rocprim17ROCPRIM_400000_NS6detail17trampoline_kernelINS0_14default_configENS1_27scan_by_key_config_selectorIssEEZZNS1_16scan_by_key_implILNS1_25lookback_scan_determinismE0ELb0ES3_N6thrust23THRUST_200600_302600_NS6detail15normal_iteratorINS9_10device_ptrIsEEEESE_SE_sNS9_4plusIsEE19head_flag_predicatesEE10hipError_tPvRmT2_T3_T4_T5_mT6_T7_P12ihipStream_tbENKUlT_T0_E_clISt17integral_constantIbLb1EESY_EEDaST_SU_EUlST_E_NS1_11comp_targetILNS1_3genE2ELNS1_11target_archE906ELNS1_3gpuE6ELNS1_3repE0EEENS1_30default_config_static_selectorELNS0_4arch9wavefront6targetE0EEEvT1_.uses_vcc, 0
	.set _ZN7rocprim17ROCPRIM_400000_NS6detail17trampoline_kernelINS0_14default_configENS1_27scan_by_key_config_selectorIssEEZZNS1_16scan_by_key_implILNS1_25lookback_scan_determinismE0ELb0ES3_N6thrust23THRUST_200600_302600_NS6detail15normal_iteratorINS9_10device_ptrIsEEEESE_SE_sNS9_4plusIsEE19head_flag_predicatesEE10hipError_tPvRmT2_T3_T4_T5_mT6_T7_P12ihipStream_tbENKUlT_T0_E_clISt17integral_constantIbLb1EESY_EEDaST_SU_EUlST_E_NS1_11comp_targetILNS1_3genE2ELNS1_11target_archE906ELNS1_3gpuE6ELNS1_3repE0EEENS1_30default_config_static_selectorELNS0_4arch9wavefront6targetE0EEEvT1_.uses_flat_scratch, 0
	.set _ZN7rocprim17ROCPRIM_400000_NS6detail17trampoline_kernelINS0_14default_configENS1_27scan_by_key_config_selectorIssEEZZNS1_16scan_by_key_implILNS1_25lookback_scan_determinismE0ELb0ES3_N6thrust23THRUST_200600_302600_NS6detail15normal_iteratorINS9_10device_ptrIsEEEESE_SE_sNS9_4plusIsEE19head_flag_predicatesEE10hipError_tPvRmT2_T3_T4_T5_mT6_T7_P12ihipStream_tbENKUlT_T0_E_clISt17integral_constantIbLb1EESY_EEDaST_SU_EUlST_E_NS1_11comp_targetILNS1_3genE2ELNS1_11target_archE906ELNS1_3gpuE6ELNS1_3repE0EEENS1_30default_config_static_selectorELNS0_4arch9wavefront6targetE0EEEvT1_.has_dyn_sized_stack, 0
	.set _ZN7rocprim17ROCPRIM_400000_NS6detail17trampoline_kernelINS0_14default_configENS1_27scan_by_key_config_selectorIssEEZZNS1_16scan_by_key_implILNS1_25lookback_scan_determinismE0ELb0ES3_N6thrust23THRUST_200600_302600_NS6detail15normal_iteratorINS9_10device_ptrIsEEEESE_SE_sNS9_4plusIsEE19head_flag_predicatesEE10hipError_tPvRmT2_T3_T4_T5_mT6_T7_P12ihipStream_tbENKUlT_T0_E_clISt17integral_constantIbLb1EESY_EEDaST_SU_EUlST_E_NS1_11comp_targetILNS1_3genE2ELNS1_11target_archE906ELNS1_3gpuE6ELNS1_3repE0EEENS1_30default_config_static_selectorELNS0_4arch9wavefront6targetE0EEEvT1_.has_recursion, 0
	.set _ZN7rocprim17ROCPRIM_400000_NS6detail17trampoline_kernelINS0_14default_configENS1_27scan_by_key_config_selectorIssEEZZNS1_16scan_by_key_implILNS1_25lookback_scan_determinismE0ELb0ES3_N6thrust23THRUST_200600_302600_NS6detail15normal_iteratorINS9_10device_ptrIsEEEESE_SE_sNS9_4plusIsEE19head_flag_predicatesEE10hipError_tPvRmT2_T3_T4_T5_mT6_T7_P12ihipStream_tbENKUlT_T0_E_clISt17integral_constantIbLb1EESY_EEDaST_SU_EUlST_E_NS1_11comp_targetILNS1_3genE2ELNS1_11target_archE906ELNS1_3gpuE6ELNS1_3repE0EEENS1_30default_config_static_selectorELNS0_4arch9wavefront6targetE0EEEvT1_.has_indirect_call, 0
	.section	.AMDGPU.csdata,"",@progbits
; Kernel info:
; codeLenInByte = 0
; TotalNumSgprs: 0
; NumVgprs: 0
; ScratchSize: 0
; MemoryBound: 0
; FloatMode: 240
; IeeeMode: 1
; LDSByteSize: 0 bytes/workgroup (compile time only)
; SGPRBlocks: 0
; VGPRBlocks: 0
; NumSGPRsForWavesPerEU: 1
; NumVGPRsForWavesPerEU: 1
; Occupancy: 16
; WaveLimiterHint : 0
; COMPUTE_PGM_RSRC2:SCRATCH_EN: 0
; COMPUTE_PGM_RSRC2:USER_SGPR: 6
; COMPUTE_PGM_RSRC2:TRAP_HANDLER: 0
; COMPUTE_PGM_RSRC2:TGID_X_EN: 1
; COMPUTE_PGM_RSRC2:TGID_Y_EN: 0
; COMPUTE_PGM_RSRC2:TGID_Z_EN: 0
; COMPUTE_PGM_RSRC2:TIDIG_COMP_CNT: 0
	.section	.text._ZN7rocprim17ROCPRIM_400000_NS6detail17trampoline_kernelINS0_14default_configENS1_27scan_by_key_config_selectorIssEEZZNS1_16scan_by_key_implILNS1_25lookback_scan_determinismE0ELb0ES3_N6thrust23THRUST_200600_302600_NS6detail15normal_iteratorINS9_10device_ptrIsEEEESE_SE_sNS9_4plusIsEE19head_flag_predicatesEE10hipError_tPvRmT2_T3_T4_T5_mT6_T7_P12ihipStream_tbENKUlT_T0_E_clISt17integral_constantIbLb1EESY_EEDaST_SU_EUlST_E_NS1_11comp_targetILNS1_3genE10ELNS1_11target_archE1200ELNS1_3gpuE4ELNS1_3repE0EEENS1_30default_config_static_selectorELNS0_4arch9wavefront6targetE0EEEvT1_,"axG",@progbits,_ZN7rocprim17ROCPRIM_400000_NS6detail17trampoline_kernelINS0_14default_configENS1_27scan_by_key_config_selectorIssEEZZNS1_16scan_by_key_implILNS1_25lookback_scan_determinismE0ELb0ES3_N6thrust23THRUST_200600_302600_NS6detail15normal_iteratorINS9_10device_ptrIsEEEESE_SE_sNS9_4plusIsEE19head_flag_predicatesEE10hipError_tPvRmT2_T3_T4_T5_mT6_T7_P12ihipStream_tbENKUlT_T0_E_clISt17integral_constantIbLb1EESY_EEDaST_SU_EUlST_E_NS1_11comp_targetILNS1_3genE10ELNS1_11target_archE1200ELNS1_3gpuE4ELNS1_3repE0EEENS1_30default_config_static_selectorELNS0_4arch9wavefront6targetE0EEEvT1_,comdat
	.protected	_ZN7rocprim17ROCPRIM_400000_NS6detail17trampoline_kernelINS0_14default_configENS1_27scan_by_key_config_selectorIssEEZZNS1_16scan_by_key_implILNS1_25lookback_scan_determinismE0ELb0ES3_N6thrust23THRUST_200600_302600_NS6detail15normal_iteratorINS9_10device_ptrIsEEEESE_SE_sNS9_4plusIsEE19head_flag_predicatesEE10hipError_tPvRmT2_T3_T4_T5_mT6_T7_P12ihipStream_tbENKUlT_T0_E_clISt17integral_constantIbLb1EESY_EEDaST_SU_EUlST_E_NS1_11comp_targetILNS1_3genE10ELNS1_11target_archE1200ELNS1_3gpuE4ELNS1_3repE0EEENS1_30default_config_static_selectorELNS0_4arch9wavefront6targetE0EEEvT1_ ; -- Begin function _ZN7rocprim17ROCPRIM_400000_NS6detail17trampoline_kernelINS0_14default_configENS1_27scan_by_key_config_selectorIssEEZZNS1_16scan_by_key_implILNS1_25lookback_scan_determinismE0ELb0ES3_N6thrust23THRUST_200600_302600_NS6detail15normal_iteratorINS9_10device_ptrIsEEEESE_SE_sNS9_4plusIsEE19head_flag_predicatesEE10hipError_tPvRmT2_T3_T4_T5_mT6_T7_P12ihipStream_tbENKUlT_T0_E_clISt17integral_constantIbLb1EESY_EEDaST_SU_EUlST_E_NS1_11comp_targetILNS1_3genE10ELNS1_11target_archE1200ELNS1_3gpuE4ELNS1_3repE0EEENS1_30default_config_static_selectorELNS0_4arch9wavefront6targetE0EEEvT1_
	.globl	_ZN7rocprim17ROCPRIM_400000_NS6detail17trampoline_kernelINS0_14default_configENS1_27scan_by_key_config_selectorIssEEZZNS1_16scan_by_key_implILNS1_25lookback_scan_determinismE0ELb0ES3_N6thrust23THRUST_200600_302600_NS6detail15normal_iteratorINS9_10device_ptrIsEEEESE_SE_sNS9_4plusIsEE19head_flag_predicatesEE10hipError_tPvRmT2_T3_T4_T5_mT6_T7_P12ihipStream_tbENKUlT_T0_E_clISt17integral_constantIbLb1EESY_EEDaST_SU_EUlST_E_NS1_11comp_targetILNS1_3genE10ELNS1_11target_archE1200ELNS1_3gpuE4ELNS1_3repE0EEENS1_30default_config_static_selectorELNS0_4arch9wavefront6targetE0EEEvT1_
	.p2align	8
	.type	_ZN7rocprim17ROCPRIM_400000_NS6detail17trampoline_kernelINS0_14default_configENS1_27scan_by_key_config_selectorIssEEZZNS1_16scan_by_key_implILNS1_25lookback_scan_determinismE0ELb0ES3_N6thrust23THRUST_200600_302600_NS6detail15normal_iteratorINS9_10device_ptrIsEEEESE_SE_sNS9_4plusIsEE19head_flag_predicatesEE10hipError_tPvRmT2_T3_T4_T5_mT6_T7_P12ihipStream_tbENKUlT_T0_E_clISt17integral_constantIbLb1EESY_EEDaST_SU_EUlST_E_NS1_11comp_targetILNS1_3genE10ELNS1_11target_archE1200ELNS1_3gpuE4ELNS1_3repE0EEENS1_30default_config_static_selectorELNS0_4arch9wavefront6targetE0EEEvT1_,@function
_ZN7rocprim17ROCPRIM_400000_NS6detail17trampoline_kernelINS0_14default_configENS1_27scan_by_key_config_selectorIssEEZZNS1_16scan_by_key_implILNS1_25lookback_scan_determinismE0ELb0ES3_N6thrust23THRUST_200600_302600_NS6detail15normal_iteratorINS9_10device_ptrIsEEEESE_SE_sNS9_4plusIsEE19head_flag_predicatesEE10hipError_tPvRmT2_T3_T4_T5_mT6_T7_P12ihipStream_tbENKUlT_T0_E_clISt17integral_constantIbLb1EESY_EEDaST_SU_EUlST_E_NS1_11comp_targetILNS1_3genE10ELNS1_11target_archE1200ELNS1_3gpuE4ELNS1_3repE0EEENS1_30default_config_static_selectorELNS0_4arch9wavefront6targetE0EEEvT1_: ; @_ZN7rocprim17ROCPRIM_400000_NS6detail17trampoline_kernelINS0_14default_configENS1_27scan_by_key_config_selectorIssEEZZNS1_16scan_by_key_implILNS1_25lookback_scan_determinismE0ELb0ES3_N6thrust23THRUST_200600_302600_NS6detail15normal_iteratorINS9_10device_ptrIsEEEESE_SE_sNS9_4plusIsEE19head_flag_predicatesEE10hipError_tPvRmT2_T3_T4_T5_mT6_T7_P12ihipStream_tbENKUlT_T0_E_clISt17integral_constantIbLb1EESY_EEDaST_SU_EUlST_E_NS1_11comp_targetILNS1_3genE10ELNS1_11target_archE1200ELNS1_3gpuE4ELNS1_3repE0EEENS1_30default_config_static_selectorELNS0_4arch9wavefront6targetE0EEEvT1_
; %bb.0:
	.section	.rodata,"a",@progbits
	.p2align	6, 0x0
	.amdhsa_kernel _ZN7rocprim17ROCPRIM_400000_NS6detail17trampoline_kernelINS0_14default_configENS1_27scan_by_key_config_selectorIssEEZZNS1_16scan_by_key_implILNS1_25lookback_scan_determinismE0ELb0ES3_N6thrust23THRUST_200600_302600_NS6detail15normal_iteratorINS9_10device_ptrIsEEEESE_SE_sNS9_4plusIsEE19head_flag_predicatesEE10hipError_tPvRmT2_T3_T4_T5_mT6_T7_P12ihipStream_tbENKUlT_T0_E_clISt17integral_constantIbLb1EESY_EEDaST_SU_EUlST_E_NS1_11comp_targetILNS1_3genE10ELNS1_11target_archE1200ELNS1_3gpuE4ELNS1_3repE0EEENS1_30default_config_static_selectorELNS0_4arch9wavefront6targetE0EEEvT1_
		.amdhsa_group_segment_fixed_size 0
		.amdhsa_private_segment_fixed_size 0
		.amdhsa_kernarg_size 112
		.amdhsa_user_sgpr_count 6
		.amdhsa_user_sgpr_private_segment_buffer 1
		.amdhsa_user_sgpr_dispatch_ptr 0
		.amdhsa_user_sgpr_queue_ptr 0
		.amdhsa_user_sgpr_kernarg_segment_ptr 1
		.amdhsa_user_sgpr_dispatch_id 0
		.amdhsa_user_sgpr_flat_scratch_init 0
		.amdhsa_user_sgpr_private_segment_size 0
		.amdhsa_wavefront_size32 1
		.amdhsa_uses_dynamic_stack 0
		.amdhsa_system_sgpr_private_segment_wavefront_offset 0
		.amdhsa_system_sgpr_workgroup_id_x 1
		.amdhsa_system_sgpr_workgroup_id_y 0
		.amdhsa_system_sgpr_workgroup_id_z 0
		.amdhsa_system_sgpr_workgroup_info 0
		.amdhsa_system_vgpr_workitem_id 0
		.amdhsa_next_free_vgpr 1
		.amdhsa_next_free_sgpr 1
		.amdhsa_reserve_vcc 0
		.amdhsa_reserve_flat_scratch 0
		.amdhsa_float_round_mode_32 0
		.amdhsa_float_round_mode_16_64 0
		.amdhsa_float_denorm_mode_32 3
		.amdhsa_float_denorm_mode_16_64 3
		.amdhsa_dx10_clamp 1
		.amdhsa_ieee_mode 1
		.amdhsa_fp16_overflow 0
		.amdhsa_workgroup_processor_mode 1
		.amdhsa_memory_ordered 1
		.amdhsa_forward_progress 1
		.amdhsa_shared_vgpr_count 0
		.amdhsa_exception_fp_ieee_invalid_op 0
		.amdhsa_exception_fp_denorm_src 0
		.amdhsa_exception_fp_ieee_div_zero 0
		.amdhsa_exception_fp_ieee_overflow 0
		.amdhsa_exception_fp_ieee_underflow 0
		.amdhsa_exception_fp_ieee_inexact 0
		.amdhsa_exception_int_div_zero 0
	.end_amdhsa_kernel
	.section	.text._ZN7rocprim17ROCPRIM_400000_NS6detail17trampoline_kernelINS0_14default_configENS1_27scan_by_key_config_selectorIssEEZZNS1_16scan_by_key_implILNS1_25lookback_scan_determinismE0ELb0ES3_N6thrust23THRUST_200600_302600_NS6detail15normal_iteratorINS9_10device_ptrIsEEEESE_SE_sNS9_4plusIsEE19head_flag_predicatesEE10hipError_tPvRmT2_T3_T4_T5_mT6_T7_P12ihipStream_tbENKUlT_T0_E_clISt17integral_constantIbLb1EESY_EEDaST_SU_EUlST_E_NS1_11comp_targetILNS1_3genE10ELNS1_11target_archE1200ELNS1_3gpuE4ELNS1_3repE0EEENS1_30default_config_static_selectorELNS0_4arch9wavefront6targetE0EEEvT1_,"axG",@progbits,_ZN7rocprim17ROCPRIM_400000_NS6detail17trampoline_kernelINS0_14default_configENS1_27scan_by_key_config_selectorIssEEZZNS1_16scan_by_key_implILNS1_25lookback_scan_determinismE0ELb0ES3_N6thrust23THRUST_200600_302600_NS6detail15normal_iteratorINS9_10device_ptrIsEEEESE_SE_sNS9_4plusIsEE19head_flag_predicatesEE10hipError_tPvRmT2_T3_T4_T5_mT6_T7_P12ihipStream_tbENKUlT_T0_E_clISt17integral_constantIbLb1EESY_EEDaST_SU_EUlST_E_NS1_11comp_targetILNS1_3genE10ELNS1_11target_archE1200ELNS1_3gpuE4ELNS1_3repE0EEENS1_30default_config_static_selectorELNS0_4arch9wavefront6targetE0EEEvT1_,comdat
.Lfunc_end836:
	.size	_ZN7rocprim17ROCPRIM_400000_NS6detail17trampoline_kernelINS0_14default_configENS1_27scan_by_key_config_selectorIssEEZZNS1_16scan_by_key_implILNS1_25lookback_scan_determinismE0ELb0ES3_N6thrust23THRUST_200600_302600_NS6detail15normal_iteratorINS9_10device_ptrIsEEEESE_SE_sNS9_4plusIsEE19head_flag_predicatesEE10hipError_tPvRmT2_T3_T4_T5_mT6_T7_P12ihipStream_tbENKUlT_T0_E_clISt17integral_constantIbLb1EESY_EEDaST_SU_EUlST_E_NS1_11comp_targetILNS1_3genE10ELNS1_11target_archE1200ELNS1_3gpuE4ELNS1_3repE0EEENS1_30default_config_static_selectorELNS0_4arch9wavefront6targetE0EEEvT1_, .Lfunc_end836-_ZN7rocprim17ROCPRIM_400000_NS6detail17trampoline_kernelINS0_14default_configENS1_27scan_by_key_config_selectorIssEEZZNS1_16scan_by_key_implILNS1_25lookback_scan_determinismE0ELb0ES3_N6thrust23THRUST_200600_302600_NS6detail15normal_iteratorINS9_10device_ptrIsEEEESE_SE_sNS9_4plusIsEE19head_flag_predicatesEE10hipError_tPvRmT2_T3_T4_T5_mT6_T7_P12ihipStream_tbENKUlT_T0_E_clISt17integral_constantIbLb1EESY_EEDaST_SU_EUlST_E_NS1_11comp_targetILNS1_3genE10ELNS1_11target_archE1200ELNS1_3gpuE4ELNS1_3repE0EEENS1_30default_config_static_selectorELNS0_4arch9wavefront6targetE0EEEvT1_
                                        ; -- End function
	.set _ZN7rocprim17ROCPRIM_400000_NS6detail17trampoline_kernelINS0_14default_configENS1_27scan_by_key_config_selectorIssEEZZNS1_16scan_by_key_implILNS1_25lookback_scan_determinismE0ELb0ES3_N6thrust23THRUST_200600_302600_NS6detail15normal_iteratorINS9_10device_ptrIsEEEESE_SE_sNS9_4plusIsEE19head_flag_predicatesEE10hipError_tPvRmT2_T3_T4_T5_mT6_T7_P12ihipStream_tbENKUlT_T0_E_clISt17integral_constantIbLb1EESY_EEDaST_SU_EUlST_E_NS1_11comp_targetILNS1_3genE10ELNS1_11target_archE1200ELNS1_3gpuE4ELNS1_3repE0EEENS1_30default_config_static_selectorELNS0_4arch9wavefront6targetE0EEEvT1_.num_vgpr, 0
	.set _ZN7rocprim17ROCPRIM_400000_NS6detail17trampoline_kernelINS0_14default_configENS1_27scan_by_key_config_selectorIssEEZZNS1_16scan_by_key_implILNS1_25lookback_scan_determinismE0ELb0ES3_N6thrust23THRUST_200600_302600_NS6detail15normal_iteratorINS9_10device_ptrIsEEEESE_SE_sNS9_4plusIsEE19head_flag_predicatesEE10hipError_tPvRmT2_T3_T4_T5_mT6_T7_P12ihipStream_tbENKUlT_T0_E_clISt17integral_constantIbLb1EESY_EEDaST_SU_EUlST_E_NS1_11comp_targetILNS1_3genE10ELNS1_11target_archE1200ELNS1_3gpuE4ELNS1_3repE0EEENS1_30default_config_static_selectorELNS0_4arch9wavefront6targetE0EEEvT1_.num_agpr, 0
	.set _ZN7rocprim17ROCPRIM_400000_NS6detail17trampoline_kernelINS0_14default_configENS1_27scan_by_key_config_selectorIssEEZZNS1_16scan_by_key_implILNS1_25lookback_scan_determinismE0ELb0ES3_N6thrust23THRUST_200600_302600_NS6detail15normal_iteratorINS9_10device_ptrIsEEEESE_SE_sNS9_4plusIsEE19head_flag_predicatesEE10hipError_tPvRmT2_T3_T4_T5_mT6_T7_P12ihipStream_tbENKUlT_T0_E_clISt17integral_constantIbLb1EESY_EEDaST_SU_EUlST_E_NS1_11comp_targetILNS1_3genE10ELNS1_11target_archE1200ELNS1_3gpuE4ELNS1_3repE0EEENS1_30default_config_static_selectorELNS0_4arch9wavefront6targetE0EEEvT1_.numbered_sgpr, 0
	.set _ZN7rocprim17ROCPRIM_400000_NS6detail17trampoline_kernelINS0_14default_configENS1_27scan_by_key_config_selectorIssEEZZNS1_16scan_by_key_implILNS1_25lookback_scan_determinismE0ELb0ES3_N6thrust23THRUST_200600_302600_NS6detail15normal_iteratorINS9_10device_ptrIsEEEESE_SE_sNS9_4plusIsEE19head_flag_predicatesEE10hipError_tPvRmT2_T3_T4_T5_mT6_T7_P12ihipStream_tbENKUlT_T0_E_clISt17integral_constantIbLb1EESY_EEDaST_SU_EUlST_E_NS1_11comp_targetILNS1_3genE10ELNS1_11target_archE1200ELNS1_3gpuE4ELNS1_3repE0EEENS1_30default_config_static_selectorELNS0_4arch9wavefront6targetE0EEEvT1_.num_named_barrier, 0
	.set _ZN7rocprim17ROCPRIM_400000_NS6detail17trampoline_kernelINS0_14default_configENS1_27scan_by_key_config_selectorIssEEZZNS1_16scan_by_key_implILNS1_25lookback_scan_determinismE0ELb0ES3_N6thrust23THRUST_200600_302600_NS6detail15normal_iteratorINS9_10device_ptrIsEEEESE_SE_sNS9_4plusIsEE19head_flag_predicatesEE10hipError_tPvRmT2_T3_T4_T5_mT6_T7_P12ihipStream_tbENKUlT_T0_E_clISt17integral_constantIbLb1EESY_EEDaST_SU_EUlST_E_NS1_11comp_targetILNS1_3genE10ELNS1_11target_archE1200ELNS1_3gpuE4ELNS1_3repE0EEENS1_30default_config_static_selectorELNS0_4arch9wavefront6targetE0EEEvT1_.private_seg_size, 0
	.set _ZN7rocprim17ROCPRIM_400000_NS6detail17trampoline_kernelINS0_14default_configENS1_27scan_by_key_config_selectorIssEEZZNS1_16scan_by_key_implILNS1_25lookback_scan_determinismE0ELb0ES3_N6thrust23THRUST_200600_302600_NS6detail15normal_iteratorINS9_10device_ptrIsEEEESE_SE_sNS9_4plusIsEE19head_flag_predicatesEE10hipError_tPvRmT2_T3_T4_T5_mT6_T7_P12ihipStream_tbENKUlT_T0_E_clISt17integral_constantIbLb1EESY_EEDaST_SU_EUlST_E_NS1_11comp_targetILNS1_3genE10ELNS1_11target_archE1200ELNS1_3gpuE4ELNS1_3repE0EEENS1_30default_config_static_selectorELNS0_4arch9wavefront6targetE0EEEvT1_.uses_vcc, 0
	.set _ZN7rocprim17ROCPRIM_400000_NS6detail17trampoline_kernelINS0_14default_configENS1_27scan_by_key_config_selectorIssEEZZNS1_16scan_by_key_implILNS1_25lookback_scan_determinismE0ELb0ES3_N6thrust23THRUST_200600_302600_NS6detail15normal_iteratorINS9_10device_ptrIsEEEESE_SE_sNS9_4plusIsEE19head_flag_predicatesEE10hipError_tPvRmT2_T3_T4_T5_mT6_T7_P12ihipStream_tbENKUlT_T0_E_clISt17integral_constantIbLb1EESY_EEDaST_SU_EUlST_E_NS1_11comp_targetILNS1_3genE10ELNS1_11target_archE1200ELNS1_3gpuE4ELNS1_3repE0EEENS1_30default_config_static_selectorELNS0_4arch9wavefront6targetE0EEEvT1_.uses_flat_scratch, 0
	.set _ZN7rocprim17ROCPRIM_400000_NS6detail17trampoline_kernelINS0_14default_configENS1_27scan_by_key_config_selectorIssEEZZNS1_16scan_by_key_implILNS1_25lookback_scan_determinismE0ELb0ES3_N6thrust23THRUST_200600_302600_NS6detail15normal_iteratorINS9_10device_ptrIsEEEESE_SE_sNS9_4plusIsEE19head_flag_predicatesEE10hipError_tPvRmT2_T3_T4_T5_mT6_T7_P12ihipStream_tbENKUlT_T0_E_clISt17integral_constantIbLb1EESY_EEDaST_SU_EUlST_E_NS1_11comp_targetILNS1_3genE10ELNS1_11target_archE1200ELNS1_3gpuE4ELNS1_3repE0EEENS1_30default_config_static_selectorELNS0_4arch9wavefront6targetE0EEEvT1_.has_dyn_sized_stack, 0
	.set _ZN7rocprim17ROCPRIM_400000_NS6detail17trampoline_kernelINS0_14default_configENS1_27scan_by_key_config_selectorIssEEZZNS1_16scan_by_key_implILNS1_25lookback_scan_determinismE0ELb0ES3_N6thrust23THRUST_200600_302600_NS6detail15normal_iteratorINS9_10device_ptrIsEEEESE_SE_sNS9_4plusIsEE19head_flag_predicatesEE10hipError_tPvRmT2_T3_T4_T5_mT6_T7_P12ihipStream_tbENKUlT_T0_E_clISt17integral_constantIbLb1EESY_EEDaST_SU_EUlST_E_NS1_11comp_targetILNS1_3genE10ELNS1_11target_archE1200ELNS1_3gpuE4ELNS1_3repE0EEENS1_30default_config_static_selectorELNS0_4arch9wavefront6targetE0EEEvT1_.has_recursion, 0
	.set _ZN7rocprim17ROCPRIM_400000_NS6detail17trampoline_kernelINS0_14default_configENS1_27scan_by_key_config_selectorIssEEZZNS1_16scan_by_key_implILNS1_25lookback_scan_determinismE0ELb0ES3_N6thrust23THRUST_200600_302600_NS6detail15normal_iteratorINS9_10device_ptrIsEEEESE_SE_sNS9_4plusIsEE19head_flag_predicatesEE10hipError_tPvRmT2_T3_T4_T5_mT6_T7_P12ihipStream_tbENKUlT_T0_E_clISt17integral_constantIbLb1EESY_EEDaST_SU_EUlST_E_NS1_11comp_targetILNS1_3genE10ELNS1_11target_archE1200ELNS1_3gpuE4ELNS1_3repE0EEENS1_30default_config_static_selectorELNS0_4arch9wavefront6targetE0EEEvT1_.has_indirect_call, 0
	.section	.AMDGPU.csdata,"",@progbits
; Kernel info:
; codeLenInByte = 0
; TotalNumSgprs: 0
; NumVgprs: 0
; ScratchSize: 0
; MemoryBound: 0
; FloatMode: 240
; IeeeMode: 1
; LDSByteSize: 0 bytes/workgroup (compile time only)
; SGPRBlocks: 0
; VGPRBlocks: 0
; NumSGPRsForWavesPerEU: 1
; NumVGPRsForWavesPerEU: 1
; Occupancy: 16
; WaveLimiterHint : 0
; COMPUTE_PGM_RSRC2:SCRATCH_EN: 0
; COMPUTE_PGM_RSRC2:USER_SGPR: 6
; COMPUTE_PGM_RSRC2:TRAP_HANDLER: 0
; COMPUTE_PGM_RSRC2:TGID_X_EN: 1
; COMPUTE_PGM_RSRC2:TGID_Y_EN: 0
; COMPUTE_PGM_RSRC2:TGID_Z_EN: 0
; COMPUTE_PGM_RSRC2:TIDIG_COMP_CNT: 0
	.section	.text._ZN7rocprim17ROCPRIM_400000_NS6detail17trampoline_kernelINS0_14default_configENS1_27scan_by_key_config_selectorIssEEZZNS1_16scan_by_key_implILNS1_25lookback_scan_determinismE0ELb0ES3_N6thrust23THRUST_200600_302600_NS6detail15normal_iteratorINS9_10device_ptrIsEEEESE_SE_sNS9_4plusIsEE19head_flag_predicatesEE10hipError_tPvRmT2_T3_T4_T5_mT6_T7_P12ihipStream_tbENKUlT_T0_E_clISt17integral_constantIbLb1EESY_EEDaST_SU_EUlST_E_NS1_11comp_targetILNS1_3genE9ELNS1_11target_archE1100ELNS1_3gpuE3ELNS1_3repE0EEENS1_30default_config_static_selectorELNS0_4arch9wavefront6targetE0EEEvT1_,"axG",@progbits,_ZN7rocprim17ROCPRIM_400000_NS6detail17trampoline_kernelINS0_14default_configENS1_27scan_by_key_config_selectorIssEEZZNS1_16scan_by_key_implILNS1_25lookback_scan_determinismE0ELb0ES3_N6thrust23THRUST_200600_302600_NS6detail15normal_iteratorINS9_10device_ptrIsEEEESE_SE_sNS9_4plusIsEE19head_flag_predicatesEE10hipError_tPvRmT2_T3_T4_T5_mT6_T7_P12ihipStream_tbENKUlT_T0_E_clISt17integral_constantIbLb1EESY_EEDaST_SU_EUlST_E_NS1_11comp_targetILNS1_3genE9ELNS1_11target_archE1100ELNS1_3gpuE3ELNS1_3repE0EEENS1_30default_config_static_selectorELNS0_4arch9wavefront6targetE0EEEvT1_,comdat
	.protected	_ZN7rocprim17ROCPRIM_400000_NS6detail17trampoline_kernelINS0_14default_configENS1_27scan_by_key_config_selectorIssEEZZNS1_16scan_by_key_implILNS1_25lookback_scan_determinismE0ELb0ES3_N6thrust23THRUST_200600_302600_NS6detail15normal_iteratorINS9_10device_ptrIsEEEESE_SE_sNS9_4plusIsEE19head_flag_predicatesEE10hipError_tPvRmT2_T3_T4_T5_mT6_T7_P12ihipStream_tbENKUlT_T0_E_clISt17integral_constantIbLb1EESY_EEDaST_SU_EUlST_E_NS1_11comp_targetILNS1_3genE9ELNS1_11target_archE1100ELNS1_3gpuE3ELNS1_3repE0EEENS1_30default_config_static_selectorELNS0_4arch9wavefront6targetE0EEEvT1_ ; -- Begin function _ZN7rocprim17ROCPRIM_400000_NS6detail17trampoline_kernelINS0_14default_configENS1_27scan_by_key_config_selectorIssEEZZNS1_16scan_by_key_implILNS1_25lookback_scan_determinismE0ELb0ES3_N6thrust23THRUST_200600_302600_NS6detail15normal_iteratorINS9_10device_ptrIsEEEESE_SE_sNS9_4plusIsEE19head_flag_predicatesEE10hipError_tPvRmT2_T3_T4_T5_mT6_T7_P12ihipStream_tbENKUlT_T0_E_clISt17integral_constantIbLb1EESY_EEDaST_SU_EUlST_E_NS1_11comp_targetILNS1_3genE9ELNS1_11target_archE1100ELNS1_3gpuE3ELNS1_3repE0EEENS1_30default_config_static_selectorELNS0_4arch9wavefront6targetE0EEEvT1_
	.globl	_ZN7rocprim17ROCPRIM_400000_NS6detail17trampoline_kernelINS0_14default_configENS1_27scan_by_key_config_selectorIssEEZZNS1_16scan_by_key_implILNS1_25lookback_scan_determinismE0ELb0ES3_N6thrust23THRUST_200600_302600_NS6detail15normal_iteratorINS9_10device_ptrIsEEEESE_SE_sNS9_4plusIsEE19head_flag_predicatesEE10hipError_tPvRmT2_T3_T4_T5_mT6_T7_P12ihipStream_tbENKUlT_T0_E_clISt17integral_constantIbLb1EESY_EEDaST_SU_EUlST_E_NS1_11comp_targetILNS1_3genE9ELNS1_11target_archE1100ELNS1_3gpuE3ELNS1_3repE0EEENS1_30default_config_static_selectorELNS0_4arch9wavefront6targetE0EEEvT1_
	.p2align	8
	.type	_ZN7rocprim17ROCPRIM_400000_NS6detail17trampoline_kernelINS0_14default_configENS1_27scan_by_key_config_selectorIssEEZZNS1_16scan_by_key_implILNS1_25lookback_scan_determinismE0ELb0ES3_N6thrust23THRUST_200600_302600_NS6detail15normal_iteratorINS9_10device_ptrIsEEEESE_SE_sNS9_4plusIsEE19head_flag_predicatesEE10hipError_tPvRmT2_T3_T4_T5_mT6_T7_P12ihipStream_tbENKUlT_T0_E_clISt17integral_constantIbLb1EESY_EEDaST_SU_EUlST_E_NS1_11comp_targetILNS1_3genE9ELNS1_11target_archE1100ELNS1_3gpuE3ELNS1_3repE0EEENS1_30default_config_static_selectorELNS0_4arch9wavefront6targetE0EEEvT1_,@function
_ZN7rocprim17ROCPRIM_400000_NS6detail17trampoline_kernelINS0_14default_configENS1_27scan_by_key_config_selectorIssEEZZNS1_16scan_by_key_implILNS1_25lookback_scan_determinismE0ELb0ES3_N6thrust23THRUST_200600_302600_NS6detail15normal_iteratorINS9_10device_ptrIsEEEESE_SE_sNS9_4plusIsEE19head_flag_predicatesEE10hipError_tPvRmT2_T3_T4_T5_mT6_T7_P12ihipStream_tbENKUlT_T0_E_clISt17integral_constantIbLb1EESY_EEDaST_SU_EUlST_E_NS1_11comp_targetILNS1_3genE9ELNS1_11target_archE1100ELNS1_3gpuE3ELNS1_3repE0EEENS1_30default_config_static_selectorELNS0_4arch9wavefront6targetE0EEEvT1_: ; @_ZN7rocprim17ROCPRIM_400000_NS6detail17trampoline_kernelINS0_14default_configENS1_27scan_by_key_config_selectorIssEEZZNS1_16scan_by_key_implILNS1_25lookback_scan_determinismE0ELb0ES3_N6thrust23THRUST_200600_302600_NS6detail15normal_iteratorINS9_10device_ptrIsEEEESE_SE_sNS9_4plusIsEE19head_flag_predicatesEE10hipError_tPvRmT2_T3_T4_T5_mT6_T7_P12ihipStream_tbENKUlT_T0_E_clISt17integral_constantIbLb1EESY_EEDaST_SU_EUlST_E_NS1_11comp_targetILNS1_3genE9ELNS1_11target_archE1100ELNS1_3gpuE3ELNS1_3repE0EEENS1_30default_config_static_selectorELNS0_4arch9wavefront6targetE0EEEvT1_
; %bb.0:
	.section	.rodata,"a",@progbits
	.p2align	6, 0x0
	.amdhsa_kernel _ZN7rocprim17ROCPRIM_400000_NS6detail17trampoline_kernelINS0_14default_configENS1_27scan_by_key_config_selectorIssEEZZNS1_16scan_by_key_implILNS1_25lookback_scan_determinismE0ELb0ES3_N6thrust23THRUST_200600_302600_NS6detail15normal_iteratorINS9_10device_ptrIsEEEESE_SE_sNS9_4plusIsEE19head_flag_predicatesEE10hipError_tPvRmT2_T3_T4_T5_mT6_T7_P12ihipStream_tbENKUlT_T0_E_clISt17integral_constantIbLb1EESY_EEDaST_SU_EUlST_E_NS1_11comp_targetILNS1_3genE9ELNS1_11target_archE1100ELNS1_3gpuE3ELNS1_3repE0EEENS1_30default_config_static_selectorELNS0_4arch9wavefront6targetE0EEEvT1_
		.amdhsa_group_segment_fixed_size 0
		.amdhsa_private_segment_fixed_size 0
		.amdhsa_kernarg_size 112
		.amdhsa_user_sgpr_count 6
		.amdhsa_user_sgpr_private_segment_buffer 1
		.amdhsa_user_sgpr_dispatch_ptr 0
		.amdhsa_user_sgpr_queue_ptr 0
		.amdhsa_user_sgpr_kernarg_segment_ptr 1
		.amdhsa_user_sgpr_dispatch_id 0
		.amdhsa_user_sgpr_flat_scratch_init 0
		.amdhsa_user_sgpr_private_segment_size 0
		.amdhsa_wavefront_size32 1
		.amdhsa_uses_dynamic_stack 0
		.amdhsa_system_sgpr_private_segment_wavefront_offset 0
		.amdhsa_system_sgpr_workgroup_id_x 1
		.amdhsa_system_sgpr_workgroup_id_y 0
		.amdhsa_system_sgpr_workgroup_id_z 0
		.amdhsa_system_sgpr_workgroup_info 0
		.amdhsa_system_vgpr_workitem_id 0
		.amdhsa_next_free_vgpr 1
		.amdhsa_next_free_sgpr 1
		.amdhsa_reserve_vcc 0
		.amdhsa_reserve_flat_scratch 0
		.amdhsa_float_round_mode_32 0
		.amdhsa_float_round_mode_16_64 0
		.amdhsa_float_denorm_mode_32 3
		.amdhsa_float_denorm_mode_16_64 3
		.amdhsa_dx10_clamp 1
		.amdhsa_ieee_mode 1
		.amdhsa_fp16_overflow 0
		.amdhsa_workgroup_processor_mode 1
		.amdhsa_memory_ordered 1
		.amdhsa_forward_progress 1
		.amdhsa_shared_vgpr_count 0
		.amdhsa_exception_fp_ieee_invalid_op 0
		.amdhsa_exception_fp_denorm_src 0
		.amdhsa_exception_fp_ieee_div_zero 0
		.amdhsa_exception_fp_ieee_overflow 0
		.amdhsa_exception_fp_ieee_underflow 0
		.amdhsa_exception_fp_ieee_inexact 0
		.amdhsa_exception_int_div_zero 0
	.end_amdhsa_kernel
	.section	.text._ZN7rocprim17ROCPRIM_400000_NS6detail17trampoline_kernelINS0_14default_configENS1_27scan_by_key_config_selectorIssEEZZNS1_16scan_by_key_implILNS1_25lookback_scan_determinismE0ELb0ES3_N6thrust23THRUST_200600_302600_NS6detail15normal_iteratorINS9_10device_ptrIsEEEESE_SE_sNS9_4plusIsEE19head_flag_predicatesEE10hipError_tPvRmT2_T3_T4_T5_mT6_T7_P12ihipStream_tbENKUlT_T0_E_clISt17integral_constantIbLb1EESY_EEDaST_SU_EUlST_E_NS1_11comp_targetILNS1_3genE9ELNS1_11target_archE1100ELNS1_3gpuE3ELNS1_3repE0EEENS1_30default_config_static_selectorELNS0_4arch9wavefront6targetE0EEEvT1_,"axG",@progbits,_ZN7rocprim17ROCPRIM_400000_NS6detail17trampoline_kernelINS0_14default_configENS1_27scan_by_key_config_selectorIssEEZZNS1_16scan_by_key_implILNS1_25lookback_scan_determinismE0ELb0ES3_N6thrust23THRUST_200600_302600_NS6detail15normal_iteratorINS9_10device_ptrIsEEEESE_SE_sNS9_4plusIsEE19head_flag_predicatesEE10hipError_tPvRmT2_T3_T4_T5_mT6_T7_P12ihipStream_tbENKUlT_T0_E_clISt17integral_constantIbLb1EESY_EEDaST_SU_EUlST_E_NS1_11comp_targetILNS1_3genE9ELNS1_11target_archE1100ELNS1_3gpuE3ELNS1_3repE0EEENS1_30default_config_static_selectorELNS0_4arch9wavefront6targetE0EEEvT1_,comdat
.Lfunc_end837:
	.size	_ZN7rocprim17ROCPRIM_400000_NS6detail17trampoline_kernelINS0_14default_configENS1_27scan_by_key_config_selectorIssEEZZNS1_16scan_by_key_implILNS1_25lookback_scan_determinismE0ELb0ES3_N6thrust23THRUST_200600_302600_NS6detail15normal_iteratorINS9_10device_ptrIsEEEESE_SE_sNS9_4plusIsEE19head_flag_predicatesEE10hipError_tPvRmT2_T3_T4_T5_mT6_T7_P12ihipStream_tbENKUlT_T0_E_clISt17integral_constantIbLb1EESY_EEDaST_SU_EUlST_E_NS1_11comp_targetILNS1_3genE9ELNS1_11target_archE1100ELNS1_3gpuE3ELNS1_3repE0EEENS1_30default_config_static_selectorELNS0_4arch9wavefront6targetE0EEEvT1_, .Lfunc_end837-_ZN7rocprim17ROCPRIM_400000_NS6detail17trampoline_kernelINS0_14default_configENS1_27scan_by_key_config_selectorIssEEZZNS1_16scan_by_key_implILNS1_25lookback_scan_determinismE0ELb0ES3_N6thrust23THRUST_200600_302600_NS6detail15normal_iteratorINS9_10device_ptrIsEEEESE_SE_sNS9_4plusIsEE19head_flag_predicatesEE10hipError_tPvRmT2_T3_T4_T5_mT6_T7_P12ihipStream_tbENKUlT_T0_E_clISt17integral_constantIbLb1EESY_EEDaST_SU_EUlST_E_NS1_11comp_targetILNS1_3genE9ELNS1_11target_archE1100ELNS1_3gpuE3ELNS1_3repE0EEENS1_30default_config_static_selectorELNS0_4arch9wavefront6targetE0EEEvT1_
                                        ; -- End function
	.set _ZN7rocprim17ROCPRIM_400000_NS6detail17trampoline_kernelINS0_14default_configENS1_27scan_by_key_config_selectorIssEEZZNS1_16scan_by_key_implILNS1_25lookback_scan_determinismE0ELb0ES3_N6thrust23THRUST_200600_302600_NS6detail15normal_iteratorINS9_10device_ptrIsEEEESE_SE_sNS9_4plusIsEE19head_flag_predicatesEE10hipError_tPvRmT2_T3_T4_T5_mT6_T7_P12ihipStream_tbENKUlT_T0_E_clISt17integral_constantIbLb1EESY_EEDaST_SU_EUlST_E_NS1_11comp_targetILNS1_3genE9ELNS1_11target_archE1100ELNS1_3gpuE3ELNS1_3repE0EEENS1_30default_config_static_selectorELNS0_4arch9wavefront6targetE0EEEvT1_.num_vgpr, 0
	.set _ZN7rocprim17ROCPRIM_400000_NS6detail17trampoline_kernelINS0_14default_configENS1_27scan_by_key_config_selectorIssEEZZNS1_16scan_by_key_implILNS1_25lookback_scan_determinismE0ELb0ES3_N6thrust23THRUST_200600_302600_NS6detail15normal_iteratorINS9_10device_ptrIsEEEESE_SE_sNS9_4plusIsEE19head_flag_predicatesEE10hipError_tPvRmT2_T3_T4_T5_mT6_T7_P12ihipStream_tbENKUlT_T0_E_clISt17integral_constantIbLb1EESY_EEDaST_SU_EUlST_E_NS1_11comp_targetILNS1_3genE9ELNS1_11target_archE1100ELNS1_3gpuE3ELNS1_3repE0EEENS1_30default_config_static_selectorELNS0_4arch9wavefront6targetE0EEEvT1_.num_agpr, 0
	.set _ZN7rocprim17ROCPRIM_400000_NS6detail17trampoline_kernelINS0_14default_configENS1_27scan_by_key_config_selectorIssEEZZNS1_16scan_by_key_implILNS1_25lookback_scan_determinismE0ELb0ES3_N6thrust23THRUST_200600_302600_NS6detail15normal_iteratorINS9_10device_ptrIsEEEESE_SE_sNS9_4plusIsEE19head_flag_predicatesEE10hipError_tPvRmT2_T3_T4_T5_mT6_T7_P12ihipStream_tbENKUlT_T0_E_clISt17integral_constantIbLb1EESY_EEDaST_SU_EUlST_E_NS1_11comp_targetILNS1_3genE9ELNS1_11target_archE1100ELNS1_3gpuE3ELNS1_3repE0EEENS1_30default_config_static_selectorELNS0_4arch9wavefront6targetE0EEEvT1_.numbered_sgpr, 0
	.set _ZN7rocprim17ROCPRIM_400000_NS6detail17trampoline_kernelINS0_14default_configENS1_27scan_by_key_config_selectorIssEEZZNS1_16scan_by_key_implILNS1_25lookback_scan_determinismE0ELb0ES3_N6thrust23THRUST_200600_302600_NS6detail15normal_iteratorINS9_10device_ptrIsEEEESE_SE_sNS9_4plusIsEE19head_flag_predicatesEE10hipError_tPvRmT2_T3_T4_T5_mT6_T7_P12ihipStream_tbENKUlT_T0_E_clISt17integral_constantIbLb1EESY_EEDaST_SU_EUlST_E_NS1_11comp_targetILNS1_3genE9ELNS1_11target_archE1100ELNS1_3gpuE3ELNS1_3repE0EEENS1_30default_config_static_selectorELNS0_4arch9wavefront6targetE0EEEvT1_.num_named_barrier, 0
	.set _ZN7rocprim17ROCPRIM_400000_NS6detail17trampoline_kernelINS0_14default_configENS1_27scan_by_key_config_selectorIssEEZZNS1_16scan_by_key_implILNS1_25lookback_scan_determinismE0ELb0ES3_N6thrust23THRUST_200600_302600_NS6detail15normal_iteratorINS9_10device_ptrIsEEEESE_SE_sNS9_4plusIsEE19head_flag_predicatesEE10hipError_tPvRmT2_T3_T4_T5_mT6_T7_P12ihipStream_tbENKUlT_T0_E_clISt17integral_constantIbLb1EESY_EEDaST_SU_EUlST_E_NS1_11comp_targetILNS1_3genE9ELNS1_11target_archE1100ELNS1_3gpuE3ELNS1_3repE0EEENS1_30default_config_static_selectorELNS0_4arch9wavefront6targetE0EEEvT1_.private_seg_size, 0
	.set _ZN7rocprim17ROCPRIM_400000_NS6detail17trampoline_kernelINS0_14default_configENS1_27scan_by_key_config_selectorIssEEZZNS1_16scan_by_key_implILNS1_25lookback_scan_determinismE0ELb0ES3_N6thrust23THRUST_200600_302600_NS6detail15normal_iteratorINS9_10device_ptrIsEEEESE_SE_sNS9_4plusIsEE19head_flag_predicatesEE10hipError_tPvRmT2_T3_T4_T5_mT6_T7_P12ihipStream_tbENKUlT_T0_E_clISt17integral_constantIbLb1EESY_EEDaST_SU_EUlST_E_NS1_11comp_targetILNS1_3genE9ELNS1_11target_archE1100ELNS1_3gpuE3ELNS1_3repE0EEENS1_30default_config_static_selectorELNS0_4arch9wavefront6targetE0EEEvT1_.uses_vcc, 0
	.set _ZN7rocprim17ROCPRIM_400000_NS6detail17trampoline_kernelINS0_14default_configENS1_27scan_by_key_config_selectorIssEEZZNS1_16scan_by_key_implILNS1_25lookback_scan_determinismE0ELb0ES3_N6thrust23THRUST_200600_302600_NS6detail15normal_iteratorINS9_10device_ptrIsEEEESE_SE_sNS9_4plusIsEE19head_flag_predicatesEE10hipError_tPvRmT2_T3_T4_T5_mT6_T7_P12ihipStream_tbENKUlT_T0_E_clISt17integral_constantIbLb1EESY_EEDaST_SU_EUlST_E_NS1_11comp_targetILNS1_3genE9ELNS1_11target_archE1100ELNS1_3gpuE3ELNS1_3repE0EEENS1_30default_config_static_selectorELNS0_4arch9wavefront6targetE0EEEvT1_.uses_flat_scratch, 0
	.set _ZN7rocprim17ROCPRIM_400000_NS6detail17trampoline_kernelINS0_14default_configENS1_27scan_by_key_config_selectorIssEEZZNS1_16scan_by_key_implILNS1_25lookback_scan_determinismE0ELb0ES3_N6thrust23THRUST_200600_302600_NS6detail15normal_iteratorINS9_10device_ptrIsEEEESE_SE_sNS9_4plusIsEE19head_flag_predicatesEE10hipError_tPvRmT2_T3_T4_T5_mT6_T7_P12ihipStream_tbENKUlT_T0_E_clISt17integral_constantIbLb1EESY_EEDaST_SU_EUlST_E_NS1_11comp_targetILNS1_3genE9ELNS1_11target_archE1100ELNS1_3gpuE3ELNS1_3repE0EEENS1_30default_config_static_selectorELNS0_4arch9wavefront6targetE0EEEvT1_.has_dyn_sized_stack, 0
	.set _ZN7rocprim17ROCPRIM_400000_NS6detail17trampoline_kernelINS0_14default_configENS1_27scan_by_key_config_selectorIssEEZZNS1_16scan_by_key_implILNS1_25lookback_scan_determinismE0ELb0ES3_N6thrust23THRUST_200600_302600_NS6detail15normal_iteratorINS9_10device_ptrIsEEEESE_SE_sNS9_4plusIsEE19head_flag_predicatesEE10hipError_tPvRmT2_T3_T4_T5_mT6_T7_P12ihipStream_tbENKUlT_T0_E_clISt17integral_constantIbLb1EESY_EEDaST_SU_EUlST_E_NS1_11comp_targetILNS1_3genE9ELNS1_11target_archE1100ELNS1_3gpuE3ELNS1_3repE0EEENS1_30default_config_static_selectorELNS0_4arch9wavefront6targetE0EEEvT1_.has_recursion, 0
	.set _ZN7rocprim17ROCPRIM_400000_NS6detail17trampoline_kernelINS0_14default_configENS1_27scan_by_key_config_selectorIssEEZZNS1_16scan_by_key_implILNS1_25lookback_scan_determinismE0ELb0ES3_N6thrust23THRUST_200600_302600_NS6detail15normal_iteratorINS9_10device_ptrIsEEEESE_SE_sNS9_4plusIsEE19head_flag_predicatesEE10hipError_tPvRmT2_T3_T4_T5_mT6_T7_P12ihipStream_tbENKUlT_T0_E_clISt17integral_constantIbLb1EESY_EEDaST_SU_EUlST_E_NS1_11comp_targetILNS1_3genE9ELNS1_11target_archE1100ELNS1_3gpuE3ELNS1_3repE0EEENS1_30default_config_static_selectorELNS0_4arch9wavefront6targetE0EEEvT1_.has_indirect_call, 0
	.section	.AMDGPU.csdata,"",@progbits
; Kernel info:
; codeLenInByte = 0
; TotalNumSgprs: 0
; NumVgprs: 0
; ScratchSize: 0
; MemoryBound: 0
; FloatMode: 240
; IeeeMode: 1
; LDSByteSize: 0 bytes/workgroup (compile time only)
; SGPRBlocks: 0
; VGPRBlocks: 0
; NumSGPRsForWavesPerEU: 1
; NumVGPRsForWavesPerEU: 1
; Occupancy: 16
; WaveLimiterHint : 0
; COMPUTE_PGM_RSRC2:SCRATCH_EN: 0
; COMPUTE_PGM_RSRC2:USER_SGPR: 6
; COMPUTE_PGM_RSRC2:TRAP_HANDLER: 0
; COMPUTE_PGM_RSRC2:TGID_X_EN: 1
; COMPUTE_PGM_RSRC2:TGID_Y_EN: 0
; COMPUTE_PGM_RSRC2:TGID_Z_EN: 0
; COMPUTE_PGM_RSRC2:TIDIG_COMP_CNT: 0
	.section	.text._ZN7rocprim17ROCPRIM_400000_NS6detail17trampoline_kernelINS0_14default_configENS1_27scan_by_key_config_selectorIssEEZZNS1_16scan_by_key_implILNS1_25lookback_scan_determinismE0ELb0ES3_N6thrust23THRUST_200600_302600_NS6detail15normal_iteratorINS9_10device_ptrIsEEEESE_SE_sNS9_4plusIsEE19head_flag_predicatesEE10hipError_tPvRmT2_T3_T4_T5_mT6_T7_P12ihipStream_tbENKUlT_T0_E_clISt17integral_constantIbLb1EESY_EEDaST_SU_EUlST_E_NS1_11comp_targetILNS1_3genE8ELNS1_11target_archE1030ELNS1_3gpuE2ELNS1_3repE0EEENS1_30default_config_static_selectorELNS0_4arch9wavefront6targetE0EEEvT1_,"axG",@progbits,_ZN7rocprim17ROCPRIM_400000_NS6detail17trampoline_kernelINS0_14default_configENS1_27scan_by_key_config_selectorIssEEZZNS1_16scan_by_key_implILNS1_25lookback_scan_determinismE0ELb0ES3_N6thrust23THRUST_200600_302600_NS6detail15normal_iteratorINS9_10device_ptrIsEEEESE_SE_sNS9_4plusIsEE19head_flag_predicatesEE10hipError_tPvRmT2_T3_T4_T5_mT6_T7_P12ihipStream_tbENKUlT_T0_E_clISt17integral_constantIbLb1EESY_EEDaST_SU_EUlST_E_NS1_11comp_targetILNS1_3genE8ELNS1_11target_archE1030ELNS1_3gpuE2ELNS1_3repE0EEENS1_30default_config_static_selectorELNS0_4arch9wavefront6targetE0EEEvT1_,comdat
	.protected	_ZN7rocprim17ROCPRIM_400000_NS6detail17trampoline_kernelINS0_14default_configENS1_27scan_by_key_config_selectorIssEEZZNS1_16scan_by_key_implILNS1_25lookback_scan_determinismE0ELb0ES3_N6thrust23THRUST_200600_302600_NS6detail15normal_iteratorINS9_10device_ptrIsEEEESE_SE_sNS9_4plusIsEE19head_flag_predicatesEE10hipError_tPvRmT2_T3_T4_T5_mT6_T7_P12ihipStream_tbENKUlT_T0_E_clISt17integral_constantIbLb1EESY_EEDaST_SU_EUlST_E_NS1_11comp_targetILNS1_3genE8ELNS1_11target_archE1030ELNS1_3gpuE2ELNS1_3repE0EEENS1_30default_config_static_selectorELNS0_4arch9wavefront6targetE0EEEvT1_ ; -- Begin function _ZN7rocprim17ROCPRIM_400000_NS6detail17trampoline_kernelINS0_14default_configENS1_27scan_by_key_config_selectorIssEEZZNS1_16scan_by_key_implILNS1_25lookback_scan_determinismE0ELb0ES3_N6thrust23THRUST_200600_302600_NS6detail15normal_iteratorINS9_10device_ptrIsEEEESE_SE_sNS9_4plusIsEE19head_flag_predicatesEE10hipError_tPvRmT2_T3_T4_T5_mT6_T7_P12ihipStream_tbENKUlT_T0_E_clISt17integral_constantIbLb1EESY_EEDaST_SU_EUlST_E_NS1_11comp_targetILNS1_3genE8ELNS1_11target_archE1030ELNS1_3gpuE2ELNS1_3repE0EEENS1_30default_config_static_selectorELNS0_4arch9wavefront6targetE0EEEvT1_
	.globl	_ZN7rocprim17ROCPRIM_400000_NS6detail17trampoline_kernelINS0_14default_configENS1_27scan_by_key_config_selectorIssEEZZNS1_16scan_by_key_implILNS1_25lookback_scan_determinismE0ELb0ES3_N6thrust23THRUST_200600_302600_NS6detail15normal_iteratorINS9_10device_ptrIsEEEESE_SE_sNS9_4plusIsEE19head_flag_predicatesEE10hipError_tPvRmT2_T3_T4_T5_mT6_T7_P12ihipStream_tbENKUlT_T0_E_clISt17integral_constantIbLb1EESY_EEDaST_SU_EUlST_E_NS1_11comp_targetILNS1_3genE8ELNS1_11target_archE1030ELNS1_3gpuE2ELNS1_3repE0EEENS1_30default_config_static_selectorELNS0_4arch9wavefront6targetE0EEEvT1_
	.p2align	8
	.type	_ZN7rocprim17ROCPRIM_400000_NS6detail17trampoline_kernelINS0_14default_configENS1_27scan_by_key_config_selectorIssEEZZNS1_16scan_by_key_implILNS1_25lookback_scan_determinismE0ELb0ES3_N6thrust23THRUST_200600_302600_NS6detail15normal_iteratorINS9_10device_ptrIsEEEESE_SE_sNS9_4plusIsEE19head_flag_predicatesEE10hipError_tPvRmT2_T3_T4_T5_mT6_T7_P12ihipStream_tbENKUlT_T0_E_clISt17integral_constantIbLb1EESY_EEDaST_SU_EUlST_E_NS1_11comp_targetILNS1_3genE8ELNS1_11target_archE1030ELNS1_3gpuE2ELNS1_3repE0EEENS1_30default_config_static_selectorELNS0_4arch9wavefront6targetE0EEEvT1_,@function
_ZN7rocprim17ROCPRIM_400000_NS6detail17trampoline_kernelINS0_14default_configENS1_27scan_by_key_config_selectorIssEEZZNS1_16scan_by_key_implILNS1_25lookback_scan_determinismE0ELb0ES3_N6thrust23THRUST_200600_302600_NS6detail15normal_iteratorINS9_10device_ptrIsEEEESE_SE_sNS9_4plusIsEE19head_flag_predicatesEE10hipError_tPvRmT2_T3_T4_T5_mT6_T7_P12ihipStream_tbENKUlT_T0_E_clISt17integral_constantIbLb1EESY_EEDaST_SU_EUlST_E_NS1_11comp_targetILNS1_3genE8ELNS1_11target_archE1030ELNS1_3gpuE2ELNS1_3repE0EEENS1_30default_config_static_selectorELNS0_4arch9wavefront6targetE0EEEvT1_: ; @_ZN7rocprim17ROCPRIM_400000_NS6detail17trampoline_kernelINS0_14default_configENS1_27scan_by_key_config_selectorIssEEZZNS1_16scan_by_key_implILNS1_25lookback_scan_determinismE0ELb0ES3_N6thrust23THRUST_200600_302600_NS6detail15normal_iteratorINS9_10device_ptrIsEEEESE_SE_sNS9_4plusIsEE19head_flag_predicatesEE10hipError_tPvRmT2_T3_T4_T5_mT6_T7_P12ihipStream_tbENKUlT_T0_E_clISt17integral_constantIbLb1EESY_EEDaST_SU_EUlST_E_NS1_11comp_targetILNS1_3genE8ELNS1_11target_archE1030ELNS1_3gpuE2ELNS1_3repE0EEENS1_30default_config_static_selectorELNS0_4arch9wavefront6targetE0EEEvT1_
; %bb.0:
	s_endpgm
	.section	.rodata,"a",@progbits
	.p2align	6, 0x0
	.amdhsa_kernel _ZN7rocprim17ROCPRIM_400000_NS6detail17trampoline_kernelINS0_14default_configENS1_27scan_by_key_config_selectorIssEEZZNS1_16scan_by_key_implILNS1_25lookback_scan_determinismE0ELb0ES3_N6thrust23THRUST_200600_302600_NS6detail15normal_iteratorINS9_10device_ptrIsEEEESE_SE_sNS9_4plusIsEE19head_flag_predicatesEE10hipError_tPvRmT2_T3_T4_T5_mT6_T7_P12ihipStream_tbENKUlT_T0_E_clISt17integral_constantIbLb1EESY_EEDaST_SU_EUlST_E_NS1_11comp_targetILNS1_3genE8ELNS1_11target_archE1030ELNS1_3gpuE2ELNS1_3repE0EEENS1_30default_config_static_selectorELNS0_4arch9wavefront6targetE0EEEvT1_
		.amdhsa_group_segment_fixed_size 0
		.amdhsa_private_segment_fixed_size 0
		.amdhsa_kernarg_size 112
		.amdhsa_user_sgpr_count 6
		.amdhsa_user_sgpr_private_segment_buffer 1
		.amdhsa_user_sgpr_dispatch_ptr 0
		.amdhsa_user_sgpr_queue_ptr 0
		.amdhsa_user_sgpr_kernarg_segment_ptr 1
		.amdhsa_user_sgpr_dispatch_id 0
		.amdhsa_user_sgpr_flat_scratch_init 0
		.amdhsa_user_sgpr_private_segment_size 0
		.amdhsa_wavefront_size32 1
		.amdhsa_uses_dynamic_stack 0
		.amdhsa_system_sgpr_private_segment_wavefront_offset 0
		.amdhsa_system_sgpr_workgroup_id_x 1
		.amdhsa_system_sgpr_workgroup_id_y 0
		.amdhsa_system_sgpr_workgroup_id_z 0
		.amdhsa_system_sgpr_workgroup_info 0
		.amdhsa_system_vgpr_workitem_id 0
		.amdhsa_next_free_vgpr 1
		.amdhsa_next_free_sgpr 1
		.amdhsa_reserve_vcc 0
		.amdhsa_reserve_flat_scratch 0
		.amdhsa_float_round_mode_32 0
		.amdhsa_float_round_mode_16_64 0
		.amdhsa_float_denorm_mode_32 3
		.amdhsa_float_denorm_mode_16_64 3
		.amdhsa_dx10_clamp 1
		.amdhsa_ieee_mode 1
		.amdhsa_fp16_overflow 0
		.amdhsa_workgroup_processor_mode 1
		.amdhsa_memory_ordered 1
		.amdhsa_forward_progress 1
		.amdhsa_shared_vgpr_count 0
		.amdhsa_exception_fp_ieee_invalid_op 0
		.amdhsa_exception_fp_denorm_src 0
		.amdhsa_exception_fp_ieee_div_zero 0
		.amdhsa_exception_fp_ieee_overflow 0
		.amdhsa_exception_fp_ieee_underflow 0
		.amdhsa_exception_fp_ieee_inexact 0
		.amdhsa_exception_int_div_zero 0
	.end_amdhsa_kernel
	.section	.text._ZN7rocprim17ROCPRIM_400000_NS6detail17trampoline_kernelINS0_14default_configENS1_27scan_by_key_config_selectorIssEEZZNS1_16scan_by_key_implILNS1_25lookback_scan_determinismE0ELb0ES3_N6thrust23THRUST_200600_302600_NS6detail15normal_iteratorINS9_10device_ptrIsEEEESE_SE_sNS9_4plusIsEE19head_flag_predicatesEE10hipError_tPvRmT2_T3_T4_T5_mT6_T7_P12ihipStream_tbENKUlT_T0_E_clISt17integral_constantIbLb1EESY_EEDaST_SU_EUlST_E_NS1_11comp_targetILNS1_3genE8ELNS1_11target_archE1030ELNS1_3gpuE2ELNS1_3repE0EEENS1_30default_config_static_selectorELNS0_4arch9wavefront6targetE0EEEvT1_,"axG",@progbits,_ZN7rocprim17ROCPRIM_400000_NS6detail17trampoline_kernelINS0_14default_configENS1_27scan_by_key_config_selectorIssEEZZNS1_16scan_by_key_implILNS1_25lookback_scan_determinismE0ELb0ES3_N6thrust23THRUST_200600_302600_NS6detail15normal_iteratorINS9_10device_ptrIsEEEESE_SE_sNS9_4plusIsEE19head_flag_predicatesEE10hipError_tPvRmT2_T3_T4_T5_mT6_T7_P12ihipStream_tbENKUlT_T0_E_clISt17integral_constantIbLb1EESY_EEDaST_SU_EUlST_E_NS1_11comp_targetILNS1_3genE8ELNS1_11target_archE1030ELNS1_3gpuE2ELNS1_3repE0EEENS1_30default_config_static_selectorELNS0_4arch9wavefront6targetE0EEEvT1_,comdat
.Lfunc_end838:
	.size	_ZN7rocprim17ROCPRIM_400000_NS6detail17trampoline_kernelINS0_14default_configENS1_27scan_by_key_config_selectorIssEEZZNS1_16scan_by_key_implILNS1_25lookback_scan_determinismE0ELb0ES3_N6thrust23THRUST_200600_302600_NS6detail15normal_iteratorINS9_10device_ptrIsEEEESE_SE_sNS9_4plusIsEE19head_flag_predicatesEE10hipError_tPvRmT2_T3_T4_T5_mT6_T7_P12ihipStream_tbENKUlT_T0_E_clISt17integral_constantIbLb1EESY_EEDaST_SU_EUlST_E_NS1_11comp_targetILNS1_3genE8ELNS1_11target_archE1030ELNS1_3gpuE2ELNS1_3repE0EEENS1_30default_config_static_selectorELNS0_4arch9wavefront6targetE0EEEvT1_, .Lfunc_end838-_ZN7rocprim17ROCPRIM_400000_NS6detail17trampoline_kernelINS0_14default_configENS1_27scan_by_key_config_selectorIssEEZZNS1_16scan_by_key_implILNS1_25lookback_scan_determinismE0ELb0ES3_N6thrust23THRUST_200600_302600_NS6detail15normal_iteratorINS9_10device_ptrIsEEEESE_SE_sNS9_4plusIsEE19head_flag_predicatesEE10hipError_tPvRmT2_T3_T4_T5_mT6_T7_P12ihipStream_tbENKUlT_T0_E_clISt17integral_constantIbLb1EESY_EEDaST_SU_EUlST_E_NS1_11comp_targetILNS1_3genE8ELNS1_11target_archE1030ELNS1_3gpuE2ELNS1_3repE0EEENS1_30default_config_static_selectorELNS0_4arch9wavefront6targetE0EEEvT1_
                                        ; -- End function
	.set _ZN7rocprim17ROCPRIM_400000_NS6detail17trampoline_kernelINS0_14default_configENS1_27scan_by_key_config_selectorIssEEZZNS1_16scan_by_key_implILNS1_25lookback_scan_determinismE0ELb0ES3_N6thrust23THRUST_200600_302600_NS6detail15normal_iteratorINS9_10device_ptrIsEEEESE_SE_sNS9_4plusIsEE19head_flag_predicatesEE10hipError_tPvRmT2_T3_T4_T5_mT6_T7_P12ihipStream_tbENKUlT_T0_E_clISt17integral_constantIbLb1EESY_EEDaST_SU_EUlST_E_NS1_11comp_targetILNS1_3genE8ELNS1_11target_archE1030ELNS1_3gpuE2ELNS1_3repE0EEENS1_30default_config_static_selectorELNS0_4arch9wavefront6targetE0EEEvT1_.num_vgpr, 0
	.set _ZN7rocprim17ROCPRIM_400000_NS6detail17trampoline_kernelINS0_14default_configENS1_27scan_by_key_config_selectorIssEEZZNS1_16scan_by_key_implILNS1_25lookback_scan_determinismE0ELb0ES3_N6thrust23THRUST_200600_302600_NS6detail15normal_iteratorINS9_10device_ptrIsEEEESE_SE_sNS9_4plusIsEE19head_flag_predicatesEE10hipError_tPvRmT2_T3_T4_T5_mT6_T7_P12ihipStream_tbENKUlT_T0_E_clISt17integral_constantIbLb1EESY_EEDaST_SU_EUlST_E_NS1_11comp_targetILNS1_3genE8ELNS1_11target_archE1030ELNS1_3gpuE2ELNS1_3repE0EEENS1_30default_config_static_selectorELNS0_4arch9wavefront6targetE0EEEvT1_.num_agpr, 0
	.set _ZN7rocprim17ROCPRIM_400000_NS6detail17trampoline_kernelINS0_14default_configENS1_27scan_by_key_config_selectorIssEEZZNS1_16scan_by_key_implILNS1_25lookback_scan_determinismE0ELb0ES3_N6thrust23THRUST_200600_302600_NS6detail15normal_iteratorINS9_10device_ptrIsEEEESE_SE_sNS9_4plusIsEE19head_flag_predicatesEE10hipError_tPvRmT2_T3_T4_T5_mT6_T7_P12ihipStream_tbENKUlT_T0_E_clISt17integral_constantIbLb1EESY_EEDaST_SU_EUlST_E_NS1_11comp_targetILNS1_3genE8ELNS1_11target_archE1030ELNS1_3gpuE2ELNS1_3repE0EEENS1_30default_config_static_selectorELNS0_4arch9wavefront6targetE0EEEvT1_.numbered_sgpr, 0
	.set _ZN7rocprim17ROCPRIM_400000_NS6detail17trampoline_kernelINS0_14default_configENS1_27scan_by_key_config_selectorIssEEZZNS1_16scan_by_key_implILNS1_25lookback_scan_determinismE0ELb0ES3_N6thrust23THRUST_200600_302600_NS6detail15normal_iteratorINS9_10device_ptrIsEEEESE_SE_sNS9_4plusIsEE19head_flag_predicatesEE10hipError_tPvRmT2_T3_T4_T5_mT6_T7_P12ihipStream_tbENKUlT_T0_E_clISt17integral_constantIbLb1EESY_EEDaST_SU_EUlST_E_NS1_11comp_targetILNS1_3genE8ELNS1_11target_archE1030ELNS1_3gpuE2ELNS1_3repE0EEENS1_30default_config_static_selectorELNS0_4arch9wavefront6targetE0EEEvT1_.num_named_barrier, 0
	.set _ZN7rocprim17ROCPRIM_400000_NS6detail17trampoline_kernelINS0_14default_configENS1_27scan_by_key_config_selectorIssEEZZNS1_16scan_by_key_implILNS1_25lookback_scan_determinismE0ELb0ES3_N6thrust23THRUST_200600_302600_NS6detail15normal_iteratorINS9_10device_ptrIsEEEESE_SE_sNS9_4plusIsEE19head_flag_predicatesEE10hipError_tPvRmT2_T3_T4_T5_mT6_T7_P12ihipStream_tbENKUlT_T0_E_clISt17integral_constantIbLb1EESY_EEDaST_SU_EUlST_E_NS1_11comp_targetILNS1_3genE8ELNS1_11target_archE1030ELNS1_3gpuE2ELNS1_3repE0EEENS1_30default_config_static_selectorELNS0_4arch9wavefront6targetE0EEEvT1_.private_seg_size, 0
	.set _ZN7rocprim17ROCPRIM_400000_NS6detail17trampoline_kernelINS0_14default_configENS1_27scan_by_key_config_selectorIssEEZZNS1_16scan_by_key_implILNS1_25lookback_scan_determinismE0ELb0ES3_N6thrust23THRUST_200600_302600_NS6detail15normal_iteratorINS9_10device_ptrIsEEEESE_SE_sNS9_4plusIsEE19head_flag_predicatesEE10hipError_tPvRmT2_T3_T4_T5_mT6_T7_P12ihipStream_tbENKUlT_T0_E_clISt17integral_constantIbLb1EESY_EEDaST_SU_EUlST_E_NS1_11comp_targetILNS1_3genE8ELNS1_11target_archE1030ELNS1_3gpuE2ELNS1_3repE0EEENS1_30default_config_static_selectorELNS0_4arch9wavefront6targetE0EEEvT1_.uses_vcc, 0
	.set _ZN7rocprim17ROCPRIM_400000_NS6detail17trampoline_kernelINS0_14default_configENS1_27scan_by_key_config_selectorIssEEZZNS1_16scan_by_key_implILNS1_25lookback_scan_determinismE0ELb0ES3_N6thrust23THRUST_200600_302600_NS6detail15normal_iteratorINS9_10device_ptrIsEEEESE_SE_sNS9_4plusIsEE19head_flag_predicatesEE10hipError_tPvRmT2_T3_T4_T5_mT6_T7_P12ihipStream_tbENKUlT_T0_E_clISt17integral_constantIbLb1EESY_EEDaST_SU_EUlST_E_NS1_11comp_targetILNS1_3genE8ELNS1_11target_archE1030ELNS1_3gpuE2ELNS1_3repE0EEENS1_30default_config_static_selectorELNS0_4arch9wavefront6targetE0EEEvT1_.uses_flat_scratch, 0
	.set _ZN7rocprim17ROCPRIM_400000_NS6detail17trampoline_kernelINS0_14default_configENS1_27scan_by_key_config_selectorIssEEZZNS1_16scan_by_key_implILNS1_25lookback_scan_determinismE0ELb0ES3_N6thrust23THRUST_200600_302600_NS6detail15normal_iteratorINS9_10device_ptrIsEEEESE_SE_sNS9_4plusIsEE19head_flag_predicatesEE10hipError_tPvRmT2_T3_T4_T5_mT6_T7_P12ihipStream_tbENKUlT_T0_E_clISt17integral_constantIbLb1EESY_EEDaST_SU_EUlST_E_NS1_11comp_targetILNS1_3genE8ELNS1_11target_archE1030ELNS1_3gpuE2ELNS1_3repE0EEENS1_30default_config_static_selectorELNS0_4arch9wavefront6targetE0EEEvT1_.has_dyn_sized_stack, 0
	.set _ZN7rocprim17ROCPRIM_400000_NS6detail17trampoline_kernelINS0_14default_configENS1_27scan_by_key_config_selectorIssEEZZNS1_16scan_by_key_implILNS1_25lookback_scan_determinismE0ELb0ES3_N6thrust23THRUST_200600_302600_NS6detail15normal_iteratorINS9_10device_ptrIsEEEESE_SE_sNS9_4plusIsEE19head_flag_predicatesEE10hipError_tPvRmT2_T3_T4_T5_mT6_T7_P12ihipStream_tbENKUlT_T0_E_clISt17integral_constantIbLb1EESY_EEDaST_SU_EUlST_E_NS1_11comp_targetILNS1_3genE8ELNS1_11target_archE1030ELNS1_3gpuE2ELNS1_3repE0EEENS1_30default_config_static_selectorELNS0_4arch9wavefront6targetE0EEEvT1_.has_recursion, 0
	.set _ZN7rocprim17ROCPRIM_400000_NS6detail17trampoline_kernelINS0_14default_configENS1_27scan_by_key_config_selectorIssEEZZNS1_16scan_by_key_implILNS1_25lookback_scan_determinismE0ELb0ES3_N6thrust23THRUST_200600_302600_NS6detail15normal_iteratorINS9_10device_ptrIsEEEESE_SE_sNS9_4plusIsEE19head_flag_predicatesEE10hipError_tPvRmT2_T3_T4_T5_mT6_T7_P12ihipStream_tbENKUlT_T0_E_clISt17integral_constantIbLb1EESY_EEDaST_SU_EUlST_E_NS1_11comp_targetILNS1_3genE8ELNS1_11target_archE1030ELNS1_3gpuE2ELNS1_3repE0EEENS1_30default_config_static_selectorELNS0_4arch9wavefront6targetE0EEEvT1_.has_indirect_call, 0
	.section	.AMDGPU.csdata,"",@progbits
; Kernel info:
; codeLenInByte = 4
; TotalNumSgprs: 0
; NumVgprs: 0
; ScratchSize: 0
; MemoryBound: 0
; FloatMode: 240
; IeeeMode: 1
; LDSByteSize: 0 bytes/workgroup (compile time only)
; SGPRBlocks: 0
; VGPRBlocks: 0
; NumSGPRsForWavesPerEU: 1
; NumVGPRsForWavesPerEU: 1
; Occupancy: 16
; WaveLimiterHint : 0
; COMPUTE_PGM_RSRC2:SCRATCH_EN: 0
; COMPUTE_PGM_RSRC2:USER_SGPR: 6
; COMPUTE_PGM_RSRC2:TRAP_HANDLER: 0
; COMPUTE_PGM_RSRC2:TGID_X_EN: 1
; COMPUTE_PGM_RSRC2:TGID_Y_EN: 0
; COMPUTE_PGM_RSRC2:TGID_Z_EN: 0
; COMPUTE_PGM_RSRC2:TIDIG_COMP_CNT: 0
	.section	.text._ZN7rocprim17ROCPRIM_400000_NS6detail17trampoline_kernelINS0_14default_configENS1_27scan_by_key_config_selectorIssEEZZNS1_16scan_by_key_implILNS1_25lookback_scan_determinismE0ELb0ES3_N6thrust23THRUST_200600_302600_NS6detail15normal_iteratorINS9_10device_ptrIsEEEESE_SE_sNS9_4plusIsEE19head_flag_predicatesEE10hipError_tPvRmT2_T3_T4_T5_mT6_T7_P12ihipStream_tbENKUlT_T0_E_clISt17integral_constantIbLb1EESX_IbLb0EEEEDaST_SU_EUlST_E_NS1_11comp_targetILNS1_3genE0ELNS1_11target_archE4294967295ELNS1_3gpuE0ELNS1_3repE0EEENS1_30default_config_static_selectorELNS0_4arch9wavefront6targetE0EEEvT1_,"axG",@progbits,_ZN7rocprim17ROCPRIM_400000_NS6detail17trampoline_kernelINS0_14default_configENS1_27scan_by_key_config_selectorIssEEZZNS1_16scan_by_key_implILNS1_25lookback_scan_determinismE0ELb0ES3_N6thrust23THRUST_200600_302600_NS6detail15normal_iteratorINS9_10device_ptrIsEEEESE_SE_sNS9_4plusIsEE19head_flag_predicatesEE10hipError_tPvRmT2_T3_T4_T5_mT6_T7_P12ihipStream_tbENKUlT_T0_E_clISt17integral_constantIbLb1EESX_IbLb0EEEEDaST_SU_EUlST_E_NS1_11comp_targetILNS1_3genE0ELNS1_11target_archE4294967295ELNS1_3gpuE0ELNS1_3repE0EEENS1_30default_config_static_selectorELNS0_4arch9wavefront6targetE0EEEvT1_,comdat
	.protected	_ZN7rocprim17ROCPRIM_400000_NS6detail17trampoline_kernelINS0_14default_configENS1_27scan_by_key_config_selectorIssEEZZNS1_16scan_by_key_implILNS1_25lookback_scan_determinismE0ELb0ES3_N6thrust23THRUST_200600_302600_NS6detail15normal_iteratorINS9_10device_ptrIsEEEESE_SE_sNS9_4plusIsEE19head_flag_predicatesEE10hipError_tPvRmT2_T3_T4_T5_mT6_T7_P12ihipStream_tbENKUlT_T0_E_clISt17integral_constantIbLb1EESX_IbLb0EEEEDaST_SU_EUlST_E_NS1_11comp_targetILNS1_3genE0ELNS1_11target_archE4294967295ELNS1_3gpuE0ELNS1_3repE0EEENS1_30default_config_static_selectorELNS0_4arch9wavefront6targetE0EEEvT1_ ; -- Begin function _ZN7rocprim17ROCPRIM_400000_NS6detail17trampoline_kernelINS0_14default_configENS1_27scan_by_key_config_selectorIssEEZZNS1_16scan_by_key_implILNS1_25lookback_scan_determinismE0ELb0ES3_N6thrust23THRUST_200600_302600_NS6detail15normal_iteratorINS9_10device_ptrIsEEEESE_SE_sNS9_4plusIsEE19head_flag_predicatesEE10hipError_tPvRmT2_T3_T4_T5_mT6_T7_P12ihipStream_tbENKUlT_T0_E_clISt17integral_constantIbLb1EESX_IbLb0EEEEDaST_SU_EUlST_E_NS1_11comp_targetILNS1_3genE0ELNS1_11target_archE4294967295ELNS1_3gpuE0ELNS1_3repE0EEENS1_30default_config_static_selectorELNS0_4arch9wavefront6targetE0EEEvT1_
	.globl	_ZN7rocprim17ROCPRIM_400000_NS6detail17trampoline_kernelINS0_14default_configENS1_27scan_by_key_config_selectorIssEEZZNS1_16scan_by_key_implILNS1_25lookback_scan_determinismE0ELb0ES3_N6thrust23THRUST_200600_302600_NS6detail15normal_iteratorINS9_10device_ptrIsEEEESE_SE_sNS9_4plusIsEE19head_flag_predicatesEE10hipError_tPvRmT2_T3_T4_T5_mT6_T7_P12ihipStream_tbENKUlT_T0_E_clISt17integral_constantIbLb1EESX_IbLb0EEEEDaST_SU_EUlST_E_NS1_11comp_targetILNS1_3genE0ELNS1_11target_archE4294967295ELNS1_3gpuE0ELNS1_3repE0EEENS1_30default_config_static_selectorELNS0_4arch9wavefront6targetE0EEEvT1_
	.p2align	8
	.type	_ZN7rocprim17ROCPRIM_400000_NS6detail17trampoline_kernelINS0_14default_configENS1_27scan_by_key_config_selectorIssEEZZNS1_16scan_by_key_implILNS1_25lookback_scan_determinismE0ELb0ES3_N6thrust23THRUST_200600_302600_NS6detail15normal_iteratorINS9_10device_ptrIsEEEESE_SE_sNS9_4plusIsEE19head_flag_predicatesEE10hipError_tPvRmT2_T3_T4_T5_mT6_T7_P12ihipStream_tbENKUlT_T0_E_clISt17integral_constantIbLb1EESX_IbLb0EEEEDaST_SU_EUlST_E_NS1_11comp_targetILNS1_3genE0ELNS1_11target_archE4294967295ELNS1_3gpuE0ELNS1_3repE0EEENS1_30default_config_static_selectorELNS0_4arch9wavefront6targetE0EEEvT1_,@function
_ZN7rocprim17ROCPRIM_400000_NS6detail17trampoline_kernelINS0_14default_configENS1_27scan_by_key_config_selectorIssEEZZNS1_16scan_by_key_implILNS1_25lookback_scan_determinismE0ELb0ES3_N6thrust23THRUST_200600_302600_NS6detail15normal_iteratorINS9_10device_ptrIsEEEESE_SE_sNS9_4plusIsEE19head_flag_predicatesEE10hipError_tPvRmT2_T3_T4_T5_mT6_T7_P12ihipStream_tbENKUlT_T0_E_clISt17integral_constantIbLb1EESX_IbLb0EEEEDaST_SU_EUlST_E_NS1_11comp_targetILNS1_3genE0ELNS1_11target_archE4294967295ELNS1_3gpuE0ELNS1_3repE0EEENS1_30default_config_static_selectorELNS0_4arch9wavefront6targetE0EEEvT1_: ; @_ZN7rocprim17ROCPRIM_400000_NS6detail17trampoline_kernelINS0_14default_configENS1_27scan_by_key_config_selectorIssEEZZNS1_16scan_by_key_implILNS1_25lookback_scan_determinismE0ELb0ES3_N6thrust23THRUST_200600_302600_NS6detail15normal_iteratorINS9_10device_ptrIsEEEESE_SE_sNS9_4plusIsEE19head_flag_predicatesEE10hipError_tPvRmT2_T3_T4_T5_mT6_T7_P12ihipStream_tbENKUlT_T0_E_clISt17integral_constantIbLb1EESX_IbLb0EEEEDaST_SU_EUlST_E_NS1_11comp_targetILNS1_3genE0ELNS1_11target_archE4294967295ELNS1_3gpuE0ELNS1_3repE0EEENS1_30default_config_static_selectorELNS0_4arch9wavefront6targetE0EEEvT1_
; %bb.0:
	.section	.rodata,"a",@progbits
	.p2align	6, 0x0
	.amdhsa_kernel _ZN7rocprim17ROCPRIM_400000_NS6detail17trampoline_kernelINS0_14default_configENS1_27scan_by_key_config_selectorIssEEZZNS1_16scan_by_key_implILNS1_25lookback_scan_determinismE0ELb0ES3_N6thrust23THRUST_200600_302600_NS6detail15normal_iteratorINS9_10device_ptrIsEEEESE_SE_sNS9_4plusIsEE19head_flag_predicatesEE10hipError_tPvRmT2_T3_T4_T5_mT6_T7_P12ihipStream_tbENKUlT_T0_E_clISt17integral_constantIbLb1EESX_IbLb0EEEEDaST_SU_EUlST_E_NS1_11comp_targetILNS1_3genE0ELNS1_11target_archE4294967295ELNS1_3gpuE0ELNS1_3repE0EEENS1_30default_config_static_selectorELNS0_4arch9wavefront6targetE0EEEvT1_
		.amdhsa_group_segment_fixed_size 0
		.amdhsa_private_segment_fixed_size 0
		.amdhsa_kernarg_size 112
		.amdhsa_user_sgpr_count 6
		.amdhsa_user_sgpr_private_segment_buffer 1
		.amdhsa_user_sgpr_dispatch_ptr 0
		.amdhsa_user_sgpr_queue_ptr 0
		.amdhsa_user_sgpr_kernarg_segment_ptr 1
		.amdhsa_user_sgpr_dispatch_id 0
		.amdhsa_user_sgpr_flat_scratch_init 0
		.amdhsa_user_sgpr_private_segment_size 0
		.amdhsa_wavefront_size32 1
		.amdhsa_uses_dynamic_stack 0
		.amdhsa_system_sgpr_private_segment_wavefront_offset 0
		.amdhsa_system_sgpr_workgroup_id_x 1
		.amdhsa_system_sgpr_workgroup_id_y 0
		.amdhsa_system_sgpr_workgroup_id_z 0
		.amdhsa_system_sgpr_workgroup_info 0
		.amdhsa_system_vgpr_workitem_id 0
		.amdhsa_next_free_vgpr 1
		.amdhsa_next_free_sgpr 1
		.amdhsa_reserve_vcc 0
		.amdhsa_reserve_flat_scratch 0
		.amdhsa_float_round_mode_32 0
		.amdhsa_float_round_mode_16_64 0
		.amdhsa_float_denorm_mode_32 3
		.amdhsa_float_denorm_mode_16_64 3
		.amdhsa_dx10_clamp 1
		.amdhsa_ieee_mode 1
		.amdhsa_fp16_overflow 0
		.amdhsa_workgroup_processor_mode 1
		.amdhsa_memory_ordered 1
		.amdhsa_forward_progress 1
		.amdhsa_shared_vgpr_count 0
		.amdhsa_exception_fp_ieee_invalid_op 0
		.amdhsa_exception_fp_denorm_src 0
		.amdhsa_exception_fp_ieee_div_zero 0
		.amdhsa_exception_fp_ieee_overflow 0
		.amdhsa_exception_fp_ieee_underflow 0
		.amdhsa_exception_fp_ieee_inexact 0
		.amdhsa_exception_int_div_zero 0
	.end_amdhsa_kernel
	.section	.text._ZN7rocprim17ROCPRIM_400000_NS6detail17trampoline_kernelINS0_14default_configENS1_27scan_by_key_config_selectorIssEEZZNS1_16scan_by_key_implILNS1_25lookback_scan_determinismE0ELb0ES3_N6thrust23THRUST_200600_302600_NS6detail15normal_iteratorINS9_10device_ptrIsEEEESE_SE_sNS9_4plusIsEE19head_flag_predicatesEE10hipError_tPvRmT2_T3_T4_T5_mT6_T7_P12ihipStream_tbENKUlT_T0_E_clISt17integral_constantIbLb1EESX_IbLb0EEEEDaST_SU_EUlST_E_NS1_11comp_targetILNS1_3genE0ELNS1_11target_archE4294967295ELNS1_3gpuE0ELNS1_3repE0EEENS1_30default_config_static_selectorELNS0_4arch9wavefront6targetE0EEEvT1_,"axG",@progbits,_ZN7rocprim17ROCPRIM_400000_NS6detail17trampoline_kernelINS0_14default_configENS1_27scan_by_key_config_selectorIssEEZZNS1_16scan_by_key_implILNS1_25lookback_scan_determinismE0ELb0ES3_N6thrust23THRUST_200600_302600_NS6detail15normal_iteratorINS9_10device_ptrIsEEEESE_SE_sNS9_4plusIsEE19head_flag_predicatesEE10hipError_tPvRmT2_T3_T4_T5_mT6_T7_P12ihipStream_tbENKUlT_T0_E_clISt17integral_constantIbLb1EESX_IbLb0EEEEDaST_SU_EUlST_E_NS1_11comp_targetILNS1_3genE0ELNS1_11target_archE4294967295ELNS1_3gpuE0ELNS1_3repE0EEENS1_30default_config_static_selectorELNS0_4arch9wavefront6targetE0EEEvT1_,comdat
.Lfunc_end839:
	.size	_ZN7rocprim17ROCPRIM_400000_NS6detail17trampoline_kernelINS0_14default_configENS1_27scan_by_key_config_selectorIssEEZZNS1_16scan_by_key_implILNS1_25lookback_scan_determinismE0ELb0ES3_N6thrust23THRUST_200600_302600_NS6detail15normal_iteratorINS9_10device_ptrIsEEEESE_SE_sNS9_4plusIsEE19head_flag_predicatesEE10hipError_tPvRmT2_T3_T4_T5_mT6_T7_P12ihipStream_tbENKUlT_T0_E_clISt17integral_constantIbLb1EESX_IbLb0EEEEDaST_SU_EUlST_E_NS1_11comp_targetILNS1_3genE0ELNS1_11target_archE4294967295ELNS1_3gpuE0ELNS1_3repE0EEENS1_30default_config_static_selectorELNS0_4arch9wavefront6targetE0EEEvT1_, .Lfunc_end839-_ZN7rocprim17ROCPRIM_400000_NS6detail17trampoline_kernelINS0_14default_configENS1_27scan_by_key_config_selectorIssEEZZNS1_16scan_by_key_implILNS1_25lookback_scan_determinismE0ELb0ES3_N6thrust23THRUST_200600_302600_NS6detail15normal_iteratorINS9_10device_ptrIsEEEESE_SE_sNS9_4plusIsEE19head_flag_predicatesEE10hipError_tPvRmT2_T3_T4_T5_mT6_T7_P12ihipStream_tbENKUlT_T0_E_clISt17integral_constantIbLb1EESX_IbLb0EEEEDaST_SU_EUlST_E_NS1_11comp_targetILNS1_3genE0ELNS1_11target_archE4294967295ELNS1_3gpuE0ELNS1_3repE0EEENS1_30default_config_static_selectorELNS0_4arch9wavefront6targetE0EEEvT1_
                                        ; -- End function
	.set _ZN7rocprim17ROCPRIM_400000_NS6detail17trampoline_kernelINS0_14default_configENS1_27scan_by_key_config_selectorIssEEZZNS1_16scan_by_key_implILNS1_25lookback_scan_determinismE0ELb0ES3_N6thrust23THRUST_200600_302600_NS6detail15normal_iteratorINS9_10device_ptrIsEEEESE_SE_sNS9_4plusIsEE19head_flag_predicatesEE10hipError_tPvRmT2_T3_T4_T5_mT6_T7_P12ihipStream_tbENKUlT_T0_E_clISt17integral_constantIbLb1EESX_IbLb0EEEEDaST_SU_EUlST_E_NS1_11comp_targetILNS1_3genE0ELNS1_11target_archE4294967295ELNS1_3gpuE0ELNS1_3repE0EEENS1_30default_config_static_selectorELNS0_4arch9wavefront6targetE0EEEvT1_.num_vgpr, 0
	.set _ZN7rocprim17ROCPRIM_400000_NS6detail17trampoline_kernelINS0_14default_configENS1_27scan_by_key_config_selectorIssEEZZNS1_16scan_by_key_implILNS1_25lookback_scan_determinismE0ELb0ES3_N6thrust23THRUST_200600_302600_NS6detail15normal_iteratorINS9_10device_ptrIsEEEESE_SE_sNS9_4plusIsEE19head_flag_predicatesEE10hipError_tPvRmT2_T3_T4_T5_mT6_T7_P12ihipStream_tbENKUlT_T0_E_clISt17integral_constantIbLb1EESX_IbLb0EEEEDaST_SU_EUlST_E_NS1_11comp_targetILNS1_3genE0ELNS1_11target_archE4294967295ELNS1_3gpuE0ELNS1_3repE0EEENS1_30default_config_static_selectorELNS0_4arch9wavefront6targetE0EEEvT1_.num_agpr, 0
	.set _ZN7rocprim17ROCPRIM_400000_NS6detail17trampoline_kernelINS0_14default_configENS1_27scan_by_key_config_selectorIssEEZZNS1_16scan_by_key_implILNS1_25lookback_scan_determinismE0ELb0ES3_N6thrust23THRUST_200600_302600_NS6detail15normal_iteratorINS9_10device_ptrIsEEEESE_SE_sNS9_4plusIsEE19head_flag_predicatesEE10hipError_tPvRmT2_T3_T4_T5_mT6_T7_P12ihipStream_tbENKUlT_T0_E_clISt17integral_constantIbLb1EESX_IbLb0EEEEDaST_SU_EUlST_E_NS1_11comp_targetILNS1_3genE0ELNS1_11target_archE4294967295ELNS1_3gpuE0ELNS1_3repE0EEENS1_30default_config_static_selectorELNS0_4arch9wavefront6targetE0EEEvT1_.numbered_sgpr, 0
	.set _ZN7rocprim17ROCPRIM_400000_NS6detail17trampoline_kernelINS0_14default_configENS1_27scan_by_key_config_selectorIssEEZZNS1_16scan_by_key_implILNS1_25lookback_scan_determinismE0ELb0ES3_N6thrust23THRUST_200600_302600_NS6detail15normal_iteratorINS9_10device_ptrIsEEEESE_SE_sNS9_4plusIsEE19head_flag_predicatesEE10hipError_tPvRmT2_T3_T4_T5_mT6_T7_P12ihipStream_tbENKUlT_T0_E_clISt17integral_constantIbLb1EESX_IbLb0EEEEDaST_SU_EUlST_E_NS1_11comp_targetILNS1_3genE0ELNS1_11target_archE4294967295ELNS1_3gpuE0ELNS1_3repE0EEENS1_30default_config_static_selectorELNS0_4arch9wavefront6targetE0EEEvT1_.num_named_barrier, 0
	.set _ZN7rocprim17ROCPRIM_400000_NS6detail17trampoline_kernelINS0_14default_configENS1_27scan_by_key_config_selectorIssEEZZNS1_16scan_by_key_implILNS1_25lookback_scan_determinismE0ELb0ES3_N6thrust23THRUST_200600_302600_NS6detail15normal_iteratorINS9_10device_ptrIsEEEESE_SE_sNS9_4plusIsEE19head_flag_predicatesEE10hipError_tPvRmT2_T3_T4_T5_mT6_T7_P12ihipStream_tbENKUlT_T0_E_clISt17integral_constantIbLb1EESX_IbLb0EEEEDaST_SU_EUlST_E_NS1_11comp_targetILNS1_3genE0ELNS1_11target_archE4294967295ELNS1_3gpuE0ELNS1_3repE0EEENS1_30default_config_static_selectorELNS0_4arch9wavefront6targetE0EEEvT1_.private_seg_size, 0
	.set _ZN7rocprim17ROCPRIM_400000_NS6detail17trampoline_kernelINS0_14default_configENS1_27scan_by_key_config_selectorIssEEZZNS1_16scan_by_key_implILNS1_25lookback_scan_determinismE0ELb0ES3_N6thrust23THRUST_200600_302600_NS6detail15normal_iteratorINS9_10device_ptrIsEEEESE_SE_sNS9_4plusIsEE19head_flag_predicatesEE10hipError_tPvRmT2_T3_T4_T5_mT6_T7_P12ihipStream_tbENKUlT_T0_E_clISt17integral_constantIbLb1EESX_IbLb0EEEEDaST_SU_EUlST_E_NS1_11comp_targetILNS1_3genE0ELNS1_11target_archE4294967295ELNS1_3gpuE0ELNS1_3repE0EEENS1_30default_config_static_selectorELNS0_4arch9wavefront6targetE0EEEvT1_.uses_vcc, 0
	.set _ZN7rocprim17ROCPRIM_400000_NS6detail17trampoline_kernelINS0_14default_configENS1_27scan_by_key_config_selectorIssEEZZNS1_16scan_by_key_implILNS1_25lookback_scan_determinismE0ELb0ES3_N6thrust23THRUST_200600_302600_NS6detail15normal_iteratorINS9_10device_ptrIsEEEESE_SE_sNS9_4plusIsEE19head_flag_predicatesEE10hipError_tPvRmT2_T3_T4_T5_mT6_T7_P12ihipStream_tbENKUlT_T0_E_clISt17integral_constantIbLb1EESX_IbLb0EEEEDaST_SU_EUlST_E_NS1_11comp_targetILNS1_3genE0ELNS1_11target_archE4294967295ELNS1_3gpuE0ELNS1_3repE0EEENS1_30default_config_static_selectorELNS0_4arch9wavefront6targetE0EEEvT1_.uses_flat_scratch, 0
	.set _ZN7rocprim17ROCPRIM_400000_NS6detail17trampoline_kernelINS0_14default_configENS1_27scan_by_key_config_selectorIssEEZZNS1_16scan_by_key_implILNS1_25lookback_scan_determinismE0ELb0ES3_N6thrust23THRUST_200600_302600_NS6detail15normal_iteratorINS9_10device_ptrIsEEEESE_SE_sNS9_4plusIsEE19head_flag_predicatesEE10hipError_tPvRmT2_T3_T4_T5_mT6_T7_P12ihipStream_tbENKUlT_T0_E_clISt17integral_constantIbLb1EESX_IbLb0EEEEDaST_SU_EUlST_E_NS1_11comp_targetILNS1_3genE0ELNS1_11target_archE4294967295ELNS1_3gpuE0ELNS1_3repE0EEENS1_30default_config_static_selectorELNS0_4arch9wavefront6targetE0EEEvT1_.has_dyn_sized_stack, 0
	.set _ZN7rocprim17ROCPRIM_400000_NS6detail17trampoline_kernelINS0_14default_configENS1_27scan_by_key_config_selectorIssEEZZNS1_16scan_by_key_implILNS1_25lookback_scan_determinismE0ELb0ES3_N6thrust23THRUST_200600_302600_NS6detail15normal_iteratorINS9_10device_ptrIsEEEESE_SE_sNS9_4plusIsEE19head_flag_predicatesEE10hipError_tPvRmT2_T3_T4_T5_mT6_T7_P12ihipStream_tbENKUlT_T0_E_clISt17integral_constantIbLb1EESX_IbLb0EEEEDaST_SU_EUlST_E_NS1_11comp_targetILNS1_3genE0ELNS1_11target_archE4294967295ELNS1_3gpuE0ELNS1_3repE0EEENS1_30default_config_static_selectorELNS0_4arch9wavefront6targetE0EEEvT1_.has_recursion, 0
	.set _ZN7rocprim17ROCPRIM_400000_NS6detail17trampoline_kernelINS0_14default_configENS1_27scan_by_key_config_selectorIssEEZZNS1_16scan_by_key_implILNS1_25lookback_scan_determinismE0ELb0ES3_N6thrust23THRUST_200600_302600_NS6detail15normal_iteratorINS9_10device_ptrIsEEEESE_SE_sNS9_4plusIsEE19head_flag_predicatesEE10hipError_tPvRmT2_T3_T4_T5_mT6_T7_P12ihipStream_tbENKUlT_T0_E_clISt17integral_constantIbLb1EESX_IbLb0EEEEDaST_SU_EUlST_E_NS1_11comp_targetILNS1_3genE0ELNS1_11target_archE4294967295ELNS1_3gpuE0ELNS1_3repE0EEENS1_30default_config_static_selectorELNS0_4arch9wavefront6targetE0EEEvT1_.has_indirect_call, 0
	.section	.AMDGPU.csdata,"",@progbits
; Kernel info:
; codeLenInByte = 0
; TotalNumSgprs: 0
; NumVgprs: 0
; ScratchSize: 0
; MemoryBound: 0
; FloatMode: 240
; IeeeMode: 1
; LDSByteSize: 0 bytes/workgroup (compile time only)
; SGPRBlocks: 0
; VGPRBlocks: 0
; NumSGPRsForWavesPerEU: 1
; NumVGPRsForWavesPerEU: 1
; Occupancy: 16
; WaveLimiterHint : 0
; COMPUTE_PGM_RSRC2:SCRATCH_EN: 0
; COMPUTE_PGM_RSRC2:USER_SGPR: 6
; COMPUTE_PGM_RSRC2:TRAP_HANDLER: 0
; COMPUTE_PGM_RSRC2:TGID_X_EN: 1
; COMPUTE_PGM_RSRC2:TGID_Y_EN: 0
; COMPUTE_PGM_RSRC2:TGID_Z_EN: 0
; COMPUTE_PGM_RSRC2:TIDIG_COMP_CNT: 0
	.section	.text._ZN7rocprim17ROCPRIM_400000_NS6detail17trampoline_kernelINS0_14default_configENS1_27scan_by_key_config_selectorIssEEZZNS1_16scan_by_key_implILNS1_25lookback_scan_determinismE0ELb0ES3_N6thrust23THRUST_200600_302600_NS6detail15normal_iteratorINS9_10device_ptrIsEEEESE_SE_sNS9_4plusIsEE19head_flag_predicatesEE10hipError_tPvRmT2_T3_T4_T5_mT6_T7_P12ihipStream_tbENKUlT_T0_E_clISt17integral_constantIbLb1EESX_IbLb0EEEEDaST_SU_EUlST_E_NS1_11comp_targetILNS1_3genE10ELNS1_11target_archE1201ELNS1_3gpuE5ELNS1_3repE0EEENS1_30default_config_static_selectorELNS0_4arch9wavefront6targetE0EEEvT1_,"axG",@progbits,_ZN7rocprim17ROCPRIM_400000_NS6detail17trampoline_kernelINS0_14default_configENS1_27scan_by_key_config_selectorIssEEZZNS1_16scan_by_key_implILNS1_25lookback_scan_determinismE0ELb0ES3_N6thrust23THRUST_200600_302600_NS6detail15normal_iteratorINS9_10device_ptrIsEEEESE_SE_sNS9_4plusIsEE19head_flag_predicatesEE10hipError_tPvRmT2_T3_T4_T5_mT6_T7_P12ihipStream_tbENKUlT_T0_E_clISt17integral_constantIbLb1EESX_IbLb0EEEEDaST_SU_EUlST_E_NS1_11comp_targetILNS1_3genE10ELNS1_11target_archE1201ELNS1_3gpuE5ELNS1_3repE0EEENS1_30default_config_static_selectorELNS0_4arch9wavefront6targetE0EEEvT1_,comdat
	.protected	_ZN7rocprim17ROCPRIM_400000_NS6detail17trampoline_kernelINS0_14default_configENS1_27scan_by_key_config_selectorIssEEZZNS1_16scan_by_key_implILNS1_25lookback_scan_determinismE0ELb0ES3_N6thrust23THRUST_200600_302600_NS6detail15normal_iteratorINS9_10device_ptrIsEEEESE_SE_sNS9_4plusIsEE19head_flag_predicatesEE10hipError_tPvRmT2_T3_T4_T5_mT6_T7_P12ihipStream_tbENKUlT_T0_E_clISt17integral_constantIbLb1EESX_IbLb0EEEEDaST_SU_EUlST_E_NS1_11comp_targetILNS1_3genE10ELNS1_11target_archE1201ELNS1_3gpuE5ELNS1_3repE0EEENS1_30default_config_static_selectorELNS0_4arch9wavefront6targetE0EEEvT1_ ; -- Begin function _ZN7rocprim17ROCPRIM_400000_NS6detail17trampoline_kernelINS0_14default_configENS1_27scan_by_key_config_selectorIssEEZZNS1_16scan_by_key_implILNS1_25lookback_scan_determinismE0ELb0ES3_N6thrust23THRUST_200600_302600_NS6detail15normal_iteratorINS9_10device_ptrIsEEEESE_SE_sNS9_4plusIsEE19head_flag_predicatesEE10hipError_tPvRmT2_T3_T4_T5_mT6_T7_P12ihipStream_tbENKUlT_T0_E_clISt17integral_constantIbLb1EESX_IbLb0EEEEDaST_SU_EUlST_E_NS1_11comp_targetILNS1_3genE10ELNS1_11target_archE1201ELNS1_3gpuE5ELNS1_3repE0EEENS1_30default_config_static_selectorELNS0_4arch9wavefront6targetE0EEEvT1_
	.globl	_ZN7rocprim17ROCPRIM_400000_NS6detail17trampoline_kernelINS0_14default_configENS1_27scan_by_key_config_selectorIssEEZZNS1_16scan_by_key_implILNS1_25lookback_scan_determinismE0ELb0ES3_N6thrust23THRUST_200600_302600_NS6detail15normal_iteratorINS9_10device_ptrIsEEEESE_SE_sNS9_4plusIsEE19head_flag_predicatesEE10hipError_tPvRmT2_T3_T4_T5_mT6_T7_P12ihipStream_tbENKUlT_T0_E_clISt17integral_constantIbLb1EESX_IbLb0EEEEDaST_SU_EUlST_E_NS1_11comp_targetILNS1_3genE10ELNS1_11target_archE1201ELNS1_3gpuE5ELNS1_3repE0EEENS1_30default_config_static_selectorELNS0_4arch9wavefront6targetE0EEEvT1_
	.p2align	8
	.type	_ZN7rocprim17ROCPRIM_400000_NS6detail17trampoline_kernelINS0_14default_configENS1_27scan_by_key_config_selectorIssEEZZNS1_16scan_by_key_implILNS1_25lookback_scan_determinismE0ELb0ES3_N6thrust23THRUST_200600_302600_NS6detail15normal_iteratorINS9_10device_ptrIsEEEESE_SE_sNS9_4plusIsEE19head_flag_predicatesEE10hipError_tPvRmT2_T3_T4_T5_mT6_T7_P12ihipStream_tbENKUlT_T0_E_clISt17integral_constantIbLb1EESX_IbLb0EEEEDaST_SU_EUlST_E_NS1_11comp_targetILNS1_3genE10ELNS1_11target_archE1201ELNS1_3gpuE5ELNS1_3repE0EEENS1_30default_config_static_selectorELNS0_4arch9wavefront6targetE0EEEvT1_,@function
_ZN7rocprim17ROCPRIM_400000_NS6detail17trampoline_kernelINS0_14default_configENS1_27scan_by_key_config_selectorIssEEZZNS1_16scan_by_key_implILNS1_25lookback_scan_determinismE0ELb0ES3_N6thrust23THRUST_200600_302600_NS6detail15normal_iteratorINS9_10device_ptrIsEEEESE_SE_sNS9_4plusIsEE19head_flag_predicatesEE10hipError_tPvRmT2_T3_T4_T5_mT6_T7_P12ihipStream_tbENKUlT_T0_E_clISt17integral_constantIbLb1EESX_IbLb0EEEEDaST_SU_EUlST_E_NS1_11comp_targetILNS1_3genE10ELNS1_11target_archE1201ELNS1_3gpuE5ELNS1_3repE0EEENS1_30default_config_static_selectorELNS0_4arch9wavefront6targetE0EEEvT1_: ; @_ZN7rocprim17ROCPRIM_400000_NS6detail17trampoline_kernelINS0_14default_configENS1_27scan_by_key_config_selectorIssEEZZNS1_16scan_by_key_implILNS1_25lookback_scan_determinismE0ELb0ES3_N6thrust23THRUST_200600_302600_NS6detail15normal_iteratorINS9_10device_ptrIsEEEESE_SE_sNS9_4plusIsEE19head_flag_predicatesEE10hipError_tPvRmT2_T3_T4_T5_mT6_T7_P12ihipStream_tbENKUlT_T0_E_clISt17integral_constantIbLb1EESX_IbLb0EEEEDaST_SU_EUlST_E_NS1_11comp_targetILNS1_3genE10ELNS1_11target_archE1201ELNS1_3gpuE5ELNS1_3repE0EEENS1_30default_config_static_selectorELNS0_4arch9wavefront6targetE0EEEvT1_
; %bb.0:
	.section	.rodata,"a",@progbits
	.p2align	6, 0x0
	.amdhsa_kernel _ZN7rocprim17ROCPRIM_400000_NS6detail17trampoline_kernelINS0_14default_configENS1_27scan_by_key_config_selectorIssEEZZNS1_16scan_by_key_implILNS1_25lookback_scan_determinismE0ELb0ES3_N6thrust23THRUST_200600_302600_NS6detail15normal_iteratorINS9_10device_ptrIsEEEESE_SE_sNS9_4plusIsEE19head_flag_predicatesEE10hipError_tPvRmT2_T3_T4_T5_mT6_T7_P12ihipStream_tbENKUlT_T0_E_clISt17integral_constantIbLb1EESX_IbLb0EEEEDaST_SU_EUlST_E_NS1_11comp_targetILNS1_3genE10ELNS1_11target_archE1201ELNS1_3gpuE5ELNS1_3repE0EEENS1_30default_config_static_selectorELNS0_4arch9wavefront6targetE0EEEvT1_
		.amdhsa_group_segment_fixed_size 0
		.amdhsa_private_segment_fixed_size 0
		.amdhsa_kernarg_size 112
		.amdhsa_user_sgpr_count 6
		.amdhsa_user_sgpr_private_segment_buffer 1
		.amdhsa_user_sgpr_dispatch_ptr 0
		.amdhsa_user_sgpr_queue_ptr 0
		.amdhsa_user_sgpr_kernarg_segment_ptr 1
		.amdhsa_user_sgpr_dispatch_id 0
		.amdhsa_user_sgpr_flat_scratch_init 0
		.amdhsa_user_sgpr_private_segment_size 0
		.amdhsa_wavefront_size32 1
		.amdhsa_uses_dynamic_stack 0
		.amdhsa_system_sgpr_private_segment_wavefront_offset 0
		.amdhsa_system_sgpr_workgroup_id_x 1
		.amdhsa_system_sgpr_workgroup_id_y 0
		.amdhsa_system_sgpr_workgroup_id_z 0
		.amdhsa_system_sgpr_workgroup_info 0
		.amdhsa_system_vgpr_workitem_id 0
		.amdhsa_next_free_vgpr 1
		.amdhsa_next_free_sgpr 1
		.amdhsa_reserve_vcc 0
		.amdhsa_reserve_flat_scratch 0
		.amdhsa_float_round_mode_32 0
		.amdhsa_float_round_mode_16_64 0
		.amdhsa_float_denorm_mode_32 3
		.amdhsa_float_denorm_mode_16_64 3
		.amdhsa_dx10_clamp 1
		.amdhsa_ieee_mode 1
		.amdhsa_fp16_overflow 0
		.amdhsa_workgroup_processor_mode 1
		.amdhsa_memory_ordered 1
		.amdhsa_forward_progress 1
		.amdhsa_shared_vgpr_count 0
		.amdhsa_exception_fp_ieee_invalid_op 0
		.amdhsa_exception_fp_denorm_src 0
		.amdhsa_exception_fp_ieee_div_zero 0
		.amdhsa_exception_fp_ieee_overflow 0
		.amdhsa_exception_fp_ieee_underflow 0
		.amdhsa_exception_fp_ieee_inexact 0
		.amdhsa_exception_int_div_zero 0
	.end_amdhsa_kernel
	.section	.text._ZN7rocprim17ROCPRIM_400000_NS6detail17trampoline_kernelINS0_14default_configENS1_27scan_by_key_config_selectorIssEEZZNS1_16scan_by_key_implILNS1_25lookback_scan_determinismE0ELb0ES3_N6thrust23THRUST_200600_302600_NS6detail15normal_iteratorINS9_10device_ptrIsEEEESE_SE_sNS9_4plusIsEE19head_flag_predicatesEE10hipError_tPvRmT2_T3_T4_T5_mT6_T7_P12ihipStream_tbENKUlT_T0_E_clISt17integral_constantIbLb1EESX_IbLb0EEEEDaST_SU_EUlST_E_NS1_11comp_targetILNS1_3genE10ELNS1_11target_archE1201ELNS1_3gpuE5ELNS1_3repE0EEENS1_30default_config_static_selectorELNS0_4arch9wavefront6targetE0EEEvT1_,"axG",@progbits,_ZN7rocprim17ROCPRIM_400000_NS6detail17trampoline_kernelINS0_14default_configENS1_27scan_by_key_config_selectorIssEEZZNS1_16scan_by_key_implILNS1_25lookback_scan_determinismE0ELb0ES3_N6thrust23THRUST_200600_302600_NS6detail15normal_iteratorINS9_10device_ptrIsEEEESE_SE_sNS9_4plusIsEE19head_flag_predicatesEE10hipError_tPvRmT2_T3_T4_T5_mT6_T7_P12ihipStream_tbENKUlT_T0_E_clISt17integral_constantIbLb1EESX_IbLb0EEEEDaST_SU_EUlST_E_NS1_11comp_targetILNS1_3genE10ELNS1_11target_archE1201ELNS1_3gpuE5ELNS1_3repE0EEENS1_30default_config_static_selectorELNS0_4arch9wavefront6targetE0EEEvT1_,comdat
.Lfunc_end840:
	.size	_ZN7rocprim17ROCPRIM_400000_NS6detail17trampoline_kernelINS0_14default_configENS1_27scan_by_key_config_selectorIssEEZZNS1_16scan_by_key_implILNS1_25lookback_scan_determinismE0ELb0ES3_N6thrust23THRUST_200600_302600_NS6detail15normal_iteratorINS9_10device_ptrIsEEEESE_SE_sNS9_4plusIsEE19head_flag_predicatesEE10hipError_tPvRmT2_T3_T4_T5_mT6_T7_P12ihipStream_tbENKUlT_T0_E_clISt17integral_constantIbLb1EESX_IbLb0EEEEDaST_SU_EUlST_E_NS1_11comp_targetILNS1_3genE10ELNS1_11target_archE1201ELNS1_3gpuE5ELNS1_3repE0EEENS1_30default_config_static_selectorELNS0_4arch9wavefront6targetE0EEEvT1_, .Lfunc_end840-_ZN7rocprim17ROCPRIM_400000_NS6detail17trampoline_kernelINS0_14default_configENS1_27scan_by_key_config_selectorIssEEZZNS1_16scan_by_key_implILNS1_25lookback_scan_determinismE0ELb0ES3_N6thrust23THRUST_200600_302600_NS6detail15normal_iteratorINS9_10device_ptrIsEEEESE_SE_sNS9_4plusIsEE19head_flag_predicatesEE10hipError_tPvRmT2_T3_T4_T5_mT6_T7_P12ihipStream_tbENKUlT_T0_E_clISt17integral_constantIbLb1EESX_IbLb0EEEEDaST_SU_EUlST_E_NS1_11comp_targetILNS1_3genE10ELNS1_11target_archE1201ELNS1_3gpuE5ELNS1_3repE0EEENS1_30default_config_static_selectorELNS0_4arch9wavefront6targetE0EEEvT1_
                                        ; -- End function
	.set _ZN7rocprim17ROCPRIM_400000_NS6detail17trampoline_kernelINS0_14default_configENS1_27scan_by_key_config_selectorIssEEZZNS1_16scan_by_key_implILNS1_25lookback_scan_determinismE0ELb0ES3_N6thrust23THRUST_200600_302600_NS6detail15normal_iteratorINS9_10device_ptrIsEEEESE_SE_sNS9_4plusIsEE19head_flag_predicatesEE10hipError_tPvRmT2_T3_T4_T5_mT6_T7_P12ihipStream_tbENKUlT_T0_E_clISt17integral_constantIbLb1EESX_IbLb0EEEEDaST_SU_EUlST_E_NS1_11comp_targetILNS1_3genE10ELNS1_11target_archE1201ELNS1_3gpuE5ELNS1_3repE0EEENS1_30default_config_static_selectorELNS0_4arch9wavefront6targetE0EEEvT1_.num_vgpr, 0
	.set _ZN7rocprim17ROCPRIM_400000_NS6detail17trampoline_kernelINS0_14default_configENS1_27scan_by_key_config_selectorIssEEZZNS1_16scan_by_key_implILNS1_25lookback_scan_determinismE0ELb0ES3_N6thrust23THRUST_200600_302600_NS6detail15normal_iteratorINS9_10device_ptrIsEEEESE_SE_sNS9_4plusIsEE19head_flag_predicatesEE10hipError_tPvRmT2_T3_T4_T5_mT6_T7_P12ihipStream_tbENKUlT_T0_E_clISt17integral_constantIbLb1EESX_IbLb0EEEEDaST_SU_EUlST_E_NS1_11comp_targetILNS1_3genE10ELNS1_11target_archE1201ELNS1_3gpuE5ELNS1_3repE0EEENS1_30default_config_static_selectorELNS0_4arch9wavefront6targetE0EEEvT1_.num_agpr, 0
	.set _ZN7rocprim17ROCPRIM_400000_NS6detail17trampoline_kernelINS0_14default_configENS1_27scan_by_key_config_selectorIssEEZZNS1_16scan_by_key_implILNS1_25lookback_scan_determinismE0ELb0ES3_N6thrust23THRUST_200600_302600_NS6detail15normal_iteratorINS9_10device_ptrIsEEEESE_SE_sNS9_4plusIsEE19head_flag_predicatesEE10hipError_tPvRmT2_T3_T4_T5_mT6_T7_P12ihipStream_tbENKUlT_T0_E_clISt17integral_constantIbLb1EESX_IbLb0EEEEDaST_SU_EUlST_E_NS1_11comp_targetILNS1_3genE10ELNS1_11target_archE1201ELNS1_3gpuE5ELNS1_3repE0EEENS1_30default_config_static_selectorELNS0_4arch9wavefront6targetE0EEEvT1_.numbered_sgpr, 0
	.set _ZN7rocprim17ROCPRIM_400000_NS6detail17trampoline_kernelINS0_14default_configENS1_27scan_by_key_config_selectorIssEEZZNS1_16scan_by_key_implILNS1_25lookback_scan_determinismE0ELb0ES3_N6thrust23THRUST_200600_302600_NS6detail15normal_iteratorINS9_10device_ptrIsEEEESE_SE_sNS9_4plusIsEE19head_flag_predicatesEE10hipError_tPvRmT2_T3_T4_T5_mT6_T7_P12ihipStream_tbENKUlT_T0_E_clISt17integral_constantIbLb1EESX_IbLb0EEEEDaST_SU_EUlST_E_NS1_11comp_targetILNS1_3genE10ELNS1_11target_archE1201ELNS1_3gpuE5ELNS1_3repE0EEENS1_30default_config_static_selectorELNS0_4arch9wavefront6targetE0EEEvT1_.num_named_barrier, 0
	.set _ZN7rocprim17ROCPRIM_400000_NS6detail17trampoline_kernelINS0_14default_configENS1_27scan_by_key_config_selectorIssEEZZNS1_16scan_by_key_implILNS1_25lookback_scan_determinismE0ELb0ES3_N6thrust23THRUST_200600_302600_NS6detail15normal_iteratorINS9_10device_ptrIsEEEESE_SE_sNS9_4plusIsEE19head_flag_predicatesEE10hipError_tPvRmT2_T3_T4_T5_mT6_T7_P12ihipStream_tbENKUlT_T0_E_clISt17integral_constantIbLb1EESX_IbLb0EEEEDaST_SU_EUlST_E_NS1_11comp_targetILNS1_3genE10ELNS1_11target_archE1201ELNS1_3gpuE5ELNS1_3repE0EEENS1_30default_config_static_selectorELNS0_4arch9wavefront6targetE0EEEvT1_.private_seg_size, 0
	.set _ZN7rocprim17ROCPRIM_400000_NS6detail17trampoline_kernelINS0_14default_configENS1_27scan_by_key_config_selectorIssEEZZNS1_16scan_by_key_implILNS1_25lookback_scan_determinismE0ELb0ES3_N6thrust23THRUST_200600_302600_NS6detail15normal_iteratorINS9_10device_ptrIsEEEESE_SE_sNS9_4plusIsEE19head_flag_predicatesEE10hipError_tPvRmT2_T3_T4_T5_mT6_T7_P12ihipStream_tbENKUlT_T0_E_clISt17integral_constantIbLb1EESX_IbLb0EEEEDaST_SU_EUlST_E_NS1_11comp_targetILNS1_3genE10ELNS1_11target_archE1201ELNS1_3gpuE5ELNS1_3repE0EEENS1_30default_config_static_selectorELNS0_4arch9wavefront6targetE0EEEvT1_.uses_vcc, 0
	.set _ZN7rocprim17ROCPRIM_400000_NS6detail17trampoline_kernelINS0_14default_configENS1_27scan_by_key_config_selectorIssEEZZNS1_16scan_by_key_implILNS1_25lookback_scan_determinismE0ELb0ES3_N6thrust23THRUST_200600_302600_NS6detail15normal_iteratorINS9_10device_ptrIsEEEESE_SE_sNS9_4plusIsEE19head_flag_predicatesEE10hipError_tPvRmT2_T3_T4_T5_mT6_T7_P12ihipStream_tbENKUlT_T0_E_clISt17integral_constantIbLb1EESX_IbLb0EEEEDaST_SU_EUlST_E_NS1_11comp_targetILNS1_3genE10ELNS1_11target_archE1201ELNS1_3gpuE5ELNS1_3repE0EEENS1_30default_config_static_selectorELNS0_4arch9wavefront6targetE0EEEvT1_.uses_flat_scratch, 0
	.set _ZN7rocprim17ROCPRIM_400000_NS6detail17trampoline_kernelINS0_14default_configENS1_27scan_by_key_config_selectorIssEEZZNS1_16scan_by_key_implILNS1_25lookback_scan_determinismE0ELb0ES3_N6thrust23THRUST_200600_302600_NS6detail15normal_iteratorINS9_10device_ptrIsEEEESE_SE_sNS9_4plusIsEE19head_flag_predicatesEE10hipError_tPvRmT2_T3_T4_T5_mT6_T7_P12ihipStream_tbENKUlT_T0_E_clISt17integral_constantIbLb1EESX_IbLb0EEEEDaST_SU_EUlST_E_NS1_11comp_targetILNS1_3genE10ELNS1_11target_archE1201ELNS1_3gpuE5ELNS1_3repE0EEENS1_30default_config_static_selectorELNS0_4arch9wavefront6targetE0EEEvT1_.has_dyn_sized_stack, 0
	.set _ZN7rocprim17ROCPRIM_400000_NS6detail17trampoline_kernelINS0_14default_configENS1_27scan_by_key_config_selectorIssEEZZNS1_16scan_by_key_implILNS1_25lookback_scan_determinismE0ELb0ES3_N6thrust23THRUST_200600_302600_NS6detail15normal_iteratorINS9_10device_ptrIsEEEESE_SE_sNS9_4plusIsEE19head_flag_predicatesEE10hipError_tPvRmT2_T3_T4_T5_mT6_T7_P12ihipStream_tbENKUlT_T0_E_clISt17integral_constantIbLb1EESX_IbLb0EEEEDaST_SU_EUlST_E_NS1_11comp_targetILNS1_3genE10ELNS1_11target_archE1201ELNS1_3gpuE5ELNS1_3repE0EEENS1_30default_config_static_selectorELNS0_4arch9wavefront6targetE0EEEvT1_.has_recursion, 0
	.set _ZN7rocprim17ROCPRIM_400000_NS6detail17trampoline_kernelINS0_14default_configENS1_27scan_by_key_config_selectorIssEEZZNS1_16scan_by_key_implILNS1_25lookback_scan_determinismE0ELb0ES3_N6thrust23THRUST_200600_302600_NS6detail15normal_iteratorINS9_10device_ptrIsEEEESE_SE_sNS9_4plusIsEE19head_flag_predicatesEE10hipError_tPvRmT2_T3_T4_T5_mT6_T7_P12ihipStream_tbENKUlT_T0_E_clISt17integral_constantIbLb1EESX_IbLb0EEEEDaST_SU_EUlST_E_NS1_11comp_targetILNS1_3genE10ELNS1_11target_archE1201ELNS1_3gpuE5ELNS1_3repE0EEENS1_30default_config_static_selectorELNS0_4arch9wavefront6targetE0EEEvT1_.has_indirect_call, 0
	.section	.AMDGPU.csdata,"",@progbits
; Kernel info:
; codeLenInByte = 0
; TotalNumSgprs: 0
; NumVgprs: 0
; ScratchSize: 0
; MemoryBound: 0
; FloatMode: 240
; IeeeMode: 1
; LDSByteSize: 0 bytes/workgroup (compile time only)
; SGPRBlocks: 0
; VGPRBlocks: 0
; NumSGPRsForWavesPerEU: 1
; NumVGPRsForWavesPerEU: 1
; Occupancy: 16
; WaveLimiterHint : 0
; COMPUTE_PGM_RSRC2:SCRATCH_EN: 0
; COMPUTE_PGM_RSRC2:USER_SGPR: 6
; COMPUTE_PGM_RSRC2:TRAP_HANDLER: 0
; COMPUTE_PGM_RSRC2:TGID_X_EN: 1
; COMPUTE_PGM_RSRC2:TGID_Y_EN: 0
; COMPUTE_PGM_RSRC2:TGID_Z_EN: 0
; COMPUTE_PGM_RSRC2:TIDIG_COMP_CNT: 0
	.section	.text._ZN7rocprim17ROCPRIM_400000_NS6detail17trampoline_kernelINS0_14default_configENS1_27scan_by_key_config_selectorIssEEZZNS1_16scan_by_key_implILNS1_25lookback_scan_determinismE0ELb0ES3_N6thrust23THRUST_200600_302600_NS6detail15normal_iteratorINS9_10device_ptrIsEEEESE_SE_sNS9_4plusIsEE19head_flag_predicatesEE10hipError_tPvRmT2_T3_T4_T5_mT6_T7_P12ihipStream_tbENKUlT_T0_E_clISt17integral_constantIbLb1EESX_IbLb0EEEEDaST_SU_EUlST_E_NS1_11comp_targetILNS1_3genE5ELNS1_11target_archE942ELNS1_3gpuE9ELNS1_3repE0EEENS1_30default_config_static_selectorELNS0_4arch9wavefront6targetE0EEEvT1_,"axG",@progbits,_ZN7rocprim17ROCPRIM_400000_NS6detail17trampoline_kernelINS0_14default_configENS1_27scan_by_key_config_selectorIssEEZZNS1_16scan_by_key_implILNS1_25lookback_scan_determinismE0ELb0ES3_N6thrust23THRUST_200600_302600_NS6detail15normal_iteratorINS9_10device_ptrIsEEEESE_SE_sNS9_4plusIsEE19head_flag_predicatesEE10hipError_tPvRmT2_T3_T4_T5_mT6_T7_P12ihipStream_tbENKUlT_T0_E_clISt17integral_constantIbLb1EESX_IbLb0EEEEDaST_SU_EUlST_E_NS1_11comp_targetILNS1_3genE5ELNS1_11target_archE942ELNS1_3gpuE9ELNS1_3repE0EEENS1_30default_config_static_selectorELNS0_4arch9wavefront6targetE0EEEvT1_,comdat
	.protected	_ZN7rocprim17ROCPRIM_400000_NS6detail17trampoline_kernelINS0_14default_configENS1_27scan_by_key_config_selectorIssEEZZNS1_16scan_by_key_implILNS1_25lookback_scan_determinismE0ELb0ES3_N6thrust23THRUST_200600_302600_NS6detail15normal_iteratorINS9_10device_ptrIsEEEESE_SE_sNS9_4plusIsEE19head_flag_predicatesEE10hipError_tPvRmT2_T3_T4_T5_mT6_T7_P12ihipStream_tbENKUlT_T0_E_clISt17integral_constantIbLb1EESX_IbLb0EEEEDaST_SU_EUlST_E_NS1_11comp_targetILNS1_3genE5ELNS1_11target_archE942ELNS1_3gpuE9ELNS1_3repE0EEENS1_30default_config_static_selectorELNS0_4arch9wavefront6targetE0EEEvT1_ ; -- Begin function _ZN7rocprim17ROCPRIM_400000_NS6detail17trampoline_kernelINS0_14default_configENS1_27scan_by_key_config_selectorIssEEZZNS1_16scan_by_key_implILNS1_25lookback_scan_determinismE0ELb0ES3_N6thrust23THRUST_200600_302600_NS6detail15normal_iteratorINS9_10device_ptrIsEEEESE_SE_sNS9_4plusIsEE19head_flag_predicatesEE10hipError_tPvRmT2_T3_T4_T5_mT6_T7_P12ihipStream_tbENKUlT_T0_E_clISt17integral_constantIbLb1EESX_IbLb0EEEEDaST_SU_EUlST_E_NS1_11comp_targetILNS1_3genE5ELNS1_11target_archE942ELNS1_3gpuE9ELNS1_3repE0EEENS1_30default_config_static_selectorELNS0_4arch9wavefront6targetE0EEEvT1_
	.globl	_ZN7rocprim17ROCPRIM_400000_NS6detail17trampoline_kernelINS0_14default_configENS1_27scan_by_key_config_selectorIssEEZZNS1_16scan_by_key_implILNS1_25lookback_scan_determinismE0ELb0ES3_N6thrust23THRUST_200600_302600_NS6detail15normal_iteratorINS9_10device_ptrIsEEEESE_SE_sNS9_4plusIsEE19head_flag_predicatesEE10hipError_tPvRmT2_T3_T4_T5_mT6_T7_P12ihipStream_tbENKUlT_T0_E_clISt17integral_constantIbLb1EESX_IbLb0EEEEDaST_SU_EUlST_E_NS1_11comp_targetILNS1_3genE5ELNS1_11target_archE942ELNS1_3gpuE9ELNS1_3repE0EEENS1_30default_config_static_selectorELNS0_4arch9wavefront6targetE0EEEvT1_
	.p2align	8
	.type	_ZN7rocprim17ROCPRIM_400000_NS6detail17trampoline_kernelINS0_14default_configENS1_27scan_by_key_config_selectorIssEEZZNS1_16scan_by_key_implILNS1_25lookback_scan_determinismE0ELb0ES3_N6thrust23THRUST_200600_302600_NS6detail15normal_iteratorINS9_10device_ptrIsEEEESE_SE_sNS9_4plusIsEE19head_flag_predicatesEE10hipError_tPvRmT2_T3_T4_T5_mT6_T7_P12ihipStream_tbENKUlT_T0_E_clISt17integral_constantIbLb1EESX_IbLb0EEEEDaST_SU_EUlST_E_NS1_11comp_targetILNS1_3genE5ELNS1_11target_archE942ELNS1_3gpuE9ELNS1_3repE0EEENS1_30default_config_static_selectorELNS0_4arch9wavefront6targetE0EEEvT1_,@function
_ZN7rocprim17ROCPRIM_400000_NS6detail17trampoline_kernelINS0_14default_configENS1_27scan_by_key_config_selectorIssEEZZNS1_16scan_by_key_implILNS1_25lookback_scan_determinismE0ELb0ES3_N6thrust23THRUST_200600_302600_NS6detail15normal_iteratorINS9_10device_ptrIsEEEESE_SE_sNS9_4plusIsEE19head_flag_predicatesEE10hipError_tPvRmT2_T3_T4_T5_mT6_T7_P12ihipStream_tbENKUlT_T0_E_clISt17integral_constantIbLb1EESX_IbLb0EEEEDaST_SU_EUlST_E_NS1_11comp_targetILNS1_3genE5ELNS1_11target_archE942ELNS1_3gpuE9ELNS1_3repE0EEENS1_30default_config_static_selectorELNS0_4arch9wavefront6targetE0EEEvT1_: ; @_ZN7rocprim17ROCPRIM_400000_NS6detail17trampoline_kernelINS0_14default_configENS1_27scan_by_key_config_selectorIssEEZZNS1_16scan_by_key_implILNS1_25lookback_scan_determinismE0ELb0ES3_N6thrust23THRUST_200600_302600_NS6detail15normal_iteratorINS9_10device_ptrIsEEEESE_SE_sNS9_4plusIsEE19head_flag_predicatesEE10hipError_tPvRmT2_T3_T4_T5_mT6_T7_P12ihipStream_tbENKUlT_T0_E_clISt17integral_constantIbLb1EESX_IbLb0EEEEDaST_SU_EUlST_E_NS1_11comp_targetILNS1_3genE5ELNS1_11target_archE942ELNS1_3gpuE9ELNS1_3repE0EEENS1_30default_config_static_selectorELNS0_4arch9wavefront6targetE0EEEvT1_
; %bb.0:
	.section	.rodata,"a",@progbits
	.p2align	6, 0x0
	.amdhsa_kernel _ZN7rocprim17ROCPRIM_400000_NS6detail17trampoline_kernelINS0_14default_configENS1_27scan_by_key_config_selectorIssEEZZNS1_16scan_by_key_implILNS1_25lookback_scan_determinismE0ELb0ES3_N6thrust23THRUST_200600_302600_NS6detail15normal_iteratorINS9_10device_ptrIsEEEESE_SE_sNS9_4plusIsEE19head_flag_predicatesEE10hipError_tPvRmT2_T3_T4_T5_mT6_T7_P12ihipStream_tbENKUlT_T0_E_clISt17integral_constantIbLb1EESX_IbLb0EEEEDaST_SU_EUlST_E_NS1_11comp_targetILNS1_3genE5ELNS1_11target_archE942ELNS1_3gpuE9ELNS1_3repE0EEENS1_30default_config_static_selectorELNS0_4arch9wavefront6targetE0EEEvT1_
		.amdhsa_group_segment_fixed_size 0
		.amdhsa_private_segment_fixed_size 0
		.amdhsa_kernarg_size 112
		.amdhsa_user_sgpr_count 6
		.amdhsa_user_sgpr_private_segment_buffer 1
		.amdhsa_user_sgpr_dispatch_ptr 0
		.amdhsa_user_sgpr_queue_ptr 0
		.amdhsa_user_sgpr_kernarg_segment_ptr 1
		.amdhsa_user_sgpr_dispatch_id 0
		.amdhsa_user_sgpr_flat_scratch_init 0
		.amdhsa_user_sgpr_private_segment_size 0
		.amdhsa_wavefront_size32 1
		.amdhsa_uses_dynamic_stack 0
		.amdhsa_system_sgpr_private_segment_wavefront_offset 0
		.amdhsa_system_sgpr_workgroup_id_x 1
		.amdhsa_system_sgpr_workgroup_id_y 0
		.amdhsa_system_sgpr_workgroup_id_z 0
		.amdhsa_system_sgpr_workgroup_info 0
		.amdhsa_system_vgpr_workitem_id 0
		.amdhsa_next_free_vgpr 1
		.amdhsa_next_free_sgpr 1
		.amdhsa_reserve_vcc 0
		.amdhsa_reserve_flat_scratch 0
		.amdhsa_float_round_mode_32 0
		.amdhsa_float_round_mode_16_64 0
		.amdhsa_float_denorm_mode_32 3
		.amdhsa_float_denorm_mode_16_64 3
		.amdhsa_dx10_clamp 1
		.amdhsa_ieee_mode 1
		.amdhsa_fp16_overflow 0
		.amdhsa_workgroup_processor_mode 1
		.amdhsa_memory_ordered 1
		.amdhsa_forward_progress 1
		.amdhsa_shared_vgpr_count 0
		.amdhsa_exception_fp_ieee_invalid_op 0
		.amdhsa_exception_fp_denorm_src 0
		.amdhsa_exception_fp_ieee_div_zero 0
		.amdhsa_exception_fp_ieee_overflow 0
		.amdhsa_exception_fp_ieee_underflow 0
		.amdhsa_exception_fp_ieee_inexact 0
		.amdhsa_exception_int_div_zero 0
	.end_amdhsa_kernel
	.section	.text._ZN7rocprim17ROCPRIM_400000_NS6detail17trampoline_kernelINS0_14default_configENS1_27scan_by_key_config_selectorIssEEZZNS1_16scan_by_key_implILNS1_25lookback_scan_determinismE0ELb0ES3_N6thrust23THRUST_200600_302600_NS6detail15normal_iteratorINS9_10device_ptrIsEEEESE_SE_sNS9_4plusIsEE19head_flag_predicatesEE10hipError_tPvRmT2_T3_T4_T5_mT6_T7_P12ihipStream_tbENKUlT_T0_E_clISt17integral_constantIbLb1EESX_IbLb0EEEEDaST_SU_EUlST_E_NS1_11comp_targetILNS1_3genE5ELNS1_11target_archE942ELNS1_3gpuE9ELNS1_3repE0EEENS1_30default_config_static_selectorELNS0_4arch9wavefront6targetE0EEEvT1_,"axG",@progbits,_ZN7rocprim17ROCPRIM_400000_NS6detail17trampoline_kernelINS0_14default_configENS1_27scan_by_key_config_selectorIssEEZZNS1_16scan_by_key_implILNS1_25lookback_scan_determinismE0ELb0ES3_N6thrust23THRUST_200600_302600_NS6detail15normal_iteratorINS9_10device_ptrIsEEEESE_SE_sNS9_4plusIsEE19head_flag_predicatesEE10hipError_tPvRmT2_T3_T4_T5_mT6_T7_P12ihipStream_tbENKUlT_T0_E_clISt17integral_constantIbLb1EESX_IbLb0EEEEDaST_SU_EUlST_E_NS1_11comp_targetILNS1_3genE5ELNS1_11target_archE942ELNS1_3gpuE9ELNS1_3repE0EEENS1_30default_config_static_selectorELNS0_4arch9wavefront6targetE0EEEvT1_,comdat
.Lfunc_end841:
	.size	_ZN7rocprim17ROCPRIM_400000_NS6detail17trampoline_kernelINS0_14default_configENS1_27scan_by_key_config_selectorIssEEZZNS1_16scan_by_key_implILNS1_25lookback_scan_determinismE0ELb0ES3_N6thrust23THRUST_200600_302600_NS6detail15normal_iteratorINS9_10device_ptrIsEEEESE_SE_sNS9_4plusIsEE19head_flag_predicatesEE10hipError_tPvRmT2_T3_T4_T5_mT6_T7_P12ihipStream_tbENKUlT_T0_E_clISt17integral_constantIbLb1EESX_IbLb0EEEEDaST_SU_EUlST_E_NS1_11comp_targetILNS1_3genE5ELNS1_11target_archE942ELNS1_3gpuE9ELNS1_3repE0EEENS1_30default_config_static_selectorELNS0_4arch9wavefront6targetE0EEEvT1_, .Lfunc_end841-_ZN7rocprim17ROCPRIM_400000_NS6detail17trampoline_kernelINS0_14default_configENS1_27scan_by_key_config_selectorIssEEZZNS1_16scan_by_key_implILNS1_25lookback_scan_determinismE0ELb0ES3_N6thrust23THRUST_200600_302600_NS6detail15normal_iteratorINS9_10device_ptrIsEEEESE_SE_sNS9_4plusIsEE19head_flag_predicatesEE10hipError_tPvRmT2_T3_T4_T5_mT6_T7_P12ihipStream_tbENKUlT_T0_E_clISt17integral_constantIbLb1EESX_IbLb0EEEEDaST_SU_EUlST_E_NS1_11comp_targetILNS1_3genE5ELNS1_11target_archE942ELNS1_3gpuE9ELNS1_3repE0EEENS1_30default_config_static_selectorELNS0_4arch9wavefront6targetE0EEEvT1_
                                        ; -- End function
	.set _ZN7rocprim17ROCPRIM_400000_NS6detail17trampoline_kernelINS0_14default_configENS1_27scan_by_key_config_selectorIssEEZZNS1_16scan_by_key_implILNS1_25lookback_scan_determinismE0ELb0ES3_N6thrust23THRUST_200600_302600_NS6detail15normal_iteratorINS9_10device_ptrIsEEEESE_SE_sNS9_4plusIsEE19head_flag_predicatesEE10hipError_tPvRmT2_T3_T4_T5_mT6_T7_P12ihipStream_tbENKUlT_T0_E_clISt17integral_constantIbLb1EESX_IbLb0EEEEDaST_SU_EUlST_E_NS1_11comp_targetILNS1_3genE5ELNS1_11target_archE942ELNS1_3gpuE9ELNS1_3repE0EEENS1_30default_config_static_selectorELNS0_4arch9wavefront6targetE0EEEvT1_.num_vgpr, 0
	.set _ZN7rocprim17ROCPRIM_400000_NS6detail17trampoline_kernelINS0_14default_configENS1_27scan_by_key_config_selectorIssEEZZNS1_16scan_by_key_implILNS1_25lookback_scan_determinismE0ELb0ES3_N6thrust23THRUST_200600_302600_NS6detail15normal_iteratorINS9_10device_ptrIsEEEESE_SE_sNS9_4plusIsEE19head_flag_predicatesEE10hipError_tPvRmT2_T3_T4_T5_mT6_T7_P12ihipStream_tbENKUlT_T0_E_clISt17integral_constantIbLb1EESX_IbLb0EEEEDaST_SU_EUlST_E_NS1_11comp_targetILNS1_3genE5ELNS1_11target_archE942ELNS1_3gpuE9ELNS1_3repE0EEENS1_30default_config_static_selectorELNS0_4arch9wavefront6targetE0EEEvT1_.num_agpr, 0
	.set _ZN7rocprim17ROCPRIM_400000_NS6detail17trampoline_kernelINS0_14default_configENS1_27scan_by_key_config_selectorIssEEZZNS1_16scan_by_key_implILNS1_25lookback_scan_determinismE0ELb0ES3_N6thrust23THRUST_200600_302600_NS6detail15normal_iteratorINS9_10device_ptrIsEEEESE_SE_sNS9_4plusIsEE19head_flag_predicatesEE10hipError_tPvRmT2_T3_T4_T5_mT6_T7_P12ihipStream_tbENKUlT_T0_E_clISt17integral_constantIbLb1EESX_IbLb0EEEEDaST_SU_EUlST_E_NS1_11comp_targetILNS1_3genE5ELNS1_11target_archE942ELNS1_3gpuE9ELNS1_3repE0EEENS1_30default_config_static_selectorELNS0_4arch9wavefront6targetE0EEEvT1_.numbered_sgpr, 0
	.set _ZN7rocprim17ROCPRIM_400000_NS6detail17trampoline_kernelINS0_14default_configENS1_27scan_by_key_config_selectorIssEEZZNS1_16scan_by_key_implILNS1_25lookback_scan_determinismE0ELb0ES3_N6thrust23THRUST_200600_302600_NS6detail15normal_iteratorINS9_10device_ptrIsEEEESE_SE_sNS9_4plusIsEE19head_flag_predicatesEE10hipError_tPvRmT2_T3_T4_T5_mT6_T7_P12ihipStream_tbENKUlT_T0_E_clISt17integral_constantIbLb1EESX_IbLb0EEEEDaST_SU_EUlST_E_NS1_11comp_targetILNS1_3genE5ELNS1_11target_archE942ELNS1_3gpuE9ELNS1_3repE0EEENS1_30default_config_static_selectorELNS0_4arch9wavefront6targetE0EEEvT1_.num_named_barrier, 0
	.set _ZN7rocprim17ROCPRIM_400000_NS6detail17trampoline_kernelINS0_14default_configENS1_27scan_by_key_config_selectorIssEEZZNS1_16scan_by_key_implILNS1_25lookback_scan_determinismE0ELb0ES3_N6thrust23THRUST_200600_302600_NS6detail15normal_iteratorINS9_10device_ptrIsEEEESE_SE_sNS9_4plusIsEE19head_flag_predicatesEE10hipError_tPvRmT2_T3_T4_T5_mT6_T7_P12ihipStream_tbENKUlT_T0_E_clISt17integral_constantIbLb1EESX_IbLb0EEEEDaST_SU_EUlST_E_NS1_11comp_targetILNS1_3genE5ELNS1_11target_archE942ELNS1_3gpuE9ELNS1_3repE0EEENS1_30default_config_static_selectorELNS0_4arch9wavefront6targetE0EEEvT1_.private_seg_size, 0
	.set _ZN7rocprim17ROCPRIM_400000_NS6detail17trampoline_kernelINS0_14default_configENS1_27scan_by_key_config_selectorIssEEZZNS1_16scan_by_key_implILNS1_25lookback_scan_determinismE0ELb0ES3_N6thrust23THRUST_200600_302600_NS6detail15normal_iteratorINS9_10device_ptrIsEEEESE_SE_sNS9_4plusIsEE19head_flag_predicatesEE10hipError_tPvRmT2_T3_T4_T5_mT6_T7_P12ihipStream_tbENKUlT_T0_E_clISt17integral_constantIbLb1EESX_IbLb0EEEEDaST_SU_EUlST_E_NS1_11comp_targetILNS1_3genE5ELNS1_11target_archE942ELNS1_3gpuE9ELNS1_3repE0EEENS1_30default_config_static_selectorELNS0_4arch9wavefront6targetE0EEEvT1_.uses_vcc, 0
	.set _ZN7rocprim17ROCPRIM_400000_NS6detail17trampoline_kernelINS0_14default_configENS1_27scan_by_key_config_selectorIssEEZZNS1_16scan_by_key_implILNS1_25lookback_scan_determinismE0ELb0ES3_N6thrust23THRUST_200600_302600_NS6detail15normal_iteratorINS9_10device_ptrIsEEEESE_SE_sNS9_4plusIsEE19head_flag_predicatesEE10hipError_tPvRmT2_T3_T4_T5_mT6_T7_P12ihipStream_tbENKUlT_T0_E_clISt17integral_constantIbLb1EESX_IbLb0EEEEDaST_SU_EUlST_E_NS1_11comp_targetILNS1_3genE5ELNS1_11target_archE942ELNS1_3gpuE9ELNS1_3repE0EEENS1_30default_config_static_selectorELNS0_4arch9wavefront6targetE0EEEvT1_.uses_flat_scratch, 0
	.set _ZN7rocprim17ROCPRIM_400000_NS6detail17trampoline_kernelINS0_14default_configENS1_27scan_by_key_config_selectorIssEEZZNS1_16scan_by_key_implILNS1_25lookback_scan_determinismE0ELb0ES3_N6thrust23THRUST_200600_302600_NS6detail15normal_iteratorINS9_10device_ptrIsEEEESE_SE_sNS9_4plusIsEE19head_flag_predicatesEE10hipError_tPvRmT2_T3_T4_T5_mT6_T7_P12ihipStream_tbENKUlT_T0_E_clISt17integral_constantIbLb1EESX_IbLb0EEEEDaST_SU_EUlST_E_NS1_11comp_targetILNS1_3genE5ELNS1_11target_archE942ELNS1_3gpuE9ELNS1_3repE0EEENS1_30default_config_static_selectorELNS0_4arch9wavefront6targetE0EEEvT1_.has_dyn_sized_stack, 0
	.set _ZN7rocprim17ROCPRIM_400000_NS6detail17trampoline_kernelINS0_14default_configENS1_27scan_by_key_config_selectorIssEEZZNS1_16scan_by_key_implILNS1_25lookback_scan_determinismE0ELb0ES3_N6thrust23THRUST_200600_302600_NS6detail15normal_iteratorINS9_10device_ptrIsEEEESE_SE_sNS9_4plusIsEE19head_flag_predicatesEE10hipError_tPvRmT2_T3_T4_T5_mT6_T7_P12ihipStream_tbENKUlT_T0_E_clISt17integral_constantIbLb1EESX_IbLb0EEEEDaST_SU_EUlST_E_NS1_11comp_targetILNS1_3genE5ELNS1_11target_archE942ELNS1_3gpuE9ELNS1_3repE0EEENS1_30default_config_static_selectorELNS0_4arch9wavefront6targetE0EEEvT1_.has_recursion, 0
	.set _ZN7rocprim17ROCPRIM_400000_NS6detail17trampoline_kernelINS0_14default_configENS1_27scan_by_key_config_selectorIssEEZZNS1_16scan_by_key_implILNS1_25lookback_scan_determinismE0ELb0ES3_N6thrust23THRUST_200600_302600_NS6detail15normal_iteratorINS9_10device_ptrIsEEEESE_SE_sNS9_4plusIsEE19head_flag_predicatesEE10hipError_tPvRmT2_T3_T4_T5_mT6_T7_P12ihipStream_tbENKUlT_T0_E_clISt17integral_constantIbLb1EESX_IbLb0EEEEDaST_SU_EUlST_E_NS1_11comp_targetILNS1_3genE5ELNS1_11target_archE942ELNS1_3gpuE9ELNS1_3repE0EEENS1_30default_config_static_selectorELNS0_4arch9wavefront6targetE0EEEvT1_.has_indirect_call, 0
	.section	.AMDGPU.csdata,"",@progbits
; Kernel info:
; codeLenInByte = 0
; TotalNumSgprs: 0
; NumVgprs: 0
; ScratchSize: 0
; MemoryBound: 0
; FloatMode: 240
; IeeeMode: 1
; LDSByteSize: 0 bytes/workgroup (compile time only)
; SGPRBlocks: 0
; VGPRBlocks: 0
; NumSGPRsForWavesPerEU: 1
; NumVGPRsForWavesPerEU: 1
; Occupancy: 16
; WaveLimiterHint : 0
; COMPUTE_PGM_RSRC2:SCRATCH_EN: 0
; COMPUTE_PGM_RSRC2:USER_SGPR: 6
; COMPUTE_PGM_RSRC2:TRAP_HANDLER: 0
; COMPUTE_PGM_RSRC2:TGID_X_EN: 1
; COMPUTE_PGM_RSRC2:TGID_Y_EN: 0
; COMPUTE_PGM_RSRC2:TGID_Z_EN: 0
; COMPUTE_PGM_RSRC2:TIDIG_COMP_CNT: 0
	.section	.text._ZN7rocprim17ROCPRIM_400000_NS6detail17trampoline_kernelINS0_14default_configENS1_27scan_by_key_config_selectorIssEEZZNS1_16scan_by_key_implILNS1_25lookback_scan_determinismE0ELb0ES3_N6thrust23THRUST_200600_302600_NS6detail15normal_iteratorINS9_10device_ptrIsEEEESE_SE_sNS9_4plusIsEE19head_flag_predicatesEE10hipError_tPvRmT2_T3_T4_T5_mT6_T7_P12ihipStream_tbENKUlT_T0_E_clISt17integral_constantIbLb1EESX_IbLb0EEEEDaST_SU_EUlST_E_NS1_11comp_targetILNS1_3genE4ELNS1_11target_archE910ELNS1_3gpuE8ELNS1_3repE0EEENS1_30default_config_static_selectorELNS0_4arch9wavefront6targetE0EEEvT1_,"axG",@progbits,_ZN7rocprim17ROCPRIM_400000_NS6detail17trampoline_kernelINS0_14default_configENS1_27scan_by_key_config_selectorIssEEZZNS1_16scan_by_key_implILNS1_25lookback_scan_determinismE0ELb0ES3_N6thrust23THRUST_200600_302600_NS6detail15normal_iteratorINS9_10device_ptrIsEEEESE_SE_sNS9_4plusIsEE19head_flag_predicatesEE10hipError_tPvRmT2_T3_T4_T5_mT6_T7_P12ihipStream_tbENKUlT_T0_E_clISt17integral_constantIbLb1EESX_IbLb0EEEEDaST_SU_EUlST_E_NS1_11comp_targetILNS1_3genE4ELNS1_11target_archE910ELNS1_3gpuE8ELNS1_3repE0EEENS1_30default_config_static_selectorELNS0_4arch9wavefront6targetE0EEEvT1_,comdat
	.protected	_ZN7rocprim17ROCPRIM_400000_NS6detail17trampoline_kernelINS0_14default_configENS1_27scan_by_key_config_selectorIssEEZZNS1_16scan_by_key_implILNS1_25lookback_scan_determinismE0ELb0ES3_N6thrust23THRUST_200600_302600_NS6detail15normal_iteratorINS9_10device_ptrIsEEEESE_SE_sNS9_4plusIsEE19head_flag_predicatesEE10hipError_tPvRmT2_T3_T4_T5_mT6_T7_P12ihipStream_tbENKUlT_T0_E_clISt17integral_constantIbLb1EESX_IbLb0EEEEDaST_SU_EUlST_E_NS1_11comp_targetILNS1_3genE4ELNS1_11target_archE910ELNS1_3gpuE8ELNS1_3repE0EEENS1_30default_config_static_selectorELNS0_4arch9wavefront6targetE0EEEvT1_ ; -- Begin function _ZN7rocprim17ROCPRIM_400000_NS6detail17trampoline_kernelINS0_14default_configENS1_27scan_by_key_config_selectorIssEEZZNS1_16scan_by_key_implILNS1_25lookback_scan_determinismE0ELb0ES3_N6thrust23THRUST_200600_302600_NS6detail15normal_iteratorINS9_10device_ptrIsEEEESE_SE_sNS9_4plusIsEE19head_flag_predicatesEE10hipError_tPvRmT2_T3_T4_T5_mT6_T7_P12ihipStream_tbENKUlT_T0_E_clISt17integral_constantIbLb1EESX_IbLb0EEEEDaST_SU_EUlST_E_NS1_11comp_targetILNS1_3genE4ELNS1_11target_archE910ELNS1_3gpuE8ELNS1_3repE0EEENS1_30default_config_static_selectorELNS0_4arch9wavefront6targetE0EEEvT1_
	.globl	_ZN7rocprim17ROCPRIM_400000_NS6detail17trampoline_kernelINS0_14default_configENS1_27scan_by_key_config_selectorIssEEZZNS1_16scan_by_key_implILNS1_25lookback_scan_determinismE0ELb0ES3_N6thrust23THRUST_200600_302600_NS6detail15normal_iteratorINS9_10device_ptrIsEEEESE_SE_sNS9_4plusIsEE19head_flag_predicatesEE10hipError_tPvRmT2_T3_T4_T5_mT6_T7_P12ihipStream_tbENKUlT_T0_E_clISt17integral_constantIbLb1EESX_IbLb0EEEEDaST_SU_EUlST_E_NS1_11comp_targetILNS1_3genE4ELNS1_11target_archE910ELNS1_3gpuE8ELNS1_3repE0EEENS1_30default_config_static_selectorELNS0_4arch9wavefront6targetE0EEEvT1_
	.p2align	8
	.type	_ZN7rocprim17ROCPRIM_400000_NS6detail17trampoline_kernelINS0_14default_configENS1_27scan_by_key_config_selectorIssEEZZNS1_16scan_by_key_implILNS1_25lookback_scan_determinismE0ELb0ES3_N6thrust23THRUST_200600_302600_NS6detail15normal_iteratorINS9_10device_ptrIsEEEESE_SE_sNS9_4plusIsEE19head_flag_predicatesEE10hipError_tPvRmT2_T3_T4_T5_mT6_T7_P12ihipStream_tbENKUlT_T0_E_clISt17integral_constantIbLb1EESX_IbLb0EEEEDaST_SU_EUlST_E_NS1_11comp_targetILNS1_3genE4ELNS1_11target_archE910ELNS1_3gpuE8ELNS1_3repE0EEENS1_30default_config_static_selectorELNS0_4arch9wavefront6targetE0EEEvT1_,@function
_ZN7rocprim17ROCPRIM_400000_NS6detail17trampoline_kernelINS0_14default_configENS1_27scan_by_key_config_selectorIssEEZZNS1_16scan_by_key_implILNS1_25lookback_scan_determinismE0ELb0ES3_N6thrust23THRUST_200600_302600_NS6detail15normal_iteratorINS9_10device_ptrIsEEEESE_SE_sNS9_4plusIsEE19head_flag_predicatesEE10hipError_tPvRmT2_T3_T4_T5_mT6_T7_P12ihipStream_tbENKUlT_T0_E_clISt17integral_constantIbLb1EESX_IbLb0EEEEDaST_SU_EUlST_E_NS1_11comp_targetILNS1_3genE4ELNS1_11target_archE910ELNS1_3gpuE8ELNS1_3repE0EEENS1_30default_config_static_selectorELNS0_4arch9wavefront6targetE0EEEvT1_: ; @_ZN7rocprim17ROCPRIM_400000_NS6detail17trampoline_kernelINS0_14default_configENS1_27scan_by_key_config_selectorIssEEZZNS1_16scan_by_key_implILNS1_25lookback_scan_determinismE0ELb0ES3_N6thrust23THRUST_200600_302600_NS6detail15normal_iteratorINS9_10device_ptrIsEEEESE_SE_sNS9_4plusIsEE19head_flag_predicatesEE10hipError_tPvRmT2_T3_T4_T5_mT6_T7_P12ihipStream_tbENKUlT_T0_E_clISt17integral_constantIbLb1EESX_IbLb0EEEEDaST_SU_EUlST_E_NS1_11comp_targetILNS1_3genE4ELNS1_11target_archE910ELNS1_3gpuE8ELNS1_3repE0EEENS1_30default_config_static_selectorELNS0_4arch9wavefront6targetE0EEEvT1_
; %bb.0:
	.section	.rodata,"a",@progbits
	.p2align	6, 0x0
	.amdhsa_kernel _ZN7rocprim17ROCPRIM_400000_NS6detail17trampoline_kernelINS0_14default_configENS1_27scan_by_key_config_selectorIssEEZZNS1_16scan_by_key_implILNS1_25lookback_scan_determinismE0ELb0ES3_N6thrust23THRUST_200600_302600_NS6detail15normal_iteratorINS9_10device_ptrIsEEEESE_SE_sNS9_4plusIsEE19head_flag_predicatesEE10hipError_tPvRmT2_T3_T4_T5_mT6_T7_P12ihipStream_tbENKUlT_T0_E_clISt17integral_constantIbLb1EESX_IbLb0EEEEDaST_SU_EUlST_E_NS1_11comp_targetILNS1_3genE4ELNS1_11target_archE910ELNS1_3gpuE8ELNS1_3repE0EEENS1_30default_config_static_selectorELNS0_4arch9wavefront6targetE0EEEvT1_
		.amdhsa_group_segment_fixed_size 0
		.amdhsa_private_segment_fixed_size 0
		.amdhsa_kernarg_size 112
		.amdhsa_user_sgpr_count 6
		.amdhsa_user_sgpr_private_segment_buffer 1
		.amdhsa_user_sgpr_dispatch_ptr 0
		.amdhsa_user_sgpr_queue_ptr 0
		.amdhsa_user_sgpr_kernarg_segment_ptr 1
		.amdhsa_user_sgpr_dispatch_id 0
		.amdhsa_user_sgpr_flat_scratch_init 0
		.amdhsa_user_sgpr_private_segment_size 0
		.amdhsa_wavefront_size32 1
		.amdhsa_uses_dynamic_stack 0
		.amdhsa_system_sgpr_private_segment_wavefront_offset 0
		.amdhsa_system_sgpr_workgroup_id_x 1
		.amdhsa_system_sgpr_workgroup_id_y 0
		.amdhsa_system_sgpr_workgroup_id_z 0
		.amdhsa_system_sgpr_workgroup_info 0
		.amdhsa_system_vgpr_workitem_id 0
		.amdhsa_next_free_vgpr 1
		.amdhsa_next_free_sgpr 1
		.amdhsa_reserve_vcc 0
		.amdhsa_reserve_flat_scratch 0
		.amdhsa_float_round_mode_32 0
		.amdhsa_float_round_mode_16_64 0
		.amdhsa_float_denorm_mode_32 3
		.amdhsa_float_denorm_mode_16_64 3
		.amdhsa_dx10_clamp 1
		.amdhsa_ieee_mode 1
		.amdhsa_fp16_overflow 0
		.amdhsa_workgroup_processor_mode 1
		.amdhsa_memory_ordered 1
		.amdhsa_forward_progress 1
		.amdhsa_shared_vgpr_count 0
		.amdhsa_exception_fp_ieee_invalid_op 0
		.amdhsa_exception_fp_denorm_src 0
		.amdhsa_exception_fp_ieee_div_zero 0
		.amdhsa_exception_fp_ieee_overflow 0
		.amdhsa_exception_fp_ieee_underflow 0
		.amdhsa_exception_fp_ieee_inexact 0
		.amdhsa_exception_int_div_zero 0
	.end_amdhsa_kernel
	.section	.text._ZN7rocprim17ROCPRIM_400000_NS6detail17trampoline_kernelINS0_14default_configENS1_27scan_by_key_config_selectorIssEEZZNS1_16scan_by_key_implILNS1_25lookback_scan_determinismE0ELb0ES3_N6thrust23THRUST_200600_302600_NS6detail15normal_iteratorINS9_10device_ptrIsEEEESE_SE_sNS9_4plusIsEE19head_flag_predicatesEE10hipError_tPvRmT2_T3_T4_T5_mT6_T7_P12ihipStream_tbENKUlT_T0_E_clISt17integral_constantIbLb1EESX_IbLb0EEEEDaST_SU_EUlST_E_NS1_11comp_targetILNS1_3genE4ELNS1_11target_archE910ELNS1_3gpuE8ELNS1_3repE0EEENS1_30default_config_static_selectorELNS0_4arch9wavefront6targetE0EEEvT1_,"axG",@progbits,_ZN7rocprim17ROCPRIM_400000_NS6detail17trampoline_kernelINS0_14default_configENS1_27scan_by_key_config_selectorIssEEZZNS1_16scan_by_key_implILNS1_25lookback_scan_determinismE0ELb0ES3_N6thrust23THRUST_200600_302600_NS6detail15normal_iteratorINS9_10device_ptrIsEEEESE_SE_sNS9_4plusIsEE19head_flag_predicatesEE10hipError_tPvRmT2_T3_T4_T5_mT6_T7_P12ihipStream_tbENKUlT_T0_E_clISt17integral_constantIbLb1EESX_IbLb0EEEEDaST_SU_EUlST_E_NS1_11comp_targetILNS1_3genE4ELNS1_11target_archE910ELNS1_3gpuE8ELNS1_3repE0EEENS1_30default_config_static_selectorELNS0_4arch9wavefront6targetE0EEEvT1_,comdat
.Lfunc_end842:
	.size	_ZN7rocprim17ROCPRIM_400000_NS6detail17trampoline_kernelINS0_14default_configENS1_27scan_by_key_config_selectorIssEEZZNS1_16scan_by_key_implILNS1_25lookback_scan_determinismE0ELb0ES3_N6thrust23THRUST_200600_302600_NS6detail15normal_iteratorINS9_10device_ptrIsEEEESE_SE_sNS9_4plusIsEE19head_flag_predicatesEE10hipError_tPvRmT2_T3_T4_T5_mT6_T7_P12ihipStream_tbENKUlT_T0_E_clISt17integral_constantIbLb1EESX_IbLb0EEEEDaST_SU_EUlST_E_NS1_11comp_targetILNS1_3genE4ELNS1_11target_archE910ELNS1_3gpuE8ELNS1_3repE0EEENS1_30default_config_static_selectorELNS0_4arch9wavefront6targetE0EEEvT1_, .Lfunc_end842-_ZN7rocprim17ROCPRIM_400000_NS6detail17trampoline_kernelINS0_14default_configENS1_27scan_by_key_config_selectorIssEEZZNS1_16scan_by_key_implILNS1_25lookback_scan_determinismE0ELb0ES3_N6thrust23THRUST_200600_302600_NS6detail15normal_iteratorINS9_10device_ptrIsEEEESE_SE_sNS9_4plusIsEE19head_flag_predicatesEE10hipError_tPvRmT2_T3_T4_T5_mT6_T7_P12ihipStream_tbENKUlT_T0_E_clISt17integral_constantIbLb1EESX_IbLb0EEEEDaST_SU_EUlST_E_NS1_11comp_targetILNS1_3genE4ELNS1_11target_archE910ELNS1_3gpuE8ELNS1_3repE0EEENS1_30default_config_static_selectorELNS0_4arch9wavefront6targetE0EEEvT1_
                                        ; -- End function
	.set _ZN7rocprim17ROCPRIM_400000_NS6detail17trampoline_kernelINS0_14default_configENS1_27scan_by_key_config_selectorIssEEZZNS1_16scan_by_key_implILNS1_25lookback_scan_determinismE0ELb0ES3_N6thrust23THRUST_200600_302600_NS6detail15normal_iteratorINS9_10device_ptrIsEEEESE_SE_sNS9_4plusIsEE19head_flag_predicatesEE10hipError_tPvRmT2_T3_T4_T5_mT6_T7_P12ihipStream_tbENKUlT_T0_E_clISt17integral_constantIbLb1EESX_IbLb0EEEEDaST_SU_EUlST_E_NS1_11comp_targetILNS1_3genE4ELNS1_11target_archE910ELNS1_3gpuE8ELNS1_3repE0EEENS1_30default_config_static_selectorELNS0_4arch9wavefront6targetE0EEEvT1_.num_vgpr, 0
	.set _ZN7rocprim17ROCPRIM_400000_NS6detail17trampoline_kernelINS0_14default_configENS1_27scan_by_key_config_selectorIssEEZZNS1_16scan_by_key_implILNS1_25lookback_scan_determinismE0ELb0ES3_N6thrust23THRUST_200600_302600_NS6detail15normal_iteratorINS9_10device_ptrIsEEEESE_SE_sNS9_4plusIsEE19head_flag_predicatesEE10hipError_tPvRmT2_T3_T4_T5_mT6_T7_P12ihipStream_tbENKUlT_T0_E_clISt17integral_constantIbLb1EESX_IbLb0EEEEDaST_SU_EUlST_E_NS1_11comp_targetILNS1_3genE4ELNS1_11target_archE910ELNS1_3gpuE8ELNS1_3repE0EEENS1_30default_config_static_selectorELNS0_4arch9wavefront6targetE0EEEvT1_.num_agpr, 0
	.set _ZN7rocprim17ROCPRIM_400000_NS6detail17trampoline_kernelINS0_14default_configENS1_27scan_by_key_config_selectorIssEEZZNS1_16scan_by_key_implILNS1_25lookback_scan_determinismE0ELb0ES3_N6thrust23THRUST_200600_302600_NS6detail15normal_iteratorINS9_10device_ptrIsEEEESE_SE_sNS9_4plusIsEE19head_flag_predicatesEE10hipError_tPvRmT2_T3_T4_T5_mT6_T7_P12ihipStream_tbENKUlT_T0_E_clISt17integral_constantIbLb1EESX_IbLb0EEEEDaST_SU_EUlST_E_NS1_11comp_targetILNS1_3genE4ELNS1_11target_archE910ELNS1_3gpuE8ELNS1_3repE0EEENS1_30default_config_static_selectorELNS0_4arch9wavefront6targetE0EEEvT1_.numbered_sgpr, 0
	.set _ZN7rocprim17ROCPRIM_400000_NS6detail17trampoline_kernelINS0_14default_configENS1_27scan_by_key_config_selectorIssEEZZNS1_16scan_by_key_implILNS1_25lookback_scan_determinismE0ELb0ES3_N6thrust23THRUST_200600_302600_NS6detail15normal_iteratorINS9_10device_ptrIsEEEESE_SE_sNS9_4plusIsEE19head_flag_predicatesEE10hipError_tPvRmT2_T3_T4_T5_mT6_T7_P12ihipStream_tbENKUlT_T0_E_clISt17integral_constantIbLb1EESX_IbLb0EEEEDaST_SU_EUlST_E_NS1_11comp_targetILNS1_3genE4ELNS1_11target_archE910ELNS1_3gpuE8ELNS1_3repE0EEENS1_30default_config_static_selectorELNS0_4arch9wavefront6targetE0EEEvT1_.num_named_barrier, 0
	.set _ZN7rocprim17ROCPRIM_400000_NS6detail17trampoline_kernelINS0_14default_configENS1_27scan_by_key_config_selectorIssEEZZNS1_16scan_by_key_implILNS1_25lookback_scan_determinismE0ELb0ES3_N6thrust23THRUST_200600_302600_NS6detail15normal_iteratorINS9_10device_ptrIsEEEESE_SE_sNS9_4plusIsEE19head_flag_predicatesEE10hipError_tPvRmT2_T3_T4_T5_mT6_T7_P12ihipStream_tbENKUlT_T0_E_clISt17integral_constantIbLb1EESX_IbLb0EEEEDaST_SU_EUlST_E_NS1_11comp_targetILNS1_3genE4ELNS1_11target_archE910ELNS1_3gpuE8ELNS1_3repE0EEENS1_30default_config_static_selectorELNS0_4arch9wavefront6targetE0EEEvT1_.private_seg_size, 0
	.set _ZN7rocprim17ROCPRIM_400000_NS6detail17trampoline_kernelINS0_14default_configENS1_27scan_by_key_config_selectorIssEEZZNS1_16scan_by_key_implILNS1_25lookback_scan_determinismE0ELb0ES3_N6thrust23THRUST_200600_302600_NS6detail15normal_iteratorINS9_10device_ptrIsEEEESE_SE_sNS9_4plusIsEE19head_flag_predicatesEE10hipError_tPvRmT2_T3_T4_T5_mT6_T7_P12ihipStream_tbENKUlT_T0_E_clISt17integral_constantIbLb1EESX_IbLb0EEEEDaST_SU_EUlST_E_NS1_11comp_targetILNS1_3genE4ELNS1_11target_archE910ELNS1_3gpuE8ELNS1_3repE0EEENS1_30default_config_static_selectorELNS0_4arch9wavefront6targetE0EEEvT1_.uses_vcc, 0
	.set _ZN7rocprim17ROCPRIM_400000_NS6detail17trampoline_kernelINS0_14default_configENS1_27scan_by_key_config_selectorIssEEZZNS1_16scan_by_key_implILNS1_25lookback_scan_determinismE0ELb0ES3_N6thrust23THRUST_200600_302600_NS6detail15normal_iteratorINS9_10device_ptrIsEEEESE_SE_sNS9_4plusIsEE19head_flag_predicatesEE10hipError_tPvRmT2_T3_T4_T5_mT6_T7_P12ihipStream_tbENKUlT_T0_E_clISt17integral_constantIbLb1EESX_IbLb0EEEEDaST_SU_EUlST_E_NS1_11comp_targetILNS1_3genE4ELNS1_11target_archE910ELNS1_3gpuE8ELNS1_3repE0EEENS1_30default_config_static_selectorELNS0_4arch9wavefront6targetE0EEEvT1_.uses_flat_scratch, 0
	.set _ZN7rocprim17ROCPRIM_400000_NS6detail17trampoline_kernelINS0_14default_configENS1_27scan_by_key_config_selectorIssEEZZNS1_16scan_by_key_implILNS1_25lookback_scan_determinismE0ELb0ES3_N6thrust23THRUST_200600_302600_NS6detail15normal_iteratorINS9_10device_ptrIsEEEESE_SE_sNS9_4plusIsEE19head_flag_predicatesEE10hipError_tPvRmT2_T3_T4_T5_mT6_T7_P12ihipStream_tbENKUlT_T0_E_clISt17integral_constantIbLb1EESX_IbLb0EEEEDaST_SU_EUlST_E_NS1_11comp_targetILNS1_3genE4ELNS1_11target_archE910ELNS1_3gpuE8ELNS1_3repE0EEENS1_30default_config_static_selectorELNS0_4arch9wavefront6targetE0EEEvT1_.has_dyn_sized_stack, 0
	.set _ZN7rocprim17ROCPRIM_400000_NS6detail17trampoline_kernelINS0_14default_configENS1_27scan_by_key_config_selectorIssEEZZNS1_16scan_by_key_implILNS1_25lookback_scan_determinismE0ELb0ES3_N6thrust23THRUST_200600_302600_NS6detail15normal_iteratorINS9_10device_ptrIsEEEESE_SE_sNS9_4plusIsEE19head_flag_predicatesEE10hipError_tPvRmT2_T3_T4_T5_mT6_T7_P12ihipStream_tbENKUlT_T0_E_clISt17integral_constantIbLb1EESX_IbLb0EEEEDaST_SU_EUlST_E_NS1_11comp_targetILNS1_3genE4ELNS1_11target_archE910ELNS1_3gpuE8ELNS1_3repE0EEENS1_30default_config_static_selectorELNS0_4arch9wavefront6targetE0EEEvT1_.has_recursion, 0
	.set _ZN7rocprim17ROCPRIM_400000_NS6detail17trampoline_kernelINS0_14default_configENS1_27scan_by_key_config_selectorIssEEZZNS1_16scan_by_key_implILNS1_25lookback_scan_determinismE0ELb0ES3_N6thrust23THRUST_200600_302600_NS6detail15normal_iteratorINS9_10device_ptrIsEEEESE_SE_sNS9_4plusIsEE19head_flag_predicatesEE10hipError_tPvRmT2_T3_T4_T5_mT6_T7_P12ihipStream_tbENKUlT_T0_E_clISt17integral_constantIbLb1EESX_IbLb0EEEEDaST_SU_EUlST_E_NS1_11comp_targetILNS1_3genE4ELNS1_11target_archE910ELNS1_3gpuE8ELNS1_3repE0EEENS1_30default_config_static_selectorELNS0_4arch9wavefront6targetE0EEEvT1_.has_indirect_call, 0
	.section	.AMDGPU.csdata,"",@progbits
; Kernel info:
; codeLenInByte = 0
; TotalNumSgprs: 0
; NumVgprs: 0
; ScratchSize: 0
; MemoryBound: 0
; FloatMode: 240
; IeeeMode: 1
; LDSByteSize: 0 bytes/workgroup (compile time only)
; SGPRBlocks: 0
; VGPRBlocks: 0
; NumSGPRsForWavesPerEU: 1
; NumVGPRsForWavesPerEU: 1
; Occupancy: 16
; WaveLimiterHint : 0
; COMPUTE_PGM_RSRC2:SCRATCH_EN: 0
; COMPUTE_PGM_RSRC2:USER_SGPR: 6
; COMPUTE_PGM_RSRC2:TRAP_HANDLER: 0
; COMPUTE_PGM_RSRC2:TGID_X_EN: 1
; COMPUTE_PGM_RSRC2:TGID_Y_EN: 0
; COMPUTE_PGM_RSRC2:TGID_Z_EN: 0
; COMPUTE_PGM_RSRC2:TIDIG_COMP_CNT: 0
	.section	.text._ZN7rocprim17ROCPRIM_400000_NS6detail17trampoline_kernelINS0_14default_configENS1_27scan_by_key_config_selectorIssEEZZNS1_16scan_by_key_implILNS1_25lookback_scan_determinismE0ELb0ES3_N6thrust23THRUST_200600_302600_NS6detail15normal_iteratorINS9_10device_ptrIsEEEESE_SE_sNS9_4plusIsEE19head_flag_predicatesEE10hipError_tPvRmT2_T3_T4_T5_mT6_T7_P12ihipStream_tbENKUlT_T0_E_clISt17integral_constantIbLb1EESX_IbLb0EEEEDaST_SU_EUlST_E_NS1_11comp_targetILNS1_3genE3ELNS1_11target_archE908ELNS1_3gpuE7ELNS1_3repE0EEENS1_30default_config_static_selectorELNS0_4arch9wavefront6targetE0EEEvT1_,"axG",@progbits,_ZN7rocprim17ROCPRIM_400000_NS6detail17trampoline_kernelINS0_14default_configENS1_27scan_by_key_config_selectorIssEEZZNS1_16scan_by_key_implILNS1_25lookback_scan_determinismE0ELb0ES3_N6thrust23THRUST_200600_302600_NS6detail15normal_iteratorINS9_10device_ptrIsEEEESE_SE_sNS9_4plusIsEE19head_flag_predicatesEE10hipError_tPvRmT2_T3_T4_T5_mT6_T7_P12ihipStream_tbENKUlT_T0_E_clISt17integral_constantIbLb1EESX_IbLb0EEEEDaST_SU_EUlST_E_NS1_11comp_targetILNS1_3genE3ELNS1_11target_archE908ELNS1_3gpuE7ELNS1_3repE0EEENS1_30default_config_static_selectorELNS0_4arch9wavefront6targetE0EEEvT1_,comdat
	.protected	_ZN7rocprim17ROCPRIM_400000_NS6detail17trampoline_kernelINS0_14default_configENS1_27scan_by_key_config_selectorIssEEZZNS1_16scan_by_key_implILNS1_25lookback_scan_determinismE0ELb0ES3_N6thrust23THRUST_200600_302600_NS6detail15normal_iteratorINS9_10device_ptrIsEEEESE_SE_sNS9_4plusIsEE19head_flag_predicatesEE10hipError_tPvRmT2_T3_T4_T5_mT6_T7_P12ihipStream_tbENKUlT_T0_E_clISt17integral_constantIbLb1EESX_IbLb0EEEEDaST_SU_EUlST_E_NS1_11comp_targetILNS1_3genE3ELNS1_11target_archE908ELNS1_3gpuE7ELNS1_3repE0EEENS1_30default_config_static_selectorELNS0_4arch9wavefront6targetE0EEEvT1_ ; -- Begin function _ZN7rocprim17ROCPRIM_400000_NS6detail17trampoline_kernelINS0_14default_configENS1_27scan_by_key_config_selectorIssEEZZNS1_16scan_by_key_implILNS1_25lookback_scan_determinismE0ELb0ES3_N6thrust23THRUST_200600_302600_NS6detail15normal_iteratorINS9_10device_ptrIsEEEESE_SE_sNS9_4plusIsEE19head_flag_predicatesEE10hipError_tPvRmT2_T3_T4_T5_mT6_T7_P12ihipStream_tbENKUlT_T0_E_clISt17integral_constantIbLb1EESX_IbLb0EEEEDaST_SU_EUlST_E_NS1_11comp_targetILNS1_3genE3ELNS1_11target_archE908ELNS1_3gpuE7ELNS1_3repE0EEENS1_30default_config_static_selectorELNS0_4arch9wavefront6targetE0EEEvT1_
	.globl	_ZN7rocprim17ROCPRIM_400000_NS6detail17trampoline_kernelINS0_14default_configENS1_27scan_by_key_config_selectorIssEEZZNS1_16scan_by_key_implILNS1_25lookback_scan_determinismE0ELb0ES3_N6thrust23THRUST_200600_302600_NS6detail15normal_iteratorINS9_10device_ptrIsEEEESE_SE_sNS9_4plusIsEE19head_flag_predicatesEE10hipError_tPvRmT2_T3_T4_T5_mT6_T7_P12ihipStream_tbENKUlT_T0_E_clISt17integral_constantIbLb1EESX_IbLb0EEEEDaST_SU_EUlST_E_NS1_11comp_targetILNS1_3genE3ELNS1_11target_archE908ELNS1_3gpuE7ELNS1_3repE0EEENS1_30default_config_static_selectorELNS0_4arch9wavefront6targetE0EEEvT1_
	.p2align	8
	.type	_ZN7rocprim17ROCPRIM_400000_NS6detail17trampoline_kernelINS0_14default_configENS1_27scan_by_key_config_selectorIssEEZZNS1_16scan_by_key_implILNS1_25lookback_scan_determinismE0ELb0ES3_N6thrust23THRUST_200600_302600_NS6detail15normal_iteratorINS9_10device_ptrIsEEEESE_SE_sNS9_4plusIsEE19head_flag_predicatesEE10hipError_tPvRmT2_T3_T4_T5_mT6_T7_P12ihipStream_tbENKUlT_T0_E_clISt17integral_constantIbLb1EESX_IbLb0EEEEDaST_SU_EUlST_E_NS1_11comp_targetILNS1_3genE3ELNS1_11target_archE908ELNS1_3gpuE7ELNS1_3repE0EEENS1_30default_config_static_selectorELNS0_4arch9wavefront6targetE0EEEvT1_,@function
_ZN7rocprim17ROCPRIM_400000_NS6detail17trampoline_kernelINS0_14default_configENS1_27scan_by_key_config_selectorIssEEZZNS1_16scan_by_key_implILNS1_25lookback_scan_determinismE0ELb0ES3_N6thrust23THRUST_200600_302600_NS6detail15normal_iteratorINS9_10device_ptrIsEEEESE_SE_sNS9_4plusIsEE19head_flag_predicatesEE10hipError_tPvRmT2_T3_T4_T5_mT6_T7_P12ihipStream_tbENKUlT_T0_E_clISt17integral_constantIbLb1EESX_IbLb0EEEEDaST_SU_EUlST_E_NS1_11comp_targetILNS1_3genE3ELNS1_11target_archE908ELNS1_3gpuE7ELNS1_3repE0EEENS1_30default_config_static_selectorELNS0_4arch9wavefront6targetE0EEEvT1_: ; @_ZN7rocprim17ROCPRIM_400000_NS6detail17trampoline_kernelINS0_14default_configENS1_27scan_by_key_config_selectorIssEEZZNS1_16scan_by_key_implILNS1_25lookback_scan_determinismE0ELb0ES3_N6thrust23THRUST_200600_302600_NS6detail15normal_iteratorINS9_10device_ptrIsEEEESE_SE_sNS9_4plusIsEE19head_flag_predicatesEE10hipError_tPvRmT2_T3_T4_T5_mT6_T7_P12ihipStream_tbENKUlT_T0_E_clISt17integral_constantIbLb1EESX_IbLb0EEEEDaST_SU_EUlST_E_NS1_11comp_targetILNS1_3genE3ELNS1_11target_archE908ELNS1_3gpuE7ELNS1_3repE0EEENS1_30default_config_static_selectorELNS0_4arch9wavefront6targetE0EEEvT1_
; %bb.0:
	.section	.rodata,"a",@progbits
	.p2align	6, 0x0
	.amdhsa_kernel _ZN7rocprim17ROCPRIM_400000_NS6detail17trampoline_kernelINS0_14default_configENS1_27scan_by_key_config_selectorIssEEZZNS1_16scan_by_key_implILNS1_25lookback_scan_determinismE0ELb0ES3_N6thrust23THRUST_200600_302600_NS6detail15normal_iteratorINS9_10device_ptrIsEEEESE_SE_sNS9_4plusIsEE19head_flag_predicatesEE10hipError_tPvRmT2_T3_T4_T5_mT6_T7_P12ihipStream_tbENKUlT_T0_E_clISt17integral_constantIbLb1EESX_IbLb0EEEEDaST_SU_EUlST_E_NS1_11comp_targetILNS1_3genE3ELNS1_11target_archE908ELNS1_3gpuE7ELNS1_3repE0EEENS1_30default_config_static_selectorELNS0_4arch9wavefront6targetE0EEEvT1_
		.amdhsa_group_segment_fixed_size 0
		.amdhsa_private_segment_fixed_size 0
		.amdhsa_kernarg_size 112
		.amdhsa_user_sgpr_count 6
		.amdhsa_user_sgpr_private_segment_buffer 1
		.amdhsa_user_sgpr_dispatch_ptr 0
		.amdhsa_user_sgpr_queue_ptr 0
		.amdhsa_user_sgpr_kernarg_segment_ptr 1
		.amdhsa_user_sgpr_dispatch_id 0
		.amdhsa_user_sgpr_flat_scratch_init 0
		.amdhsa_user_sgpr_private_segment_size 0
		.amdhsa_wavefront_size32 1
		.amdhsa_uses_dynamic_stack 0
		.amdhsa_system_sgpr_private_segment_wavefront_offset 0
		.amdhsa_system_sgpr_workgroup_id_x 1
		.amdhsa_system_sgpr_workgroup_id_y 0
		.amdhsa_system_sgpr_workgroup_id_z 0
		.amdhsa_system_sgpr_workgroup_info 0
		.amdhsa_system_vgpr_workitem_id 0
		.amdhsa_next_free_vgpr 1
		.amdhsa_next_free_sgpr 1
		.amdhsa_reserve_vcc 0
		.amdhsa_reserve_flat_scratch 0
		.amdhsa_float_round_mode_32 0
		.amdhsa_float_round_mode_16_64 0
		.amdhsa_float_denorm_mode_32 3
		.amdhsa_float_denorm_mode_16_64 3
		.amdhsa_dx10_clamp 1
		.amdhsa_ieee_mode 1
		.amdhsa_fp16_overflow 0
		.amdhsa_workgroup_processor_mode 1
		.amdhsa_memory_ordered 1
		.amdhsa_forward_progress 1
		.amdhsa_shared_vgpr_count 0
		.amdhsa_exception_fp_ieee_invalid_op 0
		.amdhsa_exception_fp_denorm_src 0
		.amdhsa_exception_fp_ieee_div_zero 0
		.amdhsa_exception_fp_ieee_overflow 0
		.amdhsa_exception_fp_ieee_underflow 0
		.amdhsa_exception_fp_ieee_inexact 0
		.amdhsa_exception_int_div_zero 0
	.end_amdhsa_kernel
	.section	.text._ZN7rocprim17ROCPRIM_400000_NS6detail17trampoline_kernelINS0_14default_configENS1_27scan_by_key_config_selectorIssEEZZNS1_16scan_by_key_implILNS1_25lookback_scan_determinismE0ELb0ES3_N6thrust23THRUST_200600_302600_NS6detail15normal_iteratorINS9_10device_ptrIsEEEESE_SE_sNS9_4plusIsEE19head_flag_predicatesEE10hipError_tPvRmT2_T3_T4_T5_mT6_T7_P12ihipStream_tbENKUlT_T0_E_clISt17integral_constantIbLb1EESX_IbLb0EEEEDaST_SU_EUlST_E_NS1_11comp_targetILNS1_3genE3ELNS1_11target_archE908ELNS1_3gpuE7ELNS1_3repE0EEENS1_30default_config_static_selectorELNS0_4arch9wavefront6targetE0EEEvT1_,"axG",@progbits,_ZN7rocprim17ROCPRIM_400000_NS6detail17trampoline_kernelINS0_14default_configENS1_27scan_by_key_config_selectorIssEEZZNS1_16scan_by_key_implILNS1_25lookback_scan_determinismE0ELb0ES3_N6thrust23THRUST_200600_302600_NS6detail15normal_iteratorINS9_10device_ptrIsEEEESE_SE_sNS9_4plusIsEE19head_flag_predicatesEE10hipError_tPvRmT2_T3_T4_T5_mT6_T7_P12ihipStream_tbENKUlT_T0_E_clISt17integral_constantIbLb1EESX_IbLb0EEEEDaST_SU_EUlST_E_NS1_11comp_targetILNS1_3genE3ELNS1_11target_archE908ELNS1_3gpuE7ELNS1_3repE0EEENS1_30default_config_static_selectorELNS0_4arch9wavefront6targetE0EEEvT1_,comdat
.Lfunc_end843:
	.size	_ZN7rocprim17ROCPRIM_400000_NS6detail17trampoline_kernelINS0_14default_configENS1_27scan_by_key_config_selectorIssEEZZNS1_16scan_by_key_implILNS1_25lookback_scan_determinismE0ELb0ES3_N6thrust23THRUST_200600_302600_NS6detail15normal_iteratorINS9_10device_ptrIsEEEESE_SE_sNS9_4plusIsEE19head_flag_predicatesEE10hipError_tPvRmT2_T3_T4_T5_mT6_T7_P12ihipStream_tbENKUlT_T0_E_clISt17integral_constantIbLb1EESX_IbLb0EEEEDaST_SU_EUlST_E_NS1_11comp_targetILNS1_3genE3ELNS1_11target_archE908ELNS1_3gpuE7ELNS1_3repE0EEENS1_30default_config_static_selectorELNS0_4arch9wavefront6targetE0EEEvT1_, .Lfunc_end843-_ZN7rocprim17ROCPRIM_400000_NS6detail17trampoline_kernelINS0_14default_configENS1_27scan_by_key_config_selectorIssEEZZNS1_16scan_by_key_implILNS1_25lookback_scan_determinismE0ELb0ES3_N6thrust23THRUST_200600_302600_NS6detail15normal_iteratorINS9_10device_ptrIsEEEESE_SE_sNS9_4plusIsEE19head_flag_predicatesEE10hipError_tPvRmT2_T3_T4_T5_mT6_T7_P12ihipStream_tbENKUlT_T0_E_clISt17integral_constantIbLb1EESX_IbLb0EEEEDaST_SU_EUlST_E_NS1_11comp_targetILNS1_3genE3ELNS1_11target_archE908ELNS1_3gpuE7ELNS1_3repE0EEENS1_30default_config_static_selectorELNS0_4arch9wavefront6targetE0EEEvT1_
                                        ; -- End function
	.set _ZN7rocprim17ROCPRIM_400000_NS6detail17trampoline_kernelINS0_14default_configENS1_27scan_by_key_config_selectorIssEEZZNS1_16scan_by_key_implILNS1_25lookback_scan_determinismE0ELb0ES3_N6thrust23THRUST_200600_302600_NS6detail15normal_iteratorINS9_10device_ptrIsEEEESE_SE_sNS9_4plusIsEE19head_flag_predicatesEE10hipError_tPvRmT2_T3_T4_T5_mT6_T7_P12ihipStream_tbENKUlT_T0_E_clISt17integral_constantIbLb1EESX_IbLb0EEEEDaST_SU_EUlST_E_NS1_11comp_targetILNS1_3genE3ELNS1_11target_archE908ELNS1_3gpuE7ELNS1_3repE0EEENS1_30default_config_static_selectorELNS0_4arch9wavefront6targetE0EEEvT1_.num_vgpr, 0
	.set _ZN7rocprim17ROCPRIM_400000_NS6detail17trampoline_kernelINS0_14default_configENS1_27scan_by_key_config_selectorIssEEZZNS1_16scan_by_key_implILNS1_25lookback_scan_determinismE0ELb0ES3_N6thrust23THRUST_200600_302600_NS6detail15normal_iteratorINS9_10device_ptrIsEEEESE_SE_sNS9_4plusIsEE19head_flag_predicatesEE10hipError_tPvRmT2_T3_T4_T5_mT6_T7_P12ihipStream_tbENKUlT_T0_E_clISt17integral_constantIbLb1EESX_IbLb0EEEEDaST_SU_EUlST_E_NS1_11comp_targetILNS1_3genE3ELNS1_11target_archE908ELNS1_3gpuE7ELNS1_3repE0EEENS1_30default_config_static_selectorELNS0_4arch9wavefront6targetE0EEEvT1_.num_agpr, 0
	.set _ZN7rocprim17ROCPRIM_400000_NS6detail17trampoline_kernelINS0_14default_configENS1_27scan_by_key_config_selectorIssEEZZNS1_16scan_by_key_implILNS1_25lookback_scan_determinismE0ELb0ES3_N6thrust23THRUST_200600_302600_NS6detail15normal_iteratorINS9_10device_ptrIsEEEESE_SE_sNS9_4plusIsEE19head_flag_predicatesEE10hipError_tPvRmT2_T3_T4_T5_mT6_T7_P12ihipStream_tbENKUlT_T0_E_clISt17integral_constantIbLb1EESX_IbLb0EEEEDaST_SU_EUlST_E_NS1_11comp_targetILNS1_3genE3ELNS1_11target_archE908ELNS1_3gpuE7ELNS1_3repE0EEENS1_30default_config_static_selectorELNS0_4arch9wavefront6targetE0EEEvT1_.numbered_sgpr, 0
	.set _ZN7rocprim17ROCPRIM_400000_NS6detail17trampoline_kernelINS0_14default_configENS1_27scan_by_key_config_selectorIssEEZZNS1_16scan_by_key_implILNS1_25lookback_scan_determinismE0ELb0ES3_N6thrust23THRUST_200600_302600_NS6detail15normal_iteratorINS9_10device_ptrIsEEEESE_SE_sNS9_4plusIsEE19head_flag_predicatesEE10hipError_tPvRmT2_T3_T4_T5_mT6_T7_P12ihipStream_tbENKUlT_T0_E_clISt17integral_constantIbLb1EESX_IbLb0EEEEDaST_SU_EUlST_E_NS1_11comp_targetILNS1_3genE3ELNS1_11target_archE908ELNS1_3gpuE7ELNS1_3repE0EEENS1_30default_config_static_selectorELNS0_4arch9wavefront6targetE0EEEvT1_.num_named_barrier, 0
	.set _ZN7rocprim17ROCPRIM_400000_NS6detail17trampoline_kernelINS0_14default_configENS1_27scan_by_key_config_selectorIssEEZZNS1_16scan_by_key_implILNS1_25lookback_scan_determinismE0ELb0ES3_N6thrust23THRUST_200600_302600_NS6detail15normal_iteratorINS9_10device_ptrIsEEEESE_SE_sNS9_4plusIsEE19head_flag_predicatesEE10hipError_tPvRmT2_T3_T4_T5_mT6_T7_P12ihipStream_tbENKUlT_T0_E_clISt17integral_constantIbLb1EESX_IbLb0EEEEDaST_SU_EUlST_E_NS1_11comp_targetILNS1_3genE3ELNS1_11target_archE908ELNS1_3gpuE7ELNS1_3repE0EEENS1_30default_config_static_selectorELNS0_4arch9wavefront6targetE0EEEvT1_.private_seg_size, 0
	.set _ZN7rocprim17ROCPRIM_400000_NS6detail17trampoline_kernelINS0_14default_configENS1_27scan_by_key_config_selectorIssEEZZNS1_16scan_by_key_implILNS1_25lookback_scan_determinismE0ELb0ES3_N6thrust23THRUST_200600_302600_NS6detail15normal_iteratorINS9_10device_ptrIsEEEESE_SE_sNS9_4plusIsEE19head_flag_predicatesEE10hipError_tPvRmT2_T3_T4_T5_mT6_T7_P12ihipStream_tbENKUlT_T0_E_clISt17integral_constantIbLb1EESX_IbLb0EEEEDaST_SU_EUlST_E_NS1_11comp_targetILNS1_3genE3ELNS1_11target_archE908ELNS1_3gpuE7ELNS1_3repE0EEENS1_30default_config_static_selectorELNS0_4arch9wavefront6targetE0EEEvT1_.uses_vcc, 0
	.set _ZN7rocprim17ROCPRIM_400000_NS6detail17trampoline_kernelINS0_14default_configENS1_27scan_by_key_config_selectorIssEEZZNS1_16scan_by_key_implILNS1_25lookback_scan_determinismE0ELb0ES3_N6thrust23THRUST_200600_302600_NS6detail15normal_iteratorINS9_10device_ptrIsEEEESE_SE_sNS9_4plusIsEE19head_flag_predicatesEE10hipError_tPvRmT2_T3_T4_T5_mT6_T7_P12ihipStream_tbENKUlT_T0_E_clISt17integral_constantIbLb1EESX_IbLb0EEEEDaST_SU_EUlST_E_NS1_11comp_targetILNS1_3genE3ELNS1_11target_archE908ELNS1_3gpuE7ELNS1_3repE0EEENS1_30default_config_static_selectorELNS0_4arch9wavefront6targetE0EEEvT1_.uses_flat_scratch, 0
	.set _ZN7rocprim17ROCPRIM_400000_NS6detail17trampoline_kernelINS0_14default_configENS1_27scan_by_key_config_selectorIssEEZZNS1_16scan_by_key_implILNS1_25lookback_scan_determinismE0ELb0ES3_N6thrust23THRUST_200600_302600_NS6detail15normal_iteratorINS9_10device_ptrIsEEEESE_SE_sNS9_4plusIsEE19head_flag_predicatesEE10hipError_tPvRmT2_T3_T4_T5_mT6_T7_P12ihipStream_tbENKUlT_T0_E_clISt17integral_constantIbLb1EESX_IbLb0EEEEDaST_SU_EUlST_E_NS1_11comp_targetILNS1_3genE3ELNS1_11target_archE908ELNS1_3gpuE7ELNS1_3repE0EEENS1_30default_config_static_selectorELNS0_4arch9wavefront6targetE0EEEvT1_.has_dyn_sized_stack, 0
	.set _ZN7rocprim17ROCPRIM_400000_NS6detail17trampoline_kernelINS0_14default_configENS1_27scan_by_key_config_selectorIssEEZZNS1_16scan_by_key_implILNS1_25lookback_scan_determinismE0ELb0ES3_N6thrust23THRUST_200600_302600_NS6detail15normal_iteratorINS9_10device_ptrIsEEEESE_SE_sNS9_4plusIsEE19head_flag_predicatesEE10hipError_tPvRmT2_T3_T4_T5_mT6_T7_P12ihipStream_tbENKUlT_T0_E_clISt17integral_constantIbLb1EESX_IbLb0EEEEDaST_SU_EUlST_E_NS1_11comp_targetILNS1_3genE3ELNS1_11target_archE908ELNS1_3gpuE7ELNS1_3repE0EEENS1_30default_config_static_selectorELNS0_4arch9wavefront6targetE0EEEvT1_.has_recursion, 0
	.set _ZN7rocprim17ROCPRIM_400000_NS6detail17trampoline_kernelINS0_14default_configENS1_27scan_by_key_config_selectorIssEEZZNS1_16scan_by_key_implILNS1_25lookback_scan_determinismE0ELb0ES3_N6thrust23THRUST_200600_302600_NS6detail15normal_iteratorINS9_10device_ptrIsEEEESE_SE_sNS9_4plusIsEE19head_flag_predicatesEE10hipError_tPvRmT2_T3_T4_T5_mT6_T7_P12ihipStream_tbENKUlT_T0_E_clISt17integral_constantIbLb1EESX_IbLb0EEEEDaST_SU_EUlST_E_NS1_11comp_targetILNS1_3genE3ELNS1_11target_archE908ELNS1_3gpuE7ELNS1_3repE0EEENS1_30default_config_static_selectorELNS0_4arch9wavefront6targetE0EEEvT1_.has_indirect_call, 0
	.section	.AMDGPU.csdata,"",@progbits
; Kernel info:
; codeLenInByte = 0
; TotalNumSgprs: 0
; NumVgprs: 0
; ScratchSize: 0
; MemoryBound: 0
; FloatMode: 240
; IeeeMode: 1
; LDSByteSize: 0 bytes/workgroup (compile time only)
; SGPRBlocks: 0
; VGPRBlocks: 0
; NumSGPRsForWavesPerEU: 1
; NumVGPRsForWavesPerEU: 1
; Occupancy: 16
; WaveLimiterHint : 0
; COMPUTE_PGM_RSRC2:SCRATCH_EN: 0
; COMPUTE_PGM_RSRC2:USER_SGPR: 6
; COMPUTE_PGM_RSRC2:TRAP_HANDLER: 0
; COMPUTE_PGM_RSRC2:TGID_X_EN: 1
; COMPUTE_PGM_RSRC2:TGID_Y_EN: 0
; COMPUTE_PGM_RSRC2:TGID_Z_EN: 0
; COMPUTE_PGM_RSRC2:TIDIG_COMP_CNT: 0
	.section	.text._ZN7rocprim17ROCPRIM_400000_NS6detail17trampoline_kernelINS0_14default_configENS1_27scan_by_key_config_selectorIssEEZZNS1_16scan_by_key_implILNS1_25lookback_scan_determinismE0ELb0ES3_N6thrust23THRUST_200600_302600_NS6detail15normal_iteratorINS9_10device_ptrIsEEEESE_SE_sNS9_4plusIsEE19head_flag_predicatesEE10hipError_tPvRmT2_T3_T4_T5_mT6_T7_P12ihipStream_tbENKUlT_T0_E_clISt17integral_constantIbLb1EESX_IbLb0EEEEDaST_SU_EUlST_E_NS1_11comp_targetILNS1_3genE2ELNS1_11target_archE906ELNS1_3gpuE6ELNS1_3repE0EEENS1_30default_config_static_selectorELNS0_4arch9wavefront6targetE0EEEvT1_,"axG",@progbits,_ZN7rocprim17ROCPRIM_400000_NS6detail17trampoline_kernelINS0_14default_configENS1_27scan_by_key_config_selectorIssEEZZNS1_16scan_by_key_implILNS1_25lookback_scan_determinismE0ELb0ES3_N6thrust23THRUST_200600_302600_NS6detail15normal_iteratorINS9_10device_ptrIsEEEESE_SE_sNS9_4plusIsEE19head_flag_predicatesEE10hipError_tPvRmT2_T3_T4_T5_mT6_T7_P12ihipStream_tbENKUlT_T0_E_clISt17integral_constantIbLb1EESX_IbLb0EEEEDaST_SU_EUlST_E_NS1_11comp_targetILNS1_3genE2ELNS1_11target_archE906ELNS1_3gpuE6ELNS1_3repE0EEENS1_30default_config_static_selectorELNS0_4arch9wavefront6targetE0EEEvT1_,comdat
	.protected	_ZN7rocprim17ROCPRIM_400000_NS6detail17trampoline_kernelINS0_14default_configENS1_27scan_by_key_config_selectorIssEEZZNS1_16scan_by_key_implILNS1_25lookback_scan_determinismE0ELb0ES3_N6thrust23THRUST_200600_302600_NS6detail15normal_iteratorINS9_10device_ptrIsEEEESE_SE_sNS9_4plusIsEE19head_flag_predicatesEE10hipError_tPvRmT2_T3_T4_T5_mT6_T7_P12ihipStream_tbENKUlT_T0_E_clISt17integral_constantIbLb1EESX_IbLb0EEEEDaST_SU_EUlST_E_NS1_11comp_targetILNS1_3genE2ELNS1_11target_archE906ELNS1_3gpuE6ELNS1_3repE0EEENS1_30default_config_static_selectorELNS0_4arch9wavefront6targetE0EEEvT1_ ; -- Begin function _ZN7rocprim17ROCPRIM_400000_NS6detail17trampoline_kernelINS0_14default_configENS1_27scan_by_key_config_selectorIssEEZZNS1_16scan_by_key_implILNS1_25lookback_scan_determinismE0ELb0ES3_N6thrust23THRUST_200600_302600_NS6detail15normal_iteratorINS9_10device_ptrIsEEEESE_SE_sNS9_4plusIsEE19head_flag_predicatesEE10hipError_tPvRmT2_T3_T4_T5_mT6_T7_P12ihipStream_tbENKUlT_T0_E_clISt17integral_constantIbLb1EESX_IbLb0EEEEDaST_SU_EUlST_E_NS1_11comp_targetILNS1_3genE2ELNS1_11target_archE906ELNS1_3gpuE6ELNS1_3repE0EEENS1_30default_config_static_selectorELNS0_4arch9wavefront6targetE0EEEvT1_
	.globl	_ZN7rocprim17ROCPRIM_400000_NS6detail17trampoline_kernelINS0_14default_configENS1_27scan_by_key_config_selectorIssEEZZNS1_16scan_by_key_implILNS1_25lookback_scan_determinismE0ELb0ES3_N6thrust23THRUST_200600_302600_NS6detail15normal_iteratorINS9_10device_ptrIsEEEESE_SE_sNS9_4plusIsEE19head_flag_predicatesEE10hipError_tPvRmT2_T3_T4_T5_mT6_T7_P12ihipStream_tbENKUlT_T0_E_clISt17integral_constantIbLb1EESX_IbLb0EEEEDaST_SU_EUlST_E_NS1_11comp_targetILNS1_3genE2ELNS1_11target_archE906ELNS1_3gpuE6ELNS1_3repE0EEENS1_30default_config_static_selectorELNS0_4arch9wavefront6targetE0EEEvT1_
	.p2align	8
	.type	_ZN7rocprim17ROCPRIM_400000_NS6detail17trampoline_kernelINS0_14default_configENS1_27scan_by_key_config_selectorIssEEZZNS1_16scan_by_key_implILNS1_25lookback_scan_determinismE0ELb0ES3_N6thrust23THRUST_200600_302600_NS6detail15normal_iteratorINS9_10device_ptrIsEEEESE_SE_sNS9_4plusIsEE19head_flag_predicatesEE10hipError_tPvRmT2_T3_T4_T5_mT6_T7_P12ihipStream_tbENKUlT_T0_E_clISt17integral_constantIbLb1EESX_IbLb0EEEEDaST_SU_EUlST_E_NS1_11comp_targetILNS1_3genE2ELNS1_11target_archE906ELNS1_3gpuE6ELNS1_3repE0EEENS1_30default_config_static_selectorELNS0_4arch9wavefront6targetE0EEEvT1_,@function
_ZN7rocprim17ROCPRIM_400000_NS6detail17trampoline_kernelINS0_14default_configENS1_27scan_by_key_config_selectorIssEEZZNS1_16scan_by_key_implILNS1_25lookback_scan_determinismE0ELb0ES3_N6thrust23THRUST_200600_302600_NS6detail15normal_iteratorINS9_10device_ptrIsEEEESE_SE_sNS9_4plusIsEE19head_flag_predicatesEE10hipError_tPvRmT2_T3_T4_T5_mT6_T7_P12ihipStream_tbENKUlT_T0_E_clISt17integral_constantIbLb1EESX_IbLb0EEEEDaST_SU_EUlST_E_NS1_11comp_targetILNS1_3genE2ELNS1_11target_archE906ELNS1_3gpuE6ELNS1_3repE0EEENS1_30default_config_static_selectorELNS0_4arch9wavefront6targetE0EEEvT1_: ; @_ZN7rocprim17ROCPRIM_400000_NS6detail17trampoline_kernelINS0_14default_configENS1_27scan_by_key_config_selectorIssEEZZNS1_16scan_by_key_implILNS1_25lookback_scan_determinismE0ELb0ES3_N6thrust23THRUST_200600_302600_NS6detail15normal_iteratorINS9_10device_ptrIsEEEESE_SE_sNS9_4plusIsEE19head_flag_predicatesEE10hipError_tPvRmT2_T3_T4_T5_mT6_T7_P12ihipStream_tbENKUlT_T0_E_clISt17integral_constantIbLb1EESX_IbLb0EEEEDaST_SU_EUlST_E_NS1_11comp_targetILNS1_3genE2ELNS1_11target_archE906ELNS1_3gpuE6ELNS1_3repE0EEENS1_30default_config_static_selectorELNS0_4arch9wavefront6targetE0EEEvT1_
; %bb.0:
	.section	.rodata,"a",@progbits
	.p2align	6, 0x0
	.amdhsa_kernel _ZN7rocprim17ROCPRIM_400000_NS6detail17trampoline_kernelINS0_14default_configENS1_27scan_by_key_config_selectorIssEEZZNS1_16scan_by_key_implILNS1_25lookback_scan_determinismE0ELb0ES3_N6thrust23THRUST_200600_302600_NS6detail15normal_iteratorINS9_10device_ptrIsEEEESE_SE_sNS9_4plusIsEE19head_flag_predicatesEE10hipError_tPvRmT2_T3_T4_T5_mT6_T7_P12ihipStream_tbENKUlT_T0_E_clISt17integral_constantIbLb1EESX_IbLb0EEEEDaST_SU_EUlST_E_NS1_11comp_targetILNS1_3genE2ELNS1_11target_archE906ELNS1_3gpuE6ELNS1_3repE0EEENS1_30default_config_static_selectorELNS0_4arch9wavefront6targetE0EEEvT1_
		.amdhsa_group_segment_fixed_size 0
		.amdhsa_private_segment_fixed_size 0
		.amdhsa_kernarg_size 112
		.amdhsa_user_sgpr_count 6
		.amdhsa_user_sgpr_private_segment_buffer 1
		.amdhsa_user_sgpr_dispatch_ptr 0
		.amdhsa_user_sgpr_queue_ptr 0
		.amdhsa_user_sgpr_kernarg_segment_ptr 1
		.amdhsa_user_sgpr_dispatch_id 0
		.amdhsa_user_sgpr_flat_scratch_init 0
		.amdhsa_user_sgpr_private_segment_size 0
		.amdhsa_wavefront_size32 1
		.amdhsa_uses_dynamic_stack 0
		.amdhsa_system_sgpr_private_segment_wavefront_offset 0
		.amdhsa_system_sgpr_workgroup_id_x 1
		.amdhsa_system_sgpr_workgroup_id_y 0
		.amdhsa_system_sgpr_workgroup_id_z 0
		.amdhsa_system_sgpr_workgroup_info 0
		.amdhsa_system_vgpr_workitem_id 0
		.amdhsa_next_free_vgpr 1
		.amdhsa_next_free_sgpr 1
		.amdhsa_reserve_vcc 0
		.amdhsa_reserve_flat_scratch 0
		.amdhsa_float_round_mode_32 0
		.amdhsa_float_round_mode_16_64 0
		.amdhsa_float_denorm_mode_32 3
		.amdhsa_float_denorm_mode_16_64 3
		.amdhsa_dx10_clamp 1
		.amdhsa_ieee_mode 1
		.amdhsa_fp16_overflow 0
		.amdhsa_workgroup_processor_mode 1
		.amdhsa_memory_ordered 1
		.amdhsa_forward_progress 1
		.amdhsa_shared_vgpr_count 0
		.amdhsa_exception_fp_ieee_invalid_op 0
		.amdhsa_exception_fp_denorm_src 0
		.amdhsa_exception_fp_ieee_div_zero 0
		.amdhsa_exception_fp_ieee_overflow 0
		.amdhsa_exception_fp_ieee_underflow 0
		.amdhsa_exception_fp_ieee_inexact 0
		.amdhsa_exception_int_div_zero 0
	.end_amdhsa_kernel
	.section	.text._ZN7rocprim17ROCPRIM_400000_NS6detail17trampoline_kernelINS0_14default_configENS1_27scan_by_key_config_selectorIssEEZZNS1_16scan_by_key_implILNS1_25lookback_scan_determinismE0ELb0ES3_N6thrust23THRUST_200600_302600_NS6detail15normal_iteratorINS9_10device_ptrIsEEEESE_SE_sNS9_4plusIsEE19head_flag_predicatesEE10hipError_tPvRmT2_T3_T4_T5_mT6_T7_P12ihipStream_tbENKUlT_T0_E_clISt17integral_constantIbLb1EESX_IbLb0EEEEDaST_SU_EUlST_E_NS1_11comp_targetILNS1_3genE2ELNS1_11target_archE906ELNS1_3gpuE6ELNS1_3repE0EEENS1_30default_config_static_selectorELNS0_4arch9wavefront6targetE0EEEvT1_,"axG",@progbits,_ZN7rocprim17ROCPRIM_400000_NS6detail17trampoline_kernelINS0_14default_configENS1_27scan_by_key_config_selectorIssEEZZNS1_16scan_by_key_implILNS1_25lookback_scan_determinismE0ELb0ES3_N6thrust23THRUST_200600_302600_NS6detail15normal_iteratorINS9_10device_ptrIsEEEESE_SE_sNS9_4plusIsEE19head_flag_predicatesEE10hipError_tPvRmT2_T3_T4_T5_mT6_T7_P12ihipStream_tbENKUlT_T0_E_clISt17integral_constantIbLb1EESX_IbLb0EEEEDaST_SU_EUlST_E_NS1_11comp_targetILNS1_3genE2ELNS1_11target_archE906ELNS1_3gpuE6ELNS1_3repE0EEENS1_30default_config_static_selectorELNS0_4arch9wavefront6targetE0EEEvT1_,comdat
.Lfunc_end844:
	.size	_ZN7rocprim17ROCPRIM_400000_NS6detail17trampoline_kernelINS0_14default_configENS1_27scan_by_key_config_selectorIssEEZZNS1_16scan_by_key_implILNS1_25lookback_scan_determinismE0ELb0ES3_N6thrust23THRUST_200600_302600_NS6detail15normal_iteratorINS9_10device_ptrIsEEEESE_SE_sNS9_4plusIsEE19head_flag_predicatesEE10hipError_tPvRmT2_T3_T4_T5_mT6_T7_P12ihipStream_tbENKUlT_T0_E_clISt17integral_constantIbLb1EESX_IbLb0EEEEDaST_SU_EUlST_E_NS1_11comp_targetILNS1_3genE2ELNS1_11target_archE906ELNS1_3gpuE6ELNS1_3repE0EEENS1_30default_config_static_selectorELNS0_4arch9wavefront6targetE0EEEvT1_, .Lfunc_end844-_ZN7rocprim17ROCPRIM_400000_NS6detail17trampoline_kernelINS0_14default_configENS1_27scan_by_key_config_selectorIssEEZZNS1_16scan_by_key_implILNS1_25lookback_scan_determinismE0ELb0ES3_N6thrust23THRUST_200600_302600_NS6detail15normal_iteratorINS9_10device_ptrIsEEEESE_SE_sNS9_4plusIsEE19head_flag_predicatesEE10hipError_tPvRmT2_T3_T4_T5_mT6_T7_P12ihipStream_tbENKUlT_T0_E_clISt17integral_constantIbLb1EESX_IbLb0EEEEDaST_SU_EUlST_E_NS1_11comp_targetILNS1_3genE2ELNS1_11target_archE906ELNS1_3gpuE6ELNS1_3repE0EEENS1_30default_config_static_selectorELNS0_4arch9wavefront6targetE0EEEvT1_
                                        ; -- End function
	.set _ZN7rocprim17ROCPRIM_400000_NS6detail17trampoline_kernelINS0_14default_configENS1_27scan_by_key_config_selectorIssEEZZNS1_16scan_by_key_implILNS1_25lookback_scan_determinismE0ELb0ES3_N6thrust23THRUST_200600_302600_NS6detail15normal_iteratorINS9_10device_ptrIsEEEESE_SE_sNS9_4plusIsEE19head_flag_predicatesEE10hipError_tPvRmT2_T3_T4_T5_mT6_T7_P12ihipStream_tbENKUlT_T0_E_clISt17integral_constantIbLb1EESX_IbLb0EEEEDaST_SU_EUlST_E_NS1_11comp_targetILNS1_3genE2ELNS1_11target_archE906ELNS1_3gpuE6ELNS1_3repE0EEENS1_30default_config_static_selectorELNS0_4arch9wavefront6targetE0EEEvT1_.num_vgpr, 0
	.set _ZN7rocprim17ROCPRIM_400000_NS6detail17trampoline_kernelINS0_14default_configENS1_27scan_by_key_config_selectorIssEEZZNS1_16scan_by_key_implILNS1_25lookback_scan_determinismE0ELb0ES3_N6thrust23THRUST_200600_302600_NS6detail15normal_iteratorINS9_10device_ptrIsEEEESE_SE_sNS9_4plusIsEE19head_flag_predicatesEE10hipError_tPvRmT2_T3_T4_T5_mT6_T7_P12ihipStream_tbENKUlT_T0_E_clISt17integral_constantIbLb1EESX_IbLb0EEEEDaST_SU_EUlST_E_NS1_11comp_targetILNS1_3genE2ELNS1_11target_archE906ELNS1_3gpuE6ELNS1_3repE0EEENS1_30default_config_static_selectorELNS0_4arch9wavefront6targetE0EEEvT1_.num_agpr, 0
	.set _ZN7rocprim17ROCPRIM_400000_NS6detail17trampoline_kernelINS0_14default_configENS1_27scan_by_key_config_selectorIssEEZZNS1_16scan_by_key_implILNS1_25lookback_scan_determinismE0ELb0ES3_N6thrust23THRUST_200600_302600_NS6detail15normal_iteratorINS9_10device_ptrIsEEEESE_SE_sNS9_4plusIsEE19head_flag_predicatesEE10hipError_tPvRmT2_T3_T4_T5_mT6_T7_P12ihipStream_tbENKUlT_T0_E_clISt17integral_constantIbLb1EESX_IbLb0EEEEDaST_SU_EUlST_E_NS1_11comp_targetILNS1_3genE2ELNS1_11target_archE906ELNS1_3gpuE6ELNS1_3repE0EEENS1_30default_config_static_selectorELNS0_4arch9wavefront6targetE0EEEvT1_.numbered_sgpr, 0
	.set _ZN7rocprim17ROCPRIM_400000_NS6detail17trampoline_kernelINS0_14default_configENS1_27scan_by_key_config_selectorIssEEZZNS1_16scan_by_key_implILNS1_25lookback_scan_determinismE0ELb0ES3_N6thrust23THRUST_200600_302600_NS6detail15normal_iteratorINS9_10device_ptrIsEEEESE_SE_sNS9_4plusIsEE19head_flag_predicatesEE10hipError_tPvRmT2_T3_T4_T5_mT6_T7_P12ihipStream_tbENKUlT_T0_E_clISt17integral_constantIbLb1EESX_IbLb0EEEEDaST_SU_EUlST_E_NS1_11comp_targetILNS1_3genE2ELNS1_11target_archE906ELNS1_3gpuE6ELNS1_3repE0EEENS1_30default_config_static_selectorELNS0_4arch9wavefront6targetE0EEEvT1_.num_named_barrier, 0
	.set _ZN7rocprim17ROCPRIM_400000_NS6detail17trampoline_kernelINS0_14default_configENS1_27scan_by_key_config_selectorIssEEZZNS1_16scan_by_key_implILNS1_25lookback_scan_determinismE0ELb0ES3_N6thrust23THRUST_200600_302600_NS6detail15normal_iteratorINS9_10device_ptrIsEEEESE_SE_sNS9_4plusIsEE19head_flag_predicatesEE10hipError_tPvRmT2_T3_T4_T5_mT6_T7_P12ihipStream_tbENKUlT_T0_E_clISt17integral_constantIbLb1EESX_IbLb0EEEEDaST_SU_EUlST_E_NS1_11comp_targetILNS1_3genE2ELNS1_11target_archE906ELNS1_3gpuE6ELNS1_3repE0EEENS1_30default_config_static_selectorELNS0_4arch9wavefront6targetE0EEEvT1_.private_seg_size, 0
	.set _ZN7rocprim17ROCPRIM_400000_NS6detail17trampoline_kernelINS0_14default_configENS1_27scan_by_key_config_selectorIssEEZZNS1_16scan_by_key_implILNS1_25lookback_scan_determinismE0ELb0ES3_N6thrust23THRUST_200600_302600_NS6detail15normal_iteratorINS9_10device_ptrIsEEEESE_SE_sNS9_4plusIsEE19head_flag_predicatesEE10hipError_tPvRmT2_T3_T4_T5_mT6_T7_P12ihipStream_tbENKUlT_T0_E_clISt17integral_constantIbLb1EESX_IbLb0EEEEDaST_SU_EUlST_E_NS1_11comp_targetILNS1_3genE2ELNS1_11target_archE906ELNS1_3gpuE6ELNS1_3repE0EEENS1_30default_config_static_selectorELNS0_4arch9wavefront6targetE0EEEvT1_.uses_vcc, 0
	.set _ZN7rocprim17ROCPRIM_400000_NS6detail17trampoline_kernelINS0_14default_configENS1_27scan_by_key_config_selectorIssEEZZNS1_16scan_by_key_implILNS1_25lookback_scan_determinismE0ELb0ES3_N6thrust23THRUST_200600_302600_NS6detail15normal_iteratorINS9_10device_ptrIsEEEESE_SE_sNS9_4plusIsEE19head_flag_predicatesEE10hipError_tPvRmT2_T3_T4_T5_mT6_T7_P12ihipStream_tbENKUlT_T0_E_clISt17integral_constantIbLb1EESX_IbLb0EEEEDaST_SU_EUlST_E_NS1_11comp_targetILNS1_3genE2ELNS1_11target_archE906ELNS1_3gpuE6ELNS1_3repE0EEENS1_30default_config_static_selectorELNS0_4arch9wavefront6targetE0EEEvT1_.uses_flat_scratch, 0
	.set _ZN7rocprim17ROCPRIM_400000_NS6detail17trampoline_kernelINS0_14default_configENS1_27scan_by_key_config_selectorIssEEZZNS1_16scan_by_key_implILNS1_25lookback_scan_determinismE0ELb0ES3_N6thrust23THRUST_200600_302600_NS6detail15normal_iteratorINS9_10device_ptrIsEEEESE_SE_sNS9_4plusIsEE19head_flag_predicatesEE10hipError_tPvRmT2_T3_T4_T5_mT6_T7_P12ihipStream_tbENKUlT_T0_E_clISt17integral_constantIbLb1EESX_IbLb0EEEEDaST_SU_EUlST_E_NS1_11comp_targetILNS1_3genE2ELNS1_11target_archE906ELNS1_3gpuE6ELNS1_3repE0EEENS1_30default_config_static_selectorELNS0_4arch9wavefront6targetE0EEEvT1_.has_dyn_sized_stack, 0
	.set _ZN7rocprim17ROCPRIM_400000_NS6detail17trampoline_kernelINS0_14default_configENS1_27scan_by_key_config_selectorIssEEZZNS1_16scan_by_key_implILNS1_25lookback_scan_determinismE0ELb0ES3_N6thrust23THRUST_200600_302600_NS6detail15normal_iteratorINS9_10device_ptrIsEEEESE_SE_sNS9_4plusIsEE19head_flag_predicatesEE10hipError_tPvRmT2_T3_T4_T5_mT6_T7_P12ihipStream_tbENKUlT_T0_E_clISt17integral_constantIbLb1EESX_IbLb0EEEEDaST_SU_EUlST_E_NS1_11comp_targetILNS1_3genE2ELNS1_11target_archE906ELNS1_3gpuE6ELNS1_3repE0EEENS1_30default_config_static_selectorELNS0_4arch9wavefront6targetE0EEEvT1_.has_recursion, 0
	.set _ZN7rocprim17ROCPRIM_400000_NS6detail17trampoline_kernelINS0_14default_configENS1_27scan_by_key_config_selectorIssEEZZNS1_16scan_by_key_implILNS1_25lookback_scan_determinismE0ELb0ES3_N6thrust23THRUST_200600_302600_NS6detail15normal_iteratorINS9_10device_ptrIsEEEESE_SE_sNS9_4plusIsEE19head_flag_predicatesEE10hipError_tPvRmT2_T3_T4_T5_mT6_T7_P12ihipStream_tbENKUlT_T0_E_clISt17integral_constantIbLb1EESX_IbLb0EEEEDaST_SU_EUlST_E_NS1_11comp_targetILNS1_3genE2ELNS1_11target_archE906ELNS1_3gpuE6ELNS1_3repE0EEENS1_30default_config_static_selectorELNS0_4arch9wavefront6targetE0EEEvT1_.has_indirect_call, 0
	.section	.AMDGPU.csdata,"",@progbits
; Kernel info:
; codeLenInByte = 0
; TotalNumSgprs: 0
; NumVgprs: 0
; ScratchSize: 0
; MemoryBound: 0
; FloatMode: 240
; IeeeMode: 1
; LDSByteSize: 0 bytes/workgroup (compile time only)
; SGPRBlocks: 0
; VGPRBlocks: 0
; NumSGPRsForWavesPerEU: 1
; NumVGPRsForWavesPerEU: 1
; Occupancy: 16
; WaveLimiterHint : 0
; COMPUTE_PGM_RSRC2:SCRATCH_EN: 0
; COMPUTE_PGM_RSRC2:USER_SGPR: 6
; COMPUTE_PGM_RSRC2:TRAP_HANDLER: 0
; COMPUTE_PGM_RSRC2:TGID_X_EN: 1
; COMPUTE_PGM_RSRC2:TGID_Y_EN: 0
; COMPUTE_PGM_RSRC2:TGID_Z_EN: 0
; COMPUTE_PGM_RSRC2:TIDIG_COMP_CNT: 0
	.section	.text._ZN7rocprim17ROCPRIM_400000_NS6detail17trampoline_kernelINS0_14default_configENS1_27scan_by_key_config_selectorIssEEZZNS1_16scan_by_key_implILNS1_25lookback_scan_determinismE0ELb0ES3_N6thrust23THRUST_200600_302600_NS6detail15normal_iteratorINS9_10device_ptrIsEEEESE_SE_sNS9_4plusIsEE19head_flag_predicatesEE10hipError_tPvRmT2_T3_T4_T5_mT6_T7_P12ihipStream_tbENKUlT_T0_E_clISt17integral_constantIbLb1EESX_IbLb0EEEEDaST_SU_EUlST_E_NS1_11comp_targetILNS1_3genE10ELNS1_11target_archE1200ELNS1_3gpuE4ELNS1_3repE0EEENS1_30default_config_static_selectorELNS0_4arch9wavefront6targetE0EEEvT1_,"axG",@progbits,_ZN7rocprim17ROCPRIM_400000_NS6detail17trampoline_kernelINS0_14default_configENS1_27scan_by_key_config_selectorIssEEZZNS1_16scan_by_key_implILNS1_25lookback_scan_determinismE0ELb0ES3_N6thrust23THRUST_200600_302600_NS6detail15normal_iteratorINS9_10device_ptrIsEEEESE_SE_sNS9_4plusIsEE19head_flag_predicatesEE10hipError_tPvRmT2_T3_T4_T5_mT6_T7_P12ihipStream_tbENKUlT_T0_E_clISt17integral_constantIbLb1EESX_IbLb0EEEEDaST_SU_EUlST_E_NS1_11comp_targetILNS1_3genE10ELNS1_11target_archE1200ELNS1_3gpuE4ELNS1_3repE0EEENS1_30default_config_static_selectorELNS0_4arch9wavefront6targetE0EEEvT1_,comdat
	.protected	_ZN7rocprim17ROCPRIM_400000_NS6detail17trampoline_kernelINS0_14default_configENS1_27scan_by_key_config_selectorIssEEZZNS1_16scan_by_key_implILNS1_25lookback_scan_determinismE0ELb0ES3_N6thrust23THRUST_200600_302600_NS6detail15normal_iteratorINS9_10device_ptrIsEEEESE_SE_sNS9_4plusIsEE19head_flag_predicatesEE10hipError_tPvRmT2_T3_T4_T5_mT6_T7_P12ihipStream_tbENKUlT_T0_E_clISt17integral_constantIbLb1EESX_IbLb0EEEEDaST_SU_EUlST_E_NS1_11comp_targetILNS1_3genE10ELNS1_11target_archE1200ELNS1_3gpuE4ELNS1_3repE0EEENS1_30default_config_static_selectorELNS0_4arch9wavefront6targetE0EEEvT1_ ; -- Begin function _ZN7rocprim17ROCPRIM_400000_NS6detail17trampoline_kernelINS0_14default_configENS1_27scan_by_key_config_selectorIssEEZZNS1_16scan_by_key_implILNS1_25lookback_scan_determinismE0ELb0ES3_N6thrust23THRUST_200600_302600_NS6detail15normal_iteratorINS9_10device_ptrIsEEEESE_SE_sNS9_4plusIsEE19head_flag_predicatesEE10hipError_tPvRmT2_T3_T4_T5_mT6_T7_P12ihipStream_tbENKUlT_T0_E_clISt17integral_constantIbLb1EESX_IbLb0EEEEDaST_SU_EUlST_E_NS1_11comp_targetILNS1_3genE10ELNS1_11target_archE1200ELNS1_3gpuE4ELNS1_3repE0EEENS1_30default_config_static_selectorELNS0_4arch9wavefront6targetE0EEEvT1_
	.globl	_ZN7rocprim17ROCPRIM_400000_NS6detail17trampoline_kernelINS0_14default_configENS1_27scan_by_key_config_selectorIssEEZZNS1_16scan_by_key_implILNS1_25lookback_scan_determinismE0ELb0ES3_N6thrust23THRUST_200600_302600_NS6detail15normal_iteratorINS9_10device_ptrIsEEEESE_SE_sNS9_4plusIsEE19head_flag_predicatesEE10hipError_tPvRmT2_T3_T4_T5_mT6_T7_P12ihipStream_tbENKUlT_T0_E_clISt17integral_constantIbLb1EESX_IbLb0EEEEDaST_SU_EUlST_E_NS1_11comp_targetILNS1_3genE10ELNS1_11target_archE1200ELNS1_3gpuE4ELNS1_3repE0EEENS1_30default_config_static_selectorELNS0_4arch9wavefront6targetE0EEEvT1_
	.p2align	8
	.type	_ZN7rocprim17ROCPRIM_400000_NS6detail17trampoline_kernelINS0_14default_configENS1_27scan_by_key_config_selectorIssEEZZNS1_16scan_by_key_implILNS1_25lookback_scan_determinismE0ELb0ES3_N6thrust23THRUST_200600_302600_NS6detail15normal_iteratorINS9_10device_ptrIsEEEESE_SE_sNS9_4plusIsEE19head_flag_predicatesEE10hipError_tPvRmT2_T3_T4_T5_mT6_T7_P12ihipStream_tbENKUlT_T0_E_clISt17integral_constantIbLb1EESX_IbLb0EEEEDaST_SU_EUlST_E_NS1_11comp_targetILNS1_3genE10ELNS1_11target_archE1200ELNS1_3gpuE4ELNS1_3repE0EEENS1_30default_config_static_selectorELNS0_4arch9wavefront6targetE0EEEvT1_,@function
_ZN7rocprim17ROCPRIM_400000_NS6detail17trampoline_kernelINS0_14default_configENS1_27scan_by_key_config_selectorIssEEZZNS1_16scan_by_key_implILNS1_25lookback_scan_determinismE0ELb0ES3_N6thrust23THRUST_200600_302600_NS6detail15normal_iteratorINS9_10device_ptrIsEEEESE_SE_sNS9_4plusIsEE19head_flag_predicatesEE10hipError_tPvRmT2_T3_T4_T5_mT6_T7_P12ihipStream_tbENKUlT_T0_E_clISt17integral_constantIbLb1EESX_IbLb0EEEEDaST_SU_EUlST_E_NS1_11comp_targetILNS1_3genE10ELNS1_11target_archE1200ELNS1_3gpuE4ELNS1_3repE0EEENS1_30default_config_static_selectorELNS0_4arch9wavefront6targetE0EEEvT1_: ; @_ZN7rocprim17ROCPRIM_400000_NS6detail17trampoline_kernelINS0_14default_configENS1_27scan_by_key_config_selectorIssEEZZNS1_16scan_by_key_implILNS1_25lookback_scan_determinismE0ELb0ES3_N6thrust23THRUST_200600_302600_NS6detail15normal_iteratorINS9_10device_ptrIsEEEESE_SE_sNS9_4plusIsEE19head_flag_predicatesEE10hipError_tPvRmT2_T3_T4_T5_mT6_T7_P12ihipStream_tbENKUlT_T0_E_clISt17integral_constantIbLb1EESX_IbLb0EEEEDaST_SU_EUlST_E_NS1_11comp_targetILNS1_3genE10ELNS1_11target_archE1200ELNS1_3gpuE4ELNS1_3repE0EEENS1_30default_config_static_selectorELNS0_4arch9wavefront6targetE0EEEvT1_
; %bb.0:
	.section	.rodata,"a",@progbits
	.p2align	6, 0x0
	.amdhsa_kernel _ZN7rocprim17ROCPRIM_400000_NS6detail17trampoline_kernelINS0_14default_configENS1_27scan_by_key_config_selectorIssEEZZNS1_16scan_by_key_implILNS1_25lookback_scan_determinismE0ELb0ES3_N6thrust23THRUST_200600_302600_NS6detail15normal_iteratorINS9_10device_ptrIsEEEESE_SE_sNS9_4plusIsEE19head_flag_predicatesEE10hipError_tPvRmT2_T3_T4_T5_mT6_T7_P12ihipStream_tbENKUlT_T0_E_clISt17integral_constantIbLb1EESX_IbLb0EEEEDaST_SU_EUlST_E_NS1_11comp_targetILNS1_3genE10ELNS1_11target_archE1200ELNS1_3gpuE4ELNS1_3repE0EEENS1_30default_config_static_selectorELNS0_4arch9wavefront6targetE0EEEvT1_
		.amdhsa_group_segment_fixed_size 0
		.amdhsa_private_segment_fixed_size 0
		.amdhsa_kernarg_size 112
		.amdhsa_user_sgpr_count 6
		.amdhsa_user_sgpr_private_segment_buffer 1
		.amdhsa_user_sgpr_dispatch_ptr 0
		.amdhsa_user_sgpr_queue_ptr 0
		.amdhsa_user_sgpr_kernarg_segment_ptr 1
		.amdhsa_user_sgpr_dispatch_id 0
		.amdhsa_user_sgpr_flat_scratch_init 0
		.amdhsa_user_sgpr_private_segment_size 0
		.amdhsa_wavefront_size32 1
		.amdhsa_uses_dynamic_stack 0
		.amdhsa_system_sgpr_private_segment_wavefront_offset 0
		.amdhsa_system_sgpr_workgroup_id_x 1
		.amdhsa_system_sgpr_workgroup_id_y 0
		.amdhsa_system_sgpr_workgroup_id_z 0
		.amdhsa_system_sgpr_workgroup_info 0
		.amdhsa_system_vgpr_workitem_id 0
		.amdhsa_next_free_vgpr 1
		.amdhsa_next_free_sgpr 1
		.amdhsa_reserve_vcc 0
		.amdhsa_reserve_flat_scratch 0
		.amdhsa_float_round_mode_32 0
		.amdhsa_float_round_mode_16_64 0
		.amdhsa_float_denorm_mode_32 3
		.amdhsa_float_denorm_mode_16_64 3
		.amdhsa_dx10_clamp 1
		.amdhsa_ieee_mode 1
		.amdhsa_fp16_overflow 0
		.amdhsa_workgroup_processor_mode 1
		.amdhsa_memory_ordered 1
		.amdhsa_forward_progress 1
		.amdhsa_shared_vgpr_count 0
		.amdhsa_exception_fp_ieee_invalid_op 0
		.amdhsa_exception_fp_denorm_src 0
		.amdhsa_exception_fp_ieee_div_zero 0
		.amdhsa_exception_fp_ieee_overflow 0
		.amdhsa_exception_fp_ieee_underflow 0
		.amdhsa_exception_fp_ieee_inexact 0
		.amdhsa_exception_int_div_zero 0
	.end_amdhsa_kernel
	.section	.text._ZN7rocprim17ROCPRIM_400000_NS6detail17trampoline_kernelINS0_14default_configENS1_27scan_by_key_config_selectorIssEEZZNS1_16scan_by_key_implILNS1_25lookback_scan_determinismE0ELb0ES3_N6thrust23THRUST_200600_302600_NS6detail15normal_iteratorINS9_10device_ptrIsEEEESE_SE_sNS9_4plusIsEE19head_flag_predicatesEE10hipError_tPvRmT2_T3_T4_T5_mT6_T7_P12ihipStream_tbENKUlT_T0_E_clISt17integral_constantIbLb1EESX_IbLb0EEEEDaST_SU_EUlST_E_NS1_11comp_targetILNS1_3genE10ELNS1_11target_archE1200ELNS1_3gpuE4ELNS1_3repE0EEENS1_30default_config_static_selectorELNS0_4arch9wavefront6targetE0EEEvT1_,"axG",@progbits,_ZN7rocprim17ROCPRIM_400000_NS6detail17trampoline_kernelINS0_14default_configENS1_27scan_by_key_config_selectorIssEEZZNS1_16scan_by_key_implILNS1_25lookback_scan_determinismE0ELb0ES3_N6thrust23THRUST_200600_302600_NS6detail15normal_iteratorINS9_10device_ptrIsEEEESE_SE_sNS9_4plusIsEE19head_flag_predicatesEE10hipError_tPvRmT2_T3_T4_T5_mT6_T7_P12ihipStream_tbENKUlT_T0_E_clISt17integral_constantIbLb1EESX_IbLb0EEEEDaST_SU_EUlST_E_NS1_11comp_targetILNS1_3genE10ELNS1_11target_archE1200ELNS1_3gpuE4ELNS1_3repE0EEENS1_30default_config_static_selectorELNS0_4arch9wavefront6targetE0EEEvT1_,comdat
.Lfunc_end845:
	.size	_ZN7rocprim17ROCPRIM_400000_NS6detail17trampoline_kernelINS0_14default_configENS1_27scan_by_key_config_selectorIssEEZZNS1_16scan_by_key_implILNS1_25lookback_scan_determinismE0ELb0ES3_N6thrust23THRUST_200600_302600_NS6detail15normal_iteratorINS9_10device_ptrIsEEEESE_SE_sNS9_4plusIsEE19head_flag_predicatesEE10hipError_tPvRmT2_T3_T4_T5_mT6_T7_P12ihipStream_tbENKUlT_T0_E_clISt17integral_constantIbLb1EESX_IbLb0EEEEDaST_SU_EUlST_E_NS1_11comp_targetILNS1_3genE10ELNS1_11target_archE1200ELNS1_3gpuE4ELNS1_3repE0EEENS1_30default_config_static_selectorELNS0_4arch9wavefront6targetE0EEEvT1_, .Lfunc_end845-_ZN7rocprim17ROCPRIM_400000_NS6detail17trampoline_kernelINS0_14default_configENS1_27scan_by_key_config_selectorIssEEZZNS1_16scan_by_key_implILNS1_25lookback_scan_determinismE0ELb0ES3_N6thrust23THRUST_200600_302600_NS6detail15normal_iteratorINS9_10device_ptrIsEEEESE_SE_sNS9_4plusIsEE19head_flag_predicatesEE10hipError_tPvRmT2_T3_T4_T5_mT6_T7_P12ihipStream_tbENKUlT_T0_E_clISt17integral_constantIbLb1EESX_IbLb0EEEEDaST_SU_EUlST_E_NS1_11comp_targetILNS1_3genE10ELNS1_11target_archE1200ELNS1_3gpuE4ELNS1_3repE0EEENS1_30default_config_static_selectorELNS0_4arch9wavefront6targetE0EEEvT1_
                                        ; -- End function
	.set _ZN7rocprim17ROCPRIM_400000_NS6detail17trampoline_kernelINS0_14default_configENS1_27scan_by_key_config_selectorIssEEZZNS1_16scan_by_key_implILNS1_25lookback_scan_determinismE0ELb0ES3_N6thrust23THRUST_200600_302600_NS6detail15normal_iteratorINS9_10device_ptrIsEEEESE_SE_sNS9_4plusIsEE19head_flag_predicatesEE10hipError_tPvRmT2_T3_T4_T5_mT6_T7_P12ihipStream_tbENKUlT_T0_E_clISt17integral_constantIbLb1EESX_IbLb0EEEEDaST_SU_EUlST_E_NS1_11comp_targetILNS1_3genE10ELNS1_11target_archE1200ELNS1_3gpuE4ELNS1_3repE0EEENS1_30default_config_static_selectorELNS0_4arch9wavefront6targetE0EEEvT1_.num_vgpr, 0
	.set _ZN7rocprim17ROCPRIM_400000_NS6detail17trampoline_kernelINS0_14default_configENS1_27scan_by_key_config_selectorIssEEZZNS1_16scan_by_key_implILNS1_25lookback_scan_determinismE0ELb0ES3_N6thrust23THRUST_200600_302600_NS6detail15normal_iteratorINS9_10device_ptrIsEEEESE_SE_sNS9_4plusIsEE19head_flag_predicatesEE10hipError_tPvRmT2_T3_T4_T5_mT6_T7_P12ihipStream_tbENKUlT_T0_E_clISt17integral_constantIbLb1EESX_IbLb0EEEEDaST_SU_EUlST_E_NS1_11comp_targetILNS1_3genE10ELNS1_11target_archE1200ELNS1_3gpuE4ELNS1_3repE0EEENS1_30default_config_static_selectorELNS0_4arch9wavefront6targetE0EEEvT1_.num_agpr, 0
	.set _ZN7rocprim17ROCPRIM_400000_NS6detail17trampoline_kernelINS0_14default_configENS1_27scan_by_key_config_selectorIssEEZZNS1_16scan_by_key_implILNS1_25lookback_scan_determinismE0ELb0ES3_N6thrust23THRUST_200600_302600_NS6detail15normal_iteratorINS9_10device_ptrIsEEEESE_SE_sNS9_4plusIsEE19head_flag_predicatesEE10hipError_tPvRmT2_T3_T4_T5_mT6_T7_P12ihipStream_tbENKUlT_T0_E_clISt17integral_constantIbLb1EESX_IbLb0EEEEDaST_SU_EUlST_E_NS1_11comp_targetILNS1_3genE10ELNS1_11target_archE1200ELNS1_3gpuE4ELNS1_3repE0EEENS1_30default_config_static_selectorELNS0_4arch9wavefront6targetE0EEEvT1_.numbered_sgpr, 0
	.set _ZN7rocprim17ROCPRIM_400000_NS6detail17trampoline_kernelINS0_14default_configENS1_27scan_by_key_config_selectorIssEEZZNS1_16scan_by_key_implILNS1_25lookback_scan_determinismE0ELb0ES3_N6thrust23THRUST_200600_302600_NS6detail15normal_iteratorINS9_10device_ptrIsEEEESE_SE_sNS9_4plusIsEE19head_flag_predicatesEE10hipError_tPvRmT2_T3_T4_T5_mT6_T7_P12ihipStream_tbENKUlT_T0_E_clISt17integral_constantIbLb1EESX_IbLb0EEEEDaST_SU_EUlST_E_NS1_11comp_targetILNS1_3genE10ELNS1_11target_archE1200ELNS1_3gpuE4ELNS1_3repE0EEENS1_30default_config_static_selectorELNS0_4arch9wavefront6targetE0EEEvT1_.num_named_barrier, 0
	.set _ZN7rocprim17ROCPRIM_400000_NS6detail17trampoline_kernelINS0_14default_configENS1_27scan_by_key_config_selectorIssEEZZNS1_16scan_by_key_implILNS1_25lookback_scan_determinismE0ELb0ES3_N6thrust23THRUST_200600_302600_NS6detail15normal_iteratorINS9_10device_ptrIsEEEESE_SE_sNS9_4plusIsEE19head_flag_predicatesEE10hipError_tPvRmT2_T3_T4_T5_mT6_T7_P12ihipStream_tbENKUlT_T0_E_clISt17integral_constantIbLb1EESX_IbLb0EEEEDaST_SU_EUlST_E_NS1_11comp_targetILNS1_3genE10ELNS1_11target_archE1200ELNS1_3gpuE4ELNS1_3repE0EEENS1_30default_config_static_selectorELNS0_4arch9wavefront6targetE0EEEvT1_.private_seg_size, 0
	.set _ZN7rocprim17ROCPRIM_400000_NS6detail17trampoline_kernelINS0_14default_configENS1_27scan_by_key_config_selectorIssEEZZNS1_16scan_by_key_implILNS1_25lookback_scan_determinismE0ELb0ES3_N6thrust23THRUST_200600_302600_NS6detail15normal_iteratorINS9_10device_ptrIsEEEESE_SE_sNS9_4plusIsEE19head_flag_predicatesEE10hipError_tPvRmT2_T3_T4_T5_mT6_T7_P12ihipStream_tbENKUlT_T0_E_clISt17integral_constantIbLb1EESX_IbLb0EEEEDaST_SU_EUlST_E_NS1_11comp_targetILNS1_3genE10ELNS1_11target_archE1200ELNS1_3gpuE4ELNS1_3repE0EEENS1_30default_config_static_selectorELNS0_4arch9wavefront6targetE0EEEvT1_.uses_vcc, 0
	.set _ZN7rocprim17ROCPRIM_400000_NS6detail17trampoline_kernelINS0_14default_configENS1_27scan_by_key_config_selectorIssEEZZNS1_16scan_by_key_implILNS1_25lookback_scan_determinismE0ELb0ES3_N6thrust23THRUST_200600_302600_NS6detail15normal_iteratorINS9_10device_ptrIsEEEESE_SE_sNS9_4plusIsEE19head_flag_predicatesEE10hipError_tPvRmT2_T3_T4_T5_mT6_T7_P12ihipStream_tbENKUlT_T0_E_clISt17integral_constantIbLb1EESX_IbLb0EEEEDaST_SU_EUlST_E_NS1_11comp_targetILNS1_3genE10ELNS1_11target_archE1200ELNS1_3gpuE4ELNS1_3repE0EEENS1_30default_config_static_selectorELNS0_4arch9wavefront6targetE0EEEvT1_.uses_flat_scratch, 0
	.set _ZN7rocprim17ROCPRIM_400000_NS6detail17trampoline_kernelINS0_14default_configENS1_27scan_by_key_config_selectorIssEEZZNS1_16scan_by_key_implILNS1_25lookback_scan_determinismE0ELb0ES3_N6thrust23THRUST_200600_302600_NS6detail15normal_iteratorINS9_10device_ptrIsEEEESE_SE_sNS9_4plusIsEE19head_flag_predicatesEE10hipError_tPvRmT2_T3_T4_T5_mT6_T7_P12ihipStream_tbENKUlT_T0_E_clISt17integral_constantIbLb1EESX_IbLb0EEEEDaST_SU_EUlST_E_NS1_11comp_targetILNS1_3genE10ELNS1_11target_archE1200ELNS1_3gpuE4ELNS1_3repE0EEENS1_30default_config_static_selectorELNS0_4arch9wavefront6targetE0EEEvT1_.has_dyn_sized_stack, 0
	.set _ZN7rocprim17ROCPRIM_400000_NS6detail17trampoline_kernelINS0_14default_configENS1_27scan_by_key_config_selectorIssEEZZNS1_16scan_by_key_implILNS1_25lookback_scan_determinismE0ELb0ES3_N6thrust23THRUST_200600_302600_NS6detail15normal_iteratorINS9_10device_ptrIsEEEESE_SE_sNS9_4plusIsEE19head_flag_predicatesEE10hipError_tPvRmT2_T3_T4_T5_mT6_T7_P12ihipStream_tbENKUlT_T0_E_clISt17integral_constantIbLb1EESX_IbLb0EEEEDaST_SU_EUlST_E_NS1_11comp_targetILNS1_3genE10ELNS1_11target_archE1200ELNS1_3gpuE4ELNS1_3repE0EEENS1_30default_config_static_selectorELNS0_4arch9wavefront6targetE0EEEvT1_.has_recursion, 0
	.set _ZN7rocprim17ROCPRIM_400000_NS6detail17trampoline_kernelINS0_14default_configENS1_27scan_by_key_config_selectorIssEEZZNS1_16scan_by_key_implILNS1_25lookback_scan_determinismE0ELb0ES3_N6thrust23THRUST_200600_302600_NS6detail15normal_iteratorINS9_10device_ptrIsEEEESE_SE_sNS9_4plusIsEE19head_flag_predicatesEE10hipError_tPvRmT2_T3_T4_T5_mT6_T7_P12ihipStream_tbENKUlT_T0_E_clISt17integral_constantIbLb1EESX_IbLb0EEEEDaST_SU_EUlST_E_NS1_11comp_targetILNS1_3genE10ELNS1_11target_archE1200ELNS1_3gpuE4ELNS1_3repE0EEENS1_30default_config_static_selectorELNS0_4arch9wavefront6targetE0EEEvT1_.has_indirect_call, 0
	.section	.AMDGPU.csdata,"",@progbits
; Kernel info:
; codeLenInByte = 0
; TotalNumSgprs: 0
; NumVgprs: 0
; ScratchSize: 0
; MemoryBound: 0
; FloatMode: 240
; IeeeMode: 1
; LDSByteSize: 0 bytes/workgroup (compile time only)
; SGPRBlocks: 0
; VGPRBlocks: 0
; NumSGPRsForWavesPerEU: 1
; NumVGPRsForWavesPerEU: 1
; Occupancy: 16
; WaveLimiterHint : 0
; COMPUTE_PGM_RSRC2:SCRATCH_EN: 0
; COMPUTE_PGM_RSRC2:USER_SGPR: 6
; COMPUTE_PGM_RSRC2:TRAP_HANDLER: 0
; COMPUTE_PGM_RSRC2:TGID_X_EN: 1
; COMPUTE_PGM_RSRC2:TGID_Y_EN: 0
; COMPUTE_PGM_RSRC2:TGID_Z_EN: 0
; COMPUTE_PGM_RSRC2:TIDIG_COMP_CNT: 0
	.section	.text._ZN7rocprim17ROCPRIM_400000_NS6detail17trampoline_kernelINS0_14default_configENS1_27scan_by_key_config_selectorIssEEZZNS1_16scan_by_key_implILNS1_25lookback_scan_determinismE0ELb0ES3_N6thrust23THRUST_200600_302600_NS6detail15normal_iteratorINS9_10device_ptrIsEEEESE_SE_sNS9_4plusIsEE19head_flag_predicatesEE10hipError_tPvRmT2_T3_T4_T5_mT6_T7_P12ihipStream_tbENKUlT_T0_E_clISt17integral_constantIbLb1EESX_IbLb0EEEEDaST_SU_EUlST_E_NS1_11comp_targetILNS1_3genE9ELNS1_11target_archE1100ELNS1_3gpuE3ELNS1_3repE0EEENS1_30default_config_static_selectorELNS0_4arch9wavefront6targetE0EEEvT1_,"axG",@progbits,_ZN7rocprim17ROCPRIM_400000_NS6detail17trampoline_kernelINS0_14default_configENS1_27scan_by_key_config_selectorIssEEZZNS1_16scan_by_key_implILNS1_25lookback_scan_determinismE0ELb0ES3_N6thrust23THRUST_200600_302600_NS6detail15normal_iteratorINS9_10device_ptrIsEEEESE_SE_sNS9_4plusIsEE19head_flag_predicatesEE10hipError_tPvRmT2_T3_T4_T5_mT6_T7_P12ihipStream_tbENKUlT_T0_E_clISt17integral_constantIbLb1EESX_IbLb0EEEEDaST_SU_EUlST_E_NS1_11comp_targetILNS1_3genE9ELNS1_11target_archE1100ELNS1_3gpuE3ELNS1_3repE0EEENS1_30default_config_static_selectorELNS0_4arch9wavefront6targetE0EEEvT1_,comdat
	.protected	_ZN7rocprim17ROCPRIM_400000_NS6detail17trampoline_kernelINS0_14default_configENS1_27scan_by_key_config_selectorIssEEZZNS1_16scan_by_key_implILNS1_25lookback_scan_determinismE0ELb0ES3_N6thrust23THRUST_200600_302600_NS6detail15normal_iteratorINS9_10device_ptrIsEEEESE_SE_sNS9_4plusIsEE19head_flag_predicatesEE10hipError_tPvRmT2_T3_T4_T5_mT6_T7_P12ihipStream_tbENKUlT_T0_E_clISt17integral_constantIbLb1EESX_IbLb0EEEEDaST_SU_EUlST_E_NS1_11comp_targetILNS1_3genE9ELNS1_11target_archE1100ELNS1_3gpuE3ELNS1_3repE0EEENS1_30default_config_static_selectorELNS0_4arch9wavefront6targetE0EEEvT1_ ; -- Begin function _ZN7rocprim17ROCPRIM_400000_NS6detail17trampoline_kernelINS0_14default_configENS1_27scan_by_key_config_selectorIssEEZZNS1_16scan_by_key_implILNS1_25lookback_scan_determinismE0ELb0ES3_N6thrust23THRUST_200600_302600_NS6detail15normal_iteratorINS9_10device_ptrIsEEEESE_SE_sNS9_4plusIsEE19head_flag_predicatesEE10hipError_tPvRmT2_T3_T4_T5_mT6_T7_P12ihipStream_tbENKUlT_T0_E_clISt17integral_constantIbLb1EESX_IbLb0EEEEDaST_SU_EUlST_E_NS1_11comp_targetILNS1_3genE9ELNS1_11target_archE1100ELNS1_3gpuE3ELNS1_3repE0EEENS1_30default_config_static_selectorELNS0_4arch9wavefront6targetE0EEEvT1_
	.globl	_ZN7rocprim17ROCPRIM_400000_NS6detail17trampoline_kernelINS0_14default_configENS1_27scan_by_key_config_selectorIssEEZZNS1_16scan_by_key_implILNS1_25lookback_scan_determinismE0ELb0ES3_N6thrust23THRUST_200600_302600_NS6detail15normal_iteratorINS9_10device_ptrIsEEEESE_SE_sNS9_4plusIsEE19head_flag_predicatesEE10hipError_tPvRmT2_T3_T4_T5_mT6_T7_P12ihipStream_tbENKUlT_T0_E_clISt17integral_constantIbLb1EESX_IbLb0EEEEDaST_SU_EUlST_E_NS1_11comp_targetILNS1_3genE9ELNS1_11target_archE1100ELNS1_3gpuE3ELNS1_3repE0EEENS1_30default_config_static_selectorELNS0_4arch9wavefront6targetE0EEEvT1_
	.p2align	8
	.type	_ZN7rocprim17ROCPRIM_400000_NS6detail17trampoline_kernelINS0_14default_configENS1_27scan_by_key_config_selectorIssEEZZNS1_16scan_by_key_implILNS1_25lookback_scan_determinismE0ELb0ES3_N6thrust23THRUST_200600_302600_NS6detail15normal_iteratorINS9_10device_ptrIsEEEESE_SE_sNS9_4plusIsEE19head_flag_predicatesEE10hipError_tPvRmT2_T3_T4_T5_mT6_T7_P12ihipStream_tbENKUlT_T0_E_clISt17integral_constantIbLb1EESX_IbLb0EEEEDaST_SU_EUlST_E_NS1_11comp_targetILNS1_3genE9ELNS1_11target_archE1100ELNS1_3gpuE3ELNS1_3repE0EEENS1_30default_config_static_selectorELNS0_4arch9wavefront6targetE0EEEvT1_,@function
_ZN7rocprim17ROCPRIM_400000_NS6detail17trampoline_kernelINS0_14default_configENS1_27scan_by_key_config_selectorIssEEZZNS1_16scan_by_key_implILNS1_25lookback_scan_determinismE0ELb0ES3_N6thrust23THRUST_200600_302600_NS6detail15normal_iteratorINS9_10device_ptrIsEEEESE_SE_sNS9_4plusIsEE19head_flag_predicatesEE10hipError_tPvRmT2_T3_T4_T5_mT6_T7_P12ihipStream_tbENKUlT_T0_E_clISt17integral_constantIbLb1EESX_IbLb0EEEEDaST_SU_EUlST_E_NS1_11comp_targetILNS1_3genE9ELNS1_11target_archE1100ELNS1_3gpuE3ELNS1_3repE0EEENS1_30default_config_static_selectorELNS0_4arch9wavefront6targetE0EEEvT1_: ; @_ZN7rocprim17ROCPRIM_400000_NS6detail17trampoline_kernelINS0_14default_configENS1_27scan_by_key_config_selectorIssEEZZNS1_16scan_by_key_implILNS1_25lookback_scan_determinismE0ELb0ES3_N6thrust23THRUST_200600_302600_NS6detail15normal_iteratorINS9_10device_ptrIsEEEESE_SE_sNS9_4plusIsEE19head_flag_predicatesEE10hipError_tPvRmT2_T3_T4_T5_mT6_T7_P12ihipStream_tbENKUlT_T0_E_clISt17integral_constantIbLb1EESX_IbLb0EEEEDaST_SU_EUlST_E_NS1_11comp_targetILNS1_3genE9ELNS1_11target_archE1100ELNS1_3gpuE3ELNS1_3repE0EEENS1_30default_config_static_selectorELNS0_4arch9wavefront6targetE0EEEvT1_
; %bb.0:
	.section	.rodata,"a",@progbits
	.p2align	6, 0x0
	.amdhsa_kernel _ZN7rocprim17ROCPRIM_400000_NS6detail17trampoline_kernelINS0_14default_configENS1_27scan_by_key_config_selectorIssEEZZNS1_16scan_by_key_implILNS1_25lookback_scan_determinismE0ELb0ES3_N6thrust23THRUST_200600_302600_NS6detail15normal_iteratorINS9_10device_ptrIsEEEESE_SE_sNS9_4plusIsEE19head_flag_predicatesEE10hipError_tPvRmT2_T3_T4_T5_mT6_T7_P12ihipStream_tbENKUlT_T0_E_clISt17integral_constantIbLb1EESX_IbLb0EEEEDaST_SU_EUlST_E_NS1_11comp_targetILNS1_3genE9ELNS1_11target_archE1100ELNS1_3gpuE3ELNS1_3repE0EEENS1_30default_config_static_selectorELNS0_4arch9wavefront6targetE0EEEvT1_
		.amdhsa_group_segment_fixed_size 0
		.amdhsa_private_segment_fixed_size 0
		.amdhsa_kernarg_size 112
		.amdhsa_user_sgpr_count 6
		.amdhsa_user_sgpr_private_segment_buffer 1
		.amdhsa_user_sgpr_dispatch_ptr 0
		.amdhsa_user_sgpr_queue_ptr 0
		.amdhsa_user_sgpr_kernarg_segment_ptr 1
		.amdhsa_user_sgpr_dispatch_id 0
		.amdhsa_user_sgpr_flat_scratch_init 0
		.amdhsa_user_sgpr_private_segment_size 0
		.amdhsa_wavefront_size32 1
		.amdhsa_uses_dynamic_stack 0
		.amdhsa_system_sgpr_private_segment_wavefront_offset 0
		.amdhsa_system_sgpr_workgroup_id_x 1
		.amdhsa_system_sgpr_workgroup_id_y 0
		.amdhsa_system_sgpr_workgroup_id_z 0
		.amdhsa_system_sgpr_workgroup_info 0
		.amdhsa_system_vgpr_workitem_id 0
		.amdhsa_next_free_vgpr 1
		.amdhsa_next_free_sgpr 1
		.amdhsa_reserve_vcc 0
		.amdhsa_reserve_flat_scratch 0
		.amdhsa_float_round_mode_32 0
		.amdhsa_float_round_mode_16_64 0
		.amdhsa_float_denorm_mode_32 3
		.amdhsa_float_denorm_mode_16_64 3
		.amdhsa_dx10_clamp 1
		.amdhsa_ieee_mode 1
		.amdhsa_fp16_overflow 0
		.amdhsa_workgroup_processor_mode 1
		.amdhsa_memory_ordered 1
		.amdhsa_forward_progress 1
		.amdhsa_shared_vgpr_count 0
		.amdhsa_exception_fp_ieee_invalid_op 0
		.amdhsa_exception_fp_denorm_src 0
		.amdhsa_exception_fp_ieee_div_zero 0
		.amdhsa_exception_fp_ieee_overflow 0
		.amdhsa_exception_fp_ieee_underflow 0
		.amdhsa_exception_fp_ieee_inexact 0
		.amdhsa_exception_int_div_zero 0
	.end_amdhsa_kernel
	.section	.text._ZN7rocprim17ROCPRIM_400000_NS6detail17trampoline_kernelINS0_14default_configENS1_27scan_by_key_config_selectorIssEEZZNS1_16scan_by_key_implILNS1_25lookback_scan_determinismE0ELb0ES3_N6thrust23THRUST_200600_302600_NS6detail15normal_iteratorINS9_10device_ptrIsEEEESE_SE_sNS9_4plusIsEE19head_flag_predicatesEE10hipError_tPvRmT2_T3_T4_T5_mT6_T7_P12ihipStream_tbENKUlT_T0_E_clISt17integral_constantIbLb1EESX_IbLb0EEEEDaST_SU_EUlST_E_NS1_11comp_targetILNS1_3genE9ELNS1_11target_archE1100ELNS1_3gpuE3ELNS1_3repE0EEENS1_30default_config_static_selectorELNS0_4arch9wavefront6targetE0EEEvT1_,"axG",@progbits,_ZN7rocprim17ROCPRIM_400000_NS6detail17trampoline_kernelINS0_14default_configENS1_27scan_by_key_config_selectorIssEEZZNS1_16scan_by_key_implILNS1_25lookback_scan_determinismE0ELb0ES3_N6thrust23THRUST_200600_302600_NS6detail15normal_iteratorINS9_10device_ptrIsEEEESE_SE_sNS9_4plusIsEE19head_flag_predicatesEE10hipError_tPvRmT2_T3_T4_T5_mT6_T7_P12ihipStream_tbENKUlT_T0_E_clISt17integral_constantIbLb1EESX_IbLb0EEEEDaST_SU_EUlST_E_NS1_11comp_targetILNS1_3genE9ELNS1_11target_archE1100ELNS1_3gpuE3ELNS1_3repE0EEENS1_30default_config_static_selectorELNS0_4arch9wavefront6targetE0EEEvT1_,comdat
.Lfunc_end846:
	.size	_ZN7rocprim17ROCPRIM_400000_NS6detail17trampoline_kernelINS0_14default_configENS1_27scan_by_key_config_selectorIssEEZZNS1_16scan_by_key_implILNS1_25lookback_scan_determinismE0ELb0ES3_N6thrust23THRUST_200600_302600_NS6detail15normal_iteratorINS9_10device_ptrIsEEEESE_SE_sNS9_4plusIsEE19head_flag_predicatesEE10hipError_tPvRmT2_T3_T4_T5_mT6_T7_P12ihipStream_tbENKUlT_T0_E_clISt17integral_constantIbLb1EESX_IbLb0EEEEDaST_SU_EUlST_E_NS1_11comp_targetILNS1_3genE9ELNS1_11target_archE1100ELNS1_3gpuE3ELNS1_3repE0EEENS1_30default_config_static_selectorELNS0_4arch9wavefront6targetE0EEEvT1_, .Lfunc_end846-_ZN7rocprim17ROCPRIM_400000_NS6detail17trampoline_kernelINS0_14default_configENS1_27scan_by_key_config_selectorIssEEZZNS1_16scan_by_key_implILNS1_25lookback_scan_determinismE0ELb0ES3_N6thrust23THRUST_200600_302600_NS6detail15normal_iteratorINS9_10device_ptrIsEEEESE_SE_sNS9_4plusIsEE19head_flag_predicatesEE10hipError_tPvRmT2_T3_T4_T5_mT6_T7_P12ihipStream_tbENKUlT_T0_E_clISt17integral_constantIbLb1EESX_IbLb0EEEEDaST_SU_EUlST_E_NS1_11comp_targetILNS1_3genE9ELNS1_11target_archE1100ELNS1_3gpuE3ELNS1_3repE0EEENS1_30default_config_static_selectorELNS0_4arch9wavefront6targetE0EEEvT1_
                                        ; -- End function
	.set _ZN7rocprim17ROCPRIM_400000_NS6detail17trampoline_kernelINS0_14default_configENS1_27scan_by_key_config_selectorIssEEZZNS1_16scan_by_key_implILNS1_25lookback_scan_determinismE0ELb0ES3_N6thrust23THRUST_200600_302600_NS6detail15normal_iteratorINS9_10device_ptrIsEEEESE_SE_sNS9_4plusIsEE19head_flag_predicatesEE10hipError_tPvRmT2_T3_T4_T5_mT6_T7_P12ihipStream_tbENKUlT_T0_E_clISt17integral_constantIbLb1EESX_IbLb0EEEEDaST_SU_EUlST_E_NS1_11comp_targetILNS1_3genE9ELNS1_11target_archE1100ELNS1_3gpuE3ELNS1_3repE0EEENS1_30default_config_static_selectorELNS0_4arch9wavefront6targetE0EEEvT1_.num_vgpr, 0
	.set _ZN7rocprim17ROCPRIM_400000_NS6detail17trampoline_kernelINS0_14default_configENS1_27scan_by_key_config_selectorIssEEZZNS1_16scan_by_key_implILNS1_25lookback_scan_determinismE0ELb0ES3_N6thrust23THRUST_200600_302600_NS6detail15normal_iteratorINS9_10device_ptrIsEEEESE_SE_sNS9_4plusIsEE19head_flag_predicatesEE10hipError_tPvRmT2_T3_T4_T5_mT6_T7_P12ihipStream_tbENKUlT_T0_E_clISt17integral_constantIbLb1EESX_IbLb0EEEEDaST_SU_EUlST_E_NS1_11comp_targetILNS1_3genE9ELNS1_11target_archE1100ELNS1_3gpuE3ELNS1_3repE0EEENS1_30default_config_static_selectorELNS0_4arch9wavefront6targetE0EEEvT1_.num_agpr, 0
	.set _ZN7rocprim17ROCPRIM_400000_NS6detail17trampoline_kernelINS0_14default_configENS1_27scan_by_key_config_selectorIssEEZZNS1_16scan_by_key_implILNS1_25lookback_scan_determinismE0ELb0ES3_N6thrust23THRUST_200600_302600_NS6detail15normal_iteratorINS9_10device_ptrIsEEEESE_SE_sNS9_4plusIsEE19head_flag_predicatesEE10hipError_tPvRmT2_T3_T4_T5_mT6_T7_P12ihipStream_tbENKUlT_T0_E_clISt17integral_constantIbLb1EESX_IbLb0EEEEDaST_SU_EUlST_E_NS1_11comp_targetILNS1_3genE9ELNS1_11target_archE1100ELNS1_3gpuE3ELNS1_3repE0EEENS1_30default_config_static_selectorELNS0_4arch9wavefront6targetE0EEEvT1_.numbered_sgpr, 0
	.set _ZN7rocprim17ROCPRIM_400000_NS6detail17trampoline_kernelINS0_14default_configENS1_27scan_by_key_config_selectorIssEEZZNS1_16scan_by_key_implILNS1_25lookback_scan_determinismE0ELb0ES3_N6thrust23THRUST_200600_302600_NS6detail15normal_iteratorINS9_10device_ptrIsEEEESE_SE_sNS9_4plusIsEE19head_flag_predicatesEE10hipError_tPvRmT2_T3_T4_T5_mT6_T7_P12ihipStream_tbENKUlT_T0_E_clISt17integral_constantIbLb1EESX_IbLb0EEEEDaST_SU_EUlST_E_NS1_11comp_targetILNS1_3genE9ELNS1_11target_archE1100ELNS1_3gpuE3ELNS1_3repE0EEENS1_30default_config_static_selectorELNS0_4arch9wavefront6targetE0EEEvT1_.num_named_barrier, 0
	.set _ZN7rocprim17ROCPRIM_400000_NS6detail17trampoline_kernelINS0_14default_configENS1_27scan_by_key_config_selectorIssEEZZNS1_16scan_by_key_implILNS1_25lookback_scan_determinismE0ELb0ES3_N6thrust23THRUST_200600_302600_NS6detail15normal_iteratorINS9_10device_ptrIsEEEESE_SE_sNS9_4plusIsEE19head_flag_predicatesEE10hipError_tPvRmT2_T3_T4_T5_mT6_T7_P12ihipStream_tbENKUlT_T0_E_clISt17integral_constantIbLb1EESX_IbLb0EEEEDaST_SU_EUlST_E_NS1_11comp_targetILNS1_3genE9ELNS1_11target_archE1100ELNS1_3gpuE3ELNS1_3repE0EEENS1_30default_config_static_selectorELNS0_4arch9wavefront6targetE0EEEvT1_.private_seg_size, 0
	.set _ZN7rocprim17ROCPRIM_400000_NS6detail17trampoline_kernelINS0_14default_configENS1_27scan_by_key_config_selectorIssEEZZNS1_16scan_by_key_implILNS1_25lookback_scan_determinismE0ELb0ES3_N6thrust23THRUST_200600_302600_NS6detail15normal_iteratorINS9_10device_ptrIsEEEESE_SE_sNS9_4plusIsEE19head_flag_predicatesEE10hipError_tPvRmT2_T3_T4_T5_mT6_T7_P12ihipStream_tbENKUlT_T0_E_clISt17integral_constantIbLb1EESX_IbLb0EEEEDaST_SU_EUlST_E_NS1_11comp_targetILNS1_3genE9ELNS1_11target_archE1100ELNS1_3gpuE3ELNS1_3repE0EEENS1_30default_config_static_selectorELNS0_4arch9wavefront6targetE0EEEvT1_.uses_vcc, 0
	.set _ZN7rocprim17ROCPRIM_400000_NS6detail17trampoline_kernelINS0_14default_configENS1_27scan_by_key_config_selectorIssEEZZNS1_16scan_by_key_implILNS1_25lookback_scan_determinismE0ELb0ES3_N6thrust23THRUST_200600_302600_NS6detail15normal_iteratorINS9_10device_ptrIsEEEESE_SE_sNS9_4plusIsEE19head_flag_predicatesEE10hipError_tPvRmT2_T3_T4_T5_mT6_T7_P12ihipStream_tbENKUlT_T0_E_clISt17integral_constantIbLb1EESX_IbLb0EEEEDaST_SU_EUlST_E_NS1_11comp_targetILNS1_3genE9ELNS1_11target_archE1100ELNS1_3gpuE3ELNS1_3repE0EEENS1_30default_config_static_selectorELNS0_4arch9wavefront6targetE0EEEvT1_.uses_flat_scratch, 0
	.set _ZN7rocprim17ROCPRIM_400000_NS6detail17trampoline_kernelINS0_14default_configENS1_27scan_by_key_config_selectorIssEEZZNS1_16scan_by_key_implILNS1_25lookback_scan_determinismE0ELb0ES3_N6thrust23THRUST_200600_302600_NS6detail15normal_iteratorINS9_10device_ptrIsEEEESE_SE_sNS9_4plusIsEE19head_flag_predicatesEE10hipError_tPvRmT2_T3_T4_T5_mT6_T7_P12ihipStream_tbENKUlT_T0_E_clISt17integral_constantIbLb1EESX_IbLb0EEEEDaST_SU_EUlST_E_NS1_11comp_targetILNS1_3genE9ELNS1_11target_archE1100ELNS1_3gpuE3ELNS1_3repE0EEENS1_30default_config_static_selectorELNS0_4arch9wavefront6targetE0EEEvT1_.has_dyn_sized_stack, 0
	.set _ZN7rocprim17ROCPRIM_400000_NS6detail17trampoline_kernelINS0_14default_configENS1_27scan_by_key_config_selectorIssEEZZNS1_16scan_by_key_implILNS1_25lookback_scan_determinismE0ELb0ES3_N6thrust23THRUST_200600_302600_NS6detail15normal_iteratorINS9_10device_ptrIsEEEESE_SE_sNS9_4plusIsEE19head_flag_predicatesEE10hipError_tPvRmT2_T3_T4_T5_mT6_T7_P12ihipStream_tbENKUlT_T0_E_clISt17integral_constantIbLb1EESX_IbLb0EEEEDaST_SU_EUlST_E_NS1_11comp_targetILNS1_3genE9ELNS1_11target_archE1100ELNS1_3gpuE3ELNS1_3repE0EEENS1_30default_config_static_selectorELNS0_4arch9wavefront6targetE0EEEvT1_.has_recursion, 0
	.set _ZN7rocprim17ROCPRIM_400000_NS6detail17trampoline_kernelINS0_14default_configENS1_27scan_by_key_config_selectorIssEEZZNS1_16scan_by_key_implILNS1_25lookback_scan_determinismE0ELb0ES3_N6thrust23THRUST_200600_302600_NS6detail15normal_iteratorINS9_10device_ptrIsEEEESE_SE_sNS9_4plusIsEE19head_flag_predicatesEE10hipError_tPvRmT2_T3_T4_T5_mT6_T7_P12ihipStream_tbENKUlT_T0_E_clISt17integral_constantIbLb1EESX_IbLb0EEEEDaST_SU_EUlST_E_NS1_11comp_targetILNS1_3genE9ELNS1_11target_archE1100ELNS1_3gpuE3ELNS1_3repE0EEENS1_30default_config_static_selectorELNS0_4arch9wavefront6targetE0EEEvT1_.has_indirect_call, 0
	.section	.AMDGPU.csdata,"",@progbits
; Kernel info:
; codeLenInByte = 0
; TotalNumSgprs: 0
; NumVgprs: 0
; ScratchSize: 0
; MemoryBound: 0
; FloatMode: 240
; IeeeMode: 1
; LDSByteSize: 0 bytes/workgroup (compile time only)
; SGPRBlocks: 0
; VGPRBlocks: 0
; NumSGPRsForWavesPerEU: 1
; NumVGPRsForWavesPerEU: 1
; Occupancy: 16
; WaveLimiterHint : 0
; COMPUTE_PGM_RSRC2:SCRATCH_EN: 0
; COMPUTE_PGM_RSRC2:USER_SGPR: 6
; COMPUTE_PGM_RSRC2:TRAP_HANDLER: 0
; COMPUTE_PGM_RSRC2:TGID_X_EN: 1
; COMPUTE_PGM_RSRC2:TGID_Y_EN: 0
; COMPUTE_PGM_RSRC2:TGID_Z_EN: 0
; COMPUTE_PGM_RSRC2:TIDIG_COMP_CNT: 0
	.section	.text._ZN7rocprim17ROCPRIM_400000_NS6detail17trampoline_kernelINS0_14default_configENS1_27scan_by_key_config_selectorIssEEZZNS1_16scan_by_key_implILNS1_25lookback_scan_determinismE0ELb0ES3_N6thrust23THRUST_200600_302600_NS6detail15normal_iteratorINS9_10device_ptrIsEEEESE_SE_sNS9_4plusIsEE19head_flag_predicatesEE10hipError_tPvRmT2_T3_T4_T5_mT6_T7_P12ihipStream_tbENKUlT_T0_E_clISt17integral_constantIbLb1EESX_IbLb0EEEEDaST_SU_EUlST_E_NS1_11comp_targetILNS1_3genE8ELNS1_11target_archE1030ELNS1_3gpuE2ELNS1_3repE0EEENS1_30default_config_static_selectorELNS0_4arch9wavefront6targetE0EEEvT1_,"axG",@progbits,_ZN7rocprim17ROCPRIM_400000_NS6detail17trampoline_kernelINS0_14default_configENS1_27scan_by_key_config_selectorIssEEZZNS1_16scan_by_key_implILNS1_25lookback_scan_determinismE0ELb0ES3_N6thrust23THRUST_200600_302600_NS6detail15normal_iteratorINS9_10device_ptrIsEEEESE_SE_sNS9_4plusIsEE19head_flag_predicatesEE10hipError_tPvRmT2_T3_T4_T5_mT6_T7_P12ihipStream_tbENKUlT_T0_E_clISt17integral_constantIbLb1EESX_IbLb0EEEEDaST_SU_EUlST_E_NS1_11comp_targetILNS1_3genE8ELNS1_11target_archE1030ELNS1_3gpuE2ELNS1_3repE0EEENS1_30default_config_static_selectorELNS0_4arch9wavefront6targetE0EEEvT1_,comdat
	.protected	_ZN7rocprim17ROCPRIM_400000_NS6detail17trampoline_kernelINS0_14default_configENS1_27scan_by_key_config_selectorIssEEZZNS1_16scan_by_key_implILNS1_25lookback_scan_determinismE0ELb0ES3_N6thrust23THRUST_200600_302600_NS6detail15normal_iteratorINS9_10device_ptrIsEEEESE_SE_sNS9_4plusIsEE19head_flag_predicatesEE10hipError_tPvRmT2_T3_T4_T5_mT6_T7_P12ihipStream_tbENKUlT_T0_E_clISt17integral_constantIbLb1EESX_IbLb0EEEEDaST_SU_EUlST_E_NS1_11comp_targetILNS1_3genE8ELNS1_11target_archE1030ELNS1_3gpuE2ELNS1_3repE0EEENS1_30default_config_static_selectorELNS0_4arch9wavefront6targetE0EEEvT1_ ; -- Begin function _ZN7rocprim17ROCPRIM_400000_NS6detail17trampoline_kernelINS0_14default_configENS1_27scan_by_key_config_selectorIssEEZZNS1_16scan_by_key_implILNS1_25lookback_scan_determinismE0ELb0ES3_N6thrust23THRUST_200600_302600_NS6detail15normal_iteratorINS9_10device_ptrIsEEEESE_SE_sNS9_4plusIsEE19head_flag_predicatesEE10hipError_tPvRmT2_T3_T4_T5_mT6_T7_P12ihipStream_tbENKUlT_T0_E_clISt17integral_constantIbLb1EESX_IbLb0EEEEDaST_SU_EUlST_E_NS1_11comp_targetILNS1_3genE8ELNS1_11target_archE1030ELNS1_3gpuE2ELNS1_3repE0EEENS1_30default_config_static_selectorELNS0_4arch9wavefront6targetE0EEEvT1_
	.globl	_ZN7rocprim17ROCPRIM_400000_NS6detail17trampoline_kernelINS0_14default_configENS1_27scan_by_key_config_selectorIssEEZZNS1_16scan_by_key_implILNS1_25lookback_scan_determinismE0ELb0ES3_N6thrust23THRUST_200600_302600_NS6detail15normal_iteratorINS9_10device_ptrIsEEEESE_SE_sNS9_4plusIsEE19head_flag_predicatesEE10hipError_tPvRmT2_T3_T4_T5_mT6_T7_P12ihipStream_tbENKUlT_T0_E_clISt17integral_constantIbLb1EESX_IbLb0EEEEDaST_SU_EUlST_E_NS1_11comp_targetILNS1_3genE8ELNS1_11target_archE1030ELNS1_3gpuE2ELNS1_3repE0EEENS1_30default_config_static_selectorELNS0_4arch9wavefront6targetE0EEEvT1_
	.p2align	8
	.type	_ZN7rocprim17ROCPRIM_400000_NS6detail17trampoline_kernelINS0_14default_configENS1_27scan_by_key_config_selectorIssEEZZNS1_16scan_by_key_implILNS1_25lookback_scan_determinismE0ELb0ES3_N6thrust23THRUST_200600_302600_NS6detail15normal_iteratorINS9_10device_ptrIsEEEESE_SE_sNS9_4plusIsEE19head_flag_predicatesEE10hipError_tPvRmT2_T3_T4_T5_mT6_T7_P12ihipStream_tbENKUlT_T0_E_clISt17integral_constantIbLb1EESX_IbLb0EEEEDaST_SU_EUlST_E_NS1_11comp_targetILNS1_3genE8ELNS1_11target_archE1030ELNS1_3gpuE2ELNS1_3repE0EEENS1_30default_config_static_selectorELNS0_4arch9wavefront6targetE0EEEvT1_,@function
_ZN7rocprim17ROCPRIM_400000_NS6detail17trampoline_kernelINS0_14default_configENS1_27scan_by_key_config_selectorIssEEZZNS1_16scan_by_key_implILNS1_25lookback_scan_determinismE0ELb0ES3_N6thrust23THRUST_200600_302600_NS6detail15normal_iteratorINS9_10device_ptrIsEEEESE_SE_sNS9_4plusIsEE19head_flag_predicatesEE10hipError_tPvRmT2_T3_T4_T5_mT6_T7_P12ihipStream_tbENKUlT_T0_E_clISt17integral_constantIbLb1EESX_IbLb0EEEEDaST_SU_EUlST_E_NS1_11comp_targetILNS1_3genE8ELNS1_11target_archE1030ELNS1_3gpuE2ELNS1_3repE0EEENS1_30default_config_static_selectorELNS0_4arch9wavefront6targetE0EEEvT1_: ; @_ZN7rocprim17ROCPRIM_400000_NS6detail17trampoline_kernelINS0_14default_configENS1_27scan_by_key_config_selectorIssEEZZNS1_16scan_by_key_implILNS1_25lookback_scan_determinismE0ELb0ES3_N6thrust23THRUST_200600_302600_NS6detail15normal_iteratorINS9_10device_ptrIsEEEESE_SE_sNS9_4plusIsEE19head_flag_predicatesEE10hipError_tPvRmT2_T3_T4_T5_mT6_T7_P12ihipStream_tbENKUlT_T0_E_clISt17integral_constantIbLb1EESX_IbLb0EEEEDaST_SU_EUlST_E_NS1_11comp_targetILNS1_3genE8ELNS1_11target_archE1030ELNS1_3gpuE2ELNS1_3repE0EEENS1_30default_config_static_selectorELNS0_4arch9wavefront6targetE0EEEvT1_
; %bb.0:
	s_endpgm
	.section	.rodata,"a",@progbits
	.p2align	6, 0x0
	.amdhsa_kernel _ZN7rocprim17ROCPRIM_400000_NS6detail17trampoline_kernelINS0_14default_configENS1_27scan_by_key_config_selectorIssEEZZNS1_16scan_by_key_implILNS1_25lookback_scan_determinismE0ELb0ES3_N6thrust23THRUST_200600_302600_NS6detail15normal_iteratorINS9_10device_ptrIsEEEESE_SE_sNS9_4plusIsEE19head_flag_predicatesEE10hipError_tPvRmT2_T3_T4_T5_mT6_T7_P12ihipStream_tbENKUlT_T0_E_clISt17integral_constantIbLb1EESX_IbLb0EEEEDaST_SU_EUlST_E_NS1_11comp_targetILNS1_3genE8ELNS1_11target_archE1030ELNS1_3gpuE2ELNS1_3repE0EEENS1_30default_config_static_selectorELNS0_4arch9wavefront6targetE0EEEvT1_
		.amdhsa_group_segment_fixed_size 0
		.amdhsa_private_segment_fixed_size 0
		.amdhsa_kernarg_size 112
		.amdhsa_user_sgpr_count 6
		.amdhsa_user_sgpr_private_segment_buffer 1
		.amdhsa_user_sgpr_dispatch_ptr 0
		.amdhsa_user_sgpr_queue_ptr 0
		.amdhsa_user_sgpr_kernarg_segment_ptr 1
		.amdhsa_user_sgpr_dispatch_id 0
		.amdhsa_user_sgpr_flat_scratch_init 0
		.amdhsa_user_sgpr_private_segment_size 0
		.amdhsa_wavefront_size32 1
		.amdhsa_uses_dynamic_stack 0
		.amdhsa_system_sgpr_private_segment_wavefront_offset 0
		.amdhsa_system_sgpr_workgroup_id_x 1
		.amdhsa_system_sgpr_workgroup_id_y 0
		.amdhsa_system_sgpr_workgroup_id_z 0
		.amdhsa_system_sgpr_workgroup_info 0
		.amdhsa_system_vgpr_workitem_id 0
		.amdhsa_next_free_vgpr 1
		.amdhsa_next_free_sgpr 1
		.amdhsa_reserve_vcc 0
		.amdhsa_reserve_flat_scratch 0
		.amdhsa_float_round_mode_32 0
		.amdhsa_float_round_mode_16_64 0
		.amdhsa_float_denorm_mode_32 3
		.amdhsa_float_denorm_mode_16_64 3
		.amdhsa_dx10_clamp 1
		.amdhsa_ieee_mode 1
		.amdhsa_fp16_overflow 0
		.amdhsa_workgroup_processor_mode 1
		.amdhsa_memory_ordered 1
		.amdhsa_forward_progress 1
		.amdhsa_shared_vgpr_count 0
		.amdhsa_exception_fp_ieee_invalid_op 0
		.amdhsa_exception_fp_denorm_src 0
		.amdhsa_exception_fp_ieee_div_zero 0
		.amdhsa_exception_fp_ieee_overflow 0
		.amdhsa_exception_fp_ieee_underflow 0
		.amdhsa_exception_fp_ieee_inexact 0
		.amdhsa_exception_int_div_zero 0
	.end_amdhsa_kernel
	.section	.text._ZN7rocprim17ROCPRIM_400000_NS6detail17trampoline_kernelINS0_14default_configENS1_27scan_by_key_config_selectorIssEEZZNS1_16scan_by_key_implILNS1_25lookback_scan_determinismE0ELb0ES3_N6thrust23THRUST_200600_302600_NS6detail15normal_iteratorINS9_10device_ptrIsEEEESE_SE_sNS9_4plusIsEE19head_flag_predicatesEE10hipError_tPvRmT2_T3_T4_T5_mT6_T7_P12ihipStream_tbENKUlT_T0_E_clISt17integral_constantIbLb1EESX_IbLb0EEEEDaST_SU_EUlST_E_NS1_11comp_targetILNS1_3genE8ELNS1_11target_archE1030ELNS1_3gpuE2ELNS1_3repE0EEENS1_30default_config_static_selectorELNS0_4arch9wavefront6targetE0EEEvT1_,"axG",@progbits,_ZN7rocprim17ROCPRIM_400000_NS6detail17trampoline_kernelINS0_14default_configENS1_27scan_by_key_config_selectorIssEEZZNS1_16scan_by_key_implILNS1_25lookback_scan_determinismE0ELb0ES3_N6thrust23THRUST_200600_302600_NS6detail15normal_iteratorINS9_10device_ptrIsEEEESE_SE_sNS9_4plusIsEE19head_flag_predicatesEE10hipError_tPvRmT2_T3_T4_T5_mT6_T7_P12ihipStream_tbENKUlT_T0_E_clISt17integral_constantIbLb1EESX_IbLb0EEEEDaST_SU_EUlST_E_NS1_11comp_targetILNS1_3genE8ELNS1_11target_archE1030ELNS1_3gpuE2ELNS1_3repE0EEENS1_30default_config_static_selectorELNS0_4arch9wavefront6targetE0EEEvT1_,comdat
.Lfunc_end847:
	.size	_ZN7rocprim17ROCPRIM_400000_NS6detail17trampoline_kernelINS0_14default_configENS1_27scan_by_key_config_selectorIssEEZZNS1_16scan_by_key_implILNS1_25lookback_scan_determinismE0ELb0ES3_N6thrust23THRUST_200600_302600_NS6detail15normal_iteratorINS9_10device_ptrIsEEEESE_SE_sNS9_4plusIsEE19head_flag_predicatesEE10hipError_tPvRmT2_T3_T4_T5_mT6_T7_P12ihipStream_tbENKUlT_T0_E_clISt17integral_constantIbLb1EESX_IbLb0EEEEDaST_SU_EUlST_E_NS1_11comp_targetILNS1_3genE8ELNS1_11target_archE1030ELNS1_3gpuE2ELNS1_3repE0EEENS1_30default_config_static_selectorELNS0_4arch9wavefront6targetE0EEEvT1_, .Lfunc_end847-_ZN7rocprim17ROCPRIM_400000_NS6detail17trampoline_kernelINS0_14default_configENS1_27scan_by_key_config_selectorIssEEZZNS1_16scan_by_key_implILNS1_25lookback_scan_determinismE0ELb0ES3_N6thrust23THRUST_200600_302600_NS6detail15normal_iteratorINS9_10device_ptrIsEEEESE_SE_sNS9_4plusIsEE19head_flag_predicatesEE10hipError_tPvRmT2_T3_T4_T5_mT6_T7_P12ihipStream_tbENKUlT_T0_E_clISt17integral_constantIbLb1EESX_IbLb0EEEEDaST_SU_EUlST_E_NS1_11comp_targetILNS1_3genE8ELNS1_11target_archE1030ELNS1_3gpuE2ELNS1_3repE0EEENS1_30default_config_static_selectorELNS0_4arch9wavefront6targetE0EEEvT1_
                                        ; -- End function
	.set _ZN7rocprim17ROCPRIM_400000_NS6detail17trampoline_kernelINS0_14default_configENS1_27scan_by_key_config_selectorIssEEZZNS1_16scan_by_key_implILNS1_25lookback_scan_determinismE0ELb0ES3_N6thrust23THRUST_200600_302600_NS6detail15normal_iteratorINS9_10device_ptrIsEEEESE_SE_sNS9_4plusIsEE19head_flag_predicatesEE10hipError_tPvRmT2_T3_T4_T5_mT6_T7_P12ihipStream_tbENKUlT_T0_E_clISt17integral_constantIbLb1EESX_IbLb0EEEEDaST_SU_EUlST_E_NS1_11comp_targetILNS1_3genE8ELNS1_11target_archE1030ELNS1_3gpuE2ELNS1_3repE0EEENS1_30default_config_static_selectorELNS0_4arch9wavefront6targetE0EEEvT1_.num_vgpr, 0
	.set _ZN7rocprim17ROCPRIM_400000_NS6detail17trampoline_kernelINS0_14default_configENS1_27scan_by_key_config_selectorIssEEZZNS1_16scan_by_key_implILNS1_25lookback_scan_determinismE0ELb0ES3_N6thrust23THRUST_200600_302600_NS6detail15normal_iteratorINS9_10device_ptrIsEEEESE_SE_sNS9_4plusIsEE19head_flag_predicatesEE10hipError_tPvRmT2_T3_T4_T5_mT6_T7_P12ihipStream_tbENKUlT_T0_E_clISt17integral_constantIbLb1EESX_IbLb0EEEEDaST_SU_EUlST_E_NS1_11comp_targetILNS1_3genE8ELNS1_11target_archE1030ELNS1_3gpuE2ELNS1_3repE0EEENS1_30default_config_static_selectorELNS0_4arch9wavefront6targetE0EEEvT1_.num_agpr, 0
	.set _ZN7rocprim17ROCPRIM_400000_NS6detail17trampoline_kernelINS0_14default_configENS1_27scan_by_key_config_selectorIssEEZZNS1_16scan_by_key_implILNS1_25lookback_scan_determinismE0ELb0ES3_N6thrust23THRUST_200600_302600_NS6detail15normal_iteratorINS9_10device_ptrIsEEEESE_SE_sNS9_4plusIsEE19head_flag_predicatesEE10hipError_tPvRmT2_T3_T4_T5_mT6_T7_P12ihipStream_tbENKUlT_T0_E_clISt17integral_constantIbLb1EESX_IbLb0EEEEDaST_SU_EUlST_E_NS1_11comp_targetILNS1_3genE8ELNS1_11target_archE1030ELNS1_3gpuE2ELNS1_3repE0EEENS1_30default_config_static_selectorELNS0_4arch9wavefront6targetE0EEEvT1_.numbered_sgpr, 0
	.set _ZN7rocprim17ROCPRIM_400000_NS6detail17trampoline_kernelINS0_14default_configENS1_27scan_by_key_config_selectorIssEEZZNS1_16scan_by_key_implILNS1_25lookback_scan_determinismE0ELb0ES3_N6thrust23THRUST_200600_302600_NS6detail15normal_iteratorINS9_10device_ptrIsEEEESE_SE_sNS9_4plusIsEE19head_flag_predicatesEE10hipError_tPvRmT2_T3_T4_T5_mT6_T7_P12ihipStream_tbENKUlT_T0_E_clISt17integral_constantIbLb1EESX_IbLb0EEEEDaST_SU_EUlST_E_NS1_11comp_targetILNS1_3genE8ELNS1_11target_archE1030ELNS1_3gpuE2ELNS1_3repE0EEENS1_30default_config_static_selectorELNS0_4arch9wavefront6targetE0EEEvT1_.num_named_barrier, 0
	.set _ZN7rocprim17ROCPRIM_400000_NS6detail17trampoline_kernelINS0_14default_configENS1_27scan_by_key_config_selectorIssEEZZNS1_16scan_by_key_implILNS1_25lookback_scan_determinismE0ELb0ES3_N6thrust23THRUST_200600_302600_NS6detail15normal_iteratorINS9_10device_ptrIsEEEESE_SE_sNS9_4plusIsEE19head_flag_predicatesEE10hipError_tPvRmT2_T3_T4_T5_mT6_T7_P12ihipStream_tbENKUlT_T0_E_clISt17integral_constantIbLb1EESX_IbLb0EEEEDaST_SU_EUlST_E_NS1_11comp_targetILNS1_3genE8ELNS1_11target_archE1030ELNS1_3gpuE2ELNS1_3repE0EEENS1_30default_config_static_selectorELNS0_4arch9wavefront6targetE0EEEvT1_.private_seg_size, 0
	.set _ZN7rocprim17ROCPRIM_400000_NS6detail17trampoline_kernelINS0_14default_configENS1_27scan_by_key_config_selectorIssEEZZNS1_16scan_by_key_implILNS1_25lookback_scan_determinismE0ELb0ES3_N6thrust23THRUST_200600_302600_NS6detail15normal_iteratorINS9_10device_ptrIsEEEESE_SE_sNS9_4plusIsEE19head_flag_predicatesEE10hipError_tPvRmT2_T3_T4_T5_mT6_T7_P12ihipStream_tbENKUlT_T0_E_clISt17integral_constantIbLb1EESX_IbLb0EEEEDaST_SU_EUlST_E_NS1_11comp_targetILNS1_3genE8ELNS1_11target_archE1030ELNS1_3gpuE2ELNS1_3repE0EEENS1_30default_config_static_selectorELNS0_4arch9wavefront6targetE0EEEvT1_.uses_vcc, 0
	.set _ZN7rocprim17ROCPRIM_400000_NS6detail17trampoline_kernelINS0_14default_configENS1_27scan_by_key_config_selectorIssEEZZNS1_16scan_by_key_implILNS1_25lookback_scan_determinismE0ELb0ES3_N6thrust23THRUST_200600_302600_NS6detail15normal_iteratorINS9_10device_ptrIsEEEESE_SE_sNS9_4plusIsEE19head_flag_predicatesEE10hipError_tPvRmT2_T3_T4_T5_mT6_T7_P12ihipStream_tbENKUlT_T0_E_clISt17integral_constantIbLb1EESX_IbLb0EEEEDaST_SU_EUlST_E_NS1_11comp_targetILNS1_3genE8ELNS1_11target_archE1030ELNS1_3gpuE2ELNS1_3repE0EEENS1_30default_config_static_selectorELNS0_4arch9wavefront6targetE0EEEvT1_.uses_flat_scratch, 0
	.set _ZN7rocprim17ROCPRIM_400000_NS6detail17trampoline_kernelINS0_14default_configENS1_27scan_by_key_config_selectorIssEEZZNS1_16scan_by_key_implILNS1_25lookback_scan_determinismE0ELb0ES3_N6thrust23THRUST_200600_302600_NS6detail15normal_iteratorINS9_10device_ptrIsEEEESE_SE_sNS9_4plusIsEE19head_flag_predicatesEE10hipError_tPvRmT2_T3_T4_T5_mT6_T7_P12ihipStream_tbENKUlT_T0_E_clISt17integral_constantIbLb1EESX_IbLb0EEEEDaST_SU_EUlST_E_NS1_11comp_targetILNS1_3genE8ELNS1_11target_archE1030ELNS1_3gpuE2ELNS1_3repE0EEENS1_30default_config_static_selectorELNS0_4arch9wavefront6targetE0EEEvT1_.has_dyn_sized_stack, 0
	.set _ZN7rocprim17ROCPRIM_400000_NS6detail17trampoline_kernelINS0_14default_configENS1_27scan_by_key_config_selectorIssEEZZNS1_16scan_by_key_implILNS1_25lookback_scan_determinismE0ELb0ES3_N6thrust23THRUST_200600_302600_NS6detail15normal_iteratorINS9_10device_ptrIsEEEESE_SE_sNS9_4plusIsEE19head_flag_predicatesEE10hipError_tPvRmT2_T3_T4_T5_mT6_T7_P12ihipStream_tbENKUlT_T0_E_clISt17integral_constantIbLb1EESX_IbLb0EEEEDaST_SU_EUlST_E_NS1_11comp_targetILNS1_3genE8ELNS1_11target_archE1030ELNS1_3gpuE2ELNS1_3repE0EEENS1_30default_config_static_selectorELNS0_4arch9wavefront6targetE0EEEvT1_.has_recursion, 0
	.set _ZN7rocprim17ROCPRIM_400000_NS6detail17trampoline_kernelINS0_14default_configENS1_27scan_by_key_config_selectorIssEEZZNS1_16scan_by_key_implILNS1_25lookback_scan_determinismE0ELb0ES3_N6thrust23THRUST_200600_302600_NS6detail15normal_iteratorINS9_10device_ptrIsEEEESE_SE_sNS9_4plusIsEE19head_flag_predicatesEE10hipError_tPvRmT2_T3_T4_T5_mT6_T7_P12ihipStream_tbENKUlT_T0_E_clISt17integral_constantIbLb1EESX_IbLb0EEEEDaST_SU_EUlST_E_NS1_11comp_targetILNS1_3genE8ELNS1_11target_archE1030ELNS1_3gpuE2ELNS1_3repE0EEENS1_30default_config_static_selectorELNS0_4arch9wavefront6targetE0EEEvT1_.has_indirect_call, 0
	.section	.AMDGPU.csdata,"",@progbits
; Kernel info:
; codeLenInByte = 4
; TotalNumSgprs: 0
; NumVgprs: 0
; ScratchSize: 0
; MemoryBound: 0
; FloatMode: 240
; IeeeMode: 1
; LDSByteSize: 0 bytes/workgroup (compile time only)
; SGPRBlocks: 0
; VGPRBlocks: 0
; NumSGPRsForWavesPerEU: 1
; NumVGPRsForWavesPerEU: 1
; Occupancy: 16
; WaveLimiterHint : 0
; COMPUTE_PGM_RSRC2:SCRATCH_EN: 0
; COMPUTE_PGM_RSRC2:USER_SGPR: 6
; COMPUTE_PGM_RSRC2:TRAP_HANDLER: 0
; COMPUTE_PGM_RSRC2:TGID_X_EN: 1
; COMPUTE_PGM_RSRC2:TGID_Y_EN: 0
; COMPUTE_PGM_RSRC2:TGID_Z_EN: 0
; COMPUTE_PGM_RSRC2:TIDIG_COMP_CNT: 0
	.section	.text._ZN7rocprim17ROCPRIM_400000_NS6detail17trampoline_kernelINS0_14default_configENS1_27scan_by_key_config_selectorIssEEZZNS1_16scan_by_key_implILNS1_25lookback_scan_determinismE0ELb0ES3_N6thrust23THRUST_200600_302600_NS6detail15normal_iteratorINS9_10device_ptrIsEEEESE_SE_sNS9_4plusIsEE19head_flag_predicatesEE10hipError_tPvRmT2_T3_T4_T5_mT6_T7_P12ihipStream_tbENKUlT_T0_E_clISt17integral_constantIbLb0EESX_IbLb1EEEEDaST_SU_EUlST_E_NS1_11comp_targetILNS1_3genE0ELNS1_11target_archE4294967295ELNS1_3gpuE0ELNS1_3repE0EEENS1_30default_config_static_selectorELNS0_4arch9wavefront6targetE0EEEvT1_,"axG",@progbits,_ZN7rocprim17ROCPRIM_400000_NS6detail17trampoline_kernelINS0_14default_configENS1_27scan_by_key_config_selectorIssEEZZNS1_16scan_by_key_implILNS1_25lookback_scan_determinismE0ELb0ES3_N6thrust23THRUST_200600_302600_NS6detail15normal_iteratorINS9_10device_ptrIsEEEESE_SE_sNS9_4plusIsEE19head_flag_predicatesEE10hipError_tPvRmT2_T3_T4_T5_mT6_T7_P12ihipStream_tbENKUlT_T0_E_clISt17integral_constantIbLb0EESX_IbLb1EEEEDaST_SU_EUlST_E_NS1_11comp_targetILNS1_3genE0ELNS1_11target_archE4294967295ELNS1_3gpuE0ELNS1_3repE0EEENS1_30default_config_static_selectorELNS0_4arch9wavefront6targetE0EEEvT1_,comdat
	.protected	_ZN7rocprim17ROCPRIM_400000_NS6detail17trampoline_kernelINS0_14default_configENS1_27scan_by_key_config_selectorIssEEZZNS1_16scan_by_key_implILNS1_25lookback_scan_determinismE0ELb0ES3_N6thrust23THRUST_200600_302600_NS6detail15normal_iteratorINS9_10device_ptrIsEEEESE_SE_sNS9_4plusIsEE19head_flag_predicatesEE10hipError_tPvRmT2_T3_T4_T5_mT6_T7_P12ihipStream_tbENKUlT_T0_E_clISt17integral_constantIbLb0EESX_IbLb1EEEEDaST_SU_EUlST_E_NS1_11comp_targetILNS1_3genE0ELNS1_11target_archE4294967295ELNS1_3gpuE0ELNS1_3repE0EEENS1_30default_config_static_selectorELNS0_4arch9wavefront6targetE0EEEvT1_ ; -- Begin function _ZN7rocprim17ROCPRIM_400000_NS6detail17trampoline_kernelINS0_14default_configENS1_27scan_by_key_config_selectorIssEEZZNS1_16scan_by_key_implILNS1_25lookback_scan_determinismE0ELb0ES3_N6thrust23THRUST_200600_302600_NS6detail15normal_iteratorINS9_10device_ptrIsEEEESE_SE_sNS9_4plusIsEE19head_flag_predicatesEE10hipError_tPvRmT2_T3_T4_T5_mT6_T7_P12ihipStream_tbENKUlT_T0_E_clISt17integral_constantIbLb0EESX_IbLb1EEEEDaST_SU_EUlST_E_NS1_11comp_targetILNS1_3genE0ELNS1_11target_archE4294967295ELNS1_3gpuE0ELNS1_3repE0EEENS1_30default_config_static_selectorELNS0_4arch9wavefront6targetE0EEEvT1_
	.globl	_ZN7rocprim17ROCPRIM_400000_NS6detail17trampoline_kernelINS0_14default_configENS1_27scan_by_key_config_selectorIssEEZZNS1_16scan_by_key_implILNS1_25lookback_scan_determinismE0ELb0ES3_N6thrust23THRUST_200600_302600_NS6detail15normal_iteratorINS9_10device_ptrIsEEEESE_SE_sNS9_4plusIsEE19head_flag_predicatesEE10hipError_tPvRmT2_T3_T4_T5_mT6_T7_P12ihipStream_tbENKUlT_T0_E_clISt17integral_constantIbLb0EESX_IbLb1EEEEDaST_SU_EUlST_E_NS1_11comp_targetILNS1_3genE0ELNS1_11target_archE4294967295ELNS1_3gpuE0ELNS1_3repE0EEENS1_30default_config_static_selectorELNS0_4arch9wavefront6targetE0EEEvT1_
	.p2align	8
	.type	_ZN7rocprim17ROCPRIM_400000_NS6detail17trampoline_kernelINS0_14default_configENS1_27scan_by_key_config_selectorIssEEZZNS1_16scan_by_key_implILNS1_25lookback_scan_determinismE0ELb0ES3_N6thrust23THRUST_200600_302600_NS6detail15normal_iteratorINS9_10device_ptrIsEEEESE_SE_sNS9_4plusIsEE19head_flag_predicatesEE10hipError_tPvRmT2_T3_T4_T5_mT6_T7_P12ihipStream_tbENKUlT_T0_E_clISt17integral_constantIbLb0EESX_IbLb1EEEEDaST_SU_EUlST_E_NS1_11comp_targetILNS1_3genE0ELNS1_11target_archE4294967295ELNS1_3gpuE0ELNS1_3repE0EEENS1_30default_config_static_selectorELNS0_4arch9wavefront6targetE0EEEvT1_,@function
_ZN7rocprim17ROCPRIM_400000_NS6detail17trampoline_kernelINS0_14default_configENS1_27scan_by_key_config_selectorIssEEZZNS1_16scan_by_key_implILNS1_25lookback_scan_determinismE0ELb0ES3_N6thrust23THRUST_200600_302600_NS6detail15normal_iteratorINS9_10device_ptrIsEEEESE_SE_sNS9_4plusIsEE19head_flag_predicatesEE10hipError_tPvRmT2_T3_T4_T5_mT6_T7_P12ihipStream_tbENKUlT_T0_E_clISt17integral_constantIbLb0EESX_IbLb1EEEEDaST_SU_EUlST_E_NS1_11comp_targetILNS1_3genE0ELNS1_11target_archE4294967295ELNS1_3gpuE0ELNS1_3repE0EEENS1_30default_config_static_selectorELNS0_4arch9wavefront6targetE0EEEvT1_: ; @_ZN7rocprim17ROCPRIM_400000_NS6detail17trampoline_kernelINS0_14default_configENS1_27scan_by_key_config_selectorIssEEZZNS1_16scan_by_key_implILNS1_25lookback_scan_determinismE0ELb0ES3_N6thrust23THRUST_200600_302600_NS6detail15normal_iteratorINS9_10device_ptrIsEEEESE_SE_sNS9_4plusIsEE19head_flag_predicatesEE10hipError_tPvRmT2_T3_T4_T5_mT6_T7_P12ihipStream_tbENKUlT_T0_E_clISt17integral_constantIbLb0EESX_IbLb1EEEEDaST_SU_EUlST_E_NS1_11comp_targetILNS1_3genE0ELNS1_11target_archE4294967295ELNS1_3gpuE0ELNS1_3repE0EEENS1_30default_config_static_selectorELNS0_4arch9wavefront6targetE0EEEvT1_
; %bb.0:
	.section	.rodata,"a",@progbits
	.p2align	6, 0x0
	.amdhsa_kernel _ZN7rocprim17ROCPRIM_400000_NS6detail17trampoline_kernelINS0_14default_configENS1_27scan_by_key_config_selectorIssEEZZNS1_16scan_by_key_implILNS1_25lookback_scan_determinismE0ELb0ES3_N6thrust23THRUST_200600_302600_NS6detail15normal_iteratorINS9_10device_ptrIsEEEESE_SE_sNS9_4plusIsEE19head_flag_predicatesEE10hipError_tPvRmT2_T3_T4_T5_mT6_T7_P12ihipStream_tbENKUlT_T0_E_clISt17integral_constantIbLb0EESX_IbLb1EEEEDaST_SU_EUlST_E_NS1_11comp_targetILNS1_3genE0ELNS1_11target_archE4294967295ELNS1_3gpuE0ELNS1_3repE0EEENS1_30default_config_static_selectorELNS0_4arch9wavefront6targetE0EEEvT1_
		.amdhsa_group_segment_fixed_size 0
		.amdhsa_private_segment_fixed_size 0
		.amdhsa_kernarg_size 112
		.amdhsa_user_sgpr_count 6
		.amdhsa_user_sgpr_private_segment_buffer 1
		.amdhsa_user_sgpr_dispatch_ptr 0
		.amdhsa_user_sgpr_queue_ptr 0
		.amdhsa_user_sgpr_kernarg_segment_ptr 1
		.amdhsa_user_sgpr_dispatch_id 0
		.amdhsa_user_sgpr_flat_scratch_init 0
		.amdhsa_user_sgpr_private_segment_size 0
		.amdhsa_wavefront_size32 1
		.amdhsa_uses_dynamic_stack 0
		.amdhsa_system_sgpr_private_segment_wavefront_offset 0
		.amdhsa_system_sgpr_workgroup_id_x 1
		.amdhsa_system_sgpr_workgroup_id_y 0
		.amdhsa_system_sgpr_workgroup_id_z 0
		.amdhsa_system_sgpr_workgroup_info 0
		.amdhsa_system_vgpr_workitem_id 0
		.amdhsa_next_free_vgpr 1
		.amdhsa_next_free_sgpr 1
		.amdhsa_reserve_vcc 0
		.amdhsa_reserve_flat_scratch 0
		.amdhsa_float_round_mode_32 0
		.amdhsa_float_round_mode_16_64 0
		.amdhsa_float_denorm_mode_32 3
		.amdhsa_float_denorm_mode_16_64 3
		.amdhsa_dx10_clamp 1
		.amdhsa_ieee_mode 1
		.amdhsa_fp16_overflow 0
		.amdhsa_workgroup_processor_mode 1
		.amdhsa_memory_ordered 1
		.amdhsa_forward_progress 1
		.amdhsa_shared_vgpr_count 0
		.amdhsa_exception_fp_ieee_invalid_op 0
		.amdhsa_exception_fp_denorm_src 0
		.amdhsa_exception_fp_ieee_div_zero 0
		.amdhsa_exception_fp_ieee_overflow 0
		.amdhsa_exception_fp_ieee_underflow 0
		.amdhsa_exception_fp_ieee_inexact 0
		.amdhsa_exception_int_div_zero 0
	.end_amdhsa_kernel
	.section	.text._ZN7rocprim17ROCPRIM_400000_NS6detail17trampoline_kernelINS0_14default_configENS1_27scan_by_key_config_selectorIssEEZZNS1_16scan_by_key_implILNS1_25lookback_scan_determinismE0ELb0ES3_N6thrust23THRUST_200600_302600_NS6detail15normal_iteratorINS9_10device_ptrIsEEEESE_SE_sNS9_4plusIsEE19head_flag_predicatesEE10hipError_tPvRmT2_T3_T4_T5_mT6_T7_P12ihipStream_tbENKUlT_T0_E_clISt17integral_constantIbLb0EESX_IbLb1EEEEDaST_SU_EUlST_E_NS1_11comp_targetILNS1_3genE0ELNS1_11target_archE4294967295ELNS1_3gpuE0ELNS1_3repE0EEENS1_30default_config_static_selectorELNS0_4arch9wavefront6targetE0EEEvT1_,"axG",@progbits,_ZN7rocprim17ROCPRIM_400000_NS6detail17trampoline_kernelINS0_14default_configENS1_27scan_by_key_config_selectorIssEEZZNS1_16scan_by_key_implILNS1_25lookback_scan_determinismE0ELb0ES3_N6thrust23THRUST_200600_302600_NS6detail15normal_iteratorINS9_10device_ptrIsEEEESE_SE_sNS9_4plusIsEE19head_flag_predicatesEE10hipError_tPvRmT2_T3_T4_T5_mT6_T7_P12ihipStream_tbENKUlT_T0_E_clISt17integral_constantIbLb0EESX_IbLb1EEEEDaST_SU_EUlST_E_NS1_11comp_targetILNS1_3genE0ELNS1_11target_archE4294967295ELNS1_3gpuE0ELNS1_3repE0EEENS1_30default_config_static_selectorELNS0_4arch9wavefront6targetE0EEEvT1_,comdat
.Lfunc_end848:
	.size	_ZN7rocprim17ROCPRIM_400000_NS6detail17trampoline_kernelINS0_14default_configENS1_27scan_by_key_config_selectorIssEEZZNS1_16scan_by_key_implILNS1_25lookback_scan_determinismE0ELb0ES3_N6thrust23THRUST_200600_302600_NS6detail15normal_iteratorINS9_10device_ptrIsEEEESE_SE_sNS9_4plusIsEE19head_flag_predicatesEE10hipError_tPvRmT2_T3_T4_T5_mT6_T7_P12ihipStream_tbENKUlT_T0_E_clISt17integral_constantIbLb0EESX_IbLb1EEEEDaST_SU_EUlST_E_NS1_11comp_targetILNS1_3genE0ELNS1_11target_archE4294967295ELNS1_3gpuE0ELNS1_3repE0EEENS1_30default_config_static_selectorELNS0_4arch9wavefront6targetE0EEEvT1_, .Lfunc_end848-_ZN7rocprim17ROCPRIM_400000_NS6detail17trampoline_kernelINS0_14default_configENS1_27scan_by_key_config_selectorIssEEZZNS1_16scan_by_key_implILNS1_25lookback_scan_determinismE0ELb0ES3_N6thrust23THRUST_200600_302600_NS6detail15normal_iteratorINS9_10device_ptrIsEEEESE_SE_sNS9_4plusIsEE19head_flag_predicatesEE10hipError_tPvRmT2_T3_T4_T5_mT6_T7_P12ihipStream_tbENKUlT_T0_E_clISt17integral_constantIbLb0EESX_IbLb1EEEEDaST_SU_EUlST_E_NS1_11comp_targetILNS1_3genE0ELNS1_11target_archE4294967295ELNS1_3gpuE0ELNS1_3repE0EEENS1_30default_config_static_selectorELNS0_4arch9wavefront6targetE0EEEvT1_
                                        ; -- End function
	.set _ZN7rocprim17ROCPRIM_400000_NS6detail17trampoline_kernelINS0_14default_configENS1_27scan_by_key_config_selectorIssEEZZNS1_16scan_by_key_implILNS1_25lookback_scan_determinismE0ELb0ES3_N6thrust23THRUST_200600_302600_NS6detail15normal_iteratorINS9_10device_ptrIsEEEESE_SE_sNS9_4plusIsEE19head_flag_predicatesEE10hipError_tPvRmT2_T3_T4_T5_mT6_T7_P12ihipStream_tbENKUlT_T0_E_clISt17integral_constantIbLb0EESX_IbLb1EEEEDaST_SU_EUlST_E_NS1_11comp_targetILNS1_3genE0ELNS1_11target_archE4294967295ELNS1_3gpuE0ELNS1_3repE0EEENS1_30default_config_static_selectorELNS0_4arch9wavefront6targetE0EEEvT1_.num_vgpr, 0
	.set _ZN7rocprim17ROCPRIM_400000_NS6detail17trampoline_kernelINS0_14default_configENS1_27scan_by_key_config_selectorIssEEZZNS1_16scan_by_key_implILNS1_25lookback_scan_determinismE0ELb0ES3_N6thrust23THRUST_200600_302600_NS6detail15normal_iteratorINS9_10device_ptrIsEEEESE_SE_sNS9_4plusIsEE19head_flag_predicatesEE10hipError_tPvRmT2_T3_T4_T5_mT6_T7_P12ihipStream_tbENKUlT_T0_E_clISt17integral_constantIbLb0EESX_IbLb1EEEEDaST_SU_EUlST_E_NS1_11comp_targetILNS1_3genE0ELNS1_11target_archE4294967295ELNS1_3gpuE0ELNS1_3repE0EEENS1_30default_config_static_selectorELNS0_4arch9wavefront6targetE0EEEvT1_.num_agpr, 0
	.set _ZN7rocprim17ROCPRIM_400000_NS6detail17trampoline_kernelINS0_14default_configENS1_27scan_by_key_config_selectorIssEEZZNS1_16scan_by_key_implILNS1_25lookback_scan_determinismE0ELb0ES3_N6thrust23THRUST_200600_302600_NS6detail15normal_iteratorINS9_10device_ptrIsEEEESE_SE_sNS9_4plusIsEE19head_flag_predicatesEE10hipError_tPvRmT2_T3_T4_T5_mT6_T7_P12ihipStream_tbENKUlT_T0_E_clISt17integral_constantIbLb0EESX_IbLb1EEEEDaST_SU_EUlST_E_NS1_11comp_targetILNS1_3genE0ELNS1_11target_archE4294967295ELNS1_3gpuE0ELNS1_3repE0EEENS1_30default_config_static_selectorELNS0_4arch9wavefront6targetE0EEEvT1_.numbered_sgpr, 0
	.set _ZN7rocprim17ROCPRIM_400000_NS6detail17trampoline_kernelINS0_14default_configENS1_27scan_by_key_config_selectorIssEEZZNS1_16scan_by_key_implILNS1_25lookback_scan_determinismE0ELb0ES3_N6thrust23THRUST_200600_302600_NS6detail15normal_iteratorINS9_10device_ptrIsEEEESE_SE_sNS9_4plusIsEE19head_flag_predicatesEE10hipError_tPvRmT2_T3_T4_T5_mT6_T7_P12ihipStream_tbENKUlT_T0_E_clISt17integral_constantIbLb0EESX_IbLb1EEEEDaST_SU_EUlST_E_NS1_11comp_targetILNS1_3genE0ELNS1_11target_archE4294967295ELNS1_3gpuE0ELNS1_3repE0EEENS1_30default_config_static_selectorELNS0_4arch9wavefront6targetE0EEEvT1_.num_named_barrier, 0
	.set _ZN7rocprim17ROCPRIM_400000_NS6detail17trampoline_kernelINS0_14default_configENS1_27scan_by_key_config_selectorIssEEZZNS1_16scan_by_key_implILNS1_25lookback_scan_determinismE0ELb0ES3_N6thrust23THRUST_200600_302600_NS6detail15normal_iteratorINS9_10device_ptrIsEEEESE_SE_sNS9_4plusIsEE19head_flag_predicatesEE10hipError_tPvRmT2_T3_T4_T5_mT6_T7_P12ihipStream_tbENKUlT_T0_E_clISt17integral_constantIbLb0EESX_IbLb1EEEEDaST_SU_EUlST_E_NS1_11comp_targetILNS1_3genE0ELNS1_11target_archE4294967295ELNS1_3gpuE0ELNS1_3repE0EEENS1_30default_config_static_selectorELNS0_4arch9wavefront6targetE0EEEvT1_.private_seg_size, 0
	.set _ZN7rocprim17ROCPRIM_400000_NS6detail17trampoline_kernelINS0_14default_configENS1_27scan_by_key_config_selectorIssEEZZNS1_16scan_by_key_implILNS1_25lookback_scan_determinismE0ELb0ES3_N6thrust23THRUST_200600_302600_NS6detail15normal_iteratorINS9_10device_ptrIsEEEESE_SE_sNS9_4plusIsEE19head_flag_predicatesEE10hipError_tPvRmT2_T3_T4_T5_mT6_T7_P12ihipStream_tbENKUlT_T0_E_clISt17integral_constantIbLb0EESX_IbLb1EEEEDaST_SU_EUlST_E_NS1_11comp_targetILNS1_3genE0ELNS1_11target_archE4294967295ELNS1_3gpuE0ELNS1_3repE0EEENS1_30default_config_static_selectorELNS0_4arch9wavefront6targetE0EEEvT1_.uses_vcc, 0
	.set _ZN7rocprim17ROCPRIM_400000_NS6detail17trampoline_kernelINS0_14default_configENS1_27scan_by_key_config_selectorIssEEZZNS1_16scan_by_key_implILNS1_25lookback_scan_determinismE0ELb0ES3_N6thrust23THRUST_200600_302600_NS6detail15normal_iteratorINS9_10device_ptrIsEEEESE_SE_sNS9_4plusIsEE19head_flag_predicatesEE10hipError_tPvRmT2_T3_T4_T5_mT6_T7_P12ihipStream_tbENKUlT_T0_E_clISt17integral_constantIbLb0EESX_IbLb1EEEEDaST_SU_EUlST_E_NS1_11comp_targetILNS1_3genE0ELNS1_11target_archE4294967295ELNS1_3gpuE0ELNS1_3repE0EEENS1_30default_config_static_selectorELNS0_4arch9wavefront6targetE0EEEvT1_.uses_flat_scratch, 0
	.set _ZN7rocprim17ROCPRIM_400000_NS6detail17trampoline_kernelINS0_14default_configENS1_27scan_by_key_config_selectorIssEEZZNS1_16scan_by_key_implILNS1_25lookback_scan_determinismE0ELb0ES3_N6thrust23THRUST_200600_302600_NS6detail15normal_iteratorINS9_10device_ptrIsEEEESE_SE_sNS9_4plusIsEE19head_flag_predicatesEE10hipError_tPvRmT2_T3_T4_T5_mT6_T7_P12ihipStream_tbENKUlT_T0_E_clISt17integral_constantIbLb0EESX_IbLb1EEEEDaST_SU_EUlST_E_NS1_11comp_targetILNS1_3genE0ELNS1_11target_archE4294967295ELNS1_3gpuE0ELNS1_3repE0EEENS1_30default_config_static_selectorELNS0_4arch9wavefront6targetE0EEEvT1_.has_dyn_sized_stack, 0
	.set _ZN7rocprim17ROCPRIM_400000_NS6detail17trampoline_kernelINS0_14default_configENS1_27scan_by_key_config_selectorIssEEZZNS1_16scan_by_key_implILNS1_25lookback_scan_determinismE0ELb0ES3_N6thrust23THRUST_200600_302600_NS6detail15normal_iteratorINS9_10device_ptrIsEEEESE_SE_sNS9_4plusIsEE19head_flag_predicatesEE10hipError_tPvRmT2_T3_T4_T5_mT6_T7_P12ihipStream_tbENKUlT_T0_E_clISt17integral_constantIbLb0EESX_IbLb1EEEEDaST_SU_EUlST_E_NS1_11comp_targetILNS1_3genE0ELNS1_11target_archE4294967295ELNS1_3gpuE0ELNS1_3repE0EEENS1_30default_config_static_selectorELNS0_4arch9wavefront6targetE0EEEvT1_.has_recursion, 0
	.set _ZN7rocprim17ROCPRIM_400000_NS6detail17trampoline_kernelINS0_14default_configENS1_27scan_by_key_config_selectorIssEEZZNS1_16scan_by_key_implILNS1_25lookback_scan_determinismE0ELb0ES3_N6thrust23THRUST_200600_302600_NS6detail15normal_iteratorINS9_10device_ptrIsEEEESE_SE_sNS9_4plusIsEE19head_flag_predicatesEE10hipError_tPvRmT2_T3_T4_T5_mT6_T7_P12ihipStream_tbENKUlT_T0_E_clISt17integral_constantIbLb0EESX_IbLb1EEEEDaST_SU_EUlST_E_NS1_11comp_targetILNS1_3genE0ELNS1_11target_archE4294967295ELNS1_3gpuE0ELNS1_3repE0EEENS1_30default_config_static_selectorELNS0_4arch9wavefront6targetE0EEEvT1_.has_indirect_call, 0
	.section	.AMDGPU.csdata,"",@progbits
; Kernel info:
; codeLenInByte = 0
; TotalNumSgprs: 0
; NumVgprs: 0
; ScratchSize: 0
; MemoryBound: 0
; FloatMode: 240
; IeeeMode: 1
; LDSByteSize: 0 bytes/workgroup (compile time only)
; SGPRBlocks: 0
; VGPRBlocks: 0
; NumSGPRsForWavesPerEU: 1
; NumVGPRsForWavesPerEU: 1
; Occupancy: 16
; WaveLimiterHint : 0
; COMPUTE_PGM_RSRC2:SCRATCH_EN: 0
; COMPUTE_PGM_RSRC2:USER_SGPR: 6
; COMPUTE_PGM_RSRC2:TRAP_HANDLER: 0
; COMPUTE_PGM_RSRC2:TGID_X_EN: 1
; COMPUTE_PGM_RSRC2:TGID_Y_EN: 0
; COMPUTE_PGM_RSRC2:TGID_Z_EN: 0
; COMPUTE_PGM_RSRC2:TIDIG_COMP_CNT: 0
	.section	.text._ZN7rocprim17ROCPRIM_400000_NS6detail17trampoline_kernelINS0_14default_configENS1_27scan_by_key_config_selectorIssEEZZNS1_16scan_by_key_implILNS1_25lookback_scan_determinismE0ELb0ES3_N6thrust23THRUST_200600_302600_NS6detail15normal_iteratorINS9_10device_ptrIsEEEESE_SE_sNS9_4plusIsEE19head_flag_predicatesEE10hipError_tPvRmT2_T3_T4_T5_mT6_T7_P12ihipStream_tbENKUlT_T0_E_clISt17integral_constantIbLb0EESX_IbLb1EEEEDaST_SU_EUlST_E_NS1_11comp_targetILNS1_3genE10ELNS1_11target_archE1201ELNS1_3gpuE5ELNS1_3repE0EEENS1_30default_config_static_selectorELNS0_4arch9wavefront6targetE0EEEvT1_,"axG",@progbits,_ZN7rocprim17ROCPRIM_400000_NS6detail17trampoline_kernelINS0_14default_configENS1_27scan_by_key_config_selectorIssEEZZNS1_16scan_by_key_implILNS1_25lookback_scan_determinismE0ELb0ES3_N6thrust23THRUST_200600_302600_NS6detail15normal_iteratorINS9_10device_ptrIsEEEESE_SE_sNS9_4plusIsEE19head_flag_predicatesEE10hipError_tPvRmT2_T3_T4_T5_mT6_T7_P12ihipStream_tbENKUlT_T0_E_clISt17integral_constantIbLb0EESX_IbLb1EEEEDaST_SU_EUlST_E_NS1_11comp_targetILNS1_3genE10ELNS1_11target_archE1201ELNS1_3gpuE5ELNS1_3repE0EEENS1_30default_config_static_selectorELNS0_4arch9wavefront6targetE0EEEvT1_,comdat
	.protected	_ZN7rocprim17ROCPRIM_400000_NS6detail17trampoline_kernelINS0_14default_configENS1_27scan_by_key_config_selectorIssEEZZNS1_16scan_by_key_implILNS1_25lookback_scan_determinismE0ELb0ES3_N6thrust23THRUST_200600_302600_NS6detail15normal_iteratorINS9_10device_ptrIsEEEESE_SE_sNS9_4plusIsEE19head_flag_predicatesEE10hipError_tPvRmT2_T3_T4_T5_mT6_T7_P12ihipStream_tbENKUlT_T0_E_clISt17integral_constantIbLb0EESX_IbLb1EEEEDaST_SU_EUlST_E_NS1_11comp_targetILNS1_3genE10ELNS1_11target_archE1201ELNS1_3gpuE5ELNS1_3repE0EEENS1_30default_config_static_selectorELNS0_4arch9wavefront6targetE0EEEvT1_ ; -- Begin function _ZN7rocprim17ROCPRIM_400000_NS6detail17trampoline_kernelINS0_14default_configENS1_27scan_by_key_config_selectorIssEEZZNS1_16scan_by_key_implILNS1_25lookback_scan_determinismE0ELb0ES3_N6thrust23THRUST_200600_302600_NS6detail15normal_iteratorINS9_10device_ptrIsEEEESE_SE_sNS9_4plusIsEE19head_flag_predicatesEE10hipError_tPvRmT2_T3_T4_T5_mT6_T7_P12ihipStream_tbENKUlT_T0_E_clISt17integral_constantIbLb0EESX_IbLb1EEEEDaST_SU_EUlST_E_NS1_11comp_targetILNS1_3genE10ELNS1_11target_archE1201ELNS1_3gpuE5ELNS1_3repE0EEENS1_30default_config_static_selectorELNS0_4arch9wavefront6targetE0EEEvT1_
	.globl	_ZN7rocprim17ROCPRIM_400000_NS6detail17trampoline_kernelINS0_14default_configENS1_27scan_by_key_config_selectorIssEEZZNS1_16scan_by_key_implILNS1_25lookback_scan_determinismE0ELb0ES3_N6thrust23THRUST_200600_302600_NS6detail15normal_iteratorINS9_10device_ptrIsEEEESE_SE_sNS9_4plusIsEE19head_flag_predicatesEE10hipError_tPvRmT2_T3_T4_T5_mT6_T7_P12ihipStream_tbENKUlT_T0_E_clISt17integral_constantIbLb0EESX_IbLb1EEEEDaST_SU_EUlST_E_NS1_11comp_targetILNS1_3genE10ELNS1_11target_archE1201ELNS1_3gpuE5ELNS1_3repE0EEENS1_30default_config_static_selectorELNS0_4arch9wavefront6targetE0EEEvT1_
	.p2align	8
	.type	_ZN7rocprim17ROCPRIM_400000_NS6detail17trampoline_kernelINS0_14default_configENS1_27scan_by_key_config_selectorIssEEZZNS1_16scan_by_key_implILNS1_25lookback_scan_determinismE0ELb0ES3_N6thrust23THRUST_200600_302600_NS6detail15normal_iteratorINS9_10device_ptrIsEEEESE_SE_sNS9_4plusIsEE19head_flag_predicatesEE10hipError_tPvRmT2_T3_T4_T5_mT6_T7_P12ihipStream_tbENKUlT_T0_E_clISt17integral_constantIbLb0EESX_IbLb1EEEEDaST_SU_EUlST_E_NS1_11comp_targetILNS1_3genE10ELNS1_11target_archE1201ELNS1_3gpuE5ELNS1_3repE0EEENS1_30default_config_static_selectorELNS0_4arch9wavefront6targetE0EEEvT1_,@function
_ZN7rocprim17ROCPRIM_400000_NS6detail17trampoline_kernelINS0_14default_configENS1_27scan_by_key_config_selectorIssEEZZNS1_16scan_by_key_implILNS1_25lookback_scan_determinismE0ELb0ES3_N6thrust23THRUST_200600_302600_NS6detail15normal_iteratorINS9_10device_ptrIsEEEESE_SE_sNS9_4plusIsEE19head_flag_predicatesEE10hipError_tPvRmT2_T3_T4_T5_mT6_T7_P12ihipStream_tbENKUlT_T0_E_clISt17integral_constantIbLb0EESX_IbLb1EEEEDaST_SU_EUlST_E_NS1_11comp_targetILNS1_3genE10ELNS1_11target_archE1201ELNS1_3gpuE5ELNS1_3repE0EEENS1_30default_config_static_selectorELNS0_4arch9wavefront6targetE0EEEvT1_: ; @_ZN7rocprim17ROCPRIM_400000_NS6detail17trampoline_kernelINS0_14default_configENS1_27scan_by_key_config_selectorIssEEZZNS1_16scan_by_key_implILNS1_25lookback_scan_determinismE0ELb0ES3_N6thrust23THRUST_200600_302600_NS6detail15normal_iteratorINS9_10device_ptrIsEEEESE_SE_sNS9_4plusIsEE19head_flag_predicatesEE10hipError_tPvRmT2_T3_T4_T5_mT6_T7_P12ihipStream_tbENKUlT_T0_E_clISt17integral_constantIbLb0EESX_IbLb1EEEEDaST_SU_EUlST_E_NS1_11comp_targetILNS1_3genE10ELNS1_11target_archE1201ELNS1_3gpuE5ELNS1_3repE0EEENS1_30default_config_static_selectorELNS0_4arch9wavefront6targetE0EEEvT1_
; %bb.0:
	.section	.rodata,"a",@progbits
	.p2align	6, 0x0
	.amdhsa_kernel _ZN7rocprim17ROCPRIM_400000_NS6detail17trampoline_kernelINS0_14default_configENS1_27scan_by_key_config_selectorIssEEZZNS1_16scan_by_key_implILNS1_25lookback_scan_determinismE0ELb0ES3_N6thrust23THRUST_200600_302600_NS6detail15normal_iteratorINS9_10device_ptrIsEEEESE_SE_sNS9_4plusIsEE19head_flag_predicatesEE10hipError_tPvRmT2_T3_T4_T5_mT6_T7_P12ihipStream_tbENKUlT_T0_E_clISt17integral_constantIbLb0EESX_IbLb1EEEEDaST_SU_EUlST_E_NS1_11comp_targetILNS1_3genE10ELNS1_11target_archE1201ELNS1_3gpuE5ELNS1_3repE0EEENS1_30default_config_static_selectorELNS0_4arch9wavefront6targetE0EEEvT1_
		.amdhsa_group_segment_fixed_size 0
		.amdhsa_private_segment_fixed_size 0
		.amdhsa_kernarg_size 112
		.amdhsa_user_sgpr_count 6
		.amdhsa_user_sgpr_private_segment_buffer 1
		.amdhsa_user_sgpr_dispatch_ptr 0
		.amdhsa_user_sgpr_queue_ptr 0
		.amdhsa_user_sgpr_kernarg_segment_ptr 1
		.amdhsa_user_sgpr_dispatch_id 0
		.amdhsa_user_sgpr_flat_scratch_init 0
		.amdhsa_user_sgpr_private_segment_size 0
		.amdhsa_wavefront_size32 1
		.amdhsa_uses_dynamic_stack 0
		.amdhsa_system_sgpr_private_segment_wavefront_offset 0
		.amdhsa_system_sgpr_workgroup_id_x 1
		.amdhsa_system_sgpr_workgroup_id_y 0
		.amdhsa_system_sgpr_workgroup_id_z 0
		.amdhsa_system_sgpr_workgroup_info 0
		.amdhsa_system_vgpr_workitem_id 0
		.amdhsa_next_free_vgpr 1
		.amdhsa_next_free_sgpr 1
		.amdhsa_reserve_vcc 0
		.amdhsa_reserve_flat_scratch 0
		.amdhsa_float_round_mode_32 0
		.amdhsa_float_round_mode_16_64 0
		.amdhsa_float_denorm_mode_32 3
		.amdhsa_float_denorm_mode_16_64 3
		.amdhsa_dx10_clamp 1
		.amdhsa_ieee_mode 1
		.amdhsa_fp16_overflow 0
		.amdhsa_workgroup_processor_mode 1
		.amdhsa_memory_ordered 1
		.amdhsa_forward_progress 1
		.amdhsa_shared_vgpr_count 0
		.amdhsa_exception_fp_ieee_invalid_op 0
		.amdhsa_exception_fp_denorm_src 0
		.amdhsa_exception_fp_ieee_div_zero 0
		.amdhsa_exception_fp_ieee_overflow 0
		.amdhsa_exception_fp_ieee_underflow 0
		.amdhsa_exception_fp_ieee_inexact 0
		.amdhsa_exception_int_div_zero 0
	.end_amdhsa_kernel
	.section	.text._ZN7rocprim17ROCPRIM_400000_NS6detail17trampoline_kernelINS0_14default_configENS1_27scan_by_key_config_selectorIssEEZZNS1_16scan_by_key_implILNS1_25lookback_scan_determinismE0ELb0ES3_N6thrust23THRUST_200600_302600_NS6detail15normal_iteratorINS9_10device_ptrIsEEEESE_SE_sNS9_4plusIsEE19head_flag_predicatesEE10hipError_tPvRmT2_T3_T4_T5_mT6_T7_P12ihipStream_tbENKUlT_T0_E_clISt17integral_constantIbLb0EESX_IbLb1EEEEDaST_SU_EUlST_E_NS1_11comp_targetILNS1_3genE10ELNS1_11target_archE1201ELNS1_3gpuE5ELNS1_3repE0EEENS1_30default_config_static_selectorELNS0_4arch9wavefront6targetE0EEEvT1_,"axG",@progbits,_ZN7rocprim17ROCPRIM_400000_NS6detail17trampoline_kernelINS0_14default_configENS1_27scan_by_key_config_selectorIssEEZZNS1_16scan_by_key_implILNS1_25lookback_scan_determinismE0ELb0ES3_N6thrust23THRUST_200600_302600_NS6detail15normal_iteratorINS9_10device_ptrIsEEEESE_SE_sNS9_4plusIsEE19head_flag_predicatesEE10hipError_tPvRmT2_T3_T4_T5_mT6_T7_P12ihipStream_tbENKUlT_T0_E_clISt17integral_constantIbLb0EESX_IbLb1EEEEDaST_SU_EUlST_E_NS1_11comp_targetILNS1_3genE10ELNS1_11target_archE1201ELNS1_3gpuE5ELNS1_3repE0EEENS1_30default_config_static_selectorELNS0_4arch9wavefront6targetE0EEEvT1_,comdat
.Lfunc_end849:
	.size	_ZN7rocprim17ROCPRIM_400000_NS6detail17trampoline_kernelINS0_14default_configENS1_27scan_by_key_config_selectorIssEEZZNS1_16scan_by_key_implILNS1_25lookback_scan_determinismE0ELb0ES3_N6thrust23THRUST_200600_302600_NS6detail15normal_iteratorINS9_10device_ptrIsEEEESE_SE_sNS9_4plusIsEE19head_flag_predicatesEE10hipError_tPvRmT2_T3_T4_T5_mT6_T7_P12ihipStream_tbENKUlT_T0_E_clISt17integral_constantIbLb0EESX_IbLb1EEEEDaST_SU_EUlST_E_NS1_11comp_targetILNS1_3genE10ELNS1_11target_archE1201ELNS1_3gpuE5ELNS1_3repE0EEENS1_30default_config_static_selectorELNS0_4arch9wavefront6targetE0EEEvT1_, .Lfunc_end849-_ZN7rocprim17ROCPRIM_400000_NS6detail17trampoline_kernelINS0_14default_configENS1_27scan_by_key_config_selectorIssEEZZNS1_16scan_by_key_implILNS1_25lookback_scan_determinismE0ELb0ES3_N6thrust23THRUST_200600_302600_NS6detail15normal_iteratorINS9_10device_ptrIsEEEESE_SE_sNS9_4plusIsEE19head_flag_predicatesEE10hipError_tPvRmT2_T3_T4_T5_mT6_T7_P12ihipStream_tbENKUlT_T0_E_clISt17integral_constantIbLb0EESX_IbLb1EEEEDaST_SU_EUlST_E_NS1_11comp_targetILNS1_3genE10ELNS1_11target_archE1201ELNS1_3gpuE5ELNS1_3repE0EEENS1_30default_config_static_selectorELNS0_4arch9wavefront6targetE0EEEvT1_
                                        ; -- End function
	.set _ZN7rocprim17ROCPRIM_400000_NS6detail17trampoline_kernelINS0_14default_configENS1_27scan_by_key_config_selectorIssEEZZNS1_16scan_by_key_implILNS1_25lookback_scan_determinismE0ELb0ES3_N6thrust23THRUST_200600_302600_NS6detail15normal_iteratorINS9_10device_ptrIsEEEESE_SE_sNS9_4plusIsEE19head_flag_predicatesEE10hipError_tPvRmT2_T3_T4_T5_mT6_T7_P12ihipStream_tbENKUlT_T0_E_clISt17integral_constantIbLb0EESX_IbLb1EEEEDaST_SU_EUlST_E_NS1_11comp_targetILNS1_3genE10ELNS1_11target_archE1201ELNS1_3gpuE5ELNS1_3repE0EEENS1_30default_config_static_selectorELNS0_4arch9wavefront6targetE0EEEvT1_.num_vgpr, 0
	.set _ZN7rocprim17ROCPRIM_400000_NS6detail17trampoline_kernelINS0_14default_configENS1_27scan_by_key_config_selectorIssEEZZNS1_16scan_by_key_implILNS1_25lookback_scan_determinismE0ELb0ES3_N6thrust23THRUST_200600_302600_NS6detail15normal_iteratorINS9_10device_ptrIsEEEESE_SE_sNS9_4plusIsEE19head_flag_predicatesEE10hipError_tPvRmT2_T3_T4_T5_mT6_T7_P12ihipStream_tbENKUlT_T0_E_clISt17integral_constantIbLb0EESX_IbLb1EEEEDaST_SU_EUlST_E_NS1_11comp_targetILNS1_3genE10ELNS1_11target_archE1201ELNS1_3gpuE5ELNS1_3repE0EEENS1_30default_config_static_selectorELNS0_4arch9wavefront6targetE0EEEvT1_.num_agpr, 0
	.set _ZN7rocprim17ROCPRIM_400000_NS6detail17trampoline_kernelINS0_14default_configENS1_27scan_by_key_config_selectorIssEEZZNS1_16scan_by_key_implILNS1_25lookback_scan_determinismE0ELb0ES3_N6thrust23THRUST_200600_302600_NS6detail15normal_iteratorINS9_10device_ptrIsEEEESE_SE_sNS9_4plusIsEE19head_flag_predicatesEE10hipError_tPvRmT2_T3_T4_T5_mT6_T7_P12ihipStream_tbENKUlT_T0_E_clISt17integral_constantIbLb0EESX_IbLb1EEEEDaST_SU_EUlST_E_NS1_11comp_targetILNS1_3genE10ELNS1_11target_archE1201ELNS1_3gpuE5ELNS1_3repE0EEENS1_30default_config_static_selectorELNS0_4arch9wavefront6targetE0EEEvT1_.numbered_sgpr, 0
	.set _ZN7rocprim17ROCPRIM_400000_NS6detail17trampoline_kernelINS0_14default_configENS1_27scan_by_key_config_selectorIssEEZZNS1_16scan_by_key_implILNS1_25lookback_scan_determinismE0ELb0ES3_N6thrust23THRUST_200600_302600_NS6detail15normal_iteratorINS9_10device_ptrIsEEEESE_SE_sNS9_4plusIsEE19head_flag_predicatesEE10hipError_tPvRmT2_T3_T4_T5_mT6_T7_P12ihipStream_tbENKUlT_T0_E_clISt17integral_constantIbLb0EESX_IbLb1EEEEDaST_SU_EUlST_E_NS1_11comp_targetILNS1_3genE10ELNS1_11target_archE1201ELNS1_3gpuE5ELNS1_3repE0EEENS1_30default_config_static_selectorELNS0_4arch9wavefront6targetE0EEEvT1_.num_named_barrier, 0
	.set _ZN7rocprim17ROCPRIM_400000_NS6detail17trampoline_kernelINS0_14default_configENS1_27scan_by_key_config_selectorIssEEZZNS1_16scan_by_key_implILNS1_25lookback_scan_determinismE0ELb0ES3_N6thrust23THRUST_200600_302600_NS6detail15normal_iteratorINS9_10device_ptrIsEEEESE_SE_sNS9_4plusIsEE19head_flag_predicatesEE10hipError_tPvRmT2_T3_T4_T5_mT6_T7_P12ihipStream_tbENKUlT_T0_E_clISt17integral_constantIbLb0EESX_IbLb1EEEEDaST_SU_EUlST_E_NS1_11comp_targetILNS1_3genE10ELNS1_11target_archE1201ELNS1_3gpuE5ELNS1_3repE0EEENS1_30default_config_static_selectorELNS0_4arch9wavefront6targetE0EEEvT1_.private_seg_size, 0
	.set _ZN7rocprim17ROCPRIM_400000_NS6detail17trampoline_kernelINS0_14default_configENS1_27scan_by_key_config_selectorIssEEZZNS1_16scan_by_key_implILNS1_25lookback_scan_determinismE0ELb0ES3_N6thrust23THRUST_200600_302600_NS6detail15normal_iteratorINS9_10device_ptrIsEEEESE_SE_sNS9_4plusIsEE19head_flag_predicatesEE10hipError_tPvRmT2_T3_T4_T5_mT6_T7_P12ihipStream_tbENKUlT_T0_E_clISt17integral_constantIbLb0EESX_IbLb1EEEEDaST_SU_EUlST_E_NS1_11comp_targetILNS1_3genE10ELNS1_11target_archE1201ELNS1_3gpuE5ELNS1_3repE0EEENS1_30default_config_static_selectorELNS0_4arch9wavefront6targetE0EEEvT1_.uses_vcc, 0
	.set _ZN7rocprim17ROCPRIM_400000_NS6detail17trampoline_kernelINS0_14default_configENS1_27scan_by_key_config_selectorIssEEZZNS1_16scan_by_key_implILNS1_25lookback_scan_determinismE0ELb0ES3_N6thrust23THRUST_200600_302600_NS6detail15normal_iteratorINS9_10device_ptrIsEEEESE_SE_sNS9_4plusIsEE19head_flag_predicatesEE10hipError_tPvRmT2_T3_T4_T5_mT6_T7_P12ihipStream_tbENKUlT_T0_E_clISt17integral_constantIbLb0EESX_IbLb1EEEEDaST_SU_EUlST_E_NS1_11comp_targetILNS1_3genE10ELNS1_11target_archE1201ELNS1_3gpuE5ELNS1_3repE0EEENS1_30default_config_static_selectorELNS0_4arch9wavefront6targetE0EEEvT1_.uses_flat_scratch, 0
	.set _ZN7rocprim17ROCPRIM_400000_NS6detail17trampoline_kernelINS0_14default_configENS1_27scan_by_key_config_selectorIssEEZZNS1_16scan_by_key_implILNS1_25lookback_scan_determinismE0ELb0ES3_N6thrust23THRUST_200600_302600_NS6detail15normal_iteratorINS9_10device_ptrIsEEEESE_SE_sNS9_4plusIsEE19head_flag_predicatesEE10hipError_tPvRmT2_T3_T4_T5_mT6_T7_P12ihipStream_tbENKUlT_T0_E_clISt17integral_constantIbLb0EESX_IbLb1EEEEDaST_SU_EUlST_E_NS1_11comp_targetILNS1_3genE10ELNS1_11target_archE1201ELNS1_3gpuE5ELNS1_3repE0EEENS1_30default_config_static_selectorELNS0_4arch9wavefront6targetE0EEEvT1_.has_dyn_sized_stack, 0
	.set _ZN7rocprim17ROCPRIM_400000_NS6detail17trampoline_kernelINS0_14default_configENS1_27scan_by_key_config_selectorIssEEZZNS1_16scan_by_key_implILNS1_25lookback_scan_determinismE0ELb0ES3_N6thrust23THRUST_200600_302600_NS6detail15normal_iteratorINS9_10device_ptrIsEEEESE_SE_sNS9_4plusIsEE19head_flag_predicatesEE10hipError_tPvRmT2_T3_T4_T5_mT6_T7_P12ihipStream_tbENKUlT_T0_E_clISt17integral_constantIbLb0EESX_IbLb1EEEEDaST_SU_EUlST_E_NS1_11comp_targetILNS1_3genE10ELNS1_11target_archE1201ELNS1_3gpuE5ELNS1_3repE0EEENS1_30default_config_static_selectorELNS0_4arch9wavefront6targetE0EEEvT1_.has_recursion, 0
	.set _ZN7rocprim17ROCPRIM_400000_NS6detail17trampoline_kernelINS0_14default_configENS1_27scan_by_key_config_selectorIssEEZZNS1_16scan_by_key_implILNS1_25lookback_scan_determinismE0ELb0ES3_N6thrust23THRUST_200600_302600_NS6detail15normal_iteratorINS9_10device_ptrIsEEEESE_SE_sNS9_4plusIsEE19head_flag_predicatesEE10hipError_tPvRmT2_T3_T4_T5_mT6_T7_P12ihipStream_tbENKUlT_T0_E_clISt17integral_constantIbLb0EESX_IbLb1EEEEDaST_SU_EUlST_E_NS1_11comp_targetILNS1_3genE10ELNS1_11target_archE1201ELNS1_3gpuE5ELNS1_3repE0EEENS1_30default_config_static_selectorELNS0_4arch9wavefront6targetE0EEEvT1_.has_indirect_call, 0
	.section	.AMDGPU.csdata,"",@progbits
; Kernel info:
; codeLenInByte = 0
; TotalNumSgprs: 0
; NumVgprs: 0
; ScratchSize: 0
; MemoryBound: 0
; FloatMode: 240
; IeeeMode: 1
; LDSByteSize: 0 bytes/workgroup (compile time only)
; SGPRBlocks: 0
; VGPRBlocks: 0
; NumSGPRsForWavesPerEU: 1
; NumVGPRsForWavesPerEU: 1
; Occupancy: 16
; WaveLimiterHint : 0
; COMPUTE_PGM_RSRC2:SCRATCH_EN: 0
; COMPUTE_PGM_RSRC2:USER_SGPR: 6
; COMPUTE_PGM_RSRC2:TRAP_HANDLER: 0
; COMPUTE_PGM_RSRC2:TGID_X_EN: 1
; COMPUTE_PGM_RSRC2:TGID_Y_EN: 0
; COMPUTE_PGM_RSRC2:TGID_Z_EN: 0
; COMPUTE_PGM_RSRC2:TIDIG_COMP_CNT: 0
	.section	.text._ZN7rocprim17ROCPRIM_400000_NS6detail17trampoline_kernelINS0_14default_configENS1_27scan_by_key_config_selectorIssEEZZNS1_16scan_by_key_implILNS1_25lookback_scan_determinismE0ELb0ES3_N6thrust23THRUST_200600_302600_NS6detail15normal_iteratorINS9_10device_ptrIsEEEESE_SE_sNS9_4plusIsEE19head_flag_predicatesEE10hipError_tPvRmT2_T3_T4_T5_mT6_T7_P12ihipStream_tbENKUlT_T0_E_clISt17integral_constantIbLb0EESX_IbLb1EEEEDaST_SU_EUlST_E_NS1_11comp_targetILNS1_3genE5ELNS1_11target_archE942ELNS1_3gpuE9ELNS1_3repE0EEENS1_30default_config_static_selectorELNS0_4arch9wavefront6targetE0EEEvT1_,"axG",@progbits,_ZN7rocprim17ROCPRIM_400000_NS6detail17trampoline_kernelINS0_14default_configENS1_27scan_by_key_config_selectorIssEEZZNS1_16scan_by_key_implILNS1_25lookback_scan_determinismE0ELb0ES3_N6thrust23THRUST_200600_302600_NS6detail15normal_iteratorINS9_10device_ptrIsEEEESE_SE_sNS9_4plusIsEE19head_flag_predicatesEE10hipError_tPvRmT2_T3_T4_T5_mT6_T7_P12ihipStream_tbENKUlT_T0_E_clISt17integral_constantIbLb0EESX_IbLb1EEEEDaST_SU_EUlST_E_NS1_11comp_targetILNS1_3genE5ELNS1_11target_archE942ELNS1_3gpuE9ELNS1_3repE0EEENS1_30default_config_static_selectorELNS0_4arch9wavefront6targetE0EEEvT1_,comdat
	.protected	_ZN7rocprim17ROCPRIM_400000_NS6detail17trampoline_kernelINS0_14default_configENS1_27scan_by_key_config_selectorIssEEZZNS1_16scan_by_key_implILNS1_25lookback_scan_determinismE0ELb0ES3_N6thrust23THRUST_200600_302600_NS6detail15normal_iteratorINS9_10device_ptrIsEEEESE_SE_sNS9_4plusIsEE19head_flag_predicatesEE10hipError_tPvRmT2_T3_T4_T5_mT6_T7_P12ihipStream_tbENKUlT_T0_E_clISt17integral_constantIbLb0EESX_IbLb1EEEEDaST_SU_EUlST_E_NS1_11comp_targetILNS1_3genE5ELNS1_11target_archE942ELNS1_3gpuE9ELNS1_3repE0EEENS1_30default_config_static_selectorELNS0_4arch9wavefront6targetE0EEEvT1_ ; -- Begin function _ZN7rocprim17ROCPRIM_400000_NS6detail17trampoline_kernelINS0_14default_configENS1_27scan_by_key_config_selectorIssEEZZNS1_16scan_by_key_implILNS1_25lookback_scan_determinismE0ELb0ES3_N6thrust23THRUST_200600_302600_NS6detail15normal_iteratorINS9_10device_ptrIsEEEESE_SE_sNS9_4plusIsEE19head_flag_predicatesEE10hipError_tPvRmT2_T3_T4_T5_mT6_T7_P12ihipStream_tbENKUlT_T0_E_clISt17integral_constantIbLb0EESX_IbLb1EEEEDaST_SU_EUlST_E_NS1_11comp_targetILNS1_3genE5ELNS1_11target_archE942ELNS1_3gpuE9ELNS1_3repE0EEENS1_30default_config_static_selectorELNS0_4arch9wavefront6targetE0EEEvT1_
	.globl	_ZN7rocprim17ROCPRIM_400000_NS6detail17trampoline_kernelINS0_14default_configENS1_27scan_by_key_config_selectorIssEEZZNS1_16scan_by_key_implILNS1_25lookback_scan_determinismE0ELb0ES3_N6thrust23THRUST_200600_302600_NS6detail15normal_iteratorINS9_10device_ptrIsEEEESE_SE_sNS9_4plusIsEE19head_flag_predicatesEE10hipError_tPvRmT2_T3_T4_T5_mT6_T7_P12ihipStream_tbENKUlT_T0_E_clISt17integral_constantIbLb0EESX_IbLb1EEEEDaST_SU_EUlST_E_NS1_11comp_targetILNS1_3genE5ELNS1_11target_archE942ELNS1_3gpuE9ELNS1_3repE0EEENS1_30default_config_static_selectorELNS0_4arch9wavefront6targetE0EEEvT1_
	.p2align	8
	.type	_ZN7rocprim17ROCPRIM_400000_NS6detail17trampoline_kernelINS0_14default_configENS1_27scan_by_key_config_selectorIssEEZZNS1_16scan_by_key_implILNS1_25lookback_scan_determinismE0ELb0ES3_N6thrust23THRUST_200600_302600_NS6detail15normal_iteratorINS9_10device_ptrIsEEEESE_SE_sNS9_4plusIsEE19head_flag_predicatesEE10hipError_tPvRmT2_T3_T4_T5_mT6_T7_P12ihipStream_tbENKUlT_T0_E_clISt17integral_constantIbLb0EESX_IbLb1EEEEDaST_SU_EUlST_E_NS1_11comp_targetILNS1_3genE5ELNS1_11target_archE942ELNS1_3gpuE9ELNS1_3repE0EEENS1_30default_config_static_selectorELNS0_4arch9wavefront6targetE0EEEvT1_,@function
_ZN7rocprim17ROCPRIM_400000_NS6detail17trampoline_kernelINS0_14default_configENS1_27scan_by_key_config_selectorIssEEZZNS1_16scan_by_key_implILNS1_25lookback_scan_determinismE0ELb0ES3_N6thrust23THRUST_200600_302600_NS6detail15normal_iteratorINS9_10device_ptrIsEEEESE_SE_sNS9_4plusIsEE19head_flag_predicatesEE10hipError_tPvRmT2_T3_T4_T5_mT6_T7_P12ihipStream_tbENKUlT_T0_E_clISt17integral_constantIbLb0EESX_IbLb1EEEEDaST_SU_EUlST_E_NS1_11comp_targetILNS1_3genE5ELNS1_11target_archE942ELNS1_3gpuE9ELNS1_3repE0EEENS1_30default_config_static_selectorELNS0_4arch9wavefront6targetE0EEEvT1_: ; @_ZN7rocprim17ROCPRIM_400000_NS6detail17trampoline_kernelINS0_14default_configENS1_27scan_by_key_config_selectorIssEEZZNS1_16scan_by_key_implILNS1_25lookback_scan_determinismE0ELb0ES3_N6thrust23THRUST_200600_302600_NS6detail15normal_iteratorINS9_10device_ptrIsEEEESE_SE_sNS9_4plusIsEE19head_flag_predicatesEE10hipError_tPvRmT2_T3_T4_T5_mT6_T7_P12ihipStream_tbENKUlT_T0_E_clISt17integral_constantIbLb0EESX_IbLb1EEEEDaST_SU_EUlST_E_NS1_11comp_targetILNS1_3genE5ELNS1_11target_archE942ELNS1_3gpuE9ELNS1_3repE0EEENS1_30default_config_static_selectorELNS0_4arch9wavefront6targetE0EEEvT1_
; %bb.0:
	.section	.rodata,"a",@progbits
	.p2align	6, 0x0
	.amdhsa_kernel _ZN7rocprim17ROCPRIM_400000_NS6detail17trampoline_kernelINS0_14default_configENS1_27scan_by_key_config_selectorIssEEZZNS1_16scan_by_key_implILNS1_25lookback_scan_determinismE0ELb0ES3_N6thrust23THRUST_200600_302600_NS6detail15normal_iteratorINS9_10device_ptrIsEEEESE_SE_sNS9_4plusIsEE19head_flag_predicatesEE10hipError_tPvRmT2_T3_T4_T5_mT6_T7_P12ihipStream_tbENKUlT_T0_E_clISt17integral_constantIbLb0EESX_IbLb1EEEEDaST_SU_EUlST_E_NS1_11comp_targetILNS1_3genE5ELNS1_11target_archE942ELNS1_3gpuE9ELNS1_3repE0EEENS1_30default_config_static_selectorELNS0_4arch9wavefront6targetE0EEEvT1_
		.amdhsa_group_segment_fixed_size 0
		.amdhsa_private_segment_fixed_size 0
		.amdhsa_kernarg_size 112
		.amdhsa_user_sgpr_count 6
		.amdhsa_user_sgpr_private_segment_buffer 1
		.amdhsa_user_sgpr_dispatch_ptr 0
		.amdhsa_user_sgpr_queue_ptr 0
		.amdhsa_user_sgpr_kernarg_segment_ptr 1
		.amdhsa_user_sgpr_dispatch_id 0
		.amdhsa_user_sgpr_flat_scratch_init 0
		.amdhsa_user_sgpr_private_segment_size 0
		.amdhsa_wavefront_size32 1
		.amdhsa_uses_dynamic_stack 0
		.amdhsa_system_sgpr_private_segment_wavefront_offset 0
		.amdhsa_system_sgpr_workgroup_id_x 1
		.amdhsa_system_sgpr_workgroup_id_y 0
		.amdhsa_system_sgpr_workgroup_id_z 0
		.amdhsa_system_sgpr_workgroup_info 0
		.amdhsa_system_vgpr_workitem_id 0
		.amdhsa_next_free_vgpr 1
		.amdhsa_next_free_sgpr 1
		.amdhsa_reserve_vcc 0
		.amdhsa_reserve_flat_scratch 0
		.amdhsa_float_round_mode_32 0
		.amdhsa_float_round_mode_16_64 0
		.amdhsa_float_denorm_mode_32 3
		.amdhsa_float_denorm_mode_16_64 3
		.amdhsa_dx10_clamp 1
		.amdhsa_ieee_mode 1
		.amdhsa_fp16_overflow 0
		.amdhsa_workgroup_processor_mode 1
		.amdhsa_memory_ordered 1
		.amdhsa_forward_progress 1
		.amdhsa_shared_vgpr_count 0
		.amdhsa_exception_fp_ieee_invalid_op 0
		.amdhsa_exception_fp_denorm_src 0
		.amdhsa_exception_fp_ieee_div_zero 0
		.amdhsa_exception_fp_ieee_overflow 0
		.amdhsa_exception_fp_ieee_underflow 0
		.amdhsa_exception_fp_ieee_inexact 0
		.amdhsa_exception_int_div_zero 0
	.end_amdhsa_kernel
	.section	.text._ZN7rocprim17ROCPRIM_400000_NS6detail17trampoline_kernelINS0_14default_configENS1_27scan_by_key_config_selectorIssEEZZNS1_16scan_by_key_implILNS1_25lookback_scan_determinismE0ELb0ES3_N6thrust23THRUST_200600_302600_NS6detail15normal_iteratorINS9_10device_ptrIsEEEESE_SE_sNS9_4plusIsEE19head_flag_predicatesEE10hipError_tPvRmT2_T3_T4_T5_mT6_T7_P12ihipStream_tbENKUlT_T0_E_clISt17integral_constantIbLb0EESX_IbLb1EEEEDaST_SU_EUlST_E_NS1_11comp_targetILNS1_3genE5ELNS1_11target_archE942ELNS1_3gpuE9ELNS1_3repE0EEENS1_30default_config_static_selectorELNS0_4arch9wavefront6targetE0EEEvT1_,"axG",@progbits,_ZN7rocprim17ROCPRIM_400000_NS6detail17trampoline_kernelINS0_14default_configENS1_27scan_by_key_config_selectorIssEEZZNS1_16scan_by_key_implILNS1_25lookback_scan_determinismE0ELb0ES3_N6thrust23THRUST_200600_302600_NS6detail15normal_iteratorINS9_10device_ptrIsEEEESE_SE_sNS9_4plusIsEE19head_flag_predicatesEE10hipError_tPvRmT2_T3_T4_T5_mT6_T7_P12ihipStream_tbENKUlT_T0_E_clISt17integral_constantIbLb0EESX_IbLb1EEEEDaST_SU_EUlST_E_NS1_11comp_targetILNS1_3genE5ELNS1_11target_archE942ELNS1_3gpuE9ELNS1_3repE0EEENS1_30default_config_static_selectorELNS0_4arch9wavefront6targetE0EEEvT1_,comdat
.Lfunc_end850:
	.size	_ZN7rocprim17ROCPRIM_400000_NS6detail17trampoline_kernelINS0_14default_configENS1_27scan_by_key_config_selectorIssEEZZNS1_16scan_by_key_implILNS1_25lookback_scan_determinismE0ELb0ES3_N6thrust23THRUST_200600_302600_NS6detail15normal_iteratorINS9_10device_ptrIsEEEESE_SE_sNS9_4plusIsEE19head_flag_predicatesEE10hipError_tPvRmT2_T3_T4_T5_mT6_T7_P12ihipStream_tbENKUlT_T0_E_clISt17integral_constantIbLb0EESX_IbLb1EEEEDaST_SU_EUlST_E_NS1_11comp_targetILNS1_3genE5ELNS1_11target_archE942ELNS1_3gpuE9ELNS1_3repE0EEENS1_30default_config_static_selectorELNS0_4arch9wavefront6targetE0EEEvT1_, .Lfunc_end850-_ZN7rocprim17ROCPRIM_400000_NS6detail17trampoline_kernelINS0_14default_configENS1_27scan_by_key_config_selectorIssEEZZNS1_16scan_by_key_implILNS1_25lookback_scan_determinismE0ELb0ES3_N6thrust23THRUST_200600_302600_NS6detail15normal_iteratorINS9_10device_ptrIsEEEESE_SE_sNS9_4plusIsEE19head_flag_predicatesEE10hipError_tPvRmT2_T3_T4_T5_mT6_T7_P12ihipStream_tbENKUlT_T0_E_clISt17integral_constantIbLb0EESX_IbLb1EEEEDaST_SU_EUlST_E_NS1_11comp_targetILNS1_3genE5ELNS1_11target_archE942ELNS1_3gpuE9ELNS1_3repE0EEENS1_30default_config_static_selectorELNS0_4arch9wavefront6targetE0EEEvT1_
                                        ; -- End function
	.set _ZN7rocprim17ROCPRIM_400000_NS6detail17trampoline_kernelINS0_14default_configENS1_27scan_by_key_config_selectorIssEEZZNS1_16scan_by_key_implILNS1_25lookback_scan_determinismE0ELb0ES3_N6thrust23THRUST_200600_302600_NS6detail15normal_iteratorINS9_10device_ptrIsEEEESE_SE_sNS9_4plusIsEE19head_flag_predicatesEE10hipError_tPvRmT2_T3_T4_T5_mT6_T7_P12ihipStream_tbENKUlT_T0_E_clISt17integral_constantIbLb0EESX_IbLb1EEEEDaST_SU_EUlST_E_NS1_11comp_targetILNS1_3genE5ELNS1_11target_archE942ELNS1_3gpuE9ELNS1_3repE0EEENS1_30default_config_static_selectorELNS0_4arch9wavefront6targetE0EEEvT1_.num_vgpr, 0
	.set _ZN7rocprim17ROCPRIM_400000_NS6detail17trampoline_kernelINS0_14default_configENS1_27scan_by_key_config_selectorIssEEZZNS1_16scan_by_key_implILNS1_25lookback_scan_determinismE0ELb0ES3_N6thrust23THRUST_200600_302600_NS6detail15normal_iteratorINS9_10device_ptrIsEEEESE_SE_sNS9_4plusIsEE19head_flag_predicatesEE10hipError_tPvRmT2_T3_T4_T5_mT6_T7_P12ihipStream_tbENKUlT_T0_E_clISt17integral_constantIbLb0EESX_IbLb1EEEEDaST_SU_EUlST_E_NS1_11comp_targetILNS1_3genE5ELNS1_11target_archE942ELNS1_3gpuE9ELNS1_3repE0EEENS1_30default_config_static_selectorELNS0_4arch9wavefront6targetE0EEEvT1_.num_agpr, 0
	.set _ZN7rocprim17ROCPRIM_400000_NS6detail17trampoline_kernelINS0_14default_configENS1_27scan_by_key_config_selectorIssEEZZNS1_16scan_by_key_implILNS1_25lookback_scan_determinismE0ELb0ES3_N6thrust23THRUST_200600_302600_NS6detail15normal_iteratorINS9_10device_ptrIsEEEESE_SE_sNS9_4plusIsEE19head_flag_predicatesEE10hipError_tPvRmT2_T3_T4_T5_mT6_T7_P12ihipStream_tbENKUlT_T0_E_clISt17integral_constantIbLb0EESX_IbLb1EEEEDaST_SU_EUlST_E_NS1_11comp_targetILNS1_3genE5ELNS1_11target_archE942ELNS1_3gpuE9ELNS1_3repE0EEENS1_30default_config_static_selectorELNS0_4arch9wavefront6targetE0EEEvT1_.numbered_sgpr, 0
	.set _ZN7rocprim17ROCPRIM_400000_NS6detail17trampoline_kernelINS0_14default_configENS1_27scan_by_key_config_selectorIssEEZZNS1_16scan_by_key_implILNS1_25lookback_scan_determinismE0ELb0ES3_N6thrust23THRUST_200600_302600_NS6detail15normal_iteratorINS9_10device_ptrIsEEEESE_SE_sNS9_4plusIsEE19head_flag_predicatesEE10hipError_tPvRmT2_T3_T4_T5_mT6_T7_P12ihipStream_tbENKUlT_T0_E_clISt17integral_constantIbLb0EESX_IbLb1EEEEDaST_SU_EUlST_E_NS1_11comp_targetILNS1_3genE5ELNS1_11target_archE942ELNS1_3gpuE9ELNS1_3repE0EEENS1_30default_config_static_selectorELNS0_4arch9wavefront6targetE0EEEvT1_.num_named_barrier, 0
	.set _ZN7rocprim17ROCPRIM_400000_NS6detail17trampoline_kernelINS0_14default_configENS1_27scan_by_key_config_selectorIssEEZZNS1_16scan_by_key_implILNS1_25lookback_scan_determinismE0ELb0ES3_N6thrust23THRUST_200600_302600_NS6detail15normal_iteratorINS9_10device_ptrIsEEEESE_SE_sNS9_4plusIsEE19head_flag_predicatesEE10hipError_tPvRmT2_T3_T4_T5_mT6_T7_P12ihipStream_tbENKUlT_T0_E_clISt17integral_constantIbLb0EESX_IbLb1EEEEDaST_SU_EUlST_E_NS1_11comp_targetILNS1_3genE5ELNS1_11target_archE942ELNS1_3gpuE9ELNS1_3repE0EEENS1_30default_config_static_selectorELNS0_4arch9wavefront6targetE0EEEvT1_.private_seg_size, 0
	.set _ZN7rocprim17ROCPRIM_400000_NS6detail17trampoline_kernelINS0_14default_configENS1_27scan_by_key_config_selectorIssEEZZNS1_16scan_by_key_implILNS1_25lookback_scan_determinismE0ELb0ES3_N6thrust23THRUST_200600_302600_NS6detail15normal_iteratorINS9_10device_ptrIsEEEESE_SE_sNS9_4plusIsEE19head_flag_predicatesEE10hipError_tPvRmT2_T3_T4_T5_mT6_T7_P12ihipStream_tbENKUlT_T0_E_clISt17integral_constantIbLb0EESX_IbLb1EEEEDaST_SU_EUlST_E_NS1_11comp_targetILNS1_3genE5ELNS1_11target_archE942ELNS1_3gpuE9ELNS1_3repE0EEENS1_30default_config_static_selectorELNS0_4arch9wavefront6targetE0EEEvT1_.uses_vcc, 0
	.set _ZN7rocprim17ROCPRIM_400000_NS6detail17trampoline_kernelINS0_14default_configENS1_27scan_by_key_config_selectorIssEEZZNS1_16scan_by_key_implILNS1_25lookback_scan_determinismE0ELb0ES3_N6thrust23THRUST_200600_302600_NS6detail15normal_iteratorINS9_10device_ptrIsEEEESE_SE_sNS9_4plusIsEE19head_flag_predicatesEE10hipError_tPvRmT2_T3_T4_T5_mT6_T7_P12ihipStream_tbENKUlT_T0_E_clISt17integral_constantIbLb0EESX_IbLb1EEEEDaST_SU_EUlST_E_NS1_11comp_targetILNS1_3genE5ELNS1_11target_archE942ELNS1_3gpuE9ELNS1_3repE0EEENS1_30default_config_static_selectorELNS0_4arch9wavefront6targetE0EEEvT1_.uses_flat_scratch, 0
	.set _ZN7rocprim17ROCPRIM_400000_NS6detail17trampoline_kernelINS0_14default_configENS1_27scan_by_key_config_selectorIssEEZZNS1_16scan_by_key_implILNS1_25lookback_scan_determinismE0ELb0ES3_N6thrust23THRUST_200600_302600_NS6detail15normal_iteratorINS9_10device_ptrIsEEEESE_SE_sNS9_4plusIsEE19head_flag_predicatesEE10hipError_tPvRmT2_T3_T4_T5_mT6_T7_P12ihipStream_tbENKUlT_T0_E_clISt17integral_constantIbLb0EESX_IbLb1EEEEDaST_SU_EUlST_E_NS1_11comp_targetILNS1_3genE5ELNS1_11target_archE942ELNS1_3gpuE9ELNS1_3repE0EEENS1_30default_config_static_selectorELNS0_4arch9wavefront6targetE0EEEvT1_.has_dyn_sized_stack, 0
	.set _ZN7rocprim17ROCPRIM_400000_NS6detail17trampoline_kernelINS0_14default_configENS1_27scan_by_key_config_selectorIssEEZZNS1_16scan_by_key_implILNS1_25lookback_scan_determinismE0ELb0ES3_N6thrust23THRUST_200600_302600_NS6detail15normal_iteratorINS9_10device_ptrIsEEEESE_SE_sNS9_4plusIsEE19head_flag_predicatesEE10hipError_tPvRmT2_T3_T4_T5_mT6_T7_P12ihipStream_tbENKUlT_T0_E_clISt17integral_constantIbLb0EESX_IbLb1EEEEDaST_SU_EUlST_E_NS1_11comp_targetILNS1_3genE5ELNS1_11target_archE942ELNS1_3gpuE9ELNS1_3repE0EEENS1_30default_config_static_selectorELNS0_4arch9wavefront6targetE0EEEvT1_.has_recursion, 0
	.set _ZN7rocprim17ROCPRIM_400000_NS6detail17trampoline_kernelINS0_14default_configENS1_27scan_by_key_config_selectorIssEEZZNS1_16scan_by_key_implILNS1_25lookback_scan_determinismE0ELb0ES3_N6thrust23THRUST_200600_302600_NS6detail15normal_iteratorINS9_10device_ptrIsEEEESE_SE_sNS9_4plusIsEE19head_flag_predicatesEE10hipError_tPvRmT2_T3_T4_T5_mT6_T7_P12ihipStream_tbENKUlT_T0_E_clISt17integral_constantIbLb0EESX_IbLb1EEEEDaST_SU_EUlST_E_NS1_11comp_targetILNS1_3genE5ELNS1_11target_archE942ELNS1_3gpuE9ELNS1_3repE0EEENS1_30default_config_static_selectorELNS0_4arch9wavefront6targetE0EEEvT1_.has_indirect_call, 0
	.section	.AMDGPU.csdata,"",@progbits
; Kernel info:
; codeLenInByte = 0
; TotalNumSgprs: 0
; NumVgprs: 0
; ScratchSize: 0
; MemoryBound: 0
; FloatMode: 240
; IeeeMode: 1
; LDSByteSize: 0 bytes/workgroup (compile time only)
; SGPRBlocks: 0
; VGPRBlocks: 0
; NumSGPRsForWavesPerEU: 1
; NumVGPRsForWavesPerEU: 1
; Occupancy: 16
; WaveLimiterHint : 0
; COMPUTE_PGM_RSRC2:SCRATCH_EN: 0
; COMPUTE_PGM_RSRC2:USER_SGPR: 6
; COMPUTE_PGM_RSRC2:TRAP_HANDLER: 0
; COMPUTE_PGM_RSRC2:TGID_X_EN: 1
; COMPUTE_PGM_RSRC2:TGID_Y_EN: 0
; COMPUTE_PGM_RSRC2:TGID_Z_EN: 0
; COMPUTE_PGM_RSRC2:TIDIG_COMP_CNT: 0
	.section	.text._ZN7rocprim17ROCPRIM_400000_NS6detail17trampoline_kernelINS0_14default_configENS1_27scan_by_key_config_selectorIssEEZZNS1_16scan_by_key_implILNS1_25lookback_scan_determinismE0ELb0ES3_N6thrust23THRUST_200600_302600_NS6detail15normal_iteratorINS9_10device_ptrIsEEEESE_SE_sNS9_4plusIsEE19head_flag_predicatesEE10hipError_tPvRmT2_T3_T4_T5_mT6_T7_P12ihipStream_tbENKUlT_T0_E_clISt17integral_constantIbLb0EESX_IbLb1EEEEDaST_SU_EUlST_E_NS1_11comp_targetILNS1_3genE4ELNS1_11target_archE910ELNS1_3gpuE8ELNS1_3repE0EEENS1_30default_config_static_selectorELNS0_4arch9wavefront6targetE0EEEvT1_,"axG",@progbits,_ZN7rocprim17ROCPRIM_400000_NS6detail17trampoline_kernelINS0_14default_configENS1_27scan_by_key_config_selectorIssEEZZNS1_16scan_by_key_implILNS1_25lookback_scan_determinismE0ELb0ES3_N6thrust23THRUST_200600_302600_NS6detail15normal_iteratorINS9_10device_ptrIsEEEESE_SE_sNS9_4plusIsEE19head_flag_predicatesEE10hipError_tPvRmT2_T3_T4_T5_mT6_T7_P12ihipStream_tbENKUlT_T0_E_clISt17integral_constantIbLb0EESX_IbLb1EEEEDaST_SU_EUlST_E_NS1_11comp_targetILNS1_3genE4ELNS1_11target_archE910ELNS1_3gpuE8ELNS1_3repE0EEENS1_30default_config_static_selectorELNS0_4arch9wavefront6targetE0EEEvT1_,comdat
	.protected	_ZN7rocprim17ROCPRIM_400000_NS6detail17trampoline_kernelINS0_14default_configENS1_27scan_by_key_config_selectorIssEEZZNS1_16scan_by_key_implILNS1_25lookback_scan_determinismE0ELb0ES3_N6thrust23THRUST_200600_302600_NS6detail15normal_iteratorINS9_10device_ptrIsEEEESE_SE_sNS9_4plusIsEE19head_flag_predicatesEE10hipError_tPvRmT2_T3_T4_T5_mT6_T7_P12ihipStream_tbENKUlT_T0_E_clISt17integral_constantIbLb0EESX_IbLb1EEEEDaST_SU_EUlST_E_NS1_11comp_targetILNS1_3genE4ELNS1_11target_archE910ELNS1_3gpuE8ELNS1_3repE0EEENS1_30default_config_static_selectorELNS0_4arch9wavefront6targetE0EEEvT1_ ; -- Begin function _ZN7rocprim17ROCPRIM_400000_NS6detail17trampoline_kernelINS0_14default_configENS1_27scan_by_key_config_selectorIssEEZZNS1_16scan_by_key_implILNS1_25lookback_scan_determinismE0ELb0ES3_N6thrust23THRUST_200600_302600_NS6detail15normal_iteratorINS9_10device_ptrIsEEEESE_SE_sNS9_4plusIsEE19head_flag_predicatesEE10hipError_tPvRmT2_T3_T4_T5_mT6_T7_P12ihipStream_tbENKUlT_T0_E_clISt17integral_constantIbLb0EESX_IbLb1EEEEDaST_SU_EUlST_E_NS1_11comp_targetILNS1_3genE4ELNS1_11target_archE910ELNS1_3gpuE8ELNS1_3repE0EEENS1_30default_config_static_selectorELNS0_4arch9wavefront6targetE0EEEvT1_
	.globl	_ZN7rocprim17ROCPRIM_400000_NS6detail17trampoline_kernelINS0_14default_configENS1_27scan_by_key_config_selectorIssEEZZNS1_16scan_by_key_implILNS1_25lookback_scan_determinismE0ELb0ES3_N6thrust23THRUST_200600_302600_NS6detail15normal_iteratorINS9_10device_ptrIsEEEESE_SE_sNS9_4plusIsEE19head_flag_predicatesEE10hipError_tPvRmT2_T3_T4_T5_mT6_T7_P12ihipStream_tbENKUlT_T0_E_clISt17integral_constantIbLb0EESX_IbLb1EEEEDaST_SU_EUlST_E_NS1_11comp_targetILNS1_3genE4ELNS1_11target_archE910ELNS1_3gpuE8ELNS1_3repE0EEENS1_30default_config_static_selectorELNS0_4arch9wavefront6targetE0EEEvT1_
	.p2align	8
	.type	_ZN7rocprim17ROCPRIM_400000_NS6detail17trampoline_kernelINS0_14default_configENS1_27scan_by_key_config_selectorIssEEZZNS1_16scan_by_key_implILNS1_25lookback_scan_determinismE0ELb0ES3_N6thrust23THRUST_200600_302600_NS6detail15normal_iteratorINS9_10device_ptrIsEEEESE_SE_sNS9_4plusIsEE19head_flag_predicatesEE10hipError_tPvRmT2_T3_T4_T5_mT6_T7_P12ihipStream_tbENKUlT_T0_E_clISt17integral_constantIbLb0EESX_IbLb1EEEEDaST_SU_EUlST_E_NS1_11comp_targetILNS1_3genE4ELNS1_11target_archE910ELNS1_3gpuE8ELNS1_3repE0EEENS1_30default_config_static_selectorELNS0_4arch9wavefront6targetE0EEEvT1_,@function
_ZN7rocprim17ROCPRIM_400000_NS6detail17trampoline_kernelINS0_14default_configENS1_27scan_by_key_config_selectorIssEEZZNS1_16scan_by_key_implILNS1_25lookback_scan_determinismE0ELb0ES3_N6thrust23THRUST_200600_302600_NS6detail15normal_iteratorINS9_10device_ptrIsEEEESE_SE_sNS9_4plusIsEE19head_flag_predicatesEE10hipError_tPvRmT2_T3_T4_T5_mT6_T7_P12ihipStream_tbENKUlT_T0_E_clISt17integral_constantIbLb0EESX_IbLb1EEEEDaST_SU_EUlST_E_NS1_11comp_targetILNS1_3genE4ELNS1_11target_archE910ELNS1_3gpuE8ELNS1_3repE0EEENS1_30default_config_static_selectorELNS0_4arch9wavefront6targetE0EEEvT1_: ; @_ZN7rocprim17ROCPRIM_400000_NS6detail17trampoline_kernelINS0_14default_configENS1_27scan_by_key_config_selectorIssEEZZNS1_16scan_by_key_implILNS1_25lookback_scan_determinismE0ELb0ES3_N6thrust23THRUST_200600_302600_NS6detail15normal_iteratorINS9_10device_ptrIsEEEESE_SE_sNS9_4plusIsEE19head_flag_predicatesEE10hipError_tPvRmT2_T3_T4_T5_mT6_T7_P12ihipStream_tbENKUlT_T0_E_clISt17integral_constantIbLb0EESX_IbLb1EEEEDaST_SU_EUlST_E_NS1_11comp_targetILNS1_3genE4ELNS1_11target_archE910ELNS1_3gpuE8ELNS1_3repE0EEENS1_30default_config_static_selectorELNS0_4arch9wavefront6targetE0EEEvT1_
; %bb.0:
	.section	.rodata,"a",@progbits
	.p2align	6, 0x0
	.amdhsa_kernel _ZN7rocprim17ROCPRIM_400000_NS6detail17trampoline_kernelINS0_14default_configENS1_27scan_by_key_config_selectorIssEEZZNS1_16scan_by_key_implILNS1_25lookback_scan_determinismE0ELb0ES3_N6thrust23THRUST_200600_302600_NS6detail15normal_iteratorINS9_10device_ptrIsEEEESE_SE_sNS9_4plusIsEE19head_flag_predicatesEE10hipError_tPvRmT2_T3_T4_T5_mT6_T7_P12ihipStream_tbENKUlT_T0_E_clISt17integral_constantIbLb0EESX_IbLb1EEEEDaST_SU_EUlST_E_NS1_11comp_targetILNS1_3genE4ELNS1_11target_archE910ELNS1_3gpuE8ELNS1_3repE0EEENS1_30default_config_static_selectorELNS0_4arch9wavefront6targetE0EEEvT1_
		.amdhsa_group_segment_fixed_size 0
		.amdhsa_private_segment_fixed_size 0
		.amdhsa_kernarg_size 112
		.amdhsa_user_sgpr_count 6
		.amdhsa_user_sgpr_private_segment_buffer 1
		.amdhsa_user_sgpr_dispatch_ptr 0
		.amdhsa_user_sgpr_queue_ptr 0
		.amdhsa_user_sgpr_kernarg_segment_ptr 1
		.amdhsa_user_sgpr_dispatch_id 0
		.amdhsa_user_sgpr_flat_scratch_init 0
		.amdhsa_user_sgpr_private_segment_size 0
		.amdhsa_wavefront_size32 1
		.amdhsa_uses_dynamic_stack 0
		.amdhsa_system_sgpr_private_segment_wavefront_offset 0
		.amdhsa_system_sgpr_workgroup_id_x 1
		.amdhsa_system_sgpr_workgroup_id_y 0
		.amdhsa_system_sgpr_workgroup_id_z 0
		.amdhsa_system_sgpr_workgroup_info 0
		.amdhsa_system_vgpr_workitem_id 0
		.amdhsa_next_free_vgpr 1
		.amdhsa_next_free_sgpr 1
		.amdhsa_reserve_vcc 0
		.amdhsa_reserve_flat_scratch 0
		.amdhsa_float_round_mode_32 0
		.amdhsa_float_round_mode_16_64 0
		.amdhsa_float_denorm_mode_32 3
		.amdhsa_float_denorm_mode_16_64 3
		.amdhsa_dx10_clamp 1
		.amdhsa_ieee_mode 1
		.amdhsa_fp16_overflow 0
		.amdhsa_workgroup_processor_mode 1
		.amdhsa_memory_ordered 1
		.amdhsa_forward_progress 1
		.amdhsa_shared_vgpr_count 0
		.amdhsa_exception_fp_ieee_invalid_op 0
		.amdhsa_exception_fp_denorm_src 0
		.amdhsa_exception_fp_ieee_div_zero 0
		.amdhsa_exception_fp_ieee_overflow 0
		.amdhsa_exception_fp_ieee_underflow 0
		.amdhsa_exception_fp_ieee_inexact 0
		.amdhsa_exception_int_div_zero 0
	.end_amdhsa_kernel
	.section	.text._ZN7rocprim17ROCPRIM_400000_NS6detail17trampoline_kernelINS0_14default_configENS1_27scan_by_key_config_selectorIssEEZZNS1_16scan_by_key_implILNS1_25lookback_scan_determinismE0ELb0ES3_N6thrust23THRUST_200600_302600_NS6detail15normal_iteratorINS9_10device_ptrIsEEEESE_SE_sNS9_4plusIsEE19head_flag_predicatesEE10hipError_tPvRmT2_T3_T4_T5_mT6_T7_P12ihipStream_tbENKUlT_T0_E_clISt17integral_constantIbLb0EESX_IbLb1EEEEDaST_SU_EUlST_E_NS1_11comp_targetILNS1_3genE4ELNS1_11target_archE910ELNS1_3gpuE8ELNS1_3repE0EEENS1_30default_config_static_selectorELNS0_4arch9wavefront6targetE0EEEvT1_,"axG",@progbits,_ZN7rocprim17ROCPRIM_400000_NS6detail17trampoline_kernelINS0_14default_configENS1_27scan_by_key_config_selectorIssEEZZNS1_16scan_by_key_implILNS1_25lookback_scan_determinismE0ELb0ES3_N6thrust23THRUST_200600_302600_NS6detail15normal_iteratorINS9_10device_ptrIsEEEESE_SE_sNS9_4plusIsEE19head_flag_predicatesEE10hipError_tPvRmT2_T3_T4_T5_mT6_T7_P12ihipStream_tbENKUlT_T0_E_clISt17integral_constantIbLb0EESX_IbLb1EEEEDaST_SU_EUlST_E_NS1_11comp_targetILNS1_3genE4ELNS1_11target_archE910ELNS1_3gpuE8ELNS1_3repE0EEENS1_30default_config_static_selectorELNS0_4arch9wavefront6targetE0EEEvT1_,comdat
.Lfunc_end851:
	.size	_ZN7rocprim17ROCPRIM_400000_NS6detail17trampoline_kernelINS0_14default_configENS1_27scan_by_key_config_selectorIssEEZZNS1_16scan_by_key_implILNS1_25lookback_scan_determinismE0ELb0ES3_N6thrust23THRUST_200600_302600_NS6detail15normal_iteratorINS9_10device_ptrIsEEEESE_SE_sNS9_4plusIsEE19head_flag_predicatesEE10hipError_tPvRmT2_T3_T4_T5_mT6_T7_P12ihipStream_tbENKUlT_T0_E_clISt17integral_constantIbLb0EESX_IbLb1EEEEDaST_SU_EUlST_E_NS1_11comp_targetILNS1_3genE4ELNS1_11target_archE910ELNS1_3gpuE8ELNS1_3repE0EEENS1_30default_config_static_selectorELNS0_4arch9wavefront6targetE0EEEvT1_, .Lfunc_end851-_ZN7rocprim17ROCPRIM_400000_NS6detail17trampoline_kernelINS0_14default_configENS1_27scan_by_key_config_selectorIssEEZZNS1_16scan_by_key_implILNS1_25lookback_scan_determinismE0ELb0ES3_N6thrust23THRUST_200600_302600_NS6detail15normal_iteratorINS9_10device_ptrIsEEEESE_SE_sNS9_4plusIsEE19head_flag_predicatesEE10hipError_tPvRmT2_T3_T4_T5_mT6_T7_P12ihipStream_tbENKUlT_T0_E_clISt17integral_constantIbLb0EESX_IbLb1EEEEDaST_SU_EUlST_E_NS1_11comp_targetILNS1_3genE4ELNS1_11target_archE910ELNS1_3gpuE8ELNS1_3repE0EEENS1_30default_config_static_selectorELNS0_4arch9wavefront6targetE0EEEvT1_
                                        ; -- End function
	.set _ZN7rocprim17ROCPRIM_400000_NS6detail17trampoline_kernelINS0_14default_configENS1_27scan_by_key_config_selectorIssEEZZNS1_16scan_by_key_implILNS1_25lookback_scan_determinismE0ELb0ES3_N6thrust23THRUST_200600_302600_NS6detail15normal_iteratorINS9_10device_ptrIsEEEESE_SE_sNS9_4plusIsEE19head_flag_predicatesEE10hipError_tPvRmT2_T3_T4_T5_mT6_T7_P12ihipStream_tbENKUlT_T0_E_clISt17integral_constantIbLb0EESX_IbLb1EEEEDaST_SU_EUlST_E_NS1_11comp_targetILNS1_3genE4ELNS1_11target_archE910ELNS1_3gpuE8ELNS1_3repE0EEENS1_30default_config_static_selectorELNS0_4arch9wavefront6targetE0EEEvT1_.num_vgpr, 0
	.set _ZN7rocprim17ROCPRIM_400000_NS6detail17trampoline_kernelINS0_14default_configENS1_27scan_by_key_config_selectorIssEEZZNS1_16scan_by_key_implILNS1_25lookback_scan_determinismE0ELb0ES3_N6thrust23THRUST_200600_302600_NS6detail15normal_iteratorINS9_10device_ptrIsEEEESE_SE_sNS9_4plusIsEE19head_flag_predicatesEE10hipError_tPvRmT2_T3_T4_T5_mT6_T7_P12ihipStream_tbENKUlT_T0_E_clISt17integral_constantIbLb0EESX_IbLb1EEEEDaST_SU_EUlST_E_NS1_11comp_targetILNS1_3genE4ELNS1_11target_archE910ELNS1_3gpuE8ELNS1_3repE0EEENS1_30default_config_static_selectorELNS0_4arch9wavefront6targetE0EEEvT1_.num_agpr, 0
	.set _ZN7rocprim17ROCPRIM_400000_NS6detail17trampoline_kernelINS0_14default_configENS1_27scan_by_key_config_selectorIssEEZZNS1_16scan_by_key_implILNS1_25lookback_scan_determinismE0ELb0ES3_N6thrust23THRUST_200600_302600_NS6detail15normal_iteratorINS9_10device_ptrIsEEEESE_SE_sNS9_4plusIsEE19head_flag_predicatesEE10hipError_tPvRmT2_T3_T4_T5_mT6_T7_P12ihipStream_tbENKUlT_T0_E_clISt17integral_constantIbLb0EESX_IbLb1EEEEDaST_SU_EUlST_E_NS1_11comp_targetILNS1_3genE4ELNS1_11target_archE910ELNS1_3gpuE8ELNS1_3repE0EEENS1_30default_config_static_selectorELNS0_4arch9wavefront6targetE0EEEvT1_.numbered_sgpr, 0
	.set _ZN7rocprim17ROCPRIM_400000_NS6detail17trampoline_kernelINS0_14default_configENS1_27scan_by_key_config_selectorIssEEZZNS1_16scan_by_key_implILNS1_25lookback_scan_determinismE0ELb0ES3_N6thrust23THRUST_200600_302600_NS6detail15normal_iteratorINS9_10device_ptrIsEEEESE_SE_sNS9_4plusIsEE19head_flag_predicatesEE10hipError_tPvRmT2_T3_T4_T5_mT6_T7_P12ihipStream_tbENKUlT_T0_E_clISt17integral_constantIbLb0EESX_IbLb1EEEEDaST_SU_EUlST_E_NS1_11comp_targetILNS1_3genE4ELNS1_11target_archE910ELNS1_3gpuE8ELNS1_3repE0EEENS1_30default_config_static_selectorELNS0_4arch9wavefront6targetE0EEEvT1_.num_named_barrier, 0
	.set _ZN7rocprim17ROCPRIM_400000_NS6detail17trampoline_kernelINS0_14default_configENS1_27scan_by_key_config_selectorIssEEZZNS1_16scan_by_key_implILNS1_25lookback_scan_determinismE0ELb0ES3_N6thrust23THRUST_200600_302600_NS6detail15normal_iteratorINS9_10device_ptrIsEEEESE_SE_sNS9_4plusIsEE19head_flag_predicatesEE10hipError_tPvRmT2_T3_T4_T5_mT6_T7_P12ihipStream_tbENKUlT_T0_E_clISt17integral_constantIbLb0EESX_IbLb1EEEEDaST_SU_EUlST_E_NS1_11comp_targetILNS1_3genE4ELNS1_11target_archE910ELNS1_3gpuE8ELNS1_3repE0EEENS1_30default_config_static_selectorELNS0_4arch9wavefront6targetE0EEEvT1_.private_seg_size, 0
	.set _ZN7rocprim17ROCPRIM_400000_NS6detail17trampoline_kernelINS0_14default_configENS1_27scan_by_key_config_selectorIssEEZZNS1_16scan_by_key_implILNS1_25lookback_scan_determinismE0ELb0ES3_N6thrust23THRUST_200600_302600_NS6detail15normal_iteratorINS9_10device_ptrIsEEEESE_SE_sNS9_4plusIsEE19head_flag_predicatesEE10hipError_tPvRmT2_T3_T4_T5_mT6_T7_P12ihipStream_tbENKUlT_T0_E_clISt17integral_constantIbLb0EESX_IbLb1EEEEDaST_SU_EUlST_E_NS1_11comp_targetILNS1_3genE4ELNS1_11target_archE910ELNS1_3gpuE8ELNS1_3repE0EEENS1_30default_config_static_selectorELNS0_4arch9wavefront6targetE0EEEvT1_.uses_vcc, 0
	.set _ZN7rocprim17ROCPRIM_400000_NS6detail17trampoline_kernelINS0_14default_configENS1_27scan_by_key_config_selectorIssEEZZNS1_16scan_by_key_implILNS1_25lookback_scan_determinismE0ELb0ES3_N6thrust23THRUST_200600_302600_NS6detail15normal_iteratorINS9_10device_ptrIsEEEESE_SE_sNS9_4plusIsEE19head_flag_predicatesEE10hipError_tPvRmT2_T3_T4_T5_mT6_T7_P12ihipStream_tbENKUlT_T0_E_clISt17integral_constantIbLb0EESX_IbLb1EEEEDaST_SU_EUlST_E_NS1_11comp_targetILNS1_3genE4ELNS1_11target_archE910ELNS1_3gpuE8ELNS1_3repE0EEENS1_30default_config_static_selectorELNS0_4arch9wavefront6targetE0EEEvT1_.uses_flat_scratch, 0
	.set _ZN7rocprim17ROCPRIM_400000_NS6detail17trampoline_kernelINS0_14default_configENS1_27scan_by_key_config_selectorIssEEZZNS1_16scan_by_key_implILNS1_25lookback_scan_determinismE0ELb0ES3_N6thrust23THRUST_200600_302600_NS6detail15normal_iteratorINS9_10device_ptrIsEEEESE_SE_sNS9_4plusIsEE19head_flag_predicatesEE10hipError_tPvRmT2_T3_T4_T5_mT6_T7_P12ihipStream_tbENKUlT_T0_E_clISt17integral_constantIbLb0EESX_IbLb1EEEEDaST_SU_EUlST_E_NS1_11comp_targetILNS1_3genE4ELNS1_11target_archE910ELNS1_3gpuE8ELNS1_3repE0EEENS1_30default_config_static_selectorELNS0_4arch9wavefront6targetE0EEEvT1_.has_dyn_sized_stack, 0
	.set _ZN7rocprim17ROCPRIM_400000_NS6detail17trampoline_kernelINS0_14default_configENS1_27scan_by_key_config_selectorIssEEZZNS1_16scan_by_key_implILNS1_25lookback_scan_determinismE0ELb0ES3_N6thrust23THRUST_200600_302600_NS6detail15normal_iteratorINS9_10device_ptrIsEEEESE_SE_sNS9_4plusIsEE19head_flag_predicatesEE10hipError_tPvRmT2_T3_T4_T5_mT6_T7_P12ihipStream_tbENKUlT_T0_E_clISt17integral_constantIbLb0EESX_IbLb1EEEEDaST_SU_EUlST_E_NS1_11comp_targetILNS1_3genE4ELNS1_11target_archE910ELNS1_3gpuE8ELNS1_3repE0EEENS1_30default_config_static_selectorELNS0_4arch9wavefront6targetE0EEEvT1_.has_recursion, 0
	.set _ZN7rocprim17ROCPRIM_400000_NS6detail17trampoline_kernelINS0_14default_configENS1_27scan_by_key_config_selectorIssEEZZNS1_16scan_by_key_implILNS1_25lookback_scan_determinismE0ELb0ES3_N6thrust23THRUST_200600_302600_NS6detail15normal_iteratorINS9_10device_ptrIsEEEESE_SE_sNS9_4plusIsEE19head_flag_predicatesEE10hipError_tPvRmT2_T3_T4_T5_mT6_T7_P12ihipStream_tbENKUlT_T0_E_clISt17integral_constantIbLb0EESX_IbLb1EEEEDaST_SU_EUlST_E_NS1_11comp_targetILNS1_3genE4ELNS1_11target_archE910ELNS1_3gpuE8ELNS1_3repE0EEENS1_30default_config_static_selectorELNS0_4arch9wavefront6targetE0EEEvT1_.has_indirect_call, 0
	.section	.AMDGPU.csdata,"",@progbits
; Kernel info:
; codeLenInByte = 0
; TotalNumSgprs: 0
; NumVgprs: 0
; ScratchSize: 0
; MemoryBound: 0
; FloatMode: 240
; IeeeMode: 1
; LDSByteSize: 0 bytes/workgroup (compile time only)
; SGPRBlocks: 0
; VGPRBlocks: 0
; NumSGPRsForWavesPerEU: 1
; NumVGPRsForWavesPerEU: 1
; Occupancy: 16
; WaveLimiterHint : 0
; COMPUTE_PGM_RSRC2:SCRATCH_EN: 0
; COMPUTE_PGM_RSRC2:USER_SGPR: 6
; COMPUTE_PGM_RSRC2:TRAP_HANDLER: 0
; COMPUTE_PGM_RSRC2:TGID_X_EN: 1
; COMPUTE_PGM_RSRC2:TGID_Y_EN: 0
; COMPUTE_PGM_RSRC2:TGID_Z_EN: 0
; COMPUTE_PGM_RSRC2:TIDIG_COMP_CNT: 0
	.section	.text._ZN7rocprim17ROCPRIM_400000_NS6detail17trampoline_kernelINS0_14default_configENS1_27scan_by_key_config_selectorIssEEZZNS1_16scan_by_key_implILNS1_25lookback_scan_determinismE0ELb0ES3_N6thrust23THRUST_200600_302600_NS6detail15normal_iteratorINS9_10device_ptrIsEEEESE_SE_sNS9_4plusIsEE19head_flag_predicatesEE10hipError_tPvRmT2_T3_T4_T5_mT6_T7_P12ihipStream_tbENKUlT_T0_E_clISt17integral_constantIbLb0EESX_IbLb1EEEEDaST_SU_EUlST_E_NS1_11comp_targetILNS1_3genE3ELNS1_11target_archE908ELNS1_3gpuE7ELNS1_3repE0EEENS1_30default_config_static_selectorELNS0_4arch9wavefront6targetE0EEEvT1_,"axG",@progbits,_ZN7rocprim17ROCPRIM_400000_NS6detail17trampoline_kernelINS0_14default_configENS1_27scan_by_key_config_selectorIssEEZZNS1_16scan_by_key_implILNS1_25lookback_scan_determinismE0ELb0ES3_N6thrust23THRUST_200600_302600_NS6detail15normal_iteratorINS9_10device_ptrIsEEEESE_SE_sNS9_4plusIsEE19head_flag_predicatesEE10hipError_tPvRmT2_T3_T4_T5_mT6_T7_P12ihipStream_tbENKUlT_T0_E_clISt17integral_constantIbLb0EESX_IbLb1EEEEDaST_SU_EUlST_E_NS1_11comp_targetILNS1_3genE3ELNS1_11target_archE908ELNS1_3gpuE7ELNS1_3repE0EEENS1_30default_config_static_selectorELNS0_4arch9wavefront6targetE0EEEvT1_,comdat
	.protected	_ZN7rocprim17ROCPRIM_400000_NS6detail17trampoline_kernelINS0_14default_configENS1_27scan_by_key_config_selectorIssEEZZNS1_16scan_by_key_implILNS1_25lookback_scan_determinismE0ELb0ES3_N6thrust23THRUST_200600_302600_NS6detail15normal_iteratorINS9_10device_ptrIsEEEESE_SE_sNS9_4plusIsEE19head_flag_predicatesEE10hipError_tPvRmT2_T3_T4_T5_mT6_T7_P12ihipStream_tbENKUlT_T0_E_clISt17integral_constantIbLb0EESX_IbLb1EEEEDaST_SU_EUlST_E_NS1_11comp_targetILNS1_3genE3ELNS1_11target_archE908ELNS1_3gpuE7ELNS1_3repE0EEENS1_30default_config_static_selectorELNS0_4arch9wavefront6targetE0EEEvT1_ ; -- Begin function _ZN7rocprim17ROCPRIM_400000_NS6detail17trampoline_kernelINS0_14default_configENS1_27scan_by_key_config_selectorIssEEZZNS1_16scan_by_key_implILNS1_25lookback_scan_determinismE0ELb0ES3_N6thrust23THRUST_200600_302600_NS6detail15normal_iteratorINS9_10device_ptrIsEEEESE_SE_sNS9_4plusIsEE19head_flag_predicatesEE10hipError_tPvRmT2_T3_T4_T5_mT6_T7_P12ihipStream_tbENKUlT_T0_E_clISt17integral_constantIbLb0EESX_IbLb1EEEEDaST_SU_EUlST_E_NS1_11comp_targetILNS1_3genE3ELNS1_11target_archE908ELNS1_3gpuE7ELNS1_3repE0EEENS1_30default_config_static_selectorELNS0_4arch9wavefront6targetE0EEEvT1_
	.globl	_ZN7rocprim17ROCPRIM_400000_NS6detail17trampoline_kernelINS0_14default_configENS1_27scan_by_key_config_selectorIssEEZZNS1_16scan_by_key_implILNS1_25lookback_scan_determinismE0ELb0ES3_N6thrust23THRUST_200600_302600_NS6detail15normal_iteratorINS9_10device_ptrIsEEEESE_SE_sNS9_4plusIsEE19head_flag_predicatesEE10hipError_tPvRmT2_T3_T4_T5_mT6_T7_P12ihipStream_tbENKUlT_T0_E_clISt17integral_constantIbLb0EESX_IbLb1EEEEDaST_SU_EUlST_E_NS1_11comp_targetILNS1_3genE3ELNS1_11target_archE908ELNS1_3gpuE7ELNS1_3repE0EEENS1_30default_config_static_selectorELNS0_4arch9wavefront6targetE0EEEvT1_
	.p2align	8
	.type	_ZN7rocprim17ROCPRIM_400000_NS6detail17trampoline_kernelINS0_14default_configENS1_27scan_by_key_config_selectorIssEEZZNS1_16scan_by_key_implILNS1_25lookback_scan_determinismE0ELb0ES3_N6thrust23THRUST_200600_302600_NS6detail15normal_iteratorINS9_10device_ptrIsEEEESE_SE_sNS9_4plusIsEE19head_flag_predicatesEE10hipError_tPvRmT2_T3_T4_T5_mT6_T7_P12ihipStream_tbENKUlT_T0_E_clISt17integral_constantIbLb0EESX_IbLb1EEEEDaST_SU_EUlST_E_NS1_11comp_targetILNS1_3genE3ELNS1_11target_archE908ELNS1_3gpuE7ELNS1_3repE0EEENS1_30default_config_static_selectorELNS0_4arch9wavefront6targetE0EEEvT1_,@function
_ZN7rocprim17ROCPRIM_400000_NS6detail17trampoline_kernelINS0_14default_configENS1_27scan_by_key_config_selectorIssEEZZNS1_16scan_by_key_implILNS1_25lookback_scan_determinismE0ELb0ES3_N6thrust23THRUST_200600_302600_NS6detail15normal_iteratorINS9_10device_ptrIsEEEESE_SE_sNS9_4plusIsEE19head_flag_predicatesEE10hipError_tPvRmT2_T3_T4_T5_mT6_T7_P12ihipStream_tbENKUlT_T0_E_clISt17integral_constantIbLb0EESX_IbLb1EEEEDaST_SU_EUlST_E_NS1_11comp_targetILNS1_3genE3ELNS1_11target_archE908ELNS1_3gpuE7ELNS1_3repE0EEENS1_30default_config_static_selectorELNS0_4arch9wavefront6targetE0EEEvT1_: ; @_ZN7rocprim17ROCPRIM_400000_NS6detail17trampoline_kernelINS0_14default_configENS1_27scan_by_key_config_selectorIssEEZZNS1_16scan_by_key_implILNS1_25lookback_scan_determinismE0ELb0ES3_N6thrust23THRUST_200600_302600_NS6detail15normal_iteratorINS9_10device_ptrIsEEEESE_SE_sNS9_4plusIsEE19head_flag_predicatesEE10hipError_tPvRmT2_T3_T4_T5_mT6_T7_P12ihipStream_tbENKUlT_T0_E_clISt17integral_constantIbLb0EESX_IbLb1EEEEDaST_SU_EUlST_E_NS1_11comp_targetILNS1_3genE3ELNS1_11target_archE908ELNS1_3gpuE7ELNS1_3repE0EEENS1_30default_config_static_selectorELNS0_4arch9wavefront6targetE0EEEvT1_
; %bb.0:
	.section	.rodata,"a",@progbits
	.p2align	6, 0x0
	.amdhsa_kernel _ZN7rocprim17ROCPRIM_400000_NS6detail17trampoline_kernelINS0_14default_configENS1_27scan_by_key_config_selectorIssEEZZNS1_16scan_by_key_implILNS1_25lookback_scan_determinismE0ELb0ES3_N6thrust23THRUST_200600_302600_NS6detail15normal_iteratorINS9_10device_ptrIsEEEESE_SE_sNS9_4plusIsEE19head_flag_predicatesEE10hipError_tPvRmT2_T3_T4_T5_mT6_T7_P12ihipStream_tbENKUlT_T0_E_clISt17integral_constantIbLb0EESX_IbLb1EEEEDaST_SU_EUlST_E_NS1_11comp_targetILNS1_3genE3ELNS1_11target_archE908ELNS1_3gpuE7ELNS1_3repE0EEENS1_30default_config_static_selectorELNS0_4arch9wavefront6targetE0EEEvT1_
		.amdhsa_group_segment_fixed_size 0
		.amdhsa_private_segment_fixed_size 0
		.amdhsa_kernarg_size 112
		.amdhsa_user_sgpr_count 6
		.amdhsa_user_sgpr_private_segment_buffer 1
		.amdhsa_user_sgpr_dispatch_ptr 0
		.amdhsa_user_sgpr_queue_ptr 0
		.amdhsa_user_sgpr_kernarg_segment_ptr 1
		.amdhsa_user_sgpr_dispatch_id 0
		.amdhsa_user_sgpr_flat_scratch_init 0
		.amdhsa_user_sgpr_private_segment_size 0
		.amdhsa_wavefront_size32 1
		.amdhsa_uses_dynamic_stack 0
		.amdhsa_system_sgpr_private_segment_wavefront_offset 0
		.amdhsa_system_sgpr_workgroup_id_x 1
		.amdhsa_system_sgpr_workgroup_id_y 0
		.amdhsa_system_sgpr_workgroup_id_z 0
		.amdhsa_system_sgpr_workgroup_info 0
		.amdhsa_system_vgpr_workitem_id 0
		.amdhsa_next_free_vgpr 1
		.amdhsa_next_free_sgpr 1
		.amdhsa_reserve_vcc 0
		.amdhsa_reserve_flat_scratch 0
		.amdhsa_float_round_mode_32 0
		.amdhsa_float_round_mode_16_64 0
		.amdhsa_float_denorm_mode_32 3
		.amdhsa_float_denorm_mode_16_64 3
		.amdhsa_dx10_clamp 1
		.amdhsa_ieee_mode 1
		.amdhsa_fp16_overflow 0
		.amdhsa_workgroup_processor_mode 1
		.amdhsa_memory_ordered 1
		.amdhsa_forward_progress 1
		.amdhsa_shared_vgpr_count 0
		.amdhsa_exception_fp_ieee_invalid_op 0
		.amdhsa_exception_fp_denorm_src 0
		.amdhsa_exception_fp_ieee_div_zero 0
		.amdhsa_exception_fp_ieee_overflow 0
		.amdhsa_exception_fp_ieee_underflow 0
		.amdhsa_exception_fp_ieee_inexact 0
		.amdhsa_exception_int_div_zero 0
	.end_amdhsa_kernel
	.section	.text._ZN7rocprim17ROCPRIM_400000_NS6detail17trampoline_kernelINS0_14default_configENS1_27scan_by_key_config_selectorIssEEZZNS1_16scan_by_key_implILNS1_25lookback_scan_determinismE0ELb0ES3_N6thrust23THRUST_200600_302600_NS6detail15normal_iteratorINS9_10device_ptrIsEEEESE_SE_sNS9_4plusIsEE19head_flag_predicatesEE10hipError_tPvRmT2_T3_T4_T5_mT6_T7_P12ihipStream_tbENKUlT_T0_E_clISt17integral_constantIbLb0EESX_IbLb1EEEEDaST_SU_EUlST_E_NS1_11comp_targetILNS1_3genE3ELNS1_11target_archE908ELNS1_3gpuE7ELNS1_3repE0EEENS1_30default_config_static_selectorELNS0_4arch9wavefront6targetE0EEEvT1_,"axG",@progbits,_ZN7rocprim17ROCPRIM_400000_NS6detail17trampoline_kernelINS0_14default_configENS1_27scan_by_key_config_selectorIssEEZZNS1_16scan_by_key_implILNS1_25lookback_scan_determinismE0ELb0ES3_N6thrust23THRUST_200600_302600_NS6detail15normal_iteratorINS9_10device_ptrIsEEEESE_SE_sNS9_4plusIsEE19head_flag_predicatesEE10hipError_tPvRmT2_T3_T4_T5_mT6_T7_P12ihipStream_tbENKUlT_T0_E_clISt17integral_constantIbLb0EESX_IbLb1EEEEDaST_SU_EUlST_E_NS1_11comp_targetILNS1_3genE3ELNS1_11target_archE908ELNS1_3gpuE7ELNS1_3repE0EEENS1_30default_config_static_selectorELNS0_4arch9wavefront6targetE0EEEvT1_,comdat
.Lfunc_end852:
	.size	_ZN7rocprim17ROCPRIM_400000_NS6detail17trampoline_kernelINS0_14default_configENS1_27scan_by_key_config_selectorIssEEZZNS1_16scan_by_key_implILNS1_25lookback_scan_determinismE0ELb0ES3_N6thrust23THRUST_200600_302600_NS6detail15normal_iteratorINS9_10device_ptrIsEEEESE_SE_sNS9_4plusIsEE19head_flag_predicatesEE10hipError_tPvRmT2_T3_T4_T5_mT6_T7_P12ihipStream_tbENKUlT_T0_E_clISt17integral_constantIbLb0EESX_IbLb1EEEEDaST_SU_EUlST_E_NS1_11comp_targetILNS1_3genE3ELNS1_11target_archE908ELNS1_3gpuE7ELNS1_3repE0EEENS1_30default_config_static_selectorELNS0_4arch9wavefront6targetE0EEEvT1_, .Lfunc_end852-_ZN7rocprim17ROCPRIM_400000_NS6detail17trampoline_kernelINS0_14default_configENS1_27scan_by_key_config_selectorIssEEZZNS1_16scan_by_key_implILNS1_25lookback_scan_determinismE0ELb0ES3_N6thrust23THRUST_200600_302600_NS6detail15normal_iteratorINS9_10device_ptrIsEEEESE_SE_sNS9_4plusIsEE19head_flag_predicatesEE10hipError_tPvRmT2_T3_T4_T5_mT6_T7_P12ihipStream_tbENKUlT_T0_E_clISt17integral_constantIbLb0EESX_IbLb1EEEEDaST_SU_EUlST_E_NS1_11comp_targetILNS1_3genE3ELNS1_11target_archE908ELNS1_3gpuE7ELNS1_3repE0EEENS1_30default_config_static_selectorELNS0_4arch9wavefront6targetE0EEEvT1_
                                        ; -- End function
	.set _ZN7rocprim17ROCPRIM_400000_NS6detail17trampoline_kernelINS0_14default_configENS1_27scan_by_key_config_selectorIssEEZZNS1_16scan_by_key_implILNS1_25lookback_scan_determinismE0ELb0ES3_N6thrust23THRUST_200600_302600_NS6detail15normal_iteratorINS9_10device_ptrIsEEEESE_SE_sNS9_4plusIsEE19head_flag_predicatesEE10hipError_tPvRmT2_T3_T4_T5_mT6_T7_P12ihipStream_tbENKUlT_T0_E_clISt17integral_constantIbLb0EESX_IbLb1EEEEDaST_SU_EUlST_E_NS1_11comp_targetILNS1_3genE3ELNS1_11target_archE908ELNS1_3gpuE7ELNS1_3repE0EEENS1_30default_config_static_selectorELNS0_4arch9wavefront6targetE0EEEvT1_.num_vgpr, 0
	.set _ZN7rocprim17ROCPRIM_400000_NS6detail17trampoline_kernelINS0_14default_configENS1_27scan_by_key_config_selectorIssEEZZNS1_16scan_by_key_implILNS1_25lookback_scan_determinismE0ELb0ES3_N6thrust23THRUST_200600_302600_NS6detail15normal_iteratorINS9_10device_ptrIsEEEESE_SE_sNS9_4plusIsEE19head_flag_predicatesEE10hipError_tPvRmT2_T3_T4_T5_mT6_T7_P12ihipStream_tbENKUlT_T0_E_clISt17integral_constantIbLb0EESX_IbLb1EEEEDaST_SU_EUlST_E_NS1_11comp_targetILNS1_3genE3ELNS1_11target_archE908ELNS1_3gpuE7ELNS1_3repE0EEENS1_30default_config_static_selectorELNS0_4arch9wavefront6targetE0EEEvT1_.num_agpr, 0
	.set _ZN7rocprim17ROCPRIM_400000_NS6detail17trampoline_kernelINS0_14default_configENS1_27scan_by_key_config_selectorIssEEZZNS1_16scan_by_key_implILNS1_25lookback_scan_determinismE0ELb0ES3_N6thrust23THRUST_200600_302600_NS6detail15normal_iteratorINS9_10device_ptrIsEEEESE_SE_sNS9_4plusIsEE19head_flag_predicatesEE10hipError_tPvRmT2_T3_T4_T5_mT6_T7_P12ihipStream_tbENKUlT_T0_E_clISt17integral_constantIbLb0EESX_IbLb1EEEEDaST_SU_EUlST_E_NS1_11comp_targetILNS1_3genE3ELNS1_11target_archE908ELNS1_3gpuE7ELNS1_3repE0EEENS1_30default_config_static_selectorELNS0_4arch9wavefront6targetE0EEEvT1_.numbered_sgpr, 0
	.set _ZN7rocprim17ROCPRIM_400000_NS6detail17trampoline_kernelINS0_14default_configENS1_27scan_by_key_config_selectorIssEEZZNS1_16scan_by_key_implILNS1_25lookback_scan_determinismE0ELb0ES3_N6thrust23THRUST_200600_302600_NS6detail15normal_iteratorINS9_10device_ptrIsEEEESE_SE_sNS9_4plusIsEE19head_flag_predicatesEE10hipError_tPvRmT2_T3_T4_T5_mT6_T7_P12ihipStream_tbENKUlT_T0_E_clISt17integral_constantIbLb0EESX_IbLb1EEEEDaST_SU_EUlST_E_NS1_11comp_targetILNS1_3genE3ELNS1_11target_archE908ELNS1_3gpuE7ELNS1_3repE0EEENS1_30default_config_static_selectorELNS0_4arch9wavefront6targetE0EEEvT1_.num_named_barrier, 0
	.set _ZN7rocprim17ROCPRIM_400000_NS6detail17trampoline_kernelINS0_14default_configENS1_27scan_by_key_config_selectorIssEEZZNS1_16scan_by_key_implILNS1_25lookback_scan_determinismE0ELb0ES3_N6thrust23THRUST_200600_302600_NS6detail15normal_iteratorINS9_10device_ptrIsEEEESE_SE_sNS9_4plusIsEE19head_flag_predicatesEE10hipError_tPvRmT2_T3_T4_T5_mT6_T7_P12ihipStream_tbENKUlT_T0_E_clISt17integral_constantIbLb0EESX_IbLb1EEEEDaST_SU_EUlST_E_NS1_11comp_targetILNS1_3genE3ELNS1_11target_archE908ELNS1_3gpuE7ELNS1_3repE0EEENS1_30default_config_static_selectorELNS0_4arch9wavefront6targetE0EEEvT1_.private_seg_size, 0
	.set _ZN7rocprim17ROCPRIM_400000_NS6detail17trampoline_kernelINS0_14default_configENS1_27scan_by_key_config_selectorIssEEZZNS1_16scan_by_key_implILNS1_25lookback_scan_determinismE0ELb0ES3_N6thrust23THRUST_200600_302600_NS6detail15normal_iteratorINS9_10device_ptrIsEEEESE_SE_sNS9_4plusIsEE19head_flag_predicatesEE10hipError_tPvRmT2_T3_T4_T5_mT6_T7_P12ihipStream_tbENKUlT_T0_E_clISt17integral_constantIbLb0EESX_IbLb1EEEEDaST_SU_EUlST_E_NS1_11comp_targetILNS1_3genE3ELNS1_11target_archE908ELNS1_3gpuE7ELNS1_3repE0EEENS1_30default_config_static_selectorELNS0_4arch9wavefront6targetE0EEEvT1_.uses_vcc, 0
	.set _ZN7rocprim17ROCPRIM_400000_NS6detail17trampoline_kernelINS0_14default_configENS1_27scan_by_key_config_selectorIssEEZZNS1_16scan_by_key_implILNS1_25lookback_scan_determinismE0ELb0ES3_N6thrust23THRUST_200600_302600_NS6detail15normal_iteratorINS9_10device_ptrIsEEEESE_SE_sNS9_4plusIsEE19head_flag_predicatesEE10hipError_tPvRmT2_T3_T4_T5_mT6_T7_P12ihipStream_tbENKUlT_T0_E_clISt17integral_constantIbLb0EESX_IbLb1EEEEDaST_SU_EUlST_E_NS1_11comp_targetILNS1_3genE3ELNS1_11target_archE908ELNS1_3gpuE7ELNS1_3repE0EEENS1_30default_config_static_selectorELNS0_4arch9wavefront6targetE0EEEvT1_.uses_flat_scratch, 0
	.set _ZN7rocprim17ROCPRIM_400000_NS6detail17trampoline_kernelINS0_14default_configENS1_27scan_by_key_config_selectorIssEEZZNS1_16scan_by_key_implILNS1_25lookback_scan_determinismE0ELb0ES3_N6thrust23THRUST_200600_302600_NS6detail15normal_iteratorINS9_10device_ptrIsEEEESE_SE_sNS9_4plusIsEE19head_flag_predicatesEE10hipError_tPvRmT2_T3_T4_T5_mT6_T7_P12ihipStream_tbENKUlT_T0_E_clISt17integral_constantIbLb0EESX_IbLb1EEEEDaST_SU_EUlST_E_NS1_11comp_targetILNS1_3genE3ELNS1_11target_archE908ELNS1_3gpuE7ELNS1_3repE0EEENS1_30default_config_static_selectorELNS0_4arch9wavefront6targetE0EEEvT1_.has_dyn_sized_stack, 0
	.set _ZN7rocprim17ROCPRIM_400000_NS6detail17trampoline_kernelINS0_14default_configENS1_27scan_by_key_config_selectorIssEEZZNS1_16scan_by_key_implILNS1_25lookback_scan_determinismE0ELb0ES3_N6thrust23THRUST_200600_302600_NS6detail15normal_iteratorINS9_10device_ptrIsEEEESE_SE_sNS9_4plusIsEE19head_flag_predicatesEE10hipError_tPvRmT2_T3_T4_T5_mT6_T7_P12ihipStream_tbENKUlT_T0_E_clISt17integral_constantIbLb0EESX_IbLb1EEEEDaST_SU_EUlST_E_NS1_11comp_targetILNS1_3genE3ELNS1_11target_archE908ELNS1_3gpuE7ELNS1_3repE0EEENS1_30default_config_static_selectorELNS0_4arch9wavefront6targetE0EEEvT1_.has_recursion, 0
	.set _ZN7rocprim17ROCPRIM_400000_NS6detail17trampoline_kernelINS0_14default_configENS1_27scan_by_key_config_selectorIssEEZZNS1_16scan_by_key_implILNS1_25lookback_scan_determinismE0ELb0ES3_N6thrust23THRUST_200600_302600_NS6detail15normal_iteratorINS9_10device_ptrIsEEEESE_SE_sNS9_4plusIsEE19head_flag_predicatesEE10hipError_tPvRmT2_T3_T4_T5_mT6_T7_P12ihipStream_tbENKUlT_T0_E_clISt17integral_constantIbLb0EESX_IbLb1EEEEDaST_SU_EUlST_E_NS1_11comp_targetILNS1_3genE3ELNS1_11target_archE908ELNS1_3gpuE7ELNS1_3repE0EEENS1_30default_config_static_selectorELNS0_4arch9wavefront6targetE0EEEvT1_.has_indirect_call, 0
	.section	.AMDGPU.csdata,"",@progbits
; Kernel info:
; codeLenInByte = 0
; TotalNumSgprs: 0
; NumVgprs: 0
; ScratchSize: 0
; MemoryBound: 0
; FloatMode: 240
; IeeeMode: 1
; LDSByteSize: 0 bytes/workgroup (compile time only)
; SGPRBlocks: 0
; VGPRBlocks: 0
; NumSGPRsForWavesPerEU: 1
; NumVGPRsForWavesPerEU: 1
; Occupancy: 16
; WaveLimiterHint : 0
; COMPUTE_PGM_RSRC2:SCRATCH_EN: 0
; COMPUTE_PGM_RSRC2:USER_SGPR: 6
; COMPUTE_PGM_RSRC2:TRAP_HANDLER: 0
; COMPUTE_PGM_RSRC2:TGID_X_EN: 1
; COMPUTE_PGM_RSRC2:TGID_Y_EN: 0
; COMPUTE_PGM_RSRC2:TGID_Z_EN: 0
; COMPUTE_PGM_RSRC2:TIDIG_COMP_CNT: 0
	.section	.text._ZN7rocprim17ROCPRIM_400000_NS6detail17trampoline_kernelINS0_14default_configENS1_27scan_by_key_config_selectorIssEEZZNS1_16scan_by_key_implILNS1_25lookback_scan_determinismE0ELb0ES3_N6thrust23THRUST_200600_302600_NS6detail15normal_iteratorINS9_10device_ptrIsEEEESE_SE_sNS9_4plusIsEE19head_flag_predicatesEE10hipError_tPvRmT2_T3_T4_T5_mT6_T7_P12ihipStream_tbENKUlT_T0_E_clISt17integral_constantIbLb0EESX_IbLb1EEEEDaST_SU_EUlST_E_NS1_11comp_targetILNS1_3genE2ELNS1_11target_archE906ELNS1_3gpuE6ELNS1_3repE0EEENS1_30default_config_static_selectorELNS0_4arch9wavefront6targetE0EEEvT1_,"axG",@progbits,_ZN7rocprim17ROCPRIM_400000_NS6detail17trampoline_kernelINS0_14default_configENS1_27scan_by_key_config_selectorIssEEZZNS1_16scan_by_key_implILNS1_25lookback_scan_determinismE0ELb0ES3_N6thrust23THRUST_200600_302600_NS6detail15normal_iteratorINS9_10device_ptrIsEEEESE_SE_sNS9_4plusIsEE19head_flag_predicatesEE10hipError_tPvRmT2_T3_T4_T5_mT6_T7_P12ihipStream_tbENKUlT_T0_E_clISt17integral_constantIbLb0EESX_IbLb1EEEEDaST_SU_EUlST_E_NS1_11comp_targetILNS1_3genE2ELNS1_11target_archE906ELNS1_3gpuE6ELNS1_3repE0EEENS1_30default_config_static_selectorELNS0_4arch9wavefront6targetE0EEEvT1_,comdat
	.protected	_ZN7rocprim17ROCPRIM_400000_NS6detail17trampoline_kernelINS0_14default_configENS1_27scan_by_key_config_selectorIssEEZZNS1_16scan_by_key_implILNS1_25lookback_scan_determinismE0ELb0ES3_N6thrust23THRUST_200600_302600_NS6detail15normal_iteratorINS9_10device_ptrIsEEEESE_SE_sNS9_4plusIsEE19head_flag_predicatesEE10hipError_tPvRmT2_T3_T4_T5_mT6_T7_P12ihipStream_tbENKUlT_T0_E_clISt17integral_constantIbLb0EESX_IbLb1EEEEDaST_SU_EUlST_E_NS1_11comp_targetILNS1_3genE2ELNS1_11target_archE906ELNS1_3gpuE6ELNS1_3repE0EEENS1_30default_config_static_selectorELNS0_4arch9wavefront6targetE0EEEvT1_ ; -- Begin function _ZN7rocprim17ROCPRIM_400000_NS6detail17trampoline_kernelINS0_14default_configENS1_27scan_by_key_config_selectorIssEEZZNS1_16scan_by_key_implILNS1_25lookback_scan_determinismE0ELb0ES3_N6thrust23THRUST_200600_302600_NS6detail15normal_iteratorINS9_10device_ptrIsEEEESE_SE_sNS9_4plusIsEE19head_flag_predicatesEE10hipError_tPvRmT2_T3_T4_T5_mT6_T7_P12ihipStream_tbENKUlT_T0_E_clISt17integral_constantIbLb0EESX_IbLb1EEEEDaST_SU_EUlST_E_NS1_11comp_targetILNS1_3genE2ELNS1_11target_archE906ELNS1_3gpuE6ELNS1_3repE0EEENS1_30default_config_static_selectorELNS0_4arch9wavefront6targetE0EEEvT1_
	.globl	_ZN7rocprim17ROCPRIM_400000_NS6detail17trampoline_kernelINS0_14default_configENS1_27scan_by_key_config_selectorIssEEZZNS1_16scan_by_key_implILNS1_25lookback_scan_determinismE0ELb0ES3_N6thrust23THRUST_200600_302600_NS6detail15normal_iteratorINS9_10device_ptrIsEEEESE_SE_sNS9_4plusIsEE19head_flag_predicatesEE10hipError_tPvRmT2_T3_T4_T5_mT6_T7_P12ihipStream_tbENKUlT_T0_E_clISt17integral_constantIbLb0EESX_IbLb1EEEEDaST_SU_EUlST_E_NS1_11comp_targetILNS1_3genE2ELNS1_11target_archE906ELNS1_3gpuE6ELNS1_3repE0EEENS1_30default_config_static_selectorELNS0_4arch9wavefront6targetE0EEEvT1_
	.p2align	8
	.type	_ZN7rocprim17ROCPRIM_400000_NS6detail17trampoline_kernelINS0_14default_configENS1_27scan_by_key_config_selectorIssEEZZNS1_16scan_by_key_implILNS1_25lookback_scan_determinismE0ELb0ES3_N6thrust23THRUST_200600_302600_NS6detail15normal_iteratorINS9_10device_ptrIsEEEESE_SE_sNS9_4plusIsEE19head_flag_predicatesEE10hipError_tPvRmT2_T3_T4_T5_mT6_T7_P12ihipStream_tbENKUlT_T0_E_clISt17integral_constantIbLb0EESX_IbLb1EEEEDaST_SU_EUlST_E_NS1_11comp_targetILNS1_3genE2ELNS1_11target_archE906ELNS1_3gpuE6ELNS1_3repE0EEENS1_30default_config_static_selectorELNS0_4arch9wavefront6targetE0EEEvT1_,@function
_ZN7rocprim17ROCPRIM_400000_NS6detail17trampoline_kernelINS0_14default_configENS1_27scan_by_key_config_selectorIssEEZZNS1_16scan_by_key_implILNS1_25lookback_scan_determinismE0ELb0ES3_N6thrust23THRUST_200600_302600_NS6detail15normal_iteratorINS9_10device_ptrIsEEEESE_SE_sNS9_4plusIsEE19head_flag_predicatesEE10hipError_tPvRmT2_T3_T4_T5_mT6_T7_P12ihipStream_tbENKUlT_T0_E_clISt17integral_constantIbLb0EESX_IbLb1EEEEDaST_SU_EUlST_E_NS1_11comp_targetILNS1_3genE2ELNS1_11target_archE906ELNS1_3gpuE6ELNS1_3repE0EEENS1_30default_config_static_selectorELNS0_4arch9wavefront6targetE0EEEvT1_: ; @_ZN7rocprim17ROCPRIM_400000_NS6detail17trampoline_kernelINS0_14default_configENS1_27scan_by_key_config_selectorIssEEZZNS1_16scan_by_key_implILNS1_25lookback_scan_determinismE0ELb0ES3_N6thrust23THRUST_200600_302600_NS6detail15normal_iteratorINS9_10device_ptrIsEEEESE_SE_sNS9_4plusIsEE19head_flag_predicatesEE10hipError_tPvRmT2_T3_T4_T5_mT6_T7_P12ihipStream_tbENKUlT_T0_E_clISt17integral_constantIbLb0EESX_IbLb1EEEEDaST_SU_EUlST_E_NS1_11comp_targetILNS1_3genE2ELNS1_11target_archE906ELNS1_3gpuE6ELNS1_3repE0EEENS1_30default_config_static_selectorELNS0_4arch9wavefront6targetE0EEEvT1_
; %bb.0:
	.section	.rodata,"a",@progbits
	.p2align	6, 0x0
	.amdhsa_kernel _ZN7rocprim17ROCPRIM_400000_NS6detail17trampoline_kernelINS0_14default_configENS1_27scan_by_key_config_selectorIssEEZZNS1_16scan_by_key_implILNS1_25lookback_scan_determinismE0ELb0ES3_N6thrust23THRUST_200600_302600_NS6detail15normal_iteratorINS9_10device_ptrIsEEEESE_SE_sNS9_4plusIsEE19head_flag_predicatesEE10hipError_tPvRmT2_T3_T4_T5_mT6_T7_P12ihipStream_tbENKUlT_T0_E_clISt17integral_constantIbLb0EESX_IbLb1EEEEDaST_SU_EUlST_E_NS1_11comp_targetILNS1_3genE2ELNS1_11target_archE906ELNS1_3gpuE6ELNS1_3repE0EEENS1_30default_config_static_selectorELNS0_4arch9wavefront6targetE0EEEvT1_
		.amdhsa_group_segment_fixed_size 0
		.amdhsa_private_segment_fixed_size 0
		.amdhsa_kernarg_size 112
		.amdhsa_user_sgpr_count 6
		.amdhsa_user_sgpr_private_segment_buffer 1
		.amdhsa_user_sgpr_dispatch_ptr 0
		.amdhsa_user_sgpr_queue_ptr 0
		.amdhsa_user_sgpr_kernarg_segment_ptr 1
		.amdhsa_user_sgpr_dispatch_id 0
		.amdhsa_user_sgpr_flat_scratch_init 0
		.amdhsa_user_sgpr_private_segment_size 0
		.amdhsa_wavefront_size32 1
		.amdhsa_uses_dynamic_stack 0
		.amdhsa_system_sgpr_private_segment_wavefront_offset 0
		.amdhsa_system_sgpr_workgroup_id_x 1
		.amdhsa_system_sgpr_workgroup_id_y 0
		.amdhsa_system_sgpr_workgroup_id_z 0
		.amdhsa_system_sgpr_workgroup_info 0
		.amdhsa_system_vgpr_workitem_id 0
		.amdhsa_next_free_vgpr 1
		.amdhsa_next_free_sgpr 1
		.amdhsa_reserve_vcc 0
		.amdhsa_reserve_flat_scratch 0
		.amdhsa_float_round_mode_32 0
		.amdhsa_float_round_mode_16_64 0
		.amdhsa_float_denorm_mode_32 3
		.amdhsa_float_denorm_mode_16_64 3
		.amdhsa_dx10_clamp 1
		.amdhsa_ieee_mode 1
		.amdhsa_fp16_overflow 0
		.amdhsa_workgroup_processor_mode 1
		.amdhsa_memory_ordered 1
		.amdhsa_forward_progress 1
		.amdhsa_shared_vgpr_count 0
		.amdhsa_exception_fp_ieee_invalid_op 0
		.amdhsa_exception_fp_denorm_src 0
		.amdhsa_exception_fp_ieee_div_zero 0
		.amdhsa_exception_fp_ieee_overflow 0
		.amdhsa_exception_fp_ieee_underflow 0
		.amdhsa_exception_fp_ieee_inexact 0
		.amdhsa_exception_int_div_zero 0
	.end_amdhsa_kernel
	.section	.text._ZN7rocprim17ROCPRIM_400000_NS6detail17trampoline_kernelINS0_14default_configENS1_27scan_by_key_config_selectorIssEEZZNS1_16scan_by_key_implILNS1_25lookback_scan_determinismE0ELb0ES3_N6thrust23THRUST_200600_302600_NS6detail15normal_iteratorINS9_10device_ptrIsEEEESE_SE_sNS9_4plusIsEE19head_flag_predicatesEE10hipError_tPvRmT2_T3_T4_T5_mT6_T7_P12ihipStream_tbENKUlT_T0_E_clISt17integral_constantIbLb0EESX_IbLb1EEEEDaST_SU_EUlST_E_NS1_11comp_targetILNS1_3genE2ELNS1_11target_archE906ELNS1_3gpuE6ELNS1_3repE0EEENS1_30default_config_static_selectorELNS0_4arch9wavefront6targetE0EEEvT1_,"axG",@progbits,_ZN7rocprim17ROCPRIM_400000_NS6detail17trampoline_kernelINS0_14default_configENS1_27scan_by_key_config_selectorIssEEZZNS1_16scan_by_key_implILNS1_25lookback_scan_determinismE0ELb0ES3_N6thrust23THRUST_200600_302600_NS6detail15normal_iteratorINS9_10device_ptrIsEEEESE_SE_sNS9_4plusIsEE19head_flag_predicatesEE10hipError_tPvRmT2_T3_T4_T5_mT6_T7_P12ihipStream_tbENKUlT_T0_E_clISt17integral_constantIbLb0EESX_IbLb1EEEEDaST_SU_EUlST_E_NS1_11comp_targetILNS1_3genE2ELNS1_11target_archE906ELNS1_3gpuE6ELNS1_3repE0EEENS1_30default_config_static_selectorELNS0_4arch9wavefront6targetE0EEEvT1_,comdat
.Lfunc_end853:
	.size	_ZN7rocprim17ROCPRIM_400000_NS6detail17trampoline_kernelINS0_14default_configENS1_27scan_by_key_config_selectorIssEEZZNS1_16scan_by_key_implILNS1_25lookback_scan_determinismE0ELb0ES3_N6thrust23THRUST_200600_302600_NS6detail15normal_iteratorINS9_10device_ptrIsEEEESE_SE_sNS9_4plusIsEE19head_flag_predicatesEE10hipError_tPvRmT2_T3_T4_T5_mT6_T7_P12ihipStream_tbENKUlT_T0_E_clISt17integral_constantIbLb0EESX_IbLb1EEEEDaST_SU_EUlST_E_NS1_11comp_targetILNS1_3genE2ELNS1_11target_archE906ELNS1_3gpuE6ELNS1_3repE0EEENS1_30default_config_static_selectorELNS0_4arch9wavefront6targetE0EEEvT1_, .Lfunc_end853-_ZN7rocprim17ROCPRIM_400000_NS6detail17trampoline_kernelINS0_14default_configENS1_27scan_by_key_config_selectorIssEEZZNS1_16scan_by_key_implILNS1_25lookback_scan_determinismE0ELb0ES3_N6thrust23THRUST_200600_302600_NS6detail15normal_iteratorINS9_10device_ptrIsEEEESE_SE_sNS9_4plusIsEE19head_flag_predicatesEE10hipError_tPvRmT2_T3_T4_T5_mT6_T7_P12ihipStream_tbENKUlT_T0_E_clISt17integral_constantIbLb0EESX_IbLb1EEEEDaST_SU_EUlST_E_NS1_11comp_targetILNS1_3genE2ELNS1_11target_archE906ELNS1_3gpuE6ELNS1_3repE0EEENS1_30default_config_static_selectorELNS0_4arch9wavefront6targetE0EEEvT1_
                                        ; -- End function
	.set _ZN7rocprim17ROCPRIM_400000_NS6detail17trampoline_kernelINS0_14default_configENS1_27scan_by_key_config_selectorIssEEZZNS1_16scan_by_key_implILNS1_25lookback_scan_determinismE0ELb0ES3_N6thrust23THRUST_200600_302600_NS6detail15normal_iteratorINS9_10device_ptrIsEEEESE_SE_sNS9_4plusIsEE19head_flag_predicatesEE10hipError_tPvRmT2_T3_T4_T5_mT6_T7_P12ihipStream_tbENKUlT_T0_E_clISt17integral_constantIbLb0EESX_IbLb1EEEEDaST_SU_EUlST_E_NS1_11comp_targetILNS1_3genE2ELNS1_11target_archE906ELNS1_3gpuE6ELNS1_3repE0EEENS1_30default_config_static_selectorELNS0_4arch9wavefront6targetE0EEEvT1_.num_vgpr, 0
	.set _ZN7rocprim17ROCPRIM_400000_NS6detail17trampoline_kernelINS0_14default_configENS1_27scan_by_key_config_selectorIssEEZZNS1_16scan_by_key_implILNS1_25lookback_scan_determinismE0ELb0ES3_N6thrust23THRUST_200600_302600_NS6detail15normal_iteratorINS9_10device_ptrIsEEEESE_SE_sNS9_4plusIsEE19head_flag_predicatesEE10hipError_tPvRmT2_T3_T4_T5_mT6_T7_P12ihipStream_tbENKUlT_T0_E_clISt17integral_constantIbLb0EESX_IbLb1EEEEDaST_SU_EUlST_E_NS1_11comp_targetILNS1_3genE2ELNS1_11target_archE906ELNS1_3gpuE6ELNS1_3repE0EEENS1_30default_config_static_selectorELNS0_4arch9wavefront6targetE0EEEvT1_.num_agpr, 0
	.set _ZN7rocprim17ROCPRIM_400000_NS6detail17trampoline_kernelINS0_14default_configENS1_27scan_by_key_config_selectorIssEEZZNS1_16scan_by_key_implILNS1_25lookback_scan_determinismE0ELb0ES3_N6thrust23THRUST_200600_302600_NS6detail15normal_iteratorINS9_10device_ptrIsEEEESE_SE_sNS9_4plusIsEE19head_flag_predicatesEE10hipError_tPvRmT2_T3_T4_T5_mT6_T7_P12ihipStream_tbENKUlT_T0_E_clISt17integral_constantIbLb0EESX_IbLb1EEEEDaST_SU_EUlST_E_NS1_11comp_targetILNS1_3genE2ELNS1_11target_archE906ELNS1_3gpuE6ELNS1_3repE0EEENS1_30default_config_static_selectorELNS0_4arch9wavefront6targetE0EEEvT1_.numbered_sgpr, 0
	.set _ZN7rocprim17ROCPRIM_400000_NS6detail17trampoline_kernelINS0_14default_configENS1_27scan_by_key_config_selectorIssEEZZNS1_16scan_by_key_implILNS1_25lookback_scan_determinismE0ELb0ES3_N6thrust23THRUST_200600_302600_NS6detail15normal_iteratorINS9_10device_ptrIsEEEESE_SE_sNS9_4plusIsEE19head_flag_predicatesEE10hipError_tPvRmT2_T3_T4_T5_mT6_T7_P12ihipStream_tbENKUlT_T0_E_clISt17integral_constantIbLb0EESX_IbLb1EEEEDaST_SU_EUlST_E_NS1_11comp_targetILNS1_3genE2ELNS1_11target_archE906ELNS1_3gpuE6ELNS1_3repE0EEENS1_30default_config_static_selectorELNS0_4arch9wavefront6targetE0EEEvT1_.num_named_barrier, 0
	.set _ZN7rocprim17ROCPRIM_400000_NS6detail17trampoline_kernelINS0_14default_configENS1_27scan_by_key_config_selectorIssEEZZNS1_16scan_by_key_implILNS1_25lookback_scan_determinismE0ELb0ES3_N6thrust23THRUST_200600_302600_NS6detail15normal_iteratorINS9_10device_ptrIsEEEESE_SE_sNS9_4plusIsEE19head_flag_predicatesEE10hipError_tPvRmT2_T3_T4_T5_mT6_T7_P12ihipStream_tbENKUlT_T0_E_clISt17integral_constantIbLb0EESX_IbLb1EEEEDaST_SU_EUlST_E_NS1_11comp_targetILNS1_3genE2ELNS1_11target_archE906ELNS1_3gpuE6ELNS1_3repE0EEENS1_30default_config_static_selectorELNS0_4arch9wavefront6targetE0EEEvT1_.private_seg_size, 0
	.set _ZN7rocprim17ROCPRIM_400000_NS6detail17trampoline_kernelINS0_14default_configENS1_27scan_by_key_config_selectorIssEEZZNS1_16scan_by_key_implILNS1_25lookback_scan_determinismE0ELb0ES3_N6thrust23THRUST_200600_302600_NS6detail15normal_iteratorINS9_10device_ptrIsEEEESE_SE_sNS9_4plusIsEE19head_flag_predicatesEE10hipError_tPvRmT2_T3_T4_T5_mT6_T7_P12ihipStream_tbENKUlT_T0_E_clISt17integral_constantIbLb0EESX_IbLb1EEEEDaST_SU_EUlST_E_NS1_11comp_targetILNS1_3genE2ELNS1_11target_archE906ELNS1_3gpuE6ELNS1_3repE0EEENS1_30default_config_static_selectorELNS0_4arch9wavefront6targetE0EEEvT1_.uses_vcc, 0
	.set _ZN7rocprim17ROCPRIM_400000_NS6detail17trampoline_kernelINS0_14default_configENS1_27scan_by_key_config_selectorIssEEZZNS1_16scan_by_key_implILNS1_25lookback_scan_determinismE0ELb0ES3_N6thrust23THRUST_200600_302600_NS6detail15normal_iteratorINS9_10device_ptrIsEEEESE_SE_sNS9_4plusIsEE19head_flag_predicatesEE10hipError_tPvRmT2_T3_T4_T5_mT6_T7_P12ihipStream_tbENKUlT_T0_E_clISt17integral_constantIbLb0EESX_IbLb1EEEEDaST_SU_EUlST_E_NS1_11comp_targetILNS1_3genE2ELNS1_11target_archE906ELNS1_3gpuE6ELNS1_3repE0EEENS1_30default_config_static_selectorELNS0_4arch9wavefront6targetE0EEEvT1_.uses_flat_scratch, 0
	.set _ZN7rocprim17ROCPRIM_400000_NS6detail17trampoline_kernelINS0_14default_configENS1_27scan_by_key_config_selectorIssEEZZNS1_16scan_by_key_implILNS1_25lookback_scan_determinismE0ELb0ES3_N6thrust23THRUST_200600_302600_NS6detail15normal_iteratorINS9_10device_ptrIsEEEESE_SE_sNS9_4plusIsEE19head_flag_predicatesEE10hipError_tPvRmT2_T3_T4_T5_mT6_T7_P12ihipStream_tbENKUlT_T0_E_clISt17integral_constantIbLb0EESX_IbLb1EEEEDaST_SU_EUlST_E_NS1_11comp_targetILNS1_3genE2ELNS1_11target_archE906ELNS1_3gpuE6ELNS1_3repE0EEENS1_30default_config_static_selectorELNS0_4arch9wavefront6targetE0EEEvT1_.has_dyn_sized_stack, 0
	.set _ZN7rocprim17ROCPRIM_400000_NS6detail17trampoline_kernelINS0_14default_configENS1_27scan_by_key_config_selectorIssEEZZNS1_16scan_by_key_implILNS1_25lookback_scan_determinismE0ELb0ES3_N6thrust23THRUST_200600_302600_NS6detail15normal_iteratorINS9_10device_ptrIsEEEESE_SE_sNS9_4plusIsEE19head_flag_predicatesEE10hipError_tPvRmT2_T3_T4_T5_mT6_T7_P12ihipStream_tbENKUlT_T0_E_clISt17integral_constantIbLb0EESX_IbLb1EEEEDaST_SU_EUlST_E_NS1_11comp_targetILNS1_3genE2ELNS1_11target_archE906ELNS1_3gpuE6ELNS1_3repE0EEENS1_30default_config_static_selectorELNS0_4arch9wavefront6targetE0EEEvT1_.has_recursion, 0
	.set _ZN7rocprim17ROCPRIM_400000_NS6detail17trampoline_kernelINS0_14default_configENS1_27scan_by_key_config_selectorIssEEZZNS1_16scan_by_key_implILNS1_25lookback_scan_determinismE0ELb0ES3_N6thrust23THRUST_200600_302600_NS6detail15normal_iteratorINS9_10device_ptrIsEEEESE_SE_sNS9_4plusIsEE19head_flag_predicatesEE10hipError_tPvRmT2_T3_T4_T5_mT6_T7_P12ihipStream_tbENKUlT_T0_E_clISt17integral_constantIbLb0EESX_IbLb1EEEEDaST_SU_EUlST_E_NS1_11comp_targetILNS1_3genE2ELNS1_11target_archE906ELNS1_3gpuE6ELNS1_3repE0EEENS1_30default_config_static_selectorELNS0_4arch9wavefront6targetE0EEEvT1_.has_indirect_call, 0
	.section	.AMDGPU.csdata,"",@progbits
; Kernel info:
; codeLenInByte = 0
; TotalNumSgprs: 0
; NumVgprs: 0
; ScratchSize: 0
; MemoryBound: 0
; FloatMode: 240
; IeeeMode: 1
; LDSByteSize: 0 bytes/workgroup (compile time only)
; SGPRBlocks: 0
; VGPRBlocks: 0
; NumSGPRsForWavesPerEU: 1
; NumVGPRsForWavesPerEU: 1
; Occupancy: 16
; WaveLimiterHint : 0
; COMPUTE_PGM_RSRC2:SCRATCH_EN: 0
; COMPUTE_PGM_RSRC2:USER_SGPR: 6
; COMPUTE_PGM_RSRC2:TRAP_HANDLER: 0
; COMPUTE_PGM_RSRC2:TGID_X_EN: 1
; COMPUTE_PGM_RSRC2:TGID_Y_EN: 0
; COMPUTE_PGM_RSRC2:TGID_Z_EN: 0
; COMPUTE_PGM_RSRC2:TIDIG_COMP_CNT: 0
	.section	.text._ZN7rocprim17ROCPRIM_400000_NS6detail17trampoline_kernelINS0_14default_configENS1_27scan_by_key_config_selectorIssEEZZNS1_16scan_by_key_implILNS1_25lookback_scan_determinismE0ELb0ES3_N6thrust23THRUST_200600_302600_NS6detail15normal_iteratorINS9_10device_ptrIsEEEESE_SE_sNS9_4plusIsEE19head_flag_predicatesEE10hipError_tPvRmT2_T3_T4_T5_mT6_T7_P12ihipStream_tbENKUlT_T0_E_clISt17integral_constantIbLb0EESX_IbLb1EEEEDaST_SU_EUlST_E_NS1_11comp_targetILNS1_3genE10ELNS1_11target_archE1200ELNS1_3gpuE4ELNS1_3repE0EEENS1_30default_config_static_selectorELNS0_4arch9wavefront6targetE0EEEvT1_,"axG",@progbits,_ZN7rocprim17ROCPRIM_400000_NS6detail17trampoline_kernelINS0_14default_configENS1_27scan_by_key_config_selectorIssEEZZNS1_16scan_by_key_implILNS1_25lookback_scan_determinismE0ELb0ES3_N6thrust23THRUST_200600_302600_NS6detail15normal_iteratorINS9_10device_ptrIsEEEESE_SE_sNS9_4plusIsEE19head_flag_predicatesEE10hipError_tPvRmT2_T3_T4_T5_mT6_T7_P12ihipStream_tbENKUlT_T0_E_clISt17integral_constantIbLb0EESX_IbLb1EEEEDaST_SU_EUlST_E_NS1_11comp_targetILNS1_3genE10ELNS1_11target_archE1200ELNS1_3gpuE4ELNS1_3repE0EEENS1_30default_config_static_selectorELNS0_4arch9wavefront6targetE0EEEvT1_,comdat
	.protected	_ZN7rocprim17ROCPRIM_400000_NS6detail17trampoline_kernelINS0_14default_configENS1_27scan_by_key_config_selectorIssEEZZNS1_16scan_by_key_implILNS1_25lookback_scan_determinismE0ELb0ES3_N6thrust23THRUST_200600_302600_NS6detail15normal_iteratorINS9_10device_ptrIsEEEESE_SE_sNS9_4plusIsEE19head_flag_predicatesEE10hipError_tPvRmT2_T3_T4_T5_mT6_T7_P12ihipStream_tbENKUlT_T0_E_clISt17integral_constantIbLb0EESX_IbLb1EEEEDaST_SU_EUlST_E_NS1_11comp_targetILNS1_3genE10ELNS1_11target_archE1200ELNS1_3gpuE4ELNS1_3repE0EEENS1_30default_config_static_selectorELNS0_4arch9wavefront6targetE0EEEvT1_ ; -- Begin function _ZN7rocprim17ROCPRIM_400000_NS6detail17trampoline_kernelINS0_14default_configENS1_27scan_by_key_config_selectorIssEEZZNS1_16scan_by_key_implILNS1_25lookback_scan_determinismE0ELb0ES3_N6thrust23THRUST_200600_302600_NS6detail15normal_iteratorINS9_10device_ptrIsEEEESE_SE_sNS9_4plusIsEE19head_flag_predicatesEE10hipError_tPvRmT2_T3_T4_T5_mT6_T7_P12ihipStream_tbENKUlT_T0_E_clISt17integral_constantIbLb0EESX_IbLb1EEEEDaST_SU_EUlST_E_NS1_11comp_targetILNS1_3genE10ELNS1_11target_archE1200ELNS1_3gpuE4ELNS1_3repE0EEENS1_30default_config_static_selectorELNS0_4arch9wavefront6targetE0EEEvT1_
	.globl	_ZN7rocprim17ROCPRIM_400000_NS6detail17trampoline_kernelINS0_14default_configENS1_27scan_by_key_config_selectorIssEEZZNS1_16scan_by_key_implILNS1_25lookback_scan_determinismE0ELb0ES3_N6thrust23THRUST_200600_302600_NS6detail15normal_iteratorINS9_10device_ptrIsEEEESE_SE_sNS9_4plusIsEE19head_flag_predicatesEE10hipError_tPvRmT2_T3_T4_T5_mT6_T7_P12ihipStream_tbENKUlT_T0_E_clISt17integral_constantIbLb0EESX_IbLb1EEEEDaST_SU_EUlST_E_NS1_11comp_targetILNS1_3genE10ELNS1_11target_archE1200ELNS1_3gpuE4ELNS1_3repE0EEENS1_30default_config_static_selectorELNS0_4arch9wavefront6targetE0EEEvT1_
	.p2align	8
	.type	_ZN7rocprim17ROCPRIM_400000_NS6detail17trampoline_kernelINS0_14default_configENS1_27scan_by_key_config_selectorIssEEZZNS1_16scan_by_key_implILNS1_25lookback_scan_determinismE0ELb0ES3_N6thrust23THRUST_200600_302600_NS6detail15normal_iteratorINS9_10device_ptrIsEEEESE_SE_sNS9_4plusIsEE19head_flag_predicatesEE10hipError_tPvRmT2_T3_T4_T5_mT6_T7_P12ihipStream_tbENKUlT_T0_E_clISt17integral_constantIbLb0EESX_IbLb1EEEEDaST_SU_EUlST_E_NS1_11comp_targetILNS1_3genE10ELNS1_11target_archE1200ELNS1_3gpuE4ELNS1_3repE0EEENS1_30default_config_static_selectorELNS0_4arch9wavefront6targetE0EEEvT1_,@function
_ZN7rocprim17ROCPRIM_400000_NS6detail17trampoline_kernelINS0_14default_configENS1_27scan_by_key_config_selectorIssEEZZNS1_16scan_by_key_implILNS1_25lookback_scan_determinismE0ELb0ES3_N6thrust23THRUST_200600_302600_NS6detail15normal_iteratorINS9_10device_ptrIsEEEESE_SE_sNS9_4plusIsEE19head_flag_predicatesEE10hipError_tPvRmT2_T3_T4_T5_mT6_T7_P12ihipStream_tbENKUlT_T0_E_clISt17integral_constantIbLb0EESX_IbLb1EEEEDaST_SU_EUlST_E_NS1_11comp_targetILNS1_3genE10ELNS1_11target_archE1200ELNS1_3gpuE4ELNS1_3repE0EEENS1_30default_config_static_selectorELNS0_4arch9wavefront6targetE0EEEvT1_: ; @_ZN7rocprim17ROCPRIM_400000_NS6detail17trampoline_kernelINS0_14default_configENS1_27scan_by_key_config_selectorIssEEZZNS1_16scan_by_key_implILNS1_25lookback_scan_determinismE0ELb0ES3_N6thrust23THRUST_200600_302600_NS6detail15normal_iteratorINS9_10device_ptrIsEEEESE_SE_sNS9_4plusIsEE19head_flag_predicatesEE10hipError_tPvRmT2_T3_T4_T5_mT6_T7_P12ihipStream_tbENKUlT_T0_E_clISt17integral_constantIbLb0EESX_IbLb1EEEEDaST_SU_EUlST_E_NS1_11comp_targetILNS1_3genE10ELNS1_11target_archE1200ELNS1_3gpuE4ELNS1_3repE0EEENS1_30default_config_static_selectorELNS0_4arch9wavefront6targetE0EEEvT1_
; %bb.0:
	.section	.rodata,"a",@progbits
	.p2align	6, 0x0
	.amdhsa_kernel _ZN7rocprim17ROCPRIM_400000_NS6detail17trampoline_kernelINS0_14default_configENS1_27scan_by_key_config_selectorIssEEZZNS1_16scan_by_key_implILNS1_25lookback_scan_determinismE0ELb0ES3_N6thrust23THRUST_200600_302600_NS6detail15normal_iteratorINS9_10device_ptrIsEEEESE_SE_sNS9_4plusIsEE19head_flag_predicatesEE10hipError_tPvRmT2_T3_T4_T5_mT6_T7_P12ihipStream_tbENKUlT_T0_E_clISt17integral_constantIbLb0EESX_IbLb1EEEEDaST_SU_EUlST_E_NS1_11comp_targetILNS1_3genE10ELNS1_11target_archE1200ELNS1_3gpuE4ELNS1_3repE0EEENS1_30default_config_static_selectorELNS0_4arch9wavefront6targetE0EEEvT1_
		.amdhsa_group_segment_fixed_size 0
		.amdhsa_private_segment_fixed_size 0
		.amdhsa_kernarg_size 112
		.amdhsa_user_sgpr_count 6
		.amdhsa_user_sgpr_private_segment_buffer 1
		.amdhsa_user_sgpr_dispatch_ptr 0
		.amdhsa_user_sgpr_queue_ptr 0
		.amdhsa_user_sgpr_kernarg_segment_ptr 1
		.amdhsa_user_sgpr_dispatch_id 0
		.amdhsa_user_sgpr_flat_scratch_init 0
		.amdhsa_user_sgpr_private_segment_size 0
		.amdhsa_wavefront_size32 1
		.amdhsa_uses_dynamic_stack 0
		.amdhsa_system_sgpr_private_segment_wavefront_offset 0
		.amdhsa_system_sgpr_workgroup_id_x 1
		.amdhsa_system_sgpr_workgroup_id_y 0
		.amdhsa_system_sgpr_workgroup_id_z 0
		.amdhsa_system_sgpr_workgroup_info 0
		.amdhsa_system_vgpr_workitem_id 0
		.amdhsa_next_free_vgpr 1
		.amdhsa_next_free_sgpr 1
		.amdhsa_reserve_vcc 0
		.amdhsa_reserve_flat_scratch 0
		.amdhsa_float_round_mode_32 0
		.amdhsa_float_round_mode_16_64 0
		.amdhsa_float_denorm_mode_32 3
		.amdhsa_float_denorm_mode_16_64 3
		.amdhsa_dx10_clamp 1
		.amdhsa_ieee_mode 1
		.amdhsa_fp16_overflow 0
		.amdhsa_workgroup_processor_mode 1
		.amdhsa_memory_ordered 1
		.amdhsa_forward_progress 1
		.amdhsa_shared_vgpr_count 0
		.amdhsa_exception_fp_ieee_invalid_op 0
		.amdhsa_exception_fp_denorm_src 0
		.amdhsa_exception_fp_ieee_div_zero 0
		.amdhsa_exception_fp_ieee_overflow 0
		.amdhsa_exception_fp_ieee_underflow 0
		.amdhsa_exception_fp_ieee_inexact 0
		.amdhsa_exception_int_div_zero 0
	.end_amdhsa_kernel
	.section	.text._ZN7rocprim17ROCPRIM_400000_NS6detail17trampoline_kernelINS0_14default_configENS1_27scan_by_key_config_selectorIssEEZZNS1_16scan_by_key_implILNS1_25lookback_scan_determinismE0ELb0ES3_N6thrust23THRUST_200600_302600_NS6detail15normal_iteratorINS9_10device_ptrIsEEEESE_SE_sNS9_4plusIsEE19head_flag_predicatesEE10hipError_tPvRmT2_T3_T4_T5_mT6_T7_P12ihipStream_tbENKUlT_T0_E_clISt17integral_constantIbLb0EESX_IbLb1EEEEDaST_SU_EUlST_E_NS1_11comp_targetILNS1_3genE10ELNS1_11target_archE1200ELNS1_3gpuE4ELNS1_3repE0EEENS1_30default_config_static_selectorELNS0_4arch9wavefront6targetE0EEEvT1_,"axG",@progbits,_ZN7rocprim17ROCPRIM_400000_NS6detail17trampoline_kernelINS0_14default_configENS1_27scan_by_key_config_selectorIssEEZZNS1_16scan_by_key_implILNS1_25lookback_scan_determinismE0ELb0ES3_N6thrust23THRUST_200600_302600_NS6detail15normal_iteratorINS9_10device_ptrIsEEEESE_SE_sNS9_4plusIsEE19head_flag_predicatesEE10hipError_tPvRmT2_T3_T4_T5_mT6_T7_P12ihipStream_tbENKUlT_T0_E_clISt17integral_constantIbLb0EESX_IbLb1EEEEDaST_SU_EUlST_E_NS1_11comp_targetILNS1_3genE10ELNS1_11target_archE1200ELNS1_3gpuE4ELNS1_3repE0EEENS1_30default_config_static_selectorELNS0_4arch9wavefront6targetE0EEEvT1_,comdat
.Lfunc_end854:
	.size	_ZN7rocprim17ROCPRIM_400000_NS6detail17trampoline_kernelINS0_14default_configENS1_27scan_by_key_config_selectorIssEEZZNS1_16scan_by_key_implILNS1_25lookback_scan_determinismE0ELb0ES3_N6thrust23THRUST_200600_302600_NS6detail15normal_iteratorINS9_10device_ptrIsEEEESE_SE_sNS9_4plusIsEE19head_flag_predicatesEE10hipError_tPvRmT2_T3_T4_T5_mT6_T7_P12ihipStream_tbENKUlT_T0_E_clISt17integral_constantIbLb0EESX_IbLb1EEEEDaST_SU_EUlST_E_NS1_11comp_targetILNS1_3genE10ELNS1_11target_archE1200ELNS1_3gpuE4ELNS1_3repE0EEENS1_30default_config_static_selectorELNS0_4arch9wavefront6targetE0EEEvT1_, .Lfunc_end854-_ZN7rocprim17ROCPRIM_400000_NS6detail17trampoline_kernelINS0_14default_configENS1_27scan_by_key_config_selectorIssEEZZNS1_16scan_by_key_implILNS1_25lookback_scan_determinismE0ELb0ES3_N6thrust23THRUST_200600_302600_NS6detail15normal_iteratorINS9_10device_ptrIsEEEESE_SE_sNS9_4plusIsEE19head_flag_predicatesEE10hipError_tPvRmT2_T3_T4_T5_mT6_T7_P12ihipStream_tbENKUlT_T0_E_clISt17integral_constantIbLb0EESX_IbLb1EEEEDaST_SU_EUlST_E_NS1_11comp_targetILNS1_3genE10ELNS1_11target_archE1200ELNS1_3gpuE4ELNS1_3repE0EEENS1_30default_config_static_selectorELNS0_4arch9wavefront6targetE0EEEvT1_
                                        ; -- End function
	.set _ZN7rocprim17ROCPRIM_400000_NS6detail17trampoline_kernelINS0_14default_configENS1_27scan_by_key_config_selectorIssEEZZNS1_16scan_by_key_implILNS1_25lookback_scan_determinismE0ELb0ES3_N6thrust23THRUST_200600_302600_NS6detail15normal_iteratorINS9_10device_ptrIsEEEESE_SE_sNS9_4plusIsEE19head_flag_predicatesEE10hipError_tPvRmT2_T3_T4_T5_mT6_T7_P12ihipStream_tbENKUlT_T0_E_clISt17integral_constantIbLb0EESX_IbLb1EEEEDaST_SU_EUlST_E_NS1_11comp_targetILNS1_3genE10ELNS1_11target_archE1200ELNS1_3gpuE4ELNS1_3repE0EEENS1_30default_config_static_selectorELNS0_4arch9wavefront6targetE0EEEvT1_.num_vgpr, 0
	.set _ZN7rocprim17ROCPRIM_400000_NS6detail17trampoline_kernelINS0_14default_configENS1_27scan_by_key_config_selectorIssEEZZNS1_16scan_by_key_implILNS1_25lookback_scan_determinismE0ELb0ES3_N6thrust23THRUST_200600_302600_NS6detail15normal_iteratorINS9_10device_ptrIsEEEESE_SE_sNS9_4plusIsEE19head_flag_predicatesEE10hipError_tPvRmT2_T3_T4_T5_mT6_T7_P12ihipStream_tbENKUlT_T0_E_clISt17integral_constantIbLb0EESX_IbLb1EEEEDaST_SU_EUlST_E_NS1_11comp_targetILNS1_3genE10ELNS1_11target_archE1200ELNS1_3gpuE4ELNS1_3repE0EEENS1_30default_config_static_selectorELNS0_4arch9wavefront6targetE0EEEvT1_.num_agpr, 0
	.set _ZN7rocprim17ROCPRIM_400000_NS6detail17trampoline_kernelINS0_14default_configENS1_27scan_by_key_config_selectorIssEEZZNS1_16scan_by_key_implILNS1_25lookback_scan_determinismE0ELb0ES3_N6thrust23THRUST_200600_302600_NS6detail15normal_iteratorINS9_10device_ptrIsEEEESE_SE_sNS9_4plusIsEE19head_flag_predicatesEE10hipError_tPvRmT2_T3_T4_T5_mT6_T7_P12ihipStream_tbENKUlT_T0_E_clISt17integral_constantIbLb0EESX_IbLb1EEEEDaST_SU_EUlST_E_NS1_11comp_targetILNS1_3genE10ELNS1_11target_archE1200ELNS1_3gpuE4ELNS1_3repE0EEENS1_30default_config_static_selectorELNS0_4arch9wavefront6targetE0EEEvT1_.numbered_sgpr, 0
	.set _ZN7rocprim17ROCPRIM_400000_NS6detail17trampoline_kernelINS0_14default_configENS1_27scan_by_key_config_selectorIssEEZZNS1_16scan_by_key_implILNS1_25lookback_scan_determinismE0ELb0ES3_N6thrust23THRUST_200600_302600_NS6detail15normal_iteratorINS9_10device_ptrIsEEEESE_SE_sNS9_4plusIsEE19head_flag_predicatesEE10hipError_tPvRmT2_T3_T4_T5_mT6_T7_P12ihipStream_tbENKUlT_T0_E_clISt17integral_constantIbLb0EESX_IbLb1EEEEDaST_SU_EUlST_E_NS1_11comp_targetILNS1_3genE10ELNS1_11target_archE1200ELNS1_3gpuE4ELNS1_3repE0EEENS1_30default_config_static_selectorELNS0_4arch9wavefront6targetE0EEEvT1_.num_named_barrier, 0
	.set _ZN7rocprim17ROCPRIM_400000_NS6detail17trampoline_kernelINS0_14default_configENS1_27scan_by_key_config_selectorIssEEZZNS1_16scan_by_key_implILNS1_25lookback_scan_determinismE0ELb0ES3_N6thrust23THRUST_200600_302600_NS6detail15normal_iteratorINS9_10device_ptrIsEEEESE_SE_sNS9_4plusIsEE19head_flag_predicatesEE10hipError_tPvRmT2_T3_T4_T5_mT6_T7_P12ihipStream_tbENKUlT_T0_E_clISt17integral_constantIbLb0EESX_IbLb1EEEEDaST_SU_EUlST_E_NS1_11comp_targetILNS1_3genE10ELNS1_11target_archE1200ELNS1_3gpuE4ELNS1_3repE0EEENS1_30default_config_static_selectorELNS0_4arch9wavefront6targetE0EEEvT1_.private_seg_size, 0
	.set _ZN7rocprim17ROCPRIM_400000_NS6detail17trampoline_kernelINS0_14default_configENS1_27scan_by_key_config_selectorIssEEZZNS1_16scan_by_key_implILNS1_25lookback_scan_determinismE0ELb0ES3_N6thrust23THRUST_200600_302600_NS6detail15normal_iteratorINS9_10device_ptrIsEEEESE_SE_sNS9_4plusIsEE19head_flag_predicatesEE10hipError_tPvRmT2_T3_T4_T5_mT6_T7_P12ihipStream_tbENKUlT_T0_E_clISt17integral_constantIbLb0EESX_IbLb1EEEEDaST_SU_EUlST_E_NS1_11comp_targetILNS1_3genE10ELNS1_11target_archE1200ELNS1_3gpuE4ELNS1_3repE0EEENS1_30default_config_static_selectorELNS0_4arch9wavefront6targetE0EEEvT1_.uses_vcc, 0
	.set _ZN7rocprim17ROCPRIM_400000_NS6detail17trampoline_kernelINS0_14default_configENS1_27scan_by_key_config_selectorIssEEZZNS1_16scan_by_key_implILNS1_25lookback_scan_determinismE0ELb0ES3_N6thrust23THRUST_200600_302600_NS6detail15normal_iteratorINS9_10device_ptrIsEEEESE_SE_sNS9_4plusIsEE19head_flag_predicatesEE10hipError_tPvRmT2_T3_T4_T5_mT6_T7_P12ihipStream_tbENKUlT_T0_E_clISt17integral_constantIbLb0EESX_IbLb1EEEEDaST_SU_EUlST_E_NS1_11comp_targetILNS1_3genE10ELNS1_11target_archE1200ELNS1_3gpuE4ELNS1_3repE0EEENS1_30default_config_static_selectorELNS0_4arch9wavefront6targetE0EEEvT1_.uses_flat_scratch, 0
	.set _ZN7rocprim17ROCPRIM_400000_NS6detail17trampoline_kernelINS0_14default_configENS1_27scan_by_key_config_selectorIssEEZZNS1_16scan_by_key_implILNS1_25lookback_scan_determinismE0ELb0ES3_N6thrust23THRUST_200600_302600_NS6detail15normal_iteratorINS9_10device_ptrIsEEEESE_SE_sNS9_4plusIsEE19head_flag_predicatesEE10hipError_tPvRmT2_T3_T4_T5_mT6_T7_P12ihipStream_tbENKUlT_T0_E_clISt17integral_constantIbLb0EESX_IbLb1EEEEDaST_SU_EUlST_E_NS1_11comp_targetILNS1_3genE10ELNS1_11target_archE1200ELNS1_3gpuE4ELNS1_3repE0EEENS1_30default_config_static_selectorELNS0_4arch9wavefront6targetE0EEEvT1_.has_dyn_sized_stack, 0
	.set _ZN7rocprim17ROCPRIM_400000_NS6detail17trampoline_kernelINS0_14default_configENS1_27scan_by_key_config_selectorIssEEZZNS1_16scan_by_key_implILNS1_25lookback_scan_determinismE0ELb0ES3_N6thrust23THRUST_200600_302600_NS6detail15normal_iteratorINS9_10device_ptrIsEEEESE_SE_sNS9_4plusIsEE19head_flag_predicatesEE10hipError_tPvRmT2_T3_T4_T5_mT6_T7_P12ihipStream_tbENKUlT_T0_E_clISt17integral_constantIbLb0EESX_IbLb1EEEEDaST_SU_EUlST_E_NS1_11comp_targetILNS1_3genE10ELNS1_11target_archE1200ELNS1_3gpuE4ELNS1_3repE0EEENS1_30default_config_static_selectorELNS0_4arch9wavefront6targetE0EEEvT1_.has_recursion, 0
	.set _ZN7rocprim17ROCPRIM_400000_NS6detail17trampoline_kernelINS0_14default_configENS1_27scan_by_key_config_selectorIssEEZZNS1_16scan_by_key_implILNS1_25lookback_scan_determinismE0ELb0ES3_N6thrust23THRUST_200600_302600_NS6detail15normal_iteratorINS9_10device_ptrIsEEEESE_SE_sNS9_4plusIsEE19head_flag_predicatesEE10hipError_tPvRmT2_T3_T4_T5_mT6_T7_P12ihipStream_tbENKUlT_T0_E_clISt17integral_constantIbLb0EESX_IbLb1EEEEDaST_SU_EUlST_E_NS1_11comp_targetILNS1_3genE10ELNS1_11target_archE1200ELNS1_3gpuE4ELNS1_3repE0EEENS1_30default_config_static_selectorELNS0_4arch9wavefront6targetE0EEEvT1_.has_indirect_call, 0
	.section	.AMDGPU.csdata,"",@progbits
; Kernel info:
; codeLenInByte = 0
; TotalNumSgprs: 0
; NumVgprs: 0
; ScratchSize: 0
; MemoryBound: 0
; FloatMode: 240
; IeeeMode: 1
; LDSByteSize: 0 bytes/workgroup (compile time only)
; SGPRBlocks: 0
; VGPRBlocks: 0
; NumSGPRsForWavesPerEU: 1
; NumVGPRsForWavesPerEU: 1
; Occupancy: 16
; WaveLimiterHint : 0
; COMPUTE_PGM_RSRC2:SCRATCH_EN: 0
; COMPUTE_PGM_RSRC2:USER_SGPR: 6
; COMPUTE_PGM_RSRC2:TRAP_HANDLER: 0
; COMPUTE_PGM_RSRC2:TGID_X_EN: 1
; COMPUTE_PGM_RSRC2:TGID_Y_EN: 0
; COMPUTE_PGM_RSRC2:TGID_Z_EN: 0
; COMPUTE_PGM_RSRC2:TIDIG_COMP_CNT: 0
	.section	.text._ZN7rocprim17ROCPRIM_400000_NS6detail17trampoline_kernelINS0_14default_configENS1_27scan_by_key_config_selectorIssEEZZNS1_16scan_by_key_implILNS1_25lookback_scan_determinismE0ELb0ES3_N6thrust23THRUST_200600_302600_NS6detail15normal_iteratorINS9_10device_ptrIsEEEESE_SE_sNS9_4plusIsEE19head_flag_predicatesEE10hipError_tPvRmT2_T3_T4_T5_mT6_T7_P12ihipStream_tbENKUlT_T0_E_clISt17integral_constantIbLb0EESX_IbLb1EEEEDaST_SU_EUlST_E_NS1_11comp_targetILNS1_3genE9ELNS1_11target_archE1100ELNS1_3gpuE3ELNS1_3repE0EEENS1_30default_config_static_selectorELNS0_4arch9wavefront6targetE0EEEvT1_,"axG",@progbits,_ZN7rocprim17ROCPRIM_400000_NS6detail17trampoline_kernelINS0_14default_configENS1_27scan_by_key_config_selectorIssEEZZNS1_16scan_by_key_implILNS1_25lookback_scan_determinismE0ELb0ES3_N6thrust23THRUST_200600_302600_NS6detail15normal_iteratorINS9_10device_ptrIsEEEESE_SE_sNS9_4plusIsEE19head_flag_predicatesEE10hipError_tPvRmT2_T3_T4_T5_mT6_T7_P12ihipStream_tbENKUlT_T0_E_clISt17integral_constantIbLb0EESX_IbLb1EEEEDaST_SU_EUlST_E_NS1_11comp_targetILNS1_3genE9ELNS1_11target_archE1100ELNS1_3gpuE3ELNS1_3repE0EEENS1_30default_config_static_selectorELNS0_4arch9wavefront6targetE0EEEvT1_,comdat
	.protected	_ZN7rocprim17ROCPRIM_400000_NS6detail17trampoline_kernelINS0_14default_configENS1_27scan_by_key_config_selectorIssEEZZNS1_16scan_by_key_implILNS1_25lookback_scan_determinismE0ELb0ES3_N6thrust23THRUST_200600_302600_NS6detail15normal_iteratorINS9_10device_ptrIsEEEESE_SE_sNS9_4plusIsEE19head_flag_predicatesEE10hipError_tPvRmT2_T3_T4_T5_mT6_T7_P12ihipStream_tbENKUlT_T0_E_clISt17integral_constantIbLb0EESX_IbLb1EEEEDaST_SU_EUlST_E_NS1_11comp_targetILNS1_3genE9ELNS1_11target_archE1100ELNS1_3gpuE3ELNS1_3repE0EEENS1_30default_config_static_selectorELNS0_4arch9wavefront6targetE0EEEvT1_ ; -- Begin function _ZN7rocprim17ROCPRIM_400000_NS6detail17trampoline_kernelINS0_14default_configENS1_27scan_by_key_config_selectorIssEEZZNS1_16scan_by_key_implILNS1_25lookback_scan_determinismE0ELb0ES3_N6thrust23THRUST_200600_302600_NS6detail15normal_iteratorINS9_10device_ptrIsEEEESE_SE_sNS9_4plusIsEE19head_flag_predicatesEE10hipError_tPvRmT2_T3_T4_T5_mT6_T7_P12ihipStream_tbENKUlT_T0_E_clISt17integral_constantIbLb0EESX_IbLb1EEEEDaST_SU_EUlST_E_NS1_11comp_targetILNS1_3genE9ELNS1_11target_archE1100ELNS1_3gpuE3ELNS1_3repE0EEENS1_30default_config_static_selectorELNS0_4arch9wavefront6targetE0EEEvT1_
	.globl	_ZN7rocprim17ROCPRIM_400000_NS6detail17trampoline_kernelINS0_14default_configENS1_27scan_by_key_config_selectorIssEEZZNS1_16scan_by_key_implILNS1_25lookback_scan_determinismE0ELb0ES3_N6thrust23THRUST_200600_302600_NS6detail15normal_iteratorINS9_10device_ptrIsEEEESE_SE_sNS9_4plusIsEE19head_flag_predicatesEE10hipError_tPvRmT2_T3_T4_T5_mT6_T7_P12ihipStream_tbENKUlT_T0_E_clISt17integral_constantIbLb0EESX_IbLb1EEEEDaST_SU_EUlST_E_NS1_11comp_targetILNS1_3genE9ELNS1_11target_archE1100ELNS1_3gpuE3ELNS1_3repE0EEENS1_30default_config_static_selectorELNS0_4arch9wavefront6targetE0EEEvT1_
	.p2align	8
	.type	_ZN7rocprim17ROCPRIM_400000_NS6detail17trampoline_kernelINS0_14default_configENS1_27scan_by_key_config_selectorIssEEZZNS1_16scan_by_key_implILNS1_25lookback_scan_determinismE0ELb0ES3_N6thrust23THRUST_200600_302600_NS6detail15normal_iteratorINS9_10device_ptrIsEEEESE_SE_sNS9_4plusIsEE19head_flag_predicatesEE10hipError_tPvRmT2_T3_T4_T5_mT6_T7_P12ihipStream_tbENKUlT_T0_E_clISt17integral_constantIbLb0EESX_IbLb1EEEEDaST_SU_EUlST_E_NS1_11comp_targetILNS1_3genE9ELNS1_11target_archE1100ELNS1_3gpuE3ELNS1_3repE0EEENS1_30default_config_static_selectorELNS0_4arch9wavefront6targetE0EEEvT1_,@function
_ZN7rocprim17ROCPRIM_400000_NS6detail17trampoline_kernelINS0_14default_configENS1_27scan_by_key_config_selectorIssEEZZNS1_16scan_by_key_implILNS1_25lookback_scan_determinismE0ELb0ES3_N6thrust23THRUST_200600_302600_NS6detail15normal_iteratorINS9_10device_ptrIsEEEESE_SE_sNS9_4plusIsEE19head_flag_predicatesEE10hipError_tPvRmT2_T3_T4_T5_mT6_T7_P12ihipStream_tbENKUlT_T0_E_clISt17integral_constantIbLb0EESX_IbLb1EEEEDaST_SU_EUlST_E_NS1_11comp_targetILNS1_3genE9ELNS1_11target_archE1100ELNS1_3gpuE3ELNS1_3repE0EEENS1_30default_config_static_selectorELNS0_4arch9wavefront6targetE0EEEvT1_: ; @_ZN7rocprim17ROCPRIM_400000_NS6detail17trampoline_kernelINS0_14default_configENS1_27scan_by_key_config_selectorIssEEZZNS1_16scan_by_key_implILNS1_25lookback_scan_determinismE0ELb0ES3_N6thrust23THRUST_200600_302600_NS6detail15normal_iteratorINS9_10device_ptrIsEEEESE_SE_sNS9_4plusIsEE19head_flag_predicatesEE10hipError_tPvRmT2_T3_T4_T5_mT6_T7_P12ihipStream_tbENKUlT_T0_E_clISt17integral_constantIbLb0EESX_IbLb1EEEEDaST_SU_EUlST_E_NS1_11comp_targetILNS1_3genE9ELNS1_11target_archE1100ELNS1_3gpuE3ELNS1_3repE0EEENS1_30default_config_static_selectorELNS0_4arch9wavefront6targetE0EEEvT1_
; %bb.0:
	.section	.rodata,"a",@progbits
	.p2align	6, 0x0
	.amdhsa_kernel _ZN7rocprim17ROCPRIM_400000_NS6detail17trampoline_kernelINS0_14default_configENS1_27scan_by_key_config_selectorIssEEZZNS1_16scan_by_key_implILNS1_25lookback_scan_determinismE0ELb0ES3_N6thrust23THRUST_200600_302600_NS6detail15normal_iteratorINS9_10device_ptrIsEEEESE_SE_sNS9_4plusIsEE19head_flag_predicatesEE10hipError_tPvRmT2_T3_T4_T5_mT6_T7_P12ihipStream_tbENKUlT_T0_E_clISt17integral_constantIbLb0EESX_IbLb1EEEEDaST_SU_EUlST_E_NS1_11comp_targetILNS1_3genE9ELNS1_11target_archE1100ELNS1_3gpuE3ELNS1_3repE0EEENS1_30default_config_static_selectorELNS0_4arch9wavefront6targetE0EEEvT1_
		.amdhsa_group_segment_fixed_size 0
		.amdhsa_private_segment_fixed_size 0
		.amdhsa_kernarg_size 112
		.amdhsa_user_sgpr_count 6
		.amdhsa_user_sgpr_private_segment_buffer 1
		.amdhsa_user_sgpr_dispatch_ptr 0
		.amdhsa_user_sgpr_queue_ptr 0
		.amdhsa_user_sgpr_kernarg_segment_ptr 1
		.amdhsa_user_sgpr_dispatch_id 0
		.amdhsa_user_sgpr_flat_scratch_init 0
		.amdhsa_user_sgpr_private_segment_size 0
		.amdhsa_wavefront_size32 1
		.amdhsa_uses_dynamic_stack 0
		.amdhsa_system_sgpr_private_segment_wavefront_offset 0
		.amdhsa_system_sgpr_workgroup_id_x 1
		.amdhsa_system_sgpr_workgroup_id_y 0
		.amdhsa_system_sgpr_workgroup_id_z 0
		.amdhsa_system_sgpr_workgroup_info 0
		.amdhsa_system_vgpr_workitem_id 0
		.amdhsa_next_free_vgpr 1
		.amdhsa_next_free_sgpr 1
		.amdhsa_reserve_vcc 0
		.amdhsa_reserve_flat_scratch 0
		.amdhsa_float_round_mode_32 0
		.amdhsa_float_round_mode_16_64 0
		.amdhsa_float_denorm_mode_32 3
		.amdhsa_float_denorm_mode_16_64 3
		.amdhsa_dx10_clamp 1
		.amdhsa_ieee_mode 1
		.amdhsa_fp16_overflow 0
		.amdhsa_workgroup_processor_mode 1
		.amdhsa_memory_ordered 1
		.amdhsa_forward_progress 1
		.amdhsa_shared_vgpr_count 0
		.amdhsa_exception_fp_ieee_invalid_op 0
		.amdhsa_exception_fp_denorm_src 0
		.amdhsa_exception_fp_ieee_div_zero 0
		.amdhsa_exception_fp_ieee_overflow 0
		.amdhsa_exception_fp_ieee_underflow 0
		.amdhsa_exception_fp_ieee_inexact 0
		.amdhsa_exception_int_div_zero 0
	.end_amdhsa_kernel
	.section	.text._ZN7rocprim17ROCPRIM_400000_NS6detail17trampoline_kernelINS0_14default_configENS1_27scan_by_key_config_selectorIssEEZZNS1_16scan_by_key_implILNS1_25lookback_scan_determinismE0ELb0ES3_N6thrust23THRUST_200600_302600_NS6detail15normal_iteratorINS9_10device_ptrIsEEEESE_SE_sNS9_4plusIsEE19head_flag_predicatesEE10hipError_tPvRmT2_T3_T4_T5_mT6_T7_P12ihipStream_tbENKUlT_T0_E_clISt17integral_constantIbLb0EESX_IbLb1EEEEDaST_SU_EUlST_E_NS1_11comp_targetILNS1_3genE9ELNS1_11target_archE1100ELNS1_3gpuE3ELNS1_3repE0EEENS1_30default_config_static_selectorELNS0_4arch9wavefront6targetE0EEEvT1_,"axG",@progbits,_ZN7rocprim17ROCPRIM_400000_NS6detail17trampoline_kernelINS0_14default_configENS1_27scan_by_key_config_selectorIssEEZZNS1_16scan_by_key_implILNS1_25lookback_scan_determinismE0ELb0ES3_N6thrust23THRUST_200600_302600_NS6detail15normal_iteratorINS9_10device_ptrIsEEEESE_SE_sNS9_4plusIsEE19head_flag_predicatesEE10hipError_tPvRmT2_T3_T4_T5_mT6_T7_P12ihipStream_tbENKUlT_T0_E_clISt17integral_constantIbLb0EESX_IbLb1EEEEDaST_SU_EUlST_E_NS1_11comp_targetILNS1_3genE9ELNS1_11target_archE1100ELNS1_3gpuE3ELNS1_3repE0EEENS1_30default_config_static_selectorELNS0_4arch9wavefront6targetE0EEEvT1_,comdat
.Lfunc_end855:
	.size	_ZN7rocprim17ROCPRIM_400000_NS6detail17trampoline_kernelINS0_14default_configENS1_27scan_by_key_config_selectorIssEEZZNS1_16scan_by_key_implILNS1_25lookback_scan_determinismE0ELb0ES3_N6thrust23THRUST_200600_302600_NS6detail15normal_iteratorINS9_10device_ptrIsEEEESE_SE_sNS9_4plusIsEE19head_flag_predicatesEE10hipError_tPvRmT2_T3_T4_T5_mT6_T7_P12ihipStream_tbENKUlT_T0_E_clISt17integral_constantIbLb0EESX_IbLb1EEEEDaST_SU_EUlST_E_NS1_11comp_targetILNS1_3genE9ELNS1_11target_archE1100ELNS1_3gpuE3ELNS1_3repE0EEENS1_30default_config_static_selectorELNS0_4arch9wavefront6targetE0EEEvT1_, .Lfunc_end855-_ZN7rocprim17ROCPRIM_400000_NS6detail17trampoline_kernelINS0_14default_configENS1_27scan_by_key_config_selectorIssEEZZNS1_16scan_by_key_implILNS1_25lookback_scan_determinismE0ELb0ES3_N6thrust23THRUST_200600_302600_NS6detail15normal_iteratorINS9_10device_ptrIsEEEESE_SE_sNS9_4plusIsEE19head_flag_predicatesEE10hipError_tPvRmT2_T3_T4_T5_mT6_T7_P12ihipStream_tbENKUlT_T0_E_clISt17integral_constantIbLb0EESX_IbLb1EEEEDaST_SU_EUlST_E_NS1_11comp_targetILNS1_3genE9ELNS1_11target_archE1100ELNS1_3gpuE3ELNS1_3repE0EEENS1_30default_config_static_selectorELNS0_4arch9wavefront6targetE0EEEvT1_
                                        ; -- End function
	.set _ZN7rocprim17ROCPRIM_400000_NS6detail17trampoline_kernelINS0_14default_configENS1_27scan_by_key_config_selectorIssEEZZNS1_16scan_by_key_implILNS1_25lookback_scan_determinismE0ELb0ES3_N6thrust23THRUST_200600_302600_NS6detail15normal_iteratorINS9_10device_ptrIsEEEESE_SE_sNS9_4plusIsEE19head_flag_predicatesEE10hipError_tPvRmT2_T3_T4_T5_mT6_T7_P12ihipStream_tbENKUlT_T0_E_clISt17integral_constantIbLb0EESX_IbLb1EEEEDaST_SU_EUlST_E_NS1_11comp_targetILNS1_3genE9ELNS1_11target_archE1100ELNS1_3gpuE3ELNS1_3repE0EEENS1_30default_config_static_selectorELNS0_4arch9wavefront6targetE0EEEvT1_.num_vgpr, 0
	.set _ZN7rocprim17ROCPRIM_400000_NS6detail17trampoline_kernelINS0_14default_configENS1_27scan_by_key_config_selectorIssEEZZNS1_16scan_by_key_implILNS1_25lookback_scan_determinismE0ELb0ES3_N6thrust23THRUST_200600_302600_NS6detail15normal_iteratorINS9_10device_ptrIsEEEESE_SE_sNS9_4plusIsEE19head_flag_predicatesEE10hipError_tPvRmT2_T3_T4_T5_mT6_T7_P12ihipStream_tbENKUlT_T0_E_clISt17integral_constantIbLb0EESX_IbLb1EEEEDaST_SU_EUlST_E_NS1_11comp_targetILNS1_3genE9ELNS1_11target_archE1100ELNS1_3gpuE3ELNS1_3repE0EEENS1_30default_config_static_selectorELNS0_4arch9wavefront6targetE0EEEvT1_.num_agpr, 0
	.set _ZN7rocprim17ROCPRIM_400000_NS6detail17trampoline_kernelINS0_14default_configENS1_27scan_by_key_config_selectorIssEEZZNS1_16scan_by_key_implILNS1_25lookback_scan_determinismE0ELb0ES3_N6thrust23THRUST_200600_302600_NS6detail15normal_iteratorINS9_10device_ptrIsEEEESE_SE_sNS9_4plusIsEE19head_flag_predicatesEE10hipError_tPvRmT2_T3_T4_T5_mT6_T7_P12ihipStream_tbENKUlT_T0_E_clISt17integral_constantIbLb0EESX_IbLb1EEEEDaST_SU_EUlST_E_NS1_11comp_targetILNS1_3genE9ELNS1_11target_archE1100ELNS1_3gpuE3ELNS1_3repE0EEENS1_30default_config_static_selectorELNS0_4arch9wavefront6targetE0EEEvT1_.numbered_sgpr, 0
	.set _ZN7rocprim17ROCPRIM_400000_NS6detail17trampoline_kernelINS0_14default_configENS1_27scan_by_key_config_selectorIssEEZZNS1_16scan_by_key_implILNS1_25lookback_scan_determinismE0ELb0ES3_N6thrust23THRUST_200600_302600_NS6detail15normal_iteratorINS9_10device_ptrIsEEEESE_SE_sNS9_4plusIsEE19head_flag_predicatesEE10hipError_tPvRmT2_T3_T4_T5_mT6_T7_P12ihipStream_tbENKUlT_T0_E_clISt17integral_constantIbLb0EESX_IbLb1EEEEDaST_SU_EUlST_E_NS1_11comp_targetILNS1_3genE9ELNS1_11target_archE1100ELNS1_3gpuE3ELNS1_3repE0EEENS1_30default_config_static_selectorELNS0_4arch9wavefront6targetE0EEEvT1_.num_named_barrier, 0
	.set _ZN7rocprim17ROCPRIM_400000_NS6detail17trampoline_kernelINS0_14default_configENS1_27scan_by_key_config_selectorIssEEZZNS1_16scan_by_key_implILNS1_25lookback_scan_determinismE0ELb0ES3_N6thrust23THRUST_200600_302600_NS6detail15normal_iteratorINS9_10device_ptrIsEEEESE_SE_sNS9_4plusIsEE19head_flag_predicatesEE10hipError_tPvRmT2_T3_T4_T5_mT6_T7_P12ihipStream_tbENKUlT_T0_E_clISt17integral_constantIbLb0EESX_IbLb1EEEEDaST_SU_EUlST_E_NS1_11comp_targetILNS1_3genE9ELNS1_11target_archE1100ELNS1_3gpuE3ELNS1_3repE0EEENS1_30default_config_static_selectorELNS0_4arch9wavefront6targetE0EEEvT1_.private_seg_size, 0
	.set _ZN7rocprim17ROCPRIM_400000_NS6detail17trampoline_kernelINS0_14default_configENS1_27scan_by_key_config_selectorIssEEZZNS1_16scan_by_key_implILNS1_25lookback_scan_determinismE0ELb0ES3_N6thrust23THRUST_200600_302600_NS6detail15normal_iteratorINS9_10device_ptrIsEEEESE_SE_sNS9_4plusIsEE19head_flag_predicatesEE10hipError_tPvRmT2_T3_T4_T5_mT6_T7_P12ihipStream_tbENKUlT_T0_E_clISt17integral_constantIbLb0EESX_IbLb1EEEEDaST_SU_EUlST_E_NS1_11comp_targetILNS1_3genE9ELNS1_11target_archE1100ELNS1_3gpuE3ELNS1_3repE0EEENS1_30default_config_static_selectorELNS0_4arch9wavefront6targetE0EEEvT1_.uses_vcc, 0
	.set _ZN7rocprim17ROCPRIM_400000_NS6detail17trampoline_kernelINS0_14default_configENS1_27scan_by_key_config_selectorIssEEZZNS1_16scan_by_key_implILNS1_25lookback_scan_determinismE0ELb0ES3_N6thrust23THRUST_200600_302600_NS6detail15normal_iteratorINS9_10device_ptrIsEEEESE_SE_sNS9_4plusIsEE19head_flag_predicatesEE10hipError_tPvRmT2_T3_T4_T5_mT6_T7_P12ihipStream_tbENKUlT_T0_E_clISt17integral_constantIbLb0EESX_IbLb1EEEEDaST_SU_EUlST_E_NS1_11comp_targetILNS1_3genE9ELNS1_11target_archE1100ELNS1_3gpuE3ELNS1_3repE0EEENS1_30default_config_static_selectorELNS0_4arch9wavefront6targetE0EEEvT1_.uses_flat_scratch, 0
	.set _ZN7rocprim17ROCPRIM_400000_NS6detail17trampoline_kernelINS0_14default_configENS1_27scan_by_key_config_selectorIssEEZZNS1_16scan_by_key_implILNS1_25lookback_scan_determinismE0ELb0ES3_N6thrust23THRUST_200600_302600_NS6detail15normal_iteratorINS9_10device_ptrIsEEEESE_SE_sNS9_4plusIsEE19head_flag_predicatesEE10hipError_tPvRmT2_T3_T4_T5_mT6_T7_P12ihipStream_tbENKUlT_T0_E_clISt17integral_constantIbLb0EESX_IbLb1EEEEDaST_SU_EUlST_E_NS1_11comp_targetILNS1_3genE9ELNS1_11target_archE1100ELNS1_3gpuE3ELNS1_3repE0EEENS1_30default_config_static_selectorELNS0_4arch9wavefront6targetE0EEEvT1_.has_dyn_sized_stack, 0
	.set _ZN7rocprim17ROCPRIM_400000_NS6detail17trampoline_kernelINS0_14default_configENS1_27scan_by_key_config_selectorIssEEZZNS1_16scan_by_key_implILNS1_25lookback_scan_determinismE0ELb0ES3_N6thrust23THRUST_200600_302600_NS6detail15normal_iteratorINS9_10device_ptrIsEEEESE_SE_sNS9_4plusIsEE19head_flag_predicatesEE10hipError_tPvRmT2_T3_T4_T5_mT6_T7_P12ihipStream_tbENKUlT_T0_E_clISt17integral_constantIbLb0EESX_IbLb1EEEEDaST_SU_EUlST_E_NS1_11comp_targetILNS1_3genE9ELNS1_11target_archE1100ELNS1_3gpuE3ELNS1_3repE0EEENS1_30default_config_static_selectorELNS0_4arch9wavefront6targetE0EEEvT1_.has_recursion, 0
	.set _ZN7rocprim17ROCPRIM_400000_NS6detail17trampoline_kernelINS0_14default_configENS1_27scan_by_key_config_selectorIssEEZZNS1_16scan_by_key_implILNS1_25lookback_scan_determinismE0ELb0ES3_N6thrust23THRUST_200600_302600_NS6detail15normal_iteratorINS9_10device_ptrIsEEEESE_SE_sNS9_4plusIsEE19head_flag_predicatesEE10hipError_tPvRmT2_T3_T4_T5_mT6_T7_P12ihipStream_tbENKUlT_T0_E_clISt17integral_constantIbLb0EESX_IbLb1EEEEDaST_SU_EUlST_E_NS1_11comp_targetILNS1_3genE9ELNS1_11target_archE1100ELNS1_3gpuE3ELNS1_3repE0EEENS1_30default_config_static_selectorELNS0_4arch9wavefront6targetE0EEEvT1_.has_indirect_call, 0
	.section	.AMDGPU.csdata,"",@progbits
; Kernel info:
; codeLenInByte = 0
; TotalNumSgprs: 0
; NumVgprs: 0
; ScratchSize: 0
; MemoryBound: 0
; FloatMode: 240
; IeeeMode: 1
; LDSByteSize: 0 bytes/workgroup (compile time only)
; SGPRBlocks: 0
; VGPRBlocks: 0
; NumSGPRsForWavesPerEU: 1
; NumVGPRsForWavesPerEU: 1
; Occupancy: 16
; WaveLimiterHint : 0
; COMPUTE_PGM_RSRC2:SCRATCH_EN: 0
; COMPUTE_PGM_RSRC2:USER_SGPR: 6
; COMPUTE_PGM_RSRC2:TRAP_HANDLER: 0
; COMPUTE_PGM_RSRC2:TGID_X_EN: 1
; COMPUTE_PGM_RSRC2:TGID_Y_EN: 0
; COMPUTE_PGM_RSRC2:TGID_Z_EN: 0
; COMPUTE_PGM_RSRC2:TIDIG_COMP_CNT: 0
	.section	.text._ZN7rocprim17ROCPRIM_400000_NS6detail17trampoline_kernelINS0_14default_configENS1_27scan_by_key_config_selectorIssEEZZNS1_16scan_by_key_implILNS1_25lookback_scan_determinismE0ELb0ES3_N6thrust23THRUST_200600_302600_NS6detail15normal_iteratorINS9_10device_ptrIsEEEESE_SE_sNS9_4plusIsEE19head_flag_predicatesEE10hipError_tPvRmT2_T3_T4_T5_mT6_T7_P12ihipStream_tbENKUlT_T0_E_clISt17integral_constantIbLb0EESX_IbLb1EEEEDaST_SU_EUlST_E_NS1_11comp_targetILNS1_3genE8ELNS1_11target_archE1030ELNS1_3gpuE2ELNS1_3repE0EEENS1_30default_config_static_selectorELNS0_4arch9wavefront6targetE0EEEvT1_,"axG",@progbits,_ZN7rocprim17ROCPRIM_400000_NS6detail17trampoline_kernelINS0_14default_configENS1_27scan_by_key_config_selectorIssEEZZNS1_16scan_by_key_implILNS1_25lookback_scan_determinismE0ELb0ES3_N6thrust23THRUST_200600_302600_NS6detail15normal_iteratorINS9_10device_ptrIsEEEESE_SE_sNS9_4plusIsEE19head_flag_predicatesEE10hipError_tPvRmT2_T3_T4_T5_mT6_T7_P12ihipStream_tbENKUlT_T0_E_clISt17integral_constantIbLb0EESX_IbLb1EEEEDaST_SU_EUlST_E_NS1_11comp_targetILNS1_3genE8ELNS1_11target_archE1030ELNS1_3gpuE2ELNS1_3repE0EEENS1_30default_config_static_selectorELNS0_4arch9wavefront6targetE0EEEvT1_,comdat
	.protected	_ZN7rocprim17ROCPRIM_400000_NS6detail17trampoline_kernelINS0_14default_configENS1_27scan_by_key_config_selectorIssEEZZNS1_16scan_by_key_implILNS1_25lookback_scan_determinismE0ELb0ES3_N6thrust23THRUST_200600_302600_NS6detail15normal_iteratorINS9_10device_ptrIsEEEESE_SE_sNS9_4plusIsEE19head_flag_predicatesEE10hipError_tPvRmT2_T3_T4_T5_mT6_T7_P12ihipStream_tbENKUlT_T0_E_clISt17integral_constantIbLb0EESX_IbLb1EEEEDaST_SU_EUlST_E_NS1_11comp_targetILNS1_3genE8ELNS1_11target_archE1030ELNS1_3gpuE2ELNS1_3repE0EEENS1_30default_config_static_selectorELNS0_4arch9wavefront6targetE0EEEvT1_ ; -- Begin function _ZN7rocprim17ROCPRIM_400000_NS6detail17trampoline_kernelINS0_14default_configENS1_27scan_by_key_config_selectorIssEEZZNS1_16scan_by_key_implILNS1_25lookback_scan_determinismE0ELb0ES3_N6thrust23THRUST_200600_302600_NS6detail15normal_iteratorINS9_10device_ptrIsEEEESE_SE_sNS9_4plusIsEE19head_flag_predicatesEE10hipError_tPvRmT2_T3_T4_T5_mT6_T7_P12ihipStream_tbENKUlT_T0_E_clISt17integral_constantIbLb0EESX_IbLb1EEEEDaST_SU_EUlST_E_NS1_11comp_targetILNS1_3genE8ELNS1_11target_archE1030ELNS1_3gpuE2ELNS1_3repE0EEENS1_30default_config_static_selectorELNS0_4arch9wavefront6targetE0EEEvT1_
	.globl	_ZN7rocprim17ROCPRIM_400000_NS6detail17trampoline_kernelINS0_14default_configENS1_27scan_by_key_config_selectorIssEEZZNS1_16scan_by_key_implILNS1_25lookback_scan_determinismE0ELb0ES3_N6thrust23THRUST_200600_302600_NS6detail15normal_iteratorINS9_10device_ptrIsEEEESE_SE_sNS9_4plusIsEE19head_flag_predicatesEE10hipError_tPvRmT2_T3_T4_T5_mT6_T7_P12ihipStream_tbENKUlT_T0_E_clISt17integral_constantIbLb0EESX_IbLb1EEEEDaST_SU_EUlST_E_NS1_11comp_targetILNS1_3genE8ELNS1_11target_archE1030ELNS1_3gpuE2ELNS1_3repE0EEENS1_30default_config_static_selectorELNS0_4arch9wavefront6targetE0EEEvT1_
	.p2align	8
	.type	_ZN7rocprim17ROCPRIM_400000_NS6detail17trampoline_kernelINS0_14default_configENS1_27scan_by_key_config_selectorIssEEZZNS1_16scan_by_key_implILNS1_25lookback_scan_determinismE0ELb0ES3_N6thrust23THRUST_200600_302600_NS6detail15normal_iteratorINS9_10device_ptrIsEEEESE_SE_sNS9_4plusIsEE19head_flag_predicatesEE10hipError_tPvRmT2_T3_T4_T5_mT6_T7_P12ihipStream_tbENKUlT_T0_E_clISt17integral_constantIbLb0EESX_IbLb1EEEEDaST_SU_EUlST_E_NS1_11comp_targetILNS1_3genE8ELNS1_11target_archE1030ELNS1_3gpuE2ELNS1_3repE0EEENS1_30default_config_static_selectorELNS0_4arch9wavefront6targetE0EEEvT1_,@function
_ZN7rocprim17ROCPRIM_400000_NS6detail17trampoline_kernelINS0_14default_configENS1_27scan_by_key_config_selectorIssEEZZNS1_16scan_by_key_implILNS1_25lookback_scan_determinismE0ELb0ES3_N6thrust23THRUST_200600_302600_NS6detail15normal_iteratorINS9_10device_ptrIsEEEESE_SE_sNS9_4plusIsEE19head_flag_predicatesEE10hipError_tPvRmT2_T3_T4_T5_mT6_T7_P12ihipStream_tbENKUlT_T0_E_clISt17integral_constantIbLb0EESX_IbLb1EEEEDaST_SU_EUlST_E_NS1_11comp_targetILNS1_3genE8ELNS1_11target_archE1030ELNS1_3gpuE2ELNS1_3repE0EEENS1_30default_config_static_selectorELNS0_4arch9wavefront6targetE0EEEvT1_: ; @_ZN7rocprim17ROCPRIM_400000_NS6detail17trampoline_kernelINS0_14default_configENS1_27scan_by_key_config_selectorIssEEZZNS1_16scan_by_key_implILNS1_25lookback_scan_determinismE0ELb0ES3_N6thrust23THRUST_200600_302600_NS6detail15normal_iteratorINS9_10device_ptrIsEEEESE_SE_sNS9_4plusIsEE19head_flag_predicatesEE10hipError_tPvRmT2_T3_T4_T5_mT6_T7_P12ihipStream_tbENKUlT_T0_E_clISt17integral_constantIbLb0EESX_IbLb1EEEEDaST_SU_EUlST_E_NS1_11comp_targetILNS1_3genE8ELNS1_11target_archE1030ELNS1_3gpuE2ELNS1_3repE0EEENS1_30default_config_static_selectorELNS0_4arch9wavefront6targetE0EEEvT1_
; %bb.0:
	s_clause 0x1
	s_load_dwordx4 s[16:19], s[4:5], 0x28
	s_load_dwordx2 s[28:29], s[4:5], 0x38
	v_cmp_ne_u32_e64 s2, 0, v0
	v_cmp_eq_u32_e64 s0, 0, v0
	s_and_saveexec_b32 s1, s0
	s_cbranch_execz .LBB856_4
; %bb.1:
	s_mov_b32 s6, exec_lo
	s_mov_b32 s3, exec_lo
	v_mbcnt_lo_u32_b32 v1, s6, 0
                                        ; implicit-def: $vgpr2
	v_cmpx_eq_u32_e32 0, v1
	s_cbranch_execz .LBB856_3
; %bb.2:
	s_load_dwordx2 s[8:9], s[4:5], 0x68
	s_bcnt1_i32_b32 s6, s6
	v_mov_b32_e32 v2, 0
	v_mov_b32_e32 v3, s6
	s_waitcnt lgkmcnt(0)
	global_atomic_add v2, v2, v3, s[8:9] glc
.LBB856_3:
	s_or_b32 exec_lo, exec_lo, s3
	s_waitcnt vmcnt(0)
	v_readfirstlane_b32 s3, v2
	v_mov_b32_e32 v2, 0
	v_add_nc_u32_e32 v1, s3, v1
	ds_write_b32 v2, v1
.LBB856_4:
	s_or_b32 exec_lo, exec_lo, s1
	v_mov_b32_e32 v1, 0
	s_clause 0x2
	s_load_dwordx8 s[8:15], s[4:5], 0x0
	s_load_dword s1, s[4:5], 0x40
	s_load_dwordx4 s[20:23], s[4:5], 0x48
	s_waitcnt lgkmcnt(0)
	s_barrier
	buffer_gl0_inv
	ds_read_b32 v1, v1
	s_mov_b32 s5, 0
	s_waitcnt lgkmcnt(0)
	s_barrier
	buffer_gl0_inv
	s_barrier
	buffer_gl0_inv
	s_lshl_b64 s[24:25], s[10:11], 1
	s_mul_i32 s3, s29, s1
	s_add_u32 s7, s8, s24
	s_addc_u32 s8, s9, s25
	s_mul_hi_u32 s6, s28, s1
	s_add_u32 s9, s12, s24
	v_readfirstlane_b32 s30, v1
	s_mul_i32 s1, s28, s1
	s_addc_u32 s10, s13, s25
	s_add_i32 s6, s6, s3
	v_add_co_u32 v1, s1, s1, v1
	s_mul_i32 s4, s30, 0x280
	v_add_co_ci_u32_e64 v2, null, s6, 0, s1
	s_lshl_b64 s[26:27], s[4:5], 1
	s_add_u32 s12, s7, s26
	s_addc_u32 s13, s8, s27
	s_add_u32 s31, s9, s26
	s_addc_u32 s33, s10, s27
	s_add_u32 s6, s20, -1
	s_addc_u32 s7, s21, -1
	s_mul_i32 s19, s6, 0xfffffd80
	v_cmp_le_u64_e64 s1, s[6:7], v[1:2]
	s_and_b32 vcc_lo, exec_lo, s1
	s_cbranch_vccz .LBB856_55
; %bb.5:
	v_mov_b32_e32 v1, s12
	v_mov_b32_e32 v2, s13
	s_add_i32 s20, s19, s18
	v_cmp_gt_u32_e64 s11, s20, v0
	flat_load_ushort v1, v[1:2]
	s_waitcnt vmcnt(0) lgkmcnt(0)
	v_mov_b32_e32 v2, v1
	s_and_saveexec_b32 s3, s11
	s_cbranch_execz .LBB856_7
; %bb.6:
	v_lshlrev_b32_e32 v2, 1, v0
	v_add_co_u32 v2, s4, s12, v2
	v_add_co_ci_u32_e64 v3, null, s13, 0, s4
	flat_load_ushort v2, v[2:3]
.LBB856_7:
	s_or_b32 exec_lo, exec_lo, s3
	v_or_b32_e32 v3, 64, v0
	v_cmp_gt_u32_e64 s10, s20, v3
	v_mov_b32_e32 v3, v1
	s_and_saveexec_b32 s3, s10
	s_cbranch_execz .LBB856_9
; %bb.8:
	v_lshlrev_b32_e32 v3, 1, v0
	v_add_co_u32 v3, s4, s12, v3
	v_add_co_ci_u32_e64 v4, null, s13, 0, s4
	flat_load_ushort v3, v[3:4] offset:128
.LBB856_9:
	s_or_b32 exec_lo, exec_lo, s3
	v_or_b32_e32 v4, 0x80, v0
	v_cmp_gt_u32_e64 s9, s20, v4
	v_mov_b32_e32 v4, v1
	s_and_saveexec_b32 s3, s9
	s_cbranch_execz .LBB856_11
; %bb.10:
	v_lshlrev_b32_e32 v4, 1, v0
	v_add_co_u32 v4, s4, s12, v4
	v_add_co_ci_u32_e64 v5, null, s13, 0, s4
	flat_load_ushort v4, v[4:5] offset:256
.LBB856_11:
	;; [unrolled: 12-line block ×8, first 2 shown]
	s_or_b32 exec_lo, exec_lo, s21
	v_or_b32_e32 v11, 0x240, v0
	v_cmp_gt_u32_e32 vcc_lo, s20, v11
	s_and_saveexec_b32 s21, vcc_lo
	s_cbranch_execz .LBB856_25
; %bb.24:
	v_lshlrev_b32_e32 v1, 1, v0
	v_add_co_u32 v11, s34, s12, v1
	v_add_co_ci_u32_e64 v12, null, s13, 0, s34
	flat_load_ushort v1, v[11:12] offset:1152
.LBB856_25:
	s_or_b32 exec_lo, exec_lo, s21
	v_lshlrev_b32_e32 v13, 1, v0
	s_waitcnt vmcnt(0) lgkmcnt(0)
	ds_write_b16 v13, v2
	ds_write_b16 v13, v3 offset:128
	ds_write_b16 v13, v4 offset:256
	;; [unrolled: 1-line block ×8, first 2 shown]
	v_mad_u32_u24 v23, v0, 18, v13
	ds_write_b16 v13, v1 offset:1152
	s_waitcnt lgkmcnt(0)
	s_barrier
	buffer_gl0_inv
	ds_read_b32 v24, v23 offset:16
	ds_read2_b32 v[11:12], v23 offset1:1
	ds_read2_b32 v[9:10], v23 offset0:2 offset1:3
	v_mov_b32_e32 v1, 0
	v_mad_i32_i24 v6, 0xffffffee, v0, v23
	v_mov_b32_e32 v2, v1
	v_mov_b32_e32 v3, v1
	;; [unrolled: 1-line block ×4, first 2 shown]
	s_waitcnt lgkmcnt(2)
	v_lshrrev_b32_e32 v22, 16, v24
	ds_write_b16 v6, v22 offset:1280
	s_waitcnt lgkmcnt(0)
	s_barrier
	buffer_gl0_inv
	s_barrier
	buffer_gl0_inv
	s_and_saveexec_b32 s21, s11
	s_cbranch_execnz .LBB856_179
; %bb.26:
	s_or_b32 exec_lo, exec_lo, s21
	s_and_saveexec_b32 s11, s10
	s_cbranch_execnz .LBB856_180
.LBB856_27:
	s_or_b32 exec_lo, exec_lo, s11
	s_and_saveexec_b32 s10, s9
	s_cbranch_execnz .LBB856_181
.LBB856_28:
	s_or_b32 exec_lo, exec_lo, s10
	s_and_saveexec_b32 s9, s8
	s_cbranch_execnz .LBB856_182
.LBB856_29:
	s_or_b32 exec_lo, exec_lo, s9
	s_and_saveexec_b32 s8, s7
	s_cbranch_execnz .LBB856_183
.LBB856_30:
	s_or_b32 exec_lo, exec_lo, s8
	s_and_saveexec_b32 s7, s6
	s_cbranch_execnz .LBB856_184
.LBB856_31:
	s_or_b32 exec_lo, exec_lo, s7
	s_and_saveexec_b32 s6, s5
	s_cbranch_execnz .LBB856_185
.LBB856_32:
	s_or_b32 exec_lo, exec_lo, s6
	s_and_saveexec_b32 s5, s4
	s_cbranch_execnz .LBB856_186
.LBB856_33:
	s_or_b32 exec_lo, exec_lo, s5
	s_and_saveexec_b32 s4, s3
	s_cbranch_execnz .LBB856_187
.LBB856_34:
	s_or_b32 exec_lo, exec_lo, s4
	v_mul_u32_u24_e32 v29, 10, v0
	s_and_saveexec_b32 s3, vcc_lo
	s_cbranch_execz .LBB856_36
.LBB856_35:
	v_add_co_u32 v6, s4, s31, v13
	v_add_co_ci_u32_e64 v7, null, s33, 0, s4
	s_waitcnt vmcnt(0) lgkmcnt(0)
	flat_load_short_d16_hi v5, v[6:7] offset:1152
.LBB856_36:
	s_or_b32 exec_lo, exec_lo, s3
	s_waitcnt vmcnt(0) lgkmcnt(0)
	ds_write_b16 v13, v1
	ds_write_b16_d16_hi v13, v1 offset:128
	ds_write_b16 v13, v2 offset:256
	ds_write_b16_d16_hi v13, v2 offset:384
	ds_write_b16 v13, v3 offset:512
	;; [unrolled: 2-line block ×4, first 2 shown]
	ds_write_b16_d16_hi v13, v5 offset:1152
	v_cmp_gt_u32_e32 vcc_lo, s20, v29
	v_mov_b32_e32 v5, 0
	v_mov_b32_e32 v6, 0
	v_mov_b32_e32 v8, 0
	v_mov_b32_e32 v25, 0
	v_mov_b32_e32 v27, 0
	v_mov_b32_e32 v28, 0
	v_mov_b32_e32 v1, 0
	v_mov_b32_e32 v2, 0
	v_mov_b32_e32 v20, 0
	v_mov_b32_e32 v21, 0
	v_mov_b32_e32 v19, 0
	v_mov_b32_e32 v18, 0
	v_mov_b32_e32 v17, 0
	v_mov_b32_e32 v15, 0
	v_mov_b32_e32 v14, 0
	v_mov_b32_e32 v16, 0
	v_mov_b32_e32 v13, 0
	s_mov_b32 s3, 0
	s_mov_b32 s5, 0
	s_waitcnt lgkmcnt(0)
	s_barrier
	buffer_gl0_inv
                                        ; implicit-def: $vgpr7
	s_and_saveexec_b32 s4, vcc_lo
	s_cbranch_execz .LBB856_54
; %bb.37:
	ds_read_u16 v20, v23
	v_or_b32_e32 v1, 1, v29
	v_cmp_eq_u16_e32 vcc_lo, 0, v11
	v_mov_b32_e32 v5, 0
	v_mov_b32_e32 v6, 0
	;; [unrolled: 1-line block ×4, first 2 shown]
	v_cndmask_b32_e64 v26, 0x10000, 0, vcc_lo
	v_cmp_gt_u32_e32 vcc_lo, s20, v1
	v_mov_b32_e32 v27, 0
	v_mov_b32_e32 v28, 0
	;; [unrolled: 1-line block ×11, first 2 shown]
	s_mov_b32 s6, 0
                                        ; implicit-def: $vgpr7
	s_and_saveexec_b32 s5, vcc_lo
	s_cbranch_execz .LBB856_53
; %bb.38:
	ds_read_b128 v[1:4], v23 offset:2
	v_mov_b32_e32 v5, 0
	v_add_nc_u32_e32 v6, 2, v29
	v_mov_b32_e32 v8, 0
	v_mov_b32_e32 v25, 0
	;; [unrolled: 1-line block ×3, first 2 shown]
	v_cmp_eq_u16_sdwa s6, v11, v5 src0_sel:WORD_1 src1_sel:DWORD
	v_cmp_gt_u32_e32 vcc_lo, s20, v6
	v_mov_b32_e32 v6, 0
	v_mov_b32_e32 v28, 0
	;; [unrolled: 1-line block ×3, first 2 shown]
	v_cndmask_b32_e64 v11, 0x10000, 0, s6
	v_mov_b32_e32 v18, 0
	v_mov_b32_e32 v17, 0
	;; [unrolled: 1-line block ×6, first 2 shown]
	s_mov_b32 s7, 0
                                        ; implicit-def: $vgpr7
	s_and_saveexec_b32 s6, vcc_lo
	s_cbranch_execz .LBB856_52
; %bb.39:
	v_add_nc_u32_e32 v7, 3, v29
	v_cmp_eq_u16_e32 vcc_lo, 0, v12
	v_mov_b32_e32 v5, 0
	v_mov_b32_e32 v6, 0
	;; [unrolled: 1-line block ×4, first 2 shown]
	v_cndmask_b32_e64 v19, 0x10000, 0, vcc_lo
	v_cmp_gt_u32_e32 vcc_lo, s20, v7
	v_mov_b32_e32 v27, 0
	v_mov_b32_e32 v18, 0
	;; [unrolled: 1-line block ×7, first 2 shown]
	s_mov_b32 s8, 0
                                        ; implicit-def: $vgpr7
	s_and_saveexec_b32 s7, vcc_lo
	s_cbranch_execz .LBB856_51
; %bb.40:
	v_mov_b32_e32 v5, 0
	v_add_nc_u32_e32 v7, 4, v29
	v_mov_b32_e32 v6, 0
	v_mov_b32_e32 v8, 0
	;; [unrolled: 1-line block ×3, first 2 shown]
	v_cmp_eq_u16_sdwa s8, v12, v5 src0_sel:WORD_1 src1_sel:DWORD
	v_cmp_gt_u32_e32 vcc_lo, s20, v7
	v_mov_b32_e32 v17, 0
	v_mov_b32_e32 v15, 0
	;; [unrolled: 1-line block ×3, first 2 shown]
	v_cndmask_b32_e64 v12, 0x10000, 0, s8
	v_mov_b32_e32 v16, 0
	v_mov_b32_e32 v13, 0
	s_mov_b32 s9, 0
                                        ; implicit-def: $vgpr7
	s_and_saveexec_b32 s8, vcc_lo
	s_cbranch_execz .LBB856_50
; %bb.41:
	v_add_nc_u32_e32 v7, 5, v29
	v_cmp_eq_u16_e32 vcc_lo, 0, v9
	v_mov_b32_e32 v5, 0
	v_mov_b32_e32 v6, 0
	;; [unrolled: 1-line block ×4, first 2 shown]
	v_cndmask_b32_e64 v17, 0x10000, 0, vcc_lo
	v_cmp_gt_u32_e32 vcc_lo, s20, v7
	v_mov_b32_e32 v14, 0
	v_mov_b32_e32 v16, 0
	;; [unrolled: 1-line block ×3, first 2 shown]
	s_mov_b32 s10, 0
                                        ; implicit-def: $vgpr7
	s_and_saveexec_b32 s9, vcc_lo
	s_cbranch_execz .LBB856_49
; %bb.42:
	v_mov_b32_e32 v5, 0
	v_add_nc_u32_e32 v7, 6, v29
	v_mov_b32_e32 v6, 0
	v_mov_b32_e32 v14, 0
	;; [unrolled: 1-line block ×3, first 2 shown]
	v_cmp_eq_u16_sdwa s10, v9, v5 src0_sel:WORD_1 src1_sel:DWORD
	v_cmp_gt_u32_e32 vcc_lo, s20, v7
	s_mov_b32 s11, 0
                                        ; implicit-def: $vgpr7
	v_cndmask_b32_e64 v8, 0x10000, 0, s10
	s_and_saveexec_b32 s10, vcc_lo
	s_cbranch_execz .LBB856_48
; %bb.43:
	v_add_nc_u32_e32 v7, 7, v29
	v_cmp_eq_u16_e32 vcc_lo, 0, v10
	v_mov_b32_e32 v5, 0
	v_mov_b32_e32 v13, 0
	s_mov_b32 s21, 0
	v_cndmask_b32_e64 v6, 0x10000, 0, vcc_lo
	v_cmp_gt_u32_e32 vcc_lo, s20, v7
                                        ; implicit-def: $vgpr7
	s_and_saveexec_b32 s11, vcc_lo
	s_cbranch_execz .LBB856_47
; %bb.44:
	v_mov_b32_e32 v13, 0
	v_add_nc_u32_e32 v7, 8, v29
	v_cmp_eq_u16_sdwa s21, v10, v13 src0_sel:WORD_1 src1_sel:DWORD
	v_cmp_gt_u32_e32 vcc_lo, s20, v7
                                        ; implicit-def: $vgpr7
	v_cndmask_b32_e64 v5, 0x10000, 0, s21
	s_mov_b32 s21, 0
	s_and_saveexec_b32 s34, vcc_lo
	s_xor_b32 s34, exec_lo, s34
	s_cbranch_execz .LBB856_46
; %bb.45:
	ds_read_u16 v7, v23 offset:18
	v_cmp_eq_u16_e32 vcc_lo, 0, v24
	v_add_nc_u32_e32 v9, 9, v29
	v_cndmask_b32_e64 v10, 0x10000, 0, vcc_lo
	v_cmp_gt_u32_e32 vcc_lo, s20, v9
	s_waitcnt lgkmcnt(1)
	v_or_b32_sdwa v13, v10, v4 dst_sel:DWORD dst_unused:UNUSED_PAD src0_sel:DWORD src1_sel:WORD_1
	s_and_b32 s21, vcc_lo, exec_lo
.LBB856_46:
	s_or_b32 exec_lo, exec_lo, s34
	s_waitcnt lgkmcnt(0)
	v_and_or_b32 v5, 0xffff, v4, v5
	s_and_b32 s21, s21, exec_lo
.LBB856_47:
	s_or_b32 exec_lo, exec_lo, s11
	s_waitcnt lgkmcnt(0)
	v_or_b32_sdwa v6, v6, v3 dst_sel:DWORD dst_unused:UNUSED_PAD src0_sel:DWORD src1_sel:WORD_1
	s_and_b32 s11, s21, exec_lo
	v_mov_b32_e32 v14, v6
.LBB856_48:
	s_or_b32 exec_lo, exec_lo, s10
	s_waitcnt lgkmcnt(0)
	v_and_or_b32 v8, 0xffff, v3, v8
	v_mov_b32_e32 v16, v5
	s_and_b32 s10, s11, exec_lo
	v_mov_b32_e32 v15, v8
.LBB856_49:
	s_or_b32 exec_lo, exec_lo, s9
	s_waitcnt lgkmcnt(0)
	v_or_b32_sdwa v25, v17, v2 dst_sel:DWORD dst_unused:UNUSED_PAD src0_sel:DWORD src1_sel:WORD_1
	s_and_b32 s9, s10, exec_lo
	v_mov_b32_e32 v17, v25
.LBB856_50:
	s_or_b32 exec_lo, exec_lo, s8
	s_waitcnt lgkmcnt(0)
	v_and_or_b32 v27, 0xffff, v2, v12
	s_and_b32 s8, s9, exec_lo
	v_mov_b32_e32 v18, v27
.LBB856_51:
	s_or_b32 exec_lo, exec_lo, s7
	s_waitcnt lgkmcnt(0)
	v_or_b32_sdwa v28, v19, v1 dst_sel:DWORD dst_unused:UNUSED_PAD src0_sel:DWORD src1_sel:WORD_1
	s_and_b32 s7, s8, exec_lo
	v_mov_b32_e32 v19, v28
.LBB856_52:
	s_or_b32 exec_lo, exec_lo, s6
	s_waitcnt lgkmcnt(0)
	v_and_or_b32 v1, 0xffff, v1, v11
	s_and_b32 s6, s7, exec_lo
	v_mov_b32_e32 v21, v1
.LBB856_53:
	s_or_b32 exec_lo, exec_lo, s5
	s_waitcnt lgkmcnt(0)
	v_or_b32_e32 v2, v26, v20
	s_and_b32 s5, s6, exec_lo
	v_mov_b32_e32 v20, v2
.LBB856_54:
	s_or_b32 exec_lo, exec_lo, s4
	v_lshlrev_b32_e32 v9, 1, v0
	s_and_b32 vcc_lo, exec_lo, s3
	s_cbranch_vccnz .LBB856_56
	s_branch .LBB856_57
.LBB856_55:
                                        ; implicit-def: $vgpr5
                                        ; implicit-def: $vgpr6
                                        ; implicit-def: $vgpr8
                                        ; implicit-def: $vgpr25
                                        ; implicit-def: $vgpr27
                                        ; implicit-def: $vgpr28
                                        ; implicit-def: $vgpr1
                                        ; implicit-def: $vgpr2
                                        ; implicit-def: $vgpr22
                                        ; implicit-def: $vgpr7
                                        ; implicit-def: $vgpr20
                                        ; implicit-def: $vgpr21
                                        ; implicit-def: $vgpr19
                                        ; implicit-def: $vgpr18
                                        ; implicit-def: $vgpr17
                                        ; implicit-def: $vgpr15
                                        ; implicit-def: $vgpr14
                                        ; implicit-def: $vgpr16
                                        ; implicit-def: $vgpr13
	v_lshlrev_b32_e32 v9, 1, v0
	s_cbranch_execz .LBB856_57
.LBB856_56:
	v_add_co_u32 v1, s3, s12, v9
	v_add_co_ci_u32_e64 v2, null, s13, 0, s3
	v_mad_u32_u24 v13, v0, 18, v9
	v_mov_b32_e32 v19, 0
	s_or_b32 s5, s5, exec_lo
	s_clause 0x9
	flat_load_ushort v3, v[1:2]
	flat_load_ushort v4, v[1:2] offset:128
	flat_load_ushort v5, v[1:2] offset:256
	;; [unrolled: 1-line block ×9, first 2 shown]
	s_waitcnt vmcnt(9) lgkmcnt(9)
	ds_write_b16 v9, v3
	s_waitcnt vmcnt(8) lgkmcnt(9)
	ds_write_b16 v9, v4 offset:128
	s_waitcnt vmcnt(7) lgkmcnt(9)
	ds_write_b16 v9, v5 offset:256
	;; [unrolled: 2-line block ×9, first 2 shown]
	s_waitcnt lgkmcnt(0)
	s_barrier
	buffer_gl0_inv
	ds_read_b32 v7, v13 offset:16
	v_add_co_u32 v5, s3, s31, v9
	v_mad_i32_i24 v8, 0xffffffee, v0, v13
	v_add_co_ci_u32_e64 v6, null, s33, 0, s3
	ds_read2_b32 v[1:2], v13 offset1:1
	ds_read2_b32 v[3:4], v13 offset0:2 offset1:3
	s_waitcnt lgkmcnt(2)
	v_lshrrev_b32_e32 v22, 16, v7
	ds_write_b16 v8, v22 offset:1280
	s_waitcnt lgkmcnt(0)
	s_barrier
	buffer_gl0_inv
	s_barrier
	buffer_gl0_inv
	s_clause 0x9
	flat_load_ushort v8, v[5:6]
	flat_load_ushort v10, v[5:6] offset:128
	flat_load_ushort v11, v[5:6] offset:256
	;; [unrolled: 1-line block ×9, first 2 shown]
	v_cmp_eq_u16_e32 vcc_lo, 0, v1
	v_cmp_eq_u16_sdwa s3, v1, v19 src0_sel:WORD_1 src1_sel:DWORD
	s_waitcnt vmcnt(9) lgkmcnt(9)
	ds_write_b16 v9, v8
	s_waitcnt vmcnt(8) lgkmcnt(9)
	ds_write_b16 v9, v10 offset:128
	s_waitcnt vmcnt(7) lgkmcnt(9)
	ds_write_b16 v9, v11 offset:256
	;; [unrolled: 2-line block ×9, first 2 shown]
	s_waitcnt lgkmcnt(0)
	s_barrier
	buffer_gl0_inv
	ds_read2_b32 v[5:6], v13 offset1:1
	ds_read_b32 v12, v13 offset:16
	ds_read2_b32 v[10:11], v13 offset0:2 offset1:3
	v_cndmask_b32_e64 v8, 0x10000, 0, vcc_lo
	v_cndmask_b32_e64 v1, 0x10000, 0, s3
	v_cmp_eq_u16_e32 vcc_lo, 0, v2
	v_cmp_eq_u16_sdwa s3, v2, v19 src0_sel:WORD_1 src1_sel:DWORD
	v_cndmask_b32_e64 v13, 0x10000, 0, vcc_lo
	v_cndmask_b32_e64 v14, 0x10000, 0, s3
	v_cmp_eq_u16_e32 vcc_lo, 0, v3
	v_cmp_eq_u16_sdwa s3, v3, v19 src0_sel:WORD_1 src1_sel:DWORD
	;; [unrolled: 4-line block ×3, first 2 shown]
	s_waitcnt lgkmcnt(2)
	v_or_b32_sdwa v1, v1, v5 dst_sel:DWORD dst_unused:UNUSED_PAD src0_sel:DWORD src1_sel:WORD_1
	v_or_b32_sdwa v2, v8, v5 dst_sel:DWORD dst_unused:UNUSED_PAD src0_sel:DWORD src1_sel:WORD_0
	v_or_b32_sdwa v27, v14, v6 dst_sel:DWORD dst_unused:UNUSED_PAD src0_sel:DWORD src1_sel:WORD_1
	v_cndmask_b32_e64 v16, 0x10000, 0, vcc_lo
	v_cndmask_b32_e64 v4, 0x10000, 0, s3
	v_cmp_eq_u16_e32 vcc_lo, 0, v7
	v_or_b32_sdwa v28, v13, v6 dst_sel:DWORD dst_unused:UNUSED_PAD src0_sel:DWORD src1_sel:WORD_0
	s_waitcnt lgkmcnt(0)
	v_or_b32_sdwa v8, v3, v10 dst_sel:DWORD dst_unused:UNUSED_PAD src0_sel:DWORD src1_sel:WORD_1
	v_or_b32_sdwa v25, v15, v10 dst_sel:DWORD dst_unused:UNUSED_PAD src0_sel:DWORD src1_sel:WORD_0
	v_or_b32_sdwa v5, v4, v11 dst_sel:DWORD dst_unused:UNUSED_PAD src0_sel:DWORD src1_sel:WORD_1
	v_cndmask_b32_e64 v17, 0x10000, 0, vcc_lo
	v_or_b32_sdwa v6, v16, v11 dst_sel:DWORD dst_unused:UNUSED_PAD src0_sel:DWORD src1_sel:WORD_0
	v_lshrrev_b32_e32 v7, 16, v12
	v_mov_b32_e32 v20, v2
	v_mov_b32_e32 v21, v1
	v_and_or_b32 v13, 0xffff, v12, v17
	v_mov_b32_e32 v19, v28
	v_mov_b32_e32 v18, v27
	;; [unrolled: 1-line block ×6, first 2 shown]
.LBB856_57:
	v_mov_b32_e32 v10, 0
	s_and_saveexec_b32 s3, s5
	s_cbranch_execz .LBB856_59
; %bb.58:
	v_cmp_eq_u16_e32 vcc_lo, 0, v22
	v_mov_b32_e32 v16, v5
	v_mov_b32_e32 v14, v6
	;; [unrolled: 1-line block ×4, first 2 shown]
	v_cndmask_b32_e64 v3, 0x10000, 0, vcc_lo
	v_mov_b32_e32 v18, v27
	v_mov_b32_e32 v19, v28
	v_mov_b32_e32 v21, v1
	v_mov_b32_e32 v20, v2
	v_or_b32_sdwa v10, v3, v7 dst_sel:DWORD dst_unused:UNUSED_PAD src0_sel:DWORD src1_sel:WORD_0
.LBB856_59:
	s_or_b32 exec_lo, exec_lo, s3
	v_or3_b32 v1, v16, v13, v14
	v_cmp_gt_u32_e64 s11, 0x10000, v21
	v_cmp_gt_u32_e64 s10, 0x10000, v19
	;; [unrolled: 1-line block ×8, first 2 shown]
	v_or3_b32 v12, v1, v15, v17
	v_cmp_gt_u32_e64 s4, 0x10000, v10
	v_lshrrev_b32_e32 v11, 3, v0
	s_cmp_lg_u32 s30, 0
	v_cmp_gt_u32_e32 vcc_lo, 32, v0
	s_barrier
	buffer_gl0_inv
	s_cbranch_scc0 .LBB856_109
; %bb.60:
	v_cndmask_b32_e64 v1, 0, v20, s11
	v_or3_b32 v2, v12, v18, v19
	v_and_b32_e32 v3, 4, v11
	v_lshrrev_b32_e32 v22, 16, v20
	v_add_nc_u16 v1, v1, v21
	v_or3_b32 v2, v2, v21, v10
	v_lshl_add_u32 v3, v0, 2, v3
	v_cndmask_b32_e64 v1, 0, v1, s10
	v_and_b32_e32 v2, 0xff0000, v2
	v_add_nc_u16 v1, v1, v19
	v_cmp_eq_u32_e64 s12, 0, v2
	v_cndmask_b32_e64 v1, 0, v1, s9
	v_cndmask_b32_e64 v23, 1, v22, s12
	v_add_nc_u16 v1, v1, v18
	v_cndmask_b32_e64 v1, 0, v1, s8
	v_add_nc_u16 v1, v1, v17
	;; [unrolled: 2-line block ×7, first 2 shown]
	ds_write_b8 v3, v23 offset:2
	ds_write_b16 v3, v24
	s_waitcnt lgkmcnt(0)
	s_barrier
	buffer_gl0_inv
	s_and_saveexec_b32 s13, vcc_lo
	s_cbranch_execz .LBB856_72
; %bb.61:
	v_lshrrev_b32_e32 v1, 2, v0
	v_lshlrev_b32_e32 v2, 3, v0
	s_mov_b32 s20, exec_lo
	v_and_b32_e32 v1, 12, v1
	v_add_nc_u32_e32 v1, v1, v2
	ds_read_u8 v3, v1 offset:6
	ds_read_b32 v2, v1
	ds_read_u16 v4, v1 offset:4
	s_waitcnt lgkmcnt(2)
	v_cmp_eq_u16_e64 s12, 0, v3
	v_and_b32_e32 v6, 1, v3
	s_waitcnt lgkmcnt(1)
	v_and_b32_e32 v3, 0x10000, v2
	v_cndmask_b32_e64 v5, 0, v2, s12
	v_cmp_eq_u32_e64 s12, 1, v6
	v_mbcnt_lo_u32_b32 v6, -1, 0
	s_waitcnt lgkmcnt(0)
	v_add_nc_u16 v5, v5, v4
	v_and_b32_e32 v4, 0xff000000, v2
	v_cndmask_b32_e64 v7, v3, 0x10000, s12
	v_and_b32_e32 v8, 0xffff, v5
	v_or_b32_e32 v25, v7, v4
	v_or3_b32 v26, v4, v8, v7
	v_and_b32_e32 v7, 15, v6
	v_lshrrev_b32_e32 v8, 16, v25
	v_mov_b32_dpp v27, v26 row_shr:1 row_mask:0xf bank_mask:0xf
	v_cmpx_ne_u32_e32 0, v7
	s_cbranch_execz .LBB856_63
; %bb.62:
	v_mov_b32_e32 v8, 0xff
	v_mov_b32_e32 v26, 1
	v_and_b32_sdwa v8, v25, v8 dst_sel:DWORD dst_unused:UNUSED_PAD src0_sel:WORD_1 src1_sel:DWORD
	v_and_b32_e32 v25, 0x10000, v25
	v_and_b32_sdwa v26, v27, v26 dst_sel:DWORD dst_unused:UNUSED_PAD src0_sel:WORD_1 src1_sel:DWORD
	v_cmp_eq_u16_e64 s12, 0, v8
	v_cndmask_b32_e64 v27, 0, v27, s12
	v_cmp_ne_u32_e64 s12, 0, v25
	v_add_nc_u16 v5, v27, v5
	v_cndmask_b32_e64 v8, v26, 1, s12
	v_and_b32_e32 v26, 0xffff, v5
	v_lshlrev_b32_e32 v25, 16, v8
	v_or3_b32 v26, v25, v26, v4
.LBB856_63:
	s_or_b32 exec_lo, exec_lo, s20
	v_lshrrev_b32_e32 v25, 16, v26
	v_mov_b32_dpp v27, v26 row_shr:2 row_mask:0xf bank_mask:0xf
	s_mov_b32 s20, exec_lo
	v_cmpx_lt_u32_e32 1, v7
	s_cbranch_execz .LBB856_65
; %bb.64:
	v_mov_b32_e32 v28, 0
	v_mov_b32_e32 v8, 1
	v_and_b32_e32 v26, 0x10000, v26
	v_cmp_eq_u16_sdwa s12, v25, v28 src0_sel:BYTE_0 src1_sel:DWORD
	v_and_b32_sdwa v8, v27, v8 dst_sel:DWORD dst_unused:UNUSED_PAD src0_sel:WORD_1 src1_sel:DWORD
	v_cndmask_b32_e64 v25, 0, v27, s12
	v_cmp_ne_u32_e64 s12, 0, v26
	v_add_nc_u16 v5, v25, v5
	v_cndmask_b32_e64 v8, v8, 1, s12
	v_and_b32_e32 v26, 0xffff, v5
	v_lshlrev_b32_e32 v25, 16, v8
	v_or3_b32 v26, v25, v26, v4
	v_mov_b32_e32 v25, v8
.LBB856_65:
	s_or_b32 exec_lo, exec_lo, s20
	v_mov_b32_dpp v27, v26 row_shr:4 row_mask:0xf bank_mask:0xf
	s_mov_b32 s20, exec_lo
	v_cmpx_lt_u32_e32 3, v7
	s_cbranch_execz .LBB856_67
; %bb.66:
	v_mov_b32_e32 v26, 0
	v_mov_b32_e32 v8, 1
	v_and_b32_e32 v28, 1, v25
	v_cmp_eq_u16_sdwa s12, v25, v26 src0_sel:BYTE_0 src1_sel:DWORD
	v_and_b32_sdwa v8, v27, v8 dst_sel:DWORD dst_unused:UNUSED_PAD src0_sel:WORD_1 src1_sel:DWORD
	v_cndmask_b32_e64 v25, 0, v27, s12
	v_cmp_eq_u32_e64 s12, 1, v28
	v_add_nc_u16 v5, v25, v5
	v_cndmask_b32_e64 v8, v8, 1, s12
	v_and_b32_e32 v26, 0xffff, v5
	v_lshlrev_b32_e32 v25, 16, v8
	v_or3_b32 v26, v25, v26, v4
	v_mov_b32_e32 v25, v8
.LBB856_67:
	s_or_b32 exec_lo, exec_lo, s20
	v_mov_b32_dpp v27, v26 row_shr:8 row_mask:0xf bank_mask:0xf
	s_mov_b32 s20, exec_lo
	v_cmpx_lt_u32_e32 7, v7
	s_cbranch_execz .LBB856_69
; %bb.68:
	v_mov_b32_e32 v8, 0
	v_mov_b32_e32 v7, 1
	v_and_b32_e32 v26, 1, v25
	v_cmp_eq_u16_sdwa s12, v25, v8 src0_sel:BYTE_0 src1_sel:DWORD
	v_and_b32_sdwa v7, v27, v7 dst_sel:DWORD dst_unused:UNUSED_PAD src0_sel:WORD_1 src1_sel:DWORD
	v_cndmask_b32_e64 v25, 0, v27, s12
	v_cmp_eq_u32_e64 s12, 1, v26
	v_add_nc_u16 v5, v25, v5
	v_cndmask_b32_e64 v8, v7, 1, s12
	v_and_b32_e32 v25, 0xffff, v5
	v_lshlrev_b32_e32 v7, 16, v8
	v_or3_b32 v26, v7, v25, v4
	v_mov_b32_e32 v25, v8
.LBB856_69:
	s_or_b32 exec_lo, exec_lo, s20
	ds_swizzle_b32 v7, v26 offset:swizzle(BROADCAST,32,15)
	v_and_b32_e32 v26, 16, v6
	s_mov_b32 s20, exec_lo
	v_cmpx_ne_u32_e32 0, v26
	s_cbranch_execz .LBB856_71
; %bb.70:
	v_mov_b32_e32 v8, 0
	v_mov_b32_e32 v26, 1
	v_cmp_eq_u16_sdwa s12, v25, v8 src0_sel:BYTE_0 src1_sel:DWORD
	v_and_b32_e32 v25, 1, v25
	s_waitcnt lgkmcnt(0)
	v_cndmask_b32_e64 v8, 0, v7, s12
	v_and_b32_sdwa v7, v7, v26 dst_sel:DWORD dst_unused:UNUSED_PAD src0_sel:WORD_1 src1_sel:DWORD
	v_cmp_eq_u32_e64 s12, 1, v25
	v_add_nc_u16 v5, v8, v5
	v_cndmask_b32_e64 v8, v7, 1, s12
.LBB856_71:
	s_or_b32 exec_lo, exec_lo, s20
	s_waitcnt lgkmcnt(0)
	v_and_b32_e32 v7, 0xff, v8
	v_add_nc_u32_e32 v8, -1, v6
	v_and_b32_e32 v5, 0xffff, v5
	; wave barrier
	v_lshlrev_b32_e32 v7, 16, v7
	v_cmp_gt_i32_e64 s12, 0, v8
	v_or3_b32 v4, v7, v5, v4
	v_cndmask_b32_e64 v6, v8, v6, s12
	v_lshlrev_b32_e32 v5, 2, v6
	v_mov_b32_e32 v6, 1
	ds_bpermute_b32 v4, v5, v4
	v_and_b32_e32 v5, 0xff0000, v2
	v_cmp_eq_u32_e64 s12, 0, v5
	s_waitcnt lgkmcnt(0)
	v_cndmask_b32_e64 v5, 0, v4, s12
	v_and_b32_sdwa v4, v4, v6 dst_sel:DWORD dst_unused:UNUSED_PAD src0_sel:WORD_1 src1_sel:DWORD
	v_cmp_eq_u32_e64 s12, 0, v3
	v_add_nc_u16 v2, v5, v2
	v_cndmask_b32_e64 v3, 1, v4, s12
	v_cndmask_b32_e64 v2, v2, v24, s0
	;; [unrolled: 1-line block ×3, first 2 shown]
	ds_write_b16 v1, v2
	ds_write_b8 v1, v3 offset:2
	; wave barrier
	ds_read_u8 v4, v1 offset:6
	ds_read_u16 v5, v1 offset:4
	s_waitcnt lgkmcnt(1)
	v_cmp_eq_u16_e64 s12, 0, v4
	v_and_b32_e32 v4, 1, v4
	v_cndmask_b32_e64 v2, 0, v2, s12
	v_cmp_eq_u32_e64 s12, 1, v4
	s_waitcnt lgkmcnt(0)
	v_add_nc_u16 v2, v2, v5
	v_cndmask_b32_e64 v3, v3, 1, s12
	ds_write_b16 v1, v2 offset:4
	ds_write_b8 v1, v3 offset:6
.LBB856_72:
	s_or_b32 exec_lo, exec_lo, s13
	s_waitcnt lgkmcnt(0)
	s_barrier
	buffer_gl0_inv
	s_and_saveexec_b32 s12, s2
	s_cbranch_execz .LBB856_74
; %bb.73:
	v_add_nc_u32_e32 v1, -1, v0
	v_lshrrev_b32_e32 v2, 3, v1
	v_and_b32_e32 v2, 0x1ffffffc, v2
	v_lshl_add_u32 v1, v1, 2, v2
	ds_read_u16 v24, v1
	ds_read_u8 v23, v1 offset:2
.LBB856_74:
	s_or_b32 exec_lo, exec_lo, s12
	s_and_saveexec_b32 s13, vcc_lo
	s_cbranch_execz .LBB856_114
; %bb.75:
	v_mov_b32_e32 v6, 0
	v_mbcnt_lo_u32_b32 v25, -1, 0
	s_mov_b32 s21, 0
	ds_read_b32 v1, v6 offset:256
	v_cmp_eq_u32_e64 s12, 0, v25
	s_and_saveexec_b32 s31, s12
	s_cbranch_execz .LBB856_77
; %bb.76:
	s_add_i32 s20, s30, 32
	v_mov_b32_e32 v2, 1
	s_lshl_b64 s[20:21], s[20:21], 3
	s_add_u32 s20, s16, s20
	s_addc_u32 s21, s17, s21
	s_waitcnt lgkmcnt(0)
	global_store_dwordx2 v6, v[1:2], s[20:21]
.LBB856_77:
	s_or_b32 exec_lo, exec_lo, s31
	v_xad_u32 v2, v25, -1, s30
	v_add_nc_u32_e32 v5, 32, v2
	v_lshlrev_b64 v[3:4], 3, v[5:6]
	v_add_co_u32 v7, vcc_lo, s16, v3
	v_add_co_ci_u32_e64 v8, null, s17, v4, vcc_lo
	global_load_dwordx2 v[4:5], v[7:8], off glc dlc
	s_waitcnt vmcnt(0)
	v_cmp_eq_u16_sdwa s21, v5, v6 src0_sel:BYTE_0 src1_sel:DWORD
	s_and_saveexec_b32 s20, s21
	s_cbranch_execz .LBB856_81
; %bb.78:
	v_mov_b32_e32 v3, 0
	s_mov_b32 s21, 0
.LBB856_79:                             ; =>This Inner Loop Header: Depth=1
	global_load_dwordx2 v[4:5], v[7:8], off glc dlc
	s_waitcnt vmcnt(0)
	v_cmp_ne_u16_sdwa s31, v5, v3 src0_sel:BYTE_0 src1_sel:DWORD
	s_or_b32 s21, s31, s21
	s_andn2_b32 exec_lo, exec_lo, s21
	s_cbranch_execnz .LBB856_79
; %bb.80:
	s_or_b32 exec_lo, exec_lo, s21
.LBB856_81:
	s_or_b32 exec_lo, exec_lo, s20
	v_cmp_ne_u32_e32 vcc_lo, 31, v25
	v_and_b32_e32 v33, 0xffffff, v4
	v_mov_b32_e32 v6, 2
	v_lshlrev_b32_e64 v26, v25, -1
	v_bfe_u32 v7, v4, 16, 8
	v_add_co_ci_u32_e64 v3, null, 0, v25, vcc_lo
	v_cmp_eq_u16_sdwa s20, v5, v6 src0_sel:BYTE_0 src1_sel:DWORD
	v_lshrrev_b32_e32 v6, 16, v4
	v_lshlrev_b32_e32 v8, 2, v3
	v_and_or_b32 v3, s20, v26, 0x80000000
	s_mov_b32 s20, exec_lo
	ds_bpermute_b32 v27, v8, v33
	v_ffbl_b32_e32 v3, v3
	v_cmpx_lt_u32_e64 v25, v3
	s_cbranch_execz .LBB856_83
; %bb.82:
	v_and_b32_e32 v6, 0xff0000, v4
	v_mov_b32_e32 v7, 1
	v_and_b32_e32 v28, 0x10000, v6
	v_cmp_eq_u32_e32 vcc_lo, 0, v6
	s_waitcnt lgkmcnt(0)
	v_and_b32_sdwa v7, v27, v7 dst_sel:DWORD dst_unused:UNUSED_PAD src0_sel:WORD_1 src1_sel:DWORD
	v_cndmask_b32_e32 v27, 0, v27, vcc_lo
	v_cmp_ne_u32_e32 vcc_lo, 0, v28
	v_add_nc_u16 v4, v27, v4
	v_cndmask_b32_e64 v6, v7, 1, vcc_lo
	v_lshlrev_b32_e32 v7, 16, v6
	v_or_b32_sdwa v33, v7, v4 dst_sel:DWORD dst_unused:UNUSED_PAD src0_sel:DWORD src1_sel:WORD_0
	v_mov_b32_e32 v7, v6
.LBB856_83:
	s_or_b32 exec_lo, exec_lo, s20
	v_cmp_gt_u32_e32 vcc_lo, 30, v25
	v_add_nc_u32_e32 v28, 2, v25
	s_mov_b32 s20, exec_lo
	s_waitcnt lgkmcnt(0)
	v_cndmask_b32_e64 v27, 0, 2, vcc_lo
	v_add_lshl_u32 v27, v27, v25, 2
	ds_bpermute_b32 v29, v27, v33
	v_cmpx_le_u32_e64 v28, v3
	s_cbranch_execz .LBB856_85
; %bb.84:
	v_mov_b32_e32 v6, 1
	v_and_b32_e32 v30, 1, v7
	v_cmp_eq_u16_e32 vcc_lo, 0, v7
	s_waitcnt lgkmcnt(0)
	v_and_b32_sdwa v6, v29, v6 dst_sel:DWORD dst_unused:UNUSED_PAD src0_sel:WORD_1 src1_sel:DWORD
	v_cndmask_b32_e32 v7, 0, v29, vcc_lo
	v_cmp_eq_u32_e32 vcc_lo, 1, v30
	v_add_nc_u16 v4, v7, v4
	v_cndmask_b32_e64 v6, v6, 1, vcc_lo
	v_lshlrev_b32_e32 v7, 16, v6
	v_or_b32_sdwa v33, v7, v4 dst_sel:DWORD dst_unused:UNUSED_PAD src0_sel:DWORD src1_sel:WORD_0
	v_mov_b32_e32 v7, v6
.LBB856_85:
	s_or_b32 exec_lo, exec_lo, s20
	v_cmp_gt_u32_e32 vcc_lo, 28, v25
	v_add_nc_u32_e32 v30, 4, v25
	s_mov_b32 s20, exec_lo
	s_waitcnt lgkmcnt(0)
	v_cndmask_b32_e64 v29, 0, 4, vcc_lo
	v_add_lshl_u32 v29, v29, v25, 2
	ds_bpermute_b32 v31, v29, v33
	v_cmpx_le_u32_e64 v30, v3
	s_cbranch_execz .LBB856_87
; %bb.86:
	v_mov_b32_e32 v6, 1
	v_and_b32_e32 v32, 1, v7
	v_cmp_eq_u16_e32 vcc_lo, 0, v7
	s_waitcnt lgkmcnt(0)
	v_and_b32_sdwa v6, v31, v6 dst_sel:DWORD dst_unused:UNUSED_PAD src0_sel:WORD_1 src1_sel:DWORD
	v_cndmask_b32_e32 v7, 0, v31, vcc_lo
	v_cmp_eq_u32_e32 vcc_lo, 1, v32
	v_add_nc_u16 v4, v7, v4
	v_cndmask_b32_e64 v6, v6, 1, vcc_lo
	v_lshlrev_b32_e32 v7, 16, v6
	v_or_b32_sdwa v33, v7, v4 dst_sel:DWORD dst_unused:UNUSED_PAD src0_sel:DWORD src1_sel:WORD_0
	v_mov_b32_e32 v7, v6
.LBB856_87:
	;; [unrolled: 24-line block ×3, first 2 shown]
	s_or_b32 exec_lo, exec_lo, s20
	v_lshl_or_b32 v35, v25, 2, 64
	v_add_nc_u32_e32 v36, 16, v25
	s_mov_b32 s20, exec_lo
	ds_bpermute_b32 v33, v35, v33
	v_cmpx_le_u32_e64 v36, v3
	s_cbranch_execz .LBB856_91
; %bb.90:
	v_mov_b32_e32 v3, 1
	v_cmp_eq_u16_e32 vcc_lo, 0, v7
	v_and_b32_e32 v7, 1, v7
	s_waitcnt lgkmcnt(0)
	v_and_b32_sdwa v3, v33, v3 dst_sel:DWORD dst_unused:UNUSED_PAD src0_sel:WORD_1 src1_sel:DWORD
	v_cndmask_b32_e32 v6, 0, v33, vcc_lo
	v_cmp_eq_u32_e32 vcc_lo, 1, v7
	v_add_nc_u16 v4, v6, v4
	v_cndmask_b32_e64 v6, v3, 1, vcc_lo
.LBB856_91:
	s_or_b32 exec_lo, exec_lo, s20
	v_mov_b32_e32 v3, 0
	v_mov_b32_e32 v37, 2
	v_mov_b32_e32 v38, 1
	s_branch .LBB856_94
.LBB856_92:                             ;   in Loop: Header=BB856_94 Depth=1
	s_or_b32 exec_lo, exec_lo, s20
	v_cmp_eq_u16_sdwa vcc_lo, v33, v3 src0_sel:BYTE_0 src1_sel:DWORD
	v_and_b32_e32 v6, 1, v33
	v_and_b32_e32 v7, 1, v7
	v_subrev_nc_u32_e32 v2, 32, v2
	s_mov_b32 s20, 0
	v_cndmask_b32_e32 v4, 0, v4, vcc_lo
	v_cmp_eq_u32_e32 vcc_lo, 1, v6
	v_add_nc_u16 v4, v4, v34
	v_cndmask_b32_e64 v6, v7, 1, vcc_lo
.LBB856_93:                             ;   in Loop: Header=BB856_94 Depth=1
	s_and_b32 vcc_lo, exec_lo, s20
	s_cbranch_vccnz .LBB856_110
.LBB856_94:                             ; =>This Loop Header: Depth=1
                                        ;     Child Loop BB856_97 Depth 2
	v_cmp_ne_u16_sdwa s20, v5, v37 src0_sel:BYTE_0 src1_sel:DWORD
	s_waitcnt lgkmcnt(0)
	v_mov_b32_e32 v33, v6
	v_mov_b32_e32 v34, v4
                                        ; implicit-def: $vgpr6
                                        ; implicit-def: $vgpr4
	s_cmp_lg_u32 s20, exec_lo
	s_mov_b32 s20, -1
	s_cbranch_scc1 .LBB856_93
; %bb.95:                               ;   in Loop: Header=BB856_94 Depth=1
	v_lshlrev_b64 v[4:5], 3, v[2:3]
	v_add_co_u32 v6, vcc_lo, s16, v4
	v_add_co_ci_u32_e64 v7, null, s17, v5, vcc_lo
	global_load_dwordx2 v[4:5], v[6:7], off glc dlc
	s_waitcnt vmcnt(0)
	v_cmp_eq_u16_sdwa s21, v5, v3 src0_sel:BYTE_0 src1_sel:DWORD
	s_and_saveexec_b32 s20, s21
	s_cbranch_execz .LBB856_99
; %bb.96:                               ;   in Loop: Header=BB856_94 Depth=1
	s_mov_b32 s21, 0
.LBB856_97:                             ;   Parent Loop BB856_94 Depth=1
                                        ; =>  This Inner Loop Header: Depth=2
	global_load_dwordx2 v[4:5], v[6:7], off glc dlc
	s_waitcnt vmcnt(0)
	v_cmp_ne_u16_sdwa s31, v5, v3 src0_sel:BYTE_0 src1_sel:DWORD
	s_or_b32 s21, s31, s21
	s_andn2_b32 exec_lo, exec_lo, s21
	s_cbranch_execnz .LBB856_97
; %bb.98:                               ;   in Loop: Header=BB856_94 Depth=1
	s_or_b32 exec_lo, exec_lo, s21
.LBB856_99:                             ;   in Loop: Header=BB856_94 Depth=1
	s_or_b32 exec_lo, exec_lo, s20
	v_and_b32_e32 v40, 0xffffff, v4
	v_cmp_eq_u16_sdwa s20, v5, v37 src0_sel:BYTE_0 src1_sel:DWORD
	v_lshrrev_b32_e32 v7, 16, v4
	v_bfe_u32 v39, v4, 16, 8
	ds_bpermute_b32 v41, v8, v40
	v_and_or_b32 v6, s20, v26, 0x80000000
	s_mov_b32 s20, exec_lo
	v_ffbl_b32_e32 v6, v6
	v_cmpx_lt_u32_e64 v25, v6
	s_cbranch_execz .LBB856_101
; %bb.100:                              ;   in Loop: Header=BB856_94 Depth=1
	v_and_b32_e32 v7, 0xff0000, v4
	s_waitcnt lgkmcnt(0)
	v_and_b32_sdwa v40, v41, v38 dst_sel:DWORD dst_unused:UNUSED_PAD src0_sel:WORD_1 src1_sel:DWORD
	v_and_b32_e32 v39, 0x10000, v7
	v_cmp_eq_u32_e32 vcc_lo, 0, v7
	v_cndmask_b32_e32 v41, 0, v41, vcc_lo
	v_cmp_ne_u32_e32 vcc_lo, 0, v39
	v_add_nc_u16 v4, v41, v4
	v_cndmask_b32_e64 v7, v40, 1, vcc_lo
	v_lshlrev_b32_e32 v39, 16, v7
	v_or_b32_sdwa v40, v39, v4 dst_sel:DWORD dst_unused:UNUSED_PAD src0_sel:DWORD src1_sel:WORD_0
	v_mov_b32_e32 v39, v7
.LBB856_101:                            ;   in Loop: Header=BB856_94 Depth=1
	s_or_b32 exec_lo, exec_lo, s20
	s_waitcnt lgkmcnt(0)
	ds_bpermute_b32 v41, v27, v40
	s_mov_b32 s20, exec_lo
	v_cmpx_le_u32_e64 v28, v6
	s_cbranch_execz .LBB856_103
; %bb.102:                              ;   in Loop: Header=BB856_94 Depth=1
	v_and_b32_e32 v7, 1, v39
	v_cmp_eq_u16_e32 vcc_lo, 0, v39
	s_waitcnt lgkmcnt(0)
	v_and_b32_sdwa v40, v41, v38 dst_sel:DWORD dst_unused:UNUSED_PAD src0_sel:WORD_1 src1_sel:DWORD
	v_cndmask_b32_e32 v39, 0, v41, vcc_lo
	v_cmp_eq_u32_e32 vcc_lo, 1, v7
	v_add_nc_u16 v4, v39, v4
	v_cndmask_b32_e64 v7, v40, 1, vcc_lo
	v_lshlrev_b32_e32 v39, 16, v7
	v_or_b32_sdwa v40, v39, v4 dst_sel:DWORD dst_unused:UNUSED_PAD src0_sel:DWORD src1_sel:WORD_0
	v_mov_b32_e32 v39, v7
.LBB856_103:                            ;   in Loop: Header=BB856_94 Depth=1
	s_or_b32 exec_lo, exec_lo, s20
	s_waitcnt lgkmcnt(0)
	ds_bpermute_b32 v41, v29, v40
	s_mov_b32 s20, exec_lo
	v_cmpx_le_u32_e64 v30, v6
	s_cbranch_execz .LBB856_105
; %bb.104:                              ;   in Loop: Header=BB856_94 Depth=1
	v_and_b32_e32 v7, 1, v39
	v_cmp_eq_u16_e32 vcc_lo, 0, v39
	s_waitcnt lgkmcnt(0)
	v_and_b32_sdwa v40, v41, v38 dst_sel:DWORD dst_unused:UNUSED_PAD src0_sel:WORD_1 src1_sel:DWORD
	v_cndmask_b32_e32 v39, 0, v41, vcc_lo
	v_cmp_eq_u32_e32 vcc_lo, 1, v7
	v_add_nc_u16 v4, v39, v4
	v_cndmask_b32_e64 v7, v40, 1, vcc_lo
	v_lshlrev_b32_e32 v39, 16, v7
	v_or_b32_sdwa v40, v39, v4 dst_sel:DWORD dst_unused:UNUSED_PAD src0_sel:DWORD src1_sel:WORD_0
	v_mov_b32_e32 v39, v7
.LBB856_105:                            ;   in Loop: Header=BB856_94 Depth=1
	;; [unrolled: 19-line block ×3, first 2 shown]
	s_or_b32 exec_lo, exec_lo, s20
	ds_bpermute_b32 v40, v35, v40
	s_mov_b32 s20, exec_lo
	v_cmpx_le_u32_e64 v36, v6
	s_cbranch_execz .LBB856_92
; %bb.108:                              ;   in Loop: Header=BB856_94 Depth=1
	v_cmp_eq_u16_e32 vcc_lo, 0, v39
	v_and_b32_e32 v7, 1, v39
	s_waitcnt lgkmcnt(0)
	v_lshrrev_b32_e32 v39, 16, v40
	v_cndmask_b32_e32 v6, 0, v40, vcc_lo
	v_cmp_eq_u32_e32 vcc_lo, 1, v7
	v_add_nc_u16 v4, v6, v4
	v_cndmask_b32_e64 v7, v39, 1, vcc_lo
	s_branch .LBB856_92
.LBB856_109:
                                        ; implicit-def: $vgpr25
                                        ; implicit-def: $vgpr3
                                        ; implicit-def: $vgpr4
                                        ; implicit-def: $vgpr5
                                        ; implicit-def: $vgpr6
                                        ; implicit-def: $vgpr7
                                        ; implicit-def: $vgpr8
                                        ; implicit-def: $vgpr22
                                        ; implicit-def: $vgpr23
                                        ; implicit-def: $vgpr24
	s_cbranch_execnz .LBB856_115
	s_branch .LBB856_134
.LBB856_110:
	s_and_saveexec_b32 s20, s12
	s_cbranch_execz .LBB856_112
; %bb.111:
	v_and_b32_e32 v2, 0xff0000, v1
	v_mov_b32_e32 v3, 1
	v_and_b32_e32 v4, 0x10000, v1
	s_mov_b32 s31, 0
	s_add_i32 s30, s30, 32
	v_cmp_eq_u32_e32 vcc_lo, 0, v2
	v_and_b32_sdwa v3, v33, v3 dst_sel:WORD_1 dst_unused:UNUSED_PAD src0_sel:DWORD src1_sel:DWORD
	s_lshl_b64 s[30:31], s[30:31], 3
	s_add_u32 s30, s16, s30
	v_cndmask_b32_e32 v2, 0, v34, vcc_lo
	v_cmp_eq_u32_e32 vcc_lo, 0, v4
	s_addc_u32 s31, s17, s31
	v_add_nc_u16 v1, v2, v1
	v_cndmask_b32_e32 v2, 0x10000, v3, vcc_lo
	v_mov_b32_e32 v3, 0
	v_or_b32_sdwa v1, v2, v1 dst_sel:DWORD dst_unused:UNUSED_PAD src0_sel:DWORD src1_sel:WORD_0
	v_mov_b32_e32 v2, 2
	global_store_dwordx2 v3, v[1:2], s[30:31]
.LBB856_112:
	s_or_b32 exec_lo, exec_lo, s20
	s_and_b32 exec_lo, exec_lo, s0
	s_cbranch_execz .LBB856_114
; %bb.113:
	v_mov_b32_e32 v1, 0
	ds_write_b16 v1, v34
	ds_write_b8 v1, v33 offset:2
.LBB856_114:
	s_or_b32 exec_lo, exec_lo, s13
	v_mov_b32_e32 v1, 0
	v_and_b32_e32 v3, 0x10000, v20
	v_cmp_gt_u32_e32 vcc_lo, 0x10000, v20
	s_waitcnt lgkmcnt(0)
	s_waitcnt_vscnt null, 0x0
	s_barrier
	buffer_gl0_inv
	ds_read_b32 v2, v1
	v_cndmask_b32_e32 v4, 0, v24, vcc_lo
	v_cmp_ne_u32_e32 vcc_lo, 0, v3
	v_cndmask_b32_e64 v4, v4, 0, s0
	v_cndmask_b32_e64 v3, v23, 1, vcc_lo
	v_add_nc_u16 v4, v4, v20
	v_cndmask_b32_e64 v3, v3, v22, s0
	v_cmp_eq_u16_sdwa vcc_lo, v3, v1 src0_sel:BYTE_0 src1_sel:DWORD
	s_waitcnt lgkmcnt(0)
	v_cndmask_b32_e32 v1, 0, v2, vcc_lo
	v_add_nc_u16 v1, v4, v1
	v_cndmask_b32_e64 v2, 0, v1, s11
	v_and_b32_e32 v25, 0xffff, v1
	v_add_nc_u16 v3, v2, v21
	v_cndmask_b32_e64 v2, 0, v3, s10
	v_add_nc_u16 v4, v2, v19
	v_cndmask_b32_e64 v2, 0, v4, s9
	;; [unrolled: 2-line block ×8, first 2 shown]
	v_add_nc_u16 v24, v2, v10
	s_branch .LBB856_134
.LBB856_115:
	s_cmp_lg_u64 s[28:29], 0
	s_cselect_b32 s3, -1, 0
	s_cmp_lg_u64 s[22:23], 0
	s_cselect_b32 s4, -1, 0
	s_and_b32 s3, s3, s4
	s_and_b32 s4, s0, s3
	s_and_saveexec_b32 s3, s4
	s_cbranch_execz .LBB856_117
; %bb.116:
	v_mov_b32_e32 v1, 0
	v_mov_b32_e32 v3, 1
	v_cmp_gt_u32_e32 vcc_lo, 0x10000, v20
	v_and_b32_e32 v4, 0x10000, v20
	s_clause 0x1
	global_load_ushort v2, v1, s[22:23]
	global_load_ubyte v1, v1, s[22:23] offset:2
	s_waitcnt vmcnt(1)
	v_cndmask_b32_e32 v2, 0, v2, vcc_lo
	s_waitcnt vmcnt(0)
	v_and_b32_sdwa v1, v1, v3 dst_sel:WORD_1 dst_unused:UNUSED_PAD src0_sel:DWORD src1_sel:DWORD
	v_cmp_eq_u32_e32 vcc_lo, 0, v4
	v_add_nc_u16 v2, v2, v20
	v_cndmask_b32_e32 v1, 0x10000, v1, vcc_lo
	v_or_b32_sdwa v20, v1, v2 dst_sel:DWORD dst_unused:UNUSED_PAD src0_sel:DWORD src1_sel:WORD_0
.LBB856_117:
	s_or_b32 exec_lo, exec_lo, s3
	v_cmp_gt_u32_e32 vcc_lo, 0x10000, v21
	v_cmp_gt_u32_e64 s3, 0x10000, v19
	v_cmp_gt_u32_e64 s4, 0x10000, v18
	;; [unrolled: 1-line block ×4, first 2 shown]
	v_cndmask_b32_e32 v1, 0, v20, vcc_lo
	v_cmp_gt_u32_e64 s7, 0x10000, v14
	v_cmp_gt_u32_e64 s8, 0x10000, v16
	;; [unrolled: 1-line block ×4, first 2 shown]
	v_add_nc_u16 v3, v1, v21
	v_and_b32_e32 v11, 4, v11
	s_mov_b32 s12, exec_lo
	v_cndmask_b32_e64 v1, 0, v3, s3
	v_lshl_add_u32 v11, v0, 2, v11
	v_add_nc_u16 v4, v1, v19
	v_cndmask_b32_e64 v1, 0, v4, s4
	v_add_nc_u16 v5, v1, v18
	v_cndmask_b32_e64 v1, 0, v5, s5
	;; [unrolled: 2-line block ×5, first 2 shown]
	v_add_nc_u16 v22, v1, v16
	v_or3_b32 v1, v12, v18, v19
	v_cndmask_b32_e64 v2, 0, v22, s9
	v_or3_b32 v1, v1, v21, v10
	v_add_nc_u16 v23, v2, v13
	v_and_b32_e32 v1, 0xff0000, v1
	v_lshrrev_b32_e32 v2, 16, v20
	v_cndmask_b32_e64 v12, 0, v23, s10
	v_cmp_eq_u32_e64 s11, 0, v1
	v_add_nc_u16 v24, v12, v10
	v_cndmask_b32_e64 v1, 1, v2, s11
	ds_write_b8 v11, v1 offset:2
	ds_write_b16 v11, v24
	s_waitcnt lgkmcnt(0)
	s_barrier
	buffer_gl0_inv
	v_cmpx_gt_u32_e32 32, v0
	s_cbranch_execz .LBB856_129
; %bb.118:
	v_lshrrev_b32_e32 v2, 2, v0
	v_lshlrev_b32_e32 v11, 3, v0
	s_mov_b32 s13, exec_lo
	v_and_b32_e32 v2, 12, v2
	v_add_nc_u32_e32 v2, v2, v11
	ds_read_u8 v12, v2 offset:6
	ds_read_b32 v11, v2
	ds_read_u16 v25, v2 offset:4
	s_waitcnt lgkmcnt(2)
	v_cmp_eq_u16_e64 s11, 0, v12
	v_and_b32_e32 v27, 1, v12
	s_waitcnt lgkmcnt(1)
	v_and_b32_e32 v12, 0x10000, v11
	v_cndmask_b32_e64 v26, 0, v11, s11
	v_cmp_eq_u32_e64 s11, 1, v27
	v_mbcnt_lo_u32_b32 v27, -1, 0
	s_waitcnt lgkmcnt(0)
	v_add_nc_u16 v26, v26, v25
	v_and_b32_e32 v25, 0xff000000, v11
	v_cndmask_b32_e64 v28, v12, 0x10000, s11
	v_and_b32_e32 v29, 0xffff, v26
	v_or_b32_e32 v30, v28, v25
	v_or3_b32 v31, v25, v29, v28
	v_and_b32_e32 v28, 15, v27
	v_lshrrev_b32_e32 v29, 16, v30
	v_mov_b32_dpp v32, v31 row_shr:1 row_mask:0xf bank_mask:0xf
	v_cmpx_ne_u32_e32 0, v28
	s_cbranch_execz .LBB856_120
; %bb.119:
	v_mov_b32_e32 v29, 0xff
	v_mov_b32_e32 v31, 1
	v_and_b32_sdwa v29, v30, v29 dst_sel:DWORD dst_unused:UNUSED_PAD src0_sel:WORD_1 src1_sel:DWORD
	v_and_b32_e32 v30, 0x10000, v30
	v_and_b32_sdwa v31, v32, v31 dst_sel:DWORD dst_unused:UNUSED_PAD src0_sel:WORD_1 src1_sel:DWORD
	v_cmp_eq_u16_e64 s11, 0, v29
	v_cndmask_b32_e64 v32, 0, v32, s11
	v_cmp_ne_u32_e64 s11, 0, v30
	v_add_nc_u16 v26, v32, v26
	v_cndmask_b32_e64 v29, v31, 1, s11
	v_and_b32_e32 v31, 0xffff, v26
	v_lshlrev_b32_e32 v30, 16, v29
	v_or3_b32 v31, v30, v31, v25
.LBB856_120:
	s_or_b32 exec_lo, exec_lo, s13
	v_lshrrev_b32_e32 v30, 16, v31
	v_mov_b32_dpp v32, v31 row_shr:2 row_mask:0xf bank_mask:0xf
	s_mov_b32 s13, exec_lo
	v_cmpx_lt_u32_e32 1, v28
	s_cbranch_execz .LBB856_122
; %bb.121:
	v_mov_b32_e32 v33, 0
	v_mov_b32_e32 v29, 1
	v_and_b32_e32 v31, 0x10000, v31
	v_cmp_eq_u16_sdwa s11, v30, v33 src0_sel:BYTE_0 src1_sel:DWORD
	v_and_b32_sdwa v29, v32, v29 dst_sel:DWORD dst_unused:UNUSED_PAD src0_sel:WORD_1 src1_sel:DWORD
	v_cndmask_b32_e64 v30, 0, v32, s11
	v_cmp_ne_u32_e64 s11, 0, v31
	v_add_nc_u16 v26, v30, v26
	v_cndmask_b32_e64 v29, v29, 1, s11
	v_and_b32_e32 v31, 0xffff, v26
	v_lshlrev_b32_e32 v30, 16, v29
	v_or3_b32 v31, v30, v31, v25
	v_mov_b32_e32 v30, v29
.LBB856_122:
	s_or_b32 exec_lo, exec_lo, s13
	v_mov_b32_dpp v32, v31 row_shr:4 row_mask:0xf bank_mask:0xf
	s_mov_b32 s13, exec_lo
	v_cmpx_lt_u32_e32 3, v28
	s_cbranch_execz .LBB856_124
; %bb.123:
	v_mov_b32_e32 v31, 0
	v_mov_b32_e32 v29, 1
	v_and_b32_e32 v33, 1, v30
	v_cmp_eq_u16_sdwa s11, v30, v31 src0_sel:BYTE_0 src1_sel:DWORD
	v_and_b32_sdwa v29, v32, v29 dst_sel:DWORD dst_unused:UNUSED_PAD src0_sel:WORD_1 src1_sel:DWORD
	v_cndmask_b32_e64 v30, 0, v32, s11
	v_cmp_eq_u32_e64 s11, 1, v33
	v_add_nc_u16 v26, v30, v26
	v_cndmask_b32_e64 v29, v29, 1, s11
	v_and_b32_e32 v31, 0xffff, v26
	v_lshlrev_b32_e32 v30, 16, v29
	v_or3_b32 v31, v30, v31, v25
	v_mov_b32_e32 v30, v29
.LBB856_124:
	s_or_b32 exec_lo, exec_lo, s13
	v_mov_b32_dpp v32, v31 row_shr:8 row_mask:0xf bank_mask:0xf
	s_mov_b32 s13, exec_lo
	v_cmpx_lt_u32_e32 7, v28
	s_cbranch_execz .LBB856_126
; %bb.125:
	v_mov_b32_e32 v29, 0
	v_mov_b32_e32 v28, 1
	v_and_b32_e32 v31, 1, v30
	v_cmp_eq_u16_sdwa s11, v30, v29 src0_sel:BYTE_0 src1_sel:DWORD
	v_and_b32_sdwa v28, v32, v28 dst_sel:DWORD dst_unused:UNUSED_PAD src0_sel:WORD_1 src1_sel:DWORD
	v_cndmask_b32_e64 v30, 0, v32, s11
	v_cmp_eq_u32_e64 s11, 1, v31
	v_add_nc_u16 v26, v30, v26
	v_cndmask_b32_e64 v29, v28, 1, s11
	v_and_b32_e32 v30, 0xffff, v26
	v_lshlrev_b32_e32 v28, 16, v29
	v_or3_b32 v31, v28, v30, v25
	v_mov_b32_e32 v30, v29
.LBB856_126:
	s_or_b32 exec_lo, exec_lo, s13
	ds_swizzle_b32 v28, v31 offset:swizzle(BROADCAST,32,15)
	v_and_b32_e32 v31, 16, v27
	s_mov_b32 s13, exec_lo
	v_cmpx_ne_u32_e32 0, v31
	s_cbranch_execz .LBB856_128
; %bb.127:
	v_mov_b32_e32 v29, 0
	v_mov_b32_e32 v31, 1
	v_cmp_eq_u16_sdwa s11, v30, v29 src0_sel:BYTE_0 src1_sel:DWORD
	v_and_b32_e32 v30, 1, v30
	s_waitcnt lgkmcnt(0)
	v_cndmask_b32_e64 v29, 0, v28, s11
	v_and_b32_sdwa v28, v28, v31 dst_sel:DWORD dst_unused:UNUSED_PAD src0_sel:WORD_1 src1_sel:DWORD
	v_cmp_eq_u32_e64 s11, 1, v30
	v_add_nc_u16 v26, v29, v26
	v_cndmask_b32_e64 v29, v28, 1, s11
.LBB856_128:
	s_or_b32 exec_lo, exec_lo, s13
	s_waitcnt lgkmcnt(0)
	v_and_b32_e32 v28, 0xff, v29
	v_add_nc_u32_e32 v29, -1, v27
	v_and_b32_e32 v26, 0xffff, v26
	; wave barrier
	v_lshlrev_b32_e32 v28, 16, v28
	v_cmp_gt_i32_e64 s11, 0, v29
	v_or3_b32 v25, v28, v26, v25
	v_cndmask_b32_e64 v27, v29, v27, s11
	v_lshlrev_b32_e32 v26, 2, v27
	v_mov_b32_e32 v27, 1
	ds_bpermute_b32 v25, v26, v25
	v_and_b32_e32 v26, 0xff0000, v11
	v_cmp_eq_u32_e64 s11, 0, v26
	s_waitcnt lgkmcnt(0)
	v_cndmask_b32_e64 v26, 0, v25, s11
	v_and_b32_sdwa v25, v25, v27 dst_sel:DWORD dst_unused:UNUSED_PAD src0_sel:WORD_1 src1_sel:DWORD
	v_cmp_eq_u32_e64 s11, 0, v12
	v_add_nc_u16 v11, v26, v11
	v_cndmask_b32_e64 v12, 1, v25, s11
	v_cndmask_b32_e64 v11, v11, v24, s0
	;; [unrolled: 1-line block ×3, first 2 shown]
	ds_write_b16 v2, v11
	ds_write_b8 v2, v1 offset:2
	; wave barrier
	ds_read_u8 v12, v2 offset:6
	ds_read_u16 v25, v2 offset:4
	s_waitcnt lgkmcnt(1)
	v_cmp_eq_u16_e64 s11, 0, v12
	v_and_b32_e32 v12, 1, v12
	v_cndmask_b32_e64 v11, 0, v11, s11
	v_cmp_eq_u32_e64 s11, 1, v12
	s_waitcnt lgkmcnt(0)
	v_add_nc_u16 v11, v11, v25
	v_cndmask_b32_e64 v1, v1, 1, s11
	ds_write_b16 v2, v11 offset:4
	ds_write_b8 v2, v1 offset:6
.LBB856_129:
	s_or_b32 exec_lo, exec_lo, s12
	s_waitcnt lgkmcnt(0)
	s_barrier
	buffer_gl0_inv
	s_and_saveexec_b32 s11, s2
	s_cbranch_execz .LBB856_131
; %bb.130:
	v_add_nc_u32_e32 v1, -1, v0
	v_cmp_gt_u32_e64 s2, 0x10000, v20
	v_lshrrev_b32_e32 v2, 3, v1
	v_and_b32_e32 v2, 0x1ffffffc, v2
	v_lshl_add_u32 v1, v1, 2, v2
	ds_read_u16 v1, v1
	;;#ASMSTART
	;;#ASMEND
	s_waitcnt lgkmcnt(0)
	v_cndmask_b32_e64 v1, 0, v1, s2
	v_add_nc_u32_e32 v20, v1, v20
	v_cndmask_b32_e32 v1, 0, v20, vcc_lo
	v_add_nc_u16 v3, v1, v21
	v_cndmask_b32_e64 v1, 0, v3, s3
	v_add_nc_u16 v4, v1, v19
	v_cndmask_b32_e64 v1, 0, v4, s4
	;; [unrolled: 2-line block ×8, first 2 shown]
	v_add_nc_u16 v24, v1, v10
.LBB856_131:
	s_or_b32 exec_lo, exec_lo, s11
	s_and_saveexec_b32 s2, s0
	s_cbranch_execz .LBB856_133
; %bb.132:
	v_mov_b32_e32 v10, 0
	ds_read_u8 v1, v10 offset:258
	ds_read_u16 v2, v10 offset:256
	s_waitcnt lgkmcnt(1)
	v_lshlrev_b32_e32 v1, 16, v1
	s_waitcnt lgkmcnt(0)
	v_or_b32_e32 v1, v1, v2
	v_mov_b32_e32 v2, 2
	global_store_dwordx2 v10, v[1:2], s[16:17] offset:256
.LBB856_133:
	s_or_b32 exec_lo, exec_lo, s2
	v_mov_b32_e32 v25, v20
.LBB856_134:
	s_add_u32 s0, s14, s24
	v_mov_b32_e32 v1, 0
	s_addc_u32 s2, s15, s25
	s_add_u32 s0, s0, s26
	s_addc_u32 s2, s2, s27
	s_and_b32 vcc_lo, exec_lo, s1
	s_cbranch_vccz .LBB856_174
; %bb.135:
	v_mul_u32_u24_e32 v2, 10, v0
	v_mov_b32_e32 v10, 0
	v_mov_b32_e32 v11, 0
	;; [unrolled: 1-line block ×4, first 2 shown]
	s_add_i32 s19, s19, s18
	s_mov_b32 s1, exec_lo
	v_cmpx_gt_u32_e64 s19, v2
	s_cbranch_execz .LBB856_155
; %bb.136:
	v_or_b32_e32 v13, 1, v2
	v_and_b32_e32 v1, 0xffff, v25
	v_mov_b32_e32 v10, 0
	v_mov_b32_e32 v11, 0
	;; [unrolled: 1-line block ×3, first 2 shown]
	v_cmp_gt_u32_e32 vcc_lo, s19, v13
	v_mov_b32_e32 v13, 0
	s_and_saveexec_b32 s3, vcc_lo
	s_cbranch_execz .LBB856_154
; %bb.137:
	v_perm_b32 v1, v3, v1, 0x5040100
	v_add_nc_u32_e32 v14, 2, v2
	v_mov_b32_e32 v13, 0
	v_mov_b32_e32 v12, 0
	;; [unrolled: 1-line block ×4, first 2 shown]
	s_mov_b32 s4, exec_lo
	v_cmpx_gt_u32_e64 s19, v14
	s_cbranch_execz .LBB856_153
; %bb.138:
	v_add_nc_u32_e32 v14, 3, v2
	v_bfi_b32 v10, 0xffff, v4, 0
	v_mov_b32_e32 v13, 0
	v_mov_b32_e32 v12, 0
	v_mov_b32_e32 v11, 0
	s_mov_b32 s5, exec_lo
	v_cmpx_gt_u32_e64 s19, v14
	s_cbranch_execz .LBB856_152
; %bb.139:
	v_add_nc_u32_e32 v14, 4, v2
	v_perm_b32 v10, v5, v10, 0x5040100
	v_mov_b32_e32 v13, 0
	v_mov_b32_e32 v12, 0
	;; [unrolled: 1-line block ×3, first 2 shown]
	s_mov_b32 s6, exec_lo
	v_cmpx_gt_u32_e64 s19, v14
	s_cbranch_execz .LBB856_151
; %bb.140:
	v_add_nc_u32_e32 v14, 5, v2
	v_bfi_b32 v11, 0xffff, v6, 0
	v_mov_b32_e32 v13, 0
	v_mov_b32_e32 v12, 0
	s_mov_b32 s7, exec_lo
	v_cmpx_gt_u32_e64 s19, v14
	s_cbranch_execz .LBB856_150
; %bb.141:
	v_add_nc_u32_e32 v14, 6, v2
	v_perm_b32 v11, v7, v11, 0x5040100
	v_mov_b32_e32 v13, 0
	v_mov_b32_e32 v12, 0
	s_mov_b32 s8, exec_lo
	v_cmpx_gt_u32_e64 s19, v14
	s_cbranch_execz .LBB856_149
; %bb.142:
	v_add_nc_u32_e32 v14, 7, v2
	v_bfi_b32 v12, 0xffff, v8, 0
	v_mov_b32_e32 v13, 0
	s_mov_b32 s9, exec_lo
	v_cmpx_gt_u32_e64 s19, v14
	s_cbranch_execz .LBB856_148
; %bb.143:
	v_add_nc_u32_e32 v14, 8, v2
	v_perm_b32 v12, v22, v12, 0x5040100
	v_mov_b32_e32 v13, 0
	s_mov_b32 s10, exec_lo
	v_cmpx_gt_u32_e64 s19, v14
	s_cbranch_execz .LBB856_147
; %bb.144:
	v_add_nc_u32_e32 v14, 9, v2
	v_bfi_b32 v13, 0xffff, v23, 0
	s_mov_b32 s11, exec_lo
	v_cmpx_gt_u32_e64 s19, v14
; %bb.145:
	v_perm_b32 v13, v24, v13, 0x5040100
; %bb.146:
	s_or_b32 exec_lo, exec_lo, s11
.LBB856_147:
	s_or_b32 exec_lo, exec_lo, s10
.LBB856_148:
	s_or_b32 exec_lo, exec_lo, s9
.LBB856_149:
	s_or_b32 exec_lo, exec_lo, s8
.LBB856_150:
	s_or_b32 exec_lo, exec_lo, s7
.LBB856_151:
	s_or_b32 exec_lo, exec_lo, s6
.LBB856_152:
	s_or_b32 exec_lo, exec_lo, s5
.LBB856_153:
	s_or_b32 exec_lo, exec_lo, s4
.LBB856_154:
	s_or_b32 exec_lo, exec_lo, s3
.LBB856_155:
	s_or_b32 exec_lo, exec_lo, s1
	v_lshlrev_b32_e32 v18, 1, v2
	s_waitcnt_vscnt null, 0x0
	s_barrier
	buffer_gl0_inv
	ds_write2_b32 v18, v1, v10 offset1:1
	ds_write2_b32 v18, v11, v12 offset0:2 offset1:3
	v_mad_i32_i24 v1, 0xffffffee, v0, v18
	ds_write_b32 v18, v13 offset:16
	s_waitcnt lgkmcnt(0)
	s_barrier
	buffer_gl0_inv
	ds_read_u16 v19, v1 offset:128
	ds_read_u16 v17, v1 offset:256
	ds_read_u16 v16, v1 offset:384
	ds_read_u16 v15, v1 offset:512
	ds_read_u16 v14, v1 offset:640
	ds_read_u16 v13, v1 offset:768
	ds_read_u16 v12, v1 offset:896
	ds_read_u16 v11, v1 offset:1024
	ds_read_u16 v10, v1 offset:1152
	v_add_co_u32 v1, s1, s0, v9
	v_add_co_ci_u32_e64 v2, null, s2, 0, s1
	s_mov_b32 s1, exec_lo
	v_cmpx_gt_u32_e64 s19, v0
	s_cbranch_execz .LBB856_157
; %bb.156:
	v_mul_i32_i24_e32 v20, 0xffffffee, v0
	v_add_nc_u32_e32 v18, v18, v20
	ds_read_u16 v18, v18
	s_waitcnt lgkmcnt(0)
	flat_store_short v[1:2], v18
.LBB856_157:
	s_or_b32 exec_lo, exec_lo, s1
	v_or_b32_e32 v18, 64, v0
	s_mov_b32 s1, exec_lo
	v_cmpx_gt_u32_e64 s19, v18
	s_cbranch_execz .LBB856_159
; %bb.158:
	s_waitcnt lgkmcnt(8)
	flat_store_short v[1:2], v19 offset:128
.LBB856_159:
	s_or_b32 exec_lo, exec_lo, s1
	v_or_b32_e32 v18, 0x80, v0
	s_mov_b32 s1, exec_lo
	v_cmpx_gt_u32_e64 s19, v18
	s_cbranch_execz .LBB856_161
; %bb.160:
	s_waitcnt lgkmcnt(7)
	flat_store_short v[1:2], v17 offset:256
.LBB856_161:
	s_or_b32 exec_lo, exec_lo, s1
	s_waitcnt lgkmcnt(7)
	v_or_b32_e32 v17, 0xc0, v0
	s_mov_b32 s1, exec_lo
	v_cmpx_gt_u32_e64 s19, v17
	s_cbranch_execz .LBB856_163
; %bb.162:
	s_waitcnt lgkmcnt(6)
	flat_store_short v[1:2], v16 offset:384
.LBB856_163:
	s_or_b32 exec_lo, exec_lo, s1
	s_waitcnt lgkmcnt(6)
	;; [unrolled: 10-line block ×6, first 2 shown]
	v_or_b32_e32 v12, 0x200, v0
	s_mov_b32 s1, exec_lo
	v_cmpx_gt_u32_e64 s19, v12
	s_cbranch_execz .LBB856_173
; %bb.172:
	s_waitcnt lgkmcnt(1)
	flat_store_short v[1:2], v11 offset:1024
.LBB856_173:
	s_or_b32 exec_lo, exec_lo, s1
	v_or_b32_e32 v1, 0x240, v0
	v_cmp_gt_u32_e64 s1, s19, v1
	s_branch .LBB856_176
.LBB856_174:
	s_mov_b32 s1, 0
                                        ; implicit-def: $vgpr10
	s_cbranch_execz .LBB856_176
; %bb.175:
	v_mul_u32_u24_e32 v1, 20, v0
	v_perm_b32 v2, v5, v4, 0x5040100
	v_perm_b32 v3, v3, v25, 0x5040100
	;; [unrolled: 1-line block ×3, first 2 shown]
	v_mul_i32_i24_e32 v6, 0xffffffee, v0
	v_perm_b32 v4, v22, v8, 0x5040100
	s_waitcnt lgkmcnt(0)
	s_waitcnt_vscnt null, 0x0
	s_barrier
	v_perm_b32 v7, v24, v23, 0x5040100
	buffer_gl0_inv
	ds_write2_b32 v1, v3, v2 offset1:1
	ds_write2_b32 v1, v5, v4 offset0:2 offset1:3
	v_mad_u32_u24 v2, v0, 20, v6
	s_or_b32 s1, s1, exec_lo
	ds_write_b32 v1, v7 offset:16
	s_waitcnt lgkmcnt(0)
	s_barrier
	buffer_gl0_inv
	ds_read_u16 v3, v2
	ds_read_u16 v4, v2 offset:128
	ds_read_u16 v5, v2 offset:256
	;; [unrolled: 1-line block ×9, first 2 shown]
	v_add_co_u32 v1, s3, s0, v9
	v_add_co_ci_u32_e64 v2, null, s2, 0, s3
	s_waitcnt lgkmcnt(9)
	flat_store_short v[1:2], v3
	s_waitcnt lgkmcnt(9)
	flat_store_short v[1:2], v4 offset:128
	s_waitcnt lgkmcnt(9)
	flat_store_short v[1:2], v5 offset:256
	;; [unrolled: 2-line block ×8, first 2 shown]
.LBB856_176:
	s_and_saveexec_b32 s3, s1
	s_cbranch_execnz .LBB856_178
; %bb.177:
	s_endpgm
.LBB856_178:
	v_lshlrev_b32_e32 v0, 1, v0
	v_add_co_u32 v0, s0, s0, v0
	v_add_co_ci_u32_e64 v1, null, s2, 0, s0
	s_waitcnt lgkmcnt(0)
	flat_store_short v[0:1], v10 offset:1152
	s_endpgm
.LBB856_179:
	v_add_co_u32 v3, s11, s31, v13
	v_add_co_ci_u32_e64 v4, null, s33, 0, s11
	v_mov_b32_e32 v2, v1
	v_mov_b32_e32 v5, v1
	;; [unrolled: 1-line block ×3, first 2 shown]
	flat_load_short_d16 v2, v[3:4]
	v_mov_b32_e32 v3, v1
	v_mov_b32_e32 v4, v1
	s_waitcnt vmcnt(0) lgkmcnt(0)
	v_mov_b32_e32 v1, v2
	v_mov_b32_e32 v2, v3
	;; [unrolled: 1-line block ×8, first 2 shown]
	s_or_b32 exec_lo, exec_lo, s21
	s_and_saveexec_b32 s11, s10
	s_cbranch_execz .LBB856_27
.LBB856_180:
	v_add_co_u32 v6, s10, s31, v13
	v_add_co_ci_u32_e64 v7, null, s33, 0, s10
	flat_load_short_d16_hi v1, v[6:7] offset:128
	s_or_b32 exec_lo, exec_lo, s11
	s_and_saveexec_b32 s10, s9
	s_cbranch_execz .LBB856_28
.LBB856_181:
	v_add_co_u32 v6, s9, s31, v13
	v_add_co_ci_u32_e64 v7, null, s33, 0, s9
	flat_load_short_d16 v2, v[6:7] offset:256
	s_or_b32 exec_lo, exec_lo, s10
	s_and_saveexec_b32 s9, s8
	s_cbranch_execz .LBB856_29
.LBB856_182:
	v_add_co_u32 v6, s8, s31, v13
	v_add_co_ci_u32_e64 v7, null, s33, 0, s8
	s_waitcnt vmcnt(0) lgkmcnt(0)
	flat_load_short_d16_hi v2, v[6:7] offset:384
	s_or_b32 exec_lo, exec_lo, s9
	s_and_saveexec_b32 s8, s7
	s_cbranch_execz .LBB856_30
.LBB856_183:
	v_add_co_u32 v6, s7, s31, v13
	v_add_co_ci_u32_e64 v7, null, s33, 0, s7
	flat_load_short_d16 v3, v[6:7] offset:512
	s_or_b32 exec_lo, exec_lo, s8
	s_and_saveexec_b32 s7, s6
	s_cbranch_execz .LBB856_31
.LBB856_184:
	v_add_co_u32 v6, s6, s31, v13
	v_add_co_ci_u32_e64 v7, null, s33, 0, s6
	s_waitcnt vmcnt(0) lgkmcnt(0)
	flat_load_short_d16_hi v3, v[6:7] offset:640
	s_or_b32 exec_lo, exec_lo, s7
	s_and_saveexec_b32 s6, s5
	s_cbranch_execz .LBB856_32
.LBB856_185:
	v_add_co_u32 v6, s5, s31, v13
	v_add_co_ci_u32_e64 v7, null, s33, 0, s5
	flat_load_short_d16 v4, v[6:7] offset:768
	s_or_b32 exec_lo, exec_lo, s6
	s_and_saveexec_b32 s5, s4
	s_cbranch_execz .LBB856_33
.LBB856_186:
	v_add_co_u32 v6, s4, s31, v13
	v_add_co_ci_u32_e64 v7, null, s33, 0, s4
	s_waitcnt vmcnt(0) lgkmcnt(0)
	flat_load_short_d16_hi v4, v[6:7] offset:896
	s_or_b32 exec_lo, exec_lo, s5
	s_and_saveexec_b32 s4, s3
	s_cbranch_execz .LBB856_34
.LBB856_187:
	v_add_co_u32 v6, s3, s31, v13
	v_add_co_ci_u32_e64 v7, null, s33, 0, s3
	flat_load_short_d16 v5, v[6:7] offset:1024
	s_or_b32 exec_lo, exec_lo, s4
	v_mul_u32_u24_e32 v29, 10, v0
	s_and_saveexec_b32 s3, vcc_lo
	s_cbranch_execnz .LBB856_35
	s_branch .LBB856_36
	.section	.rodata,"a",@progbits
	.p2align	6, 0x0
	.amdhsa_kernel _ZN7rocprim17ROCPRIM_400000_NS6detail17trampoline_kernelINS0_14default_configENS1_27scan_by_key_config_selectorIssEEZZNS1_16scan_by_key_implILNS1_25lookback_scan_determinismE0ELb0ES3_N6thrust23THRUST_200600_302600_NS6detail15normal_iteratorINS9_10device_ptrIsEEEESE_SE_sNS9_4plusIsEE19head_flag_predicatesEE10hipError_tPvRmT2_T3_T4_T5_mT6_T7_P12ihipStream_tbENKUlT_T0_E_clISt17integral_constantIbLb0EESX_IbLb1EEEEDaST_SU_EUlST_E_NS1_11comp_targetILNS1_3genE8ELNS1_11target_archE1030ELNS1_3gpuE2ELNS1_3repE0EEENS1_30default_config_static_selectorELNS0_4arch9wavefront6targetE0EEEvT1_
		.amdhsa_group_segment_fixed_size 1536
		.amdhsa_private_segment_fixed_size 0
		.amdhsa_kernarg_size 112
		.amdhsa_user_sgpr_count 6
		.amdhsa_user_sgpr_private_segment_buffer 1
		.amdhsa_user_sgpr_dispatch_ptr 0
		.amdhsa_user_sgpr_queue_ptr 0
		.amdhsa_user_sgpr_kernarg_segment_ptr 1
		.amdhsa_user_sgpr_dispatch_id 0
		.amdhsa_user_sgpr_flat_scratch_init 0
		.amdhsa_user_sgpr_private_segment_size 0
		.amdhsa_wavefront_size32 1
		.amdhsa_uses_dynamic_stack 0
		.amdhsa_system_sgpr_private_segment_wavefront_offset 0
		.amdhsa_system_sgpr_workgroup_id_x 1
		.amdhsa_system_sgpr_workgroup_id_y 0
		.amdhsa_system_sgpr_workgroup_id_z 0
		.amdhsa_system_sgpr_workgroup_info 0
		.amdhsa_system_vgpr_workitem_id 0
		.amdhsa_next_free_vgpr 42
		.amdhsa_next_free_sgpr 35
		.amdhsa_reserve_vcc 1
		.amdhsa_reserve_flat_scratch 1
		.amdhsa_float_round_mode_32 0
		.amdhsa_float_round_mode_16_64 0
		.amdhsa_float_denorm_mode_32 3
		.amdhsa_float_denorm_mode_16_64 3
		.amdhsa_dx10_clamp 1
		.amdhsa_ieee_mode 1
		.amdhsa_fp16_overflow 0
		.amdhsa_workgroup_processor_mode 1
		.amdhsa_memory_ordered 1
		.amdhsa_forward_progress 1
		.amdhsa_shared_vgpr_count 0
		.amdhsa_exception_fp_ieee_invalid_op 0
		.amdhsa_exception_fp_denorm_src 0
		.amdhsa_exception_fp_ieee_div_zero 0
		.amdhsa_exception_fp_ieee_overflow 0
		.amdhsa_exception_fp_ieee_underflow 0
		.amdhsa_exception_fp_ieee_inexact 0
		.amdhsa_exception_int_div_zero 0
	.end_amdhsa_kernel
	.section	.text._ZN7rocprim17ROCPRIM_400000_NS6detail17trampoline_kernelINS0_14default_configENS1_27scan_by_key_config_selectorIssEEZZNS1_16scan_by_key_implILNS1_25lookback_scan_determinismE0ELb0ES3_N6thrust23THRUST_200600_302600_NS6detail15normal_iteratorINS9_10device_ptrIsEEEESE_SE_sNS9_4plusIsEE19head_flag_predicatesEE10hipError_tPvRmT2_T3_T4_T5_mT6_T7_P12ihipStream_tbENKUlT_T0_E_clISt17integral_constantIbLb0EESX_IbLb1EEEEDaST_SU_EUlST_E_NS1_11comp_targetILNS1_3genE8ELNS1_11target_archE1030ELNS1_3gpuE2ELNS1_3repE0EEENS1_30default_config_static_selectorELNS0_4arch9wavefront6targetE0EEEvT1_,"axG",@progbits,_ZN7rocprim17ROCPRIM_400000_NS6detail17trampoline_kernelINS0_14default_configENS1_27scan_by_key_config_selectorIssEEZZNS1_16scan_by_key_implILNS1_25lookback_scan_determinismE0ELb0ES3_N6thrust23THRUST_200600_302600_NS6detail15normal_iteratorINS9_10device_ptrIsEEEESE_SE_sNS9_4plusIsEE19head_flag_predicatesEE10hipError_tPvRmT2_T3_T4_T5_mT6_T7_P12ihipStream_tbENKUlT_T0_E_clISt17integral_constantIbLb0EESX_IbLb1EEEEDaST_SU_EUlST_E_NS1_11comp_targetILNS1_3genE8ELNS1_11target_archE1030ELNS1_3gpuE2ELNS1_3repE0EEENS1_30default_config_static_selectorELNS0_4arch9wavefront6targetE0EEEvT1_,comdat
.Lfunc_end856:
	.size	_ZN7rocprim17ROCPRIM_400000_NS6detail17trampoline_kernelINS0_14default_configENS1_27scan_by_key_config_selectorIssEEZZNS1_16scan_by_key_implILNS1_25lookback_scan_determinismE0ELb0ES3_N6thrust23THRUST_200600_302600_NS6detail15normal_iteratorINS9_10device_ptrIsEEEESE_SE_sNS9_4plusIsEE19head_flag_predicatesEE10hipError_tPvRmT2_T3_T4_T5_mT6_T7_P12ihipStream_tbENKUlT_T0_E_clISt17integral_constantIbLb0EESX_IbLb1EEEEDaST_SU_EUlST_E_NS1_11comp_targetILNS1_3genE8ELNS1_11target_archE1030ELNS1_3gpuE2ELNS1_3repE0EEENS1_30default_config_static_selectorELNS0_4arch9wavefront6targetE0EEEvT1_, .Lfunc_end856-_ZN7rocprim17ROCPRIM_400000_NS6detail17trampoline_kernelINS0_14default_configENS1_27scan_by_key_config_selectorIssEEZZNS1_16scan_by_key_implILNS1_25lookback_scan_determinismE0ELb0ES3_N6thrust23THRUST_200600_302600_NS6detail15normal_iteratorINS9_10device_ptrIsEEEESE_SE_sNS9_4plusIsEE19head_flag_predicatesEE10hipError_tPvRmT2_T3_T4_T5_mT6_T7_P12ihipStream_tbENKUlT_T0_E_clISt17integral_constantIbLb0EESX_IbLb1EEEEDaST_SU_EUlST_E_NS1_11comp_targetILNS1_3genE8ELNS1_11target_archE1030ELNS1_3gpuE2ELNS1_3repE0EEENS1_30default_config_static_selectorELNS0_4arch9wavefront6targetE0EEEvT1_
                                        ; -- End function
	.set _ZN7rocprim17ROCPRIM_400000_NS6detail17trampoline_kernelINS0_14default_configENS1_27scan_by_key_config_selectorIssEEZZNS1_16scan_by_key_implILNS1_25lookback_scan_determinismE0ELb0ES3_N6thrust23THRUST_200600_302600_NS6detail15normal_iteratorINS9_10device_ptrIsEEEESE_SE_sNS9_4plusIsEE19head_flag_predicatesEE10hipError_tPvRmT2_T3_T4_T5_mT6_T7_P12ihipStream_tbENKUlT_T0_E_clISt17integral_constantIbLb0EESX_IbLb1EEEEDaST_SU_EUlST_E_NS1_11comp_targetILNS1_3genE8ELNS1_11target_archE1030ELNS1_3gpuE2ELNS1_3repE0EEENS1_30default_config_static_selectorELNS0_4arch9wavefront6targetE0EEEvT1_.num_vgpr, 42
	.set _ZN7rocprim17ROCPRIM_400000_NS6detail17trampoline_kernelINS0_14default_configENS1_27scan_by_key_config_selectorIssEEZZNS1_16scan_by_key_implILNS1_25lookback_scan_determinismE0ELb0ES3_N6thrust23THRUST_200600_302600_NS6detail15normal_iteratorINS9_10device_ptrIsEEEESE_SE_sNS9_4plusIsEE19head_flag_predicatesEE10hipError_tPvRmT2_T3_T4_T5_mT6_T7_P12ihipStream_tbENKUlT_T0_E_clISt17integral_constantIbLb0EESX_IbLb1EEEEDaST_SU_EUlST_E_NS1_11comp_targetILNS1_3genE8ELNS1_11target_archE1030ELNS1_3gpuE2ELNS1_3repE0EEENS1_30default_config_static_selectorELNS0_4arch9wavefront6targetE0EEEvT1_.num_agpr, 0
	.set _ZN7rocprim17ROCPRIM_400000_NS6detail17trampoline_kernelINS0_14default_configENS1_27scan_by_key_config_selectorIssEEZZNS1_16scan_by_key_implILNS1_25lookback_scan_determinismE0ELb0ES3_N6thrust23THRUST_200600_302600_NS6detail15normal_iteratorINS9_10device_ptrIsEEEESE_SE_sNS9_4plusIsEE19head_flag_predicatesEE10hipError_tPvRmT2_T3_T4_T5_mT6_T7_P12ihipStream_tbENKUlT_T0_E_clISt17integral_constantIbLb0EESX_IbLb1EEEEDaST_SU_EUlST_E_NS1_11comp_targetILNS1_3genE8ELNS1_11target_archE1030ELNS1_3gpuE2ELNS1_3repE0EEENS1_30default_config_static_selectorELNS0_4arch9wavefront6targetE0EEEvT1_.numbered_sgpr, 35
	.set _ZN7rocprim17ROCPRIM_400000_NS6detail17trampoline_kernelINS0_14default_configENS1_27scan_by_key_config_selectorIssEEZZNS1_16scan_by_key_implILNS1_25lookback_scan_determinismE0ELb0ES3_N6thrust23THRUST_200600_302600_NS6detail15normal_iteratorINS9_10device_ptrIsEEEESE_SE_sNS9_4plusIsEE19head_flag_predicatesEE10hipError_tPvRmT2_T3_T4_T5_mT6_T7_P12ihipStream_tbENKUlT_T0_E_clISt17integral_constantIbLb0EESX_IbLb1EEEEDaST_SU_EUlST_E_NS1_11comp_targetILNS1_3genE8ELNS1_11target_archE1030ELNS1_3gpuE2ELNS1_3repE0EEENS1_30default_config_static_selectorELNS0_4arch9wavefront6targetE0EEEvT1_.num_named_barrier, 0
	.set _ZN7rocprim17ROCPRIM_400000_NS6detail17trampoline_kernelINS0_14default_configENS1_27scan_by_key_config_selectorIssEEZZNS1_16scan_by_key_implILNS1_25lookback_scan_determinismE0ELb0ES3_N6thrust23THRUST_200600_302600_NS6detail15normal_iteratorINS9_10device_ptrIsEEEESE_SE_sNS9_4plusIsEE19head_flag_predicatesEE10hipError_tPvRmT2_T3_T4_T5_mT6_T7_P12ihipStream_tbENKUlT_T0_E_clISt17integral_constantIbLb0EESX_IbLb1EEEEDaST_SU_EUlST_E_NS1_11comp_targetILNS1_3genE8ELNS1_11target_archE1030ELNS1_3gpuE2ELNS1_3repE0EEENS1_30default_config_static_selectorELNS0_4arch9wavefront6targetE0EEEvT1_.private_seg_size, 0
	.set _ZN7rocprim17ROCPRIM_400000_NS6detail17trampoline_kernelINS0_14default_configENS1_27scan_by_key_config_selectorIssEEZZNS1_16scan_by_key_implILNS1_25lookback_scan_determinismE0ELb0ES3_N6thrust23THRUST_200600_302600_NS6detail15normal_iteratorINS9_10device_ptrIsEEEESE_SE_sNS9_4plusIsEE19head_flag_predicatesEE10hipError_tPvRmT2_T3_T4_T5_mT6_T7_P12ihipStream_tbENKUlT_T0_E_clISt17integral_constantIbLb0EESX_IbLb1EEEEDaST_SU_EUlST_E_NS1_11comp_targetILNS1_3genE8ELNS1_11target_archE1030ELNS1_3gpuE2ELNS1_3repE0EEENS1_30default_config_static_selectorELNS0_4arch9wavefront6targetE0EEEvT1_.uses_vcc, 1
	.set _ZN7rocprim17ROCPRIM_400000_NS6detail17trampoline_kernelINS0_14default_configENS1_27scan_by_key_config_selectorIssEEZZNS1_16scan_by_key_implILNS1_25lookback_scan_determinismE0ELb0ES3_N6thrust23THRUST_200600_302600_NS6detail15normal_iteratorINS9_10device_ptrIsEEEESE_SE_sNS9_4plusIsEE19head_flag_predicatesEE10hipError_tPvRmT2_T3_T4_T5_mT6_T7_P12ihipStream_tbENKUlT_T0_E_clISt17integral_constantIbLb0EESX_IbLb1EEEEDaST_SU_EUlST_E_NS1_11comp_targetILNS1_3genE8ELNS1_11target_archE1030ELNS1_3gpuE2ELNS1_3repE0EEENS1_30default_config_static_selectorELNS0_4arch9wavefront6targetE0EEEvT1_.uses_flat_scratch, 1
	.set _ZN7rocprim17ROCPRIM_400000_NS6detail17trampoline_kernelINS0_14default_configENS1_27scan_by_key_config_selectorIssEEZZNS1_16scan_by_key_implILNS1_25lookback_scan_determinismE0ELb0ES3_N6thrust23THRUST_200600_302600_NS6detail15normal_iteratorINS9_10device_ptrIsEEEESE_SE_sNS9_4plusIsEE19head_flag_predicatesEE10hipError_tPvRmT2_T3_T4_T5_mT6_T7_P12ihipStream_tbENKUlT_T0_E_clISt17integral_constantIbLb0EESX_IbLb1EEEEDaST_SU_EUlST_E_NS1_11comp_targetILNS1_3genE8ELNS1_11target_archE1030ELNS1_3gpuE2ELNS1_3repE0EEENS1_30default_config_static_selectorELNS0_4arch9wavefront6targetE0EEEvT1_.has_dyn_sized_stack, 0
	.set _ZN7rocprim17ROCPRIM_400000_NS6detail17trampoline_kernelINS0_14default_configENS1_27scan_by_key_config_selectorIssEEZZNS1_16scan_by_key_implILNS1_25lookback_scan_determinismE0ELb0ES3_N6thrust23THRUST_200600_302600_NS6detail15normal_iteratorINS9_10device_ptrIsEEEESE_SE_sNS9_4plusIsEE19head_flag_predicatesEE10hipError_tPvRmT2_T3_T4_T5_mT6_T7_P12ihipStream_tbENKUlT_T0_E_clISt17integral_constantIbLb0EESX_IbLb1EEEEDaST_SU_EUlST_E_NS1_11comp_targetILNS1_3genE8ELNS1_11target_archE1030ELNS1_3gpuE2ELNS1_3repE0EEENS1_30default_config_static_selectorELNS0_4arch9wavefront6targetE0EEEvT1_.has_recursion, 0
	.set _ZN7rocprim17ROCPRIM_400000_NS6detail17trampoline_kernelINS0_14default_configENS1_27scan_by_key_config_selectorIssEEZZNS1_16scan_by_key_implILNS1_25lookback_scan_determinismE0ELb0ES3_N6thrust23THRUST_200600_302600_NS6detail15normal_iteratorINS9_10device_ptrIsEEEESE_SE_sNS9_4plusIsEE19head_flag_predicatesEE10hipError_tPvRmT2_T3_T4_T5_mT6_T7_P12ihipStream_tbENKUlT_T0_E_clISt17integral_constantIbLb0EESX_IbLb1EEEEDaST_SU_EUlST_E_NS1_11comp_targetILNS1_3genE8ELNS1_11target_archE1030ELNS1_3gpuE2ELNS1_3repE0EEENS1_30default_config_static_selectorELNS0_4arch9wavefront6targetE0EEEvT1_.has_indirect_call, 0
	.section	.AMDGPU.csdata,"",@progbits
; Kernel info:
; codeLenInByte = 10184
; TotalNumSgprs: 37
; NumVgprs: 42
; ScratchSize: 0
; MemoryBound: 0
; FloatMode: 240
; IeeeMode: 1
; LDSByteSize: 1536 bytes/workgroup (compile time only)
; SGPRBlocks: 0
; VGPRBlocks: 5
; NumSGPRsForWavesPerEU: 37
; NumVGPRsForWavesPerEU: 42
; Occupancy: 16
; WaveLimiterHint : 1
; COMPUTE_PGM_RSRC2:SCRATCH_EN: 0
; COMPUTE_PGM_RSRC2:USER_SGPR: 6
; COMPUTE_PGM_RSRC2:TRAP_HANDLER: 0
; COMPUTE_PGM_RSRC2:TGID_X_EN: 1
; COMPUTE_PGM_RSRC2:TGID_Y_EN: 0
; COMPUTE_PGM_RSRC2:TGID_Z_EN: 0
; COMPUTE_PGM_RSRC2:TIDIG_COMP_CNT: 0
	.section	.text._ZN7rocprim17ROCPRIM_400000_NS6detail17trampoline_kernelINS0_14default_configENS1_27scan_by_key_config_selectorIssEEZZNS1_16scan_by_key_implILNS1_25lookback_scan_determinismE0ELb1ES3_N6thrust23THRUST_200600_302600_NS6detail15normal_iteratorINS9_10device_ptrIsEEEESE_SE_sNS9_4plusIsEE19head_flag_predicatesEE10hipError_tPvRmT2_T3_T4_T5_mT6_T7_P12ihipStream_tbENKUlT_T0_E_clISt17integral_constantIbLb0EESY_EEDaST_SU_EUlST_E_NS1_11comp_targetILNS1_3genE0ELNS1_11target_archE4294967295ELNS1_3gpuE0ELNS1_3repE0EEENS1_30default_config_static_selectorELNS0_4arch9wavefront6targetE0EEEvT1_,"axG",@progbits,_ZN7rocprim17ROCPRIM_400000_NS6detail17trampoline_kernelINS0_14default_configENS1_27scan_by_key_config_selectorIssEEZZNS1_16scan_by_key_implILNS1_25lookback_scan_determinismE0ELb1ES3_N6thrust23THRUST_200600_302600_NS6detail15normal_iteratorINS9_10device_ptrIsEEEESE_SE_sNS9_4plusIsEE19head_flag_predicatesEE10hipError_tPvRmT2_T3_T4_T5_mT6_T7_P12ihipStream_tbENKUlT_T0_E_clISt17integral_constantIbLb0EESY_EEDaST_SU_EUlST_E_NS1_11comp_targetILNS1_3genE0ELNS1_11target_archE4294967295ELNS1_3gpuE0ELNS1_3repE0EEENS1_30default_config_static_selectorELNS0_4arch9wavefront6targetE0EEEvT1_,comdat
	.protected	_ZN7rocprim17ROCPRIM_400000_NS6detail17trampoline_kernelINS0_14default_configENS1_27scan_by_key_config_selectorIssEEZZNS1_16scan_by_key_implILNS1_25lookback_scan_determinismE0ELb1ES3_N6thrust23THRUST_200600_302600_NS6detail15normal_iteratorINS9_10device_ptrIsEEEESE_SE_sNS9_4plusIsEE19head_flag_predicatesEE10hipError_tPvRmT2_T3_T4_T5_mT6_T7_P12ihipStream_tbENKUlT_T0_E_clISt17integral_constantIbLb0EESY_EEDaST_SU_EUlST_E_NS1_11comp_targetILNS1_3genE0ELNS1_11target_archE4294967295ELNS1_3gpuE0ELNS1_3repE0EEENS1_30default_config_static_selectorELNS0_4arch9wavefront6targetE0EEEvT1_ ; -- Begin function _ZN7rocprim17ROCPRIM_400000_NS6detail17trampoline_kernelINS0_14default_configENS1_27scan_by_key_config_selectorIssEEZZNS1_16scan_by_key_implILNS1_25lookback_scan_determinismE0ELb1ES3_N6thrust23THRUST_200600_302600_NS6detail15normal_iteratorINS9_10device_ptrIsEEEESE_SE_sNS9_4plusIsEE19head_flag_predicatesEE10hipError_tPvRmT2_T3_T4_T5_mT6_T7_P12ihipStream_tbENKUlT_T0_E_clISt17integral_constantIbLb0EESY_EEDaST_SU_EUlST_E_NS1_11comp_targetILNS1_3genE0ELNS1_11target_archE4294967295ELNS1_3gpuE0ELNS1_3repE0EEENS1_30default_config_static_selectorELNS0_4arch9wavefront6targetE0EEEvT1_
	.globl	_ZN7rocprim17ROCPRIM_400000_NS6detail17trampoline_kernelINS0_14default_configENS1_27scan_by_key_config_selectorIssEEZZNS1_16scan_by_key_implILNS1_25lookback_scan_determinismE0ELb1ES3_N6thrust23THRUST_200600_302600_NS6detail15normal_iteratorINS9_10device_ptrIsEEEESE_SE_sNS9_4plusIsEE19head_flag_predicatesEE10hipError_tPvRmT2_T3_T4_T5_mT6_T7_P12ihipStream_tbENKUlT_T0_E_clISt17integral_constantIbLb0EESY_EEDaST_SU_EUlST_E_NS1_11comp_targetILNS1_3genE0ELNS1_11target_archE4294967295ELNS1_3gpuE0ELNS1_3repE0EEENS1_30default_config_static_selectorELNS0_4arch9wavefront6targetE0EEEvT1_
	.p2align	8
	.type	_ZN7rocprim17ROCPRIM_400000_NS6detail17trampoline_kernelINS0_14default_configENS1_27scan_by_key_config_selectorIssEEZZNS1_16scan_by_key_implILNS1_25lookback_scan_determinismE0ELb1ES3_N6thrust23THRUST_200600_302600_NS6detail15normal_iteratorINS9_10device_ptrIsEEEESE_SE_sNS9_4plusIsEE19head_flag_predicatesEE10hipError_tPvRmT2_T3_T4_T5_mT6_T7_P12ihipStream_tbENKUlT_T0_E_clISt17integral_constantIbLb0EESY_EEDaST_SU_EUlST_E_NS1_11comp_targetILNS1_3genE0ELNS1_11target_archE4294967295ELNS1_3gpuE0ELNS1_3repE0EEENS1_30default_config_static_selectorELNS0_4arch9wavefront6targetE0EEEvT1_,@function
_ZN7rocprim17ROCPRIM_400000_NS6detail17trampoline_kernelINS0_14default_configENS1_27scan_by_key_config_selectorIssEEZZNS1_16scan_by_key_implILNS1_25lookback_scan_determinismE0ELb1ES3_N6thrust23THRUST_200600_302600_NS6detail15normal_iteratorINS9_10device_ptrIsEEEESE_SE_sNS9_4plusIsEE19head_flag_predicatesEE10hipError_tPvRmT2_T3_T4_T5_mT6_T7_P12ihipStream_tbENKUlT_T0_E_clISt17integral_constantIbLb0EESY_EEDaST_SU_EUlST_E_NS1_11comp_targetILNS1_3genE0ELNS1_11target_archE4294967295ELNS1_3gpuE0ELNS1_3repE0EEENS1_30default_config_static_selectorELNS0_4arch9wavefront6targetE0EEEvT1_: ; @_ZN7rocprim17ROCPRIM_400000_NS6detail17trampoline_kernelINS0_14default_configENS1_27scan_by_key_config_selectorIssEEZZNS1_16scan_by_key_implILNS1_25lookback_scan_determinismE0ELb1ES3_N6thrust23THRUST_200600_302600_NS6detail15normal_iteratorINS9_10device_ptrIsEEEESE_SE_sNS9_4plusIsEE19head_flag_predicatesEE10hipError_tPvRmT2_T3_T4_T5_mT6_T7_P12ihipStream_tbENKUlT_T0_E_clISt17integral_constantIbLb0EESY_EEDaST_SU_EUlST_E_NS1_11comp_targetILNS1_3genE0ELNS1_11target_archE4294967295ELNS1_3gpuE0ELNS1_3repE0EEENS1_30default_config_static_selectorELNS0_4arch9wavefront6targetE0EEEvT1_
; %bb.0:
	.section	.rodata,"a",@progbits
	.p2align	6, 0x0
	.amdhsa_kernel _ZN7rocprim17ROCPRIM_400000_NS6detail17trampoline_kernelINS0_14default_configENS1_27scan_by_key_config_selectorIssEEZZNS1_16scan_by_key_implILNS1_25lookback_scan_determinismE0ELb1ES3_N6thrust23THRUST_200600_302600_NS6detail15normal_iteratorINS9_10device_ptrIsEEEESE_SE_sNS9_4plusIsEE19head_flag_predicatesEE10hipError_tPvRmT2_T3_T4_T5_mT6_T7_P12ihipStream_tbENKUlT_T0_E_clISt17integral_constantIbLb0EESY_EEDaST_SU_EUlST_E_NS1_11comp_targetILNS1_3genE0ELNS1_11target_archE4294967295ELNS1_3gpuE0ELNS1_3repE0EEENS1_30default_config_static_selectorELNS0_4arch9wavefront6targetE0EEEvT1_
		.amdhsa_group_segment_fixed_size 0
		.amdhsa_private_segment_fixed_size 0
		.amdhsa_kernarg_size 112
		.amdhsa_user_sgpr_count 6
		.amdhsa_user_sgpr_private_segment_buffer 1
		.amdhsa_user_sgpr_dispatch_ptr 0
		.amdhsa_user_sgpr_queue_ptr 0
		.amdhsa_user_sgpr_kernarg_segment_ptr 1
		.amdhsa_user_sgpr_dispatch_id 0
		.amdhsa_user_sgpr_flat_scratch_init 0
		.amdhsa_user_sgpr_private_segment_size 0
		.amdhsa_wavefront_size32 1
		.amdhsa_uses_dynamic_stack 0
		.amdhsa_system_sgpr_private_segment_wavefront_offset 0
		.amdhsa_system_sgpr_workgroup_id_x 1
		.amdhsa_system_sgpr_workgroup_id_y 0
		.amdhsa_system_sgpr_workgroup_id_z 0
		.amdhsa_system_sgpr_workgroup_info 0
		.amdhsa_system_vgpr_workitem_id 0
		.amdhsa_next_free_vgpr 1
		.amdhsa_next_free_sgpr 1
		.amdhsa_reserve_vcc 0
		.amdhsa_reserve_flat_scratch 0
		.amdhsa_float_round_mode_32 0
		.amdhsa_float_round_mode_16_64 0
		.amdhsa_float_denorm_mode_32 3
		.amdhsa_float_denorm_mode_16_64 3
		.amdhsa_dx10_clamp 1
		.amdhsa_ieee_mode 1
		.amdhsa_fp16_overflow 0
		.amdhsa_workgroup_processor_mode 1
		.amdhsa_memory_ordered 1
		.amdhsa_forward_progress 1
		.amdhsa_shared_vgpr_count 0
		.amdhsa_exception_fp_ieee_invalid_op 0
		.amdhsa_exception_fp_denorm_src 0
		.amdhsa_exception_fp_ieee_div_zero 0
		.amdhsa_exception_fp_ieee_overflow 0
		.amdhsa_exception_fp_ieee_underflow 0
		.amdhsa_exception_fp_ieee_inexact 0
		.amdhsa_exception_int_div_zero 0
	.end_amdhsa_kernel
	.section	.text._ZN7rocprim17ROCPRIM_400000_NS6detail17trampoline_kernelINS0_14default_configENS1_27scan_by_key_config_selectorIssEEZZNS1_16scan_by_key_implILNS1_25lookback_scan_determinismE0ELb1ES3_N6thrust23THRUST_200600_302600_NS6detail15normal_iteratorINS9_10device_ptrIsEEEESE_SE_sNS9_4plusIsEE19head_flag_predicatesEE10hipError_tPvRmT2_T3_T4_T5_mT6_T7_P12ihipStream_tbENKUlT_T0_E_clISt17integral_constantIbLb0EESY_EEDaST_SU_EUlST_E_NS1_11comp_targetILNS1_3genE0ELNS1_11target_archE4294967295ELNS1_3gpuE0ELNS1_3repE0EEENS1_30default_config_static_selectorELNS0_4arch9wavefront6targetE0EEEvT1_,"axG",@progbits,_ZN7rocprim17ROCPRIM_400000_NS6detail17trampoline_kernelINS0_14default_configENS1_27scan_by_key_config_selectorIssEEZZNS1_16scan_by_key_implILNS1_25lookback_scan_determinismE0ELb1ES3_N6thrust23THRUST_200600_302600_NS6detail15normal_iteratorINS9_10device_ptrIsEEEESE_SE_sNS9_4plusIsEE19head_flag_predicatesEE10hipError_tPvRmT2_T3_T4_T5_mT6_T7_P12ihipStream_tbENKUlT_T0_E_clISt17integral_constantIbLb0EESY_EEDaST_SU_EUlST_E_NS1_11comp_targetILNS1_3genE0ELNS1_11target_archE4294967295ELNS1_3gpuE0ELNS1_3repE0EEENS1_30default_config_static_selectorELNS0_4arch9wavefront6targetE0EEEvT1_,comdat
.Lfunc_end857:
	.size	_ZN7rocprim17ROCPRIM_400000_NS6detail17trampoline_kernelINS0_14default_configENS1_27scan_by_key_config_selectorIssEEZZNS1_16scan_by_key_implILNS1_25lookback_scan_determinismE0ELb1ES3_N6thrust23THRUST_200600_302600_NS6detail15normal_iteratorINS9_10device_ptrIsEEEESE_SE_sNS9_4plusIsEE19head_flag_predicatesEE10hipError_tPvRmT2_T3_T4_T5_mT6_T7_P12ihipStream_tbENKUlT_T0_E_clISt17integral_constantIbLb0EESY_EEDaST_SU_EUlST_E_NS1_11comp_targetILNS1_3genE0ELNS1_11target_archE4294967295ELNS1_3gpuE0ELNS1_3repE0EEENS1_30default_config_static_selectorELNS0_4arch9wavefront6targetE0EEEvT1_, .Lfunc_end857-_ZN7rocprim17ROCPRIM_400000_NS6detail17trampoline_kernelINS0_14default_configENS1_27scan_by_key_config_selectorIssEEZZNS1_16scan_by_key_implILNS1_25lookback_scan_determinismE0ELb1ES3_N6thrust23THRUST_200600_302600_NS6detail15normal_iteratorINS9_10device_ptrIsEEEESE_SE_sNS9_4plusIsEE19head_flag_predicatesEE10hipError_tPvRmT2_T3_T4_T5_mT6_T7_P12ihipStream_tbENKUlT_T0_E_clISt17integral_constantIbLb0EESY_EEDaST_SU_EUlST_E_NS1_11comp_targetILNS1_3genE0ELNS1_11target_archE4294967295ELNS1_3gpuE0ELNS1_3repE0EEENS1_30default_config_static_selectorELNS0_4arch9wavefront6targetE0EEEvT1_
                                        ; -- End function
	.set _ZN7rocprim17ROCPRIM_400000_NS6detail17trampoline_kernelINS0_14default_configENS1_27scan_by_key_config_selectorIssEEZZNS1_16scan_by_key_implILNS1_25lookback_scan_determinismE0ELb1ES3_N6thrust23THRUST_200600_302600_NS6detail15normal_iteratorINS9_10device_ptrIsEEEESE_SE_sNS9_4plusIsEE19head_flag_predicatesEE10hipError_tPvRmT2_T3_T4_T5_mT6_T7_P12ihipStream_tbENKUlT_T0_E_clISt17integral_constantIbLb0EESY_EEDaST_SU_EUlST_E_NS1_11comp_targetILNS1_3genE0ELNS1_11target_archE4294967295ELNS1_3gpuE0ELNS1_3repE0EEENS1_30default_config_static_selectorELNS0_4arch9wavefront6targetE0EEEvT1_.num_vgpr, 0
	.set _ZN7rocprim17ROCPRIM_400000_NS6detail17trampoline_kernelINS0_14default_configENS1_27scan_by_key_config_selectorIssEEZZNS1_16scan_by_key_implILNS1_25lookback_scan_determinismE0ELb1ES3_N6thrust23THRUST_200600_302600_NS6detail15normal_iteratorINS9_10device_ptrIsEEEESE_SE_sNS9_4plusIsEE19head_flag_predicatesEE10hipError_tPvRmT2_T3_T4_T5_mT6_T7_P12ihipStream_tbENKUlT_T0_E_clISt17integral_constantIbLb0EESY_EEDaST_SU_EUlST_E_NS1_11comp_targetILNS1_3genE0ELNS1_11target_archE4294967295ELNS1_3gpuE0ELNS1_3repE0EEENS1_30default_config_static_selectorELNS0_4arch9wavefront6targetE0EEEvT1_.num_agpr, 0
	.set _ZN7rocprim17ROCPRIM_400000_NS6detail17trampoline_kernelINS0_14default_configENS1_27scan_by_key_config_selectorIssEEZZNS1_16scan_by_key_implILNS1_25lookback_scan_determinismE0ELb1ES3_N6thrust23THRUST_200600_302600_NS6detail15normal_iteratorINS9_10device_ptrIsEEEESE_SE_sNS9_4plusIsEE19head_flag_predicatesEE10hipError_tPvRmT2_T3_T4_T5_mT6_T7_P12ihipStream_tbENKUlT_T0_E_clISt17integral_constantIbLb0EESY_EEDaST_SU_EUlST_E_NS1_11comp_targetILNS1_3genE0ELNS1_11target_archE4294967295ELNS1_3gpuE0ELNS1_3repE0EEENS1_30default_config_static_selectorELNS0_4arch9wavefront6targetE0EEEvT1_.numbered_sgpr, 0
	.set _ZN7rocprim17ROCPRIM_400000_NS6detail17trampoline_kernelINS0_14default_configENS1_27scan_by_key_config_selectorIssEEZZNS1_16scan_by_key_implILNS1_25lookback_scan_determinismE0ELb1ES3_N6thrust23THRUST_200600_302600_NS6detail15normal_iteratorINS9_10device_ptrIsEEEESE_SE_sNS9_4plusIsEE19head_flag_predicatesEE10hipError_tPvRmT2_T3_T4_T5_mT6_T7_P12ihipStream_tbENKUlT_T0_E_clISt17integral_constantIbLb0EESY_EEDaST_SU_EUlST_E_NS1_11comp_targetILNS1_3genE0ELNS1_11target_archE4294967295ELNS1_3gpuE0ELNS1_3repE0EEENS1_30default_config_static_selectorELNS0_4arch9wavefront6targetE0EEEvT1_.num_named_barrier, 0
	.set _ZN7rocprim17ROCPRIM_400000_NS6detail17trampoline_kernelINS0_14default_configENS1_27scan_by_key_config_selectorIssEEZZNS1_16scan_by_key_implILNS1_25lookback_scan_determinismE0ELb1ES3_N6thrust23THRUST_200600_302600_NS6detail15normal_iteratorINS9_10device_ptrIsEEEESE_SE_sNS9_4plusIsEE19head_flag_predicatesEE10hipError_tPvRmT2_T3_T4_T5_mT6_T7_P12ihipStream_tbENKUlT_T0_E_clISt17integral_constantIbLb0EESY_EEDaST_SU_EUlST_E_NS1_11comp_targetILNS1_3genE0ELNS1_11target_archE4294967295ELNS1_3gpuE0ELNS1_3repE0EEENS1_30default_config_static_selectorELNS0_4arch9wavefront6targetE0EEEvT1_.private_seg_size, 0
	.set _ZN7rocprim17ROCPRIM_400000_NS6detail17trampoline_kernelINS0_14default_configENS1_27scan_by_key_config_selectorIssEEZZNS1_16scan_by_key_implILNS1_25lookback_scan_determinismE0ELb1ES3_N6thrust23THRUST_200600_302600_NS6detail15normal_iteratorINS9_10device_ptrIsEEEESE_SE_sNS9_4plusIsEE19head_flag_predicatesEE10hipError_tPvRmT2_T3_T4_T5_mT6_T7_P12ihipStream_tbENKUlT_T0_E_clISt17integral_constantIbLb0EESY_EEDaST_SU_EUlST_E_NS1_11comp_targetILNS1_3genE0ELNS1_11target_archE4294967295ELNS1_3gpuE0ELNS1_3repE0EEENS1_30default_config_static_selectorELNS0_4arch9wavefront6targetE0EEEvT1_.uses_vcc, 0
	.set _ZN7rocprim17ROCPRIM_400000_NS6detail17trampoline_kernelINS0_14default_configENS1_27scan_by_key_config_selectorIssEEZZNS1_16scan_by_key_implILNS1_25lookback_scan_determinismE0ELb1ES3_N6thrust23THRUST_200600_302600_NS6detail15normal_iteratorINS9_10device_ptrIsEEEESE_SE_sNS9_4plusIsEE19head_flag_predicatesEE10hipError_tPvRmT2_T3_T4_T5_mT6_T7_P12ihipStream_tbENKUlT_T0_E_clISt17integral_constantIbLb0EESY_EEDaST_SU_EUlST_E_NS1_11comp_targetILNS1_3genE0ELNS1_11target_archE4294967295ELNS1_3gpuE0ELNS1_3repE0EEENS1_30default_config_static_selectorELNS0_4arch9wavefront6targetE0EEEvT1_.uses_flat_scratch, 0
	.set _ZN7rocprim17ROCPRIM_400000_NS6detail17trampoline_kernelINS0_14default_configENS1_27scan_by_key_config_selectorIssEEZZNS1_16scan_by_key_implILNS1_25lookback_scan_determinismE0ELb1ES3_N6thrust23THRUST_200600_302600_NS6detail15normal_iteratorINS9_10device_ptrIsEEEESE_SE_sNS9_4plusIsEE19head_flag_predicatesEE10hipError_tPvRmT2_T3_T4_T5_mT6_T7_P12ihipStream_tbENKUlT_T0_E_clISt17integral_constantIbLb0EESY_EEDaST_SU_EUlST_E_NS1_11comp_targetILNS1_3genE0ELNS1_11target_archE4294967295ELNS1_3gpuE0ELNS1_3repE0EEENS1_30default_config_static_selectorELNS0_4arch9wavefront6targetE0EEEvT1_.has_dyn_sized_stack, 0
	.set _ZN7rocprim17ROCPRIM_400000_NS6detail17trampoline_kernelINS0_14default_configENS1_27scan_by_key_config_selectorIssEEZZNS1_16scan_by_key_implILNS1_25lookback_scan_determinismE0ELb1ES3_N6thrust23THRUST_200600_302600_NS6detail15normal_iteratorINS9_10device_ptrIsEEEESE_SE_sNS9_4plusIsEE19head_flag_predicatesEE10hipError_tPvRmT2_T3_T4_T5_mT6_T7_P12ihipStream_tbENKUlT_T0_E_clISt17integral_constantIbLb0EESY_EEDaST_SU_EUlST_E_NS1_11comp_targetILNS1_3genE0ELNS1_11target_archE4294967295ELNS1_3gpuE0ELNS1_3repE0EEENS1_30default_config_static_selectorELNS0_4arch9wavefront6targetE0EEEvT1_.has_recursion, 0
	.set _ZN7rocprim17ROCPRIM_400000_NS6detail17trampoline_kernelINS0_14default_configENS1_27scan_by_key_config_selectorIssEEZZNS1_16scan_by_key_implILNS1_25lookback_scan_determinismE0ELb1ES3_N6thrust23THRUST_200600_302600_NS6detail15normal_iteratorINS9_10device_ptrIsEEEESE_SE_sNS9_4plusIsEE19head_flag_predicatesEE10hipError_tPvRmT2_T3_T4_T5_mT6_T7_P12ihipStream_tbENKUlT_T0_E_clISt17integral_constantIbLb0EESY_EEDaST_SU_EUlST_E_NS1_11comp_targetILNS1_3genE0ELNS1_11target_archE4294967295ELNS1_3gpuE0ELNS1_3repE0EEENS1_30default_config_static_selectorELNS0_4arch9wavefront6targetE0EEEvT1_.has_indirect_call, 0
	.section	.AMDGPU.csdata,"",@progbits
; Kernel info:
; codeLenInByte = 0
; TotalNumSgprs: 0
; NumVgprs: 0
; ScratchSize: 0
; MemoryBound: 0
; FloatMode: 240
; IeeeMode: 1
; LDSByteSize: 0 bytes/workgroup (compile time only)
; SGPRBlocks: 0
; VGPRBlocks: 0
; NumSGPRsForWavesPerEU: 1
; NumVGPRsForWavesPerEU: 1
; Occupancy: 16
; WaveLimiterHint : 0
; COMPUTE_PGM_RSRC2:SCRATCH_EN: 0
; COMPUTE_PGM_RSRC2:USER_SGPR: 6
; COMPUTE_PGM_RSRC2:TRAP_HANDLER: 0
; COMPUTE_PGM_RSRC2:TGID_X_EN: 1
; COMPUTE_PGM_RSRC2:TGID_Y_EN: 0
; COMPUTE_PGM_RSRC2:TGID_Z_EN: 0
; COMPUTE_PGM_RSRC2:TIDIG_COMP_CNT: 0
	.section	.text._ZN7rocprim17ROCPRIM_400000_NS6detail17trampoline_kernelINS0_14default_configENS1_27scan_by_key_config_selectorIssEEZZNS1_16scan_by_key_implILNS1_25lookback_scan_determinismE0ELb1ES3_N6thrust23THRUST_200600_302600_NS6detail15normal_iteratorINS9_10device_ptrIsEEEESE_SE_sNS9_4plusIsEE19head_flag_predicatesEE10hipError_tPvRmT2_T3_T4_T5_mT6_T7_P12ihipStream_tbENKUlT_T0_E_clISt17integral_constantIbLb0EESY_EEDaST_SU_EUlST_E_NS1_11comp_targetILNS1_3genE10ELNS1_11target_archE1201ELNS1_3gpuE5ELNS1_3repE0EEENS1_30default_config_static_selectorELNS0_4arch9wavefront6targetE0EEEvT1_,"axG",@progbits,_ZN7rocprim17ROCPRIM_400000_NS6detail17trampoline_kernelINS0_14default_configENS1_27scan_by_key_config_selectorIssEEZZNS1_16scan_by_key_implILNS1_25lookback_scan_determinismE0ELb1ES3_N6thrust23THRUST_200600_302600_NS6detail15normal_iteratorINS9_10device_ptrIsEEEESE_SE_sNS9_4plusIsEE19head_flag_predicatesEE10hipError_tPvRmT2_T3_T4_T5_mT6_T7_P12ihipStream_tbENKUlT_T0_E_clISt17integral_constantIbLb0EESY_EEDaST_SU_EUlST_E_NS1_11comp_targetILNS1_3genE10ELNS1_11target_archE1201ELNS1_3gpuE5ELNS1_3repE0EEENS1_30default_config_static_selectorELNS0_4arch9wavefront6targetE0EEEvT1_,comdat
	.protected	_ZN7rocprim17ROCPRIM_400000_NS6detail17trampoline_kernelINS0_14default_configENS1_27scan_by_key_config_selectorIssEEZZNS1_16scan_by_key_implILNS1_25lookback_scan_determinismE0ELb1ES3_N6thrust23THRUST_200600_302600_NS6detail15normal_iteratorINS9_10device_ptrIsEEEESE_SE_sNS9_4plusIsEE19head_flag_predicatesEE10hipError_tPvRmT2_T3_T4_T5_mT6_T7_P12ihipStream_tbENKUlT_T0_E_clISt17integral_constantIbLb0EESY_EEDaST_SU_EUlST_E_NS1_11comp_targetILNS1_3genE10ELNS1_11target_archE1201ELNS1_3gpuE5ELNS1_3repE0EEENS1_30default_config_static_selectorELNS0_4arch9wavefront6targetE0EEEvT1_ ; -- Begin function _ZN7rocprim17ROCPRIM_400000_NS6detail17trampoline_kernelINS0_14default_configENS1_27scan_by_key_config_selectorIssEEZZNS1_16scan_by_key_implILNS1_25lookback_scan_determinismE0ELb1ES3_N6thrust23THRUST_200600_302600_NS6detail15normal_iteratorINS9_10device_ptrIsEEEESE_SE_sNS9_4plusIsEE19head_flag_predicatesEE10hipError_tPvRmT2_T3_T4_T5_mT6_T7_P12ihipStream_tbENKUlT_T0_E_clISt17integral_constantIbLb0EESY_EEDaST_SU_EUlST_E_NS1_11comp_targetILNS1_3genE10ELNS1_11target_archE1201ELNS1_3gpuE5ELNS1_3repE0EEENS1_30default_config_static_selectorELNS0_4arch9wavefront6targetE0EEEvT1_
	.globl	_ZN7rocprim17ROCPRIM_400000_NS6detail17trampoline_kernelINS0_14default_configENS1_27scan_by_key_config_selectorIssEEZZNS1_16scan_by_key_implILNS1_25lookback_scan_determinismE0ELb1ES3_N6thrust23THRUST_200600_302600_NS6detail15normal_iteratorINS9_10device_ptrIsEEEESE_SE_sNS9_4plusIsEE19head_flag_predicatesEE10hipError_tPvRmT2_T3_T4_T5_mT6_T7_P12ihipStream_tbENKUlT_T0_E_clISt17integral_constantIbLb0EESY_EEDaST_SU_EUlST_E_NS1_11comp_targetILNS1_3genE10ELNS1_11target_archE1201ELNS1_3gpuE5ELNS1_3repE0EEENS1_30default_config_static_selectorELNS0_4arch9wavefront6targetE0EEEvT1_
	.p2align	8
	.type	_ZN7rocprim17ROCPRIM_400000_NS6detail17trampoline_kernelINS0_14default_configENS1_27scan_by_key_config_selectorIssEEZZNS1_16scan_by_key_implILNS1_25lookback_scan_determinismE0ELb1ES3_N6thrust23THRUST_200600_302600_NS6detail15normal_iteratorINS9_10device_ptrIsEEEESE_SE_sNS9_4plusIsEE19head_flag_predicatesEE10hipError_tPvRmT2_T3_T4_T5_mT6_T7_P12ihipStream_tbENKUlT_T0_E_clISt17integral_constantIbLb0EESY_EEDaST_SU_EUlST_E_NS1_11comp_targetILNS1_3genE10ELNS1_11target_archE1201ELNS1_3gpuE5ELNS1_3repE0EEENS1_30default_config_static_selectorELNS0_4arch9wavefront6targetE0EEEvT1_,@function
_ZN7rocprim17ROCPRIM_400000_NS6detail17trampoline_kernelINS0_14default_configENS1_27scan_by_key_config_selectorIssEEZZNS1_16scan_by_key_implILNS1_25lookback_scan_determinismE0ELb1ES3_N6thrust23THRUST_200600_302600_NS6detail15normal_iteratorINS9_10device_ptrIsEEEESE_SE_sNS9_4plusIsEE19head_flag_predicatesEE10hipError_tPvRmT2_T3_T4_T5_mT6_T7_P12ihipStream_tbENKUlT_T0_E_clISt17integral_constantIbLb0EESY_EEDaST_SU_EUlST_E_NS1_11comp_targetILNS1_3genE10ELNS1_11target_archE1201ELNS1_3gpuE5ELNS1_3repE0EEENS1_30default_config_static_selectorELNS0_4arch9wavefront6targetE0EEEvT1_: ; @_ZN7rocprim17ROCPRIM_400000_NS6detail17trampoline_kernelINS0_14default_configENS1_27scan_by_key_config_selectorIssEEZZNS1_16scan_by_key_implILNS1_25lookback_scan_determinismE0ELb1ES3_N6thrust23THRUST_200600_302600_NS6detail15normal_iteratorINS9_10device_ptrIsEEEESE_SE_sNS9_4plusIsEE19head_flag_predicatesEE10hipError_tPvRmT2_T3_T4_T5_mT6_T7_P12ihipStream_tbENKUlT_T0_E_clISt17integral_constantIbLb0EESY_EEDaST_SU_EUlST_E_NS1_11comp_targetILNS1_3genE10ELNS1_11target_archE1201ELNS1_3gpuE5ELNS1_3repE0EEENS1_30default_config_static_selectorELNS0_4arch9wavefront6targetE0EEEvT1_
; %bb.0:
	.section	.rodata,"a",@progbits
	.p2align	6, 0x0
	.amdhsa_kernel _ZN7rocprim17ROCPRIM_400000_NS6detail17trampoline_kernelINS0_14default_configENS1_27scan_by_key_config_selectorIssEEZZNS1_16scan_by_key_implILNS1_25lookback_scan_determinismE0ELb1ES3_N6thrust23THRUST_200600_302600_NS6detail15normal_iteratorINS9_10device_ptrIsEEEESE_SE_sNS9_4plusIsEE19head_flag_predicatesEE10hipError_tPvRmT2_T3_T4_T5_mT6_T7_P12ihipStream_tbENKUlT_T0_E_clISt17integral_constantIbLb0EESY_EEDaST_SU_EUlST_E_NS1_11comp_targetILNS1_3genE10ELNS1_11target_archE1201ELNS1_3gpuE5ELNS1_3repE0EEENS1_30default_config_static_selectorELNS0_4arch9wavefront6targetE0EEEvT1_
		.amdhsa_group_segment_fixed_size 0
		.amdhsa_private_segment_fixed_size 0
		.amdhsa_kernarg_size 112
		.amdhsa_user_sgpr_count 6
		.amdhsa_user_sgpr_private_segment_buffer 1
		.amdhsa_user_sgpr_dispatch_ptr 0
		.amdhsa_user_sgpr_queue_ptr 0
		.amdhsa_user_sgpr_kernarg_segment_ptr 1
		.amdhsa_user_sgpr_dispatch_id 0
		.amdhsa_user_sgpr_flat_scratch_init 0
		.amdhsa_user_sgpr_private_segment_size 0
		.amdhsa_wavefront_size32 1
		.amdhsa_uses_dynamic_stack 0
		.amdhsa_system_sgpr_private_segment_wavefront_offset 0
		.amdhsa_system_sgpr_workgroup_id_x 1
		.amdhsa_system_sgpr_workgroup_id_y 0
		.amdhsa_system_sgpr_workgroup_id_z 0
		.amdhsa_system_sgpr_workgroup_info 0
		.amdhsa_system_vgpr_workitem_id 0
		.amdhsa_next_free_vgpr 1
		.amdhsa_next_free_sgpr 1
		.amdhsa_reserve_vcc 0
		.amdhsa_reserve_flat_scratch 0
		.amdhsa_float_round_mode_32 0
		.amdhsa_float_round_mode_16_64 0
		.amdhsa_float_denorm_mode_32 3
		.amdhsa_float_denorm_mode_16_64 3
		.amdhsa_dx10_clamp 1
		.amdhsa_ieee_mode 1
		.amdhsa_fp16_overflow 0
		.amdhsa_workgroup_processor_mode 1
		.amdhsa_memory_ordered 1
		.amdhsa_forward_progress 1
		.amdhsa_shared_vgpr_count 0
		.amdhsa_exception_fp_ieee_invalid_op 0
		.amdhsa_exception_fp_denorm_src 0
		.amdhsa_exception_fp_ieee_div_zero 0
		.amdhsa_exception_fp_ieee_overflow 0
		.amdhsa_exception_fp_ieee_underflow 0
		.amdhsa_exception_fp_ieee_inexact 0
		.amdhsa_exception_int_div_zero 0
	.end_amdhsa_kernel
	.section	.text._ZN7rocprim17ROCPRIM_400000_NS6detail17trampoline_kernelINS0_14default_configENS1_27scan_by_key_config_selectorIssEEZZNS1_16scan_by_key_implILNS1_25lookback_scan_determinismE0ELb1ES3_N6thrust23THRUST_200600_302600_NS6detail15normal_iteratorINS9_10device_ptrIsEEEESE_SE_sNS9_4plusIsEE19head_flag_predicatesEE10hipError_tPvRmT2_T3_T4_T5_mT6_T7_P12ihipStream_tbENKUlT_T0_E_clISt17integral_constantIbLb0EESY_EEDaST_SU_EUlST_E_NS1_11comp_targetILNS1_3genE10ELNS1_11target_archE1201ELNS1_3gpuE5ELNS1_3repE0EEENS1_30default_config_static_selectorELNS0_4arch9wavefront6targetE0EEEvT1_,"axG",@progbits,_ZN7rocprim17ROCPRIM_400000_NS6detail17trampoline_kernelINS0_14default_configENS1_27scan_by_key_config_selectorIssEEZZNS1_16scan_by_key_implILNS1_25lookback_scan_determinismE0ELb1ES3_N6thrust23THRUST_200600_302600_NS6detail15normal_iteratorINS9_10device_ptrIsEEEESE_SE_sNS9_4plusIsEE19head_flag_predicatesEE10hipError_tPvRmT2_T3_T4_T5_mT6_T7_P12ihipStream_tbENKUlT_T0_E_clISt17integral_constantIbLb0EESY_EEDaST_SU_EUlST_E_NS1_11comp_targetILNS1_3genE10ELNS1_11target_archE1201ELNS1_3gpuE5ELNS1_3repE0EEENS1_30default_config_static_selectorELNS0_4arch9wavefront6targetE0EEEvT1_,comdat
.Lfunc_end858:
	.size	_ZN7rocprim17ROCPRIM_400000_NS6detail17trampoline_kernelINS0_14default_configENS1_27scan_by_key_config_selectorIssEEZZNS1_16scan_by_key_implILNS1_25lookback_scan_determinismE0ELb1ES3_N6thrust23THRUST_200600_302600_NS6detail15normal_iteratorINS9_10device_ptrIsEEEESE_SE_sNS9_4plusIsEE19head_flag_predicatesEE10hipError_tPvRmT2_T3_T4_T5_mT6_T7_P12ihipStream_tbENKUlT_T0_E_clISt17integral_constantIbLb0EESY_EEDaST_SU_EUlST_E_NS1_11comp_targetILNS1_3genE10ELNS1_11target_archE1201ELNS1_3gpuE5ELNS1_3repE0EEENS1_30default_config_static_selectorELNS0_4arch9wavefront6targetE0EEEvT1_, .Lfunc_end858-_ZN7rocprim17ROCPRIM_400000_NS6detail17trampoline_kernelINS0_14default_configENS1_27scan_by_key_config_selectorIssEEZZNS1_16scan_by_key_implILNS1_25lookback_scan_determinismE0ELb1ES3_N6thrust23THRUST_200600_302600_NS6detail15normal_iteratorINS9_10device_ptrIsEEEESE_SE_sNS9_4plusIsEE19head_flag_predicatesEE10hipError_tPvRmT2_T3_T4_T5_mT6_T7_P12ihipStream_tbENKUlT_T0_E_clISt17integral_constantIbLb0EESY_EEDaST_SU_EUlST_E_NS1_11comp_targetILNS1_3genE10ELNS1_11target_archE1201ELNS1_3gpuE5ELNS1_3repE0EEENS1_30default_config_static_selectorELNS0_4arch9wavefront6targetE0EEEvT1_
                                        ; -- End function
	.set _ZN7rocprim17ROCPRIM_400000_NS6detail17trampoline_kernelINS0_14default_configENS1_27scan_by_key_config_selectorIssEEZZNS1_16scan_by_key_implILNS1_25lookback_scan_determinismE0ELb1ES3_N6thrust23THRUST_200600_302600_NS6detail15normal_iteratorINS9_10device_ptrIsEEEESE_SE_sNS9_4plusIsEE19head_flag_predicatesEE10hipError_tPvRmT2_T3_T4_T5_mT6_T7_P12ihipStream_tbENKUlT_T0_E_clISt17integral_constantIbLb0EESY_EEDaST_SU_EUlST_E_NS1_11comp_targetILNS1_3genE10ELNS1_11target_archE1201ELNS1_3gpuE5ELNS1_3repE0EEENS1_30default_config_static_selectorELNS0_4arch9wavefront6targetE0EEEvT1_.num_vgpr, 0
	.set _ZN7rocprim17ROCPRIM_400000_NS6detail17trampoline_kernelINS0_14default_configENS1_27scan_by_key_config_selectorIssEEZZNS1_16scan_by_key_implILNS1_25lookback_scan_determinismE0ELb1ES3_N6thrust23THRUST_200600_302600_NS6detail15normal_iteratorINS9_10device_ptrIsEEEESE_SE_sNS9_4plusIsEE19head_flag_predicatesEE10hipError_tPvRmT2_T3_T4_T5_mT6_T7_P12ihipStream_tbENKUlT_T0_E_clISt17integral_constantIbLb0EESY_EEDaST_SU_EUlST_E_NS1_11comp_targetILNS1_3genE10ELNS1_11target_archE1201ELNS1_3gpuE5ELNS1_3repE0EEENS1_30default_config_static_selectorELNS0_4arch9wavefront6targetE0EEEvT1_.num_agpr, 0
	.set _ZN7rocprim17ROCPRIM_400000_NS6detail17trampoline_kernelINS0_14default_configENS1_27scan_by_key_config_selectorIssEEZZNS1_16scan_by_key_implILNS1_25lookback_scan_determinismE0ELb1ES3_N6thrust23THRUST_200600_302600_NS6detail15normal_iteratorINS9_10device_ptrIsEEEESE_SE_sNS9_4plusIsEE19head_flag_predicatesEE10hipError_tPvRmT2_T3_T4_T5_mT6_T7_P12ihipStream_tbENKUlT_T0_E_clISt17integral_constantIbLb0EESY_EEDaST_SU_EUlST_E_NS1_11comp_targetILNS1_3genE10ELNS1_11target_archE1201ELNS1_3gpuE5ELNS1_3repE0EEENS1_30default_config_static_selectorELNS0_4arch9wavefront6targetE0EEEvT1_.numbered_sgpr, 0
	.set _ZN7rocprim17ROCPRIM_400000_NS6detail17trampoline_kernelINS0_14default_configENS1_27scan_by_key_config_selectorIssEEZZNS1_16scan_by_key_implILNS1_25lookback_scan_determinismE0ELb1ES3_N6thrust23THRUST_200600_302600_NS6detail15normal_iteratorINS9_10device_ptrIsEEEESE_SE_sNS9_4plusIsEE19head_flag_predicatesEE10hipError_tPvRmT2_T3_T4_T5_mT6_T7_P12ihipStream_tbENKUlT_T0_E_clISt17integral_constantIbLb0EESY_EEDaST_SU_EUlST_E_NS1_11comp_targetILNS1_3genE10ELNS1_11target_archE1201ELNS1_3gpuE5ELNS1_3repE0EEENS1_30default_config_static_selectorELNS0_4arch9wavefront6targetE0EEEvT1_.num_named_barrier, 0
	.set _ZN7rocprim17ROCPRIM_400000_NS6detail17trampoline_kernelINS0_14default_configENS1_27scan_by_key_config_selectorIssEEZZNS1_16scan_by_key_implILNS1_25lookback_scan_determinismE0ELb1ES3_N6thrust23THRUST_200600_302600_NS6detail15normal_iteratorINS9_10device_ptrIsEEEESE_SE_sNS9_4plusIsEE19head_flag_predicatesEE10hipError_tPvRmT2_T3_T4_T5_mT6_T7_P12ihipStream_tbENKUlT_T0_E_clISt17integral_constantIbLb0EESY_EEDaST_SU_EUlST_E_NS1_11comp_targetILNS1_3genE10ELNS1_11target_archE1201ELNS1_3gpuE5ELNS1_3repE0EEENS1_30default_config_static_selectorELNS0_4arch9wavefront6targetE0EEEvT1_.private_seg_size, 0
	.set _ZN7rocprim17ROCPRIM_400000_NS6detail17trampoline_kernelINS0_14default_configENS1_27scan_by_key_config_selectorIssEEZZNS1_16scan_by_key_implILNS1_25lookback_scan_determinismE0ELb1ES3_N6thrust23THRUST_200600_302600_NS6detail15normal_iteratorINS9_10device_ptrIsEEEESE_SE_sNS9_4plusIsEE19head_flag_predicatesEE10hipError_tPvRmT2_T3_T4_T5_mT6_T7_P12ihipStream_tbENKUlT_T0_E_clISt17integral_constantIbLb0EESY_EEDaST_SU_EUlST_E_NS1_11comp_targetILNS1_3genE10ELNS1_11target_archE1201ELNS1_3gpuE5ELNS1_3repE0EEENS1_30default_config_static_selectorELNS0_4arch9wavefront6targetE0EEEvT1_.uses_vcc, 0
	.set _ZN7rocprim17ROCPRIM_400000_NS6detail17trampoline_kernelINS0_14default_configENS1_27scan_by_key_config_selectorIssEEZZNS1_16scan_by_key_implILNS1_25lookback_scan_determinismE0ELb1ES3_N6thrust23THRUST_200600_302600_NS6detail15normal_iteratorINS9_10device_ptrIsEEEESE_SE_sNS9_4plusIsEE19head_flag_predicatesEE10hipError_tPvRmT2_T3_T4_T5_mT6_T7_P12ihipStream_tbENKUlT_T0_E_clISt17integral_constantIbLb0EESY_EEDaST_SU_EUlST_E_NS1_11comp_targetILNS1_3genE10ELNS1_11target_archE1201ELNS1_3gpuE5ELNS1_3repE0EEENS1_30default_config_static_selectorELNS0_4arch9wavefront6targetE0EEEvT1_.uses_flat_scratch, 0
	.set _ZN7rocprim17ROCPRIM_400000_NS6detail17trampoline_kernelINS0_14default_configENS1_27scan_by_key_config_selectorIssEEZZNS1_16scan_by_key_implILNS1_25lookback_scan_determinismE0ELb1ES3_N6thrust23THRUST_200600_302600_NS6detail15normal_iteratorINS9_10device_ptrIsEEEESE_SE_sNS9_4plusIsEE19head_flag_predicatesEE10hipError_tPvRmT2_T3_T4_T5_mT6_T7_P12ihipStream_tbENKUlT_T0_E_clISt17integral_constantIbLb0EESY_EEDaST_SU_EUlST_E_NS1_11comp_targetILNS1_3genE10ELNS1_11target_archE1201ELNS1_3gpuE5ELNS1_3repE0EEENS1_30default_config_static_selectorELNS0_4arch9wavefront6targetE0EEEvT1_.has_dyn_sized_stack, 0
	.set _ZN7rocprim17ROCPRIM_400000_NS6detail17trampoline_kernelINS0_14default_configENS1_27scan_by_key_config_selectorIssEEZZNS1_16scan_by_key_implILNS1_25lookback_scan_determinismE0ELb1ES3_N6thrust23THRUST_200600_302600_NS6detail15normal_iteratorINS9_10device_ptrIsEEEESE_SE_sNS9_4plusIsEE19head_flag_predicatesEE10hipError_tPvRmT2_T3_T4_T5_mT6_T7_P12ihipStream_tbENKUlT_T0_E_clISt17integral_constantIbLb0EESY_EEDaST_SU_EUlST_E_NS1_11comp_targetILNS1_3genE10ELNS1_11target_archE1201ELNS1_3gpuE5ELNS1_3repE0EEENS1_30default_config_static_selectorELNS0_4arch9wavefront6targetE0EEEvT1_.has_recursion, 0
	.set _ZN7rocprim17ROCPRIM_400000_NS6detail17trampoline_kernelINS0_14default_configENS1_27scan_by_key_config_selectorIssEEZZNS1_16scan_by_key_implILNS1_25lookback_scan_determinismE0ELb1ES3_N6thrust23THRUST_200600_302600_NS6detail15normal_iteratorINS9_10device_ptrIsEEEESE_SE_sNS9_4plusIsEE19head_flag_predicatesEE10hipError_tPvRmT2_T3_T4_T5_mT6_T7_P12ihipStream_tbENKUlT_T0_E_clISt17integral_constantIbLb0EESY_EEDaST_SU_EUlST_E_NS1_11comp_targetILNS1_3genE10ELNS1_11target_archE1201ELNS1_3gpuE5ELNS1_3repE0EEENS1_30default_config_static_selectorELNS0_4arch9wavefront6targetE0EEEvT1_.has_indirect_call, 0
	.section	.AMDGPU.csdata,"",@progbits
; Kernel info:
; codeLenInByte = 0
; TotalNumSgprs: 0
; NumVgprs: 0
; ScratchSize: 0
; MemoryBound: 0
; FloatMode: 240
; IeeeMode: 1
; LDSByteSize: 0 bytes/workgroup (compile time only)
; SGPRBlocks: 0
; VGPRBlocks: 0
; NumSGPRsForWavesPerEU: 1
; NumVGPRsForWavesPerEU: 1
; Occupancy: 16
; WaveLimiterHint : 0
; COMPUTE_PGM_RSRC2:SCRATCH_EN: 0
; COMPUTE_PGM_RSRC2:USER_SGPR: 6
; COMPUTE_PGM_RSRC2:TRAP_HANDLER: 0
; COMPUTE_PGM_RSRC2:TGID_X_EN: 1
; COMPUTE_PGM_RSRC2:TGID_Y_EN: 0
; COMPUTE_PGM_RSRC2:TGID_Z_EN: 0
; COMPUTE_PGM_RSRC2:TIDIG_COMP_CNT: 0
	.section	.text._ZN7rocprim17ROCPRIM_400000_NS6detail17trampoline_kernelINS0_14default_configENS1_27scan_by_key_config_selectorIssEEZZNS1_16scan_by_key_implILNS1_25lookback_scan_determinismE0ELb1ES3_N6thrust23THRUST_200600_302600_NS6detail15normal_iteratorINS9_10device_ptrIsEEEESE_SE_sNS9_4plusIsEE19head_flag_predicatesEE10hipError_tPvRmT2_T3_T4_T5_mT6_T7_P12ihipStream_tbENKUlT_T0_E_clISt17integral_constantIbLb0EESY_EEDaST_SU_EUlST_E_NS1_11comp_targetILNS1_3genE5ELNS1_11target_archE942ELNS1_3gpuE9ELNS1_3repE0EEENS1_30default_config_static_selectorELNS0_4arch9wavefront6targetE0EEEvT1_,"axG",@progbits,_ZN7rocprim17ROCPRIM_400000_NS6detail17trampoline_kernelINS0_14default_configENS1_27scan_by_key_config_selectorIssEEZZNS1_16scan_by_key_implILNS1_25lookback_scan_determinismE0ELb1ES3_N6thrust23THRUST_200600_302600_NS6detail15normal_iteratorINS9_10device_ptrIsEEEESE_SE_sNS9_4plusIsEE19head_flag_predicatesEE10hipError_tPvRmT2_T3_T4_T5_mT6_T7_P12ihipStream_tbENKUlT_T0_E_clISt17integral_constantIbLb0EESY_EEDaST_SU_EUlST_E_NS1_11comp_targetILNS1_3genE5ELNS1_11target_archE942ELNS1_3gpuE9ELNS1_3repE0EEENS1_30default_config_static_selectorELNS0_4arch9wavefront6targetE0EEEvT1_,comdat
	.protected	_ZN7rocprim17ROCPRIM_400000_NS6detail17trampoline_kernelINS0_14default_configENS1_27scan_by_key_config_selectorIssEEZZNS1_16scan_by_key_implILNS1_25lookback_scan_determinismE0ELb1ES3_N6thrust23THRUST_200600_302600_NS6detail15normal_iteratorINS9_10device_ptrIsEEEESE_SE_sNS9_4plusIsEE19head_flag_predicatesEE10hipError_tPvRmT2_T3_T4_T5_mT6_T7_P12ihipStream_tbENKUlT_T0_E_clISt17integral_constantIbLb0EESY_EEDaST_SU_EUlST_E_NS1_11comp_targetILNS1_3genE5ELNS1_11target_archE942ELNS1_3gpuE9ELNS1_3repE0EEENS1_30default_config_static_selectorELNS0_4arch9wavefront6targetE0EEEvT1_ ; -- Begin function _ZN7rocprim17ROCPRIM_400000_NS6detail17trampoline_kernelINS0_14default_configENS1_27scan_by_key_config_selectorIssEEZZNS1_16scan_by_key_implILNS1_25lookback_scan_determinismE0ELb1ES3_N6thrust23THRUST_200600_302600_NS6detail15normal_iteratorINS9_10device_ptrIsEEEESE_SE_sNS9_4plusIsEE19head_flag_predicatesEE10hipError_tPvRmT2_T3_T4_T5_mT6_T7_P12ihipStream_tbENKUlT_T0_E_clISt17integral_constantIbLb0EESY_EEDaST_SU_EUlST_E_NS1_11comp_targetILNS1_3genE5ELNS1_11target_archE942ELNS1_3gpuE9ELNS1_3repE0EEENS1_30default_config_static_selectorELNS0_4arch9wavefront6targetE0EEEvT1_
	.globl	_ZN7rocprim17ROCPRIM_400000_NS6detail17trampoline_kernelINS0_14default_configENS1_27scan_by_key_config_selectorIssEEZZNS1_16scan_by_key_implILNS1_25lookback_scan_determinismE0ELb1ES3_N6thrust23THRUST_200600_302600_NS6detail15normal_iteratorINS9_10device_ptrIsEEEESE_SE_sNS9_4plusIsEE19head_flag_predicatesEE10hipError_tPvRmT2_T3_T4_T5_mT6_T7_P12ihipStream_tbENKUlT_T0_E_clISt17integral_constantIbLb0EESY_EEDaST_SU_EUlST_E_NS1_11comp_targetILNS1_3genE5ELNS1_11target_archE942ELNS1_3gpuE9ELNS1_3repE0EEENS1_30default_config_static_selectorELNS0_4arch9wavefront6targetE0EEEvT1_
	.p2align	8
	.type	_ZN7rocprim17ROCPRIM_400000_NS6detail17trampoline_kernelINS0_14default_configENS1_27scan_by_key_config_selectorIssEEZZNS1_16scan_by_key_implILNS1_25lookback_scan_determinismE0ELb1ES3_N6thrust23THRUST_200600_302600_NS6detail15normal_iteratorINS9_10device_ptrIsEEEESE_SE_sNS9_4plusIsEE19head_flag_predicatesEE10hipError_tPvRmT2_T3_T4_T5_mT6_T7_P12ihipStream_tbENKUlT_T0_E_clISt17integral_constantIbLb0EESY_EEDaST_SU_EUlST_E_NS1_11comp_targetILNS1_3genE5ELNS1_11target_archE942ELNS1_3gpuE9ELNS1_3repE0EEENS1_30default_config_static_selectorELNS0_4arch9wavefront6targetE0EEEvT1_,@function
_ZN7rocprim17ROCPRIM_400000_NS6detail17trampoline_kernelINS0_14default_configENS1_27scan_by_key_config_selectorIssEEZZNS1_16scan_by_key_implILNS1_25lookback_scan_determinismE0ELb1ES3_N6thrust23THRUST_200600_302600_NS6detail15normal_iteratorINS9_10device_ptrIsEEEESE_SE_sNS9_4plusIsEE19head_flag_predicatesEE10hipError_tPvRmT2_T3_T4_T5_mT6_T7_P12ihipStream_tbENKUlT_T0_E_clISt17integral_constantIbLb0EESY_EEDaST_SU_EUlST_E_NS1_11comp_targetILNS1_3genE5ELNS1_11target_archE942ELNS1_3gpuE9ELNS1_3repE0EEENS1_30default_config_static_selectorELNS0_4arch9wavefront6targetE0EEEvT1_: ; @_ZN7rocprim17ROCPRIM_400000_NS6detail17trampoline_kernelINS0_14default_configENS1_27scan_by_key_config_selectorIssEEZZNS1_16scan_by_key_implILNS1_25lookback_scan_determinismE0ELb1ES3_N6thrust23THRUST_200600_302600_NS6detail15normal_iteratorINS9_10device_ptrIsEEEESE_SE_sNS9_4plusIsEE19head_flag_predicatesEE10hipError_tPvRmT2_T3_T4_T5_mT6_T7_P12ihipStream_tbENKUlT_T0_E_clISt17integral_constantIbLb0EESY_EEDaST_SU_EUlST_E_NS1_11comp_targetILNS1_3genE5ELNS1_11target_archE942ELNS1_3gpuE9ELNS1_3repE0EEENS1_30default_config_static_selectorELNS0_4arch9wavefront6targetE0EEEvT1_
; %bb.0:
	.section	.rodata,"a",@progbits
	.p2align	6, 0x0
	.amdhsa_kernel _ZN7rocprim17ROCPRIM_400000_NS6detail17trampoline_kernelINS0_14default_configENS1_27scan_by_key_config_selectorIssEEZZNS1_16scan_by_key_implILNS1_25lookback_scan_determinismE0ELb1ES3_N6thrust23THRUST_200600_302600_NS6detail15normal_iteratorINS9_10device_ptrIsEEEESE_SE_sNS9_4plusIsEE19head_flag_predicatesEE10hipError_tPvRmT2_T3_T4_T5_mT6_T7_P12ihipStream_tbENKUlT_T0_E_clISt17integral_constantIbLb0EESY_EEDaST_SU_EUlST_E_NS1_11comp_targetILNS1_3genE5ELNS1_11target_archE942ELNS1_3gpuE9ELNS1_3repE0EEENS1_30default_config_static_selectorELNS0_4arch9wavefront6targetE0EEEvT1_
		.amdhsa_group_segment_fixed_size 0
		.amdhsa_private_segment_fixed_size 0
		.amdhsa_kernarg_size 112
		.amdhsa_user_sgpr_count 6
		.amdhsa_user_sgpr_private_segment_buffer 1
		.amdhsa_user_sgpr_dispatch_ptr 0
		.amdhsa_user_sgpr_queue_ptr 0
		.amdhsa_user_sgpr_kernarg_segment_ptr 1
		.amdhsa_user_sgpr_dispatch_id 0
		.amdhsa_user_sgpr_flat_scratch_init 0
		.amdhsa_user_sgpr_private_segment_size 0
		.amdhsa_wavefront_size32 1
		.amdhsa_uses_dynamic_stack 0
		.amdhsa_system_sgpr_private_segment_wavefront_offset 0
		.amdhsa_system_sgpr_workgroup_id_x 1
		.amdhsa_system_sgpr_workgroup_id_y 0
		.amdhsa_system_sgpr_workgroup_id_z 0
		.amdhsa_system_sgpr_workgroup_info 0
		.amdhsa_system_vgpr_workitem_id 0
		.amdhsa_next_free_vgpr 1
		.amdhsa_next_free_sgpr 1
		.amdhsa_reserve_vcc 0
		.amdhsa_reserve_flat_scratch 0
		.amdhsa_float_round_mode_32 0
		.amdhsa_float_round_mode_16_64 0
		.amdhsa_float_denorm_mode_32 3
		.amdhsa_float_denorm_mode_16_64 3
		.amdhsa_dx10_clamp 1
		.amdhsa_ieee_mode 1
		.amdhsa_fp16_overflow 0
		.amdhsa_workgroup_processor_mode 1
		.amdhsa_memory_ordered 1
		.amdhsa_forward_progress 1
		.amdhsa_shared_vgpr_count 0
		.amdhsa_exception_fp_ieee_invalid_op 0
		.amdhsa_exception_fp_denorm_src 0
		.amdhsa_exception_fp_ieee_div_zero 0
		.amdhsa_exception_fp_ieee_overflow 0
		.amdhsa_exception_fp_ieee_underflow 0
		.amdhsa_exception_fp_ieee_inexact 0
		.amdhsa_exception_int_div_zero 0
	.end_amdhsa_kernel
	.section	.text._ZN7rocprim17ROCPRIM_400000_NS6detail17trampoline_kernelINS0_14default_configENS1_27scan_by_key_config_selectorIssEEZZNS1_16scan_by_key_implILNS1_25lookback_scan_determinismE0ELb1ES3_N6thrust23THRUST_200600_302600_NS6detail15normal_iteratorINS9_10device_ptrIsEEEESE_SE_sNS9_4plusIsEE19head_flag_predicatesEE10hipError_tPvRmT2_T3_T4_T5_mT6_T7_P12ihipStream_tbENKUlT_T0_E_clISt17integral_constantIbLb0EESY_EEDaST_SU_EUlST_E_NS1_11comp_targetILNS1_3genE5ELNS1_11target_archE942ELNS1_3gpuE9ELNS1_3repE0EEENS1_30default_config_static_selectorELNS0_4arch9wavefront6targetE0EEEvT1_,"axG",@progbits,_ZN7rocprim17ROCPRIM_400000_NS6detail17trampoline_kernelINS0_14default_configENS1_27scan_by_key_config_selectorIssEEZZNS1_16scan_by_key_implILNS1_25lookback_scan_determinismE0ELb1ES3_N6thrust23THRUST_200600_302600_NS6detail15normal_iteratorINS9_10device_ptrIsEEEESE_SE_sNS9_4plusIsEE19head_flag_predicatesEE10hipError_tPvRmT2_T3_T4_T5_mT6_T7_P12ihipStream_tbENKUlT_T0_E_clISt17integral_constantIbLb0EESY_EEDaST_SU_EUlST_E_NS1_11comp_targetILNS1_3genE5ELNS1_11target_archE942ELNS1_3gpuE9ELNS1_3repE0EEENS1_30default_config_static_selectorELNS0_4arch9wavefront6targetE0EEEvT1_,comdat
.Lfunc_end859:
	.size	_ZN7rocprim17ROCPRIM_400000_NS6detail17trampoline_kernelINS0_14default_configENS1_27scan_by_key_config_selectorIssEEZZNS1_16scan_by_key_implILNS1_25lookback_scan_determinismE0ELb1ES3_N6thrust23THRUST_200600_302600_NS6detail15normal_iteratorINS9_10device_ptrIsEEEESE_SE_sNS9_4plusIsEE19head_flag_predicatesEE10hipError_tPvRmT2_T3_T4_T5_mT6_T7_P12ihipStream_tbENKUlT_T0_E_clISt17integral_constantIbLb0EESY_EEDaST_SU_EUlST_E_NS1_11comp_targetILNS1_3genE5ELNS1_11target_archE942ELNS1_3gpuE9ELNS1_3repE0EEENS1_30default_config_static_selectorELNS0_4arch9wavefront6targetE0EEEvT1_, .Lfunc_end859-_ZN7rocprim17ROCPRIM_400000_NS6detail17trampoline_kernelINS0_14default_configENS1_27scan_by_key_config_selectorIssEEZZNS1_16scan_by_key_implILNS1_25lookback_scan_determinismE0ELb1ES3_N6thrust23THRUST_200600_302600_NS6detail15normal_iteratorINS9_10device_ptrIsEEEESE_SE_sNS9_4plusIsEE19head_flag_predicatesEE10hipError_tPvRmT2_T3_T4_T5_mT6_T7_P12ihipStream_tbENKUlT_T0_E_clISt17integral_constantIbLb0EESY_EEDaST_SU_EUlST_E_NS1_11comp_targetILNS1_3genE5ELNS1_11target_archE942ELNS1_3gpuE9ELNS1_3repE0EEENS1_30default_config_static_selectorELNS0_4arch9wavefront6targetE0EEEvT1_
                                        ; -- End function
	.set _ZN7rocprim17ROCPRIM_400000_NS6detail17trampoline_kernelINS0_14default_configENS1_27scan_by_key_config_selectorIssEEZZNS1_16scan_by_key_implILNS1_25lookback_scan_determinismE0ELb1ES3_N6thrust23THRUST_200600_302600_NS6detail15normal_iteratorINS9_10device_ptrIsEEEESE_SE_sNS9_4plusIsEE19head_flag_predicatesEE10hipError_tPvRmT2_T3_T4_T5_mT6_T7_P12ihipStream_tbENKUlT_T0_E_clISt17integral_constantIbLb0EESY_EEDaST_SU_EUlST_E_NS1_11comp_targetILNS1_3genE5ELNS1_11target_archE942ELNS1_3gpuE9ELNS1_3repE0EEENS1_30default_config_static_selectorELNS0_4arch9wavefront6targetE0EEEvT1_.num_vgpr, 0
	.set _ZN7rocprim17ROCPRIM_400000_NS6detail17trampoline_kernelINS0_14default_configENS1_27scan_by_key_config_selectorIssEEZZNS1_16scan_by_key_implILNS1_25lookback_scan_determinismE0ELb1ES3_N6thrust23THRUST_200600_302600_NS6detail15normal_iteratorINS9_10device_ptrIsEEEESE_SE_sNS9_4plusIsEE19head_flag_predicatesEE10hipError_tPvRmT2_T3_T4_T5_mT6_T7_P12ihipStream_tbENKUlT_T0_E_clISt17integral_constantIbLb0EESY_EEDaST_SU_EUlST_E_NS1_11comp_targetILNS1_3genE5ELNS1_11target_archE942ELNS1_3gpuE9ELNS1_3repE0EEENS1_30default_config_static_selectorELNS0_4arch9wavefront6targetE0EEEvT1_.num_agpr, 0
	.set _ZN7rocprim17ROCPRIM_400000_NS6detail17trampoline_kernelINS0_14default_configENS1_27scan_by_key_config_selectorIssEEZZNS1_16scan_by_key_implILNS1_25lookback_scan_determinismE0ELb1ES3_N6thrust23THRUST_200600_302600_NS6detail15normal_iteratorINS9_10device_ptrIsEEEESE_SE_sNS9_4plusIsEE19head_flag_predicatesEE10hipError_tPvRmT2_T3_T4_T5_mT6_T7_P12ihipStream_tbENKUlT_T0_E_clISt17integral_constantIbLb0EESY_EEDaST_SU_EUlST_E_NS1_11comp_targetILNS1_3genE5ELNS1_11target_archE942ELNS1_3gpuE9ELNS1_3repE0EEENS1_30default_config_static_selectorELNS0_4arch9wavefront6targetE0EEEvT1_.numbered_sgpr, 0
	.set _ZN7rocprim17ROCPRIM_400000_NS6detail17trampoline_kernelINS0_14default_configENS1_27scan_by_key_config_selectorIssEEZZNS1_16scan_by_key_implILNS1_25lookback_scan_determinismE0ELb1ES3_N6thrust23THRUST_200600_302600_NS6detail15normal_iteratorINS9_10device_ptrIsEEEESE_SE_sNS9_4plusIsEE19head_flag_predicatesEE10hipError_tPvRmT2_T3_T4_T5_mT6_T7_P12ihipStream_tbENKUlT_T0_E_clISt17integral_constantIbLb0EESY_EEDaST_SU_EUlST_E_NS1_11comp_targetILNS1_3genE5ELNS1_11target_archE942ELNS1_3gpuE9ELNS1_3repE0EEENS1_30default_config_static_selectorELNS0_4arch9wavefront6targetE0EEEvT1_.num_named_barrier, 0
	.set _ZN7rocprim17ROCPRIM_400000_NS6detail17trampoline_kernelINS0_14default_configENS1_27scan_by_key_config_selectorIssEEZZNS1_16scan_by_key_implILNS1_25lookback_scan_determinismE0ELb1ES3_N6thrust23THRUST_200600_302600_NS6detail15normal_iteratorINS9_10device_ptrIsEEEESE_SE_sNS9_4plusIsEE19head_flag_predicatesEE10hipError_tPvRmT2_T3_T4_T5_mT6_T7_P12ihipStream_tbENKUlT_T0_E_clISt17integral_constantIbLb0EESY_EEDaST_SU_EUlST_E_NS1_11comp_targetILNS1_3genE5ELNS1_11target_archE942ELNS1_3gpuE9ELNS1_3repE0EEENS1_30default_config_static_selectorELNS0_4arch9wavefront6targetE0EEEvT1_.private_seg_size, 0
	.set _ZN7rocprim17ROCPRIM_400000_NS6detail17trampoline_kernelINS0_14default_configENS1_27scan_by_key_config_selectorIssEEZZNS1_16scan_by_key_implILNS1_25lookback_scan_determinismE0ELb1ES3_N6thrust23THRUST_200600_302600_NS6detail15normal_iteratorINS9_10device_ptrIsEEEESE_SE_sNS9_4plusIsEE19head_flag_predicatesEE10hipError_tPvRmT2_T3_T4_T5_mT6_T7_P12ihipStream_tbENKUlT_T0_E_clISt17integral_constantIbLb0EESY_EEDaST_SU_EUlST_E_NS1_11comp_targetILNS1_3genE5ELNS1_11target_archE942ELNS1_3gpuE9ELNS1_3repE0EEENS1_30default_config_static_selectorELNS0_4arch9wavefront6targetE0EEEvT1_.uses_vcc, 0
	.set _ZN7rocprim17ROCPRIM_400000_NS6detail17trampoline_kernelINS0_14default_configENS1_27scan_by_key_config_selectorIssEEZZNS1_16scan_by_key_implILNS1_25lookback_scan_determinismE0ELb1ES3_N6thrust23THRUST_200600_302600_NS6detail15normal_iteratorINS9_10device_ptrIsEEEESE_SE_sNS9_4plusIsEE19head_flag_predicatesEE10hipError_tPvRmT2_T3_T4_T5_mT6_T7_P12ihipStream_tbENKUlT_T0_E_clISt17integral_constantIbLb0EESY_EEDaST_SU_EUlST_E_NS1_11comp_targetILNS1_3genE5ELNS1_11target_archE942ELNS1_3gpuE9ELNS1_3repE0EEENS1_30default_config_static_selectorELNS0_4arch9wavefront6targetE0EEEvT1_.uses_flat_scratch, 0
	.set _ZN7rocprim17ROCPRIM_400000_NS6detail17trampoline_kernelINS0_14default_configENS1_27scan_by_key_config_selectorIssEEZZNS1_16scan_by_key_implILNS1_25lookback_scan_determinismE0ELb1ES3_N6thrust23THRUST_200600_302600_NS6detail15normal_iteratorINS9_10device_ptrIsEEEESE_SE_sNS9_4plusIsEE19head_flag_predicatesEE10hipError_tPvRmT2_T3_T4_T5_mT6_T7_P12ihipStream_tbENKUlT_T0_E_clISt17integral_constantIbLb0EESY_EEDaST_SU_EUlST_E_NS1_11comp_targetILNS1_3genE5ELNS1_11target_archE942ELNS1_3gpuE9ELNS1_3repE0EEENS1_30default_config_static_selectorELNS0_4arch9wavefront6targetE0EEEvT1_.has_dyn_sized_stack, 0
	.set _ZN7rocprim17ROCPRIM_400000_NS6detail17trampoline_kernelINS0_14default_configENS1_27scan_by_key_config_selectorIssEEZZNS1_16scan_by_key_implILNS1_25lookback_scan_determinismE0ELb1ES3_N6thrust23THRUST_200600_302600_NS6detail15normal_iteratorINS9_10device_ptrIsEEEESE_SE_sNS9_4plusIsEE19head_flag_predicatesEE10hipError_tPvRmT2_T3_T4_T5_mT6_T7_P12ihipStream_tbENKUlT_T0_E_clISt17integral_constantIbLb0EESY_EEDaST_SU_EUlST_E_NS1_11comp_targetILNS1_3genE5ELNS1_11target_archE942ELNS1_3gpuE9ELNS1_3repE0EEENS1_30default_config_static_selectorELNS0_4arch9wavefront6targetE0EEEvT1_.has_recursion, 0
	.set _ZN7rocprim17ROCPRIM_400000_NS6detail17trampoline_kernelINS0_14default_configENS1_27scan_by_key_config_selectorIssEEZZNS1_16scan_by_key_implILNS1_25lookback_scan_determinismE0ELb1ES3_N6thrust23THRUST_200600_302600_NS6detail15normal_iteratorINS9_10device_ptrIsEEEESE_SE_sNS9_4plusIsEE19head_flag_predicatesEE10hipError_tPvRmT2_T3_T4_T5_mT6_T7_P12ihipStream_tbENKUlT_T0_E_clISt17integral_constantIbLb0EESY_EEDaST_SU_EUlST_E_NS1_11comp_targetILNS1_3genE5ELNS1_11target_archE942ELNS1_3gpuE9ELNS1_3repE0EEENS1_30default_config_static_selectorELNS0_4arch9wavefront6targetE0EEEvT1_.has_indirect_call, 0
	.section	.AMDGPU.csdata,"",@progbits
; Kernel info:
; codeLenInByte = 0
; TotalNumSgprs: 0
; NumVgprs: 0
; ScratchSize: 0
; MemoryBound: 0
; FloatMode: 240
; IeeeMode: 1
; LDSByteSize: 0 bytes/workgroup (compile time only)
; SGPRBlocks: 0
; VGPRBlocks: 0
; NumSGPRsForWavesPerEU: 1
; NumVGPRsForWavesPerEU: 1
; Occupancy: 16
; WaveLimiterHint : 0
; COMPUTE_PGM_RSRC2:SCRATCH_EN: 0
; COMPUTE_PGM_RSRC2:USER_SGPR: 6
; COMPUTE_PGM_RSRC2:TRAP_HANDLER: 0
; COMPUTE_PGM_RSRC2:TGID_X_EN: 1
; COMPUTE_PGM_RSRC2:TGID_Y_EN: 0
; COMPUTE_PGM_RSRC2:TGID_Z_EN: 0
; COMPUTE_PGM_RSRC2:TIDIG_COMP_CNT: 0
	.section	.text._ZN7rocprim17ROCPRIM_400000_NS6detail17trampoline_kernelINS0_14default_configENS1_27scan_by_key_config_selectorIssEEZZNS1_16scan_by_key_implILNS1_25lookback_scan_determinismE0ELb1ES3_N6thrust23THRUST_200600_302600_NS6detail15normal_iteratorINS9_10device_ptrIsEEEESE_SE_sNS9_4plusIsEE19head_flag_predicatesEE10hipError_tPvRmT2_T3_T4_T5_mT6_T7_P12ihipStream_tbENKUlT_T0_E_clISt17integral_constantIbLb0EESY_EEDaST_SU_EUlST_E_NS1_11comp_targetILNS1_3genE4ELNS1_11target_archE910ELNS1_3gpuE8ELNS1_3repE0EEENS1_30default_config_static_selectorELNS0_4arch9wavefront6targetE0EEEvT1_,"axG",@progbits,_ZN7rocprim17ROCPRIM_400000_NS6detail17trampoline_kernelINS0_14default_configENS1_27scan_by_key_config_selectorIssEEZZNS1_16scan_by_key_implILNS1_25lookback_scan_determinismE0ELb1ES3_N6thrust23THRUST_200600_302600_NS6detail15normal_iteratorINS9_10device_ptrIsEEEESE_SE_sNS9_4plusIsEE19head_flag_predicatesEE10hipError_tPvRmT2_T3_T4_T5_mT6_T7_P12ihipStream_tbENKUlT_T0_E_clISt17integral_constantIbLb0EESY_EEDaST_SU_EUlST_E_NS1_11comp_targetILNS1_3genE4ELNS1_11target_archE910ELNS1_3gpuE8ELNS1_3repE0EEENS1_30default_config_static_selectorELNS0_4arch9wavefront6targetE0EEEvT1_,comdat
	.protected	_ZN7rocprim17ROCPRIM_400000_NS6detail17trampoline_kernelINS0_14default_configENS1_27scan_by_key_config_selectorIssEEZZNS1_16scan_by_key_implILNS1_25lookback_scan_determinismE0ELb1ES3_N6thrust23THRUST_200600_302600_NS6detail15normal_iteratorINS9_10device_ptrIsEEEESE_SE_sNS9_4plusIsEE19head_flag_predicatesEE10hipError_tPvRmT2_T3_T4_T5_mT6_T7_P12ihipStream_tbENKUlT_T0_E_clISt17integral_constantIbLb0EESY_EEDaST_SU_EUlST_E_NS1_11comp_targetILNS1_3genE4ELNS1_11target_archE910ELNS1_3gpuE8ELNS1_3repE0EEENS1_30default_config_static_selectorELNS0_4arch9wavefront6targetE0EEEvT1_ ; -- Begin function _ZN7rocprim17ROCPRIM_400000_NS6detail17trampoline_kernelINS0_14default_configENS1_27scan_by_key_config_selectorIssEEZZNS1_16scan_by_key_implILNS1_25lookback_scan_determinismE0ELb1ES3_N6thrust23THRUST_200600_302600_NS6detail15normal_iteratorINS9_10device_ptrIsEEEESE_SE_sNS9_4plusIsEE19head_flag_predicatesEE10hipError_tPvRmT2_T3_T4_T5_mT6_T7_P12ihipStream_tbENKUlT_T0_E_clISt17integral_constantIbLb0EESY_EEDaST_SU_EUlST_E_NS1_11comp_targetILNS1_3genE4ELNS1_11target_archE910ELNS1_3gpuE8ELNS1_3repE0EEENS1_30default_config_static_selectorELNS0_4arch9wavefront6targetE0EEEvT1_
	.globl	_ZN7rocprim17ROCPRIM_400000_NS6detail17trampoline_kernelINS0_14default_configENS1_27scan_by_key_config_selectorIssEEZZNS1_16scan_by_key_implILNS1_25lookback_scan_determinismE0ELb1ES3_N6thrust23THRUST_200600_302600_NS6detail15normal_iteratorINS9_10device_ptrIsEEEESE_SE_sNS9_4plusIsEE19head_flag_predicatesEE10hipError_tPvRmT2_T3_T4_T5_mT6_T7_P12ihipStream_tbENKUlT_T0_E_clISt17integral_constantIbLb0EESY_EEDaST_SU_EUlST_E_NS1_11comp_targetILNS1_3genE4ELNS1_11target_archE910ELNS1_3gpuE8ELNS1_3repE0EEENS1_30default_config_static_selectorELNS0_4arch9wavefront6targetE0EEEvT1_
	.p2align	8
	.type	_ZN7rocprim17ROCPRIM_400000_NS6detail17trampoline_kernelINS0_14default_configENS1_27scan_by_key_config_selectorIssEEZZNS1_16scan_by_key_implILNS1_25lookback_scan_determinismE0ELb1ES3_N6thrust23THRUST_200600_302600_NS6detail15normal_iteratorINS9_10device_ptrIsEEEESE_SE_sNS9_4plusIsEE19head_flag_predicatesEE10hipError_tPvRmT2_T3_T4_T5_mT6_T7_P12ihipStream_tbENKUlT_T0_E_clISt17integral_constantIbLb0EESY_EEDaST_SU_EUlST_E_NS1_11comp_targetILNS1_3genE4ELNS1_11target_archE910ELNS1_3gpuE8ELNS1_3repE0EEENS1_30default_config_static_selectorELNS0_4arch9wavefront6targetE0EEEvT1_,@function
_ZN7rocprim17ROCPRIM_400000_NS6detail17trampoline_kernelINS0_14default_configENS1_27scan_by_key_config_selectorIssEEZZNS1_16scan_by_key_implILNS1_25lookback_scan_determinismE0ELb1ES3_N6thrust23THRUST_200600_302600_NS6detail15normal_iteratorINS9_10device_ptrIsEEEESE_SE_sNS9_4plusIsEE19head_flag_predicatesEE10hipError_tPvRmT2_T3_T4_T5_mT6_T7_P12ihipStream_tbENKUlT_T0_E_clISt17integral_constantIbLb0EESY_EEDaST_SU_EUlST_E_NS1_11comp_targetILNS1_3genE4ELNS1_11target_archE910ELNS1_3gpuE8ELNS1_3repE0EEENS1_30default_config_static_selectorELNS0_4arch9wavefront6targetE0EEEvT1_: ; @_ZN7rocprim17ROCPRIM_400000_NS6detail17trampoline_kernelINS0_14default_configENS1_27scan_by_key_config_selectorIssEEZZNS1_16scan_by_key_implILNS1_25lookback_scan_determinismE0ELb1ES3_N6thrust23THRUST_200600_302600_NS6detail15normal_iteratorINS9_10device_ptrIsEEEESE_SE_sNS9_4plusIsEE19head_flag_predicatesEE10hipError_tPvRmT2_T3_T4_T5_mT6_T7_P12ihipStream_tbENKUlT_T0_E_clISt17integral_constantIbLb0EESY_EEDaST_SU_EUlST_E_NS1_11comp_targetILNS1_3genE4ELNS1_11target_archE910ELNS1_3gpuE8ELNS1_3repE0EEENS1_30default_config_static_selectorELNS0_4arch9wavefront6targetE0EEEvT1_
; %bb.0:
	.section	.rodata,"a",@progbits
	.p2align	6, 0x0
	.amdhsa_kernel _ZN7rocprim17ROCPRIM_400000_NS6detail17trampoline_kernelINS0_14default_configENS1_27scan_by_key_config_selectorIssEEZZNS1_16scan_by_key_implILNS1_25lookback_scan_determinismE0ELb1ES3_N6thrust23THRUST_200600_302600_NS6detail15normal_iteratorINS9_10device_ptrIsEEEESE_SE_sNS9_4plusIsEE19head_flag_predicatesEE10hipError_tPvRmT2_T3_T4_T5_mT6_T7_P12ihipStream_tbENKUlT_T0_E_clISt17integral_constantIbLb0EESY_EEDaST_SU_EUlST_E_NS1_11comp_targetILNS1_3genE4ELNS1_11target_archE910ELNS1_3gpuE8ELNS1_3repE0EEENS1_30default_config_static_selectorELNS0_4arch9wavefront6targetE0EEEvT1_
		.amdhsa_group_segment_fixed_size 0
		.amdhsa_private_segment_fixed_size 0
		.amdhsa_kernarg_size 112
		.amdhsa_user_sgpr_count 6
		.amdhsa_user_sgpr_private_segment_buffer 1
		.amdhsa_user_sgpr_dispatch_ptr 0
		.amdhsa_user_sgpr_queue_ptr 0
		.amdhsa_user_sgpr_kernarg_segment_ptr 1
		.amdhsa_user_sgpr_dispatch_id 0
		.amdhsa_user_sgpr_flat_scratch_init 0
		.amdhsa_user_sgpr_private_segment_size 0
		.amdhsa_wavefront_size32 1
		.amdhsa_uses_dynamic_stack 0
		.amdhsa_system_sgpr_private_segment_wavefront_offset 0
		.amdhsa_system_sgpr_workgroup_id_x 1
		.amdhsa_system_sgpr_workgroup_id_y 0
		.amdhsa_system_sgpr_workgroup_id_z 0
		.amdhsa_system_sgpr_workgroup_info 0
		.amdhsa_system_vgpr_workitem_id 0
		.amdhsa_next_free_vgpr 1
		.amdhsa_next_free_sgpr 1
		.amdhsa_reserve_vcc 0
		.amdhsa_reserve_flat_scratch 0
		.amdhsa_float_round_mode_32 0
		.amdhsa_float_round_mode_16_64 0
		.amdhsa_float_denorm_mode_32 3
		.amdhsa_float_denorm_mode_16_64 3
		.amdhsa_dx10_clamp 1
		.amdhsa_ieee_mode 1
		.amdhsa_fp16_overflow 0
		.amdhsa_workgroup_processor_mode 1
		.amdhsa_memory_ordered 1
		.amdhsa_forward_progress 1
		.amdhsa_shared_vgpr_count 0
		.amdhsa_exception_fp_ieee_invalid_op 0
		.amdhsa_exception_fp_denorm_src 0
		.amdhsa_exception_fp_ieee_div_zero 0
		.amdhsa_exception_fp_ieee_overflow 0
		.amdhsa_exception_fp_ieee_underflow 0
		.amdhsa_exception_fp_ieee_inexact 0
		.amdhsa_exception_int_div_zero 0
	.end_amdhsa_kernel
	.section	.text._ZN7rocprim17ROCPRIM_400000_NS6detail17trampoline_kernelINS0_14default_configENS1_27scan_by_key_config_selectorIssEEZZNS1_16scan_by_key_implILNS1_25lookback_scan_determinismE0ELb1ES3_N6thrust23THRUST_200600_302600_NS6detail15normal_iteratorINS9_10device_ptrIsEEEESE_SE_sNS9_4plusIsEE19head_flag_predicatesEE10hipError_tPvRmT2_T3_T4_T5_mT6_T7_P12ihipStream_tbENKUlT_T0_E_clISt17integral_constantIbLb0EESY_EEDaST_SU_EUlST_E_NS1_11comp_targetILNS1_3genE4ELNS1_11target_archE910ELNS1_3gpuE8ELNS1_3repE0EEENS1_30default_config_static_selectorELNS0_4arch9wavefront6targetE0EEEvT1_,"axG",@progbits,_ZN7rocprim17ROCPRIM_400000_NS6detail17trampoline_kernelINS0_14default_configENS1_27scan_by_key_config_selectorIssEEZZNS1_16scan_by_key_implILNS1_25lookback_scan_determinismE0ELb1ES3_N6thrust23THRUST_200600_302600_NS6detail15normal_iteratorINS9_10device_ptrIsEEEESE_SE_sNS9_4plusIsEE19head_flag_predicatesEE10hipError_tPvRmT2_T3_T4_T5_mT6_T7_P12ihipStream_tbENKUlT_T0_E_clISt17integral_constantIbLb0EESY_EEDaST_SU_EUlST_E_NS1_11comp_targetILNS1_3genE4ELNS1_11target_archE910ELNS1_3gpuE8ELNS1_3repE0EEENS1_30default_config_static_selectorELNS0_4arch9wavefront6targetE0EEEvT1_,comdat
.Lfunc_end860:
	.size	_ZN7rocprim17ROCPRIM_400000_NS6detail17trampoline_kernelINS0_14default_configENS1_27scan_by_key_config_selectorIssEEZZNS1_16scan_by_key_implILNS1_25lookback_scan_determinismE0ELb1ES3_N6thrust23THRUST_200600_302600_NS6detail15normal_iteratorINS9_10device_ptrIsEEEESE_SE_sNS9_4plusIsEE19head_flag_predicatesEE10hipError_tPvRmT2_T3_T4_T5_mT6_T7_P12ihipStream_tbENKUlT_T0_E_clISt17integral_constantIbLb0EESY_EEDaST_SU_EUlST_E_NS1_11comp_targetILNS1_3genE4ELNS1_11target_archE910ELNS1_3gpuE8ELNS1_3repE0EEENS1_30default_config_static_selectorELNS0_4arch9wavefront6targetE0EEEvT1_, .Lfunc_end860-_ZN7rocprim17ROCPRIM_400000_NS6detail17trampoline_kernelINS0_14default_configENS1_27scan_by_key_config_selectorIssEEZZNS1_16scan_by_key_implILNS1_25lookback_scan_determinismE0ELb1ES3_N6thrust23THRUST_200600_302600_NS6detail15normal_iteratorINS9_10device_ptrIsEEEESE_SE_sNS9_4plusIsEE19head_flag_predicatesEE10hipError_tPvRmT2_T3_T4_T5_mT6_T7_P12ihipStream_tbENKUlT_T0_E_clISt17integral_constantIbLb0EESY_EEDaST_SU_EUlST_E_NS1_11comp_targetILNS1_3genE4ELNS1_11target_archE910ELNS1_3gpuE8ELNS1_3repE0EEENS1_30default_config_static_selectorELNS0_4arch9wavefront6targetE0EEEvT1_
                                        ; -- End function
	.set _ZN7rocprim17ROCPRIM_400000_NS6detail17trampoline_kernelINS0_14default_configENS1_27scan_by_key_config_selectorIssEEZZNS1_16scan_by_key_implILNS1_25lookback_scan_determinismE0ELb1ES3_N6thrust23THRUST_200600_302600_NS6detail15normal_iteratorINS9_10device_ptrIsEEEESE_SE_sNS9_4plusIsEE19head_flag_predicatesEE10hipError_tPvRmT2_T3_T4_T5_mT6_T7_P12ihipStream_tbENKUlT_T0_E_clISt17integral_constantIbLb0EESY_EEDaST_SU_EUlST_E_NS1_11comp_targetILNS1_3genE4ELNS1_11target_archE910ELNS1_3gpuE8ELNS1_3repE0EEENS1_30default_config_static_selectorELNS0_4arch9wavefront6targetE0EEEvT1_.num_vgpr, 0
	.set _ZN7rocprim17ROCPRIM_400000_NS6detail17trampoline_kernelINS0_14default_configENS1_27scan_by_key_config_selectorIssEEZZNS1_16scan_by_key_implILNS1_25lookback_scan_determinismE0ELb1ES3_N6thrust23THRUST_200600_302600_NS6detail15normal_iteratorINS9_10device_ptrIsEEEESE_SE_sNS9_4plusIsEE19head_flag_predicatesEE10hipError_tPvRmT2_T3_T4_T5_mT6_T7_P12ihipStream_tbENKUlT_T0_E_clISt17integral_constantIbLb0EESY_EEDaST_SU_EUlST_E_NS1_11comp_targetILNS1_3genE4ELNS1_11target_archE910ELNS1_3gpuE8ELNS1_3repE0EEENS1_30default_config_static_selectorELNS0_4arch9wavefront6targetE0EEEvT1_.num_agpr, 0
	.set _ZN7rocprim17ROCPRIM_400000_NS6detail17trampoline_kernelINS0_14default_configENS1_27scan_by_key_config_selectorIssEEZZNS1_16scan_by_key_implILNS1_25lookback_scan_determinismE0ELb1ES3_N6thrust23THRUST_200600_302600_NS6detail15normal_iteratorINS9_10device_ptrIsEEEESE_SE_sNS9_4plusIsEE19head_flag_predicatesEE10hipError_tPvRmT2_T3_T4_T5_mT6_T7_P12ihipStream_tbENKUlT_T0_E_clISt17integral_constantIbLb0EESY_EEDaST_SU_EUlST_E_NS1_11comp_targetILNS1_3genE4ELNS1_11target_archE910ELNS1_3gpuE8ELNS1_3repE0EEENS1_30default_config_static_selectorELNS0_4arch9wavefront6targetE0EEEvT1_.numbered_sgpr, 0
	.set _ZN7rocprim17ROCPRIM_400000_NS6detail17trampoline_kernelINS0_14default_configENS1_27scan_by_key_config_selectorIssEEZZNS1_16scan_by_key_implILNS1_25lookback_scan_determinismE0ELb1ES3_N6thrust23THRUST_200600_302600_NS6detail15normal_iteratorINS9_10device_ptrIsEEEESE_SE_sNS9_4plusIsEE19head_flag_predicatesEE10hipError_tPvRmT2_T3_T4_T5_mT6_T7_P12ihipStream_tbENKUlT_T0_E_clISt17integral_constantIbLb0EESY_EEDaST_SU_EUlST_E_NS1_11comp_targetILNS1_3genE4ELNS1_11target_archE910ELNS1_3gpuE8ELNS1_3repE0EEENS1_30default_config_static_selectorELNS0_4arch9wavefront6targetE0EEEvT1_.num_named_barrier, 0
	.set _ZN7rocprim17ROCPRIM_400000_NS6detail17trampoline_kernelINS0_14default_configENS1_27scan_by_key_config_selectorIssEEZZNS1_16scan_by_key_implILNS1_25lookback_scan_determinismE0ELb1ES3_N6thrust23THRUST_200600_302600_NS6detail15normal_iteratorINS9_10device_ptrIsEEEESE_SE_sNS9_4plusIsEE19head_flag_predicatesEE10hipError_tPvRmT2_T3_T4_T5_mT6_T7_P12ihipStream_tbENKUlT_T0_E_clISt17integral_constantIbLb0EESY_EEDaST_SU_EUlST_E_NS1_11comp_targetILNS1_3genE4ELNS1_11target_archE910ELNS1_3gpuE8ELNS1_3repE0EEENS1_30default_config_static_selectorELNS0_4arch9wavefront6targetE0EEEvT1_.private_seg_size, 0
	.set _ZN7rocprim17ROCPRIM_400000_NS6detail17trampoline_kernelINS0_14default_configENS1_27scan_by_key_config_selectorIssEEZZNS1_16scan_by_key_implILNS1_25lookback_scan_determinismE0ELb1ES3_N6thrust23THRUST_200600_302600_NS6detail15normal_iteratorINS9_10device_ptrIsEEEESE_SE_sNS9_4plusIsEE19head_flag_predicatesEE10hipError_tPvRmT2_T3_T4_T5_mT6_T7_P12ihipStream_tbENKUlT_T0_E_clISt17integral_constantIbLb0EESY_EEDaST_SU_EUlST_E_NS1_11comp_targetILNS1_3genE4ELNS1_11target_archE910ELNS1_3gpuE8ELNS1_3repE0EEENS1_30default_config_static_selectorELNS0_4arch9wavefront6targetE0EEEvT1_.uses_vcc, 0
	.set _ZN7rocprim17ROCPRIM_400000_NS6detail17trampoline_kernelINS0_14default_configENS1_27scan_by_key_config_selectorIssEEZZNS1_16scan_by_key_implILNS1_25lookback_scan_determinismE0ELb1ES3_N6thrust23THRUST_200600_302600_NS6detail15normal_iteratorINS9_10device_ptrIsEEEESE_SE_sNS9_4plusIsEE19head_flag_predicatesEE10hipError_tPvRmT2_T3_T4_T5_mT6_T7_P12ihipStream_tbENKUlT_T0_E_clISt17integral_constantIbLb0EESY_EEDaST_SU_EUlST_E_NS1_11comp_targetILNS1_3genE4ELNS1_11target_archE910ELNS1_3gpuE8ELNS1_3repE0EEENS1_30default_config_static_selectorELNS0_4arch9wavefront6targetE0EEEvT1_.uses_flat_scratch, 0
	.set _ZN7rocprim17ROCPRIM_400000_NS6detail17trampoline_kernelINS0_14default_configENS1_27scan_by_key_config_selectorIssEEZZNS1_16scan_by_key_implILNS1_25lookback_scan_determinismE0ELb1ES3_N6thrust23THRUST_200600_302600_NS6detail15normal_iteratorINS9_10device_ptrIsEEEESE_SE_sNS9_4plusIsEE19head_flag_predicatesEE10hipError_tPvRmT2_T3_T4_T5_mT6_T7_P12ihipStream_tbENKUlT_T0_E_clISt17integral_constantIbLb0EESY_EEDaST_SU_EUlST_E_NS1_11comp_targetILNS1_3genE4ELNS1_11target_archE910ELNS1_3gpuE8ELNS1_3repE0EEENS1_30default_config_static_selectorELNS0_4arch9wavefront6targetE0EEEvT1_.has_dyn_sized_stack, 0
	.set _ZN7rocprim17ROCPRIM_400000_NS6detail17trampoline_kernelINS0_14default_configENS1_27scan_by_key_config_selectorIssEEZZNS1_16scan_by_key_implILNS1_25lookback_scan_determinismE0ELb1ES3_N6thrust23THRUST_200600_302600_NS6detail15normal_iteratorINS9_10device_ptrIsEEEESE_SE_sNS9_4plusIsEE19head_flag_predicatesEE10hipError_tPvRmT2_T3_T4_T5_mT6_T7_P12ihipStream_tbENKUlT_T0_E_clISt17integral_constantIbLb0EESY_EEDaST_SU_EUlST_E_NS1_11comp_targetILNS1_3genE4ELNS1_11target_archE910ELNS1_3gpuE8ELNS1_3repE0EEENS1_30default_config_static_selectorELNS0_4arch9wavefront6targetE0EEEvT1_.has_recursion, 0
	.set _ZN7rocprim17ROCPRIM_400000_NS6detail17trampoline_kernelINS0_14default_configENS1_27scan_by_key_config_selectorIssEEZZNS1_16scan_by_key_implILNS1_25lookback_scan_determinismE0ELb1ES3_N6thrust23THRUST_200600_302600_NS6detail15normal_iteratorINS9_10device_ptrIsEEEESE_SE_sNS9_4plusIsEE19head_flag_predicatesEE10hipError_tPvRmT2_T3_T4_T5_mT6_T7_P12ihipStream_tbENKUlT_T0_E_clISt17integral_constantIbLb0EESY_EEDaST_SU_EUlST_E_NS1_11comp_targetILNS1_3genE4ELNS1_11target_archE910ELNS1_3gpuE8ELNS1_3repE0EEENS1_30default_config_static_selectorELNS0_4arch9wavefront6targetE0EEEvT1_.has_indirect_call, 0
	.section	.AMDGPU.csdata,"",@progbits
; Kernel info:
; codeLenInByte = 0
; TotalNumSgprs: 0
; NumVgprs: 0
; ScratchSize: 0
; MemoryBound: 0
; FloatMode: 240
; IeeeMode: 1
; LDSByteSize: 0 bytes/workgroup (compile time only)
; SGPRBlocks: 0
; VGPRBlocks: 0
; NumSGPRsForWavesPerEU: 1
; NumVGPRsForWavesPerEU: 1
; Occupancy: 16
; WaveLimiterHint : 0
; COMPUTE_PGM_RSRC2:SCRATCH_EN: 0
; COMPUTE_PGM_RSRC2:USER_SGPR: 6
; COMPUTE_PGM_RSRC2:TRAP_HANDLER: 0
; COMPUTE_PGM_RSRC2:TGID_X_EN: 1
; COMPUTE_PGM_RSRC2:TGID_Y_EN: 0
; COMPUTE_PGM_RSRC2:TGID_Z_EN: 0
; COMPUTE_PGM_RSRC2:TIDIG_COMP_CNT: 0
	.section	.text._ZN7rocprim17ROCPRIM_400000_NS6detail17trampoline_kernelINS0_14default_configENS1_27scan_by_key_config_selectorIssEEZZNS1_16scan_by_key_implILNS1_25lookback_scan_determinismE0ELb1ES3_N6thrust23THRUST_200600_302600_NS6detail15normal_iteratorINS9_10device_ptrIsEEEESE_SE_sNS9_4plusIsEE19head_flag_predicatesEE10hipError_tPvRmT2_T3_T4_T5_mT6_T7_P12ihipStream_tbENKUlT_T0_E_clISt17integral_constantIbLb0EESY_EEDaST_SU_EUlST_E_NS1_11comp_targetILNS1_3genE3ELNS1_11target_archE908ELNS1_3gpuE7ELNS1_3repE0EEENS1_30default_config_static_selectorELNS0_4arch9wavefront6targetE0EEEvT1_,"axG",@progbits,_ZN7rocprim17ROCPRIM_400000_NS6detail17trampoline_kernelINS0_14default_configENS1_27scan_by_key_config_selectorIssEEZZNS1_16scan_by_key_implILNS1_25lookback_scan_determinismE0ELb1ES3_N6thrust23THRUST_200600_302600_NS6detail15normal_iteratorINS9_10device_ptrIsEEEESE_SE_sNS9_4plusIsEE19head_flag_predicatesEE10hipError_tPvRmT2_T3_T4_T5_mT6_T7_P12ihipStream_tbENKUlT_T0_E_clISt17integral_constantIbLb0EESY_EEDaST_SU_EUlST_E_NS1_11comp_targetILNS1_3genE3ELNS1_11target_archE908ELNS1_3gpuE7ELNS1_3repE0EEENS1_30default_config_static_selectorELNS0_4arch9wavefront6targetE0EEEvT1_,comdat
	.protected	_ZN7rocprim17ROCPRIM_400000_NS6detail17trampoline_kernelINS0_14default_configENS1_27scan_by_key_config_selectorIssEEZZNS1_16scan_by_key_implILNS1_25lookback_scan_determinismE0ELb1ES3_N6thrust23THRUST_200600_302600_NS6detail15normal_iteratorINS9_10device_ptrIsEEEESE_SE_sNS9_4plusIsEE19head_flag_predicatesEE10hipError_tPvRmT2_T3_T4_T5_mT6_T7_P12ihipStream_tbENKUlT_T0_E_clISt17integral_constantIbLb0EESY_EEDaST_SU_EUlST_E_NS1_11comp_targetILNS1_3genE3ELNS1_11target_archE908ELNS1_3gpuE7ELNS1_3repE0EEENS1_30default_config_static_selectorELNS0_4arch9wavefront6targetE0EEEvT1_ ; -- Begin function _ZN7rocprim17ROCPRIM_400000_NS6detail17trampoline_kernelINS0_14default_configENS1_27scan_by_key_config_selectorIssEEZZNS1_16scan_by_key_implILNS1_25lookback_scan_determinismE0ELb1ES3_N6thrust23THRUST_200600_302600_NS6detail15normal_iteratorINS9_10device_ptrIsEEEESE_SE_sNS9_4plusIsEE19head_flag_predicatesEE10hipError_tPvRmT2_T3_T4_T5_mT6_T7_P12ihipStream_tbENKUlT_T0_E_clISt17integral_constantIbLb0EESY_EEDaST_SU_EUlST_E_NS1_11comp_targetILNS1_3genE3ELNS1_11target_archE908ELNS1_3gpuE7ELNS1_3repE0EEENS1_30default_config_static_selectorELNS0_4arch9wavefront6targetE0EEEvT1_
	.globl	_ZN7rocprim17ROCPRIM_400000_NS6detail17trampoline_kernelINS0_14default_configENS1_27scan_by_key_config_selectorIssEEZZNS1_16scan_by_key_implILNS1_25lookback_scan_determinismE0ELb1ES3_N6thrust23THRUST_200600_302600_NS6detail15normal_iteratorINS9_10device_ptrIsEEEESE_SE_sNS9_4plusIsEE19head_flag_predicatesEE10hipError_tPvRmT2_T3_T4_T5_mT6_T7_P12ihipStream_tbENKUlT_T0_E_clISt17integral_constantIbLb0EESY_EEDaST_SU_EUlST_E_NS1_11comp_targetILNS1_3genE3ELNS1_11target_archE908ELNS1_3gpuE7ELNS1_3repE0EEENS1_30default_config_static_selectorELNS0_4arch9wavefront6targetE0EEEvT1_
	.p2align	8
	.type	_ZN7rocprim17ROCPRIM_400000_NS6detail17trampoline_kernelINS0_14default_configENS1_27scan_by_key_config_selectorIssEEZZNS1_16scan_by_key_implILNS1_25lookback_scan_determinismE0ELb1ES3_N6thrust23THRUST_200600_302600_NS6detail15normal_iteratorINS9_10device_ptrIsEEEESE_SE_sNS9_4plusIsEE19head_flag_predicatesEE10hipError_tPvRmT2_T3_T4_T5_mT6_T7_P12ihipStream_tbENKUlT_T0_E_clISt17integral_constantIbLb0EESY_EEDaST_SU_EUlST_E_NS1_11comp_targetILNS1_3genE3ELNS1_11target_archE908ELNS1_3gpuE7ELNS1_3repE0EEENS1_30default_config_static_selectorELNS0_4arch9wavefront6targetE0EEEvT1_,@function
_ZN7rocprim17ROCPRIM_400000_NS6detail17trampoline_kernelINS0_14default_configENS1_27scan_by_key_config_selectorIssEEZZNS1_16scan_by_key_implILNS1_25lookback_scan_determinismE0ELb1ES3_N6thrust23THRUST_200600_302600_NS6detail15normal_iteratorINS9_10device_ptrIsEEEESE_SE_sNS9_4plusIsEE19head_flag_predicatesEE10hipError_tPvRmT2_T3_T4_T5_mT6_T7_P12ihipStream_tbENKUlT_T0_E_clISt17integral_constantIbLb0EESY_EEDaST_SU_EUlST_E_NS1_11comp_targetILNS1_3genE3ELNS1_11target_archE908ELNS1_3gpuE7ELNS1_3repE0EEENS1_30default_config_static_selectorELNS0_4arch9wavefront6targetE0EEEvT1_: ; @_ZN7rocprim17ROCPRIM_400000_NS6detail17trampoline_kernelINS0_14default_configENS1_27scan_by_key_config_selectorIssEEZZNS1_16scan_by_key_implILNS1_25lookback_scan_determinismE0ELb1ES3_N6thrust23THRUST_200600_302600_NS6detail15normal_iteratorINS9_10device_ptrIsEEEESE_SE_sNS9_4plusIsEE19head_flag_predicatesEE10hipError_tPvRmT2_T3_T4_T5_mT6_T7_P12ihipStream_tbENKUlT_T0_E_clISt17integral_constantIbLb0EESY_EEDaST_SU_EUlST_E_NS1_11comp_targetILNS1_3genE3ELNS1_11target_archE908ELNS1_3gpuE7ELNS1_3repE0EEENS1_30default_config_static_selectorELNS0_4arch9wavefront6targetE0EEEvT1_
; %bb.0:
	.section	.rodata,"a",@progbits
	.p2align	6, 0x0
	.amdhsa_kernel _ZN7rocprim17ROCPRIM_400000_NS6detail17trampoline_kernelINS0_14default_configENS1_27scan_by_key_config_selectorIssEEZZNS1_16scan_by_key_implILNS1_25lookback_scan_determinismE0ELb1ES3_N6thrust23THRUST_200600_302600_NS6detail15normal_iteratorINS9_10device_ptrIsEEEESE_SE_sNS9_4plusIsEE19head_flag_predicatesEE10hipError_tPvRmT2_T3_T4_T5_mT6_T7_P12ihipStream_tbENKUlT_T0_E_clISt17integral_constantIbLb0EESY_EEDaST_SU_EUlST_E_NS1_11comp_targetILNS1_3genE3ELNS1_11target_archE908ELNS1_3gpuE7ELNS1_3repE0EEENS1_30default_config_static_selectorELNS0_4arch9wavefront6targetE0EEEvT1_
		.amdhsa_group_segment_fixed_size 0
		.amdhsa_private_segment_fixed_size 0
		.amdhsa_kernarg_size 112
		.amdhsa_user_sgpr_count 6
		.amdhsa_user_sgpr_private_segment_buffer 1
		.amdhsa_user_sgpr_dispatch_ptr 0
		.amdhsa_user_sgpr_queue_ptr 0
		.amdhsa_user_sgpr_kernarg_segment_ptr 1
		.amdhsa_user_sgpr_dispatch_id 0
		.amdhsa_user_sgpr_flat_scratch_init 0
		.amdhsa_user_sgpr_private_segment_size 0
		.amdhsa_wavefront_size32 1
		.amdhsa_uses_dynamic_stack 0
		.amdhsa_system_sgpr_private_segment_wavefront_offset 0
		.amdhsa_system_sgpr_workgroup_id_x 1
		.amdhsa_system_sgpr_workgroup_id_y 0
		.amdhsa_system_sgpr_workgroup_id_z 0
		.amdhsa_system_sgpr_workgroup_info 0
		.amdhsa_system_vgpr_workitem_id 0
		.amdhsa_next_free_vgpr 1
		.amdhsa_next_free_sgpr 1
		.amdhsa_reserve_vcc 0
		.amdhsa_reserve_flat_scratch 0
		.amdhsa_float_round_mode_32 0
		.amdhsa_float_round_mode_16_64 0
		.amdhsa_float_denorm_mode_32 3
		.amdhsa_float_denorm_mode_16_64 3
		.amdhsa_dx10_clamp 1
		.amdhsa_ieee_mode 1
		.amdhsa_fp16_overflow 0
		.amdhsa_workgroup_processor_mode 1
		.amdhsa_memory_ordered 1
		.amdhsa_forward_progress 1
		.amdhsa_shared_vgpr_count 0
		.amdhsa_exception_fp_ieee_invalid_op 0
		.amdhsa_exception_fp_denorm_src 0
		.amdhsa_exception_fp_ieee_div_zero 0
		.amdhsa_exception_fp_ieee_overflow 0
		.amdhsa_exception_fp_ieee_underflow 0
		.amdhsa_exception_fp_ieee_inexact 0
		.amdhsa_exception_int_div_zero 0
	.end_amdhsa_kernel
	.section	.text._ZN7rocprim17ROCPRIM_400000_NS6detail17trampoline_kernelINS0_14default_configENS1_27scan_by_key_config_selectorIssEEZZNS1_16scan_by_key_implILNS1_25lookback_scan_determinismE0ELb1ES3_N6thrust23THRUST_200600_302600_NS6detail15normal_iteratorINS9_10device_ptrIsEEEESE_SE_sNS9_4plusIsEE19head_flag_predicatesEE10hipError_tPvRmT2_T3_T4_T5_mT6_T7_P12ihipStream_tbENKUlT_T0_E_clISt17integral_constantIbLb0EESY_EEDaST_SU_EUlST_E_NS1_11comp_targetILNS1_3genE3ELNS1_11target_archE908ELNS1_3gpuE7ELNS1_3repE0EEENS1_30default_config_static_selectorELNS0_4arch9wavefront6targetE0EEEvT1_,"axG",@progbits,_ZN7rocprim17ROCPRIM_400000_NS6detail17trampoline_kernelINS0_14default_configENS1_27scan_by_key_config_selectorIssEEZZNS1_16scan_by_key_implILNS1_25lookback_scan_determinismE0ELb1ES3_N6thrust23THRUST_200600_302600_NS6detail15normal_iteratorINS9_10device_ptrIsEEEESE_SE_sNS9_4plusIsEE19head_flag_predicatesEE10hipError_tPvRmT2_T3_T4_T5_mT6_T7_P12ihipStream_tbENKUlT_T0_E_clISt17integral_constantIbLb0EESY_EEDaST_SU_EUlST_E_NS1_11comp_targetILNS1_3genE3ELNS1_11target_archE908ELNS1_3gpuE7ELNS1_3repE0EEENS1_30default_config_static_selectorELNS0_4arch9wavefront6targetE0EEEvT1_,comdat
.Lfunc_end861:
	.size	_ZN7rocprim17ROCPRIM_400000_NS6detail17trampoline_kernelINS0_14default_configENS1_27scan_by_key_config_selectorIssEEZZNS1_16scan_by_key_implILNS1_25lookback_scan_determinismE0ELb1ES3_N6thrust23THRUST_200600_302600_NS6detail15normal_iteratorINS9_10device_ptrIsEEEESE_SE_sNS9_4plusIsEE19head_flag_predicatesEE10hipError_tPvRmT2_T3_T4_T5_mT6_T7_P12ihipStream_tbENKUlT_T0_E_clISt17integral_constantIbLb0EESY_EEDaST_SU_EUlST_E_NS1_11comp_targetILNS1_3genE3ELNS1_11target_archE908ELNS1_3gpuE7ELNS1_3repE0EEENS1_30default_config_static_selectorELNS0_4arch9wavefront6targetE0EEEvT1_, .Lfunc_end861-_ZN7rocprim17ROCPRIM_400000_NS6detail17trampoline_kernelINS0_14default_configENS1_27scan_by_key_config_selectorIssEEZZNS1_16scan_by_key_implILNS1_25lookback_scan_determinismE0ELb1ES3_N6thrust23THRUST_200600_302600_NS6detail15normal_iteratorINS9_10device_ptrIsEEEESE_SE_sNS9_4plusIsEE19head_flag_predicatesEE10hipError_tPvRmT2_T3_T4_T5_mT6_T7_P12ihipStream_tbENKUlT_T0_E_clISt17integral_constantIbLb0EESY_EEDaST_SU_EUlST_E_NS1_11comp_targetILNS1_3genE3ELNS1_11target_archE908ELNS1_3gpuE7ELNS1_3repE0EEENS1_30default_config_static_selectorELNS0_4arch9wavefront6targetE0EEEvT1_
                                        ; -- End function
	.set _ZN7rocprim17ROCPRIM_400000_NS6detail17trampoline_kernelINS0_14default_configENS1_27scan_by_key_config_selectorIssEEZZNS1_16scan_by_key_implILNS1_25lookback_scan_determinismE0ELb1ES3_N6thrust23THRUST_200600_302600_NS6detail15normal_iteratorINS9_10device_ptrIsEEEESE_SE_sNS9_4plusIsEE19head_flag_predicatesEE10hipError_tPvRmT2_T3_T4_T5_mT6_T7_P12ihipStream_tbENKUlT_T0_E_clISt17integral_constantIbLb0EESY_EEDaST_SU_EUlST_E_NS1_11comp_targetILNS1_3genE3ELNS1_11target_archE908ELNS1_3gpuE7ELNS1_3repE0EEENS1_30default_config_static_selectorELNS0_4arch9wavefront6targetE0EEEvT1_.num_vgpr, 0
	.set _ZN7rocprim17ROCPRIM_400000_NS6detail17trampoline_kernelINS0_14default_configENS1_27scan_by_key_config_selectorIssEEZZNS1_16scan_by_key_implILNS1_25lookback_scan_determinismE0ELb1ES3_N6thrust23THRUST_200600_302600_NS6detail15normal_iteratorINS9_10device_ptrIsEEEESE_SE_sNS9_4plusIsEE19head_flag_predicatesEE10hipError_tPvRmT2_T3_T4_T5_mT6_T7_P12ihipStream_tbENKUlT_T0_E_clISt17integral_constantIbLb0EESY_EEDaST_SU_EUlST_E_NS1_11comp_targetILNS1_3genE3ELNS1_11target_archE908ELNS1_3gpuE7ELNS1_3repE0EEENS1_30default_config_static_selectorELNS0_4arch9wavefront6targetE0EEEvT1_.num_agpr, 0
	.set _ZN7rocprim17ROCPRIM_400000_NS6detail17trampoline_kernelINS0_14default_configENS1_27scan_by_key_config_selectorIssEEZZNS1_16scan_by_key_implILNS1_25lookback_scan_determinismE0ELb1ES3_N6thrust23THRUST_200600_302600_NS6detail15normal_iteratorINS9_10device_ptrIsEEEESE_SE_sNS9_4plusIsEE19head_flag_predicatesEE10hipError_tPvRmT2_T3_T4_T5_mT6_T7_P12ihipStream_tbENKUlT_T0_E_clISt17integral_constantIbLb0EESY_EEDaST_SU_EUlST_E_NS1_11comp_targetILNS1_3genE3ELNS1_11target_archE908ELNS1_3gpuE7ELNS1_3repE0EEENS1_30default_config_static_selectorELNS0_4arch9wavefront6targetE0EEEvT1_.numbered_sgpr, 0
	.set _ZN7rocprim17ROCPRIM_400000_NS6detail17trampoline_kernelINS0_14default_configENS1_27scan_by_key_config_selectorIssEEZZNS1_16scan_by_key_implILNS1_25lookback_scan_determinismE0ELb1ES3_N6thrust23THRUST_200600_302600_NS6detail15normal_iteratorINS9_10device_ptrIsEEEESE_SE_sNS9_4plusIsEE19head_flag_predicatesEE10hipError_tPvRmT2_T3_T4_T5_mT6_T7_P12ihipStream_tbENKUlT_T0_E_clISt17integral_constantIbLb0EESY_EEDaST_SU_EUlST_E_NS1_11comp_targetILNS1_3genE3ELNS1_11target_archE908ELNS1_3gpuE7ELNS1_3repE0EEENS1_30default_config_static_selectorELNS0_4arch9wavefront6targetE0EEEvT1_.num_named_barrier, 0
	.set _ZN7rocprim17ROCPRIM_400000_NS6detail17trampoline_kernelINS0_14default_configENS1_27scan_by_key_config_selectorIssEEZZNS1_16scan_by_key_implILNS1_25lookback_scan_determinismE0ELb1ES3_N6thrust23THRUST_200600_302600_NS6detail15normal_iteratorINS9_10device_ptrIsEEEESE_SE_sNS9_4plusIsEE19head_flag_predicatesEE10hipError_tPvRmT2_T3_T4_T5_mT6_T7_P12ihipStream_tbENKUlT_T0_E_clISt17integral_constantIbLb0EESY_EEDaST_SU_EUlST_E_NS1_11comp_targetILNS1_3genE3ELNS1_11target_archE908ELNS1_3gpuE7ELNS1_3repE0EEENS1_30default_config_static_selectorELNS0_4arch9wavefront6targetE0EEEvT1_.private_seg_size, 0
	.set _ZN7rocprim17ROCPRIM_400000_NS6detail17trampoline_kernelINS0_14default_configENS1_27scan_by_key_config_selectorIssEEZZNS1_16scan_by_key_implILNS1_25lookback_scan_determinismE0ELb1ES3_N6thrust23THRUST_200600_302600_NS6detail15normal_iteratorINS9_10device_ptrIsEEEESE_SE_sNS9_4plusIsEE19head_flag_predicatesEE10hipError_tPvRmT2_T3_T4_T5_mT6_T7_P12ihipStream_tbENKUlT_T0_E_clISt17integral_constantIbLb0EESY_EEDaST_SU_EUlST_E_NS1_11comp_targetILNS1_3genE3ELNS1_11target_archE908ELNS1_3gpuE7ELNS1_3repE0EEENS1_30default_config_static_selectorELNS0_4arch9wavefront6targetE0EEEvT1_.uses_vcc, 0
	.set _ZN7rocprim17ROCPRIM_400000_NS6detail17trampoline_kernelINS0_14default_configENS1_27scan_by_key_config_selectorIssEEZZNS1_16scan_by_key_implILNS1_25lookback_scan_determinismE0ELb1ES3_N6thrust23THRUST_200600_302600_NS6detail15normal_iteratorINS9_10device_ptrIsEEEESE_SE_sNS9_4plusIsEE19head_flag_predicatesEE10hipError_tPvRmT2_T3_T4_T5_mT6_T7_P12ihipStream_tbENKUlT_T0_E_clISt17integral_constantIbLb0EESY_EEDaST_SU_EUlST_E_NS1_11comp_targetILNS1_3genE3ELNS1_11target_archE908ELNS1_3gpuE7ELNS1_3repE0EEENS1_30default_config_static_selectorELNS0_4arch9wavefront6targetE0EEEvT1_.uses_flat_scratch, 0
	.set _ZN7rocprim17ROCPRIM_400000_NS6detail17trampoline_kernelINS0_14default_configENS1_27scan_by_key_config_selectorIssEEZZNS1_16scan_by_key_implILNS1_25lookback_scan_determinismE0ELb1ES3_N6thrust23THRUST_200600_302600_NS6detail15normal_iteratorINS9_10device_ptrIsEEEESE_SE_sNS9_4plusIsEE19head_flag_predicatesEE10hipError_tPvRmT2_T3_T4_T5_mT6_T7_P12ihipStream_tbENKUlT_T0_E_clISt17integral_constantIbLb0EESY_EEDaST_SU_EUlST_E_NS1_11comp_targetILNS1_3genE3ELNS1_11target_archE908ELNS1_3gpuE7ELNS1_3repE0EEENS1_30default_config_static_selectorELNS0_4arch9wavefront6targetE0EEEvT1_.has_dyn_sized_stack, 0
	.set _ZN7rocprim17ROCPRIM_400000_NS6detail17trampoline_kernelINS0_14default_configENS1_27scan_by_key_config_selectorIssEEZZNS1_16scan_by_key_implILNS1_25lookback_scan_determinismE0ELb1ES3_N6thrust23THRUST_200600_302600_NS6detail15normal_iteratorINS9_10device_ptrIsEEEESE_SE_sNS9_4plusIsEE19head_flag_predicatesEE10hipError_tPvRmT2_T3_T4_T5_mT6_T7_P12ihipStream_tbENKUlT_T0_E_clISt17integral_constantIbLb0EESY_EEDaST_SU_EUlST_E_NS1_11comp_targetILNS1_3genE3ELNS1_11target_archE908ELNS1_3gpuE7ELNS1_3repE0EEENS1_30default_config_static_selectorELNS0_4arch9wavefront6targetE0EEEvT1_.has_recursion, 0
	.set _ZN7rocprim17ROCPRIM_400000_NS6detail17trampoline_kernelINS0_14default_configENS1_27scan_by_key_config_selectorIssEEZZNS1_16scan_by_key_implILNS1_25lookback_scan_determinismE0ELb1ES3_N6thrust23THRUST_200600_302600_NS6detail15normal_iteratorINS9_10device_ptrIsEEEESE_SE_sNS9_4plusIsEE19head_flag_predicatesEE10hipError_tPvRmT2_T3_T4_T5_mT6_T7_P12ihipStream_tbENKUlT_T0_E_clISt17integral_constantIbLb0EESY_EEDaST_SU_EUlST_E_NS1_11comp_targetILNS1_3genE3ELNS1_11target_archE908ELNS1_3gpuE7ELNS1_3repE0EEENS1_30default_config_static_selectorELNS0_4arch9wavefront6targetE0EEEvT1_.has_indirect_call, 0
	.section	.AMDGPU.csdata,"",@progbits
; Kernel info:
; codeLenInByte = 0
; TotalNumSgprs: 0
; NumVgprs: 0
; ScratchSize: 0
; MemoryBound: 0
; FloatMode: 240
; IeeeMode: 1
; LDSByteSize: 0 bytes/workgroup (compile time only)
; SGPRBlocks: 0
; VGPRBlocks: 0
; NumSGPRsForWavesPerEU: 1
; NumVGPRsForWavesPerEU: 1
; Occupancy: 16
; WaveLimiterHint : 0
; COMPUTE_PGM_RSRC2:SCRATCH_EN: 0
; COMPUTE_PGM_RSRC2:USER_SGPR: 6
; COMPUTE_PGM_RSRC2:TRAP_HANDLER: 0
; COMPUTE_PGM_RSRC2:TGID_X_EN: 1
; COMPUTE_PGM_RSRC2:TGID_Y_EN: 0
; COMPUTE_PGM_RSRC2:TGID_Z_EN: 0
; COMPUTE_PGM_RSRC2:TIDIG_COMP_CNT: 0
	.section	.text._ZN7rocprim17ROCPRIM_400000_NS6detail17trampoline_kernelINS0_14default_configENS1_27scan_by_key_config_selectorIssEEZZNS1_16scan_by_key_implILNS1_25lookback_scan_determinismE0ELb1ES3_N6thrust23THRUST_200600_302600_NS6detail15normal_iteratorINS9_10device_ptrIsEEEESE_SE_sNS9_4plusIsEE19head_flag_predicatesEE10hipError_tPvRmT2_T3_T4_T5_mT6_T7_P12ihipStream_tbENKUlT_T0_E_clISt17integral_constantIbLb0EESY_EEDaST_SU_EUlST_E_NS1_11comp_targetILNS1_3genE2ELNS1_11target_archE906ELNS1_3gpuE6ELNS1_3repE0EEENS1_30default_config_static_selectorELNS0_4arch9wavefront6targetE0EEEvT1_,"axG",@progbits,_ZN7rocprim17ROCPRIM_400000_NS6detail17trampoline_kernelINS0_14default_configENS1_27scan_by_key_config_selectorIssEEZZNS1_16scan_by_key_implILNS1_25lookback_scan_determinismE0ELb1ES3_N6thrust23THRUST_200600_302600_NS6detail15normal_iteratorINS9_10device_ptrIsEEEESE_SE_sNS9_4plusIsEE19head_flag_predicatesEE10hipError_tPvRmT2_T3_T4_T5_mT6_T7_P12ihipStream_tbENKUlT_T0_E_clISt17integral_constantIbLb0EESY_EEDaST_SU_EUlST_E_NS1_11comp_targetILNS1_3genE2ELNS1_11target_archE906ELNS1_3gpuE6ELNS1_3repE0EEENS1_30default_config_static_selectorELNS0_4arch9wavefront6targetE0EEEvT1_,comdat
	.protected	_ZN7rocprim17ROCPRIM_400000_NS6detail17trampoline_kernelINS0_14default_configENS1_27scan_by_key_config_selectorIssEEZZNS1_16scan_by_key_implILNS1_25lookback_scan_determinismE0ELb1ES3_N6thrust23THRUST_200600_302600_NS6detail15normal_iteratorINS9_10device_ptrIsEEEESE_SE_sNS9_4plusIsEE19head_flag_predicatesEE10hipError_tPvRmT2_T3_T4_T5_mT6_T7_P12ihipStream_tbENKUlT_T0_E_clISt17integral_constantIbLb0EESY_EEDaST_SU_EUlST_E_NS1_11comp_targetILNS1_3genE2ELNS1_11target_archE906ELNS1_3gpuE6ELNS1_3repE0EEENS1_30default_config_static_selectorELNS0_4arch9wavefront6targetE0EEEvT1_ ; -- Begin function _ZN7rocprim17ROCPRIM_400000_NS6detail17trampoline_kernelINS0_14default_configENS1_27scan_by_key_config_selectorIssEEZZNS1_16scan_by_key_implILNS1_25lookback_scan_determinismE0ELb1ES3_N6thrust23THRUST_200600_302600_NS6detail15normal_iteratorINS9_10device_ptrIsEEEESE_SE_sNS9_4plusIsEE19head_flag_predicatesEE10hipError_tPvRmT2_T3_T4_T5_mT6_T7_P12ihipStream_tbENKUlT_T0_E_clISt17integral_constantIbLb0EESY_EEDaST_SU_EUlST_E_NS1_11comp_targetILNS1_3genE2ELNS1_11target_archE906ELNS1_3gpuE6ELNS1_3repE0EEENS1_30default_config_static_selectorELNS0_4arch9wavefront6targetE0EEEvT1_
	.globl	_ZN7rocprim17ROCPRIM_400000_NS6detail17trampoline_kernelINS0_14default_configENS1_27scan_by_key_config_selectorIssEEZZNS1_16scan_by_key_implILNS1_25lookback_scan_determinismE0ELb1ES3_N6thrust23THRUST_200600_302600_NS6detail15normal_iteratorINS9_10device_ptrIsEEEESE_SE_sNS9_4plusIsEE19head_flag_predicatesEE10hipError_tPvRmT2_T3_T4_T5_mT6_T7_P12ihipStream_tbENKUlT_T0_E_clISt17integral_constantIbLb0EESY_EEDaST_SU_EUlST_E_NS1_11comp_targetILNS1_3genE2ELNS1_11target_archE906ELNS1_3gpuE6ELNS1_3repE0EEENS1_30default_config_static_selectorELNS0_4arch9wavefront6targetE0EEEvT1_
	.p2align	8
	.type	_ZN7rocprim17ROCPRIM_400000_NS6detail17trampoline_kernelINS0_14default_configENS1_27scan_by_key_config_selectorIssEEZZNS1_16scan_by_key_implILNS1_25lookback_scan_determinismE0ELb1ES3_N6thrust23THRUST_200600_302600_NS6detail15normal_iteratorINS9_10device_ptrIsEEEESE_SE_sNS9_4plusIsEE19head_flag_predicatesEE10hipError_tPvRmT2_T3_T4_T5_mT6_T7_P12ihipStream_tbENKUlT_T0_E_clISt17integral_constantIbLb0EESY_EEDaST_SU_EUlST_E_NS1_11comp_targetILNS1_3genE2ELNS1_11target_archE906ELNS1_3gpuE6ELNS1_3repE0EEENS1_30default_config_static_selectorELNS0_4arch9wavefront6targetE0EEEvT1_,@function
_ZN7rocprim17ROCPRIM_400000_NS6detail17trampoline_kernelINS0_14default_configENS1_27scan_by_key_config_selectorIssEEZZNS1_16scan_by_key_implILNS1_25lookback_scan_determinismE0ELb1ES3_N6thrust23THRUST_200600_302600_NS6detail15normal_iteratorINS9_10device_ptrIsEEEESE_SE_sNS9_4plusIsEE19head_flag_predicatesEE10hipError_tPvRmT2_T3_T4_T5_mT6_T7_P12ihipStream_tbENKUlT_T0_E_clISt17integral_constantIbLb0EESY_EEDaST_SU_EUlST_E_NS1_11comp_targetILNS1_3genE2ELNS1_11target_archE906ELNS1_3gpuE6ELNS1_3repE0EEENS1_30default_config_static_selectorELNS0_4arch9wavefront6targetE0EEEvT1_: ; @_ZN7rocprim17ROCPRIM_400000_NS6detail17trampoline_kernelINS0_14default_configENS1_27scan_by_key_config_selectorIssEEZZNS1_16scan_by_key_implILNS1_25lookback_scan_determinismE0ELb1ES3_N6thrust23THRUST_200600_302600_NS6detail15normal_iteratorINS9_10device_ptrIsEEEESE_SE_sNS9_4plusIsEE19head_flag_predicatesEE10hipError_tPvRmT2_T3_T4_T5_mT6_T7_P12ihipStream_tbENKUlT_T0_E_clISt17integral_constantIbLb0EESY_EEDaST_SU_EUlST_E_NS1_11comp_targetILNS1_3genE2ELNS1_11target_archE906ELNS1_3gpuE6ELNS1_3repE0EEENS1_30default_config_static_selectorELNS0_4arch9wavefront6targetE0EEEvT1_
; %bb.0:
	.section	.rodata,"a",@progbits
	.p2align	6, 0x0
	.amdhsa_kernel _ZN7rocprim17ROCPRIM_400000_NS6detail17trampoline_kernelINS0_14default_configENS1_27scan_by_key_config_selectorIssEEZZNS1_16scan_by_key_implILNS1_25lookback_scan_determinismE0ELb1ES3_N6thrust23THRUST_200600_302600_NS6detail15normal_iteratorINS9_10device_ptrIsEEEESE_SE_sNS9_4plusIsEE19head_flag_predicatesEE10hipError_tPvRmT2_T3_T4_T5_mT6_T7_P12ihipStream_tbENKUlT_T0_E_clISt17integral_constantIbLb0EESY_EEDaST_SU_EUlST_E_NS1_11comp_targetILNS1_3genE2ELNS1_11target_archE906ELNS1_3gpuE6ELNS1_3repE0EEENS1_30default_config_static_selectorELNS0_4arch9wavefront6targetE0EEEvT1_
		.amdhsa_group_segment_fixed_size 0
		.amdhsa_private_segment_fixed_size 0
		.amdhsa_kernarg_size 112
		.amdhsa_user_sgpr_count 6
		.amdhsa_user_sgpr_private_segment_buffer 1
		.amdhsa_user_sgpr_dispatch_ptr 0
		.amdhsa_user_sgpr_queue_ptr 0
		.amdhsa_user_sgpr_kernarg_segment_ptr 1
		.amdhsa_user_sgpr_dispatch_id 0
		.amdhsa_user_sgpr_flat_scratch_init 0
		.amdhsa_user_sgpr_private_segment_size 0
		.amdhsa_wavefront_size32 1
		.amdhsa_uses_dynamic_stack 0
		.amdhsa_system_sgpr_private_segment_wavefront_offset 0
		.amdhsa_system_sgpr_workgroup_id_x 1
		.amdhsa_system_sgpr_workgroup_id_y 0
		.amdhsa_system_sgpr_workgroup_id_z 0
		.amdhsa_system_sgpr_workgroup_info 0
		.amdhsa_system_vgpr_workitem_id 0
		.amdhsa_next_free_vgpr 1
		.amdhsa_next_free_sgpr 1
		.amdhsa_reserve_vcc 0
		.amdhsa_reserve_flat_scratch 0
		.amdhsa_float_round_mode_32 0
		.amdhsa_float_round_mode_16_64 0
		.amdhsa_float_denorm_mode_32 3
		.amdhsa_float_denorm_mode_16_64 3
		.amdhsa_dx10_clamp 1
		.amdhsa_ieee_mode 1
		.amdhsa_fp16_overflow 0
		.amdhsa_workgroup_processor_mode 1
		.amdhsa_memory_ordered 1
		.amdhsa_forward_progress 1
		.amdhsa_shared_vgpr_count 0
		.amdhsa_exception_fp_ieee_invalid_op 0
		.amdhsa_exception_fp_denorm_src 0
		.amdhsa_exception_fp_ieee_div_zero 0
		.amdhsa_exception_fp_ieee_overflow 0
		.amdhsa_exception_fp_ieee_underflow 0
		.amdhsa_exception_fp_ieee_inexact 0
		.amdhsa_exception_int_div_zero 0
	.end_amdhsa_kernel
	.section	.text._ZN7rocprim17ROCPRIM_400000_NS6detail17trampoline_kernelINS0_14default_configENS1_27scan_by_key_config_selectorIssEEZZNS1_16scan_by_key_implILNS1_25lookback_scan_determinismE0ELb1ES3_N6thrust23THRUST_200600_302600_NS6detail15normal_iteratorINS9_10device_ptrIsEEEESE_SE_sNS9_4plusIsEE19head_flag_predicatesEE10hipError_tPvRmT2_T3_T4_T5_mT6_T7_P12ihipStream_tbENKUlT_T0_E_clISt17integral_constantIbLb0EESY_EEDaST_SU_EUlST_E_NS1_11comp_targetILNS1_3genE2ELNS1_11target_archE906ELNS1_3gpuE6ELNS1_3repE0EEENS1_30default_config_static_selectorELNS0_4arch9wavefront6targetE0EEEvT1_,"axG",@progbits,_ZN7rocprim17ROCPRIM_400000_NS6detail17trampoline_kernelINS0_14default_configENS1_27scan_by_key_config_selectorIssEEZZNS1_16scan_by_key_implILNS1_25lookback_scan_determinismE0ELb1ES3_N6thrust23THRUST_200600_302600_NS6detail15normal_iteratorINS9_10device_ptrIsEEEESE_SE_sNS9_4plusIsEE19head_flag_predicatesEE10hipError_tPvRmT2_T3_T4_T5_mT6_T7_P12ihipStream_tbENKUlT_T0_E_clISt17integral_constantIbLb0EESY_EEDaST_SU_EUlST_E_NS1_11comp_targetILNS1_3genE2ELNS1_11target_archE906ELNS1_3gpuE6ELNS1_3repE0EEENS1_30default_config_static_selectorELNS0_4arch9wavefront6targetE0EEEvT1_,comdat
.Lfunc_end862:
	.size	_ZN7rocprim17ROCPRIM_400000_NS6detail17trampoline_kernelINS0_14default_configENS1_27scan_by_key_config_selectorIssEEZZNS1_16scan_by_key_implILNS1_25lookback_scan_determinismE0ELb1ES3_N6thrust23THRUST_200600_302600_NS6detail15normal_iteratorINS9_10device_ptrIsEEEESE_SE_sNS9_4plusIsEE19head_flag_predicatesEE10hipError_tPvRmT2_T3_T4_T5_mT6_T7_P12ihipStream_tbENKUlT_T0_E_clISt17integral_constantIbLb0EESY_EEDaST_SU_EUlST_E_NS1_11comp_targetILNS1_3genE2ELNS1_11target_archE906ELNS1_3gpuE6ELNS1_3repE0EEENS1_30default_config_static_selectorELNS0_4arch9wavefront6targetE0EEEvT1_, .Lfunc_end862-_ZN7rocprim17ROCPRIM_400000_NS6detail17trampoline_kernelINS0_14default_configENS1_27scan_by_key_config_selectorIssEEZZNS1_16scan_by_key_implILNS1_25lookback_scan_determinismE0ELb1ES3_N6thrust23THRUST_200600_302600_NS6detail15normal_iteratorINS9_10device_ptrIsEEEESE_SE_sNS9_4plusIsEE19head_flag_predicatesEE10hipError_tPvRmT2_T3_T4_T5_mT6_T7_P12ihipStream_tbENKUlT_T0_E_clISt17integral_constantIbLb0EESY_EEDaST_SU_EUlST_E_NS1_11comp_targetILNS1_3genE2ELNS1_11target_archE906ELNS1_3gpuE6ELNS1_3repE0EEENS1_30default_config_static_selectorELNS0_4arch9wavefront6targetE0EEEvT1_
                                        ; -- End function
	.set _ZN7rocprim17ROCPRIM_400000_NS6detail17trampoline_kernelINS0_14default_configENS1_27scan_by_key_config_selectorIssEEZZNS1_16scan_by_key_implILNS1_25lookback_scan_determinismE0ELb1ES3_N6thrust23THRUST_200600_302600_NS6detail15normal_iteratorINS9_10device_ptrIsEEEESE_SE_sNS9_4plusIsEE19head_flag_predicatesEE10hipError_tPvRmT2_T3_T4_T5_mT6_T7_P12ihipStream_tbENKUlT_T0_E_clISt17integral_constantIbLb0EESY_EEDaST_SU_EUlST_E_NS1_11comp_targetILNS1_3genE2ELNS1_11target_archE906ELNS1_3gpuE6ELNS1_3repE0EEENS1_30default_config_static_selectorELNS0_4arch9wavefront6targetE0EEEvT1_.num_vgpr, 0
	.set _ZN7rocprim17ROCPRIM_400000_NS6detail17trampoline_kernelINS0_14default_configENS1_27scan_by_key_config_selectorIssEEZZNS1_16scan_by_key_implILNS1_25lookback_scan_determinismE0ELb1ES3_N6thrust23THRUST_200600_302600_NS6detail15normal_iteratorINS9_10device_ptrIsEEEESE_SE_sNS9_4plusIsEE19head_flag_predicatesEE10hipError_tPvRmT2_T3_T4_T5_mT6_T7_P12ihipStream_tbENKUlT_T0_E_clISt17integral_constantIbLb0EESY_EEDaST_SU_EUlST_E_NS1_11comp_targetILNS1_3genE2ELNS1_11target_archE906ELNS1_3gpuE6ELNS1_3repE0EEENS1_30default_config_static_selectorELNS0_4arch9wavefront6targetE0EEEvT1_.num_agpr, 0
	.set _ZN7rocprim17ROCPRIM_400000_NS6detail17trampoline_kernelINS0_14default_configENS1_27scan_by_key_config_selectorIssEEZZNS1_16scan_by_key_implILNS1_25lookback_scan_determinismE0ELb1ES3_N6thrust23THRUST_200600_302600_NS6detail15normal_iteratorINS9_10device_ptrIsEEEESE_SE_sNS9_4plusIsEE19head_flag_predicatesEE10hipError_tPvRmT2_T3_T4_T5_mT6_T7_P12ihipStream_tbENKUlT_T0_E_clISt17integral_constantIbLb0EESY_EEDaST_SU_EUlST_E_NS1_11comp_targetILNS1_3genE2ELNS1_11target_archE906ELNS1_3gpuE6ELNS1_3repE0EEENS1_30default_config_static_selectorELNS0_4arch9wavefront6targetE0EEEvT1_.numbered_sgpr, 0
	.set _ZN7rocprim17ROCPRIM_400000_NS6detail17trampoline_kernelINS0_14default_configENS1_27scan_by_key_config_selectorIssEEZZNS1_16scan_by_key_implILNS1_25lookback_scan_determinismE0ELb1ES3_N6thrust23THRUST_200600_302600_NS6detail15normal_iteratorINS9_10device_ptrIsEEEESE_SE_sNS9_4plusIsEE19head_flag_predicatesEE10hipError_tPvRmT2_T3_T4_T5_mT6_T7_P12ihipStream_tbENKUlT_T0_E_clISt17integral_constantIbLb0EESY_EEDaST_SU_EUlST_E_NS1_11comp_targetILNS1_3genE2ELNS1_11target_archE906ELNS1_3gpuE6ELNS1_3repE0EEENS1_30default_config_static_selectorELNS0_4arch9wavefront6targetE0EEEvT1_.num_named_barrier, 0
	.set _ZN7rocprim17ROCPRIM_400000_NS6detail17trampoline_kernelINS0_14default_configENS1_27scan_by_key_config_selectorIssEEZZNS1_16scan_by_key_implILNS1_25lookback_scan_determinismE0ELb1ES3_N6thrust23THRUST_200600_302600_NS6detail15normal_iteratorINS9_10device_ptrIsEEEESE_SE_sNS9_4plusIsEE19head_flag_predicatesEE10hipError_tPvRmT2_T3_T4_T5_mT6_T7_P12ihipStream_tbENKUlT_T0_E_clISt17integral_constantIbLb0EESY_EEDaST_SU_EUlST_E_NS1_11comp_targetILNS1_3genE2ELNS1_11target_archE906ELNS1_3gpuE6ELNS1_3repE0EEENS1_30default_config_static_selectorELNS0_4arch9wavefront6targetE0EEEvT1_.private_seg_size, 0
	.set _ZN7rocprim17ROCPRIM_400000_NS6detail17trampoline_kernelINS0_14default_configENS1_27scan_by_key_config_selectorIssEEZZNS1_16scan_by_key_implILNS1_25lookback_scan_determinismE0ELb1ES3_N6thrust23THRUST_200600_302600_NS6detail15normal_iteratorINS9_10device_ptrIsEEEESE_SE_sNS9_4plusIsEE19head_flag_predicatesEE10hipError_tPvRmT2_T3_T4_T5_mT6_T7_P12ihipStream_tbENKUlT_T0_E_clISt17integral_constantIbLb0EESY_EEDaST_SU_EUlST_E_NS1_11comp_targetILNS1_3genE2ELNS1_11target_archE906ELNS1_3gpuE6ELNS1_3repE0EEENS1_30default_config_static_selectorELNS0_4arch9wavefront6targetE0EEEvT1_.uses_vcc, 0
	.set _ZN7rocprim17ROCPRIM_400000_NS6detail17trampoline_kernelINS0_14default_configENS1_27scan_by_key_config_selectorIssEEZZNS1_16scan_by_key_implILNS1_25lookback_scan_determinismE0ELb1ES3_N6thrust23THRUST_200600_302600_NS6detail15normal_iteratorINS9_10device_ptrIsEEEESE_SE_sNS9_4plusIsEE19head_flag_predicatesEE10hipError_tPvRmT2_T3_T4_T5_mT6_T7_P12ihipStream_tbENKUlT_T0_E_clISt17integral_constantIbLb0EESY_EEDaST_SU_EUlST_E_NS1_11comp_targetILNS1_3genE2ELNS1_11target_archE906ELNS1_3gpuE6ELNS1_3repE0EEENS1_30default_config_static_selectorELNS0_4arch9wavefront6targetE0EEEvT1_.uses_flat_scratch, 0
	.set _ZN7rocprim17ROCPRIM_400000_NS6detail17trampoline_kernelINS0_14default_configENS1_27scan_by_key_config_selectorIssEEZZNS1_16scan_by_key_implILNS1_25lookback_scan_determinismE0ELb1ES3_N6thrust23THRUST_200600_302600_NS6detail15normal_iteratorINS9_10device_ptrIsEEEESE_SE_sNS9_4plusIsEE19head_flag_predicatesEE10hipError_tPvRmT2_T3_T4_T5_mT6_T7_P12ihipStream_tbENKUlT_T0_E_clISt17integral_constantIbLb0EESY_EEDaST_SU_EUlST_E_NS1_11comp_targetILNS1_3genE2ELNS1_11target_archE906ELNS1_3gpuE6ELNS1_3repE0EEENS1_30default_config_static_selectorELNS0_4arch9wavefront6targetE0EEEvT1_.has_dyn_sized_stack, 0
	.set _ZN7rocprim17ROCPRIM_400000_NS6detail17trampoline_kernelINS0_14default_configENS1_27scan_by_key_config_selectorIssEEZZNS1_16scan_by_key_implILNS1_25lookback_scan_determinismE0ELb1ES3_N6thrust23THRUST_200600_302600_NS6detail15normal_iteratorINS9_10device_ptrIsEEEESE_SE_sNS9_4plusIsEE19head_flag_predicatesEE10hipError_tPvRmT2_T3_T4_T5_mT6_T7_P12ihipStream_tbENKUlT_T0_E_clISt17integral_constantIbLb0EESY_EEDaST_SU_EUlST_E_NS1_11comp_targetILNS1_3genE2ELNS1_11target_archE906ELNS1_3gpuE6ELNS1_3repE0EEENS1_30default_config_static_selectorELNS0_4arch9wavefront6targetE0EEEvT1_.has_recursion, 0
	.set _ZN7rocprim17ROCPRIM_400000_NS6detail17trampoline_kernelINS0_14default_configENS1_27scan_by_key_config_selectorIssEEZZNS1_16scan_by_key_implILNS1_25lookback_scan_determinismE0ELb1ES3_N6thrust23THRUST_200600_302600_NS6detail15normal_iteratorINS9_10device_ptrIsEEEESE_SE_sNS9_4plusIsEE19head_flag_predicatesEE10hipError_tPvRmT2_T3_T4_T5_mT6_T7_P12ihipStream_tbENKUlT_T0_E_clISt17integral_constantIbLb0EESY_EEDaST_SU_EUlST_E_NS1_11comp_targetILNS1_3genE2ELNS1_11target_archE906ELNS1_3gpuE6ELNS1_3repE0EEENS1_30default_config_static_selectorELNS0_4arch9wavefront6targetE0EEEvT1_.has_indirect_call, 0
	.section	.AMDGPU.csdata,"",@progbits
; Kernel info:
; codeLenInByte = 0
; TotalNumSgprs: 0
; NumVgprs: 0
; ScratchSize: 0
; MemoryBound: 0
; FloatMode: 240
; IeeeMode: 1
; LDSByteSize: 0 bytes/workgroup (compile time only)
; SGPRBlocks: 0
; VGPRBlocks: 0
; NumSGPRsForWavesPerEU: 1
; NumVGPRsForWavesPerEU: 1
; Occupancy: 16
; WaveLimiterHint : 0
; COMPUTE_PGM_RSRC2:SCRATCH_EN: 0
; COMPUTE_PGM_RSRC2:USER_SGPR: 6
; COMPUTE_PGM_RSRC2:TRAP_HANDLER: 0
; COMPUTE_PGM_RSRC2:TGID_X_EN: 1
; COMPUTE_PGM_RSRC2:TGID_Y_EN: 0
; COMPUTE_PGM_RSRC2:TGID_Z_EN: 0
; COMPUTE_PGM_RSRC2:TIDIG_COMP_CNT: 0
	.section	.text._ZN7rocprim17ROCPRIM_400000_NS6detail17trampoline_kernelINS0_14default_configENS1_27scan_by_key_config_selectorIssEEZZNS1_16scan_by_key_implILNS1_25lookback_scan_determinismE0ELb1ES3_N6thrust23THRUST_200600_302600_NS6detail15normal_iteratorINS9_10device_ptrIsEEEESE_SE_sNS9_4plusIsEE19head_flag_predicatesEE10hipError_tPvRmT2_T3_T4_T5_mT6_T7_P12ihipStream_tbENKUlT_T0_E_clISt17integral_constantIbLb0EESY_EEDaST_SU_EUlST_E_NS1_11comp_targetILNS1_3genE10ELNS1_11target_archE1200ELNS1_3gpuE4ELNS1_3repE0EEENS1_30default_config_static_selectorELNS0_4arch9wavefront6targetE0EEEvT1_,"axG",@progbits,_ZN7rocprim17ROCPRIM_400000_NS6detail17trampoline_kernelINS0_14default_configENS1_27scan_by_key_config_selectorIssEEZZNS1_16scan_by_key_implILNS1_25lookback_scan_determinismE0ELb1ES3_N6thrust23THRUST_200600_302600_NS6detail15normal_iteratorINS9_10device_ptrIsEEEESE_SE_sNS9_4plusIsEE19head_flag_predicatesEE10hipError_tPvRmT2_T3_T4_T5_mT6_T7_P12ihipStream_tbENKUlT_T0_E_clISt17integral_constantIbLb0EESY_EEDaST_SU_EUlST_E_NS1_11comp_targetILNS1_3genE10ELNS1_11target_archE1200ELNS1_3gpuE4ELNS1_3repE0EEENS1_30default_config_static_selectorELNS0_4arch9wavefront6targetE0EEEvT1_,comdat
	.protected	_ZN7rocprim17ROCPRIM_400000_NS6detail17trampoline_kernelINS0_14default_configENS1_27scan_by_key_config_selectorIssEEZZNS1_16scan_by_key_implILNS1_25lookback_scan_determinismE0ELb1ES3_N6thrust23THRUST_200600_302600_NS6detail15normal_iteratorINS9_10device_ptrIsEEEESE_SE_sNS9_4plusIsEE19head_flag_predicatesEE10hipError_tPvRmT2_T3_T4_T5_mT6_T7_P12ihipStream_tbENKUlT_T0_E_clISt17integral_constantIbLb0EESY_EEDaST_SU_EUlST_E_NS1_11comp_targetILNS1_3genE10ELNS1_11target_archE1200ELNS1_3gpuE4ELNS1_3repE0EEENS1_30default_config_static_selectorELNS0_4arch9wavefront6targetE0EEEvT1_ ; -- Begin function _ZN7rocprim17ROCPRIM_400000_NS6detail17trampoline_kernelINS0_14default_configENS1_27scan_by_key_config_selectorIssEEZZNS1_16scan_by_key_implILNS1_25lookback_scan_determinismE0ELb1ES3_N6thrust23THRUST_200600_302600_NS6detail15normal_iteratorINS9_10device_ptrIsEEEESE_SE_sNS9_4plusIsEE19head_flag_predicatesEE10hipError_tPvRmT2_T3_T4_T5_mT6_T7_P12ihipStream_tbENKUlT_T0_E_clISt17integral_constantIbLb0EESY_EEDaST_SU_EUlST_E_NS1_11comp_targetILNS1_3genE10ELNS1_11target_archE1200ELNS1_3gpuE4ELNS1_3repE0EEENS1_30default_config_static_selectorELNS0_4arch9wavefront6targetE0EEEvT1_
	.globl	_ZN7rocprim17ROCPRIM_400000_NS6detail17trampoline_kernelINS0_14default_configENS1_27scan_by_key_config_selectorIssEEZZNS1_16scan_by_key_implILNS1_25lookback_scan_determinismE0ELb1ES3_N6thrust23THRUST_200600_302600_NS6detail15normal_iteratorINS9_10device_ptrIsEEEESE_SE_sNS9_4plusIsEE19head_flag_predicatesEE10hipError_tPvRmT2_T3_T4_T5_mT6_T7_P12ihipStream_tbENKUlT_T0_E_clISt17integral_constantIbLb0EESY_EEDaST_SU_EUlST_E_NS1_11comp_targetILNS1_3genE10ELNS1_11target_archE1200ELNS1_3gpuE4ELNS1_3repE0EEENS1_30default_config_static_selectorELNS0_4arch9wavefront6targetE0EEEvT1_
	.p2align	8
	.type	_ZN7rocprim17ROCPRIM_400000_NS6detail17trampoline_kernelINS0_14default_configENS1_27scan_by_key_config_selectorIssEEZZNS1_16scan_by_key_implILNS1_25lookback_scan_determinismE0ELb1ES3_N6thrust23THRUST_200600_302600_NS6detail15normal_iteratorINS9_10device_ptrIsEEEESE_SE_sNS9_4plusIsEE19head_flag_predicatesEE10hipError_tPvRmT2_T3_T4_T5_mT6_T7_P12ihipStream_tbENKUlT_T0_E_clISt17integral_constantIbLb0EESY_EEDaST_SU_EUlST_E_NS1_11comp_targetILNS1_3genE10ELNS1_11target_archE1200ELNS1_3gpuE4ELNS1_3repE0EEENS1_30default_config_static_selectorELNS0_4arch9wavefront6targetE0EEEvT1_,@function
_ZN7rocprim17ROCPRIM_400000_NS6detail17trampoline_kernelINS0_14default_configENS1_27scan_by_key_config_selectorIssEEZZNS1_16scan_by_key_implILNS1_25lookback_scan_determinismE0ELb1ES3_N6thrust23THRUST_200600_302600_NS6detail15normal_iteratorINS9_10device_ptrIsEEEESE_SE_sNS9_4plusIsEE19head_flag_predicatesEE10hipError_tPvRmT2_T3_T4_T5_mT6_T7_P12ihipStream_tbENKUlT_T0_E_clISt17integral_constantIbLb0EESY_EEDaST_SU_EUlST_E_NS1_11comp_targetILNS1_3genE10ELNS1_11target_archE1200ELNS1_3gpuE4ELNS1_3repE0EEENS1_30default_config_static_selectorELNS0_4arch9wavefront6targetE0EEEvT1_: ; @_ZN7rocprim17ROCPRIM_400000_NS6detail17trampoline_kernelINS0_14default_configENS1_27scan_by_key_config_selectorIssEEZZNS1_16scan_by_key_implILNS1_25lookback_scan_determinismE0ELb1ES3_N6thrust23THRUST_200600_302600_NS6detail15normal_iteratorINS9_10device_ptrIsEEEESE_SE_sNS9_4plusIsEE19head_flag_predicatesEE10hipError_tPvRmT2_T3_T4_T5_mT6_T7_P12ihipStream_tbENKUlT_T0_E_clISt17integral_constantIbLb0EESY_EEDaST_SU_EUlST_E_NS1_11comp_targetILNS1_3genE10ELNS1_11target_archE1200ELNS1_3gpuE4ELNS1_3repE0EEENS1_30default_config_static_selectorELNS0_4arch9wavefront6targetE0EEEvT1_
; %bb.0:
	.section	.rodata,"a",@progbits
	.p2align	6, 0x0
	.amdhsa_kernel _ZN7rocprim17ROCPRIM_400000_NS6detail17trampoline_kernelINS0_14default_configENS1_27scan_by_key_config_selectorIssEEZZNS1_16scan_by_key_implILNS1_25lookback_scan_determinismE0ELb1ES3_N6thrust23THRUST_200600_302600_NS6detail15normal_iteratorINS9_10device_ptrIsEEEESE_SE_sNS9_4plusIsEE19head_flag_predicatesEE10hipError_tPvRmT2_T3_T4_T5_mT6_T7_P12ihipStream_tbENKUlT_T0_E_clISt17integral_constantIbLb0EESY_EEDaST_SU_EUlST_E_NS1_11comp_targetILNS1_3genE10ELNS1_11target_archE1200ELNS1_3gpuE4ELNS1_3repE0EEENS1_30default_config_static_selectorELNS0_4arch9wavefront6targetE0EEEvT1_
		.amdhsa_group_segment_fixed_size 0
		.amdhsa_private_segment_fixed_size 0
		.amdhsa_kernarg_size 112
		.amdhsa_user_sgpr_count 6
		.amdhsa_user_sgpr_private_segment_buffer 1
		.amdhsa_user_sgpr_dispatch_ptr 0
		.amdhsa_user_sgpr_queue_ptr 0
		.amdhsa_user_sgpr_kernarg_segment_ptr 1
		.amdhsa_user_sgpr_dispatch_id 0
		.amdhsa_user_sgpr_flat_scratch_init 0
		.amdhsa_user_sgpr_private_segment_size 0
		.amdhsa_wavefront_size32 1
		.amdhsa_uses_dynamic_stack 0
		.amdhsa_system_sgpr_private_segment_wavefront_offset 0
		.amdhsa_system_sgpr_workgroup_id_x 1
		.amdhsa_system_sgpr_workgroup_id_y 0
		.amdhsa_system_sgpr_workgroup_id_z 0
		.amdhsa_system_sgpr_workgroup_info 0
		.amdhsa_system_vgpr_workitem_id 0
		.amdhsa_next_free_vgpr 1
		.amdhsa_next_free_sgpr 1
		.amdhsa_reserve_vcc 0
		.amdhsa_reserve_flat_scratch 0
		.amdhsa_float_round_mode_32 0
		.amdhsa_float_round_mode_16_64 0
		.amdhsa_float_denorm_mode_32 3
		.amdhsa_float_denorm_mode_16_64 3
		.amdhsa_dx10_clamp 1
		.amdhsa_ieee_mode 1
		.amdhsa_fp16_overflow 0
		.amdhsa_workgroup_processor_mode 1
		.amdhsa_memory_ordered 1
		.amdhsa_forward_progress 1
		.amdhsa_shared_vgpr_count 0
		.amdhsa_exception_fp_ieee_invalid_op 0
		.amdhsa_exception_fp_denorm_src 0
		.amdhsa_exception_fp_ieee_div_zero 0
		.amdhsa_exception_fp_ieee_overflow 0
		.amdhsa_exception_fp_ieee_underflow 0
		.amdhsa_exception_fp_ieee_inexact 0
		.amdhsa_exception_int_div_zero 0
	.end_amdhsa_kernel
	.section	.text._ZN7rocprim17ROCPRIM_400000_NS6detail17trampoline_kernelINS0_14default_configENS1_27scan_by_key_config_selectorIssEEZZNS1_16scan_by_key_implILNS1_25lookback_scan_determinismE0ELb1ES3_N6thrust23THRUST_200600_302600_NS6detail15normal_iteratorINS9_10device_ptrIsEEEESE_SE_sNS9_4plusIsEE19head_flag_predicatesEE10hipError_tPvRmT2_T3_T4_T5_mT6_T7_P12ihipStream_tbENKUlT_T0_E_clISt17integral_constantIbLb0EESY_EEDaST_SU_EUlST_E_NS1_11comp_targetILNS1_3genE10ELNS1_11target_archE1200ELNS1_3gpuE4ELNS1_3repE0EEENS1_30default_config_static_selectorELNS0_4arch9wavefront6targetE0EEEvT1_,"axG",@progbits,_ZN7rocprim17ROCPRIM_400000_NS6detail17trampoline_kernelINS0_14default_configENS1_27scan_by_key_config_selectorIssEEZZNS1_16scan_by_key_implILNS1_25lookback_scan_determinismE0ELb1ES3_N6thrust23THRUST_200600_302600_NS6detail15normal_iteratorINS9_10device_ptrIsEEEESE_SE_sNS9_4plusIsEE19head_flag_predicatesEE10hipError_tPvRmT2_T3_T4_T5_mT6_T7_P12ihipStream_tbENKUlT_T0_E_clISt17integral_constantIbLb0EESY_EEDaST_SU_EUlST_E_NS1_11comp_targetILNS1_3genE10ELNS1_11target_archE1200ELNS1_3gpuE4ELNS1_3repE0EEENS1_30default_config_static_selectorELNS0_4arch9wavefront6targetE0EEEvT1_,comdat
.Lfunc_end863:
	.size	_ZN7rocprim17ROCPRIM_400000_NS6detail17trampoline_kernelINS0_14default_configENS1_27scan_by_key_config_selectorIssEEZZNS1_16scan_by_key_implILNS1_25lookback_scan_determinismE0ELb1ES3_N6thrust23THRUST_200600_302600_NS6detail15normal_iteratorINS9_10device_ptrIsEEEESE_SE_sNS9_4plusIsEE19head_flag_predicatesEE10hipError_tPvRmT2_T3_T4_T5_mT6_T7_P12ihipStream_tbENKUlT_T0_E_clISt17integral_constantIbLb0EESY_EEDaST_SU_EUlST_E_NS1_11comp_targetILNS1_3genE10ELNS1_11target_archE1200ELNS1_3gpuE4ELNS1_3repE0EEENS1_30default_config_static_selectorELNS0_4arch9wavefront6targetE0EEEvT1_, .Lfunc_end863-_ZN7rocprim17ROCPRIM_400000_NS6detail17trampoline_kernelINS0_14default_configENS1_27scan_by_key_config_selectorIssEEZZNS1_16scan_by_key_implILNS1_25lookback_scan_determinismE0ELb1ES3_N6thrust23THRUST_200600_302600_NS6detail15normal_iteratorINS9_10device_ptrIsEEEESE_SE_sNS9_4plusIsEE19head_flag_predicatesEE10hipError_tPvRmT2_T3_T4_T5_mT6_T7_P12ihipStream_tbENKUlT_T0_E_clISt17integral_constantIbLb0EESY_EEDaST_SU_EUlST_E_NS1_11comp_targetILNS1_3genE10ELNS1_11target_archE1200ELNS1_3gpuE4ELNS1_3repE0EEENS1_30default_config_static_selectorELNS0_4arch9wavefront6targetE0EEEvT1_
                                        ; -- End function
	.set _ZN7rocprim17ROCPRIM_400000_NS6detail17trampoline_kernelINS0_14default_configENS1_27scan_by_key_config_selectorIssEEZZNS1_16scan_by_key_implILNS1_25lookback_scan_determinismE0ELb1ES3_N6thrust23THRUST_200600_302600_NS6detail15normal_iteratorINS9_10device_ptrIsEEEESE_SE_sNS9_4plusIsEE19head_flag_predicatesEE10hipError_tPvRmT2_T3_T4_T5_mT6_T7_P12ihipStream_tbENKUlT_T0_E_clISt17integral_constantIbLb0EESY_EEDaST_SU_EUlST_E_NS1_11comp_targetILNS1_3genE10ELNS1_11target_archE1200ELNS1_3gpuE4ELNS1_3repE0EEENS1_30default_config_static_selectorELNS0_4arch9wavefront6targetE0EEEvT1_.num_vgpr, 0
	.set _ZN7rocprim17ROCPRIM_400000_NS6detail17trampoline_kernelINS0_14default_configENS1_27scan_by_key_config_selectorIssEEZZNS1_16scan_by_key_implILNS1_25lookback_scan_determinismE0ELb1ES3_N6thrust23THRUST_200600_302600_NS6detail15normal_iteratorINS9_10device_ptrIsEEEESE_SE_sNS9_4plusIsEE19head_flag_predicatesEE10hipError_tPvRmT2_T3_T4_T5_mT6_T7_P12ihipStream_tbENKUlT_T0_E_clISt17integral_constantIbLb0EESY_EEDaST_SU_EUlST_E_NS1_11comp_targetILNS1_3genE10ELNS1_11target_archE1200ELNS1_3gpuE4ELNS1_3repE0EEENS1_30default_config_static_selectorELNS0_4arch9wavefront6targetE0EEEvT1_.num_agpr, 0
	.set _ZN7rocprim17ROCPRIM_400000_NS6detail17trampoline_kernelINS0_14default_configENS1_27scan_by_key_config_selectorIssEEZZNS1_16scan_by_key_implILNS1_25lookback_scan_determinismE0ELb1ES3_N6thrust23THRUST_200600_302600_NS6detail15normal_iteratorINS9_10device_ptrIsEEEESE_SE_sNS9_4plusIsEE19head_flag_predicatesEE10hipError_tPvRmT2_T3_T4_T5_mT6_T7_P12ihipStream_tbENKUlT_T0_E_clISt17integral_constantIbLb0EESY_EEDaST_SU_EUlST_E_NS1_11comp_targetILNS1_3genE10ELNS1_11target_archE1200ELNS1_3gpuE4ELNS1_3repE0EEENS1_30default_config_static_selectorELNS0_4arch9wavefront6targetE0EEEvT1_.numbered_sgpr, 0
	.set _ZN7rocprim17ROCPRIM_400000_NS6detail17trampoline_kernelINS0_14default_configENS1_27scan_by_key_config_selectorIssEEZZNS1_16scan_by_key_implILNS1_25lookback_scan_determinismE0ELb1ES3_N6thrust23THRUST_200600_302600_NS6detail15normal_iteratorINS9_10device_ptrIsEEEESE_SE_sNS9_4plusIsEE19head_flag_predicatesEE10hipError_tPvRmT2_T3_T4_T5_mT6_T7_P12ihipStream_tbENKUlT_T0_E_clISt17integral_constantIbLb0EESY_EEDaST_SU_EUlST_E_NS1_11comp_targetILNS1_3genE10ELNS1_11target_archE1200ELNS1_3gpuE4ELNS1_3repE0EEENS1_30default_config_static_selectorELNS0_4arch9wavefront6targetE0EEEvT1_.num_named_barrier, 0
	.set _ZN7rocprim17ROCPRIM_400000_NS6detail17trampoline_kernelINS0_14default_configENS1_27scan_by_key_config_selectorIssEEZZNS1_16scan_by_key_implILNS1_25lookback_scan_determinismE0ELb1ES3_N6thrust23THRUST_200600_302600_NS6detail15normal_iteratorINS9_10device_ptrIsEEEESE_SE_sNS9_4plusIsEE19head_flag_predicatesEE10hipError_tPvRmT2_T3_T4_T5_mT6_T7_P12ihipStream_tbENKUlT_T0_E_clISt17integral_constantIbLb0EESY_EEDaST_SU_EUlST_E_NS1_11comp_targetILNS1_3genE10ELNS1_11target_archE1200ELNS1_3gpuE4ELNS1_3repE0EEENS1_30default_config_static_selectorELNS0_4arch9wavefront6targetE0EEEvT1_.private_seg_size, 0
	.set _ZN7rocprim17ROCPRIM_400000_NS6detail17trampoline_kernelINS0_14default_configENS1_27scan_by_key_config_selectorIssEEZZNS1_16scan_by_key_implILNS1_25lookback_scan_determinismE0ELb1ES3_N6thrust23THRUST_200600_302600_NS6detail15normal_iteratorINS9_10device_ptrIsEEEESE_SE_sNS9_4plusIsEE19head_flag_predicatesEE10hipError_tPvRmT2_T3_T4_T5_mT6_T7_P12ihipStream_tbENKUlT_T0_E_clISt17integral_constantIbLb0EESY_EEDaST_SU_EUlST_E_NS1_11comp_targetILNS1_3genE10ELNS1_11target_archE1200ELNS1_3gpuE4ELNS1_3repE0EEENS1_30default_config_static_selectorELNS0_4arch9wavefront6targetE0EEEvT1_.uses_vcc, 0
	.set _ZN7rocprim17ROCPRIM_400000_NS6detail17trampoline_kernelINS0_14default_configENS1_27scan_by_key_config_selectorIssEEZZNS1_16scan_by_key_implILNS1_25lookback_scan_determinismE0ELb1ES3_N6thrust23THRUST_200600_302600_NS6detail15normal_iteratorINS9_10device_ptrIsEEEESE_SE_sNS9_4plusIsEE19head_flag_predicatesEE10hipError_tPvRmT2_T3_T4_T5_mT6_T7_P12ihipStream_tbENKUlT_T0_E_clISt17integral_constantIbLb0EESY_EEDaST_SU_EUlST_E_NS1_11comp_targetILNS1_3genE10ELNS1_11target_archE1200ELNS1_3gpuE4ELNS1_3repE0EEENS1_30default_config_static_selectorELNS0_4arch9wavefront6targetE0EEEvT1_.uses_flat_scratch, 0
	.set _ZN7rocprim17ROCPRIM_400000_NS6detail17trampoline_kernelINS0_14default_configENS1_27scan_by_key_config_selectorIssEEZZNS1_16scan_by_key_implILNS1_25lookback_scan_determinismE0ELb1ES3_N6thrust23THRUST_200600_302600_NS6detail15normal_iteratorINS9_10device_ptrIsEEEESE_SE_sNS9_4plusIsEE19head_flag_predicatesEE10hipError_tPvRmT2_T3_T4_T5_mT6_T7_P12ihipStream_tbENKUlT_T0_E_clISt17integral_constantIbLb0EESY_EEDaST_SU_EUlST_E_NS1_11comp_targetILNS1_3genE10ELNS1_11target_archE1200ELNS1_3gpuE4ELNS1_3repE0EEENS1_30default_config_static_selectorELNS0_4arch9wavefront6targetE0EEEvT1_.has_dyn_sized_stack, 0
	.set _ZN7rocprim17ROCPRIM_400000_NS6detail17trampoline_kernelINS0_14default_configENS1_27scan_by_key_config_selectorIssEEZZNS1_16scan_by_key_implILNS1_25lookback_scan_determinismE0ELb1ES3_N6thrust23THRUST_200600_302600_NS6detail15normal_iteratorINS9_10device_ptrIsEEEESE_SE_sNS9_4plusIsEE19head_flag_predicatesEE10hipError_tPvRmT2_T3_T4_T5_mT6_T7_P12ihipStream_tbENKUlT_T0_E_clISt17integral_constantIbLb0EESY_EEDaST_SU_EUlST_E_NS1_11comp_targetILNS1_3genE10ELNS1_11target_archE1200ELNS1_3gpuE4ELNS1_3repE0EEENS1_30default_config_static_selectorELNS0_4arch9wavefront6targetE0EEEvT1_.has_recursion, 0
	.set _ZN7rocprim17ROCPRIM_400000_NS6detail17trampoline_kernelINS0_14default_configENS1_27scan_by_key_config_selectorIssEEZZNS1_16scan_by_key_implILNS1_25lookback_scan_determinismE0ELb1ES3_N6thrust23THRUST_200600_302600_NS6detail15normal_iteratorINS9_10device_ptrIsEEEESE_SE_sNS9_4plusIsEE19head_flag_predicatesEE10hipError_tPvRmT2_T3_T4_T5_mT6_T7_P12ihipStream_tbENKUlT_T0_E_clISt17integral_constantIbLb0EESY_EEDaST_SU_EUlST_E_NS1_11comp_targetILNS1_3genE10ELNS1_11target_archE1200ELNS1_3gpuE4ELNS1_3repE0EEENS1_30default_config_static_selectorELNS0_4arch9wavefront6targetE0EEEvT1_.has_indirect_call, 0
	.section	.AMDGPU.csdata,"",@progbits
; Kernel info:
; codeLenInByte = 0
; TotalNumSgprs: 0
; NumVgprs: 0
; ScratchSize: 0
; MemoryBound: 0
; FloatMode: 240
; IeeeMode: 1
; LDSByteSize: 0 bytes/workgroup (compile time only)
; SGPRBlocks: 0
; VGPRBlocks: 0
; NumSGPRsForWavesPerEU: 1
; NumVGPRsForWavesPerEU: 1
; Occupancy: 16
; WaveLimiterHint : 0
; COMPUTE_PGM_RSRC2:SCRATCH_EN: 0
; COMPUTE_PGM_RSRC2:USER_SGPR: 6
; COMPUTE_PGM_RSRC2:TRAP_HANDLER: 0
; COMPUTE_PGM_RSRC2:TGID_X_EN: 1
; COMPUTE_PGM_RSRC2:TGID_Y_EN: 0
; COMPUTE_PGM_RSRC2:TGID_Z_EN: 0
; COMPUTE_PGM_RSRC2:TIDIG_COMP_CNT: 0
	.section	.text._ZN7rocprim17ROCPRIM_400000_NS6detail17trampoline_kernelINS0_14default_configENS1_27scan_by_key_config_selectorIssEEZZNS1_16scan_by_key_implILNS1_25lookback_scan_determinismE0ELb1ES3_N6thrust23THRUST_200600_302600_NS6detail15normal_iteratorINS9_10device_ptrIsEEEESE_SE_sNS9_4plusIsEE19head_flag_predicatesEE10hipError_tPvRmT2_T3_T4_T5_mT6_T7_P12ihipStream_tbENKUlT_T0_E_clISt17integral_constantIbLb0EESY_EEDaST_SU_EUlST_E_NS1_11comp_targetILNS1_3genE9ELNS1_11target_archE1100ELNS1_3gpuE3ELNS1_3repE0EEENS1_30default_config_static_selectorELNS0_4arch9wavefront6targetE0EEEvT1_,"axG",@progbits,_ZN7rocprim17ROCPRIM_400000_NS6detail17trampoline_kernelINS0_14default_configENS1_27scan_by_key_config_selectorIssEEZZNS1_16scan_by_key_implILNS1_25lookback_scan_determinismE0ELb1ES3_N6thrust23THRUST_200600_302600_NS6detail15normal_iteratorINS9_10device_ptrIsEEEESE_SE_sNS9_4plusIsEE19head_flag_predicatesEE10hipError_tPvRmT2_T3_T4_T5_mT6_T7_P12ihipStream_tbENKUlT_T0_E_clISt17integral_constantIbLb0EESY_EEDaST_SU_EUlST_E_NS1_11comp_targetILNS1_3genE9ELNS1_11target_archE1100ELNS1_3gpuE3ELNS1_3repE0EEENS1_30default_config_static_selectorELNS0_4arch9wavefront6targetE0EEEvT1_,comdat
	.protected	_ZN7rocprim17ROCPRIM_400000_NS6detail17trampoline_kernelINS0_14default_configENS1_27scan_by_key_config_selectorIssEEZZNS1_16scan_by_key_implILNS1_25lookback_scan_determinismE0ELb1ES3_N6thrust23THRUST_200600_302600_NS6detail15normal_iteratorINS9_10device_ptrIsEEEESE_SE_sNS9_4plusIsEE19head_flag_predicatesEE10hipError_tPvRmT2_T3_T4_T5_mT6_T7_P12ihipStream_tbENKUlT_T0_E_clISt17integral_constantIbLb0EESY_EEDaST_SU_EUlST_E_NS1_11comp_targetILNS1_3genE9ELNS1_11target_archE1100ELNS1_3gpuE3ELNS1_3repE0EEENS1_30default_config_static_selectorELNS0_4arch9wavefront6targetE0EEEvT1_ ; -- Begin function _ZN7rocprim17ROCPRIM_400000_NS6detail17trampoline_kernelINS0_14default_configENS1_27scan_by_key_config_selectorIssEEZZNS1_16scan_by_key_implILNS1_25lookback_scan_determinismE0ELb1ES3_N6thrust23THRUST_200600_302600_NS6detail15normal_iteratorINS9_10device_ptrIsEEEESE_SE_sNS9_4plusIsEE19head_flag_predicatesEE10hipError_tPvRmT2_T3_T4_T5_mT6_T7_P12ihipStream_tbENKUlT_T0_E_clISt17integral_constantIbLb0EESY_EEDaST_SU_EUlST_E_NS1_11comp_targetILNS1_3genE9ELNS1_11target_archE1100ELNS1_3gpuE3ELNS1_3repE0EEENS1_30default_config_static_selectorELNS0_4arch9wavefront6targetE0EEEvT1_
	.globl	_ZN7rocprim17ROCPRIM_400000_NS6detail17trampoline_kernelINS0_14default_configENS1_27scan_by_key_config_selectorIssEEZZNS1_16scan_by_key_implILNS1_25lookback_scan_determinismE0ELb1ES3_N6thrust23THRUST_200600_302600_NS6detail15normal_iteratorINS9_10device_ptrIsEEEESE_SE_sNS9_4plusIsEE19head_flag_predicatesEE10hipError_tPvRmT2_T3_T4_T5_mT6_T7_P12ihipStream_tbENKUlT_T0_E_clISt17integral_constantIbLb0EESY_EEDaST_SU_EUlST_E_NS1_11comp_targetILNS1_3genE9ELNS1_11target_archE1100ELNS1_3gpuE3ELNS1_3repE0EEENS1_30default_config_static_selectorELNS0_4arch9wavefront6targetE0EEEvT1_
	.p2align	8
	.type	_ZN7rocprim17ROCPRIM_400000_NS6detail17trampoline_kernelINS0_14default_configENS1_27scan_by_key_config_selectorIssEEZZNS1_16scan_by_key_implILNS1_25lookback_scan_determinismE0ELb1ES3_N6thrust23THRUST_200600_302600_NS6detail15normal_iteratorINS9_10device_ptrIsEEEESE_SE_sNS9_4plusIsEE19head_flag_predicatesEE10hipError_tPvRmT2_T3_T4_T5_mT6_T7_P12ihipStream_tbENKUlT_T0_E_clISt17integral_constantIbLb0EESY_EEDaST_SU_EUlST_E_NS1_11comp_targetILNS1_3genE9ELNS1_11target_archE1100ELNS1_3gpuE3ELNS1_3repE0EEENS1_30default_config_static_selectorELNS0_4arch9wavefront6targetE0EEEvT1_,@function
_ZN7rocprim17ROCPRIM_400000_NS6detail17trampoline_kernelINS0_14default_configENS1_27scan_by_key_config_selectorIssEEZZNS1_16scan_by_key_implILNS1_25lookback_scan_determinismE0ELb1ES3_N6thrust23THRUST_200600_302600_NS6detail15normal_iteratorINS9_10device_ptrIsEEEESE_SE_sNS9_4plusIsEE19head_flag_predicatesEE10hipError_tPvRmT2_T3_T4_T5_mT6_T7_P12ihipStream_tbENKUlT_T0_E_clISt17integral_constantIbLb0EESY_EEDaST_SU_EUlST_E_NS1_11comp_targetILNS1_3genE9ELNS1_11target_archE1100ELNS1_3gpuE3ELNS1_3repE0EEENS1_30default_config_static_selectorELNS0_4arch9wavefront6targetE0EEEvT1_: ; @_ZN7rocprim17ROCPRIM_400000_NS6detail17trampoline_kernelINS0_14default_configENS1_27scan_by_key_config_selectorIssEEZZNS1_16scan_by_key_implILNS1_25lookback_scan_determinismE0ELb1ES3_N6thrust23THRUST_200600_302600_NS6detail15normal_iteratorINS9_10device_ptrIsEEEESE_SE_sNS9_4plusIsEE19head_flag_predicatesEE10hipError_tPvRmT2_T3_T4_T5_mT6_T7_P12ihipStream_tbENKUlT_T0_E_clISt17integral_constantIbLb0EESY_EEDaST_SU_EUlST_E_NS1_11comp_targetILNS1_3genE9ELNS1_11target_archE1100ELNS1_3gpuE3ELNS1_3repE0EEENS1_30default_config_static_selectorELNS0_4arch9wavefront6targetE0EEEvT1_
; %bb.0:
	.section	.rodata,"a",@progbits
	.p2align	6, 0x0
	.amdhsa_kernel _ZN7rocprim17ROCPRIM_400000_NS6detail17trampoline_kernelINS0_14default_configENS1_27scan_by_key_config_selectorIssEEZZNS1_16scan_by_key_implILNS1_25lookback_scan_determinismE0ELb1ES3_N6thrust23THRUST_200600_302600_NS6detail15normal_iteratorINS9_10device_ptrIsEEEESE_SE_sNS9_4plusIsEE19head_flag_predicatesEE10hipError_tPvRmT2_T3_T4_T5_mT6_T7_P12ihipStream_tbENKUlT_T0_E_clISt17integral_constantIbLb0EESY_EEDaST_SU_EUlST_E_NS1_11comp_targetILNS1_3genE9ELNS1_11target_archE1100ELNS1_3gpuE3ELNS1_3repE0EEENS1_30default_config_static_selectorELNS0_4arch9wavefront6targetE0EEEvT1_
		.amdhsa_group_segment_fixed_size 0
		.amdhsa_private_segment_fixed_size 0
		.amdhsa_kernarg_size 112
		.amdhsa_user_sgpr_count 6
		.amdhsa_user_sgpr_private_segment_buffer 1
		.amdhsa_user_sgpr_dispatch_ptr 0
		.amdhsa_user_sgpr_queue_ptr 0
		.amdhsa_user_sgpr_kernarg_segment_ptr 1
		.amdhsa_user_sgpr_dispatch_id 0
		.amdhsa_user_sgpr_flat_scratch_init 0
		.amdhsa_user_sgpr_private_segment_size 0
		.amdhsa_wavefront_size32 1
		.amdhsa_uses_dynamic_stack 0
		.amdhsa_system_sgpr_private_segment_wavefront_offset 0
		.amdhsa_system_sgpr_workgroup_id_x 1
		.amdhsa_system_sgpr_workgroup_id_y 0
		.amdhsa_system_sgpr_workgroup_id_z 0
		.amdhsa_system_sgpr_workgroup_info 0
		.amdhsa_system_vgpr_workitem_id 0
		.amdhsa_next_free_vgpr 1
		.amdhsa_next_free_sgpr 1
		.amdhsa_reserve_vcc 0
		.amdhsa_reserve_flat_scratch 0
		.amdhsa_float_round_mode_32 0
		.amdhsa_float_round_mode_16_64 0
		.amdhsa_float_denorm_mode_32 3
		.amdhsa_float_denorm_mode_16_64 3
		.amdhsa_dx10_clamp 1
		.amdhsa_ieee_mode 1
		.amdhsa_fp16_overflow 0
		.amdhsa_workgroup_processor_mode 1
		.amdhsa_memory_ordered 1
		.amdhsa_forward_progress 1
		.amdhsa_shared_vgpr_count 0
		.amdhsa_exception_fp_ieee_invalid_op 0
		.amdhsa_exception_fp_denorm_src 0
		.amdhsa_exception_fp_ieee_div_zero 0
		.amdhsa_exception_fp_ieee_overflow 0
		.amdhsa_exception_fp_ieee_underflow 0
		.amdhsa_exception_fp_ieee_inexact 0
		.amdhsa_exception_int_div_zero 0
	.end_amdhsa_kernel
	.section	.text._ZN7rocprim17ROCPRIM_400000_NS6detail17trampoline_kernelINS0_14default_configENS1_27scan_by_key_config_selectorIssEEZZNS1_16scan_by_key_implILNS1_25lookback_scan_determinismE0ELb1ES3_N6thrust23THRUST_200600_302600_NS6detail15normal_iteratorINS9_10device_ptrIsEEEESE_SE_sNS9_4plusIsEE19head_flag_predicatesEE10hipError_tPvRmT2_T3_T4_T5_mT6_T7_P12ihipStream_tbENKUlT_T0_E_clISt17integral_constantIbLb0EESY_EEDaST_SU_EUlST_E_NS1_11comp_targetILNS1_3genE9ELNS1_11target_archE1100ELNS1_3gpuE3ELNS1_3repE0EEENS1_30default_config_static_selectorELNS0_4arch9wavefront6targetE0EEEvT1_,"axG",@progbits,_ZN7rocprim17ROCPRIM_400000_NS6detail17trampoline_kernelINS0_14default_configENS1_27scan_by_key_config_selectorIssEEZZNS1_16scan_by_key_implILNS1_25lookback_scan_determinismE0ELb1ES3_N6thrust23THRUST_200600_302600_NS6detail15normal_iteratorINS9_10device_ptrIsEEEESE_SE_sNS9_4plusIsEE19head_flag_predicatesEE10hipError_tPvRmT2_T3_T4_T5_mT6_T7_P12ihipStream_tbENKUlT_T0_E_clISt17integral_constantIbLb0EESY_EEDaST_SU_EUlST_E_NS1_11comp_targetILNS1_3genE9ELNS1_11target_archE1100ELNS1_3gpuE3ELNS1_3repE0EEENS1_30default_config_static_selectorELNS0_4arch9wavefront6targetE0EEEvT1_,comdat
.Lfunc_end864:
	.size	_ZN7rocprim17ROCPRIM_400000_NS6detail17trampoline_kernelINS0_14default_configENS1_27scan_by_key_config_selectorIssEEZZNS1_16scan_by_key_implILNS1_25lookback_scan_determinismE0ELb1ES3_N6thrust23THRUST_200600_302600_NS6detail15normal_iteratorINS9_10device_ptrIsEEEESE_SE_sNS9_4plusIsEE19head_flag_predicatesEE10hipError_tPvRmT2_T3_T4_T5_mT6_T7_P12ihipStream_tbENKUlT_T0_E_clISt17integral_constantIbLb0EESY_EEDaST_SU_EUlST_E_NS1_11comp_targetILNS1_3genE9ELNS1_11target_archE1100ELNS1_3gpuE3ELNS1_3repE0EEENS1_30default_config_static_selectorELNS0_4arch9wavefront6targetE0EEEvT1_, .Lfunc_end864-_ZN7rocprim17ROCPRIM_400000_NS6detail17trampoline_kernelINS0_14default_configENS1_27scan_by_key_config_selectorIssEEZZNS1_16scan_by_key_implILNS1_25lookback_scan_determinismE0ELb1ES3_N6thrust23THRUST_200600_302600_NS6detail15normal_iteratorINS9_10device_ptrIsEEEESE_SE_sNS9_4plusIsEE19head_flag_predicatesEE10hipError_tPvRmT2_T3_T4_T5_mT6_T7_P12ihipStream_tbENKUlT_T0_E_clISt17integral_constantIbLb0EESY_EEDaST_SU_EUlST_E_NS1_11comp_targetILNS1_3genE9ELNS1_11target_archE1100ELNS1_3gpuE3ELNS1_3repE0EEENS1_30default_config_static_selectorELNS0_4arch9wavefront6targetE0EEEvT1_
                                        ; -- End function
	.set _ZN7rocprim17ROCPRIM_400000_NS6detail17trampoline_kernelINS0_14default_configENS1_27scan_by_key_config_selectorIssEEZZNS1_16scan_by_key_implILNS1_25lookback_scan_determinismE0ELb1ES3_N6thrust23THRUST_200600_302600_NS6detail15normal_iteratorINS9_10device_ptrIsEEEESE_SE_sNS9_4plusIsEE19head_flag_predicatesEE10hipError_tPvRmT2_T3_T4_T5_mT6_T7_P12ihipStream_tbENKUlT_T0_E_clISt17integral_constantIbLb0EESY_EEDaST_SU_EUlST_E_NS1_11comp_targetILNS1_3genE9ELNS1_11target_archE1100ELNS1_3gpuE3ELNS1_3repE0EEENS1_30default_config_static_selectorELNS0_4arch9wavefront6targetE0EEEvT1_.num_vgpr, 0
	.set _ZN7rocprim17ROCPRIM_400000_NS6detail17trampoline_kernelINS0_14default_configENS1_27scan_by_key_config_selectorIssEEZZNS1_16scan_by_key_implILNS1_25lookback_scan_determinismE0ELb1ES3_N6thrust23THRUST_200600_302600_NS6detail15normal_iteratorINS9_10device_ptrIsEEEESE_SE_sNS9_4plusIsEE19head_flag_predicatesEE10hipError_tPvRmT2_T3_T4_T5_mT6_T7_P12ihipStream_tbENKUlT_T0_E_clISt17integral_constantIbLb0EESY_EEDaST_SU_EUlST_E_NS1_11comp_targetILNS1_3genE9ELNS1_11target_archE1100ELNS1_3gpuE3ELNS1_3repE0EEENS1_30default_config_static_selectorELNS0_4arch9wavefront6targetE0EEEvT1_.num_agpr, 0
	.set _ZN7rocprim17ROCPRIM_400000_NS6detail17trampoline_kernelINS0_14default_configENS1_27scan_by_key_config_selectorIssEEZZNS1_16scan_by_key_implILNS1_25lookback_scan_determinismE0ELb1ES3_N6thrust23THRUST_200600_302600_NS6detail15normal_iteratorINS9_10device_ptrIsEEEESE_SE_sNS9_4plusIsEE19head_flag_predicatesEE10hipError_tPvRmT2_T3_T4_T5_mT6_T7_P12ihipStream_tbENKUlT_T0_E_clISt17integral_constantIbLb0EESY_EEDaST_SU_EUlST_E_NS1_11comp_targetILNS1_3genE9ELNS1_11target_archE1100ELNS1_3gpuE3ELNS1_3repE0EEENS1_30default_config_static_selectorELNS0_4arch9wavefront6targetE0EEEvT1_.numbered_sgpr, 0
	.set _ZN7rocprim17ROCPRIM_400000_NS6detail17trampoline_kernelINS0_14default_configENS1_27scan_by_key_config_selectorIssEEZZNS1_16scan_by_key_implILNS1_25lookback_scan_determinismE0ELb1ES3_N6thrust23THRUST_200600_302600_NS6detail15normal_iteratorINS9_10device_ptrIsEEEESE_SE_sNS9_4plusIsEE19head_flag_predicatesEE10hipError_tPvRmT2_T3_T4_T5_mT6_T7_P12ihipStream_tbENKUlT_T0_E_clISt17integral_constantIbLb0EESY_EEDaST_SU_EUlST_E_NS1_11comp_targetILNS1_3genE9ELNS1_11target_archE1100ELNS1_3gpuE3ELNS1_3repE0EEENS1_30default_config_static_selectorELNS0_4arch9wavefront6targetE0EEEvT1_.num_named_barrier, 0
	.set _ZN7rocprim17ROCPRIM_400000_NS6detail17trampoline_kernelINS0_14default_configENS1_27scan_by_key_config_selectorIssEEZZNS1_16scan_by_key_implILNS1_25lookback_scan_determinismE0ELb1ES3_N6thrust23THRUST_200600_302600_NS6detail15normal_iteratorINS9_10device_ptrIsEEEESE_SE_sNS9_4plusIsEE19head_flag_predicatesEE10hipError_tPvRmT2_T3_T4_T5_mT6_T7_P12ihipStream_tbENKUlT_T0_E_clISt17integral_constantIbLb0EESY_EEDaST_SU_EUlST_E_NS1_11comp_targetILNS1_3genE9ELNS1_11target_archE1100ELNS1_3gpuE3ELNS1_3repE0EEENS1_30default_config_static_selectorELNS0_4arch9wavefront6targetE0EEEvT1_.private_seg_size, 0
	.set _ZN7rocprim17ROCPRIM_400000_NS6detail17trampoline_kernelINS0_14default_configENS1_27scan_by_key_config_selectorIssEEZZNS1_16scan_by_key_implILNS1_25lookback_scan_determinismE0ELb1ES3_N6thrust23THRUST_200600_302600_NS6detail15normal_iteratorINS9_10device_ptrIsEEEESE_SE_sNS9_4plusIsEE19head_flag_predicatesEE10hipError_tPvRmT2_T3_T4_T5_mT6_T7_P12ihipStream_tbENKUlT_T0_E_clISt17integral_constantIbLb0EESY_EEDaST_SU_EUlST_E_NS1_11comp_targetILNS1_3genE9ELNS1_11target_archE1100ELNS1_3gpuE3ELNS1_3repE0EEENS1_30default_config_static_selectorELNS0_4arch9wavefront6targetE0EEEvT1_.uses_vcc, 0
	.set _ZN7rocprim17ROCPRIM_400000_NS6detail17trampoline_kernelINS0_14default_configENS1_27scan_by_key_config_selectorIssEEZZNS1_16scan_by_key_implILNS1_25lookback_scan_determinismE0ELb1ES3_N6thrust23THRUST_200600_302600_NS6detail15normal_iteratorINS9_10device_ptrIsEEEESE_SE_sNS9_4plusIsEE19head_flag_predicatesEE10hipError_tPvRmT2_T3_T4_T5_mT6_T7_P12ihipStream_tbENKUlT_T0_E_clISt17integral_constantIbLb0EESY_EEDaST_SU_EUlST_E_NS1_11comp_targetILNS1_3genE9ELNS1_11target_archE1100ELNS1_3gpuE3ELNS1_3repE0EEENS1_30default_config_static_selectorELNS0_4arch9wavefront6targetE0EEEvT1_.uses_flat_scratch, 0
	.set _ZN7rocprim17ROCPRIM_400000_NS6detail17trampoline_kernelINS0_14default_configENS1_27scan_by_key_config_selectorIssEEZZNS1_16scan_by_key_implILNS1_25lookback_scan_determinismE0ELb1ES3_N6thrust23THRUST_200600_302600_NS6detail15normal_iteratorINS9_10device_ptrIsEEEESE_SE_sNS9_4plusIsEE19head_flag_predicatesEE10hipError_tPvRmT2_T3_T4_T5_mT6_T7_P12ihipStream_tbENKUlT_T0_E_clISt17integral_constantIbLb0EESY_EEDaST_SU_EUlST_E_NS1_11comp_targetILNS1_3genE9ELNS1_11target_archE1100ELNS1_3gpuE3ELNS1_3repE0EEENS1_30default_config_static_selectorELNS0_4arch9wavefront6targetE0EEEvT1_.has_dyn_sized_stack, 0
	.set _ZN7rocprim17ROCPRIM_400000_NS6detail17trampoline_kernelINS0_14default_configENS1_27scan_by_key_config_selectorIssEEZZNS1_16scan_by_key_implILNS1_25lookback_scan_determinismE0ELb1ES3_N6thrust23THRUST_200600_302600_NS6detail15normal_iteratorINS9_10device_ptrIsEEEESE_SE_sNS9_4plusIsEE19head_flag_predicatesEE10hipError_tPvRmT2_T3_T4_T5_mT6_T7_P12ihipStream_tbENKUlT_T0_E_clISt17integral_constantIbLb0EESY_EEDaST_SU_EUlST_E_NS1_11comp_targetILNS1_3genE9ELNS1_11target_archE1100ELNS1_3gpuE3ELNS1_3repE0EEENS1_30default_config_static_selectorELNS0_4arch9wavefront6targetE0EEEvT1_.has_recursion, 0
	.set _ZN7rocprim17ROCPRIM_400000_NS6detail17trampoline_kernelINS0_14default_configENS1_27scan_by_key_config_selectorIssEEZZNS1_16scan_by_key_implILNS1_25lookback_scan_determinismE0ELb1ES3_N6thrust23THRUST_200600_302600_NS6detail15normal_iteratorINS9_10device_ptrIsEEEESE_SE_sNS9_4plusIsEE19head_flag_predicatesEE10hipError_tPvRmT2_T3_T4_T5_mT6_T7_P12ihipStream_tbENKUlT_T0_E_clISt17integral_constantIbLb0EESY_EEDaST_SU_EUlST_E_NS1_11comp_targetILNS1_3genE9ELNS1_11target_archE1100ELNS1_3gpuE3ELNS1_3repE0EEENS1_30default_config_static_selectorELNS0_4arch9wavefront6targetE0EEEvT1_.has_indirect_call, 0
	.section	.AMDGPU.csdata,"",@progbits
; Kernel info:
; codeLenInByte = 0
; TotalNumSgprs: 0
; NumVgprs: 0
; ScratchSize: 0
; MemoryBound: 0
; FloatMode: 240
; IeeeMode: 1
; LDSByteSize: 0 bytes/workgroup (compile time only)
; SGPRBlocks: 0
; VGPRBlocks: 0
; NumSGPRsForWavesPerEU: 1
; NumVGPRsForWavesPerEU: 1
; Occupancy: 16
; WaveLimiterHint : 0
; COMPUTE_PGM_RSRC2:SCRATCH_EN: 0
; COMPUTE_PGM_RSRC2:USER_SGPR: 6
; COMPUTE_PGM_RSRC2:TRAP_HANDLER: 0
; COMPUTE_PGM_RSRC2:TGID_X_EN: 1
; COMPUTE_PGM_RSRC2:TGID_Y_EN: 0
; COMPUTE_PGM_RSRC2:TGID_Z_EN: 0
; COMPUTE_PGM_RSRC2:TIDIG_COMP_CNT: 0
	.section	.text._ZN7rocprim17ROCPRIM_400000_NS6detail17trampoline_kernelINS0_14default_configENS1_27scan_by_key_config_selectorIssEEZZNS1_16scan_by_key_implILNS1_25lookback_scan_determinismE0ELb1ES3_N6thrust23THRUST_200600_302600_NS6detail15normal_iteratorINS9_10device_ptrIsEEEESE_SE_sNS9_4plusIsEE19head_flag_predicatesEE10hipError_tPvRmT2_T3_T4_T5_mT6_T7_P12ihipStream_tbENKUlT_T0_E_clISt17integral_constantIbLb0EESY_EEDaST_SU_EUlST_E_NS1_11comp_targetILNS1_3genE8ELNS1_11target_archE1030ELNS1_3gpuE2ELNS1_3repE0EEENS1_30default_config_static_selectorELNS0_4arch9wavefront6targetE0EEEvT1_,"axG",@progbits,_ZN7rocprim17ROCPRIM_400000_NS6detail17trampoline_kernelINS0_14default_configENS1_27scan_by_key_config_selectorIssEEZZNS1_16scan_by_key_implILNS1_25lookback_scan_determinismE0ELb1ES3_N6thrust23THRUST_200600_302600_NS6detail15normal_iteratorINS9_10device_ptrIsEEEESE_SE_sNS9_4plusIsEE19head_flag_predicatesEE10hipError_tPvRmT2_T3_T4_T5_mT6_T7_P12ihipStream_tbENKUlT_T0_E_clISt17integral_constantIbLb0EESY_EEDaST_SU_EUlST_E_NS1_11comp_targetILNS1_3genE8ELNS1_11target_archE1030ELNS1_3gpuE2ELNS1_3repE0EEENS1_30default_config_static_selectorELNS0_4arch9wavefront6targetE0EEEvT1_,comdat
	.protected	_ZN7rocprim17ROCPRIM_400000_NS6detail17trampoline_kernelINS0_14default_configENS1_27scan_by_key_config_selectorIssEEZZNS1_16scan_by_key_implILNS1_25lookback_scan_determinismE0ELb1ES3_N6thrust23THRUST_200600_302600_NS6detail15normal_iteratorINS9_10device_ptrIsEEEESE_SE_sNS9_4plusIsEE19head_flag_predicatesEE10hipError_tPvRmT2_T3_T4_T5_mT6_T7_P12ihipStream_tbENKUlT_T0_E_clISt17integral_constantIbLb0EESY_EEDaST_SU_EUlST_E_NS1_11comp_targetILNS1_3genE8ELNS1_11target_archE1030ELNS1_3gpuE2ELNS1_3repE0EEENS1_30default_config_static_selectorELNS0_4arch9wavefront6targetE0EEEvT1_ ; -- Begin function _ZN7rocprim17ROCPRIM_400000_NS6detail17trampoline_kernelINS0_14default_configENS1_27scan_by_key_config_selectorIssEEZZNS1_16scan_by_key_implILNS1_25lookback_scan_determinismE0ELb1ES3_N6thrust23THRUST_200600_302600_NS6detail15normal_iteratorINS9_10device_ptrIsEEEESE_SE_sNS9_4plusIsEE19head_flag_predicatesEE10hipError_tPvRmT2_T3_T4_T5_mT6_T7_P12ihipStream_tbENKUlT_T0_E_clISt17integral_constantIbLb0EESY_EEDaST_SU_EUlST_E_NS1_11comp_targetILNS1_3genE8ELNS1_11target_archE1030ELNS1_3gpuE2ELNS1_3repE0EEENS1_30default_config_static_selectorELNS0_4arch9wavefront6targetE0EEEvT1_
	.globl	_ZN7rocprim17ROCPRIM_400000_NS6detail17trampoline_kernelINS0_14default_configENS1_27scan_by_key_config_selectorIssEEZZNS1_16scan_by_key_implILNS1_25lookback_scan_determinismE0ELb1ES3_N6thrust23THRUST_200600_302600_NS6detail15normal_iteratorINS9_10device_ptrIsEEEESE_SE_sNS9_4plusIsEE19head_flag_predicatesEE10hipError_tPvRmT2_T3_T4_T5_mT6_T7_P12ihipStream_tbENKUlT_T0_E_clISt17integral_constantIbLb0EESY_EEDaST_SU_EUlST_E_NS1_11comp_targetILNS1_3genE8ELNS1_11target_archE1030ELNS1_3gpuE2ELNS1_3repE0EEENS1_30default_config_static_selectorELNS0_4arch9wavefront6targetE0EEEvT1_
	.p2align	8
	.type	_ZN7rocprim17ROCPRIM_400000_NS6detail17trampoline_kernelINS0_14default_configENS1_27scan_by_key_config_selectorIssEEZZNS1_16scan_by_key_implILNS1_25lookback_scan_determinismE0ELb1ES3_N6thrust23THRUST_200600_302600_NS6detail15normal_iteratorINS9_10device_ptrIsEEEESE_SE_sNS9_4plusIsEE19head_flag_predicatesEE10hipError_tPvRmT2_T3_T4_T5_mT6_T7_P12ihipStream_tbENKUlT_T0_E_clISt17integral_constantIbLb0EESY_EEDaST_SU_EUlST_E_NS1_11comp_targetILNS1_3genE8ELNS1_11target_archE1030ELNS1_3gpuE2ELNS1_3repE0EEENS1_30default_config_static_selectorELNS0_4arch9wavefront6targetE0EEEvT1_,@function
_ZN7rocprim17ROCPRIM_400000_NS6detail17trampoline_kernelINS0_14default_configENS1_27scan_by_key_config_selectorIssEEZZNS1_16scan_by_key_implILNS1_25lookback_scan_determinismE0ELb1ES3_N6thrust23THRUST_200600_302600_NS6detail15normal_iteratorINS9_10device_ptrIsEEEESE_SE_sNS9_4plusIsEE19head_flag_predicatesEE10hipError_tPvRmT2_T3_T4_T5_mT6_T7_P12ihipStream_tbENKUlT_T0_E_clISt17integral_constantIbLb0EESY_EEDaST_SU_EUlST_E_NS1_11comp_targetILNS1_3genE8ELNS1_11target_archE1030ELNS1_3gpuE2ELNS1_3repE0EEENS1_30default_config_static_selectorELNS0_4arch9wavefront6targetE0EEEvT1_: ; @_ZN7rocprim17ROCPRIM_400000_NS6detail17trampoline_kernelINS0_14default_configENS1_27scan_by_key_config_selectorIssEEZZNS1_16scan_by_key_implILNS1_25lookback_scan_determinismE0ELb1ES3_N6thrust23THRUST_200600_302600_NS6detail15normal_iteratorINS9_10device_ptrIsEEEESE_SE_sNS9_4plusIsEE19head_flag_predicatesEE10hipError_tPvRmT2_T3_T4_T5_mT6_T7_P12ihipStream_tbENKUlT_T0_E_clISt17integral_constantIbLb0EESY_EEDaST_SU_EUlST_E_NS1_11comp_targetILNS1_3genE8ELNS1_11target_archE1030ELNS1_3gpuE2ELNS1_3repE0EEENS1_30default_config_static_selectorELNS0_4arch9wavefront6targetE0EEEvT1_
; %bb.0:
	s_clause 0x5
	s_load_dwordx8 s[8:15], s[4:5], 0x0
	s_load_dwordx2 s[26:27], s[4:5], 0x38
	s_load_dword s2, s[4:5], 0x40
	s_load_dwordx4 s[20:23], s[4:5], 0x48
	s_load_dword s30, s[4:5], 0x20
	s_load_dwordx4 s[16:19], s[4:5], 0x28
	s_mov_b32 s1, 0
	s_mul_i32 s0, s6, 0x280
	s_waitcnt lgkmcnt(0)
	s_barrier
	buffer_gl0_inv
	s_lshl_b64 s[24:25], s[10:11], 1
	s_add_u32 s5, s8, s24
	s_addc_u32 s7, s9, s25
	s_mul_i32 s3, s27, s2
	s_mul_hi_u32 s4, s26, s2
	s_add_u32 s8, s12, s24
	s_addc_u32 s9, s13, s25
	s_lshl_b64 s[12:13], s[0:1], 1
	s_add_i32 s4, s4, s3
	s_add_u32 s28, s5, s12
	s_addc_u32 s29, s7, s13
	s_mul_i32 s0, s26, s2
	s_add_u32 s31, s8, s12
	s_addc_u32 s33, s9, s13
	s_add_u32 s2, s0, s6
	s_addc_u32 s3, s4, 0
	s_add_u32 s4, s20, -1
	s_addc_u32 s5, s21, -1
	s_mul_i32 s19, s4, 0xfffffd80
	v_cmp_ge_u64_e64 s11, s[2:3], s[4:5]
	s_and_b32 vcc_lo, exec_lo, s11
	s_cbranch_vccz .LBB865_55
; %bb.1:
	v_mov_b32_e32 v1, s28
	v_mov_b32_e32 v2, s29
	s_add_i32 s20, s19, s18
	v_cmp_gt_u32_e64 s9, s20, v0
	flat_load_ushort v1, v[1:2]
	s_waitcnt vmcnt(0) lgkmcnt(0)
	v_mov_b32_e32 v2, v1
	s_and_saveexec_b32 s0, s9
	s_cbranch_execz .LBB865_3
; %bb.2:
	v_lshlrev_b32_e32 v2, 1, v0
	v_add_co_u32 v2, s1, s28, v2
	v_add_co_ci_u32_e64 v3, null, s29, 0, s1
	flat_load_ushort v2, v[2:3]
.LBB865_3:
	s_or_b32 exec_lo, exec_lo, s0
	v_or_b32_e32 v3, 64, v0
	v_cmp_gt_u32_e64 s8, s20, v3
	v_mov_b32_e32 v3, v1
	s_and_saveexec_b32 s0, s8
	s_cbranch_execz .LBB865_5
; %bb.4:
	v_lshlrev_b32_e32 v3, 1, v0
	v_add_co_u32 v3, s1, s28, v3
	v_add_co_ci_u32_e64 v4, null, s29, 0, s1
	flat_load_ushort v3, v[3:4] offset:128
.LBB865_5:
	s_or_b32 exec_lo, exec_lo, s0
	v_or_b32_e32 v4, 0x80, v0
	v_cmp_gt_u32_e64 s7, s20, v4
	v_mov_b32_e32 v4, v1
	s_and_saveexec_b32 s0, s7
	s_cbranch_execz .LBB865_7
; %bb.6:
	v_lshlrev_b32_e32 v4, 1, v0
	v_add_co_u32 v4, s1, s28, v4
	v_add_co_ci_u32_e64 v5, null, s29, 0, s1
	flat_load_ushort v4, v[4:5] offset:256
.LBB865_7:
	;; [unrolled: 12-line block ×8, first 2 shown]
	s_or_b32 exec_lo, exec_lo, s10
	v_or_b32_e32 v11, 0x240, v0
	v_cmp_le_u32_e64 s10, s20, v11
	v_cmp_gt_u32_e32 vcc_lo, s20, v11
	s_and_saveexec_b32 s21, s10
	s_xor_b32 s10, exec_lo, s21
	s_andn2_saveexec_b32 s10, s10
	s_cbranch_execz .LBB865_21
; %bb.20:
	v_lshlrev_b32_e32 v1, 1, v0
	v_add_co_u32 v11, s21, s28, v1
	v_add_co_ci_u32_e64 v12, null, s29, 0, s21
	flat_load_ushort v1, v[11:12] offset:1152
.LBB865_21:
	s_or_b32 exec_lo, exec_lo, s10
	v_lshlrev_b32_e32 v13, 1, v0
	s_mov_b32 s21, exec_lo
	s_waitcnt vmcnt(0) lgkmcnt(0)
	ds_write_b16 v13, v2
	ds_write_b16 v13, v3 offset:128
	ds_write_b16 v13, v4 offset:256
	;; [unrolled: 1-line block ×8, first 2 shown]
	v_mov_b32_e32 v2, s28
	v_mov_b32_e32 v3, s29
	ds_write_b16 v13, v1 offset:1152
	s_waitcnt lgkmcnt(0)
	s_barrier
	buffer_gl0_inv
	flat_load_ushort v23, v[2:3]
	v_mad_u32_u24 v22, v0, 18, v13
	ds_read2_b32 v[11:12], v22 offset1:1
	ds_read2_b32 v[9:10], v22 offset0:2 offset1:3
	ds_read_b32 v24, v22 offset:16
	v_mad_i32_i24 v1, 0xffffffee, v0, v22
	s_waitcnt lgkmcnt(2)
	ds_write_b16 v1, v11 offset:1408
	s_waitcnt vmcnt(0) lgkmcnt(0)
	s_barrier
	buffer_gl0_inv
	v_cmpx_ne_u32_e32 63, v0
; %bb.22:
	v_mul_i32_i24_e32 v1, 0xffffffee, v0
	v_add_nc_u32_e32 v1, v22, v1
	ds_read_u16 v23, v1 offset:1410
; %bb.23:
	s_or_b32 exec_lo, exec_lo, s21
	v_mov_b32_e32 v1, 0
	v_lshlrev_b32_e32 v14, 1, v0
	s_waitcnt lgkmcnt(0)
	s_barrier
	buffer_gl0_inv
	v_mov_b32_e32 v2, v1
	v_mov_b32_e32 v3, v1
	v_mov_b32_e32 v4, v1
	v_mov_b32_e32 v5, v1
	s_and_saveexec_b32 s10, s9
	s_cbranch_execnz .LBB865_181
; %bb.24:
	s_or_b32 exec_lo, exec_lo, s10
	s_and_saveexec_b32 s9, s8
	s_cbranch_execnz .LBB865_182
.LBB865_25:
	s_or_b32 exec_lo, exec_lo, s9
	s_and_saveexec_b32 s8, s7
	s_cbranch_execnz .LBB865_183
.LBB865_26:
	s_or_b32 exec_lo, exec_lo, s8
	s_and_saveexec_b32 s7, s5
	s_cbranch_execnz .LBB865_184
.LBB865_27:
	s_or_b32 exec_lo, exec_lo, s7
	s_and_saveexec_b32 s5, s4
	s_cbranch_execnz .LBB865_185
.LBB865_28:
	s_or_b32 exec_lo, exec_lo, s5
	s_and_saveexec_b32 s4, s3
	s_cbranch_execnz .LBB865_186
.LBB865_29:
	s_or_b32 exec_lo, exec_lo, s4
	s_and_saveexec_b32 s3, s2
	s_cbranch_execnz .LBB865_187
.LBB865_30:
	s_or_b32 exec_lo, exec_lo, s3
	s_and_saveexec_b32 s2, s1
	s_cbranch_execnz .LBB865_188
.LBB865_31:
	s_or_b32 exec_lo, exec_lo, s2
	s_and_saveexec_b32 s1, s0
	s_cbranch_execnz .LBB865_189
.LBB865_32:
	s_or_b32 exec_lo, exec_lo, s1
	v_mul_u32_u24_e32 v29, 10, v0
	s_and_saveexec_b32 s0, vcc_lo
	s_cbranch_execz .LBB865_34
.LBB865_33:
	v_add_co_u32 v6, s1, s31, v14
	v_add_co_ci_u32_e64 v7, null, s33, 0, s1
	s_waitcnt vmcnt(0) lgkmcnt(0)
	flat_load_short_d16_hi v5, v[6:7] offset:1152
.LBB865_34:
	s_or_b32 exec_lo, exec_lo, s0
	s_waitcnt vmcnt(0) lgkmcnt(0)
	ds_write_b16 v13, v1
	ds_write_b16_d16_hi v13, v1 offset:128
	ds_write_b16 v13, v2 offset:256
	ds_write_b16_d16_hi v13, v2 offset:384
	ds_write_b16 v13, v3 offset:512
	ds_write_b16_d16_hi v13, v3 offset:640
	ds_write_b16 v13, v4 offset:768
	ds_write_b16_d16_hi v13, v4 offset:896
	ds_write_b16 v13, v5 offset:1024
	ds_write_b16_d16_hi v13, v5 offset:1152
	v_cmp_gt_u32_e32 vcc_lo, s20, v29
	v_mov_b32_e32 v19, 0
	v_mov_b32_e32 v1, 0
	;; [unrolled: 1-line block ×17, first 2 shown]
	s_mov_b32 s2, 0
	s_mov_b32 s1, 0
	s_waitcnt lgkmcnt(0)
	s_barrier
	buffer_gl0_inv
                                        ; implicit-def: $sgpr4
                                        ; implicit-def: $vgpr8
	s_and_saveexec_b32 s3, vcc_lo
	s_cbranch_execz .LBB865_54
; %bb.35:
	ds_read_u16 v2, v22
	v_mov_b32_e32 v1, 0
	v_or_b32_e32 v3, 1, v29
	v_mov_b32_e32 v28, 0
	v_mov_b32_e32 v27, 0
	;; [unrolled: 1-line block ×3, first 2 shown]
	v_cmp_eq_u16_sdwa vcc_lo, v11, v1 src0_sel:WORD_1 src1_sel:DWORD
	v_mov_b32_e32 v25, 0
	v_mov_b32_e32 v7, 0
	;; [unrolled: 1-line block ×10, first 2 shown]
	v_cndmask_b32_e64 v19, 0x10000, 0, vcc_lo
	v_mov_b32_e32 v13, 0
	s_mov_b32 s5, 0
	s_waitcnt lgkmcnt(0)
	v_cndmask_b32_e32 v11, s30, v2, vcc_lo
	s_mov_b32 s1, exec_lo
                                        ; implicit-def: $sgpr4
                                        ; implicit-def: $vgpr8
	v_cmpx_gt_u32_e64 s20, v3
	s_cbranch_execz .LBB865_53
; %bb.36:
	ds_read_b128 v[1:4], v22 offset:2
	v_cmp_eq_u16_e32 vcc_lo, 0, v12
	v_add_nc_u32_e32 v8, 2, v29
	v_mov_b32_e32 v28, 0
	v_mov_b32_e32 v27, 0
	;; [unrolled: 1-line block ×12, first 2 shown]
	v_cmp_gt_u32_e64 s0, s20, v8
	v_cndmask_b32_e64 v21, 0x10000, 0, vcc_lo
	v_mov_b32_e32 v13, 0
	s_mov_b32 s7, 0
                                        ; implicit-def: $sgpr4
                                        ; implicit-def: $vgpr8
	s_waitcnt lgkmcnt(0)
	v_cndmask_b32_e32 v20, s30, v1, vcc_lo
	s_and_saveexec_b32 s5, s0
	s_cbranch_execz .LBB865_52
; %bb.37:
	v_mov_b32_e32 v27, 0
	v_add_nc_u32_e32 v5, 3, v29
	v_mov_b32_e32 v26, 0
	v_mov_b32_e32 v25, 0
	;; [unrolled: 1-line block ×3, first 2 shown]
	v_cmp_eq_u16_sdwa vcc_lo, v12, v27 src0_sel:WORD_1 src1_sel:DWORD
	v_cmp_gt_u32_e64 s0, s20, v5
	v_mov_b32_e32 v6, 0
	v_mov_b32_e32 v5, 0
	;; [unrolled: 1-line block ×3, first 2 shown]
	v_cndmask_b32_e64 v12, 0x10000, 0, vcc_lo
	v_cndmask_b32_sdwa v1, s30, v1, vcc_lo dst_sel:DWORD dst_unused:UNUSED_PAD src0_sel:DWORD src1_sel:WORD_1
	v_mov_b32_e32 v16, 0
	v_mov_b32_e32 v15, 0
	;; [unrolled: 1-line block ×4, first 2 shown]
	s_mov_b32 s8, 0
                                        ; implicit-def: $sgpr4
                                        ; implicit-def: $vgpr8
	s_and_saveexec_b32 s7, s0
	s_cbranch_execz .LBB865_51
; %bb.38:
	v_cmp_eq_u16_e32 vcc_lo, 0, v9
	v_add_nc_u32_e32 v5, 4, v29
	v_mov_b32_e32 v26, 0
	v_mov_b32_e32 v25, 0
	;; [unrolled: 1-line block ×3, first 2 shown]
	v_cndmask_b32_e32 v17, s30, v2, vcc_lo
	v_cndmask_b32_e64 v18, 0x10000, 0, vcc_lo
	v_cmp_gt_u32_e32 vcc_lo, s20, v5
	v_mov_b32_e32 v6, 0
	v_mov_b32_e32 v5, 0
	;; [unrolled: 1-line block ×6, first 2 shown]
	s_mov_b32 s0, 0
                                        ; implicit-def: $sgpr4
                                        ; implicit-def: $vgpr8
	s_and_saveexec_b32 s8, vcc_lo
	s_cbranch_execz .LBB865_50
; %bb.39:
	v_mov_b32_e32 v25, 0
	v_add_nc_u32_e32 v8, 5, v29
	v_mov_b32_e32 v7, 0
	v_mov_b32_e32 v6, 0
	;; [unrolled: 1-line block ×3, first 2 shown]
	v_cmp_eq_u16_sdwa vcc_lo, v9, v25 src0_sel:WORD_1 src1_sel:DWORD
	v_mov_b32_e32 v15, 0
	v_mov_b32_e32 v14, 0
	v_cmp_gt_u32_e64 s0, s20, v8
	v_mov_b32_e32 v13, 0
	v_cndmask_b32_e64 v9, 0x10000, 0, vcc_lo
	v_cndmask_b32_sdwa v2, s30, v2, vcc_lo dst_sel:DWORD dst_unused:UNUSED_PAD src0_sel:DWORD src1_sel:WORD_1
	s_mov_b32 s10, 0
                                        ; implicit-def: $sgpr4
                                        ; implicit-def: $vgpr8
	s_and_saveexec_b32 s9, s0
	s_cbranch_execz .LBB865_49
; %bb.40:
	v_cmp_eq_u16_e32 vcc_lo, 0, v10
	v_add_nc_u32_e32 v5, 6, v29
	v_mov_b32_e32 v7, 0
	v_mov_b32_e32 v6, 0
	;; [unrolled: 1-line block ×3, first 2 shown]
	v_cndmask_b32_e32 v15, s30, v3, vcc_lo
	v_cndmask_b32_e64 v16, 0x10000, 0, vcc_lo
	v_cmp_gt_u32_e32 vcc_lo, s20, v5
	v_mov_b32_e32 v5, 0
	v_mov_b32_e32 v13, 0
	s_mov_b32 s0, 0
                                        ; implicit-def: $sgpr4
                                        ; implicit-def: $vgpr8
	s_and_saveexec_b32 s10, vcc_lo
	s_cbranch_execz .LBB865_48
; %bb.41:
	v_mov_b32_e32 v6, 0
	v_add_nc_u32_e32 v8, 7, v29
	v_mov_b32_e32 v5, 0
	v_mov_b32_e32 v13, 0
	s_mov_b32 s34, 0
	v_cmp_eq_u16_sdwa vcc_lo, v10, v6 src0_sel:WORD_1 src1_sel:DWORD
	v_cmp_gt_u32_e64 s0, s20, v8
                                        ; implicit-def: $sgpr4
                                        ; implicit-def: $vgpr8
	v_cndmask_b32_e64 v7, 0x10000, 0, vcc_lo
	v_cndmask_b32_sdwa v3, s30, v3, vcc_lo dst_sel:DWORD dst_unused:UNUSED_PAD src0_sel:DWORD src1_sel:WORD_1
	s_and_saveexec_b32 s21, s0
	s_cbranch_execz .LBB865_47
; %bb.42:
	v_cmp_eq_u16_e32 vcc_lo, 0, v24
	v_add_nc_u32_e32 v8, 8, v29
	v_mov_b32_e32 v5, 0
                                        ; implicit-def: $sgpr4
	v_cndmask_b32_e32 v6, s30, v4, vcc_lo
	v_cndmask_b32_e64 v10, 0x10000, 0, vcc_lo
	v_cmp_gt_u32_e32 vcc_lo, s20, v8
                                        ; implicit-def: $vgpr8
	s_and_saveexec_b32 s0, vcc_lo
	s_cbranch_execz .LBB865_46
; %bb.43:
	v_mov_b32_e32 v5, 0
	v_add_nc_u32_e32 v8, 9, v29
                                        ; implicit-def: $sgpr4
	v_cmp_eq_u16_sdwa vcc_lo, v24, v5 src0_sel:WORD_1 src1_sel:DWORD
	v_cndmask_b32_e64 v5, 0x10000, 0, vcc_lo
	v_cndmask_b32_sdwa v4, s30, v4, vcc_lo dst_sel:DWORD dst_unused:UNUSED_PAD src0_sel:DWORD src1_sel:WORD_1
	v_cmp_gt_u32_e32 vcc_lo, s20, v8
	s_mov_b32 s20, 0
                                        ; implicit-def: $vgpr8
	s_and_saveexec_b32 s34, vcc_lo
	s_xor_b32 s34, exec_lo, s34
	s_cbranch_execz .LBB865_45
; %bb.44:
	ds_read_u16 v8, v22 offset:18
	v_cmp_ne_u16_e64 s4, 0, v23
	s_mov_b32 s20, exec_lo
	s_waitcnt lgkmcnt(0)
	v_cndmask_b32_e64 v8, v8, s30, s4
.LBB865_45:
	s_or_b32 exec_lo, exec_lo, s34
	v_or_b32_sdwa v5, v5, v4 dst_sel:DWORD dst_unused:UNUSED_PAD src0_sel:DWORD src1_sel:WORD_0
	s_and_b32 s34, s20, exec_lo
.LBB865_46:
	s_or_b32 exec_lo, exec_lo, s0
	v_or_b32_sdwa v6, v10, v6 dst_sel:DWORD dst_unused:UNUSED_PAD src0_sel:DWORD src1_sel:WORD_0
	v_mov_b32_e32 v13, v5
	s_and_b32 s34, s34, exec_lo
.LBB865_47:
	s_or_b32 exec_lo, exec_lo, s21
	v_or_b32_sdwa v7, v7, v3 dst_sel:DWORD dst_unused:UNUSED_PAD src0_sel:DWORD src1_sel:WORD_0
	v_mov_b32_e32 v14, v6
	s_and_b32 s0, s34, exec_lo
.LBB865_48:
	s_or_b32 exec_lo, exec_lo, s10
	v_or_b32_sdwa v25, v16, v15 dst_sel:DWORD dst_unused:UNUSED_PAD src0_sel:DWORD src1_sel:WORD_0
	v_mov_b32_e32 v15, v7
	s_and_b32 s10, s0, exec_lo
.LBB865_49:
	s_or_b32 exec_lo, exec_lo, s9
	v_or_b32_sdwa v26, v9, v2 dst_sel:DWORD dst_unused:UNUSED_PAD src0_sel:DWORD src1_sel:WORD_0
	v_mov_b32_e32 v16, v25
	s_and_b32 s0, s10, exec_lo
.LBB865_50:
	s_or_b32 exec_lo, exec_lo, s8
	v_or_b32_sdwa v27, v18, v17 dst_sel:DWORD dst_unused:UNUSED_PAD src0_sel:DWORD src1_sel:WORD_0
	v_mov_b32_e32 v17, v26
	s_and_b32 s8, s0, exec_lo
.LBB865_51:
	s_or_b32 exec_lo, exec_lo, s7
	v_or_b32_sdwa v28, v12, v1 dst_sel:DWORD dst_unused:UNUSED_PAD src0_sel:DWORD src1_sel:WORD_0
	v_mov_b32_e32 v18, v27
	s_and_b32 s7, s8, exec_lo
.LBB865_52:
	s_or_b32 exec_lo, exec_lo, s5
	v_or_b32_sdwa v1, v21, v20 dst_sel:DWORD dst_unused:UNUSED_PAD src0_sel:DWORD src1_sel:WORD_0
	v_mov_b32_e32 v20, v28
	s_and_b32 s5, s7, exec_lo
.LBB865_53:
	s_or_b32 exec_lo, exec_lo, s1
	v_or_b32_sdwa v19, v19, v11 dst_sel:DWORD dst_unused:UNUSED_PAD src0_sel:DWORD src1_sel:WORD_0
	v_mov_b32_e32 v21, v1
	s_and_b32 s1, s5, exec_lo
.LBB865_54:
	s_or_b32 exec_lo, exec_lo, s3
	v_lshlrev_b32_e32 v9, 1, v0
	s_and_b32 vcc_lo, exec_lo, s2
	s_cbranch_vccnz .LBB865_56
	s_branch .LBB865_59
.LBB865_55:
                                        ; implicit-def: $sgpr4
                                        ; implicit-def: $vgpr8
                                        ; implicit-def: $vgpr19
                                        ; implicit-def: $vgpr1
                                        ; implicit-def: $vgpr28
                                        ; implicit-def: $vgpr27
                                        ; implicit-def: $vgpr26
                                        ; implicit-def: $vgpr25
                                        ; implicit-def: $vgpr7
                                        ; implicit-def: $vgpr6
                                        ; implicit-def: $vgpr5
                                        ; implicit-def: $vgpr21
                                        ; implicit-def: $vgpr20
                                        ; implicit-def: $vgpr18
                                        ; implicit-def: $vgpr17
                                        ; implicit-def: $vgpr16
                                        ; implicit-def: $vgpr15
                                        ; implicit-def: $vgpr14
                                        ; implicit-def: $vgpr13
	v_lshlrev_b32_e32 v9, 1, v0
	s_cbranch_execz .LBB865_59
.LBB865_56:
	v_add_co_u32 v1, s0, s28, v9
	v_add_co_ci_u32_e64 v2, null, s29, 0, s0
	s_mov_b32 s0, exec_lo
	s_clause 0x9
	flat_load_ushort v3, v[1:2]
	flat_load_ushort v4, v[1:2] offset:128
	flat_load_ushort v5, v[1:2] offset:256
	;; [unrolled: 1-line block ×9, first 2 shown]
	v_mov_b32_e32 v1, s28
	v_mov_b32_e32 v2, s29
	s_waitcnt vmcnt(9) lgkmcnt(9)
	ds_write_b16 v9, v3
	s_waitcnt vmcnt(8) lgkmcnt(9)
	ds_write_b16 v9, v4 offset:128
	s_waitcnt vmcnt(7) lgkmcnt(9)
	ds_write_b16 v9, v5 offset:256
	;; [unrolled: 2-line block ×9, first 2 shown]
	s_waitcnt lgkmcnt(0)
	s_barrier
	buffer_gl0_inv
	flat_load_ushort v6, v[1:2] offset:1280
	v_mad_u32_u24 v7, v0, 18, v9
	ds_read2_b32 v[3:4], v7 offset1:1
	ds_read2_b32 v[1:2], v7 offset0:2 offset1:3
	ds_read_b32 v5, v7 offset:16
	v_mad_i32_i24 v8, 0xffffffee, v0, v7
	s_waitcnt lgkmcnt(2)
	ds_write_b16 v8, v3 offset:1408
	s_waitcnt vmcnt(0) lgkmcnt(0)
	s_barrier
	buffer_gl0_inv
	v_cmpx_ne_u32_e32 63, v0
; %bb.57:
	v_mul_i32_i24_e32 v6, 0xffffffee, v0
	v_add_nc_u32_e32 v6, v7, v6
	ds_read_u16 v6, v6 offset:1410
; %bb.58:
	s_or_b32 exec_lo, exec_lo, s0
	v_add_co_u32 v10, s0, s31, v9
	v_add_co_ci_u32_e64 v11, null, s33, 0, s0
	s_waitcnt lgkmcnt(0)
	s_barrier
	buffer_gl0_inv
	s_clause 0x9
	flat_load_ushort v8, v[10:11]
	flat_load_ushort v12, v[10:11] offset:128
	flat_load_ushort v13, v[10:11] offset:256
	;; [unrolled: 1-line block ×9, first 2 shown]
	v_cmp_eq_u16_e64 s4, 0, v4
	v_cmp_eq_u16_e64 s5, 0, v1
	;; [unrolled: 1-line block ×4, first 2 shown]
	s_waitcnt vmcnt(9) lgkmcnt(9)
	ds_write_b16 v9, v8
	s_waitcnt vmcnt(8) lgkmcnt(9)
	ds_write_b16 v9, v12 offset:128
	s_waitcnt vmcnt(7) lgkmcnt(9)
	ds_write_b16 v9, v13 offset:256
	;; [unrolled: 2-line block ×9, first 2 shown]
	s_waitcnt lgkmcnt(0)
	s_barrier
	buffer_gl0_inv
	ds_read2_b32 v[10:11], v7 offset1:1
	ds_read2_b32 v[12:13], v7 offset0:2 offset1:3
	ds_read_b32 v7, v7 offset:16
	v_mov_b32_e32 v8, 0
	v_cmp_eq_u16_sdwa vcc_lo, v3, v8 src0_sel:WORD_1 src1_sel:DWORD
	v_cmp_eq_u16_sdwa s0, v4, v8 src0_sel:WORD_1 src1_sel:DWORD
	v_cmp_eq_u16_sdwa s1, v1, v8 src0_sel:WORD_1 src1_sel:DWORD
	;; [unrolled: 1-line block ×4, first 2 shown]
	v_cndmask_b32_e64 v14, 0x10000, 0, s0
	v_cndmask_b32_e64 v15, 0x10000, 0, s1
	;; [unrolled: 1-line block ×4, first 2 shown]
	s_waitcnt lgkmcnt(2)
	v_lshrrev_b32_e32 v3, 16, v10
	v_lshrrev_b32_e32 v4, 16, v11
	s_waitcnt lgkmcnt(1)
	v_lshrrev_b32_e32 v1, 16, v12
	v_lshrrev_b32_e32 v2, 16, v13
	v_cndmask_b32_e32 v5, s30, v10, vcc_lo
	v_cndmask_b32_e64 v10, 0x10000, 0, vcc_lo
	v_cndmask_b32_e64 v11, s30, v11, s0
	v_cndmask_b32_e64 v12, s30, v12, s1
	;; [unrolled: 1-line block ×3, first 2 shown]
	s_waitcnt lgkmcnt(0)
	v_lshrrev_b32_e32 v8, 16, v7
	v_cndmask_b32_e64 v17, s30, v7, s3
	v_or_b32_sdwa v19, v10, v5 dst_sel:DWORD dst_unused:UNUSED_PAD src0_sel:DWORD src1_sel:WORD_0
	v_cndmask_b32_e64 v3, s30, v3, s4
	v_cndmask_b32_e64 v10, 0x10000, 0, s4
	v_or_b32_sdwa v28, v14, v11 dst_sel:DWORD dst_unused:UNUSED_PAD src0_sel:DWORD src1_sel:WORD_0
	v_cndmask_b32_e64 v4, s30, v4, s5
	;; [unrolled: 3-line block ×4, first 2 shown]
	v_cndmask_b32_e64 v13, 0x10000, 0, s8
	v_or_b32_sdwa v5, v18, v17 dst_sel:DWORD dst_unused:UNUSED_PAD src0_sel:DWORD src1_sel:WORD_0
	v_cmp_ne_u16_e64 s4, 0, v6
	v_or_b32_sdwa v1, v10, v3 dst_sel:DWORD dst_unused:UNUSED_PAD src0_sel:DWORD src1_sel:WORD_0
	v_or_b32_sdwa v27, v11, v4 dst_sel:DWORD dst_unused:UNUSED_PAD src0_sel:DWORD src1_sel:WORD_0
	;; [unrolled: 1-line block ×4, first 2 shown]
	v_cndmask_b32_e64 v8, v8, s30, s4
	v_mov_b32_e32 v20, v28
	v_mov_b32_e32 v17, v26
	;; [unrolled: 1-line block ×8, first 2 shown]
	s_mov_b32 s1, -1
.LBB865_59:
	v_mov_b32_e32 v10, 0
	s_and_saveexec_b32 s0, s1
	s_cbranch_execz .LBB865_61
; %bb.60:
	v_cndmask_b32_e64 v2, 0, 0x10000, s4
	v_mov_b32_e32 v13, v5
	v_mov_b32_e32 v14, v6
	v_mov_b32_e32 v15, v7
	v_mov_b32_e32 v16, v25
	v_or_b32_sdwa v10, v2, v8 dst_sel:DWORD dst_unused:UNUSED_PAD src0_sel:DWORD src1_sel:WORD_0
	v_mov_b32_e32 v17, v26
	v_mov_b32_e32 v18, v27
	;; [unrolled: 1-line block ×4, first 2 shown]
.LBB865_61:
	s_or_b32 exec_lo, exec_lo, s0
	v_or3_b32 v1, v14, v13, v15
	v_cmp_gt_u32_e64 s8, 0x10000, v21
	v_cmp_gt_u32_e64 s7, 0x10000, v20
	;; [unrolled: 1-line block ×8, first 2 shown]
	v_or3_b32 v22, v1, v16, v17
	v_cmp_gt_u32_e64 s9, 0x10000, v10
	v_lshrrev_b32_e32 v11, 16, v19
	v_lshrrev_b32_e32 v12, 3, v0
	s_cmp_lg_u32 s6, 0
	v_cmp_gt_u32_e32 vcc_lo, 32, v0
	s_barrier
	buffer_gl0_inv
	s_cbranch_scc0 .LBB865_111
; %bb.62:
	v_cndmask_b32_e64 v1, 0, v19, s8
	v_or3_b32 v2, v22, v18, v20
	v_and_b32_e32 v3, 4, v12
	v_add_nc_u16 v1, v1, v21
	v_or3_b32 v2, v2, v21, v10
	v_lshl_add_u32 v3, v0, 2, v3
	v_cndmask_b32_e64 v1, 0, v1, s7
	v_and_b32_e32 v2, 0xff0000, v2
	v_add_nc_u16 v1, v1, v20
	v_cndmask_b32_e64 v1, 0, v1, s5
	v_add_nc_u16 v1, v1, v18
	v_cndmask_b32_e64 v1, 0, v1, s4
	;; [unrolled: 2-line block ×7, first 2 shown]
	v_cmp_eq_u32_e64 s9, 0, v2
	v_add_nc_u16 v23, v1, v10
	v_cndmask_b32_e64 v24, 1, v11, s9
	ds_write_b8 v3, v24 offset:2
	ds_write_b16 v3, v23
	s_waitcnt lgkmcnt(0)
	s_barrier
	buffer_gl0_inv
	s_and_saveexec_b32 s10, vcc_lo
	s_cbranch_execz .LBB865_74
; %bb.63:
	v_lshrrev_b32_e32 v1, 2, v0
	v_lshlrev_b32_e32 v2, 3, v0
	s_mov_b32 s20, exec_lo
	v_and_b32_e32 v1, 12, v1
	v_add_nc_u32_e32 v1, v1, v2
	ds_read_u8 v3, v1 offset:6
	ds_read_b32 v2, v1
	ds_read_u16 v4, v1 offset:4
	s_waitcnt lgkmcnt(2)
	v_cmp_eq_u16_e64 s9, 0, v3
	v_and_b32_e32 v6, 1, v3
	s_waitcnt lgkmcnt(1)
	v_and_b32_e32 v3, 0x10000, v2
	v_cndmask_b32_e64 v5, 0, v2, s9
	v_cmp_eq_u32_e64 s9, 1, v6
	v_mbcnt_lo_u32_b32 v6, -1, 0
	s_waitcnt lgkmcnt(0)
	v_add_nc_u16 v5, v5, v4
	v_and_b32_e32 v4, 0xff000000, v2
	v_cndmask_b32_e64 v7, v3, 0x10000, s9
	v_and_b32_e32 v8, 0xffff, v5
	v_or_b32_e32 v25, v7, v4
	v_or3_b32 v26, v4, v8, v7
	v_and_b32_e32 v7, 15, v6
	v_lshrrev_b32_e32 v8, 16, v25
	v_mov_b32_dpp v27, v26 row_shr:1 row_mask:0xf bank_mask:0xf
	v_cmpx_ne_u32_e32 0, v7
	s_cbranch_execz .LBB865_65
; %bb.64:
	v_mov_b32_e32 v8, 0xff
	v_mov_b32_e32 v26, 1
	v_and_b32_sdwa v8, v25, v8 dst_sel:DWORD dst_unused:UNUSED_PAD src0_sel:WORD_1 src1_sel:DWORD
	v_and_b32_e32 v25, 0x10000, v25
	v_and_b32_sdwa v26, v27, v26 dst_sel:DWORD dst_unused:UNUSED_PAD src0_sel:WORD_1 src1_sel:DWORD
	v_cmp_eq_u16_e64 s9, 0, v8
	v_cndmask_b32_e64 v27, 0, v27, s9
	v_cmp_ne_u32_e64 s9, 0, v25
	v_add_nc_u16 v5, v27, v5
	v_cndmask_b32_e64 v8, v26, 1, s9
	v_and_b32_e32 v26, 0xffff, v5
	v_lshlrev_b32_e32 v25, 16, v8
	v_or3_b32 v26, v25, v26, v4
.LBB865_65:
	s_or_b32 exec_lo, exec_lo, s20
	v_lshrrev_b32_e32 v25, 16, v26
	v_mov_b32_dpp v27, v26 row_shr:2 row_mask:0xf bank_mask:0xf
	s_mov_b32 s20, exec_lo
	v_cmpx_lt_u32_e32 1, v7
	s_cbranch_execz .LBB865_67
; %bb.66:
	v_mov_b32_e32 v28, 0
	v_mov_b32_e32 v8, 1
	v_and_b32_e32 v26, 0x10000, v26
	v_cmp_eq_u16_sdwa s9, v25, v28 src0_sel:BYTE_0 src1_sel:DWORD
	v_and_b32_sdwa v8, v27, v8 dst_sel:DWORD dst_unused:UNUSED_PAD src0_sel:WORD_1 src1_sel:DWORD
	v_cndmask_b32_e64 v25, 0, v27, s9
	v_cmp_ne_u32_e64 s9, 0, v26
	v_add_nc_u16 v5, v25, v5
	v_cndmask_b32_e64 v8, v8, 1, s9
	v_and_b32_e32 v26, 0xffff, v5
	v_lshlrev_b32_e32 v25, 16, v8
	v_or3_b32 v26, v25, v26, v4
	v_mov_b32_e32 v25, v8
.LBB865_67:
	s_or_b32 exec_lo, exec_lo, s20
	v_mov_b32_dpp v27, v26 row_shr:4 row_mask:0xf bank_mask:0xf
	s_mov_b32 s20, exec_lo
	v_cmpx_lt_u32_e32 3, v7
	s_cbranch_execz .LBB865_69
; %bb.68:
	v_mov_b32_e32 v26, 0
	v_mov_b32_e32 v8, 1
	v_and_b32_e32 v28, 1, v25
	v_cmp_eq_u16_sdwa s9, v25, v26 src0_sel:BYTE_0 src1_sel:DWORD
	v_and_b32_sdwa v8, v27, v8 dst_sel:DWORD dst_unused:UNUSED_PAD src0_sel:WORD_1 src1_sel:DWORD
	v_cndmask_b32_e64 v25, 0, v27, s9
	v_cmp_eq_u32_e64 s9, 1, v28
	v_add_nc_u16 v5, v25, v5
	v_cndmask_b32_e64 v8, v8, 1, s9
	v_and_b32_e32 v26, 0xffff, v5
	v_lshlrev_b32_e32 v25, 16, v8
	v_or3_b32 v26, v25, v26, v4
	v_mov_b32_e32 v25, v8
.LBB865_69:
	s_or_b32 exec_lo, exec_lo, s20
	v_mov_b32_dpp v27, v26 row_shr:8 row_mask:0xf bank_mask:0xf
	s_mov_b32 s20, exec_lo
	v_cmpx_lt_u32_e32 7, v7
	s_cbranch_execz .LBB865_71
; %bb.70:
	v_mov_b32_e32 v8, 0
	v_mov_b32_e32 v7, 1
	v_and_b32_e32 v26, 1, v25
	v_cmp_eq_u16_sdwa s9, v25, v8 src0_sel:BYTE_0 src1_sel:DWORD
	v_and_b32_sdwa v7, v27, v7 dst_sel:DWORD dst_unused:UNUSED_PAD src0_sel:WORD_1 src1_sel:DWORD
	v_cndmask_b32_e64 v25, 0, v27, s9
	v_cmp_eq_u32_e64 s9, 1, v26
	v_add_nc_u16 v5, v25, v5
	v_cndmask_b32_e64 v8, v7, 1, s9
	v_and_b32_e32 v25, 0xffff, v5
	v_lshlrev_b32_e32 v7, 16, v8
	v_or3_b32 v26, v7, v25, v4
	v_mov_b32_e32 v25, v8
.LBB865_71:
	s_or_b32 exec_lo, exec_lo, s20
	ds_swizzle_b32 v7, v26 offset:swizzle(BROADCAST,32,15)
	v_and_b32_e32 v26, 16, v6
	s_mov_b32 s20, exec_lo
	v_cmpx_ne_u32_e32 0, v26
	s_cbranch_execz .LBB865_73
; %bb.72:
	v_mov_b32_e32 v8, 0
	v_mov_b32_e32 v26, 1
	v_cmp_eq_u16_sdwa s9, v25, v8 src0_sel:BYTE_0 src1_sel:DWORD
	v_and_b32_e32 v25, 1, v25
	s_waitcnt lgkmcnt(0)
	v_cndmask_b32_e64 v8, 0, v7, s9
	v_and_b32_sdwa v7, v7, v26 dst_sel:DWORD dst_unused:UNUSED_PAD src0_sel:WORD_1 src1_sel:DWORD
	v_cmp_eq_u32_e64 s9, 1, v25
	v_add_nc_u16 v5, v8, v5
	v_cndmask_b32_e64 v8, v7, 1, s9
.LBB865_73:
	s_or_b32 exec_lo, exec_lo, s20
	s_waitcnt lgkmcnt(0)
	v_and_b32_e32 v7, 0xff, v8
	v_add_nc_u32_e32 v8, -1, v6
	v_and_b32_e32 v5, 0xffff, v5
	; wave barrier
	v_lshlrev_b32_e32 v7, 16, v7
	v_cmp_gt_i32_e64 s9, 0, v8
	v_or3_b32 v4, v7, v5, v4
	v_cndmask_b32_e64 v6, v8, v6, s9
	v_lshlrev_b32_e32 v5, 2, v6
	v_mov_b32_e32 v6, 1
	ds_bpermute_b32 v4, v5, v4
	v_and_b32_e32 v5, 0xff0000, v2
	v_cmp_eq_u32_e64 s9, 0, v5
	s_waitcnt lgkmcnt(0)
	v_cndmask_b32_e64 v5, 0, v4, s9
	v_and_b32_sdwa v4, v4, v6 dst_sel:DWORD dst_unused:UNUSED_PAD src0_sel:WORD_1 src1_sel:DWORD
	v_cmp_eq_u32_e64 s9, 0, v3
	v_add_nc_u16 v2, v5, v2
	v_cndmask_b32_e64 v3, 1, v4, s9
	v_cmp_eq_u32_e64 s9, 0, v0
	v_cndmask_b32_e64 v2, v2, v23, s9
	v_cndmask_b32_e64 v3, v3, v24, s9
	ds_write_b16 v1, v2
	ds_write_b8 v1, v3 offset:2
	; wave barrier
	ds_read_u8 v4, v1 offset:6
	ds_read_u16 v5, v1 offset:4
	s_waitcnt lgkmcnt(1)
	v_cmp_eq_u16_e64 s9, 0, v4
	v_and_b32_e32 v4, 1, v4
	v_cndmask_b32_e64 v2, 0, v2, s9
	v_cmp_eq_u32_e64 s9, 1, v4
	s_waitcnt lgkmcnt(0)
	v_add_nc_u16 v2, v2, v5
	v_cndmask_b32_e64 v3, v3, 1, s9
	ds_write_b16 v1, v2 offset:4
	ds_write_b8 v1, v3 offset:6
.LBB865_74:
	s_or_b32 exec_lo, exec_lo, s10
	v_cmp_eq_u32_e64 s9, 0, v0
	s_mov_b32 s20, exec_lo
	s_waitcnt lgkmcnt(0)
	s_barrier
	buffer_gl0_inv
	v_cmpx_ne_u32_e32 0, v0
	s_cbranch_execz .LBB865_76
; %bb.75:
	v_add_nc_u32_e32 v1, -1, v0
	v_lshrrev_b32_e32 v2, 3, v1
	v_and_b32_e32 v2, 0x1ffffffc, v2
	v_lshl_add_u32 v1, v1, 2, v2
	ds_read_u16 v23, v1
	ds_read_u8 v24, v1 offset:2
.LBB865_76:
	s_or_b32 exec_lo, exec_lo, s20
	s_and_saveexec_b32 s28, vcc_lo
	s_cbranch_execz .LBB865_116
; %bb.77:
	v_mov_b32_e32 v6, 0
	v_mbcnt_lo_u32_b32 v25, -1, 0
	s_mov_b32 s21, 0
	ds_read_b32 v1, v6 offset:256
	v_cmp_eq_u32_e64 s10, 0, v25
	s_and_saveexec_b32 s29, s10
	s_cbranch_execz .LBB865_79
; %bb.78:
	s_add_i32 s20, s6, 32
	v_mov_b32_e32 v2, 1
	s_lshl_b64 s[20:21], s[20:21], 3
	s_add_u32 s20, s16, s20
	s_addc_u32 s21, s17, s21
	s_waitcnt lgkmcnt(0)
	global_store_dwordx2 v6, v[1:2], s[20:21]
.LBB865_79:
	s_or_b32 exec_lo, exec_lo, s29
	v_xad_u32 v2, v25, -1, s6
	v_add_nc_u32_e32 v5, 32, v2
	v_lshlrev_b64 v[3:4], 3, v[5:6]
	v_add_co_u32 v7, vcc_lo, s16, v3
	v_add_co_ci_u32_e64 v8, null, s17, v4, vcc_lo
	global_load_dwordx2 v[4:5], v[7:8], off glc dlc
	s_waitcnt vmcnt(0)
	v_cmp_eq_u16_sdwa s21, v5, v6 src0_sel:BYTE_0 src1_sel:DWORD
	s_and_saveexec_b32 s20, s21
	s_cbranch_execz .LBB865_83
; %bb.80:
	v_mov_b32_e32 v3, 0
	s_mov_b32 s21, 0
.LBB865_81:                             ; =>This Inner Loop Header: Depth=1
	global_load_dwordx2 v[4:5], v[7:8], off glc dlc
	s_waitcnt vmcnt(0)
	v_cmp_ne_u16_sdwa s29, v5, v3 src0_sel:BYTE_0 src1_sel:DWORD
	s_or_b32 s21, s29, s21
	s_andn2_b32 exec_lo, exec_lo, s21
	s_cbranch_execnz .LBB865_81
; %bb.82:
	s_or_b32 exec_lo, exec_lo, s21
.LBB865_83:
	s_or_b32 exec_lo, exec_lo, s20
	v_cmp_ne_u32_e32 vcc_lo, 31, v25
	v_and_b32_e32 v33, 0xffffff, v4
	v_mov_b32_e32 v6, 2
	v_lshlrev_b32_e64 v26, v25, -1
	v_bfe_u32 v7, v4, 16, 8
	v_add_co_ci_u32_e64 v3, null, 0, v25, vcc_lo
	v_cmp_eq_u16_sdwa s20, v5, v6 src0_sel:BYTE_0 src1_sel:DWORD
	v_lshrrev_b32_e32 v6, 16, v4
	v_lshlrev_b32_e32 v8, 2, v3
	v_and_or_b32 v3, s20, v26, 0x80000000
	s_mov_b32 s20, exec_lo
	ds_bpermute_b32 v27, v8, v33
	v_ffbl_b32_e32 v3, v3
	v_cmpx_lt_u32_e64 v25, v3
	s_cbranch_execz .LBB865_85
; %bb.84:
	v_and_b32_e32 v6, 0xff0000, v4
	v_mov_b32_e32 v7, 1
	v_and_b32_e32 v28, 0x10000, v6
	v_cmp_eq_u32_e32 vcc_lo, 0, v6
	s_waitcnt lgkmcnt(0)
	v_and_b32_sdwa v7, v27, v7 dst_sel:DWORD dst_unused:UNUSED_PAD src0_sel:WORD_1 src1_sel:DWORD
	v_cndmask_b32_e32 v27, 0, v27, vcc_lo
	v_cmp_ne_u32_e32 vcc_lo, 0, v28
	v_add_nc_u16 v4, v27, v4
	v_cndmask_b32_e64 v6, v7, 1, vcc_lo
	v_lshlrev_b32_e32 v7, 16, v6
	v_or_b32_sdwa v33, v7, v4 dst_sel:DWORD dst_unused:UNUSED_PAD src0_sel:DWORD src1_sel:WORD_0
	v_mov_b32_e32 v7, v6
.LBB865_85:
	s_or_b32 exec_lo, exec_lo, s20
	v_cmp_gt_u32_e32 vcc_lo, 30, v25
	v_add_nc_u32_e32 v28, 2, v25
	s_mov_b32 s20, exec_lo
	s_waitcnt lgkmcnt(0)
	v_cndmask_b32_e64 v27, 0, 2, vcc_lo
	v_add_lshl_u32 v27, v27, v25, 2
	ds_bpermute_b32 v29, v27, v33
	v_cmpx_le_u32_e64 v28, v3
	s_cbranch_execz .LBB865_87
; %bb.86:
	v_mov_b32_e32 v6, 1
	v_and_b32_e32 v30, 1, v7
	v_cmp_eq_u16_e32 vcc_lo, 0, v7
	s_waitcnt lgkmcnt(0)
	v_and_b32_sdwa v6, v29, v6 dst_sel:DWORD dst_unused:UNUSED_PAD src0_sel:WORD_1 src1_sel:DWORD
	v_cndmask_b32_e32 v7, 0, v29, vcc_lo
	v_cmp_eq_u32_e32 vcc_lo, 1, v30
	v_add_nc_u16 v4, v7, v4
	v_cndmask_b32_e64 v6, v6, 1, vcc_lo
	v_lshlrev_b32_e32 v7, 16, v6
	v_or_b32_sdwa v33, v7, v4 dst_sel:DWORD dst_unused:UNUSED_PAD src0_sel:DWORD src1_sel:WORD_0
	v_mov_b32_e32 v7, v6
.LBB865_87:
	s_or_b32 exec_lo, exec_lo, s20
	v_cmp_gt_u32_e32 vcc_lo, 28, v25
	v_add_nc_u32_e32 v30, 4, v25
	s_mov_b32 s20, exec_lo
	s_waitcnt lgkmcnt(0)
	v_cndmask_b32_e64 v29, 0, 4, vcc_lo
	v_add_lshl_u32 v29, v29, v25, 2
	ds_bpermute_b32 v31, v29, v33
	v_cmpx_le_u32_e64 v30, v3
	s_cbranch_execz .LBB865_89
; %bb.88:
	v_mov_b32_e32 v6, 1
	v_and_b32_e32 v32, 1, v7
	v_cmp_eq_u16_e32 vcc_lo, 0, v7
	s_waitcnt lgkmcnt(0)
	v_and_b32_sdwa v6, v31, v6 dst_sel:DWORD dst_unused:UNUSED_PAD src0_sel:WORD_1 src1_sel:DWORD
	v_cndmask_b32_e32 v7, 0, v31, vcc_lo
	v_cmp_eq_u32_e32 vcc_lo, 1, v32
	v_add_nc_u16 v4, v7, v4
	v_cndmask_b32_e64 v6, v6, 1, vcc_lo
	v_lshlrev_b32_e32 v7, 16, v6
	v_or_b32_sdwa v33, v7, v4 dst_sel:DWORD dst_unused:UNUSED_PAD src0_sel:DWORD src1_sel:WORD_0
	v_mov_b32_e32 v7, v6
.LBB865_89:
	;; [unrolled: 24-line block ×3, first 2 shown]
	s_or_b32 exec_lo, exec_lo, s20
	v_lshl_or_b32 v35, v25, 2, 64
	v_add_nc_u32_e32 v36, 16, v25
	s_mov_b32 s20, exec_lo
	ds_bpermute_b32 v33, v35, v33
	v_cmpx_le_u32_e64 v36, v3
	s_cbranch_execz .LBB865_93
; %bb.92:
	v_mov_b32_e32 v3, 1
	v_cmp_eq_u16_e32 vcc_lo, 0, v7
	v_and_b32_e32 v7, 1, v7
	s_waitcnt lgkmcnt(0)
	v_and_b32_sdwa v3, v33, v3 dst_sel:DWORD dst_unused:UNUSED_PAD src0_sel:WORD_1 src1_sel:DWORD
	v_cndmask_b32_e32 v6, 0, v33, vcc_lo
	v_cmp_eq_u32_e32 vcc_lo, 1, v7
	v_add_nc_u16 v4, v6, v4
	v_cndmask_b32_e64 v6, v3, 1, vcc_lo
.LBB865_93:
	s_or_b32 exec_lo, exec_lo, s20
	v_mov_b32_e32 v3, 0
	v_mov_b32_e32 v37, 2
	;; [unrolled: 1-line block ×3, first 2 shown]
	s_branch .LBB865_96
.LBB865_94:                             ;   in Loop: Header=BB865_96 Depth=1
	s_or_b32 exec_lo, exec_lo, s20
	v_cmp_eq_u16_sdwa vcc_lo, v33, v3 src0_sel:BYTE_0 src1_sel:DWORD
	v_and_b32_e32 v6, 1, v33
	v_and_b32_e32 v7, 1, v7
	v_subrev_nc_u32_e32 v2, 32, v2
	s_mov_b32 s20, 0
	v_cndmask_b32_e32 v4, 0, v4, vcc_lo
	v_cmp_eq_u32_e32 vcc_lo, 1, v6
	v_add_nc_u16 v4, v4, v34
	v_cndmask_b32_e64 v6, v7, 1, vcc_lo
.LBB865_95:                             ;   in Loop: Header=BB865_96 Depth=1
	s_and_b32 vcc_lo, exec_lo, s20
	s_cbranch_vccnz .LBB865_112
.LBB865_96:                             ; =>This Loop Header: Depth=1
                                        ;     Child Loop BB865_99 Depth 2
	v_cmp_ne_u16_sdwa s20, v5, v37 src0_sel:BYTE_0 src1_sel:DWORD
	s_waitcnt lgkmcnt(0)
	v_mov_b32_e32 v33, v6
	v_mov_b32_e32 v34, v4
                                        ; implicit-def: $vgpr6
                                        ; implicit-def: $vgpr4
	s_cmp_lg_u32 s20, exec_lo
	s_mov_b32 s20, -1
	s_cbranch_scc1 .LBB865_95
; %bb.97:                               ;   in Loop: Header=BB865_96 Depth=1
	v_lshlrev_b64 v[4:5], 3, v[2:3]
	v_add_co_u32 v6, vcc_lo, s16, v4
	v_add_co_ci_u32_e64 v7, null, s17, v5, vcc_lo
	global_load_dwordx2 v[4:5], v[6:7], off glc dlc
	s_waitcnt vmcnt(0)
	v_cmp_eq_u16_sdwa s21, v5, v3 src0_sel:BYTE_0 src1_sel:DWORD
	s_and_saveexec_b32 s20, s21
	s_cbranch_execz .LBB865_101
; %bb.98:                               ;   in Loop: Header=BB865_96 Depth=1
	s_mov_b32 s21, 0
.LBB865_99:                             ;   Parent Loop BB865_96 Depth=1
                                        ; =>  This Inner Loop Header: Depth=2
	global_load_dwordx2 v[4:5], v[6:7], off glc dlc
	s_waitcnt vmcnt(0)
	v_cmp_ne_u16_sdwa s29, v5, v3 src0_sel:BYTE_0 src1_sel:DWORD
	s_or_b32 s21, s29, s21
	s_andn2_b32 exec_lo, exec_lo, s21
	s_cbranch_execnz .LBB865_99
; %bb.100:                              ;   in Loop: Header=BB865_96 Depth=1
	s_or_b32 exec_lo, exec_lo, s21
.LBB865_101:                            ;   in Loop: Header=BB865_96 Depth=1
	s_or_b32 exec_lo, exec_lo, s20
	v_and_b32_e32 v40, 0xffffff, v4
	v_cmp_eq_u16_sdwa s20, v5, v37 src0_sel:BYTE_0 src1_sel:DWORD
	v_lshrrev_b32_e32 v7, 16, v4
	v_bfe_u32 v39, v4, 16, 8
	ds_bpermute_b32 v41, v8, v40
	v_and_or_b32 v6, s20, v26, 0x80000000
	s_mov_b32 s20, exec_lo
	v_ffbl_b32_e32 v6, v6
	v_cmpx_lt_u32_e64 v25, v6
	s_cbranch_execz .LBB865_103
; %bb.102:                              ;   in Loop: Header=BB865_96 Depth=1
	v_and_b32_e32 v7, 0xff0000, v4
	s_waitcnt lgkmcnt(0)
	v_and_b32_sdwa v40, v41, v38 dst_sel:DWORD dst_unused:UNUSED_PAD src0_sel:WORD_1 src1_sel:DWORD
	v_and_b32_e32 v39, 0x10000, v7
	v_cmp_eq_u32_e32 vcc_lo, 0, v7
	v_cndmask_b32_e32 v41, 0, v41, vcc_lo
	v_cmp_ne_u32_e32 vcc_lo, 0, v39
	v_add_nc_u16 v4, v41, v4
	v_cndmask_b32_e64 v7, v40, 1, vcc_lo
	v_lshlrev_b32_e32 v39, 16, v7
	v_or_b32_sdwa v40, v39, v4 dst_sel:DWORD dst_unused:UNUSED_PAD src0_sel:DWORD src1_sel:WORD_0
	v_mov_b32_e32 v39, v7
.LBB865_103:                            ;   in Loop: Header=BB865_96 Depth=1
	s_or_b32 exec_lo, exec_lo, s20
	s_waitcnt lgkmcnt(0)
	ds_bpermute_b32 v41, v27, v40
	s_mov_b32 s20, exec_lo
	v_cmpx_le_u32_e64 v28, v6
	s_cbranch_execz .LBB865_105
; %bb.104:                              ;   in Loop: Header=BB865_96 Depth=1
	v_and_b32_e32 v7, 1, v39
	v_cmp_eq_u16_e32 vcc_lo, 0, v39
	s_waitcnt lgkmcnt(0)
	v_and_b32_sdwa v40, v41, v38 dst_sel:DWORD dst_unused:UNUSED_PAD src0_sel:WORD_1 src1_sel:DWORD
	v_cndmask_b32_e32 v39, 0, v41, vcc_lo
	v_cmp_eq_u32_e32 vcc_lo, 1, v7
	v_add_nc_u16 v4, v39, v4
	v_cndmask_b32_e64 v7, v40, 1, vcc_lo
	v_lshlrev_b32_e32 v39, 16, v7
	v_or_b32_sdwa v40, v39, v4 dst_sel:DWORD dst_unused:UNUSED_PAD src0_sel:DWORD src1_sel:WORD_0
	v_mov_b32_e32 v39, v7
.LBB865_105:                            ;   in Loop: Header=BB865_96 Depth=1
	s_or_b32 exec_lo, exec_lo, s20
	s_waitcnt lgkmcnt(0)
	ds_bpermute_b32 v41, v29, v40
	s_mov_b32 s20, exec_lo
	v_cmpx_le_u32_e64 v30, v6
	s_cbranch_execz .LBB865_107
; %bb.106:                              ;   in Loop: Header=BB865_96 Depth=1
	v_and_b32_e32 v7, 1, v39
	v_cmp_eq_u16_e32 vcc_lo, 0, v39
	s_waitcnt lgkmcnt(0)
	v_and_b32_sdwa v40, v41, v38 dst_sel:DWORD dst_unused:UNUSED_PAD src0_sel:WORD_1 src1_sel:DWORD
	v_cndmask_b32_e32 v39, 0, v41, vcc_lo
	v_cmp_eq_u32_e32 vcc_lo, 1, v7
	v_add_nc_u16 v4, v39, v4
	v_cndmask_b32_e64 v7, v40, 1, vcc_lo
	v_lshlrev_b32_e32 v39, 16, v7
	v_or_b32_sdwa v40, v39, v4 dst_sel:DWORD dst_unused:UNUSED_PAD src0_sel:DWORD src1_sel:WORD_0
	v_mov_b32_e32 v39, v7
.LBB865_107:                            ;   in Loop: Header=BB865_96 Depth=1
	;; [unrolled: 19-line block ×3, first 2 shown]
	s_or_b32 exec_lo, exec_lo, s20
	ds_bpermute_b32 v40, v35, v40
	s_mov_b32 s20, exec_lo
	v_cmpx_le_u32_e64 v36, v6
	s_cbranch_execz .LBB865_94
; %bb.110:                              ;   in Loop: Header=BB865_96 Depth=1
	v_cmp_eq_u16_e32 vcc_lo, 0, v39
	v_and_b32_e32 v7, 1, v39
	s_waitcnt lgkmcnt(0)
	v_lshrrev_b32_e32 v39, 16, v40
	v_cndmask_b32_e32 v6, 0, v40, vcc_lo
	v_cmp_eq_u32_e32 vcc_lo, 1, v7
	v_add_nc_u16 v4, v6, v4
	v_cndmask_b32_e64 v7, v39, 1, vcc_lo
	s_branch .LBB865_94
.LBB865_111:
                                        ; implicit-def: $vgpr3
                                        ; implicit-def: $vgpr4
                                        ; implicit-def: $vgpr5
                                        ; implicit-def: $vgpr6
                                        ; implicit-def: $vgpr7
                                        ; implicit-def: $vgpr8
                                        ; implicit-def: $vgpr23
                                        ; implicit-def: $vgpr25
                                        ; implicit-def: $vgpr24
                                        ; implicit-def: $vgpr26
	s_cbranch_execnz .LBB865_117
	s_branch .LBB865_136
.LBB865_112:
	s_and_saveexec_b32 s20, s10
	s_cbranch_execz .LBB865_114
; %bb.113:
	v_and_b32_e32 v2, 0xff0000, v1
	v_mov_b32_e32 v3, 1
	v_and_b32_e32 v4, 0x10000, v1
	s_mov_b32 s35, 0
	s_add_i32 s34, s6, 32
	v_cmp_eq_u32_e32 vcc_lo, 0, v2
	v_and_b32_sdwa v3, v33, v3 dst_sel:WORD_1 dst_unused:UNUSED_PAD src0_sel:DWORD src1_sel:DWORD
	s_lshl_b64 s[34:35], s[34:35], 3
	s_add_u32 s34, s16, s34
	v_cndmask_b32_e32 v2, 0, v34, vcc_lo
	v_cmp_eq_u32_e32 vcc_lo, 0, v4
	s_addc_u32 s35, s17, s35
	v_add_nc_u16 v1, v2, v1
	v_cndmask_b32_e32 v2, 0x10000, v3, vcc_lo
	v_mov_b32_e32 v3, 0
	v_or_b32_sdwa v1, v2, v1 dst_sel:DWORD dst_unused:UNUSED_PAD src0_sel:DWORD src1_sel:WORD_0
	v_mov_b32_e32 v2, 2
	global_store_dwordx2 v3, v[1:2], s[34:35]
.LBB865_114:
	s_or_b32 exec_lo, exec_lo, s20
	s_and_b32 exec_lo, exec_lo, s9
	s_cbranch_execz .LBB865_116
; %bb.115:
	v_mov_b32_e32 v1, 0
	ds_write_b16 v1, v34
	ds_write_b8 v1, v33 offset:2
.LBB865_116:
	s_or_b32 exec_lo, exec_lo, s28
	v_mov_b32_e32 v1, 0
	s_waitcnt lgkmcnt(0)
	s_waitcnt_vscnt null, 0x0
	s_barrier
	buffer_gl0_inv
	v_and_b32_e32 v4, 0xff0000, v19
	ds_read_b32 v2, v1
	v_cmp_eq_u16_sdwa vcc_lo, v24, v1 src0_sel:BYTE_0 src1_sel:DWORD
	s_waitcnt lgkmcnt(0)
	v_cndmask_b32_e32 v1, 0, v2, vcc_lo
	v_cmp_eq_u32_e32 vcc_lo, 0, v4
	v_add_nc_u16 v1, v1, v23
	v_cndmask_b32_e64 v3, v1, v2, s9
	v_cndmask_b32_e32 v1, 0, v3, vcc_lo
	v_add_nc_u16 v4, v1, v19
	v_cndmask_b32_e64 v1, 0, v4, s8
	v_add_nc_u16 v5, v1, v21
	v_cndmask_b32_e64 v1, 0, v5, s7
	;; [unrolled: 2-line block ×8, first 2 shown]
	v_add_nc_u16 v26, v1, v13
	s_branch .LBB865_136
.LBB865_117:
	s_cmp_eq_u64 s[26:27], 0
	v_mov_b32_e32 v1, s30
	s_cselect_b32 s0, -1, 0
	s_cmp_eq_u64 s[22:23], 0
	s_cselect_b32 s1, -1, 0
	s_or_b32 s0, s0, s1
	s_and_b32 vcc_lo, exec_lo, s0
	s_cbranch_vccnz .LBB865_119
; %bb.118:
	v_mov_b32_e32 v1, 0
	global_load_ushort v1, v1, s[22:23]
.LBB865_119:
	v_cmp_gt_u32_e32 vcc_lo, 0x10000, v21
	v_cmp_gt_u32_e64 s0, 0x10000, v20
	v_cmp_gt_u32_e64 s1, 0x10000, v18
	;; [unrolled: 1-line block ×4, first 2 shown]
	v_cndmask_b32_e32 v2, 0, v19, vcc_lo
	v_cmp_gt_u32_e64 s4, 0x10000, v15
	v_cmp_gt_u32_e64 s5, 0x10000, v14
	v_or3_b32 v3, v22, v18, v20
	v_cmp_gt_u32_e64 s6, 0x10000, v13
	v_add_nc_u16 v2, v2, v21
	v_cmp_gt_u32_e64 s7, 0x10000, v10
	v_and_b32_e32 v4, 4, v12
	v_or3_b32 v3, v3, v21, v10
	s_mov_b32 s8, exec_lo
	v_cndmask_b32_e64 v2, 0, v2, s0
	v_lshl_add_u32 v4, v0, 2, v4
	v_and_b32_e32 v3, 0xff0000, v3
	v_add_nc_u16 v2, v2, v20
	v_cndmask_b32_e64 v2, 0, v2, s1
	v_add_nc_u16 v2, v2, v18
	v_cndmask_b32_e64 v2, 0, v2, s2
	;; [unrolled: 2-line block ×7, first 2 shown]
	v_cmp_eq_u32_e64 s7, 0, v3
	v_add_nc_u16 v3, v5, v10
	v_cndmask_b32_e64 v2, 1, v11, s7
	ds_write_b8 v4, v2 offset:2
	ds_write_b16 v4, v3
	s_waitcnt vmcnt(0) lgkmcnt(0)
	s_barrier
	buffer_gl0_inv
	v_cmpx_gt_u32_e32 32, v0
	s_cbranch_execz .LBB865_131
; %bb.120:
	v_lshrrev_b32_e32 v4, 2, v0
	v_lshlrev_b32_e32 v5, 3, v0
	s_mov_b32 s9, exec_lo
	v_and_b32_e32 v4, 12, v4
	v_add_nc_u32_e32 v4, v4, v5
	ds_read_u8 v6, v4 offset:6
	ds_read_b32 v5, v4
	ds_read_u16 v7, v4 offset:4
	s_waitcnt lgkmcnt(2)
	v_cmp_eq_u16_e64 s7, 0, v6
	v_and_b32_e32 v10, 1, v6
	s_waitcnt lgkmcnt(1)
	v_and_b32_e32 v6, 0x10000, v5
	v_cndmask_b32_e64 v8, 0, v5, s7
	v_cmp_eq_u32_e64 s7, 1, v10
	v_mbcnt_lo_u32_b32 v10, -1, 0
	s_waitcnt lgkmcnt(0)
	v_add_nc_u16 v8, v8, v7
	v_and_b32_e32 v7, 0xff000000, v5
	v_cndmask_b32_e64 v11, v6, 0x10000, s7
	v_and_b32_e32 v12, 0xffff, v8
	v_or_b32_e32 v22, v11, v7
	v_or3_b32 v23, v7, v12, v11
	v_and_b32_e32 v11, 15, v10
	v_lshrrev_b32_e32 v12, 16, v22
	v_mov_b32_dpp v24, v23 row_shr:1 row_mask:0xf bank_mask:0xf
	v_cmpx_ne_u32_e32 0, v11
	s_cbranch_execz .LBB865_122
; %bb.121:
	v_mov_b32_e32 v12, 0xff
	v_mov_b32_e32 v23, 1
	v_and_b32_sdwa v12, v22, v12 dst_sel:DWORD dst_unused:UNUSED_PAD src0_sel:WORD_1 src1_sel:DWORD
	v_and_b32_e32 v22, 0x10000, v22
	v_and_b32_sdwa v23, v24, v23 dst_sel:DWORD dst_unused:UNUSED_PAD src0_sel:WORD_1 src1_sel:DWORD
	v_cmp_eq_u16_e64 s7, 0, v12
	v_cndmask_b32_e64 v24, 0, v24, s7
	v_cmp_ne_u32_e64 s7, 0, v22
	v_add_nc_u16 v8, v24, v8
	v_cndmask_b32_e64 v12, v23, 1, s7
	v_and_b32_e32 v23, 0xffff, v8
	v_lshlrev_b32_e32 v22, 16, v12
	v_or3_b32 v23, v22, v23, v7
.LBB865_122:
	s_or_b32 exec_lo, exec_lo, s9
	v_lshrrev_b32_e32 v22, 16, v23
	v_mov_b32_dpp v24, v23 row_shr:2 row_mask:0xf bank_mask:0xf
	s_mov_b32 s9, exec_lo
	v_cmpx_lt_u32_e32 1, v11
	s_cbranch_execz .LBB865_124
; %bb.123:
	v_mov_b32_e32 v25, 0
	v_mov_b32_e32 v12, 1
	v_and_b32_e32 v23, 0x10000, v23
	v_cmp_eq_u16_sdwa s7, v22, v25 src0_sel:BYTE_0 src1_sel:DWORD
	v_and_b32_sdwa v12, v24, v12 dst_sel:DWORD dst_unused:UNUSED_PAD src0_sel:WORD_1 src1_sel:DWORD
	v_cndmask_b32_e64 v22, 0, v24, s7
	v_cmp_ne_u32_e64 s7, 0, v23
	v_add_nc_u16 v8, v22, v8
	v_cndmask_b32_e64 v12, v12, 1, s7
	v_and_b32_e32 v23, 0xffff, v8
	v_lshlrev_b32_e32 v22, 16, v12
	v_or3_b32 v23, v22, v23, v7
	v_mov_b32_e32 v22, v12
.LBB865_124:
	s_or_b32 exec_lo, exec_lo, s9
	v_mov_b32_dpp v24, v23 row_shr:4 row_mask:0xf bank_mask:0xf
	s_mov_b32 s9, exec_lo
	v_cmpx_lt_u32_e32 3, v11
	s_cbranch_execz .LBB865_126
; %bb.125:
	v_mov_b32_e32 v23, 0
	v_mov_b32_e32 v12, 1
	v_and_b32_e32 v25, 1, v22
	v_cmp_eq_u16_sdwa s7, v22, v23 src0_sel:BYTE_0 src1_sel:DWORD
	v_and_b32_sdwa v12, v24, v12 dst_sel:DWORD dst_unused:UNUSED_PAD src0_sel:WORD_1 src1_sel:DWORD
	v_cndmask_b32_e64 v22, 0, v24, s7
	v_cmp_eq_u32_e64 s7, 1, v25
	v_add_nc_u16 v8, v22, v8
	v_cndmask_b32_e64 v12, v12, 1, s7
	v_and_b32_e32 v23, 0xffff, v8
	v_lshlrev_b32_e32 v22, 16, v12
	v_or3_b32 v23, v22, v23, v7
	v_mov_b32_e32 v22, v12
.LBB865_126:
	s_or_b32 exec_lo, exec_lo, s9
	v_mov_b32_dpp v24, v23 row_shr:8 row_mask:0xf bank_mask:0xf
	s_mov_b32 s9, exec_lo
	v_cmpx_lt_u32_e32 7, v11
	s_cbranch_execz .LBB865_128
; %bb.127:
	v_mov_b32_e32 v12, 0
	v_mov_b32_e32 v11, 1
	v_and_b32_e32 v23, 1, v22
	v_cmp_eq_u16_sdwa s7, v22, v12 src0_sel:BYTE_0 src1_sel:DWORD
	v_and_b32_sdwa v11, v24, v11 dst_sel:DWORD dst_unused:UNUSED_PAD src0_sel:WORD_1 src1_sel:DWORD
	v_cndmask_b32_e64 v22, 0, v24, s7
	v_cmp_eq_u32_e64 s7, 1, v23
	v_add_nc_u16 v8, v22, v8
	v_cndmask_b32_e64 v12, v11, 1, s7
	v_and_b32_e32 v22, 0xffff, v8
	v_lshlrev_b32_e32 v11, 16, v12
	v_or3_b32 v23, v11, v22, v7
	v_mov_b32_e32 v22, v12
.LBB865_128:
	s_or_b32 exec_lo, exec_lo, s9
	ds_swizzle_b32 v11, v23 offset:swizzle(BROADCAST,32,15)
	v_and_b32_e32 v23, 16, v10
	s_mov_b32 s9, exec_lo
	v_cmpx_ne_u32_e32 0, v23
	s_cbranch_execz .LBB865_130
; %bb.129:
	v_mov_b32_e32 v12, 0
	v_mov_b32_e32 v23, 1
	v_cmp_eq_u16_sdwa s7, v22, v12 src0_sel:BYTE_0 src1_sel:DWORD
	v_and_b32_e32 v22, 1, v22
	s_waitcnt lgkmcnt(0)
	v_cndmask_b32_e64 v12, 0, v11, s7
	v_and_b32_sdwa v11, v11, v23 dst_sel:DWORD dst_unused:UNUSED_PAD src0_sel:WORD_1 src1_sel:DWORD
	v_cmp_eq_u32_e64 s7, 1, v22
	v_add_nc_u16 v8, v12, v8
	v_cndmask_b32_e64 v12, v11, 1, s7
.LBB865_130:
	s_or_b32 exec_lo, exec_lo, s9
	s_waitcnt lgkmcnt(0)
	v_and_b32_e32 v11, 0xff, v12
	v_add_nc_u32_e32 v12, -1, v10
	v_and_b32_e32 v8, 0xffff, v8
	; wave barrier
	v_lshlrev_b32_e32 v11, 16, v11
	v_cmp_gt_i32_e64 s7, 0, v12
	v_or3_b32 v7, v11, v8, v7
	v_cndmask_b32_e64 v10, v12, v10, s7
	v_lshlrev_b32_e32 v8, 2, v10
	v_mov_b32_e32 v10, 1
	ds_bpermute_b32 v7, v8, v7
	v_and_b32_e32 v8, 0xff0000, v5
	v_cmp_eq_u32_e64 s7, 0, v8
	s_waitcnt lgkmcnt(0)
	v_cndmask_b32_e64 v8, 0, v7, s7
	v_and_b32_sdwa v7, v7, v10 dst_sel:DWORD dst_unused:UNUSED_PAD src0_sel:WORD_1 src1_sel:DWORD
	v_cmp_eq_u32_e64 s7, 0, v6
	v_add_nc_u16 v5, v8, v5
	v_cndmask_b32_e64 v6, 1, v7, s7
	v_cmp_eq_u32_e64 s7, 0, v0
	v_cndmask_b32_e64 v3, v5, v3, s7
	v_cndmask_b32_e64 v2, v6, v2, s7
	ds_write_b16 v4, v3
	ds_write_b8 v4, v2 offset:2
	; wave barrier
	ds_read_u8 v5, v4 offset:6
	ds_read_u16 v6, v4 offset:4
	s_waitcnt lgkmcnt(1)
	v_cmp_eq_u16_e64 s7, 0, v5
	v_and_b32_e32 v5, 1, v5
	v_cndmask_b32_e64 v3, 0, v3, s7
	v_cmp_eq_u32_e64 s7, 1, v5
	s_waitcnt lgkmcnt(0)
	v_add_nc_u16 v3, v3, v6
	v_cndmask_b32_e64 v2, v2, 1, s7
	ds_write_b16 v4, v3 offset:4
	ds_write_b8 v4, v2 offset:6
.LBB865_131:
	s_or_b32 exec_lo, exec_lo, s8
	v_cmp_eq_u32_e64 s7, 0, v0
	v_mov_b32_e32 v3, v1
	s_mov_b32 s9, exec_lo
	s_waitcnt lgkmcnt(0)
	s_barrier
	buffer_gl0_inv
	v_cmpx_ne_u32_e32 0, v0
	s_cbranch_execz .LBB865_133
; %bb.132:
	v_add_nc_u32_e32 v2, -1, v0
	v_lshrrev_b32_e32 v3, 3, v2
	v_and_b32_e32 v3, 0x1ffffffc, v3
	v_lshl_add_u32 v2, v2, 2, v3
	ds_read_u8 v3, v2 offset:2
	ds_read_u16 v2, v2
	s_waitcnt lgkmcnt(1)
	v_cmp_eq_u16_e64 s8, 0, v3
	v_cndmask_b32_e64 v3, 0, v1, s8
	s_waitcnt lgkmcnt(0)
	v_add_nc_u16 v3, v3, v2
.LBB865_133:
	s_or_b32 exec_lo, exec_lo, s9
	v_and_b32_e32 v2, 0xff0000, v19
	v_cmp_eq_u32_e64 s8, 0, v2
	v_cndmask_b32_e64 v2, 0, v3, s8
	v_add_nc_u16 v4, v2, v19
	v_cndmask_b32_e32 v2, 0, v4, vcc_lo
	v_add_nc_u16 v5, v2, v21
	v_cndmask_b32_e64 v2, 0, v5, s0
	v_add_nc_u16 v6, v2, v20
	v_cndmask_b32_e64 v2, 0, v6, s1
	;; [unrolled: 2-line block ×7, first 2 shown]
	s_and_saveexec_b32 s0, s7
	s_cbranch_execz .LBB865_135
; %bb.134:
	v_mov_b32_e32 v12, 0
	ds_read_u8 v10, v12 offset:258
	ds_read_u16 v11, v12 offset:256
	s_waitcnt lgkmcnt(1)
	v_cmp_eq_u32_e32 vcc_lo, 0, v10
	v_lshlrev_b32_e32 v10, 16, v10
	v_cndmask_b32_e32 v1, 0, v1, vcc_lo
	s_waitcnt lgkmcnt(0)
	v_add_nc_u32_e32 v1, v1, v11
	v_mov_b32_e32 v11, 2
	v_or_b32_sdwa v10, v10, v1 dst_sel:DWORD dst_unused:UNUSED_PAD src0_sel:DWORD src1_sel:WORD_0
	global_store_dwordx2 v12, v[10:11], s[16:17] offset:256
.LBB865_135:
	s_or_b32 exec_lo, exec_lo, s0
	v_add_nc_u16 v26, v2, v13
.LBB865_136:
	s_add_u32 s0, s14, s24
	v_mov_b32_e32 v1, 0
	s_addc_u32 s1, s15, s25
	s_add_u32 s0, s0, s12
	s_addc_u32 s1, s1, s13
	s_and_b32 vcc_lo, exec_lo, s11
	s_cbranch_vccz .LBB865_176
; %bb.137:
	v_mul_u32_u24_e32 v2, 10, v0
	v_mov_b32_e32 v10, 0
	v_mov_b32_e32 v11, 0
	;; [unrolled: 1-line block ×4, first 2 shown]
	s_add_i32 s19, s19, s18
	s_mov_b32 s2, exec_lo
	v_cmpx_gt_u32_e64 s19, v2
	s_cbranch_execz .LBB865_157
; %bb.138:
	v_or_b32_e32 v13, 1, v2
	v_and_b32_e32 v1, 0xffff, v3
	v_mov_b32_e32 v10, 0
	v_mov_b32_e32 v11, 0
	;; [unrolled: 1-line block ×3, first 2 shown]
	v_cmp_gt_u32_e32 vcc_lo, s19, v13
	v_mov_b32_e32 v13, 0
	s_and_saveexec_b32 s3, vcc_lo
	s_cbranch_execz .LBB865_156
; %bb.139:
	v_perm_b32 v1, v4, v1, 0x5040100
	v_add_nc_u32_e32 v14, 2, v2
	v_mov_b32_e32 v13, 0
	v_mov_b32_e32 v12, 0
	;; [unrolled: 1-line block ×4, first 2 shown]
	s_mov_b32 s4, exec_lo
	v_cmpx_gt_u32_e64 s19, v14
	s_cbranch_execz .LBB865_155
; %bb.140:
	v_add_nc_u32_e32 v14, 3, v2
	v_bfi_b32 v10, 0xffff, v5, 0
	v_mov_b32_e32 v13, 0
	v_mov_b32_e32 v12, 0
	;; [unrolled: 1-line block ×3, first 2 shown]
	s_mov_b32 s5, exec_lo
	v_cmpx_gt_u32_e64 s19, v14
	s_cbranch_execz .LBB865_154
; %bb.141:
	v_add_nc_u32_e32 v14, 4, v2
	v_perm_b32 v10, v6, v10, 0x5040100
	v_mov_b32_e32 v13, 0
	v_mov_b32_e32 v12, 0
	;; [unrolled: 1-line block ×3, first 2 shown]
	s_mov_b32 s6, exec_lo
	v_cmpx_gt_u32_e64 s19, v14
	s_cbranch_execz .LBB865_153
; %bb.142:
	v_add_nc_u32_e32 v14, 5, v2
	v_bfi_b32 v11, 0xffff, v7, 0
	v_mov_b32_e32 v13, 0
	v_mov_b32_e32 v12, 0
	s_mov_b32 s7, exec_lo
	v_cmpx_gt_u32_e64 s19, v14
	s_cbranch_execz .LBB865_152
; %bb.143:
	v_add_nc_u32_e32 v14, 6, v2
	v_perm_b32 v11, v8, v11, 0x5040100
	v_mov_b32_e32 v13, 0
	v_mov_b32_e32 v12, 0
	s_mov_b32 s8, exec_lo
	v_cmpx_gt_u32_e64 s19, v14
	s_cbranch_execz .LBB865_151
; %bb.144:
	v_add_nc_u32_e32 v14, 7, v2
	v_bfi_b32 v12, 0xffff, v23, 0
	v_mov_b32_e32 v13, 0
	s_mov_b32 s9, exec_lo
	v_cmpx_gt_u32_e64 s19, v14
	s_cbranch_execz .LBB865_150
; %bb.145:
	v_add_nc_u32_e32 v14, 8, v2
	v_perm_b32 v12, v25, v12, 0x5040100
	v_mov_b32_e32 v13, 0
	s_mov_b32 s10, exec_lo
	v_cmpx_gt_u32_e64 s19, v14
	s_cbranch_execz .LBB865_149
; %bb.146:
	v_add_nc_u32_e32 v14, 9, v2
	v_bfi_b32 v13, 0xffff, v24, 0
	s_mov_b32 s11, exec_lo
	v_cmpx_gt_u32_e64 s19, v14
; %bb.147:
	v_perm_b32 v13, v26, v13, 0x5040100
; %bb.148:
	s_or_b32 exec_lo, exec_lo, s11
.LBB865_149:
	s_or_b32 exec_lo, exec_lo, s10
.LBB865_150:
	s_or_b32 exec_lo, exec_lo, s9
.LBB865_151:
	s_or_b32 exec_lo, exec_lo, s8
.LBB865_152:
	s_or_b32 exec_lo, exec_lo, s7
.LBB865_153:
	s_or_b32 exec_lo, exec_lo, s6
.LBB865_154:
	s_or_b32 exec_lo, exec_lo, s5
.LBB865_155:
	s_or_b32 exec_lo, exec_lo, s4
.LBB865_156:
	s_or_b32 exec_lo, exec_lo, s3
.LBB865_157:
	s_or_b32 exec_lo, exec_lo, s2
	v_lshlrev_b32_e32 v18, 1, v2
	s_waitcnt_vscnt null, 0x0
	s_barrier
	buffer_gl0_inv
	ds_write2_b32 v18, v1, v10 offset1:1
	ds_write2_b32 v18, v11, v12 offset0:2 offset1:3
	v_mad_i32_i24 v1, 0xffffffee, v0, v18
	ds_write_b32 v18, v13 offset:16
	s_waitcnt lgkmcnt(0)
	s_barrier
	buffer_gl0_inv
	ds_read_u16 v19, v1 offset:128
	ds_read_u16 v17, v1 offset:256
	;; [unrolled: 1-line block ×9, first 2 shown]
	v_add_co_u32 v1, s2, s0, v9
	v_add_co_ci_u32_e64 v2, null, s1, 0, s2
	s_mov_b32 s2, exec_lo
	v_cmpx_gt_u32_e64 s19, v0
	s_cbranch_execz .LBB865_159
; %bb.158:
	v_mul_i32_i24_e32 v20, 0xffffffee, v0
	v_add_nc_u32_e32 v18, v18, v20
	ds_read_u16 v18, v18
	s_waitcnt lgkmcnt(0)
	flat_store_short v[1:2], v18
.LBB865_159:
	s_or_b32 exec_lo, exec_lo, s2
	v_or_b32_e32 v18, 64, v0
	s_mov_b32 s2, exec_lo
	v_cmpx_gt_u32_e64 s19, v18
	s_cbranch_execz .LBB865_161
; %bb.160:
	s_waitcnt lgkmcnt(8)
	flat_store_short v[1:2], v19 offset:128
.LBB865_161:
	s_or_b32 exec_lo, exec_lo, s2
	v_or_b32_e32 v18, 0x80, v0
	s_mov_b32 s2, exec_lo
	v_cmpx_gt_u32_e64 s19, v18
	s_cbranch_execz .LBB865_163
; %bb.162:
	s_waitcnt lgkmcnt(7)
	flat_store_short v[1:2], v17 offset:256
.LBB865_163:
	s_or_b32 exec_lo, exec_lo, s2
	s_waitcnt lgkmcnt(7)
	v_or_b32_e32 v17, 0xc0, v0
	s_mov_b32 s2, exec_lo
	v_cmpx_gt_u32_e64 s19, v17
	s_cbranch_execz .LBB865_165
; %bb.164:
	s_waitcnt lgkmcnt(6)
	flat_store_short v[1:2], v16 offset:384
.LBB865_165:
	s_or_b32 exec_lo, exec_lo, s2
	s_waitcnt lgkmcnt(6)
	;; [unrolled: 10-line block ×6, first 2 shown]
	v_or_b32_e32 v12, 0x200, v0
	s_mov_b32 s2, exec_lo
	v_cmpx_gt_u32_e64 s19, v12
	s_cbranch_execz .LBB865_175
; %bb.174:
	s_waitcnt lgkmcnt(1)
	flat_store_short v[1:2], v11 offset:1024
.LBB865_175:
	s_or_b32 exec_lo, exec_lo, s2
	v_or_b32_e32 v1, 0x240, v0
	v_cmp_gt_u32_e64 s2, s19, v1
	s_branch .LBB865_178
.LBB865_176:
	s_mov_b32 s2, 0
                                        ; implicit-def: $vgpr10
	s_cbranch_execz .LBB865_178
; %bb.177:
	v_mul_u32_u24_e32 v1, 20, v0
	v_perm_b32 v2, v6, v5, 0x5040100
	v_perm_b32 v3, v4, v3, 0x5040100
	v_mul_i32_i24_e32 v6, 0xffffffee, v0
	v_perm_b32 v4, v25, v23, 0x5040100
	v_perm_b32 v5, v8, v7, 0x5040100
	s_waitcnt lgkmcnt(0)
	s_waitcnt_vscnt null, 0x0
	s_barrier
	v_perm_b32 v7, v26, v24, 0x5040100
	buffer_gl0_inv
	ds_write2_b32 v1, v3, v2 offset1:1
	ds_write2_b32 v1, v5, v4 offset0:2 offset1:3
	v_mad_u32_u24 v2, v0, 20, v6
	s_or_b32 s2, s2, exec_lo
	ds_write_b32 v1, v7 offset:16
	s_waitcnt lgkmcnt(0)
	s_barrier
	buffer_gl0_inv
	ds_read_u16 v3, v2
	ds_read_u16 v4, v2 offset:128
	ds_read_u16 v5, v2 offset:256
	;; [unrolled: 1-line block ×9, first 2 shown]
	v_add_co_u32 v1, s3, s0, v9
	v_add_co_ci_u32_e64 v2, null, s1, 0, s3
	s_waitcnt lgkmcnt(9)
	flat_store_short v[1:2], v3
	s_waitcnt lgkmcnt(9)
	flat_store_short v[1:2], v4 offset:128
	s_waitcnt lgkmcnt(9)
	flat_store_short v[1:2], v5 offset:256
	;; [unrolled: 2-line block ×8, first 2 shown]
.LBB865_178:
	s_and_saveexec_b32 s3, s2
	s_cbranch_execnz .LBB865_180
; %bb.179:
	s_endpgm
.LBB865_180:
	v_lshlrev_b32_e32 v0, 1, v0
	v_add_co_u32 v0, s0, s0, v0
	v_add_co_ci_u32_e64 v1, null, s1, 0, s0
	s_waitcnt lgkmcnt(0)
	flat_store_short v[0:1], v10 offset:1152
	s_endpgm
.LBB865_181:
	v_add_co_u32 v3, s9, s31, v14
	v_add_co_ci_u32_e64 v4, null, s33, 0, s9
	v_mov_b32_e32 v2, v1
	v_mov_b32_e32 v5, v1
	;; [unrolled: 1-line block ×3, first 2 shown]
	flat_load_short_d16 v2, v[3:4]
	v_mov_b32_e32 v3, v1
	v_mov_b32_e32 v4, v1
	s_waitcnt vmcnt(0) lgkmcnt(0)
	v_mov_b32_e32 v1, v2
	v_mov_b32_e32 v2, v3
	;; [unrolled: 1-line block ×8, first 2 shown]
	s_or_b32 exec_lo, exec_lo, s10
	s_and_saveexec_b32 s9, s8
	s_cbranch_execz .LBB865_25
.LBB865_182:
	v_add_co_u32 v6, s8, s31, v14
	v_add_co_ci_u32_e64 v7, null, s33, 0, s8
	flat_load_short_d16_hi v1, v[6:7] offset:128
	s_or_b32 exec_lo, exec_lo, s9
	s_and_saveexec_b32 s8, s7
	s_cbranch_execz .LBB865_26
.LBB865_183:
	v_add_co_u32 v6, s7, s31, v14
	v_add_co_ci_u32_e64 v7, null, s33, 0, s7
	flat_load_short_d16 v2, v[6:7] offset:256
	s_or_b32 exec_lo, exec_lo, s8
	s_and_saveexec_b32 s7, s5
	s_cbranch_execz .LBB865_27
.LBB865_184:
	v_add_co_u32 v6, s5, s31, v14
	v_add_co_ci_u32_e64 v7, null, s33, 0, s5
	s_waitcnt vmcnt(0) lgkmcnt(0)
	flat_load_short_d16_hi v2, v[6:7] offset:384
	s_or_b32 exec_lo, exec_lo, s7
	s_and_saveexec_b32 s5, s4
	s_cbranch_execz .LBB865_28
.LBB865_185:
	v_add_co_u32 v6, s4, s31, v14
	v_add_co_ci_u32_e64 v7, null, s33, 0, s4
	flat_load_short_d16 v3, v[6:7] offset:512
	s_or_b32 exec_lo, exec_lo, s5
	s_and_saveexec_b32 s4, s3
	s_cbranch_execz .LBB865_29
.LBB865_186:
	v_add_co_u32 v6, s3, s31, v14
	v_add_co_ci_u32_e64 v7, null, s33, 0, s3
	s_waitcnt vmcnt(0) lgkmcnt(0)
	flat_load_short_d16_hi v3, v[6:7] offset:640
	s_or_b32 exec_lo, exec_lo, s4
	s_and_saveexec_b32 s3, s2
	s_cbranch_execz .LBB865_30
.LBB865_187:
	v_add_co_u32 v6, s2, s31, v14
	v_add_co_ci_u32_e64 v7, null, s33, 0, s2
	flat_load_short_d16 v4, v[6:7] offset:768
	s_or_b32 exec_lo, exec_lo, s3
	s_and_saveexec_b32 s2, s1
	s_cbranch_execz .LBB865_31
.LBB865_188:
	v_add_co_u32 v6, s1, s31, v14
	v_add_co_ci_u32_e64 v7, null, s33, 0, s1
	s_waitcnt vmcnt(0) lgkmcnt(0)
	flat_load_short_d16_hi v4, v[6:7] offset:896
	s_or_b32 exec_lo, exec_lo, s2
	s_and_saveexec_b32 s1, s0
	s_cbranch_execz .LBB865_32
.LBB865_189:
	v_add_co_u32 v6, s0, s31, v14
	v_add_co_ci_u32_e64 v7, null, s33, 0, s0
	flat_load_short_d16 v5, v[6:7] offset:1024
	s_or_b32 exec_lo, exec_lo, s1
	v_mul_u32_u24_e32 v29, 10, v0
	s_and_saveexec_b32 s0, vcc_lo
	s_cbranch_execnz .LBB865_33
	s_branch .LBB865_34
	.section	.rodata,"a",@progbits
	.p2align	6, 0x0
	.amdhsa_kernel _ZN7rocprim17ROCPRIM_400000_NS6detail17trampoline_kernelINS0_14default_configENS1_27scan_by_key_config_selectorIssEEZZNS1_16scan_by_key_implILNS1_25lookback_scan_determinismE0ELb1ES3_N6thrust23THRUST_200600_302600_NS6detail15normal_iteratorINS9_10device_ptrIsEEEESE_SE_sNS9_4plusIsEE19head_flag_predicatesEE10hipError_tPvRmT2_T3_T4_T5_mT6_T7_P12ihipStream_tbENKUlT_T0_E_clISt17integral_constantIbLb0EESY_EEDaST_SU_EUlST_E_NS1_11comp_targetILNS1_3genE8ELNS1_11target_archE1030ELNS1_3gpuE2ELNS1_3repE0EEENS1_30default_config_static_selectorELNS0_4arch9wavefront6targetE0EEEvT1_
		.amdhsa_group_segment_fixed_size 1536
		.amdhsa_private_segment_fixed_size 0
		.amdhsa_kernarg_size 112
		.amdhsa_user_sgpr_count 6
		.amdhsa_user_sgpr_private_segment_buffer 1
		.amdhsa_user_sgpr_dispatch_ptr 0
		.amdhsa_user_sgpr_queue_ptr 0
		.amdhsa_user_sgpr_kernarg_segment_ptr 1
		.amdhsa_user_sgpr_dispatch_id 0
		.amdhsa_user_sgpr_flat_scratch_init 0
		.amdhsa_user_sgpr_private_segment_size 0
		.amdhsa_wavefront_size32 1
		.amdhsa_uses_dynamic_stack 0
		.amdhsa_system_sgpr_private_segment_wavefront_offset 0
		.amdhsa_system_sgpr_workgroup_id_x 1
		.amdhsa_system_sgpr_workgroup_id_y 0
		.amdhsa_system_sgpr_workgroup_id_z 0
		.amdhsa_system_sgpr_workgroup_info 0
		.amdhsa_system_vgpr_workitem_id 0
		.amdhsa_next_free_vgpr 42
		.amdhsa_next_free_sgpr 36
		.amdhsa_reserve_vcc 1
		.amdhsa_reserve_flat_scratch 1
		.amdhsa_float_round_mode_32 0
		.amdhsa_float_round_mode_16_64 0
		.amdhsa_float_denorm_mode_32 3
		.amdhsa_float_denorm_mode_16_64 3
		.amdhsa_dx10_clamp 1
		.amdhsa_ieee_mode 1
		.amdhsa_fp16_overflow 0
		.amdhsa_workgroup_processor_mode 1
		.amdhsa_memory_ordered 1
		.amdhsa_forward_progress 1
		.amdhsa_shared_vgpr_count 0
		.amdhsa_exception_fp_ieee_invalid_op 0
		.amdhsa_exception_fp_denorm_src 0
		.amdhsa_exception_fp_ieee_div_zero 0
		.amdhsa_exception_fp_ieee_overflow 0
		.amdhsa_exception_fp_ieee_underflow 0
		.amdhsa_exception_fp_ieee_inexact 0
		.amdhsa_exception_int_div_zero 0
	.end_amdhsa_kernel
	.section	.text._ZN7rocprim17ROCPRIM_400000_NS6detail17trampoline_kernelINS0_14default_configENS1_27scan_by_key_config_selectorIssEEZZNS1_16scan_by_key_implILNS1_25lookback_scan_determinismE0ELb1ES3_N6thrust23THRUST_200600_302600_NS6detail15normal_iteratorINS9_10device_ptrIsEEEESE_SE_sNS9_4plusIsEE19head_flag_predicatesEE10hipError_tPvRmT2_T3_T4_T5_mT6_T7_P12ihipStream_tbENKUlT_T0_E_clISt17integral_constantIbLb0EESY_EEDaST_SU_EUlST_E_NS1_11comp_targetILNS1_3genE8ELNS1_11target_archE1030ELNS1_3gpuE2ELNS1_3repE0EEENS1_30default_config_static_selectorELNS0_4arch9wavefront6targetE0EEEvT1_,"axG",@progbits,_ZN7rocprim17ROCPRIM_400000_NS6detail17trampoline_kernelINS0_14default_configENS1_27scan_by_key_config_selectorIssEEZZNS1_16scan_by_key_implILNS1_25lookback_scan_determinismE0ELb1ES3_N6thrust23THRUST_200600_302600_NS6detail15normal_iteratorINS9_10device_ptrIsEEEESE_SE_sNS9_4plusIsEE19head_flag_predicatesEE10hipError_tPvRmT2_T3_T4_T5_mT6_T7_P12ihipStream_tbENKUlT_T0_E_clISt17integral_constantIbLb0EESY_EEDaST_SU_EUlST_E_NS1_11comp_targetILNS1_3genE8ELNS1_11target_archE1030ELNS1_3gpuE2ELNS1_3repE0EEENS1_30default_config_static_selectorELNS0_4arch9wavefront6targetE0EEEvT1_,comdat
.Lfunc_end865:
	.size	_ZN7rocprim17ROCPRIM_400000_NS6detail17trampoline_kernelINS0_14default_configENS1_27scan_by_key_config_selectorIssEEZZNS1_16scan_by_key_implILNS1_25lookback_scan_determinismE0ELb1ES3_N6thrust23THRUST_200600_302600_NS6detail15normal_iteratorINS9_10device_ptrIsEEEESE_SE_sNS9_4plusIsEE19head_flag_predicatesEE10hipError_tPvRmT2_T3_T4_T5_mT6_T7_P12ihipStream_tbENKUlT_T0_E_clISt17integral_constantIbLb0EESY_EEDaST_SU_EUlST_E_NS1_11comp_targetILNS1_3genE8ELNS1_11target_archE1030ELNS1_3gpuE2ELNS1_3repE0EEENS1_30default_config_static_selectorELNS0_4arch9wavefront6targetE0EEEvT1_, .Lfunc_end865-_ZN7rocprim17ROCPRIM_400000_NS6detail17trampoline_kernelINS0_14default_configENS1_27scan_by_key_config_selectorIssEEZZNS1_16scan_by_key_implILNS1_25lookback_scan_determinismE0ELb1ES3_N6thrust23THRUST_200600_302600_NS6detail15normal_iteratorINS9_10device_ptrIsEEEESE_SE_sNS9_4plusIsEE19head_flag_predicatesEE10hipError_tPvRmT2_T3_T4_T5_mT6_T7_P12ihipStream_tbENKUlT_T0_E_clISt17integral_constantIbLb0EESY_EEDaST_SU_EUlST_E_NS1_11comp_targetILNS1_3genE8ELNS1_11target_archE1030ELNS1_3gpuE2ELNS1_3repE0EEENS1_30default_config_static_selectorELNS0_4arch9wavefront6targetE0EEEvT1_
                                        ; -- End function
	.set _ZN7rocprim17ROCPRIM_400000_NS6detail17trampoline_kernelINS0_14default_configENS1_27scan_by_key_config_selectorIssEEZZNS1_16scan_by_key_implILNS1_25lookback_scan_determinismE0ELb1ES3_N6thrust23THRUST_200600_302600_NS6detail15normal_iteratorINS9_10device_ptrIsEEEESE_SE_sNS9_4plusIsEE19head_flag_predicatesEE10hipError_tPvRmT2_T3_T4_T5_mT6_T7_P12ihipStream_tbENKUlT_T0_E_clISt17integral_constantIbLb0EESY_EEDaST_SU_EUlST_E_NS1_11comp_targetILNS1_3genE8ELNS1_11target_archE1030ELNS1_3gpuE2ELNS1_3repE0EEENS1_30default_config_static_selectorELNS0_4arch9wavefront6targetE0EEEvT1_.num_vgpr, 42
	.set _ZN7rocprim17ROCPRIM_400000_NS6detail17trampoline_kernelINS0_14default_configENS1_27scan_by_key_config_selectorIssEEZZNS1_16scan_by_key_implILNS1_25lookback_scan_determinismE0ELb1ES3_N6thrust23THRUST_200600_302600_NS6detail15normal_iteratorINS9_10device_ptrIsEEEESE_SE_sNS9_4plusIsEE19head_flag_predicatesEE10hipError_tPvRmT2_T3_T4_T5_mT6_T7_P12ihipStream_tbENKUlT_T0_E_clISt17integral_constantIbLb0EESY_EEDaST_SU_EUlST_E_NS1_11comp_targetILNS1_3genE8ELNS1_11target_archE1030ELNS1_3gpuE2ELNS1_3repE0EEENS1_30default_config_static_selectorELNS0_4arch9wavefront6targetE0EEEvT1_.num_agpr, 0
	.set _ZN7rocprim17ROCPRIM_400000_NS6detail17trampoline_kernelINS0_14default_configENS1_27scan_by_key_config_selectorIssEEZZNS1_16scan_by_key_implILNS1_25lookback_scan_determinismE0ELb1ES3_N6thrust23THRUST_200600_302600_NS6detail15normal_iteratorINS9_10device_ptrIsEEEESE_SE_sNS9_4plusIsEE19head_flag_predicatesEE10hipError_tPvRmT2_T3_T4_T5_mT6_T7_P12ihipStream_tbENKUlT_T0_E_clISt17integral_constantIbLb0EESY_EEDaST_SU_EUlST_E_NS1_11comp_targetILNS1_3genE8ELNS1_11target_archE1030ELNS1_3gpuE2ELNS1_3repE0EEENS1_30default_config_static_selectorELNS0_4arch9wavefront6targetE0EEEvT1_.numbered_sgpr, 36
	.set _ZN7rocprim17ROCPRIM_400000_NS6detail17trampoline_kernelINS0_14default_configENS1_27scan_by_key_config_selectorIssEEZZNS1_16scan_by_key_implILNS1_25lookback_scan_determinismE0ELb1ES3_N6thrust23THRUST_200600_302600_NS6detail15normal_iteratorINS9_10device_ptrIsEEEESE_SE_sNS9_4plusIsEE19head_flag_predicatesEE10hipError_tPvRmT2_T3_T4_T5_mT6_T7_P12ihipStream_tbENKUlT_T0_E_clISt17integral_constantIbLb0EESY_EEDaST_SU_EUlST_E_NS1_11comp_targetILNS1_3genE8ELNS1_11target_archE1030ELNS1_3gpuE2ELNS1_3repE0EEENS1_30default_config_static_selectorELNS0_4arch9wavefront6targetE0EEEvT1_.num_named_barrier, 0
	.set _ZN7rocprim17ROCPRIM_400000_NS6detail17trampoline_kernelINS0_14default_configENS1_27scan_by_key_config_selectorIssEEZZNS1_16scan_by_key_implILNS1_25lookback_scan_determinismE0ELb1ES3_N6thrust23THRUST_200600_302600_NS6detail15normal_iteratorINS9_10device_ptrIsEEEESE_SE_sNS9_4plusIsEE19head_flag_predicatesEE10hipError_tPvRmT2_T3_T4_T5_mT6_T7_P12ihipStream_tbENKUlT_T0_E_clISt17integral_constantIbLb0EESY_EEDaST_SU_EUlST_E_NS1_11comp_targetILNS1_3genE8ELNS1_11target_archE1030ELNS1_3gpuE2ELNS1_3repE0EEENS1_30default_config_static_selectorELNS0_4arch9wavefront6targetE0EEEvT1_.private_seg_size, 0
	.set _ZN7rocprim17ROCPRIM_400000_NS6detail17trampoline_kernelINS0_14default_configENS1_27scan_by_key_config_selectorIssEEZZNS1_16scan_by_key_implILNS1_25lookback_scan_determinismE0ELb1ES3_N6thrust23THRUST_200600_302600_NS6detail15normal_iteratorINS9_10device_ptrIsEEEESE_SE_sNS9_4plusIsEE19head_flag_predicatesEE10hipError_tPvRmT2_T3_T4_T5_mT6_T7_P12ihipStream_tbENKUlT_T0_E_clISt17integral_constantIbLb0EESY_EEDaST_SU_EUlST_E_NS1_11comp_targetILNS1_3genE8ELNS1_11target_archE1030ELNS1_3gpuE2ELNS1_3repE0EEENS1_30default_config_static_selectorELNS0_4arch9wavefront6targetE0EEEvT1_.uses_vcc, 1
	.set _ZN7rocprim17ROCPRIM_400000_NS6detail17trampoline_kernelINS0_14default_configENS1_27scan_by_key_config_selectorIssEEZZNS1_16scan_by_key_implILNS1_25lookback_scan_determinismE0ELb1ES3_N6thrust23THRUST_200600_302600_NS6detail15normal_iteratorINS9_10device_ptrIsEEEESE_SE_sNS9_4plusIsEE19head_flag_predicatesEE10hipError_tPvRmT2_T3_T4_T5_mT6_T7_P12ihipStream_tbENKUlT_T0_E_clISt17integral_constantIbLb0EESY_EEDaST_SU_EUlST_E_NS1_11comp_targetILNS1_3genE8ELNS1_11target_archE1030ELNS1_3gpuE2ELNS1_3repE0EEENS1_30default_config_static_selectorELNS0_4arch9wavefront6targetE0EEEvT1_.uses_flat_scratch, 1
	.set _ZN7rocprim17ROCPRIM_400000_NS6detail17trampoline_kernelINS0_14default_configENS1_27scan_by_key_config_selectorIssEEZZNS1_16scan_by_key_implILNS1_25lookback_scan_determinismE0ELb1ES3_N6thrust23THRUST_200600_302600_NS6detail15normal_iteratorINS9_10device_ptrIsEEEESE_SE_sNS9_4plusIsEE19head_flag_predicatesEE10hipError_tPvRmT2_T3_T4_T5_mT6_T7_P12ihipStream_tbENKUlT_T0_E_clISt17integral_constantIbLb0EESY_EEDaST_SU_EUlST_E_NS1_11comp_targetILNS1_3genE8ELNS1_11target_archE1030ELNS1_3gpuE2ELNS1_3repE0EEENS1_30default_config_static_selectorELNS0_4arch9wavefront6targetE0EEEvT1_.has_dyn_sized_stack, 0
	.set _ZN7rocprim17ROCPRIM_400000_NS6detail17trampoline_kernelINS0_14default_configENS1_27scan_by_key_config_selectorIssEEZZNS1_16scan_by_key_implILNS1_25lookback_scan_determinismE0ELb1ES3_N6thrust23THRUST_200600_302600_NS6detail15normal_iteratorINS9_10device_ptrIsEEEESE_SE_sNS9_4plusIsEE19head_flag_predicatesEE10hipError_tPvRmT2_T3_T4_T5_mT6_T7_P12ihipStream_tbENKUlT_T0_E_clISt17integral_constantIbLb0EESY_EEDaST_SU_EUlST_E_NS1_11comp_targetILNS1_3genE8ELNS1_11target_archE1030ELNS1_3gpuE2ELNS1_3repE0EEENS1_30default_config_static_selectorELNS0_4arch9wavefront6targetE0EEEvT1_.has_recursion, 0
	.set _ZN7rocprim17ROCPRIM_400000_NS6detail17trampoline_kernelINS0_14default_configENS1_27scan_by_key_config_selectorIssEEZZNS1_16scan_by_key_implILNS1_25lookback_scan_determinismE0ELb1ES3_N6thrust23THRUST_200600_302600_NS6detail15normal_iteratorINS9_10device_ptrIsEEEESE_SE_sNS9_4plusIsEE19head_flag_predicatesEE10hipError_tPvRmT2_T3_T4_T5_mT6_T7_P12ihipStream_tbENKUlT_T0_E_clISt17integral_constantIbLb0EESY_EEDaST_SU_EUlST_E_NS1_11comp_targetILNS1_3genE8ELNS1_11target_archE1030ELNS1_3gpuE2ELNS1_3repE0EEENS1_30default_config_static_selectorELNS0_4arch9wavefront6targetE0EEEvT1_.has_indirect_call, 0
	.section	.AMDGPU.csdata,"",@progbits
; Kernel info:
; codeLenInByte = 10288
; TotalNumSgprs: 38
; NumVgprs: 42
; ScratchSize: 0
; MemoryBound: 0
; FloatMode: 240
; IeeeMode: 1
; LDSByteSize: 1536 bytes/workgroup (compile time only)
; SGPRBlocks: 0
; VGPRBlocks: 5
; NumSGPRsForWavesPerEU: 38
; NumVGPRsForWavesPerEU: 42
; Occupancy: 16
; WaveLimiterHint : 1
; COMPUTE_PGM_RSRC2:SCRATCH_EN: 0
; COMPUTE_PGM_RSRC2:USER_SGPR: 6
; COMPUTE_PGM_RSRC2:TRAP_HANDLER: 0
; COMPUTE_PGM_RSRC2:TGID_X_EN: 1
; COMPUTE_PGM_RSRC2:TGID_Y_EN: 0
; COMPUTE_PGM_RSRC2:TGID_Z_EN: 0
; COMPUTE_PGM_RSRC2:TIDIG_COMP_CNT: 0
	.section	.text._ZN7rocprim17ROCPRIM_400000_NS6detail17trampoline_kernelINS0_14default_configENS1_27scan_by_key_config_selectorIssEEZZNS1_16scan_by_key_implILNS1_25lookback_scan_determinismE0ELb1ES3_N6thrust23THRUST_200600_302600_NS6detail15normal_iteratorINS9_10device_ptrIsEEEESE_SE_sNS9_4plusIsEE19head_flag_predicatesEE10hipError_tPvRmT2_T3_T4_T5_mT6_T7_P12ihipStream_tbENKUlT_T0_E_clISt17integral_constantIbLb1EESY_EEDaST_SU_EUlST_E_NS1_11comp_targetILNS1_3genE0ELNS1_11target_archE4294967295ELNS1_3gpuE0ELNS1_3repE0EEENS1_30default_config_static_selectorELNS0_4arch9wavefront6targetE0EEEvT1_,"axG",@progbits,_ZN7rocprim17ROCPRIM_400000_NS6detail17trampoline_kernelINS0_14default_configENS1_27scan_by_key_config_selectorIssEEZZNS1_16scan_by_key_implILNS1_25lookback_scan_determinismE0ELb1ES3_N6thrust23THRUST_200600_302600_NS6detail15normal_iteratorINS9_10device_ptrIsEEEESE_SE_sNS9_4plusIsEE19head_flag_predicatesEE10hipError_tPvRmT2_T3_T4_T5_mT6_T7_P12ihipStream_tbENKUlT_T0_E_clISt17integral_constantIbLb1EESY_EEDaST_SU_EUlST_E_NS1_11comp_targetILNS1_3genE0ELNS1_11target_archE4294967295ELNS1_3gpuE0ELNS1_3repE0EEENS1_30default_config_static_selectorELNS0_4arch9wavefront6targetE0EEEvT1_,comdat
	.protected	_ZN7rocprim17ROCPRIM_400000_NS6detail17trampoline_kernelINS0_14default_configENS1_27scan_by_key_config_selectorIssEEZZNS1_16scan_by_key_implILNS1_25lookback_scan_determinismE0ELb1ES3_N6thrust23THRUST_200600_302600_NS6detail15normal_iteratorINS9_10device_ptrIsEEEESE_SE_sNS9_4plusIsEE19head_flag_predicatesEE10hipError_tPvRmT2_T3_T4_T5_mT6_T7_P12ihipStream_tbENKUlT_T0_E_clISt17integral_constantIbLb1EESY_EEDaST_SU_EUlST_E_NS1_11comp_targetILNS1_3genE0ELNS1_11target_archE4294967295ELNS1_3gpuE0ELNS1_3repE0EEENS1_30default_config_static_selectorELNS0_4arch9wavefront6targetE0EEEvT1_ ; -- Begin function _ZN7rocprim17ROCPRIM_400000_NS6detail17trampoline_kernelINS0_14default_configENS1_27scan_by_key_config_selectorIssEEZZNS1_16scan_by_key_implILNS1_25lookback_scan_determinismE0ELb1ES3_N6thrust23THRUST_200600_302600_NS6detail15normal_iteratorINS9_10device_ptrIsEEEESE_SE_sNS9_4plusIsEE19head_flag_predicatesEE10hipError_tPvRmT2_T3_T4_T5_mT6_T7_P12ihipStream_tbENKUlT_T0_E_clISt17integral_constantIbLb1EESY_EEDaST_SU_EUlST_E_NS1_11comp_targetILNS1_3genE0ELNS1_11target_archE4294967295ELNS1_3gpuE0ELNS1_3repE0EEENS1_30default_config_static_selectorELNS0_4arch9wavefront6targetE0EEEvT1_
	.globl	_ZN7rocprim17ROCPRIM_400000_NS6detail17trampoline_kernelINS0_14default_configENS1_27scan_by_key_config_selectorIssEEZZNS1_16scan_by_key_implILNS1_25lookback_scan_determinismE0ELb1ES3_N6thrust23THRUST_200600_302600_NS6detail15normal_iteratorINS9_10device_ptrIsEEEESE_SE_sNS9_4plusIsEE19head_flag_predicatesEE10hipError_tPvRmT2_T3_T4_T5_mT6_T7_P12ihipStream_tbENKUlT_T0_E_clISt17integral_constantIbLb1EESY_EEDaST_SU_EUlST_E_NS1_11comp_targetILNS1_3genE0ELNS1_11target_archE4294967295ELNS1_3gpuE0ELNS1_3repE0EEENS1_30default_config_static_selectorELNS0_4arch9wavefront6targetE0EEEvT1_
	.p2align	8
	.type	_ZN7rocprim17ROCPRIM_400000_NS6detail17trampoline_kernelINS0_14default_configENS1_27scan_by_key_config_selectorIssEEZZNS1_16scan_by_key_implILNS1_25lookback_scan_determinismE0ELb1ES3_N6thrust23THRUST_200600_302600_NS6detail15normal_iteratorINS9_10device_ptrIsEEEESE_SE_sNS9_4plusIsEE19head_flag_predicatesEE10hipError_tPvRmT2_T3_T4_T5_mT6_T7_P12ihipStream_tbENKUlT_T0_E_clISt17integral_constantIbLb1EESY_EEDaST_SU_EUlST_E_NS1_11comp_targetILNS1_3genE0ELNS1_11target_archE4294967295ELNS1_3gpuE0ELNS1_3repE0EEENS1_30default_config_static_selectorELNS0_4arch9wavefront6targetE0EEEvT1_,@function
_ZN7rocprim17ROCPRIM_400000_NS6detail17trampoline_kernelINS0_14default_configENS1_27scan_by_key_config_selectorIssEEZZNS1_16scan_by_key_implILNS1_25lookback_scan_determinismE0ELb1ES3_N6thrust23THRUST_200600_302600_NS6detail15normal_iteratorINS9_10device_ptrIsEEEESE_SE_sNS9_4plusIsEE19head_flag_predicatesEE10hipError_tPvRmT2_T3_T4_T5_mT6_T7_P12ihipStream_tbENKUlT_T0_E_clISt17integral_constantIbLb1EESY_EEDaST_SU_EUlST_E_NS1_11comp_targetILNS1_3genE0ELNS1_11target_archE4294967295ELNS1_3gpuE0ELNS1_3repE0EEENS1_30default_config_static_selectorELNS0_4arch9wavefront6targetE0EEEvT1_: ; @_ZN7rocprim17ROCPRIM_400000_NS6detail17trampoline_kernelINS0_14default_configENS1_27scan_by_key_config_selectorIssEEZZNS1_16scan_by_key_implILNS1_25lookback_scan_determinismE0ELb1ES3_N6thrust23THRUST_200600_302600_NS6detail15normal_iteratorINS9_10device_ptrIsEEEESE_SE_sNS9_4plusIsEE19head_flag_predicatesEE10hipError_tPvRmT2_T3_T4_T5_mT6_T7_P12ihipStream_tbENKUlT_T0_E_clISt17integral_constantIbLb1EESY_EEDaST_SU_EUlST_E_NS1_11comp_targetILNS1_3genE0ELNS1_11target_archE4294967295ELNS1_3gpuE0ELNS1_3repE0EEENS1_30default_config_static_selectorELNS0_4arch9wavefront6targetE0EEEvT1_
; %bb.0:
	.section	.rodata,"a",@progbits
	.p2align	6, 0x0
	.amdhsa_kernel _ZN7rocprim17ROCPRIM_400000_NS6detail17trampoline_kernelINS0_14default_configENS1_27scan_by_key_config_selectorIssEEZZNS1_16scan_by_key_implILNS1_25lookback_scan_determinismE0ELb1ES3_N6thrust23THRUST_200600_302600_NS6detail15normal_iteratorINS9_10device_ptrIsEEEESE_SE_sNS9_4plusIsEE19head_flag_predicatesEE10hipError_tPvRmT2_T3_T4_T5_mT6_T7_P12ihipStream_tbENKUlT_T0_E_clISt17integral_constantIbLb1EESY_EEDaST_SU_EUlST_E_NS1_11comp_targetILNS1_3genE0ELNS1_11target_archE4294967295ELNS1_3gpuE0ELNS1_3repE0EEENS1_30default_config_static_selectorELNS0_4arch9wavefront6targetE0EEEvT1_
		.amdhsa_group_segment_fixed_size 0
		.amdhsa_private_segment_fixed_size 0
		.amdhsa_kernarg_size 112
		.amdhsa_user_sgpr_count 6
		.amdhsa_user_sgpr_private_segment_buffer 1
		.amdhsa_user_sgpr_dispatch_ptr 0
		.amdhsa_user_sgpr_queue_ptr 0
		.amdhsa_user_sgpr_kernarg_segment_ptr 1
		.amdhsa_user_sgpr_dispatch_id 0
		.amdhsa_user_sgpr_flat_scratch_init 0
		.amdhsa_user_sgpr_private_segment_size 0
		.amdhsa_wavefront_size32 1
		.amdhsa_uses_dynamic_stack 0
		.amdhsa_system_sgpr_private_segment_wavefront_offset 0
		.amdhsa_system_sgpr_workgroup_id_x 1
		.amdhsa_system_sgpr_workgroup_id_y 0
		.amdhsa_system_sgpr_workgroup_id_z 0
		.amdhsa_system_sgpr_workgroup_info 0
		.amdhsa_system_vgpr_workitem_id 0
		.amdhsa_next_free_vgpr 1
		.amdhsa_next_free_sgpr 1
		.amdhsa_reserve_vcc 0
		.amdhsa_reserve_flat_scratch 0
		.amdhsa_float_round_mode_32 0
		.amdhsa_float_round_mode_16_64 0
		.amdhsa_float_denorm_mode_32 3
		.amdhsa_float_denorm_mode_16_64 3
		.amdhsa_dx10_clamp 1
		.amdhsa_ieee_mode 1
		.amdhsa_fp16_overflow 0
		.amdhsa_workgroup_processor_mode 1
		.amdhsa_memory_ordered 1
		.amdhsa_forward_progress 1
		.amdhsa_shared_vgpr_count 0
		.amdhsa_exception_fp_ieee_invalid_op 0
		.amdhsa_exception_fp_denorm_src 0
		.amdhsa_exception_fp_ieee_div_zero 0
		.amdhsa_exception_fp_ieee_overflow 0
		.amdhsa_exception_fp_ieee_underflow 0
		.amdhsa_exception_fp_ieee_inexact 0
		.amdhsa_exception_int_div_zero 0
	.end_amdhsa_kernel
	.section	.text._ZN7rocprim17ROCPRIM_400000_NS6detail17trampoline_kernelINS0_14default_configENS1_27scan_by_key_config_selectorIssEEZZNS1_16scan_by_key_implILNS1_25lookback_scan_determinismE0ELb1ES3_N6thrust23THRUST_200600_302600_NS6detail15normal_iteratorINS9_10device_ptrIsEEEESE_SE_sNS9_4plusIsEE19head_flag_predicatesEE10hipError_tPvRmT2_T3_T4_T5_mT6_T7_P12ihipStream_tbENKUlT_T0_E_clISt17integral_constantIbLb1EESY_EEDaST_SU_EUlST_E_NS1_11comp_targetILNS1_3genE0ELNS1_11target_archE4294967295ELNS1_3gpuE0ELNS1_3repE0EEENS1_30default_config_static_selectorELNS0_4arch9wavefront6targetE0EEEvT1_,"axG",@progbits,_ZN7rocprim17ROCPRIM_400000_NS6detail17trampoline_kernelINS0_14default_configENS1_27scan_by_key_config_selectorIssEEZZNS1_16scan_by_key_implILNS1_25lookback_scan_determinismE0ELb1ES3_N6thrust23THRUST_200600_302600_NS6detail15normal_iteratorINS9_10device_ptrIsEEEESE_SE_sNS9_4plusIsEE19head_flag_predicatesEE10hipError_tPvRmT2_T3_T4_T5_mT6_T7_P12ihipStream_tbENKUlT_T0_E_clISt17integral_constantIbLb1EESY_EEDaST_SU_EUlST_E_NS1_11comp_targetILNS1_3genE0ELNS1_11target_archE4294967295ELNS1_3gpuE0ELNS1_3repE0EEENS1_30default_config_static_selectorELNS0_4arch9wavefront6targetE0EEEvT1_,comdat
.Lfunc_end866:
	.size	_ZN7rocprim17ROCPRIM_400000_NS6detail17trampoline_kernelINS0_14default_configENS1_27scan_by_key_config_selectorIssEEZZNS1_16scan_by_key_implILNS1_25lookback_scan_determinismE0ELb1ES3_N6thrust23THRUST_200600_302600_NS6detail15normal_iteratorINS9_10device_ptrIsEEEESE_SE_sNS9_4plusIsEE19head_flag_predicatesEE10hipError_tPvRmT2_T3_T4_T5_mT6_T7_P12ihipStream_tbENKUlT_T0_E_clISt17integral_constantIbLb1EESY_EEDaST_SU_EUlST_E_NS1_11comp_targetILNS1_3genE0ELNS1_11target_archE4294967295ELNS1_3gpuE0ELNS1_3repE0EEENS1_30default_config_static_selectorELNS0_4arch9wavefront6targetE0EEEvT1_, .Lfunc_end866-_ZN7rocprim17ROCPRIM_400000_NS6detail17trampoline_kernelINS0_14default_configENS1_27scan_by_key_config_selectorIssEEZZNS1_16scan_by_key_implILNS1_25lookback_scan_determinismE0ELb1ES3_N6thrust23THRUST_200600_302600_NS6detail15normal_iteratorINS9_10device_ptrIsEEEESE_SE_sNS9_4plusIsEE19head_flag_predicatesEE10hipError_tPvRmT2_T3_T4_T5_mT6_T7_P12ihipStream_tbENKUlT_T0_E_clISt17integral_constantIbLb1EESY_EEDaST_SU_EUlST_E_NS1_11comp_targetILNS1_3genE0ELNS1_11target_archE4294967295ELNS1_3gpuE0ELNS1_3repE0EEENS1_30default_config_static_selectorELNS0_4arch9wavefront6targetE0EEEvT1_
                                        ; -- End function
	.set _ZN7rocprim17ROCPRIM_400000_NS6detail17trampoline_kernelINS0_14default_configENS1_27scan_by_key_config_selectorIssEEZZNS1_16scan_by_key_implILNS1_25lookback_scan_determinismE0ELb1ES3_N6thrust23THRUST_200600_302600_NS6detail15normal_iteratorINS9_10device_ptrIsEEEESE_SE_sNS9_4plusIsEE19head_flag_predicatesEE10hipError_tPvRmT2_T3_T4_T5_mT6_T7_P12ihipStream_tbENKUlT_T0_E_clISt17integral_constantIbLb1EESY_EEDaST_SU_EUlST_E_NS1_11comp_targetILNS1_3genE0ELNS1_11target_archE4294967295ELNS1_3gpuE0ELNS1_3repE0EEENS1_30default_config_static_selectorELNS0_4arch9wavefront6targetE0EEEvT1_.num_vgpr, 0
	.set _ZN7rocprim17ROCPRIM_400000_NS6detail17trampoline_kernelINS0_14default_configENS1_27scan_by_key_config_selectorIssEEZZNS1_16scan_by_key_implILNS1_25lookback_scan_determinismE0ELb1ES3_N6thrust23THRUST_200600_302600_NS6detail15normal_iteratorINS9_10device_ptrIsEEEESE_SE_sNS9_4plusIsEE19head_flag_predicatesEE10hipError_tPvRmT2_T3_T4_T5_mT6_T7_P12ihipStream_tbENKUlT_T0_E_clISt17integral_constantIbLb1EESY_EEDaST_SU_EUlST_E_NS1_11comp_targetILNS1_3genE0ELNS1_11target_archE4294967295ELNS1_3gpuE0ELNS1_3repE0EEENS1_30default_config_static_selectorELNS0_4arch9wavefront6targetE0EEEvT1_.num_agpr, 0
	.set _ZN7rocprim17ROCPRIM_400000_NS6detail17trampoline_kernelINS0_14default_configENS1_27scan_by_key_config_selectorIssEEZZNS1_16scan_by_key_implILNS1_25lookback_scan_determinismE0ELb1ES3_N6thrust23THRUST_200600_302600_NS6detail15normal_iteratorINS9_10device_ptrIsEEEESE_SE_sNS9_4plusIsEE19head_flag_predicatesEE10hipError_tPvRmT2_T3_T4_T5_mT6_T7_P12ihipStream_tbENKUlT_T0_E_clISt17integral_constantIbLb1EESY_EEDaST_SU_EUlST_E_NS1_11comp_targetILNS1_3genE0ELNS1_11target_archE4294967295ELNS1_3gpuE0ELNS1_3repE0EEENS1_30default_config_static_selectorELNS0_4arch9wavefront6targetE0EEEvT1_.numbered_sgpr, 0
	.set _ZN7rocprim17ROCPRIM_400000_NS6detail17trampoline_kernelINS0_14default_configENS1_27scan_by_key_config_selectorIssEEZZNS1_16scan_by_key_implILNS1_25lookback_scan_determinismE0ELb1ES3_N6thrust23THRUST_200600_302600_NS6detail15normal_iteratorINS9_10device_ptrIsEEEESE_SE_sNS9_4plusIsEE19head_flag_predicatesEE10hipError_tPvRmT2_T3_T4_T5_mT6_T7_P12ihipStream_tbENKUlT_T0_E_clISt17integral_constantIbLb1EESY_EEDaST_SU_EUlST_E_NS1_11comp_targetILNS1_3genE0ELNS1_11target_archE4294967295ELNS1_3gpuE0ELNS1_3repE0EEENS1_30default_config_static_selectorELNS0_4arch9wavefront6targetE0EEEvT1_.num_named_barrier, 0
	.set _ZN7rocprim17ROCPRIM_400000_NS6detail17trampoline_kernelINS0_14default_configENS1_27scan_by_key_config_selectorIssEEZZNS1_16scan_by_key_implILNS1_25lookback_scan_determinismE0ELb1ES3_N6thrust23THRUST_200600_302600_NS6detail15normal_iteratorINS9_10device_ptrIsEEEESE_SE_sNS9_4plusIsEE19head_flag_predicatesEE10hipError_tPvRmT2_T3_T4_T5_mT6_T7_P12ihipStream_tbENKUlT_T0_E_clISt17integral_constantIbLb1EESY_EEDaST_SU_EUlST_E_NS1_11comp_targetILNS1_3genE0ELNS1_11target_archE4294967295ELNS1_3gpuE0ELNS1_3repE0EEENS1_30default_config_static_selectorELNS0_4arch9wavefront6targetE0EEEvT1_.private_seg_size, 0
	.set _ZN7rocprim17ROCPRIM_400000_NS6detail17trampoline_kernelINS0_14default_configENS1_27scan_by_key_config_selectorIssEEZZNS1_16scan_by_key_implILNS1_25lookback_scan_determinismE0ELb1ES3_N6thrust23THRUST_200600_302600_NS6detail15normal_iteratorINS9_10device_ptrIsEEEESE_SE_sNS9_4plusIsEE19head_flag_predicatesEE10hipError_tPvRmT2_T3_T4_T5_mT6_T7_P12ihipStream_tbENKUlT_T0_E_clISt17integral_constantIbLb1EESY_EEDaST_SU_EUlST_E_NS1_11comp_targetILNS1_3genE0ELNS1_11target_archE4294967295ELNS1_3gpuE0ELNS1_3repE0EEENS1_30default_config_static_selectorELNS0_4arch9wavefront6targetE0EEEvT1_.uses_vcc, 0
	.set _ZN7rocprim17ROCPRIM_400000_NS6detail17trampoline_kernelINS0_14default_configENS1_27scan_by_key_config_selectorIssEEZZNS1_16scan_by_key_implILNS1_25lookback_scan_determinismE0ELb1ES3_N6thrust23THRUST_200600_302600_NS6detail15normal_iteratorINS9_10device_ptrIsEEEESE_SE_sNS9_4plusIsEE19head_flag_predicatesEE10hipError_tPvRmT2_T3_T4_T5_mT6_T7_P12ihipStream_tbENKUlT_T0_E_clISt17integral_constantIbLb1EESY_EEDaST_SU_EUlST_E_NS1_11comp_targetILNS1_3genE0ELNS1_11target_archE4294967295ELNS1_3gpuE0ELNS1_3repE0EEENS1_30default_config_static_selectorELNS0_4arch9wavefront6targetE0EEEvT1_.uses_flat_scratch, 0
	.set _ZN7rocprim17ROCPRIM_400000_NS6detail17trampoline_kernelINS0_14default_configENS1_27scan_by_key_config_selectorIssEEZZNS1_16scan_by_key_implILNS1_25lookback_scan_determinismE0ELb1ES3_N6thrust23THRUST_200600_302600_NS6detail15normal_iteratorINS9_10device_ptrIsEEEESE_SE_sNS9_4plusIsEE19head_flag_predicatesEE10hipError_tPvRmT2_T3_T4_T5_mT6_T7_P12ihipStream_tbENKUlT_T0_E_clISt17integral_constantIbLb1EESY_EEDaST_SU_EUlST_E_NS1_11comp_targetILNS1_3genE0ELNS1_11target_archE4294967295ELNS1_3gpuE0ELNS1_3repE0EEENS1_30default_config_static_selectorELNS0_4arch9wavefront6targetE0EEEvT1_.has_dyn_sized_stack, 0
	.set _ZN7rocprim17ROCPRIM_400000_NS6detail17trampoline_kernelINS0_14default_configENS1_27scan_by_key_config_selectorIssEEZZNS1_16scan_by_key_implILNS1_25lookback_scan_determinismE0ELb1ES3_N6thrust23THRUST_200600_302600_NS6detail15normal_iteratorINS9_10device_ptrIsEEEESE_SE_sNS9_4plusIsEE19head_flag_predicatesEE10hipError_tPvRmT2_T3_T4_T5_mT6_T7_P12ihipStream_tbENKUlT_T0_E_clISt17integral_constantIbLb1EESY_EEDaST_SU_EUlST_E_NS1_11comp_targetILNS1_3genE0ELNS1_11target_archE4294967295ELNS1_3gpuE0ELNS1_3repE0EEENS1_30default_config_static_selectorELNS0_4arch9wavefront6targetE0EEEvT1_.has_recursion, 0
	.set _ZN7rocprim17ROCPRIM_400000_NS6detail17trampoline_kernelINS0_14default_configENS1_27scan_by_key_config_selectorIssEEZZNS1_16scan_by_key_implILNS1_25lookback_scan_determinismE0ELb1ES3_N6thrust23THRUST_200600_302600_NS6detail15normal_iteratorINS9_10device_ptrIsEEEESE_SE_sNS9_4plusIsEE19head_flag_predicatesEE10hipError_tPvRmT2_T3_T4_T5_mT6_T7_P12ihipStream_tbENKUlT_T0_E_clISt17integral_constantIbLb1EESY_EEDaST_SU_EUlST_E_NS1_11comp_targetILNS1_3genE0ELNS1_11target_archE4294967295ELNS1_3gpuE0ELNS1_3repE0EEENS1_30default_config_static_selectorELNS0_4arch9wavefront6targetE0EEEvT1_.has_indirect_call, 0
	.section	.AMDGPU.csdata,"",@progbits
; Kernel info:
; codeLenInByte = 0
; TotalNumSgprs: 0
; NumVgprs: 0
; ScratchSize: 0
; MemoryBound: 0
; FloatMode: 240
; IeeeMode: 1
; LDSByteSize: 0 bytes/workgroup (compile time only)
; SGPRBlocks: 0
; VGPRBlocks: 0
; NumSGPRsForWavesPerEU: 1
; NumVGPRsForWavesPerEU: 1
; Occupancy: 16
; WaveLimiterHint : 0
; COMPUTE_PGM_RSRC2:SCRATCH_EN: 0
; COMPUTE_PGM_RSRC2:USER_SGPR: 6
; COMPUTE_PGM_RSRC2:TRAP_HANDLER: 0
; COMPUTE_PGM_RSRC2:TGID_X_EN: 1
; COMPUTE_PGM_RSRC2:TGID_Y_EN: 0
; COMPUTE_PGM_RSRC2:TGID_Z_EN: 0
; COMPUTE_PGM_RSRC2:TIDIG_COMP_CNT: 0
	.section	.text._ZN7rocprim17ROCPRIM_400000_NS6detail17trampoline_kernelINS0_14default_configENS1_27scan_by_key_config_selectorIssEEZZNS1_16scan_by_key_implILNS1_25lookback_scan_determinismE0ELb1ES3_N6thrust23THRUST_200600_302600_NS6detail15normal_iteratorINS9_10device_ptrIsEEEESE_SE_sNS9_4plusIsEE19head_flag_predicatesEE10hipError_tPvRmT2_T3_T4_T5_mT6_T7_P12ihipStream_tbENKUlT_T0_E_clISt17integral_constantIbLb1EESY_EEDaST_SU_EUlST_E_NS1_11comp_targetILNS1_3genE10ELNS1_11target_archE1201ELNS1_3gpuE5ELNS1_3repE0EEENS1_30default_config_static_selectorELNS0_4arch9wavefront6targetE0EEEvT1_,"axG",@progbits,_ZN7rocprim17ROCPRIM_400000_NS6detail17trampoline_kernelINS0_14default_configENS1_27scan_by_key_config_selectorIssEEZZNS1_16scan_by_key_implILNS1_25lookback_scan_determinismE0ELb1ES3_N6thrust23THRUST_200600_302600_NS6detail15normal_iteratorINS9_10device_ptrIsEEEESE_SE_sNS9_4plusIsEE19head_flag_predicatesEE10hipError_tPvRmT2_T3_T4_T5_mT6_T7_P12ihipStream_tbENKUlT_T0_E_clISt17integral_constantIbLb1EESY_EEDaST_SU_EUlST_E_NS1_11comp_targetILNS1_3genE10ELNS1_11target_archE1201ELNS1_3gpuE5ELNS1_3repE0EEENS1_30default_config_static_selectorELNS0_4arch9wavefront6targetE0EEEvT1_,comdat
	.protected	_ZN7rocprim17ROCPRIM_400000_NS6detail17trampoline_kernelINS0_14default_configENS1_27scan_by_key_config_selectorIssEEZZNS1_16scan_by_key_implILNS1_25lookback_scan_determinismE0ELb1ES3_N6thrust23THRUST_200600_302600_NS6detail15normal_iteratorINS9_10device_ptrIsEEEESE_SE_sNS9_4plusIsEE19head_flag_predicatesEE10hipError_tPvRmT2_T3_T4_T5_mT6_T7_P12ihipStream_tbENKUlT_T0_E_clISt17integral_constantIbLb1EESY_EEDaST_SU_EUlST_E_NS1_11comp_targetILNS1_3genE10ELNS1_11target_archE1201ELNS1_3gpuE5ELNS1_3repE0EEENS1_30default_config_static_selectorELNS0_4arch9wavefront6targetE0EEEvT1_ ; -- Begin function _ZN7rocprim17ROCPRIM_400000_NS6detail17trampoline_kernelINS0_14default_configENS1_27scan_by_key_config_selectorIssEEZZNS1_16scan_by_key_implILNS1_25lookback_scan_determinismE0ELb1ES3_N6thrust23THRUST_200600_302600_NS6detail15normal_iteratorINS9_10device_ptrIsEEEESE_SE_sNS9_4plusIsEE19head_flag_predicatesEE10hipError_tPvRmT2_T3_T4_T5_mT6_T7_P12ihipStream_tbENKUlT_T0_E_clISt17integral_constantIbLb1EESY_EEDaST_SU_EUlST_E_NS1_11comp_targetILNS1_3genE10ELNS1_11target_archE1201ELNS1_3gpuE5ELNS1_3repE0EEENS1_30default_config_static_selectorELNS0_4arch9wavefront6targetE0EEEvT1_
	.globl	_ZN7rocprim17ROCPRIM_400000_NS6detail17trampoline_kernelINS0_14default_configENS1_27scan_by_key_config_selectorIssEEZZNS1_16scan_by_key_implILNS1_25lookback_scan_determinismE0ELb1ES3_N6thrust23THRUST_200600_302600_NS6detail15normal_iteratorINS9_10device_ptrIsEEEESE_SE_sNS9_4plusIsEE19head_flag_predicatesEE10hipError_tPvRmT2_T3_T4_T5_mT6_T7_P12ihipStream_tbENKUlT_T0_E_clISt17integral_constantIbLb1EESY_EEDaST_SU_EUlST_E_NS1_11comp_targetILNS1_3genE10ELNS1_11target_archE1201ELNS1_3gpuE5ELNS1_3repE0EEENS1_30default_config_static_selectorELNS0_4arch9wavefront6targetE0EEEvT1_
	.p2align	8
	.type	_ZN7rocprim17ROCPRIM_400000_NS6detail17trampoline_kernelINS0_14default_configENS1_27scan_by_key_config_selectorIssEEZZNS1_16scan_by_key_implILNS1_25lookback_scan_determinismE0ELb1ES3_N6thrust23THRUST_200600_302600_NS6detail15normal_iteratorINS9_10device_ptrIsEEEESE_SE_sNS9_4plusIsEE19head_flag_predicatesEE10hipError_tPvRmT2_T3_T4_T5_mT6_T7_P12ihipStream_tbENKUlT_T0_E_clISt17integral_constantIbLb1EESY_EEDaST_SU_EUlST_E_NS1_11comp_targetILNS1_3genE10ELNS1_11target_archE1201ELNS1_3gpuE5ELNS1_3repE0EEENS1_30default_config_static_selectorELNS0_4arch9wavefront6targetE0EEEvT1_,@function
_ZN7rocprim17ROCPRIM_400000_NS6detail17trampoline_kernelINS0_14default_configENS1_27scan_by_key_config_selectorIssEEZZNS1_16scan_by_key_implILNS1_25lookback_scan_determinismE0ELb1ES3_N6thrust23THRUST_200600_302600_NS6detail15normal_iteratorINS9_10device_ptrIsEEEESE_SE_sNS9_4plusIsEE19head_flag_predicatesEE10hipError_tPvRmT2_T3_T4_T5_mT6_T7_P12ihipStream_tbENKUlT_T0_E_clISt17integral_constantIbLb1EESY_EEDaST_SU_EUlST_E_NS1_11comp_targetILNS1_3genE10ELNS1_11target_archE1201ELNS1_3gpuE5ELNS1_3repE0EEENS1_30default_config_static_selectorELNS0_4arch9wavefront6targetE0EEEvT1_: ; @_ZN7rocprim17ROCPRIM_400000_NS6detail17trampoline_kernelINS0_14default_configENS1_27scan_by_key_config_selectorIssEEZZNS1_16scan_by_key_implILNS1_25lookback_scan_determinismE0ELb1ES3_N6thrust23THRUST_200600_302600_NS6detail15normal_iteratorINS9_10device_ptrIsEEEESE_SE_sNS9_4plusIsEE19head_flag_predicatesEE10hipError_tPvRmT2_T3_T4_T5_mT6_T7_P12ihipStream_tbENKUlT_T0_E_clISt17integral_constantIbLb1EESY_EEDaST_SU_EUlST_E_NS1_11comp_targetILNS1_3genE10ELNS1_11target_archE1201ELNS1_3gpuE5ELNS1_3repE0EEENS1_30default_config_static_selectorELNS0_4arch9wavefront6targetE0EEEvT1_
; %bb.0:
	.section	.rodata,"a",@progbits
	.p2align	6, 0x0
	.amdhsa_kernel _ZN7rocprim17ROCPRIM_400000_NS6detail17trampoline_kernelINS0_14default_configENS1_27scan_by_key_config_selectorIssEEZZNS1_16scan_by_key_implILNS1_25lookback_scan_determinismE0ELb1ES3_N6thrust23THRUST_200600_302600_NS6detail15normal_iteratorINS9_10device_ptrIsEEEESE_SE_sNS9_4plusIsEE19head_flag_predicatesEE10hipError_tPvRmT2_T3_T4_T5_mT6_T7_P12ihipStream_tbENKUlT_T0_E_clISt17integral_constantIbLb1EESY_EEDaST_SU_EUlST_E_NS1_11comp_targetILNS1_3genE10ELNS1_11target_archE1201ELNS1_3gpuE5ELNS1_3repE0EEENS1_30default_config_static_selectorELNS0_4arch9wavefront6targetE0EEEvT1_
		.amdhsa_group_segment_fixed_size 0
		.amdhsa_private_segment_fixed_size 0
		.amdhsa_kernarg_size 112
		.amdhsa_user_sgpr_count 6
		.amdhsa_user_sgpr_private_segment_buffer 1
		.amdhsa_user_sgpr_dispatch_ptr 0
		.amdhsa_user_sgpr_queue_ptr 0
		.amdhsa_user_sgpr_kernarg_segment_ptr 1
		.amdhsa_user_sgpr_dispatch_id 0
		.amdhsa_user_sgpr_flat_scratch_init 0
		.amdhsa_user_sgpr_private_segment_size 0
		.amdhsa_wavefront_size32 1
		.amdhsa_uses_dynamic_stack 0
		.amdhsa_system_sgpr_private_segment_wavefront_offset 0
		.amdhsa_system_sgpr_workgroup_id_x 1
		.amdhsa_system_sgpr_workgroup_id_y 0
		.amdhsa_system_sgpr_workgroup_id_z 0
		.amdhsa_system_sgpr_workgroup_info 0
		.amdhsa_system_vgpr_workitem_id 0
		.amdhsa_next_free_vgpr 1
		.amdhsa_next_free_sgpr 1
		.amdhsa_reserve_vcc 0
		.amdhsa_reserve_flat_scratch 0
		.amdhsa_float_round_mode_32 0
		.amdhsa_float_round_mode_16_64 0
		.amdhsa_float_denorm_mode_32 3
		.amdhsa_float_denorm_mode_16_64 3
		.amdhsa_dx10_clamp 1
		.amdhsa_ieee_mode 1
		.amdhsa_fp16_overflow 0
		.amdhsa_workgroup_processor_mode 1
		.amdhsa_memory_ordered 1
		.amdhsa_forward_progress 1
		.amdhsa_shared_vgpr_count 0
		.amdhsa_exception_fp_ieee_invalid_op 0
		.amdhsa_exception_fp_denorm_src 0
		.amdhsa_exception_fp_ieee_div_zero 0
		.amdhsa_exception_fp_ieee_overflow 0
		.amdhsa_exception_fp_ieee_underflow 0
		.amdhsa_exception_fp_ieee_inexact 0
		.amdhsa_exception_int_div_zero 0
	.end_amdhsa_kernel
	.section	.text._ZN7rocprim17ROCPRIM_400000_NS6detail17trampoline_kernelINS0_14default_configENS1_27scan_by_key_config_selectorIssEEZZNS1_16scan_by_key_implILNS1_25lookback_scan_determinismE0ELb1ES3_N6thrust23THRUST_200600_302600_NS6detail15normal_iteratorINS9_10device_ptrIsEEEESE_SE_sNS9_4plusIsEE19head_flag_predicatesEE10hipError_tPvRmT2_T3_T4_T5_mT6_T7_P12ihipStream_tbENKUlT_T0_E_clISt17integral_constantIbLb1EESY_EEDaST_SU_EUlST_E_NS1_11comp_targetILNS1_3genE10ELNS1_11target_archE1201ELNS1_3gpuE5ELNS1_3repE0EEENS1_30default_config_static_selectorELNS0_4arch9wavefront6targetE0EEEvT1_,"axG",@progbits,_ZN7rocprim17ROCPRIM_400000_NS6detail17trampoline_kernelINS0_14default_configENS1_27scan_by_key_config_selectorIssEEZZNS1_16scan_by_key_implILNS1_25lookback_scan_determinismE0ELb1ES3_N6thrust23THRUST_200600_302600_NS6detail15normal_iteratorINS9_10device_ptrIsEEEESE_SE_sNS9_4plusIsEE19head_flag_predicatesEE10hipError_tPvRmT2_T3_T4_T5_mT6_T7_P12ihipStream_tbENKUlT_T0_E_clISt17integral_constantIbLb1EESY_EEDaST_SU_EUlST_E_NS1_11comp_targetILNS1_3genE10ELNS1_11target_archE1201ELNS1_3gpuE5ELNS1_3repE0EEENS1_30default_config_static_selectorELNS0_4arch9wavefront6targetE0EEEvT1_,comdat
.Lfunc_end867:
	.size	_ZN7rocprim17ROCPRIM_400000_NS6detail17trampoline_kernelINS0_14default_configENS1_27scan_by_key_config_selectorIssEEZZNS1_16scan_by_key_implILNS1_25lookback_scan_determinismE0ELb1ES3_N6thrust23THRUST_200600_302600_NS6detail15normal_iteratorINS9_10device_ptrIsEEEESE_SE_sNS9_4plusIsEE19head_flag_predicatesEE10hipError_tPvRmT2_T3_T4_T5_mT6_T7_P12ihipStream_tbENKUlT_T0_E_clISt17integral_constantIbLb1EESY_EEDaST_SU_EUlST_E_NS1_11comp_targetILNS1_3genE10ELNS1_11target_archE1201ELNS1_3gpuE5ELNS1_3repE0EEENS1_30default_config_static_selectorELNS0_4arch9wavefront6targetE0EEEvT1_, .Lfunc_end867-_ZN7rocprim17ROCPRIM_400000_NS6detail17trampoline_kernelINS0_14default_configENS1_27scan_by_key_config_selectorIssEEZZNS1_16scan_by_key_implILNS1_25lookback_scan_determinismE0ELb1ES3_N6thrust23THRUST_200600_302600_NS6detail15normal_iteratorINS9_10device_ptrIsEEEESE_SE_sNS9_4plusIsEE19head_flag_predicatesEE10hipError_tPvRmT2_T3_T4_T5_mT6_T7_P12ihipStream_tbENKUlT_T0_E_clISt17integral_constantIbLb1EESY_EEDaST_SU_EUlST_E_NS1_11comp_targetILNS1_3genE10ELNS1_11target_archE1201ELNS1_3gpuE5ELNS1_3repE0EEENS1_30default_config_static_selectorELNS0_4arch9wavefront6targetE0EEEvT1_
                                        ; -- End function
	.set _ZN7rocprim17ROCPRIM_400000_NS6detail17trampoline_kernelINS0_14default_configENS1_27scan_by_key_config_selectorIssEEZZNS1_16scan_by_key_implILNS1_25lookback_scan_determinismE0ELb1ES3_N6thrust23THRUST_200600_302600_NS6detail15normal_iteratorINS9_10device_ptrIsEEEESE_SE_sNS9_4plusIsEE19head_flag_predicatesEE10hipError_tPvRmT2_T3_T4_T5_mT6_T7_P12ihipStream_tbENKUlT_T0_E_clISt17integral_constantIbLb1EESY_EEDaST_SU_EUlST_E_NS1_11comp_targetILNS1_3genE10ELNS1_11target_archE1201ELNS1_3gpuE5ELNS1_3repE0EEENS1_30default_config_static_selectorELNS0_4arch9wavefront6targetE0EEEvT1_.num_vgpr, 0
	.set _ZN7rocprim17ROCPRIM_400000_NS6detail17trampoline_kernelINS0_14default_configENS1_27scan_by_key_config_selectorIssEEZZNS1_16scan_by_key_implILNS1_25lookback_scan_determinismE0ELb1ES3_N6thrust23THRUST_200600_302600_NS6detail15normal_iteratorINS9_10device_ptrIsEEEESE_SE_sNS9_4plusIsEE19head_flag_predicatesEE10hipError_tPvRmT2_T3_T4_T5_mT6_T7_P12ihipStream_tbENKUlT_T0_E_clISt17integral_constantIbLb1EESY_EEDaST_SU_EUlST_E_NS1_11comp_targetILNS1_3genE10ELNS1_11target_archE1201ELNS1_3gpuE5ELNS1_3repE0EEENS1_30default_config_static_selectorELNS0_4arch9wavefront6targetE0EEEvT1_.num_agpr, 0
	.set _ZN7rocprim17ROCPRIM_400000_NS6detail17trampoline_kernelINS0_14default_configENS1_27scan_by_key_config_selectorIssEEZZNS1_16scan_by_key_implILNS1_25lookback_scan_determinismE0ELb1ES3_N6thrust23THRUST_200600_302600_NS6detail15normal_iteratorINS9_10device_ptrIsEEEESE_SE_sNS9_4plusIsEE19head_flag_predicatesEE10hipError_tPvRmT2_T3_T4_T5_mT6_T7_P12ihipStream_tbENKUlT_T0_E_clISt17integral_constantIbLb1EESY_EEDaST_SU_EUlST_E_NS1_11comp_targetILNS1_3genE10ELNS1_11target_archE1201ELNS1_3gpuE5ELNS1_3repE0EEENS1_30default_config_static_selectorELNS0_4arch9wavefront6targetE0EEEvT1_.numbered_sgpr, 0
	.set _ZN7rocprim17ROCPRIM_400000_NS6detail17trampoline_kernelINS0_14default_configENS1_27scan_by_key_config_selectorIssEEZZNS1_16scan_by_key_implILNS1_25lookback_scan_determinismE0ELb1ES3_N6thrust23THRUST_200600_302600_NS6detail15normal_iteratorINS9_10device_ptrIsEEEESE_SE_sNS9_4plusIsEE19head_flag_predicatesEE10hipError_tPvRmT2_T3_T4_T5_mT6_T7_P12ihipStream_tbENKUlT_T0_E_clISt17integral_constantIbLb1EESY_EEDaST_SU_EUlST_E_NS1_11comp_targetILNS1_3genE10ELNS1_11target_archE1201ELNS1_3gpuE5ELNS1_3repE0EEENS1_30default_config_static_selectorELNS0_4arch9wavefront6targetE0EEEvT1_.num_named_barrier, 0
	.set _ZN7rocprim17ROCPRIM_400000_NS6detail17trampoline_kernelINS0_14default_configENS1_27scan_by_key_config_selectorIssEEZZNS1_16scan_by_key_implILNS1_25lookback_scan_determinismE0ELb1ES3_N6thrust23THRUST_200600_302600_NS6detail15normal_iteratorINS9_10device_ptrIsEEEESE_SE_sNS9_4plusIsEE19head_flag_predicatesEE10hipError_tPvRmT2_T3_T4_T5_mT6_T7_P12ihipStream_tbENKUlT_T0_E_clISt17integral_constantIbLb1EESY_EEDaST_SU_EUlST_E_NS1_11comp_targetILNS1_3genE10ELNS1_11target_archE1201ELNS1_3gpuE5ELNS1_3repE0EEENS1_30default_config_static_selectorELNS0_4arch9wavefront6targetE0EEEvT1_.private_seg_size, 0
	.set _ZN7rocprim17ROCPRIM_400000_NS6detail17trampoline_kernelINS0_14default_configENS1_27scan_by_key_config_selectorIssEEZZNS1_16scan_by_key_implILNS1_25lookback_scan_determinismE0ELb1ES3_N6thrust23THRUST_200600_302600_NS6detail15normal_iteratorINS9_10device_ptrIsEEEESE_SE_sNS9_4plusIsEE19head_flag_predicatesEE10hipError_tPvRmT2_T3_T4_T5_mT6_T7_P12ihipStream_tbENKUlT_T0_E_clISt17integral_constantIbLb1EESY_EEDaST_SU_EUlST_E_NS1_11comp_targetILNS1_3genE10ELNS1_11target_archE1201ELNS1_3gpuE5ELNS1_3repE0EEENS1_30default_config_static_selectorELNS0_4arch9wavefront6targetE0EEEvT1_.uses_vcc, 0
	.set _ZN7rocprim17ROCPRIM_400000_NS6detail17trampoline_kernelINS0_14default_configENS1_27scan_by_key_config_selectorIssEEZZNS1_16scan_by_key_implILNS1_25lookback_scan_determinismE0ELb1ES3_N6thrust23THRUST_200600_302600_NS6detail15normal_iteratorINS9_10device_ptrIsEEEESE_SE_sNS9_4plusIsEE19head_flag_predicatesEE10hipError_tPvRmT2_T3_T4_T5_mT6_T7_P12ihipStream_tbENKUlT_T0_E_clISt17integral_constantIbLb1EESY_EEDaST_SU_EUlST_E_NS1_11comp_targetILNS1_3genE10ELNS1_11target_archE1201ELNS1_3gpuE5ELNS1_3repE0EEENS1_30default_config_static_selectorELNS0_4arch9wavefront6targetE0EEEvT1_.uses_flat_scratch, 0
	.set _ZN7rocprim17ROCPRIM_400000_NS6detail17trampoline_kernelINS0_14default_configENS1_27scan_by_key_config_selectorIssEEZZNS1_16scan_by_key_implILNS1_25lookback_scan_determinismE0ELb1ES3_N6thrust23THRUST_200600_302600_NS6detail15normal_iteratorINS9_10device_ptrIsEEEESE_SE_sNS9_4plusIsEE19head_flag_predicatesEE10hipError_tPvRmT2_T3_T4_T5_mT6_T7_P12ihipStream_tbENKUlT_T0_E_clISt17integral_constantIbLb1EESY_EEDaST_SU_EUlST_E_NS1_11comp_targetILNS1_3genE10ELNS1_11target_archE1201ELNS1_3gpuE5ELNS1_3repE0EEENS1_30default_config_static_selectorELNS0_4arch9wavefront6targetE0EEEvT1_.has_dyn_sized_stack, 0
	.set _ZN7rocprim17ROCPRIM_400000_NS6detail17trampoline_kernelINS0_14default_configENS1_27scan_by_key_config_selectorIssEEZZNS1_16scan_by_key_implILNS1_25lookback_scan_determinismE0ELb1ES3_N6thrust23THRUST_200600_302600_NS6detail15normal_iteratorINS9_10device_ptrIsEEEESE_SE_sNS9_4plusIsEE19head_flag_predicatesEE10hipError_tPvRmT2_T3_T4_T5_mT6_T7_P12ihipStream_tbENKUlT_T0_E_clISt17integral_constantIbLb1EESY_EEDaST_SU_EUlST_E_NS1_11comp_targetILNS1_3genE10ELNS1_11target_archE1201ELNS1_3gpuE5ELNS1_3repE0EEENS1_30default_config_static_selectorELNS0_4arch9wavefront6targetE0EEEvT1_.has_recursion, 0
	.set _ZN7rocprim17ROCPRIM_400000_NS6detail17trampoline_kernelINS0_14default_configENS1_27scan_by_key_config_selectorIssEEZZNS1_16scan_by_key_implILNS1_25lookback_scan_determinismE0ELb1ES3_N6thrust23THRUST_200600_302600_NS6detail15normal_iteratorINS9_10device_ptrIsEEEESE_SE_sNS9_4plusIsEE19head_flag_predicatesEE10hipError_tPvRmT2_T3_T4_T5_mT6_T7_P12ihipStream_tbENKUlT_T0_E_clISt17integral_constantIbLb1EESY_EEDaST_SU_EUlST_E_NS1_11comp_targetILNS1_3genE10ELNS1_11target_archE1201ELNS1_3gpuE5ELNS1_3repE0EEENS1_30default_config_static_selectorELNS0_4arch9wavefront6targetE0EEEvT1_.has_indirect_call, 0
	.section	.AMDGPU.csdata,"",@progbits
; Kernel info:
; codeLenInByte = 0
; TotalNumSgprs: 0
; NumVgprs: 0
; ScratchSize: 0
; MemoryBound: 0
; FloatMode: 240
; IeeeMode: 1
; LDSByteSize: 0 bytes/workgroup (compile time only)
; SGPRBlocks: 0
; VGPRBlocks: 0
; NumSGPRsForWavesPerEU: 1
; NumVGPRsForWavesPerEU: 1
; Occupancy: 16
; WaveLimiterHint : 0
; COMPUTE_PGM_RSRC2:SCRATCH_EN: 0
; COMPUTE_PGM_RSRC2:USER_SGPR: 6
; COMPUTE_PGM_RSRC2:TRAP_HANDLER: 0
; COMPUTE_PGM_RSRC2:TGID_X_EN: 1
; COMPUTE_PGM_RSRC2:TGID_Y_EN: 0
; COMPUTE_PGM_RSRC2:TGID_Z_EN: 0
; COMPUTE_PGM_RSRC2:TIDIG_COMP_CNT: 0
	.section	.text._ZN7rocprim17ROCPRIM_400000_NS6detail17trampoline_kernelINS0_14default_configENS1_27scan_by_key_config_selectorIssEEZZNS1_16scan_by_key_implILNS1_25lookback_scan_determinismE0ELb1ES3_N6thrust23THRUST_200600_302600_NS6detail15normal_iteratorINS9_10device_ptrIsEEEESE_SE_sNS9_4plusIsEE19head_flag_predicatesEE10hipError_tPvRmT2_T3_T4_T5_mT6_T7_P12ihipStream_tbENKUlT_T0_E_clISt17integral_constantIbLb1EESY_EEDaST_SU_EUlST_E_NS1_11comp_targetILNS1_3genE5ELNS1_11target_archE942ELNS1_3gpuE9ELNS1_3repE0EEENS1_30default_config_static_selectorELNS0_4arch9wavefront6targetE0EEEvT1_,"axG",@progbits,_ZN7rocprim17ROCPRIM_400000_NS6detail17trampoline_kernelINS0_14default_configENS1_27scan_by_key_config_selectorIssEEZZNS1_16scan_by_key_implILNS1_25lookback_scan_determinismE0ELb1ES3_N6thrust23THRUST_200600_302600_NS6detail15normal_iteratorINS9_10device_ptrIsEEEESE_SE_sNS9_4plusIsEE19head_flag_predicatesEE10hipError_tPvRmT2_T3_T4_T5_mT6_T7_P12ihipStream_tbENKUlT_T0_E_clISt17integral_constantIbLb1EESY_EEDaST_SU_EUlST_E_NS1_11comp_targetILNS1_3genE5ELNS1_11target_archE942ELNS1_3gpuE9ELNS1_3repE0EEENS1_30default_config_static_selectorELNS0_4arch9wavefront6targetE0EEEvT1_,comdat
	.protected	_ZN7rocprim17ROCPRIM_400000_NS6detail17trampoline_kernelINS0_14default_configENS1_27scan_by_key_config_selectorIssEEZZNS1_16scan_by_key_implILNS1_25lookback_scan_determinismE0ELb1ES3_N6thrust23THRUST_200600_302600_NS6detail15normal_iteratorINS9_10device_ptrIsEEEESE_SE_sNS9_4plusIsEE19head_flag_predicatesEE10hipError_tPvRmT2_T3_T4_T5_mT6_T7_P12ihipStream_tbENKUlT_T0_E_clISt17integral_constantIbLb1EESY_EEDaST_SU_EUlST_E_NS1_11comp_targetILNS1_3genE5ELNS1_11target_archE942ELNS1_3gpuE9ELNS1_3repE0EEENS1_30default_config_static_selectorELNS0_4arch9wavefront6targetE0EEEvT1_ ; -- Begin function _ZN7rocprim17ROCPRIM_400000_NS6detail17trampoline_kernelINS0_14default_configENS1_27scan_by_key_config_selectorIssEEZZNS1_16scan_by_key_implILNS1_25lookback_scan_determinismE0ELb1ES3_N6thrust23THRUST_200600_302600_NS6detail15normal_iteratorINS9_10device_ptrIsEEEESE_SE_sNS9_4plusIsEE19head_flag_predicatesEE10hipError_tPvRmT2_T3_T4_T5_mT6_T7_P12ihipStream_tbENKUlT_T0_E_clISt17integral_constantIbLb1EESY_EEDaST_SU_EUlST_E_NS1_11comp_targetILNS1_3genE5ELNS1_11target_archE942ELNS1_3gpuE9ELNS1_3repE0EEENS1_30default_config_static_selectorELNS0_4arch9wavefront6targetE0EEEvT1_
	.globl	_ZN7rocprim17ROCPRIM_400000_NS6detail17trampoline_kernelINS0_14default_configENS1_27scan_by_key_config_selectorIssEEZZNS1_16scan_by_key_implILNS1_25lookback_scan_determinismE0ELb1ES3_N6thrust23THRUST_200600_302600_NS6detail15normal_iteratorINS9_10device_ptrIsEEEESE_SE_sNS9_4plusIsEE19head_flag_predicatesEE10hipError_tPvRmT2_T3_T4_T5_mT6_T7_P12ihipStream_tbENKUlT_T0_E_clISt17integral_constantIbLb1EESY_EEDaST_SU_EUlST_E_NS1_11comp_targetILNS1_3genE5ELNS1_11target_archE942ELNS1_3gpuE9ELNS1_3repE0EEENS1_30default_config_static_selectorELNS0_4arch9wavefront6targetE0EEEvT1_
	.p2align	8
	.type	_ZN7rocprim17ROCPRIM_400000_NS6detail17trampoline_kernelINS0_14default_configENS1_27scan_by_key_config_selectorIssEEZZNS1_16scan_by_key_implILNS1_25lookback_scan_determinismE0ELb1ES3_N6thrust23THRUST_200600_302600_NS6detail15normal_iteratorINS9_10device_ptrIsEEEESE_SE_sNS9_4plusIsEE19head_flag_predicatesEE10hipError_tPvRmT2_T3_T4_T5_mT6_T7_P12ihipStream_tbENKUlT_T0_E_clISt17integral_constantIbLb1EESY_EEDaST_SU_EUlST_E_NS1_11comp_targetILNS1_3genE5ELNS1_11target_archE942ELNS1_3gpuE9ELNS1_3repE0EEENS1_30default_config_static_selectorELNS0_4arch9wavefront6targetE0EEEvT1_,@function
_ZN7rocprim17ROCPRIM_400000_NS6detail17trampoline_kernelINS0_14default_configENS1_27scan_by_key_config_selectorIssEEZZNS1_16scan_by_key_implILNS1_25lookback_scan_determinismE0ELb1ES3_N6thrust23THRUST_200600_302600_NS6detail15normal_iteratorINS9_10device_ptrIsEEEESE_SE_sNS9_4plusIsEE19head_flag_predicatesEE10hipError_tPvRmT2_T3_T4_T5_mT6_T7_P12ihipStream_tbENKUlT_T0_E_clISt17integral_constantIbLb1EESY_EEDaST_SU_EUlST_E_NS1_11comp_targetILNS1_3genE5ELNS1_11target_archE942ELNS1_3gpuE9ELNS1_3repE0EEENS1_30default_config_static_selectorELNS0_4arch9wavefront6targetE0EEEvT1_: ; @_ZN7rocprim17ROCPRIM_400000_NS6detail17trampoline_kernelINS0_14default_configENS1_27scan_by_key_config_selectorIssEEZZNS1_16scan_by_key_implILNS1_25lookback_scan_determinismE0ELb1ES3_N6thrust23THRUST_200600_302600_NS6detail15normal_iteratorINS9_10device_ptrIsEEEESE_SE_sNS9_4plusIsEE19head_flag_predicatesEE10hipError_tPvRmT2_T3_T4_T5_mT6_T7_P12ihipStream_tbENKUlT_T0_E_clISt17integral_constantIbLb1EESY_EEDaST_SU_EUlST_E_NS1_11comp_targetILNS1_3genE5ELNS1_11target_archE942ELNS1_3gpuE9ELNS1_3repE0EEENS1_30default_config_static_selectorELNS0_4arch9wavefront6targetE0EEEvT1_
; %bb.0:
	.section	.rodata,"a",@progbits
	.p2align	6, 0x0
	.amdhsa_kernel _ZN7rocprim17ROCPRIM_400000_NS6detail17trampoline_kernelINS0_14default_configENS1_27scan_by_key_config_selectorIssEEZZNS1_16scan_by_key_implILNS1_25lookback_scan_determinismE0ELb1ES3_N6thrust23THRUST_200600_302600_NS6detail15normal_iteratorINS9_10device_ptrIsEEEESE_SE_sNS9_4plusIsEE19head_flag_predicatesEE10hipError_tPvRmT2_T3_T4_T5_mT6_T7_P12ihipStream_tbENKUlT_T0_E_clISt17integral_constantIbLb1EESY_EEDaST_SU_EUlST_E_NS1_11comp_targetILNS1_3genE5ELNS1_11target_archE942ELNS1_3gpuE9ELNS1_3repE0EEENS1_30default_config_static_selectorELNS0_4arch9wavefront6targetE0EEEvT1_
		.amdhsa_group_segment_fixed_size 0
		.amdhsa_private_segment_fixed_size 0
		.amdhsa_kernarg_size 112
		.amdhsa_user_sgpr_count 6
		.amdhsa_user_sgpr_private_segment_buffer 1
		.amdhsa_user_sgpr_dispatch_ptr 0
		.amdhsa_user_sgpr_queue_ptr 0
		.amdhsa_user_sgpr_kernarg_segment_ptr 1
		.amdhsa_user_sgpr_dispatch_id 0
		.amdhsa_user_sgpr_flat_scratch_init 0
		.amdhsa_user_sgpr_private_segment_size 0
		.amdhsa_wavefront_size32 1
		.amdhsa_uses_dynamic_stack 0
		.amdhsa_system_sgpr_private_segment_wavefront_offset 0
		.amdhsa_system_sgpr_workgroup_id_x 1
		.amdhsa_system_sgpr_workgroup_id_y 0
		.amdhsa_system_sgpr_workgroup_id_z 0
		.amdhsa_system_sgpr_workgroup_info 0
		.amdhsa_system_vgpr_workitem_id 0
		.amdhsa_next_free_vgpr 1
		.amdhsa_next_free_sgpr 1
		.amdhsa_reserve_vcc 0
		.amdhsa_reserve_flat_scratch 0
		.amdhsa_float_round_mode_32 0
		.amdhsa_float_round_mode_16_64 0
		.amdhsa_float_denorm_mode_32 3
		.amdhsa_float_denorm_mode_16_64 3
		.amdhsa_dx10_clamp 1
		.amdhsa_ieee_mode 1
		.amdhsa_fp16_overflow 0
		.amdhsa_workgroup_processor_mode 1
		.amdhsa_memory_ordered 1
		.amdhsa_forward_progress 1
		.amdhsa_shared_vgpr_count 0
		.amdhsa_exception_fp_ieee_invalid_op 0
		.amdhsa_exception_fp_denorm_src 0
		.amdhsa_exception_fp_ieee_div_zero 0
		.amdhsa_exception_fp_ieee_overflow 0
		.amdhsa_exception_fp_ieee_underflow 0
		.amdhsa_exception_fp_ieee_inexact 0
		.amdhsa_exception_int_div_zero 0
	.end_amdhsa_kernel
	.section	.text._ZN7rocprim17ROCPRIM_400000_NS6detail17trampoline_kernelINS0_14default_configENS1_27scan_by_key_config_selectorIssEEZZNS1_16scan_by_key_implILNS1_25lookback_scan_determinismE0ELb1ES3_N6thrust23THRUST_200600_302600_NS6detail15normal_iteratorINS9_10device_ptrIsEEEESE_SE_sNS9_4plusIsEE19head_flag_predicatesEE10hipError_tPvRmT2_T3_T4_T5_mT6_T7_P12ihipStream_tbENKUlT_T0_E_clISt17integral_constantIbLb1EESY_EEDaST_SU_EUlST_E_NS1_11comp_targetILNS1_3genE5ELNS1_11target_archE942ELNS1_3gpuE9ELNS1_3repE0EEENS1_30default_config_static_selectorELNS0_4arch9wavefront6targetE0EEEvT1_,"axG",@progbits,_ZN7rocprim17ROCPRIM_400000_NS6detail17trampoline_kernelINS0_14default_configENS1_27scan_by_key_config_selectorIssEEZZNS1_16scan_by_key_implILNS1_25lookback_scan_determinismE0ELb1ES3_N6thrust23THRUST_200600_302600_NS6detail15normal_iteratorINS9_10device_ptrIsEEEESE_SE_sNS9_4plusIsEE19head_flag_predicatesEE10hipError_tPvRmT2_T3_T4_T5_mT6_T7_P12ihipStream_tbENKUlT_T0_E_clISt17integral_constantIbLb1EESY_EEDaST_SU_EUlST_E_NS1_11comp_targetILNS1_3genE5ELNS1_11target_archE942ELNS1_3gpuE9ELNS1_3repE0EEENS1_30default_config_static_selectorELNS0_4arch9wavefront6targetE0EEEvT1_,comdat
.Lfunc_end868:
	.size	_ZN7rocprim17ROCPRIM_400000_NS6detail17trampoline_kernelINS0_14default_configENS1_27scan_by_key_config_selectorIssEEZZNS1_16scan_by_key_implILNS1_25lookback_scan_determinismE0ELb1ES3_N6thrust23THRUST_200600_302600_NS6detail15normal_iteratorINS9_10device_ptrIsEEEESE_SE_sNS9_4plusIsEE19head_flag_predicatesEE10hipError_tPvRmT2_T3_T4_T5_mT6_T7_P12ihipStream_tbENKUlT_T0_E_clISt17integral_constantIbLb1EESY_EEDaST_SU_EUlST_E_NS1_11comp_targetILNS1_3genE5ELNS1_11target_archE942ELNS1_3gpuE9ELNS1_3repE0EEENS1_30default_config_static_selectorELNS0_4arch9wavefront6targetE0EEEvT1_, .Lfunc_end868-_ZN7rocprim17ROCPRIM_400000_NS6detail17trampoline_kernelINS0_14default_configENS1_27scan_by_key_config_selectorIssEEZZNS1_16scan_by_key_implILNS1_25lookback_scan_determinismE0ELb1ES3_N6thrust23THRUST_200600_302600_NS6detail15normal_iteratorINS9_10device_ptrIsEEEESE_SE_sNS9_4plusIsEE19head_flag_predicatesEE10hipError_tPvRmT2_T3_T4_T5_mT6_T7_P12ihipStream_tbENKUlT_T0_E_clISt17integral_constantIbLb1EESY_EEDaST_SU_EUlST_E_NS1_11comp_targetILNS1_3genE5ELNS1_11target_archE942ELNS1_3gpuE9ELNS1_3repE0EEENS1_30default_config_static_selectorELNS0_4arch9wavefront6targetE0EEEvT1_
                                        ; -- End function
	.set _ZN7rocprim17ROCPRIM_400000_NS6detail17trampoline_kernelINS0_14default_configENS1_27scan_by_key_config_selectorIssEEZZNS1_16scan_by_key_implILNS1_25lookback_scan_determinismE0ELb1ES3_N6thrust23THRUST_200600_302600_NS6detail15normal_iteratorINS9_10device_ptrIsEEEESE_SE_sNS9_4plusIsEE19head_flag_predicatesEE10hipError_tPvRmT2_T3_T4_T5_mT6_T7_P12ihipStream_tbENKUlT_T0_E_clISt17integral_constantIbLb1EESY_EEDaST_SU_EUlST_E_NS1_11comp_targetILNS1_3genE5ELNS1_11target_archE942ELNS1_3gpuE9ELNS1_3repE0EEENS1_30default_config_static_selectorELNS0_4arch9wavefront6targetE0EEEvT1_.num_vgpr, 0
	.set _ZN7rocprim17ROCPRIM_400000_NS6detail17trampoline_kernelINS0_14default_configENS1_27scan_by_key_config_selectorIssEEZZNS1_16scan_by_key_implILNS1_25lookback_scan_determinismE0ELb1ES3_N6thrust23THRUST_200600_302600_NS6detail15normal_iteratorINS9_10device_ptrIsEEEESE_SE_sNS9_4plusIsEE19head_flag_predicatesEE10hipError_tPvRmT2_T3_T4_T5_mT6_T7_P12ihipStream_tbENKUlT_T0_E_clISt17integral_constantIbLb1EESY_EEDaST_SU_EUlST_E_NS1_11comp_targetILNS1_3genE5ELNS1_11target_archE942ELNS1_3gpuE9ELNS1_3repE0EEENS1_30default_config_static_selectorELNS0_4arch9wavefront6targetE0EEEvT1_.num_agpr, 0
	.set _ZN7rocprim17ROCPRIM_400000_NS6detail17trampoline_kernelINS0_14default_configENS1_27scan_by_key_config_selectorIssEEZZNS1_16scan_by_key_implILNS1_25lookback_scan_determinismE0ELb1ES3_N6thrust23THRUST_200600_302600_NS6detail15normal_iteratorINS9_10device_ptrIsEEEESE_SE_sNS9_4plusIsEE19head_flag_predicatesEE10hipError_tPvRmT2_T3_T4_T5_mT6_T7_P12ihipStream_tbENKUlT_T0_E_clISt17integral_constantIbLb1EESY_EEDaST_SU_EUlST_E_NS1_11comp_targetILNS1_3genE5ELNS1_11target_archE942ELNS1_3gpuE9ELNS1_3repE0EEENS1_30default_config_static_selectorELNS0_4arch9wavefront6targetE0EEEvT1_.numbered_sgpr, 0
	.set _ZN7rocprim17ROCPRIM_400000_NS6detail17trampoline_kernelINS0_14default_configENS1_27scan_by_key_config_selectorIssEEZZNS1_16scan_by_key_implILNS1_25lookback_scan_determinismE0ELb1ES3_N6thrust23THRUST_200600_302600_NS6detail15normal_iteratorINS9_10device_ptrIsEEEESE_SE_sNS9_4plusIsEE19head_flag_predicatesEE10hipError_tPvRmT2_T3_T4_T5_mT6_T7_P12ihipStream_tbENKUlT_T0_E_clISt17integral_constantIbLb1EESY_EEDaST_SU_EUlST_E_NS1_11comp_targetILNS1_3genE5ELNS1_11target_archE942ELNS1_3gpuE9ELNS1_3repE0EEENS1_30default_config_static_selectorELNS0_4arch9wavefront6targetE0EEEvT1_.num_named_barrier, 0
	.set _ZN7rocprim17ROCPRIM_400000_NS6detail17trampoline_kernelINS0_14default_configENS1_27scan_by_key_config_selectorIssEEZZNS1_16scan_by_key_implILNS1_25lookback_scan_determinismE0ELb1ES3_N6thrust23THRUST_200600_302600_NS6detail15normal_iteratorINS9_10device_ptrIsEEEESE_SE_sNS9_4plusIsEE19head_flag_predicatesEE10hipError_tPvRmT2_T3_T4_T5_mT6_T7_P12ihipStream_tbENKUlT_T0_E_clISt17integral_constantIbLb1EESY_EEDaST_SU_EUlST_E_NS1_11comp_targetILNS1_3genE5ELNS1_11target_archE942ELNS1_3gpuE9ELNS1_3repE0EEENS1_30default_config_static_selectorELNS0_4arch9wavefront6targetE0EEEvT1_.private_seg_size, 0
	.set _ZN7rocprim17ROCPRIM_400000_NS6detail17trampoline_kernelINS0_14default_configENS1_27scan_by_key_config_selectorIssEEZZNS1_16scan_by_key_implILNS1_25lookback_scan_determinismE0ELb1ES3_N6thrust23THRUST_200600_302600_NS6detail15normal_iteratorINS9_10device_ptrIsEEEESE_SE_sNS9_4plusIsEE19head_flag_predicatesEE10hipError_tPvRmT2_T3_T4_T5_mT6_T7_P12ihipStream_tbENKUlT_T0_E_clISt17integral_constantIbLb1EESY_EEDaST_SU_EUlST_E_NS1_11comp_targetILNS1_3genE5ELNS1_11target_archE942ELNS1_3gpuE9ELNS1_3repE0EEENS1_30default_config_static_selectorELNS0_4arch9wavefront6targetE0EEEvT1_.uses_vcc, 0
	.set _ZN7rocprim17ROCPRIM_400000_NS6detail17trampoline_kernelINS0_14default_configENS1_27scan_by_key_config_selectorIssEEZZNS1_16scan_by_key_implILNS1_25lookback_scan_determinismE0ELb1ES3_N6thrust23THRUST_200600_302600_NS6detail15normal_iteratorINS9_10device_ptrIsEEEESE_SE_sNS9_4plusIsEE19head_flag_predicatesEE10hipError_tPvRmT2_T3_T4_T5_mT6_T7_P12ihipStream_tbENKUlT_T0_E_clISt17integral_constantIbLb1EESY_EEDaST_SU_EUlST_E_NS1_11comp_targetILNS1_3genE5ELNS1_11target_archE942ELNS1_3gpuE9ELNS1_3repE0EEENS1_30default_config_static_selectorELNS0_4arch9wavefront6targetE0EEEvT1_.uses_flat_scratch, 0
	.set _ZN7rocprim17ROCPRIM_400000_NS6detail17trampoline_kernelINS0_14default_configENS1_27scan_by_key_config_selectorIssEEZZNS1_16scan_by_key_implILNS1_25lookback_scan_determinismE0ELb1ES3_N6thrust23THRUST_200600_302600_NS6detail15normal_iteratorINS9_10device_ptrIsEEEESE_SE_sNS9_4plusIsEE19head_flag_predicatesEE10hipError_tPvRmT2_T3_T4_T5_mT6_T7_P12ihipStream_tbENKUlT_T0_E_clISt17integral_constantIbLb1EESY_EEDaST_SU_EUlST_E_NS1_11comp_targetILNS1_3genE5ELNS1_11target_archE942ELNS1_3gpuE9ELNS1_3repE0EEENS1_30default_config_static_selectorELNS0_4arch9wavefront6targetE0EEEvT1_.has_dyn_sized_stack, 0
	.set _ZN7rocprim17ROCPRIM_400000_NS6detail17trampoline_kernelINS0_14default_configENS1_27scan_by_key_config_selectorIssEEZZNS1_16scan_by_key_implILNS1_25lookback_scan_determinismE0ELb1ES3_N6thrust23THRUST_200600_302600_NS6detail15normal_iteratorINS9_10device_ptrIsEEEESE_SE_sNS9_4plusIsEE19head_flag_predicatesEE10hipError_tPvRmT2_T3_T4_T5_mT6_T7_P12ihipStream_tbENKUlT_T0_E_clISt17integral_constantIbLb1EESY_EEDaST_SU_EUlST_E_NS1_11comp_targetILNS1_3genE5ELNS1_11target_archE942ELNS1_3gpuE9ELNS1_3repE0EEENS1_30default_config_static_selectorELNS0_4arch9wavefront6targetE0EEEvT1_.has_recursion, 0
	.set _ZN7rocprim17ROCPRIM_400000_NS6detail17trampoline_kernelINS0_14default_configENS1_27scan_by_key_config_selectorIssEEZZNS1_16scan_by_key_implILNS1_25lookback_scan_determinismE0ELb1ES3_N6thrust23THRUST_200600_302600_NS6detail15normal_iteratorINS9_10device_ptrIsEEEESE_SE_sNS9_4plusIsEE19head_flag_predicatesEE10hipError_tPvRmT2_T3_T4_T5_mT6_T7_P12ihipStream_tbENKUlT_T0_E_clISt17integral_constantIbLb1EESY_EEDaST_SU_EUlST_E_NS1_11comp_targetILNS1_3genE5ELNS1_11target_archE942ELNS1_3gpuE9ELNS1_3repE0EEENS1_30default_config_static_selectorELNS0_4arch9wavefront6targetE0EEEvT1_.has_indirect_call, 0
	.section	.AMDGPU.csdata,"",@progbits
; Kernel info:
; codeLenInByte = 0
; TotalNumSgprs: 0
; NumVgprs: 0
; ScratchSize: 0
; MemoryBound: 0
; FloatMode: 240
; IeeeMode: 1
; LDSByteSize: 0 bytes/workgroup (compile time only)
; SGPRBlocks: 0
; VGPRBlocks: 0
; NumSGPRsForWavesPerEU: 1
; NumVGPRsForWavesPerEU: 1
; Occupancy: 16
; WaveLimiterHint : 0
; COMPUTE_PGM_RSRC2:SCRATCH_EN: 0
; COMPUTE_PGM_RSRC2:USER_SGPR: 6
; COMPUTE_PGM_RSRC2:TRAP_HANDLER: 0
; COMPUTE_PGM_RSRC2:TGID_X_EN: 1
; COMPUTE_PGM_RSRC2:TGID_Y_EN: 0
; COMPUTE_PGM_RSRC2:TGID_Z_EN: 0
; COMPUTE_PGM_RSRC2:TIDIG_COMP_CNT: 0
	.section	.text._ZN7rocprim17ROCPRIM_400000_NS6detail17trampoline_kernelINS0_14default_configENS1_27scan_by_key_config_selectorIssEEZZNS1_16scan_by_key_implILNS1_25lookback_scan_determinismE0ELb1ES3_N6thrust23THRUST_200600_302600_NS6detail15normal_iteratorINS9_10device_ptrIsEEEESE_SE_sNS9_4plusIsEE19head_flag_predicatesEE10hipError_tPvRmT2_T3_T4_T5_mT6_T7_P12ihipStream_tbENKUlT_T0_E_clISt17integral_constantIbLb1EESY_EEDaST_SU_EUlST_E_NS1_11comp_targetILNS1_3genE4ELNS1_11target_archE910ELNS1_3gpuE8ELNS1_3repE0EEENS1_30default_config_static_selectorELNS0_4arch9wavefront6targetE0EEEvT1_,"axG",@progbits,_ZN7rocprim17ROCPRIM_400000_NS6detail17trampoline_kernelINS0_14default_configENS1_27scan_by_key_config_selectorIssEEZZNS1_16scan_by_key_implILNS1_25lookback_scan_determinismE0ELb1ES3_N6thrust23THRUST_200600_302600_NS6detail15normal_iteratorINS9_10device_ptrIsEEEESE_SE_sNS9_4plusIsEE19head_flag_predicatesEE10hipError_tPvRmT2_T3_T4_T5_mT6_T7_P12ihipStream_tbENKUlT_T0_E_clISt17integral_constantIbLb1EESY_EEDaST_SU_EUlST_E_NS1_11comp_targetILNS1_3genE4ELNS1_11target_archE910ELNS1_3gpuE8ELNS1_3repE0EEENS1_30default_config_static_selectorELNS0_4arch9wavefront6targetE0EEEvT1_,comdat
	.protected	_ZN7rocprim17ROCPRIM_400000_NS6detail17trampoline_kernelINS0_14default_configENS1_27scan_by_key_config_selectorIssEEZZNS1_16scan_by_key_implILNS1_25lookback_scan_determinismE0ELb1ES3_N6thrust23THRUST_200600_302600_NS6detail15normal_iteratorINS9_10device_ptrIsEEEESE_SE_sNS9_4plusIsEE19head_flag_predicatesEE10hipError_tPvRmT2_T3_T4_T5_mT6_T7_P12ihipStream_tbENKUlT_T0_E_clISt17integral_constantIbLb1EESY_EEDaST_SU_EUlST_E_NS1_11comp_targetILNS1_3genE4ELNS1_11target_archE910ELNS1_3gpuE8ELNS1_3repE0EEENS1_30default_config_static_selectorELNS0_4arch9wavefront6targetE0EEEvT1_ ; -- Begin function _ZN7rocprim17ROCPRIM_400000_NS6detail17trampoline_kernelINS0_14default_configENS1_27scan_by_key_config_selectorIssEEZZNS1_16scan_by_key_implILNS1_25lookback_scan_determinismE0ELb1ES3_N6thrust23THRUST_200600_302600_NS6detail15normal_iteratorINS9_10device_ptrIsEEEESE_SE_sNS9_4plusIsEE19head_flag_predicatesEE10hipError_tPvRmT2_T3_T4_T5_mT6_T7_P12ihipStream_tbENKUlT_T0_E_clISt17integral_constantIbLb1EESY_EEDaST_SU_EUlST_E_NS1_11comp_targetILNS1_3genE4ELNS1_11target_archE910ELNS1_3gpuE8ELNS1_3repE0EEENS1_30default_config_static_selectorELNS0_4arch9wavefront6targetE0EEEvT1_
	.globl	_ZN7rocprim17ROCPRIM_400000_NS6detail17trampoline_kernelINS0_14default_configENS1_27scan_by_key_config_selectorIssEEZZNS1_16scan_by_key_implILNS1_25lookback_scan_determinismE0ELb1ES3_N6thrust23THRUST_200600_302600_NS6detail15normal_iteratorINS9_10device_ptrIsEEEESE_SE_sNS9_4plusIsEE19head_flag_predicatesEE10hipError_tPvRmT2_T3_T4_T5_mT6_T7_P12ihipStream_tbENKUlT_T0_E_clISt17integral_constantIbLb1EESY_EEDaST_SU_EUlST_E_NS1_11comp_targetILNS1_3genE4ELNS1_11target_archE910ELNS1_3gpuE8ELNS1_3repE0EEENS1_30default_config_static_selectorELNS0_4arch9wavefront6targetE0EEEvT1_
	.p2align	8
	.type	_ZN7rocprim17ROCPRIM_400000_NS6detail17trampoline_kernelINS0_14default_configENS1_27scan_by_key_config_selectorIssEEZZNS1_16scan_by_key_implILNS1_25lookback_scan_determinismE0ELb1ES3_N6thrust23THRUST_200600_302600_NS6detail15normal_iteratorINS9_10device_ptrIsEEEESE_SE_sNS9_4plusIsEE19head_flag_predicatesEE10hipError_tPvRmT2_T3_T4_T5_mT6_T7_P12ihipStream_tbENKUlT_T0_E_clISt17integral_constantIbLb1EESY_EEDaST_SU_EUlST_E_NS1_11comp_targetILNS1_3genE4ELNS1_11target_archE910ELNS1_3gpuE8ELNS1_3repE0EEENS1_30default_config_static_selectorELNS0_4arch9wavefront6targetE0EEEvT1_,@function
_ZN7rocprim17ROCPRIM_400000_NS6detail17trampoline_kernelINS0_14default_configENS1_27scan_by_key_config_selectorIssEEZZNS1_16scan_by_key_implILNS1_25lookback_scan_determinismE0ELb1ES3_N6thrust23THRUST_200600_302600_NS6detail15normal_iteratorINS9_10device_ptrIsEEEESE_SE_sNS9_4plusIsEE19head_flag_predicatesEE10hipError_tPvRmT2_T3_T4_T5_mT6_T7_P12ihipStream_tbENKUlT_T0_E_clISt17integral_constantIbLb1EESY_EEDaST_SU_EUlST_E_NS1_11comp_targetILNS1_3genE4ELNS1_11target_archE910ELNS1_3gpuE8ELNS1_3repE0EEENS1_30default_config_static_selectorELNS0_4arch9wavefront6targetE0EEEvT1_: ; @_ZN7rocprim17ROCPRIM_400000_NS6detail17trampoline_kernelINS0_14default_configENS1_27scan_by_key_config_selectorIssEEZZNS1_16scan_by_key_implILNS1_25lookback_scan_determinismE0ELb1ES3_N6thrust23THRUST_200600_302600_NS6detail15normal_iteratorINS9_10device_ptrIsEEEESE_SE_sNS9_4plusIsEE19head_flag_predicatesEE10hipError_tPvRmT2_T3_T4_T5_mT6_T7_P12ihipStream_tbENKUlT_T0_E_clISt17integral_constantIbLb1EESY_EEDaST_SU_EUlST_E_NS1_11comp_targetILNS1_3genE4ELNS1_11target_archE910ELNS1_3gpuE8ELNS1_3repE0EEENS1_30default_config_static_selectorELNS0_4arch9wavefront6targetE0EEEvT1_
; %bb.0:
	.section	.rodata,"a",@progbits
	.p2align	6, 0x0
	.amdhsa_kernel _ZN7rocprim17ROCPRIM_400000_NS6detail17trampoline_kernelINS0_14default_configENS1_27scan_by_key_config_selectorIssEEZZNS1_16scan_by_key_implILNS1_25lookback_scan_determinismE0ELb1ES3_N6thrust23THRUST_200600_302600_NS6detail15normal_iteratorINS9_10device_ptrIsEEEESE_SE_sNS9_4plusIsEE19head_flag_predicatesEE10hipError_tPvRmT2_T3_T4_T5_mT6_T7_P12ihipStream_tbENKUlT_T0_E_clISt17integral_constantIbLb1EESY_EEDaST_SU_EUlST_E_NS1_11comp_targetILNS1_3genE4ELNS1_11target_archE910ELNS1_3gpuE8ELNS1_3repE0EEENS1_30default_config_static_selectorELNS0_4arch9wavefront6targetE0EEEvT1_
		.amdhsa_group_segment_fixed_size 0
		.amdhsa_private_segment_fixed_size 0
		.amdhsa_kernarg_size 112
		.amdhsa_user_sgpr_count 6
		.amdhsa_user_sgpr_private_segment_buffer 1
		.amdhsa_user_sgpr_dispatch_ptr 0
		.amdhsa_user_sgpr_queue_ptr 0
		.amdhsa_user_sgpr_kernarg_segment_ptr 1
		.amdhsa_user_sgpr_dispatch_id 0
		.amdhsa_user_sgpr_flat_scratch_init 0
		.amdhsa_user_sgpr_private_segment_size 0
		.amdhsa_wavefront_size32 1
		.amdhsa_uses_dynamic_stack 0
		.amdhsa_system_sgpr_private_segment_wavefront_offset 0
		.amdhsa_system_sgpr_workgroup_id_x 1
		.amdhsa_system_sgpr_workgroup_id_y 0
		.amdhsa_system_sgpr_workgroup_id_z 0
		.amdhsa_system_sgpr_workgroup_info 0
		.amdhsa_system_vgpr_workitem_id 0
		.amdhsa_next_free_vgpr 1
		.amdhsa_next_free_sgpr 1
		.amdhsa_reserve_vcc 0
		.amdhsa_reserve_flat_scratch 0
		.amdhsa_float_round_mode_32 0
		.amdhsa_float_round_mode_16_64 0
		.amdhsa_float_denorm_mode_32 3
		.amdhsa_float_denorm_mode_16_64 3
		.amdhsa_dx10_clamp 1
		.amdhsa_ieee_mode 1
		.amdhsa_fp16_overflow 0
		.amdhsa_workgroup_processor_mode 1
		.amdhsa_memory_ordered 1
		.amdhsa_forward_progress 1
		.amdhsa_shared_vgpr_count 0
		.amdhsa_exception_fp_ieee_invalid_op 0
		.amdhsa_exception_fp_denorm_src 0
		.amdhsa_exception_fp_ieee_div_zero 0
		.amdhsa_exception_fp_ieee_overflow 0
		.amdhsa_exception_fp_ieee_underflow 0
		.amdhsa_exception_fp_ieee_inexact 0
		.amdhsa_exception_int_div_zero 0
	.end_amdhsa_kernel
	.section	.text._ZN7rocprim17ROCPRIM_400000_NS6detail17trampoline_kernelINS0_14default_configENS1_27scan_by_key_config_selectorIssEEZZNS1_16scan_by_key_implILNS1_25lookback_scan_determinismE0ELb1ES3_N6thrust23THRUST_200600_302600_NS6detail15normal_iteratorINS9_10device_ptrIsEEEESE_SE_sNS9_4plusIsEE19head_flag_predicatesEE10hipError_tPvRmT2_T3_T4_T5_mT6_T7_P12ihipStream_tbENKUlT_T0_E_clISt17integral_constantIbLb1EESY_EEDaST_SU_EUlST_E_NS1_11comp_targetILNS1_3genE4ELNS1_11target_archE910ELNS1_3gpuE8ELNS1_3repE0EEENS1_30default_config_static_selectorELNS0_4arch9wavefront6targetE0EEEvT1_,"axG",@progbits,_ZN7rocprim17ROCPRIM_400000_NS6detail17trampoline_kernelINS0_14default_configENS1_27scan_by_key_config_selectorIssEEZZNS1_16scan_by_key_implILNS1_25lookback_scan_determinismE0ELb1ES3_N6thrust23THRUST_200600_302600_NS6detail15normal_iteratorINS9_10device_ptrIsEEEESE_SE_sNS9_4plusIsEE19head_flag_predicatesEE10hipError_tPvRmT2_T3_T4_T5_mT6_T7_P12ihipStream_tbENKUlT_T0_E_clISt17integral_constantIbLb1EESY_EEDaST_SU_EUlST_E_NS1_11comp_targetILNS1_3genE4ELNS1_11target_archE910ELNS1_3gpuE8ELNS1_3repE0EEENS1_30default_config_static_selectorELNS0_4arch9wavefront6targetE0EEEvT1_,comdat
.Lfunc_end869:
	.size	_ZN7rocprim17ROCPRIM_400000_NS6detail17trampoline_kernelINS0_14default_configENS1_27scan_by_key_config_selectorIssEEZZNS1_16scan_by_key_implILNS1_25lookback_scan_determinismE0ELb1ES3_N6thrust23THRUST_200600_302600_NS6detail15normal_iteratorINS9_10device_ptrIsEEEESE_SE_sNS9_4plusIsEE19head_flag_predicatesEE10hipError_tPvRmT2_T3_T4_T5_mT6_T7_P12ihipStream_tbENKUlT_T0_E_clISt17integral_constantIbLb1EESY_EEDaST_SU_EUlST_E_NS1_11comp_targetILNS1_3genE4ELNS1_11target_archE910ELNS1_3gpuE8ELNS1_3repE0EEENS1_30default_config_static_selectorELNS0_4arch9wavefront6targetE0EEEvT1_, .Lfunc_end869-_ZN7rocprim17ROCPRIM_400000_NS6detail17trampoline_kernelINS0_14default_configENS1_27scan_by_key_config_selectorIssEEZZNS1_16scan_by_key_implILNS1_25lookback_scan_determinismE0ELb1ES3_N6thrust23THRUST_200600_302600_NS6detail15normal_iteratorINS9_10device_ptrIsEEEESE_SE_sNS9_4plusIsEE19head_flag_predicatesEE10hipError_tPvRmT2_T3_T4_T5_mT6_T7_P12ihipStream_tbENKUlT_T0_E_clISt17integral_constantIbLb1EESY_EEDaST_SU_EUlST_E_NS1_11comp_targetILNS1_3genE4ELNS1_11target_archE910ELNS1_3gpuE8ELNS1_3repE0EEENS1_30default_config_static_selectorELNS0_4arch9wavefront6targetE0EEEvT1_
                                        ; -- End function
	.set _ZN7rocprim17ROCPRIM_400000_NS6detail17trampoline_kernelINS0_14default_configENS1_27scan_by_key_config_selectorIssEEZZNS1_16scan_by_key_implILNS1_25lookback_scan_determinismE0ELb1ES3_N6thrust23THRUST_200600_302600_NS6detail15normal_iteratorINS9_10device_ptrIsEEEESE_SE_sNS9_4plusIsEE19head_flag_predicatesEE10hipError_tPvRmT2_T3_T4_T5_mT6_T7_P12ihipStream_tbENKUlT_T0_E_clISt17integral_constantIbLb1EESY_EEDaST_SU_EUlST_E_NS1_11comp_targetILNS1_3genE4ELNS1_11target_archE910ELNS1_3gpuE8ELNS1_3repE0EEENS1_30default_config_static_selectorELNS0_4arch9wavefront6targetE0EEEvT1_.num_vgpr, 0
	.set _ZN7rocprim17ROCPRIM_400000_NS6detail17trampoline_kernelINS0_14default_configENS1_27scan_by_key_config_selectorIssEEZZNS1_16scan_by_key_implILNS1_25lookback_scan_determinismE0ELb1ES3_N6thrust23THRUST_200600_302600_NS6detail15normal_iteratorINS9_10device_ptrIsEEEESE_SE_sNS9_4plusIsEE19head_flag_predicatesEE10hipError_tPvRmT2_T3_T4_T5_mT6_T7_P12ihipStream_tbENKUlT_T0_E_clISt17integral_constantIbLb1EESY_EEDaST_SU_EUlST_E_NS1_11comp_targetILNS1_3genE4ELNS1_11target_archE910ELNS1_3gpuE8ELNS1_3repE0EEENS1_30default_config_static_selectorELNS0_4arch9wavefront6targetE0EEEvT1_.num_agpr, 0
	.set _ZN7rocprim17ROCPRIM_400000_NS6detail17trampoline_kernelINS0_14default_configENS1_27scan_by_key_config_selectorIssEEZZNS1_16scan_by_key_implILNS1_25lookback_scan_determinismE0ELb1ES3_N6thrust23THRUST_200600_302600_NS6detail15normal_iteratorINS9_10device_ptrIsEEEESE_SE_sNS9_4plusIsEE19head_flag_predicatesEE10hipError_tPvRmT2_T3_T4_T5_mT6_T7_P12ihipStream_tbENKUlT_T0_E_clISt17integral_constantIbLb1EESY_EEDaST_SU_EUlST_E_NS1_11comp_targetILNS1_3genE4ELNS1_11target_archE910ELNS1_3gpuE8ELNS1_3repE0EEENS1_30default_config_static_selectorELNS0_4arch9wavefront6targetE0EEEvT1_.numbered_sgpr, 0
	.set _ZN7rocprim17ROCPRIM_400000_NS6detail17trampoline_kernelINS0_14default_configENS1_27scan_by_key_config_selectorIssEEZZNS1_16scan_by_key_implILNS1_25lookback_scan_determinismE0ELb1ES3_N6thrust23THRUST_200600_302600_NS6detail15normal_iteratorINS9_10device_ptrIsEEEESE_SE_sNS9_4plusIsEE19head_flag_predicatesEE10hipError_tPvRmT2_T3_T4_T5_mT6_T7_P12ihipStream_tbENKUlT_T0_E_clISt17integral_constantIbLb1EESY_EEDaST_SU_EUlST_E_NS1_11comp_targetILNS1_3genE4ELNS1_11target_archE910ELNS1_3gpuE8ELNS1_3repE0EEENS1_30default_config_static_selectorELNS0_4arch9wavefront6targetE0EEEvT1_.num_named_barrier, 0
	.set _ZN7rocprim17ROCPRIM_400000_NS6detail17trampoline_kernelINS0_14default_configENS1_27scan_by_key_config_selectorIssEEZZNS1_16scan_by_key_implILNS1_25lookback_scan_determinismE0ELb1ES3_N6thrust23THRUST_200600_302600_NS6detail15normal_iteratorINS9_10device_ptrIsEEEESE_SE_sNS9_4plusIsEE19head_flag_predicatesEE10hipError_tPvRmT2_T3_T4_T5_mT6_T7_P12ihipStream_tbENKUlT_T0_E_clISt17integral_constantIbLb1EESY_EEDaST_SU_EUlST_E_NS1_11comp_targetILNS1_3genE4ELNS1_11target_archE910ELNS1_3gpuE8ELNS1_3repE0EEENS1_30default_config_static_selectorELNS0_4arch9wavefront6targetE0EEEvT1_.private_seg_size, 0
	.set _ZN7rocprim17ROCPRIM_400000_NS6detail17trampoline_kernelINS0_14default_configENS1_27scan_by_key_config_selectorIssEEZZNS1_16scan_by_key_implILNS1_25lookback_scan_determinismE0ELb1ES3_N6thrust23THRUST_200600_302600_NS6detail15normal_iteratorINS9_10device_ptrIsEEEESE_SE_sNS9_4plusIsEE19head_flag_predicatesEE10hipError_tPvRmT2_T3_T4_T5_mT6_T7_P12ihipStream_tbENKUlT_T0_E_clISt17integral_constantIbLb1EESY_EEDaST_SU_EUlST_E_NS1_11comp_targetILNS1_3genE4ELNS1_11target_archE910ELNS1_3gpuE8ELNS1_3repE0EEENS1_30default_config_static_selectorELNS0_4arch9wavefront6targetE0EEEvT1_.uses_vcc, 0
	.set _ZN7rocprim17ROCPRIM_400000_NS6detail17trampoline_kernelINS0_14default_configENS1_27scan_by_key_config_selectorIssEEZZNS1_16scan_by_key_implILNS1_25lookback_scan_determinismE0ELb1ES3_N6thrust23THRUST_200600_302600_NS6detail15normal_iteratorINS9_10device_ptrIsEEEESE_SE_sNS9_4plusIsEE19head_flag_predicatesEE10hipError_tPvRmT2_T3_T4_T5_mT6_T7_P12ihipStream_tbENKUlT_T0_E_clISt17integral_constantIbLb1EESY_EEDaST_SU_EUlST_E_NS1_11comp_targetILNS1_3genE4ELNS1_11target_archE910ELNS1_3gpuE8ELNS1_3repE0EEENS1_30default_config_static_selectorELNS0_4arch9wavefront6targetE0EEEvT1_.uses_flat_scratch, 0
	.set _ZN7rocprim17ROCPRIM_400000_NS6detail17trampoline_kernelINS0_14default_configENS1_27scan_by_key_config_selectorIssEEZZNS1_16scan_by_key_implILNS1_25lookback_scan_determinismE0ELb1ES3_N6thrust23THRUST_200600_302600_NS6detail15normal_iteratorINS9_10device_ptrIsEEEESE_SE_sNS9_4plusIsEE19head_flag_predicatesEE10hipError_tPvRmT2_T3_T4_T5_mT6_T7_P12ihipStream_tbENKUlT_T0_E_clISt17integral_constantIbLb1EESY_EEDaST_SU_EUlST_E_NS1_11comp_targetILNS1_3genE4ELNS1_11target_archE910ELNS1_3gpuE8ELNS1_3repE0EEENS1_30default_config_static_selectorELNS0_4arch9wavefront6targetE0EEEvT1_.has_dyn_sized_stack, 0
	.set _ZN7rocprim17ROCPRIM_400000_NS6detail17trampoline_kernelINS0_14default_configENS1_27scan_by_key_config_selectorIssEEZZNS1_16scan_by_key_implILNS1_25lookback_scan_determinismE0ELb1ES3_N6thrust23THRUST_200600_302600_NS6detail15normal_iteratorINS9_10device_ptrIsEEEESE_SE_sNS9_4plusIsEE19head_flag_predicatesEE10hipError_tPvRmT2_T3_T4_T5_mT6_T7_P12ihipStream_tbENKUlT_T0_E_clISt17integral_constantIbLb1EESY_EEDaST_SU_EUlST_E_NS1_11comp_targetILNS1_3genE4ELNS1_11target_archE910ELNS1_3gpuE8ELNS1_3repE0EEENS1_30default_config_static_selectorELNS0_4arch9wavefront6targetE0EEEvT1_.has_recursion, 0
	.set _ZN7rocprim17ROCPRIM_400000_NS6detail17trampoline_kernelINS0_14default_configENS1_27scan_by_key_config_selectorIssEEZZNS1_16scan_by_key_implILNS1_25lookback_scan_determinismE0ELb1ES3_N6thrust23THRUST_200600_302600_NS6detail15normal_iteratorINS9_10device_ptrIsEEEESE_SE_sNS9_4plusIsEE19head_flag_predicatesEE10hipError_tPvRmT2_T3_T4_T5_mT6_T7_P12ihipStream_tbENKUlT_T0_E_clISt17integral_constantIbLb1EESY_EEDaST_SU_EUlST_E_NS1_11comp_targetILNS1_3genE4ELNS1_11target_archE910ELNS1_3gpuE8ELNS1_3repE0EEENS1_30default_config_static_selectorELNS0_4arch9wavefront6targetE0EEEvT1_.has_indirect_call, 0
	.section	.AMDGPU.csdata,"",@progbits
; Kernel info:
; codeLenInByte = 0
; TotalNumSgprs: 0
; NumVgprs: 0
; ScratchSize: 0
; MemoryBound: 0
; FloatMode: 240
; IeeeMode: 1
; LDSByteSize: 0 bytes/workgroup (compile time only)
; SGPRBlocks: 0
; VGPRBlocks: 0
; NumSGPRsForWavesPerEU: 1
; NumVGPRsForWavesPerEU: 1
; Occupancy: 16
; WaveLimiterHint : 0
; COMPUTE_PGM_RSRC2:SCRATCH_EN: 0
; COMPUTE_PGM_RSRC2:USER_SGPR: 6
; COMPUTE_PGM_RSRC2:TRAP_HANDLER: 0
; COMPUTE_PGM_RSRC2:TGID_X_EN: 1
; COMPUTE_PGM_RSRC2:TGID_Y_EN: 0
; COMPUTE_PGM_RSRC2:TGID_Z_EN: 0
; COMPUTE_PGM_RSRC2:TIDIG_COMP_CNT: 0
	.section	.text._ZN7rocprim17ROCPRIM_400000_NS6detail17trampoline_kernelINS0_14default_configENS1_27scan_by_key_config_selectorIssEEZZNS1_16scan_by_key_implILNS1_25lookback_scan_determinismE0ELb1ES3_N6thrust23THRUST_200600_302600_NS6detail15normal_iteratorINS9_10device_ptrIsEEEESE_SE_sNS9_4plusIsEE19head_flag_predicatesEE10hipError_tPvRmT2_T3_T4_T5_mT6_T7_P12ihipStream_tbENKUlT_T0_E_clISt17integral_constantIbLb1EESY_EEDaST_SU_EUlST_E_NS1_11comp_targetILNS1_3genE3ELNS1_11target_archE908ELNS1_3gpuE7ELNS1_3repE0EEENS1_30default_config_static_selectorELNS0_4arch9wavefront6targetE0EEEvT1_,"axG",@progbits,_ZN7rocprim17ROCPRIM_400000_NS6detail17trampoline_kernelINS0_14default_configENS1_27scan_by_key_config_selectorIssEEZZNS1_16scan_by_key_implILNS1_25lookback_scan_determinismE0ELb1ES3_N6thrust23THRUST_200600_302600_NS6detail15normal_iteratorINS9_10device_ptrIsEEEESE_SE_sNS9_4plusIsEE19head_flag_predicatesEE10hipError_tPvRmT2_T3_T4_T5_mT6_T7_P12ihipStream_tbENKUlT_T0_E_clISt17integral_constantIbLb1EESY_EEDaST_SU_EUlST_E_NS1_11comp_targetILNS1_3genE3ELNS1_11target_archE908ELNS1_3gpuE7ELNS1_3repE0EEENS1_30default_config_static_selectorELNS0_4arch9wavefront6targetE0EEEvT1_,comdat
	.protected	_ZN7rocprim17ROCPRIM_400000_NS6detail17trampoline_kernelINS0_14default_configENS1_27scan_by_key_config_selectorIssEEZZNS1_16scan_by_key_implILNS1_25lookback_scan_determinismE0ELb1ES3_N6thrust23THRUST_200600_302600_NS6detail15normal_iteratorINS9_10device_ptrIsEEEESE_SE_sNS9_4plusIsEE19head_flag_predicatesEE10hipError_tPvRmT2_T3_T4_T5_mT6_T7_P12ihipStream_tbENKUlT_T0_E_clISt17integral_constantIbLb1EESY_EEDaST_SU_EUlST_E_NS1_11comp_targetILNS1_3genE3ELNS1_11target_archE908ELNS1_3gpuE7ELNS1_3repE0EEENS1_30default_config_static_selectorELNS0_4arch9wavefront6targetE0EEEvT1_ ; -- Begin function _ZN7rocprim17ROCPRIM_400000_NS6detail17trampoline_kernelINS0_14default_configENS1_27scan_by_key_config_selectorIssEEZZNS1_16scan_by_key_implILNS1_25lookback_scan_determinismE0ELb1ES3_N6thrust23THRUST_200600_302600_NS6detail15normal_iteratorINS9_10device_ptrIsEEEESE_SE_sNS9_4plusIsEE19head_flag_predicatesEE10hipError_tPvRmT2_T3_T4_T5_mT6_T7_P12ihipStream_tbENKUlT_T0_E_clISt17integral_constantIbLb1EESY_EEDaST_SU_EUlST_E_NS1_11comp_targetILNS1_3genE3ELNS1_11target_archE908ELNS1_3gpuE7ELNS1_3repE0EEENS1_30default_config_static_selectorELNS0_4arch9wavefront6targetE0EEEvT1_
	.globl	_ZN7rocprim17ROCPRIM_400000_NS6detail17trampoline_kernelINS0_14default_configENS1_27scan_by_key_config_selectorIssEEZZNS1_16scan_by_key_implILNS1_25lookback_scan_determinismE0ELb1ES3_N6thrust23THRUST_200600_302600_NS6detail15normal_iteratorINS9_10device_ptrIsEEEESE_SE_sNS9_4plusIsEE19head_flag_predicatesEE10hipError_tPvRmT2_T3_T4_T5_mT6_T7_P12ihipStream_tbENKUlT_T0_E_clISt17integral_constantIbLb1EESY_EEDaST_SU_EUlST_E_NS1_11comp_targetILNS1_3genE3ELNS1_11target_archE908ELNS1_3gpuE7ELNS1_3repE0EEENS1_30default_config_static_selectorELNS0_4arch9wavefront6targetE0EEEvT1_
	.p2align	8
	.type	_ZN7rocprim17ROCPRIM_400000_NS6detail17trampoline_kernelINS0_14default_configENS1_27scan_by_key_config_selectorIssEEZZNS1_16scan_by_key_implILNS1_25lookback_scan_determinismE0ELb1ES3_N6thrust23THRUST_200600_302600_NS6detail15normal_iteratorINS9_10device_ptrIsEEEESE_SE_sNS9_4plusIsEE19head_flag_predicatesEE10hipError_tPvRmT2_T3_T4_T5_mT6_T7_P12ihipStream_tbENKUlT_T0_E_clISt17integral_constantIbLb1EESY_EEDaST_SU_EUlST_E_NS1_11comp_targetILNS1_3genE3ELNS1_11target_archE908ELNS1_3gpuE7ELNS1_3repE0EEENS1_30default_config_static_selectorELNS0_4arch9wavefront6targetE0EEEvT1_,@function
_ZN7rocprim17ROCPRIM_400000_NS6detail17trampoline_kernelINS0_14default_configENS1_27scan_by_key_config_selectorIssEEZZNS1_16scan_by_key_implILNS1_25lookback_scan_determinismE0ELb1ES3_N6thrust23THRUST_200600_302600_NS6detail15normal_iteratorINS9_10device_ptrIsEEEESE_SE_sNS9_4plusIsEE19head_flag_predicatesEE10hipError_tPvRmT2_T3_T4_T5_mT6_T7_P12ihipStream_tbENKUlT_T0_E_clISt17integral_constantIbLb1EESY_EEDaST_SU_EUlST_E_NS1_11comp_targetILNS1_3genE3ELNS1_11target_archE908ELNS1_3gpuE7ELNS1_3repE0EEENS1_30default_config_static_selectorELNS0_4arch9wavefront6targetE0EEEvT1_: ; @_ZN7rocprim17ROCPRIM_400000_NS6detail17trampoline_kernelINS0_14default_configENS1_27scan_by_key_config_selectorIssEEZZNS1_16scan_by_key_implILNS1_25lookback_scan_determinismE0ELb1ES3_N6thrust23THRUST_200600_302600_NS6detail15normal_iteratorINS9_10device_ptrIsEEEESE_SE_sNS9_4plusIsEE19head_flag_predicatesEE10hipError_tPvRmT2_T3_T4_T5_mT6_T7_P12ihipStream_tbENKUlT_T0_E_clISt17integral_constantIbLb1EESY_EEDaST_SU_EUlST_E_NS1_11comp_targetILNS1_3genE3ELNS1_11target_archE908ELNS1_3gpuE7ELNS1_3repE0EEENS1_30default_config_static_selectorELNS0_4arch9wavefront6targetE0EEEvT1_
; %bb.0:
	.section	.rodata,"a",@progbits
	.p2align	6, 0x0
	.amdhsa_kernel _ZN7rocprim17ROCPRIM_400000_NS6detail17trampoline_kernelINS0_14default_configENS1_27scan_by_key_config_selectorIssEEZZNS1_16scan_by_key_implILNS1_25lookback_scan_determinismE0ELb1ES3_N6thrust23THRUST_200600_302600_NS6detail15normal_iteratorINS9_10device_ptrIsEEEESE_SE_sNS9_4plusIsEE19head_flag_predicatesEE10hipError_tPvRmT2_T3_T4_T5_mT6_T7_P12ihipStream_tbENKUlT_T0_E_clISt17integral_constantIbLb1EESY_EEDaST_SU_EUlST_E_NS1_11comp_targetILNS1_3genE3ELNS1_11target_archE908ELNS1_3gpuE7ELNS1_3repE0EEENS1_30default_config_static_selectorELNS0_4arch9wavefront6targetE0EEEvT1_
		.amdhsa_group_segment_fixed_size 0
		.amdhsa_private_segment_fixed_size 0
		.amdhsa_kernarg_size 112
		.amdhsa_user_sgpr_count 6
		.amdhsa_user_sgpr_private_segment_buffer 1
		.amdhsa_user_sgpr_dispatch_ptr 0
		.amdhsa_user_sgpr_queue_ptr 0
		.amdhsa_user_sgpr_kernarg_segment_ptr 1
		.amdhsa_user_sgpr_dispatch_id 0
		.amdhsa_user_sgpr_flat_scratch_init 0
		.amdhsa_user_sgpr_private_segment_size 0
		.amdhsa_wavefront_size32 1
		.amdhsa_uses_dynamic_stack 0
		.amdhsa_system_sgpr_private_segment_wavefront_offset 0
		.amdhsa_system_sgpr_workgroup_id_x 1
		.amdhsa_system_sgpr_workgroup_id_y 0
		.amdhsa_system_sgpr_workgroup_id_z 0
		.amdhsa_system_sgpr_workgroup_info 0
		.amdhsa_system_vgpr_workitem_id 0
		.amdhsa_next_free_vgpr 1
		.amdhsa_next_free_sgpr 1
		.amdhsa_reserve_vcc 0
		.amdhsa_reserve_flat_scratch 0
		.amdhsa_float_round_mode_32 0
		.amdhsa_float_round_mode_16_64 0
		.amdhsa_float_denorm_mode_32 3
		.amdhsa_float_denorm_mode_16_64 3
		.amdhsa_dx10_clamp 1
		.amdhsa_ieee_mode 1
		.amdhsa_fp16_overflow 0
		.amdhsa_workgroup_processor_mode 1
		.amdhsa_memory_ordered 1
		.amdhsa_forward_progress 1
		.amdhsa_shared_vgpr_count 0
		.amdhsa_exception_fp_ieee_invalid_op 0
		.amdhsa_exception_fp_denorm_src 0
		.amdhsa_exception_fp_ieee_div_zero 0
		.amdhsa_exception_fp_ieee_overflow 0
		.amdhsa_exception_fp_ieee_underflow 0
		.amdhsa_exception_fp_ieee_inexact 0
		.amdhsa_exception_int_div_zero 0
	.end_amdhsa_kernel
	.section	.text._ZN7rocprim17ROCPRIM_400000_NS6detail17trampoline_kernelINS0_14default_configENS1_27scan_by_key_config_selectorIssEEZZNS1_16scan_by_key_implILNS1_25lookback_scan_determinismE0ELb1ES3_N6thrust23THRUST_200600_302600_NS6detail15normal_iteratorINS9_10device_ptrIsEEEESE_SE_sNS9_4plusIsEE19head_flag_predicatesEE10hipError_tPvRmT2_T3_T4_T5_mT6_T7_P12ihipStream_tbENKUlT_T0_E_clISt17integral_constantIbLb1EESY_EEDaST_SU_EUlST_E_NS1_11comp_targetILNS1_3genE3ELNS1_11target_archE908ELNS1_3gpuE7ELNS1_3repE0EEENS1_30default_config_static_selectorELNS0_4arch9wavefront6targetE0EEEvT1_,"axG",@progbits,_ZN7rocprim17ROCPRIM_400000_NS6detail17trampoline_kernelINS0_14default_configENS1_27scan_by_key_config_selectorIssEEZZNS1_16scan_by_key_implILNS1_25lookback_scan_determinismE0ELb1ES3_N6thrust23THRUST_200600_302600_NS6detail15normal_iteratorINS9_10device_ptrIsEEEESE_SE_sNS9_4plusIsEE19head_flag_predicatesEE10hipError_tPvRmT2_T3_T4_T5_mT6_T7_P12ihipStream_tbENKUlT_T0_E_clISt17integral_constantIbLb1EESY_EEDaST_SU_EUlST_E_NS1_11comp_targetILNS1_3genE3ELNS1_11target_archE908ELNS1_3gpuE7ELNS1_3repE0EEENS1_30default_config_static_selectorELNS0_4arch9wavefront6targetE0EEEvT1_,comdat
.Lfunc_end870:
	.size	_ZN7rocprim17ROCPRIM_400000_NS6detail17trampoline_kernelINS0_14default_configENS1_27scan_by_key_config_selectorIssEEZZNS1_16scan_by_key_implILNS1_25lookback_scan_determinismE0ELb1ES3_N6thrust23THRUST_200600_302600_NS6detail15normal_iteratorINS9_10device_ptrIsEEEESE_SE_sNS9_4plusIsEE19head_flag_predicatesEE10hipError_tPvRmT2_T3_T4_T5_mT6_T7_P12ihipStream_tbENKUlT_T0_E_clISt17integral_constantIbLb1EESY_EEDaST_SU_EUlST_E_NS1_11comp_targetILNS1_3genE3ELNS1_11target_archE908ELNS1_3gpuE7ELNS1_3repE0EEENS1_30default_config_static_selectorELNS0_4arch9wavefront6targetE0EEEvT1_, .Lfunc_end870-_ZN7rocprim17ROCPRIM_400000_NS6detail17trampoline_kernelINS0_14default_configENS1_27scan_by_key_config_selectorIssEEZZNS1_16scan_by_key_implILNS1_25lookback_scan_determinismE0ELb1ES3_N6thrust23THRUST_200600_302600_NS6detail15normal_iteratorINS9_10device_ptrIsEEEESE_SE_sNS9_4plusIsEE19head_flag_predicatesEE10hipError_tPvRmT2_T3_T4_T5_mT6_T7_P12ihipStream_tbENKUlT_T0_E_clISt17integral_constantIbLb1EESY_EEDaST_SU_EUlST_E_NS1_11comp_targetILNS1_3genE3ELNS1_11target_archE908ELNS1_3gpuE7ELNS1_3repE0EEENS1_30default_config_static_selectorELNS0_4arch9wavefront6targetE0EEEvT1_
                                        ; -- End function
	.set _ZN7rocprim17ROCPRIM_400000_NS6detail17trampoline_kernelINS0_14default_configENS1_27scan_by_key_config_selectorIssEEZZNS1_16scan_by_key_implILNS1_25lookback_scan_determinismE0ELb1ES3_N6thrust23THRUST_200600_302600_NS6detail15normal_iteratorINS9_10device_ptrIsEEEESE_SE_sNS9_4plusIsEE19head_flag_predicatesEE10hipError_tPvRmT2_T3_T4_T5_mT6_T7_P12ihipStream_tbENKUlT_T0_E_clISt17integral_constantIbLb1EESY_EEDaST_SU_EUlST_E_NS1_11comp_targetILNS1_3genE3ELNS1_11target_archE908ELNS1_3gpuE7ELNS1_3repE0EEENS1_30default_config_static_selectorELNS0_4arch9wavefront6targetE0EEEvT1_.num_vgpr, 0
	.set _ZN7rocprim17ROCPRIM_400000_NS6detail17trampoline_kernelINS0_14default_configENS1_27scan_by_key_config_selectorIssEEZZNS1_16scan_by_key_implILNS1_25lookback_scan_determinismE0ELb1ES3_N6thrust23THRUST_200600_302600_NS6detail15normal_iteratorINS9_10device_ptrIsEEEESE_SE_sNS9_4plusIsEE19head_flag_predicatesEE10hipError_tPvRmT2_T3_T4_T5_mT6_T7_P12ihipStream_tbENKUlT_T0_E_clISt17integral_constantIbLb1EESY_EEDaST_SU_EUlST_E_NS1_11comp_targetILNS1_3genE3ELNS1_11target_archE908ELNS1_3gpuE7ELNS1_3repE0EEENS1_30default_config_static_selectorELNS0_4arch9wavefront6targetE0EEEvT1_.num_agpr, 0
	.set _ZN7rocprim17ROCPRIM_400000_NS6detail17trampoline_kernelINS0_14default_configENS1_27scan_by_key_config_selectorIssEEZZNS1_16scan_by_key_implILNS1_25lookback_scan_determinismE0ELb1ES3_N6thrust23THRUST_200600_302600_NS6detail15normal_iteratorINS9_10device_ptrIsEEEESE_SE_sNS9_4plusIsEE19head_flag_predicatesEE10hipError_tPvRmT2_T3_T4_T5_mT6_T7_P12ihipStream_tbENKUlT_T0_E_clISt17integral_constantIbLb1EESY_EEDaST_SU_EUlST_E_NS1_11comp_targetILNS1_3genE3ELNS1_11target_archE908ELNS1_3gpuE7ELNS1_3repE0EEENS1_30default_config_static_selectorELNS0_4arch9wavefront6targetE0EEEvT1_.numbered_sgpr, 0
	.set _ZN7rocprim17ROCPRIM_400000_NS6detail17trampoline_kernelINS0_14default_configENS1_27scan_by_key_config_selectorIssEEZZNS1_16scan_by_key_implILNS1_25lookback_scan_determinismE0ELb1ES3_N6thrust23THRUST_200600_302600_NS6detail15normal_iteratorINS9_10device_ptrIsEEEESE_SE_sNS9_4plusIsEE19head_flag_predicatesEE10hipError_tPvRmT2_T3_T4_T5_mT6_T7_P12ihipStream_tbENKUlT_T0_E_clISt17integral_constantIbLb1EESY_EEDaST_SU_EUlST_E_NS1_11comp_targetILNS1_3genE3ELNS1_11target_archE908ELNS1_3gpuE7ELNS1_3repE0EEENS1_30default_config_static_selectorELNS0_4arch9wavefront6targetE0EEEvT1_.num_named_barrier, 0
	.set _ZN7rocprim17ROCPRIM_400000_NS6detail17trampoline_kernelINS0_14default_configENS1_27scan_by_key_config_selectorIssEEZZNS1_16scan_by_key_implILNS1_25lookback_scan_determinismE0ELb1ES3_N6thrust23THRUST_200600_302600_NS6detail15normal_iteratorINS9_10device_ptrIsEEEESE_SE_sNS9_4plusIsEE19head_flag_predicatesEE10hipError_tPvRmT2_T3_T4_T5_mT6_T7_P12ihipStream_tbENKUlT_T0_E_clISt17integral_constantIbLb1EESY_EEDaST_SU_EUlST_E_NS1_11comp_targetILNS1_3genE3ELNS1_11target_archE908ELNS1_3gpuE7ELNS1_3repE0EEENS1_30default_config_static_selectorELNS0_4arch9wavefront6targetE0EEEvT1_.private_seg_size, 0
	.set _ZN7rocprim17ROCPRIM_400000_NS6detail17trampoline_kernelINS0_14default_configENS1_27scan_by_key_config_selectorIssEEZZNS1_16scan_by_key_implILNS1_25lookback_scan_determinismE0ELb1ES3_N6thrust23THRUST_200600_302600_NS6detail15normal_iteratorINS9_10device_ptrIsEEEESE_SE_sNS9_4plusIsEE19head_flag_predicatesEE10hipError_tPvRmT2_T3_T4_T5_mT6_T7_P12ihipStream_tbENKUlT_T0_E_clISt17integral_constantIbLb1EESY_EEDaST_SU_EUlST_E_NS1_11comp_targetILNS1_3genE3ELNS1_11target_archE908ELNS1_3gpuE7ELNS1_3repE0EEENS1_30default_config_static_selectorELNS0_4arch9wavefront6targetE0EEEvT1_.uses_vcc, 0
	.set _ZN7rocprim17ROCPRIM_400000_NS6detail17trampoline_kernelINS0_14default_configENS1_27scan_by_key_config_selectorIssEEZZNS1_16scan_by_key_implILNS1_25lookback_scan_determinismE0ELb1ES3_N6thrust23THRUST_200600_302600_NS6detail15normal_iteratorINS9_10device_ptrIsEEEESE_SE_sNS9_4plusIsEE19head_flag_predicatesEE10hipError_tPvRmT2_T3_T4_T5_mT6_T7_P12ihipStream_tbENKUlT_T0_E_clISt17integral_constantIbLb1EESY_EEDaST_SU_EUlST_E_NS1_11comp_targetILNS1_3genE3ELNS1_11target_archE908ELNS1_3gpuE7ELNS1_3repE0EEENS1_30default_config_static_selectorELNS0_4arch9wavefront6targetE0EEEvT1_.uses_flat_scratch, 0
	.set _ZN7rocprim17ROCPRIM_400000_NS6detail17trampoline_kernelINS0_14default_configENS1_27scan_by_key_config_selectorIssEEZZNS1_16scan_by_key_implILNS1_25lookback_scan_determinismE0ELb1ES3_N6thrust23THRUST_200600_302600_NS6detail15normal_iteratorINS9_10device_ptrIsEEEESE_SE_sNS9_4plusIsEE19head_flag_predicatesEE10hipError_tPvRmT2_T3_T4_T5_mT6_T7_P12ihipStream_tbENKUlT_T0_E_clISt17integral_constantIbLb1EESY_EEDaST_SU_EUlST_E_NS1_11comp_targetILNS1_3genE3ELNS1_11target_archE908ELNS1_3gpuE7ELNS1_3repE0EEENS1_30default_config_static_selectorELNS0_4arch9wavefront6targetE0EEEvT1_.has_dyn_sized_stack, 0
	.set _ZN7rocprim17ROCPRIM_400000_NS6detail17trampoline_kernelINS0_14default_configENS1_27scan_by_key_config_selectorIssEEZZNS1_16scan_by_key_implILNS1_25lookback_scan_determinismE0ELb1ES3_N6thrust23THRUST_200600_302600_NS6detail15normal_iteratorINS9_10device_ptrIsEEEESE_SE_sNS9_4plusIsEE19head_flag_predicatesEE10hipError_tPvRmT2_T3_T4_T5_mT6_T7_P12ihipStream_tbENKUlT_T0_E_clISt17integral_constantIbLb1EESY_EEDaST_SU_EUlST_E_NS1_11comp_targetILNS1_3genE3ELNS1_11target_archE908ELNS1_3gpuE7ELNS1_3repE0EEENS1_30default_config_static_selectorELNS0_4arch9wavefront6targetE0EEEvT1_.has_recursion, 0
	.set _ZN7rocprim17ROCPRIM_400000_NS6detail17trampoline_kernelINS0_14default_configENS1_27scan_by_key_config_selectorIssEEZZNS1_16scan_by_key_implILNS1_25lookback_scan_determinismE0ELb1ES3_N6thrust23THRUST_200600_302600_NS6detail15normal_iteratorINS9_10device_ptrIsEEEESE_SE_sNS9_4plusIsEE19head_flag_predicatesEE10hipError_tPvRmT2_T3_T4_T5_mT6_T7_P12ihipStream_tbENKUlT_T0_E_clISt17integral_constantIbLb1EESY_EEDaST_SU_EUlST_E_NS1_11comp_targetILNS1_3genE3ELNS1_11target_archE908ELNS1_3gpuE7ELNS1_3repE0EEENS1_30default_config_static_selectorELNS0_4arch9wavefront6targetE0EEEvT1_.has_indirect_call, 0
	.section	.AMDGPU.csdata,"",@progbits
; Kernel info:
; codeLenInByte = 0
; TotalNumSgprs: 0
; NumVgprs: 0
; ScratchSize: 0
; MemoryBound: 0
; FloatMode: 240
; IeeeMode: 1
; LDSByteSize: 0 bytes/workgroup (compile time only)
; SGPRBlocks: 0
; VGPRBlocks: 0
; NumSGPRsForWavesPerEU: 1
; NumVGPRsForWavesPerEU: 1
; Occupancy: 16
; WaveLimiterHint : 0
; COMPUTE_PGM_RSRC2:SCRATCH_EN: 0
; COMPUTE_PGM_RSRC2:USER_SGPR: 6
; COMPUTE_PGM_RSRC2:TRAP_HANDLER: 0
; COMPUTE_PGM_RSRC2:TGID_X_EN: 1
; COMPUTE_PGM_RSRC2:TGID_Y_EN: 0
; COMPUTE_PGM_RSRC2:TGID_Z_EN: 0
; COMPUTE_PGM_RSRC2:TIDIG_COMP_CNT: 0
	.section	.text._ZN7rocprim17ROCPRIM_400000_NS6detail17trampoline_kernelINS0_14default_configENS1_27scan_by_key_config_selectorIssEEZZNS1_16scan_by_key_implILNS1_25lookback_scan_determinismE0ELb1ES3_N6thrust23THRUST_200600_302600_NS6detail15normal_iteratorINS9_10device_ptrIsEEEESE_SE_sNS9_4plusIsEE19head_flag_predicatesEE10hipError_tPvRmT2_T3_T4_T5_mT6_T7_P12ihipStream_tbENKUlT_T0_E_clISt17integral_constantIbLb1EESY_EEDaST_SU_EUlST_E_NS1_11comp_targetILNS1_3genE2ELNS1_11target_archE906ELNS1_3gpuE6ELNS1_3repE0EEENS1_30default_config_static_selectorELNS0_4arch9wavefront6targetE0EEEvT1_,"axG",@progbits,_ZN7rocprim17ROCPRIM_400000_NS6detail17trampoline_kernelINS0_14default_configENS1_27scan_by_key_config_selectorIssEEZZNS1_16scan_by_key_implILNS1_25lookback_scan_determinismE0ELb1ES3_N6thrust23THRUST_200600_302600_NS6detail15normal_iteratorINS9_10device_ptrIsEEEESE_SE_sNS9_4plusIsEE19head_flag_predicatesEE10hipError_tPvRmT2_T3_T4_T5_mT6_T7_P12ihipStream_tbENKUlT_T0_E_clISt17integral_constantIbLb1EESY_EEDaST_SU_EUlST_E_NS1_11comp_targetILNS1_3genE2ELNS1_11target_archE906ELNS1_3gpuE6ELNS1_3repE0EEENS1_30default_config_static_selectorELNS0_4arch9wavefront6targetE0EEEvT1_,comdat
	.protected	_ZN7rocprim17ROCPRIM_400000_NS6detail17trampoline_kernelINS0_14default_configENS1_27scan_by_key_config_selectorIssEEZZNS1_16scan_by_key_implILNS1_25lookback_scan_determinismE0ELb1ES3_N6thrust23THRUST_200600_302600_NS6detail15normal_iteratorINS9_10device_ptrIsEEEESE_SE_sNS9_4plusIsEE19head_flag_predicatesEE10hipError_tPvRmT2_T3_T4_T5_mT6_T7_P12ihipStream_tbENKUlT_T0_E_clISt17integral_constantIbLb1EESY_EEDaST_SU_EUlST_E_NS1_11comp_targetILNS1_3genE2ELNS1_11target_archE906ELNS1_3gpuE6ELNS1_3repE0EEENS1_30default_config_static_selectorELNS0_4arch9wavefront6targetE0EEEvT1_ ; -- Begin function _ZN7rocprim17ROCPRIM_400000_NS6detail17trampoline_kernelINS0_14default_configENS1_27scan_by_key_config_selectorIssEEZZNS1_16scan_by_key_implILNS1_25lookback_scan_determinismE0ELb1ES3_N6thrust23THRUST_200600_302600_NS6detail15normal_iteratorINS9_10device_ptrIsEEEESE_SE_sNS9_4plusIsEE19head_flag_predicatesEE10hipError_tPvRmT2_T3_T4_T5_mT6_T7_P12ihipStream_tbENKUlT_T0_E_clISt17integral_constantIbLb1EESY_EEDaST_SU_EUlST_E_NS1_11comp_targetILNS1_3genE2ELNS1_11target_archE906ELNS1_3gpuE6ELNS1_3repE0EEENS1_30default_config_static_selectorELNS0_4arch9wavefront6targetE0EEEvT1_
	.globl	_ZN7rocprim17ROCPRIM_400000_NS6detail17trampoline_kernelINS0_14default_configENS1_27scan_by_key_config_selectorIssEEZZNS1_16scan_by_key_implILNS1_25lookback_scan_determinismE0ELb1ES3_N6thrust23THRUST_200600_302600_NS6detail15normal_iteratorINS9_10device_ptrIsEEEESE_SE_sNS9_4plusIsEE19head_flag_predicatesEE10hipError_tPvRmT2_T3_T4_T5_mT6_T7_P12ihipStream_tbENKUlT_T0_E_clISt17integral_constantIbLb1EESY_EEDaST_SU_EUlST_E_NS1_11comp_targetILNS1_3genE2ELNS1_11target_archE906ELNS1_3gpuE6ELNS1_3repE0EEENS1_30default_config_static_selectorELNS0_4arch9wavefront6targetE0EEEvT1_
	.p2align	8
	.type	_ZN7rocprim17ROCPRIM_400000_NS6detail17trampoline_kernelINS0_14default_configENS1_27scan_by_key_config_selectorIssEEZZNS1_16scan_by_key_implILNS1_25lookback_scan_determinismE0ELb1ES3_N6thrust23THRUST_200600_302600_NS6detail15normal_iteratorINS9_10device_ptrIsEEEESE_SE_sNS9_4plusIsEE19head_flag_predicatesEE10hipError_tPvRmT2_T3_T4_T5_mT6_T7_P12ihipStream_tbENKUlT_T0_E_clISt17integral_constantIbLb1EESY_EEDaST_SU_EUlST_E_NS1_11comp_targetILNS1_3genE2ELNS1_11target_archE906ELNS1_3gpuE6ELNS1_3repE0EEENS1_30default_config_static_selectorELNS0_4arch9wavefront6targetE0EEEvT1_,@function
_ZN7rocprim17ROCPRIM_400000_NS6detail17trampoline_kernelINS0_14default_configENS1_27scan_by_key_config_selectorIssEEZZNS1_16scan_by_key_implILNS1_25lookback_scan_determinismE0ELb1ES3_N6thrust23THRUST_200600_302600_NS6detail15normal_iteratorINS9_10device_ptrIsEEEESE_SE_sNS9_4plusIsEE19head_flag_predicatesEE10hipError_tPvRmT2_T3_T4_T5_mT6_T7_P12ihipStream_tbENKUlT_T0_E_clISt17integral_constantIbLb1EESY_EEDaST_SU_EUlST_E_NS1_11comp_targetILNS1_3genE2ELNS1_11target_archE906ELNS1_3gpuE6ELNS1_3repE0EEENS1_30default_config_static_selectorELNS0_4arch9wavefront6targetE0EEEvT1_: ; @_ZN7rocprim17ROCPRIM_400000_NS6detail17trampoline_kernelINS0_14default_configENS1_27scan_by_key_config_selectorIssEEZZNS1_16scan_by_key_implILNS1_25lookback_scan_determinismE0ELb1ES3_N6thrust23THRUST_200600_302600_NS6detail15normal_iteratorINS9_10device_ptrIsEEEESE_SE_sNS9_4plusIsEE19head_flag_predicatesEE10hipError_tPvRmT2_T3_T4_T5_mT6_T7_P12ihipStream_tbENKUlT_T0_E_clISt17integral_constantIbLb1EESY_EEDaST_SU_EUlST_E_NS1_11comp_targetILNS1_3genE2ELNS1_11target_archE906ELNS1_3gpuE6ELNS1_3repE0EEENS1_30default_config_static_selectorELNS0_4arch9wavefront6targetE0EEEvT1_
; %bb.0:
	.section	.rodata,"a",@progbits
	.p2align	6, 0x0
	.amdhsa_kernel _ZN7rocprim17ROCPRIM_400000_NS6detail17trampoline_kernelINS0_14default_configENS1_27scan_by_key_config_selectorIssEEZZNS1_16scan_by_key_implILNS1_25lookback_scan_determinismE0ELb1ES3_N6thrust23THRUST_200600_302600_NS6detail15normal_iteratorINS9_10device_ptrIsEEEESE_SE_sNS9_4plusIsEE19head_flag_predicatesEE10hipError_tPvRmT2_T3_T4_T5_mT6_T7_P12ihipStream_tbENKUlT_T0_E_clISt17integral_constantIbLb1EESY_EEDaST_SU_EUlST_E_NS1_11comp_targetILNS1_3genE2ELNS1_11target_archE906ELNS1_3gpuE6ELNS1_3repE0EEENS1_30default_config_static_selectorELNS0_4arch9wavefront6targetE0EEEvT1_
		.amdhsa_group_segment_fixed_size 0
		.amdhsa_private_segment_fixed_size 0
		.amdhsa_kernarg_size 112
		.amdhsa_user_sgpr_count 6
		.amdhsa_user_sgpr_private_segment_buffer 1
		.amdhsa_user_sgpr_dispatch_ptr 0
		.amdhsa_user_sgpr_queue_ptr 0
		.amdhsa_user_sgpr_kernarg_segment_ptr 1
		.amdhsa_user_sgpr_dispatch_id 0
		.amdhsa_user_sgpr_flat_scratch_init 0
		.amdhsa_user_sgpr_private_segment_size 0
		.amdhsa_wavefront_size32 1
		.amdhsa_uses_dynamic_stack 0
		.amdhsa_system_sgpr_private_segment_wavefront_offset 0
		.amdhsa_system_sgpr_workgroup_id_x 1
		.amdhsa_system_sgpr_workgroup_id_y 0
		.amdhsa_system_sgpr_workgroup_id_z 0
		.amdhsa_system_sgpr_workgroup_info 0
		.amdhsa_system_vgpr_workitem_id 0
		.amdhsa_next_free_vgpr 1
		.amdhsa_next_free_sgpr 1
		.amdhsa_reserve_vcc 0
		.amdhsa_reserve_flat_scratch 0
		.amdhsa_float_round_mode_32 0
		.amdhsa_float_round_mode_16_64 0
		.amdhsa_float_denorm_mode_32 3
		.amdhsa_float_denorm_mode_16_64 3
		.amdhsa_dx10_clamp 1
		.amdhsa_ieee_mode 1
		.amdhsa_fp16_overflow 0
		.amdhsa_workgroup_processor_mode 1
		.amdhsa_memory_ordered 1
		.amdhsa_forward_progress 1
		.amdhsa_shared_vgpr_count 0
		.amdhsa_exception_fp_ieee_invalid_op 0
		.amdhsa_exception_fp_denorm_src 0
		.amdhsa_exception_fp_ieee_div_zero 0
		.amdhsa_exception_fp_ieee_overflow 0
		.amdhsa_exception_fp_ieee_underflow 0
		.amdhsa_exception_fp_ieee_inexact 0
		.amdhsa_exception_int_div_zero 0
	.end_amdhsa_kernel
	.section	.text._ZN7rocprim17ROCPRIM_400000_NS6detail17trampoline_kernelINS0_14default_configENS1_27scan_by_key_config_selectorIssEEZZNS1_16scan_by_key_implILNS1_25lookback_scan_determinismE0ELb1ES3_N6thrust23THRUST_200600_302600_NS6detail15normal_iteratorINS9_10device_ptrIsEEEESE_SE_sNS9_4plusIsEE19head_flag_predicatesEE10hipError_tPvRmT2_T3_T4_T5_mT6_T7_P12ihipStream_tbENKUlT_T0_E_clISt17integral_constantIbLb1EESY_EEDaST_SU_EUlST_E_NS1_11comp_targetILNS1_3genE2ELNS1_11target_archE906ELNS1_3gpuE6ELNS1_3repE0EEENS1_30default_config_static_selectorELNS0_4arch9wavefront6targetE0EEEvT1_,"axG",@progbits,_ZN7rocprim17ROCPRIM_400000_NS6detail17trampoline_kernelINS0_14default_configENS1_27scan_by_key_config_selectorIssEEZZNS1_16scan_by_key_implILNS1_25lookback_scan_determinismE0ELb1ES3_N6thrust23THRUST_200600_302600_NS6detail15normal_iteratorINS9_10device_ptrIsEEEESE_SE_sNS9_4plusIsEE19head_flag_predicatesEE10hipError_tPvRmT2_T3_T4_T5_mT6_T7_P12ihipStream_tbENKUlT_T0_E_clISt17integral_constantIbLb1EESY_EEDaST_SU_EUlST_E_NS1_11comp_targetILNS1_3genE2ELNS1_11target_archE906ELNS1_3gpuE6ELNS1_3repE0EEENS1_30default_config_static_selectorELNS0_4arch9wavefront6targetE0EEEvT1_,comdat
.Lfunc_end871:
	.size	_ZN7rocprim17ROCPRIM_400000_NS6detail17trampoline_kernelINS0_14default_configENS1_27scan_by_key_config_selectorIssEEZZNS1_16scan_by_key_implILNS1_25lookback_scan_determinismE0ELb1ES3_N6thrust23THRUST_200600_302600_NS6detail15normal_iteratorINS9_10device_ptrIsEEEESE_SE_sNS9_4plusIsEE19head_flag_predicatesEE10hipError_tPvRmT2_T3_T4_T5_mT6_T7_P12ihipStream_tbENKUlT_T0_E_clISt17integral_constantIbLb1EESY_EEDaST_SU_EUlST_E_NS1_11comp_targetILNS1_3genE2ELNS1_11target_archE906ELNS1_3gpuE6ELNS1_3repE0EEENS1_30default_config_static_selectorELNS0_4arch9wavefront6targetE0EEEvT1_, .Lfunc_end871-_ZN7rocprim17ROCPRIM_400000_NS6detail17trampoline_kernelINS0_14default_configENS1_27scan_by_key_config_selectorIssEEZZNS1_16scan_by_key_implILNS1_25lookback_scan_determinismE0ELb1ES3_N6thrust23THRUST_200600_302600_NS6detail15normal_iteratorINS9_10device_ptrIsEEEESE_SE_sNS9_4plusIsEE19head_flag_predicatesEE10hipError_tPvRmT2_T3_T4_T5_mT6_T7_P12ihipStream_tbENKUlT_T0_E_clISt17integral_constantIbLb1EESY_EEDaST_SU_EUlST_E_NS1_11comp_targetILNS1_3genE2ELNS1_11target_archE906ELNS1_3gpuE6ELNS1_3repE0EEENS1_30default_config_static_selectorELNS0_4arch9wavefront6targetE0EEEvT1_
                                        ; -- End function
	.set _ZN7rocprim17ROCPRIM_400000_NS6detail17trampoline_kernelINS0_14default_configENS1_27scan_by_key_config_selectorIssEEZZNS1_16scan_by_key_implILNS1_25lookback_scan_determinismE0ELb1ES3_N6thrust23THRUST_200600_302600_NS6detail15normal_iteratorINS9_10device_ptrIsEEEESE_SE_sNS9_4plusIsEE19head_flag_predicatesEE10hipError_tPvRmT2_T3_T4_T5_mT6_T7_P12ihipStream_tbENKUlT_T0_E_clISt17integral_constantIbLb1EESY_EEDaST_SU_EUlST_E_NS1_11comp_targetILNS1_3genE2ELNS1_11target_archE906ELNS1_3gpuE6ELNS1_3repE0EEENS1_30default_config_static_selectorELNS0_4arch9wavefront6targetE0EEEvT1_.num_vgpr, 0
	.set _ZN7rocprim17ROCPRIM_400000_NS6detail17trampoline_kernelINS0_14default_configENS1_27scan_by_key_config_selectorIssEEZZNS1_16scan_by_key_implILNS1_25lookback_scan_determinismE0ELb1ES3_N6thrust23THRUST_200600_302600_NS6detail15normal_iteratorINS9_10device_ptrIsEEEESE_SE_sNS9_4plusIsEE19head_flag_predicatesEE10hipError_tPvRmT2_T3_T4_T5_mT6_T7_P12ihipStream_tbENKUlT_T0_E_clISt17integral_constantIbLb1EESY_EEDaST_SU_EUlST_E_NS1_11comp_targetILNS1_3genE2ELNS1_11target_archE906ELNS1_3gpuE6ELNS1_3repE0EEENS1_30default_config_static_selectorELNS0_4arch9wavefront6targetE0EEEvT1_.num_agpr, 0
	.set _ZN7rocprim17ROCPRIM_400000_NS6detail17trampoline_kernelINS0_14default_configENS1_27scan_by_key_config_selectorIssEEZZNS1_16scan_by_key_implILNS1_25lookback_scan_determinismE0ELb1ES3_N6thrust23THRUST_200600_302600_NS6detail15normal_iteratorINS9_10device_ptrIsEEEESE_SE_sNS9_4plusIsEE19head_flag_predicatesEE10hipError_tPvRmT2_T3_T4_T5_mT6_T7_P12ihipStream_tbENKUlT_T0_E_clISt17integral_constantIbLb1EESY_EEDaST_SU_EUlST_E_NS1_11comp_targetILNS1_3genE2ELNS1_11target_archE906ELNS1_3gpuE6ELNS1_3repE0EEENS1_30default_config_static_selectorELNS0_4arch9wavefront6targetE0EEEvT1_.numbered_sgpr, 0
	.set _ZN7rocprim17ROCPRIM_400000_NS6detail17trampoline_kernelINS0_14default_configENS1_27scan_by_key_config_selectorIssEEZZNS1_16scan_by_key_implILNS1_25lookback_scan_determinismE0ELb1ES3_N6thrust23THRUST_200600_302600_NS6detail15normal_iteratorINS9_10device_ptrIsEEEESE_SE_sNS9_4plusIsEE19head_flag_predicatesEE10hipError_tPvRmT2_T3_T4_T5_mT6_T7_P12ihipStream_tbENKUlT_T0_E_clISt17integral_constantIbLb1EESY_EEDaST_SU_EUlST_E_NS1_11comp_targetILNS1_3genE2ELNS1_11target_archE906ELNS1_3gpuE6ELNS1_3repE0EEENS1_30default_config_static_selectorELNS0_4arch9wavefront6targetE0EEEvT1_.num_named_barrier, 0
	.set _ZN7rocprim17ROCPRIM_400000_NS6detail17trampoline_kernelINS0_14default_configENS1_27scan_by_key_config_selectorIssEEZZNS1_16scan_by_key_implILNS1_25lookback_scan_determinismE0ELb1ES3_N6thrust23THRUST_200600_302600_NS6detail15normal_iteratorINS9_10device_ptrIsEEEESE_SE_sNS9_4plusIsEE19head_flag_predicatesEE10hipError_tPvRmT2_T3_T4_T5_mT6_T7_P12ihipStream_tbENKUlT_T0_E_clISt17integral_constantIbLb1EESY_EEDaST_SU_EUlST_E_NS1_11comp_targetILNS1_3genE2ELNS1_11target_archE906ELNS1_3gpuE6ELNS1_3repE0EEENS1_30default_config_static_selectorELNS0_4arch9wavefront6targetE0EEEvT1_.private_seg_size, 0
	.set _ZN7rocprim17ROCPRIM_400000_NS6detail17trampoline_kernelINS0_14default_configENS1_27scan_by_key_config_selectorIssEEZZNS1_16scan_by_key_implILNS1_25lookback_scan_determinismE0ELb1ES3_N6thrust23THRUST_200600_302600_NS6detail15normal_iteratorINS9_10device_ptrIsEEEESE_SE_sNS9_4plusIsEE19head_flag_predicatesEE10hipError_tPvRmT2_T3_T4_T5_mT6_T7_P12ihipStream_tbENKUlT_T0_E_clISt17integral_constantIbLb1EESY_EEDaST_SU_EUlST_E_NS1_11comp_targetILNS1_3genE2ELNS1_11target_archE906ELNS1_3gpuE6ELNS1_3repE0EEENS1_30default_config_static_selectorELNS0_4arch9wavefront6targetE0EEEvT1_.uses_vcc, 0
	.set _ZN7rocprim17ROCPRIM_400000_NS6detail17trampoline_kernelINS0_14default_configENS1_27scan_by_key_config_selectorIssEEZZNS1_16scan_by_key_implILNS1_25lookback_scan_determinismE0ELb1ES3_N6thrust23THRUST_200600_302600_NS6detail15normal_iteratorINS9_10device_ptrIsEEEESE_SE_sNS9_4plusIsEE19head_flag_predicatesEE10hipError_tPvRmT2_T3_T4_T5_mT6_T7_P12ihipStream_tbENKUlT_T0_E_clISt17integral_constantIbLb1EESY_EEDaST_SU_EUlST_E_NS1_11comp_targetILNS1_3genE2ELNS1_11target_archE906ELNS1_3gpuE6ELNS1_3repE0EEENS1_30default_config_static_selectorELNS0_4arch9wavefront6targetE0EEEvT1_.uses_flat_scratch, 0
	.set _ZN7rocprim17ROCPRIM_400000_NS6detail17trampoline_kernelINS0_14default_configENS1_27scan_by_key_config_selectorIssEEZZNS1_16scan_by_key_implILNS1_25lookback_scan_determinismE0ELb1ES3_N6thrust23THRUST_200600_302600_NS6detail15normal_iteratorINS9_10device_ptrIsEEEESE_SE_sNS9_4plusIsEE19head_flag_predicatesEE10hipError_tPvRmT2_T3_T4_T5_mT6_T7_P12ihipStream_tbENKUlT_T0_E_clISt17integral_constantIbLb1EESY_EEDaST_SU_EUlST_E_NS1_11comp_targetILNS1_3genE2ELNS1_11target_archE906ELNS1_3gpuE6ELNS1_3repE0EEENS1_30default_config_static_selectorELNS0_4arch9wavefront6targetE0EEEvT1_.has_dyn_sized_stack, 0
	.set _ZN7rocprim17ROCPRIM_400000_NS6detail17trampoline_kernelINS0_14default_configENS1_27scan_by_key_config_selectorIssEEZZNS1_16scan_by_key_implILNS1_25lookback_scan_determinismE0ELb1ES3_N6thrust23THRUST_200600_302600_NS6detail15normal_iteratorINS9_10device_ptrIsEEEESE_SE_sNS9_4plusIsEE19head_flag_predicatesEE10hipError_tPvRmT2_T3_T4_T5_mT6_T7_P12ihipStream_tbENKUlT_T0_E_clISt17integral_constantIbLb1EESY_EEDaST_SU_EUlST_E_NS1_11comp_targetILNS1_3genE2ELNS1_11target_archE906ELNS1_3gpuE6ELNS1_3repE0EEENS1_30default_config_static_selectorELNS0_4arch9wavefront6targetE0EEEvT1_.has_recursion, 0
	.set _ZN7rocprim17ROCPRIM_400000_NS6detail17trampoline_kernelINS0_14default_configENS1_27scan_by_key_config_selectorIssEEZZNS1_16scan_by_key_implILNS1_25lookback_scan_determinismE0ELb1ES3_N6thrust23THRUST_200600_302600_NS6detail15normal_iteratorINS9_10device_ptrIsEEEESE_SE_sNS9_4plusIsEE19head_flag_predicatesEE10hipError_tPvRmT2_T3_T4_T5_mT6_T7_P12ihipStream_tbENKUlT_T0_E_clISt17integral_constantIbLb1EESY_EEDaST_SU_EUlST_E_NS1_11comp_targetILNS1_3genE2ELNS1_11target_archE906ELNS1_3gpuE6ELNS1_3repE0EEENS1_30default_config_static_selectorELNS0_4arch9wavefront6targetE0EEEvT1_.has_indirect_call, 0
	.section	.AMDGPU.csdata,"",@progbits
; Kernel info:
; codeLenInByte = 0
; TotalNumSgprs: 0
; NumVgprs: 0
; ScratchSize: 0
; MemoryBound: 0
; FloatMode: 240
; IeeeMode: 1
; LDSByteSize: 0 bytes/workgroup (compile time only)
; SGPRBlocks: 0
; VGPRBlocks: 0
; NumSGPRsForWavesPerEU: 1
; NumVGPRsForWavesPerEU: 1
; Occupancy: 16
; WaveLimiterHint : 0
; COMPUTE_PGM_RSRC2:SCRATCH_EN: 0
; COMPUTE_PGM_RSRC2:USER_SGPR: 6
; COMPUTE_PGM_RSRC2:TRAP_HANDLER: 0
; COMPUTE_PGM_RSRC2:TGID_X_EN: 1
; COMPUTE_PGM_RSRC2:TGID_Y_EN: 0
; COMPUTE_PGM_RSRC2:TGID_Z_EN: 0
; COMPUTE_PGM_RSRC2:TIDIG_COMP_CNT: 0
	.section	.text._ZN7rocprim17ROCPRIM_400000_NS6detail17trampoline_kernelINS0_14default_configENS1_27scan_by_key_config_selectorIssEEZZNS1_16scan_by_key_implILNS1_25lookback_scan_determinismE0ELb1ES3_N6thrust23THRUST_200600_302600_NS6detail15normal_iteratorINS9_10device_ptrIsEEEESE_SE_sNS9_4plusIsEE19head_flag_predicatesEE10hipError_tPvRmT2_T3_T4_T5_mT6_T7_P12ihipStream_tbENKUlT_T0_E_clISt17integral_constantIbLb1EESY_EEDaST_SU_EUlST_E_NS1_11comp_targetILNS1_3genE10ELNS1_11target_archE1200ELNS1_3gpuE4ELNS1_3repE0EEENS1_30default_config_static_selectorELNS0_4arch9wavefront6targetE0EEEvT1_,"axG",@progbits,_ZN7rocprim17ROCPRIM_400000_NS6detail17trampoline_kernelINS0_14default_configENS1_27scan_by_key_config_selectorIssEEZZNS1_16scan_by_key_implILNS1_25lookback_scan_determinismE0ELb1ES3_N6thrust23THRUST_200600_302600_NS6detail15normal_iteratorINS9_10device_ptrIsEEEESE_SE_sNS9_4plusIsEE19head_flag_predicatesEE10hipError_tPvRmT2_T3_T4_T5_mT6_T7_P12ihipStream_tbENKUlT_T0_E_clISt17integral_constantIbLb1EESY_EEDaST_SU_EUlST_E_NS1_11comp_targetILNS1_3genE10ELNS1_11target_archE1200ELNS1_3gpuE4ELNS1_3repE0EEENS1_30default_config_static_selectorELNS0_4arch9wavefront6targetE0EEEvT1_,comdat
	.protected	_ZN7rocprim17ROCPRIM_400000_NS6detail17trampoline_kernelINS0_14default_configENS1_27scan_by_key_config_selectorIssEEZZNS1_16scan_by_key_implILNS1_25lookback_scan_determinismE0ELb1ES3_N6thrust23THRUST_200600_302600_NS6detail15normal_iteratorINS9_10device_ptrIsEEEESE_SE_sNS9_4plusIsEE19head_flag_predicatesEE10hipError_tPvRmT2_T3_T4_T5_mT6_T7_P12ihipStream_tbENKUlT_T0_E_clISt17integral_constantIbLb1EESY_EEDaST_SU_EUlST_E_NS1_11comp_targetILNS1_3genE10ELNS1_11target_archE1200ELNS1_3gpuE4ELNS1_3repE0EEENS1_30default_config_static_selectorELNS0_4arch9wavefront6targetE0EEEvT1_ ; -- Begin function _ZN7rocprim17ROCPRIM_400000_NS6detail17trampoline_kernelINS0_14default_configENS1_27scan_by_key_config_selectorIssEEZZNS1_16scan_by_key_implILNS1_25lookback_scan_determinismE0ELb1ES3_N6thrust23THRUST_200600_302600_NS6detail15normal_iteratorINS9_10device_ptrIsEEEESE_SE_sNS9_4plusIsEE19head_flag_predicatesEE10hipError_tPvRmT2_T3_T4_T5_mT6_T7_P12ihipStream_tbENKUlT_T0_E_clISt17integral_constantIbLb1EESY_EEDaST_SU_EUlST_E_NS1_11comp_targetILNS1_3genE10ELNS1_11target_archE1200ELNS1_3gpuE4ELNS1_3repE0EEENS1_30default_config_static_selectorELNS0_4arch9wavefront6targetE0EEEvT1_
	.globl	_ZN7rocprim17ROCPRIM_400000_NS6detail17trampoline_kernelINS0_14default_configENS1_27scan_by_key_config_selectorIssEEZZNS1_16scan_by_key_implILNS1_25lookback_scan_determinismE0ELb1ES3_N6thrust23THRUST_200600_302600_NS6detail15normal_iteratorINS9_10device_ptrIsEEEESE_SE_sNS9_4plusIsEE19head_flag_predicatesEE10hipError_tPvRmT2_T3_T4_T5_mT6_T7_P12ihipStream_tbENKUlT_T0_E_clISt17integral_constantIbLb1EESY_EEDaST_SU_EUlST_E_NS1_11comp_targetILNS1_3genE10ELNS1_11target_archE1200ELNS1_3gpuE4ELNS1_3repE0EEENS1_30default_config_static_selectorELNS0_4arch9wavefront6targetE0EEEvT1_
	.p2align	8
	.type	_ZN7rocprim17ROCPRIM_400000_NS6detail17trampoline_kernelINS0_14default_configENS1_27scan_by_key_config_selectorIssEEZZNS1_16scan_by_key_implILNS1_25lookback_scan_determinismE0ELb1ES3_N6thrust23THRUST_200600_302600_NS6detail15normal_iteratorINS9_10device_ptrIsEEEESE_SE_sNS9_4plusIsEE19head_flag_predicatesEE10hipError_tPvRmT2_T3_T4_T5_mT6_T7_P12ihipStream_tbENKUlT_T0_E_clISt17integral_constantIbLb1EESY_EEDaST_SU_EUlST_E_NS1_11comp_targetILNS1_3genE10ELNS1_11target_archE1200ELNS1_3gpuE4ELNS1_3repE0EEENS1_30default_config_static_selectorELNS0_4arch9wavefront6targetE0EEEvT1_,@function
_ZN7rocprim17ROCPRIM_400000_NS6detail17trampoline_kernelINS0_14default_configENS1_27scan_by_key_config_selectorIssEEZZNS1_16scan_by_key_implILNS1_25lookback_scan_determinismE0ELb1ES3_N6thrust23THRUST_200600_302600_NS6detail15normal_iteratorINS9_10device_ptrIsEEEESE_SE_sNS9_4plusIsEE19head_flag_predicatesEE10hipError_tPvRmT2_T3_T4_T5_mT6_T7_P12ihipStream_tbENKUlT_T0_E_clISt17integral_constantIbLb1EESY_EEDaST_SU_EUlST_E_NS1_11comp_targetILNS1_3genE10ELNS1_11target_archE1200ELNS1_3gpuE4ELNS1_3repE0EEENS1_30default_config_static_selectorELNS0_4arch9wavefront6targetE0EEEvT1_: ; @_ZN7rocprim17ROCPRIM_400000_NS6detail17trampoline_kernelINS0_14default_configENS1_27scan_by_key_config_selectorIssEEZZNS1_16scan_by_key_implILNS1_25lookback_scan_determinismE0ELb1ES3_N6thrust23THRUST_200600_302600_NS6detail15normal_iteratorINS9_10device_ptrIsEEEESE_SE_sNS9_4plusIsEE19head_flag_predicatesEE10hipError_tPvRmT2_T3_T4_T5_mT6_T7_P12ihipStream_tbENKUlT_T0_E_clISt17integral_constantIbLb1EESY_EEDaST_SU_EUlST_E_NS1_11comp_targetILNS1_3genE10ELNS1_11target_archE1200ELNS1_3gpuE4ELNS1_3repE0EEENS1_30default_config_static_selectorELNS0_4arch9wavefront6targetE0EEEvT1_
; %bb.0:
	.section	.rodata,"a",@progbits
	.p2align	6, 0x0
	.amdhsa_kernel _ZN7rocprim17ROCPRIM_400000_NS6detail17trampoline_kernelINS0_14default_configENS1_27scan_by_key_config_selectorIssEEZZNS1_16scan_by_key_implILNS1_25lookback_scan_determinismE0ELb1ES3_N6thrust23THRUST_200600_302600_NS6detail15normal_iteratorINS9_10device_ptrIsEEEESE_SE_sNS9_4plusIsEE19head_flag_predicatesEE10hipError_tPvRmT2_T3_T4_T5_mT6_T7_P12ihipStream_tbENKUlT_T0_E_clISt17integral_constantIbLb1EESY_EEDaST_SU_EUlST_E_NS1_11comp_targetILNS1_3genE10ELNS1_11target_archE1200ELNS1_3gpuE4ELNS1_3repE0EEENS1_30default_config_static_selectorELNS0_4arch9wavefront6targetE0EEEvT1_
		.amdhsa_group_segment_fixed_size 0
		.amdhsa_private_segment_fixed_size 0
		.amdhsa_kernarg_size 112
		.amdhsa_user_sgpr_count 6
		.amdhsa_user_sgpr_private_segment_buffer 1
		.amdhsa_user_sgpr_dispatch_ptr 0
		.amdhsa_user_sgpr_queue_ptr 0
		.amdhsa_user_sgpr_kernarg_segment_ptr 1
		.amdhsa_user_sgpr_dispatch_id 0
		.amdhsa_user_sgpr_flat_scratch_init 0
		.amdhsa_user_sgpr_private_segment_size 0
		.amdhsa_wavefront_size32 1
		.amdhsa_uses_dynamic_stack 0
		.amdhsa_system_sgpr_private_segment_wavefront_offset 0
		.amdhsa_system_sgpr_workgroup_id_x 1
		.amdhsa_system_sgpr_workgroup_id_y 0
		.amdhsa_system_sgpr_workgroup_id_z 0
		.amdhsa_system_sgpr_workgroup_info 0
		.amdhsa_system_vgpr_workitem_id 0
		.amdhsa_next_free_vgpr 1
		.amdhsa_next_free_sgpr 1
		.amdhsa_reserve_vcc 0
		.amdhsa_reserve_flat_scratch 0
		.amdhsa_float_round_mode_32 0
		.amdhsa_float_round_mode_16_64 0
		.amdhsa_float_denorm_mode_32 3
		.amdhsa_float_denorm_mode_16_64 3
		.amdhsa_dx10_clamp 1
		.amdhsa_ieee_mode 1
		.amdhsa_fp16_overflow 0
		.amdhsa_workgroup_processor_mode 1
		.amdhsa_memory_ordered 1
		.amdhsa_forward_progress 1
		.amdhsa_shared_vgpr_count 0
		.amdhsa_exception_fp_ieee_invalid_op 0
		.amdhsa_exception_fp_denorm_src 0
		.amdhsa_exception_fp_ieee_div_zero 0
		.amdhsa_exception_fp_ieee_overflow 0
		.amdhsa_exception_fp_ieee_underflow 0
		.amdhsa_exception_fp_ieee_inexact 0
		.amdhsa_exception_int_div_zero 0
	.end_amdhsa_kernel
	.section	.text._ZN7rocprim17ROCPRIM_400000_NS6detail17trampoline_kernelINS0_14default_configENS1_27scan_by_key_config_selectorIssEEZZNS1_16scan_by_key_implILNS1_25lookback_scan_determinismE0ELb1ES3_N6thrust23THRUST_200600_302600_NS6detail15normal_iteratorINS9_10device_ptrIsEEEESE_SE_sNS9_4plusIsEE19head_flag_predicatesEE10hipError_tPvRmT2_T3_T4_T5_mT6_T7_P12ihipStream_tbENKUlT_T0_E_clISt17integral_constantIbLb1EESY_EEDaST_SU_EUlST_E_NS1_11comp_targetILNS1_3genE10ELNS1_11target_archE1200ELNS1_3gpuE4ELNS1_3repE0EEENS1_30default_config_static_selectorELNS0_4arch9wavefront6targetE0EEEvT1_,"axG",@progbits,_ZN7rocprim17ROCPRIM_400000_NS6detail17trampoline_kernelINS0_14default_configENS1_27scan_by_key_config_selectorIssEEZZNS1_16scan_by_key_implILNS1_25lookback_scan_determinismE0ELb1ES3_N6thrust23THRUST_200600_302600_NS6detail15normal_iteratorINS9_10device_ptrIsEEEESE_SE_sNS9_4plusIsEE19head_flag_predicatesEE10hipError_tPvRmT2_T3_T4_T5_mT6_T7_P12ihipStream_tbENKUlT_T0_E_clISt17integral_constantIbLb1EESY_EEDaST_SU_EUlST_E_NS1_11comp_targetILNS1_3genE10ELNS1_11target_archE1200ELNS1_3gpuE4ELNS1_3repE0EEENS1_30default_config_static_selectorELNS0_4arch9wavefront6targetE0EEEvT1_,comdat
.Lfunc_end872:
	.size	_ZN7rocprim17ROCPRIM_400000_NS6detail17trampoline_kernelINS0_14default_configENS1_27scan_by_key_config_selectorIssEEZZNS1_16scan_by_key_implILNS1_25lookback_scan_determinismE0ELb1ES3_N6thrust23THRUST_200600_302600_NS6detail15normal_iteratorINS9_10device_ptrIsEEEESE_SE_sNS9_4plusIsEE19head_flag_predicatesEE10hipError_tPvRmT2_T3_T4_T5_mT6_T7_P12ihipStream_tbENKUlT_T0_E_clISt17integral_constantIbLb1EESY_EEDaST_SU_EUlST_E_NS1_11comp_targetILNS1_3genE10ELNS1_11target_archE1200ELNS1_3gpuE4ELNS1_3repE0EEENS1_30default_config_static_selectorELNS0_4arch9wavefront6targetE0EEEvT1_, .Lfunc_end872-_ZN7rocprim17ROCPRIM_400000_NS6detail17trampoline_kernelINS0_14default_configENS1_27scan_by_key_config_selectorIssEEZZNS1_16scan_by_key_implILNS1_25lookback_scan_determinismE0ELb1ES3_N6thrust23THRUST_200600_302600_NS6detail15normal_iteratorINS9_10device_ptrIsEEEESE_SE_sNS9_4plusIsEE19head_flag_predicatesEE10hipError_tPvRmT2_T3_T4_T5_mT6_T7_P12ihipStream_tbENKUlT_T0_E_clISt17integral_constantIbLb1EESY_EEDaST_SU_EUlST_E_NS1_11comp_targetILNS1_3genE10ELNS1_11target_archE1200ELNS1_3gpuE4ELNS1_3repE0EEENS1_30default_config_static_selectorELNS0_4arch9wavefront6targetE0EEEvT1_
                                        ; -- End function
	.set _ZN7rocprim17ROCPRIM_400000_NS6detail17trampoline_kernelINS0_14default_configENS1_27scan_by_key_config_selectorIssEEZZNS1_16scan_by_key_implILNS1_25lookback_scan_determinismE0ELb1ES3_N6thrust23THRUST_200600_302600_NS6detail15normal_iteratorINS9_10device_ptrIsEEEESE_SE_sNS9_4plusIsEE19head_flag_predicatesEE10hipError_tPvRmT2_T3_T4_T5_mT6_T7_P12ihipStream_tbENKUlT_T0_E_clISt17integral_constantIbLb1EESY_EEDaST_SU_EUlST_E_NS1_11comp_targetILNS1_3genE10ELNS1_11target_archE1200ELNS1_3gpuE4ELNS1_3repE0EEENS1_30default_config_static_selectorELNS0_4arch9wavefront6targetE0EEEvT1_.num_vgpr, 0
	.set _ZN7rocprim17ROCPRIM_400000_NS6detail17trampoline_kernelINS0_14default_configENS1_27scan_by_key_config_selectorIssEEZZNS1_16scan_by_key_implILNS1_25lookback_scan_determinismE0ELb1ES3_N6thrust23THRUST_200600_302600_NS6detail15normal_iteratorINS9_10device_ptrIsEEEESE_SE_sNS9_4plusIsEE19head_flag_predicatesEE10hipError_tPvRmT2_T3_T4_T5_mT6_T7_P12ihipStream_tbENKUlT_T0_E_clISt17integral_constantIbLb1EESY_EEDaST_SU_EUlST_E_NS1_11comp_targetILNS1_3genE10ELNS1_11target_archE1200ELNS1_3gpuE4ELNS1_3repE0EEENS1_30default_config_static_selectorELNS0_4arch9wavefront6targetE0EEEvT1_.num_agpr, 0
	.set _ZN7rocprim17ROCPRIM_400000_NS6detail17trampoline_kernelINS0_14default_configENS1_27scan_by_key_config_selectorIssEEZZNS1_16scan_by_key_implILNS1_25lookback_scan_determinismE0ELb1ES3_N6thrust23THRUST_200600_302600_NS6detail15normal_iteratorINS9_10device_ptrIsEEEESE_SE_sNS9_4plusIsEE19head_flag_predicatesEE10hipError_tPvRmT2_T3_T4_T5_mT6_T7_P12ihipStream_tbENKUlT_T0_E_clISt17integral_constantIbLb1EESY_EEDaST_SU_EUlST_E_NS1_11comp_targetILNS1_3genE10ELNS1_11target_archE1200ELNS1_3gpuE4ELNS1_3repE0EEENS1_30default_config_static_selectorELNS0_4arch9wavefront6targetE0EEEvT1_.numbered_sgpr, 0
	.set _ZN7rocprim17ROCPRIM_400000_NS6detail17trampoline_kernelINS0_14default_configENS1_27scan_by_key_config_selectorIssEEZZNS1_16scan_by_key_implILNS1_25lookback_scan_determinismE0ELb1ES3_N6thrust23THRUST_200600_302600_NS6detail15normal_iteratorINS9_10device_ptrIsEEEESE_SE_sNS9_4plusIsEE19head_flag_predicatesEE10hipError_tPvRmT2_T3_T4_T5_mT6_T7_P12ihipStream_tbENKUlT_T0_E_clISt17integral_constantIbLb1EESY_EEDaST_SU_EUlST_E_NS1_11comp_targetILNS1_3genE10ELNS1_11target_archE1200ELNS1_3gpuE4ELNS1_3repE0EEENS1_30default_config_static_selectorELNS0_4arch9wavefront6targetE0EEEvT1_.num_named_barrier, 0
	.set _ZN7rocprim17ROCPRIM_400000_NS6detail17trampoline_kernelINS0_14default_configENS1_27scan_by_key_config_selectorIssEEZZNS1_16scan_by_key_implILNS1_25lookback_scan_determinismE0ELb1ES3_N6thrust23THRUST_200600_302600_NS6detail15normal_iteratorINS9_10device_ptrIsEEEESE_SE_sNS9_4plusIsEE19head_flag_predicatesEE10hipError_tPvRmT2_T3_T4_T5_mT6_T7_P12ihipStream_tbENKUlT_T0_E_clISt17integral_constantIbLb1EESY_EEDaST_SU_EUlST_E_NS1_11comp_targetILNS1_3genE10ELNS1_11target_archE1200ELNS1_3gpuE4ELNS1_3repE0EEENS1_30default_config_static_selectorELNS0_4arch9wavefront6targetE0EEEvT1_.private_seg_size, 0
	.set _ZN7rocprim17ROCPRIM_400000_NS6detail17trampoline_kernelINS0_14default_configENS1_27scan_by_key_config_selectorIssEEZZNS1_16scan_by_key_implILNS1_25lookback_scan_determinismE0ELb1ES3_N6thrust23THRUST_200600_302600_NS6detail15normal_iteratorINS9_10device_ptrIsEEEESE_SE_sNS9_4plusIsEE19head_flag_predicatesEE10hipError_tPvRmT2_T3_T4_T5_mT6_T7_P12ihipStream_tbENKUlT_T0_E_clISt17integral_constantIbLb1EESY_EEDaST_SU_EUlST_E_NS1_11comp_targetILNS1_3genE10ELNS1_11target_archE1200ELNS1_3gpuE4ELNS1_3repE0EEENS1_30default_config_static_selectorELNS0_4arch9wavefront6targetE0EEEvT1_.uses_vcc, 0
	.set _ZN7rocprim17ROCPRIM_400000_NS6detail17trampoline_kernelINS0_14default_configENS1_27scan_by_key_config_selectorIssEEZZNS1_16scan_by_key_implILNS1_25lookback_scan_determinismE0ELb1ES3_N6thrust23THRUST_200600_302600_NS6detail15normal_iteratorINS9_10device_ptrIsEEEESE_SE_sNS9_4plusIsEE19head_flag_predicatesEE10hipError_tPvRmT2_T3_T4_T5_mT6_T7_P12ihipStream_tbENKUlT_T0_E_clISt17integral_constantIbLb1EESY_EEDaST_SU_EUlST_E_NS1_11comp_targetILNS1_3genE10ELNS1_11target_archE1200ELNS1_3gpuE4ELNS1_3repE0EEENS1_30default_config_static_selectorELNS0_4arch9wavefront6targetE0EEEvT1_.uses_flat_scratch, 0
	.set _ZN7rocprim17ROCPRIM_400000_NS6detail17trampoline_kernelINS0_14default_configENS1_27scan_by_key_config_selectorIssEEZZNS1_16scan_by_key_implILNS1_25lookback_scan_determinismE0ELb1ES3_N6thrust23THRUST_200600_302600_NS6detail15normal_iteratorINS9_10device_ptrIsEEEESE_SE_sNS9_4plusIsEE19head_flag_predicatesEE10hipError_tPvRmT2_T3_T4_T5_mT6_T7_P12ihipStream_tbENKUlT_T0_E_clISt17integral_constantIbLb1EESY_EEDaST_SU_EUlST_E_NS1_11comp_targetILNS1_3genE10ELNS1_11target_archE1200ELNS1_3gpuE4ELNS1_3repE0EEENS1_30default_config_static_selectorELNS0_4arch9wavefront6targetE0EEEvT1_.has_dyn_sized_stack, 0
	.set _ZN7rocprim17ROCPRIM_400000_NS6detail17trampoline_kernelINS0_14default_configENS1_27scan_by_key_config_selectorIssEEZZNS1_16scan_by_key_implILNS1_25lookback_scan_determinismE0ELb1ES3_N6thrust23THRUST_200600_302600_NS6detail15normal_iteratorINS9_10device_ptrIsEEEESE_SE_sNS9_4plusIsEE19head_flag_predicatesEE10hipError_tPvRmT2_T3_T4_T5_mT6_T7_P12ihipStream_tbENKUlT_T0_E_clISt17integral_constantIbLb1EESY_EEDaST_SU_EUlST_E_NS1_11comp_targetILNS1_3genE10ELNS1_11target_archE1200ELNS1_3gpuE4ELNS1_3repE0EEENS1_30default_config_static_selectorELNS0_4arch9wavefront6targetE0EEEvT1_.has_recursion, 0
	.set _ZN7rocprim17ROCPRIM_400000_NS6detail17trampoline_kernelINS0_14default_configENS1_27scan_by_key_config_selectorIssEEZZNS1_16scan_by_key_implILNS1_25lookback_scan_determinismE0ELb1ES3_N6thrust23THRUST_200600_302600_NS6detail15normal_iteratorINS9_10device_ptrIsEEEESE_SE_sNS9_4plusIsEE19head_flag_predicatesEE10hipError_tPvRmT2_T3_T4_T5_mT6_T7_P12ihipStream_tbENKUlT_T0_E_clISt17integral_constantIbLb1EESY_EEDaST_SU_EUlST_E_NS1_11comp_targetILNS1_3genE10ELNS1_11target_archE1200ELNS1_3gpuE4ELNS1_3repE0EEENS1_30default_config_static_selectorELNS0_4arch9wavefront6targetE0EEEvT1_.has_indirect_call, 0
	.section	.AMDGPU.csdata,"",@progbits
; Kernel info:
; codeLenInByte = 0
; TotalNumSgprs: 0
; NumVgprs: 0
; ScratchSize: 0
; MemoryBound: 0
; FloatMode: 240
; IeeeMode: 1
; LDSByteSize: 0 bytes/workgroup (compile time only)
; SGPRBlocks: 0
; VGPRBlocks: 0
; NumSGPRsForWavesPerEU: 1
; NumVGPRsForWavesPerEU: 1
; Occupancy: 16
; WaveLimiterHint : 0
; COMPUTE_PGM_RSRC2:SCRATCH_EN: 0
; COMPUTE_PGM_RSRC2:USER_SGPR: 6
; COMPUTE_PGM_RSRC2:TRAP_HANDLER: 0
; COMPUTE_PGM_RSRC2:TGID_X_EN: 1
; COMPUTE_PGM_RSRC2:TGID_Y_EN: 0
; COMPUTE_PGM_RSRC2:TGID_Z_EN: 0
; COMPUTE_PGM_RSRC2:TIDIG_COMP_CNT: 0
	.section	.text._ZN7rocprim17ROCPRIM_400000_NS6detail17trampoline_kernelINS0_14default_configENS1_27scan_by_key_config_selectorIssEEZZNS1_16scan_by_key_implILNS1_25lookback_scan_determinismE0ELb1ES3_N6thrust23THRUST_200600_302600_NS6detail15normal_iteratorINS9_10device_ptrIsEEEESE_SE_sNS9_4plusIsEE19head_flag_predicatesEE10hipError_tPvRmT2_T3_T4_T5_mT6_T7_P12ihipStream_tbENKUlT_T0_E_clISt17integral_constantIbLb1EESY_EEDaST_SU_EUlST_E_NS1_11comp_targetILNS1_3genE9ELNS1_11target_archE1100ELNS1_3gpuE3ELNS1_3repE0EEENS1_30default_config_static_selectorELNS0_4arch9wavefront6targetE0EEEvT1_,"axG",@progbits,_ZN7rocprim17ROCPRIM_400000_NS6detail17trampoline_kernelINS0_14default_configENS1_27scan_by_key_config_selectorIssEEZZNS1_16scan_by_key_implILNS1_25lookback_scan_determinismE0ELb1ES3_N6thrust23THRUST_200600_302600_NS6detail15normal_iteratorINS9_10device_ptrIsEEEESE_SE_sNS9_4plusIsEE19head_flag_predicatesEE10hipError_tPvRmT2_T3_T4_T5_mT6_T7_P12ihipStream_tbENKUlT_T0_E_clISt17integral_constantIbLb1EESY_EEDaST_SU_EUlST_E_NS1_11comp_targetILNS1_3genE9ELNS1_11target_archE1100ELNS1_3gpuE3ELNS1_3repE0EEENS1_30default_config_static_selectorELNS0_4arch9wavefront6targetE0EEEvT1_,comdat
	.protected	_ZN7rocprim17ROCPRIM_400000_NS6detail17trampoline_kernelINS0_14default_configENS1_27scan_by_key_config_selectorIssEEZZNS1_16scan_by_key_implILNS1_25lookback_scan_determinismE0ELb1ES3_N6thrust23THRUST_200600_302600_NS6detail15normal_iteratorINS9_10device_ptrIsEEEESE_SE_sNS9_4plusIsEE19head_flag_predicatesEE10hipError_tPvRmT2_T3_T4_T5_mT6_T7_P12ihipStream_tbENKUlT_T0_E_clISt17integral_constantIbLb1EESY_EEDaST_SU_EUlST_E_NS1_11comp_targetILNS1_3genE9ELNS1_11target_archE1100ELNS1_3gpuE3ELNS1_3repE0EEENS1_30default_config_static_selectorELNS0_4arch9wavefront6targetE0EEEvT1_ ; -- Begin function _ZN7rocprim17ROCPRIM_400000_NS6detail17trampoline_kernelINS0_14default_configENS1_27scan_by_key_config_selectorIssEEZZNS1_16scan_by_key_implILNS1_25lookback_scan_determinismE0ELb1ES3_N6thrust23THRUST_200600_302600_NS6detail15normal_iteratorINS9_10device_ptrIsEEEESE_SE_sNS9_4plusIsEE19head_flag_predicatesEE10hipError_tPvRmT2_T3_T4_T5_mT6_T7_P12ihipStream_tbENKUlT_T0_E_clISt17integral_constantIbLb1EESY_EEDaST_SU_EUlST_E_NS1_11comp_targetILNS1_3genE9ELNS1_11target_archE1100ELNS1_3gpuE3ELNS1_3repE0EEENS1_30default_config_static_selectorELNS0_4arch9wavefront6targetE0EEEvT1_
	.globl	_ZN7rocprim17ROCPRIM_400000_NS6detail17trampoline_kernelINS0_14default_configENS1_27scan_by_key_config_selectorIssEEZZNS1_16scan_by_key_implILNS1_25lookback_scan_determinismE0ELb1ES3_N6thrust23THRUST_200600_302600_NS6detail15normal_iteratorINS9_10device_ptrIsEEEESE_SE_sNS9_4plusIsEE19head_flag_predicatesEE10hipError_tPvRmT2_T3_T4_T5_mT6_T7_P12ihipStream_tbENKUlT_T0_E_clISt17integral_constantIbLb1EESY_EEDaST_SU_EUlST_E_NS1_11comp_targetILNS1_3genE9ELNS1_11target_archE1100ELNS1_3gpuE3ELNS1_3repE0EEENS1_30default_config_static_selectorELNS0_4arch9wavefront6targetE0EEEvT1_
	.p2align	8
	.type	_ZN7rocprim17ROCPRIM_400000_NS6detail17trampoline_kernelINS0_14default_configENS1_27scan_by_key_config_selectorIssEEZZNS1_16scan_by_key_implILNS1_25lookback_scan_determinismE0ELb1ES3_N6thrust23THRUST_200600_302600_NS6detail15normal_iteratorINS9_10device_ptrIsEEEESE_SE_sNS9_4plusIsEE19head_flag_predicatesEE10hipError_tPvRmT2_T3_T4_T5_mT6_T7_P12ihipStream_tbENKUlT_T0_E_clISt17integral_constantIbLb1EESY_EEDaST_SU_EUlST_E_NS1_11comp_targetILNS1_3genE9ELNS1_11target_archE1100ELNS1_3gpuE3ELNS1_3repE0EEENS1_30default_config_static_selectorELNS0_4arch9wavefront6targetE0EEEvT1_,@function
_ZN7rocprim17ROCPRIM_400000_NS6detail17trampoline_kernelINS0_14default_configENS1_27scan_by_key_config_selectorIssEEZZNS1_16scan_by_key_implILNS1_25lookback_scan_determinismE0ELb1ES3_N6thrust23THRUST_200600_302600_NS6detail15normal_iteratorINS9_10device_ptrIsEEEESE_SE_sNS9_4plusIsEE19head_flag_predicatesEE10hipError_tPvRmT2_T3_T4_T5_mT6_T7_P12ihipStream_tbENKUlT_T0_E_clISt17integral_constantIbLb1EESY_EEDaST_SU_EUlST_E_NS1_11comp_targetILNS1_3genE9ELNS1_11target_archE1100ELNS1_3gpuE3ELNS1_3repE0EEENS1_30default_config_static_selectorELNS0_4arch9wavefront6targetE0EEEvT1_: ; @_ZN7rocprim17ROCPRIM_400000_NS6detail17trampoline_kernelINS0_14default_configENS1_27scan_by_key_config_selectorIssEEZZNS1_16scan_by_key_implILNS1_25lookback_scan_determinismE0ELb1ES3_N6thrust23THRUST_200600_302600_NS6detail15normal_iteratorINS9_10device_ptrIsEEEESE_SE_sNS9_4plusIsEE19head_flag_predicatesEE10hipError_tPvRmT2_T3_T4_T5_mT6_T7_P12ihipStream_tbENKUlT_T0_E_clISt17integral_constantIbLb1EESY_EEDaST_SU_EUlST_E_NS1_11comp_targetILNS1_3genE9ELNS1_11target_archE1100ELNS1_3gpuE3ELNS1_3repE0EEENS1_30default_config_static_selectorELNS0_4arch9wavefront6targetE0EEEvT1_
; %bb.0:
	.section	.rodata,"a",@progbits
	.p2align	6, 0x0
	.amdhsa_kernel _ZN7rocprim17ROCPRIM_400000_NS6detail17trampoline_kernelINS0_14default_configENS1_27scan_by_key_config_selectorIssEEZZNS1_16scan_by_key_implILNS1_25lookback_scan_determinismE0ELb1ES3_N6thrust23THRUST_200600_302600_NS6detail15normal_iteratorINS9_10device_ptrIsEEEESE_SE_sNS9_4plusIsEE19head_flag_predicatesEE10hipError_tPvRmT2_T3_T4_T5_mT6_T7_P12ihipStream_tbENKUlT_T0_E_clISt17integral_constantIbLb1EESY_EEDaST_SU_EUlST_E_NS1_11comp_targetILNS1_3genE9ELNS1_11target_archE1100ELNS1_3gpuE3ELNS1_3repE0EEENS1_30default_config_static_selectorELNS0_4arch9wavefront6targetE0EEEvT1_
		.amdhsa_group_segment_fixed_size 0
		.amdhsa_private_segment_fixed_size 0
		.amdhsa_kernarg_size 112
		.amdhsa_user_sgpr_count 6
		.amdhsa_user_sgpr_private_segment_buffer 1
		.amdhsa_user_sgpr_dispatch_ptr 0
		.amdhsa_user_sgpr_queue_ptr 0
		.amdhsa_user_sgpr_kernarg_segment_ptr 1
		.amdhsa_user_sgpr_dispatch_id 0
		.amdhsa_user_sgpr_flat_scratch_init 0
		.amdhsa_user_sgpr_private_segment_size 0
		.amdhsa_wavefront_size32 1
		.amdhsa_uses_dynamic_stack 0
		.amdhsa_system_sgpr_private_segment_wavefront_offset 0
		.amdhsa_system_sgpr_workgroup_id_x 1
		.amdhsa_system_sgpr_workgroup_id_y 0
		.amdhsa_system_sgpr_workgroup_id_z 0
		.amdhsa_system_sgpr_workgroup_info 0
		.amdhsa_system_vgpr_workitem_id 0
		.amdhsa_next_free_vgpr 1
		.amdhsa_next_free_sgpr 1
		.amdhsa_reserve_vcc 0
		.amdhsa_reserve_flat_scratch 0
		.amdhsa_float_round_mode_32 0
		.amdhsa_float_round_mode_16_64 0
		.amdhsa_float_denorm_mode_32 3
		.amdhsa_float_denorm_mode_16_64 3
		.amdhsa_dx10_clamp 1
		.amdhsa_ieee_mode 1
		.amdhsa_fp16_overflow 0
		.amdhsa_workgroup_processor_mode 1
		.amdhsa_memory_ordered 1
		.amdhsa_forward_progress 1
		.amdhsa_shared_vgpr_count 0
		.amdhsa_exception_fp_ieee_invalid_op 0
		.amdhsa_exception_fp_denorm_src 0
		.amdhsa_exception_fp_ieee_div_zero 0
		.amdhsa_exception_fp_ieee_overflow 0
		.amdhsa_exception_fp_ieee_underflow 0
		.amdhsa_exception_fp_ieee_inexact 0
		.amdhsa_exception_int_div_zero 0
	.end_amdhsa_kernel
	.section	.text._ZN7rocprim17ROCPRIM_400000_NS6detail17trampoline_kernelINS0_14default_configENS1_27scan_by_key_config_selectorIssEEZZNS1_16scan_by_key_implILNS1_25lookback_scan_determinismE0ELb1ES3_N6thrust23THRUST_200600_302600_NS6detail15normal_iteratorINS9_10device_ptrIsEEEESE_SE_sNS9_4plusIsEE19head_flag_predicatesEE10hipError_tPvRmT2_T3_T4_T5_mT6_T7_P12ihipStream_tbENKUlT_T0_E_clISt17integral_constantIbLb1EESY_EEDaST_SU_EUlST_E_NS1_11comp_targetILNS1_3genE9ELNS1_11target_archE1100ELNS1_3gpuE3ELNS1_3repE0EEENS1_30default_config_static_selectorELNS0_4arch9wavefront6targetE0EEEvT1_,"axG",@progbits,_ZN7rocprim17ROCPRIM_400000_NS6detail17trampoline_kernelINS0_14default_configENS1_27scan_by_key_config_selectorIssEEZZNS1_16scan_by_key_implILNS1_25lookback_scan_determinismE0ELb1ES3_N6thrust23THRUST_200600_302600_NS6detail15normal_iteratorINS9_10device_ptrIsEEEESE_SE_sNS9_4plusIsEE19head_flag_predicatesEE10hipError_tPvRmT2_T3_T4_T5_mT6_T7_P12ihipStream_tbENKUlT_T0_E_clISt17integral_constantIbLb1EESY_EEDaST_SU_EUlST_E_NS1_11comp_targetILNS1_3genE9ELNS1_11target_archE1100ELNS1_3gpuE3ELNS1_3repE0EEENS1_30default_config_static_selectorELNS0_4arch9wavefront6targetE0EEEvT1_,comdat
.Lfunc_end873:
	.size	_ZN7rocprim17ROCPRIM_400000_NS6detail17trampoline_kernelINS0_14default_configENS1_27scan_by_key_config_selectorIssEEZZNS1_16scan_by_key_implILNS1_25lookback_scan_determinismE0ELb1ES3_N6thrust23THRUST_200600_302600_NS6detail15normal_iteratorINS9_10device_ptrIsEEEESE_SE_sNS9_4plusIsEE19head_flag_predicatesEE10hipError_tPvRmT2_T3_T4_T5_mT6_T7_P12ihipStream_tbENKUlT_T0_E_clISt17integral_constantIbLb1EESY_EEDaST_SU_EUlST_E_NS1_11comp_targetILNS1_3genE9ELNS1_11target_archE1100ELNS1_3gpuE3ELNS1_3repE0EEENS1_30default_config_static_selectorELNS0_4arch9wavefront6targetE0EEEvT1_, .Lfunc_end873-_ZN7rocprim17ROCPRIM_400000_NS6detail17trampoline_kernelINS0_14default_configENS1_27scan_by_key_config_selectorIssEEZZNS1_16scan_by_key_implILNS1_25lookback_scan_determinismE0ELb1ES3_N6thrust23THRUST_200600_302600_NS6detail15normal_iteratorINS9_10device_ptrIsEEEESE_SE_sNS9_4plusIsEE19head_flag_predicatesEE10hipError_tPvRmT2_T3_T4_T5_mT6_T7_P12ihipStream_tbENKUlT_T0_E_clISt17integral_constantIbLb1EESY_EEDaST_SU_EUlST_E_NS1_11comp_targetILNS1_3genE9ELNS1_11target_archE1100ELNS1_3gpuE3ELNS1_3repE0EEENS1_30default_config_static_selectorELNS0_4arch9wavefront6targetE0EEEvT1_
                                        ; -- End function
	.set _ZN7rocprim17ROCPRIM_400000_NS6detail17trampoline_kernelINS0_14default_configENS1_27scan_by_key_config_selectorIssEEZZNS1_16scan_by_key_implILNS1_25lookback_scan_determinismE0ELb1ES3_N6thrust23THRUST_200600_302600_NS6detail15normal_iteratorINS9_10device_ptrIsEEEESE_SE_sNS9_4plusIsEE19head_flag_predicatesEE10hipError_tPvRmT2_T3_T4_T5_mT6_T7_P12ihipStream_tbENKUlT_T0_E_clISt17integral_constantIbLb1EESY_EEDaST_SU_EUlST_E_NS1_11comp_targetILNS1_3genE9ELNS1_11target_archE1100ELNS1_3gpuE3ELNS1_3repE0EEENS1_30default_config_static_selectorELNS0_4arch9wavefront6targetE0EEEvT1_.num_vgpr, 0
	.set _ZN7rocprim17ROCPRIM_400000_NS6detail17trampoline_kernelINS0_14default_configENS1_27scan_by_key_config_selectorIssEEZZNS1_16scan_by_key_implILNS1_25lookback_scan_determinismE0ELb1ES3_N6thrust23THRUST_200600_302600_NS6detail15normal_iteratorINS9_10device_ptrIsEEEESE_SE_sNS9_4plusIsEE19head_flag_predicatesEE10hipError_tPvRmT2_T3_T4_T5_mT6_T7_P12ihipStream_tbENKUlT_T0_E_clISt17integral_constantIbLb1EESY_EEDaST_SU_EUlST_E_NS1_11comp_targetILNS1_3genE9ELNS1_11target_archE1100ELNS1_3gpuE3ELNS1_3repE0EEENS1_30default_config_static_selectorELNS0_4arch9wavefront6targetE0EEEvT1_.num_agpr, 0
	.set _ZN7rocprim17ROCPRIM_400000_NS6detail17trampoline_kernelINS0_14default_configENS1_27scan_by_key_config_selectorIssEEZZNS1_16scan_by_key_implILNS1_25lookback_scan_determinismE0ELb1ES3_N6thrust23THRUST_200600_302600_NS6detail15normal_iteratorINS9_10device_ptrIsEEEESE_SE_sNS9_4plusIsEE19head_flag_predicatesEE10hipError_tPvRmT2_T3_T4_T5_mT6_T7_P12ihipStream_tbENKUlT_T0_E_clISt17integral_constantIbLb1EESY_EEDaST_SU_EUlST_E_NS1_11comp_targetILNS1_3genE9ELNS1_11target_archE1100ELNS1_3gpuE3ELNS1_3repE0EEENS1_30default_config_static_selectorELNS0_4arch9wavefront6targetE0EEEvT1_.numbered_sgpr, 0
	.set _ZN7rocprim17ROCPRIM_400000_NS6detail17trampoline_kernelINS0_14default_configENS1_27scan_by_key_config_selectorIssEEZZNS1_16scan_by_key_implILNS1_25lookback_scan_determinismE0ELb1ES3_N6thrust23THRUST_200600_302600_NS6detail15normal_iteratorINS9_10device_ptrIsEEEESE_SE_sNS9_4plusIsEE19head_flag_predicatesEE10hipError_tPvRmT2_T3_T4_T5_mT6_T7_P12ihipStream_tbENKUlT_T0_E_clISt17integral_constantIbLb1EESY_EEDaST_SU_EUlST_E_NS1_11comp_targetILNS1_3genE9ELNS1_11target_archE1100ELNS1_3gpuE3ELNS1_3repE0EEENS1_30default_config_static_selectorELNS0_4arch9wavefront6targetE0EEEvT1_.num_named_barrier, 0
	.set _ZN7rocprim17ROCPRIM_400000_NS6detail17trampoline_kernelINS0_14default_configENS1_27scan_by_key_config_selectorIssEEZZNS1_16scan_by_key_implILNS1_25lookback_scan_determinismE0ELb1ES3_N6thrust23THRUST_200600_302600_NS6detail15normal_iteratorINS9_10device_ptrIsEEEESE_SE_sNS9_4plusIsEE19head_flag_predicatesEE10hipError_tPvRmT2_T3_T4_T5_mT6_T7_P12ihipStream_tbENKUlT_T0_E_clISt17integral_constantIbLb1EESY_EEDaST_SU_EUlST_E_NS1_11comp_targetILNS1_3genE9ELNS1_11target_archE1100ELNS1_3gpuE3ELNS1_3repE0EEENS1_30default_config_static_selectorELNS0_4arch9wavefront6targetE0EEEvT1_.private_seg_size, 0
	.set _ZN7rocprim17ROCPRIM_400000_NS6detail17trampoline_kernelINS0_14default_configENS1_27scan_by_key_config_selectorIssEEZZNS1_16scan_by_key_implILNS1_25lookback_scan_determinismE0ELb1ES3_N6thrust23THRUST_200600_302600_NS6detail15normal_iteratorINS9_10device_ptrIsEEEESE_SE_sNS9_4plusIsEE19head_flag_predicatesEE10hipError_tPvRmT2_T3_T4_T5_mT6_T7_P12ihipStream_tbENKUlT_T0_E_clISt17integral_constantIbLb1EESY_EEDaST_SU_EUlST_E_NS1_11comp_targetILNS1_3genE9ELNS1_11target_archE1100ELNS1_3gpuE3ELNS1_3repE0EEENS1_30default_config_static_selectorELNS0_4arch9wavefront6targetE0EEEvT1_.uses_vcc, 0
	.set _ZN7rocprim17ROCPRIM_400000_NS6detail17trampoline_kernelINS0_14default_configENS1_27scan_by_key_config_selectorIssEEZZNS1_16scan_by_key_implILNS1_25lookback_scan_determinismE0ELb1ES3_N6thrust23THRUST_200600_302600_NS6detail15normal_iteratorINS9_10device_ptrIsEEEESE_SE_sNS9_4plusIsEE19head_flag_predicatesEE10hipError_tPvRmT2_T3_T4_T5_mT6_T7_P12ihipStream_tbENKUlT_T0_E_clISt17integral_constantIbLb1EESY_EEDaST_SU_EUlST_E_NS1_11comp_targetILNS1_3genE9ELNS1_11target_archE1100ELNS1_3gpuE3ELNS1_3repE0EEENS1_30default_config_static_selectorELNS0_4arch9wavefront6targetE0EEEvT1_.uses_flat_scratch, 0
	.set _ZN7rocprim17ROCPRIM_400000_NS6detail17trampoline_kernelINS0_14default_configENS1_27scan_by_key_config_selectorIssEEZZNS1_16scan_by_key_implILNS1_25lookback_scan_determinismE0ELb1ES3_N6thrust23THRUST_200600_302600_NS6detail15normal_iteratorINS9_10device_ptrIsEEEESE_SE_sNS9_4plusIsEE19head_flag_predicatesEE10hipError_tPvRmT2_T3_T4_T5_mT6_T7_P12ihipStream_tbENKUlT_T0_E_clISt17integral_constantIbLb1EESY_EEDaST_SU_EUlST_E_NS1_11comp_targetILNS1_3genE9ELNS1_11target_archE1100ELNS1_3gpuE3ELNS1_3repE0EEENS1_30default_config_static_selectorELNS0_4arch9wavefront6targetE0EEEvT1_.has_dyn_sized_stack, 0
	.set _ZN7rocprim17ROCPRIM_400000_NS6detail17trampoline_kernelINS0_14default_configENS1_27scan_by_key_config_selectorIssEEZZNS1_16scan_by_key_implILNS1_25lookback_scan_determinismE0ELb1ES3_N6thrust23THRUST_200600_302600_NS6detail15normal_iteratorINS9_10device_ptrIsEEEESE_SE_sNS9_4plusIsEE19head_flag_predicatesEE10hipError_tPvRmT2_T3_T4_T5_mT6_T7_P12ihipStream_tbENKUlT_T0_E_clISt17integral_constantIbLb1EESY_EEDaST_SU_EUlST_E_NS1_11comp_targetILNS1_3genE9ELNS1_11target_archE1100ELNS1_3gpuE3ELNS1_3repE0EEENS1_30default_config_static_selectorELNS0_4arch9wavefront6targetE0EEEvT1_.has_recursion, 0
	.set _ZN7rocprim17ROCPRIM_400000_NS6detail17trampoline_kernelINS0_14default_configENS1_27scan_by_key_config_selectorIssEEZZNS1_16scan_by_key_implILNS1_25lookback_scan_determinismE0ELb1ES3_N6thrust23THRUST_200600_302600_NS6detail15normal_iteratorINS9_10device_ptrIsEEEESE_SE_sNS9_4plusIsEE19head_flag_predicatesEE10hipError_tPvRmT2_T3_T4_T5_mT6_T7_P12ihipStream_tbENKUlT_T0_E_clISt17integral_constantIbLb1EESY_EEDaST_SU_EUlST_E_NS1_11comp_targetILNS1_3genE9ELNS1_11target_archE1100ELNS1_3gpuE3ELNS1_3repE0EEENS1_30default_config_static_selectorELNS0_4arch9wavefront6targetE0EEEvT1_.has_indirect_call, 0
	.section	.AMDGPU.csdata,"",@progbits
; Kernel info:
; codeLenInByte = 0
; TotalNumSgprs: 0
; NumVgprs: 0
; ScratchSize: 0
; MemoryBound: 0
; FloatMode: 240
; IeeeMode: 1
; LDSByteSize: 0 bytes/workgroup (compile time only)
; SGPRBlocks: 0
; VGPRBlocks: 0
; NumSGPRsForWavesPerEU: 1
; NumVGPRsForWavesPerEU: 1
; Occupancy: 16
; WaveLimiterHint : 0
; COMPUTE_PGM_RSRC2:SCRATCH_EN: 0
; COMPUTE_PGM_RSRC2:USER_SGPR: 6
; COMPUTE_PGM_RSRC2:TRAP_HANDLER: 0
; COMPUTE_PGM_RSRC2:TGID_X_EN: 1
; COMPUTE_PGM_RSRC2:TGID_Y_EN: 0
; COMPUTE_PGM_RSRC2:TGID_Z_EN: 0
; COMPUTE_PGM_RSRC2:TIDIG_COMP_CNT: 0
	.section	.text._ZN7rocprim17ROCPRIM_400000_NS6detail17trampoline_kernelINS0_14default_configENS1_27scan_by_key_config_selectorIssEEZZNS1_16scan_by_key_implILNS1_25lookback_scan_determinismE0ELb1ES3_N6thrust23THRUST_200600_302600_NS6detail15normal_iteratorINS9_10device_ptrIsEEEESE_SE_sNS9_4plusIsEE19head_flag_predicatesEE10hipError_tPvRmT2_T3_T4_T5_mT6_T7_P12ihipStream_tbENKUlT_T0_E_clISt17integral_constantIbLb1EESY_EEDaST_SU_EUlST_E_NS1_11comp_targetILNS1_3genE8ELNS1_11target_archE1030ELNS1_3gpuE2ELNS1_3repE0EEENS1_30default_config_static_selectorELNS0_4arch9wavefront6targetE0EEEvT1_,"axG",@progbits,_ZN7rocprim17ROCPRIM_400000_NS6detail17trampoline_kernelINS0_14default_configENS1_27scan_by_key_config_selectorIssEEZZNS1_16scan_by_key_implILNS1_25lookback_scan_determinismE0ELb1ES3_N6thrust23THRUST_200600_302600_NS6detail15normal_iteratorINS9_10device_ptrIsEEEESE_SE_sNS9_4plusIsEE19head_flag_predicatesEE10hipError_tPvRmT2_T3_T4_T5_mT6_T7_P12ihipStream_tbENKUlT_T0_E_clISt17integral_constantIbLb1EESY_EEDaST_SU_EUlST_E_NS1_11comp_targetILNS1_3genE8ELNS1_11target_archE1030ELNS1_3gpuE2ELNS1_3repE0EEENS1_30default_config_static_selectorELNS0_4arch9wavefront6targetE0EEEvT1_,comdat
	.protected	_ZN7rocprim17ROCPRIM_400000_NS6detail17trampoline_kernelINS0_14default_configENS1_27scan_by_key_config_selectorIssEEZZNS1_16scan_by_key_implILNS1_25lookback_scan_determinismE0ELb1ES3_N6thrust23THRUST_200600_302600_NS6detail15normal_iteratorINS9_10device_ptrIsEEEESE_SE_sNS9_4plusIsEE19head_flag_predicatesEE10hipError_tPvRmT2_T3_T4_T5_mT6_T7_P12ihipStream_tbENKUlT_T0_E_clISt17integral_constantIbLb1EESY_EEDaST_SU_EUlST_E_NS1_11comp_targetILNS1_3genE8ELNS1_11target_archE1030ELNS1_3gpuE2ELNS1_3repE0EEENS1_30default_config_static_selectorELNS0_4arch9wavefront6targetE0EEEvT1_ ; -- Begin function _ZN7rocprim17ROCPRIM_400000_NS6detail17trampoline_kernelINS0_14default_configENS1_27scan_by_key_config_selectorIssEEZZNS1_16scan_by_key_implILNS1_25lookback_scan_determinismE0ELb1ES3_N6thrust23THRUST_200600_302600_NS6detail15normal_iteratorINS9_10device_ptrIsEEEESE_SE_sNS9_4plusIsEE19head_flag_predicatesEE10hipError_tPvRmT2_T3_T4_T5_mT6_T7_P12ihipStream_tbENKUlT_T0_E_clISt17integral_constantIbLb1EESY_EEDaST_SU_EUlST_E_NS1_11comp_targetILNS1_3genE8ELNS1_11target_archE1030ELNS1_3gpuE2ELNS1_3repE0EEENS1_30default_config_static_selectorELNS0_4arch9wavefront6targetE0EEEvT1_
	.globl	_ZN7rocprim17ROCPRIM_400000_NS6detail17trampoline_kernelINS0_14default_configENS1_27scan_by_key_config_selectorIssEEZZNS1_16scan_by_key_implILNS1_25lookback_scan_determinismE0ELb1ES3_N6thrust23THRUST_200600_302600_NS6detail15normal_iteratorINS9_10device_ptrIsEEEESE_SE_sNS9_4plusIsEE19head_flag_predicatesEE10hipError_tPvRmT2_T3_T4_T5_mT6_T7_P12ihipStream_tbENKUlT_T0_E_clISt17integral_constantIbLb1EESY_EEDaST_SU_EUlST_E_NS1_11comp_targetILNS1_3genE8ELNS1_11target_archE1030ELNS1_3gpuE2ELNS1_3repE0EEENS1_30default_config_static_selectorELNS0_4arch9wavefront6targetE0EEEvT1_
	.p2align	8
	.type	_ZN7rocprim17ROCPRIM_400000_NS6detail17trampoline_kernelINS0_14default_configENS1_27scan_by_key_config_selectorIssEEZZNS1_16scan_by_key_implILNS1_25lookback_scan_determinismE0ELb1ES3_N6thrust23THRUST_200600_302600_NS6detail15normal_iteratorINS9_10device_ptrIsEEEESE_SE_sNS9_4plusIsEE19head_flag_predicatesEE10hipError_tPvRmT2_T3_T4_T5_mT6_T7_P12ihipStream_tbENKUlT_T0_E_clISt17integral_constantIbLb1EESY_EEDaST_SU_EUlST_E_NS1_11comp_targetILNS1_3genE8ELNS1_11target_archE1030ELNS1_3gpuE2ELNS1_3repE0EEENS1_30default_config_static_selectorELNS0_4arch9wavefront6targetE0EEEvT1_,@function
_ZN7rocprim17ROCPRIM_400000_NS6detail17trampoline_kernelINS0_14default_configENS1_27scan_by_key_config_selectorIssEEZZNS1_16scan_by_key_implILNS1_25lookback_scan_determinismE0ELb1ES3_N6thrust23THRUST_200600_302600_NS6detail15normal_iteratorINS9_10device_ptrIsEEEESE_SE_sNS9_4plusIsEE19head_flag_predicatesEE10hipError_tPvRmT2_T3_T4_T5_mT6_T7_P12ihipStream_tbENKUlT_T0_E_clISt17integral_constantIbLb1EESY_EEDaST_SU_EUlST_E_NS1_11comp_targetILNS1_3genE8ELNS1_11target_archE1030ELNS1_3gpuE2ELNS1_3repE0EEENS1_30default_config_static_selectorELNS0_4arch9wavefront6targetE0EEEvT1_: ; @_ZN7rocprim17ROCPRIM_400000_NS6detail17trampoline_kernelINS0_14default_configENS1_27scan_by_key_config_selectorIssEEZZNS1_16scan_by_key_implILNS1_25lookback_scan_determinismE0ELb1ES3_N6thrust23THRUST_200600_302600_NS6detail15normal_iteratorINS9_10device_ptrIsEEEESE_SE_sNS9_4plusIsEE19head_flag_predicatesEE10hipError_tPvRmT2_T3_T4_T5_mT6_T7_P12ihipStream_tbENKUlT_T0_E_clISt17integral_constantIbLb1EESY_EEDaST_SU_EUlST_E_NS1_11comp_targetILNS1_3genE8ELNS1_11target_archE1030ELNS1_3gpuE2ELNS1_3repE0EEENS1_30default_config_static_selectorELNS0_4arch9wavefront6targetE0EEEvT1_
; %bb.0:
	s_endpgm
	.section	.rodata,"a",@progbits
	.p2align	6, 0x0
	.amdhsa_kernel _ZN7rocprim17ROCPRIM_400000_NS6detail17trampoline_kernelINS0_14default_configENS1_27scan_by_key_config_selectorIssEEZZNS1_16scan_by_key_implILNS1_25lookback_scan_determinismE0ELb1ES3_N6thrust23THRUST_200600_302600_NS6detail15normal_iteratorINS9_10device_ptrIsEEEESE_SE_sNS9_4plusIsEE19head_flag_predicatesEE10hipError_tPvRmT2_T3_T4_T5_mT6_T7_P12ihipStream_tbENKUlT_T0_E_clISt17integral_constantIbLb1EESY_EEDaST_SU_EUlST_E_NS1_11comp_targetILNS1_3genE8ELNS1_11target_archE1030ELNS1_3gpuE2ELNS1_3repE0EEENS1_30default_config_static_selectorELNS0_4arch9wavefront6targetE0EEEvT1_
		.amdhsa_group_segment_fixed_size 0
		.amdhsa_private_segment_fixed_size 0
		.amdhsa_kernarg_size 112
		.amdhsa_user_sgpr_count 6
		.amdhsa_user_sgpr_private_segment_buffer 1
		.amdhsa_user_sgpr_dispatch_ptr 0
		.amdhsa_user_sgpr_queue_ptr 0
		.amdhsa_user_sgpr_kernarg_segment_ptr 1
		.amdhsa_user_sgpr_dispatch_id 0
		.amdhsa_user_sgpr_flat_scratch_init 0
		.amdhsa_user_sgpr_private_segment_size 0
		.amdhsa_wavefront_size32 1
		.amdhsa_uses_dynamic_stack 0
		.amdhsa_system_sgpr_private_segment_wavefront_offset 0
		.amdhsa_system_sgpr_workgroup_id_x 1
		.amdhsa_system_sgpr_workgroup_id_y 0
		.amdhsa_system_sgpr_workgroup_id_z 0
		.amdhsa_system_sgpr_workgroup_info 0
		.amdhsa_system_vgpr_workitem_id 0
		.amdhsa_next_free_vgpr 1
		.amdhsa_next_free_sgpr 1
		.amdhsa_reserve_vcc 0
		.amdhsa_reserve_flat_scratch 0
		.amdhsa_float_round_mode_32 0
		.amdhsa_float_round_mode_16_64 0
		.amdhsa_float_denorm_mode_32 3
		.amdhsa_float_denorm_mode_16_64 3
		.amdhsa_dx10_clamp 1
		.amdhsa_ieee_mode 1
		.amdhsa_fp16_overflow 0
		.amdhsa_workgroup_processor_mode 1
		.amdhsa_memory_ordered 1
		.amdhsa_forward_progress 1
		.amdhsa_shared_vgpr_count 0
		.amdhsa_exception_fp_ieee_invalid_op 0
		.amdhsa_exception_fp_denorm_src 0
		.amdhsa_exception_fp_ieee_div_zero 0
		.amdhsa_exception_fp_ieee_overflow 0
		.amdhsa_exception_fp_ieee_underflow 0
		.amdhsa_exception_fp_ieee_inexact 0
		.amdhsa_exception_int_div_zero 0
	.end_amdhsa_kernel
	.section	.text._ZN7rocprim17ROCPRIM_400000_NS6detail17trampoline_kernelINS0_14default_configENS1_27scan_by_key_config_selectorIssEEZZNS1_16scan_by_key_implILNS1_25lookback_scan_determinismE0ELb1ES3_N6thrust23THRUST_200600_302600_NS6detail15normal_iteratorINS9_10device_ptrIsEEEESE_SE_sNS9_4plusIsEE19head_flag_predicatesEE10hipError_tPvRmT2_T3_T4_T5_mT6_T7_P12ihipStream_tbENKUlT_T0_E_clISt17integral_constantIbLb1EESY_EEDaST_SU_EUlST_E_NS1_11comp_targetILNS1_3genE8ELNS1_11target_archE1030ELNS1_3gpuE2ELNS1_3repE0EEENS1_30default_config_static_selectorELNS0_4arch9wavefront6targetE0EEEvT1_,"axG",@progbits,_ZN7rocprim17ROCPRIM_400000_NS6detail17trampoline_kernelINS0_14default_configENS1_27scan_by_key_config_selectorIssEEZZNS1_16scan_by_key_implILNS1_25lookback_scan_determinismE0ELb1ES3_N6thrust23THRUST_200600_302600_NS6detail15normal_iteratorINS9_10device_ptrIsEEEESE_SE_sNS9_4plusIsEE19head_flag_predicatesEE10hipError_tPvRmT2_T3_T4_T5_mT6_T7_P12ihipStream_tbENKUlT_T0_E_clISt17integral_constantIbLb1EESY_EEDaST_SU_EUlST_E_NS1_11comp_targetILNS1_3genE8ELNS1_11target_archE1030ELNS1_3gpuE2ELNS1_3repE0EEENS1_30default_config_static_selectorELNS0_4arch9wavefront6targetE0EEEvT1_,comdat
.Lfunc_end874:
	.size	_ZN7rocprim17ROCPRIM_400000_NS6detail17trampoline_kernelINS0_14default_configENS1_27scan_by_key_config_selectorIssEEZZNS1_16scan_by_key_implILNS1_25lookback_scan_determinismE0ELb1ES3_N6thrust23THRUST_200600_302600_NS6detail15normal_iteratorINS9_10device_ptrIsEEEESE_SE_sNS9_4plusIsEE19head_flag_predicatesEE10hipError_tPvRmT2_T3_T4_T5_mT6_T7_P12ihipStream_tbENKUlT_T0_E_clISt17integral_constantIbLb1EESY_EEDaST_SU_EUlST_E_NS1_11comp_targetILNS1_3genE8ELNS1_11target_archE1030ELNS1_3gpuE2ELNS1_3repE0EEENS1_30default_config_static_selectorELNS0_4arch9wavefront6targetE0EEEvT1_, .Lfunc_end874-_ZN7rocprim17ROCPRIM_400000_NS6detail17trampoline_kernelINS0_14default_configENS1_27scan_by_key_config_selectorIssEEZZNS1_16scan_by_key_implILNS1_25lookback_scan_determinismE0ELb1ES3_N6thrust23THRUST_200600_302600_NS6detail15normal_iteratorINS9_10device_ptrIsEEEESE_SE_sNS9_4plusIsEE19head_flag_predicatesEE10hipError_tPvRmT2_T3_T4_T5_mT6_T7_P12ihipStream_tbENKUlT_T0_E_clISt17integral_constantIbLb1EESY_EEDaST_SU_EUlST_E_NS1_11comp_targetILNS1_3genE8ELNS1_11target_archE1030ELNS1_3gpuE2ELNS1_3repE0EEENS1_30default_config_static_selectorELNS0_4arch9wavefront6targetE0EEEvT1_
                                        ; -- End function
	.set _ZN7rocprim17ROCPRIM_400000_NS6detail17trampoline_kernelINS0_14default_configENS1_27scan_by_key_config_selectorIssEEZZNS1_16scan_by_key_implILNS1_25lookback_scan_determinismE0ELb1ES3_N6thrust23THRUST_200600_302600_NS6detail15normal_iteratorINS9_10device_ptrIsEEEESE_SE_sNS9_4plusIsEE19head_flag_predicatesEE10hipError_tPvRmT2_T3_T4_T5_mT6_T7_P12ihipStream_tbENKUlT_T0_E_clISt17integral_constantIbLb1EESY_EEDaST_SU_EUlST_E_NS1_11comp_targetILNS1_3genE8ELNS1_11target_archE1030ELNS1_3gpuE2ELNS1_3repE0EEENS1_30default_config_static_selectorELNS0_4arch9wavefront6targetE0EEEvT1_.num_vgpr, 0
	.set _ZN7rocprim17ROCPRIM_400000_NS6detail17trampoline_kernelINS0_14default_configENS1_27scan_by_key_config_selectorIssEEZZNS1_16scan_by_key_implILNS1_25lookback_scan_determinismE0ELb1ES3_N6thrust23THRUST_200600_302600_NS6detail15normal_iteratorINS9_10device_ptrIsEEEESE_SE_sNS9_4plusIsEE19head_flag_predicatesEE10hipError_tPvRmT2_T3_T4_T5_mT6_T7_P12ihipStream_tbENKUlT_T0_E_clISt17integral_constantIbLb1EESY_EEDaST_SU_EUlST_E_NS1_11comp_targetILNS1_3genE8ELNS1_11target_archE1030ELNS1_3gpuE2ELNS1_3repE0EEENS1_30default_config_static_selectorELNS0_4arch9wavefront6targetE0EEEvT1_.num_agpr, 0
	.set _ZN7rocprim17ROCPRIM_400000_NS6detail17trampoline_kernelINS0_14default_configENS1_27scan_by_key_config_selectorIssEEZZNS1_16scan_by_key_implILNS1_25lookback_scan_determinismE0ELb1ES3_N6thrust23THRUST_200600_302600_NS6detail15normal_iteratorINS9_10device_ptrIsEEEESE_SE_sNS9_4plusIsEE19head_flag_predicatesEE10hipError_tPvRmT2_T3_T4_T5_mT6_T7_P12ihipStream_tbENKUlT_T0_E_clISt17integral_constantIbLb1EESY_EEDaST_SU_EUlST_E_NS1_11comp_targetILNS1_3genE8ELNS1_11target_archE1030ELNS1_3gpuE2ELNS1_3repE0EEENS1_30default_config_static_selectorELNS0_4arch9wavefront6targetE0EEEvT1_.numbered_sgpr, 0
	.set _ZN7rocprim17ROCPRIM_400000_NS6detail17trampoline_kernelINS0_14default_configENS1_27scan_by_key_config_selectorIssEEZZNS1_16scan_by_key_implILNS1_25lookback_scan_determinismE0ELb1ES3_N6thrust23THRUST_200600_302600_NS6detail15normal_iteratorINS9_10device_ptrIsEEEESE_SE_sNS9_4plusIsEE19head_flag_predicatesEE10hipError_tPvRmT2_T3_T4_T5_mT6_T7_P12ihipStream_tbENKUlT_T0_E_clISt17integral_constantIbLb1EESY_EEDaST_SU_EUlST_E_NS1_11comp_targetILNS1_3genE8ELNS1_11target_archE1030ELNS1_3gpuE2ELNS1_3repE0EEENS1_30default_config_static_selectorELNS0_4arch9wavefront6targetE0EEEvT1_.num_named_barrier, 0
	.set _ZN7rocprim17ROCPRIM_400000_NS6detail17trampoline_kernelINS0_14default_configENS1_27scan_by_key_config_selectorIssEEZZNS1_16scan_by_key_implILNS1_25lookback_scan_determinismE0ELb1ES3_N6thrust23THRUST_200600_302600_NS6detail15normal_iteratorINS9_10device_ptrIsEEEESE_SE_sNS9_4plusIsEE19head_flag_predicatesEE10hipError_tPvRmT2_T3_T4_T5_mT6_T7_P12ihipStream_tbENKUlT_T0_E_clISt17integral_constantIbLb1EESY_EEDaST_SU_EUlST_E_NS1_11comp_targetILNS1_3genE8ELNS1_11target_archE1030ELNS1_3gpuE2ELNS1_3repE0EEENS1_30default_config_static_selectorELNS0_4arch9wavefront6targetE0EEEvT1_.private_seg_size, 0
	.set _ZN7rocprim17ROCPRIM_400000_NS6detail17trampoline_kernelINS0_14default_configENS1_27scan_by_key_config_selectorIssEEZZNS1_16scan_by_key_implILNS1_25lookback_scan_determinismE0ELb1ES3_N6thrust23THRUST_200600_302600_NS6detail15normal_iteratorINS9_10device_ptrIsEEEESE_SE_sNS9_4plusIsEE19head_flag_predicatesEE10hipError_tPvRmT2_T3_T4_T5_mT6_T7_P12ihipStream_tbENKUlT_T0_E_clISt17integral_constantIbLb1EESY_EEDaST_SU_EUlST_E_NS1_11comp_targetILNS1_3genE8ELNS1_11target_archE1030ELNS1_3gpuE2ELNS1_3repE0EEENS1_30default_config_static_selectorELNS0_4arch9wavefront6targetE0EEEvT1_.uses_vcc, 0
	.set _ZN7rocprim17ROCPRIM_400000_NS6detail17trampoline_kernelINS0_14default_configENS1_27scan_by_key_config_selectorIssEEZZNS1_16scan_by_key_implILNS1_25lookback_scan_determinismE0ELb1ES3_N6thrust23THRUST_200600_302600_NS6detail15normal_iteratorINS9_10device_ptrIsEEEESE_SE_sNS9_4plusIsEE19head_flag_predicatesEE10hipError_tPvRmT2_T3_T4_T5_mT6_T7_P12ihipStream_tbENKUlT_T0_E_clISt17integral_constantIbLb1EESY_EEDaST_SU_EUlST_E_NS1_11comp_targetILNS1_3genE8ELNS1_11target_archE1030ELNS1_3gpuE2ELNS1_3repE0EEENS1_30default_config_static_selectorELNS0_4arch9wavefront6targetE0EEEvT1_.uses_flat_scratch, 0
	.set _ZN7rocprim17ROCPRIM_400000_NS6detail17trampoline_kernelINS0_14default_configENS1_27scan_by_key_config_selectorIssEEZZNS1_16scan_by_key_implILNS1_25lookback_scan_determinismE0ELb1ES3_N6thrust23THRUST_200600_302600_NS6detail15normal_iteratorINS9_10device_ptrIsEEEESE_SE_sNS9_4plusIsEE19head_flag_predicatesEE10hipError_tPvRmT2_T3_T4_T5_mT6_T7_P12ihipStream_tbENKUlT_T0_E_clISt17integral_constantIbLb1EESY_EEDaST_SU_EUlST_E_NS1_11comp_targetILNS1_3genE8ELNS1_11target_archE1030ELNS1_3gpuE2ELNS1_3repE0EEENS1_30default_config_static_selectorELNS0_4arch9wavefront6targetE0EEEvT1_.has_dyn_sized_stack, 0
	.set _ZN7rocprim17ROCPRIM_400000_NS6detail17trampoline_kernelINS0_14default_configENS1_27scan_by_key_config_selectorIssEEZZNS1_16scan_by_key_implILNS1_25lookback_scan_determinismE0ELb1ES3_N6thrust23THRUST_200600_302600_NS6detail15normal_iteratorINS9_10device_ptrIsEEEESE_SE_sNS9_4plusIsEE19head_flag_predicatesEE10hipError_tPvRmT2_T3_T4_T5_mT6_T7_P12ihipStream_tbENKUlT_T0_E_clISt17integral_constantIbLb1EESY_EEDaST_SU_EUlST_E_NS1_11comp_targetILNS1_3genE8ELNS1_11target_archE1030ELNS1_3gpuE2ELNS1_3repE0EEENS1_30default_config_static_selectorELNS0_4arch9wavefront6targetE0EEEvT1_.has_recursion, 0
	.set _ZN7rocprim17ROCPRIM_400000_NS6detail17trampoline_kernelINS0_14default_configENS1_27scan_by_key_config_selectorIssEEZZNS1_16scan_by_key_implILNS1_25lookback_scan_determinismE0ELb1ES3_N6thrust23THRUST_200600_302600_NS6detail15normal_iteratorINS9_10device_ptrIsEEEESE_SE_sNS9_4plusIsEE19head_flag_predicatesEE10hipError_tPvRmT2_T3_T4_T5_mT6_T7_P12ihipStream_tbENKUlT_T0_E_clISt17integral_constantIbLb1EESY_EEDaST_SU_EUlST_E_NS1_11comp_targetILNS1_3genE8ELNS1_11target_archE1030ELNS1_3gpuE2ELNS1_3repE0EEENS1_30default_config_static_selectorELNS0_4arch9wavefront6targetE0EEEvT1_.has_indirect_call, 0
	.section	.AMDGPU.csdata,"",@progbits
; Kernel info:
; codeLenInByte = 4
; TotalNumSgprs: 0
; NumVgprs: 0
; ScratchSize: 0
; MemoryBound: 0
; FloatMode: 240
; IeeeMode: 1
; LDSByteSize: 0 bytes/workgroup (compile time only)
; SGPRBlocks: 0
; VGPRBlocks: 0
; NumSGPRsForWavesPerEU: 1
; NumVGPRsForWavesPerEU: 1
; Occupancy: 16
; WaveLimiterHint : 0
; COMPUTE_PGM_RSRC2:SCRATCH_EN: 0
; COMPUTE_PGM_RSRC2:USER_SGPR: 6
; COMPUTE_PGM_RSRC2:TRAP_HANDLER: 0
; COMPUTE_PGM_RSRC2:TGID_X_EN: 1
; COMPUTE_PGM_RSRC2:TGID_Y_EN: 0
; COMPUTE_PGM_RSRC2:TGID_Z_EN: 0
; COMPUTE_PGM_RSRC2:TIDIG_COMP_CNT: 0
	.section	.text._ZN7rocprim17ROCPRIM_400000_NS6detail17trampoline_kernelINS0_14default_configENS1_27scan_by_key_config_selectorIssEEZZNS1_16scan_by_key_implILNS1_25lookback_scan_determinismE0ELb1ES3_N6thrust23THRUST_200600_302600_NS6detail15normal_iteratorINS9_10device_ptrIsEEEESE_SE_sNS9_4plusIsEE19head_flag_predicatesEE10hipError_tPvRmT2_T3_T4_T5_mT6_T7_P12ihipStream_tbENKUlT_T0_E_clISt17integral_constantIbLb1EESX_IbLb0EEEEDaST_SU_EUlST_E_NS1_11comp_targetILNS1_3genE0ELNS1_11target_archE4294967295ELNS1_3gpuE0ELNS1_3repE0EEENS1_30default_config_static_selectorELNS0_4arch9wavefront6targetE0EEEvT1_,"axG",@progbits,_ZN7rocprim17ROCPRIM_400000_NS6detail17trampoline_kernelINS0_14default_configENS1_27scan_by_key_config_selectorIssEEZZNS1_16scan_by_key_implILNS1_25lookback_scan_determinismE0ELb1ES3_N6thrust23THRUST_200600_302600_NS6detail15normal_iteratorINS9_10device_ptrIsEEEESE_SE_sNS9_4plusIsEE19head_flag_predicatesEE10hipError_tPvRmT2_T3_T4_T5_mT6_T7_P12ihipStream_tbENKUlT_T0_E_clISt17integral_constantIbLb1EESX_IbLb0EEEEDaST_SU_EUlST_E_NS1_11comp_targetILNS1_3genE0ELNS1_11target_archE4294967295ELNS1_3gpuE0ELNS1_3repE0EEENS1_30default_config_static_selectorELNS0_4arch9wavefront6targetE0EEEvT1_,comdat
	.protected	_ZN7rocprim17ROCPRIM_400000_NS6detail17trampoline_kernelINS0_14default_configENS1_27scan_by_key_config_selectorIssEEZZNS1_16scan_by_key_implILNS1_25lookback_scan_determinismE0ELb1ES3_N6thrust23THRUST_200600_302600_NS6detail15normal_iteratorINS9_10device_ptrIsEEEESE_SE_sNS9_4plusIsEE19head_flag_predicatesEE10hipError_tPvRmT2_T3_T4_T5_mT6_T7_P12ihipStream_tbENKUlT_T0_E_clISt17integral_constantIbLb1EESX_IbLb0EEEEDaST_SU_EUlST_E_NS1_11comp_targetILNS1_3genE0ELNS1_11target_archE4294967295ELNS1_3gpuE0ELNS1_3repE0EEENS1_30default_config_static_selectorELNS0_4arch9wavefront6targetE0EEEvT1_ ; -- Begin function _ZN7rocprim17ROCPRIM_400000_NS6detail17trampoline_kernelINS0_14default_configENS1_27scan_by_key_config_selectorIssEEZZNS1_16scan_by_key_implILNS1_25lookback_scan_determinismE0ELb1ES3_N6thrust23THRUST_200600_302600_NS6detail15normal_iteratorINS9_10device_ptrIsEEEESE_SE_sNS9_4plusIsEE19head_flag_predicatesEE10hipError_tPvRmT2_T3_T4_T5_mT6_T7_P12ihipStream_tbENKUlT_T0_E_clISt17integral_constantIbLb1EESX_IbLb0EEEEDaST_SU_EUlST_E_NS1_11comp_targetILNS1_3genE0ELNS1_11target_archE4294967295ELNS1_3gpuE0ELNS1_3repE0EEENS1_30default_config_static_selectorELNS0_4arch9wavefront6targetE0EEEvT1_
	.globl	_ZN7rocprim17ROCPRIM_400000_NS6detail17trampoline_kernelINS0_14default_configENS1_27scan_by_key_config_selectorIssEEZZNS1_16scan_by_key_implILNS1_25lookback_scan_determinismE0ELb1ES3_N6thrust23THRUST_200600_302600_NS6detail15normal_iteratorINS9_10device_ptrIsEEEESE_SE_sNS9_4plusIsEE19head_flag_predicatesEE10hipError_tPvRmT2_T3_T4_T5_mT6_T7_P12ihipStream_tbENKUlT_T0_E_clISt17integral_constantIbLb1EESX_IbLb0EEEEDaST_SU_EUlST_E_NS1_11comp_targetILNS1_3genE0ELNS1_11target_archE4294967295ELNS1_3gpuE0ELNS1_3repE0EEENS1_30default_config_static_selectorELNS0_4arch9wavefront6targetE0EEEvT1_
	.p2align	8
	.type	_ZN7rocprim17ROCPRIM_400000_NS6detail17trampoline_kernelINS0_14default_configENS1_27scan_by_key_config_selectorIssEEZZNS1_16scan_by_key_implILNS1_25lookback_scan_determinismE0ELb1ES3_N6thrust23THRUST_200600_302600_NS6detail15normal_iteratorINS9_10device_ptrIsEEEESE_SE_sNS9_4plusIsEE19head_flag_predicatesEE10hipError_tPvRmT2_T3_T4_T5_mT6_T7_P12ihipStream_tbENKUlT_T0_E_clISt17integral_constantIbLb1EESX_IbLb0EEEEDaST_SU_EUlST_E_NS1_11comp_targetILNS1_3genE0ELNS1_11target_archE4294967295ELNS1_3gpuE0ELNS1_3repE0EEENS1_30default_config_static_selectorELNS0_4arch9wavefront6targetE0EEEvT1_,@function
_ZN7rocprim17ROCPRIM_400000_NS6detail17trampoline_kernelINS0_14default_configENS1_27scan_by_key_config_selectorIssEEZZNS1_16scan_by_key_implILNS1_25lookback_scan_determinismE0ELb1ES3_N6thrust23THRUST_200600_302600_NS6detail15normal_iteratorINS9_10device_ptrIsEEEESE_SE_sNS9_4plusIsEE19head_flag_predicatesEE10hipError_tPvRmT2_T3_T4_T5_mT6_T7_P12ihipStream_tbENKUlT_T0_E_clISt17integral_constantIbLb1EESX_IbLb0EEEEDaST_SU_EUlST_E_NS1_11comp_targetILNS1_3genE0ELNS1_11target_archE4294967295ELNS1_3gpuE0ELNS1_3repE0EEENS1_30default_config_static_selectorELNS0_4arch9wavefront6targetE0EEEvT1_: ; @_ZN7rocprim17ROCPRIM_400000_NS6detail17trampoline_kernelINS0_14default_configENS1_27scan_by_key_config_selectorIssEEZZNS1_16scan_by_key_implILNS1_25lookback_scan_determinismE0ELb1ES3_N6thrust23THRUST_200600_302600_NS6detail15normal_iteratorINS9_10device_ptrIsEEEESE_SE_sNS9_4plusIsEE19head_flag_predicatesEE10hipError_tPvRmT2_T3_T4_T5_mT6_T7_P12ihipStream_tbENKUlT_T0_E_clISt17integral_constantIbLb1EESX_IbLb0EEEEDaST_SU_EUlST_E_NS1_11comp_targetILNS1_3genE0ELNS1_11target_archE4294967295ELNS1_3gpuE0ELNS1_3repE0EEENS1_30default_config_static_selectorELNS0_4arch9wavefront6targetE0EEEvT1_
; %bb.0:
	.section	.rodata,"a",@progbits
	.p2align	6, 0x0
	.amdhsa_kernel _ZN7rocprim17ROCPRIM_400000_NS6detail17trampoline_kernelINS0_14default_configENS1_27scan_by_key_config_selectorIssEEZZNS1_16scan_by_key_implILNS1_25lookback_scan_determinismE0ELb1ES3_N6thrust23THRUST_200600_302600_NS6detail15normal_iteratorINS9_10device_ptrIsEEEESE_SE_sNS9_4plusIsEE19head_flag_predicatesEE10hipError_tPvRmT2_T3_T4_T5_mT6_T7_P12ihipStream_tbENKUlT_T0_E_clISt17integral_constantIbLb1EESX_IbLb0EEEEDaST_SU_EUlST_E_NS1_11comp_targetILNS1_3genE0ELNS1_11target_archE4294967295ELNS1_3gpuE0ELNS1_3repE0EEENS1_30default_config_static_selectorELNS0_4arch9wavefront6targetE0EEEvT1_
		.amdhsa_group_segment_fixed_size 0
		.amdhsa_private_segment_fixed_size 0
		.amdhsa_kernarg_size 112
		.amdhsa_user_sgpr_count 6
		.amdhsa_user_sgpr_private_segment_buffer 1
		.amdhsa_user_sgpr_dispatch_ptr 0
		.amdhsa_user_sgpr_queue_ptr 0
		.amdhsa_user_sgpr_kernarg_segment_ptr 1
		.amdhsa_user_sgpr_dispatch_id 0
		.amdhsa_user_sgpr_flat_scratch_init 0
		.amdhsa_user_sgpr_private_segment_size 0
		.amdhsa_wavefront_size32 1
		.amdhsa_uses_dynamic_stack 0
		.amdhsa_system_sgpr_private_segment_wavefront_offset 0
		.amdhsa_system_sgpr_workgroup_id_x 1
		.amdhsa_system_sgpr_workgroup_id_y 0
		.amdhsa_system_sgpr_workgroup_id_z 0
		.amdhsa_system_sgpr_workgroup_info 0
		.amdhsa_system_vgpr_workitem_id 0
		.amdhsa_next_free_vgpr 1
		.amdhsa_next_free_sgpr 1
		.amdhsa_reserve_vcc 0
		.amdhsa_reserve_flat_scratch 0
		.amdhsa_float_round_mode_32 0
		.amdhsa_float_round_mode_16_64 0
		.amdhsa_float_denorm_mode_32 3
		.amdhsa_float_denorm_mode_16_64 3
		.amdhsa_dx10_clamp 1
		.amdhsa_ieee_mode 1
		.amdhsa_fp16_overflow 0
		.amdhsa_workgroup_processor_mode 1
		.amdhsa_memory_ordered 1
		.amdhsa_forward_progress 1
		.amdhsa_shared_vgpr_count 0
		.amdhsa_exception_fp_ieee_invalid_op 0
		.amdhsa_exception_fp_denorm_src 0
		.amdhsa_exception_fp_ieee_div_zero 0
		.amdhsa_exception_fp_ieee_overflow 0
		.amdhsa_exception_fp_ieee_underflow 0
		.amdhsa_exception_fp_ieee_inexact 0
		.amdhsa_exception_int_div_zero 0
	.end_amdhsa_kernel
	.section	.text._ZN7rocprim17ROCPRIM_400000_NS6detail17trampoline_kernelINS0_14default_configENS1_27scan_by_key_config_selectorIssEEZZNS1_16scan_by_key_implILNS1_25lookback_scan_determinismE0ELb1ES3_N6thrust23THRUST_200600_302600_NS6detail15normal_iteratorINS9_10device_ptrIsEEEESE_SE_sNS9_4plusIsEE19head_flag_predicatesEE10hipError_tPvRmT2_T3_T4_T5_mT6_T7_P12ihipStream_tbENKUlT_T0_E_clISt17integral_constantIbLb1EESX_IbLb0EEEEDaST_SU_EUlST_E_NS1_11comp_targetILNS1_3genE0ELNS1_11target_archE4294967295ELNS1_3gpuE0ELNS1_3repE0EEENS1_30default_config_static_selectorELNS0_4arch9wavefront6targetE0EEEvT1_,"axG",@progbits,_ZN7rocprim17ROCPRIM_400000_NS6detail17trampoline_kernelINS0_14default_configENS1_27scan_by_key_config_selectorIssEEZZNS1_16scan_by_key_implILNS1_25lookback_scan_determinismE0ELb1ES3_N6thrust23THRUST_200600_302600_NS6detail15normal_iteratorINS9_10device_ptrIsEEEESE_SE_sNS9_4plusIsEE19head_flag_predicatesEE10hipError_tPvRmT2_T3_T4_T5_mT6_T7_P12ihipStream_tbENKUlT_T0_E_clISt17integral_constantIbLb1EESX_IbLb0EEEEDaST_SU_EUlST_E_NS1_11comp_targetILNS1_3genE0ELNS1_11target_archE4294967295ELNS1_3gpuE0ELNS1_3repE0EEENS1_30default_config_static_selectorELNS0_4arch9wavefront6targetE0EEEvT1_,comdat
.Lfunc_end875:
	.size	_ZN7rocprim17ROCPRIM_400000_NS6detail17trampoline_kernelINS0_14default_configENS1_27scan_by_key_config_selectorIssEEZZNS1_16scan_by_key_implILNS1_25lookback_scan_determinismE0ELb1ES3_N6thrust23THRUST_200600_302600_NS6detail15normal_iteratorINS9_10device_ptrIsEEEESE_SE_sNS9_4plusIsEE19head_flag_predicatesEE10hipError_tPvRmT2_T3_T4_T5_mT6_T7_P12ihipStream_tbENKUlT_T0_E_clISt17integral_constantIbLb1EESX_IbLb0EEEEDaST_SU_EUlST_E_NS1_11comp_targetILNS1_3genE0ELNS1_11target_archE4294967295ELNS1_3gpuE0ELNS1_3repE0EEENS1_30default_config_static_selectorELNS0_4arch9wavefront6targetE0EEEvT1_, .Lfunc_end875-_ZN7rocprim17ROCPRIM_400000_NS6detail17trampoline_kernelINS0_14default_configENS1_27scan_by_key_config_selectorIssEEZZNS1_16scan_by_key_implILNS1_25lookback_scan_determinismE0ELb1ES3_N6thrust23THRUST_200600_302600_NS6detail15normal_iteratorINS9_10device_ptrIsEEEESE_SE_sNS9_4plusIsEE19head_flag_predicatesEE10hipError_tPvRmT2_T3_T4_T5_mT6_T7_P12ihipStream_tbENKUlT_T0_E_clISt17integral_constantIbLb1EESX_IbLb0EEEEDaST_SU_EUlST_E_NS1_11comp_targetILNS1_3genE0ELNS1_11target_archE4294967295ELNS1_3gpuE0ELNS1_3repE0EEENS1_30default_config_static_selectorELNS0_4arch9wavefront6targetE0EEEvT1_
                                        ; -- End function
	.set _ZN7rocprim17ROCPRIM_400000_NS6detail17trampoline_kernelINS0_14default_configENS1_27scan_by_key_config_selectorIssEEZZNS1_16scan_by_key_implILNS1_25lookback_scan_determinismE0ELb1ES3_N6thrust23THRUST_200600_302600_NS6detail15normal_iteratorINS9_10device_ptrIsEEEESE_SE_sNS9_4plusIsEE19head_flag_predicatesEE10hipError_tPvRmT2_T3_T4_T5_mT6_T7_P12ihipStream_tbENKUlT_T0_E_clISt17integral_constantIbLb1EESX_IbLb0EEEEDaST_SU_EUlST_E_NS1_11comp_targetILNS1_3genE0ELNS1_11target_archE4294967295ELNS1_3gpuE0ELNS1_3repE0EEENS1_30default_config_static_selectorELNS0_4arch9wavefront6targetE0EEEvT1_.num_vgpr, 0
	.set _ZN7rocprim17ROCPRIM_400000_NS6detail17trampoline_kernelINS0_14default_configENS1_27scan_by_key_config_selectorIssEEZZNS1_16scan_by_key_implILNS1_25lookback_scan_determinismE0ELb1ES3_N6thrust23THRUST_200600_302600_NS6detail15normal_iteratorINS9_10device_ptrIsEEEESE_SE_sNS9_4plusIsEE19head_flag_predicatesEE10hipError_tPvRmT2_T3_T4_T5_mT6_T7_P12ihipStream_tbENKUlT_T0_E_clISt17integral_constantIbLb1EESX_IbLb0EEEEDaST_SU_EUlST_E_NS1_11comp_targetILNS1_3genE0ELNS1_11target_archE4294967295ELNS1_3gpuE0ELNS1_3repE0EEENS1_30default_config_static_selectorELNS0_4arch9wavefront6targetE0EEEvT1_.num_agpr, 0
	.set _ZN7rocprim17ROCPRIM_400000_NS6detail17trampoline_kernelINS0_14default_configENS1_27scan_by_key_config_selectorIssEEZZNS1_16scan_by_key_implILNS1_25lookback_scan_determinismE0ELb1ES3_N6thrust23THRUST_200600_302600_NS6detail15normal_iteratorINS9_10device_ptrIsEEEESE_SE_sNS9_4plusIsEE19head_flag_predicatesEE10hipError_tPvRmT2_T3_T4_T5_mT6_T7_P12ihipStream_tbENKUlT_T0_E_clISt17integral_constantIbLb1EESX_IbLb0EEEEDaST_SU_EUlST_E_NS1_11comp_targetILNS1_3genE0ELNS1_11target_archE4294967295ELNS1_3gpuE0ELNS1_3repE0EEENS1_30default_config_static_selectorELNS0_4arch9wavefront6targetE0EEEvT1_.numbered_sgpr, 0
	.set _ZN7rocprim17ROCPRIM_400000_NS6detail17trampoline_kernelINS0_14default_configENS1_27scan_by_key_config_selectorIssEEZZNS1_16scan_by_key_implILNS1_25lookback_scan_determinismE0ELb1ES3_N6thrust23THRUST_200600_302600_NS6detail15normal_iteratorINS9_10device_ptrIsEEEESE_SE_sNS9_4plusIsEE19head_flag_predicatesEE10hipError_tPvRmT2_T3_T4_T5_mT6_T7_P12ihipStream_tbENKUlT_T0_E_clISt17integral_constantIbLb1EESX_IbLb0EEEEDaST_SU_EUlST_E_NS1_11comp_targetILNS1_3genE0ELNS1_11target_archE4294967295ELNS1_3gpuE0ELNS1_3repE0EEENS1_30default_config_static_selectorELNS0_4arch9wavefront6targetE0EEEvT1_.num_named_barrier, 0
	.set _ZN7rocprim17ROCPRIM_400000_NS6detail17trampoline_kernelINS0_14default_configENS1_27scan_by_key_config_selectorIssEEZZNS1_16scan_by_key_implILNS1_25lookback_scan_determinismE0ELb1ES3_N6thrust23THRUST_200600_302600_NS6detail15normal_iteratorINS9_10device_ptrIsEEEESE_SE_sNS9_4plusIsEE19head_flag_predicatesEE10hipError_tPvRmT2_T3_T4_T5_mT6_T7_P12ihipStream_tbENKUlT_T0_E_clISt17integral_constantIbLb1EESX_IbLb0EEEEDaST_SU_EUlST_E_NS1_11comp_targetILNS1_3genE0ELNS1_11target_archE4294967295ELNS1_3gpuE0ELNS1_3repE0EEENS1_30default_config_static_selectorELNS0_4arch9wavefront6targetE0EEEvT1_.private_seg_size, 0
	.set _ZN7rocprim17ROCPRIM_400000_NS6detail17trampoline_kernelINS0_14default_configENS1_27scan_by_key_config_selectorIssEEZZNS1_16scan_by_key_implILNS1_25lookback_scan_determinismE0ELb1ES3_N6thrust23THRUST_200600_302600_NS6detail15normal_iteratorINS9_10device_ptrIsEEEESE_SE_sNS9_4plusIsEE19head_flag_predicatesEE10hipError_tPvRmT2_T3_T4_T5_mT6_T7_P12ihipStream_tbENKUlT_T0_E_clISt17integral_constantIbLb1EESX_IbLb0EEEEDaST_SU_EUlST_E_NS1_11comp_targetILNS1_3genE0ELNS1_11target_archE4294967295ELNS1_3gpuE0ELNS1_3repE0EEENS1_30default_config_static_selectorELNS0_4arch9wavefront6targetE0EEEvT1_.uses_vcc, 0
	.set _ZN7rocprim17ROCPRIM_400000_NS6detail17trampoline_kernelINS0_14default_configENS1_27scan_by_key_config_selectorIssEEZZNS1_16scan_by_key_implILNS1_25lookback_scan_determinismE0ELb1ES3_N6thrust23THRUST_200600_302600_NS6detail15normal_iteratorINS9_10device_ptrIsEEEESE_SE_sNS9_4plusIsEE19head_flag_predicatesEE10hipError_tPvRmT2_T3_T4_T5_mT6_T7_P12ihipStream_tbENKUlT_T0_E_clISt17integral_constantIbLb1EESX_IbLb0EEEEDaST_SU_EUlST_E_NS1_11comp_targetILNS1_3genE0ELNS1_11target_archE4294967295ELNS1_3gpuE0ELNS1_3repE0EEENS1_30default_config_static_selectorELNS0_4arch9wavefront6targetE0EEEvT1_.uses_flat_scratch, 0
	.set _ZN7rocprim17ROCPRIM_400000_NS6detail17trampoline_kernelINS0_14default_configENS1_27scan_by_key_config_selectorIssEEZZNS1_16scan_by_key_implILNS1_25lookback_scan_determinismE0ELb1ES3_N6thrust23THRUST_200600_302600_NS6detail15normal_iteratorINS9_10device_ptrIsEEEESE_SE_sNS9_4plusIsEE19head_flag_predicatesEE10hipError_tPvRmT2_T3_T4_T5_mT6_T7_P12ihipStream_tbENKUlT_T0_E_clISt17integral_constantIbLb1EESX_IbLb0EEEEDaST_SU_EUlST_E_NS1_11comp_targetILNS1_3genE0ELNS1_11target_archE4294967295ELNS1_3gpuE0ELNS1_3repE0EEENS1_30default_config_static_selectorELNS0_4arch9wavefront6targetE0EEEvT1_.has_dyn_sized_stack, 0
	.set _ZN7rocprim17ROCPRIM_400000_NS6detail17trampoline_kernelINS0_14default_configENS1_27scan_by_key_config_selectorIssEEZZNS1_16scan_by_key_implILNS1_25lookback_scan_determinismE0ELb1ES3_N6thrust23THRUST_200600_302600_NS6detail15normal_iteratorINS9_10device_ptrIsEEEESE_SE_sNS9_4plusIsEE19head_flag_predicatesEE10hipError_tPvRmT2_T3_T4_T5_mT6_T7_P12ihipStream_tbENKUlT_T0_E_clISt17integral_constantIbLb1EESX_IbLb0EEEEDaST_SU_EUlST_E_NS1_11comp_targetILNS1_3genE0ELNS1_11target_archE4294967295ELNS1_3gpuE0ELNS1_3repE0EEENS1_30default_config_static_selectorELNS0_4arch9wavefront6targetE0EEEvT1_.has_recursion, 0
	.set _ZN7rocprim17ROCPRIM_400000_NS6detail17trampoline_kernelINS0_14default_configENS1_27scan_by_key_config_selectorIssEEZZNS1_16scan_by_key_implILNS1_25lookback_scan_determinismE0ELb1ES3_N6thrust23THRUST_200600_302600_NS6detail15normal_iteratorINS9_10device_ptrIsEEEESE_SE_sNS9_4plusIsEE19head_flag_predicatesEE10hipError_tPvRmT2_T3_T4_T5_mT6_T7_P12ihipStream_tbENKUlT_T0_E_clISt17integral_constantIbLb1EESX_IbLb0EEEEDaST_SU_EUlST_E_NS1_11comp_targetILNS1_3genE0ELNS1_11target_archE4294967295ELNS1_3gpuE0ELNS1_3repE0EEENS1_30default_config_static_selectorELNS0_4arch9wavefront6targetE0EEEvT1_.has_indirect_call, 0
	.section	.AMDGPU.csdata,"",@progbits
; Kernel info:
; codeLenInByte = 0
; TotalNumSgprs: 0
; NumVgprs: 0
; ScratchSize: 0
; MemoryBound: 0
; FloatMode: 240
; IeeeMode: 1
; LDSByteSize: 0 bytes/workgroup (compile time only)
; SGPRBlocks: 0
; VGPRBlocks: 0
; NumSGPRsForWavesPerEU: 1
; NumVGPRsForWavesPerEU: 1
; Occupancy: 16
; WaveLimiterHint : 0
; COMPUTE_PGM_RSRC2:SCRATCH_EN: 0
; COMPUTE_PGM_RSRC2:USER_SGPR: 6
; COMPUTE_PGM_RSRC2:TRAP_HANDLER: 0
; COMPUTE_PGM_RSRC2:TGID_X_EN: 1
; COMPUTE_PGM_RSRC2:TGID_Y_EN: 0
; COMPUTE_PGM_RSRC2:TGID_Z_EN: 0
; COMPUTE_PGM_RSRC2:TIDIG_COMP_CNT: 0
	.section	.text._ZN7rocprim17ROCPRIM_400000_NS6detail17trampoline_kernelINS0_14default_configENS1_27scan_by_key_config_selectorIssEEZZNS1_16scan_by_key_implILNS1_25lookback_scan_determinismE0ELb1ES3_N6thrust23THRUST_200600_302600_NS6detail15normal_iteratorINS9_10device_ptrIsEEEESE_SE_sNS9_4plusIsEE19head_flag_predicatesEE10hipError_tPvRmT2_T3_T4_T5_mT6_T7_P12ihipStream_tbENKUlT_T0_E_clISt17integral_constantIbLb1EESX_IbLb0EEEEDaST_SU_EUlST_E_NS1_11comp_targetILNS1_3genE10ELNS1_11target_archE1201ELNS1_3gpuE5ELNS1_3repE0EEENS1_30default_config_static_selectorELNS0_4arch9wavefront6targetE0EEEvT1_,"axG",@progbits,_ZN7rocprim17ROCPRIM_400000_NS6detail17trampoline_kernelINS0_14default_configENS1_27scan_by_key_config_selectorIssEEZZNS1_16scan_by_key_implILNS1_25lookback_scan_determinismE0ELb1ES3_N6thrust23THRUST_200600_302600_NS6detail15normal_iteratorINS9_10device_ptrIsEEEESE_SE_sNS9_4plusIsEE19head_flag_predicatesEE10hipError_tPvRmT2_T3_T4_T5_mT6_T7_P12ihipStream_tbENKUlT_T0_E_clISt17integral_constantIbLb1EESX_IbLb0EEEEDaST_SU_EUlST_E_NS1_11comp_targetILNS1_3genE10ELNS1_11target_archE1201ELNS1_3gpuE5ELNS1_3repE0EEENS1_30default_config_static_selectorELNS0_4arch9wavefront6targetE0EEEvT1_,comdat
	.protected	_ZN7rocprim17ROCPRIM_400000_NS6detail17trampoline_kernelINS0_14default_configENS1_27scan_by_key_config_selectorIssEEZZNS1_16scan_by_key_implILNS1_25lookback_scan_determinismE0ELb1ES3_N6thrust23THRUST_200600_302600_NS6detail15normal_iteratorINS9_10device_ptrIsEEEESE_SE_sNS9_4plusIsEE19head_flag_predicatesEE10hipError_tPvRmT2_T3_T4_T5_mT6_T7_P12ihipStream_tbENKUlT_T0_E_clISt17integral_constantIbLb1EESX_IbLb0EEEEDaST_SU_EUlST_E_NS1_11comp_targetILNS1_3genE10ELNS1_11target_archE1201ELNS1_3gpuE5ELNS1_3repE0EEENS1_30default_config_static_selectorELNS0_4arch9wavefront6targetE0EEEvT1_ ; -- Begin function _ZN7rocprim17ROCPRIM_400000_NS6detail17trampoline_kernelINS0_14default_configENS1_27scan_by_key_config_selectorIssEEZZNS1_16scan_by_key_implILNS1_25lookback_scan_determinismE0ELb1ES3_N6thrust23THRUST_200600_302600_NS6detail15normal_iteratorINS9_10device_ptrIsEEEESE_SE_sNS9_4plusIsEE19head_flag_predicatesEE10hipError_tPvRmT2_T3_T4_T5_mT6_T7_P12ihipStream_tbENKUlT_T0_E_clISt17integral_constantIbLb1EESX_IbLb0EEEEDaST_SU_EUlST_E_NS1_11comp_targetILNS1_3genE10ELNS1_11target_archE1201ELNS1_3gpuE5ELNS1_3repE0EEENS1_30default_config_static_selectorELNS0_4arch9wavefront6targetE0EEEvT1_
	.globl	_ZN7rocprim17ROCPRIM_400000_NS6detail17trampoline_kernelINS0_14default_configENS1_27scan_by_key_config_selectorIssEEZZNS1_16scan_by_key_implILNS1_25lookback_scan_determinismE0ELb1ES3_N6thrust23THRUST_200600_302600_NS6detail15normal_iteratorINS9_10device_ptrIsEEEESE_SE_sNS9_4plusIsEE19head_flag_predicatesEE10hipError_tPvRmT2_T3_T4_T5_mT6_T7_P12ihipStream_tbENKUlT_T0_E_clISt17integral_constantIbLb1EESX_IbLb0EEEEDaST_SU_EUlST_E_NS1_11comp_targetILNS1_3genE10ELNS1_11target_archE1201ELNS1_3gpuE5ELNS1_3repE0EEENS1_30default_config_static_selectorELNS0_4arch9wavefront6targetE0EEEvT1_
	.p2align	8
	.type	_ZN7rocprim17ROCPRIM_400000_NS6detail17trampoline_kernelINS0_14default_configENS1_27scan_by_key_config_selectorIssEEZZNS1_16scan_by_key_implILNS1_25lookback_scan_determinismE0ELb1ES3_N6thrust23THRUST_200600_302600_NS6detail15normal_iteratorINS9_10device_ptrIsEEEESE_SE_sNS9_4plusIsEE19head_flag_predicatesEE10hipError_tPvRmT2_T3_T4_T5_mT6_T7_P12ihipStream_tbENKUlT_T0_E_clISt17integral_constantIbLb1EESX_IbLb0EEEEDaST_SU_EUlST_E_NS1_11comp_targetILNS1_3genE10ELNS1_11target_archE1201ELNS1_3gpuE5ELNS1_3repE0EEENS1_30default_config_static_selectorELNS0_4arch9wavefront6targetE0EEEvT1_,@function
_ZN7rocprim17ROCPRIM_400000_NS6detail17trampoline_kernelINS0_14default_configENS1_27scan_by_key_config_selectorIssEEZZNS1_16scan_by_key_implILNS1_25lookback_scan_determinismE0ELb1ES3_N6thrust23THRUST_200600_302600_NS6detail15normal_iteratorINS9_10device_ptrIsEEEESE_SE_sNS9_4plusIsEE19head_flag_predicatesEE10hipError_tPvRmT2_T3_T4_T5_mT6_T7_P12ihipStream_tbENKUlT_T0_E_clISt17integral_constantIbLb1EESX_IbLb0EEEEDaST_SU_EUlST_E_NS1_11comp_targetILNS1_3genE10ELNS1_11target_archE1201ELNS1_3gpuE5ELNS1_3repE0EEENS1_30default_config_static_selectorELNS0_4arch9wavefront6targetE0EEEvT1_: ; @_ZN7rocprim17ROCPRIM_400000_NS6detail17trampoline_kernelINS0_14default_configENS1_27scan_by_key_config_selectorIssEEZZNS1_16scan_by_key_implILNS1_25lookback_scan_determinismE0ELb1ES3_N6thrust23THRUST_200600_302600_NS6detail15normal_iteratorINS9_10device_ptrIsEEEESE_SE_sNS9_4plusIsEE19head_flag_predicatesEE10hipError_tPvRmT2_T3_T4_T5_mT6_T7_P12ihipStream_tbENKUlT_T0_E_clISt17integral_constantIbLb1EESX_IbLb0EEEEDaST_SU_EUlST_E_NS1_11comp_targetILNS1_3genE10ELNS1_11target_archE1201ELNS1_3gpuE5ELNS1_3repE0EEENS1_30default_config_static_selectorELNS0_4arch9wavefront6targetE0EEEvT1_
; %bb.0:
	.section	.rodata,"a",@progbits
	.p2align	6, 0x0
	.amdhsa_kernel _ZN7rocprim17ROCPRIM_400000_NS6detail17trampoline_kernelINS0_14default_configENS1_27scan_by_key_config_selectorIssEEZZNS1_16scan_by_key_implILNS1_25lookback_scan_determinismE0ELb1ES3_N6thrust23THRUST_200600_302600_NS6detail15normal_iteratorINS9_10device_ptrIsEEEESE_SE_sNS9_4plusIsEE19head_flag_predicatesEE10hipError_tPvRmT2_T3_T4_T5_mT6_T7_P12ihipStream_tbENKUlT_T0_E_clISt17integral_constantIbLb1EESX_IbLb0EEEEDaST_SU_EUlST_E_NS1_11comp_targetILNS1_3genE10ELNS1_11target_archE1201ELNS1_3gpuE5ELNS1_3repE0EEENS1_30default_config_static_selectorELNS0_4arch9wavefront6targetE0EEEvT1_
		.amdhsa_group_segment_fixed_size 0
		.amdhsa_private_segment_fixed_size 0
		.amdhsa_kernarg_size 112
		.amdhsa_user_sgpr_count 6
		.amdhsa_user_sgpr_private_segment_buffer 1
		.amdhsa_user_sgpr_dispatch_ptr 0
		.amdhsa_user_sgpr_queue_ptr 0
		.amdhsa_user_sgpr_kernarg_segment_ptr 1
		.amdhsa_user_sgpr_dispatch_id 0
		.amdhsa_user_sgpr_flat_scratch_init 0
		.amdhsa_user_sgpr_private_segment_size 0
		.amdhsa_wavefront_size32 1
		.amdhsa_uses_dynamic_stack 0
		.amdhsa_system_sgpr_private_segment_wavefront_offset 0
		.amdhsa_system_sgpr_workgroup_id_x 1
		.amdhsa_system_sgpr_workgroup_id_y 0
		.amdhsa_system_sgpr_workgroup_id_z 0
		.amdhsa_system_sgpr_workgroup_info 0
		.amdhsa_system_vgpr_workitem_id 0
		.amdhsa_next_free_vgpr 1
		.amdhsa_next_free_sgpr 1
		.amdhsa_reserve_vcc 0
		.amdhsa_reserve_flat_scratch 0
		.amdhsa_float_round_mode_32 0
		.amdhsa_float_round_mode_16_64 0
		.amdhsa_float_denorm_mode_32 3
		.amdhsa_float_denorm_mode_16_64 3
		.amdhsa_dx10_clamp 1
		.amdhsa_ieee_mode 1
		.amdhsa_fp16_overflow 0
		.amdhsa_workgroup_processor_mode 1
		.amdhsa_memory_ordered 1
		.amdhsa_forward_progress 1
		.amdhsa_shared_vgpr_count 0
		.amdhsa_exception_fp_ieee_invalid_op 0
		.amdhsa_exception_fp_denorm_src 0
		.amdhsa_exception_fp_ieee_div_zero 0
		.amdhsa_exception_fp_ieee_overflow 0
		.amdhsa_exception_fp_ieee_underflow 0
		.amdhsa_exception_fp_ieee_inexact 0
		.amdhsa_exception_int_div_zero 0
	.end_amdhsa_kernel
	.section	.text._ZN7rocprim17ROCPRIM_400000_NS6detail17trampoline_kernelINS0_14default_configENS1_27scan_by_key_config_selectorIssEEZZNS1_16scan_by_key_implILNS1_25lookback_scan_determinismE0ELb1ES3_N6thrust23THRUST_200600_302600_NS6detail15normal_iteratorINS9_10device_ptrIsEEEESE_SE_sNS9_4plusIsEE19head_flag_predicatesEE10hipError_tPvRmT2_T3_T4_T5_mT6_T7_P12ihipStream_tbENKUlT_T0_E_clISt17integral_constantIbLb1EESX_IbLb0EEEEDaST_SU_EUlST_E_NS1_11comp_targetILNS1_3genE10ELNS1_11target_archE1201ELNS1_3gpuE5ELNS1_3repE0EEENS1_30default_config_static_selectorELNS0_4arch9wavefront6targetE0EEEvT1_,"axG",@progbits,_ZN7rocprim17ROCPRIM_400000_NS6detail17trampoline_kernelINS0_14default_configENS1_27scan_by_key_config_selectorIssEEZZNS1_16scan_by_key_implILNS1_25lookback_scan_determinismE0ELb1ES3_N6thrust23THRUST_200600_302600_NS6detail15normal_iteratorINS9_10device_ptrIsEEEESE_SE_sNS9_4plusIsEE19head_flag_predicatesEE10hipError_tPvRmT2_T3_T4_T5_mT6_T7_P12ihipStream_tbENKUlT_T0_E_clISt17integral_constantIbLb1EESX_IbLb0EEEEDaST_SU_EUlST_E_NS1_11comp_targetILNS1_3genE10ELNS1_11target_archE1201ELNS1_3gpuE5ELNS1_3repE0EEENS1_30default_config_static_selectorELNS0_4arch9wavefront6targetE0EEEvT1_,comdat
.Lfunc_end876:
	.size	_ZN7rocprim17ROCPRIM_400000_NS6detail17trampoline_kernelINS0_14default_configENS1_27scan_by_key_config_selectorIssEEZZNS1_16scan_by_key_implILNS1_25lookback_scan_determinismE0ELb1ES3_N6thrust23THRUST_200600_302600_NS6detail15normal_iteratorINS9_10device_ptrIsEEEESE_SE_sNS9_4plusIsEE19head_flag_predicatesEE10hipError_tPvRmT2_T3_T4_T5_mT6_T7_P12ihipStream_tbENKUlT_T0_E_clISt17integral_constantIbLb1EESX_IbLb0EEEEDaST_SU_EUlST_E_NS1_11comp_targetILNS1_3genE10ELNS1_11target_archE1201ELNS1_3gpuE5ELNS1_3repE0EEENS1_30default_config_static_selectorELNS0_4arch9wavefront6targetE0EEEvT1_, .Lfunc_end876-_ZN7rocprim17ROCPRIM_400000_NS6detail17trampoline_kernelINS0_14default_configENS1_27scan_by_key_config_selectorIssEEZZNS1_16scan_by_key_implILNS1_25lookback_scan_determinismE0ELb1ES3_N6thrust23THRUST_200600_302600_NS6detail15normal_iteratorINS9_10device_ptrIsEEEESE_SE_sNS9_4plusIsEE19head_flag_predicatesEE10hipError_tPvRmT2_T3_T4_T5_mT6_T7_P12ihipStream_tbENKUlT_T0_E_clISt17integral_constantIbLb1EESX_IbLb0EEEEDaST_SU_EUlST_E_NS1_11comp_targetILNS1_3genE10ELNS1_11target_archE1201ELNS1_3gpuE5ELNS1_3repE0EEENS1_30default_config_static_selectorELNS0_4arch9wavefront6targetE0EEEvT1_
                                        ; -- End function
	.set _ZN7rocprim17ROCPRIM_400000_NS6detail17trampoline_kernelINS0_14default_configENS1_27scan_by_key_config_selectorIssEEZZNS1_16scan_by_key_implILNS1_25lookback_scan_determinismE0ELb1ES3_N6thrust23THRUST_200600_302600_NS6detail15normal_iteratorINS9_10device_ptrIsEEEESE_SE_sNS9_4plusIsEE19head_flag_predicatesEE10hipError_tPvRmT2_T3_T4_T5_mT6_T7_P12ihipStream_tbENKUlT_T0_E_clISt17integral_constantIbLb1EESX_IbLb0EEEEDaST_SU_EUlST_E_NS1_11comp_targetILNS1_3genE10ELNS1_11target_archE1201ELNS1_3gpuE5ELNS1_3repE0EEENS1_30default_config_static_selectorELNS0_4arch9wavefront6targetE0EEEvT1_.num_vgpr, 0
	.set _ZN7rocprim17ROCPRIM_400000_NS6detail17trampoline_kernelINS0_14default_configENS1_27scan_by_key_config_selectorIssEEZZNS1_16scan_by_key_implILNS1_25lookback_scan_determinismE0ELb1ES3_N6thrust23THRUST_200600_302600_NS6detail15normal_iteratorINS9_10device_ptrIsEEEESE_SE_sNS9_4plusIsEE19head_flag_predicatesEE10hipError_tPvRmT2_T3_T4_T5_mT6_T7_P12ihipStream_tbENKUlT_T0_E_clISt17integral_constantIbLb1EESX_IbLb0EEEEDaST_SU_EUlST_E_NS1_11comp_targetILNS1_3genE10ELNS1_11target_archE1201ELNS1_3gpuE5ELNS1_3repE0EEENS1_30default_config_static_selectorELNS0_4arch9wavefront6targetE0EEEvT1_.num_agpr, 0
	.set _ZN7rocprim17ROCPRIM_400000_NS6detail17trampoline_kernelINS0_14default_configENS1_27scan_by_key_config_selectorIssEEZZNS1_16scan_by_key_implILNS1_25lookback_scan_determinismE0ELb1ES3_N6thrust23THRUST_200600_302600_NS6detail15normal_iteratorINS9_10device_ptrIsEEEESE_SE_sNS9_4plusIsEE19head_flag_predicatesEE10hipError_tPvRmT2_T3_T4_T5_mT6_T7_P12ihipStream_tbENKUlT_T0_E_clISt17integral_constantIbLb1EESX_IbLb0EEEEDaST_SU_EUlST_E_NS1_11comp_targetILNS1_3genE10ELNS1_11target_archE1201ELNS1_3gpuE5ELNS1_3repE0EEENS1_30default_config_static_selectorELNS0_4arch9wavefront6targetE0EEEvT1_.numbered_sgpr, 0
	.set _ZN7rocprim17ROCPRIM_400000_NS6detail17trampoline_kernelINS0_14default_configENS1_27scan_by_key_config_selectorIssEEZZNS1_16scan_by_key_implILNS1_25lookback_scan_determinismE0ELb1ES3_N6thrust23THRUST_200600_302600_NS6detail15normal_iteratorINS9_10device_ptrIsEEEESE_SE_sNS9_4plusIsEE19head_flag_predicatesEE10hipError_tPvRmT2_T3_T4_T5_mT6_T7_P12ihipStream_tbENKUlT_T0_E_clISt17integral_constantIbLb1EESX_IbLb0EEEEDaST_SU_EUlST_E_NS1_11comp_targetILNS1_3genE10ELNS1_11target_archE1201ELNS1_3gpuE5ELNS1_3repE0EEENS1_30default_config_static_selectorELNS0_4arch9wavefront6targetE0EEEvT1_.num_named_barrier, 0
	.set _ZN7rocprim17ROCPRIM_400000_NS6detail17trampoline_kernelINS0_14default_configENS1_27scan_by_key_config_selectorIssEEZZNS1_16scan_by_key_implILNS1_25lookback_scan_determinismE0ELb1ES3_N6thrust23THRUST_200600_302600_NS6detail15normal_iteratorINS9_10device_ptrIsEEEESE_SE_sNS9_4plusIsEE19head_flag_predicatesEE10hipError_tPvRmT2_T3_T4_T5_mT6_T7_P12ihipStream_tbENKUlT_T0_E_clISt17integral_constantIbLb1EESX_IbLb0EEEEDaST_SU_EUlST_E_NS1_11comp_targetILNS1_3genE10ELNS1_11target_archE1201ELNS1_3gpuE5ELNS1_3repE0EEENS1_30default_config_static_selectorELNS0_4arch9wavefront6targetE0EEEvT1_.private_seg_size, 0
	.set _ZN7rocprim17ROCPRIM_400000_NS6detail17trampoline_kernelINS0_14default_configENS1_27scan_by_key_config_selectorIssEEZZNS1_16scan_by_key_implILNS1_25lookback_scan_determinismE0ELb1ES3_N6thrust23THRUST_200600_302600_NS6detail15normal_iteratorINS9_10device_ptrIsEEEESE_SE_sNS9_4plusIsEE19head_flag_predicatesEE10hipError_tPvRmT2_T3_T4_T5_mT6_T7_P12ihipStream_tbENKUlT_T0_E_clISt17integral_constantIbLb1EESX_IbLb0EEEEDaST_SU_EUlST_E_NS1_11comp_targetILNS1_3genE10ELNS1_11target_archE1201ELNS1_3gpuE5ELNS1_3repE0EEENS1_30default_config_static_selectorELNS0_4arch9wavefront6targetE0EEEvT1_.uses_vcc, 0
	.set _ZN7rocprim17ROCPRIM_400000_NS6detail17trampoline_kernelINS0_14default_configENS1_27scan_by_key_config_selectorIssEEZZNS1_16scan_by_key_implILNS1_25lookback_scan_determinismE0ELb1ES3_N6thrust23THRUST_200600_302600_NS6detail15normal_iteratorINS9_10device_ptrIsEEEESE_SE_sNS9_4plusIsEE19head_flag_predicatesEE10hipError_tPvRmT2_T3_T4_T5_mT6_T7_P12ihipStream_tbENKUlT_T0_E_clISt17integral_constantIbLb1EESX_IbLb0EEEEDaST_SU_EUlST_E_NS1_11comp_targetILNS1_3genE10ELNS1_11target_archE1201ELNS1_3gpuE5ELNS1_3repE0EEENS1_30default_config_static_selectorELNS0_4arch9wavefront6targetE0EEEvT1_.uses_flat_scratch, 0
	.set _ZN7rocprim17ROCPRIM_400000_NS6detail17trampoline_kernelINS0_14default_configENS1_27scan_by_key_config_selectorIssEEZZNS1_16scan_by_key_implILNS1_25lookback_scan_determinismE0ELb1ES3_N6thrust23THRUST_200600_302600_NS6detail15normal_iteratorINS9_10device_ptrIsEEEESE_SE_sNS9_4plusIsEE19head_flag_predicatesEE10hipError_tPvRmT2_T3_T4_T5_mT6_T7_P12ihipStream_tbENKUlT_T0_E_clISt17integral_constantIbLb1EESX_IbLb0EEEEDaST_SU_EUlST_E_NS1_11comp_targetILNS1_3genE10ELNS1_11target_archE1201ELNS1_3gpuE5ELNS1_3repE0EEENS1_30default_config_static_selectorELNS0_4arch9wavefront6targetE0EEEvT1_.has_dyn_sized_stack, 0
	.set _ZN7rocprim17ROCPRIM_400000_NS6detail17trampoline_kernelINS0_14default_configENS1_27scan_by_key_config_selectorIssEEZZNS1_16scan_by_key_implILNS1_25lookback_scan_determinismE0ELb1ES3_N6thrust23THRUST_200600_302600_NS6detail15normal_iteratorINS9_10device_ptrIsEEEESE_SE_sNS9_4plusIsEE19head_flag_predicatesEE10hipError_tPvRmT2_T3_T4_T5_mT6_T7_P12ihipStream_tbENKUlT_T0_E_clISt17integral_constantIbLb1EESX_IbLb0EEEEDaST_SU_EUlST_E_NS1_11comp_targetILNS1_3genE10ELNS1_11target_archE1201ELNS1_3gpuE5ELNS1_3repE0EEENS1_30default_config_static_selectorELNS0_4arch9wavefront6targetE0EEEvT1_.has_recursion, 0
	.set _ZN7rocprim17ROCPRIM_400000_NS6detail17trampoline_kernelINS0_14default_configENS1_27scan_by_key_config_selectorIssEEZZNS1_16scan_by_key_implILNS1_25lookback_scan_determinismE0ELb1ES3_N6thrust23THRUST_200600_302600_NS6detail15normal_iteratorINS9_10device_ptrIsEEEESE_SE_sNS9_4plusIsEE19head_flag_predicatesEE10hipError_tPvRmT2_T3_T4_T5_mT6_T7_P12ihipStream_tbENKUlT_T0_E_clISt17integral_constantIbLb1EESX_IbLb0EEEEDaST_SU_EUlST_E_NS1_11comp_targetILNS1_3genE10ELNS1_11target_archE1201ELNS1_3gpuE5ELNS1_3repE0EEENS1_30default_config_static_selectorELNS0_4arch9wavefront6targetE0EEEvT1_.has_indirect_call, 0
	.section	.AMDGPU.csdata,"",@progbits
; Kernel info:
; codeLenInByte = 0
; TotalNumSgprs: 0
; NumVgprs: 0
; ScratchSize: 0
; MemoryBound: 0
; FloatMode: 240
; IeeeMode: 1
; LDSByteSize: 0 bytes/workgroup (compile time only)
; SGPRBlocks: 0
; VGPRBlocks: 0
; NumSGPRsForWavesPerEU: 1
; NumVGPRsForWavesPerEU: 1
; Occupancy: 16
; WaveLimiterHint : 0
; COMPUTE_PGM_RSRC2:SCRATCH_EN: 0
; COMPUTE_PGM_RSRC2:USER_SGPR: 6
; COMPUTE_PGM_RSRC2:TRAP_HANDLER: 0
; COMPUTE_PGM_RSRC2:TGID_X_EN: 1
; COMPUTE_PGM_RSRC2:TGID_Y_EN: 0
; COMPUTE_PGM_RSRC2:TGID_Z_EN: 0
; COMPUTE_PGM_RSRC2:TIDIG_COMP_CNT: 0
	.section	.text._ZN7rocprim17ROCPRIM_400000_NS6detail17trampoline_kernelINS0_14default_configENS1_27scan_by_key_config_selectorIssEEZZNS1_16scan_by_key_implILNS1_25lookback_scan_determinismE0ELb1ES3_N6thrust23THRUST_200600_302600_NS6detail15normal_iteratorINS9_10device_ptrIsEEEESE_SE_sNS9_4plusIsEE19head_flag_predicatesEE10hipError_tPvRmT2_T3_T4_T5_mT6_T7_P12ihipStream_tbENKUlT_T0_E_clISt17integral_constantIbLb1EESX_IbLb0EEEEDaST_SU_EUlST_E_NS1_11comp_targetILNS1_3genE5ELNS1_11target_archE942ELNS1_3gpuE9ELNS1_3repE0EEENS1_30default_config_static_selectorELNS0_4arch9wavefront6targetE0EEEvT1_,"axG",@progbits,_ZN7rocprim17ROCPRIM_400000_NS6detail17trampoline_kernelINS0_14default_configENS1_27scan_by_key_config_selectorIssEEZZNS1_16scan_by_key_implILNS1_25lookback_scan_determinismE0ELb1ES3_N6thrust23THRUST_200600_302600_NS6detail15normal_iteratorINS9_10device_ptrIsEEEESE_SE_sNS9_4plusIsEE19head_flag_predicatesEE10hipError_tPvRmT2_T3_T4_T5_mT6_T7_P12ihipStream_tbENKUlT_T0_E_clISt17integral_constantIbLb1EESX_IbLb0EEEEDaST_SU_EUlST_E_NS1_11comp_targetILNS1_3genE5ELNS1_11target_archE942ELNS1_3gpuE9ELNS1_3repE0EEENS1_30default_config_static_selectorELNS0_4arch9wavefront6targetE0EEEvT1_,comdat
	.protected	_ZN7rocprim17ROCPRIM_400000_NS6detail17trampoline_kernelINS0_14default_configENS1_27scan_by_key_config_selectorIssEEZZNS1_16scan_by_key_implILNS1_25lookback_scan_determinismE0ELb1ES3_N6thrust23THRUST_200600_302600_NS6detail15normal_iteratorINS9_10device_ptrIsEEEESE_SE_sNS9_4plusIsEE19head_flag_predicatesEE10hipError_tPvRmT2_T3_T4_T5_mT6_T7_P12ihipStream_tbENKUlT_T0_E_clISt17integral_constantIbLb1EESX_IbLb0EEEEDaST_SU_EUlST_E_NS1_11comp_targetILNS1_3genE5ELNS1_11target_archE942ELNS1_3gpuE9ELNS1_3repE0EEENS1_30default_config_static_selectorELNS0_4arch9wavefront6targetE0EEEvT1_ ; -- Begin function _ZN7rocprim17ROCPRIM_400000_NS6detail17trampoline_kernelINS0_14default_configENS1_27scan_by_key_config_selectorIssEEZZNS1_16scan_by_key_implILNS1_25lookback_scan_determinismE0ELb1ES3_N6thrust23THRUST_200600_302600_NS6detail15normal_iteratorINS9_10device_ptrIsEEEESE_SE_sNS9_4plusIsEE19head_flag_predicatesEE10hipError_tPvRmT2_T3_T4_T5_mT6_T7_P12ihipStream_tbENKUlT_T0_E_clISt17integral_constantIbLb1EESX_IbLb0EEEEDaST_SU_EUlST_E_NS1_11comp_targetILNS1_3genE5ELNS1_11target_archE942ELNS1_3gpuE9ELNS1_3repE0EEENS1_30default_config_static_selectorELNS0_4arch9wavefront6targetE0EEEvT1_
	.globl	_ZN7rocprim17ROCPRIM_400000_NS6detail17trampoline_kernelINS0_14default_configENS1_27scan_by_key_config_selectorIssEEZZNS1_16scan_by_key_implILNS1_25lookback_scan_determinismE0ELb1ES3_N6thrust23THRUST_200600_302600_NS6detail15normal_iteratorINS9_10device_ptrIsEEEESE_SE_sNS9_4plusIsEE19head_flag_predicatesEE10hipError_tPvRmT2_T3_T4_T5_mT6_T7_P12ihipStream_tbENKUlT_T0_E_clISt17integral_constantIbLb1EESX_IbLb0EEEEDaST_SU_EUlST_E_NS1_11comp_targetILNS1_3genE5ELNS1_11target_archE942ELNS1_3gpuE9ELNS1_3repE0EEENS1_30default_config_static_selectorELNS0_4arch9wavefront6targetE0EEEvT1_
	.p2align	8
	.type	_ZN7rocprim17ROCPRIM_400000_NS6detail17trampoline_kernelINS0_14default_configENS1_27scan_by_key_config_selectorIssEEZZNS1_16scan_by_key_implILNS1_25lookback_scan_determinismE0ELb1ES3_N6thrust23THRUST_200600_302600_NS6detail15normal_iteratorINS9_10device_ptrIsEEEESE_SE_sNS9_4plusIsEE19head_flag_predicatesEE10hipError_tPvRmT2_T3_T4_T5_mT6_T7_P12ihipStream_tbENKUlT_T0_E_clISt17integral_constantIbLb1EESX_IbLb0EEEEDaST_SU_EUlST_E_NS1_11comp_targetILNS1_3genE5ELNS1_11target_archE942ELNS1_3gpuE9ELNS1_3repE0EEENS1_30default_config_static_selectorELNS0_4arch9wavefront6targetE0EEEvT1_,@function
_ZN7rocprim17ROCPRIM_400000_NS6detail17trampoline_kernelINS0_14default_configENS1_27scan_by_key_config_selectorIssEEZZNS1_16scan_by_key_implILNS1_25lookback_scan_determinismE0ELb1ES3_N6thrust23THRUST_200600_302600_NS6detail15normal_iteratorINS9_10device_ptrIsEEEESE_SE_sNS9_4plusIsEE19head_flag_predicatesEE10hipError_tPvRmT2_T3_T4_T5_mT6_T7_P12ihipStream_tbENKUlT_T0_E_clISt17integral_constantIbLb1EESX_IbLb0EEEEDaST_SU_EUlST_E_NS1_11comp_targetILNS1_3genE5ELNS1_11target_archE942ELNS1_3gpuE9ELNS1_3repE0EEENS1_30default_config_static_selectorELNS0_4arch9wavefront6targetE0EEEvT1_: ; @_ZN7rocprim17ROCPRIM_400000_NS6detail17trampoline_kernelINS0_14default_configENS1_27scan_by_key_config_selectorIssEEZZNS1_16scan_by_key_implILNS1_25lookback_scan_determinismE0ELb1ES3_N6thrust23THRUST_200600_302600_NS6detail15normal_iteratorINS9_10device_ptrIsEEEESE_SE_sNS9_4plusIsEE19head_flag_predicatesEE10hipError_tPvRmT2_T3_T4_T5_mT6_T7_P12ihipStream_tbENKUlT_T0_E_clISt17integral_constantIbLb1EESX_IbLb0EEEEDaST_SU_EUlST_E_NS1_11comp_targetILNS1_3genE5ELNS1_11target_archE942ELNS1_3gpuE9ELNS1_3repE0EEENS1_30default_config_static_selectorELNS0_4arch9wavefront6targetE0EEEvT1_
; %bb.0:
	.section	.rodata,"a",@progbits
	.p2align	6, 0x0
	.amdhsa_kernel _ZN7rocprim17ROCPRIM_400000_NS6detail17trampoline_kernelINS0_14default_configENS1_27scan_by_key_config_selectorIssEEZZNS1_16scan_by_key_implILNS1_25lookback_scan_determinismE0ELb1ES3_N6thrust23THRUST_200600_302600_NS6detail15normal_iteratorINS9_10device_ptrIsEEEESE_SE_sNS9_4plusIsEE19head_flag_predicatesEE10hipError_tPvRmT2_T3_T4_T5_mT6_T7_P12ihipStream_tbENKUlT_T0_E_clISt17integral_constantIbLb1EESX_IbLb0EEEEDaST_SU_EUlST_E_NS1_11comp_targetILNS1_3genE5ELNS1_11target_archE942ELNS1_3gpuE9ELNS1_3repE0EEENS1_30default_config_static_selectorELNS0_4arch9wavefront6targetE0EEEvT1_
		.amdhsa_group_segment_fixed_size 0
		.amdhsa_private_segment_fixed_size 0
		.amdhsa_kernarg_size 112
		.amdhsa_user_sgpr_count 6
		.amdhsa_user_sgpr_private_segment_buffer 1
		.amdhsa_user_sgpr_dispatch_ptr 0
		.amdhsa_user_sgpr_queue_ptr 0
		.amdhsa_user_sgpr_kernarg_segment_ptr 1
		.amdhsa_user_sgpr_dispatch_id 0
		.amdhsa_user_sgpr_flat_scratch_init 0
		.amdhsa_user_sgpr_private_segment_size 0
		.amdhsa_wavefront_size32 1
		.amdhsa_uses_dynamic_stack 0
		.amdhsa_system_sgpr_private_segment_wavefront_offset 0
		.amdhsa_system_sgpr_workgroup_id_x 1
		.amdhsa_system_sgpr_workgroup_id_y 0
		.amdhsa_system_sgpr_workgroup_id_z 0
		.amdhsa_system_sgpr_workgroup_info 0
		.amdhsa_system_vgpr_workitem_id 0
		.amdhsa_next_free_vgpr 1
		.amdhsa_next_free_sgpr 1
		.amdhsa_reserve_vcc 0
		.amdhsa_reserve_flat_scratch 0
		.amdhsa_float_round_mode_32 0
		.amdhsa_float_round_mode_16_64 0
		.amdhsa_float_denorm_mode_32 3
		.amdhsa_float_denorm_mode_16_64 3
		.amdhsa_dx10_clamp 1
		.amdhsa_ieee_mode 1
		.amdhsa_fp16_overflow 0
		.amdhsa_workgroup_processor_mode 1
		.amdhsa_memory_ordered 1
		.amdhsa_forward_progress 1
		.amdhsa_shared_vgpr_count 0
		.amdhsa_exception_fp_ieee_invalid_op 0
		.amdhsa_exception_fp_denorm_src 0
		.amdhsa_exception_fp_ieee_div_zero 0
		.amdhsa_exception_fp_ieee_overflow 0
		.amdhsa_exception_fp_ieee_underflow 0
		.amdhsa_exception_fp_ieee_inexact 0
		.amdhsa_exception_int_div_zero 0
	.end_amdhsa_kernel
	.section	.text._ZN7rocprim17ROCPRIM_400000_NS6detail17trampoline_kernelINS0_14default_configENS1_27scan_by_key_config_selectorIssEEZZNS1_16scan_by_key_implILNS1_25lookback_scan_determinismE0ELb1ES3_N6thrust23THRUST_200600_302600_NS6detail15normal_iteratorINS9_10device_ptrIsEEEESE_SE_sNS9_4plusIsEE19head_flag_predicatesEE10hipError_tPvRmT2_T3_T4_T5_mT6_T7_P12ihipStream_tbENKUlT_T0_E_clISt17integral_constantIbLb1EESX_IbLb0EEEEDaST_SU_EUlST_E_NS1_11comp_targetILNS1_3genE5ELNS1_11target_archE942ELNS1_3gpuE9ELNS1_3repE0EEENS1_30default_config_static_selectorELNS0_4arch9wavefront6targetE0EEEvT1_,"axG",@progbits,_ZN7rocprim17ROCPRIM_400000_NS6detail17trampoline_kernelINS0_14default_configENS1_27scan_by_key_config_selectorIssEEZZNS1_16scan_by_key_implILNS1_25lookback_scan_determinismE0ELb1ES3_N6thrust23THRUST_200600_302600_NS6detail15normal_iteratorINS9_10device_ptrIsEEEESE_SE_sNS9_4plusIsEE19head_flag_predicatesEE10hipError_tPvRmT2_T3_T4_T5_mT6_T7_P12ihipStream_tbENKUlT_T0_E_clISt17integral_constantIbLb1EESX_IbLb0EEEEDaST_SU_EUlST_E_NS1_11comp_targetILNS1_3genE5ELNS1_11target_archE942ELNS1_3gpuE9ELNS1_3repE0EEENS1_30default_config_static_selectorELNS0_4arch9wavefront6targetE0EEEvT1_,comdat
.Lfunc_end877:
	.size	_ZN7rocprim17ROCPRIM_400000_NS6detail17trampoline_kernelINS0_14default_configENS1_27scan_by_key_config_selectorIssEEZZNS1_16scan_by_key_implILNS1_25lookback_scan_determinismE0ELb1ES3_N6thrust23THRUST_200600_302600_NS6detail15normal_iteratorINS9_10device_ptrIsEEEESE_SE_sNS9_4plusIsEE19head_flag_predicatesEE10hipError_tPvRmT2_T3_T4_T5_mT6_T7_P12ihipStream_tbENKUlT_T0_E_clISt17integral_constantIbLb1EESX_IbLb0EEEEDaST_SU_EUlST_E_NS1_11comp_targetILNS1_3genE5ELNS1_11target_archE942ELNS1_3gpuE9ELNS1_3repE0EEENS1_30default_config_static_selectorELNS0_4arch9wavefront6targetE0EEEvT1_, .Lfunc_end877-_ZN7rocprim17ROCPRIM_400000_NS6detail17trampoline_kernelINS0_14default_configENS1_27scan_by_key_config_selectorIssEEZZNS1_16scan_by_key_implILNS1_25lookback_scan_determinismE0ELb1ES3_N6thrust23THRUST_200600_302600_NS6detail15normal_iteratorINS9_10device_ptrIsEEEESE_SE_sNS9_4plusIsEE19head_flag_predicatesEE10hipError_tPvRmT2_T3_T4_T5_mT6_T7_P12ihipStream_tbENKUlT_T0_E_clISt17integral_constantIbLb1EESX_IbLb0EEEEDaST_SU_EUlST_E_NS1_11comp_targetILNS1_3genE5ELNS1_11target_archE942ELNS1_3gpuE9ELNS1_3repE0EEENS1_30default_config_static_selectorELNS0_4arch9wavefront6targetE0EEEvT1_
                                        ; -- End function
	.set _ZN7rocprim17ROCPRIM_400000_NS6detail17trampoline_kernelINS0_14default_configENS1_27scan_by_key_config_selectorIssEEZZNS1_16scan_by_key_implILNS1_25lookback_scan_determinismE0ELb1ES3_N6thrust23THRUST_200600_302600_NS6detail15normal_iteratorINS9_10device_ptrIsEEEESE_SE_sNS9_4plusIsEE19head_flag_predicatesEE10hipError_tPvRmT2_T3_T4_T5_mT6_T7_P12ihipStream_tbENKUlT_T0_E_clISt17integral_constantIbLb1EESX_IbLb0EEEEDaST_SU_EUlST_E_NS1_11comp_targetILNS1_3genE5ELNS1_11target_archE942ELNS1_3gpuE9ELNS1_3repE0EEENS1_30default_config_static_selectorELNS0_4arch9wavefront6targetE0EEEvT1_.num_vgpr, 0
	.set _ZN7rocprim17ROCPRIM_400000_NS6detail17trampoline_kernelINS0_14default_configENS1_27scan_by_key_config_selectorIssEEZZNS1_16scan_by_key_implILNS1_25lookback_scan_determinismE0ELb1ES3_N6thrust23THRUST_200600_302600_NS6detail15normal_iteratorINS9_10device_ptrIsEEEESE_SE_sNS9_4plusIsEE19head_flag_predicatesEE10hipError_tPvRmT2_T3_T4_T5_mT6_T7_P12ihipStream_tbENKUlT_T0_E_clISt17integral_constantIbLb1EESX_IbLb0EEEEDaST_SU_EUlST_E_NS1_11comp_targetILNS1_3genE5ELNS1_11target_archE942ELNS1_3gpuE9ELNS1_3repE0EEENS1_30default_config_static_selectorELNS0_4arch9wavefront6targetE0EEEvT1_.num_agpr, 0
	.set _ZN7rocprim17ROCPRIM_400000_NS6detail17trampoline_kernelINS0_14default_configENS1_27scan_by_key_config_selectorIssEEZZNS1_16scan_by_key_implILNS1_25lookback_scan_determinismE0ELb1ES3_N6thrust23THRUST_200600_302600_NS6detail15normal_iteratorINS9_10device_ptrIsEEEESE_SE_sNS9_4plusIsEE19head_flag_predicatesEE10hipError_tPvRmT2_T3_T4_T5_mT6_T7_P12ihipStream_tbENKUlT_T0_E_clISt17integral_constantIbLb1EESX_IbLb0EEEEDaST_SU_EUlST_E_NS1_11comp_targetILNS1_3genE5ELNS1_11target_archE942ELNS1_3gpuE9ELNS1_3repE0EEENS1_30default_config_static_selectorELNS0_4arch9wavefront6targetE0EEEvT1_.numbered_sgpr, 0
	.set _ZN7rocprim17ROCPRIM_400000_NS6detail17trampoline_kernelINS0_14default_configENS1_27scan_by_key_config_selectorIssEEZZNS1_16scan_by_key_implILNS1_25lookback_scan_determinismE0ELb1ES3_N6thrust23THRUST_200600_302600_NS6detail15normal_iteratorINS9_10device_ptrIsEEEESE_SE_sNS9_4plusIsEE19head_flag_predicatesEE10hipError_tPvRmT2_T3_T4_T5_mT6_T7_P12ihipStream_tbENKUlT_T0_E_clISt17integral_constantIbLb1EESX_IbLb0EEEEDaST_SU_EUlST_E_NS1_11comp_targetILNS1_3genE5ELNS1_11target_archE942ELNS1_3gpuE9ELNS1_3repE0EEENS1_30default_config_static_selectorELNS0_4arch9wavefront6targetE0EEEvT1_.num_named_barrier, 0
	.set _ZN7rocprim17ROCPRIM_400000_NS6detail17trampoline_kernelINS0_14default_configENS1_27scan_by_key_config_selectorIssEEZZNS1_16scan_by_key_implILNS1_25lookback_scan_determinismE0ELb1ES3_N6thrust23THRUST_200600_302600_NS6detail15normal_iteratorINS9_10device_ptrIsEEEESE_SE_sNS9_4plusIsEE19head_flag_predicatesEE10hipError_tPvRmT2_T3_T4_T5_mT6_T7_P12ihipStream_tbENKUlT_T0_E_clISt17integral_constantIbLb1EESX_IbLb0EEEEDaST_SU_EUlST_E_NS1_11comp_targetILNS1_3genE5ELNS1_11target_archE942ELNS1_3gpuE9ELNS1_3repE0EEENS1_30default_config_static_selectorELNS0_4arch9wavefront6targetE0EEEvT1_.private_seg_size, 0
	.set _ZN7rocprim17ROCPRIM_400000_NS6detail17trampoline_kernelINS0_14default_configENS1_27scan_by_key_config_selectorIssEEZZNS1_16scan_by_key_implILNS1_25lookback_scan_determinismE0ELb1ES3_N6thrust23THRUST_200600_302600_NS6detail15normal_iteratorINS9_10device_ptrIsEEEESE_SE_sNS9_4plusIsEE19head_flag_predicatesEE10hipError_tPvRmT2_T3_T4_T5_mT6_T7_P12ihipStream_tbENKUlT_T0_E_clISt17integral_constantIbLb1EESX_IbLb0EEEEDaST_SU_EUlST_E_NS1_11comp_targetILNS1_3genE5ELNS1_11target_archE942ELNS1_3gpuE9ELNS1_3repE0EEENS1_30default_config_static_selectorELNS0_4arch9wavefront6targetE0EEEvT1_.uses_vcc, 0
	.set _ZN7rocprim17ROCPRIM_400000_NS6detail17trampoline_kernelINS0_14default_configENS1_27scan_by_key_config_selectorIssEEZZNS1_16scan_by_key_implILNS1_25lookback_scan_determinismE0ELb1ES3_N6thrust23THRUST_200600_302600_NS6detail15normal_iteratorINS9_10device_ptrIsEEEESE_SE_sNS9_4plusIsEE19head_flag_predicatesEE10hipError_tPvRmT2_T3_T4_T5_mT6_T7_P12ihipStream_tbENKUlT_T0_E_clISt17integral_constantIbLb1EESX_IbLb0EEEEDaST_SU_EUlST_E_NS1_11comp_targetILNS1_3genE5ELNS1_11target_archE942ELNS1_3gpuE9ELNS1_3repE0EEENS1_30default_config_static_selectorELNS0_4arch9wavefront6targetE0EEEvT1_.uses_flat_scratch, 0
	.set _ZN7rocprim17ROCPRIM_400000_NS6detail17trampoline_kernelINS0_14default_configENS1_27scan_by_key_config_selectorIssEEZZNS1_16scan_by_key_implILNS1_25lookback_scan_determinismE0ELb1ES3_N6thrust23THRUST_200600_302600_NS6detail15normal_iteratorINS9_10device_ptrIsEEEESE_SE_sNS9_4plusIsEE19head_flag_predicatesEE10hipError_tPvRmT2_T3_T4_T5_mT6_T7_P12ihipStream_tbENKUlT_T0_E_clISt17integral_constantIbLb1EESX_IbLb0EEEEDaST_SU_EUlST_E_NS1_11comp_targetILNS1_3genE5ELNS1_11target_archE942ELNS1_3gpuE9ELNS1_3repE0EEENS1_30default_config_static_selectorELNS0_4arch9wavefront6targetE0EEEvT1_.has_dyn_sized_stack, 0
	.set _ZN7rocprim17ROCPRIM_400000_NS6detail17trampoline_kernelINS0_14default_configENS1_27scan_by_key_config_selectorIssEEZZNS1_16scan_by_key_implILNS1_25lookback_scan_determinismE0ELb1ES3_N6thrust23THRUST_200600_302600_NS6detail15normal_iteratorINS9_10device_ptrIsEEEESE_SE_sNS9_4plusIsEE19head_flag_predicatesEE10hipError_tPvRmT2_T3_T4_T5_mT6_T7_P12ihipStream_tbENKUlT_T0_E_clISt17integral_constantIbLb1EESX_IbLb0EEEEDaST_SU_EUlST_E_NS1_11comp_targetILNS1_3genE5ELNS1_11target_archE942ELNS1_3gpuE9ELNS1_3repE0EEENS1_30default_config_static_selectorELNS0_4arch9wavefront6targetE0EEEvT1_.has_recursion, 0
	.set _ZN7rocprim17ROCPRIM_400000_NS6detail17trampoline_kernelINS0_14default_configENS1_27scan_by_key_config_selectorIssEEZZNS1_16scan_by_key_implILNS1_25lookback_scan_determinismE0ELb1ES3_N6thrust23THRUST_200600_302600_NS6detail15normal_iteratorINS9_10device_ptrIsEEEESE_SE_sNS9_4plusIsEE19head_flag_predicatesEE10hipError_tPvRmT2_T3_T4_T5_mT6_T7_P12ihipStream_tbENKUlT_T0_E_clISt17integral_constantIbLb1EESX_IbLb0EEEEDaST_SU_EUlST_E_NS1_11comp_targetILNS1_3genE5ELNS1_11target_archE942ELNS1_3gpuE9ELNS1_3repE0EEENS1_30default_config_static_selectorELNS0_4arch9wavefront6targetE0EEEvT1_.has_indirect_call, 0
	.section	.AMDGPU.csdata,"",@progbits
; Kernel info:
; codeLenInByte = 0
; TotalNumSgprs: 0
; NumVgprs: 0
; ScratchSize: 0
; MemoryBound: 0
; FloatMode: 240
; IeeeMode: 1
; LDSByteSize: 0 bytes/workgroup (compile time only)
; SGPRBlocks: 0
; VGPRBlocks: 0
; NumSGPRsForWavesPerEU: 1
; NumVGPRsForWavesPerEU: 1
; Occupancy: 16
; WaveLimiterHint : 0
; COMPUTE_PGM_RSRC2:SCRATCH_EN: 0
; COMPUTE_PGM_RSRC2:USER_SGPR: 6
; COMPUTE_PGM_RSRC2:TRAP_HANDLER: 0
; COMPUTE_PGM_RSRC2:TGID_X_EN: 1
; COMPUTE_PGM_RSRC2:TGID_Y_EN: 0
; COMPUTE_PGM_RSRC2:TGID_Z_EN: 0
; COMPUTE_PGM_RSRC2:TIDIG_COMP_CNT: 0
	.section	.text._ZN7rocprim17ROCPRIM_400000_NS6detail17trampoline_kernelINS0_14default_configENS1_27scan_by_key_config_selectorIssEEZZNS1_16scan_by_key_implILNS1_25lookback_scan_determinismE0ELb1ES3_N6thrust23THRUST_200600_302600_NS6detail15normal_iteratorINS9_10device_ptrIsEEEESE_SE_sNS9_4plusIsEE19head_flag_predicatesEE10hipError_tPvRmT2_T3_T4_T5_mT6_T7_P12ihipStream_tbENKUlT_T0_E_clISt17integral_constantIbLb1EESX_IbLb0EEEEDaST_SU_EUlST_E_NS1_11comp_targetILNS1_3genE4ELNS1_11target_archE910ELNS1_3gpuE8ELNS1_3repE0EEENS1_30default_config_static_selectorELNS0_4arch9wavefront6targetE0EEEvT1_,"axG",@progbits,_ZN7rocprim17ROCPRIM_400000_NS6detail17trampoline_kernelINS0_14default_configENS1_27scan_by_key_config_selectorIssEEZZNS1_16scan_by_key_implILNS1_25lookback_scan_determinismE0ELb1ES3_N6thrust23THRUST_200600_302600_NS6detail15normal_iteratorINS9_10device_ptrIsEEEESE_SE_sNS9_4plusIsEE19head_flag_predicatesEE10hipError_tPvRmT2_T3_T4_T5_mT6_T7_P12ihipStream_tbENKUlT_T0_E_clISt17integral_constantIbLb1EESX_IbLb0EEEEDaST_SU_EUlST_E_NS1_11comp_targetILNS1_3genE4ELNS1_11target_archE910ELNS1_3gpuE8ELNS1_3repE0EEENS1_30default_config_static_selectorELNS0_4arch9wavefront6targetE0EEEvT1_,comdat
	.protected	_ZN7rocprim17ROCPRIM_400000_NS6detail17trampoline_kernelINS0_14default_configENS1_27scan_by_key_config_selectorIssEEZZNS1_16scan_by_key_implILNS1_25lookback_scan_determinismE0ELb1ES3_N6thrust23THRUST_200600_302600_NS6detail15normal_iteratorINS9_10device_ptrIsEEEESE_SE_sNS9_4plusIsEE19head_flag_predicatesEE10hipError_tPvRmT2_T3_T4_T5_mT6_T7_P12ihipStream_tbENKUlT_T0_E_clISt17integral_constantIbLb1EESX_IbLb0EEEEDaST_SU_EUlST_E_NS1_11comp_targetILNS1_3genE4ELNS1_11target_archE910ELNS1_3gpuE8ELNS1_3repE0EEENS1_30default_config_static_selectorELNS0_4arch9wavefront6targetE0EEEvT1_ ; -- Begin function _ZN7rocprim17ROCPRIM_400000_NS6detail17trampoline_kernelINS0_14default_configENS1_27scan_by_key_config_selectorIssEEZZNS1_16scan_by_key_implILNS1_25lookback_scan_determinismE0ELb1ES3_N6thrust23THRUST_200600_302600_NS6detail15normal_iteratorINS9_10device_ptrIsEEEESE_SE_sNS9_4plusIsEE19head_flag_predicatesEE10hipError_tPvRmT2_T3_T4_T5_mT6_T7_P12ihipStream_tbENKUlT_T0_E_clISt17integral_constantIbLb1EESX_IbLb0EEEEDaST_SU_EUlST_E_NS1_11comp_targetILNS1_3genE4ELNS1_11target_archE910ELNS1_3gpuE8ELNS1_3repE0EEENS1_30default_config_static_selectorELNS0_4arch9wavefront6targetE0EEEvT1_
	.globl	_ZN7rocprim17ROCPRIM_400000_NS6detail17trampoline_kernelINS0_14default_configENS1_27scan_by_key_config_selectorIssEEZZNS1_16scan_by_key_implILNS1_25lookback_scan_determinismE0ELb1ES3_N6thrust23THRUST_200600_302600_NS6detail15normal_iteratorINS9_10device_ptrIsEEEESE_SE_sNS9_4plusIsEE19head_flag_predicatesEE10hipError_tPvRmT2_T3_T4_T5_mT6_T7_P12ihipStream_tbENKUlT_T0_E_clISt17integral_constantIbLb1EESX_IbLb0EEEEDaST_SU_EUlST_E_NS1_11comp_targetILNS1_3genE4ELNS1_11target_archE910ELNS1_3gpuE8ELNS1_3repE0EEENS1_30default_config_static_selectorELNS0_4arch9wavefront6targetE0EEEvT1_
	.p2align	8
	.type	_ZN7rocprim17ROCPRIM_400000_NS6detail17trampoline_kernelINS0_14default_configENS1_27scan_by_key_config_selectorIssEEZZNS1_16scan_by_key_implILNS1_25lookback_scan_determinismE0ELb1ES3_N6thrust23THRUST_200600_302600_NS6detail15normal_iteratorINS9_10device_ptrIsEEEESE_SE_sNS9_4plusIsEE19head_flag_predicatesEE10hipError_tPvRmT2_T3_T4_T5_mT6_T7_P12ihipStream_tbENKUlT_T0_E_clISt17integral_constantIbLb1EESX_IbLb0EEEEDaST_SU_EUlST_E_NS1_11comp_targetILNS1_3genE4ELNS1_11target_archE910ELNS1_3gpuE8ELNS1_3repE0EEENS1_30default_config_static_selectorELNS0_4arch9wavefront6targetE0EEEvT1_,@function
_ZN7rocprim17ROCPRIM_400000_NS6detail17trampoline_kernelINS0_14default_configENS1_27scan_by_key_config_selectorIssEEZZNS1_16scan_by_key_implILNS1_25lookback_scan_determinismE0ELb1ES3_N6thrust23THRUST_200600_302600_NS6detail15normal_iteratorINS9_10device_ptrIsEEEESE_SE_sNS9_4plusIsEE19head_flag_predicatesEE10hipError_tPvRmT2_T3_T4_T5_mT6_T7_P12ihipStream_tbENKUlT_T0_E_clISt17integral_constantIbLb1EESX_IbLb0EEEEDaST_SU_EUlST_E_NS1_11comp_targetILNS1_3genE4ELNS1_11target_archE910ELNS1_3gpuE8ELNS1_3repE0EEENS1_30default_config_static_selectorELNS0_4arch9wavefront6targetE0EEEvT1_: ; @_ZN7rocprim17ROCPRIM_400000_NS6detail17trampoline_kernelINS0_14default_configENS1_27scan_by_key_config_selectorIssEEZZNS1_16scan_by_key_implILNS1_25lookback_scan_determinismE0ELb1ES3_N6thrust23THRUST_200600_302600_NS6detail15normal_iteratorINS9_10device_ptrIsEEEESE_SE_sNS9_4plusIsEE19head_flag_predicatesEE10hipError_tPvRmT2_T3_T4_T5_mT6_T7_P12ihipStream_tbENKUlT_T0_E_clISt17integral_constantIbLb1EESX_IbLb0EEEEDaST_SU_EUlST_E_NS1_11comp_targetILNS1_3genE4ELNS1_11target_archE910ELNS1_3gpuE8ELNS1_3repE0EEENS1_30default_config_static_selectorELNS0_4arch9wavefront6targetE0EEEvT1_
; %bb.0:
	.section	.rodata,"a",@progbits
	.p2align	6, 0x0
	.amdhsa_kernel _ZN7rocprim17ROCPRIM_400000_NS6detail17trampoline_kernelINS0_14default_configENS1_27scan_by_key_config_selectorIssEEZZNS1_16scan_by_key_implILNS1_25lookback_scan_determinismE0ELb1ES3_N6thrust23THRUST_200600_302600_NS6detail15normal_iteratorINS9_10device_ptrIsEEEESE_SE_sNS9_4plusIsEE19head_flag_predicatesEE10hipError_tPvRmT2_T3_T4_T5_mT6_T7_P12ihipStream_tbENKUlT_T0_E_clISt17integral_constantIbLb1EESX_IbLb0EEEEDaST_SU_EUlST_E_NS1_11comp_targetILNS1_3genE4ELNS1_11target_archE910ELNS1_3gpuE8ELNS1_3repE0EEENS1_30default_config_static_selectorELNS0_4arch9wavefront6targetE0EEEvT1_
		.amdhsa_group_segment_fixed_size 0
		.amdhsa_private_segment_fixed_size 0
		.amdhsa_kernarg_size 112
		.amdhsa_user_sgpr_count 6
		.amdhsa_user_sgpr_private_segment_buffer 1
		.amdhsa_user_sgpr_dispatch_ptr 0
		.amdhsa_user_sgpr_queue_ptr 0
		.amdhsa_user_sgpr_kernarg_segment_ptr 1
		.amdhsa_user_sgpr_dispatch_id 0
		.amdhsa_user_sgpr_flat_scratch_init 0
		.amdhsa_user_sgpr_private_segment_size 0
		.amdhsa_wavefront_size32 1
		.amdhsa_uses_dynamic_stack 0
		.amdhsa_system_sgpr_private_segment_wavefront_offset 0
		.amdhsa_system_sgpr_workgroup_id_x 1
		.amdhsa_system_sgpr_workgroup_id_y 0
		.amdhsa_system_sgpr_workgroup_id_z 0
		.amdhsa_system_sgpr_workgroup_info 0
		.amdhsa_system_vgpr_workitem_id 0
		.amdhsa_next_free_vgpr 1
		.amdhsa_next_free_sgpr 1
		.amdhsa_reserve_vcc 0
		.amdhsa_reserve_flat_scratch 0
		.amdhsa_float_round_mode_32 0
		.amdhsa_float_round_mode_16_64 0
		.amdhsa_float_denorm_mode_32 3
		.amdhsa_float_denorm_mode_16_64 3
		.amdhsa_dx10_clamp 1
		.amdhsa_ieee_mode 1
		.amdhsa_fp16_overflow 0
		.amdhsa_workgroup_processor_mode 1
		.amdhsa_memory_ordered 1
		.amdhsa_forward_progress 1
		.amdhsa_shared_vgpr_count 0
		.amdhsa_exception_fp_ieee_invalid_op 0
		.amdhsa_exception_fp_denorm_src 0
		.amdhsa_exception_fp_ieee_div_zero 0
		.amdhsa_exception_fp_ieee_overflow 0
		.amdhsa_exception_fp_ieee_underflow 0
		.amdhsa_exception_fp_ieee_inexact 0
		.amdhsa_exception_int_div_zero 0
	.end_amdhsa_kernel
	.section	.text._ZN7rocprim17ROCPRIM_400000_NS6detail17trampoline_kernelINS0_14default_configENS1_27scan_by_key_config_selectorIssEEZZNS1_16scan_by_key_implILNS1_25lookback_scan_determinismE0ELb1ES3_N6thrust23THRUST_200600_302600_NS6detail15normal_iteratorINS9_10device_ptrIsEEEESE_SE_sNS9_4plusIsEE19head_flag_predicatesEE10hipError_tPvRmT2_T3_T4_T5_mT6_T7_P12ihipStream_tbENKUlT_T0_E_clISt17integral_constantIbLb1EESX_IbLb0EEEEDaST_SU_EUlST_E_NS1_11comp_targetILNS1_3genE4ELNS1_11target_archE910ELNS1_3gpuE8ELNS1_3repE0EEENS1_30default_config_static_selectorELNS0_4arch9wavefront6targetE0EEEvT1_,"axG",@progbits,_ZN7rocprim17ROCPRIM_400000_NS6detail17trampoline_kernelINS0_14default_configENS1_27scan_by_key_config_selectorIssEEZZNS1_16scan_by_key_implILNS1_25lookback_scan_determinismE0ELb1ES3_N6thrust23THRUST_200600_302600_NS6detail15normal_iteratorINS9_10device_ptrIsEEEESE_SE_sNS9_4plusIsEE19head_flag_predicatesEE10hipError_tPvRmT2_T3_T4_T5_mT6_T7_P12ihipStream_tbENKUlT_T0_E_clISt17integral_constantIbLb1EESX_IbLb0EEEEDaST_SU_EUlST_E_NS1_11comp_targetILNS1_3genE4ELNS1_11target_archE910ELNS1_3gpuE8ELNS1_3repE0EEENS1_30default_config_static_selectorELNS0_4arch9wavefront6targetE0EEEvT1_,comdat
.Lfunc_end878:
	.size	_ZN7rocprim17ROCPRIM_400000_NS6detail17trampoline_kernelINS0_14default_configENS1_27scan_by_key_config_selectorIssEEZZNS1_16scan_by_key_implILNS1_25lookback_scan_determinismE0ELb1ES3_N6thrust23THRUST_200600_302600_NS6detail15normal_iteratorINS9_10device_ptrIsEEEESE_SE_sNS9_4plusIsEE19head_flag_predicatesEE10hipError_tPvRmT2_T3_T4_T5_mT6_T7_P12ihipStream_tbENKUlT_T0_E_clISt17integral_constantIbLb1EESX_IbLb0EEEEDaST_SU_EUlST_E_NS1_11comp_targetILNS1_3genE4ELNS1_11target_archE910ELNS1_3gpuE8ELNS1_3repE0EEENS1_30default_config_static_selectorELNS0_4arch9wavefront6targetE0EEEvT1_, .Lfunc_end878-_ZN7rocprim17ROCPRIM_400000_NS6detail17trampoline_kernelINS0_14default_configENS1_27scan_by_key_config_selectorIssEEZZNS1_16scan_by_key_implILNS1_25lookback_scan_determinismE0ELb1ES3_N6thrust23THRUST_200600_302600_NS6detail15normal_iteratorINS9_10device_ptrIsEEEESE_SE_sNS9_4plusIsEE19head_flag_predicatesEE10hipError_tPvRmT2_T3_T4_T5_mT6_T7_P12ihipStream_tbENKUlT_T0_E_clISt17integral_constantIbLb1EESX_IbLb0EEEEDaST_SU_EUlST_E_NS1_11comp_targetILNS1_3genE4ELNS1_11target_archE910ELNS1_3gpuE8ELNS1_3repE0EEENS1_30default_config_static_selectorELNS0_4arch9wavefront6targetE0EEEvT1_
                                        ; -- End function
	.set _ZN7rocprim17ROCPRIM_400000_NS6detail17trampoline_kernelINS0_14default_configENS1_27scan_by_key_config_selectorIssEEZZNS1_16scan_by_key_implILNS1_25lookback_scan_determinismE0ELb1ES3_N6thrust23THRUST_200600_302600_NS6detail15normal_iteratorINS9_10device_ptrIsEEEESE_SE_sNS9_4plusIsEE19head_flag_predicatesEE10hipError_tPvRmT2_T3_T4_T5_mT6_T7_P12ihipStream_tbENKUlT_T0_E_clISt17integral_constantIbLb1EESX_IbLb0EEEEDaST_SU_EUlST_E_NS1_11comp_targetILNS1_3genE4ELNS1_11target_archE910ELNS1_3gpuE8ELNS1_3repE0EEENS1_30default_config_static_selectorELNS0_4arch9wavefront6targetE0EEEvT1_.num_vgpr, 0
	.set _ZN7rocprim17ROCPRIM_400000_NS6detail17trampoline_kernelINS0_14default_configENS1_27scan_by_key_config_selectorIssEEZZNS1_16scan_by_key_implILNS1_25lookback_scan_determinismE0ELb1ES3_N6thrust23THRUST_200600_302600_NS6detail15normal_iteratorINS9_10device_ptrIsEEEESE_SE_sNS9_4plusIsEE19head_flag_predicatesEE10hipError_tPvRmT2_T3_T4_T5_mT6_T7_P12ihipStream_tbENKUlT_T0_E_clISt17integral_constantIbLb1EESX_IbLb0EEEEDaST_SU_EUlST_E_NS1_11comp_targetILNS1_3genE4ELNS1_11target_archE910ELNS1_3gpuE8ELNS1_3repE0EEENS1_30default_config_static_selectorELNS0_4arch9wavefront6targetE0EEEvT1_.num_agpr, 0
	.set _ZN7rocprim17ROCPRIM_400000_NS6detail17trampoline_kernelINS0_14default_configENS1_27scan_by_key_config_selectorIssEEZZNS1_16scan_by_key_implILNS1_25lookback_scan_determinismE0ELb1ES3_N6thrust23THRUST_200600_302600_NS6detail15normal_iteratorINS9_10device_ptrIsEEEESE_SE_sNS9_4plusIsEE19head_flag_predicatesEE10hipError_tPvRmT2_T3_T4_T5_mT6_T7_P12ihipStream_tbENKUlT_T0_E_clISt17integral_constantIbLb1EESX_IbLb0EEEEDaST_SU_EUlST_E_NS1_11comp_targetILNS1_3genE4ELNS1_11target_archE910ELNS1_3gpuE8ELNS1_3repE0EEENS1_30default_config_static_selectorELNS0_4arch9wavefront6targetE0EEEvT1_.numbered_sgpr, 0
	.set _ZN7rocprim17ROCPRIM_400000_NS6detail17trampoline_kernelINS0_14default_configENS1_27scan_by_key_config_selectorIssEEZZNS1_16scan_by_key_implILNS1_25lookback_scan_determinismE0ELb1ES3_N6thrust23THRUST_200600_302600_NS6detail15normal_iteratorINS9_10device_ptrIsEEEESE_SE_sNS9_4plusIsEE19head_flag_predicatesEE10hipError_tPvRmT2_T3_T4_T5_mT6_T7_P12ihipStream_tbENKUlT_T0_E_clISt17integral_constantIbLb1EESX_IbLb0EEEEDaST_SU_EUlST_E_NS1_11comp_targetILNS1_3genE4ELNS1_11target_archE910ELNS1_3gpuE8ELNS1_3repE0EEENS1_30default_config_static_selectorELNS0_4arch9wavefront6targetE0EEEvT1_.num_named_barrier, 0
	.set _ZN7rocprim17ROCPRIM_400000_NS6detail17trampoline_kernelINS0_14default_configENS1_27scan_by_key_config_selectorIssEEZZNS1_16scan_by_key_implILNS1_25lookback_scan_determinismE0ELb1ES3_N6thrust23THRUST_200600_302600_NS6detail15normal_iteratorINS9_10device_ptrIsEEEESE_SE_sNS9_4plusIsEE19head_flag_predicatesEE10hipError_tPvRmT2_T3_T4_T5_mT6_T7_P12ihipStream_tbENKUlT_T0_E_clISt17integral_constantIbLb1EESX_IbLb0EEEEDaST_SU_EUlST_E_NS1_11comp_targetILNS1_3genE4ELNS1_11target_archE910ELNS1_3gpuE8ELNS1_3repE0EEENS1_30default_config_static_selectorELNS0_4arch9wavefront6targetE0EEEvT1_.private_seg_size, 0
	.set _ZN7rocprim17ROCPRIM_400000_NS6detail17trampoline_kernelINS0_14default_configENS1_27scan_by_key_config_selectorIssEEZZNS1_16scan_by_key_implILNS1_25lookback_scan_determinismE0ELb1ES3_N6thrust23THRUST_200600_302600_NS6detail15normal_iteratorINS9_10device_ptrIsEEEESE_SE_sNS9_4plusIsEE19head_flag_predicatesEE10hipError_tPvRmT2_T3_T4_T5_mT6_T7_P12ihipStream_tbENKUlT_T0_E_clISt17integral_constantIbLb1EESX_IbLb0EEEEDaST_SU_EUlST_E_NS1_11comp_targetILNS1_3genE4ELNS1_11target_archE910ELNS1_3gpuE8ELNS1_3repE0EEENS1_30default_config_static_selectorELNS0_4arch9wavefront6targetE0EEEvT1_.uses_vcc, 0
	.set _ZN7rocprim17ROCPRIM_400000_NS6detail17trampoline_kernelINS0_14default_configENS1_27scan_by_key_config_selectorIssEEZZNS1_16scan_by_key_implILNS1_25lookback_scan_determinismE0ELb1ES3_N6thrust23THRUST_200600_302600_NS6detail15normal_iteratorINS9_10device_ptrIsEEEESE_SE_sNS9_4plusIsEE19head_flag_predicatesEE10hipError_tPvRmT2_T3_T4_T5_mT6_T7_P12ihipStream_tbENKUlT_T0_E_clISt17integral_constantIbLb1EESX_IbLb0EEEEDaST_SU_EUlST_E_NS1_11comp_targetILNS1_3genE4ELNS1_11target_archE910ELNS1_3gpuE8ELNS1_3repE0EEENS1_30default_config_static_selectorELNS0_4arch9wavefront6targetE0EEEvT1_.uses_flat_scratch, 0
	.set _ZN7rocprim17ROCPRIM_400000_NS6detail17trampoline_kernelINS0_14default_configENS1_27scan_by_key_config_selectorIssEEZZNS1_16scan_by_key_implILNS1_25lookback_scan_determinismE0ELb1ES3_N6thrust23THRUST_200600_302600_NS6detail15normal_iteratorINS9_10device_ptrIsEEEESE_SE_sNS9_4plusIsEE19head_flag_predicatesEE10hipError_tPvRmT2_T3_T4_T5_mT6_T7_P12ihipStream_tbENKUlT_T0_E_clISt17integral_constantIbLb1EESX_IbLb0EEEEDaST_SU_EUlST_E_NS1_11comp_targetILNS1_3genE4ELNS1_11target_archE910ELNS1_3gpuE8ELNS1_3repE0EEENS1_30default_config_static_selectorELNS0_4arch9wavefront6targetE0EEEvT1_.has_dyn_sized_stack, 0
	.set _ZN7rocprim17ROCPRIM_400000_NS6detail17trampoline_kernelINS0_14default_configENS1_27scan_by_key_config_selectorIssEEZZNS1_16scan_by_key_implILNS1_25lookback_scan_determinismE0ELb1ES3_N6thrust23THRUST_200600_302600_NS6detail15normal_iteratorINS9_10device_ptrIsEEEESE_SE_sNS9_4plusIsEE19head_flag_predicatesEE10hipError_tPvRmT2_T3_T4_T5_mT6_T7_P12ihipStream_tbENKUlT_T0_E_clISt17integral_constantIbLb1EESX_IbLb0EEEEDaST_SU_EUlST_E_NS1_11comp_targetILNS1_3genE4ELNS1_11target_archE910ELNS1_3gpuE8ELNS1_3repE0EEENS1_30default_config_static_selectorELNS0_4arch9wavefront6targetE0EEEvT1_.has_recursion, 0
	.set _ZN7rocprim17ROCPRIM_400000_NS6detail17trampoline_kernelINS0_14default_configENS1_27scan_by_key_config_selectorIssEEZZNS1_16scan_by_key_implILNS1_25lookback_scan_determinismE0ELb1ES3_N6thrust23THRUST_200600_302600_NS6detail15normal_iteratorINS9_10device_ptrIsEEEESE_SE_sNS9_4plusIsEE19head_flag_predicatesEE10hipError_tPvRmT2_T3_T4_T5_mT6_T7_P12ihipStream_tbENKUlT_T0_E_clISt17integral_constantIbLb1EESX_IbLb0EEEEDaST_SU_EUlST_E_NS1_11comp_targetILNS1_3genE4ELNS1_11target_archE910ELNS1_3gpuE8ELNS1_3repE0EEENS1_30default_config_static_selectorELNS0_4arch9wavefront6targetE0EEEvT1_.has_indirect_call, 0
	.section	.AMDGPU.csdata,"",@progbits
; Kernel info:
; codeLenInByte = 0
; TotalNumSgprs: 0
; NumVgprs: 0
; ScratchSize: 0
; MemoryBound: 0
; FloatMode: 240
; IeeeMode: 1
; LDSByteSize: 0 bytes/workgroup (compile time only)
; SGPRBlocks: 0
; VGPRBlocks: 0
; NumSGPRsForWavesPerEU: 1
; NumVGPRsForWavesPerEU: 1
; Occupancy: 16
; WaveLimiterHint : 0
; COMPUTE_PGM_RSRC2:SCRATCH_EN: 0
; COMPUTE_PGM_RSRC2:USER_SGPR: 6
; COMPUTE_PGM_RSRC2:TRAP_HANDLER: 0
; COMPUTE_PGM_RSRC2:TGID_X_EN: 1
; COMPUTE_PGM_RSRC2:TGID_Y_EN: 0
; COMPUTE_PGM_RSRC2:TGID_Z_EN: 0
; COMPUTE_PGM_RSRC2:TIDIG_COMP_CNT: 0
	.section	.text._ZN7rocprim17ROCPRIM_400000_NS6detail17trampoline_kernelINS0_14default_configENS1_27scan_by_key_config_selectorIssEEZZNS1_16scan_by_key_implILNS1_25lookback_scan_determinismE0ELb1ES3_N6thrust23THRUST_200600_302600_NS6detail15normal_iteratorINS9_10device_ptrIsEEEESE_SE_sNS9_4plusIsEE19head_flag_predicatesEE10hipError_tPvRmT2_T3_T4_T5_mT6_T7_P12ihipStream_tbENKUlT_T0_E_clISt17integral_constantIbLb1EESX_IbLb0EEEEDaST_SU_EUlST_E_NS1_11comp_targetILNS1_3genE3ELNS1_11target_archE908ELNS1_3gpuE7ELNS1_3repE0EEENS1_30default_config_static_selectorELNS0_4arch9wavefront6targetE0EEEvT1_,"axG",@progbits,_ZN7rocprim17ROCPRIM_400000_NS6detail17trampoline_kernelINS0_14default_configENS1_27scan_by_key_config_selectorIssEEZZNS1_16scan_by_key_implILNS1_25lookback_scan_determinismE0ELb1ES3_N6thrust23THRUST_200600_302600_NS6detail15normal_iteratorINS9_10device_ptrIsEEEESE_SE_sNS9_4plusIsEE19head_flag_predicatesEE10hipError_tPvRmT2_T3_T4_T5_mT6_T7_P12ihipStream_tbENKUlT_T0_E_clISt17integral_constantIbLb1EESX_IbLb0EEEEDaST_SU_EUlST_E_NS1_11comp_targetILNS1_3genE3ELNS1_11target_archE908ELNS1_3gpuE7ELNS1_3repE0EEENS1_30default_config_static_selectorELNS0_4arch9wavefront6targetE0EEEvT1_,comdat
	.protected	_ZN7rocprim17ROCPRIM_400000_NS6detail17trampoline_kernelINS0_14default_configENS1_27scan_by_key_config_selectorIssEEZZNS1_16scan_by_key_implILNS1_25lookback_scan_determinismE0ELb1ES3_N6thrust23THRUST_200600_302600_NS6detail15normal_iteratorINS9_10device_ptrIsEEEESE_SE_sNS9_4plusIsEE19head_flag_predicatesEE10hipError_tPvRmT2_T3_T4_T5_mT6_T7_P12ihipStream_tbENKUlT_T0_E_clISt17integral_constantIbLb1EESX_IbLb0EEEEDaST_SU_EUlST_E_NS1_11comp_targetILNS1_3genE3ELNS1_11target_archE908ELNS1_3gpuE7ELNS1_3repE0EEENS1_30default_config_static_selectorELNS0_4arch9wavefront6targetE0EEEvT1_ ; -- Begin function _ZN7rocprim17ROCPRIM_400000_NS6detail17trampoline_kernelINS0_14default_configENS1_27scan_by_key_config_selectorIssEEZZNS1_16scan_by_key_implILNS1_25lookback_scan_determinismE0ELb1ES3_N6thrust23THRUST_200600_302600_NS6detail15normal_iteratorINS9_10device_ptrIsEEEESE_SE_sNS9_4plusIsEE19head_flag_predicatesEE10hipError_tPvRmT2_T3_T4_T5_mT6_T7_P12ihipStream_tbENKUlT_T0_E_clISt17integral_constantIbLb1EESX_IbLb0EEEEDaST_SU_EUlST_E_NS1_11comp_targetILNS1_3genE3ELNS1_11target_archE908ELNS1_3gpuE7ELNS1_3repE0EEENS1_30default_config_static_selectorELNS0_4arch9wavefront6targetE0EEEvT1_
	.globl	_ZN7rocprim17ROCPRIM_400000_NS6detail17trampoline_kernelINS0_14default_configENS1_27scan_by_key_config_selectorIssEEZZNS1_16scan_by_key_implILNS1_25lookback_scan_determinismE0ELb1ES3_N6thrust23THRUST_200600_302600_NS6detail15normal_iteratorINS9_10device_ptrIsEEEESE_SE_sNS9_4plusIsEE19head_flag_predicatesEE10hipError_tPvRmT2_T3_T4_T5_mT6_T7_P12ihipStream_tbENKUlT_T0_E_clISt17integral_constantIbLb1EESX_IbLb0EEEEDaST_SU_EUlST_E_NS1_11comp_targetILNS1_3genE3ELNS1_11target_archE908ELNS1_3gpuE7ELNS1_3repE0EEENS1_30default_config_static_selectorELNS0_4arch9wavefront6targetE0EEEvT1_
	.p2align	8
	.type	_ZN7rocprim17ROCPRIM_400000_NS6detail17trampoline_kernelINS0_14default_configENS1_27scan_by_key_config_selectorIssEEZZNS1_16scan_by_key_implILNS1_25lookback_scan_determinismE0ELb1ES3_N6thrust23THRUST_200600_302600_NS6detail15normal_iteratorINS9_10device_ptrIsEEEESE_SE_sNS9_4plusIsEE19head_flag_predicatesEE10hipError_tPvRmT2_T3_T4_T5_mT6_T7_P12ihipStream_tbENKUlT_T0_E_clISt17integral_constantIbLb1EESX_IbLb0EEEEDaST_SU_EUlST_E_NS1_11comp_targetILNS1_3genE3ELNS1_11target_archE908ELNS1_3gpuE7ELNS1_3repE0EEENS1_30default_config_static_selectorELNS0_4arch9wavefront6targetE0EEEvT1_,@function
_ZN7rocprim17ROCPRIM_400000_NS6detail17trampoline_kernelINS0_14default_configENS1_27scan_by_key_config_selectorIssEEZZNS1_16scan_by_key_implILNS1_25lookback_scan_determinismE0ELb1ES3_N6thrust23THRUST_200600_302600_NS6detail15normal_iteratorINS9_10device_ptrIsEEEESE_SE_sNS9_4plusIsEE19head_flag_predicatesEE10hipError_tPvRmT2_T3_T4_T5_mT6_T7_P12ihipStream_tbENKUlT_T0_E_clISt17integral_constantIbLb1EESX_IbLb0EEEEDaST_SU_EUlST_E_NS1_11comp_targetILNS1_3genE3ELNS1_11target_archE908ELNS1_3gpuE7ELNS1_3repE0EEENS1_30default_config_static_selectorELNS0_4arch9wavefront6targetE0EEEvT1_: ; @_ZN7rocprim17ROCPRIM_400000_NS6detail17trampoline_kernelINS0_14default_configENS1_27scan_by_key_config_selectorIssEEZZNS1_16scan_by_key_implILNS1_25lookback_scan_determinismE0ELb1ES3_N6thrust23THRUST_200600_302600_NS6detail15normal_iteratorINS9_10device_ptrIsEEEESE_SE_sNS9_4plusIsEE19head_flag_predicatesEE10hipError_tPvRmT2_T3_T4_T5_mT6_T7_P12ihipStream_tbENKUlT_T0_E_clISt17integral_constantIbLb1EESX_IbLb0EEEEDaST_SU_EUlST_E_NS1_11comp_targetILNS1_3genE3ELNS1_11target_archE908ELNS1_3gpuE7ELNS1_3repE0EEENS1_30default_config_static_selectorELNS0_4arch9wavefront6targetE0EEEvT1_
; %bb.0:
	.section	.rodata,"a",@progbits
	.p2align	6, 0x0
	.amdhsa_kernel _ZN7rocprim17ROCPRIM_400000_NS6detail17trampoline_kernelINS0_14default_configENS1_27scan_by_key_config_selectorIssEEZZNS1_16scan_by_key_implILNS1_25lookback_scan_determinismE0ELb1ES3_N6thrust23THRUST_200600_302600_NS6detail15normal_iteratorINS9_10device_ptrIsEEEESE_SE_sNS9_4plusIsEE19head_flag_predicatesEE10hipError_tPvRmT2_T3_T4_T5_mT6_T7_P12ihipStream_tbENKUlT_T0_E_clISt17integral_constantIbLb1EESX_IbLb0EEEEDaST_SU_EUlST_E_NS1_11comp_targetILNS1_3genE3ELNS1_11target_archE908ELNS1_3gpuE7ELNS1_3repE0EEENS1_30default_config_static_selectorELNS0_4arch9wavefront6targetE0EEEvT1_
		.amdhsa_group_segment_fixed_size 0
		.amdhsa_private_segment_fixed_size 0
		.amdhsa_kernarg_size 112
		.amdhsa_user_sgpr_count 6
		.amdhsa_user_sgpr_private_segment_buffer 1
		.amdhsa_user_sgpr_dispatch_ptr 0
		.amdhsa_user_sgpr_queue_ptr 0
		.amdhsa_user_sgpr_kernarg_segment_ptr 1
		.amdhsa_user_sgpr_dispatch_id 0
		.amdhsa_user_sgpr_flat_scratch_init 0
		.amdhsa_user_sgpr_private_segment_size 0
		.amdhsa_wavefront_size32 1
		.amdhsa_uses_dynamic_stack 0
		.amdhsa_system_sgpr_private_segment_wavefront_offset 0
		.amdhsa_system_sgpr_workgroup_id_x 1
		.amdhsa_system_sgpr_workgroup_id_y 0
		.amdhsa_system_sgpr_workgroup_id_z 0
		.amdhsa_system_sgpr_workgroup_info 0
		.amdhsa_system_vgpr_workitem_id 0
		.amdhsa_next_free_vgpr 1
		.amdhsa_next_free_sgpr 1
		.amdhsa_reserve_vcc 0
		.amdhsa_reserve_flat_scratch 0
		.amdhsa_float_round_mode_32 0
		.amdhsa_float_round_mode_16_64 0
		.amdhsa_float_denorm_mode_32 3
		.amdhsa_float_denorm_mode_16_64 3
		.amdhsa_dx10_clamp 1
		.amdhsa_ieee_mode 1
		.amdhsa_fp16_overflow 0
		.amdhsa_workgroup_processor_mode 1
		.amdhsa_memory_ordered 1
		.amdhsa_forward_progress 1
		.amdhsa_shared_vgpr_count 0
		.amdhsa_exception_fp_ieee_invalid_op 0
		.amdhsa_exception_fp_denorm_src 0
		.amdhsa_exception_fp_ieee_div_zero 0
		.amdhsa_exception_fp_ieee_overflow 0
		.amdhsa_exception_fp_ieee_underflow 0
		.amdhsa_exception_fp_ieee_inexact 0
		.amdhsa_exception_int_div_zero 0
	.end_amdhsa_kernel
	.section	.text._ZN7rocprim17ROCPRIM_400000_NS6detail17trampoline_kernelINS0_14default_configENS1_27scan_by_key_config_selectorIssEEZZNS1_16scan_by_key_implILNS1_25lookback_scan_determinismE0ELb1ES3_N6thrust23THRUST_200600_302600_NS6detail15normal_iteratorINS9_10device_ptrIsEEEESE_SE_sNS9_4plusIsEE19head_flag_predicatesEE10hipError_tPvRmT2_T3_T4_T5_mT6_T7_P12ihipStream_tbENKUlT_T0_E_clISt17integral_constantIbLb1EESX_IbLb0EEEEDaST_SU_EUlST_E_NS1_11comp_targetILNS1_3genE3ELNS1_11target_archE908ELNS1_3gpuE7ELNS1_3repE0EEENS1_30default_config_static_selectorELNS0_4arch9wavefront6targetE0EEEvT1_,"axG",@progbits,_ZN7rocprim17ROCPRIM_400000_NS6detail17trampoline_kernelINS0_14default_configENS1_27scan_by_key_config_selectorIssEEZZNS1_16scan_by_key_implILNS1_25lookback_scan_determinismE0ELb1ES3_N6thrust23THRUST_200600_302600_NS6detail15normal_iteratorINS9_10device_ptrIsEEEESE_SE_sNS9_4plusIsEE19head_flag_predicatesEE10hipError_tPvRmT2_T3_T4_T5_mT6_T7_P12ihipStream_tbENKUlT_T0_E_clISt17integral_constantIbLb1EESX_IbLb0EEEEDaST_SU_EUlST_E_NS1_11comp_targetILNS1_3genE3ELNS1_11target_archE908ELNS1_3gpuE7ELNS1_3repE0EEENS1_30default_config_static_selectorELNS0_4arch9wavefront6targetE0EEEvT1_,comdat
.Lfunc_end879:
	.size	_ZN7rocprim17ROCPRIM_400000_NS6detail17trampoline_kernelINS0_14default_configENS1_27scan_by_key_config_selectorIssEEZZNS1_16scan_by_key_implILNS1_25lookback_scan_determinismE0ELb1ES3_N6thrust23THRUST_200600_302600_NS6detail15normal_iteratorINS9_10device_ptrIsEEEESE_SE_sNS9_4plusIsEE19head_flag_predicatesEE10hipError_tPvRmT2_T3_T4_T5_mT6_T7_P12ihipStream_tbENKUlT_T0_E_clISt17integral_constantIbLb1EESX_IbLb0EEEEDaST_SU_EUlST_E_NS1_11comp_targetILNS1_3genE3ELNS1_11target_archE908ELNS1_3gpuE7ELNS1_3repE0EEENS1_30default_config_static_selectorELNS0_4arch9wavefront6targetE0EEEvT1_, .Lfunc_end879-_ZN7rocprim17ROCPRIM_400000_NS6detail17trampoline_kernelINS0_14default_configENS1_27scan_by_key_config_selectorIssEEZZNS1_16scan_by_key_implILNS1_25lookback_scan_determinismE0ELb1ES3_N6thrust23THRUST_200600_302600_NS6detail15normal_iteratorINS9_10device_ptrIsEEEESE_SE_sNS9_4plusIsEE19head_flag_predicatesEE10hipError_tPvRmT2_T3_T4_T5_mT6_T7_P12ihipStream_tbENKUlT_T0_E_clISt17integral_constantIbLb1EESX_IbLb0EEEEDaST_SU_EUlST_E_NS1_11comp_targetILNS1_3genE3ELNS1_11target_archE908ELNS1_3gpuE7ELNS1_3repE0EEENS1_30default_config_static_selectorELNS0_4arch9wavefront6targetE0EEEvT1_
                                        ; -- End function
	.set _ZN7rocprim17ROCPRIM_400000_NS6detail17trampoline_kernelINS0_14default_configENS1_27scan_by_key_config_selectorIssEEZZNS1_16scan_by_key_implILNS1_25lookback_scan_determinismE0ELb1ES3_N6thrust23THRUST_200600_302600_NS6detail15normal_iteratorINS9_10device_ptrIsEEEESE_SE_sNS9_4plusIsEE19head_flag_predicatesEE10hipError_tPvRmT2_T3_T4_T5_mT6_T7_P12ihipStream_tbENKUlT_T0_E_clISt17integral_constantIbLb1EESX_IbLb0EEEEDaST_SU_EUlST_E_NS1_11comp_targetILNS1_3genE3ELNS1_11target_archE908ELNS1_3gpuE7ELNS1_3repE0EEENS1_30default_config_static_selectorELNS0_4arch9wavefront6targetE0EEEvT1_.num_vgpr, 0
	.set _ZN7rocprim17ROCPRIM_400000_NS6detail17trampoline_kernelINS0_14default_configENS1_27scan_by_key_config_selectorIssEEZZNS1_16scan_by_key_implILNS1_25lookback_scan_determinismE0ELb1ES3_N6thrust23THRUST_200600_302600_NS6detail15normal_iteratorINS9_10device_ptrIsEEEESE_SE_sNS9_4plusIsEE19head_flag_predicatesEE10hipError_tPvRmT2_T3_T4_T5_mT6_T7_P12ihipStream_tbENKUlT_T0_E_clISt17integral_constantIbLb1EESX_IbLb0EEEEDaST_SU_EUlST_E_NS1_11comp_targetILNS1_3genE3ELNS1_11target_archE908ELNS1_3gpuE7ELNS1_3repE0EEENS1_30default_config_static_selectorELNS0_4arch9wavefront6targetE0EEEvT1_.num_agpr, 0
	.set _ZN7rocprim17ROCPRIM_400000_NS6detail17trampoline_kernelINS0_14default_configENS1_27scan_by_key_config_selectorIssEEZZNS1_16scan_by_key_implILNS1_25lookback_scan_determinismE0ELb1ES3_N6thrust23THRUST_200600_302600_NS6detail15normal_iteratorINS9_10device_ptrIsEEEESE_SE_sNS9_4plusIsEE19head_flag_predicatesEE10hipError_tPvRmT2_T3_T4_T5_mT6_T7_P12ihipStream_tbENKUlT_T0_E_clISt17integral_constantIbLb1EESX_IbLb0EEEEDaST_SU_EUlST_E_NS1_11comp_targetILNS1_3genE3ELNS1_11target_archE908ELNS1_3gpuE7ELNS1_3repE0EEENS1_30default_config_static_selectorELNS0_4arch9wavefront6targetE0EEEvT1_.numbered_sgpr, 0
	.set _ZN7rocprim17ROCPRIM_400000_NS6detail17trampoline_kernelINS0_14default_configENS1_27scan_by_key_config_selectorIssEEZZNS1_16scan_by_key_implILNS1_25lookback_scan_determinismE0ELb1ES3_N6thrust23THRUST_200600_302600_NS6detail15normal_iteratorINS9_10device_ptrIsEEEESE_SE_sNS9_4plusIsEE19head_flag_predicatesEE10hipError_tPvRmT2_T3_T4_T5_mT6_T7_P12ihipStream_tbENKUlT_T0_E_clISt17integral_constantIbLb1EESX_IbLb0EEEEDaST_SU_EUlST_E_NS1_11comp_targetILNS1_3genE3ELNS1_11target_archE908ELNS1_3gpuE7ELNS1_3repE0EEENS1_30default_config_static_selectorELNS0_4arch9wavefront6targetE0EEEvT1_.num_named_barrier, 0
	.set _ZN7rocprim17ROCPRIM_400000_NS6detail17trampoline_kernelINS0_14default_configENS1_27scan_by_key_config_selectorIssEEZZNS1_16scan_by_key_implILNS1_25lookback_scan_determinismE0ELb1ES3_N6thrust23THRUST_200600_302600_NS6detail15normal_iteratorINS9_10device_ptrIsEEEESE_SE_sNS9_4plusIsEE19head_flag_predicatesEE10hipError_tPvRmT2_T3_T4_T5_mT6_T7_P12ihipStream_tbENKUlT_T0_E_clISt17integral_constantIbLb1EESX_IbLb0EEEEDaST_SU_EUlST_E_NS1_11comp_targetILNS1_3genE3ELNS1_11target_archE908ELNS1_3gpuE7ELNS1_3repE0EEENS1_30default_config_static_selectorELNS0_4arch9wavefront6targetE0EEEvT1_.private_seg_size, 0
	.set _ZN7rocprim17ROCPRIM_400000_NS6detail17trampoline_kernelINS0_14default_configENS1_27scan_by_key_config_selectorIssEEZZNS1_16scan_by_key_implILNS1_25lookback_scan_determinismE0ELb1ES3_N6thrust23THRUST_200600_302600_NS6detail15normal_iteratorINS9_10device_ptrIsEEEESE_SE_sNS9_4plusIsEE19head_flag_predicatesEE10hipError_tPvRmT2_T3_T4_T5_mT6_T7_P12ihipStream_tbENKUlT_T0_E_clISt17integral_constantIbLb1EESX_IbLb0EEEEDaST_SU_EUlST_E_NS1_11comp_targetILNS1_3genE3ELNS1_11target_archE908ELNS1_3gpuE7ELNS1_3repE0EEENS1_30default_config_static_selectorELNS0_4arch9wavefront6targetE0EEEvT1_.uses_vcc, 0
	.set _ZN7rocprim17ROCPRIM_400000_NS6detail17trampoline_kernelINS0_14default_configENS1_27scan_by_key_config_selectorIssEEZZNS1_16scan_by_key_implILNS1_25lookback_scan_determinismE0ELb1ES3_N6thrust23THRUST_200600_302600_NS6detail15normal_iteratorINS9_10device_ptrIsEEEESE_SE_sNS9_4plusIsEE19head_flag_predicatesEE10hipError_tPvRmT2_T3_T4_T5_mT6_T7_P12ihipStream_tbENKUlT_T0_E_clISt17integral_constantIbLb1EESX_IbLb0EEEEDaST_SU_EUlST_E_NS1_11comp_targetILNS1_3genE3ELNS1_11target_archE908ELNS1_3gpuE7ELNS1_3repE0EEENS1_30default_config_static_selectorELNS0_4arch9wavefront6targetE0EEEvT1_.uses_flat_scratch, 0
	.set _ZN7rocprim17ROCPRIM_400000_NS6detail17trampoline_kernelINS0_14default_configENS1_27scan_by_key_config_selectorIssEEZZNS1_16scan_by_key_implILNS1_25lookback_scan_determinismE0ELb1ES3_N6thrust23THRUST_200600_302600_NS6detail15normal_iteratorINS9_10device_ptrIsEEEESE_SE_sNS9_4plusIsEE19head_flag_predicatesEE10hipError_tPvRmT2_T3_T4_T5_mT6_T7_P12ihipStream_tbENKUlT_T0_E_clISt17integral_constantIbLb1EESX_IbLb0EEEEDaST_SU_EUlST_E_NS1_11comp_targetILNS1_3genE3ELNS1_11target_archE908ELNS1_3gpuE7ELNS1_3repE0EEENS1_30default_config_static_selectorELNS0_4arch9wavefront6targetE0EEEvT1_.has_dyn_sized_stack, 0
	.set _ZN7rocprim17ROCPRIM_400000_NS6detail17trampoline_kernelINS0_14default_configENS1_27scan_by_key_config_selectorIssEEZZNS1_16scan_by_key_implILNS1_25lookback_scan_determinismE0ELb1ES3_N6thrust23THRUST_200600_302600_NS6detail15normal_iteratorINS9_10device_ptrIsEEEESE_SE_sNS9_4plusIsEE19head_flag_predicatesEE10hipError_tPvRmT2_T3_T4_T5_mT6_T7_P12ihipStream_tbENKUlT_T0_E_clISt17integral_constantIbLb1EESX_IbLb0EEEEDaST_SU_EUlST_E_NS1_11comp_targetILNS1_3genE3ELNS1_11target_archE908ELNS1_3gpuE7ELNS1_3repE0EEENS1_30default_config_static_selectorELNS0_4arch9wavefront6targetE0EEEvT1_.has_recursion, 0
	.set _ZN7rocprim17ROCPRIM_400000_NS6detail17trampoline_kernelINS0_14default_configENS1_27scan_by_key_config_selectorIssEEZZNS1_16scan_by_key_implILNS1_25lookback_scan_determinismE0ELb1ES3_N6thrust23THRUST_200600_302600_NS6detail15normal_iteratorINS9_10device_ptrIsEEEESE_SE_sNS9_4plusIsEE19head_flag_predicatesEE10hipError_tPvRmT2_T3_T4_T5_mT6_T7_P12ihipStream_tbENKUlT_T0_E_clISt17integral_constantIbLb1EESX_IbLb0EEEEDaST_SU_EUlST_E_NS1_11comp_targetILNS1_3genE3ELNS1_11target_archE908ELNS1_3gpuE7ELNS1_3repE0EEENS1_30default_config_static_selectorELNS0_4arch9wavefront6targetE0EEEvT1_.has_indirect_call, 0
	.section	.AMDGPU.csdata,"",@progbits
; Kernel info:
; codeLenInByte = 0
; TotalNumSgprs: 0
; NumVgprs: 0
; ScratchSize: 0
; MemoryBound: 0
; FloatMode: 240
; IeeeMode: 1
; LDSByteSize: 0 bytes/workgroup (compile time only)
; SGPRBlocks: 0
; VGPRBlocks: 0
; NumSGPRsForWavesPerEU: 1
; NumVGPRsForWavesPerEU: 1
; Occupancy: 16
; WaveLimiterHint : 0
; COMPUTE_PGM_RSRC2:SCRATCH_EN: 0
; COMPUTE_PGM_RSRC2:USER_SGPR: 6
; COMPUTE_PGM_RSRC2:TRAP_HANDLER: 0
; COMPUTE_PGM_RSRC2:TGID_X_EN: 1
; COMPUTE_PGM_RSRC2:TGID_Y_EN: 0
; COMPUTE_PGM_RSRC2:TGID_Z_EN: 0
; COMPUTE_PGM_RSRC2:TIDIG_COMP_CNT: 0
	.section	.text._ZN7rocprim17ROCPRIM_400000_NS6detail17trampoline_kernelINS0_14default_configENS1_27scan_by_key_config_selectorIssEEZZNS1_16scan_by_key_implILNS1_25lookback_scan_determinismE0ELb1ES3_N6thrust23THRUST_200600_302600_NS6detail15normal_iteratorINS9_10device_ptrIsEEEESE_SE_sNS9_4plusIsEE19head_flag_predicatesEE10hipError_tPvRmT2_T3_T4_T5_mT6_T7_P12ihipStream_tbENKUlT_T0_E_clISt17integral_constantIbLb1EESX_IbLb0EEEEDaST_SU_EUlST_E_NS1_11comp_targetILNS1_3genE2ELNS1_11target_archE906ELNS1_3gpuE6ELNS1_3repE0EEENS1_30default_config_static_selectorELNS0_4arch9wavefront6targetE0EEEvT1_,"axG",@progbits,_ZN7rocprim17ROCPRIM_400000_NS6detail17trampoline_kernelINS0_14default_configENS1_27scan_by_key_config_selectorIssEEZZNS1_16scan_by_key_implILNS1_25lookback_scan_determinismE0ELb1ES3_N6thrust23THRUST_200600_302600_NS6detail15normal_iteratorINS9_10device_ptrIsEEEESE_SE_sNS9_4plusIsEE19head_flag_predicatesEE10hipError_tPvRmT2_T3_T4_T5_mT6_T7_P12ihipStream_tbENKUlT_T0_E_clISt17integral_constantIbLb1EESX_IbLb0EEEEDaST_SU_EUlST_E_NS1_11comp_targetILNS1_3genE2ELNS1_11target_archE906ELNS1_3gpuE6ELNS1_3repE0EEENS1_30default_config_static_selectorELNS0_4arch9wavefront6targetE0EEEvT1_,comdat
	.protected	_ZN7rocprim17ROCPRIM_400000_NS6detail17trampoline_kernelINS0_14default_configENS1_27scan_by_key_config_selectorIssEEZZNS1_16scan_by_key_implILNS1_25lookback_scan_determinismE0ELb1ES3_N6thrust23THRUST_200600_302600_NS6detail15normal_iteratorINS9_10device_ptrIsEEEESE_SE_sNS9_4plusIsEE19head_flag_predicatesEE10hipError_tPvRmT2_T3_T4_T5_mT6_T7_P12ihipStream_tbENKUlT_T0_E_clISt17integral_constantIbLb1EESX_IbLb0EEEEDaST_SU_EUlST_E_NS1_11comp_targetILNS1_3genE2ELNS1_11target_archE906ELNS1_3gpuE6ELNS1_3repE0EEENS1_30default_config_static_selectorELNS0_4arch9wavefront6targetE0EEEvT1_ ; -- Begin function _ZN7rocprim17ROCPRIM_400000_NS6detail17trampoline_kernelINS0_14default_configENS1_27scan_by_key_config_selectorIssEEZZNS1_16scan_by_key_implILNS1_25lookback_scan_determinismE0ELb1ES3_N6thrust23THRUST_200600_302600_NS6detail15normal_iteratorINS9_10device_ptrIsEEEESE_SE_sNS9_4plusIsEE19head_flag_predicatesEE10hipError_tPvRmT2_T3_T4_T5_mT6_T7_P12ihipStream_tbENKUlT_T0_E_clISt17integral_constantIbLb1EESX_IbLb0EEEEDaST_SU_EUlST_E_NS1_11comp_targetILNS1_3genE2ELNS1_11target_archE906ELNS1_3gpuE6ELNS1_3repE0EEENS1_30default_config_static_selectorELNS0_4arch9wavefront6targetE0EEEvT1_
	.globl	_ZN7rocprim17ROCPRIM_400000_NS6detail17trampoline_kernelINS0_14default_configENS1_27scan_by_key_config_selectorIssEEZZNS1_16scan_by_key_implILNS1_25lookback_scan_determinismE0ELb1ES3_N6thrust23THRUST_200600_302600_NS6detail15normal_iteratorINS9_10device_ptrIsEEEESE_SE_sNS9_4plusIsEE19head_flag_predicatesEE10hipError_tPvRmT2_T3_T4_T5_mT6_T7_P12ihipStream_tbENKUlT_T0_E_clISt17integral_constantIbLb1EESX_IbLb0EEEEDaST_SU_EUlST_E_NS1_11comp_targetILNS1_3genE2ELNS1_11target_archE906ELNS1_3gpuE6ELNS1_3repE0EEENS1_30default_config_static_selectorELNS0_4arch9wavefront6targetE0EEEvT1_
	.p2align	8
	.type	_ZN7rocprim17ROCPRIM_400000_NS6detail17trampoline_kernelINS0_14default_configENS1_27scan_by_key_config_selectorIssEEZZNS1_16scan_by_key_implILNS1_25lookback_scan_determinismE0ELb1ES3_N6thrust23THRUST_200600_302600_NS6detail15normal_iteratorINS9_10device_ptrIsEEEESE_SE_sNS9_4plusIsEE19head_flag_predicatesEE10hipError_tPvRmT2_T3_T4_T5_mT6_T7_P12ihipStream_tbENKUlT_T0_E_clISt17integral_constantIbLb1EESX_IbLb0EEEEDaST_SU_EUlST_E_NS1_11comp_targetILNS1_3genE2ELNS1_11target_archE906ELNS1_3gpuE6ELNS1_3repE0EEENS1_30default_config_static_selectorELNS0_4arch9wavefront6targetE0EEEvT1_,@function
_ZN7rocprim17ROCPRIM_400000_NS6detail17trampoline_kernelINS0_14default_configENS1_27scan_by_key_config_selectorIssEEZZNS1_16scan_by_key_implILNS1_25lookback_scan_determinismE0ELb1ES3_N6thrust23THRUST_200600_302600_NS6detail15normal_iteratorINS9_10device_ptrIsEEEESE_SE_sNS9_4plusIsEE19head_flag_predicatesEE10hipError_tPvRmT2_T3_T4_T5_mT6_T7_P12ihipStream_tbENKUlT_T0_E_clISt17integral_constantIbLb1EESX_IbLb0EEEEDaST_SU_EUlST_E_NS1_11comp_targetILNS1_3genE2ELNS1_11target_archE906ELNS1_3gpuE6ELNS1_3repE0EEENS1_30default_config_static_selectorELNS0_4arch9wavefront6targetE0EEEvT1_: ; @_ZN7rocprim17ROCPRIM_400000_NS6detail17trampoline_kernelINS0_14default_configENS1_27scan_by_key_config_selectorIssEEZZNS1_16scan_by_key_implILNS1_25lookback_scan_determinismE0ELb1ES3_N6thrust23THRUST_200600_302600_NS6detail15normal_iteratorINS9_10device_ptrIsEEEESE_SE_sNS9_4plusIsEE19head_flag_predicatesEE10hipError_tPvRmT2_T3_T4_T5_mT6_T7_P12ihipStream_tbENKUlT_T0_E_clISt17integral_constantIbLb1EESX_IbLb0EEEEDaST_SU_EUlST_E_NS1_11comp_targetILNS1_3genE2ELNS1_11target_archE906ELNS1_3gpuE6ELNS1_3repE0EEENS1_30default_config_static_selectorELNS0_4arch9wavefront6targetE0EEEvT1_
; %bb.0:
	.section	.rodata,"a",@progbits
	.p2align	6, 0x0
	.amdhsa_kernel _ZN7rocprim17ROCPRIM_400000_NS6detail17trampoline_kernelINS0_14default_configENS1_27scan_by_key_config_selectorIssEEZZNS1_16scan_by_key_implILNS1_25lookback_scan_determinismE0ELb1ES3_N6thrust23THRUST_200600_302600_NS6detail15normal_iteratorINS9_10device_ptrIsEEEESE_SE_sNS9_4plusIsEE19head_flag_predicatesEE10hipError_tPvRmT2_T3_T4_T5_mT6_T7_P12ihipStream_tbENKUlT_T0_E_clISt17integral_constantIbLb1EESX_IbLb0EEEEDaST_SU_EUlST_E_NS1_11comp_targetILNS1_3genE2ELNS1_11target_archE906ELNS1_3gpuE6ELNS1_3repE0EEENS1_30default_config_static_selectorELNS0_4arch9wavefront6targetE0EEEvT1_
		.amdhsa_group_segment_fixed_size 0
		.amdhsa_private_segment_fixed_size 0
		.amdhsa_kernarg_size 112
		.amdhsa_user_sgpr_count 6
		.amdhsa_user_sgpr_private_segment_buffer 1
		.amdhsa_user_sgpr_dispatch_ptr 0
		.amdhsa_user_sgpr_queue_ptr 0
		.amdhsa_user_sgpr_kernarg_segment_ptr 1
		.amdhsa_user_sgpr_dispatch_id 0
		.amdhsa_user_sgpr_flat_scratch_init 0
		.amdhsa_user_sgpr_private_segment_size 0
		.amdhsa_wavefront_size32 1
		.amdhsa_uses_dynamic_stack 0
		.amdhsa_system_sgpr_private_segment_wavefront_offset 0
		.amdhsa_system_sgpr_workgroup_id_x 1
		.amdhsa_system_sgpr_workgroup_id_y 0
		.amdhsa_system_sgpr_workgroup_id_z 0
		.amdhsa_system_sgpr_workgroup_info 0
		.amdhsa_system_vgpr_workitem_id 0
		.amdhsa_next_free_vgpr 1
		.amdhsa_next_free_sgpr 1
		.amdhsa_reserve_vcc 0
		.amdhsa_reserve_flat_scratch 0
		.amdhsa_float_round_mode_32 0
		.amdhsa_float_round_mode_16_64 0
		.amdhsa_float_denorm_mode_32 3
		.amdhsa_float_denorm_mode_16_64 3
		.amdhsa_dx10_clamp 1
		.amdhsa_ieee_mode 1
		.amdhsa_fp16_overflow 0
		.amdhsa_workgroup_processor_mode 1
		.amdhsa_memory_ordered 1
		.amdhsa_forward_progress 1
		.amdhsa_shared_vgpr_count 0
		.amdhsa_exception_fp_ieee_invalid_op 0
		.amdhsa_exception_fp_denorm_src 0
		.amdhsa_exception_fp_ieee_div_zero 0
		.amdhsa_exception_fp_ieee_overflow 0
		.amdhsa_exception_fp_ieee_underflow 0
		.amdhsa_exception_fp_ieee_inexact 0
		.amdhsa_exception_int_div_zero 0
	.end_amdhsa_kernel
	.section	.text._ZN7rocprim17ROCPRIM_400000_NS6detail17trampoline_kernelINS0_14default_configENS1_27scan_by_key_config_selectorIssEEZZNS1_16scan_by_key_implILNS1_25lookback_scan_determinismE0ELb1ES3_N6thrust23THRUST_200600_302600_NS6detail15normal_iteratorINS9_10device_ptrIsEEEESE_SE_sNS9_4plusIsEE19head_flag_predicatesEE10hipError_tPvRmT2_T3_T4_T5_mT6_T7_P12ihipStream_tbENKUlT_T0_E_clISt17integral_constantIbLb1EESX_IbLb0EEEEDaST_SU_EUlST_E_NS1_11comp_targetILNS1_3genE2ELNS1_11target_archE906ELNS1_3gpuE6ELNS1_3repE0EEENS1_30default_config_static_selectorELNS0_4arch9wavefront6targetE0EEEvT1_,"axG",@progbits,_ZN7rocprim17ROCPRIM_400000_NS6detail17trampoline_kernelINS0_14default_configENS1_27scan_by_key_config_selectorIssEEZZNS1_16scan_by_key_implILNS1_25lookback_scan_determinismE0ELb1ES3_N6thrust23THRUST_200600_302600_NS6detail15normal_iteratorINS9_10device_ptrIsEEEESE_SE_sNS9_4plusIsEE19head_flag_predicatesEE10hipError_tPvRmT2_T3_T4_T5_mT6_T7_P12ihipStream_tbENKUlT_T0_E_clISt17integral_constantIbLb1EESX_IbLb0EEEEDaST_SU_EUlST_E_NS1_11comp_targetILNS1_3genE2ELNS1_11target_archE906ELNS1_3gpuE6ELNS1_3repE0EEENS1_30default_config_static_selectorELNS0_4arch9wavefront6targetE0EEEvT1_,comdat
.Lfunc_end880:
	.size	_ZN7rocprim17ROCPRIM_400000_NS6detail17trampoline_kernelINS0_14default_configENS1_27scan_by_key_config_selectorIssEEZZNS1_16scan_by_key_implILNS1_25lookback_scan_determinismE0ELb1ES3_N6thrust23THRUST_200600_302600_NS6detail15normal_iteratorINS9_10device_ptrIsEEEESE_SE_sNS9_4plusIsEE19head_flag_predicatesEE10hipError_tPvRmT2_T3_T4_T5_mT6_T7_P12ihipStream_tbENKUlT_T0_E_clISt17integral_constantIbLb1EESX_IbLb0EEEEDaST_SU_EUlST_E_NS1_11comp_targetILNS1_3genE2ELNS1_11target_archE906ELNS1_3gpuE6ELNS1_3repE0EEENS1_30default_config_static_selectorELNS0_4arch9wavefront6targetE0EEEvT1_, .Lfunc_end880-_ZN7rocprim17ROCPRIM_400000_NS6detail17trampoline_kernelINS0_14default_configENS1_27scan_by_key_config_selectorIssEEZZNS1_16scan_by_key_implILNS1_25lookback_scan_determinismE0ELb1ES3_N6thrust23THRUST_200600_302600_NS6detail15normal_iteratorINS9_10device_ptrIsEEEESE_SE_sNS9_4plusIsEE19head_flag_predicatesEE10hipError_tPvRmT2_T3_T4_T5_mT6_T7_P12ihipStream_tbENKUlT_T0_E_clISt17integral_constantIbLb1EESX_IbLb0EEEEDaST_SU_EUlST_E_NS1_11comp_targetILNS1_3genE2ELNS1_11target_archE906ELNS1_3gpuE6ELNS1_3repE0EEENS1_30default_config_static_selectorELNS0_4arch9wavefront6targetE0EEEvT1_
                                        ; -- End function
	.set _ZN7rocprim17ROCPRIM_400000_NS6detail17trampoline_kernelINS0_14default_configENS1_27scan_by_key_config_selectorIssEEZZNS1_16scan_by_key_implILNS1_25lookback_scan_determinismE0ELb1ES3_N6thrust23THRUST_200600_302600_NS6detail15normal_iteratorINS9_10device_ptrIsEEEESE_SE_sNS9_4plusIsEE19head_flag_predicatesEE10hipError_tPvRmT2_T3_T4_T5_mT6_T7_P12ihipStream_tbENKUlT_T0_E_clISt17integral_constantIbLb1EESX_IbLb0EEEEDaST_SU_EUlST_E_NS1_11comp_targetILNS1_3genE2ELNS1_11target_archE906ELNS1_3gpuE6ELNS1_3repE0EEENS1_30default_config_static_selectorELNS0_4arch9wavefront6targetE0EEEvT1_.num_vgpr, 0
	.set _ZN7rocprim17ROCPRIM_400000_NS6detail17trampoline_kernelINS0_14default_configENS1_27scan_by_key_config_selectorIssEEZZNS1_16scan_by_key_implILNS1_25lookback_scan_determinismE0ELb1ES3_N6thrust23THRUST_200600_302600_NS6detail15normal_iteratorINS9_10device_ptrIsEEEESE_SE_sNS9_4plusIsEE19head_flag_predicatesEE10hipError_tPvRmT2_T3_T4_T5_mT6_T7_P12ihipStream_tbENKUlT_T0_E_clISt17integral_constantIbLb1EESX_IbLb0EEEEDaST_SU_EUlST_E_NS1_11comp_targetILNS1_3genE2ELNS1_11target_archE906ELNS1_3gpuE6ELNS1_3repE0EEENS1_30default_config_static_selectorELNS0_4arch9wavefront6targetE0EEEvT1_.num_agpr, 0
	.set _ZN7rocprim17ROCPRIM_400000_NS6detail17trampoline_kernelINS0_14default_configENS1_27scan_by_key_config_selectorIssEEZZNS1_16scan_by_key_implILNS1_25lookback_scan_determinismE0ELb1ES3_N6thrust23THRUST_200600_302600_NS6detail15normal_iteratorINS9_10device_ptrIsEEEESE_SE_sNS9_4plusIsEE19head_flag_predicatesEE10hipError_tPvRmT2_T3_T4_T5_mT6_T7_P12ihipStream_tbENKUlT_T0_E_clISt17integral_constantIbLb1EESX_IbLb0EEEEDaST_SU_EUlST_E_NS1_11comp_targetILNS1_3genE2ELNS1_11target_archE906ELNS1_3gpuE6ELNS1_3repE0EEENS1_30default_config_static_selectorELNS0_4arch9wavefront6targetE0EEEvT1_.numbered_sgpr, 0
	.set _ZN7rocprim17ROCPRIM_400000_NS6detail17trampoline_kernelINS0_14default_configENS1_27scan_by_key_config_selectorIssEEZZNS1_16scan_by_key_implILNS1_25lookback_scan_determinismE0ELb1ES3_N6thrust23THRUST_200600_302600_NS6detail15normal_iteratorINS9_10device_ptrIsEEEESE_SE_sNS9_4plusIsEE19head_flag_predicatesEE10hipError_tPvRmT2_T3_T4_T5_mT6_T7_P12ihipStream_tbENKUlT_T0_E_clISt17integral_constantIbLb1EESX_IbLb0EEEEDaST_SU_EUlST_E_NS1_11comp_targetILNS1_3genE2ELNS1_11target_archE906ELNS1_3gpuE6ELNS1_3repE0EEENS1_30default_config_static_selectorELNS0_4arch9wavefront6targetE0EEEvT1_.num_named_barrier, 0
	.set _ZN7rocprim17ROCPRIM_400000_NS6detail17trampoline_kernelINS0_14default_configENS1_27scan_by_key_config_selectorIssEEZZNS1_16scan_by_key_implILNS1_25lookback_scan_determinismE0ELb1ES3_N6thrust23THRUST_200600_302600_NS6detail15normal_iteratorINS9_10device_ptrIsEEEESE_SE_sNS9_4plusIsEE19head_flag_predicatesEE10hipError_tPvRmT2_T3_T4_T5_mT6_T7_P12ihipStream_tbENKUlT_T0_E_clISt17integral_constantIbLb1EESX_IbLb0EEEEDaST_SU_EUlST_E_NS1_11comp_targetILNS1_3genE2ELNS1_11target_archE906ELNS1_3gpuE6ELNS1_3repE0EEENS1_30default_config_static_selectorELNS0_4arch9wavefront6targetE0EEEvT1_.private_seg_size, 0
	.set _ZN7rocprim17ROCPRIM_400000_NS6detail17trampoline_kernelINS0_14default_configENS1_27scan_by_key_config_selectorIssEEZZNS1_16scan_by_key_implILNS1_25lookback_scan_determinismE0ELb1ES3_N6thrust23THRUST_200600_302600_NS6detail15normal_iteratorINS9_10device_ptrIsEEEESE_SE_sNS9_4plusIsEE19head_flag_predicatesEE10hipError_tPvRmT2_T3_T4_T5_mT6_T7_P12ihipStream_tbENKUlT_T0_E_clISt17integral_constantIbLb1EESX_IbLb0EEEEDaST_SU_EUlST_E_NS1_11comp_targetILNS1_3genE2ELNS1_11target_archE906ELNS1_3gpuE6ELNS1_3repE0EEENS1_30default_config_static_selectorELNS0_4arch9wavefront6targetE0EEEvT1_.uses_vcc, 0
	.set _ZN7rocprim17ROCPRIM_400000_NS6detail17trampoline_kernelINS0_14default_configENS1_27scan_by_key_config_selectorIssEEZZNS1_16scan_by_key_implILNS1_25lookback_scan_determinismE0ELb1ES3_N6thrust23THRUST_200600_302600_NS6detail15normal_iteratorINS9_10device_ptrIsEEEESE_SE_sNS9_4plusIsEE19head_flag_predicatesEE10hipError_tPvRmT2_T3_T4_T5_mT6_T7_P12ihipStream_tbENKUlT_T0_E_clISt17integral_constantIbLb1EESX_IbLb0EEEEDaST_SU_EUlST_E_NS1_11comp_targetILNS1_3genE2ELNS1_11target_archE906ELNS1_3gpuE6ELNS1_3repE0EEENS1_30default_config_static_selectorELNS0_4arch9wavefront6targetE0EEEvT1_.uses_flat_scratch, 0
	.set _ZN7rocprim17ROCPRIM_400000_NS6detail17trampoline_kernelINS0_14default_configENS1_27scan_by_key_config_selectorIssEEZZNS1_16scan_by_key_implILNS1_25lookback_scan_determinismE0ELb1ES3_N6thrust23THRUST_200600_302600_NS6detail15normal_iteratorINS9_10device_ptrIsEEEESE_SE_sNS9_4plusIsEE19head_flag_predicatesEE10hipError_tPvRmT2_T3_T4_T5_mT6_T7_P12ihipStream_tbENKUlT_T0_E_clISt17integral_constantIbLb1EESX_IbLb0EEEEDaST_SU_EUlST_E_NS1_11comp_targetILNS1_3genE2ELNS1_11target_archE906ELNS1_3gpuE6ELNS1_3repE0EEENS1_30default_config_static_selectorELNS0_4arch9wavefront6targetE0EEEvT1_.has_dyn_sized_stack, 0
	.set _ZN7rocprim17ROCPRIM_400000_NS6detail17trampoline_kernelINS0_14default_configENS1_27scan_by_key_config_selectorIssEEZZNS1_16scan_by_key_implILNS1_25lookback_scan_determinismE0ELb1ES3_N6thrust23THRUST_200600_302600_NS6detail15normal_iteratorINS9_10device_ptrIsEEEESE_SE_sNS9_4plusIsEE19head_flag_predicatesEE10hipError_tPvRmT2_T3_T4_T5_mT6_T7_P12ihipStream_tbENKUlT_T0_E_clISt17integral_constantIbLb1EESX_IbLb0EEEEDaST_SU_EUlST_E_NS1_11comp_targetILNS1_3genE2ELNS1_11target_archE906ELNS1_3gpuE6ELNS1_3repE0EEENS1_30default_config_static_selectorELNS0_4arch9wavefront6targetE0EEEvT1_.has_recursion, 0
	.set _ZN7rocprim17ROCPRIM_400000_NS6detail17trampoline_kernelINS0_14default_configENS1_27scan_by_key_config_selectorIssEEZZNS1_16scan_by_key_implILNS1_25lookback_scan_determinismE0ELb1ES3_N6thrust23THRUST_200600_302600_NS6detail15normal_iteratorINS9_10device_ptrIsEEEESE_SE_sNS9_4plusIsEE19head_flag_predicatesEE10hipError_tPvRmT2_T3_T4_T5_mT6_T7_P12ihipStream_tbENKUlT_T0_E_clISt17integral_constantIbLb1EESX_IbLb0EEEEDaST_SU_EUlST_E_NS1_11comp_targetILNS1_3genE2ELNS1_11target_archE906ELNS1_3gpuE6ELNS1_3repE0EEENS1_30default_config_static_selectorELNS0_4arch9wavefront6targetE0EEEvT1_.has_indirect_call, 0
	.section	.AMDGPU.csdata,"",@progbits
; Kernel info:
; codeLenInByte = 0
; TotalNumSgprs: 0
; NumVgprs: 0
; ScratchSize: 0
; MemoryBound: 0
; FloatMode: 240
; IeeeMode: 1
; LDSByteSize: 0 bytes/workgroup (compile time only)
; SGPRBlocks: 0
; VGPRBlocks: 0
; NumSGPRsForWavesPerEU: 1
; NumVGPRsForWavesPerEU: 1
; Occupancy: 16
; WaveLimiterHint : 0
; COMPUTE_PGM_RSRC2:SCRATCH_EN: 0
; COMPUTE_PGM_RSRC2:USER_SGPR: 6
; COMPUTE_PGM_RSRC2:TRAP_HANDLER: 0
; COMPUTE_PGM_RSRC2:TGID_X_EN: 1
; COMPUTE_PGM_RSRC2:TGID_Y_EN: 0
; COMPUTE_PGM_RSRC2:TGID_Z_EN: 0
; COMPUTE_PGM_RSRC2:TIDIG_COMP_CNT: 0
	.section	.text._ZN7rocprim17ROCPRIM_400000_NS6detail17trampoline_kernelINS0_14default_configENS1_27scan_by_key_config_selectorIssEEZZNS1_16scan_by_key_implILNS1_25lookback_scan_determinismE0ELb1ES3_N6thrust23THRUST_200600_302600_NS6detail15normal_iteratorINS9_10device_ptrIsEEEESE_SE_sNS9_4plusIsEE19head_flag_predicatesEE10hipError_tPvRmT2_T3_T4_T5_mT6_T7_P12ihipStream_tbENKUlT_T0_E_clISt17integral_constantIbLb1EESX_IbLb0EEEEDaST_SU_EUlST_E_NS1_11comp_targetILNS1_3genE10ELNS1_11target_archE1200ELNS1_3gpuE4ELNS1_3repE0EEENS1_30default_config_static_selectorELNS0_4arch9wavefront6targetE0EEEvT1_,"axG",@progbits,_ZN7rocprim17ROCPRIM_400000_NS6detail17trampoline_kernelINS0_14default_configENS1_27scan_by_key_config_selectorIssEEZZNS1_16scan_by_key_implILNS1_25lookback_scan_determinismE0ELb1ES3_N6thrust23THRUST_200600_302600_NS6detail15normal_iteratorINS9_10device_ptrIsEEEESE_SE_sNS9_4plusIsEE19head_flag_predicatesEE10hipError_tPvRmT2_T3_T4_T5_mT6_T7_P12ihipStream_tbENKUlT_T0_E_clISt17integral_constantIbLb1EESX_IbLb0EEEEDaST_SU_EUlST_E_NS1_11comp_targetILNS1_3genE10ELNS1_11target_archE1200ELNS1_3gpuE4ELNS1_3repE0EEENS1_30default_config_static_selectorELNS0_4arch9wavefront6targetE0EEEvT1_,comdat
	.protected	_ZN7rocprim17ROCPRIM_400000_NS6detail17trampoline_kernelINS0_14default_configENS1_27scan_by_key_config_selectorIssEEZZNS1_16scan_by_key_implILNS1_25lookback_scan_determinismE0ELb1ES3_N6thrust23THRUST_200600_302600_NS6detail15normal_iteratorINS9_10device_ptrIsEEEESE_SE_sNS9_4plusIsEE19head_flag_predicatesEE10hipError_tPvRmT2_T3_T4_T5_mT6_T7_P12ihipStream_tbENKUlT_T0_E_clISt17integral_constantIbLb1EESX_IbLb0EEEEDaST_SU_EUlST_E_NS1_11comp_targetILNS1_3genE10ELNS1_11target_archE1200ELNS1_3gpuE4ELNS1_3repE0EEENS1_30default_config_static_selectorELNS0_4arch9wavefront6targetE0EEEvT1_ ; -- Begin function _ZN7rocprim17ROCPRIM_400000_NS6detail17trampoline_kernelINS0_14default_configENS1_27scan_by_key_config_selectorIssEEZZNS1_16scan_by_key_implILNS1_25lookback_scan_determinismE0ELb1ES3_N6thrust23THRUST_200600_302600_NS6detail15normal_iteratorINS9_10device_ptrIsEEEESE_SE_sNS9_4plusIsEE19head_flag_predicatesEE10hipError_tPvRmT2_T3_T4_T5_mT6_T7_P12ihipStream_tbENKUlT_T0_E_clISt17integral_constantIbLb1EESX_IbLb0EEEEDaST_SU_EUlST_E_NS1_11comp_targetILNS1_3genE10ELNS1_11target_archE1200ELNS1_3gpuE4ELNS1_3repE0EEENS1_30default_config_static_selectorELNS0_4arch9wavefront6targetE0EEEvT1_
	.globl	_ZN7rocprim17ROCPRIM_400000_NS6detail17trampoline_kernelINS0_14default_configENS1_27scan_by_key_config_selectorIssEEZZNS1_16scan_by_key_implILNS1_25lookback_scan_determinismE0ELb1ES3_N6thrust23THRUST_200600_302600_NS6detail15normal_iteratorINS9_10device_ptrIsEEEESE_SE_sNS9_4plusIsEE19head_flag_predicatesEE10hipError_tPvRmT2_T3_T4_T5_mT6_T7_P12ihipStream_tbENKUlT_T0_E_clISt17integral_constantIbLb1EESX_IbLb0EEEEDaST_SU_EUlST_E_NS1_11comp_targetILNS1_3genE10ELNS1_11target_archE1200ELNS1_3gpuE4ELNS1_3repE0EEENS1_30default_config_static_selectorELNS0_4arch9wavefront6targetE0EEEvT1_
	.p2align	8
	.type	_ZN7rocprim17ROCPRIM_400000_NS6detail17trampoline_kernelINS0_14default_configENS1_27scan_by_key_config_selectorIssEEZZNS1_16scan_by_key_implILNS1_25lookback_scan_determinismE0ELb1ES3_N6thrust23THRUST_200600_302600_NS6detail15normal_iteratorINS9_10device_ptrIsEEEESE_SE_sNS9_4plusIsEE19head_flag_predicatesEE10hipError_tPvRmT2_T3_T4_T5_mT6_T7_P12ihipStream_tbENKUlT_T0_E_clISt17integral_constantIbLb1EESX_IbLb0EEEEDaST_SU_EUlST_E_NS1_11comp_targetILNS1_3genE10ELNS1_11target_archE1200ELNS1_3gpuE4ELNS1_3repE0EEENS1_30default_config_static_selectorELNS0_4arch9wavefront6targetE0EEEvT1_,@function
_ZN7rocprim17ROCPRIM_400000_NS6detail17trampoline_kernelINS0_14default_configENS1_27scan_by_key_config_selectorIssEEZZNS1_16scan_by_key_implILNS1_25lookback_scan_determinismE0ELb1ES3_N6thrust23THRUST_200600_302600_NS6detail15normal_iteratorINS9_10device_ptrIsEEEESE_SE_sNS9_4plusIsEE19head_flag_predicatesEE10hipError_tPvRmT2_T3_T4_T5_mT6_T7_P12ihipStream_tbENKUlT_T0_E_clISt17integral_constantIbLb1EESX_IbLb0EEEEDaST_SU_EUlST_E_NS1_11comp_targetILNS1_3genE10ELNS1_11target_archE1200ELNS1_3gpuE4ELNS1_3repE0EEENS1_30default_config_static_selectorELNS0_4arch9wavefront6targetE0EEEvT1_: ; @_ZN7rocprim17ROCPRIM_400000_NS6detail17trampoline_kernelINS0_14default_configENS1_27scan_by_key_config_selectorIssEEZZNS1_16scan_by_key_implILNS1_25lookback_scan_determinismE0ELb1ES3_N6thrust23THRUST_200600_302600_NS6detail15normal_iteratorINS9_10device_ptrIsEEEESE_SE_sNS9_4plusIsEE19head_flag_predicatesEE10hipError_tPvRmT2_T3_T4_T5_mT6_T7_P12ihipStream_tbENKUlT_T0_E_clISt17integral_constantIbLb1EESX_IbLb0EEEEDaST_SU_EUlST_E_NS1_11comp_targetILNS1_3genE10ELNS1_11target_archE1200ELNS1_3gpuE4ELNS1_3repE0EEENS1_30default_config_static_selectorELNS0_4arch9wavefront6targetE0EEEvT1_
; %bb.0:
	.section	.rodata,"a",@progbits
	.p2align	6, 0x0
	.amdhsa_kernel _ZN7rocprim17ROCPRIM_400000_NS6detail17trampoline_kernelINS0_14default_configENS1_27scan_by_key_config_selectorIssEEZZNS1_16scan_by_key_implILNS1_25lookback_scan_determinismE0ELb1ES3_N6thrust23THRUST_200600_302600_NS6detail15normal_iteratorINS9_10device_ptrIsEEEESE_SE_sNS9_4plusIsEE19head_flag_predicatesEE10hipError_tPvRmT2_T3_T4_T5_mT6_T7_P12ihipStream_tbENKUlT_T0_E_clISt17integral_constantIbLb1EESX_IbLb0EEEEDaST_SU_EUlST_E_NS1_11comp_targetILNS1_3genE10ELNS1_11target_archE1200ELNS1_3gpuE4ELNS1_3repE0EEENS1_30default_config_static_selectorELNS0_4arch9wavefront6targetE0EEEvT1_
		.amdhsa_group_segment_fixed_size 0
		.amdhsa_private_segment_fixed_size 0
		.amdhsa_kernarg_size 112
		.amdhsa_user_sgpr_count 6
		.amdhsa_user_sgpr_private_segment_buffer 1
		.amdhsa_user_sgpr_dispatch_ptr 0
		.amdhsa_user_sgpr_queue_ptr 0
		.amdhsa_user_sgpr_kernarg_segment_ptr 1
		.amdhsa_user_sgpr_dispatch_id 0
		.amdhsa_user_sgpr_flat_scratch_init 0
		.amdhsa_user_sgpr_private_segment_size 0
		.amdhsa_wavefront_size32 1
		.amdhsa_uses_dynamic_stack 0
		.amdhsa_system_sgpr_private_segment_wavefront_offset 0
		.amdhsa_system_sgpr_workgroup_id_x 1
		.amdhsa_system_sgpr_workgroup_id_y 0
		.amdhsa_system_sgpr_workgroup_id_z 0
		.amdhsa_system_sgpr_workgroup_info 0
		.amdhsa_system_vgpr_workitem_id 0
		.amdhsa_next_free_vgpr 1
		.amdhsa_next_free_sgpr 1
		.amdhsa_reserve_vcc 0
		.amdhsa_reserve_flat_scratch 0
		.amdhsa_float_round_mode_32 0
		.amdhsa_float_round_mode_16_64 0
		.amdhsa_float_denorm_mode_32 3
		.amdhsa_float_denorm_mode_16_64 3
		.amdhsa_dx10_clamp 1
		.amdhsa_ieee_mode 1
		.amdhsa_fp16_overflow 0
		.amdhsa_workgroup_processor_mode 1
		.amdhsa_memory_ordered 1
		.amdhsa_forward_progress 1
		.amdhsa_shared_vgpr_count 0
		.amdhsa_exception_fp_ieee_invalid_op 0
		.amdhsa_exception_fp_denorm_src 0
		.amdhsa_exception_fp_ieee_div_zero 0
		.amdhsa_exception_fp_ieee_overflow 0
		.amdhsa_exception_fp_ieee_underflow 0
		.amdhsa_exception_fp_ieee_inexact 0
		.amdhsa_exception_int_div_zero 0
	.end_amdhsa_kernel
	.section	.text._ZN7rocprim17ROCPRIM_400000_NS6detail17trampoline_kernelINS0_14default_configENS1_27scan_by_key_config_selectorIssEEZZNS1_16scan_by_key_implILNS1_25lookback_scan_determinismE0ELb1ES3_N6thrust23THRUST_200600_302600_NS6detail15normal_iteratorINS9_10device_ptrIsEEEESE_SE_sNS9_4plusIsEE19head_flag_predicatesEE10hipError_tPvRmT2_T3_T4_T5_mT6_T7_P12ihipStream_tbENKUlT_T0_E_clISt17integral_constantIbLb1EESX_IbLb0EEEEDaST_SU_EUlST_E_NS1_11comp_targetILNS1_3genE10ELNS1_11target_archE1200ELNS1_3gpuE4ELNS1_3repE0EEENS1_30default_config_static_selectorELNS0_4arch9wavefront6targetE0EEEvT1_,"axG",@progbits,_ZN7rocprim17ROCPRIM_400000_NS6detail17trampoline_kernelINS0_14default_configENS1_27scan_by_key_config_selectorIssEEZZNS1_16scan_by_key_implILNS1_25lookback_scan_determinismE0ELb1ES3_N6thrust23THRUST_200600_302600_NS6detail15normal_iteratorINS9_10device_ptrIsEEEESE_SE_sNS9_4plusIsEE19head_flag_predicatesEE10hipError_tPvRmT2_T3_T4_T5_mT6_T7_P12ihipStream_tbENKUlT_T0_E_clISt17integral_constantIbLb1EESX_IbLb0EEEEDaST_SU_EUlST_E_NS1_11comp_targetILNS1_3genE10ELNS1_11target_archE1200ELNS1_3gpuE4ELNS1_3repE0EEENS1_30default_config_static_selectorELNS0_4arch9wavefront6targetE0EEEvT1_,comdat
.Lfunc_end881:
	.size	_ZN7rocprim17ROCPRIM_400000_NS6detail17trampoline_kernelINS0_14default_configENS1_27scan_by_key_config_selectorIssEEZZNS1_16scan_by_key_implILNS1_25lookback_scan_determinismE0ELb1ES3_N6thrust23THRUST_200600_302600_NS6detail15normal_iteratorINS9_10device_ptrIsEEEESE_SE_sNS9_4plusIsEE19head_flag_predicatesEE10hipError_tPvRmT2_T3_T4_T5_mT6_T7_P12ihipStream_tbENKUlT_T0_E_clISt17integral_constantIbLb1EESX_IbLb0EEEEDaST_SU_EUlST_E_NS1_11comp_targetILNS1_3genE10ELNS1_11target_archE1200ELNS1_3gpuE4ELNS1_3repE0EEENS1_30default_config_static_selectorELNS0_4arch9wavefront6targetE0EEEvT1_, .Lfunc_end881-_ZN7rocprim17ROCPRIM_400000_NS6detail17trampoline_kernelINS0_14default_configENS1_27scan_by_key_config_selectorIssEEZZNS1_16scan_by_key_implILNS1_25lookback_scan_determinismE0ELb1ES3_N6thrust23THRUST_200600_302600_NS6detail15normal_iteratorINS9_10device_ptrIsEEEESE_SE_sNS9_4plusIsEE19head_flag_predicatesEE10hipError_tPvRmT2_T3_T4_T5_mT6_T7_P12ihipStream_tbENKUlT_T0_E_clISt17integral_constantIbLb1EESX_IbLb0EEEEDaST_SU_EUlST_E_NS1_11comp_targetILNS1_3genE10ELNS1_11target_archE1200ELNS1_3gpuE4ELNS1_3repE0EEENS1_30default_config_static_selectorELNS0_4arch9wavefront6targetE0EEEvT1_
                                        ; -- End function
	.set _ZN7rocprim17ROCPRIM_400000_NS6detail17trampoline_kernelINS0_14default_configENS1_27scan_by_key_config_selectorIssEEZZNS1_16scan_by_key_implILNS1_25lookback_scan_determinismE0ELb1ES3_N6thrust23THRUST_200600_302600_NS6detail15normal_iteratorINS9_10device_ptrIsEEEESE_SE_sNS9_4plusIsEE19head_flag_predicatesEE10hipError_tPvRmT2_T3_T4_T5_mT6_T7_P12ihipStream_tbENKUlT_T0_E_clISt17integral_constantIbLb1EESX_IbLb0EEEEDaST_SU_EUlST_E_NS1_11comp_targetILNS1_3genE10ELNS1_11target_archE1200ELNS1_3gpuE4ELNS1_3repE0EEENS1_30default_config_static_selectorELNS0_4arch9wavefront6targetE0EEEvT1_.num_vgpr, 0
	.set _ZN7rocprim17ROCPRIM_400000_NS6detail17trampoline_kernelINS0_14default_configENS1_27scan_by_key_config_selectorIssEEZZNS1_16scan_by_key_implILNS1_25lookback_scan_determinismE0ELb1ES3_N6thrust23THRUST_200600_302600_NS6detail15normal_iteratorINS9_10device_ptrIsEEEESE_SE_sNS9_4plusIsEE19head_flag_predicatesEE10hipError_tPvRmT2_T3_T4_T5_mT6_T7_P12ihipStream_tbENKUlT_T0_E_clISt17integral_constantIbLb1EESX_IbLb0EEEEDaST_SU_EUlST_E_NS1_11comp_targetILNS1_3genE10ELNS1_11target_archE1200ELNS1_3gpuE4ELNS1_3repE0EEENS1_30default_config_static_selectorELNS0_4arch9wavefront6targetE0EEEvT1_.num_agpr, 0
	.set _ZN7rocprim17ROCPRIM_400000_NS6detail17trampoline_kernelINS0_14default_configENS1_27scan_by_key_config_selectorIssEEZZNS1_16scan_by_key_implILNS1_25lookback_scan_determinismE0ELb1ES3_N6thrust23THRUST_200600_302600_NS6detail15normal_iteratorINS9_10device_ptrIsEEEESE_SE_sNS9_4plusIsEE19head_flag_predicatesEE10hipError_tPvRmT2_T3_T4_T5_mT6_T7_P12ihipStream_tbENKUlT_T0_E_clISt17integral_constantIbLb1EESX_IbLb0EEEEDaST_SU_EUlST_E_NS1_11comp_targetILNS1_3genE10ELNS1_11target_archE1200ELNS1_3gpuE4ELNS1_3repE0EEENS1_30default_config_static_selectorELNS0_4arch9wavefront6targetE0EEEvT1_.numbered_sgpr, 0
	.set _ZN7rocprim17ROCPRIM_400000_NS6detail17trampoline_kernelINS0_14default_configENS1_27scan_by_key_config_selectorIssEEZZNS1_16scan_by_key_implILNS1_25lookback_scan_determinismE0ELb1ES3_N6thrust23THRUST_200600_302600_NS6detail15normal_iteratorINS9_10device_ptrIsEEEESE_SE_sNS9_4plusIsEE19head_flag_predicatesEE10hipError_tPvRmT2_T3_T4_T5_mT6_T7_P12ihipStream_tbENKUlT_T0_E_clISt17integral_constantIbLb1EESX_IbLb0EEEEDaST_SU_EUlST_E_NS1_11comp_targetILNS1_3genE10ELNS1_11target_archE1200ELNS1_3gpuE4ELNS1_3repE0EEENS1_30default_config_static_selectorELNS0_4arch9wavefront6targetE0EEEvT1_.num_named_barrier, 0
	.set _ZN7rocprim17ROCPRIM_400000_NS6detail17trampoline_kernelINS0_14default_configENS1_27scan_by_key_config_selectorIssEEZZNS1_16scan_by_key_implILNS1_25lookback_scan_determinismE0ELb1ES3_N6thrust23THRUST_200600_302600_NS6detail15normal_iteratorINS9_10device_ptrIsEEEESE_SE_sNS9_4plusIsEE19head_flag_predicatesEE10hipError_tPvRmT2_T3_T4_T5_mT6_T7_P12ihipStream_tbENKUlT_T0_E_clISt17integral_constantIbLb1EESX_IbLb0EEEEDaST_SU_EUlST_E_NS1_11comp_targetILNS1_3genE10ELNS1_11target_archE1200ELNS1_3gpuE4ELNS1_3repE0EEENS1_30default_config_static_selectorELNS0_4arch9wavefront6targetE0EEEvT1_.private_seg_size, 0
	.set _ZN7rocprim17ROCPRIM_400000_NS6detail17trampoline_kernelINS0_14default_configENS1_27scan_by_key_config_selectorIssEEZZNS1_16scan_by_key_implILNS1_25lookback_scan_determinismE0ELb1ES3_N6thrust23THRUST_200600_302600_NS6detail15normal_iteratorINS9_10device_ptrIsEEEESE_SE_sNS9_4plusIsEE19head_flag_predicatesEE10hipError_tPvRmT2_T3_T4_T5_mT6_T7_P12ihipStream_tbENKUlT_T0_E_clISt17integral_constantIbLb1EESX_IbLb0EEEEDaST_SU_EUlST_E_NS1_11comp_targetILNS1_3genE10ELNS1_11target_archE1200ELNS1_3gpuE4ELNS1_3repE0EEENS1_30default_config_static_selectorELNS0_4arch9wavefront6targetE0EEEvT1_.uses_vcc, 0
	.set _ZN7rocprim17ROCPRIM_400000_NS6detail17trampoline_kernelINS0_14default_configENS1_27scan_by_key_config_selectorIssEEZZNS1_16scan_by_key_implILNS1_25lookback_scan_determinismE0ELb1ES3_N6thrust23THRUST_200600_302600_NS6detail15normal_iteratorINS9_10device_ptrIsEEEESE_SE_sNS9_4plusIsEE19head_flag_predicatesEE10hipError_tPvRmT2_T3_T4_T5_mT6_T7_P12ihipStream_tbENKUlT_T0_E_clISt17integral_constantIbLb1EESX_IbLb0EEEEDaST_SU_EUlST_E_NS1_11comp_targetILNS1_3genE10ELNS1_11target_archE1200ELNS1_3gpuE4ELNS1_3repE0EEENS1_30default_config_static_selectorELNS0_4arch9wavefront6targetE0EEEvT1_.uses_flat_scratch, 0
	.set _ZN7rocprim17ROCPRIM_400000_NS6detail17trampoline_kernelINS0_14default_configENS1_27scan_by_key_config_selectorIssEEZZNS1_16scan_by_key_implILNS1_25lookback_scan_determinismE0ELb1ES3_N6thrust23THRUST_200600_302600_NS6detail15normal_iteratorINS9_10device_ptrIsEEEESE_SE_sNS9_4plusIsEE19head_flag_predicatesEE10hipError_tPvRmT2_T3_T4_T5_mT6_T7_P12ihipStream_tbENKUlT_T0_E_clISt17integral_constantIbLb1EESX_IbLb0EEEEDaST_SU_EUlST_E_NS1_11comp_targetILNS1_3genE10ELNS1_11target_archE1200ELNS1_3gpuE4ELNS1_3repE0EEENS1_30default_config_static_selectorELNS0_4arch9wavefront6targetE0EEEvT1_.has_dyn_sized_stack, 0
	.set _ZN7rocprim17ROCPRIM_400000_NS6detail17trampoline_kernelINS0_14default_configENS1_27scan_by_key_config_selectorIssEEZZNS1_16scan_by_key_implILNS1_25lookback_scan_determinismE0ELb1ES3_N6thrust23THRUST_200600_302600_NS6detail15normal_iteratorINS9_10device_ptrIsEEEESE_SE_sNS9_4plusIsEE19head_flag_predicatesEE10hipError_tPvRmT2_T3_T4_T5_mT6_T7_P12ihipStream_tbENKUlT_T0_E_clISt17integral_constantIbLb1EESX_IbLb0EEEEDaST_SU_EUlST_E_NS1_11comp_targetILNS1_3genE10ELNS1_11target_archE1200ELNS1_3gpuE4ELNS1_3repE0EEENS1_30default_config_static_selectorELNS0_4arch9wavefront6targetE0EEEvT1_.has_recursion, 0
	.set _ZN7rocprim17ROCPRIM_400000_NS6detail17trampoline_kernelINS0_14default_configENS1_27scan_by_key_config_selectorIssEEZZNS1_16scan_by_key_implILNS1_25lookback_scan_determinismE0ELb1ES3_N6thrust23THRUST_200600_302600_NS6detail15normal_iteratorINS9_10device_ptrIsEEEESE_SE_sNS9_4plusIsEE19head_flag_predicatesEE10hipError_tPvRmT2_T3_T4_T5_mT6_T7_P12ihipStream_tbENKUlT_T0_E_clISt17integral_constantIbLb1EESX_IbLb0EEEEDaST_SU_EUlST_E_NS1_11comp_targetILNS1_3genE10ELNS1_11target_archE1200ELNS1_3gpuE4ELNS1_3repE0EEENS1_30default_config_static_selectorELNS0_4arch9wavefront6targetE0EEEvT1_.has_indirect_call, 0
	.section	.AMDGPU.csdata,"",@progbits
; Kernel info:
; codeLenInByte = 0
; TotalNumSgprs: 0
; NumVgprs: 0
; ScratchSize: 0
; MemoryBound: 0
; FloatMode: 240
; IeeeMode: 1
; LDSByteSize: 0 bytes/workgroup (compile time only)
; SGPRBlocks: 0
; VGPRBlocks: 0
; NumSGPRsForWavesPerEU: 1
; NumVGPRsForWavesPerEU: 1
; Occupancy: 16
; WaveLimiterHint : 0
; COMPUTE_PGM_RSRC2:SCRATCH_EN: 0
; COMPUTE_PGM_RSRC2:USER_SGPR: 6
; COMPUTE_PGM_RSRC2:TRAP_HANDLER: 0
; COMPUTE_PGM_RSRC2:TGID_X_EN: 1
; COMPUTE_PGM_RSRC2:TGID_Y_EN: 0
; COMPUTE_PGM_RSRC2:TGID_Z_EN: 0
; COMPUTE_PGM_RSRC2:TIDIG_COMP_CNT: 0
	.section	.text._ZN7rocprim17ROCPRIM_400000_NS6detail17trampoline_kernelINS0_14default_configENS1_27scan_by_key_config_selectorIssEEZZNS1_16scan_by_key_implILNS1_25lookback_scan_determinismE0ELb1ES3_N6thrust23THRUST_200600_302600_NS6detail15normal_iteratorINS9_10device_ptrIsEEEESE_SE_sNS9_4plusIsEE19head_flag_predicatesEE10hipError_tPvRmT2_T3_T4_T5_mT6_T7_P12ihipStream_tbENKUlT_T0_E_clISt17integral_constantIbLb1EESX_IbLb0EEEEDaST_SU_EUlST_E_NS1_11comp_targetILNS1_3genE9ELNS1_11target_archE1100ELNS1_3gpuE3ELNS1_3repE0EEENS1_30default_config_static_selectorELNS0_4arch9wavefront6targetE0EEEvT1_,"axG",@progbits,_ZN7rocprim17ROCPRIM_400000_NS6detail17trampoline_kernelINS0_14default_configENS1_27scan_by_key_config_selectorIssEEZZNS1_16scan_by_key_implILNS1_25lookback_scan_determinismE0ELb1ES3_N6thrust23THRUST_200600_302600_NS6detail15normal_iteratorINS9_10device_ptrIsEEEESE_SE_sNS9_4plusIsEE19head_flag_predicatesEE10hipError_tPvRmT2_T3_T4_T5_mT6_T7_P12ihipStream_tbENKUlT_T0_E_clISt17integral_constantIbLb1EESX_IbLb0EEEEDaST_SU_EUlST_E_NS1_11comp_targetILNS1_3genE9ELNS1_11target_archE1100ELNS1_3gpuE3ELNS1_3repE0EEENS1_30default_config_static_selectorELNS0_4arch9wavefront6targetE0EEEvT1_,comdat
	.protected	_ZN7rocprim17ROCPRIM_400000_NS6detail17trampoline_kernelINS0_14default_configENS1_27scan_by_key_config_selectorIssEEZZNS1_16scan_by_key_implILNS1_25lookback_scan_determinismE0ELb1ES3_N6thrust23THRUST_200600_302600_NS6detail15normal_iteratorINS9_10device_ptrIsEEEESE_SE_sNS9_4plusIsEE19head_flag_predicatesEE10hipError_tPvRmT2_T3_T4_T5_mT6_T7_P12ihipStream_tbENKUlT_T0_E_clISt17integral_constantIbLb1EESX_IbLb0EEEEDaST_SU_EUlST_E_NS1_11comp_targetILNS1_3genE9ELNS1_11target_archE1100ELNS1_3gpuE3ELNS1_3repE0EEENS1_30default_config_static_selectorELNS0_4arch9wavefront6targetE0EEEvT1_ ; -- Begin function _ZN7rocprim17ROCPRIM_400000_NS6detail17trampoline_kernelINS0_14default_configENS1_27scan_by_key_config_selectorIssEEZZNS1_16scan_by_key_implILNS1_25lookback_scan_determinismE0ELb1ES3_N6thrust23THRUST_200600_302600_NS6detail15normal_iteratorINS9_10device_ptrIsEEEESE_SE_sNS9_4plusIsEE19head_flag_predicatesEE10hipError_tPvRmT2_T3_T4_T5_mT6_T7_P12ihipStream_tbENKUlT_T0_E_clISt17integral_constantIbLb1EESX_IbLb0EEEEDaST_SU_EUlST_E_NS1_11comp_targetILNS1_3genE9ELNS1_11target_archE1100ELNS1_3gpuE3ELNS1_3repE0EEENS1_30default_config_static_selectorELNS0_4arch9wavefront6targetE0EEEvT1_
	.globl	_ZN7rocprim17ROCPRIM_400000_NS6detail17trampoline_kernelINS0_14default_configENS1_27scan_by_key_config_selectorIssEEZZNS1_16scan_by_key_implILNS1_25lookback_scan_determinismE0ELb1ES3_N6thrust23THRUST_200600_302600_NS6detail15normal_iteratorINS9_10device_ptrIsEEEESE_SE_sNS9_4plusIsEE19head_flag_predicatesEE10hipError_tPvRmT2_T3_T4_T5_mT6_T7_P12ihipStream_tbENKUlT_T0_E_clISt17integral_constantIbLb1EESX_IbLb0EEEEDaST_SU_EUlST_E_NS1_11comp_targetILNS1_3genE9ELNS1_11target_archE1100ELNS1_3gpuE3ELNS1_3repE0EEENS1_30default_config_static_selectorELNS0_4arch9wavefront6targetE0EEEvT1_
	.p2align	8
	.type	_ZN7rocprim17ROCPRIM_400000_NS6detail17trampoline_kernelINS0_14default_configENS1_27scan_by_key_config_selectorIssEEZZNS1_16scan_by_key_implILNS1_25lookback_scan_determinismE0ELb1ES3_N6thrust23THRUST_200600_302600_NS6detail15normal_iteratorINS9_10device_ptrIsEEEESE_SE_sNS9_4plusIsEE19head_flag_predicatesEE10hipError_tPvRmT2_T3_T4_T5_mT6_T7_P12ihipStream_tbENKUlT_T0_E_clISt17integral_constantIbLb1EESX_IbLb0EEEEDaST_SU_EUlST_E_NS1_11comp_targetILNS1_3genE9ELNS1_11target_archE1100ELNS1_3gpuE3ELNS1_3repE0EEENS1_30default_config_static_selectorELNS0_4arch9wavefront6targetE0EEEvT1_,@function
_ZN7rocprim17ROCPRIM_400000_NS6detail17trampoline_kernelINS0_14default_configENS1_27scan_by_key_config_selectorIssEEZZNS1_16scan_by_key_implILNS1_25lookback_scan_determinismE0ELb1ES3_N6thrust23THRUST_200600_302600_NS6detail15normal_iteratorINS9_10device_ptrIsEEEESE_SE_sNS9_4plusIsEE19head_flag_predicatesEE10hipError_tPvRmT2_T3_T4_T5_mT6_T7_P12ihipStream_tbENKUlT_T0_E_clISt17integral_constantIbLb1EESX_IbLb0EEEEDaST_SU_EUlST_E_NS1_11comp_targetILNS1_3genE9ELNS1_11target_archE1100ELNS1_3gpuE3ELNS1_3repE0EEENS1_30default_config_static_selectorELNS0_4arch9wavefront6targetE0EEEvT1_: ; @_ZN7rocprim17ROCPRIM_400000_NS6detail17trampoline_kernelINS0_14default_configENS1_27scan_by_key_config_selectorIssEEZZNS1_16scan_by_key_implILNS1_25lookback_scan_determinismE0ELb1ES3_N6thrust23THRUST_200600_302600_NS6detail15normal_iteratorINS9_10device_ptrIsEEEESE_SE_sNS9_4plusIsEE19head_flag_predicatesEE10hipError_tPvRmT2_T3_T4_T5_mT6_T7_P12ihipStream_tbENKUlT_T0_E_clISt17integral_constantIbLb1EESX_IbLb0EEEEDaST_SU_EUlST_E_NS1_11comp_targetILNS1_3genE9ELNS1_11target_archE1100ELNS1_3gpuE3ELNS1_3repE0EEENS1_30default_config_static_selectorELNS0_4arch9wavefront6targetE0EEEvT1_
; %bb.0:
	.section	.rodata,"a",@progbits
	.p2align	6, 0x0
	.amdhsa_kernel _ZN7rocprim17ROCPRIM_400000_NS6detail17trampoline_kernelINS0_14default_configENS1_27scan_by_key_config_selectorIssEEZZNS1_16scan_by_key_implILNS1_25lookback_scan_determinismE0ELb1ES3_N6thrust23THRUST_200600_302600_NS6detail15normal_iteratorINS9_10device_ptrIsEEEESE_SE_sNS9_4plusIsEE19head_flag_predicatesEE10hipError_tPvRmT2_T3_T4_T5_mT6_T7_P12ihipStream_tbENKUlT_T0_E_clISt17integral_constantIbLb1EESX_IbLb0EEEEDaST_SU_EUlST_E_NS1_11comp_targetILNS1_3genE9ELNS1_11target_archE1100ELNS1_3gpuE3ELNS1_3repE0EEENS1_30default_config_static_selectorELNS0_4arch9wavefront6targetE0EEEvT1_
		.amdhsa_group_segment_fixed_size 0
		.amdhsa_private_segment_fixed_size 0
		.amdhsa_kernarg_size 112
		.amdhsa_user_sgpr_count 6
		.amdhsa_user_sgpr_private_segment_buffer 1
		.amdhsa_user_sgpr_dispatch_ptr 0
		.amdhsa_user_sgpr_queue_ptr 0
		.amdhsa_user_sgpr_kernarg_segment_ptr 1
		.amdhsa_user_sgpr_dispatch_id 0
		.amdhsa_user_sgpr_flat_scratch_init 0
		.amdhsa_user_sgpr_private_segment_size 0
		.amdhsa_wavefront_size32 1
		.amdhsa_uses_dynamic_stack 0
		.amdhsa_system_sgpr_private_segment_wavefront_offset 0
		.amdhsa_system_sgpr_workgroup_id_x 1
		.amdhsa_system_sgpr_workgroup_id_y 0
		.amdhsa_system_sgpr_workgroup_id_z 0
		.amdhsa_system_sgpr_workgroup_info 0
		.amdhsa_system_vgpr_workitem_id 0
		.amdhsa_next_free_vgpr 1
		.amdhsa_next_free_sgpr 1
		.amdhsa_reserve_vcc 0
		.amdhsa_reserve_flat_scratch 0
		.amdhsa_float_round_mode_32 0
		.amdhsa_float_round_mode_16_64 0
		.amdhsa_float_denorm_mode_32 3
		.amdhsa_float_denorm_mode_16_64 3
		.amdhsa_dx10_clamp 1
		.amdhsa_ieee_mode 1
		.amdhsa_fp16_overflow 0
		.amdhsa_workgroup_processor_mode 1
		.amdhsa_memory_ordered 1
		.amdhsa_forward_progress 1
		.amdhsa_shared_vgpr_count 0
		.amdhsa_exception_fp_ieee_invalid_op 0
		.amdhsa_exception_fp_denorm_src 0
		.amdhsa_exception_fp_ieee_div_zero 0
		.amdhsa_exception_fp_ieee_overflow 0
		.amdhsa_exception_fp_ieee_underflow 0
		.amdhsa_exception_fp_ieee_inexact 0
		.amdhsa_exception_int_div_zero 0
	.end_amdhsa_kernel
	.section	.text._ZN7rocprim17ROCPRIM_400000_NS6detail17trampoline_kernelINS0_14default_configENS1_27scan_by_key_config_selectorIssEEZZNS1_16scan_by_key_implILNS1_25lookback_scan_determinismE0ELb1ES3_N6thrust23THRUST_200600_302600_NS6detail15normal_iteratorINS9_10device_ptrIsEEEESE_SE_sNS9_4plusIsEE19head_flag_predicatesEE10hipError_tPvRmT2_T3_T4_T5_mT6_T7_P12ihipStream_tbENKUlT_T0_E_clISt17integral_constantIbLb1EESX_IbLb0EEEEDaST_SU_EUlST_E_NS1_11comp_targetILNS1_3genE9ELNS1_11target_archE1100ELNS1_3gpuE3ELNS1_3repE0EEENS1_30default_config_static_selectorELNS0_4arch9wavefront6targetE0EEEvT1_,"axG",@progbits,_ZN7rocprim17ROCPRIM_400000_NS6detail17trampoline_kernelINS0_14default_configENS1_27scan_by_key_config_selectorIssEEZZNS1_16scan_by_key_implILNS1_25lookback_scan_determinismE0ELb1ES3_N6thrust23THRUST_200600_302600_NS6detail15normal_iteratorINS9_10device_ptrIsEEEESE_SE_sNS9_4plusIsEE19head_flag_predicatesEE10hipError_tPvRmT2_T3_T4_T5_mT6_T7_P12ihipStream_tbENKUlT_T0_E_clISt17integral_constantIbLb1EESX_IbLb0EEEEDaST_SU_EUlST_E_NS1_11comp_targetILNS1_3genE9ELNS1_11target_archE1100ELNS1_3gpuE3ELNS1_3repE0EEENS1_30default_config_static_selectorELNS0_4arch9wavefront6targetE0EEEvT1_,comdat
.Lfunc_end882:
	.size	_ZN7rocprim17ROCPRIM_400000_NS6detail17trampoline_kernelINS0_14default_configENS1_27scan_by_key_config_selectorIssEEZZNS1_16scan_by_key_implILNS1_25lookback_scan_determinismE0ELb1ES3_N6thrust23THRUST_200600_302600_NS6detail15normal_iteratorINS9_10device_ptrIsEEEESE_SE_sNS9_4plusIsEE19head_flag_predicatesEE10hipError_tPvRmT2_T3_T4_T5_mT6_T7_P12ihipStream_tbENKUlT_T0_E_clISt17integral_constantIbLb1EESX_IbLb0EEEEDaST_SU_EUlST_E_NS1_11comp_targetILNS1_3genE9ELNS1_11target_archE1100ELNS1_3gpuE3ELNS1_3repE0EEENS1_30default_config_static_selectorELNS0_4arch9wavefront6targetE0EEEvT1_, .Lfunc_end882-_ZN7rocprim17ROCPRIM_400000_NS6detail17trampoline_kernelINS0_14default_configENS1_27scan_by_key_config_selectorIssEEZZNS1_16scan_by_key_implILNS1_25lookback_scan_determinismE0ELb1ES3_N6thrust23THRUST_200600_302600_NS6detail15normal_iteratorINS9_10device_ptrIsEEEESE_SE_sNS9_4plusIsEE19head_flag_predicatesEE10hipError_tPvRmT2_T3_T4_T5_mT6_T7_P12ihipStream_tbENKUlT_T0_E_clISt17integral_constantIbLb1EESX_IbLb0EEEEDaST_SU_EUlST_E_NS1_11comp_targetILNS1_3genE9ELNS1_11target_archE1100ELNS1_3gpuE3ELNS1_3repE0EEENS1_30default_config_static_selectorELNS0_4arch9wavefront6targetE0EEEvT1_
                                        ; -- End function
	.set _ZN7rocprim17ROCPRIM_400000_NS6detail17trampoline_kernelINS0_14default_configENS1_27scan_by_key_config_selectorIssEEZZNS1_16scan_by_key_implILNS1_25lookback_scan_determinismE0ELb1ES3_N6thrust23THRUST_200600_302600_NS6detail15normal_iteratorINS9_10device_ptrIsEEEESE_SE_sNS9_4plusIsEE19head_flag_predicatesEE10hipError_tPvRmT2_T3_T4_T5_mT6_T7_P12ihipStream_tbENKUlT_T0_E_clISt17integral_constantIbLb1EESX_IbLb0EEEEDaST_SU_EUlST_E_NS1_11comp_targetILNS1_3genE9ELNS1_11target_archE1100ELNS1_3gpuE3ELNS1_3repE0EEENS1_30default_config_static_selectorELNS0_4arch9wavefront6targetE0EEEvT1_.num_vgpr, 0
	.set _ZN7rocprim17ROCPRIM_400000_NS6detail17trampoline_kernelINS0_14default_configENS1_27scan_by_key_config_selectorIssEEZZNS1_16scan_by_key_implILNS1_25lookback_scan_determinismE0ELb1ES3_N6thrust23THRUST_200600_302600_NS6detail15normal_iteratorINS9_10device_ptrIsEEEESE_SE_sNS9_4plusIsEE19head_flag_predicatesEE10hipError_tPvRmT2_T3_T4_T5_mT6_T7_P12ihipStream_tbENKUlT_T0_E_clISt17integral_constantIbLb1EESX_IbLb0EEEEDaST_SU_EUlST_E_NS1_11comp_targetILNS1_3genE9ELNS1_11target_archE1100ELNS1_3gpuE3ELNS1_3repE0EEENS1_30default_config_static_selectorELNS0_4arch9wavefront6targetE0EEEvT1_.num_agpr, 0
	.set _ZN7rocprim17ROCPRIM_400000_NS6detail17trampoline_kernelINS0_14default_configENS1_27scan_by_key_config_selectorIssEEZZNS1_16scan_by_key_implILNS1_25lookback_scan_determinismE0ELb1ES3_N6thrust23THRUST_200600_302600_NS6detail15normal_iteratorINS9_10device_ptrIsEEEESE_SE_sNS9_4plusIsEE19head_flag_predicatesEE10hipError_tPvRmT2_T3_T4_T5_mT6_T7_P12ihipStream_tbENKUlT_T0_E_clISt17integral_constantIbLb1EESX_IbLb0EEEEDaST_SU_EUlST_E_NS1_11comp_targetILNS1_3genE9ELNS1_11target_archE1100ELNS1_3gpuE3ELNS1_3repE0EEENS1_30default_config_static_selectorELNS0_4arch9wavefront6targetE0EEEvT1_.numbered_sgpr, 0
	.set _ZN7rocprim17ROCPRIM_400000_NS6detail17trampoline_kernelINS0_14default_configENS1_27scan_by_key_config_selectorIssEEZZNS1_16scan_by_key_implILNS1_25lookback_scan_determinismE0ELb1ES3_N6thrust23THRUST_200600_302600_NS6detail15normal_iteratorINS9_10device_ptrIsEEEESE_SE_sNS9_4plusIsEE19head_flag_predicatesEE10hipError_tPvRmT2_T3_T4_T5_mT6_T7_P12ihipStream_tbENKUlT_T0_E_clISt17integral_constantIbLb1EESX_IbLb0EEEEDaST_SU_EUlST_E_NS1_11comp_targetILNS1_3genE9ELNS1_11target_archE1100ELNS1_3gpuE3ELNS1_3repE0EEENS1_30default_config_static_selectorELNS0_4arch9wavefront6targetE0EEEvT1_.num_named_barrier, 0
	.set _ZN7rocprim17ROCPRIM_400000_NS6detail17trampoline_kernelINS0_14default_configENS1_27scan_by_key_config_selectorIssEEZZNS1_16scan_by_key_implILNS1_25lookback_scan_determinismE0ELb1ES3_N6thrust23THRUST_200600_302600_NS6detail15normal_iteratorINS9_10device_ptrIsEEEESE_SE_sNS9_4plusIsEE19head_flag_predicatesEE10hipError_tPvRmT2_T3_T4_T5_mT6_T7_P12ihipStream_tbENKUlT_T0_E_clISt17integral_constantIbLb1EESX_IbLb0EEEEDaST_SU_EUlST_E_NS1_11comp_targetILNS1_3genE9ELNS1_11target_archE1100ELNS1_3gpuE3ELNS1_3repE0EEENS1_30default_config_static_selectorELNS0_4arch9wavefront6targetE0EEEvT1_.private_seg_size, 0
	.set _ZN7rocprim17ROCPRIM_400000_NS6detail17trampoline_kernelINS0_14default_configENS1_27scan_by_key_config_selectorIssEEZZNS1_16scan_by_key_implILNS1_25lookback_scan_determinismE0ELb1ES3_N6thrust23THRUST_200600_302600_NS6detail15normal_iteratorINS9_10device_ptrIsEEEESE_SE_sNS9_4plusIsEE19head_flag_predicatesEE10hipError_tPvRmT2_T3_T4_T5_mT6_T7_P12ihipStream_tbENKUlT_T0_E_clISt17integral_constantIbLb1EESX_IbLb0EEEEDaST_SU_EUlST_E_NS1_11comp_targetILNS1_3genE9ELNS1_11target_archE1100ELNS1_3gpuE3ELNS1_3repE0EEENS1_30default_config_static_selectorELNS0_4arch9wavefront6targetE0EEEvT1_.uses_vcc, 0
	.set _ZN7rocprim17ROCPRIM_400000_NS6detail17trampoline_kernelINS0_14default_configENS1_27scan_by_key_config_selectorIssEEZZNS1_16scan_by_key_implILNS1_25lookback_scan_determinismE0ELb1ES3_N6thrust23THRUST_200600_302600_NS6detail15normal_iteratorINS9_10device_ptrIsEEEESE_SE_sNS9_4plusIsEE19head_flag_predicatesEE10hipError_tPvRmT2_T3_T4_T5_mT6_T7_P12ihipStream_tbENKUlT_T0_E_clISt17integral_constantIbLb1EESX_IbLb0EEEEDaST_SU_EUlST_E_NS1_11comp_targetILNS1_3genE9ELNS1_11target_archE1100ELNS1_3gpuE3ELNS1_3repE0EEENS1_30default_config_static_selectorELNS0_4arch9wavefront6targetE0EEEvT1_.uses_flat_scratch, 0
	.set _ZN7rocprim17ROCPRIM_400000_NS6detail17trampoline_kernelINS0_14default_configENS1_27scan_by_key_config_selectorIssEEZZNS1_16scan_by_key_implILNS1_25lookback_scan_determinismE0ELb1ES3_N6thrust23THRUST_200600_302600_NS6detail15normal_iteratorINS9_10device_ptrIsEEEESE_SE_sNS9_4plusIsEE19head_flag_predicatesEE10hipError_tPvRmT2_T3_T4_T5_mT6_T7_P12ihipStream_tbENKUlT_T0_E_clISt17integral_constantIbLb1EESX_IbLb0EEEEDaST_SU_EUlST_E_NS1_11comp_targetILNS1_3genE9ELNS1_11target_archE1100ELNS1_3gpuE3ELNS1_3repE0EEENS1_30default_config_static_selectorELNS0_4arch9wavefront6targetE0EEEvT1_.has_dyn_sized_stack, 0
	.set _ZN7rocprim17ROCPRIM_400000_NS6detail17trampoline_kernelINS0_14default_configENS1_27scan_by_key_config_selectorIssEEZZNS1_16scan_by_key_implILNS1_25lookback_scan_determinismE0ELb1ES3_N6thrust23THRUST_200600_302600_NS6detail15normal_iteratorINS9_10device_ptrIsEEEESE_SE_sNS9_4plusIsEE19head_flag_predicatesEE10hipError_tPvRmT2_T3_T4_T5_mT6_T7_P12ihipStream_tbENKUlT_T0_E_clISt17integral_constantIbLb1EESX_IbLb0EEEEDaST_SU_EUlST_E_NS1_11comp_targetILNS1_3genE9ELNS1_11target_archE1100ELNS1_3gpuE3ELNS1_3repE0EEENS1_30default_config_static_selectorELNS0_4arch9wavefront6targetE0EEEvT1_.has_recursion, 0
	.set _ZN7rocprim17ROCPRIM_400000_NS6detail17trampoline_kernelINS0_14default_configENS1_27scan_by_key_config_selectorIssEEZZNS1_16scan_by_key_implILNS1_25lookback_scan_determinismE0ELb1ES3_N6thrust23THRUST_200600_302600_NS6detail15normal_iteratorINS9_10device_ptrIsEEEESE_SE_sNS9_4plusIsEE19head_flag_predicatesEE10hipError_tPvRmT2_T3_T4_T5_mT6_T7_P12ihipStream_tbENKUlT_T0_E_clISt17integral_constantIbLb1EESX_IbLb0EEEEDaST_SU_EUlST_E_NS1_11comp_targetILNS1_3genE9ELNS1_11target_archE1100ELNS1_3gpuE3ELNS1_3repE0EEENS1_30default_config_static_selectorELNS0_4arch9wavefront6targetE0EEEvT1_.has_indirect_call, 0
	.section	.AMDGPU.csdata,"",@progbits
; Kernel info:
; codeLenInByte = 0
; TotalNumSgprs: 0
; NumVgprs: 0
; ScratchSize: 0
; MemoryBound: 0
; FloatMode: 240
; IeeeMode: 1
; LDSByteSize: 0 bytes/workgroup (compile time only)
; SGPRBlocks: 0
; VGPRBlocks: 0
; NumSGPRsForWavesPerEU: 1
; NumVGPRsForWavesPerEU: 1
; Occupancy: 16
; WaveLimiterHint : 0
; COMPUTE_PGM_RSRC2:SCRATCH_EN: 0
; COMPUTE_PGM_RSRC2:USER_SGPR: 6
; COMPUTE_PGM_RSRC2:TRAP_HANDLER: 0
; COMPUTE_PGM_RSRC2:TGID_X_EN: 1
; COMPUTE_PGM_RSRC2:TGID_Y_EN: 0
; COMPUTE_PGM_RSRC2:TGID_Z_EN: 0
; COMPUTE_PGM_RSRC2:TIDIG_COMP_CNT: 0
	.section	.text._ZN7rocprim17ROCPRIM_400000_NS6detail17trampoline_kernelINS0_14default_configENS1_27scan_by_key_config_selectorIssEEZZNS1_16scan_by_key_implILNS1_25lookback_scan_determinismE0ELb1ES3_N6thrust23THRUST_200600_302600_NS6detail15normal_iteratorINS9_10device_ptrIsEEEESE_SE_sNS9_4plusIsEE19head_flag_predicatesEE10hipError_tPvRmT2_T3_T4_T5_mT6_T7_P12ihipStream_tbENKUlT_T0_E_clISt17integral_constantIbLb1EESX_IbLb0EEEEDaST_SU_EUlST_E_NS1_11comp_targetILNS1_3genE8ELNS1_11target_archE1030ELNS1_3gpuE2ELNS1_3repE0EEENS1_30default_config_static_selectorELNS0_4arch9wavefront6targetE0EEEvT1_,"axG",@progbits,_ZN7rocprim17ROCPRIM_400000_NS6detail17trampoline_kernelINS0_14default_configENS1_27scan_by_key_config_selectorIssEEZZNS1_16scan_by_key_implILNS1_25lookback_scan_determinismE0ELb1ES3_N6thrust23THRUST_200600_302600_NS6detail15normal_iteratorINS9_10device_ptrIsEEEESE_SE_sNS9_4plusIsEE19head_flag_predicatesEE10hipError_tPvRmT2_T3_T4_T5_mT6_T7_P12ihipStream_tbENKUlT_T0_E_clISt17integral_constantIbLb1EESX_IbLb0EEEEDaST_SU_EUlST_E_NS1_11comp_targetILNS1_3genE8ELNS1_11target_archE1030ELNS1_3gpuE2ELNS1_3repE0EEENS1_30default_config_static_selectorELNS0_4arch9wavefront6targetE0EEEvT1_,comdat
	.protected	_ZN7rocprim17ROCPRIM_400000_NS6detail17trampoline_kernelINS0_14default_configENS1_27scan_by_key_config_selectorIssEEZZNS1_16scan_by_key_implILNS1_25lookback_scan_determinismE0ELb1ES3_N6thrust23THRUST_200600_302600_NS6detail15normal_iteratorINS9_10device_ptrIsEEEESE_SE_sNS9_4plusIsEE19head_flag_predicatesEE10hipError_tPvRmT2_T3_T4_T5_mT6_T7_P12ihipStream_tbENKUlT_T0_E_clISt17integral_constantIbLb1EESX_IbLb0EEEEDaST_SU_EUlST_E_NS1_11comp_targetILNS1_3genE8ELNS1_11target_archE1030ELNS1_3gpuE2ELNS1_3repE0EEENS1_30default_config_static_selectorELNS0_4arch9wavefront6targetE0EEEvT1_ ; -- Begin function _ZN7rocprim17ROCPRIM_400000_NS6detail17trampoline_kernelINS0_14default_configENS1_27scan_by_key_config_selectorIssEEZZNS1_16scan_by_key_implILNS1_25lookback_scan_determinismE0ELb1ES3_N6thrust23THRUST_200600_302600_NS6detail15normal_iteratorINS9_10device_ptrIsEEEESE_SE_sNS9_4plusIsEE19head_flag_predicatesEE10hipError_tPvRmT2_T3_T4_T5_mT6_T7_P12ihipStream_tbENKUlT_T0_E_clISt17integral_constantIbLb1EESX_IbLb0EEEEDaST_SU_EUlST_E_NS1_11comp_targetILNS1_3genE8ELNS1_11target_archE1030ELNS1_3gpuE2ELNS1_3repE0EEENS1_30default_config_static_selectorELNS0_4arch9wavefront6targetE0EEEvT1_
	.globl	_ZN7rocprim17ROCPRIM_400000_NS6detail17trampoline_kernelINS0_14default_configENS1_27scan_by_key_config_selectorIssEEZZNS1_16scan_by_key_implILNS1_25lookback_scan_determinismE0ELb1ES3_N6thrust23THRUST_200600_302600_NS6detail15normal_iteratorINS9_10device_ptrIsEEEESE_SE_sNS9_4plusIsEE19head_flag_predicatesEE10hipError_tPvRmT2_T3_T4_T5_mT6_T7_P12ihipStream_tbENKUlT_T0_E_clISt17integral_constantIbLb1EESX_IbLb0EEEEDaST_SU_EUlST_E_NS1_11comp_targetILNS1_3genE8ELNS1_11target_archE1030ELNS1_3gpuE2ELNS1_3repE0EEENS1_30default_config_static_selectorELNS0_4arch9wavefront6targetE0EEEvT1_
	.p2align	8
	.type	_ZN7rocprim17ROCPRIM_400000_NS6detail17trampoline_kernelINS0_14default_configENS1_27scan_by_key_config_selectorIssEEZZNS1_16scan_by_key_implILNS1_25lookback_scan_determinismE0ELb1ES3_N6thrust23THRUST_200600_302600_NS6detail15normal_iteratorINS9_10device_ptrIsEEEESE_SE_sNS9_4plusIsEE19head_flag_predicatesEE10hipError_tPvRmT2_T3_T4_T5_mT6_T7_P12ihipStream_tbENKUlT_T0_E_clISt17integral_constantIbLb1EESX_IbLb0EEEEDaST_SU_EUlST_E_NS1_11comp_targetILNS1_3genE8ELNS1_11target_archE1030ELNS1_3gpuE2ELNS1_3repE0EEENS1_30default_config_static_selectorELNS0_4arch9wavefront6targetE0EEEvT1_,@function
_ZN7rocprim17ROCPRIM_400000_NS6detail17trampoline_kernelINS0_14default_configENS1_27scan_by_key_config_selectorIssEEZZNS1_16scan_by_key_implILNS1_25lookback_scan_determinismE0ELb1ES3_N6thrust23THRUST_200600_302600_NS6detail15normal_iteratorINS9_10device_ptrIsEEEESE_SE_sNS9_4plusIsEE19head_flag_predicatesEE10hipError_tPvRmT2_T3_T4_T5_mT6_T7_P12ihipStream_tbENKUlT_T0_E_clISt17integral_constantIbLb1EESX_IbLb0EEEEDaST_SU_EUlST_E_NS1_11comp_targetILNS1_3genE8ELNS1_11target_archE1030ELNS1_3gpuE2ELNS1_3repE0EEENS1_30default_config_static_selectorELNS0_4arch9wavefront6targetE0EEEvT1_: ; @_ZN7rocprim17ROCPRIM_400000_NS6detail17trampoline_kernelINS0_14default_configENS1_27scan_by_key_config_selectorIssEEZZNS1_16scan_by_key_implILNS1_25lookback_scan_determinismE0ELb1ES3_N6thrust23THRUST_200600_302600_NS6detail15normal_iteratorINS9_10device_ptrIsEEEESE_SE_sNS9_4plusIsEE19head_flag_predicatesEE10hipError_tPvRmT2_T3_T4_T5_mT6_T7_P12ihipStream_tbENKUlT_T0_E_clISt17integral_constantIbLb1EESX_IbLb0EEEEDaST_SU_EUlST_E_NS1_11comp_targetILNS1_3genE8ELNS1_11target_archE1030ELNS1_3gpuE2ELNS1_3repE0EEENS1_30default_config_static_selectorELNS0_4arch9wavefront6targetE0EEEvT1_
; %bb.0:
	s_endpgm
	.section	.rodata,"a",@progbits
	.p2align	6, 0x0
	.amdhsa_kernel _ZN7rocprim17ROCPRIM_400000_NS6detail17trampoline_kernelINS0_14default_configENS1_27scan_by_key_config_selectorIssEEZZNS1_16scan_by_key_implILNS1_25lookback_scan_determinismE0ELb1ES3_N6thrust23THRUST_200600_302600_NS6detail15normal_iteratorINS9_10device_ptrIsEEEESE_SE_sNS9_4plusIsEE19head_flag_predicatesEE10hipError_tPvRmT2_T3_T4_T5_mT6_T7_P12ihipStream_tbENKUlT_T0_E_clISt17integral_constantIbLb1EESX_IbLb0EEEEDaST_SU_EUlST_E_NS1_11comp_targetILNS1_3genE8ELNS1_11target_archE1030ELNS1_3gpuE2ELNS1_3repE0EEENS1_30default_config_static_selectorELNS0_4arch9wavefront6targetE0EEEvT1_
		.amdhsa_group_segment_fixed_size 0
		.amdhsa_private_segment_fixed_size 0
		.amdhsa_kernarg_size 112
		.amdhsa_user_sgpr_count 6
		.amdhsa_user_sgpr_private_segment_buffer 1
		.amdhsa_user_sgpr_dispatch_ptr 0
		.amdhsa_user_sgpr_queue_ptr 0
		.amdhsa_user_sgpr_kernarg_segment_ptr 1
		.amdhsa_user_sgpr_dispatch_id 0
		.amdhsa_user_sgpr_flat_scratch_init 0
		.amdhsa_user_sgpr_private_segment_size 0
		.amdhsa_wavefront_size32 1
		.amdhsa_uses_dynamic_stack 0
		.amdhsa_system_sgpr_private_segment_wavefront_offset 0
		.amdhsa_system_sgpr_workgroup_id_x 1
		.amdhsa_system_sgpr_workgroup_id_y 0
		.amdhsa_system_sgpr_workgroup_id_z 0
		.amdhsa_system_sgpr_workgroup_info 0
		.amdhsa_system_vgpr_workitem_id 0
		.amdhsa_next_free_vgpr 1
		.amdhsa_next_free_sgpr 1
		.amdhsa_reserve_vcc 0
		.amdhsa_reserve_flat_scratch 0
		.amdhsa_float_round_mode_32 0
		.amdhsa_float_round_mode_16_64 0
		.amdhsa_float_denorm_mode_32 3
		.amdhsa_float_denorm_mode_16_64 3
		.amdhsa_dx10_clamp 1
		.amdhsa_ieee_mode 1
		.amdhsa_fp16_overflow 0
		.amdhsa_workgroup_processor_mode 1
		.amdhsa_memory_ordered 1
		.amdhsa_forward_progress 1
		.amdhsa_shared_vgpr_count 0
		.amdhsa_exception_fp_ieee_invalid_op 0
		.amdhsa_exception_fp_denorm_src 0
		.amdhsa_exception_fp_ieee_div_zero 0
		.amdhsa_exception_fp_ieee_overflow 0
		.amdhsa_exception_fp_ieee_underflow 0
		.amdhsa_exception_fp_ieee_inexact 0
		.amdhsa_exception_int_div_zero 0
	.end_amdhsa_kernel
	.section	.text._ZN7rocprim17ROCPRIM_400000_NS6detail17trampoline_kernelINS0_14default_configENS1_27scan_by_key_config_selectorIssEEZZNS1_16scan_by_key_implILNS1_25lookback_scan_determinismE0ELb1ES3_N6thrust23THRUST_200600_302600_NS6detail15normal_iteratorINS9_10device_ptrIsEEEESE_SE_sNS9_4plusIsEE19head_flag_predicatesEE10hipError_tPvRmT2_T3_T4_T5_mT6_T7_P12ihipStream_tbENKUlT_T0_E_clISt17integral_constantIbLb1EESX_IbLb0EEEEDaST_SU_EUlST_E_NS1_11comp_targetILNS1_3genE8ELNS1_11target_archE1030ELNS1_3gpuE2ELNS1_3repE0EEENS1_30default_config_static_selectorELNS0_4arch9wavefront6targetE0EEEvT1_,"axG",@progbits,_ZN7rocprim17ROCPRIM_400000_NS6detail17trampoline_kernelINS0_14default_configENS1_27scan_by_key_config_selectorIssEEZZNS1_16scan_by_key_implILNS1_25lookback_scan_determinismE0ELb1ES3_N6thrust23THRUST_200600_302600_NS6detail15normal_iteratorINS9_10device_ptrIsEEEESE_SE_sNS9_4plusIsEE19head_flag_predicatesEE10hipError_tPvRmT2_T3_T4_T5_mT6_T7_P12ihipStream_tbENKUlT_T0_E_clISt17integral_constantIbLb1EESX_IbLb0EEEEDaST_SU_EUlST_E_NS1_11comp_targetILNS1_3genE8ELNS1_11target_archE1030ELNS1_3gpuE2ELNS1_3repE0EEENS1_30default_config_static_selectorELNS0_4arch9wavefront6targetE0EEEvT1_,comdat
.Lfunc_end883:
	.size	_ZN7rocprim17ROCPRIM_400000_NS6detail17trampoline_kernelINS0_14default_configENS1_27scan_by_key_config_selectorIssEEZZNS1_16scan_by_key_implILNS1_25lookback_scan_determinismE0ELb1ES3_N6thrust23THRUST_200600_302600_NS6detail15normal_iteratorINS9_10device_ptrIsEEEESE_SE_sNS9_4plusIsEE19head_flag_predicatesEE10hipError_tPvRmT2_T3_T4_T5_mT6_T7_P12ihipStream_tbENKUlT_T0_E_clISt17integral_constantIbLb1EESX_IbLb0EEEEDaST_SU_EUlST_E_NS1_11comp_targetILNS1_3genE8ELNS1_11target_archE1030ELNS1_3gpuE2ELNS1_3repE0EEENS1_30default_config_static_selectorELNS0_4arch9wavefront6targetE0EEEvT1_, .Lfunc_end883-_ZN7rocprim17ROCPRIM_400000_NS6detail17trampoline_kernelINS0_14default_configENS1_27scan_by_key_config_selectorIssEEZZNS1_16scan_by_key_implILNS1_25lookback_scan_determinismE0ELb1ES3_N6thrust23THRUST_200600_302600_NS6detail15normal_iteratorINS9_10device_ptrIsEEEESE_SE_sNS9_4plusIsEE19head_flag_predicatesEE10hipError_tPvRmT2_T3_T4_T5_mT6_T7_P12ihipStream_tbENKUlT_T0_E_clISt17integral_constantIbLb1EESX_IbLb0EEEEDaST_SU_EUlST_E_NS1_11comp_targetILNS1_3genE8ELNS1_11target_archE1030ELNS1_3gpuE2ELNS1_3repE0EEENS1_30default_config_static_selectorELNS0_4arch9wavefront6targetE0EEEvT1_
                                        ; -- End function
	.set _ZN7rocprim17ROCPRIM_400000_NS6detail17trampoline_kernelINS0_14default_configENS1_27scan_by_key_config_selectorIssEEZZNS1_16scan_by_key_implILNS1_25lookback_scan_determinismE0ELb1ES3_N6thrust23THRUST_200600_302600_NS6detail15normal_iteratorINS9_10device_ptrIsEEEESE_SE_sNS9_4plusIsEE19head_flag_predicatesEE10hipError_tPvRmT2_T3_T4_T5_mT6_T7_P12ihipStream_tbENKUlT_T0_E_clISt17integral_constantIbLb1EESX_IbLb0EEEEDaST_SU_EUlST_E_NS1_11comp_targetILNS1_3genE8ELNS1_11target_archE1030ELNS1_3gpuE2ELNS1_3repE0EEENS1_30default_config_static_selectorELNS0_4arch9wavefront6targetE0EEEvT1_.num_vgpr, 0
	.set _ZN7rocprim17ROCPRIM_400000_NS6detail17trampoline_kernelINS0_14default_configENS1_27scan_by_key_config_selectorIssEEZZNS1_16scan_by_key_implILNS1_25lookback_scan_determinismE0ELb1ES3_N6thrust23THRUST_200600_302600_NS6detail15normal_iteratorINS9_10device_ptrIsEEEESE_SE_sNS9_4plusIsEE19head_flag_predicatesEE10hipError_tPvRmT2_T3_T4_T5_mT6_T7_P12ihipStream_tbENKUlT_T0_E_clISt17integral_constantIbLb1EESX_IbLb0EEEEDaST_SU_EUlST_E_NS1_11comp_targetILNS1_3genE8ELNS1_11target_archE1030ELNS1_3gpuE2ELNS1_3repE0EEENS1_30default_config_static_selectorELNS0_4arch9wavefront6targetE0EEEvT1_.num_agpr, 0
	.set _ZN7rocprim17ROCPRIM_400000_NS6detail17trampoline_kernelINS0_14default_configENS1_27scan_by_key_config_selectorIssEEZZNS1_16scan_by_key_implILNS1_25lookback_scan_determinismE0ELb1ES3_N6thrust23THRUST_200600_302600_NS6detail15normal_iteratorINS9_10device_ptrIsEEEESE_SE_sNS9_4plusIsEE19head_flag_predicatesEE10hipError_tPvRmT2_T3_T4_T5_mT6_T7_P12ihipStream_tbENKUlT_T0_E_clISt17integral_constantIbLb1EESX_IbLb0EEEEDaST_SU_EUlST_E_NS1_11comp_targetILNS1_3genE8ELNS1_11target_archE1030ELNS1_3gpuE2ELNS1_3repE0EEENS1_30default_config_static_selectorELNS0_4arch9wavefront6targetE0EEEvT1_.numbered_sgpr, 0
	.set _ZN7rocprim17ROCPRIM_400000_NS6detail17trampoline_kernelINS0_14default_configENS1_27scan_by_key_config_selectorIssEEZZNS1_16scan_by_key_implILNS1_25lookback_scan_determinismE0ELb1ES3_N6thrust23THRUST_200600_302600_NS6detail15normal_iteratorINS9_10device_ptrIsEEEESE_SE_sNS9_4plusIsEE19head_flag_predicatesEE10hipError_tPvRmT2_T3_T4_T5_mT6_T7_P12ihipStream_tbENKUlT_T0_E_clISt17integral_constantIbLb1EESX_IbLb0EEEEDaST_SU_EUlST_E_NS1_11comp_targetILNS1_3genE8ELNS1_11target_archE1030ELNS1_3gpuE2ELNS1_3repE0EEENS1_30default_config_static_selectorELNS0_4arch9wavefront6targetE0EEEvT1_.num_named_barrier, 0
	.set _ZN7rocprim17ROCPRIM_400000_NS6detail17trampoline_kernelINS0_14default_configENS1_27scan_by_key_config_selectorIssEEZZNS1_16scan_by_key_implILNS1_25lookback_scan_determinismE0ELb1ES3_N6thrust23THRUST_200600_302600_NS6detail15normal_iteratorINS9_10device_ptrIsEEEESE_SE_sNS9_4plusIsEE19head_flag_predicatesEE10hipError_tPvRmT2_T3_T4_T5_mT6_T7_P12ihipStream_tbENKUlT_T0_E_clISt17integral_constantIbLb1EESX_IbLb0EEEEDaST_SU_EUlST_E_NS1_11comp_targetILNS1_3genE8ELNS1_11target_archE1030ELNS1_3gpuE2ELNS1_3repE0EEENS1_30default_config_static_selectorELNS0_4arch9wavefront6targetE0EEEvT1_.private_seg_size, 0
	.set _ZN7rocprim17ROCPRIM_400000_NS6detail17trampoline_kernelINS0_14default_configENS1_27scan_by_key_config_selectorIssEEZZNS1_16scan_by_key_implILNS1_25lookback_scan_determinismE0ELb1ES3_N6thrust23THRUST_200600_302600_NS6detail15normal_iteratorINS9_10device_ptrIsEEEESE_SE_sNS9_4plusIsEE19head_flag_predicatesEE10hipError_tPvRmT2_T3_T4_T5_mT6_T7_P12ihipStream_tbENKUlT_T0_E_clISt17integral_constantIbLb1EESX_IbLb0EEEEDaST_SU_EUlST_E_NS1_11comp_targetILNS1_3genE8ELNS1_11target_archE1030ELNS1_3gpuE2ELNS1_3repE0EEENS1_30default_config_static_selectorELNS0_4arch9wavefront6targetE0EEEvT1_.uses_vcc, 0
	.set _ZN7rocprim17ROCPRIM_400000_NS6detail17trampoline_kernelINS0_14default_configENS1_27scan_by_key_config_selectorIssEEZZNS1_16scan_by_key_implILNS1_25lookback_scan_determinismE0ELb1ES3_N6thrust23THRUST_200600_302600_NS6detail15normal_iteratorINS9_10device_ptrIsEEEESE_SE_sNS9_4plusIsEE19head_flag_predicatesEE10hipError_tPvRmT2_T3_T4_T5_mT6_T7_P12ihipStream_tbENKUlT_T0_E_clISt17integral_constantIbLb1EESX_IbLb0EEEEDaST_SU_EUlST_E_NS1_11comp_targetILNS1_3genE8ELNS1_11target_archE1030ELNS1_3gpuE2ELNS1_3repE0EEENS1_30default_config_static_selectorELNS0_4arch9wavefront6targetE0EEEvT1_.uses_flat_scratch, 0
	.set _ZN7rocprim17ROCPRIM_400000_NS6detail17trampoline_kernelINS0_14default_configENS1_27scan_by_key_config_selectorIssEEZZNS1_16scan_by_key_implILNS1_25lookback_scan_determinismE0ELb1ES3_N6thrust23THRUST_200600_302600_NS6detail15normal_iteratorINS9_10device_ptrIsEEEESE_SE_sNS9_4plusIsEE19head_flag_predicatesEE10hipError_tPvRmT2_T3_T4_T5_mT6_T7_P12ihipStream_tbENKUlT_T0_E_clISt17integral_constantIbLb1EESX_IbLb0EEEEDaST_SU_EUlST_E_NS1_11comp_targetILNS1_3genE8ELNS1_11target_archE1030ELNS1_3gpuE2ELNS1_3repE0EEENS1_30default_config_static_selectorELNS0_4arch9wavefront6targetE0EEEvT1_.has_dyn_sized_stack, 0
	.set _ZN7rocprim17ROCPRIM_400000_NS6detail17trampoline_kernelINS0_14default_configENS1_27scan_by_key_config_selectorIssEEZZNS1_16scan_by_key_implILNS1_25lookback_scan_determinismE0ELb1ES3_N6thrust23THRUST_200600_302600_NS6detail15normal_iteratorINS9_10device_ptrIsEEEESE_SE_sNS9_4plusIsEE19head_flag_predicatesEE10hipError_tPvRmT2_T3_T4_T5_mT6_T7_P12ihipStream_tbENKUlT_T0_E_clISt17integral_constantIbLb1EESX_IbLb0EEEEDaST_SU_EUlST_E_NS1_11comp_targetILNS1_3genE8ELNS1_11target_archE1030ELNS1_3gpuE2ELNS1_3repE0EEENS1_30default_config_static_selectorELNS0_4arch9wavefront6targetE0EEEvT1_.has_recursion, 0
	.set _ZN7rocprim17ROCPRIM_400000_NS6detail17trampoline_kernelINS0_14default_configENS1_27scan_by_key_config_selectorIssEEZZNS1_16scan_by_key_implILNS1_25lookback_scan_determinismE0ELb1ES3_N6thrust23THRUST_200600_302600_NS6detail15normal_iteratorINS9_10device_ptrIsEEEESE_SE_sNS9_4plusIsEE19head_flag_predicatesEE10hipError_tPvRmT2_T3_T4_T5_mT6_T7_P12ihipStream_tbENKUlT_T0_E_clISt17integral_constantIbLb1EESX_IbLb0EEEEDaST_SU_EUlST_E_NS1_11comp_targetILNS1_3genE8ELNS1_11target_archE1030ELNS1_3gpuE2ELNS1_3repE0EEENS1_30default_config_static_selectorELNS0_4arch9wavefront6targetE0EEEvT1_.has_indirect_call, 0
	.section	.AMDGPU.csdata,"",@progbits
; Kernel info:
; codeLenInByte = 4
; TotalNumSgprs: 0
; NumVgprs: 0
; ScratchSize: 0
; MemoryBound: 0
; FloatMode: 240
; IeeeMode: 1
; LDSByteSize: 0 bytes/workgroup (compile time only)
; SGPRBlocks: 0
; VGPRBlocks: 0
; NumSGPRsForWavesPerEU: 1
; NumVGPRsForWavesPerEU: 1
; Occupancy: 16
; WaveLimiterHint : 0
; COMPUTE_PGM_RSRC2:SCRATCH_EN: 0
; COMPUTE_PGM_RSRC2:USER_SGPR: 6
; COMPUTE_PGM_RSRC2:TRAP_HANDLER: 0
; COMPUTE_PGM_RSRC2:TGID_X_EN: 1
; COMPUTE_PGM_RSRC2:TGID_Y_EN: 0
; COMPUTE_PGM_RSRC2:TGID_Z_EN: 0
; COMPUTE_PGM_RSRC2:TIDIG_COMP_CNT: 0
	.section	.text._ZN7rocprim17ROCPRIM_400000_NS6detail17trampoline_kernelINS0_14default_configENS1_27scan_by_key_config_selectorIssEEZZNS1_16scan_by_key_implILNS1_25lookback_scan_determinismE0ELb1ES3_N6thrust23THRUST_200600_302600_NS6detail15normal_iteratorINS9_10device_ptrIsEEEESE_SE_sNS9_4plusIsEE19head_flag_predicatesEE10hipError_tPvRmT2_T3_T4_T5_mT6_T7_P12ihipStream_tbENKUlT_T0_E_clISt17integral_constantIbLb0EESX_IbLb1EEEEDaST_SU_EUlST_E_NS1_11comp_targetILNS1_3genE0ELNS1_11target_archE4294967295ELNS1_3gpuE0ELNS1_3repE0EEENS1_30default_config_static_selectorELNS0_4arch9wavefront6targetE0EEEvT1_,"axG",@progbits,_ZN7rocprim17ROCPRIM_400000_NS6detail17trampoline_kernelINS0_14default_configENS1_27scan_by_key_config_selectorIssEEZZNS1_16scan_by_key_implILNS1_25lookback_scan_determinismE0ELb1ES3_N6thrust23THRUST_200600_302600_NS6detail15normal_iteratorINS9_10device_ptrIsEEEESE_SE_sNS9_4plusIsEE19head_flag_predicatesEE10hipError_tPvRmT2_T3_T4_T5_mT6_T7_P12ihipStream_tbENKUlT_T0_E_clISt17integral_constantIbLb0EESX_IbLb1EEEEDaST_SU_EUlST_E_NS1_11comp_targetILNS1_3genE0ELNS1_11target_archE4294967295ELNS1_3gpuE0ELNS1_3repE0EEENS1_30default_config_static_selectorELNS0_4arch9wavefront6targetE0EEEvT1_,comdat
	.protected	_ZN7rocprim17ROCPRIM_400000_NS6detail17trampoline_kernelINS0_14default_configENS1_27scan_by_key_config_selectorIssEEZZNS1_16scan_by_key_implILNS1_25lookback_scan_determinismE0ELb1ES3_N6thrust23THRUST_200600_302600_NS6detail15normal_iteratorINS9_10device_ptrIsEEEESE_SE_sNS9_4plusIsEE19head_flag_predicatesEE10hipError_tPvRmT2_T3_T4_T5_mT6_T7_P12ihipStream_tbENKUlT_T0_E_clISt17integral_constantIbLb0EESX_IbLb1EEEEDaST_SU_EUlST_E_NS1_11comp_targetILNS1_3genE0ELNS1_11target_archE4294967295ELNS1_3gpuE0ELNS1_3repE0EEENS1_30default_config_static_selectorELNS0_4arch9wavefront6targetE0EEEvT1_ ; -- Begin function _ZN7rocprim17ROCPRIM_400000_NS6detail17trampoline_kernelINS0_14default_configENS1_27scan_by_key_config_selectorIssEEZZNS1_16scan_by_key_implILNS1_25lookback_scan_determinismE0ELb1ES3_N6thrust23THRUST_200600_302600_NS6detail15normal_iteratorINS9_10device_ptrIsEEEESE_SE_sNS9_4plusIsEE19head_flag_predicatesEE10hipError_tPvRmT2_T3_T4_T5_mT6_T7_P12ihipStream_tbENKUlT_T0_E_clISt17integral_constantIbLb0EESX_IbLb1EEEEDaST_SU_EUlST_E_NS1_11comp_targetILNS1_3genE0ELNS1_11target_archE4294967295ELNS1_3gpuE0ELNS1_3repE0EEENS1_30default_config_static_selectorELNS0_4arch9wavefront6targetE0EEEvT1_
	.globl	_ZN7rocprim17ROCPRIM_400000_NS6detail17trampoline_kernelINS0_14default_configENS1_27scan_by_key_config_selectorIssEEZZNS1_16scan_by_key_implILNS1_25lookback_scan_determinismE0ELb1ES3_N6thrust23THRUST_200600_302600_NS6detail15normal_iteratorINS9_10device_ptrIsEEEESE_SE_sNS9_4plusIsEE19head_flag_predicatesEE10hipError_tPvRmT2_T3_T4_T5_mT6_T7_P12ihipStream_tbENKUlT_T0_E_clISt17integral_constantIbLb0EESX_IbLb1EEEEDaST_SU_EUlST_E_NS1_11comp_targetILNS1_3genE0ELNS1_11target_archE4294967295ELNS1_3gpuE0ELNS1_3repE0EEENS1_30default_config_static_selectorELNS0_4arch9wavefront6targetE0EEEvT1_
	.p2align	8
	.type	_ZN7rocprim17ROCPRIM_400000_NS6detail17trampoline_kernelINS0_14default_configENS1_27scan_by_key_config_selectorIssEEZZNS1_16scan_by_key_implILNS1_25lookback_scan_determinismE0ELb1ES3_N6thrust23THRUST_200600_302600_NS6detail15normal_iteratorINS9_10device_ptrIsEEEESE_SE_sNS9_4plusIsEE19head_flag_predicatesEE10hipError_tPvRmT2_T3_T4_T5_mT6_T7_P12ihipStream_tbENKUlT_T0_E_clISt17integral_constantIbLb0EESX_IbLb1EEEEDaST_SU_EUlST_E_NS1_11comp_targetILNS1_3genE0ELNS1_11target_archE4294967295ELNS1_3gpuE0ELNS1_3repE0EEENS1_30default_config_static_selectorELNS0_4arch9wavefront6targetE0EEEvT1_,@function
_ZN7rocprim17ROCPRIM_400000_NS6detail17trampoline_kernelINS0_14default_configENS1_27scan_by_key_config_selectorIssEEZZNS1_16scan_by_key_implILNS1_25lookback_scan_determinismE0ELb1ES3_N6thrust23THRUST_200600_302600_NS6detail15normal_iteratorINS9_10device_ptrIsEEEESE_SE_sNS9_4plusIsEE19head_flag_predicatesEE10hipError_tPvRmT2_T3_T4_T5_mT6_T7_P12ihipStream_tbENKUlT_T0_E_clISt17integral_constantIbLb0EESX_IbLb1EEEEDaST_SU_EUlST_E_NS1_11comp_targetILNS1_3genE0ELNS1_11target_archE4294967295ELNS1_3gpuE0ELNS1_3repE0EEENS1_30default_config_static_selectorELNS0_4arch9wavefront6targetE0EEEvT1_: ; @_ZN7rocprim17ROCPRIM_400000_NS6detail17trampoline_kernelINS0_14default_configENS1_27scan_by_key_config_selectorIssEEZZNS1_16scan_by_key_implILNS1_25lookback_scan_determinismE0ELb1ES3_N6thrust23THRUST_200600_302600_NS6detail15normal_iteratorINS9_10device_ptrIsEEEESE_SE_sNS9_4plusIsEE19head_flag_predicatesEE10hipError_tPvRmT2_T3_T4_T5_mT6_T7_P12ihipStream_tbENKUlT_T0_E_clISt17integral_constantIbLb0EESX_IbLb1EEEEDaST_SU_EUlST_E_NS1_11comp_targetILNS1_3genE0ELNS1_11target_archE4294967295ELNS1_3gpuE0ELNS1_3repE0EEENS1_30default_config_static_selectorELNS0_4arch9wavefront6targetE0EEEvT1_
; %bb.0:
	.section	.rodata,"a",@progbits
	.p2align	6, 0x0
	.amdhsa_kernel _ZN7rocprim17ROCPRIM_400000_NS6detail17trampoline_kernelINS0_14default_configENS1_27scan_by_key_config_selectorIssEEZZNS1_16scan_by_key_implILNS1_25lookback_scan_determinismE0ELb1ES3_N6thrust23THRUST_200600_302600_NS6detail15normal_iteratorINS9_10device_ptrIsEEEESE_SE_sNS9_4plusIsEE19head_flag_predicatesEE10hipError_tPvRmT2_T3_T4_T5_mT6_T7_P12ihipStream_tbENKUlT_T0_E_clISt17integral_constantIbLb0EESX_IbLb1EEEEDaST_SU_EUlST_E_NS1_11comp_targetILNS1_3genE0ELNS1_11target_archE4294967295ELNS1_3gpuE0ELNS1_3repE0EEENS1_30default_config_static_selectorELNS0_4arch9wavefront6targetE0EEEvT1_
		.amdhsa_group_segment_fixed_size 0
		.amdhsa_private_segment_fixed_size 0
		.amdhsa_kernarg_size 112
		.amdhsa_user_sgpr_count 6
		.amdhsa_user_sgpr_private_segment_buffer 1
		.amdhsa_user_sgpr_dispatch_ptr 0
		.amdhsa_user_sgpr_queue_ptr 0
		.amdhsa_user_sgpr_kernarg_segment_ptr 1
		.amdhsa_user_sgpr_dispatch_id 0
		.amdhsa_user_sgpr_flat_scratch_init 0
		.amdhsa_user_sgpr_private_segment_size 0
		.amdhsa_wavefront_size32 1
		.amdhsa_uses_dynamic_stack 0
		.amdhsa_system_sgpr_private_segment_wavefront_offset 0
		.amdhsa_system_sgpr_workgroup_id_x 1
		.amdhsa_system_sgpr_workgroup_id_y 0
		.amdhsa_system_sgpr_workgroup_id_z 0
		.amdhsa_system_sgpr_workgroup_info 0
		.amdhsa_system_vgpr_workitem_id 0
		.amdhsa_next_free_vgpr 1
		.amdhsa_next_free_sgpr 1
		.amdhsa_reserve_vcc 0
		.amdhsa_reserve_flat_scratch 0
		.amdhsa_float_round_mode_32 0
		.amdhsa_float_round_mode_16_64 0
		.amdhsa_float_denorm_mode_32 3
		.amdhsa_float_denorm_mode_16_64 3
		.amdhsa_dx10_clamp 1
		.amdhsa_ieee_mode 1
		.amdhsa_fp16_overflow 0
		.amdhsa_workgroup_processor_mode 1
		.amdhsa_memory_ordered 1
		.amdhsa_forward_progress 1
		.amdhsa_shared_vgpr_count 0
		.amdhsa_exception_fp_ieee_invalid_op 0
		.amdhsa_exception_fp_denorm_src 0
		.amdhsa_exception_fp_ieee_div_zero 0
		.amdhsa_exception_fp_ieee_overflow 0
		.amdhsa_exception_fp_ieee_underflow 0
		.amdhsa_exception_fp_ieee_inexact 0
		.amdhsa_exception_int_div_zero 0
	.end_amdhsa_kernel
	.section	.text._ZN7rocprim17ROCPRIM_400000_NS6detail17trampoline_kernelINS0_14default_configENS1_27scan_by_key_config_selectorIssEEZZNS1_16scan_by_key_implILNS1_25lookback_scan_determinismE0ELb1ES3_N6thrust23THRUST_200600_302600_NS6detail15normal_iteratorINS9_10device_ptrIsEEEESE_SE_sNS9_4plusIsEE19head_flag_predicatesEE10hipError_tPvRmT2_T3_T4_T5_mT6_T7_P12ihipStream_tbENKUlT_T0_E_clISt17integral_constantIbLb0EESX_IbLb1EEEEDaST_SU_EUlST_E_NS1_11comp_targetILNS1_3genE0ELNS1_11target_archE4294967295ELNS1_3gpuE0ELNS1_3repE0EEENS1_30default_config_static_selectorELNS0_4arch9wavefront6targetE0EEEvT1_,"axG",@progbits,_ZN7rocprim17ROCPRIM_400000_NS6detail17trampoline_kernelINS0_14default_configENS1_27scan_by_key_config_selectorIssEEZZNS1_16scan_by_key_implILNS1_25lookback_scan_determinismE0ELb1ES3_N6thrust23THRUST_200600_302600_NS6detail15normal_iteratorINS9_10device_ptrIsEEEESE_SE_sNS9_4plusIsEE19head_flag_predicatesEE10hipError_tPvRmT2_T3_T4_T5_mT6_T7_P12ihipStream_tbENKUlT_T0_E_clISt17integral_constantIbLb0EESX_IbLb1EEEEDaST_SU_EUlST_E_NS1_11comp_targetILNS1_3genE0ELNS1_11target_archE4294967295ELNS1_3gpuE0ELNS1_3repE0EEENS1_30default_config_static_selectorELNS0_4arch9wavefront6targetE0EEEvT1_,comdat
.Lfunc_end884:
	.size	_ZN7rocprim17ROCPRIM_400000_NS6detail17trampoline_kernelINS0_14default_configENS1_27scan_by_key_config_selectorIssEEZZNS1_16scan_by_key_implILNS1_25lookback_scan_determinismE0ELb1ES3_N6thrust23THRUST_200600_302600_NS6detail15normal_iteratorINS9_10device_ptrIsEEEESE_SE_sNS9_4plusIsEE19head_flag_predicatesEE10hipError_tPvRmT2_T3_T4_T5_mT6_T7_P12ihipStream_tbENKUlT_T0_E_clISt17integral_constantIbLb0EESX_IbLb1EEEEDaST_SU_EUlST_E_NS1_11comp_targetILNS1_3genE0ELNS1_11target_archE4294967295ELNS1_3gpuE0ELNS1_3repE0EEENS1_30default_config_static_selectorELNS0_4arch9wavefront6targetE0EEEvT1_, .Lfunc_end884-_ZN7rocprim17ROCPRIM_400000_NS6detail17trampoline_kernelINS0_14default_configENS1_27scan_by_key_config_selectorIssEEZZNS1_16scan_by_key_implILNS1_25lookback_scan_determinismE0ELb1ES3_N6thrust23THRUST_200600_302600_NS6detail15normal_iteratorINS9_10device_ptrIsEEEESE_SE_sNS9_4plusIsEE19head_flag_predicatesEE10hipError_tPvRmT2_T3_T4_T5_mT6_T7_P12ihipStream_tbENKUlT_T0_E_clISt17integral_constantIbLb0EESX_IbLb1EEEEDaST_SU_EUlST_E_NS1_11comp_targetILNS1_3genE0ELNS1_11target_archE4294967295ELNS1_3gpuE0ELNS1_3repE0EEENS1_30default_config_static_selectorELNS0_4arch9wavefront6targetE0EEEvT1_
                                        ; -- End function
	.set _ZN7rocprim17ROCPRIM_400000_NS6detail17trampoline_kernelINS0_14default_configENS1_27scan_by_key_config_selectorIssEEZZNS1_16scan_by_key_implILNS1_25lookback_scan_determinismE0ELb1ES3_N6thrust23THRUST_200600_302600_NS6detail15normal_iteratorINS9_10device_ptrIsEEEESE_SE_sNS9_4plusIsEE19head_flag_predicatesEE10hipError_tPvRmT2_T3_T4_T5_mT6_T7_P12ihipStream_tbENKUlT_T0_E_clISt17integral_constantIbLb0EESX_IbLb1EEEEDaST_SU_EUlST_E_NS1_11comp_targetILNS1_3genE0ELNS1_11target_archE4294967295ELNS1_3gpuE0ELNS1_3repE0EEENS1_30default_config_static_selectorELNS0_4arch9wavefront6targetE0EEEvT1_.num_vgpr, 0
	.set _ZN7rocprim17ROCPRIM_400000_NS6detail17trampoline_kernelINS0_14default_configENS1_27scan_by_key_config_selectorIssEEZZNS1_16scan_by_key_implILNS1_25lookback_scan_determinismE0ELb1ES3_N6thrust23THRUST_200600_302600_NS6detail15normal_iteratorINS9_10device_ptrIsEEEESE_SE_sNS9_4plusIsEE19head_flag_predicatesEE10hipError_tPvRmT2_T3_T4_T5_mT6_T7_P12ihipStream_tbENKUlT_T0_E_clISt17integral_constantIbLb0EESX_IbLb1EEEEDaST_SU_EUlST_E_NS1_11comp_targetILNS1_3genE0ELNS1_11target_archE4294967295ELNS1_3gpuE0ELNS1_3repE0EEENS1_30default_config_static_selectorELNS0_4arch9wavefront6targetE0EEEvT1_.num_agpr, 0
	.set _ZN7rocprim17ROCPRIM_400000_NS6detail17trampoline_kernelINS0_14default_configENS1_27scan_by_key_config_selectorIssEEZZNS1_16scan_by_key_implILNS1_25lookback_scan_determinismE0ELb1ES3_N6thrust23THRUST_200600_302600_NS6detail15normal_iteratorINS9_10device_ptrIsEEEESE_SE_sNS9_4plusIsEE19head_flag_predicatesEE10hipError_tPvRmT2_T3_T4_T5_mT6_T7_P12ihipStream_tbENKUlT_T0_E_clISt17integral_constantIbLb0EESX_IbLb1EEEEDaST_SU_EUlST_E_NS1_11comp_targetILNS1_3genE0ELNS1_11target_archE4294967295ELNS1_3gpuE0ELNS1_3repE0EEENS1_30default_config_static_selectorELNS0_4arch9wavefront6targetE0EEEvT1_.numbered_sgpr, 0
	.set _ZN7rocprim17ROCPRIM_400000_NS6detail17trampoline_kernelINS0_14default_configENS1_27scan_by_key_config_selectorIssEEZZNS1_16scan_by_key_implILNS1_25lookback_scan_determinismE0ELb1ES3_N6thrust23THRUST_200600_302600_NS6detail15normal_iteratorINS9_10device_ptrIsEEEESE_SE_sNS9_4plusIsEE19head_flag_predicatesEE10hipError_tPvRmT2_T3_T4_T5_mT6_T7_P12ihipStream_tbENKUlT_T0_E_clISt17integral_constantIbLb0EESX_IbLb1EEEEDaST_SU_EUlST_E_NS1_11comp_targetILNS1_3genE0ELNS1_11target_archE4294967295ELNS1_3gpuE0ELNS1_3repE0EEENS1_30default_config_static_selectorELNS0_4arch9wavefront6targetE0EEEvT1_.num_named_barrier, 0
	.set _ZN7rocprim17ROCPRIM_400000_NS6detail17trampoline_kernelINS0_14default_configENS1_27scan_by_key_config_selectorIssEEZZNS1_16scan_by_key_implILNS1_25lookback_scan_determinismE0ELb1ES3_N6thrust23THRUST_200600_302600_NS6detail15normal_iteratorINS9_10device_ptrIsEEEESE_SE_sNS9_4plusIsEE19head_flag_predicatesEE10hipError_tPvRmT2_T3_T4_T5_mT6_T7_P12ihipStream_tbENKUlT_T0_E_clISt17integral_constantIbLb0EESX_IbLb1EEEEDaST_SU_EUlST_E_NS1_11comp_targetILNS1_3genE0ELNS1_11target_archE4294967295ELNS1_3gpuE0ELNS1_3repE0EEENS1_30default_config_static_selectorELNS0_4arch9wavefront6targetE0EEEvT1_.private_seg_size, 0
	.set _ZN7rocprim17ROCPRIM_400000_NS6detail17trampoline_kernelINS0_14default_configENS1_27scan_by_key_config_selectorIssEEZZNS1_16scan_by_key_implILNS1_25lookback_scan_determinismE0ELb1ES3_N6thrust23THRUST_200600_302600_NS6detail15normal_iteratorINS9_10device_ptrIsEEEESE_SE_sNS9_4plusIsEE19head_flag_predicatesEE10hipError_tPvRmT2_T3_T4_T5_mT6_T7_P12ihipStream_tbENKUlT_T0_E_clISt17integral_constantIbLb0EESX_IbLb1EEEEDaST_SU_EUlST_E_NS1_11comp_targetILNS1_3genE0ELNS1_11target_archE4294967295ELNS1_3gpuE0ELNS1_3repE0EEENS1_30default_config_static_selectorELNS0_4arch9wavefront6targetE0EEEvT1_.uses_vcc, 0
	.set _ZN7rocprim17ROCPRIM_400000_NS6detail17trampoline_kernelINS0_14default_configENS1_27scan_by_key_config_selectorIssEEZZNS1_16scan_by_key_implILNS1_25lookback_scan_determinismE0ELb1ES3_N6thrust23THRUST_200600_302600_NS6detail15normal_iteratorINS9_10device_ptrIsEEEESE_SE_sNS9_4plusIsEE19head_flag_predicatesEE10hipError_tPvRmT2_T3_T4_T5_mT6_T7_P12ihipStream_tbENKUlT_T0_E_clISt17integral_constantIbLb0EESX_IbLb1EEEEDaST_SU_EUlST_E_NS1_11comp_targetILNS1_3genE0ELNS1_11target_archE4294967295ELNS1_3gpuE0ELNS1_3repE0EEENS1_30default_config_static_selectorELNS0_4arch9wavefront6targetE0EEEvT1_.uses_flat_scratch, 0
	.set _ZN7rocprim17ROCPRIM_400000_NS6detail17trampoline_kernelINS0_14default_configENS1_27scan_by_key_config_selectorIssEEZZNS1_16scan_by_key_implILNS1_25lookback_scan_determinismE0ELb1ES3_N6thrust23THRUST_200600_302600_NS6detail15normal_iteratorINS9_10device_ptrIsEEEESE_SE_sNS9_4plusIsEE19head_flag_predicatesEE10hipError_tPvRmT2_T3_T4_T5_mT6_T7_P12ihipStream_tbENKUlT_T0_E_clISt17integral_constantIbLb0EESX_IbLb1EEEEDaST_SU_EUlST_E_NS1_11comp_targetILNS1_3genE0ELNS1_11target_archE4294967295ELNS1_3gpuE0ELNS1_3repE0EEENS1_30default_config_static_selectorELNS0_4arch9wavefront6targetE0EEEvT1_.has_dyn_sized_stack, 0
	.set _ZN7rocprim17ROCPRIM_400000_NS6detail17trampoline_kernelINS0_14default_configENS1_27scan_by_key_config_selectorIssEEZZNS1_16scan_by_key_implILNS1_25lookback_scan_determinismE0ELb1ES3_N6thrust23THRUST_200600_302600_NS6detail15normal_iteratorINS9_10device_ptrIsEEEESE_SE_sNS9_4plusIsEE19head_flag_predicatesEE10hipError_tPvRmT2_T3_T4_T5_mT6_T7_P12ihipStream_tbENKUlT_T0_E_clISt17integral_constantIbLb0EESX_IbLb1EEEEDaST_SU_EUlST_E_NS1_11comp_targetILNS1_3genE0ELNS1_11target_archE4294967295ELNS1_3gpuE0ELNS1_3repE0EEENS1_30default_config_static_selectorELNS0_4arch9wavefront6targetE0EEEvT1_.has_recursion, 0
	.set _ZN7rocprim17ROCPRIM_400000_NS6detail17trampoline_kernelINS0_14default_configENS1_27scan_by_key_config_selectorIssEEZZNS1_16scan_by_key_implILNS1_25lookback_scan_determinismE0ELb1ES3_N6thrust23THRUST_200600_302600_NS6detail15normal_iteratorINS9_10device_ptrIsEEEESE_SE_sNS9_4plusIsEE19head_flag_predicatesEE10hipError_tPvRmT2_T3_T4_T5_mT6_T7_P12ihipStream_tbENKUlT_T0_E_clISt17integral_constantIbLb0EESX_IbLb1EEEEDaST_SU_EUlST_E_NS1_11comp_targetILNS1_3genE0ELNS1_11target_archE4294967295ELNS1_3gpuE0ELNS1_3repE0EEENS1_30default_config_static_selectorELNS0_4arch9wavefront6targetE0EEEvT1_.has_indirect_call, 0
	.section	.AMDGPU.csdata,"",@progbits
; Kernel info:
; codeLenInByte = 0
; TotalNumSgprs: 0
; NumVgprs: 0
; ScratchSize: 0
; MemoryBound: 0
; FloatMode: 240
; IeeeMode: 1
; LDSByteSize: 0 bytes/workgroup (compile time only)
; SGPRBlocks: 0
; VGPRBlocks: 0
; NumSGPRsForWavesPerEU: 1
; NumVGPRsForWavesPerEU: 1
; Occupancy: 16
; WaveLimiterHint : 0
; COMPUTE_PGM_RSRC2:SCRATCH_EN: 0
; COMPUTE_PGM_RSRC2:USER_SGPR: 6
; COMPUTE_PGM_RSRC2:TRAP_HANDLER: 0
; COMPUTE_PGM_RSRC2:TGID_X_EN: 1
; COMPUTE_PGM_RSRC2:TGID_Y_EN: 0
; COMPUTE_PGM_RSRC2:TGID_Z_EN: 0
; COMPUTE_PGM_RSRC2:TIDIG_COMP_CNT: 0
	.section	.text._ZN7rocprim17ROCPRIM_400000_NS6detail17trampoline_kernelINS0_14default_configENS1_27scan_by_key_config_selectorIssEEZZNS1_16scan_by_key_implILNS1_25lookback_scan_determinismE0ELb1ES3_N6thrust23THRUST_200600_302600_NS6detail15normal_iteratorINS9_10device_ptrIsEEEESE_SE_sNS9_4plusIsEE19head_flag_predicatesEE10hipError_tPvRmT2_T3_T4_T5_mT6_T7_P12ihipStream_tbENKUlT_T0_E_clISt17integral_constantIbLb0EESX_IbLb1EEEEDaST_SU_EUlST_E_NS1_11comp_targetILNS1_3genE10ELNS1_11target_archE1201ELNS1_3gpuE5ELNS1_3repE0EEENS1_30default_config_static_selectorELNS0_4arch9wavefront6targetE0EEEvT1_,"axG",@progbits,_ZN7rocprim17ROCPRIM_400000_NS6detail17trampoline_kernelINS0_14default_configENS1_27scan_by_key_config_selectorIssEEZZNS1_16scan_by_key_implILNS1_25lookback_scan_determinismE0ELb1ES3_N6thrust23THRUST_200600_302600_NS6detail15normal_iteratorINS9_10device_ptrIsEEEESE_SE_sNS9_4plusIsEE19head_flag_predicatesEE10hipError_tPvRmT2_T3_T4_T5_mT6_T7_P12ihipStream_tbENKUlT_T0_E_clISt17integral_constantIbLb0EESX_IbLb1EEEEDaST_SU_EUlST_E_NS1_11comp_targetILNS1_3genE10ELNS1_11target_archE1201ELNS1_3gpuE5ELNS1_3repE0EEENS1_30default_config_static_selectorELNS0_4arch9wavefront6targetE0EEEvT1_,comdat
	.protected	_ZN7rocprim17ROCPRIM_400000_NS6detail17trampoline_kernelINS0_14default_configENS1_27scan_by_key_config_selectorIssEEZZNS1_16scan_by_key_implILNS1_25lookback_scan_determinismE0ELb1ES3_N6thrust23THRUST_200600_302600_NS6detail15normal_iteratorINS9_10device_ptrIsEEEESE_SE_sNS9_4plusIsEE19head_flag_predicatesEE10hipError_tPvRmT2_T3_T4_T5_mT6_T7_P12ihipStream_tbENKUlT_T0_E_clISt17integral_constantIbLb0EESX_IbLb1EEEEDaST_SU_EUlST_E_NS1_11comp_targetILNS1_3genE10ELNS1_11target_archE1201ELNS1_3gpuE5ELNS1_3repE0EEENS1_30default_config_static_selectorELNS0_4arch9wavefront6targetE0EEEvT1_ ; -- Begin function _ZN7rocprim17ROCPRIM_400000_NS6detail17trampoline_kernelINS0_14default_configENS1_27scan_by_key_config_selectorIssEEZZNS1_16scan_by_key_implILNS1_25lookback_scan_determinismE0ELb1ES3_N6thrust23THRUST_200600_302600_NS6detail15normal_iteratorINS9_10device_ptrIsEEEESE_SE_sNS9_4plusIsEE19head_flag_predicatesEE10hipError_tPvRmT2_T3_T4_T5_mT6_T7_P12ihipStream_tbENKUlT_T0_E_clISt17integral_constantIbLb0EESX_IbLb1EEEEDaST_SU_EUlST_E_NS1_11comp_targetILNS1_3genE10ELNS1_11target_archE1201ELNS1_3gpuE5ELNS1_3repE0EEENS1_30default_config_static_selectorELNS0_4arch9wavefront6targetE0EEEvT1_
	.globl	_ZN7rocprim17ROCPRIM_400000_NS6detail17trampoline_kernelINS0_14default_configENS1_27scan_by_key_config_selectorIssEEZZNS1_16scan_by_key_implILNS1_25lookback_scan_determinismE0ELb1ES3_N6thrust23THRUST_200600_302600_NS6detail15normal_iteratorINS9_10device_ptrIsEEEESE_SE_sNS9_4plusIsEE19head_flag_predicatesEE10hipError_tPvRmT2_T3_T4_T5_mT6_T7_P12ihipStream_tbENKUlT_T0_E_clISt17integral_constantIbLb0EESX_IbLb1EEEEDaST_SU_EUlST_E_NS1_11comp_targetILNS1_3genE10ELNS1_11target_archE1201ELNS1_3gpuE5ELNS1_3repE0EEENS1_30default_config_static_selectorELNS0_4arch9wavefront6targetE0EEEvT1_
	.p2align	8
	.type	_ZN7rocprim17ROCPRIM_400000_NS6detail17trampoline_kernelINS0_14default_configENS1_27scan_by_key_config_selectorIssEEZZNS1_16scan_by_key_implILNS1_25lookback_scan_determinismE0ELb1ES3_N6thrust23THRUST_200600_302600_NS6detail15normal_iteratorINS9_10device_ptrIsEEEESE_SE_sNS9_4plusIsEE19head_flag_predicatesEE10hipError_tPvRmT2_T3_T4_T5_mT6_T7_P12ihipStream_tbENKUlT_T0_E_clISt17integral_constantIbLb0EESX_IbLb1EEEEDaST_SU_EUlST_E_NS1_11comp_targetILNS1_3genE10ELNS1_11target_archE1201ELNS1_3gpuE5ELNS1_3repE0EEENS1_30default_config_static_selectorELNS0_4arch9wavefront6targetE0EEEvT1_,@function
_ZN7rocprim17ROCPRIM_400000_NS6detail17trampoline_kernelINS0_14default_configENS1_27scan_by_key_config_selectorIssEEZZNS1_16scan_by_key_implILNS1_25lookback_scan_determinismE0ELb1ES3_N6thrust23THRUST_200600_302600_NS6detail15normal_iteratorINS9_10device_ptrIsEEEESE_SE_sNS9_4plusIsEE19head_flag_predicatesEE10hipError_tPvRmT2_T3_T4_T5_mT6_T7_P12ihipStream_tbENKUlT_T0_E_clISt17integral_constantIbLb0EESX_IbLb1EEEEDaST_SU_EUlST_E_NS1_11comp_targetILNS1_3genE10ELNS1_11target_archE1201ELNS1_3gpuE5ELNS1_3repE0EEENS1_30default_config_static_selectorELNS0_4arch9wavefront6targetE0EEEvT1_: ; @_ZN7rocprim17ROCPRIM_400000_NS6detail17trampoline_kernelINS0_14default_configENS1_27scan_by_key_config_selectorIssEEZZNS1_16scan_by_key_implILNS1_25lookback_scan_determinismE0ELb1ES3_N6thrust23THRUST_200600_302600_NS6detail15normal_iteratorINS9_10device_ptrIsEEEESE_SE_sNS9_4plusIsEE19head_flag_predicatesEE10hipError_tPvRmT2_T3_T4_T5_mT6_T7_P12ihipStream_tbENKUlT_T0_E_clISt17integral_constantIbLb0EESX_IbLb1EEEEDaST_SU_EUlST_E_NS1_11comp_targetILNS1_3genE10ELNS1_11target_archE1201ELNS1_3gpuE5ELNS1_3repE0EEENS1_30default_config_static_selectorELNS0_4arch9wavefront6targetE0EEEvT1_
; %bb.0:
	.section	.rodata,"a",@progbits
	.p2align	6, 0x0
	.amdhsa_kernel _ZN7rocprim17ROCPRIM_400000_NS6detail17trampoline_kernelINS0_14default_configENS1_27scan_by_key_config_selectorIssEEZZNS1_16scan_by_key_implILNS1_25lookback_scan_determinismE0ELb1ES3_N6thrust23THRUST_200600_302600_NS6detail15normal_iteratorINS9_10device_ptrIsEEEESE_SE_sNS9_4plusIsEE19head_flag_predicatesEE10hipError_tPvRmT2_T3_T4_T5_mT6_T7_P12ihipStream_tbENKUlT_T0_E_clISt17integral_constantIbLb0EESX_IbLb1EEEEDaST_SU_EUlST_E_NS1_11comp_targetILNS1_3genE10ELNS1_11target_archE1201ELNS1_3gpuE5ELNS1_3repE0EEENS1_30default_config_static_selectorELNS0_4arch9wavefront6targetE0EEEvT1_
		.amdhsa_group_segment_fixed_size 0
		.amdhsa_private_segment_fixed_size 0
		.amdhsa_kernarg_size 112
		.amdhsa_user_sgpr_count 6
		.amdhsa_user_sgpr_private_segment_buffer 1
		.amdhsa_user_sgpr_dispatch_ptr 0
		.amdhsa_user_sgpr_queue_ptr 0
		.amdhsa_user_sgpr_kernarg_segment_ptr 1
		.amdhsa_user_sgpr_dispatch_id 0
		.amdhsa_user_sgpr_flat_scratch_init 0
		.amdhsa_user_sgpr_private_segment_size 0
		.amdhsa_wavefront_size32 1
		.amdhsa_uses_dynamic_stack 0
		.amdhsa_system_sgpr_private_segment_wavefront_offset 0
		.amdhsa_system_sgpr_workgroup_id_x 1
		.amdhsa_system_sgpr_workgroup_id_y 0
		.amdhsa_system_sgpr_workgroup_id_z 0
		.amdhsa_system_sgpr_workgroup_info 0
		.amdhsa_system_vgpr_workitem_id 0
		.amdhsa_next_free_vgpr 1
		.amdhsa_next_free_sgpr 1
		.amdhsa_reserve_vcc 0
		.amdhsa_reserve_flat_scratch 0
		.amdhsa_float_round_mode_32 0
		.amdhsa_float_round_mode_16_64 0
		.amdhsa_float_denorm_mode_32 3
		.amdhsa_float_denorm_mode_16_64 3
		.amdhsa_dx10_clamp 1
		.amdhsa_ieee_mode 1
		.amdhsa_fp16_overflow 0
		.amdhsa_workgroup_processor_mode 1
		.amdhsa_memory_ordered 1
		.amdhsa_forward_progress 1
		.amdhsa_shared_vgpr_count 0
		.amdhsa_exception_fp_ieee_invalid_op 0
		.amdhsa_exception_fp_denorm_src 0
		.amdhsa_exception_fp_ieee_div_zero 0
		.amdhsa_exception_fp_ieee_overflow 0
		.amdhsa_exception_fp_ieee_underflow 0
		.amdhsa_exception_fp_ieee_inexact 0
		.amdhsa_exception_int_div_zero 0
	.end_amdhsa_kernel
	.section	.text._ZN7rocprim17ROCPRIM_400000_NS6detail17trampoline_kernelINS0_14default_configENS1_27scan_by_key_config_selectorIssEEZZNS1_16scan_by_key_implILNS1_25lookback_scan_determinismE0ELb1ES3_N6thrust23THRUST_200600_302600_NS6detail15normal_iteratorINS9_10device_ptrIsEEEESE_SE_sNS9_4plusIsEE19head_flag_predicatesEE10hipError_tPvRmT2_T3_T4_T5_mT6_T7_P12ihipStream_tbENKUlT_T0_E_clISt17integral_constantIbLb0EESX_IbLb1EEEEDaST_SU_EUlST_E_NS1_11comp_targetILNS1_3genE10ELNS1_11target_archE1201ELNS1_3gpuE5ELNS1_3repE0EEENS1_30default_config_static_selectorELNS0_4arch9wavefront6targetE0EEEvT1_,"axG",@progbits,_ZN7rocprim17ROCPRIM_400000_NS6detail17trampoline_kernelINS0_14default_configENS1_27scan_by_key_config_selectorIssEEZZNS1_16scan_by_key_implILNS1_25lookback_scan_determinismE0ELb1ES3_N6thrust23THRUST_200600_302600_NS6detail15normal_iteratorINS9_10device_ptrIsEEEESE_SE_sNS9_4plusIsEE19head_flag_predicatesEE10hipError_tPvRmT2_T3_T4_T5_mT6_T7_P12ihipStream_tbENKUlT_T0_E_clISt17integral_constantIbLb0EESX_IbLb1EEEEDaST_SU_EUlST_E_NS1_11comp_targetILNS1_3genE10ELNS1_11target_archE1201ELNS1_3gpuE5ELNS1_3repE0EEENS1_30default_config_static_selectorELNS0_4arch9wavefront6targetE0EEEvT1_,comdat
.Lfunc_end885:
	.size	_ZN7rocprim17ROCPRIM_400000_NS6detail17trampoline_kernelINS0_14default_configENS1_27scan_by_key_config_selectorIssEEZZNS1_16scan_by_key_implILNS1_25lookback_scan_determinismE0ELb1ES3_N6thrust23THRUST_200600_302600_NS6detail15normal_iteratorINS9_10device_ptrIsEEEESE_SE_sNS9_4plusIsEE19head_flag_predicatesEE10hipError_tPvRmT2_T3_T4_T5_mT6_T7_P12ihipStream_tbENKUlT_T0_E_clISt17integral_constantIbLb0EESX_IbLb1EEEEDaST_SU_EUlST_E_NS1_11comp_targetILNS1_3genE10ELNS1_11target_archE1201ELNS1_3gpuE5ELNS1_3repE0EEENS1_30default_config_static_selectorELNS0_4arch9wavefront6targetE0EEEvT1_, .Lfunc_end885-_ZN7rocprim17ROCPRIM_400000_NS6detail17trampoline_kernelINS0_14default_configENS1_27scan_by_key_config_selectorIssEEZZNS1_16scan_by_key_implILNS1_25lookback_scan_determinismE0ELb1ES3_N6thrust23THRUST_200600_302600_NS6detail15normal_iteratorINS9_10device_ptrIsEEEESE_SE_sNS9_4plusIsEE19head_flag_predicatesEE10hipError_tPvRmT2_T3_T4_T5_mT6_T7_P12ihipStream_tbENKUlT_T0_E_clISt17integral_constantIbLb0EESX_IbLb1EEEEDaST_SU_EUlST_E_NS1_11comp_targetILNS1_3genE10ELNS1_11target_archE1201ELNS1_3gpuE5ELNS1_3repE0EEENS1_30default_config_static_selectorELNS0_4arch9wavefront6targetE0EEEvT1_
                                        ; -- End function
	.set _ZN7rocprim17ROCPRIM_400000_NS6detail17trampoline_kernelINS0_14default_configENS1_27scan_by_key_config_selectorIssEEZZNS1_16scan_by_key_implILNS1_25lookback_scan_determinismE0ELb1ES3_N6thrust23THRUST_200600_302600_NS6detail15normal_iteratorINS9_10device_ptrIsEEEESE_SE_sNS9_4plusIsEE19head_flag_predicatesEE10hipError_tPvRmT2_T3_T4_T5_mT6_T7_P12ihipStream_tbENKUlT_T0_E_clISt17integral_constantIbLb0EESX_IbLb1EEEEDaST_SU_EUlST_E_NS1_11comp_targetILNS1_3genE10ELNS1_11target_archE1201ELNS1_3gpuE5ELNS1_3repE0EEENS1_30default_config_static_selectorELNS0_4arch9wavefront6targetE0EEEvT1_.num_vgpr, 0
	.set _ZN7rocprim17ROCPRIM_400000_NS6detail17trampoline_kernelINS0_14default_configENS1_27scan_by_key_config_selectorIssEEZZNS1_16scan_by_key_implILNS1_25lookback_scan_determinismE0ELb1ES3_N6thrust23THRUST_200600_302600_NS6detail15normal_iteratorINS9_10device_ptrIsEEEESE_SE_sNS9_4plusIsEE19head_flag_predicatesEE10hipError_tPvRmT2_T3_T4_T5_mT6_T7_P12ihipStream_tbENKUlT_T0_E_clISt17integral_constantIbLb0EESX_IbLb1EEEEDaST_SU_EUlST_E_NS1_11comp_targetILNS1_3genE10ELNS1_11target_archE1201ELNS1_3gpuE5ELNS1_3repE0EEENS1_30default_config_static_selectorELNS0_4arch9wavefront6targetE0EEEvT1_.num_agpr, 0
	.set _ZN7rocprim17ROCPRIM_400000_NS6detail17trampoline_kernelINS0_14default_configENS1_27scan_by_key_config_selectorIssEEZZNS1_16scan_by_key_implILNS1_25lookback_scan_determinismE0ELb1ES3_N6thrust23THRUST_200600_302600_NS6detail15normal_iteratorINS9_10device_ptrIsEEEESE_SE_sNS9_4plusIsEE19head_flag_predicatesEE10hipError_tPvRmT2_T3_T4_T5_mT6_T7_P12ihipStream_tbENKUlT_T0_E_clISt17integral_constantIbLb0EESX_IbLb1EEEEDaST_SU_EUlST_E_NS1_11comp_targetILNS1_3genE10ELNS1_11target_archE1201ELNS1_3gpuE5ELNS1_3repE0EEENS1_30default_config_static_selectorELNS0_4arch9wavefront6targetE0EEEvT1_.numbered_sgpr, 0
	.set _ZN7rocprim17ROCPRIM_400000_NS6detail17trampoline_kernelINS0_14default_configENS1_27scan_by_key_config_selectorIssEEZZNS1_16scan_by_key_implILNS1_25lookback_scan_determinismE0ELb1ES3_N6thrust23THRUST_200600_302600_NS6detail15normal_iteratorINS9_10device_ptrIsEEEESE_SE_sNS9_4plusIsEE19head_flag_predicatesEE10hipError_tPvRmT2_T3_T4_T5_mT6_T7_P12ihipStream_tbENKUlT_T0_E_clISt17integral_constantIbLb0EESX_IbLb1EEEEDaST_SU_EUlST_E_NS1_11comp_targetILNS1_3genE10ELNS1_11target_archE1201ELNS1_3gpuE5ELNS1_3repE0EEENS1_30default_config_static_selectorELNS0_4arch9wavefront6targetE0EEEvT1_.num_named_barrier, 0
	.set _ZN7rocprim17ROCPRIM_400000_NS6detail17trampoline_kernelINS0_14default_configENS1_27scan_by_key_config_selectorIssEEZZNS1_16scan_by_key_implILNS1_25lookback_scan_determinismE0ELb1ES3_N6thrust23THRUST_200600_302600_NS6detail15normal_iteratorINS9_10device_ptrIsEEEESE_SE_sNS9_4plusIsEE19head_flag_predicatesEE10hipError_tPvRmT2_T3_T4_T5_mT6_T7_P12ihipStream_tbENKUlT_T0_E_clISt17integral_constantIbLb0EESX_IbLb1EEEEDaST_SU_EUlST_E_NS1_11comp_targetILNS1_3genE10ELNS1_11target_archE1201ELNS1_3gpuE5ELNS1_3repE0EEENS1_30default_config_static_selectorELNS0_4arch9wavefront6targetE0EEEvT1_.private_seg_size, 0
	.set _ZN7rocprim17ROCPRIM_400000_NS6detail17trampoline_kernelINS0_14default_configENS1_27scan_by_key_config_selectorIssEEZZNS1_16scan_by_key_implILNS1_25lookback_scan_determinismE0ELb1ES3_N6thrust23THRUST_200600_302600_NS6detail15normal_iteratorINS9_10device_ptrIsEEEESE_SE_sNS9_4plusIsEE19head_flag_predicatesEE10hipError_tPvRmT2_T3_T4_T5_mT6_T7_P12ihipStream_tbENKUlT_T0_E_clISt17integral_constantIbLb0EESX_IbLb1EEEEDaST_SU_EUlST_E_NS1_11comp_targetILNS1_3genE10ELNS1_11target_archE1201ELNS1_3gpuE5ELNS1_3repE0EEENS1_30default_config_static_selectorELNS0_4arch9wavefront6targetE0EEEvT1_.uses_vcc, 0
	.set _ZN7rocprim17ROCPRIM_400000_NS6detail17trampoline_kernelINS0_14default_configENS1_27scan_by_key_config_selectorIssEEZZNS1_16scan_by_key_implILNS1_25lookback_scan_determinismE0ELb1ES3_N6thrust23THRUST_200600_302600_NS6detail15normal_iteratorINS9_10device_ptrIsEEEESE_SE_sNS9_4plusIsEE19head_flag_predicatesEE10hipError_tPvRmT2_T3_T4_T5_mT6_T7_P12ihipStream_tbENKUlT_T0_E_clISt17integral_constantIbLb0EESX_IbLb1EEEEDaST_SU_EUlST_E_NS1_11comp_targetILNS1_3genE10ELNS1_11target_archE1201ELNS1_3gpuE5ELNS1_3repE0EEENS1_30default_config_static_selectorELNS0_4arch9wavefront6targetE0EEEvT1_.uses_flat_scratch, 0
	.set _ZN7rocprim17ROCPRIM_400000_NS6detail17trampoline_kernelINS0_14default_configENS1_27scan_by_key_config_selectorIssEEZZNS1_16scan_by_key_implILNS1_25lookback_scan_determinismE0ELb1ES3_N6thrust23THRUST_200600_302600_NS6detail15normal_iteratorINS9_10device_ptrIsEEEESE_SE_sNS9_4plusIsEE19head_flag_predicatesEE10hipError_tPvRmT2_T3_T4_T5_mT6_T7_P12ihipStream_tbENKUlT_T0_E_clISt17integral_constantIbLb0EESX_IbLb1EEEEDaST_SU_EUlST_E_NS1_11comp_targetILNS1_3genE10ELNS1_11target_archE1201ELNS1_3gpuE5ELNS1_3repE0EEENS1_30default_config_static_selectorELNS0_4arch9wavefront6targetE0EEEvT1_.has_dyn_sized_stack, 0
	.set _ZN7rocprim17ROCPRIM_400000_NS6detail17trampoline_kernelINS0_14default_configENS1_27scan_by_key_config_selectorIssEEZZNS1_16scan_by_key_implILNS1_25lookback_scan_determinismE0ELb1ES3_N6thrust23THRUST_200600_302600_NS6detail15normal_iteratorINS9_10device_ptrIsEEEESE_SE_sNS9_4plusIsEE19head_flag_predicatesEE10hipError_tPvRmT2_T3_T4_T5_mT6_T7_P12ihipStream_tbENKUlT_T0_E_clISt17integral_constantIbLb0EESX_IbLb1EEEEDaST_SU_EUlST_E_NS1_11comp_targetILNS1_3genE10ELNS1_11target_archE1201ELNS1_3gpuE5ELNS1_3repE0EEENS1_30default_config_static_selectorELNS0_4arch9wavefront6targetE0EEEvT1_.has_recursion, 0
	.set _ZN7rocprim17ROCPRIM_400000_NS6detail17trampoline_kernelINS0_14default_configENS1_27scan_by_key_config_selectorIssEEZZNS1_16scan_by_key_implILNS1_25lookback_scan_determinismE0ELb1ES3_N6thrust23THRUST_200600_302600_NS6detail15normal_iteratorINS9_10device_ptrIsEEEESE_SE_sNS9_4plusIsEE19head_flag_predicatesEE10hipError_tPvRmT2_T3_T4_T5_mT6_T7_P12ihipStream_tbENKUlT_T0_E_clISt17integral_constantIbLb0EESX_IbLb1EEEEDaST_SU_EUlST_E_NS1_11comp_targetILNS1_3genE10ELNS1_11target_archE1201ELNS1_3gpuE5ELNS1_3repE0EEENS1_30default_config_static_selectorELNS0_4arch9wavefront6targetE0EEEvT1_.has_indirect_call, 0
	.section	.AMDGPU.csdata,"",@progbits
; Kernel info:
; codeLenInByte = 0
; TotalNumSgprs: 0
; NumVgprs: 0
; ScratchSize: 0
; MemoryBound: 0
; FloatMode: 240
; IeeeMode: 1
; LDSByteSize: 0 bytes/workgroup (compile time only)
; SGPRBlocks: 0
; VGPRBlocks: 0
; NumSGPRsForWavesPerEU: 1
; NumVGPRsForWavesPerEU: 1
; Occupancy: 16
; WaveLimiterHint : 0
; COMPUTE_PGM_RSRC2:SCRATCH_EN: 0
; COMPUTE_PGM_RSRC2:USER_SGPR: 6
; COMPUTE_PGM_RSRC2:TRAP_HANDLER: 0
; COMPUTE_PGM_RSRC2:TGID_X_EN: 1
; COMPUTE_PGM_RSRC2:TGID_Y_EN: 0
; COMPUTE_PGM_RSRC2:TGID_Z_EN: 0
; COMPUTE_PGM_RSRC2:TIDIG_COMP_CNT: 0
	.section	.text._ZN7rocprim17ROCPRIM_400000_NS6detail17trampoline_kernelINS0_14default_configENS1_27scan_by_key_config_selectorIssEEZZNS1_16scan_by_key_implILNS1_25lookback_scan_determinismE0ELb1ES3_N6thrust23THRUST_200600_302600_NS6detail15normal_iteratorINS9_10device_ptrIsEEEESE_SE_sNS9_4plusIsEE19head_flag_predicatesEE10hipError_tPvRmT2_T3_T4_T5_mT6_T7_P12ihipStream_tbENKUlT_T0_E_clISt17integral_constantIbLb0EESX_IbLb1EEEEDaST_SU_EUlST_E_NS1_11comp_targetILNS1_3genE5ELNS1_11target_archE942ELNS1_3gpuE9ELNS1_3repE0EEENS1_30default_config_static_selectorELNS0_4arch9wavefront6targetE0EEEvT1_,"axG",@progbits,_ZN7rocprim17ROCPRIM_400000_NS6detail17trampoline_kernelINS0_14default_configENS1_27scan_by_key_config_selectorIssEEZZNS1_16scan_by_key_implILNS1_25lookback_scan_determinismE0ELb1ES3_N6thrust23THRUST_200600_302600_NS6detail15normal_iteratorINS9_10device_ptrIsEEEESE_SE_sNS9_4plusIsEE19head_flag_predicatesEE10hipError_tPvRmT2_T3_T4_T5_mT6_T7_P12ihipStream_tbENKUlT_T0_E_clISt17integral_constantIbLb0EESX_IbLb1EEEEDaST_SU_EUlST_E_NS1_11comp_targetILNS1_3genE5ELNS1_11target_archE942ELNS1_3gpuE9ELNS1_3repE0EEENS1_30default_config_static_selectorELNS0_4arch9wavefront6targetE0EEEvT1_,comdat
	.protected	_ZN7rocprim17ROCPRIM_400000_NS6detail17trampoline_kernelINS0_14default_configENS1_27scan_by_key_config_selectorIssEEZZNS1_16scan_by_key_implILNS1_25lookback_scan_determinismE0ELb1ES3_N6thrust23THRUST_200600_302600_NS6detail15normal_iteratorINS9_10device_ptrIsEEEESE_SE_sNS9_4plusIsEE19head_flag_predicatesEE10hipError_tPvRmT2_T3_T4_T5_mT6_T7_P12ihipStream_tbENKUlT_T0_E_clISt17integral_constantIbLb0EESX_IbLb1EEEEDaST_SU_EUlST_E_NS1_11comp_targetILNS1_3genE5ELNS1_11target_archE942ELNS1_3gpuE9ELNS1_3repE0EEENS1_30default_config_static_selectorELNS0_4arch9wavefront6targetE0EEEvT1_ ; -- Begin function _ZN7rocprim17ROCPRIM_400000_NS6detail17trampoline_kernelINS0_14default_configENS1_27scan_by_key_config_selectorIssEEZZNS1_16scan_by_key_implILNS1_25lookback_scan_determinismE0ELb1ES3_N6thrust23THRUST_200600_302600_NS6detail15normal_iteratorINS9_10device_ptrIsEEEESE_SE_sNS9_4plusIsEE19head_flag_predicatesEE10hipError_tPvRmT2_T3_T4_T5_mT6_T7_P12ihipStream_tbENKUlT_T0_E_clISt17integral_constantIbLb0EESX_IbLb1EEEEDaST_SU_EUlST_E_NS1_11comp_targetILNS1_3genE5ELNS1_11target_archE942ELNS1_3gpuE9ELNS1_3repE0EEENS1_30default_config_static_selectorELNS0_4arch9wavefront6targetE0EEEvT1_
	.globl	_ZN7rocprim17ROCPRIM_400000_NS6detail17trampoline_kernelINS0_14default_configENS1_27scan_by_key_config_selectorIssEEZZNS1_16scan_by_key_implILNS1_25lookback_scan_determinismE0ELb1ES3_N6thrust23THRUST_200600_302600_NS6detail15normal_iteratorINS9_10device_ptrIsEEEESE_SE_sNS9_4plusIsEE19head_flag_predicatesEE10hipError_tPvRmT2_T3_T4_T5_mT6_T7_P12ihipStream_tbENKUlT_T0_E_clISt17integral_constantIbLb0EESX_IbLb1EEEEDaST_SU_EUlST_E_NS1_11comp_targetILNS1_3genE5ELNS1_11target_archE942ELNS1_3gpuE9ELNS1_3repE0EEENS1_30default_config_static_selectorELNS0_4arch9wavefront6targetE0EEEvT1_
	.p2align	8
	.type	_ZN7rocprim17ROCPRIM_400000_NS6detail17trampoline_kernelINS0_14default_configENS1_27scan_by_key_config_selectorIssEEZZNS1_16scan_by_key_implILNS1_25lookback_scan_determinismE0ELb1ES3_N6thrust23THRUST_200600_302600_NS6detail15normal_iteratorINS9_10device_ptrIsEEEESE_SE_sNS9_4plusIsEE19head_flag_predicatesEE10hipError_tPvRmT2_T3_T4_T5_mT6_T7_P12ihipStream_tbENKUlT_T0_E_clISt17integral_constantIbLb0EESX_IbLb1EEEEDaST_SU_EUlST_E_NS1_11comp_targetILNS1_3genE5ELNS1_11target_archE942ELNS1_3gpuE9ELNS1_3repE0EEENS1_30default_config_static_selectorELNS0_4arch9wavefront6targetE0EEEvT1_,@function
_ZN7rocprim17ROCPRIM_400000_NS6detail17trampoline_kernelINS0_14default_configENS1_27scan_by_key_config_selectorIssEEZZNS1_16scan_by_key_implILNS1_25lookback_scan_determinismE0ELb1ES3_N6thrust23THRUST_200600_302600_NS6detail15normal_iteratorINS9_10device_ptrIsEEEESE_SE_sNS9_4plusIsEE19head_flag_predicatesEE10hipError_tPvRmT2_T3_T4_T5_mT6_T7_P12ihipStream_tbENKUlT_T0_E_clISt17integral_constantIbLb0EESX_IbLb1EEEEDaST_SU_EUlST_E_NS1_11comp_targetILNS1_3genE5ELNS1_11target_archE942ELNS1_3gpuE9ELNS1_3repE0EEENS1_30default_config_static_selectorELNS0_4arch9wavefront6targetE0EEEvT1_: ; @_ZN7rocprim17ROCPRIM_400000_NS6detail17trampoline_kernelINS0_14default_configENS1_27scan_by_key_config_selectorIssEEZZNS1_16scan_by_key_implILNS1_25lookback_scan_determinismE0ELb1ES3_N6thrust23THRUST_200600_302600_NS6detail15normal_iteratorINS9_10device_ptrIsEEEESE_SE_sNS9_4plusIsEE19head_flag_predicatesEE10hipError_tPvRmT2_T3_T4_T5_mT6_T7_P12ihipStream_tbENKUlT_T0_E_clISt17integral_constantIbLb0EESX_IbLb1EEEEDaST_SU_EUlST_E_NS1_11comp_targetILNS1_3genE5ELNS1_11target_archE942ELNS1_3gpuE9ELNS1_3repE0EEENS1_30default_config_static_selectorELNS0_4arch9wavefront6targetE0EEEvT1_
; %bb.0:
	.section	.rodata,"a",@progbits
	.p2align	6, 0x0
	.amdhsa_kernel _ZN7rocprim17ROCPRIM_400000_NS6detail17trampoline_kernelINS0_14default_configENS1_27scan_by_key_config_selectorIssEEZZNS1_16scan_by_key_implILNS1_25lookback_scan_determinismE0ELb1ES3_N6thrust23THRUST_200600_302600_NS6detail15normal_iteratorINS9_10device_ptrIsEEEESE_SE_sNS9_4plusIsEE19head_flag_predicatesEE10hipError_tPvRmT2_T3_T4_T5_mT6_T7_P12ihipStream_tbENKUlT_T0_E_clISt17integral_constantIbLb0EESX_IbLb1EEEEDaST_SU_EUlST_E_NS1_11comp_targetILNS1_3genE5ELNS1_11target_archE942ELNS1_3gpuE9ELNS1_3repE0EEENS1_30default_config_static_selectorELNS0_4arch9wavefront6targetE0EEEvT1_
		.amdhsa_group_segment_fixed_size 0
		.amdhsa_private_segment_fixed_size 0
		.amdhsa_kernarg_size 112
		.amdhsa_user_sgpr_count 6
		.amdhsa_user_sgpr_private_segment_buffer 1
		.amdhsa_user_sgpr_dispatch_ptr 0
		.amdhsa_user_sgpr_queue_ptr 0
		.amdhsa_user_sgpr_kernarg_segment_ptr 1
		.amdhsa_user_sgpr_dispatch_id 0
		.amdhsa_user_sgpr_flat_scratch_init 0
		.amdhsa_user_sgpr_private_segment_size 0
		.amdhsa_wavefront_size32 1
		.amdhsa_uses_dynamic_stack 0
		.amdhsa_system_sgpr_private_segment_wavefront_offset 0
		.amdhsa_system_sgpr_workgroup_id_x 1
		.amdhsa_system_sgpr_workgroup_id_y 0
		.amdhsa_system_sgpr_workgroup_id_z 0
		.amdhsa_system_sgpr_workgroup_info 0
		.amdhsa_system_vgpr_workitem_id 0
		.amdhsa_next_free_vgpr 1
		.amdhsa_next_free_sgpr 1
		.amdhsa_reserve_vcc 0
		.amdhsa_reserve_flat_scratch 0
		.amdhsa_float_round_mode_32 0
		.amdhsa_float_round_mode_16_64 0
		.amdhsa_float_denorm_mode_32 3
		.amdhsa_float_denorm_mode_16_64 3
		.amdhsa_dx10_clamp 1
		.amdhsa_ieee_mode 1
		.amdhsa_fp16_overflow 0
		.amdhsa_workgroup_processor_mode 1
		.amdhsa_memory_ordered 1
		.amdhsa_forward_progress 1
		.amdhsa_shared_vgpr_count 0
		.amdhsa_exception_fp_ieee_invalid_op 0
		.amdhsa_exception_fp_denorm_src 0
		.amdhsa_exception_fp_ieee_div_zero 0
		.amdhsa_exception_fp_ieee_overflow 0
		.amdhsa_exception_fp_ieee_underflow 0
		.amdhsa_exception_fp_ieee_inexact 0
		.amdhsa_exception_int_div_zero 0
	.end_amdhsa_kernel
	.section	.text._ZN7rocprim17ROCPRIM_400000_NS6detail17trampoline_kernelINS0_14default_configENS1_27scan_by_key_config_selectorIssEEZZNS1_16scan_by_key_implILNS1_25lookback_scan_determinismE0ELb1ES3_N6thrust23THRUST_200600_302600_NS6detail15normal_iteratorINS9_10device_ptrIsEEEESE_SE_sNS9_4plusIsEE19head_flag_predicatesEE10hipError_tPvRmT2_T3_T4_T5_mT6_T7_P12ihipStream_tbENKUlT_T0_E_clISt17integral_constantIbLb0EESX_IbLb1EEEEDaST_SU_EUlST_E_NS1_11comp_targetILNS1_3genE5ELNS1_11target_archE942ELNS1_3gpuE9ELNS1_3repE0EEENS1_30default_config_static_selectorELNS0_4arch9wavefront6targetE0EEEvT1_,"axG",@progbits,_ZN7rocprim17ROCPRIM_400000_NS6detail17trampoline_kernelINS0_14default_configENS1_27scan_by_key_config_selectorIssEEZZNS1_16scan_by_key_implILNS1_25lookback_scan_determinismE0ELb1ES3_N6thrust23THRUST_200600_302600_NS6detail15normal_iteratorINS9_10device_ptrIsEEEESE_SE_sNS9_4plusIsEE19head_flag_predicatesEE10hipError_tPvRmT2_T3_T4_T5_mT6_T7_P12ihipStream_tbENKUlT_T0_E_clISt17integral_constantIbLb0EESX_IbLb1EEEEDaST_SU_EUlST_E_NS1_11comp_targetILNS1_3genE5ELNS1_11target_archE942ELNS1_3gpuE9ELNS1_3repE0EEENS1_30default_config_static_selectorELNS0_4arch9wavefront6targetE0EEEvT1_,comdat
.Lfunc_end886:
	.size	_ZN7rocprim17ROCPRIM_400000_NS6detail17trampoline_kernelINS0_14default_configENS1_27scan_by_key_config_selectorIssEEZZNS1_16scan_by_key_implILNS1_25lookback_scan_determinismE0ELb1ES3_N6thrust23THRUST_200600_302600_NS6detail15normal_iteratorINS9_10device_ptrIsEEEESE_SE_sNS9_4plusIsEE19head_flag_predicatesEE10hipError_tPvRmT2_T3_T4_T5_mT6_T7_P12ihipStream_tbENKUlT_T0_E_clISt17integral_constantIbLb0EESX_IbLb1EEEEDaST_SU_EUlST_E_NS1_11comp_targetILNS1_3genE5ELNS1_11target_archE942ELNS1_3gpuE9ELNS1_3repE0EEENS1_30default_config_static_selectorELNS0_4arch9wavefront6targetE0EEEvT1_, .Lfunc_end886-_ZN7rocprim17ROCPRIM_400000_NS6detail17trampoline_kernelINS0_14default_configENS1_27scan_by_key_config_selectorIssEEZZNS1_16scan_by_key_implILNS1_25lookback_scan_determinismE0ELb1ES3_N6thrust23THRUST_200600_302600_NS6detail15normal_iteratorINS9_10device_ptrIsEEEESE_SE_sNS9_4plusIsEE19head_flag_predicatesEE10hipError_tPvRmT2_T3_T4_T5_mT6_T7_P12ihipStream_tbENKUlT_T0_E_clISt17integral_constantIbLb0EESX_IbLb1EEEEDaST_SU_EUlST_E_NS1_11comp_targetILNS1_3genE5ELNS1_11target_archE942ELNS1_3gpuE9ELNS1_3repE0EEENS1_30default_config_static_selectorELNS0_4arch9wavefront6targetE0EEEvT1_
                                        ; -- End function
	.set _ZN7rocprim17ROCPRIM_400000_NS6detail17trampoline_kernelINS0_14default_configENS1_27scan_by_key_config_selectorIssEEZZNS1_16scan_by_key_implILNS1_25lookback_scan_determinismE0ELb1ES3_N6thrust23THRUST_200600_302600_NS6detail15normal_iteratorINS9_10device_ptrIsEEEESE_SE_sNS9_4plusIsEE19head_flag_predicatesEE10hipError_tPvRmT2_T3_T4_T5_mT6_T7_P12ihipStream_tbENKUlT_T0_E_clISt17integral_constantIbLb0EESX_IbLb1EEEEDaST_SU_EUlST_E_NS1_11comp_targetILNS1_3genE5ELNS1_11target_archE942ELNS1_3gpuE9ELNS1_3repE0EEENS1_30default_config_static_selectorELNS0_4arch9wavefront6targetE0EEEvT1_.num_vgpr, 0
	.set _ZN7rocprim17ROCPRIM_400000_NS6detail17trampoline_kernelINS0_14default_configENS1_27scan_by_key_config_selectorIssEEZZNS1_16scan_by_key_implILNS1_25lookback_scan_determinismE0ELb1ES3_N6thrust23THRUST_200600_302600_NS6detail15normal_iteratorINS9_10device_ptrIsEEEESE_SE_sNS9_4plusIsEE19head_flag_predicatesEE10hipError_tPvRmT2_T3_T4_T5_mT6_T7_P12ihipStream_tbENKUlT_T0_E_clISt17integral_constantIbLb0EESX_IbLb1EEEEDaST_SU_EUlST_E_NS1_11comp_targetILNS1_3genE5ELNS1_11target_archE942ELNS1_3gpuE9ELNS1_3repE0EEENS1_30default_config_static_selectorELNS0_4arch9wavefront6targetE0EEEvT1_.num_agpr, 0
	.set _ZN7rocprim17ROCPRIM_400000_NS6detail17trampoline_kernelINS0_14default_configENS1_27scan_by_key_config_selectorIssEEZZNS1_16scan_by_key_implILNS1_25lookback_scan_determinismE0ELb1ES3_N6thrust23THRUST_200600_302600_NS6detail15normal_iteratorINS9_10device_ptrIsEEEESE_SE_sNS9_4plusIsEE19head_flag_predicatesEE10hipError_tPvRmT2_T3_T4_T5_mT6_T7_P12ihipStream_tbENKUlT_T0_E_clISt17integral_constantIbLb0EESX_IbLb1EEEEDaST_SU_EUlST_E_NS1_11comp_targetILNS1_3genE5ELNS1_11target_archE942ELNS1_3gpuE9ELNS1_3repE0EEENS1_30default_config_static_selectorELNS0_4arch9wavefront6targetE0EEEvT1_.numbered_sgpr, 0
	.set _ZN7rocprim17ROCPRIM_400000_NS6detail17trampoline_kernelINS0_14default_configENS1_27scan_by_key_config_selectorIssEEZZNS1_16scan_by_key_implILNS1_25lookback_scan_determinismE0ELb1ES3_N6thrust23THRUST_200600_302600_NS6detail15normal_iteratorINS9_10device_ptrIsEEEESE_SE_sNS9_4plusIsEE19head_flag_predicatesEE10hipError_tPvRmT2_T3_T4_T5_mT6_T7_P12ihipStream_tbENKUlT_T0_E_clISt17integral_constantIbLb0EESX_IbLb1EEEEDaST_SU_EUlST_E_NS1_11comp_targetILNS1_3genE5ELNS1_11target_archE942ELNS1_3gpuE9ELNS1_3repE0EEENS1_30default_config_static_selectorELNS0_4arch9wavefront6targetE0EEEvT1_.num_named_barrier, 0
	.set _ZN7rocprim17ROCPRIM_400000_NS6detail17trampoline_kernelINS0_14default_configENS1_27scan_by_key_config_selectorIssEEZZNS1_16scan_by_key_implILNS1_25lookback_scan_determinismE0ELb1ES3_N6thrust23THRUST_200600_302600_NS6detail15normal_iteratorINS9_10device_ptrIsEEEESE_SE_sNS9_4plusIsEE19head_flag_predicatesEE10hipError_tPvRmT2_T3_T4_T5_mT6_T7_P12ihipStream_tbENKUlT_T0_E_clISt17integral_constantIbLb0EESX_IbLb1EEEEDaST_SU_EUlST_E_NS1_11comp_targetILNS1_3genE5ELNS1_11target_archE942ELNS1_3gpuE9ELNS1_3repE0EEENS1_30default_config_static_selectorELNS0_4arch9wavefront6targetE0EEEvT1_.private_seg_size, 0
	.set _ZN7rocprim17ROCPRIM_400000_NS6detail17trampoline_kernelINS0_14default_configENS1_27scan_by_key_config_selectorIssEEZZNS1_16scan_by_key_implILNS1_25lookback_scan_determinismE0ELb1ES3_N6thrust23THRUST_200600_302600_NS6detail15normal_iteratorINS9_10device_ptrIsEEEESE_SE_sNS9_4plusIsEE19head_flag_predicatesEE10hipError_tPvRmT2_T3_T4_T5_mT6_T7_P12ihipStream_tbENKUlT_T0_E_clISt17integral_constantIbLb0EESX_IbLb1EEEEDaST_SU_EUlST_E_NS1_11comp_targetILNS1_3genE5ELNS1_11target_archE942ELNS1_3gpuE9ELNS1_3repE0EEENS1_30default_config_static_selectorELNS0_4arch9wavefront6targetE0EEEvT1_.uses_vcc, 0
	.set _ZN7rocprim17ROCPRIM_400000_NS6detail17trampoline_kernelINS0_14default_configENS1_27scan_by_key_config_selectorIssEEZZNS1_16scan_by_key_implILNS1_25lookback_scan_determinismE0ELb1ES3_N6thrust23THRUST_200600_302600_NS6detail15normal_iteratorINS9_10device_ptrIsEEEESE_SE_sNS9_4plusIsEE19head_flag_predicatesEE10hipError_tPvRmT2_T3_T4_T5_mT6_T7_P12ihipStream_tbENKUlT_T0_E_clISt17integral_constantIbLb0EESX_IbLb1EEEEDaST_SU_EUlST_E_NS1_11comp_targetILNS1_3genE5ELNS1_11target_archE942ELNS1_3gpuE9ELNS1_3repE0EEENS1_30default_config_static_selectorELNS0_4arch9wavefront6targetE0EEEvT1_.uses_flat_scratch, 0
	.set _ZN7rocprim17ROCPRIM_400000_NS6detail17trampoline_kernelINS0_14default_configENS1_27scan_by_key_config_selectorIssEEZZNS1_16scan_by_key_implILNS1_25lookback_scan_determinismE0ELb1ES3_N6thrust23THRUST_200600_302600_NS6detail15normal_iteratorINS9_10device_ptrIsEEEESE_SE_sNS9_4plusIsEE19head_flag_predicatesEE10hipError_tPvRmT2_T3_T4_T5_mT6_T7_P12ihipStream_tbENKUlT_T0_E_clISt17integral_constantIbLb0EESX_IbLb1EEEEDaST_SU_EUlST_E_NS1_11comp_targetILNS1_3genE5ELNS1_11target_archE942ELNS1_3gpuE9ELNS1_3repE0EEENS1_30default_config_static_selectorELNS0_4arch9wavefront6targetE0EEEvT1_.has_dyn_sized_stack, 0
	.set _ZN7rocprim17ROCPRIM_400000_NS6detail17trampoline_kernelINS0_14default_configENS1_27scan_by_key_config_selectorIssEEZZNS1_16scan_by_key_implILNS1_25lookback_scan_determinismE0ELb1ES3_N6thrust23THRUST_200600_302600_NS6detail15normal_iteratorINS9_10device_ptrIsEEEESE_SE_sNS9_4plusIsEE19head_flag_predicatesEE10hipError_tPvRmT2_T3_T4_T5_mT6_T7_P12ihipStream_tbENKUlT_T0_E_clISt17integral_constantIbLb0EESX_IbLb1EEEEDaST_SU_EUlST_E_NS1_11comp_targetILNS1_3genE5ELNS1_11target_archE942ELNS1_3gpuE9ELNS1_3repE0EEENS1_30default_config_static_selectorELNS0_4arch9wavefront6targetE0EEEvT1_.has_recursion, 0
	.set _ZN7rocprim17ROCPRIM_400000_NS6detail17trampoline_kernelINS0_14default_configENS1_27scan_by_key_config_selectorIssEEZZNS1_16scan_by_key_implILNS1_25lookback_scan_determinismE0ELb1ES3_N6thrust23THRUST_200600_302600_NS6detail15normal_iteratorINS9_10device_ptrIsEEEESE_SE_sNS9_4plusIsEE19head_flag_predicatesEE10hipError_tPvRmT2_T3_T4_T5_mT6_T7_P12ihipStream_tbENKUlT_T0_E_clISt17integral_constantIbLb0EESX_IbLb1EEEEDaST_SU_EUlST_E_NS1_11comp_targetILNS1_3genE5ELNS1_11target_archE942ELNS1_3gpuE9ELNS1_3repE0EEENS1_30default_config_static_selectorELNS0_4arch9wavefront6targetE0EEEvT1_.has_indirect_call, 0
	.section	.AMDGPU.csdata,"",@progbits
; Kernel info:
; codeLenInByte = 0
; TotalNumSgprs: 0
; NumVgprs: 0
; ScratchSize: 0
; MemoryBound: 0
; FloatMode: 240
; IeeeMode: 1
; LDSByteSize: 0 bytes/workgroup (compile time only)
; SGPRBlocks: 0
; VGPRBlocks: 0
; NumSGPRsForWavesPerEU: 1
; NumVGPRsForWavesPerEU: 1
; Occupancy: 16
; WaveLimiterHint : 0
; COMPUTE_PGM_RSRC2:SCRATCH_EN: 0
; COMPUTE_PGM_RSRC2:USER_SGPR: 6
; COMPUTE_PGM_RSRC2:TRAP_HANDLER: 0
; COMPUTE_PGM_RSRC2:TGID_X_EN: 1
; COMPUTE_PGM_RSRC2:TGID_Y_EN: 0
; COMPUTE_PGM_RSRC2:TGID_Z_EN: 0
; COMPUTE_PGM_RSRC2:TIDIG_COMP_CNT: 0
	.section	.text._ZN7rocprim17ROCPRIM_400000_NS6detail17trampoline_kernelINS0_14default_configENS1_27scan_by_key_config_selectorIssEEZZNS1_16scan_by_key_implILNS1_25lookback_scan_determinismE0ELb1ES3_N6thrust23THRUST_200600_302600_NS6detail15normal_iteratorINS9_10device_ptrIsEEEESE_SE_sNS9_4plusIsEE19head_flag_predicatesEE10hipError_tPvRmT2_T3_T4_T5_mT6_T7_P12ihipStream_tbENKUlT_T0_E_clISt17integral_constantIbLb0EESX_IbLb1EEEEDaST_SU_EUlST_E_NS1_11comp_targetILNS1_3genE4ELNS1_11target_archE910ELNS1_3gpuE8ELNS1_3repE0EEENS1_30default_config_static_selectorELNS0_4arch9wavefront6targetE0EEEvT1_,"axG",@progbits,_ZN7rocprim17ROCPRIM_400000_NS6detail17trampoline_kernelINS0_14default_configENS1_27scan_by_key_config_selectorIssEEZZNS1_16scan_by_key_implILNS1_25lookback_scan_determinismE0ELb1ES3_N6thrust23THRUST_200600_302600_NS6detail15normal_iteratorINS9_10device_ptrIsEEEESE_SE_sNS9_4plusIsEE19head_flag_predicatesEE10hipError_tPvRmT2_T3_T4_T5_mT6_T7_P12ihipStream_tbENKUlT_T0_E_clISt17integral_constantIbLb0EESX_IbLb1EEEEDaST_SU_EUlST_E_NS1_11comp_targetILNS1_3genE4ELNS1_11target_archE910ELNS1_3gpuE8ELNS1_3repE0EEENS1_30default_config_static_selectorELNS0_4arch9wavefront6targetE0EEEvT1_,comdat
	.protected	_ZN7rocprim17ROCPRIM_400000_NS6detail17trampoline_kernelINS0_14default_configENS1_27scan_by_key_config_selectorIssEEZZNS1_16scan_by_key_implILNS1_25lookback_scan_determinismE0ELb1ES3_N6thrust23THRUST_200600_302600_NS6detail15normal_iteratorINS9_10device_ptrIsEEEESE_SE_sNS9_4plusIsEE19head_flag_predicatesEE10hipError_tPvRmT2_T3_T4_T5_mT6_T7_P12ihipStream_tbENKUlT_T0_E_clISt17integral_constantIbLb0EESX_IbLb1EEEEDaST_SU_EUlST_E_NS1_11comp_targetILNS1_3genE4ELNS1_11target_archE910ELNS1_3gpuE8ELNS1_3repE0EEENS1_30default_config_static_selectorELNS0_4arch9wavefront6targetE0EEEvT1_ ; -- Begin function _ZN7rocprim17ROCPRIM_400000_NS6detail17trampoline_kernelINS0_14default_configENS1_27scan_by_key_config_selectorIssEEZZNS1_16scan_by_key_implILNS1_25lookback_scan_determinismE0ELb1ES3_N6thrust23THRUST_200600_302600_NS6detail15normal_iteratorINS9_10device_ptrIsEEEESE_SE_sNS9_4plusIsEE19head_flag_predicatesEE10hipError_tPvRmT2_T3_T4_T5_mT6_T7_P12ihipStream_tbENKUlT_T0_E_clISt17integral_constantIbLb0EESX_IbLb1EEEEDaST_SU_EUlST_E_NS1_11comp_targetILNS1_3genE4ELNS1_11target_archE910ELNS1_3gpuE8ELNS1_3repE0EEENS1_30default_config_static_selectorELNS0_4arch9wavefront6targetE0EEEvT1_
	.globl	_ZN7rocprim17ROCPRIM_400000_NS6detail17trampoline_kernelINS0_14default_configENS1_27scan_by_key_config_selectorIssEEZZNS1_16scan_by_key_implILNS1_25lookback_scan_determinismE0ELb1ES3_N6thrust23THRUST_200600_302600_NS6detail15normal_iteratorINS9_10device_ptrIsEEEESE_SE_sNS9_4plusIsEE19head_flag_predicatesEE10hipError_tPvRmT2_T3_T4_T5_mT6_T7_P12ihipStream_tbENKUlT_T0_E_clISt17integral_constantIbLb0EESX_IbLb1EEEEDaST_SU_EUlST_E_NS1_11comp_targetILNS1_3genE4ELNS1_11target_archE910ELNS1_3gpuE8ELNS1_3repE0EEENS1_30default_config_static_selectorELNS0_4arch9wavefront6targetE0EEEvT1_
	.p2align	8
	.type	_ZN7rocprim17ROCPRIM_400000_NS6detail17trampoline_kernelINS0_14default_configENS1_27scan_by_key_config_selectorIssEEZZNS1_16scan_by_key_implILNS1_25lookback_scan_determinismE0ELb1ES3_N6thrust23THRUST_200600_302600_NS6detail15normal_iteratorINS9_10device_ptrIsEEEESE_SE_sNS9_4plusIsEE19head_flag_predicatesEE10hipError_tPvRmT2_T3_T4_T5_mT6_T7_P12ihipStream_tbENKUlT_T0_E_clISt17integral_constantIbLb0EESX_IbLb1EEEEDaST_SU_EUlST_E_NS1_11comp_targetILNS1_3genE4ELNS1_11target_archE910ELNS1_3gpuE8ELNS1_3repE0EEENS1_30default_config_static_selectorELNS0_4arch9wavefront6targetE0EEEvT1_,@function
_ZN7rocprim17ROCPRIM_400000_NS6detail17trampoline_kernelINS0_14default_configENS1_27scan_by_key_config_selectorIssEEZZNS1_16scan_by_key_implILNS1_25lookback_scan_determinismE0ELb1ES3_N6thrust23THRUST_200600_302600_NS6detail15normal_iteratorINS9_10device_ptrIsEEEESE_SE_sNS9_4plusIsEE19head_flag_predicatesEE10hipError_tPvRmT2_T3_T4_T5_mT6_T7_P12ihipStream_tbENKUlT_T0_E_clISt17integral_constantIbLb0EESX_IbLb1EEEEDaST_SU_EUlST_E_NS1_11comp_targetILNS1_3genE4ELNS1_11target_archE910ELNS1_3gpuE8ELNS1_3repE0EEENS1_30default_config_static_selectorELNS0_4arch9wavefront6targetE0EEEvT1_: ; @_ZN7rocprim17ROCPRIM_400000_NS6detail17trampoline_kernelINS0_14default_configENS1_27scan_by_key_config_selectorIssEEZZNS1_16scan_by_key_implILNS1_25lookback_scan_determinismE0ELb1ES3_N6thrust23THRUST_200600_302600_NS6detail15normal_iteratorINS9_10device_ptrIsEEEESE_SE_sNS9_4plusIsEE19head_flag_predicatesEE10hipError_tPvRmT2_T3_T4_T5_mT6_T7_P12ihipStream_tbENKUlT_T0_E_clISt17integral_constantIbLb0EESX_IbLb1EEEEDaST_SU_EUlST_E_NS1_11comp_targetILNS1_3genE4ELNS1_11target_archE910ELNS1_3gpuE8ELNS1_3repE0EEENS1_30default_config_static_selectorELNS0_4arch9wavefront6targetE0EEEvT1_
; %bb.0:
	.section	.rodata,"a",@progbits
	.p2align	6, 0x0
	.amdhsa_kernel _ZN7rocprim17ROCPRIM_400000_NS6detail17trampoline_kernelINS0_14default_configENS1_27scan_by_key_config_selectorIssEEZZNS1_16scan_by_key_implILNS1_25lookback_scan_determinismE0ELb1ES3_N6thrust23THRUST_200600_302600_NS6detail15normal_iteratorINS9_10device_ptrIsEEEESE_SE_sNS9_4plusIsEE19head_flag_predicatesEE10hipError_tPvRmT2_T3_T4_T5_mT6_T7_P12ihipStream_tbENKUlT_T0_E_clISt17integral_constantIbLb0EESX_IbLb1EEEEDaST_SU_EUlST_E_NS1_11comp_targetILNS1_3genE4ELNS1_11target_archE910ELNS1_3gpuE8ELNS1_3repE0EEENS1_30default_config_static_selectorELNS0_4arch9wavefront6targetE0EEEvT1_
		.amdhsa_group_segment_fixed_size 0
		.amdhsa_private_segment_fixed_size 0
		.amdhsa_kernarg_size 112
		.amdhsa_user_sgpr_count 6
		.amdhsa_user_sgpr_private_segment_buffer 1
		.amdhsa_user_sgpr_dispatch_ptr 0
		.amdhsa_user_sgpr_queue_ptr 0
		.amdhsa_user_sgpr_kernarg_segment_ptr 1
		.amdhsa_user_sgpr_dispatch_id 0
		.amdhsa_user_sgpr_flat_scratch_init 0
		.amdhsa_user_sgpr_private_segment_size 0
		.amdhsa_wavefront_size32 1
		.amdhsa_uses_dynamic_stack 0
		.amdhsa_system_sgpr_private_segment_wavefront_offset 0
		.amdhsa_system_sgpr_workgroup_id_x 1
		.amdhsa_system_sgpr_workgroup_id_y 0
		.amdhsa_system_sgpr_workgroup_id_z 0
		.amdhsa_system_sgpr_workgroup_info 0
		.amdhsa_system_vgpr_workitem_id 0
		.amdhsa_next_free_vgpr 1
		.amdhsa_next_free_sgpr 1
		.amdhsa_reserve_vcc 0
		.amdhsa_reserve_flat_scratch 0
		.amdhsa_float_round_mode_32 0
		.amdhsa_float_round_mode_16_64 0
		.amdhsa_float_denorm_mode_32 3
		.amdhsa_float_denorm_mode_16_64 3
		.amdhsa_dx10_clamp 1
		.amdhsa_ieee_mode 1
		.amdhsa_fp16_overflow 0
		.amdhsa_workgroup_processor_mode 1
		.amdhsa_memory_ordered 1
		.amdhsa_forward_progress 1
		.amdhsa_shared_vgpr_count 0
		.amdhsa_exception_fp_ieee_invalid_op 0
		.amdhsa_exception_fp_denorm_src 0
		.amdhsa_exception_fp_ieee_div_zero 0
		.amdhsa_exception_fp_ieee_overflow 0
		.amdhsa_exception_fp_ieee_underflow 0
		.amdhsa_exception_fp_ieee_inexact 0
		.amdhsa_exception_int_div_zero 0
	.end_amdhsa_kernel
	.section	.text._ZN7rocprim17ROCPRIM_400000_NS6detail17trampoline_kernelINS0_14default_configENS1_27scan_by_key_config_selectorIssEEZZNS1_16scan_by_key_implILNS1_25lookback_scan_determinismE0ELb1ES3_N6thrust23THRUST_200600_302600_NS6detail15normal_iteratorINS9_10device_ptrIsEEEESE_SE_sNS9_4plusIsEE19head_flag_predicatesEE10hipError_tPvRmT2_T3_T4_T5_mT6_T7_P12ihipStream_tbENKUlT_T0_E_clISt17integral_constantIbLb0EESX_IbLb1EEEEDaST_SU_EUlST_E_NS1_11comp_targetILNS1_3genE4ELNS1_11target_archE910ELNS1_3gpuE8ELNS1_3repE0EEENS1_30default_config_static_selectorELNS0_4arch9wavefront6targetE0EEEvT1_,"axG",@progbits,_ZN7rocprim17ROCPRIM_400000_NS6detail17trampoline_kernelINS0_14default_configENS1_27scan_by_key_config_selectorIssEEZZNS1_16scan_by_key_implILNS1_25lookback_scan_determinismE0ELb1ES3_N6thrust23THRUST_200600_302600_NS6detail15normal_iteratorINS9_10device_ptrIsEEEESE_SE_sNS9_4plusIsEE19head_flag_predicatesEE10hipError_tPvRmT2_T3_T4_T5_mT6_T7_P12ihipStream_tbENKUlT_T0_E_clISt17integral_constantIbLb0EESX_IbLb1EEEEDaST_SU_EUlST_E_NS1_11comp_targetILNS1_3genE4ELNS1_11target_archE910ELNS1_3gpuE8ELNS1_3repE0EEENS1_30default_config_static_selectorELNS0_4arch9wavefront6targetE0EEEvT1_,comdat
.Lfunc_end887:
	.size	_ZN7rocprim17ROCPRIM_400000_NS6detail17trampoline_kernelINS0_14default_configENS1_27scan_by_key_config_selectorIssEEZZNS1_16scan_by_key_implILNS1_25lookback_scan_determinismE0ELb1ES3_N6thrust23THRUST_200600_302600_NS6detail15normal_iteratorINS9_10device_ptrIsEEEESE_SE_sNS9_4plusIsEE19head_flag_predicatesEE10hipError_tPvRmT2_T3_T4_T5_mT6_T7_P12ihipStream_tbENKUlT_T0_E_clISt17integral_constantIbLb0EESX_IbLb1EEEEDaST_SU_EUlST_E_NS1_11comp_targetILNS1_3genE4ELNS1_11target_archE910ELNS1_3gpuE8ELNS1_3repE0EEENS1_30default_config_static_selectorELNS0_4arch9wavefront6targetE0EEEvT1_, .Lfunc_end887-_ZN7rocprim17ROCPRIM_400000_NS6detail17trampoline_kernelINS0_14default_configENS1_27scan_by_key_config_selectorIssEEZZNS1_16scan_by_key_implILNS1_25lookback_scan_determinismE0ELb1ES3_N6thrust23THRUST_200600_302600_NS6detail15normal_iteratorINS9_10device_ptrIsEEEESE_SE_sNS9_4plusIsEE19head_flag_predicatesEE10hipError_tPvRmT2_T3_T4_T5_mT6_T7_P12ihipStream_tbENKUlT_T0_E_clISt17integral_constantIbLb0EESX_IbLb1EEEEDaST_SU_EUlST_E_NS1_11comp_targetILNS1_3genE4ELNS1_11target_archE910ELNS1_3gpuE8ELNS1_3repE0EEENS1_30default_config_static_selectorELNS0_4arch9wavefront6targetE0EEEvT1_
                                        ; -- End function
	.set _ZN7rocprim17ROCPRIM_400000_NS6detail17trampoline_kernelINS0_14default_configENS1_27scan_by_key_config_selectorIssEEZZNS1_16scan_by_key_implILNS1_25lookback_scan_determinismE0ELb1ES3_N6thrust23THRUST_200600_302600_NS6detail15normal_iteratorINS9_10device_ptrIsEEEESE_SE_sNS9_4plusIsEE19head_flag_predicatesEE10hipError_tPvRmT2_T3_T4_T5_mT6_T7_P12ihipStream_tbENKUlT_T0_E_clISt17integral_constantIbLb0EESX_IbLb1EEEEDaST_SU_EUlST_E_NS1_11comp_targetILNS1_3genE4ELNS1_11target_archE910ELNS1_3gpuE8ELNS1_3repE0EEENS1_30default_config_static_selectorELNS0_4arch9wavefront6targetE0EEEvT1_.num_vgpr, 0
	.set _ZN7rocprim17ROCPRIM_400000_NS6detail17trampoline_kernelINS0_14default_configENS1_27scan_by_key_config_selectorIssEEZZNS1_16scan_by_key_implILNS1_25lookback_scan_determinismE0ELb1ES3_N6thrust23THRUST_200600_302600_NS6detail15normal_iteratorINS9_10device_ptrIsEEEESE_SE_sNS9_4plusIsEE19head_flag_predicatesEE10hipError_tPvRmT2_T3_T4_T5_mT6_T7_P12ihipStream_tbENKUlT_T0_E_clISt17integral_constantIbLb0EESX_IbLb1EEEEDaST_SU_EUlST_E_NS1_11comp_targetILNS1_3genE4ELNS1_11target_archE910ELNS1_3gpuE8ELNS1_3repE0EEENS1_30default_config_static_selectorELNS0_4arch9wavefront6targetE0EEEvT1_.num_agpr, 0
	.set _ZN7rocprim17ROCPRIM_400000_NS6detail17trampoline_kernelINS0_14default_configENS1_27scan_by_key_config_selectorIssEEZZNS1_16scan_by_key_implILNS1_25lookback_scan_determinismE0ELb1ES3_N6thrust23THRUST_200600_302600_NS6detail15normal_iteratorINS9_10device_ptrIsEEEESE_SE_sNS9_4plusIsEE19head_flag_predicatesEE10hipError_tPvRmT2_T3_T4_T5_mT6_T7_P12ihipStream_tbENKUlT_T0_E_clISt17integral_constantIbLb0EESX_IbLb1EEEEDaST_SU_EUlST_E_NS1_11comp_targetILNS1_3genE4ELNS1_11target_archE910ELNS1_3gpuE8ELNS1_3repE0EEENS1_30default_config_static_selectorELNS0_4arch9wavefront6targetE0EEEvT1_.numbered_sgpr, 0
	.set _ZN7rocprim17ROCPRIM_400000_NS6detail17trampoline_kernelINS0_14default_configENS1_27scan_by_key_config_selectorIssEEZZNS1_16scan_by_key_implILNS1_25lookback_scan_determinismE0ELb1ES3_N6thrust23THRUST_200600_302600_NS6detail15normal_iteratorINS9_10device_ptrIsEEEESE_SE_sNS9_4plusIsEE19head_flag_predicatesEE10hipError_tPvRmT2_T3_T4_T5_mT6_T7_P12ihipStream_tbENKUlT_T0_E_clISt17integral_constantIbLb0EESX_IbLb1EEEEDaST_SU_EUlST_E_NS1_11comp_targetILNS1_3genE4ELNS1_11target_archE910ELNS1_3gpuE8ELNS1_3repE0EEENS1_30default_config_static_selectorELNS0_4arch9wavefront6targetE0EEEvT1_.num_named_barrier, 0
	.set _ZN7rocprim17ROCPRIM_400000_NS6detail17trampoline_kernelINS0_14default_configENS1_27scan_by_key_config_selectorIssEEZZNS1_16scan_by_key_implILNS1_25lookback_scan_determinismE0ELb1ES3_N6thrust23THRUST_200600_302600_NS6detail15normal_iteratorINS9_10device_ptrIsEEEESE_SE_sNS9_4plusIsEE19head_flag_predicatesEE10hipError_tPvRmT2_T3_T4_T5_mT6_T7_P12ihipStream_tbENKUlT_T0_E_clISt17integral_constantIbLb0EESX_IbLb1EEEEDaST_SU_EUlST_E_NS1_11comp_targetILNS1_3genE4ELNS1_11target_archE910ELNS1_3gpuE8ELNS1_3repE0EEENS1_30default_config_static_selectorELNS0_4arch9wavefront6targetE0EEEvT1_.private_seg_size, 0
	.set _ZN7rocprim17ROCPRIM_400000_NS6detail17trampoline_kernelINS0_14default_configENS1_27scan_by_key_config_selectorIssEEZZNS1_16scan_by_key_implILNS1_25lookback_scan_determinismE0ELb1ES3_N6thrust23THRUST_200600_302600_NS6detail15normal_iteratorINS9_10device_ptrIsEEEESE_SE_sNS9_4plusIsEE19head_flag_predicatesEE10hipError_tPvRmT2_T3_T4_T5_mT6_T7_P12ihipStream_tbENKUlT_T0_E_clISt17integral_constantIbLb0EESX_IbLb1EEEEDaST_SU_EUlST_E_NS1_11comp_targetILNS1_3genE4ELNS1_11target_archE910ELNS1_3gpuE8ELNS1_3repE0EEENS1_30default_config_static_selectorELNS0_4arch9wavefront6targetE0EEEvT1_.uses_vcc, 0
	.set _ZN7rocprim17ROCPRIM_400000_NS6detail17trampoline_kernelINS0_14default_configENS1_27scan_by_key_config_selectorIssEEZZNS1_16scan_by_key_implILNS1_25lookback_scan_determinismE0ELb1ES3_N6thrust23THRUST_200600_302600_NS6detail15normal_iteratorINS9_10device_ptrIsEEEESE_SE_sNS9_4plusIsEE19head_flag_predicatesEE10hipError_tPvRmT2_T3_T4_T5_mT6_T7_P12ihipStream_tbENKUlT_T0_E_clISt17integral_constantIbLb0EESX_IbLb1EEEEDaST_SU_EUlST_E_NS1_11comp_targetILNS1_3genE4ELNS1_11target_archE910ELNS1_3gpuE8ELNS1_3repE0EEENS1_30default_config_static_selectorELNS0_4arch9wavefront6targetE0EEEvT1_.uses_flat_scratch, 0
	.set _ZN7rocprim17ROCPRIM_400000_NS6detail17trampoline_kernelINS0_14default_configENS1_27scan_by_key_config_selectorIssEEZZNS1_16scan_by_key_implILNS1_25lookback_scan_determinismE0ELb1ES3_N6thrust23THRUST_200600_302600_NS6detail15normal_iteratorINS9_10device_ptrIsEEEESE_SE_sNS9_4plusIsEE19head_flag_predicatesEE10hipError_tPvRmT2_T3_T4_T5_mT6_T7_P12ihipStream_tbENKUlT_T0_E_clISt17integral_constantIbLb0EESX_IbLb1EEEEDaST_SU_EUlST_E_NS1_11comp_targetILNS1_3genE4ELNS1_11target_archE910ELNS1_3gpuE8ELNS1_3repE0EEENS1_30default_config_static_selectorELNS0_4arch9wavefront6targetE0EEEvT1_.has_dyn_sized_stack, 0
	.set _ZN7rocprim17ROCPRIM_400000_NS6detail17trampoline_kernelINS0_14default_configENS1_27scan_by_key_config_selectorIssEEZZNS1_16scan_by_key_implILNS1_25lookback_scan_determinismE0ELb1ES3_N6thrust23THRUST_200600_302600_NS6detail15normal_iteratorINS9_10device_ptrIsEEEESE_SE_sNS9_4plusIsEE19head_flag_predicatesEE10hipError_tPvRmT2_T3_T4_T5_mT6_T7_P12ihipStream_tbENKUlT_T0_E_clISt17integral_constantIbLb0EESX_IbLb1EEEEDaST_SU_EUlST_E_NS1_11comp_targetILNS1_3genE4ELNS1_11target_archE910ELNS1_3gpuE8ELNS1_3repE0EEENS1_30default_config_static_selectorELNS0_4arch9wavefront6targetE0EEEvT1_.has_recursion, 0
	.set _ZN7rocprim17ROCPRIM_400000_NS6detail17trampoline_kernelINS0_14default_configENS1_27scan_by_key_config_selectorIssEEZZNS1_16scan_by_key_implILNS1_25lookback_scan_determinismE0ELb1ES3_N6thrust23THRUST_200600_302600_NS6detail15normal_iteratorINS9_10device_ptrIsEEEESE_SE_sNS9_4plusIsEE19head_flag_predicatesEE10hipError_tPvRmT2_T3_T4_T5_mT6_T7_P12ihipStream_tbENKUlT_T0_E_clISt17integral_constantIbLb0EESX_IbLb1EEEEDaST_SU_EUlST_E_NS1_11comp_targetILNS1_3genE4ELNS1_11target_archE910ELNS1_3gpuE8ELNS1_3repE0EEENS1_30default_config_static_selectorELNS0_4arch9wavefront6targetE0EEEvT1_.has_indirect_call, 0
	.section	.AMDGPU.csdata,"",@progbits
; Kernel info:
; codeLenInByte = 0
; TotalNumSgprs: 0
; NumVgprs: 0
; ScratchSize: 0
; MemoryBound: 0
; FloatMode: 240
; IeeeMode: 1
; LDSByteSize: 0 bytes/workgroup (compile time only)
; SGPRBlocks: 0
; VGPRBlocks: 0
; NumSGPRsForWavesPerEU: 1
; NumVGPRsForWavesPerEU: 1
; Occupancy: 16
; WaveLimiterHint : 0
; COMPUTE_PGM_RSRC2:SCRATCH_EN: 0
; COMPUTE_PGM_RSRC2:USER_SGPR: 6
; COMPUTE_PGM_RSRC2:TRAP_HANDLER: 0
; COMPUTE_PGM_RSRC2:TGID_X_EN: 1
; COMPUTE_PGM_RSRC2:TGID_Y_EN: 0
; COMPUTE_PGM_RSRC2:TGID_Z_EN: 0
; COMPUTE_PGM_RSRC2:TIDIG_COMP_CNT: 0
	.section	.text._ZN7rocprim17ROCPRIM_400000_NS6detail17trampoline_kernelINS0_14default_configENS1_27scan_by_key_config_selectorIssEEZZNS1_16scan_by_key_implILNS1_25lookback_scan_determinismE0ELb1ES3_N6thrust23THRUST_200600_302600_NS6detail15normal_iteratorINS9_10device_ptrIsEEEESE_SE_sNS9_4plusIsEE19head_flag_predicatesEE10hipError_tPvRmT2_T3_T4_T5_mT6_T7_P12ihipStream_tbENKUlT_T0_E_clISt17integral_constantIbLb0EESX_IbLb1EEEEDaST_SU_EUlST_E_NS1_11comp_targetILNS1_3genE3ELNS1_11target_archE908ELNS1_3gpuE7ELNS1_3repE0EEENS1_30default_config_static_selectorELNS0_4arch9wavefront6targetE0EEEvT1_,"axG",@progbits,_ZN7rocprim17ROCPRIM_400000_NS6detail17trampoline_kernelINS0_14default_configENS1_27scan_by_key_config_selectorIssEEZZNS1_16scan_by_key_implILNS1_25lookback_scan_determinismE0ELb1ES3_N6thrust23THRUST_200600_302600_NS6detail15normal_iteratorINS9_10device_ptrIsEEEESE_SE_sNS9_4plusIsEE19head_flag_predicatesEE10hipError_tPvRmT2_T3_T4_T5_mT6_T7_P12ihipStream_tbENKUlT_T0_E_clISt17integral_constantIbLb0EESX_IbLb1EEEEDaST_SU_EUlST_E_NS1_11comp_targetILNS1_3genE3ELNS1_11target_archE908ELNS1_3gpuE7ELNS1_3repE0EEENS1_30default_config_static_selectorELNS0_4arch9wavefront6targetE0EEEvT1_,comdat
	.protected	_ZN7rocprim17ROCPRIM_400000_NS6detail17trampoline_kernelINS0_14default_configENS1_27scan_by_key_config_selectorIssEEZZNS1_16scan_by_key_implILNS1_25lookback_scan_determinismE0ELb1ES3_N6thrust23THRUST_200600_302600_NS6detail15normal_iteratorINS9_10device_ptrIsEEEESE_SE_sNS9_4plusIsEE19head_flag_predicatesEE10hipError_tPvRmT2_T3_T4_T5_mT6_T7_P12ihipStream_tbENKUlT_T0_E_clISt17integral_constantIbLb0EESX_IbLb1EEEEDaST_SU_EUlST_E_NS1_11comp_targetILNS1_3genE3ELNS1_11target_archE908ELNS1_3gpuE7ELNS1_3repE0EEENS1_30default_config_static_selectorELNS0_4arch9wavefront6targetE0EEEvT1_ ; -- Begin function _ZN7rocprim17ROCPRIM_400000_NS6detail17trampoline_kernelINS0_14default_configENS1_27scan_by_key_config_selectorIssEEZZNS1_16scan_by_key_implILNS1_25lookback_scan_determinismE0ELb1ES3_N6thrust23THRUST_200600_302600_NS6detail15normal_iteratorINS9_10device_ptrIsEEEESE_SE_sNS9_4plusIsEE19head_flag_predicatesEE10hipError_tPvRmT2_T3_T4_T5_mT6_T7_P12ihipStream_tbENKUlT_T0_E_clISt17integral_constantIbLb0EESX_IbLb1EEEEDaST_SU_EUlST_E_NS1_11comp_targetILNS1_3genE3ELNS1_11target_archE908ELNS1_3gpuE7ELNS1_3repE0EEENS1_30default_config_static_selectorELNS0_4arch9wavefront6targetE0EEEvT1_
	.globl	_ZN7rocprim17ROCPRIM_400000_NS6detail17trampoline_kernelINS0_14default_configENS1_27scan_by_key_config_selectorIssEEZZNS1_16scan_by_key_implILNS1_25lookback_scan_determinismE0ELb1ES3_N6thrust23THRUST_200600_302600_NS6detail15normal_iteratorINS9_10device_ptrIsEEEESE_SE_sNS9_4plusIsEE19head_flag_predicatesEE10hipError_tPvRmT2_T3_T4_T5_mT6_T7_P12ihipStream_tbENKUlT_T0_E_clISt17integral_constantIbLb0EESX_IbLb1EEEEDaST_SU_EUlST_E_NS1_11comp_targetILNS1_3genE3ELNS1_11target_archE908ELNS1_3gpuE7ELNS1_3repE0EEENS1_30default_config_static_selectorELNS0_4arch9wavefront6targetE0EEEvT1_
	.p2align	8
	.type	_ZN7rocprim17ROCPRIM_400000_NS6detail17trampoline_kernelINS0_14default_configENS1_27scan_by_key_config_selectorIssEEZZNS1_16scan_by_key_implILNS1_25lookback_scan_determinismE0ELb1ES3_N6thrust23THRUST_200600_302600_NS6detail15normal_iteratorINS9_10device_ptrIsEEEESE_SE_sNS9_4plusIsEE19head_flag_predicatesEE10hipError_tPvRmT2_T3_T4_T5_mT6_T7_P12ihipStream_tbENKUlT_T0_E_clISt17integral_constantIbLb0EESX_IbLb1EEEEDaST_SU_EUlST_E_NS1_11comp_targetILNS1_3genE3ELNS1_11target_archE908ELNS1_3gpuE7ELNS1_3repE0EEENS1_30default_config_static_selectorELNS0_4arch9wavefront6targetE0EEEvT1_,@function
_ZN7rocprim17ROCPRIM_400000_NS6detail17trampoline_kernelINS0_14default_configENS1_27scan_by_key_config_selectorIssEEZZNS1_16scan_by_key_implILNS1_25lookback_scan_determinismE0ELb1ES3_N6thrust23THRUST_200600_302600_NS6detail15normal_iteratorINS9_10device_ptrIsEEEESE_SE_sNS9_4plusIsEE19head_flag_predicatesEE10hipError_tPvRmT2_T3_T4_T5_mT6_T7_P12ihipStream_tbENKUlT_T0_E_clISt17integral_constantIbLb0EESX_IbLb1EEEEDaST_SU_EUlST_E_NS1_11comp_targetILNS1_3genE3ELNS1_11target_archE908ELNS1_3gpuE7ELNS1_3repE0EEENS1_30default_config_static_selectorELNS0_4arch9wavefront6targetE0EEEvT1_: ; @_ZN7rocprim17ROCPRIM_400000_NS6detail17trampoline_kernelINS0_14default_configENS1_27scan_by_key_config_selectorIssEEZZNS1_16scan_by_key_implILNS1_25lookback_scan_determinismE0ELb1ES3_N6thrust23THRUST_200600_302600_NS6detail15normal_iteratorINS9_10device_ptrIsEEEESE_SE_sNS9_4plusIsEE19head_flag_predicatesEE10hipError_tPvRmT2_T3_T4_T5_mT6_T7_P12ihipStream_tbENKUlT_T0_E_clISt17integral_constantIbLb0EESX_IbLb1EEEEDaST_SU_EUlST_E_NS1_11comp_targetILNS1_3genE3ELNS1_11target_archE908ELNS1_3gpuE7ELNS1_3repE0EEENS1_30default_config_static_selectorELNS0_4arch9wavefront6targetE0EEEvT1_
; %bb.0:
	.section	.rodata,"a",@progbits
	.p2align	6, 0x0
	.amdhsa_kernel _ZN7rocprim17ROCPRIM_400000_NS6detail17trampoline_kernelINS0_14default_configENS1_27scan_by_key_config_selectorIssEEZZNS1_16scan_by_key_implILNS1_25lookback_scan_determinismE0ELb1ES3_N6thrust23THRUST_200600_302600_NS6detail15normal_iteratorINS9_10device_ptrIsEEEESE_SE_sNS9_4plusIsEE19head_flag_predicatesEE10hipError_tPvRmT2_T3_T4_T5_mT6_T7_P12ihipStream_tbENKUlT_T0_E_clISt17integral_constantIbLb0EESX_IbLb1EEEEDaST_SU_EUlST_E_NS1_11comp_targetILNS1_3genE3ELNS1_11target_archE908ELNS1_3gpuE7ELNS1_3repE0EEENS1_30default_config_static_selectorELNS0_4arch9wavefront6targetE0EEEvT1_
		.amdhsa_group_segment_fixed_size 0
		.amdhsa_private_segment_fixed_size 0
		.amdhsa_kernarg_size 112
		.amdhsa_user_sgpr_count 6
		.amdhsa_user_sgpr_private_segment_buffer 1
		.amdhsa_user_sgpr_dispatch_ptr 0
		.amdhsa_user_sgpr_queue_ptr 0
		.amdhsa_user_sgpr_kernarg_segment_ptr 1
		.amdhsa_user_sgpr_dispatch_id 0
		.amdhsa_user_sgpr_flat_scratch_init 0
		.amdhsa_user_sgpr_private_segment_size 0
		.amdhsa_wavefront_size32 1
		.amdhsa_uses_dynamic_stack 0
		.amdhsa_system_sgpr_private_segment_wavefront_offset 0
		.amdhsa_system_sgpr_workgroup_id_x 1
		.amdhsa_system_sgpr_workgroup_id_y 0
		.amdhsa_system_sgpr_workgroup_id_z 0
		.amdhsa_system_sgpr_workgroup_info 0
		.amdhsa_system_vgpr_workitem_id 0
		.amdhsa_next_free_vgpr 1
		.amdhsa_next_free_sgpr 1
		.amdhsa_reserve_vcc 0
		.amdhsa_reserve_flat_scratch 0
		.amdhsa_float_round_mode_32 0
		.amdhsa_float_round_mode_16_64 0
		.amdhsa_float_denorm_mode_32 3
		.amdhsa_float_denorm_mode_16_64 3
		.amdhsa_dx10_clamp 1
		.amdhsa_ieee_mode 1
		.amdhsa_fp16_overflow 0
		.amdhsa_workgroup_processor_mode 1
		.amdhsa_memory_ordered 1
		.amdhsa_forward_progress 1
		.amdhsa_shared_vgpr_count 0
		.amdhsa_exception_fp_ieee_invalid_op 0
		.amdhsa_exception_fp_denorm_src 0
		.amdhsa_exception_fp_ieee_div_zero 0
		.amdhsa_exception_fp_ieee_overflow 0
		.amdhsa_exception_fp_ieee_underflow 0
		.amdhsa_exception_fp_ieee_inexact 0
		.amdhsa_exception_int_div_zero 0
	.end_amdhsa_kernel
	.section	.text._ZN7rocprim17ROCPRIM_400000_NS6detail17trampoline_kernelINS0_14default_configENS1_27scan_by_key_config_selectorIssEEZZNS1_16scan_by_key_implILNS1_25lookback_scan_determinismE0ELb1ES3_N6thrust23THRUST_200600_302600_NS6detail15normal_iteratorINS9_10device_ptrIsEEEESE_SE_sNS9_4plusIsEE19head_flag_predicatesEE10hipError_tPvRmT2_T3_T4_T5_mT6_T7_P12ihipStream_tbENKUlT_T0_E_clISt17integral_constantIbLb0EESX_IbLb1EEEEDaST_SU_EUlST_E_NS1_11comp_targetILNS1_3genE3ELNS1_11target_archE908ELNS1_3gpuE7ELNS1_3repE0EEENS1_30default_config_static_selectorELNS0_4arch9wavefront6targetE0EEEvT1_,"axG",@progbits,_ZN7rocprim17ROCPRIM_400000_NS6detail17trampoline_kernelINS0_14default_configENS1_27scan_by_key_config_selectorIssEEZZNS1_16scan_by_key_implILNS1_25lookback_scan_determinismE0ELb1ES3_N6thrust23THRUST_200600_302600_NS6detail15normal_iteratorINS9_10device_ptrIsEEEESE_SE_sNS9_4plusIsEE19head_flag_predicatesEE10hipError_tPvRmT2_T3_T4_T5_mT6_T7_P12ihipStream_tbENKUlT_T0_E_clISt17integral_constantIbLb0EESX_IbLb1EEEEDaST_SU_EUlST_E_NS1_11comp_targetILNS1_3genE3ELNS1_11target_archE908ELNS1_3gpuE7ELNS1_3repE0EEENS1_30default_config_static_selectorELNS0_4arch9wavefront6targetE0EEEvT1_,comdat
.Lfunc_end888:
	.size	_ZN7rocprim17ROCPRIM_400000_NS6detail17trampoline_kernelINS0_14default_configENS1_27scan_by_key_config_selectorIssEEZZNS1_16scan_by_key_implILNS1_25lookback_scan_determinismE0ELb1ES3_N6thrust23THRUST_200600_302600_NS6detail15normal_iteratorINS9_10device_ptrIsEEEESE_SE_sNS9_4plusIsEE19head_flag_predicatesEE10hipError_tPvRmT2_T3_T4_T5_mT6_T7_P12ihipStream_tbENKUlT_T0_E_clISt17integral_constantIbLb0EESX_IbLb1EEEEDaST_SU_EUlST_E_NS1_11comp_targetILNS1_3genE3ELNS1_11target_archE908ELNS1_3gpuE7ELNS1_3repE0EEENS1_30default_config_static_selectorELNS0_4arch9wavefront6targetE0EEEvT1_, .Lfunc_end888-_ZN7rocprim17ROCPRIM_400000_NS6detail17trampoline_kernelINS0_14default_configENS1_27scan_by_key_config_selectorIssEEZZNS1_16scan_by_key_implILNS1_25lookback_scan_determinismE0ELb1ES3_N6thrust23THRUST_200600_302600_NS6detail15normal_iteratorINS9_10device_ptrIsEEEESE_SE_sNS9_4plusIsEE19head_flag_predicatesEE10hipError_tPvRmT2_T3_T4_T5_mT6_T7_P12ihipStream_tbENKUlT_T0_E_clISt17integral_constantIbLb0EESX_IbLb1EEEEDaST_SU_EUlST_E_NS1_11comp_targetILNS1_3genE3ELNS1_11target_archE908ELNS1_3gpuE7ELNS1_3repE0EEENS1_30default_config_static_selectorELNS0_4arch9wavefront6targetE0EEEvT1_
                                        ; -- End function
	.set _ZN7rocprim17ROCPRIM_400000_NS6detail17trampoline_kernelINS0_14default_configENS1_27scan_by_key_config_selectorIssEEZZNS1_16scan_by_key_implILNS1_25lookback_scan_determinismE0ELb1ES3_N6thrust23THRUST_200600_302600_NS6detail15normal_iteratorINS9_10device_ptrIsEEEESE_SE_sNS9_4plusIsEE19head_flag_predicatesEE10hipError_tPvRmT2_T3_T4_T5_mT6_T7_P12ihipStream_tbENKUlT_T0_E_clISt17integral_constantIbLb0EESX_IbLb1EEEEDaST_SU_EUlST_E_NS1_11comp_targetILNS1_3genE3ELNS1_11target_archE908ELNS1_3gpuE7ELNS1_3repE0EEENS1_30default_config_static_selectorELNS0_4arch9wavefront6targetE0EEEvT1_.num_vgpr, 0
	.set _ZN7rocprim17ROCPRIM_400000_NS6detail17trampoline_kernelINS0_14default_configENS1_27scan_by_key_config_selectorIssEEZZNS1_16scan_by_key_implILNS1_25lookback_scan_determinismE0ELb1ES3_N6thrust23THRUST_200600_302600_NS6detail15normal_iteratorINS9_10device_ptrIsEEEESE_SE_sNS9_4plusIsEE19head_flag_predicatesEE10hipError_tPvRmT2_T3_T4_T5_mT6_T7_P12ihipStream_tbENKUlT_T0_E_clISt17integral_constantIbLb0EESX_IbLb1EEEEDaST_SU_EUlST_E_NS1_11comp_targetILNS1_3genE3ELNS1_11target_archE908ELNS1_3gpuE7ELNS1_3repE0EEENS1_30default_config_static_selectorELNS0_4arch9wavefront6targetE0EEEvT1_.num_agpr, 0
	.set _ZN7rocprim17ROCPRIM_400000_NS6detail17trampoline_kernelINS0_14default_configENS1_27scan_by_key_config_selectorIssEEZZNS1_16scan_by_key_implILNS1_25lookback_scan_determinismE0ELb1ES3_N6thrust23THRUST_200600_302600_NS6detail15normal_iteratorINS9_10device_ptrIsEEEESE_SE_sNS9_4plusIsEE19head_flag_predicatesEE10hipError_tPvRmT2_T3_T4_T5_mT6_T7_P12ihipStream_tbENKUlT_T0_E_clISt17integral_constantIbLb0EESX_IbLb1EEEEDaST_SU_EUlST_E_NS1_11comp_targetILNS1_3genE3ELNS1_11target_archE908ELNS1_3gpuE7ELNS1_3repE0EEENS1_30default_config_static_selectorELNS0_4arch9wavefront6targetE0EEEvT1_.numbered_sgpr, 0
	.set _ZN7rocprim17ROCPRIM_400000_NS6detail17trampoline_kernelINS0_14default_configENS1_27scan_by_key_config_selectorIssEEZZNS1_16scan_by_key_implILNS1_25lookback_scan_determinismE0ELb1ES3_N6thrust23THRUST_200600_302600_NS6detail15normal_iteratorINS9_10device_ptrIsEEEESE_SE_sNS9_4plusIsEE19head_flag_predicatesEE10hipError_tPvRmT2_T3_T4_T5_mT6_T7_P12ihipStream_tbENKUlT_T0_E_clISt17integral_constantIbLb0EESX_IbLb1EEEEDaST_SU_EUlST_E_NS1_11comp_targetILNS1_3genE3ELNS1_11target_archE908ELNS1_3gpuE7ELNS1_3repE0EEENS1_30default_config_static_selectorELNS0_4arch9wavefront6targetE0EEEvT1_.num_named_barrier, 0
	.set _ZN7rocprim17ROCPRIM_400000_NS6detail17trampoline_kernelINS0_14default_configENS1_27scan_by_key_config_selectorIssEEZZNS1_16scan_by_key_implILNS1_25lookback_scan_determinismE0ELb1ES3_N6thrust23THRUST_200600_302600_NS6detail15normal_iteratorINS9_10device_ptrIsEEEESE_SE_sNS9_4plusIsEE19head_flag_predicatesEE10hipError_tPvRmT2_T3_T4_T5_mT6_T7_P12ihipStream_tbENKUlT_T0_E_clISt17integral_constantIbLb0EESX_IbLb1EEEEDaST_SU_EUlST_E_NS1_11comp_targetILNS1_3genE3ELNS1_11target_archE908ELNS1_3gpuE7ELNS1_3repE0EEENS1_30default_config_static_selectorELNS0_4arch9wavefront6targetE0EEEvT1_.private_seg_size, 0
	.set _ZN7rocprim17ROCPRIM_400000_NS6detail17trampoline_kernelINS0_14default_configENS1_27scan_by_key_config_selectorIssEEZZNS1_16scan_by_key_implILNS1_25lookback_scan_determinismE0ELb1ES3_N6thrust23THRUST_200600_302600_NS6detail15normal_iteratorINS9_10device_ptrIsEEEESE_SE_sNS9_4plusIsEE19head_flag_predicatesEE10hipError_tPvRmT2_T3_T4_T5_mT6_T7_P12ihipStream_tbENKUlT_T0_E_clISt17integral_constantIbLb0EESX_IbLb1EEEEDaST_SU_EUlST_E_NS1_11comp_targetILNS1_3genE3ELNS1_11target_archE908ELNS1_3gpuE7ELNS1_3repE0EEENS1_30default_config_static_selectorELNS0_4arch9wavefront6targetE0EEEvT1_.uses_vcc, 0
	.set _ZN7rocprim17ROCPRIM_400000_NS6detail17trampoline_kernelINS0_14default_configENS1_27scan_by_key_config_selectorIssEEZZNS1_16scan_by_key_implILNS1_25lookback_scan_determinismE0ELb1ES3_N6thrust23THRUST_200600_302600_NS6detail15normal_iteratorINS9_10device_ptrIsEEEESE_SE_sNS9_4plusIsEE19head_flag_predicatesEE10hipError_tPvRmT2_T3_T4_T5_mT6_T7_P12ihipStream_tbENKUlT_T0_E_clISt17integral_constantIbLb0EESX_IbLb1EEEEDaST_SU_EUlST_E_NS1_11comp_targetILNS1_3genE3ELNS1_11target_archE908ELNS1_3gpuE7ELNS1_3repE0EEENS1_30default_config_static_selectorELNS0_4arch9wavefront6targetE0EEEvT1_.uses_flat_scratch, 0
	.set _ZN7rocprim17ROCPRIM_400000_NS6detail17trampoline_kernelINS0_14default_configENS1_27scan_by_key_config_selectorIssEEZZNS1_16scan_by_key_implILNS1_25lookback_scan_determinismE0ELb1ES3_N6thrust23THRUST_200600_302600_NS6detail15normal_iteratorINS9_10device_ptrIsEEEESE_SE_sNS9_4plusIsEE19head_flag_predicatesEE10hipError_tPvRmT2_T3_T4_T5_mT6_T7_P12ihipStream_tbENKUlT_T0_E_clISt17integral_constantIbLb0EESX_IbLb1EEEEDaST_SU_EUlST_E_NS1_11comp_targetILNS1_3genE3ELNS1_11target_archE908ELNS1_3gpuE7ELNS1_3repE0EEENS1_30default_config_static_selectorELNS0_4arch9wavefront6targetE0EEEvT1_.has_dyn_sized_stack, 0
	.set _ZN7rocprim17ROCPRIM_400000_NS6detail17trampoline_kernelINS0_14default_configENS1_27scan_by_key_config_selectorIssEEZZNS1_16scan_by_key_implILNS1_25lookback_scan_determinismE0ELb1ES3_N6thrust23THRUST_200600_302600_NS6detail15normal_iteratorINS9_10device_ptrIsEEEESE_SE_sNS9_4plusIsEE19head_flag_predicatesEE10hipError_tPvRmT2_T3_T4_T5_mT6_T7_P12ihipStream_tbENKUlT_T0_E_clISt17integral_constantIbLb0EESX_IbLb1EEEEDaST_SU_EUlST_E_NS1_11comp_targetILNS1_3genE3ELNS1_11target_archE908ELNS1_3gpuE7ELNS1_3repE0EEENS1_30default_config_static_selectorELNS0_4arch9wavefront6targetE0EEEvT1_.has_recursion, 0
	.set _ZN7rocprim17ROCPRIM_400000_NS6detail17trampoline_kernelINS0_14default_configENS1_27scan_by_key_config_selectorIssEEZZNS1_16scan_by_key_implILNS1_25lookback_scan_determinismE0ELb1ES3_N6thrust23THRUST_200600_302600_NS6detail15normal_iteratorINS9_10device_ptrIsEEEESE_SE_sNS9_4plusIsEE19head_flag_predicatesEE10hipError_tPvRmT2_T3_T4_T5_mT6_T7_P12ihipStream_tbENKUlT_T0_E_clISt17integral_constantIbLb0EESX_IbLb1EEEEDaST_SU_EUlST_E_NS1_11comp_targetILNS1_3genE3ELNS1_11target_archE908ELNS1_3gpuE7ELNS1_3repE0EEENS1_30default_config_static_selectorELNS0_4arch9wavefront6targetE0EEEvT1_.has_indirect_call, 0
	.section	.AMDGPU.csdata,"",@progbits
; Kernel info:
; codeLenInByte = 0
; TotalNumSgprs: 0
; NumVgprs: 0
; ScratchSize: 0
; MemoryBound: 0
; FloatMode: 240
; IeeeMode: 1
; LDSByteSize: 0 bytes/workgroup (compile time only)
; SGPRBlocks: 0
; VGPRBlocks: 0
; NumSGPRsForWavesPerEU: 1
; NumVGPRsForWavesPerEU: 1
; Occupancy: 16
; WaveLimiterHint : 0
; COMPUTE_PGM_RSRC2:SCRATCH_EN: 0
; COMPUTE_PGM_RSRC2:USER_SGPR: 6
; COMPUTE_PGM_RSRC2:TRAP_HANDLER: 0
; COMPUTE_PGM_RSRC2:TGID_X_EN: 1
; COMPUTE_PGM_RSRC2:TGID_Y_EN: 0
; COMPUTE_PGM_RSRC2:TGID_Z_EN: 0
; COMPUTE_PGM_RSRC2:TIDIG_COMP_CNT: 0
	.section	.text._ZN7rocprim17ROCPRIM_400000_NS6detail17trampoline_kernelINS0_14default_configENS1_27scan_by_key_config_selectorIssEEZZNS1_16scan_by_key_implILNS1_25lookback_scan_determinismE0ELb1ES3_N6thrust23THRUST_200600_302600_NS6detail15normal_iteratorINS9_10device_ptrIsEEEESE_SE_sNS9_4plusIsEE19head_flag_predicatesEE10hipError_tPvRmT2_T3_T4_T5_mT6_T7_P12ihipStream_tbENKUlT_T0_E_clISt17integral_constantIbLb0EESX_IbLb1EEEEDaST_SU_EUlST_E_NS1_11comp_targetILNS1_3genE2ELNS1_11target_archE906ELNS1_3gpuE6ELNS1_3repE0EEENS1_30default_config_static_selectorELNS0_4arch9wavefront6targetE0EEEvT1_,"axG",@progbits,_ZN7rocprim17ROCPRIM_400000_NS6detail17trampoline_kernelINS0_14default_configENS1_27scan_by_key_config_selectorIssEEZZNS1_16scan_by_key_implILNS1_25lookback_scan_determinismE0ELb1ES3_N6thrust23THRUST_200600_302600_NS6detail15normal_iteratorINS9_10device_ptrIsEEEESE_SE_sNS9_4plusIsEE19head_flag_predicatesEE10hipError_tPvRmT2_T3_T4_T5_mT6_T7_P12ihipStream_tbENKUlT_T0_E_clISt17integral_constantIbLb0EESX_IbLb1EEEEDaST_SU_EUlST_E_NS1_11comp_targetILNS1_3genE2ELNS1_11target_archE906ELNS1_3gpuE6ELNS1_3repE0EEENS1_30default_config_static_selectorELNS0_4arch9wavefront6targetE0EEEvT1_,comdat
	.protected	_ZN7rocprim17ROCPRIM_400000_NS6detail17trampoline_kernelINS0_14default_configENS1_27scan_by_key_config_selectorIssEEZZNS1_16scan_by_key_implILNS1_25lookback_scan_determinismE0ELb1ES3_N6thrust23THRUST_200600_302600_NS6detail15normal_iteratorINS9_10device_ptrIsEEEESE_SE_sNS9_4plusIsEE19head_flag_predicatesEE10hipError_tPvRmT2_T3_T4_T5_mT6_T7_P12ihipStream_tbENKUlT_T0_E_clISt17integral_constantIbLb0EESX_IbLb1EEEEDaST_SU_EUlST_E_NS1_11comp_targetILNS1_3genE2ELNS1_11target_archE906ELNS1_3gpuE6ELNS1_3repE0EEENS1_30default_config_static_selectorELNS0_4arch9wavefront6targetE0EEEvT1_ ; -- Begin function _ZN7rocprim17ROCPRIM_400000_NS6detail17trampoline_kernelINS0_14default_configENS1_27scan_by_key_config_selectorIssEEZZNS1_16scan_by_key_implILNS1_25lookback_scan_determinismE0ELb1ES3_N6thrust23THRUST_200600_302600_NS6detail15normal_iteratorINS9_10device_ptrIsEEEESE_SE_sNS9_4plusIsEE19head_flag_predicatesEE10hipError_tPvRmT2_T3_T4_T5_mT6_T7_P12ihipStream_tbENKUlT_T0_E_clISt17integral_constantIbLb0EESX_IbLb1EEEEDaST_SU_EUlST_E_NS1_11comp_targetILNS1_3genE2ELNS1_11target_archE906ELNS1_3gpuE6ELNS1_3repE0EEENS1_30default_config_static_selectorELNS0_4arch9wavefront6targetE0EEEvT1_
	.globl	_ZN7rocprim17ROCPRIM_400000_NS6detail17trampoline_kernelINS0_14default_configENS1_27scan_by_key_config_selectorIssEEZZNS1_16scan_by_key_implILNS1_25lookback_scan_determinismE0ELb1ES3_N6thrust23THRUST_200600_302600_NS6detail15normal_iteratorINS9_10device_ptrIsEEEESE_SE_sNS9_4plusIsEE19head_flag_predicatesEE10hipError_tPvRmT2_T3_T4_T5_mT6_T7_P12ihipStream_tbENKUlT_T0_E_clISt17integral_constantIbLb0EESX_IbLb1EEEEDaST_SU_EUlST_E_NS1_11comp_targetILNS1_3genE2ELNS1_11target_archE906ELNS1_3gpuE6ELNS1_3repE0EEENS1_30default_config_static_selectorELNS0_4arch9wavefront6targetE0EEEvT1_
	.p2align	8
	.type	_ZN7rocprim17ROCPRIM_400000_NS6detail17trampoline_kernelINS0_14default_configENS1_27scan_by_key_config_selectorIssEEZZNS1_16scan_by_key_implILNS1_25lookback_scan_determinismE0ELb1ES3_N6thrust23THRUST_200600_302600_NS6detail15normal_iteratorINS9_10device_ptrIsEEEESE_SE_sNS9_4plusIsEE19head_flag_predicatesEE10hipError_tPvRmT2_T3_T4_T5_mT6_T7_P12ihipStream_tbENKUlT_T0_E_clISt17integral_constantIbLb0EESX_IbLb1EEEEDaST_SU_EUlST_E_NS1_11comp_targetILNS1_3genE2ELNS1_11target_archE906ELNS1_3gpuE6ELNS1_3repE0EEENS1_30default_config_static_selectorELNS0_4arch9wavefront6targetE0EEEvT1_,@function
_ZN7rocprim17ROCPRIM_400000_NS6detail17trampoline_kernelINS0_14default_configENS1_27scan_by_key_config_selectorIssEEZZNS1_16scan_by_key_implILNS1_25lookback_scan_determinismE0ELb1ES3_N6thrust23THRUST_200600_302600_NS6detail15normal_iteratorINS9_10device_ptrIsEEEESE_SE_sNS9_4plusIsEE19head_flag_predicatesEE10hipError_tPvRmT2_T3_T4_T5_mT6_T7_P12ihipStream_tbENKUlT_T0_E_clISt17integral_constantIbLb0EESX_IbLb1EEEEDaST_SU_EUlST_E_NS1_11comp_targetILNS1_3genE2ELNS1_11target_archE906ELNS1_3gpuE6ELNS1_3repE0EEENS1_30default_config_static_selectorELNS0_4arch9wavefront6targetE0EEEvT1_: ; @_ZN7rocprim17ROCPRIM_400000_NS6detail17trampoline_kernelINS0_14default_configENS1_27scan_by_key_config_selectorIssEEZZNS1_16scan_by_key_implILNS1_25lookback_scan_determinismE0ELb1ES3_N6thrust23THRUST_200600_302600_NS6detail15normal_iteratorINS9_10device_ptrIsEEEESE_SE_sNS9_4plusIsEE19head_flag_predicatesEE10hipError_tPvRmT2_T3_T4_T5_mT6_T7_P12ihipStream_tbENKUlT_T0_E_clISt17integral_constantIbLb0EESX_IbLb1EEEEDaST_SU_EUlST_E_NS1_11comp_targetILNS1_3genE2ELNS1_11target_archE906ELNS1_3gpuE6ELNS1_3repE0EEENS1_30default_config_static_selectorELNS0_4arch9wavefront6targetE0EEEvT1_
; %bb.0:
	.section	.rodata,"a",@progbits
	.p2align	6, 0x0
	.amdhsa_kernel _ZN7rocprim17ROCPRIM_400000_NS6detail17trampoline_kernelINS0_14default_configENS1_27scan_by_key_config_selectorIssEEZZNS1_16scan_by_key_implILNS1_25lookback_scan_determinismE0ELb1ES3_N6thrust23THRUST_200600_302600_NS6detail15normal_iteratorINS9_10device_ptrIsEEEESE_SE_sNS9_4plusIsEE19head_flag_predicatesEE10hipError_tPvRmT2_T3_T4_T5_mT6_T7_P12ihipStream_tbENKUlT_T0_E_clISt17integral_constantIbLb0EESX_IbLb1EEEEDaST_SU_EUlST_E_NS1_11comp_targetILNS1_3genE2ELNS1_11target_archE906ELNS1_3gpuE6ELNS1_3repE0EEENS1_30default_config_static_selectorELNS0_4arch9wavefront6targetE0EEEvT1_
		.amdhsa_group_segment_fixed_size 0
		.amdhsa_private_segment_fixed_size 0
		.amdhsa_kernarg_size 112
		.amdhsa_user_sgpr_count 6
		.amdhsa_user_sgpr_private_segment_buffer 1
		.amdhsa_user_sgpr_dispatch_ptr 0
		.amdhsa_user_sgpr_queue_ptr 0
		.amdhsa_user_sgpr_kernarg_segment_ptr 1
		.amdhsa_user_sgpr_dispatch_id 0
		.amdhsa_user_sgpr_flat_scratch_init 0
		.amdhsa_user_sgpr_private_segment_size 0
		.amdhsa_wavefront_size32 1
		.amdhsa_uses_dynamic_stack 0
		.amdhsa_system_sgpr_private_segment_wavefront_offset 0
		.amdhsa_system_sgpr_workgroup_id_x 1
		.amdhsa_system_sgpr_workgroup_id_y 0
		.amdhsa_system_sgpr_workgroup_id_z 0
		.amdhsa_system_sgpr_workgroup_info 0
		.amdhsa_system_vgpr_workitem_id 0
		.amdhsa_next_free_vgpr 1
		.amdhsa_next_free_sgpr 1
		.amdhsa_reserve_vcc 0
		.amdhsa_reserve_flat_scratch 0
		.amdhsa_float_round_mode_32 0
		.amdhsa_float_round_mode_16_64 0
		.amdhsa_float_denorm_mode_32 3
		.amdhsa_float_denorm_mode_16_64 3
		.amdhsa_dx10_clamp 1
		.amdhsa_ieee_mode 1
		.amdhsa_fp16_overflow 0
		.amdhsa_workgroup_processor_mode 1
		.amdhsa_memory_ordered 1
		.amdhsa_forward_progress 1
		.amdhsa_shared_vgpr_count 0
		.amdhsa_exception_fp_ieee_invalid_op 0
		.amdhsa_exception_fp_denorm_src 0
		.amdhsa_exception_fp_ieee_div_zero 0
		.amdhsa_exception_fp_ieee_overflow 0
		.amdhsa_exception_fp_ieee_underflow 0
		.amdhsa_exception_fp_ieee_inexact 0
		.amdhsa_exception_int_div_zero 0
	.end_amdhsa_kernel
	.section	.text._ZN7rocprim17ROCPRIM_400000_NS6detail17trampoline_kernelINS0_14default_configENS1_27scan_by_key_config_selectorIssEEZZNS1_16scan_by_key_implILNS1_25lookback_scan_determinismE0ELb1ES3_N6thrust23THRUST_200600_302600_NS6detail15normal_iteratorINS9_10device_ptrIsEEEESE_SE_sNS9_4plusIsEE19head_flag_predicatesEE10hipError_tPvRmT2_T3_T4_T5_mT6_T7_P12ihipStream_tbENKUlT_T0_E_clISt17integral_constantIbLb0EESX_IbLb1EEEEDaST_SU_EUlST_E_NS1_11comp_targetILNS1_3genE2ELNS1_11target_archE906ELNS1_3gpuE6ELNS1_3repE0EEENS1_30default_config_static_selectorELNS0_4arch9wavefront6targetE0EEEvT1_,"axG",@progbits,_ZN7rocprim17ROCPRIM_400000_NS6detail17trampoline_kernelINS0_14default_configENS1_27scan_by_key_config_selectorIssEEZZNS1_16scan_by_key_implILNS1_25lookback_scan_determinismE0ELb1ES3_N6thrust23THRUST_200600_302600_NS6detail15normal_iteratorINS9_10device_ptrIsEEEESE_SE_sNS9_4plusIsEE19head_flag_predicatesEE10hipError_tPvRmT2_T3_T4_T5_mT6_T7_P12ihipStream_tbENKUlT_T0_E_clISt17integral_constantIbLb0EESX_IbLb1EEEEDaST_SU_EUlST_E_NS1_11comp_targetILNS1_3genE2ELNS1_11target_archE906ELNS1_3gpuE6ELNS1_3repE0EEENS1_30default_config_static_selectorELNS0_4arch9wavefront6targetE0EEEvT1_,comdat
.Lfunc_end889:
	.size	_ZN7rocprim17ROCPRIM_400000_NS6detail17trampoline_kernelINS0_14default_configENS1_27scan_by_key_config_selectorIssEEZZNS1_16scan_by_key_implILNS1_25lookback_scan_determinismE0ELb1ES3_N6thrust23THRUST_200600_302600_NS6detail15normal_iteratorINS9_10device_ptrIsEEEESE_SE_sNS9_4plusIsEE19head_flag_predicatesEE10hipError_tPvRmT2_T3_T4_T5_mT6_T7_P12ihipStream_tbENKUlT_T0_E_clISt17integral_constantIbLb0EESX_IbLb1EEEEDaST_SU_EUlST_E_NS1_11comp_targetILNS1_3genE2ELNS1_11target_archE906ELNS1_3gpuE6ELNS1_3repE0EEENS1_30default_config_static_selectorELNS0_4arch9wavefront6targetE0EEEvT1_, .Lfunc_end889-_ZN7rocprim17ROCPRIM_400000_NS6detail17trampoline_kernelINS0_14default_configENS1_27scan_by_key_config_selectorIssEEZZNS1_16scan_by_key_implILNS1_25lookback_scan_determinismE0ELb1ES3_N6thrust23THRUST_200600_302600_NS6detail15normal_iteratorINS9_10device_ptrIsEEEESE_SE_sNS9_4plusIsEE19head_flag_predicatesEE10hipError_tPvRmT2_T3_T4_T5_mT6_T7_P12ihipStream_tbENKUlT_T0_E_clISt17integral_constantIbLb0EESX_IbLb1EEEEDaST_SU_EUlST_E_NS1_11comp_targetILNS1_3genE2ELNS1_11target_archE906ELNS1_3gpuE6ELNS1_3repE0EEENS1_30default_config_static_selectorELNS0_4arch9wavefront6targetE0EEEvT1_
                                        ; -- End function
	.set _ZN7rocprim17ROCPRIM_400000_NS6detail17trampoline_kernelINS0_14default_configENS1_27scan_by_key_config_selectorIssEEZZNS1_16scan_by_key_implILNS1_25lookback_scan_determinismE0ELb1ES3_N6thrust23THRUST_200600_302600_NS6detail15normal_iteratorINS9_10device_ptrIsEEEESE_SE_sNS9_4plusIsEE19head_flag_predicatesEE10hipError_tPvRmT2_T3_T4_T5_mT6_T7_P12ihipStream_tbENKUlT_T0_E_clISt17integral_constantIbLb0EESX_IbLb1EEEEDaST_SU_EUlST_E_NS1_11comp_targetILNS1_3genE2ELNS1_11target_archE906ELNS1_3gpuE6ELNS1_3repE0EEENS1_30default_config_static_selectorELNS0_4arch9wavefront6targetE0EEEvT1_.num_vgpr, 0
	.set _ZN7rocprim17ROCPRIM_400000_NS6detail17trampoline_kernelINS0_14default_configENS1_27scan_by_key_config_selectorIssEEZZNS1_16scan_by_key_implILNS1_25lookback_scan_determinismE0ELb1ES3_N6thrust23THRUST_200600_302600_NS6detail15normal_iteratorINS9_10device_ptrIsEEEESE_SE_sNS9_4plusIsEE19head_flag_predicatesEE10hipError_tPvRmT2_T3_T4_T5_mT6_T7_P12ihipStream_tbENKUlT_T0_E_clISt17integral_constantIbLb0EESX_IbLb1EEEEDaST_SU_EUlST_E_NS1_11comp_targetILNS1_3genE2ELNS1_11target_archE906ELNS1_3gpuE6ELNS1_3repE0EEENS1_30default_config_static_selectorELNS0_4arch9wavefront6targetE0EEEvT1_.num_agpr, 0
	.set _ZN7rocprim17ROCPRIM_400000_NS6detail17trampoline_kernelINS0_14default_configENS1_27scan_by_key_config_selectorIssEEZZNS1_16scan_by_key_implILNS1_25lookback_scan_determinismE0ELb1ES3_N6thrust23THRUST_200600_302600_NS6detail15normal_iteratorINS9_10device_ptrIsEEEESE_SE_sNS9_4plusIsEE19head_flag_predicatesEE10hipError_tPvRmT2_T3_T4_T5_mT6_T7_P12ihipStream_tbENKUlT_T0_E_clISt17integral_constantIbLb0EESX_IbLb1EEEEDaST_SU_EUlST_E_NS1_11comp_targetILNS1_3genE2ELNS1_11target_archE906ELNS1_3gpuE6ELNS1_3repE0EEENS1_30default_config_static_selectorELNS0_4arch9wavefront6targetE0EEEvT1_.numbered_sgpr, 0
	.set _ZN7rocprim17ROCPRIM_400000_NS6detail17trampoline_kernelINS0_14default_configENS1_27scan_by_key_config_selectorIssEEZZNS1_16scan_by_key_implILNS1_25lookback_scan_determinismE0ELb1ES3_N6thrust23THRUST_200600_302600_NS6detail15normal_iteratorINS9_10device_ptrIsEEEESE_SE_sNS9_4plusIsEE19head_flag_predicatesEE10hipError_tPvRmT2_T3_T4_T5_mT6_T7_P12ihipStream_tbENKUlT_T0_E_clISt17integral_constantIbLb0EESX_IbLb1EEEEDaST_SU_EUlST_E_NS1_11comp_targetILNS1_3genE2ELNS1_11target_archE906ELNS1_3gpuE6ELNS1_3repE0EEENS1_30default_config_static_selectorELNS0_4arch9wavefront6targetE0EEEvT1_.num_named_barrier, 0
	.set _ZN7rocprim17ROCPRIM_400000_NS6detail17trampoline_kernelINS0_14default_configENS1_27scan_by_key_config_selectorIssEEZZNS1_16scan_by_key_implILNS1_25lookback_scan_determinismE0ELb1ES3_N6thrust23THRUST_200600_302600_NS6detail15normal_iteratorINS9_10device_ptrIsEEEESE_SE_sNS9_4plusIsEE19head_flag_predicatesEE10hipError_tPvRmT2_T3_T4_T5_mT6_T7_P12ihipStream_tbENKUlT_T0_E_clISt17integral_constantIbLb0EESX_IbLb1EEEEDaST_SU_EUlST_E_NS1_11comp_targetILNS1_3genE2ELNS1_11target_archE906ELNS1_3gpuE6ELNS1_3repE0EEENS1_30default_config_static_selectorELNS0_4arch9wavefront6targetE0EEEvT1_.private_seg_size, 0
	.set _ZN7rocprim17ROCPRIM_400000_NS6detail17trampoline_kernelINS0_14default_configENS1_27scan_by_key_config_selectorIssEEZZNS1_16scan_by_key_implILNS1_25lookback_scan_determinismE0ELb1ES3_N6thrust23THRUST_200600_302600_NS6detail15normal_iteratorINS9_10device_ptrIsEEEESE_SE_sNS9_4plusIsEE19head_flag_predicatesEE10hipError_tPvRmT2_T3_T4_T5_mT6_T7_P12ihipStream_tbENKUlT_T0_E_clISt17integral_constantIbLb0EESX_IbLb1EEEEDaST_SU_EUlST_E_NS1_11comp_targetILNS1_3genE2ELNS1_11target_archE906ELNS1_3gpuE6ELNS1_3repE0EEENS1_30default_config_static_selectorELNS0_4arch9wavefront6targetE0EEEvT1_.uses_vcc, 0
	.set _ZN7rocprim17ROCPRIM_400000_NS6detail17trampoline_kernelINS0_14default_configENS1_27scan_by_key_config_selectorIssEEZZNS1_16scan_by_key_implILNS1_25lookback_scan_determinismE0ELb1ES3_N6thrust23THRUST_200600_302600_NS6detail15normal_iteratorINS9_10device_ptrIsEEEESE_SE_sNS9_4plusIsEE19head_flag_predicatesEE10hipError_tPvRmT2_T3_T4_T5_mT6_T7_P12ihipStream_tbENKUlT_T0_E_clISt17integral_constantIbLb0EESX_IbLb1EEEEDaST_SU_EUlST_E_NS1_11comp_targetILNS1_3genE2ELNS1_11target_archE906ELNS1_3gpuE6ELNS1_3repE0EEENS1_30default_config_static_selectorELNS0_4arch9wavefront6targetE0EEEvT1_.uses_flat_scratch, 0
	.set _ZN7rocprim17ROCPRIM_400000_NS6detail17trampoline_kernelINS0_14default_configENS1_27scan_by_key_config_selectorIssEEZZNS1_16scan_by_key_implILNS1_25lookback_scan_determinismE0ELb1ES3_N6thrust23THRUST_200600_302600_NS6detail15normal_iteratorINS9_10device_ptrIsEEEESE_SE_sNS9_4plusIsEE19head_flag_predicatesEE10hipError_tPvRmT2_T3_T4_T5_mT6_T7_P12ihipStream_tbENKUlT_T0_E_clISt17integral_constantIbLb0EESX_IbLb1EEEEDaST_SU_EUlST_E_NS1_11comp_targetILNS1_3genE2ELNS1_11target_archE906ELNS1_3gpuE6ELNS1_3repE0EEENS1_30default_config_static_selectorELNS0_4arch9wavefront6targetE0EEEvT1_.has_dyn_sized_stack, 0
	.set _ZN7rocprim17ROCPRIM_400000_NS6detail17trampoline_kernelINS0_14default_configENS1_27scan_by_key_config_selectorIssEEZZNS1_16scan_by_key_implILNS1_25lookback_scan_determinismE0ELb1ES3_N6thrust23THRUST_200600_302600_NS6detail15normal_iteratorINS9_10device_ptrIsEEEESE_SE_sNS9_4plusIsEE19head_flag_predicatesEE10hipError_tPvRmT2_T3_T4_T5_mT6_T7_P12ihipStream_tbENKUlT_T0_E_clISt17integral_constantIbLb0EESX_IbLb1EEEEDaST_SU_EUlST_E_NS1_11comp_targetILNS1_3genE2ELNS1_11target_archE906ELNS1_3gpuE6ELNS1_3repE0EEENS1_30default_config_static_selectorELNS0_4arch9wavefront6targetE0EEEvT1_.has_recursion, 0
	.set _ZN7rocprim17ROCPRIM_400000_NS6detail17trampoline_kernelINS0_14default_configENS1_27scan_by_key_config_selectorIssEEZZNS1_16scan_by_key_implILNS1_25lookback_scan_determinismE0ELb1ES3_N6thrust23THRUST_200600_302600_NS6detail15normal_iteratorINS9_10device_ptrIsEEEESE_SE_sNS9_4plusIsEE19head_flag_predicatesEE10hipError_tPvRmT2_T3_T4_T5_mT6_T7_P12ihipStream_tbENKUlT_T0_E_clISt17integral_constantIbLb0EESX_IbLb1EEEEDaST_SU_EUlST_E_NS1_11comp_targetILNS1_3genE2ELNS1_11target_archE906ELNS1_3gpuE6ELNS1_3repE0EEENS1_30default_config_static_selectorELNS0_4arch9wavefront6targetE0EEEvT1_.has_indirect_call, 0
	.section	.AMDGPU.csdata,"",@progbits
; Kernel info:
; codeLenInByte = 0
; TotalNumSgprs: 0
; NumVgprs: 0
; ScratchSize: 0
; MemoryBound: 0
; FloatMode: 240
; IeeeMode: 1
; LDSByteSize: 0 bytes/workgroup (compile time only)
; SGPRBlocks: 0
; VGPRBlocks: 0
; NumSGPRsForWavesPerEU: 1
; NumVGPRsForWavesPerEU: 1
; Occupancy: 16
; WaveLimiterHint : 0
; COMPUTE_PGM_RSRC2:SCRATCH_EN: 0
; COMPUTE_PGM_RSRC2:USER_SGPR: 6
; COMPUTE_PGM_RSRC2:TRAP_HANDLER: 0
; COMPUTE_PGM_RSRC2:TGID_X_EN: 1
; COMPUTE_PGM_RSRC2:TGID_Y_EN: 0
; COMPUTE_PGM_RSRC2:TGID_Z_EN: 0
; COMPUTE_PGM_RSRC2:TIDIG_COMP_CNT: 0
	.section	.text._ZN7rocprim17ROCPRIM_400000_NS6detail17trampoline_kernelINS0_14default_configENS1_27scan_by_key_config_selectorIssEEZZNS1_16scan_by_key_implILNS1_25lookback_scan_determinismE0ELb1ES3_N6thrust23THRUST_200600_302600_NS6detail15normal_iteratorINS9_10device_ptrIsEEEESE_SE_sNS9_4plusIsEE19head_flag_predicatesEE10hipError_tPvRmT2_T3_T4_T5_mT6_T7_P12ihipStream_tbENKUlT_T0_E_clISt17integral_constantIbLb0EESX_IbLb1EEEEDaST_SU_EUlST_E_NS1_11comp_targetILNS1_3genE10ELNS1_11target_archE1200ELNS1_3gpuE4ELNS1_3repE0EEENS1_30default_config_static_selectorELNS0_4arch9wavefront6targetE0EEEvT1_,"axG",@progbits,_ZN7rocprim17ROCPRIM_400000_NS6detail17trampoline_kernelINS0_14default_configENS1_27scan_by_key_config_selectorIssEEZZNS1_16scan_by_key_implILNS1_25lookback_scan_determinismE0ELb1ES3_N6thrust23THRUST_200600_302600_NS6detail15normal_iteratorINS9_10device_ptrIsEEEESE_SE_sNS9_4plusIsEE19head_flag_predicatesEE10hipError_tPvRmT2_T3_T4_T5_mT6_T7_P12ihipStream_tbENKUlT_T0_E_clISt17integral_constantIbLb0EESX_IbLb1EEEEDaST_SU_EUlST_E_NS1_11comp_targetILNS1_3genE10ELNS1_11target_archE1200ELNS1_3gpuE4ELNS1_3repE0EEENS1_30default_config_static_selectorELNS0_4arch9wavefront6targetE0EEEvT1_,comdat
	.protected	_ZN7rocprim17ROCPRIM_400000_NS6detail17trampoline_kernelINS0_14default_configENS1_27scan_by_key_config_selectorIssEEZZNS1_16scan_by_key_implILNS1_25lookback_scan_determinismE0ELb1ES3_N6thrust23THRUST_200600_302600_NS6detail15normal_iteratorINS9_10device_ptrIsEEEESE_SE_sNS9_4plusIsEE19head_flag_predicatesEE10hipError_tPvRmT2_T3_T4_T5_mT6_T7_P12ihipStream_tbENKUlT_T0_E_clISt17integral_constantIbLb0EESX_IbLb1EEEEDaST_SU_EUlST_E_NS1_11comp_targetILNS1_3genE10ELNS1_11target_archE1200ELNS1_3gpuE4ELNS1_3repE0EEENS1_30default_config_static_selectorELNS0_4arch9wavefront6targetE0EEEvT1_ ; -- Begin function _ZN7rocprim17ROCPRIM_400000_NS6detail17trampoline_kernelINS0_14default_configENS1_27scan_by_key_config_selectorIssEEZZNS1_16scan_by_key_implILNS1_25lookback_scan_determinismE0ELb1ES3_N6thrust23THRUST_200600_302600_NS6detail15normal_iteratorINS9_10device_ptrIsEEEESE_SE_sNS9_4plusIsEE19head_flag_predicatesEE10hipError_tPvRmT2_T3_T4_T5_mT6_T7_P12ihipStream_tbENKUlT_T0_E_clISt17integral_constantIbLb0EESX_IbLb1EEEEDaST_SU_EUlST_E_NS1_11comp_targetILNS1_3genE10ELNS1_11target_archE1200ELNS1_3gpuE4ELNS1_3repE0EEENS1_30default_config_static_selectorELNS0_4arch9wavefront6targetE0EEEvT1_
	.globl	_ZN7rocprim17ROCPRIM_400000_NS6detail17trampoline_kernelINS0_14default_configENS1_27scan_by_key_config_selectorIssEEZZNS1_16scan_by_key_implILNS1_25lookback_scan_determinismE0ELb1ES3_N6thrust23THRUST_200600_302600_NS6detail15normal_iteratorINS9_10device_ptrIsEEEESE_SE_sNS9_4plusIsEE19head_flag_predicatesEE10hipError_tPvRmT2_T3_T4_T5_mT6_T7_P12ihipStream_tbENKUlT_T0_E_clISt17integral_constantIbLb0EESX_IbLb1EEEEDaST_SU_EUlST_E_NS1_11comp_targetILNS1_3genE10ELNS1_11target_archE1200ELNS1_3gpuE4ELNS1_3repE0EEENS1_30default_config_static_selectorELNS0_4arch9wavefront6targetE0EEEvT1_
	.p2align	8
	.type	_ZN7rocprim17ROCPRIM_400000_NS6detail17trampoline_kernelINS0_14default_configENS1_27scan_by_key_config_selectorIssEEZZNS1_16scan_by_key_implILNS1_25lookback_scan_determinismE0ELb1ES3_N6thrust23THRUST_200600_302600_NS6detail15normal_iteratorINS9_10device_ptrIsEEEESE_SE_sNS9_4plusIsEE19head_flag_predicatesEE10hipError_tPvRmT2_T3_T4_T5_mT6_T7_P12ihipStream_tbENKUlT_T0_E_clISt17integral_constantIbLb0EESX_IbLb1EEEEDaST_SU_EUlST_E_NS1_11comp_targetILNS1_3genE10ELNS1_11target_archE1200ELNS1_3gpuE4ELNS1_3repE0EEENS1_30default_config_static_selectorELNS0_4arch9wavefront6targetE0EEEvT1_,@function
_ZN7rocprim17ROCPRIM_400000_NS6detail17trampoline_kernelINS0_14default_configENS1_27scan_by_key_config_selectorIssEEZZNS1_16scan_by_key_implILNS1_25lookback_scan_determinismE0ELb1ES3_N6thrust23THRUST_200600_302600_NS6detail15normal_iteratorINS9_10device_ptrIsEEEESE_SE_sNS9_4plusIsEE19head_flag_predicatesEE10hipError_tPvRmT2_T3_T4_T5_mT6_T7_P12ihipStream_tbENKUlT_T0_E_clISt17integral_constantIbLb0EESX_IbLb1EEEEDaST_SU_EUlST_E_NS1_11comp_targetILNS1_3genE10ELNS1_11target_archE1200ELNS1_3gpuE4ELNS1_3repE0EEENS1_30default_config_static_selectorELNS0_4arch9wavefront6targetE0EEEvT1_: ; @_ZN7rocprim17ROCPRIM_400000_NS6detail17trampoline_kernelINS0_14default_configENS1_27scan_by_key_config_selectorIssEEZZNS1_16scan_by_key_implILNS1_25lookback_scan_determinismE0ELb1ES3_N6thrust23THRUST_200600_302600_NS6detail15normal_iteratorINS9_10device_ptrIsEEEESE_SE_sNS9_4plusIsEE19head_flag_predicatesEE10hipError_tPvRmT2_T3_T4_T5_mT6_T7_P12ihipStream_tbENKUlT_T0_E_clISt17integral_constantIbLb0EESX_IbLb1EEEEDaST_SU_EUlST_E_NS1_11comp_targetILNS1_3genE10ELNS1_11target_archE1200ELNS1_3gpuE4ELNS1_3repE0EEENS1_30default_config_static_selectorELNS0_4arch9wavefront6targetE0EEEvT1_
; %bb.0:
	.section	.rodata,"a",@progbits
	.p2align	6, 0x0
	.amdhsa_kernel _ZN7rocprim17ROCPRIM_400000_NS6detail17trampoline_kernelINS0_14default_configENS1_27scan_by_key_config_selectorIssEEZZNS1_16scan_by_key_implILNS1_25lookback_scan_determinismE0ELb1ES3_N6thrust23THRUST_200600_302600_NS6detail15normal_iteratorINS9_10device_ptrIsEEEESE_SE_sNS9_4plusIsEE19head_flag_predicatesEE10hipError_tPvRmT2_T3_T4_T5_mT6_T7_P12ihipStream_tbENKUlT_T0_E_clISt17integral_constantIbLb0EESX_IbLb1EEEEDaST_SU_EUlST_E_NS1_11comp_targetILNS1_3genE10ELNS1_11target_archE1200ELNS1_3gpuE4ELNS1_3repE0EEENS1_30default_config_static_selectorELNS0_4arch9wavefront6targetE0EEEvT1_
		.amdhsa_group_segment_fixed_size 0
		.amdhsa_private_segment_fixed_size 0
		.amdhsa_kernarg_size 112
		.amdhsa_user_sgpr_count 6
		.amdhsa_user_sgpr_private_segment_buffer 1
		.amdhsa_user_sgpr_dispatch_ptr 0
		.amdhsa_user_sgpr_queue_ptr 0
		.amdhsa_user_sgpr_kernarg_segment_ptr 1
		.amdhsa_user_sgpr_dispatch_id 0
		.amdhsa_user_sgpr_flat_scratch_init 0
		.amdhsa_user_sgpr_private_segment_size 0
		.amdhsa_wavefront_size32 1
		.amdhsa_uses_dynamic_stack 0
		.amdhsa_system_sgpr_private_segment_wavefront_offset 0
		.amdhsa_system_sgpr_workgroup_id_x 1
		.amdhsa_system_sgpr_workgroup_id_y 0
		.amdhsa_system_sgpr_workgroup_id_z 0
		.amdhsa_system_sgpr_workgroup_info 0
		.amdhsa_system_vgpr_workitem_id 0
		.amdhsa_next_free_vgpr 1
		.amdhsa_next_free_sgpr 1
		.amdhsa_reserve_vcc 0
		.amdhsa_reserve_flat_scratch 0
		.amdhsa_float_round_mode_32 0
		.amdhsa_float_round_mode_16_64 0
		.amdhsa_float_denorm_mode_32 3
		.amdhsa_float_denorm_mode_16_64 3
		.amdhsa_dx10_clamp 1
		.amdhsa_ieee_mode 1
		.amdhsa_fp16_overflow 0
		.amdhsa_workgroup_processor_mode 1
		.amdhsa_memory_ordered 1
		.amdhsa_forward_progress 1
		.amdhsa_shared_vgpr_count 0
		.amdhsa_exception_fp_ieee_invalid_op 0
		.amdhsa_exception_fp_denorm_src 0
		.amdhsa_exception_fp_ieee_div_zero 0
		.amdhsa_exception_fp_ieee_overflow 0
		.amdhsa_exception_fp_ieee_underflow 0
		.amdhsa_exception_fp_ieee_inexact 0
		.amdhsa_exception_int_div_zero 0
	.end_amdhsa_kernel
	.section	.text._ZN7rocprim17ROCPRIM_400000_NS6detail17trampoline_kernelINS0_14default_configENS1_27scan_by_key_config_selectorIssEEZZNS1_16scan_by_key_implILNS1_25lookback_scan_determinismE0ELb1ES3_N6thrust23THRUST_200600_302600_NS6detail15normal_iteratorINS9_10device_ptrIsEEEESE_SE_sNS9_4plusIsEE19head_flag_predicatesEE10hipError_tPvRmT2_T3_T4_T5_mT6_T7_P12ihipStream_tbENKUlT_T0_E_clISt17integral_constantIbLb0EESX_IbLb1EEEEDaST_SU_EUlST_E_NS1_11comp_targetILNS1_3genE10ELNS1_11target_archE1200ELNS1_3gpuE4ELNS1_3repE0EEENS1_30default_config_static_selectorELNS0_4arch9wavefront6targetE0EEEvT1_,"axG",@progbits,_ZN7rocprim17ROCPRIM_400000_NS6detail17trampoline_kernelINS0_14default_configENS1_27scan_by_key_config_selectorIssEEZZNS1_16scan_by_key_implILNS1_25lookback_scan_determinismE0ELb1ES3_N6thrust23THRUST_200600_302600_NS6detail15normal_iteratorINS9_10device_ptrIsEEEESE_SE_sNS9_4plusIsEE19head_flag_predicatesEE10hipError_tPvRmT2_T3_T4_T5_mT6_T7_P12ihipStream_tbENKUlT_T0_E_clISt17integral_constantIbLb0EESX_IbLb1EEEEDaST_SU_EUlST_E_NS1_11comp_targetILNS1_3genE10ELNS1_11target_archE1200ELNS1_3gpuE4ELNS1_3repE0EEENS1_30default_config_static_selectorELNS0_4arch9wavefront6targetE0EEEvT1_,comdat
.Lfunc_end890:
	.size	_ZN7rocprim17ROCPRIM_400000_NS6detail17trampoline_kernelINS0_14default_configENS1_27scan_by_key_config_selectorIssEEZZNS1_16scan_by_key_implILNS1_25lookback_scan_determinismE0ELb1ES3_N6thrust23THRUST_200600_302600_NS6detail15normal_iteratorINS9_10device_ptrIsEEEESE_SE_sNS9_4plusIsEE19head_flag_predicatesEE10hipError_tPvRmT2_T3_T4_T5_mT6_T7_P12ihipStream_tbENKUlT_T0_E_clISt17integral_constantIbLb0EESX_IbLb1EEEEDaST_SU_EUlST_E_NS1_11comp_targetILNS1_3genE10ELNS1_11target_archE1200ELNS1_3gpuE4ELNS1_3repE0EEENS1_30default_config_static_selectorELNS0_4arch9wavefront6targetE0EEEvT1_, .Lfunc_end890-_ZN7rocprim17ROCPRIM_400000_NS6detail17trampoline_kernelINS0_14default_configENS1_27scan_by_key_config_selectorIssEEZZNS1_16scan_by_key_implILNS1_25lookback_scan_determinismE0ELb1ES3_N6thrust23THRUST_200600_302600_NS6detail15normal_iteratorINS9_10device_ptrIsEEEESE_SE_sNS9_4plusIsEE19head_flag_predicatesEE10hipError_tPvRmT2_T3_T4_T5_mT6_T7_P12ihipStream_tbENKUlT_T0_E_clISt17integral_constantIbLb0EESX_IbLb1EEEEDaST_SU_EUlST_E_NS1_11comp_targetILNS1_3genE10ELNS1_11target_archE1200ELNS1_3gpuE4ELNS1_3repE0EEENS1_30default_config_static_selectorELNS0_4arch9wavefront6targetE0EEEvT1_
                                        ; -- End function
	.set _ZN7rocprim17ROCPRIM_400000_NS6detail17trampoline_kernelINS0_14default_configENS1_27scan_by_key_config_selectorIssEEZZNS1_16scan_by_key_implILNS1_25lookback_scan_determinismE0ELb1ES3_N6thrust23THRUST_200600_302600_NS6detail15normal_iteratorINS9_10device_ptrIsEEEESE_SE_sNS9_4plusIsEE19head_flag_predicatesEE10hipError_tPvRmT2_T3_T4_T5_mT6_T7_P12ihipStream_tbENKUlT_T0_E_clISt17integral_constantIbLb0EESX_IbLb1EEEEDaST_SU_EUlST_E_NS1_11comp_targetILNS1_3genE10ELNS1_11target_archE1200ELNS1_3gpuE4ELNS1_3repE0EEENS1_30default_config_static_selectorELNS0_4arch9wavefront6targetE0EEEvT1_.num_vgpr, 0
	.set _ZN7rocprim17ROCPRIM_400000_NS6detail17trampoline_kernelINS0_14default_configENS1_27scan_by_key_config_selectorIssEEZZNS1_16scan_by_key_implILNS1_25lookback_scan_determinismE0ELb1ES3_N6thrust23THRUST_200600_302600_NS6detail15normal_iteratorINS9_10device_ptrIsEEEESE_SE_sNS9_4plusIsEE19head_flag_predicatesEE10hipError_tPvRmT2_T3_T4_T5_mT6_T7_P12ihipStream_tbENKUlT_T0_E_clISt17integral_constantIbLb0EESX_IbLb1EEEEDaST_SU_EUlST_E_NS1_11comp_targetILNS1_3genE10ELNS1_11target_archE1200ELNS1_3gpuE4ELNS1_3repE0EEENS1_30default_config_static_selectorELNS0_4arch9wavefront6targetE0EEEvT1_.num_agpr, 0
	.set _ZN7rocprim17ROCPRIM_400000_NS6detail17trampoline_kernelINS0_14default_configENS1_27scan_by_key_config_selectorIssEEZZNS1_16scan_by_key_implILNS1_25lookback_scan_determinismE0ELb1ES3_N6thrust23THRUST_200600_302600_NS6detail15normal_iteratorINS9_10device_ptrIsEEEESE_SE_sNS9_4plusIsEE19head_flag_predicatesEE10hipError_tPvRmT2_T3_T4_T5_mT6_T7_P12ihipStream_tbENKUlT_T0_E_clISt17integral_constantIbLb0EESX_IbLb1EEEEDaST_SU_EUlST_E_NS1_11comp_targetILNS1_3genE10ELNS1_11target_archE1200ELNS1_3gpuE4ELNS1_3repE0EEENS1_30default_config_static_selectorELNS0_4arch9wavefront6targetE0EEEvT1_.numbered_sgpr, 0
	.set _ZN7rocprim17ROCPRIM_400000_NS6detail17trampoline_kernelINS0_14default_configENS1_27scan_by_key_config_selectorIssEEZZNS1_16scan_by_key_implILNS1_25lookback_scan_determinismE0ELb1ES3_N6thrust23THRUST_200600_302600_NS6detail15normal_iteratorINS9_10device_ptrIsEEEESE_SE_sNS9_4plusIsEE19head_flag_predicatesEE10hipError_tPvRmT2_T3_T4_T5_mT6_T7_P12ihipStream_tbENKUlT_T0_E_clISt17integral_constantIbLb0EESX_IbLb1EEEEDaST_SU_EUlST_E_NS1_11comp_targetILNS1_3genE10ELNS1_11target_archE1200ELNS1_3gpuE4ELNS1_3repE0EEENS1_30default_config_static_selectorELNS0_4arch9wavefront6targetE0EEEvT1_.num_named_barrier, 0
	.set _ZN7rocprim17ROCPRIM_400000_NS6detail17trampoline_kernelINS0_14default_configENS1_27scan_by_key_config_selectorIssEEZZNS1_16scan_by_key_implILNS1_25lookback_scan_determinismE0ELb1ES3_N6thrust23THRUST_200600_302600_NS6detail15normal_iteratorINS9_10device_ptrIsEEEESE_SE_sNS9_4plusIsEE19head_flag_predicatesEE10hipError_tPvRmT2_T3_T4_T5_mT6_T7_P12ihipStream_tbENKUlT_T0_E_clISt17integral_constantIbLb0EESX_IbLb1EEEEDaST_SU_EUlST_E_NS1_11comp_targetILNS1_3genE10ELNS1_11target_archE1200ELNS1_3gpuE4ELNS1_3repE0EEENS1_30default_config_static_selectorELNS0_4arch9wavefront6targetE0EEEvT1_.private_seg_size, 0
	.set _ZN7rocprim17ROCPRIM_400000_NS6detail17trampoline_kernelINS0_14default_configENS1_27scan_by_key_config_selectorIssEEZZNS1_16scan_by_key_implILNS1_25lookback_scan_determinismE0ELb1ES3_N6thrust23THRUST_200600_302600_NS6detail15normal_iteratorINS9_10device_ptrIsEEEESE_SE_sNS9_4plusIsEE19head_flag_predicatesEE10hipError_tPvRmT2_T3_T4_T5_mT6_T7_P12ihipStream_tbENKUlT_T0_E_clISt17integral_constantIbLb0EESX_IbLb1EEEEDaST_SU_EUlST_E_NS1_11comp_targetILNS1_3genE10ELNS1_11target_archE1200ELNS1_3gpuE4ELNS1_3repE0EEENS1_30default_config_static_selectorELNS0_4arch9wavefront6targetE0EEEvT1_.uses_vcc, 0
	.set _ZN7rocprim17ROCPRIM_400000_NS6detail17trampoline_kernelINS0_14default_configENS1_27scan_by_key_config_selectorIssEEZZNS1_16scan_by_key_implILNS1_25lookback_scan_determinismE0ELb1ES3_N6thrust23THRUST_200600_302600_NS6detail15normal_iteratorINS9_10device_ptrIsEEEESE_SE_sNS9_4plusIsEE19head_flag_predicatesEE10hipError_tPvRmT2_T3_T4_T5_mT6_T7_P12ihipStream_tbENKUlT_T0_E_clISt17integral_constantIbLb0EESX_IbLb1EEEEDaST_SU_EUlST_E_NS1_11comp_targetILNS1_3genE10ELNS1_11target_archE1200ELNS1_3gpuE4ELNS1_3repE0EEENS1_30default_config_static_selectorELNS0_4arch9wavefront6targetE0EEEvT1_.uses_flat_scratch, 0
	.set _ZN7rocprim17ROCPRIM_400000_NS6detail17trampoline_kernelINS0_14default_configENS1_27scan_by_key_config_selectorIssEEZZNS1_16scan_by_key_implILNS1_25lookback_scan_determinismE0ELb1ES3_N6thrust23THRUST_200600_302600_NS6detail15normal_iteratorINS9_10device_ptrIsEEEESE_SE_sNS9_4plusIsEE19head_flag_predicatesEE10hipError_tPvRmT2_T3_T4_T5_mT6_T7_P12ihipStream_tbENKUlT_T0_E_clISt17integral_constantIbLb0EESX_IbLb1EEEEDaST_SU_EUlST_E_NS1_11comp_targetILNS1_3genE10ELNS1_11target_archE1200ELNS1_3gpuE4ELNS1_3repE0EEENS1_30default_config_static_selectorELNS0_4arch9wavefront6targetE0EEEvT1_.has_dyn_sized_stack, 0
	.set _ZN7rocprim17ROCPRIM_400000_NS6detail17trampoline_kernelINS0_14default_configENS1_27scan_by_key_config_selectorIssEEZZNS1_16scan_by_key_implILNS1_25lookback_scan_determinismE0ELb1ES3_N6thrust23THRUST_200600_302600_NS6detail15normal_iteratorINS9_10device_ptrIsEEEESE_SE_sNS9_4plusIsEE19head_flag_predicatesEE10hipError_tPvRmT2_T3_T4_T5_mT6_T7_P12ihipStream_tbENKUlT_T0_E_clISt17integral_constantIbLb0EESX_IbLb1EEEEDaST_SU_EUlST_E_NS1_11comp_targetILNS1_3genE10ELNS1_11target_archE1200ELNS1_3gpuE4ELNS1_3repE0EEENS1_30default_config_static_selectorELNS0_4arch9wavefront6targetE0EEEvT1_.has_recursion, 0
	.set _ZN7rocprim17ROCPRIM_400000_NS6detail17trampoline_kernelINS0_14default_configENS1_27scan_by_key_config_selectorIssEEZZNS1_16scan_by_key_implILNS1_25lookback_scan_determinismE0ELb1ES3_N6thrust23THRUST_200600_302600_NS6detail15normal_iteratorINS9_10device_ptrIsEEEESE_SE_sNS9_4plusIsEE19head_flag_predicatesEE10hipError_tPvRmT2_T3_T4_T5_mT6_T7_P12ihipStream_tbENKUlT_T0_E_clISt17integral_constantIbLb0EESX_IbLb1EEEEDaST_SU_EUlST_E_NS1_11comp_targetILNS1_3genE10ELNS1_11target_archE1200ELNS1_3gpuE4ELNS1_3repE0EEENS1_30default_config_static_selectorELNS0_4arch9wavefront6targetE0EEEvT1_.has_indirect_call, 0
	.section	.AMDGPU.csdata,"",@progbits
; Kernel info:
; codeLenInByte = 0
; TotalNumSgprs: 0
; NumVgprs: 0
; ScratchSize: 0
; MemoryBound: 0
; FloatMode: 240
; IeeeMode: 1
; LDSByteSize: 0 bytes/workgroup (compile time only)
; SGPRBlocks: 0
; VGPRBlocks: 0
; NumSGPRsForWavesPerEU: 1
; NumVGPRsForWavesPerEU: 1
; Occupancy: 16
; WaveLimiterHint : 0
; COMPUTE_PGM_RSRC2:SCRATCH_EN: 0
; COMPUTE_PGM_RSRC2:USER_SGPR: 6
; COMPUTE_PGM_RSRC2:TRAP_HANDLER: 0
; COMPUTE_PGM_RSRC2:TGID_X_EN: 1
; COMPUTE_PGM_RSRC2:TGID_Y_EN: 0
; COMPUTE_PGM_RSRC2:TGID_Z_EN: 0
; COMPUTE_PGM_RSRC2:TIDIG_COMP_CNT: 0
	.section	.text._ZN7rocprim17ROCPRIM_400000_NS6detail17trampoline_kernelINS0_14default_configENS1_27scan_by_key_config_selectorIssEEZZNS1_16scan_by_key_implILNS1_25lookback_scan_determinismE0ELb1ES3_N6thrust23THRUST_200600_302600_NS6detail15normal_iteratorINS9_10device_ptrIsEEEESE_SE_sNS9_4plusIsEE19head_flag_predicatesEE10hipError_tPvRmT2_T3_T4_T5_mT6_T7_P12ihipStream_tbENKUlT_T0_E_clISt17integral_constantIbLb0EESX_IbLb1EEEEDaST_SU_EUlST_E_NS1_11comp_targetILNS1_3genE9ELNS1_11target_archE1100ELNS1_3gpuE3ELNS1_3repE0EEENS1_30default_config_static_selectorELNS0_4arch9wavefront6targetE0EEEvT1_,"axG",@progbits,_ZN7rocprim17ROCPRIM_400000_NS6detail17trampoline_kernelINS0_14default_configENS1_27scan_by_key_config_selectorIssEEZZNS1_16scan_by_key_implILNS1_25lookback_scan_determinismE0ELb1ES3_N6thrust23THRUST_200600_302600_NS6detail15normal_iteratorINS9_10device_ptrIsEEEESE_SE_sNS9_4plusIsEE19head_flag_predicatesEE10hipError_tPvRmT2_T3_T4_T5_mT6_T7_P12ihipStream_tbENKUlT_T0_E_clISt17integral_constantIbLb0EESX_IbLb1EEEEDaST_SU_EUlST_E_NS1_11comp_targetILNS1_3genE9ELNS1_11target_archE1100ELNS1_3gpuE3ELNS1_3repE0EEENS1_30default_config_static_selectorELNS0_4arch9wavefront6targetE0EEEvT1_,comdat
	.protected	_ZN7rocprim17ROCPRIM_400000_NS6detail17trampoline_kernelINS0_14default_configENS1_27scan_by_key_config_selectorIssEEZZNS1_16scan_by_key_implILNS1_25lookback_scan_determinismE0ELb1ES3_N6thrust23THRUST_200600_302600_NS6detail15normal_iteratorINS9_10device_ptrIsEEEESE_SE_sNS9_4plusIsEE19head_flag_predicatesEE10hipError_tPvRmT2_T3_T4_T5_mT6_T7_P12ihipStream_tbENKUlT_T0_E_clISt17integral_constantIbLb0EESX_IbLb1EEEEDaST_SU_EUlST_E_NS1_11comp_targetILNS1_3genE9ELNS1_11target_archE1100ELNS1_3gpuE3ELNS1_3repE0EEENS1_30default_config_static_selectorELNS0_4arch9wavefront6targetE0EEEvT1_ ; -- Begin function _ZN7rocprim17ROCPRIM_400000_NS6detail17trampoline_kernelINS0_14default_configENS1_27scan_by_key_config_selectorIssEEZZNS1_16scan_by_key_implILNS1_25lookback_scan_determinismE0ELb1ES3_N6thrust23THRUST_200600_302600_NS6detail15normal_iteratorINS9_10device_ptrIsEEEESE_SE_sNS9_4plusIsEE19head_flag_predicatesEE10hipError_tPvRmT2_T3_T4_T5_mT6_T7_P12ihipStream_tbENKUlT_T0_E_clISt17integral_constantIbLb0EESX_IbLb1EEEEDaST_SU_EUlST_E_NS1_11comp_targetILNS1_3genE9ELNS1_11target_archE1100ELNS1_3gpuE3ELNS1_3repE0EEENS1_30default_config_static_selectorELNS0_4arch9wavefront6targetE0EEEvT1_
	.globl	_ZN7rocprim17ROCPRIM_400000_NS6detail17trampoline_kernelINS0_14default_configENS1_27scan_by_key_config_selectorIssEEZZNS1_16scan_by_key_implILNS1_25lookback_scan_determinismE0ELb1ES3_N6thrust23THRUST_200600_302600_NS6detail15normal_iteratorINS9_10device_ptrIsEEEESE_SE_sNS9_4plusIsEE19head_flag_predicatesEE10hipError_tPvRmT2_T3_T4_T5_mT6_T7_P12ihipStream_tbENKUlT_T0_E_clISt17integral_constantIbLb0EESX_IbLb1EEEEDaST_SU_EUlST_E_NS1_11comp_targetILNS1_3genE9ELNS1_11target_archE1100ELNS1_3gpuE3ELNS1_3repE0EEENS1_30default_config_static_selectorELNS0_4arch9wavefront6targetE0EEEvT1_
	.p2align	8
	.type	_ZN7rocprim17ROCPRIM_400000_NS6detail17trampoline_kernelINS0_14default_configENS1_27scan_by_key_config_selectorIssEEZZNS1_16scan_by_key_implILNS1_25lookback_scan_determinismE0ELb1ES3_N6thrust23THRUST_200600_302600_NS6detail15normal_iteratorINS9_10device_ptrIsEEEESE_SE_sNS9_4plusIsEE19head_flag_predicatesEE10hipError_tPvRmT2_T3_T4_T5_mT6_T7_P12ihipStream_tbENKUlT_T0_E_clISt17integral_constantIbLb0EESX_IbLb1EEEEDaST_SU_EUlST_E_NS1_11comp_targetILNS1_3genE9ELNS1_11target_archE1100ELNS1_3gpuE3ELNS1_3repE0EEENS1_30default_config_static_selectorELNS0_4arch9wavefront6targetE0EEEvT1_,@function
_ZN7rocprim17ROCPRIM_400000_NS6detail17trampoline_kernelINS0_14default_configENS1_27scan_by_key_config_selectorIssEEZZNS1_16scan_by_key_implILNS1_25lookback_scan_determinismE0ELb1ES3_N6thrust23THRUST_200600_302600_NS6detail15normal_iteratorINS9_10device_ptrIsEEEESE_SE_sNS9_4plusIsEE19head_flag_predicatesEE10hipError_tPvRmT2_T3_T4_T5_mT6_T7_P12ihipStream_tbENKUlT_T0_E_clISt17integral_constantIbLb0EESX_IbLb1EEEEDaST_SU_EUlST_E_NS1_11comp_targetILNS1_3genE9ELNS1_11target_archE1100ELNS1_3gpuE3ELNS1_3repE0EEENS1_30default_config_static_selectorELNS0_4arch9wavefront6targetE0EEEvT1_: ; @_ZN7rocprim17ROCPRIM_400000_NS6detail17trampoline_kernelINS0_14default_configENS1_27scan_by_key_config_selectorIssEEZZNS1_16scan_by_key_implILNS1_25lookback_scan_determinismE0ELb1ES3_N6thrust23THRUST_200600_302600_NS6detail15normal_iteratorINS9_10device_ptrIsEEEESE_SE_sNS9_4plusIsEE19head_flag_predicatesEE10hipError_tPvRmT2_T3_T4_T5_mT6_T7_P12ihipStream_tbENKUlT_T0_E_clISt17integral_constantIbLb0EESX_IbLb1EEEEDaST_SU_EUlST_E_NS1_11comp_targetILNS1_3genE9ELNS1_11target_archE1100ELNS1_3gpuE3ELNS1_3repE0EEENS1_30default_config_static_selectorELNS0_4arch9wavefront6targetE0EEEvT1_
; %bb.0:
	.section	.rodata,"a",@progbits
	.p2align	6, 0x0
	.amdhsa_kernel _ZN7rocprim17ROCPRIM_400000_NS6detail17trampoline_kernelINS0_14default_configENS1_27scan_by_key_config_selectorIssEEZZNS1_16scan_by_key_implILNS1_25lookback_scan_determinismE0ELb1ES3_N6thrust23THRUST_200600_302600_NS6detail15normal_iteratorINS9_10device_ptrIsEEEESE_SE_sNS9_4plusIsEE19head_flag_predicatesEE10hipError_tPvRmT2_T3_T4_T5_mT6_T7_P12ihipStream_tbENKUlT_T0_E_clISt17integral_constantIbLb0EESX_IbLb1EEEEDaST_SU_EUlST_E_NS1_11comp_targetILNS1_3genE9ELNS1_11target_archE1100ELNS1_3gpuE3ELNS1_3repE0EEENS1_30default_config_static_selectorELNS0_4arch9wavefront6targetE0EEEvT1_
		.amdhsa_group_segment_fixed_size 0
		.amdhsa_private_segment_fixed_size 0
		.amdhsa_kernarg_size 112
		.amdhsa_user_sgpr_count 6
		.amdhsa_user_sgpr_private_segment_buffer 1
		.amdhsa_user_sgpr_dispatch_ptr 0
		.amdhsa_user_sgpr_queue_ptr 0
		.amdhsa_user_sgpr_kernarg_segment_ptr 1
		.amdhsa_user_sgpr_dispatch_id 0
		.amdhsa_user_sgpr_flat_scratch_init 0
		.amdhsa_user_sgpr_private_segment_size 0
		.amdhsa_wavefront_size32 1
		.amdhsa_uses_dynamic_stack 0
		.amdhsa_system_sgpr_private_segment_wavefront_offset 0
		.amdhsa_system_sgpr_workgroup_id_x 1
		.amdhsa_system_sgpr_workgroup_id_y 0
		.amdhsa_system_sgpr_workgroup_id_z 0
		.amdhsa_system_sgpr_workgroup_info 0
		.amdhsa_system_vgpr_workitem_id 0
		.amdhsa_next_free_vgpr 1
		.amdhsa_next_free_sgpr 1
		.amdhsa_reserve_vcc 0
		.amdhsa_reserve_flat_scratch 0
		.amdhsa_float_round_mode_32 0
		.amdhsa_float_round_mode_16_64 0
		.amdhsa_float_denorm_mode_32 3
		.amdhsa_float_denorm_mode_16_64 3
		.amdhsa_dx10_clamp 1
		.amdhsa_ieee_mode 1
		.amdhsa_fp16_overflow 0
		.amdhsa_workgroup_processor_mode 1
		.amdhsa_memory_ordered 1
		.amdhsa_forward_progress 1
		.amdhsa_shared_vgpr_count 0
		.amdhsa_exception_fp_ieee_invalid_op 0
		.amdhsa_exception_fp_denorm_src 0
		.amdhsa_exception_fp_ieee_div_zero 0
		.amdhsa_exception_fp_ieee_overflow 0
		.amdhsa_exception_fp_ieee_underflow 0
		.amdhsa_exception_fp_ieee_inexact 0
		.amdhsa_exception_int_div_zero 0
	.end_amdhsa_kernel
	.section	.text._ZN7rocprim17ROCPRIM_400000_NS6detail17trampoline_kernelINS0_14default_configENS1_27scan_by_key_config_selectorIssEEZZNS1_16scan_by_key_implILNS1_25lookback_scan_determinismE0ELb1ES3_N6thrust23THRUST_200600_302600_NS6detail15normal_iteratorINS9_10device_ptrIsEEEESE_SE_sNS9_4plusIsEE19head_flag_predicatesEE10hipError_tPvRmT2_T3_T4_T5_mT6_T7_P12ihipStream_tbENKUlT_T0_E_clISt17integral_constantIbLb0EESX_IbLb1EEEEDaST_SU_EUlST_E_NS1_11comp_targetILNS1_3genE9ELNS1_11target_archE1100ELNS1_3gpuE3ELNS1_3repE0EEENS1_30default_config_static_selectorELNS0_4arch9wavefront6targetE0EEEvT1_,"axG",@progbits,_ZN7rocprim17ROCPRIM_400000_NS6detail17trampoline_kernelINS0_14default_configENS1_27scan_by_key_config_selectorIssEEZZNS1_16scan_by_key_implILNS1_25lookback_scan_determinismE0ELb1ES3_N6thrust23THRUST_200600_302600_NS6detail15normal_iteratorINS9_10device_ptrIsEEEESE_SE_sNS9_4plusIsEE19head_flag_predicatesEE10hipError_tPvRmT2_T3_T4_T5_mT6_T7_P12ihipStream_tbENKUlT_T0_E_clISt17integral_constantIbLb0EESX_IbLb1EEEEDaST_SU_EUlST_E_NS1_11comp_targetILNS1_3genE9ELNS1_11target_archE1100ELNS1_3gpuE3ELNS1_3repE0EEENS1_30default_config_static_selectorELNS0_4arch9wavefront6targetE0EEEvT1_,comdat
.Lfunc_end891:
	.size	_ZN7rocprim17ROCPRIM_400000_NS6detail17trampoline_kernelINS0_14default_configENS1_27scan_by_key_config_selectorIssEEZZNS1_16scan_by_key_implILNS1_25lookback_scan_determinismE0ELb1ES3_N6thrust23THRUST_200600_302600_NS6detail15normal_iteratorINS9_10device_ptrIsEEEESE_SE_sNS9_4plusIsEE19head_flag_predicatesEE10hipError_tPvRmT2_T3_T4_T5_mT6_T7_P12ihipStream_tbENKUlT_T0_E_clISt17integral_constantIbLb0EESX_IbLb1EEEEDaST_SU_EUlST_E_NS1_11comp_targetILNS1_3genE9ELNS1_11target_archE1100ELNS1_3gpuE3ELNS1_3repE0EEENS1_30default_config_static_selectorELNS0_4arch9wavefront6targetE0EEEvT1_, .Lfunc_end891-_ZN7rocprim17ROCPRIM_400000_NS6detail17trampoline_kernelINS0_14default_configENS1_27scan_by_key_config_selectorIssEEZZNS1_16scan_by_key_implILNS1_25lookback_scan_determinismE0ELb1ES3_N6thrust23THRUST_200600_302600_NS6detail15normal_iteratorINS9_10device_ptrIsEEEESE_SE_sNS9_4plusIsEE19head_flag_predicatesEE10hipError_tPvRmT2_T3_T4_T5_mT6_T7_P12ihipStream_tbENKUlT_T0_E_clISt17integral_constantIbLb0EESX_IbLb1EEEEDaST_SU_EUlST_E_NS1_11comp_targetILNS1_3genE9ELNS1_11target_archE1100ELNS1_3gpuE3ELNS1_3repE0EEENS1_30default_config_static_selectorELNS0_4arch9wavefront6targetE0EEEvT1_
                                        ; -- End function
	.set _ZN7rocprim17ROCPRIM_400000_NS6detail17trampoline_kernelINS0_14default_configENS1_27scan_by_key_config_selectorIssEEZZNS1_16scan_by_key_implILNS1_25lookback_scan_determinismE0ELb1ES3_N6thrust23THRUST_200600_302600_NS6detail15normal_iteratorINS9_10device_ptrIsEEEESE_SE_sNS9_4plusIsEE19head_flag_predicatesEE10hipError_tPvRmT2_T3_T4_T5_mT6_T7_P12ihipStream_tbENKUlT_T0_E_clISt17integral_constantIbLb0EESX_IbLb1EEEEDaST_SU_EUlST_E_NS1_11comp_targetILNS1_3genE9ELNS1_11target_archE1100ELNS1_3gpuE3ELNS1_3repE0EEENS1_30default_config_static_selectorELNS0_4arch9wavefront6targetE0EEEvT1_.num_vgpr, 0
	.set _ZN7rocprim17ROCPRIM_400000_NS6detail17trampoline_kernelINS0_14default_configENS1_27scan_by_key_config_selectorIssEEZZNS1_16scan_by_key_implILNS1_25lookback_scan_determinismE0ELb1ES3_N6thrust23THRUST_200600_302600_NS6detail15normal_iteratorINS9_10device_ptrIsEEEESE_SE_sNS9_4plusIsEE19head_flag_predicatesEE10hipError_tPvRmT2_T3_T4_T5_mT6_T7_P12ihipStream_tbENKUlT_T0_E_clISt17integral_constantIbLb0EESX_IbLb1EEEEDaST_SU_EUlST_E_NS1_11comp_targetILNS1_3genE9ELNS1_11target_archE1100ELNS1_3gpuE3ELNS1_3repE0EEENS1_30default_config_static_selectorELNS0_4arch9wavefront6targetE0EEEvT1_.num_agpr, 0
	.set _ZN7rocprim17ROCPRIM_400000_NS6detail17trampoline_kernelINS0_14default_configENS1_27scan_by_key_config_selectorIssEEZZNS1_16scan_by_key_implILNS1_25lookback_scan_determinismE0ELb1ES3_N6thrust23THRUST_200600_302600_NS6detail15normal_iteratorINS9_10device_ptrIsEEEESE_SE_sNS9_4plusIsEE19head_flag_predicatesEE10hipError_tPvRmT2_T3_T4_T5_mT6_T7_P12ihipStream_tbENKUlT_T0_E_clISt17integral_constantIbLb0EESX_IbLb1EEEEDaST_SU_EUlST_E_NS1_11comp_targetILNS1_3genE9ELNS1_11target_archE1100ELNS1_3gpuE3ELNS1_3repE0EEENS1_30default_config_static_selectorELNS0_4arch9wavefront6targetE0EEEvT1_.numbered_sgpr, 0
	.set _ZN7rocprim17ROCPRIM_400000_NS6detail17trampoline_kernelINS0_14default_configENS1_27scan_by_key_config_selectorIssEEZZNS1_16scan_by_key_implILNS1_25lookback_scan_determinismE0ELb1ES3_N6thrust23THRUST_200600_302600_NS6detail15normal_iteratorINS9_10device_ptrIsEEEESE_SE_sNS9_4plusIsEE19head_flag_predicatesEE10hipError_tPvRmT2_T3_T4_T5_mT6_T7_P12ihipStream_tbENKUlT_T0_E_clISt17integral_constantIbLb0EESX_IbLb1EEEEDaST_SU_EUlST_E_NS1_11comp_targetILNS1_3genE9ELNS1_11target_archE1100ELNS1_3gpuE3ELNS1_3repE0EEENS1_30default_config_static_selectorELNS0_4arch9wavefront6targetE0EEEvT1_.num_named_barrier, 0
	.set _ZN7rocprim17ROCPRIM_400000_NS6detail17trampoline_kernelINS0_14default_configENS1_27scan_by_key_config_selectorIssEEZZNS1_16scan_by_key_implILNS1_25lookback_scan_determinismE0ELb1ES3_N6thrust23THRUST_200600_302600_NS6detail15normal_iteratorINS9_10device_ptrIsEEEESE_SE_sNS9_4plusIsEE19head_flag_predicatesEE10hipError_tPvRmT2_T3_T4_T5_mT6_T7_P12ihipStream_tbENKUlT_T0_E_clISt17integral_constantIbLb0EESX_IbLb1EEEEDaST_SU_EUlST_E_NS1_11comp_targetILNS1_3genE9ELNS1_11target_archE1100ELNS1_3gpuE3ELNS1_3repE0EEENS1_30default_config_static_selectorELNS0_4arch9wavefront6targetE0EEEvT1_.private_seg_size, 0
	.set _ZN7rocprim17ROCPRIM_400000_NS6detail17trampoline_kernelINS0_14default_configENS1_27scan_by_key_config_selectorIssEEZZNS1_16scan_by_key_implILNS1_25lookback_scan_determinismE0ELb1ES3_N6thrust23THRUST_200600_302600_NS6detail15normal_iteratorINS9_10device_ptrIsEEEESE_SE_sNS9_4plusIsEE19head_flag_predicatesEE10hipError_tPvRmT2_T3_T4_T5_mT6_T7_P12ihipStream_tbENKUlT_T0_E_clISt17integral_constantIbLb0EESX_IbLb1EEEEDaST_SU_EUlST_E_NS1_11comp_targetILNS1_3genE9ELNS1_11target_archE1100ELNS1_3gpuE3ELNS1_3repE0EEENS1_30default_config_static_selectorELNS0_4arch9wavefront6targetE0EEEvT1_.uses_vcc, 0
	.set _ZN7rocprim17ROCPRIM_400000_NS6detail17trampoline_kernelINS0_14default_configENS1_27scan_by_key_config_selectorIssEEZZNS1_16scan_by_key_implILNS1_25lookback_scan_determinismE0ELb1ES3_N6thrust23THRUST_200600_302600_NS6detail15normal_iteratorINS9_10device_ptrIsEEEESE_SE_sNS9_4plusIsEE19head_flag_predicatesEE10hipError_tPvRmT2_T3_T4_T5_mT6_T7_P12ihipStream_tbENKUlT_T0_E_clISt17integral_constantIbLb0EESX_IbLb1EEEEDaST_SU_EUlST_E_NS1_11comp_targetILNS1_3genE9ELNS1_11target_archE1100ELNS1_3gpuE3ELNS1_3repE0EEENS1_30default_config_static_selectorELNS0_4arch9wavefront6targetE0EEEvT1_.uses_flat_scratch, 0
	.set _ZN7rocprim17ROCPRIM_400000_NS6detail17trampoline_kernelINS0_14default_configENS1_27scan_by_key_config_selectorIssEEZZNS1_16scan_by_key_implILNS1_25lookback_scan_determinismE0ELb1ES3_N6thrust23THRUST_200600_302600_NS6detail15normal_iteratorINS9_10device_ptrIsEEEESE_SE_sNS9_4plusIsEE19head_flag_predicatesEE10hipError_tPvRmT2_T3_T4_T5_mT6_T7_P12ihipStream_tbENKUlT_T0_E_clISt17integral_constantIbLb0EESX_IbLb1EEEEDaST_SU_EUlST_E_NS1_11comp_targetILNS1_3genE9ELNS1_11target_archE1100ELNS1_3gpuE3ELNS1_3repE0EEENS1_30default_config_static_selectorELNS0_4arch9wavefront6targetE0EEEvT1_.has_dyn_sized_stack, 0
	.set _ZN7rocprim17ROCPRIM_400000_NS6detail17trampoline_kernelINS0_14default_configENS1_27scan_by_key_config_selectorIssEEZZNS1_16scan_by_key_implILNS1_25lookback_scan_determinismE0ELb1ES3_N6thrust23THRUST_200600_302600_NS6detail15normal_iteratorINS9_10device_ptrIsEEEESE_SE_sNS9_4plusIsEE19head_flag_predicatesEE10hipError_tPvRmT2_T3_T4_T5_mT6_T7_P12ihipStream_tbENKUlT_T0_E_clISt17integral_constantIbLb0EESX_IbLb1EEEEDaST_SU_EUlST_E_NS1_11comp_targetILNS1_3genE9ELNS1_11target_archE1100ELNS1_3gpuE3ELNS1_3repE0EEENS1_30default_config_static_selectorELNS0_4arch9wavefront6targetE0EEEvT1_.has_recursion, 0
	.set _ZN7rocprim17ROCPRIM_400000_NS6detail17trampoline_kernelINS0_14default_configENS1_27scan_by_key_config_selectorIssEEZZNS1_16scan_by_key_implILNS1_25lookback_scan_determinismE0ELb1ES3_N6thrust23THRUST_200600_302600_NS6detail15normal_iteratorINS9_10device_ptrIsEEEESE_SE_sNS9_4plusIsEE19head_flag_predicatesEE10hipError_tPvRmT2_T3_T4_T5_mT6_T7_P12ihipStream_tbENKUlT_T0_E_clISt17integral_constantIbLb0EESX_IbLb1EEEEDaST_SU_EUlST_E_NS1_11comp_targetILNS1_3genE9ELNS1_11target_archE1100ELNS1_3gpuE3ELNS1_3repE0EEENS1_30default_config_static_selectorELNS0_4arch9wavefront6targetE0EEEvT1_.has_indirect_call, 0
	.section	.AMDGPU.csdata,"",@progbits
; Kernel info:
; codeLenInByte = 0
; TotalNumSgprs: 0
; NumVgprs: 0
; ScratchSize: 0
; MemoryBound: 0
; FloatMode: 240
; IeeeMode: 1
; LDSByteSize: 0 bytes/workgroup (compile time only)
; SGPRBlocks: 0
; VGPRBlocks: 0
; NumSGPRsForWavesPerEU: 1
; NumVGPRsForWavesPerEU: 1
; Occupancy: 16
; WaveLimiterHint : 0
; COMPUTE_PGM_RSRC2:SCRATCH_EN: 0
; COMPUTE_PGM_RSRC2:USER_SGPR: 6
; COMPUTE_PGM_RSRC2:TRAP_HANDLER: 0
; COMPUTE_PGM_RSRC2:TGID_X_EN: 1
; COMPUTE_PGM_RSRC2:TGID_Y_EN: 0
; COMPUTE_PGM_RSRC2:TGID_Z_EN: 0
; COMPUTE_PGM_RSRC2:TIDIG_COMP_CNT: 0
	.section	.text._ZN7rocprim17ROCPRIM_400000_NS6detail17trampoline_kernelINS0_14default_configENS1_27scan_by_key_config_selectorIssEEZZNS1_16scan_by_key_implILNS1_25lookback_scan_determinismE0ELb1ES3_N6thrust23THRUST_200600_302600_NS6detail15normal_iteratorINS9_10device_ptrIsEEEESE_SE_sNS9_4plusIsEE19head_flag_predicatesEE10hipError_tPvRmT2_T3_T4_T5_mT6_T7_P12ihipStream_tbENKUlT_T0_E_clISt17integral_constantIbLb0EESX_IbLb1EEEEDaST_SU_EUlST_E_NS1_11comp_targetILNS1_3genE8ELNS1_11target_archE1030ELNS1_3gpuE2ELNS1_3repE0EEENS1_30default_config_static_selectorELNS0_4arch9wavefront6targetE0EEEvT1_,"axG",@progbits,_ZN7rocprim17ROCPRIM_400000_NS6detail17trampoline_kernelINS0_14default_configENS1_27scan_by_key_config_selectorIssEEZZNS1_16scan_by_key_implILNS1_25lookback_scan_determinismE0ELb1ES3_N6thrust23THRUST_200600_302600_NS6detail15normal_iteratorINS9_10device_ptrIsEEEESE_SE_sNS9_4plusIsEE19head_flag_predicatesEE10hipError_tPvRmT2_T3_T4_T5_mT6_T7_P12ihipStream_tbENKUlT_T0_E_clISt17integral_constantIbLb0EESX_IbLb1EEEEDaST_SU_EUlST_E_NS1_11comp_targetILNS1_3genE8ELNS1_11target_archE1030ELNS1_3gpuE2ELNS1_3repE0EEENS1_30default_config_static_selectorELNS0_4arch9wavefront6targetE0EEEvT1_,comdat
	.protected	_ZN7rocprim17ROCPRIM_400000_NS6detail17trampoline_kernelINS0_14default_configENS1_27scan_by_key_config_selectorIssEEZZNS1_16scan_by_key_implILNS1_25lookback_scan_determinismE0ELb1ES3_N6thrust23THRUST_200600_302600_NS6detail15normal_iteratorINS9_10device_ptrIsEEEESE_SE_sNS9_4plusIsEE19head_flag_predicatesEE10hipError_tPvRmT2_T3_T4_T5_mT6_T7_P12ihipStream_tbENKUlT_T0_E_clISt17integral_constantIbLb0EESX_IbLb1EEEEDaST_SU_EUlST_E_NS1_11comp_targetILNS1_3genE8ELNS1_11target_archE1030ELNS1_3gpuE2ELNS1_3repE0EEENS1_30default_config_static_selectorELNS0_4arch9wavefront6targetE0EEEvT1_ ; -- Begin function _ZN7rocprim17ROCPRIM_400000_NS6detail17trampoline_kernelINS0_14default_configENS1_27scan_by_key_config_selectorIssEEZZNS1_16scan_by_key_implILNS1_25lookback_scan_determinismE0ELb1ES3_N6thrust23THRUST_200600_302600_NS6detail15normal_iteratorINS9_10device_ptrIsEEEESE_SE_sNS9_4plusIsEE19head_flag_predicatesEE10hipError_tPvRmT2_T3_T4_T5_mT6_T7_P12ihipStream_tbENKUlT_T0_E_clISt17integral_constantIbLb0EESX_IbLb1EEEEDaST_SU_EUlST_E_NS1_11comp_targetILNS1_3genE8ELNS1_11target_archE1030ELNS1_3gpuE2ELNS1_3repE0EEENS1_30default_config_static_selectorELNS0_4arch9wavefront6targetE0EEEvT1_
	.globl	_ZN7rocprim17ROCPRIM_400000_NS6detail17trampoline_kernelINS0_14default_configENS1_27scan_by_key_config_selectorIssEEZZNS1_16scan_by_key_implILNS1_25lookback_scan_determinismE0ELb1ES3_N6thrust23THRUST_200600_302600_NS6detail15normal_iteratorINS9_10device_ptrIsEEEESE_SE_sNS9_4plusIsEE19head_flag_predicatesEE10hipError_tPvRmT2_T3_T4_T5_mT6_T7_P12ihipStream_tbENKUlT_T0_E_clISt17integral_constantIbLb0EESX_IbLb1EEEEDaST_SU_EUlST_E_NS1_11comp_targetILNS1_3genE8ELNS1_11target_archE1030ELNS1_3gpuE2ELNS1_3repE0EEENS1_30default_config_static_selectorELNS0_4arch9wavefront6targetE0EEEvT1_
	.p2align	8
	.type	_ZN7rocprim17ROCPRIM_400000_NS6detail17trampoline_kernelINS0_14default_configENS1_27scan_by_key_config_selectorIssEEZZNS1_16scan_by_key_implILNS1_25lookback_scan_determinismE0ELb1ES3_N6thrust23THRUST_200600_302600_NS6detail15normal_iteratorINS9_10device_ptrIsEEEESE_SE_sNS9_4plusIsEE19head_flag_predicatesEE10hipError_tPvRmT2_T3_T4_T5_mT6_T7_P12ihipStream_tbENKUlT_T0_E_clISt17integral_constantIbLb0EESX_IbLb1EEEEDaST_SU_EUlST_E_NS1_11comp_targetILNS1_3genE8ELNS1_11target_archE1030ELNS1_3gpuE2ELNS1_3repE0EEENS1_30default_config_static_selectorELNS0_4arch9wavefront6targetE0EEEvT1_,@function
_ZN7rocprim17ROCPRIM_400000_NS6detail17trampoline_kernelINS0_14default_configENS1_27scan_by_key_config_selectorIssEEZZNS1_16scan_by_key_implILNS1_25lookback_scan_determinismE0ELb1ES3_N6thrust23THRUST_200600_302600_NS6detail15normal_iteratorINS9_10device_ptrIsEEEESE_SE_sNS9_4plusIsEE19head_flag_predicatesEE10hipError_tPvRmT2_T3_T4_T5_mT6_T7_P12ihipStream_tbENKUlT_T0_E_clISt17integral_constantIbLb0EESX_IbLb1EEEEDaST_SU_EUlST_E_NS1_11comp_targetILNS1_3genE8ELNS1_11target_archE1030ELNS1_3gpuE2ELNS1_3repE0EEENS1_30default_config_static_selectorELNS0_4arch9wavefront6targetE0EEEvT1_: ; @_ZN7rocprim17ROCPRIM_400000_NS6detail17trampoline_kernelINS0_14default_configENS1_27scan_by_key_config_selectorIssEEZZNS1_16scan_by_key_implILNS1_25lookback_scan_determinismE0ELb1ES3_N6thrust23THRUST_200600_302600_NS6detail15normal_iteratorINS9_10device_ptrIsEEEESE_SE_sNS9_4plusIsEE19head_flag_predicatesEE10hipError_tPvRmT2_T3_T4_T5_mT6_T7_P12ihipStream_tbENKUlT_T0_E_clISt17integral_constantIbLb0EESX_IbLb1EEEEDaST_SU_EUlST_E_NS1_11comp_targetILNS1_3genE8ELNS1_11target_archE1030ELNS1_3gpuE2ELNS1_3repE0EEENS1_30default_config_static_selectorELNS0_4arch9wavefront6targetE0EEEvT1_
; %bb.0:
	s_clause 0x2
	s_load_dword s28, s[4:5], 0x20
	s_load_dwordx4 s[16:19], s[4:5], 0x28
	s_load_dwordx2 s[26:27], s[4:5], 0x38
	v_cmp_ne_u32_e64 s1, 0, v0
	v_cmp_eq_u32_e64 s0, 0, v0
	s_and_saveexec_b32 s2, s0
	s_cbranch_execz .LBB892_4
; %bb.1:
	s_mov_b32 s6, exec_lo
	s_mov_b32 s3, exec_lo
	v_mbcnt_lo_u32_b32 v1, s6, 0
                                        ; implicit-def: $vgpr2
	v_cmpx_eq_u32_e32 0, v1
	s_cbranch_execz .LBB892_3
; %bb.2:
	s_load_dwordx2 s[8:9], s[4:5], 0x68
	s_bcnt1_i32_b32 s6, s6
	v_mov_b32_e32 v2, 0
	v_mov_b32_e32 v3, s6
	s_waitcnt lgkmcnt(0)
	global_atomic_add v2, v2, v3, s[8:9] glc
.LBB892_3:
	s_or_b32 exec_lo, exec_lo, s3
	s_waitcnt vmcnt(0)
	v_readfirstlane_b32 s3, v2
	v_mov_b32_e32 v2, 0
	v_add_nc_u32_e32 v1, s3, v1
	ds_write_b32 v2, v1
.LBB892_4:
	s_or_b32 exec_lo, exec_lo, s2
	v_mov_b32_e32 v2, 0
	s_clause 0x2
	s_load_dwordx8 s[8:15], s[4:5], 0x0
	s_load_dword s2, s[4:5], 0x40
	s_load_dwordx4 s[20:23], s[4:5], 0x48
	s_waitcnt lgkmcnt(0)
	s_barrier
	buffer_gl0_inv
	ds_read_b32 v5, v2
	s_waitcnt lgkmcnt(0)
	s_barrier
	buffer_gl0_inv
	s_barrier
	buffer_gl0_inv
	s_lshl_b64 s[24:25], s[10:11], 1
	s_mul_i32 s3, s27, s2
	s_add_u32 s6, s8, s24
	s_mul_hi_u32 s4, s26, s2
	s_mul_i32 s2, s26, s2
	s_addc_u32 s7, s9, s25
	v_mul_lo_u32 v1, 0x280, v5
	s_add_u32 s8, s12, s24
	s_addc_u32 s9, s13, s25
	s_add_i32 s4, s4, s3
	v_add_co_u32 v3, s2, s2, v5
	v_add_co_ci_u32_e64 v4, null, s4, 0, s2
	v_lshlrev_b64 v[9:10], 1, v[1:2]
	s_add_u32 s4, s20, -1
	s_addc_u32 s5, s21, -1
	v_readfirstlane_b32 s20, v5
	v_cmp_le_u64_e64 s2, s[4:5], v[3:4]
	s_mul_i32 s19, s4, 0xfffffd80
	v_add_co_u32 v11, vcc_lo, s6, v9
	v_add_co_ci_u32_e64 v12, null, s7, v10, vcc_lo
	v_add_co_u32 v26, vcc_lo, s8, v9
	v_add_co_ci_u32_e64 v27, null, s9, v10, vcc_lo
	s_and_b32 vcc_lo, exec_lo, s2
	s_cbranch_vccz .LBB892_59
; %bb.5:
	flat_load_ushort v1, v[11:12]
	s_add_i32 s13, s19, s18
	v_cmp_gt_u32_e64 s11, s13, v0
	s_waitcnt vmcnt(0) lgkmcnt(0)
	v_mov_b32_e32 v2, v1
	s_and_saveexec_b32 s3, s11
	s_cbranch_execz .LBB892_7
; %bb.6:
	v_lshlrev_b32_e32 v2, 1, v0
	v_add_co_u32 v2, vcc_lo, v11, v2
	v_add_co_ci_u32_e64 v3, null, 0, v12, vcc_lo
	flat_load_ushort v2, v[2:3]
.LBB892_7:
	s_or_b32 exec_lo, exec_lo, s3
	v_or_b32_e32 v3, 64, v0
	v_cmp_gt_u32_e64 s10, s13, v3
	v_mov_b32_e32 v3, v1
	s_and_saveexec_b32 s3, s10
	s_cbranch_execz .LBB892_9
; %bb.8:
	v_lshlrev_b32_e32 v3, 1, v0
	v_add_co_u32 v3, vcc_lo, v11, v3
	v_add_co_ci_u32_e64 v4, null, 0, v12, vcc_lo
	flat_load_ushort v3, v[3:4] offset:128
.LBB892_9:
	s_or_b32 exec_lo, exec_lo, s3
	v_or_b32_e32 v4, 0x80, v0
	v_cmp_gt_u32_e64 s9, s13, v4
	v_mov_b32_e32 v4, v1
	s_and_saveexec_b32 s3, s9
	s_cbranch_execz .LBB892_11
; %bb.10:
	v_lshlrev_b32_e32 v4, 1, v0
	v_add_co_u32 v4, vcc_lo, v11, v4
	v_add_co_ci_u32_e64 v5, null, 0, v12, vcc_lo
	flat_load_ushort v4, v[4:5] offset:256
.LBB892_11:
	;; [unrolled: 12-line block ×8, first 2 shown]
	s_or_b32 exec_lo, exec_lo, s12
	v_or_b32_e32 v15, 0x240, v0
	v_cmp_le_u32_e64 s12, s13, v15
	v_cmp_gt_u32_e32 vcc_lo, s13, v15
	s_and_saveexec_b32 s21, s12
	s_xor_b32 s12, exec_lo, s21
	s_andn2_saveexec_b32 s21, s12
	s_cbranch_execz .LBB892_25
; %bb.24:
	v_lshlrev_b32_e32 v1, 1, v0
	v_add_co_u32 v15, s12, v11, v1
	v_add_co_ci_u32_e64 v16, null, 0, v12, s12
	flat_load_ushort v1, v[15:16] offset:1152
.LBB892_25:
	s_or_b32 exec_lo, exec_lo, s21
	v_lshlrev_b32_e32 v17, 1, v0
	s_mov_b32 s21, exec_lo
	s_waitcnt vmcnt(0) lgkmcnt(0)
	ds_write_b16 v17, v2
	ds_write_b16 v17, v3 offset:128
	ds_write_b16 v17, v4 offset:256
	;; [unrolled: 1-line block ×9, first 2 shown]
	s_waitcnt lgkmcnt(0)
	s_barrier
	buffer_gl0_inv
	flat_load_ushort v29, v[11:12]
	v_mad_u32_u24 v28, v0, 18, v17
	ds_read2_b32 v[15:16], v28 offset1:1
	ds_read2_b32 v[13:14], v28 offset0:2 offset1:3
	ds_read_b32 v30, v28 offset:16
	v_mad_i32_i24 v1, 0xffffffee, v0, v28
	s_waitcnt lgkmcnt(2)
	ds_write_b16 v1, v15 offset:1408
	s_waitcnt vmcnt(0) lgkmcnt(0)
	s_barrier
	buffer_gl0_inv
	v_cmpx_ne_u32_e32 63, v0
; %bb.26:
	v_mul_i32_i24_e32 v1, 0xffffffee, v0
	v_add_nc_u32_e32 v1, v28, v1
	ds_read_u16 v29, v1 offset:1410
; %bb.27:
	s_or_b32 exec_lo, exec_lo, s21
	v_mov_b32_e32 v1, 0
	v_lshlrev_b32_e32 v18, 1, v0
	s_waitcnt lgkmcnt(0)
	s_barrier
	buffer_gl0_inv
	v_mov_b32_e32 v2, v1
	v_mov_b32_e32 v3, v1
	;; [unrolled: 1-line block ×4, first 2 shown]
	s_and_saveexec_b32 s12, s11
	s_cbranch_execnz .LBB892_185
; %bb.28:
	s_or_b32 exec_lo, exec_lo, s12
	s_and_saveexec_b32 s11, s10
	s_cbranch_execnz .LBB892_186
.LBB892_29:
	s_or_b32 exec_lo, exec_lo, s11
	s_and_saveexec_b32 s10, s9
	s_cbranch_execnz .LBB892_187
.LBB892_30:
	s_or_b32 exec_lo, exec_lo, s10
	s_and_saveexec_b32 s9, s8
	s_cbranch_execnz .LBB892_188
.LBB892_31:
	s_or_b32 exec_lo, exec_lo, s9
	s_and_saveexec_b32 s8, s7
	s_cbranch_execnz .LBB892_189
.LBB892_32:
	s_or_b32 exec_lo, exec_lo, s8
	s_and_saveexec_b32 s7, s6
	s_cbranch_execnz .LBB892_190
.LBB892_33:
	s_or_b32 exec_lo, exec_lo, s7
	s_and_saveexec_b32 s6, s5
	s_cbranch_execnz .LBB892_191
.LBB892_34:
	s_or_b32 exec_lo, exec_lo, s6
	s_and_saveexec_b32 s5, s4
	s_cbranch_execnz .LBB892_192
.LBB892_35:
	s_or_b32 exec_lo, exec_lo, s5
	s_and_saveexec_b32 s4, s3
	s_cbranch_execnz .LBB892_193
.LBB892_36:
	s_or_b32 exec_lo, exec_lo, s4
	v_mul_u32_u24_e32 v35, 10, v0
	s_and_saveexec_b32 s3, vcc_lo
	s_cbranch_execz .LBB892_38
.LBB892_37:
	v_add_co_u32 v6, vcc_lo, v26, v18
	v_add_co_ci_u32_e64 v7, null, 0, v27, vcc_lo
	s_waitcnt vmcnt(0) lgkmcnt(0)
	flat_load_short_d16_hi v5, v[6:7] offset:1152
.LBB892_38:
	s_or_b32 exec_lo, exec_lo, s3
	s_waitcnt vmcnt(0) lgkmcnt(0)
	ds_write_b16 v17, v1
	ds_write_b16_d16_hi v17, v1 offset:128
	ds_write_b16 v17, v2 offset:256
	ds_write_b16_d16_hi v17, v2 offset:384
	ds_write_b16 v17, v3 offset:512
	;; [unrolled: 2-line block ×4, first 2 shown]
	ds_write_b16_d16_hi v17, v5 offset:1152
	v_cmp_gt_u32_e32 vcc_lo, s13, v35
	v_mov_b32_e32 v23, 0
	v_mov_b32_e32 v1, 0
	;; [unrolled: 1-line block ×17, first 2 shown]
	s_mov_b32 s4, 0
	s_mov_b32 s3, 0
	s_waitcnt lgkmcnt(0)
	s_barrier
	buffer_gl0_inv
                                        ; implicit-def: $sgpr6
                                        ; implicit-def: $vgpr8
	s_and_saveexec_b32 s5, vcc_lo
	s_cbranch_execz .LBB892_58
; %bb.39:
	ds_read_u16 v2, v28
	v_mov_b32_e32 v1, 0
	v_or_b32_e32 v3, 1, v35
	v_mov_b32_e32 v34, 0
	v_mov_b32_e32 v33, 0
	;; [unrolled: 1-line block ×3, first 2 shown]
	v_cmp_eq_u16_sdwa vcc_lo, v15, v1 src0_sel:WORD_1 src1_sel:DWORD
	v_mov_b32_e32 v31, 0
	v_mov_b32_e32 v7, 0
	;; [unrolled: 1-line block ×10, first 2 shown]
	v_cndmask_b32_e64 v23, 0x10000, 0, vcc_lo
	v_mov_b32_e32 v17, 0
	s_mov_b32 s8, 0
	s_waitcnt lgkmcnt(0)
	v_cndmask_b32_e32 v15, s28, v2, vcc_lo
	s_mov_b32 s7, exec_lo
                                        ; implicit-def: $sgpr6
                                        ; implicit-def: $vgpr8
	v_cmpx_gt_u32_e64 s13, v3
	s_cbranch_execz .LBB892_57
; %bb.40:
	ds_read_b128 v[1:4], v28 offset:2
	v_cmp_eq_u16_e32 vcc_lo, 0, v16
	v_add_nc_u32_e32 v8, 2, v35
	v_mov_b32_e32 v34, 0
	v_mov_b32_e32 v33, 0
	;; [unrolled: 1-line block ×12, first 2 shown]
	v_cmp_gt_u32_e64 s3, s13, v8
	v_cndmask_b32_e64 v25, 0x10000, 0, vcc_lo
	v_mov_b32_e32 v17, 0
	s_mov_b32 s9, 0
                                        ; implicit-def: $sgpr6
                                        ; implicit-def: $vgpr8
	s_waitcnt lgkmcnt(0)
	v_cndmask_b32_e32 v24, s28, v1, vcc_lo
	s_and_saveexec_b32 s8, s3
	s_cbranch_execz .LBB892_56
; %bb.41:
	v_mov_b32_e32 v33, 0
	v_add_nc_u32_e32 v5, 3, v35
	v_mov_b32_e32 v32, 0
	v_mov_b32_e32 v31, 0
	;; [unrolled: 1-line block ×3, first 2 shown]
	v_cmp_eq_u16_sdwa vcc_lo, v16, v33 src0_sel:WORD_1 src1_sel:DWORD
	v_cmp_gt_u32_e64 s3, s13, v5
	v_mov_b32_e32 v6, 0
	v_mov_b32_e32 v5, 0
	;; [unrolled: 1-line block ×3, first 2 shown]
	v_cndmask_b32_e64 v16, 0x10000, 0, vcc_lo
	v_cndmask_b32_sdwa v1, s28, v1, vcc_lo dst_sel:DWORD dst_unused:UNUSED_PAD src0_sel:DWORD src1_sel:WORD_1
	v_mov_b32_e32 v20, 0
	v_mov_b32_e32 v19, 0
	v_mov_b32_e32 v18, 0
	v_mov_b32_e32 v17, 0
	s_mov_b32 s10, 0
                                        ; implicit-def: $sgpr6
                                        ; implicit-def: $vgpr8
	s_and_saveexec_b32 s9, s3
	s_cbranch_execz .LBB892_55
; %bb.42:
	v_cmp_eq_u16_e32 vcc_lo, 0, v13
	v_add_nc_u32_e32 v5, 4, v35
	v_mov_b32_e32 v32, 0
	v_mov_b32_e32 v31, 0
	;; [unrolled: 1-line block ×3, first 2 shown]
	v_cndmask_b32_e32 v21, s28, v2, vcc_lo
	v_cndmask_b32_e64 v22, 0x10000, 0, vcc_lo
	v_cmp_gt_u32_e32 vcc_lo, s13, v5
	v_mov_b32_e32 v6, 0
	v_mov_b32_e32 v5, 0
	;; [unrolled: 1-line block ×6, first 2 shown]
	s_mov_b32 s3, 0
                                        ; implicit-def: $sgpr6
                                        ; implicit-def: $vgpr8
	s_and_saveexec_b32 s10, vcc_lo
	s_cbranch_execz .LBB892_54
; %bb.43:
	v_mov_b32_e32 v31, 0
	v_add_nc_u32_e32 v8, 5, v35
	v_mov_b32_e32 v7, 0
	v_mov_b32_e32 v6, 0
	;; [unrolled: 1-line block ×3, first 2 shown]
	v_cmp_eq_u16_sdwa vcc_lo, v13, v31 src0_sel:WORD_1 src1_sel:DWORD
	v_mov_b32_e32 v19, 0
	v_mov_b32_e32 v18, 0
	v_cmp_gt_u32_e64 s3, s13, v8
	v_mov_b32_e32 v17, 0
	v_cndmask_b32_e64 v13, 0x10000, 0, vcc_lo
	v_cndmask_b32_sdwa v2, s28, v2, vcc_lo dst_sel:DWORD dst_unused:UNUSED_PAD src0_sel:DWORD src1_sel:WORD_1
	s_mov_b32 s12, 0
                                        ; implicit-def: $sgpr6
                                        ; implicit-def: $vgpr8
	s_and_saveexec_b32 s11, s3
	s_cbranch_execz .LBB892_53
; %bb.44:
	v_cmp_eq_u16_e32 vcc_lo, 0, v14
	v_add_nc_u32_e32 v5, 6, v35
	v_mov_b32_e32 v7, 0
	v_mov_b32_e32 v6, 0
	;; [unrolled: 1-line block ×3, first 2 shown]
	v_cndmask_b32_e32 v19, s28, v3, vcc_lo
	v_cndmask_b32_e64 v20, 0x10000, 0, vcc_lo
	v_cmp_gt_u32_e32 vcc_lo, s13, v5
	v_mov_b32_e32 v5, 0
	v_mov_b32_e32 v17, 0
	s_mov_b32 s3, 0
                                        ; implicit-def: $sgpr6
                                        ; implicit-def: $vgpr8
	s_and_saveexec_b32 s12, vcc_lo
	s_cbranch_execz .LBB892_52
; %bb.45:
	v_mov_b32_e32 v6, 0
	v_add_nc_u32_e32 v8, 7, v35
	v_mov_b32_e32 v5, 0
	v_mov_b32_e32 v17, 0
	s_mov_b32 s29, 0
	v_cmp_eq_u16_sdwa vcc_lo, v14, v6 src0_sel:WORD_1 src1_sel:DWORD
	v_cmp_gt_u32_e64 s3, s13, v8
                                        ; implicit-def: $sgpr6
                                        ; implicit-def: $vgpr8
	v_cndmask_b32_e64 v7, 0x10000, 0, vcc_lo
	v_cndmask_b32_sdwa v3, s28, v3, vcc_lo dst_sel:DWORD dst_unused:UNUSED_PAD src0_sel:DWORD src1_sel:WORD_1
	s_and_saveexec_b32 s21, s3
	s_cbranch_execz .LBB892_51
; %bb.46:
	v_cmp_eq_u16_e32 vcc_lo, 0, v30
	v_add_nc_u32_e32 v8, 8, v35
	v_mov_b32_e32 v5, 0
                                        ; implicit-def: $sgpr6
	v_cndmask_b32_e32 v6, s28, v4, vcc_lo
	v_cndmask_b32_e64 v14, 0x10000, 0, vcc_lo
	v_cmp_gt_u32_e32 vcc_lo, s13, v8
                                        ; implicit-def: $vgpr8
	s_and_saveexec_b32 s3, vcc_lo
	s_cbranch_execz .LBB892_50
; %bb.47:
	v_mov_b32_e32 v5, 0
	v_add_nc_u32_e32 v8, 9, v35
                                        ; implicit-def: $sgpr6
	v_cmp_eq_u16_sdwa vcc_lo, v30, v5 src0_sel:WORD_1 src1_sel:DWORD
	v_cndmask_b32_e64 v5, 0x10000, 0, vcc_lo
	v_cndmask_b32_sdwa v4, s28, v4, vcc_lo dst_sel:DWORD dst_unused:UNUSED_PAD src0_sel:DWORD src1_sel:WORD_1
	v_cmp_gt_u32_e32 vcc_lo, s13, v8
	s_mov_b32 s13, 0
                                        ; implicit-def: $vgpr8
	s_and_saveexec_b32 s29, vcc_lo
	s_xor_b32 s29, exec_lo, s29
	s_cbranch_execz .LBB892_49
; %bb.48:
	ds_read_u16 v8, v28 offset:18
	v_cmp_ne_u16_e64 s6, 0, v29
	s_mov_b32 s13, exec_lo
	s_waitcnt lgkmcnt(0)
	v_cndmask_b32_e64 v8, v8, s28, s6
.LBB892_49:
	s_or_b32 exec_lo, exec_lo, s29
	v_or_b32_sdwa v5, v5, v4 dst_sel:DWORD dst_unused:UNUSED_PAD src0_sel:DWORD src1_sel:WORD_0
	s_and_b32 s29, s13, exec_lo
.LBB892_50:
	s_or_b32 exec_lo, exec_lo, s3
	v_or_b32_sdwa v6, v14, v6 dst_sel:DWORD dst_unused:UNUSED_PAD src0_sel:DWORD src1_sel:WORD_0
	v_mov_b32_e32 v17, v5
	s_and_b32 s29, s29, exec_lo
.LBB892_51:
	s_or_b32 exec_lo, exec_lo, s21
	v_or_b32_sdwa v7, v7, v3 dst_sel:DWORD dst_unused:UNUSED_PAD src0_sel:DWORD src1_sel:WORD_0
	v_mov_b32_e32 v18, v6
	s_and_b32 s3, s29, exec_lo
.LBB892_52:
	s_or_b32 exec_lo, exec_lo, s12
	v_or_b32_sdwa v31, v20, v19 dst_sel:DWORD dst_unused:UNUSED_PAD src0_sel:DWORD src1_sel:WORD_0
	v_mov_b32_e32 v19, v7
	s_and_b32 s12, s3, exec_lo
.LBB892_53:
	s_or_b32 exec_lo, exec_lo, s11
	v_or_b32_sdwa v32, v13, v2 dst_sel:DWORD dst_unused:UNUSED_PAD src0_sel:DWORD src1_sel:WORD_0
	v_mov_b32_e32 v20, v31
	s_and_b32 s3, s12, exec_lo
.LBB892_54:
	s_or_b32 exec_lo, exec_lo, s10
	v_or_b32_sdwa v33, v22, v21 dst_sel:DWORD dst_unused:UNUSED_PAD src0_sel:DWORD src1_sel:WORD_0
	v_mov_b32_e32 v21, v32
	s_and_b32 s10, s3, exec_lo
.LBB892_55:
	s_or_b32 exec_lo, exec_lo, s9
	v_or_b32_sdwa v34, v16, v1 dst_sel:DWORD dst_unused:UNUSED_PAD src0_sel:DWORD src1_sel:WORD_0
	v_mov_b32_e32 v22, v33
	s_and_b32 s9, s10, exec_lo
.LBB892_56:
	s_or_b32 exec_lo, exec_lo, s8
	v_or_b32_sdwa v1, v25, v24 dst_sel:DWORD dst_unused:UNUSED_PAD src0_sel:DWORD src1_sel:WORD_0
	v_mov_b32_e32 v24, v34
	s_and_b32 s8, s9, exec_lo
.LBB892_57:
	s_or_b32 exec_lo, exec_lo, s7
	v_or_b32_sdwa v23, v23, v15 dst_sel:DWORD dst_unused:UNUSED_PAD src0_sel:DWORD src1_sel:WORD_0
	v_mov_b32_e32 v25, v1
	s_and_b32 s3, s8, exec_lo
.LBB892_58:
	s_or_b32 exec_lo, exec_lo, s5
	v_lshlrev_b32_e32 v13, 1, v0
	s_and_b32 vcc_lo, exec_lo, s4
	s_cbranch_vccnz .LBB892_60
	s_branch .LBB892_63
.LBB892_59:
	s_mov_b32 s3, 0
                                        ; implicit-def: $sgpr6
                                        ; implicit-def: $vgpr8
                                        ; implicit-def: $vgpr23
                                        ; implicit-def: $vgpr1
                                        ; implicit-def: $vgpr34
                                        ; implicit-def: $vgpr33
                                        ; implicit-def: $vgpr32
                                        ; implicit-def: $vgpr31
                                        ; implicit-def: $vgpr7
                                        ; implicit-def: $vgpr6
                                        ; implicit-def: $vgpr5
                                        ; implicit-def: $vgpr25
                                        ; implicit-def: $vgpr24
                                        ; implicit-def: $vgpr22
                                        ; implicit-def: $vgpr21
                                        ; implicit-def: $vgpr20
                                        ; implicit-def: $vgpr19
                                        ; implicit-def: $vgpr18
                                        ; implicit-def: $vgpr17
	v_lshlrev_b32_e32 v13, 1, v0
	s_cbranch_execz .LBB892_63
.LBB892_60:
	v_add_co_u32 v1, vcc_lo, v11, v13
	v_add_co_ci_u32_e64 v2, null, 0, v12, vcc_lo
	s_mov_b32 s3, exec_lo
	s_clause 0x9
	flat_load_ushort v3, v[1:2]
	flat_load_ushort v4, v[1:2] offset:128
	flat_load_ushort v5, v[1:2] offset:256
	;; [unrolled: 1-line block ×9, first 2 shown]
	s_waitcnt vmcnt(9) lgkmcnt(9)
	ds_write_b16 v13, v3
	s_waitcnt vmcnt(8) lgkmcnt(9)
	ds_write_b16 v13, v4 offset:128
	s_waitcnt vmcnt(7) lgkmcnt(9)
	ds_write_b16 v13, v5 offset:256
	;; [unrolled: 2-line block ×9, first 2 shown]
	s_waitcnt lgkmcnt(0)
	s_barrier
	buffer_gl0_inv
	flat_load_ushort v6, v[11:12] offset:1280
	v_mad_u32_u24 v7, v0, 18, v13
	ds_read2_b32 v[3:4], v7 offset1:1
	ds_read2_b32 v[1:2], v7 offset0:2 offset1:3
	ds_read_b32 v5, v7 offset:16
	v_mad_i32_i24 v8, 0xffffffee, v0, v7
	s_waitcnt lgkmcnt(2)
	ds_write_b16 v8, v3 offset:1408
	s_waitcnt vmcnt(0) lgkmcnt(0)
	s_barrier
	buffer_gl0_inv
	v_cmpx_ne_u32_e32 63, v0
; %bb.61:
	v_mul_i32_i24_e32 v6, 0xffffffee, v0
	v_add_nc_u32_e32 v6, v7, v6
	ds_read_u16 v6, v6 offset:1410
; %bb.62:
	s_or_b32 exec_lo, exec_lo, s3
	v_add_co_u32 v11, vcc_lo, v26, v13
	v_add_co_ci_u32_e64 v12, null, 0, v27, vcc_lo
	s_waitcnt lgkmcnt(0)
	s_barrier
	buffer_gl0_inv
	s_clause 0x9
	flat_load_ushort v8, v[11:12]
	flat_load_ushort v14, v[11:12] offset:128
	flat_load_ushort v15, v[11:12] offset:256
	;; [unrolled: 1-line block ×9, first 2 shown]
	v_cmp_eq_u16_e64 s7, 0, v4
	v_cmp_eq_u16_e64 s8, 0, v1
	;; [unrolled: 1-line block ×4, first 2 shown]
	s_waitcnt vmcnt(9) lgkmcnt(9)
	ds_write_b16 v13, v8
	s_waitcnt vmcnt(8) lgkmcnt(9)
	ds_write_b16 v13, v14 offset:128
	s_waitcnt vmcnt(7) lgkmcnt(9)
	ds_write_b16 v13, v15 offset:256
	;; [unrolled: 2-line block ×9, first 2 shown]
	s_waitcnt lgkmcnt(0)
	s_barrier
	buffer_gl0_inv
	ds_read2_b32 v[11:12], v7 offset1:1
	ds_read2_b32 v[14:15], v7 offset0:2 offset1:3
	ds_read_b32 v7, v7 offset:16
	v_mov_b32_e32 v8, 0
	v_cmp_eq_u16_sdwa vcc_lo, v3, v8 src0_sel:WORD_1 src1_sel:DWORD
	v_cmp_eq_u16_sdwa s3, v4, v8 src0_sel:WORD_1 src1_sel:DWORD
	v_cmp_eq_u16_sdwa s4, v1, v8 src0_sel:WORD_1 src1_sel:DWORD
	;; [unrolled: 1-line block ×4, first 2 shown]
	v_cndmask_b32_e64 v16, 0x10000, 0, s3
	v_cndmask_b32_e64 v17, 0x10000, 0, s4
	;; [unrolled: 1-line block ×4, first 2 shown]
	s_waitcnt lgkmcnt(2)
	v_lshrrev_b32_e32 v3, 16, v11
	v_lshrrev_b32_e32 v4, 16, v12
	s_waitcnt lgkmcnt(1)
	v_lshrrev_b32_e32 v1, 16, v14
	v_lshrrev_b32_e32 v2, 16, v15
	v_cndmask_b32_e32 v5, s28, v11, vcc_lo
	v_cndmask_b32_e64 v11, 0x10000, 0, vcc_lo
	v_cndmask_b32_e64 v12, s28, v12, s3
	v_cndmask_b32_e64 v14, s28, v14, s4
	;; [unrolled: 1-line block ×3, first 2 shown]
	s_waitcnt lgkmcnt(0)
	v_lshrrev_b32_e32 v8, 16, v7
	v_cndmask_b32_e64 v19, s28, v7, s6
	v_or_b32_sdwa v23, v11, v5 dst_sel:DWORD dst_unused:UNUSED_PAD src0_sel:DWORD src1_sel:WORD_0
	v_cndmask_b32_e64 v3, s28, v3, s7
	v_cndmask_b32_e64 v11, 0x10000, 0, s7
	v_or_b32_sdwa v34, v16, v12 dst_sel:DWORD dst_unused:UNUSED_PAD src0_sel:DWORD src1_sel:WORD_0
	v_cndmask_b32_e64 v4, s28, v4, s8
	;; [unrolled: 3-line block ×4, first 2 shown]
	v_cndmask_b32_e64 v15, 0x10000, 0, s10
	v_or_b32_sdwa v5, v20, v19 dst_sel:DWORD dst_unused:UNUSED_PAD src0_sel:DWORD src1_sel:WORD_0
	v_cmp_ne_u16_e64 s6, 0, v6
	v_or_b32_sdwa v1, v11, v3 dst_sel:DWORD dst_unused:UNUSED_PAD src0_sel:DWORD src1_sel:WORD_0
	v_or_b32_sdwa v33, v12, v4 dst_sel:DWORD dst_unused:UNUSED_PAD src0_sel:DWORD src1_sel:WORD_0
	;; [unrolled: 1-line block ×4, first 2 shown]
	v_cndmask_b32_e64 v8, v8, s28, s6
	v_mov_b32_e32 v24, v34
	v_mov_b32_e32 v21, v32
	;; [unrolled: 1-line block ×8, first 2 shown]
	s_mov_b32 s3, -1
.LBB892_63:
	v_mov_b32_e32 v11, 0
	s_and_saveexec_b32 s4, s3
	s_cbranch_execz .LBB892_65
; %bb.64:
	v_cndmask_b32_e64 v2, 0, 0x10000, s6
	v_mov_b32_e32 v17, v5
	v_mov_b32_e32 v18, v6
	;; [unrolled: 1-line block ×4, first 2 shown]
	v_or_b32_sdwa v11, v2, v8 dst_sel:DWORD dst_unused:UNUSED_PAD src0_sel:DWORD src1_sel:WORD_0
	v_mov_b32_e32 v21, v32
	v_mov_b32_e32 v22, v33
	v_mov_b32_e32 v24, v34
	v_mov_b32_e32 v25, v1
.LBB892_65:
	s_or_b32 exec_lo, exec_lo, s4
	v_or3_b32 v1, v18, v17, v19
	v_cmp_gt_u32_e64 s10, 0x10000, v25
	v_cmp_gt_u32_e64 s9, 0x10000, v24
	;; [unrolled: 1-line block ×8, first 2 shown]
	v_or3_b32 v15, v1, v20, v21
	v_cmp_gt_u32_e64 s11, 0x10000, v11
	v_lshrrev_b32_e32 v12, 16, v23
	v_lshrrev_b32_e32 v14, 3, v0
	s_cmp_lg_u32 s20, 0
	v_cmp_gt_u32_e32 vcc_lo, 32, v0
	s_barrier
	buffer_gl0_inv
	s_cbranch_scc0 .LBB892_115
; %bb.66:
	v_cndmask_b32_e64 v1, 0, v23, s10
	v_or3_b32 v2, v15, v22, v24
	v_and_b32_e32 v3, 4, v14
	v_add_nc_u16 v1, v1, v25
	v_or3_b32 v2, v2, v25, v11
	v_lshl_add_u32 v3, v0, 2, v3
	v_cndmask_b32_e64 v1, 0, v1, s9
	v_and_b32_e32 v2, 0xff0000, v2
	v_add_nc_u16 v1, v1, v24
	v_cndmask_b32_e64 v1, 0, v1, s8
	v_add_nc_u16 v1, v1, v22
	v_cndmask_b32_e64 v1, 0, v1, s7
	;; [unrolled: 2-line block ×7, first 2 shown]
	v_cmp_eq_u32_e64 s11, 0, v2
	v_add_nc_u16 v16, v1, v11
	v_cndmask_b32_e64 v26, 1, v12, s11
	ds_write_b8 v3, v26 offset:2
	ds_write_b16 v3, v16
	s_waitcnt lgkmcnt(0)
	s_barrier
	buffer_gl0_inv
	s_and_saveexec_b32 s12, vcc_lo
	s_cbranch_execz .LBB892_78
; %bb.67:
	v_lshrrev_b32_e32 v1, 2, v0
	v_lshlrev_b32_e32 v2, 3, v0
	s_mov_b32 s13, exec_lo
	v_and_b32_e32 v1, 12, v1
	v_add_nc_u32_e32 v1, v1, v2
	ds_read_u8 v3, v1 offset:6
	ds_read_b32 v2, v1
	ds_read_u16 v4, v1 offset:4
	s_waitcnt lgkmcnt(2)
	v_cmp_eq_u16_e64 s11, 0, v3
	v_and_b32_e32 v6, 1, v3
	s_waitcnt lgkmcnt(1)
	v_and_b32_e32 v3, 0x10000, v2
	v_cndmask_b32_e64 v5, 0, v2, s11
	v_cmp_eq_u32_e64 s11, 1, v6
	v_mbcnt_lo_u32_b32 v6, -1, 0
	s_waitcnt lgkmcnt(0)
	v_add_nc_u16 v5, v5, v4
	v_and_b32_e32 v4, 0xff000000, v2
	v_cndmask_b32_e64 v7, v3, 0x10000, s11
	v_and_b32_e32 v8, 0xffff, v5
	v_or_b32_e32 v27, v7, v4
	v_or3_b32 v28, v4, v8, v7
	v_and_b32_e32 v7, 15, v6
	v_lshrrev_b32_e32 v8, 16, v27
	v_mov_b32_dpp v29, v28 row_shr:1 row_mask:0xf bank_mask:0xf
	v_cmpx_ne_u32_e32 0, v7
	s_cbranch_execz .LBB892_69
; %bb.68:
	v_mov_b32_e32 v8, 0xff
	v_mov_b32_e32 v28, 1
	v_and_b32_sdwa v8, v27, v8 dst_sel:DWORD dst_unused:UNUSED_PAD src0_sel:WORD_1 src1_sel:DWORD
	v_and_b32_e32 v27, 0x10000, v27
	v_and_b32_sdwa v28, v29, v28 dst_sel:DWORD dst_unused:UNUSED_PAD src0_sel:WORD_1 src1_sel:DWORD
	v_cmp_eq_u16_e64 s11, 0, v8
	v_cndmask_b32_e64 v29, 0, v29, s11
	v_cmp_ne_u32_e64 s11, 0, v27
	v_add_nc_u16 v5, v29, v5
	v_cndmask_b32_e64 v8, v28, 1, s11
	v_and_b32_e32 v28, 0xffff, v5
	v_lshlrev_b32_e32 v27, 16, v8
	v_or3_b32 v28, v27, v28, v4
.LBB892_69:
	s_or_b32 exec_lo, exec_lo, s13
	v_lshrrev_b32_e32 v27, 16, v28
	v_mov_b32_dpp v29, v28 row_shr:2 row_mask:0xf bank_mask:0xf
	s_mov_b32 s13, exec_lo
	v_cmpx_lt_u32_e32 1, v7
	s_cbranch_execz .LBB892_71
; %bb.70:
	v_mov_b32_e32 v30, 0
	v_mov_b32_e32 v8, 1
	v_and_b32_e32 v28, 0x10000, v28
	v_cmp_eq_u16_sdwa s11, v27, v30 src0_sel:BYTE_0 src1_sel:DWORD
	v_and_b32_sdwa v8, v29, v8 dst_sel:DWORD dst_unused:UNUSED_PAD src0_sel:WORD_1 src1_sel:DWORD
	v_cndmask_b32_e64 v27, 0, v29, s11
	v_cmp_ne_u32_e64 s11, 0, v28
	v_add_nc_u16 v5, v27, v5
	v_cndmask_b32_e64 v8, v8, 1, s11
	v_and_b32_e32 v28, 0xffff, v5
	v_lshlrev_b32_e32 v27, 16, v8
	v_or3_b32 v28, v27, v28, v4
	v_mov_b32_e32 v27, v8
.LBB892_71:
	s_or_b32 exec_lo, exec_lo, s13
	v_mov_b32_dpp v29, v28 row_shr:4 row_mask:0xf bank_mask:0xf
	s_mov_b32 s13, exec_lo
	v_cmpx_lt_u32_e32 3, v7
	s_cbranch_execz .LBB892_73
; %bb.72:
	v_mov_b32_e32 v28, 0
	v_mov_b32_e32 v8, 1
	v_and_b32_e32 v30, 1, v27
	v_cmp_eq_u16_sdwa s11, v27, v28 src0_sel:BYTE_0 src1_sel:DWORD
	v_and_b32_sdwa v8, v29, v8 dst_sel:DWORD dst_unused:UNUSED_PAD src0_sel:WORD_1 src1_sel:DWORD
	v_cndmask_b32_e64 v27, 0, v29, s11
	v_cmp_eq_u32_e64 s11, 1, v30
	v_add_nc_u16 v5, v27, v5
	v_cndmask_b32_e64 v8, v8, 1, s11
	v_and_b32_e32 v28, 0xffff, v5
	v_lshlrev_b32_e32 v27, 16, v8
	v_or3_b32 v28, v27, v28, v4
	v_mov_b32_e32 v27, v8
.LBB892_73:
	s_or_b32 exec_lo, exec_lo, s13
	v_mov_b32_dpp v29, v28 row_shr:8 row_mask:0xf bank_mask:0xf
	s_mov_b32 s13, exec_lo
	v_cmpx_lt_u32_e32 7, v7
	s_cbranch_execz .LBB892_75
; %bb.74:
	v_mov_b32_e32 v8, 0
	v_mov_b32_e32 v7, 1
	v_and_b32_e32 v28, 1, v27
	v_cmp_eq_u16_sdwa s11, v27, v8 src0_sel:BYTE_0 src1_sel:DWORD
	v_and_b32_sdwa v7, v29, v7 dst_sel:DWORD dst_unused:UNUSED_PAD src0_sel:WORD_1 src1_sel:DWORD
	v_cndmask_b32_e64 v27, 0, v29, s11
	v_cmp_eq_u32_e64 s11, 1, v28
	v_add_nc_u16 v5, v27, v5
	v_cndmask_b32_e64 v8, v7, 1, s11
	v_and_b32_e32 v27, 0xffff, v5
	v_lshlrev_b32_e32 v7, 16, v8
	v_or3_b32 v28, v7, v27, v4
	v_mov_b32_e32 v27, v8
.LBB892_75:
	s_or_b32 exec_lo, exec_lo, s13
	ds_swizzle_b32 v7, v28 offset:swizzle(BROADCAST,32,15)
	v_and_b32_e32 v28, 16, v6
	s_mov_b32 s13, exec_lo
	v_cmpx_ne_u32_e32 0, v28
	s_cbranch_execz .LBB892_77
; %bb.76:
	v_mov_b32_e32 v8, 0
	v_mov_b32_e32 v28, 1
	v_cmp_eq_u16_sdwa s11, v27, v8 src0_sel:BYTE_0 src1_sel:DWORD
	v_and_b32_e32 v27, 1, v27
	s_waitcnt lgkmcnt(0)
	v_cndmask_b32_e64 v8, 0, v7, s11
	v_and_b32_sdwa v7, v7, v28 dst_sel:DWORD dst_unused:UNUSED_PAD src0_sel:WORD_1 src1_sel:DWORD
	v_cmp_eq_u32_e64 s11, 1, v27
	v_add_nc_u16 v5, v8, v5
	v_cndmask_b32_e64 v8, v7, 1, s11
.LBB892_77:
	s_or_b32 exec_lo, exec_lo, s13
	s_waitcnt lgkmcnt(0)
	v_and_b32_e32 v7, 0xff, v8
	v_add_nc_u32_e32 v8, -1, v6
	v_and_b32_e32 v5, 0xffff, v5
	; wave barrier
	v_lshlrev_b32_e32 v7, 16, v7
	v_cmp_gt_i32_e64 s11, 0, v8
	v_or3_b32 v4, v7, v5, v4
	v_cndmask_b32_e64 v6, v8, v6, s11
	v_lshlrev_b32_e32 v5, 2, v6
	v_mov_b32_e32 v6, 1
	ds_bpermute_b32 v4, v5, v4
	v_and_b32_e32 v5, 0xff0000, v2
	v_cmp_eq_u32_e64 s11, 0, v5
	s_waitcnt lgkmcnt(0)
	v_cndmask_b32_e64 v5, 0, v4, s11
	v_and_b32_sdwa v4, v4, v6 dst_sel:DWORD dst_unused:UNUSED_PAD src0_sel:WORD_1 src1_sel:DWORD
	v_cmp_eq_u32_e64 s11, 0, v3
	v_add_nc_u16 v2, v5, v2
	v_cndmask_b32_e64 v3, 1, v4, s11
	v_cndmask_b32_e64 v2, v2, v16, s0
	;; [unrolled: 1-line block ×3, first 2 shown]
	ds_write_b16 v1, v2
	ds_write_b8 v1, v3 offset:2
	; wave barrier
	ds_read_u8 v4, v1 offset:6
	ds_read_u16 v5, v1 offset:4
	s_waitcnt lgkmcnt(1)
	v_cmp_eq_u16_e64 s11, 0, v4
	v_and_b32_e32 v4, 1, v4
	v_cndmask_b32_e64 v2, 0, v2, s11
	v_cmp_eq_u32_e64 s11, 1, v4
	s_waitcnt lgkmcnt(0)
	v_add_nc_u16 v2, v2, v5
	v_cndmask_b32_e64 v3, v3, 1, s11
	ds_write_b16 v1, v2 offset:4
	ds_write_b8 v1, v3 offset:6
.LBB892_78:
	s_or_b32 exec_lo, exec_lo, s12
	s_waitcnt lgkmcnt(0)
	s_barrier
	buffer_gl0_inv
	s_and_saveexec_b32 s11, s1
	s_cbranch_execz .LBB892_80
; %bb.79:
	v_add_nc_u32_e32 v1, -1, v0
	v_lshrrev_b32_e32 v2, 3, v1
	v_and_b32_e32 v2, 0x1ffffffc, v2
	v_lshl_add_u32 v1, v1, 2, v2
	ds_read_u16 v16, v1
	ds_read_u8 v26, v1 offset:2
.LBB892_80:
	s_or_b32 exec_lo, exec_lo, s11
	s_and_saveexec_b32 s21, vcc_lo
	s_cbranch_execz .LBB892_120
; %bb.81:
	v_mov_b32_e32 v6, 0
	v_mbcnt_lo_u32_b32 v27, -1, 0
	s_mov_b32 s13, 0
	ds_read_b32 v1, v6 offset:256
	v_cmp_eq_u32_e64 s11, 0, v27
	s_and_saveexec_b32 s29, s11
	s_cbranch_execz .LBB892_83
; %bb.82:
	s_add_i32 s12, s20, 32
	v_mov_b32_e32 v2, 1
	s_lshl_b64 s[12:13], s[12:13], 3
	s_add_u32 s12, s16, s12
	s_addc_u32 s13, s17, s13
	s_waitcnt lgkmcnt(0)
	global_store_dwordx2 v6, v[1:2], s[12:13]
.LBB892_83:
	s_or_b32 exec_lo, exec_lo, s29
	v_xad_u32 v2, v27, -1, s20
	v_add_nc_u32_e32 v5, 32, v2
	v_lshlrev_b64 v[3:4], 3, v[5:6]
	v_add_co_u32 v7, vcc_lo, s16, v3
	v_add_co_ci_u32_e64 v8, null, s17, v4, vcc_lo
	global_load_dwordx2 v[4:5], v[7:8], off glc dlc
	s_waitcnt vmcnt(0)
	v_cmp_eq_u16_sdwa s13, v5, v6 src0_sel:BYTE_0 src1_sel:DWORD
	s_and_saveexec_b32 s12, s13
	s_cbranch_execz .LBB892_87
; %bb.84:
	v_mov_b32_e32 v3, 0
	s_mov_b32 s13, 0
.LBB892_85:                             ; =>This Inner Loop Header: Depth=1
	global_load_dwordx2 v[4:5], v[7:8], off glc dlc
	s_waitcnt vmcnt(0)
	v_cmp_ne_u16_sdwa s29, v5, v3 src0_sel:BYTE_0 src1_sel:DWORD
	s_or_b32 s13, s29, s13
	s_andn2_b32 exec_lo, exec_lo, s13
	s_cbranch_execnz .LBB892_85
; %bb.86:
	s_or_b32 exec_lo, exec_lo, s13
.LBB892_87:
	s_or_b32 exec_lo, exec_lo, s12
	v_cmp_ne_u32_e32 vcc_lo, 31, v27
	v_and_b32_e32 v35, 0xffffff, v4
	v_mov_b32_e32 v6, 2
	v_lshlrev_b32_e64 v28, v27, -1
	v_bfe_u32 v7, v4, 16, 8
	v_add_co_ci_u32_e64 v3, null, 0, v27, vcc_lo
	v_cmp_eq_u16_sdwa s12, v5, v6 src0_sel:BYTE_0 src1_sel:DWORD
	v_lshrrev_b32_e32 v6, 16, v4
	v_lshlrev_b32_e32 v8, 2, v3
	v_and_or_b32 v3, s12, v28, 0x80000000
	s_mov_b32 s12, exec_lo
	ds_bpermute_b32 v29, v8, v35
	v_ffbl_b32_e32 v3, v3
	v_cmpx_lt_u32_e64 v27, v3
	s_cbranch_execz .LBB892_89
; %bb.88:
	v_and_b32_e32 v6, 0xff0000, v4
	v_mov_b32_e32 v7, 1
	v_and_b32_e32 v30, 0x10000, v6
	v_cmp_eq_u32_e32 vcc_lo, 0, v6
	s_waitcnt lgkmcnt(0)
	v_and_b32_sdwa v7, v29, v7 dst_sel:DWORD dst_unused:UNUSED_PAD src0_sel:WORD_1 src1_sel:DWORD
	v_cndmask_b32_e32 v29, 0, v29, vcc_lo
	v_cmp_ne_u32_e32 vcc_lo, 0, v30
	v_add_nc_u16 v4, v29, v4
	v_cndmask_b32_e64 v6, v7, 1, vcc_lo
	v_lshlrev_b32_e32 v7, 16, v6
	v_or_b32_sdwa v35, v7, v4 dst_sel:DWORD dst_unused:UNUSED_PAD src0_sel:DWORD src1_sel:WORD_0
	v_mov_b32_e32 v7, v6
.LBB892_89:
	s_or_b32 exec_lo, exec_lo, s12
	v_cmp_gt_u32_e32 vcc_lo, 30, v27
	v_add_nc_u32_e32 v30, 2, v27
	s_mov_b32 s12, exec_lo
	s_waitcnt lgkmcnt(0)
	v_cndmask_b32_e64 v29, 0, 2, vcc_lo
	v_add_lshl_u32 v29, v29, v27, 2
	ds_bpermute_b32 v31, v29, v35
	v_cmpx_le_u32_e64 v30, v3
	s_cbranch_execz .LBB892_91
; %bb.90:
	v_mov_b32_e32 v6, 1
	v_and_b32_e32 v32, 1, v7
	v_cmp_eq_u16_e32 vcc_lo, 0, v7
	s_waitcnt lgkmcnt(0)
	v_and_b32_sdwa v6, v31, v6 dst_sel:DWORD dst_unused:UNUSED_PAD src0_sel:WORD_1 src1_sel:DWORD
	v_cndmask_b32_e32 v7, 0, v31, vcc_lo
	v_cmp_eq_u32_e32 vcc_lo, 1, v32
	v_add_nc_u16 v4, v7, v4
	v_cndmask_b32_e64 v6, v6, 1, vcc_lo
	v_lshlrev_b32_e32 v7, 16, v6
	v_or_b32_sdwa v35, v7, v4 dst_sel:DWORD dst_unused:UNUSED_PAD src0_sel:DWORD src1_sel:WORD_0
	v_mov_b32_e32 v7, v6
.LBB892_91:
	s_or_b32 exec_lo, exec_lo, s12
	v_cmp_gt_u32_e32 vcc_lo, 28, v27
	v_add_nc_u32_e32 v32, 4, v27
	s_mov_b32 s12, exec_lo
	s_waitcnt lgkmcnt(0)
	v_cndmask_b32_e64 v31, 0, 4, vcc_lo
	v_add_lshl_u32 v31, v31, v27, 2
	ds_bpermute_b32 v33, v31, v35
	v_cmpx_le_u32_e64 v32, v3
	s_cbranch_execz .LBB892_93
; %bb.92:
	v_mov_b32_e32 v6, 1
	v_and_b32_e32 v34, 1, v7
	v_cmp_eq_u16_e32 vcc_lo, 0, v7
	s_waitcnt lgkmcnt(0)
	v_and_b32_sdwa v6, v33, v6 dst_sel:DWORD dst_unused:UNUSED_PAD src0_sel:WORD_1 src1_sel:DWORD
	v_cndmask_b32_e32 v7, 0, v33, vcc_lo
	v_cmp_eq_u32_e32 vcc_lo, 1, v34
	v_add_nc_u16 v4, v7, v4
	v_cndmask_b32_e64 v6, v6, 1, vcc_lo
	v_lshlrev_b32_e32 v7, 16, v6
	v_or_b32_sdwa v35, v7, v4 dst_sel:DWORD dst_unused:UNUSED_PAD src0_sel:DWORD src1_sel:WORD_0
	v_mov_b32_e32 v7, v6
.LBB892_93:
	;; [unrolled: 24-line block ×3, first 2 shown]
	s_or_b32 exec_lo, exec_lo, s12
	v_lshl_or_b32 v37, v27, 2, 64
	v_add_nc_u32_e32 v38, 16, v27
	s_mov_b32 s12, exec_lo
	ds_bpermute_b32 v35, v37, v35
	v_cmpx_le_u32_e64 v38, v3
	s_cbranch_execz .LBB892_97
; %bb.96:
	v_mov_b32_e32 v3, 1
	v_cmp_eq_u16_e32 vcc_lo, 0, v7
	v_and_b32_e32 v7, 1, v7
	s_waitcnt lgkmcnt(0)
	v_and_b32_sdwa v3, v35, v3 dst_sel:DWORD dst_unused:UNUSED_PAD src0_sel:WORD_1 src1_sel:DWORD
	v_cndmask_b32_e32 v6, 0, v35, vcc_lo
	v_cmp_eq_u32_e32 vcc_lo, 1, v7
	v_add_nc_u16 v4, v6, v4
	v_cndmask_b32_e64 v6, v3, 1, vcc_lo
.LBB892_97:
	s_or_b32 exec_lo, exec_lo, s12
	v_mov_b32_e32 v3, 0
	v_mov_b32_e32 v39, 2
	;; [unrolled: 1-line block ×3, first 2 shown]
	s_branch .LBB892_100
.LBB892_98:                             ;   in Loop: Header=BB892_100 Depth=1
	s_or_b32 exec_lo, exec_lo, s12
	v_cmp_eq_u16_sdwa vcc_lo, v35, v3 src0_sel:BYTE_0 src1_sel:DWORD
	v_and_b32_e32 v6, 1, v35
	v_and_b32_e32 v7, 1, v7
	v_subrev_nc_u32_e32 v2, 32, v2
	s_mov_b32 s12, 0
	v_cndmask_b32_e32 v4, 0, v4, vcc_lo
	v_cmp_eq_u32_e32 vcc_lo, 1, v6
	v_add_nc_u16 v4, v4, v36
	v_cndmask_b32_e64 v6, v7, 1, vcc_lo
.LBB892_99:                             ;   in Loop: Header=BB892_100 Depth=1
	s_and_b32 vcc_lo, exec_lo, s12
	s_cbranch_vccnz .LBB892_116
.LBB892_100:                            ; =>This Loop Header: Depth=1
                                        ;     Child Loop BB892_103 Depth 2
	v_cmp_ne_u16_sdwa s12, v5, v39 src0_sel:BYTE_0 src1_sel:DWORD
	s_waitcnt lgkmcnt(0)
	v_mov_b32_e32 v35, v6
	v_mov_b32_e32 v36, v4
                                        ; implicit-def: $vgpr6
                                        ; implicit-def: $vgpr4
	s_cmp_lg_u32 s12, exec_lo
	s_mov_b32 s12, -1
	s_cbranch_scc1 .LBB892_99
; %bb.101:                              ;   in Loop: Header=BB892_100 Depth=1
	v_lshlrev_b64 v[4:5], 3, v[2:3]
	v_add_co_u32 v6, vcc_lo, s16, v4
	v_add_co_ci_u32_e64 v7, null, s17, v5, vcc_lo
	global_load_dwordx2 v[4:5], v[6:7], off glc dlc
	s_waitcnt vmcnt(0)
	v_cmp_eq_u16_sdwa s13, v5, v3 src0_sel:BYTE_0 src1_sel:DWORD
	s_and_saveexec_b32 s12, s13
	s_cbranch_execz .LBB892_105
; %bb.102:                              ;   in Loop: Header=BB892_100 Depth=1
	s_mov_b32 s13, 0
.LBB892_103:                            ;   Parent Loop BB892_100 Depth=1
                                        ; =>  This Inner Loop Header: Depth=2
	global_load_dwordx2 v[4:5], v[6:7], off glc dlc
	s_waitcnt vmcnt(0)
	v_cmp_ne_u16_sdwa s29, v5, v3 src0_sel:BYTE_0 src1_sel:DWORD
	s_or_b32 s13, s29, s13
	s_andn2_b32 exec_lo, exec_lo, s13
	s_cbranch_execnz .LBB892_103
; %bb.104:                              ;   in Loop: Header=BB892_100 Depth=1
	s_or_b32 exec_lo, exec_lo, s13
.LBB892_105:                            ;   in Loop: Header=BB892_100 Depth=1
	s_or_b32 exec_lo, exec_lo, s12
	v_and_b32_e32 v42, 0xffffff, v4
	v_cmp_eq_u16_sdwa s12, v5, v39 src0_sel:BYTE_0 src1_sel:DWORD
	v_lshrrev_b32_e32 v7, 16, v4
	v_bfe_u32 v41, v4, 16, 8
	ds_bpermute_b32 v43, v8, v42
	v_and_or_b32 v6, s12, v28, 0x80000000
	s_mov_b32 s12, exec_lo
	v_ffbl_b32_e32 v6, v6
	v_cmpx_lt_u32_e64 v27, v6
	s_cbranch_execz .LBB892_107
; %bb.106:                              ;   in Loop: Header=BB892_100 Depth=1
	v_and_b32_e32 v7, 0xff0000, v4
	s_waitcnt lgkmcnt(0)
	v_and_b32_sdwa v42, v43, v40 dst_sel:DWORD dst_unused:UNUSED_PAD src0_sel:WORD_1 src1_sel:DWORD
	v_and_b32_e32 v41, 0x10000, v7
	v_cmp_eq_u32_e32 vcc_lo, 0, v7
	v_cndmask_b32_e32 v43, 0, v43, vcc_lo
	v_cmp_ne_u32_e32 vcc_lo, 0, v41
	v_add_nc_u16 v4, v43, v4
	v_cndmask_b32_e64 v7, v42, 1, vcc_lo
	v_lshlrev_b32_e32 v41, 16, v7
	v_or_b32_sdwa v42, v41, v4 dst_sel:DWORD dst_unused:UNUSED_PAD src0_sel:DWORD src1_sel:WORD_0
	v_mov_b32_e32 v41, v7
.LBB892_107:                            ;   in Loop: Header=BB892_100 Depth=1
	s_or_b32 exec_lo, exec_lo, s12
	s_waitcnt lgkmcnt(0)
	ds_bpermute_b32 v43, v29, v42
	s_mov_b32 s12, exec_lo
	v_cmpx_le_u32_e64 v30, v6
	s_cbranch_execz .LBB892_109
; %bb.108:                              ;   in Loop: Header=BB892_100 Depth=1
	v_and_b32_e32 v7, 1, v41
	v_cmp_eq_u16_e32 vcc_lo, 0, v41
	s_waitcnt lgkmcnt(0)
	v_and_b32_sdwa v42, v43, v40 dst_sel:DWORD dst_unused:UNUSED_PAD src0_sel:WORD_1 src1_sel:DWORD
	v_cndmask_b32_e32 v41, 0, v43, vcc_lo
	v_cmp_eq_u32_e32 vcc_lo, 1, v7
	v_add_nc_u16 v4, v41, v4
	v_cndmask_b32_e64 v7, v42, 1, vcc_lo
	v_lshlrev_b32_e32 v41, 16, v7
	v_or_b32_sdwa v42, v41, v4 dst_sel:DWORD dst_unused:UNUSED_PAD src0_sel:DWORD src1_sel:WORD_0
	v_mov_b32_e32 v41, v7
.LBB892_109:                            ;   in Loop: Header=BB892_100 Depth=1
	s_or_b32 exec_lo, exec_lo, s12
	s_waitcnt lgkmcnt(0)
	ds_bpermute_b32 v43, v31, v42
	s_mov_b32 s12, exec_lo
	v_cmpx_le_u32_e64 v32, v6
	s_cbranch_execz .LBB892_111
; %bb.110:                              ;   in Loop: Header=BB892_100 Depth=1
	v_and_b32_e32 v7, 1, v41
	v_cmp_eq_u16_e32 vcc_lo, 0, v41
	s_waitcnt lgkmcnt(0)
	v_and_b32_sdwa v42, v43, v40 dst_sel:DWORD dst_unused:UNUSED_PAD src0_sel:WORD_1 src1_sel:DWORD
	v_cndmask_b32_e32 v41, 0, v43, vcc_lo
	v_cmp_eq_u32_e32 vcc_lo, 1, v7
	v_add_nc_u16 v4, v41, v4
	v_cndmask_b32_e64 v7, v42, 1, vcc_lo
	v_lshlrev_b32_e32 v41, 16, v7
	v_or_b32_sdwa v42, v41, v4 dst_sel:DWORD dst_unused:UNUSED_PAD src0_sel:DWORD src1_sel:WORD_0
	v_mov_b32_e32 v41, v7
.LBB892_111:                            ;   in Loop: Header=BB892_100 Depth=1
	;; [unrolled: 19-line block ×3, first 2 shown]
	s_or_b32 exec_lo, exec_lo, s12
	ds_bpermute_b32 v42, v37, v42
	s_mov_b32 s12, exec_lo
	v_cmpx_le_u32_e64 v38, v6
	s_cbranch_execz .LBB892_98
; %bb.114:                              ;   in Loop: Header=BB892_100 Depth=1
	v_cmp_eq_u16_e32 vcc_lo, 0, v41
	v_and_b32_e32 v7, 1, v41
	s_waitcnt lgkmcnt(0)
	v_lshrrev_b32_e32 v41, 16, v42
	v_cndmask_b32_e32 v6, 0, v42, vcc_lo
	v_cmp_eq_u32_e32 vcc_lo, 1, v7
	v_add_nc_u16 v4, v6, v4
	v_cndmask_b32_e64 v7, v41, 1, vcc_lo
	s_branch .LBB892_98
.LBB892_115:
                                        ; implicit-def: $vgpr3
                                        ; implicit-def: $vgpr4
                                        ; implicit-def: $vgpr5
                                        ; implicit-def: $vgpr6
                                        ; implicit-def: $vgpr7
                                        ; implicit-def: $vgpr8
                                        ; implicit-def: $vgpr16
                                        ; implicit-def: $vgpr27
                                        ; implicit-def: $vgpr26
                                        ; implicit-def: $vgpr28
	s_cbranch_execnz .LBB892_121
	s_branch .LBB892_140
.LBB892_116:
	s_and_saveexec_b32 s12, s11
	s_cbranch_execz .LBB892_118
; %bb.117:
	v_and_b32_e32 v2, 0xff0000, v1
	v_mov_b32_e32 v3, 1
	v_and_b32_e32 v4, 0x10000, v1
	s_mov_b32 s31, 0
	s_add_i32 s30, s20, 32
	v_cmp_eq_u32_e32 vcc_lo, 0, v2
	v_and_b32_sdwa v3, v35, v3 dst_sel:WORD_1 dst_unused:UNUSED_PAD src0_sel:DWORD src1_sel:DWORD
	s_lshl_b64 s[30:31], s[30:31], 3
	s_add_u32 s30, s16, s30
	v_cndmask_b32_e32 v2, 0, v36, vcc_lo
	v_cmp_eq_u32_e32 vcc_lo, 0, v4
	s_addc_u32 s31, s17, s31
	v_add_nc_u16 v1, v2, v1
	v_cndmask_b32_e32 v2, 0x10000, v3, vcc_lo
	v_mov_b32_e32 v3, 0
	v_or_b32_sdwa v1, v2, v1 dst_sel:DWORD dst_unused:UNUSED_PAD src0_sel:DWORD src1_sel:WORD_0
	v_mov_b32_e32 v2, 2
	global_store_dwordx2 v3, v[1:2], s[30:31]
.LBB892_118:
	s_or_b32 exec_lo, exec_lo, s12
	s_and_b32 exec_lo, exec_lo, s0
	s_cbranch_execz .LBB892_120
; %bb.119:
	v_mov_b32_e32 v1, 0
	ds_write_b16 v1, v36
	ds_write_b8 v1, v35 offset:2
.LBB892_120:
	s_or_b32 exec_lo, exec_lo, s21
	v_mov_b32_e32 v1, 0
	s_waitcnt lgkmcnt(0)
	s_waitcnt_vscnt null, 0x0
	s_barrier
	buffer_gl0_inv
	v_and_b32_e32 v4, 0xff0000, v23
	ds_read_b32 v2, v1
	v_cmp_eq_u16_sdwa vcc_lo, v26, v1 src0_sel:BYTE_0 src1_sel:DWORD
	s_waitcnt lgkmcnt(0)
	v_cndmask_b32_e32 v1, 0, v2, vcc_lo
	v_cmp_eq_u32_e32 vcc_lo, 0, v4
	v_add_nc_u16 v1, v1, v16
	v_cndmask_b32_e64 v3, v1, v2, s0
	v_cndmask_b32_e32 v1, 0, v3, vcc_lo
	v_add_nc_u16 v4, v1, v23
	v_cndmask_b32_e64 v1, 0, v4, s10
	v_add_nc_u16 v5, v1, v25
	v_cndmask_b32_e64 v1, 0, v5, s9
	;; [unrolled: 2-line block ×8, first 2 shown]
	v_add_nc_u16 v28, v1, v17
	s_branch .LBB892_140
.LBB892_121:
	s_cmp_eq_u64 s[26:27], 0
	v_mov_b32_e32 v1, s28
	s_cselect_b32 s3, -1, 0
	s_cmp_eq_u64 s[22:23], 0
	s_cselect_b32 s4, -1, 0
	s_or_b32 s3, s3, s4
	s_and_b32 vcc_lo, exec_lo, s3
	s_cbranch_vccnz .LBB892_123
; %bb.122:
	v_mov_b32_e32 v1, 0
	global_load_ushort v1, v1, s[22:23]
.LBB892_123:
	v_cmp_gt_u32_e32 vcc_lo, 0x10000, v25
	v_cmp_gt_u32_e64 s3, 0x10000, v24
	v_cmp_gt_u32_e64 s4, 0x10000, v22
	;; [unrolled: 1-line block ×4, first 2 shown]
	v_cndmask_b32_e32 v2, 0, v23, vcc_lo
	v_cmp_gt_u32_e64 s7, 0x10000, v19
	v_cmp_gt_u32_e64 s8, 0x10000, v18
	v_or3_b32 v3, v15, v22, v24
	v_cmp_gt_u32_e64 s9, 0x10000, v17
	v_add_nc_u16 v2, v2, v25
	v_cmp_gt_u32_e64 s10, 0x10000, v11
	v_and_b32_e32 v4, 4, v14
	v_or3_b32 v3, v3, v25, v11
	s_mov_b32 s11, exec_lo
	v_cndmask_b32_e64 v2, 0, v2, s3
	v_lshl_add_u32 v4, v0, 2, v4
	v_and_b32_e32 v3, 0xff0000, v3
	v_add_nc_u16 v2, v2, v24
	v_cndmask_b32_e64 v2, 0, v2, s4
	v_add_nc_u16 v2, v2, v22
	v_cndmask_b32_e64 v2, 0, v2, s5
	v_add_nc_u16 v2, v2, v21
	v_cndmask_b32_e64 v2, 0, v2, s6
	v_add_nc_u16 v2, v2, v20
	v_cndmask_b32_e64 v2, 0, v2, s7
	v_add_nc_u16 v2, v2, v19
	v_cndmask_b32_e64 v2, 0, v2, s8
	v_add_nc_u16 v2, v2, v18
	v_cndmask_b32_e64 v2, 0, v2, s9
	v_add_nc_u16 v2, v2, v17
	v_cndmask_b32_e64 v5, 0, v2, s10
	v_cmp_eq_u32_e64 s10, 0, v3
	v_add_nc_u16 v3, v5, v11
	v_cndmask_b32_e64 v2, 1, v12, s10
	ds_write_b8 v4, v2 offset:2
	ds_write_b16 v4, v3
	s_waitcnt vmcnt(0) lgkmcnt(0)
	s_barrier
	buffer_gl0_inv
	v_cmpx_gt_u32_e32 32, v0
	s_cbranch_execz .LBB892_135
; %bb.124:
	v_lshrrev_b32_e32 v4, 2, v0
	v_lshlrev_b32_e32 v5, 3, v0
	s_mov_b32 s12, exec_lo
	v_and_b32_e32 v4, 12, v4
	v_add_nc_u32_e32 v4, v4, v5
	ds_read_u8 v6, v4 offset:6
	ds_read_b32 v5, v4
	ds_read_u16 v7, v4 offset:4
	s_waitcnt lgkmcnt(2)
	v_cmp_eq_u16_e64 s10, 0, v6
	v_and_b32_e32 v11, 1, v6
	s_waitcnt lgkmcnt(1)
	v_and_b32_e32 v6, 0x10000, v5
	v_cndmask_b32_e64 v8, 0, v5, s10
	v_cmp_eq_u32_e64 s10, 1, v11
	v_mbcnt_lo_u32_b32 v11, -1, 0
	s_waitcnt lgkmcnt(0)
	v_add_nc_u16 v8, v8, v7
	v_and_b32_e32 v7, 0xff000000, v5
	v_cndmask_b32_e64 v12, v6, 0x10000, s10
	v_and_b32_e32 v14, 0xffff, v8
	v_or_b32_e32 v15, v12, v7
	v_or3_b32 v16, v7, v14, v12
	v_and_b32_e32 v12, 15, v11
	v_lshrrev_b32_e32 v14, 16, v15
	v_mov_b32_dpp v26, v16 row_shr:1 row_mask:0xf bank_mask:0xf
	v_cmpx_ne_u32_e32 0, v12
	s_cbranch_execz .LBB892_126
; %bb.125:
	v_mov_b32_e32 v14, 0xff
	v_mov_b32_e32 v16, 1
	v_and_b32_sdwa v14, v15, v14 dst_sel:DWORD dst_unused:UNUSED_PAD src0_sel:WORD_1 src1_sel:DWORD
	v_and_b32_e32 v15, 0x10000, v15
	v_and_b32_sdwa v16, v26, v16 dst_sel:DWORD dst_unused:UNUSED_PAD src0_sel:WORD_1 src1_sel:DWORD
	v_cmp_eq_u16_e64 s10, 0, v14
	v_cndmask_b32_e64 v26, 0, v26, s10
	v_cmp_ne_u32_e64 s10, 0, v15
	v_add_nc_u16 v8, v26, v8
	v_cndmask_b32_e64 v14, v16, 1, s10
	v_and_b32_e32 v16, 0xffff, v8
	v_lshlrev_b32_e32 v15, 16, v14
	v_or3_b32 v16, v15, v16, v7
.LBB892_126:
	s_or_b32 exec_lo, exec_lo, s12
	v_lshrrev_b32_e32 v15, 16, v16
	v_mov_b32_dpp v26, v16 row_shr:2 row_mask:0xf bank_mask:0xf
	s_mov_b32 s12, exec_lo
	v_cmpx_lt_u32_e32 1, v12
	s_cbranch_execz .LBB892_128
; %bb.127:
	v_mov_b32_e32 v27, 0
	v_mov_b32_e32 v14, 1
	v_and_b32_e32 v16, 0x10000, v16
	v_cmp_eq_u16_sdwa s10, v15, v27 src0_sel:BYTE_0 src1_sel:DWORD
	v_and_b32_sdwa v14, v26, v14 dst_sel:DWORD dst_unused:UNUSED_PAD src0_sel:WORD_1 src1_sel:DWORD
	v_cndmask_b32_e64 v15, 0, v26, s10
	v_cmp_ne_u32_e64 s10, 0, v16
	v_add_nc_u16 v8, v15, v8
	v_cndmask_b32_e64 v14, v14, 1, s10
	v_and_b32_e32 v16, 0xffff, v8
	v_lshlrev_b32_e32 v15, 16, v14
	v_or3_b32 v16, v15, v16, v7
	v_mov_b32_e32 v15, v14
.LBB892_128:
	s_or_b32 exec_lo, exec_lo, s12
	v_mov_b32_dpp v26, v16 row_shr:4 row_mask:0xf bank_mask:0xf
	s_mov_b32 s12, exec_lo
	v_cmpx_lt_u32_e32 3, v12
	s_cbranch_execz .LBB892_130
; %bb.129:
	v_mov_b32_e32 v16, 0
	v_mov_b32_e32 v14, 1
	v_and_b32_e32 v27, 1, v15
	v_cmp_eq_u16_sdwa s10, v15, v16 src0_sel:BYTE_0 src1_sel:DWORD
	v_and_b32_sdwa v14, v26, v14 dst_sel:DWORD dst_unused:UNUSED_PAD src0_sel:WORD_1 src1_sel:DWORD
	v_cndmask_b32_e64 v15, 0, v26, s10
	v_cmp_eq_u32_e64 s10, 1, v27
	v_add_nc_u16 v8, v15, v8
	v_cndmask_b32_e64 v14, v14, 1, s10
	v_and_b32_e32 v16, 0xffff, v8
	v_lshlrev_b32_e32 v15, 16, v14
	v_or3_b32 v16, v15, v16, v7
	v_mov_b32_e32 v15, v14
.LBB892_130:
	s_or_b32 exec_lo, exec_lo, s12
	v_mov_b32_dpp v26, v16 row_shr:8 row_mask:0xf bank_mask:0xf
	s_mov_b32 s12, exec_lo
	v_cmpx_lt_u32_e32 7, v12
	s_cbranch_execz .LBB892_132
; %bb.131:
	v_mov_b32_e32 v14, 0
	v_mov_b32_e32 v12, 1
	v_and_b32_e32 v16, 1, v15
	v_cmp_eq_u16_sdwa s10, v15, v14 src0_sel:BYTE_0 src1_sel:DWORD
	v_and_b32_sdwa v12, v26, v12 dst_sel:DWORD dst_unused:UNUSED_PAD src0_sel:WORD_1 src1_sel:DWORD
	v_cndmask_b32_e64 v15, 0, v26, s10
	v_cmp_eq_u32_e64 s10, 1, v16
	v_add_nc_u16 v8, v15, v8
	v_cndmask_b32_e64 v14, v12, 1, s10
	v_and_b32_e32 v15, 0xffff, v8
	v_lshlrev_b32_e32 v12, 16, v14
	v_or3_b32 v16, v12, v15, v7
	v_mov_b32_e32 v15, v14
.LBB892_132:
	s_or_b32 exec_lo, exec_lo, s12
	ds_swizzle_b32 v12, v16 offset:swizzle(BROADCAST,32,15)
	v_and_b32_e32 v16, 16, v11
	s_mov_b32 s12, exec_lo
	v_cmpx_ne_u32_e32 0, v16
	s_cbranch_execz .LBB892_134
; %bb.133:
	v_mov_b32_e32 v14, 0
	v_mov_b32_e32 v16, 1
	v_cmp_eq_u16_sdwa s10, v15, v14 src0_sel:BYTE_0 src1_sel:DWORD
	v_and_b32_e32 v15, 1, v15
	s_waitcnt lgkmcnt(0)
	v_cndmask_b32_e64 v14, 0, v12, s10
	v_and_b32_sdwa v12, v12, v16 dst_sel:DWORD dst_unused:UNUSED_PAD src0_sel:WORD_1 src1_sel:DWORD
	v_cmp_eq_u32_e64 s10, 1, v15
	v_add_nc_u16 v8, v14, v8
	v_cndmask_b32_e64 v14, v12, 1, s10
.LBB892_134:
	s_or_b32 exec_lo, exec_lo, s12
	s_waitcnt lgkmcnt(0)
	v_and_b32_e32 v12, 0xff, v14
	v_add_nc_u32_e32 v14, -1, v11
	v_and_b32_e32 v8, 0xffff, v8
	; wave barrier
	v_lshlrev_b32_e32 v12, 16, v12
	v_cmp_gt_i32_e64 s10, 0, v14
	v_or3_b32 v7, v12, v8, v7
	v_cndmask_b32_e64 v11, v14, v11, s10
	v_lshlrev_b32_e32 v8, 2, v11
	v_mov_b32_e32 v11, 1
	ds_bpermute_b32 v7, v8, v7
	v_and_b32_e32 v8, 0xff0000, v5
	v_cmp_eq_u32_e64 s10, 0, v8
	s_waitcnt lgkmcnt(0)
	v_cndmask_b32_e64 v8, 0, v7, s10
	v_and_b32_sdwa v7, v7, v11 dst_sel:DWORD dst_unused:UNUSED_PAD src0_sel:WORD_1 src1_sel:DWORD
	v_cmp_eq_u32_e64 s10, 0, v6
	v_add_nc_u16 v5, v8, v5
	v_cndmask_b32_e64 v6, 1, v7, s10
	v_cndmask_b32_e64 v3, v5, v3, s0
	;; [unrolled: 1-line block ×3, first 2 shown]
	ds_write_b16 v4, v3
	ds_write_b8 v4, v2 offset:2
	; wave barrier
	ds_read_u8 v5, v4 offset:6
	ds_read_u16 v6, v4 offset:4
	s_waitcnt lgkmcnt(1)
	v_cmp_eq_u16_e64 s10, 0, v5
	v_and_b32_e32 v5, 1, v5
	v_cndmask_b32_e64 v3, 0, v3, s10
	v_cmp_eq_u32_e64 s10, 1, v5
	s_waitcnt lgkmcnt(0)
	v_add_nc_u16 v3, v3, v6
	v_cndmask_b32_e64 v2, v2, 1, s10
	ds_write_b16 v4, v3 offset:4
	ds_write_b8 v4, v2 offset:6
.LBB892_135:
	s_or_b32 exec_lo, exec_lo, s11
	v_mov_b32_e32 v3, v1
	s_waitcnt lgkmcnt(0)
	s_barrier
	buffer_gl0_inv
	s_and_saveexec_b32 s10, s1
	s_cbranch_execz .LBB892_137
; %bb.136:
	v_add_nc_u32_e32 v2, -1, v0
	v_lshrrev_b32_e32 v3, 3, v2
	v_and_b32_e32 v3, 0x1ffffffc, v3
	v_lshl_add_u32 v2, v2, 2, v3
	ds_read_u8 v3, v2 offset:2
	ds_read_u16 v2, v2
	s_waitcnt lgkmcnt(1)
	v_cmp_eq_u16_e64 s1, 0, v3
	v_cndmask_b32_e64 v3, 0, v1, s1
	s_waitcnt lgkmcnt(0)
	v_add_nc_u16 v3, v3, v2
.LBB892_137:
	s_or_b32 exec_lo, exec_lo, s10
	v_and_b32_e32 v2, 0xff0000, v23
	v_cmp_eq_u32_e64 s1, 0, v2
	v_cndmask_b32_e64 v2, 0, v3, s1
	v_add_nc_u16 v4, v2, v23
	v_cndmask_b32_e32 v2, 0, v4, vcc_lo
	v_add_nc_u16 v5, v2, v25
	v_cndmask_b32_e64 v2, 0, v5, s3
	v_add_nc_u16 v6, v2, v24
	v_cndmask_b32_e64 v2, 0, v6, s4
	;; [unrolled: 2-line block ×7, first 2 shown]
	s_and_saveexec_b32 s1, s0
	s_cbranch_execz .LBB892_139
; %bb.138:
	v_mov_b32_e32 v14, 0
	ds_read_u8 v11, v14 offset:258
	ds_read_u16 v12, v14 offset:256
	s_waitcnt lgkmcnt(1)
	v_cmp_eq_u32_e32 vcc_lo, 0, v11
	v_lshlrev_b32_e32 v11, 16, v11
	v_cndmask_b32_e32 v1, 0, v1, vcc_lo
	s_waitcnt lgkmcnt(0)
	v_add_nc_u32_e32 v1, v1, v12
	v_mov_b32_e32 v12, 2
	v_or_b32_sdwa v11, v11, v1 dst_sel:DWORD dst_unused:UNUSED_PAD src0_sel:DWORD src1_sel:WORD_0
	global_store_dwordx2 v14, v[11:12], s[16:17] offset:256
.LBB892_139:
	s_or_b32 exec_lo, exec_lo, s1
	v_add_nc_u16 v28, v2, v17
.LBB892_140:
	s_add_u32 s0, s14, s24
	s_addc_u32 s1, s15, s25
	v_add_co_u32 v9, vcc_lo, s0, v9
	v_add_co_ci_u32_e64 v10, null, s1, v10, vcc_lo
	v_mov_b32_e32 v1, 0
	s_and_b32 vcc_lo, exec_lo, s2
	s_cbranch_vccz .LBB892_180
; %bb.141:
	v_mul_u32_u24_e32 v2, 10, v0
	v_mov_b32_e32 v11, 0
	v_mov_b32_e32 v12, 0
	;; [unrolled: 1-line block ×4, first 2 shown]
	s_add_i32 s19, s19, s18
	s_mov_b32 s0, exec_lo
	v_cmpx_gt_u32_e64 s19, v2
	s_cbranch_execz .LBB892_161
; %bb.142:
	v_or_b32_e32 v15, 1, v2
	v_and_b32_e32 v1, 0xffff, v3
	v_mov_b32_e32 v11, 0
	v_mov_b32_e32 v12, 0
	;; [unrolled: 1-line block ×3, first 2 shown]
	v_cmp_gt_u32_e32 vcc_lo, s19, v15
	v_mov_b32_e32 v15, 0
	s_and_saveexec_b32 s1, vcc_lo
	s_cbranch_execz .LBB892_160
; %bb.143:
	v_perm_b32 v1, v4, v1, 0x5040100
	v_add_nc_u32_e32 v17, 2, v2
	v_mov_b32_e32 v15, 0
	v_mov_b32_e32 v14, 0
	;; [unrolled: 1-line block ×4, first 2 shown]
	s_mov_b32 s2, exec_lo
	v_cmpx_gt_u32_e64 s19, v17
	s_cbranch_execz .LBB892_159
; %bb.144:
	v_add_nc_u32_e32 v17, 3, v2
	v_bfi_b32 v11, 0xffff, v5, 0
	v_mov_b32_e32 v15, 0
	v_mov_b32_e32 v14, 0
	v_mov_b32_e32 v12, 0
	s_mov_b32 s3, exec_lo
	v_cmpx_gt_u32_e64 s19, v17
	s_cbranch_execz .LBB892_158
; %bb.145:
	v_add_nc_u32_e32 v17, 4, v2
	v_perm_b32 v11, v6, v11, 0x5040100
	v_mov_b32_e32 v15, 0
	v_mov_b32_e32 v14, 0
	;; [unrolled: 1-line block ×3, first 2 shown]
	s_mov_b32 s4, exec_lo
	v_cmpx_gt_u32_e64 s19, v17
	s_cbranch_execz .LBB892_157
; %bb.146:
	v_add_nc_u32_e32 v17, 5, v2
	v_bfi_b32 v12, 0xffff, v7, 0
	v_mov_b32_e32 v15, 0
	v_mov_b32_e32 v14, 0
	s_mov_b32 s5, exec_lo
	v_cmpx_gt_u32_e64 s19, v17
	s_cbranch_execz .LBB892_156
; %bb.147:
	v_add_nc_u32_e32 v17, 6, v2
	v_perm_b32 v12, v8, v12, 0x5040100
	v_mov_b32_e32 v15, 0
	v_mov_b32_e32 v14, 0
	s_mov_b32 s6, exec_lo
	v_cmpx_gt_u32_e64 s19, v17
	s_cbranch_execz .LBB892_155
; %bb.148:
	v_add_nc_u32_e32 v17, 7, v2
	v_bfi_b32 v14, 0xffff, v16, 0
	v_mov_b32_e32 v15, 0
	s_mov_b32 s7, exec_lo
	v_cmpx_gt_u32_e64 s19, v17
	s_cbranch_execz .LBB892_154
; %bb.149:
	v_add_nc_u32_e32 v17, 8, v2
	v_perm_b32 v14, v27, v14, 0x5040100
	v_mov_b32_e32 v15, 0
	s_mov_b32 s8, exec_lo
	v_cmpx_gt_u32_e64 s19, v17
	s_cbranch_execz .LBB892_153
; %bb.150:
	v_add_nc_u32_e32 v17, 9, v2
	v_bfi_b32 v15, 0xffff, v26, 0
	s_mov_b32 s9, exec_lo
	v_cmpx_gt_u32_e64 s19, v17
; %bb.151:
	v_perm_b32 v15, v28, v15, 0x5040100
; %bb.152:
	s_or_b32 exec_lo, exec_lo, s9
.LBB892_153:
	s_or_b32 exec_lo, exec_lo, s8
.LBB892_154:
	s_or_b32 exec_lo, exec_lo, s7
.LBB892_155:
	s_or_b32 exec_lo, exec_lo, s6
.LBB892_156:
	s_or_b32 exec_lo, exec_lo, s5
.LBB892_157:
	s_or_b32 exec_lo, exec_lo, s4
.LBB892_158:
	s_or_b32 exec_lo, exec_lo, s3
.LBB892_159:
	s_or_b32 exec_lo, exec_lo, s2
.LBB892_160:
	s_or_b32 exec_lo, exec_lo, s1
.LBB892_161:
	s_or_b32 exec_lo, exec_lo, s0
	v_lshlrev_b32_e32 v21, 1, v2
	s_waitcnt_vscnt null, 0x0
	s_barrier
	buffer_gl0_inv
	s_mov_b32 s0, exec_lo
	ds_write2_b32 v21, v1, v11 offset1:1
	ds_write2_b32 v21, v12, v14 offset0:2 offset1:3
	v_mad_i32_i24 v1, 0xffffffee, v0, v21
	ds_write_b32 v21, v15 offset:16
	s_waitcnt lgkmcnt(0)
	s_barrier
	buffer_gl0_inv
	ds_read_u16 v22, v1 offset:128
	ds_read_u16 v20, v1 offset:256
	;; [unrolled: 1-line block ×9, first 2 shown]
	v_add_co_u32 v1, vcc_lo, v9, v13
	v_add_co_ci_u32_e64 v2, null, 0, v10, vcc_lo
	v_cmpx_gt_u32_e64 s19, v0
	s_cbranch_execz .LBB892_163
; %bb.162:
	v_mul_i32_i24_e32 v23, 0xffffffee, v0
	v_add_nc_u32_e32 v21, v21, v23
	ds_read_u16 v21, v21
	s_waitcnt lgkmcnt(0)
	flat_store_short v[1:2], v21
.LBB892_163:
	s_or_b32 exec_lo, exec_lo, s0
	v_or_b32_e32 v21, 64, v0
	s_mov_b32 s0, exec_lo
	v_cmpx_gt_u32_e64 s19, v21
	s_cbranch_execz .LBB892_165
; %bb.164:
	s_waitcnt lgkmcnt(8)
	flat_store_short v[1:2], v22 offset:128
.LBB892_165:
	s_or_b32 exec_lo, exec_lo, s0
	v_or_b32_e32 v21, 0x80, v0
	s_mov_b32 s0, exec_lo
	v_cmpx_gt_u32_e64 s19, v21
	s_cbranch_execz .LBB892_167
; %bb.166:
	s_waitcnt lgkmcnt(7)
	flat_store_short v[1:2], v20 offset:256
.LBB892_167:
	s_or_b32 exec_lo, exec_lo, s0
	s_waitcnt lgkmcnt(7)
	v_or_b32_e32 v20, 0xc0, v0
	s_mov_b32 s0, exec_lo
	v_cmpx_gt_u32_e64 s19, v20
	s_cbranch_execz .LBB892_169
; %bb.168:
	s_waitcnt lgkmcnt(6)
	flat_store_short v[1:2], v19 offset:384
.LBB892_169:
	s_or_b32 exec_lo, exec_lo, s0
	s_waitcnt lgkmcnt(6)
	;; [unrolled: 10-line block ×6, first 2 shown]
	v_or_b32_e32 v14, 0x200, v0
	s_mov_b32 s0, exec_lo
	v_cmpx_gt_u32_e64 s19, v14
	s_cbranch_execz .LBB892_179
; %bb.178:
	s_waitcnt lgkmcnt(1)
	flat_store_short v[1:2], v12 offset:1024
.LBB892_179:
	s_or_b32 exec_lo, exec_lo, s0
	v_or_b32_e32 v1, 0x240, v0
	v_cmp_gt_u32_e64 s0, s19, v1
	s_branch .LBB892_182
.LBB892_180:
	s_mov_b32 s0, 0
                                        ; implicit-def: $vgpr11
	s_cbranch_execz .LBB892_182
; %bb.181:
	v_mul_u32_u24_e32 v1, 20, v0
	v_perm_b32 v2, v6, v5, 0x5040100
	v_perm_b32 v3, v4, v3, 0x5040100
	v_mul_i32_i24_e32 v6, 0xffffffee, v0
	v_perm_b32 v4, v27, v16, 0x5040100
	v_perm_b32 v5, v8, v7, 0x5040100
	s_waitcnt lgkmcnt(0)
	s_waitcnt_vscnt null, 0x0
	s_barrier
	v_perm_b32 v7, v28, v26, 0x5040100
	buffer_gl0_inv
	ds_write2_b32 v1, v3, v2 offset1:1
	ds_write2_b32 v1, v5, v4 offset0:2 offset1:3
	v_mad_u32_u24 v2, v0, 20, v6
	s_or_b32 s0, s0, exec_lo
	ds_write_b32 v1, v7 offset:16
	s_waitcnt lgkmcnt(0)
	s_barrier
	buffer_gl0_inv
	ds_read_u16 v3, v2
	ds_read_u16 v4, v2 offset:128
	ds_read_u16 v5, v2 offset:256
	;; [unrolled: 1-line block ×9, first 2 shown]
	v_add_co_u32 v1, vcc_lo, v9, v13
	v_add_co_ci_u32_e64 v2, null, 0, v10, vcc_lo
	s_waitcnt lgkmcnt(9)
	flat_store_short v[1:2], v3
	s_waitcnt lgkmcnt(9)
	flat_store_short v[1:2], v4 offset:128
	s_waitcnt lgkmcnt(9)
	flat_store_short v[1:2], v5 offset:256
	;; [unrolled: 2-line block ×8, first 2 shown]
.LBB892_182:
	s_and_saveexec_b32 s1, s0
	s_cbranch_execnz .LBB892_184
; %bb.183:
	s_endpgm
.LBB892_184:
	v_lshlrev_b32_e32 v0, 1, v0
	v_add_co_u32 v0, vcc_lo, v9, v0
	v_add_co_ci_u32_e64 v1, null, 0, v10, vcc_lo
	s_waitcnt lgkmcnt(0)
	flat_store_short v[0:1], v11 offset:1152
	s_endpgm
.LBB892_185:
	v_add_co_u32 v3, s11, v26, v18
	v_add_co_ci_u32_e64 v4, null, 0, v27, s11
	v_mov_b32_e32 v2, v1
	v_mov_b32_e32 v5, v1
	;; [unrolled: 1-line block ×3, first 2 shown]
	flat_load_short_d16 v2, v[3:4]
	v_mov_b32_e32 v3, v1
	v_mov_b32_e32 v4, v1
	s_waitcnt vmcnt(0) lgkmcnt(0)
	v_mov_b32_e32 v1, v2
	v_mov_b32_e32 v2, v3
	v_mov_b32_e32 v3, v4
	v_mov_b32_e32 v4, v5
	v_mov_b32_e32 v5, v6
	v_mov_b32_e32 v6, v7
	v_mov_b32_e32 v7, v8
	v_mov_b32_e32 v8, v9
	s_or_b32 exec_lo, exec_lo, s12
	s_and_saveexec_b32 s11, s10
	s_cbranch_execz .LBB892_29
.LBB892_186:
	v_add_co_u32 v6, s10, v26, v18
	v_add_co_ci_u32_e64 v7, null, 0, v27, s10
	flat_load_short_d16_hi v1, v[6:7] offset:128
	s_or_b32 exec_lo, exec_lo, s11
	s_and_saveexec_b32 s10, s9
	s_cbranch_execz .LBB892_30
.LBB892_187:
	v_add_co_u32 v6, s9, v26, v18
	v_add_co_ci_u32_e64 v7, null, 0, v27, s9
	flat_load_short_d16 v2, v[6:7] offset:256
	s_or_b32 exec_lo, exec_lo, s10
	s_and_saveexec_b32 s9, s8
	s_cbranch_execz .LBB892_31
.LBB892_188:
	v_add_co_u32 v6, s8, v26, v18
	v_add_co_ci_u32_e64 v7, null, 0, v27, s8
	s_waitcnt vmcnt(0) lgkmcnt(0)
	flat_load_short_d16_hi v2, v[6:7] offset:384
	s_or_b32 exec_lo, exec_lo, s9
	s_and_saveexec_b32 s8, s7
	s_cbranch_execz .LBB892_32
.LBB892_189:
	v_add_co_u32 v6, s7, v26, v18
	v_add_co_ci_u32_e64 v7, null, 0, v27, s7
	flat_load_short_d16 v3, v[6:7] offset:512
	s_or_b32 exec_lo, exec_lo, s8
	s_and_saveexec_b32 s7, s6
	s_cbranch_execz .LBB892_33
.LBB892_190:
	v_add_co_u32 v6, s6, v26, v18
	v_add_co_ci_u32_e64 v7, null, 0, v27, s6
	s_waitcnt vmcnt(0) lgkmcnt(0)
	flat_load_short_d16_hi v3, v[6:7] offset:640
	s_or_b32 exec_lo, exec_lo, s7
	s_and_saveexec_b32 s6, s5
	s_cbranch_execz .LBB892_34
.LBB892_191:
	v_add_co_u32 v6, s5, v26, v18
	v_add_co_ci_u32_e64 v7, null, 0, v27, s5
	flat_load_short_d16 v4, v[6:7] offset:768
	s_or_b32 exec_lo, exec_lo, s6
	s_and_saveexec_b32 s5, s4
	s_cbranch_execz .LBB892_35
.LBB892_192:
	v_add_co_u32 v6, s4, v26, v18
	v_add_co_ci_u32_e64 v7, null, 0, v27, s4
	s_waitcnt vmcnt(0) lgkmcnt(0)
	flat_load_short_d16_hi v4, v[6:7] offset:896
	s_or_b32 exec_lo, exec_lo, s5
	s_and_saveexec_b32 s4, s3
	s_cbranch_execz .LBB892_36
.LBB892_193:
	v_add_co_u32 v6, s3, v26, v18
	v_add_co_ci_u32_e64 v7, null, 0, v27, s3
	flat_load_short_d16 v5, v[6:7] offset:1024
	s_or_b32 exec_lo, exec_lo, s4
	v_mul_u32_u24_e32 v35, 10, v0
	s_and_saveexec_b32 s3, vcc_lo
	s_cbranch_execnz .LBB892_37
	s_branch .LBB892_38
	.section	.rodata,"a",@progbits
	.p2align	6, 0x0
	.amdhsa_kernel _ZN7rocprim17ROCPRIM_400000_NS6detail17trampoline_kernelINS0_14default_configENS1_27scan_by_key_config_selectorIssEEZZNS1_16scan_by_key_implILNS1_25lookback_scan_determinismE0ELb1ES3_N6thrust23THRUST_200600_302600_NS6detail15normal_iteratorINS9_10device_ptrIsEEEESE_SE_sNS9_4plusIsEE19head_flag_predicatesEE10hipError_tPvRmT2_T3_T4_T5_mT6_T7_P12ihipStream_tbENKUlT_T0_E_clISt17integral_constantIbLb0EESX_IbLb1EEEEDaST_SU_EUlST_E_NS1_11comp_targetILNS1_3genE8ELNS1_11target_archE1030ELNS1_3gpuE2ELNS1_3repE0EEENS1_30default_config_static_selectorELNS0_4arch9wavefront6targetE0EEEvT1_
		.amdhsa_group_segment_fixed_size 1536
		.amdhsa_private_segment_fixed_size 0
		.amdhsa_kernarg_size 112
		.amdhsa_user_sgpr_count 6
		.amdhsa_user_sgpr_private_segment_buffer 1
		.amdhsa_user_sgpr_dispatch_ptr 0
		.amdhsa_user_sgpr_queue_ptr 0
		.amdhsa_user_sgpr_kernarg_segment_ptr 1
		.amdhsa_user_sgpr_dispatch_id 0
		.amdhsa_user_sgpr_flat_scratch_init 0
		.amdhsa_user_sgpr_private_segment_size 0
		.amdhsa_wavefront_size32 1
		.amdhsa_uses_dynamic_stack 0
		.amdhsa_system_sgpr_private_segment_wavefront_offset 0
		.amdhsa_system_sgpr_workgroup_id_x 1
		.amdhsa_system_sgpr_workgroup_id_y 0
		.amdhsa_system_sgpr_workgroup_id_z 0
		.amdhsa_system_sgpr_workgroup_info 0
		.amdhsa_system_vgpr_workitem_id 0
		.amdhsa_next_free_vgpr 44
		.amdhsa_next_free_sgpr 32
		.amdhsa_reserve_vcc 1
		.amdhsa_reserve_flat_scratch 1
		.amdhsa_float_round_mode_32 0
		.amdhsa_float_round_mode_16_64 0
		.amdhsa_float_denorm_mode_32 3
		.amdhsa_float_denorm_mode_16_64 3
		.amdhsa_dx10_clamp 1
		.amdhsa_ieee_mode 1
		.amdhsa_fp16_overflow 0
		.amdhsa_workgroup_processor_mode 1
		.amdhsa_memory_ordered 1
		.amdhsa_forward_progress 1
		.amdhsa_shared_vgpr_count 0
		.amdhsa_exception_fp_ieee_invalid_op 0
		.amdhsa_exception_fp_denorm_src 0
		.amdhsa_exception_fp_ieee_div_zero 0
		.amdhsa_exception_fp_ieee_overflow 0
		.amdhsa_exception_fp_ieee_underflow 0
		.amdhsa_exception_fp_ieee_inexact 0
		.amdhsa_exception_int_div_zero 0
	.end_amdhsa_kernel
	.section	.text._ZN7rocprim17ROCPRIM_400000_NS6detail17trampoline_kernelINS0_14default_configENS1_27scan_by_key_config_selectorIssEEZZNS1_16scan_by_key_implILNS1_25lookback_scan_determinismE0ELb1ES3_N6thrust23THRUST_200600_302600_NS6detail15normal_iteratorINS9_10device_ptrIsEEEESE_SE_sNS9_4plusIsEE19head_flag_predicatesEE10hipError_tPvRmT2_T3_T4_T5_mT6_T7_P12ihipStream_tbENKUlT_T0_E_clISt17integral_constantIbLb0EESX_IbLb1EEEEDaST_SU_EUlST_E_NS1_11comp_targetILNS1_3genE8ELNS1_11target_archE1030ELNS1_3gpuE2ELNS1_3repE0EEENS1_30default_config_static_selectorELNS0_4arch9wavefront6targetE0EEEvT1_,"axG",@progbits,_ZN7rocprim17ROCPRIM_400000_NS6detail17trampoline_kernelINS0_14default_configENS1_27scan_by_key_config_selectorIssEEZZNS1_16scan_by_key_implILNS1_25lookback_scan_determinismE0ELb1ES3_N6thrust23THRUST_200600_302600_NS6detail15normal_iteratorINS9_10device_ptrIsEEEESE_SE_sNS9_4plusIsEE19head_flag_predicatesEE10hipError_tPvRmT2_T3_T4_T5_mT6_T7_P12ihipStream_tbENKUlT_T0_E_clISt17integral_constantIbLb0EESX_IbLb1EEEEDaST_SU_EUlST_E_NS1_11comp_targetILNS1_3genE8ELNS1_11target_archE1030ELNS1_3gpuE2ELNS1_3repE0EEENS1_30default_config_static_selectorELNS0_4arch9wavefront6targetE0EEEvT1_,comdat
.Lfunc_end892:
	.size	_ZN7rocprim17ROCPRIM_400000_NS6detail17trampoline_kernelINS0_14default_configENS1_27scan_by_key_config_selectorIssEEZZNS1_16scan_by_key_implILNS1_25lookback_scan_determinismE0ELb1ES3_N6thrust23THRUST_200600_302600_NS6detail15normal_iteratorINS9_10device_ptrIsEEEESE_SE_sNS9_4plusIsEE19head_flag_predicatesEE10hipError_tPvRmT2_T3_T4_T5_mT6_T7_P12ihipStream_tbENKUlT_T0_E_clISt17integral_constantIbLb0EESX_IbLb1EEEEDaST_SU_EUlST_E_NS1_11comp_targetILNS1_3genE8ELNS1_11target_archE1030ELNS1_3gpuE2ELNS1_3repE0EEENS1_30default_config_static_selectorELNS0_4arch9wavefront6targetE0EEEvT1_, .Lfunc_end892-_ZN7rocprim17ROCPRIM_400000_NS6detail17trampoline_kernelINS0_14default_configENS1_27scan_by_key_config_selectorIssEEZZNS1_16scan_by_key_implILNS1_25lookback_scan_determinismE0ELb1ES3_N6thrust23THRUST_200600_302600_NS6detail15normal_iteratorINS9_10device_ptrIsEEEESE_SE_sNS9_4plusIsEE19head_flag_predicatesEE10hipError_tPvRmT2_T3_T4_T5_mT6_T7_P12ihipStream_tbENKUlT_T0_E_clISt17integral_constantIbLb0EESX_IbLb1EEEEDaST_SU_EUlST_E_NS1_11comp_targetILNS1_3genE8ELNS1_11target_archE1030ELNS1_3gpuE2ELNS1_3repE0EEENS1_30default_config_static_selectorELNS0_4arch9wavefront6targetE0EEEvT1_
                                        ; -- End function
	.set _ZN7rocprim17ROCPRIM_400000_NS6detail17trampoline_kernelINS0_14default_configENS1_27scan_by_key_config_selectorIssEEZZNS1_16scan_by_key_implILNS1_25lookback_scan_determinismE0ELb1ES3_N6thrust23THRUST_200600_302600_NS6detail15normal_iteratorINS9_10device_ptrIsEEEESE_SE_sNS9_4plusIsEE19head_flag_predicatesEE10hipError_tPvRmT2_T3_T4_T5_mT6_T7_P12ihipStream_tbENKUlT_T0_E_clISt17integral_constantIbLb0EESX_IbLb1EEEEDaST_SU_EUlST_E_NS1_11comp_targetILNS1_3genE8ELNS1_11target_archE1030ELNS1_3gpuE2ELNS1_3repE0EEENS1_30default_config_static_selectorELNS0_4arch9wavefront6targetE0EEEvT1_.num_vgpr, 44
	.set _ZN7rocprim17ROCPRIM_400000_NS6detail17trampoline_kernelINS0_14default_configENS1_27scan_by_key_config_selectorIssEEZZNS1_16scan_by_key_implILNS1_25lookback_scan_determinismE0ELb1ES3_N6thrust23THRUST_200600_302600_NS6detail15normal_iteratorINS9_10device_ptrIsEEEESE_SE_sNS9_4plusIsEE19head_flag_predicatesEE10hipError_tPvRmT2_T3_T4_T5_mT6_T7_P12ihipStream_tbENKUlT_T0_E_clISt17integral_constantIbLb0EESX_IbLb1EEEEDaST_SU_EUlST_E_NS1_11comp_targetILNS1_3genE8ELNS1_11target_archE1030ELNS1_3gpuE2ELNS1_3repE0EEENS1_30default_config_static_selectorELNS0_4arch9wavefront6targetE0EEEvT1_.num_agpr, 0
	.set _ZN7rocprim17ROCPRIM_400000_NS6detail17trampoline_kernelINS0_14default_configENS1_27scan_by_key_config_selectorIssEEZZNS1_16scan_by_key_implILNS1_25lookback_scan_determinismE0ELb1ES3_N6thrust23THRUST_200600_302600_NS6detail15normal_iteratorINS9_10device_ptrIsEEEESE_SE_sNS9_4plusIsEE19head_flag_predicatesEE10hipError_tPvRmT2_T3_T4_T5_mT6_T7_P12ihipStream_tbENKUlT_T0_E_clISt17integral_constantIbLb0EESX_IbLb1EEEEDaST_SU_EUlST_E_NS1_11comp_targetILNS1_3genE8ELNS1_11target_archE1030ELNS1_3gpuE2ELNS1_3repE0EEENS1_30default_config_static_selectorELNS0_4arch9wavefront6targetE0EEEvT1_.numbered_sgpr, 32
	.set _ZN7rocprim17ROCPRIM_400000_NS6detail17trampoline_kernelINS0_14default_configENS1_27scan_by_key_config_selectorIssEEZZNS1_16scan_by_key_implILNS1_25lookback_scan_determinismE0ELb1ES3_N6thrust23THRUST_200600_302600_NS6detail15normal_iteratorINS9_10device_ptrIsEEEESE_SE_sNS9_4plusIsEE19head_flag_predicatesEE10hipError_tPvRmT2_T3_T4_T5_mT6_T7_P12ihipStream_tbENKUlT_T0_E_clISt17integral_constantIbLb0EESX_IbLb1EEEEDaST_SU_EUlST_E_NS1_11comp_targetILNS1_3genE8ELNS1_11target_archE1030ELNS1_3gpuE2ELNS1_3repE0EEENS1_30default_config_static_selectorELNS0_4arch9wavefront6targetE0EEEvT1_.num_named_barrier, 0
	.set _ZN7rocprim17ROCPRIM_400000_NS6detail17trampoline_kernelINS0_14default_configENS1_27scan_by_key_config_selectorIssEEZZNS1_16scan_by_key_implILNS1_25lookback_scan_determinismE0ELb1ES3_N6thrust23THRUST_200600_302600_NS6detail15normal_iteratorINS9_10device_ptrIsEEEESE_SE_sNS9_4plusIsEE19head_flag_predicatesEE10hipError_tPvRmT2_T3_T4_T5_mT6_T7_P12ihipStream_tbENKUlT_T0_E_clISt17integral_constantIbLb0EESX_IbLb1EEEEDaST_SU_EUlST_E_NS1_11comp_targetILNS1_3genE8ELNS1_11target_archE1030ELNS1_3gpuE2ELNS1_3repE0EEENS1_30default_config_static_selectorELNS0_4arch9wavefront6targetE0EEEvT1_.private_seg_size, 0
	.set _ZN7rocprim17ROCPRIM_400000_NS6detail17trampoline_kernelINS0_14default_configENS1_27scan_by_key_config_selectorIssEEZZNS1_16scan_by_key_implILNS1_25lookback_scan_determinismE0ELb1ES3_N6thrust23THRUST_200600_302600_NS6detail15normal_iteratorINS9_10device_ptrIsEEEESE_SE_sNS9_4plusIsEE19head_flag_predicatesEE10hipError_tPvRmT2_T3_T4_T5_mT6_T7_P12ihipStream_tbENKUlT_T0_E_clISt17integral_constantIbLb0EESX_IbLb1EEEEDaST_SU_EUlST_E_NS1_11comp_targetILNS1_3genE8ELNS1_11target_archE1030ELNS1_3gpuE2ELNS1_3repE0EEENS1_30default_config_static_selectorELNS0_4arch9wavefront6targetE0EEEvT1_.uses_vcc, 1
	.set _ZN7rocprim17ROCPRIM_400000_NS6detail17trampoline_kernelINS0_14default_configENS1_27scan_by_key_config_selectorIssEEZZNS1_16scan_by_key_implILNS1_25lookback_scan_determinismE0ELb1ES3_N6thrust23THRUST_200600_302600_NS6detail15normal_iteratorINS9_10device_ptrIsEEEESE_SE_sNS9_4plusIsEE19head_flag_predicatesEE10hipError_tPvRmT2_T3_T4_T5_mT6_T7_P12ihipStream_tbENKUlT_T0_E_clISt17integral_constantIbLb0EESX_IbLb1EEEEDaST_SU_EUlST_E_NS1_11comp_targetILNS1_3genE8ELNS1_11target_archE1030ELNS1_3gpuE2ELNS1_3repE0EEENS1_30default_config_static_selectorELNS0_4arch9wavefront6targetE0EEEvT1_.uses_flat_scratch, 1
	.set _ZN7rocprim17ROCPRIM_400000_NS6detail17trampoline_kernelINS0_14default_configENS1_27scan_by_key_config_selectorIssEEZZNS1_16scan_by_key_implILNS1_25lookback_scan_determinismE0ELb1ES3_N6thrust23THRUST_200600_302600_NS6detail15normal_iteratorINS9_10device_ptrIsEEEESE_SE_sNS9_4plusIsEE19head_flag_predicatesEE10hipError_tPvRmT2_T3_T4_T5_mT6_T7_P12ihipStream_tbENKUlT_T0_E_clISt17integral_constantIbLb0EESX_IbLb1EEEEDaST_SU_EUlST_E_NS1_11comp_targetILNS1_3genE8ELNS1_11target_archE1030ELNS1_3gpuE2ELNS1_3repE0EEENS1_30default_config_static_selectorELNS0_4arch9wavefront6targetE0EEEvT1_.has_dyn_sized_stack, 0
	.set _ZN7rocprim17ROCPRIM_400000_NS6detail17trampoline_kernelINS0_14default_configENS1_27scan_by_key_config_selectorIssEEZZNS1_16scan_by_key_implILNS1_25lookback_scan_determinismE0ELb1ES3_N6thrust23THRUST_200600_302600_NS6detail15normal_iteratorINS9_10device_ptrIsEEEESE_SE_sNS9_4plusIsEE19head_flag_predicatesEE10hipError_tPvRmT2_T3_T4_T5_mT6_T7_P12ihipStream_tbENKUlT_T0_E_clISt17integral_constantIbLb0EESX_IbLb1EEEEDaST_SU_EUlST_E_NS1_11comp_targetILNS1_3genE8ELNS1_11target_archE1030ELNS1_3gpuE2ELNS1_3repE0EEENS1_30default_config_static_selectorELNS0_4arch9wavefront6targetE0EEEvT1_.has_recursion, 0
	.set _ZN7rocprim17ROCPRIM_400000_NS6detail17trampoline_kernelINS0_14default_configENS1_27scan_by_key_config_selectorIssEEZZNS1_16scan_by_key_implILNS1_25lookback_scan_determinismE0ELb1ES3_N6thrust23THRUST_200600_302600_NS6detail15normal_iteratorINS9_10device_ptrIsEEEESE_SE_sNS9_4plusIsEE19head_flag_predicatesEE10hipError_tPvRmT2_T3_T4_T5_mT6_T7_P12ihipStream_tbENKUlT_T0_E_clISt17integral_constantIbLb0EESX_IbLb1EEEEDaST_SU_EUlST_E_NS1_11comp_targetILNS1_3genE8ELNS1_11target_archE1030ELNS1_3gpuE2ELNS1_3repE0EEENS1_30default_config_static_selectorELNS0_4arch9wavefront6targetE0EEEvT1_.has_indirect_call, 0
	.section	.AMDGPU.csdata,"",@progbits
; Kernel info:
; codeLenInByte = 10424
; TotalNumSgprs: 34
; NumVgprs: 44
; ScratchSize: 0
; MemoryBound: 0
; FloatMode: 240
; IeeeMode: 1
; LDSByteSize: 1536 bytes/workgroup (compile time only)
; SGPRBlocks: 0
; VGPRBlocks: 5
; NumSGPRsForWavesPerEU: 34
; NumVGPRsForWavesPerEU: 44
; Occupancy: 16
; WaveLimiterHint : 1
; COMPUTE_PGM_RSRC2:SCRATCH_EN: 0
; COMPUTE_PGM_RSRC2:USER_SGPR: 6
; COMPUTE_PGM_RSRC2:TRAP_HANDLER: 0
; COMPUTE_PGM_RSRC2:TGID_X_EN: 1
; COMPUTE_PGM_RSRC2:TGID_Y_EN: 0
; COMPUTE_PGM_RSRC2:TGID_Z_EN: 0
; COMPUTE_PGM_RSRC2:TIDIG_COMP_CNT: 0
	.section	.text._ZN7rocprim17ROCPRIM_400000_NS6detail17trampoline_kernelINS0_14default_configENS1_27scan_by_key_config_selectorIxxEEZZNS1_16scan_by_key_implILNS1_25lookback_scan_determinismE0ELb0ES3_N6thrust23THRUST_200600_302600_NS6detail15normal_iteratorINS9_10device_ptrIxEEEENS9_18transform_iteratorINS9_6negateIxEESE_NS9_11use_defaultESI_EESE_xNS9_4plusIvEENS9_8equal_toIvEExEE10hipError_tPvRmT2_T3_T4_T5_mT6_T7_P12ihipStream_tbENKUlT_T0_E_clISt17integral_constantIbLb0EES14_EEDaSZ_S10_EUlSZ_E_NS1_11comp_targetILNS1_3genE0ELNS1_11target_archE4294967295ELNS1_3gpuE0ELNS1_3repE0EEENS1_30default_config_static_selectorELNS0_4arch9wavefront6targetE0EEEvT1_,"axG",@progbits,_ZN7rocprim17ROCPRIM_400000_NS6detail17trampoline_kernelINS0_14default_configENS1_27scan_by_key_config_selectorIxxEEZZNS1_16scan_by_key_implILNS1_25lookback_scan_determinismE0ELb0ES3_N6thrust23THRUST_200600_302600_NS6detail15normal_iteratorINS9_10device_ptrIxEEEENS9_18transform_iteratorINS9_6negateIxEESE_NS9_11use_defaultESI_EESE_xNS9_4plusIvEENS9_8equal_toIvEExEE10hipError_tPvRmT2_T3_T4_T5_mT6_T7_P12ihipStream_tbENKUlT_T0_E_clISt17integral_constantIbLb0EES14_EEDaSZ_S10_EUlSZ_E_NS1_11comp_targetILNS1_3genE0ELNS1_11target_archE4294967295ELNS1_3gpuE0ELNS1_3repE0EEENS1_30default_config_static_selectorELNS0_4arch9wavefront6targetE0EEEvT1_,comdat
	.protected	_ZN7rocprim17ROCPRIM_400000_NS6detail17trampoline_kernelINS0_14default_configENS1_27scan_by_key_config_selectorIxxEEZZNS1_16scan_by_key_implILNS1_25lookback_scan_determinismE0ELb0ES3_N6thrust23THRUST_200600_302600_NS6detail15normal_iteratorINS9_10device_ptrIxEEEENS9_18transform_iteratorINS9_6negateIxEESE_NS9_11use_defaultESI_EESE_xNS9_4plusIvEENS9_8equal_toIvEExEE10hipError_tPvRmT2_T3_T4_T5_mT6_T7_P12ihipStream_tbENKUlT_T0_E_clISt17integral_constantIbLb0EES14_EEDaSZ_S10_EUlSZ_E_NS1_11comp_targetILNS1_3genE0ELNS1_11target_archE4294967295ELNS1_3gpuE0ELNS1_3repE0EEENS1_30default_config_static_selectorELNS0_4arch9wavefront6targetE0EEEvT1_ ; -- Begin function _ZN7rocprim17ROCPRIM_400000_NS6detail17trampoline_kernelINS0_14default_configENS1_27scan_by_key_config_selectorIxxEEZZNS1_16scan_by_key_implILNS1_25lookback_scan_determinismE0ELb0ES3_N6thrust23THRUST_200600_302600_NS6detail15normal_iteratorINS9_10device_ptrIxEEEENS9_18transform_iteratorINS9_6negateIxEESE_NS9_11use_defaultESI_EESE_xNS9_4plusIvEENS9_8equal_toIvEExEE10hipError_tPvRmT2_T3_T4_T5_mT6_T7_P12ihipStream_tbENKUlT_T0_E_clISt17integral_constantIbLb0EES14_EEDaSZ_S10_EUlSZ_E_NS1_11comp_targetILNS1_3genE0ELNS1_11target_archE4294967295ELNS1_3gpuE0ELNS1_3repE0EEENS1_30default_config_static_selectorELNS0_4arch9wavefront6targetE0EEEvT1_
	.globl	_ZN7rocprim17ROCPRIM_400000_NS6detail17trampoline_kernelINS0_14default_configENS1_27scan_by_key_config_selectorIxxEEZZNS1_16scan_by_key_implILNS1_25lookback_scan_determinismE0ELb0ES3_N6thrust23THRUST_200600_302600_NS6detail15normal_iteratorINS9_10device_ptrIxEEEENS9_18transform_iteratorINS9_6negateIxEESE_NS9_11use_defaultESI_EESE_xNS9_4plusIvEENS9_8equal_toIvEExEE10hipError_tPvRmT2_T3_T4_T5_mT6_T7_P12ihipStream_tbENKUlT_T0_E_clISt17integral_constantIbLb0EES14_EEDaSZ_S10_EUlSZ_E_NS1_11comp_targetILNS1_3genE0ELNS1_11target_archE4294967295ELNS1_3gpuE0ELNS1_3repE0EEENS1_30default_config_static_selectorELNS0_4arch9wavefront6targetE0EEEvT1_
	.p2align	8
	.type	_ZN7rocprim17ROCPRIM_400000_NS6detail17trampoline_kernelINS0_14default_configENS1_27scan_by_key_config_selectorIxxEEZZNS1_16scan_by_key_implILNS1_25lookback_scan_determinismE0ELb0ES3_N6thrust23THRUST_200600_302600_NS6detail15normal_iteratorINS9_10device_ptrIxEEEENS9_18transform_iteratorINS9_6negateIxEESE_NS9_11use_defaultESI_EESE_xNS9_4plusIvEENS9_8equal_toIvEExEE10hipError_tPvRmT2_T3_T4_T5_mT6_T7_P12ihipStream_tbENKUlT_T0_E_clISt17integral_constantIbLb0EES14_EEDaSZ_S10_EUlSZ_E_NS1_11comp_targetILNS1_3genE0ELNS1_11target_archE4294967295ELNS1_3gpuE0ELNS1_3repE0EEENS1_30default_config_static_selectorELNS0_4arch9wavefront6targetE0EEEvT1_,@function
_ZN7rocprim17ROCPRIM_400000_NS6detail17trampoline_kernelINS0_14default_configENS1_27scan_by_key_config_selectorIxxEEZZNS1_16scan_by_key_implILNS1_25lookback_scan_determinismE0ELb0ES3_N6thrust23THRUST_200600_302600_NS6detail15normal_iteratorINS9_10device_ptrIxEEEENS9_18transform_iteratorINS9_6negateIxEESE_NS9_11use_defaultESI_EESE_xNS9_4plusIvEENS9_8equal_toIvEExEE10hipError_tPvRmT2_T3_T4_T5_mT6_T7_P12ihipStream_tbENKUlT_T0_E_clISt17integral_constantIbLb0EES14_EEDaSZ_S10_EUlSZ_E_NS1_11comp_targetILNS1_3genE0ELNS1_11target_archE4294967295ELNS1_3gpuE0ELNS1_3repE0EEENS1_30default_config_static_selectorELNS0_4arch9wavefront6targetE0EEEvT1_: ; @_ZN7rocprim17ROCPRIM_400000_NS6detail17trampoline_kernelINS0_14default_configENS1_27scan_by_key_config_selectorIxxEEZZNS1_16scan_by_key_implILNS1_25lookback_scan_determinismE0ELb0ES3_N6thrust23THRUST_200600_302600_NS6detail15normal_iteratorINS9_10device_ptrIxEEEENS9_18transform_iteratorINS9_6negateIxEESE_NS9_11use_defaultESI_EESE_xNS9_4plusIvEENS9_8equal_toIvEExEE10hipError_tPvRmT2_T3_T4_T5_mT6_T7_P12ihipStream_tbENKUlT_T0_E_clISt17integral_constantIbLb0EES14_EEDaSZ_S10_EUlSZ_E_NS1_11comp_targetILNS1_3genE0ELNS1_11target_archE4294967295ELNS1_3gpuE0ELNS1_3repE0EEENS1_30default_config_static_selectorELNS0_4arch9wavefront6targetE0EEEvT1_
; %bb.0:
	.section	.rodata,"a",@progbits
	.p2align	6, 0x0
	.amdhsa_kernel _ZN7rocprim17ROCPRIM_400000_NS6detail17trampoline_kernelINS0_14default_configENS1_27scan_by_key_config_selectorIxxEEZZNS1_16scan_by_key_implILNS1_25lookback_scan_determinismE0ELb0ES3_N6thrust23THRUST_200600_302600_NS6detail15normal_iteratorINS9_10device_ptrIxEEEENS9_18transform_iteratorINS9_6negateIxEESE_NS9_11use_defaultESI_EESE_xNS9_4plusIvEENS9_8equal_toIvEExEE10hipError_tPvRmT2_T3_T4_T5_mT6_T7_P12ihipStream_tbENKUlT_T0_E_clISt17integral_constantIbLb0EES14_EEDaSZ_S10_EUlSZ_E_NS1_11comp_targetILNS1_3genE0ELNS1_11target_archE4294967295ELNS1_3gpuE0ELNS1_3repE0EEENS1_30default_config_static_selectorELNS0_4arch9wavefront6targetE0EEEvT1_
		.amdhsa_group_segment_fixed_size 0
		.amdhsa_private_segment_fixed_size 0
		.amdhsa_kernarg_size 144
		.amdhsa_user_sgpr_count 6
		.amdhsa_user_sgpr_private_segment_buffer 1
		.amdhsa_user_sgpr_dispatch_ptr 0
		.amdhsa_user_sgpr_queue_ptr 0
		.amdhsa_user_sgpr_kernarg_segment_ptr 1
		.amdhsa_user_sgpr_dispatch_id 0
		.amdhsa_user_sgpr_flat_scratch_init 0
		.amdhsa_user_sgpr_private_segment_size 0
		.amdhsa_wavefront_size32 1
		.amdhsa_uses_dynamic_stack 0
		.amdhsa_system_sgpr_private_segment_wavefront_offset 0
		.amdhsa_system_sgpr_workgroup_id_x 1
		.amdhsa_system_sgpr_workgroup_id_y 0
		.amdhsa_system_sgpr_workgroup_id_z 0
		.amdhsa_system_sgpr_workgroup_info 0
		.amdhsa_system_vgpr_workitem_id 0
		.amdhsa_next_free_vgpr 1
		.amdhsa_next_free_sgpr 1
		.amdhsa_reserve_vcc 0
		.amdhsa_reserve_flat_scratch 0
		.amdhsa_float_round_mode_32 0
		.amdhsa_float_round_mode_16_64 0
		.amdhsa_float_denorm_mode_32 3
		.amdhsa_float_denorm_mode_16_64 3
		.amdhsa_dx10_clamp 1
		.amdhsa_ieee_mode 1
		.amdhsa_fp16_overflow 0
		.amdhsa_workgroup_processor_mode 1
		.amdhsa_memory_ordered 1
		.amdhsa_forward_progress 1
		.amdhsa_shared_vgpr_count 0
		.amdhsa_exception_fp_ieee_invalid_op 0
		.amdhsa_exception_fp_denorm_src 0
		.amdhsa_exception_fp_ieee_div_zero 0
		.amdhsa_exception_fp_ieee_overflow 0
		.amdhsa_exception_fp_ieee_underflow 0
		.amdhsa_exception_fp_ieee_inexact 0
		.amdhsa_exception_int_div_zero 0
	.end_amdhsa_kernel
	.section	.text._ZN7rocprim17ROCPRIM_400000_NS6detail17trampoline_kernelINS0_14default_configENS1_27scan_by_key_config_selectorIxxEEZZNS1_16scan_by_key_implILNS1_25lookback_scan_determinismE0ELb0ES3_N6thrust23THRUST_200600_302600_NS6detail15normal_iteratorINS9_10device_ptrIxEEEENS9_18transform_iteratorINS9_6negateIxEESE_NS9_11use_defaultESI_EESE_xNS9_4plusIvEENS9_8equal_toIvEExEE10hipError_tPvRmT2_T3_T4_T5_mT6_T7_P12ihipStream_tbENKUlT_T0_E_clISt17integral_constantIbLb0EES14_EEDaSZ_S10_EUlSZ_E_NS1_11comp_targetILNS1_3genE0ELNS1_11target_archE4294967295ELNS1_3gpuE0ELNS1_3repE0EEENS1_30default_config_static_selectorELNS0_4arch9wavefront6targetE0EEEvT1_,"axG",@progbits,_ZN7rocprim17ROCPRIM_400000_NS6detail17trampoline_kernelINS0_14default_configENS1_27scan_by_key_config_selectorIxxEEZZNS1_16scan_by_key_implILNS1_25lookback_scan_determinismE0ELb0ES3_N6thrust23THRUST_200600_302600_NS6detail15normal_iteratorINS9_10device_ptrIxEEEENS9_18transform_iteratorINS9_6negateIxEESE_NS9_11use_defaultESI_EESE_xNS9_4plusIvEENS9_8equal_toIvEExEE10hipError_tPvRmT2_T3_T4_T5_mT6_T7_P12ihipStream_tbENKUlT_T0_E_clISt17integral_constantIbLb0EES14_EEDaSZ_S10_EUlSZ_E_NS1_11comp_targetILNS1_3genE0ELNS1_11target_archE4294967295ELNS1_3gpuE0ELNS1_3repE0EEENS1_30default_config_static_selectorELNS0_4arch9wavefront6targetE0EEEvT1_,comdat
.Lfunc_end893:
	.size	_ZN7rocprim17ROCPRIM_400000_NS6detail17trampoline_kernelINS0_14default_configENS1_27scan_by_key_config_selectorIxxEEZZNS1_16scan_by_key_implILNS1_25lookback_scan_determinismE0ELb0ES3_N6thrust23THRUST_200600_302600_NS6detail15normal_iteratorINS9_10device_ptrIxEEEENS9_18transform_iteratorINS9_6negateIxEESE_NS9_11use_defaultESI_EESE_xNS9_4plusIvEENS9_8equal_toIvEExEE10hipError_tPvRmT2_T3_T4_T5_mT6_T7_P12ihipStream_tbENKUlT_T0_E_clISt17integral_constantIbLb0EES14_EEDaSZ_S10_EUlSZ_E_NS1_11comp_targetILNS1_3genE0ELNS1_11target_archE4294967295ELNS1_3gpuE0ELNS1_3repE0EEENS1_30default_config_static_selectorELNS0_4arch9wavefront6targetE0EEEvT1_, .Lfunc_end893-_ZN7rocprim17ROCPRIM_400000_NS6detail17trampoline_kernelINS0_14default_configENS1_27scan_by_key_config_selectorIxxEEZZNS1_16scan_by_key_implILNS1_25lookback_scan_determinismE0ELb0ES3_N6thrust23THRUST_200600_302600_NS6detail15normal_iteratorINS9_10device_ptrIxEEEENS9_18transform_iteratorINS9_6negateIxEESE_NS9_11use_defaultESI_EESE_xNS9_4plusIvEENS9_8equal_toIvEExEE10hipError_tPvRmT2_T3_T4_T5_mT6_T7_P12ihipStream_tbENKUlT_T0_E_clISt17integral_constantIbLb0EES14_EEDaSZ_S10_EUlSZ_E_NS1_11comp_targetILNS1_3genE0ELNS1_11target_archE4294967295ELNS1_3gpuE0ELNS1_3repE0EEENS1_30default_config_static_selectorELNS0_4arch9wavefront6targetE0EEEvT1_
                                        ; -- End function
	.set _ZN7rocprim17ROCPRIM_400000_NS6detail17trampoline_kernelINS0_14default_configENS1_27scan_by_key_config_selectorIxxEEZZNS1_16scan_by_key_implILNS1_25lookback_scan_determinismE0ELb0ES3_N6thrust23THRUST_200600_302600_NS6detail15normal_iteratorINS9_10device_ptrIxEEEENS9_18transform_iteratorINS9_6negateIxEESE_NS9_11use_defaultESI_EESE_xNS9_4plusIvEENS9_8equal_toIvEExEE10hipError_tPvRmT2_T3_T4_T5_mT6_T7_P12ihipStream_tbENKUlT_T0_E_clISt17integral_constantIbLb0EES14_EEDaSZ_S10_EUlSZ_E_NS1_11comp_targetILNS1_3genE0ELNS1_11target_archE4294967295ELNS1_3gpuE0ELNS1_3repE0EEENS1_30default_config_static_selectorELNS0_4arch9wavefront6targetE0EEEvT1_.num_vgpr, 0
	.set _ZN7rocprim17ROCPRIM_400000_NS6detail17trampoline_kernelINS0_14default_configENS1_27scan_by_key_config_selectorIxxEEZZNS1_16scan_by_key_implILNS1_25lookback_scan_determinismE0ELb0ES3_N6thrust23THRUST_200600_302600_NS6detail15normal_iteratorINS9_10device_ptrIxEEEENS9_18transform_iteratorINS9_6negateIxEESE_NS9_11use_defaultESI_EESE_xNS9_4plusIvEENS9_8equal_toIvEExEE10hipError_tPvRmT2_T3_T4_T5_mT6_T7_P12ihipStream_tbENKUlT_T0_E_clISt17integral_constantIbLb0EES14_EEDaSZ_S10_EUlSZ_E_NS1_11comp_targetILNS1_3genE0ELNS1_11target_archE4294967295ELNS1_3gpuE0ELNS1_3repE0EEENS1_30default_config_static_selectorELNS0_4arch9wavefront6targetE0EEEvT1_.num_agpr, 0
	.set _ZN7rocprim17ROCPRIM_400000_NS6detail17trampoline_kernelINS0_14default_configENS1_27scan_by_key_config_selectorIxxEEZZNS1_16scan_by_key_implILNS1_25lookback_scan_determinismE0ELb0ES3_N6thrust23THRUST_200600_302600_NS6detail15normal_iteratorINS9_10device_ptrIxEEEENS9_18transform_iteratorINS9_6negateIxEESE_NS9_11use_defaultESI_EESE_xNS9_4plusIvEENS9_8equal_toIvEExEE10hipError_tPvRmT2_T3_T4_T5_mT6_T7_P12ihipStream_tbENKUlT_T0_E_clISt17integral_constantIbLb0EES14_EEDaSZ_S10_EUlSZ_E_NS1_11comp_targetILNS1_3genE0ELNS1_11target_archE4294967295ELNS1_3gpuE0ELNS1_3repE0EEENS1_30default_config_static_selectorELNS0_4arch9wavefront6targetE0EEEvT1_.numbered_sgpr, 0
	.set _ZN7rocprim17ROCPRIM_400000_NS6detail17trampoline_kernelINS0_14default_configENS1_27scan_by_key_config_selectorIxxEEZZNS1_16scan_by_key_implILNS1_25lookback_scan_determinismE0ELb0ES3_N6thrust23THRUST_200600_302600_NS6detail15normal_iteratorINS9_10device_ptrIxEEEENS9_18transform_iteratorINS9_6negateIxEESE_NS9_11use_defaultESI_EESE_xNS9_4plusIvEENS9_8equal_toIvEExEE10hipError_tPvRmT2_T3_T4_T5_mT6_T7_P12ihipStream_tbENKUlT_T0_E_clISt17integral_constantIbLb0EES14_EEDaSZ_S10_EUlSZ_E_NS1_11comp_targetILNS1_3genE0ELNS1_11target_archE4294967295ELNS1_3gpuE0ELNS1_3repE0EEENS1_30default_config_static_selectorELNS0_4arch9wavefront6targetE0EEEvT1_.num_named_barrier, 0
	.set _ZN7rocprim17ROCPRIM_400000_NS6detail17trampoline_kernelINS0_14default_configENS1_27scan_by_key_config_selectorIxxEEZZNS1_16scan_by_key_implILNS1_25lookback_scan_determinismE0ELb0ES3_N6thrust23THRUST_200600_302600_NS6detail15normal_iteratorINS9_10device_ptrIxEEEENS9_18transform_iteratorINS9_6negateIxEESE_NS9_11use_defaultESI_EESE_xNS9_4plusIvEENS9_8equal_toIvEExEE10hipError_tPvRmT2_T3_T4_T5_mT6_T7_P12ihipStream_tbENKUlT_T0_E_clISt17integral_constantIbLb0EES14_EEDaSZ_S10_EUlSZ_E_NS1_11comp_targetILNS1_3genE0ELNS1_11target_archE4294967295ELNS1_3gpuE0ELNS1_3repE0EEENS1_30default_config_static_selectorELNS0_4arch9wavefront6targetE0EEEvT1_.private_seg_size, 0
	.set _ZN7rocprim17ROCPRIM_400000_NS6detail17trampoline_kernelINS0_14default_configENS1_27scan_by_key_config_selectorIxxEEZZNS1_16scan_by_key_implILNS1_25lookback_scan_determinismE0ELb0ES3_N6thrust23THRUST_200600_302600_NS6detail15normal_iteratorINS9_10device_ptrIxEEEENS9_18transform_iteratorINS9_6negateIxEESE_NS9_11use_defaultESI_EESE_xNS9_4plusIvEENS9_8equal_toIvEExEE10hipError_tPvRmT2_T3_T4_T5_mT6_T7_P12ihipStream_tbENKUlT_T0_E_clISt17integral_constantIbLb0EES14_EEDaSZ_S10_EUlSZ_E_NS1_11comp_targetILNS1_3genE0ELNS1_11target_archE4294967295ELNS1_3gpuE0ELNS1_3repE0EEENS1_30default_config_static_selectorELNS0_4arch9wavefront6targetE0EEEvT1_.uses_vcc, 0
	.set _ZN7rocprim17ROCPRIM_400000_NS6detail17trampoline_kernelINS0_14default_configENS1_27scan_by_key_config_selectorIxxEEZZNS1_16scan_by_key_implILNS1_25lookback_scan_determinismE0ELb0ES3_N6thrust23THRUST_200600_302600_NS6detail15normal_iteratorINS9_10device_ptrIxEEEENS9_18transform_iteratorINS9_6negateIxEESE_NS9_11use_defaultESI_EESE_xNS9_4plusIvEENS9_8equal_toIvEExEE10hipError_tPvRmT2_T3_T4_T5_mT6_T7_P12ihipStream_tbENKUlT_T0_E_clISt17integral_constantIbLb0EES14_EEDaSZ_S10_EUlSZ_E_NS1_11comp_targetILNS1_3genE0ELNS1_11target_archE4294967295ELNS1_3gpuE0ELNS1_3repE0EEENS1_30default_config_static_selectorELNS0_4arch9wavefront6targetE0EEEvT1_.uses_flat_scratch, 0
	.set _ZN7rocprim17ROCPRIM_400000_NS6detail17trampoline_kernelINS0_14default_configENS1_27scan_by_key_config_selectorIxxEEZZNS1_16scan_by_key_implILNS1_25lookback_scan_determinismE0ELb0ES3_N6thrust23THRUST_200600_302600_NS6detail15normal_iteratorINS9_10device_ptrIxEEEENS9_18transform_iteratorINS9_6negateIxEESE_NS9_11use_defaultESI_EESE_xNS9_4plusIvEENS9_8equal_toIvEExEE10hipError_tPvRmT2_T3_T4_T5_mT6_T7_P12ihipStream_tbENKUlT_T0_E_clISt17integral_constantIbLb0EES14_EEDaSZ_S10_EUlSZ_E_NS1_11comp_targetILNS1_3genE0ELNS1_11target_archE4294967295ELNS1_3gpuE0ELNS1_3repE0EEENS1_30default_config_static_selectorELNS0_4arch9wavefront6targetE0EEEvT1_.has_dyn_sized_stack, 0
	.set _ZN7rocprim17ROCPRIM_400000_NS6detail17trampoline_kernelINS0_14default_configENS1_27scan_by_key_config_selectorIxxEEZZNS1_16scan_by_key_implILNS1_25lookback_scan_determinismE0ELb0ES3_N6thrust23THRUST_200600_302600_NS6detail15normal_iteratorINS9_10device_ptrIxEEEENS9_18transform_iteratorINS9_6negateIxEESE_NS9_11use_defaultESI_EESE_xNS9_4plusIvEENS9_8equal_toIvEExEE10hipError_tPvRmT2_T3_T4_T5_mT6_T7_P12ihipStream_tbENKUlT_T0_E_clISt17integral_constantIbLb0EES14_EEDaSZ_S10_EUlSZ_E_NS1_11comp_targetILNS1_3genE0ELNS1_11target_archE4294967295ELNS1_3gpuE0ELNS1_3repE0EEENS1_30default_config_static_selectorELNS0_4arch9wavefront6targetE0EEEvT1_.has_recursion, 0
	.set _ZN7rocprim17ROCPRIM_400000_NS6detail17trampoline_kernelINS0_14default_configENS1_27scan_by_key_config_selectorIxxEEZZNS1_16scan_by_key_implILNS1_25lookback_scan_determinismE0ELb0ES3_N6thrust23THRUST_200600_302600_NS6detail15normal_iteratorINS9_10device_ptrIxEEEENS9_18transform_iteratorINS9_6negateIxEESE_NS9_11use_defaultESI_EESE_xNS9_4plusIvEENS9_8equal_toIvEExEE10hipError_tPvRmT2_T3_T4_T5_mT6_T7_P12ihipStream_tbENKUlT_T0_E_clISt17integral_constantIbLb0EES14_EEDaSZ_S10_EUlSZ_E_NS1_11comp_targetILNS1_3genE0ELNS1_11target_archE4294967295ELNS1_3gpuE0ELNS1_3repE0EEENS1_30default_config_static_selectorELNS0_4arch9wavefront6targetE0EEEvT1_.has_indirect_call, 0
	.section	.AMDGPU.csdata,"",@progbits
; Kernel info:
; codeLenInByte = 0
; TotalNumSgprs: 0
; NumVgprs: 0
; ScratchSize: 0
; MemoryBound: 0
; FloatMode: 240
; IeeeMode: 1
; LDSByteSize: 0 bytes/workgroup (compile time only)
; SGPRBlocks: 0
; VGPRBlocks: 0
; NumSGPRsForWavesPerEU: 1
; NumVGPRsForWavesPerEU: 1
; Occupancy: 16
; WaveLimiterHint : 0
; COMPUTE_PGM_RSRC2:SCRATCH_EN: 0
; COMPUTE_PGM_RSRC2:USER_SGPR: 6
; COMPUTE_PGM_RSRC2:TRAP_HANDLER: 0
; COMPUTE_PGM_RSRC2:TGID_X_EN: 1
; COMPUTE_PGM_RSRC2:TGID_Y_EN: 0
; COMPUTE_PGM_RSRC2:TGID_Z_EN: 0
; COMPUTE_PGM_RSRC2:TIDIG_COMP_CNT: 0
	.section	.text._ZN7rocprim17ROCPRIM_400000_NS6detail17trampoline_kernelINS0_14default_configENS1_27scan_by_key_config_selectorIxxEEZZNS1_16scan_by_key_implILNS1_25lookback_scan_determinismE0ELb0ES3_N6thrust23THRUST_200600_302600_NS6detail15normal_iteratorINS9_10device_ptrIxEEEENS9_18transform_iteratorINS9_6negateIxEESE_NS9_11use_defaultESI_EESE_xNS9_4plusIvEENS9_8equal_toIvEExEE10hipError_tPvRmT2_T3_T4_T5_mT6_T7_P12ihipStream_tbENKUlT_T0_E_clISt17integral_constantIbLb0EES14_EEDaSZ_S10_EUlSZ_E_NS1_11comp_targetILNS1_3genE10ELNS1_11target_archE1201ELNS1_3gpuE5ELNS1_3repE0EEENS1_30default_config_static_selectorELNS0_4arch9wavefront6targetE0EEEvT1_,"axG",@progbits,_ZN7rocprim17ROCPRIM_400000_NS6detail17trampoline_kernelINS0_14default_configENS1_27scan_by_key_config_selectorIxxEEZZNS1_16scan_by_key_implILNS1_25lookback_scan_determinismE0ELb0ES3_N6thrust23THRUST_200600_302600_NS6detail15normal_iteratorINS9_10device_ptrIxEEEENS9_18transform_iteratorINS9_6negateIxEESE_NS9_11use_defaultESI_EESE_xNS9_4plusIvEENS9_8equal_toIvEExEE10hipError_tPvRmT2_T3_T4_T5_mT6_T7_P12ihipStream_tbENKUlT_T0_E_clISt17integral_constantIbLb0EES14_EEDaSZ_S10_EUlSZ_E_NS1_11comp_targetILNS1_3genE10ELNS1_11target_archE1201ELNS1_3gpuE5ELNS1_3repE0EEENS1_30default_config_static_selectorELNS0_4arch9wavefront6targetE0EEEvT1_,comdat
	.protected	_ZN7rocprim17ROCPRIM_400000_NS6detail17trampoline_kernelINS0_14default_configENS1_27scan_by_key_config_selectorIxxEEZZNS1_16scan_by_key_implILNS1_25lookback_scan_determinismE0ELb0ES3_N6thrust23THRUST_200600_302600_NS6detail15normal_iteratorINS9_10device_ptrIxEEEENS9_18transform_iteratorINS9_6negateIxEESE_NS9_11use_defaultESI_EESE_xNS9_4plusIvEENS9_8equal_toIvEExEE10hipError_tPvRmT2_T3_T4_T5_mT6_T7_P12ihipStream_tbENKUlT_T0_E_clISt17integral_constantIbLb0EES14_EEDaSZ_S10_EUlSZ_E_NS1_11comp_targetILNS1_3genE10ELNS1_11target_archE1201ELNS1_3gpuE5ELNS1_3repE0EEENS1_30default_config_static_selectorELNS0_4arch9wavefront6targetE0EEEvT1_ ; -- Begin function _ZN7rocprim17ROCPRIM_400000_NS6detail17trampoline_kernelINS0_14default_configENS1_27scan_by_key_config_selectorIxxEEZZNS1_16scan_by_key_implILNS1_25lookback_scan_determinismE0ELb0ES3_N6thrust23THRUST_200600_302600_NS6detail15normal_iteratorINS9_10device_ptrIxEEEENS9_18transform_iteratorINS9_6negateIxEESE_NS9_11use_defaultESI_EESE_xNS9_4plusIvEENS9_8equal_toIvEExEE10hipError_tPvRmT2_T3_T4_T5_mT6_T7_P12ihipStream_tbENKUlT_T0_E_clISt17integral_constantIbLb0EES14_EEDaSZ_S10_EUlSZ_E_NS1_11comp_targetILNS1_3genE10ELNS1_11target_archE1201ELNS1_3gpuE5ELNS1_3repE0EEENS1_30default_config_static_selectorELNS0_4arch9wavefront6targetE0EEEvT1_
	.globl	_ZN7rocprim17ROCPRIM_400000_NS6detail17trampoline_kernelINS0_14default_configENS1_27scan_by_key_config_selectorIxxEEZZNS1_16scan_by_key_implILNS1_25lookback_scan_determinismE0ELb0ES3_N6thrust23THRUST_200600_302600_NS6detail15normal_iteratorINS9_10device_ptrIxEEEENS9_18transform_iteratorINS9_6negateIxEESE_NS9_11use_defaultESI_EESE_xNS9_4plusIvEENS9_8equal_toIvEExEE10hipError_tPvRmT2_T3_T4_T5_mT6_T7_P12ihipStream_tbENKUlT_T0_E_clISt17integral_constantIbLb0EES14_EEDaSZ_S10_EUlSZ_E_NS1_11comp_targetILNS1_3genE10ELNS1_11target_archE1201ELNS1_3gpuE5ELNS1_3repE0EEENS1_30default_config_static_selectorELNS0_4arch9wavefront6targetE0EEEvT1_
	.p2align	8
	.type	_ZN7rocprim17ROCPRIM_400000_NS6detail17trampoline_kernelINS0_14default_configENS1_27scan_by_key_config_selectorIxxEEZZNS1_16scan_by_key_implILNS1_25lookback_scan_determinismE0ELb0ES3_N6thrust23THRUST_200600_302600_NS6detail15normal_iteratorINS9_10device_ptrIxEEEENS9_18transform_iteratorINS9_6negateIxEESE_NS9_11use_defaultESI_EESE_xNS9_4plusIvEENS9_8equal_toIvEExEE10hipError_tPvRmT2_T3_T4_T5_mT6_T7_P12ihipStream_tbENKUlT_T0_E_clISt17integral_constantIbLb0EES14_EEDaSZ_S10_EUlSZ_E_NS1_11comp_targetILNS1_3genE10ELNS1_11target_archE1201ELNS1_3gpuE5ELNS1_3repE0EEENS1_30default_config_static_selectorELNS0_4arch9wavefront6targetE0EEEvT1_,@function
_ZN7rocprim17ROCPRIM_400000_NS6detail17trampoline_kernelINS0_14default_configENS1_27scan_by_key_config_selectorIxxEEZZNS1_16scan_by_key_implILNS1_25lookback_scan_determinismE0ELb0ES3_N6thrust23THRUST_200600_302600_NS6detail15normal_iteratorINS9_10device_ptrIxEEEENS9_18transform_iteratorINS9_6negateIxEESE_NS9_11use_defaultESI_EESE_xNS9_4plusIvEENS9_8equal_toIvEExEE10hipError_tPvRmT2_T3_T4_T5_mT6_T7_P12ihipStream_tbENKUlT_T0_E_clISt17integral_constantIbLb0EES14_EEDaSZ_S10_EUlSZ_E_NS1_11comp_targetILNS1_3genE10ELNS1_11target_archE1201ELNS1_3gpuE5ELNS1_3repE0EEENS1_30default_config_static_selectorELNS0_4arch9wavefront6targetE0EEEvT1_: ; @_ZN7rocprim17ROCPRIM_400000_NS6detail17trampoline_kernelINS0_14default_configENS1_27scan_by_key_config_selectorIxxEEZZNS1_16scan_by_key_implILNS1_25lookback_scan_determinismE0ELb0ES3_N6thrust23THRUST_200600_302600_NS6detail15normal_iteratorINS9_10device_ptrIxEEEENS9_18transform_iteratorINS9_6negateIxEESE_NS9_11use_defaultESI_EESE_xNS9_4plusIvEENS9_8equal_toIvEExEE10hipError_tPvRmT2_T3_T4_T5_mT6_T7_P12ihipStream_tbENKUlT_T0_E_clISt17integral_constantIbLb0EES14_EEDaSZ_S10_EUlSZ_E_NS1_11comp_targetILNS1_3genE10ELNS1_11target_archE1201ELNS1_3gpuE5ELNS1_3repE0EEENS1_30default_config_static_selectorELNS0_4arch9wavefront6targetE0EEEvT1_
; %bb.0:
	.section	.rodata,"a",@progbits
	.p2align	6, 0x0
	.amdhsa_kernel _ZN7rocprim17ROCPRIM_400000_NS6detail17trampoline_kernelINS0_14default_configENS1_27scan_by_key_config_selectorIxxEEZZNS1_16scan_by_key_implILNS1_25lookback_scan_determinismE0ELb0ES3_N6thrust23THRUST_200600_302600_NS6detail15normal_iteratorINS9_10device_ptrIxEEEENS9_18transform_iteratorINS9_6negateIxEESE_NS9_11use_defaultESI_EESE_xNS9_4plusIvEENS9_8equal_toIvEExEE10hipError_tPvRmT2_T3_T4_T5_mT6_T7_P12ihipStream_tbENKUlT_T0_E_clISt17integral_constantIbLb0EES14_EEDaSZ_S10_EUlSZ_E_NS1_11comp_targetILNS1_3genE10ELNS1_11target_archE1201ELNS1_3gpuE5ELNS1_3repE0EEENS1_30default_config_static_selectorELNS0_4arch9wavefront6targetE0EEEvT1_
		.amdhsa_group_segment_fixed_size 0
		.amdhsa_private_segment_fixed_size 0
		.amdhsa_kernarg_size 144
		.amdhsa_user_sgpr_count 6
		.amdhsa_user_sgpr_private_segment_buffer 1
		.amdhsa_user_sgpr_dispatch_ptr 0
		.amdhsa_user_sgpr_queue_ptr 0
		.amdhsa_user_sgpr_kernarg_segment_ptr 1
		.amdhsa_user_sgpr_dispatch_id 0
		.amdhsa_user_sgpr_flat_scratch_init 0
		.amdhsa_user_sgpr_private_segment_size 0
		.amdhsa_wavefront_size32 1
		.amdhsa_uses_dynamic_stack 0
		.amdhsa_system_sgpr_private_segment_wavefront_offset 0
		.amdhsa_system_sgpr_workgroup_id_x 1
		.amdhsa_system_sgpr_workgroup_id_y 0
		.amdhsa_system_sgpr_workgroup_id_z 0
		.amdhsa_system_sgpr_workgroup_info 0
		.amdhsa_system_vgpr_workitem_id 0
		.amdhsa_next_free_vgpr 1
		.amdhsa_next_free_sgpr 1
		.amdhsa_reserve_vcc 0
		.amdhsa_reserve_flat_scratch 0
		.amdhsa_float_round_mode_32 0
		.amdhsa_float_round_mode_16_64 0
		.amdhsa_float_denorm_mode_32 3
		.amdhsa_float_denorm_mode_16_64 3
		.amdhsa_dx10_clamp 1
		.amdhsa_ieee_mode 1
		.amdhsa_fp16_overflow 0
		.amdhsa_workgroup_processor_mode 1
		.amdhsa_memory_ordered 1
		.amdhsa_forward_progress 1
		.amdhsa_shared_vgpr_count 0
		.amdhsa_exception_fp_ieee_invalid_op 0
		.amdhsa_exception_fp_denorm_src 0
		.amdhsa_exception_fp_ieee_div_zero 0
		.amdhsa_exception_fp_ieee_overflow 0
		.amdhsa_exception_fp_ieee_underflow 0
		.amdhsa_exception_fp_ieee_inexact 0
		.amdhsa_exception_int_div_zero 0
	.end_amdhsa_kernel
	.section	.text._ZN7rocprim17ROCPRIM_400000_NS6detail17trampoline_kernelINS0_14default_configENS1_27scan_by_key_config_selectorIxxEEZZNS1_16scan_by_key_implILNS1_25lookback_scan_determinismE0ELb0ES3_N6thrust23THRUST_200600_302600_NS6detail15normal_iteratorINS9_10device_ptrIxEEEENS9_18transform_iteratorINS9_6negateIxEESE_NS9_11use_defaultESI_EESE_xNS9_4plusIvEENS9_8equal_toIvEExEE10hipError_tPvRmT2_T3_T4_T5_mT6_T7_P12ihipStream_tbENKUlT_T0_E_clISt17integral_constantIbLb0EES14_EEDaSZ_S10_EUlSZ_E_NS1_11comp_targetILNS1_3genE10ELNS1_11target_archE1201ELNS1_3gpuE5ELNS1_3repE0EEENS1_30default_config_static_selectorELNS0_4arch9wavefront6targetE0EEEvT1_,"axG",@progbits,_ZN7rocprim17ROCPRIM_400000_NS6detail17trampoline_kernelINS0_14default_configENS1_27scan_by_key_config_selectorIxxEEZZNS1_16scan_by_key_implILNS1_25lookback_scan_determinismE0ELb0ES3_N6thrust23THRUST_200600_302600_NS6detail15normal_iteratorINS9_10device_ptrIxEEEENS9_18transform_iteratorINS9_6negateIxEESE_NS9_11use_defaultESI_EESE_xNS9_4plusIvEENS9_8equal_toIvEExEE10hipError_tPvRmT2_T3_T4_T5_mT6_T7_P12ihipStream_tbENKUlT_T0_E_clISt17integral_constantIbLb0EES14_EEDaSZ_S10_EUlSZ_E_NS1_11comp_targetILNS1_3genE10ELNS1_11target_archE1201ELNS1_3gpuE5ELNS1_3repE0EEENS1_30default_config_static_selectorELNS0_4arch9wavefront6targetE0EEEvT1_,comdat
.Lfunc_end894:
	.size	_ZN7rocprim17ROCPRIM_400000_NS6detail17trampoline_kernelINS0_14default_configENS1_27scan_by_key_config_selectorIxxEEZZNS1_16scan_by_key_implILNS1_25lookback_scan_determinismE0ELb0ES3_N6thrust23THRUST_200600_302600_NS6detail15normal_iteratorINS9_10device_ptrIxEEEENS9_18transform_iteratorINS9_6negateIxEESE_NS9_11use_defaultESI_EESE_xNS9_4plusIvEENS9_8equal_toIvEExEE10hipError_tPvRmT2_T3_T4_T5_mT6_T7_P12ihipStream_tbENKUlT_T0_E_clISt17integral_constantIbLb0EES14_EEDaSZ_S10_EUlSZ_E_NS1_11comp_targetILNS1_3genE10ELNS1_11target_archE1201ELNS1_3gpuE5ELNS1_3repE0EEENS1_30default_config_static_selectorELNS0_4arch9wavefront6targetE0EEEvT1_, .Lfunc_end894-_ZN7rocprim17ROCPRIM_400000_NS6detail17trampoline_kernelINS0_14default_configENS1_27scan_by_key_config_selectorIxxEEZZNS1_16scan_by_key_implILNS1_25lookback_scan_determinismE0ELb0ES3_N6thrust23THRUST_200600_302600_NS6detail15normal_iteratorINS9_10device_ptrIxEEEENS9_18transform_iteratorINS9_6negateIxEESE_NS9_11use_defaultESI_EESE_xNS9_4plusIvEENS9_8equal_toIvEExEE10hipError_tPvRmT2_T3_T4_T5_mT6_T7_P12ihipStream_tbENKUlT_T0_E_clISt17integral_constantIbLb0EES14_EEDaSZ_S10_EUlSZ_E_NS1_11comp_targetILNS1_3genE10ELNS1_11target_archE1201ELNS1_3gpuE5ELNS1_3repE0EEENS1_30default_config_static_selectorELNS0_4arch9wavefront6targetE0EEEvT1_
                                        ; -- End function
	.set _ZN7rocprim17ROCPRIM_400000_NS6detail17trampoline_kernelINS0_14default_configENS1_27scan_by_key_config_selectorIxxEEZZNS1_16scan_by_key_implILNS1_25lookback_scan_determinismE0ELb0ES3_N6thrust23THRUST_200600_302600_NS6detail15normal_iteratorINS9_10device_ptrIxEEEENS9_18transform_iteratorINS9_6negateIxEESE_NS9_11use_defaultESI_EESE_xNS9_4plusIvEENS9_8equal_toIvEExEE10hipError_tPvRmT2_T3_T4_T5_mT6_T7_P12ihipStream_tbENKUlT_T0_E_clISt17integral_constantIbLb0EES14_EEDaSZ_S10_EUlSZ_E_NS1_11comp_targetILNS1_3genE10ELNS1_11target_archE1201ELNS1_3gpuE5ELNS1_3repE0EEENS1_30default_config_static_selectorELNS0_4arch9wavefront6targetE0EEEvT1_.num_vgpr, 0
	.set _ZN7rocprim17ROCPRIM_400000_NS6detail17trampoline_kernelINS0_14default_configENS1_27scan_by_key_config_selectorIxxEEZZNS1_16scan_by_key_implILNS1_25lookback_scan_determinismE0ELb0ES3_N6thrust23THRUST_200600_302600_NS6detail15normal_iteratorINS9_10device_ptrIxEEEENS9_18transform_iteratorINS9_6negateIxEESE_NS9_11use_defaultESI_EESE_xNS9_4plusIvEENS9_8equal_toIvEExEE10hipError_tPvRmT2_T3_T4_T5_mT6_T7_P12ihipStream_tbENKUlT_T0_E_clISt17integral_constantIbLb0EES14_EEDaSZ_S10_EUlSZ_E_NS1_11comp_targetILNS1_3genE10ELNS1_11target_archE1201ELNS1_3gpuE5ELNS1_3repE0EEENS1_30default_config_static_selectorELNS0_4arch9wavefront6targetE0EEEvT1_.num_agpr, 0
	.set _ZN7rocprim17ROCPRIM_400000_NS6detail17trampoline_kernelINS0_14default_configENS1_27scan_by_key_config_selectorIxxEEZZNS1_16scan_by_key_implILNS1_25lookback_scan_determinismE0ELb0ES3_N6thrust23THRUST_200600_302600_NS6detail15normal_iteratorINS9_10device_ptrIxEEEENS9_18transform_iteratorINS9_6negateIxEESE_NS9_11use_defaultESI_EESE_xNS9_4plusIvEENS9_8equal_toIvEExEE10hipError_tPvRmT2_T3_T4_T5_mT6_T7_P12ihipStream_tbENKUlT_T0_E_clISt17integral_constantIbLb0EES14_EEDaSZ_S10_EUlSZ_E_NS1_11comp_targetILNS1_3genE10ELNS1_11target_archE1201ELNS1_3gpuE5ELNS1_3repE0EEENS1_30default_config_static_selectorELNS0_4arch9wavefront6targetE0EEEvT1_.numbered_sgpr, 0
	.set _ZN7rocprim17ROCPRIM_400000_NS6detail17trampoline_kernelINS0_14default_configENS1_27scan_by_key_config_selectorIxxEEZZNS1_16scan_by_key_implILNS1_25lookback_scan_determinismE0ELb0ES3_N6thrust23THRUST_200600_302600_NS6detail15normal_iteratorINS9_10device_ptrIxEEEENS9_18transform_iteratorINS9_6negateIxEESE_NS9_11use_defaultESI_EESE_xNS9_4plusIvEENS9_8equal_toIvEExEE10hipError_tPvRmT2_T3_T4_T5_mT6_T7_P12ihipStream_tbENKUlT_T0_E_clISt17integral_constantIbLb0EES14_EEDaSZ_S10_EUlSZ_E_NS1_11comp_targetILNS1_3genE10ELNS1_11target_archE1201ELNS1_3gpuE5ELNS1_3repE0EEENS1_30default_config_static_selectorELNS0_4arch9wavefront6targetE0EEEvT1_.num_named_barrier, 0
	.set _ZN7rocprim17ROCPRIM_400000_NS6detail17trampoline_kernelINS0_14default_configENS1_27scan_by_key_config_selectorIxxEEZZNS1_16scan_by_key_implILNS1_25lookback_scan_determinismE0ELb0ES3_N6thrust23THRUST_200600_302600_NS6detail15normal_iteratorINS9_10device_ptrIxEEEENS9_18transform_iteratorINS9_6negateIxEESE_NS9_11use_defaultESI_EESE_xNS9_4plusIvEENS9_8equal_toIvEExEE10hipError_tPvRmT2_T3_T4_T5_mT6_T7_P12ihipStream_tbENKUlT_T0_E_clISt17integral_constantIbLb0EES14_EEDaSZ_S10_EUlSZ_E_NS1_11comp_targetILNS1_3genE10ELNS1_11target_archE1201ELNS1_3gpuE5ELNS1_3repE0EEENS1_30default_config_static_selectorELNS0_4arch9wavefront6targetE0EEEvT1_.private_seg_size, 0
	.set _ZN7rocprim17ROCPRIM_400000_NS6detail17trampoline_kernelINS0_14default_configENS1_27scan_by_key_config_selectorIxxEEZZNS1_16scan_by_key_implILNS1_25lookback_scan_determinismE0ELb0ES3_N6thrust23THRUST_200600_302600_NS6detail15normal_iteratorINS9_10device_ptrIxEEEENS9_18transform_iteratorINS9_6negateIxEESE_NS9_11use_defaultESI_EESE_xNS9_4plusIvEENS9_8equal_toIvEExEE10hipError_tPvRmT2_T3_T4_T5_mT6_T7_P12ihipStream_tbENKUlT_T0_E_clISt17integral_constantIbLb0EES14_EEDaSZ_S10_EUlSZ_E_NS1_11comp_targetILNS1_3genE10ELNS1_11target_archE1201ELNS1_3gpuE5ELNS1_3repE0EEENS1_30default_config_static_selectorELNS0_4arch9wavefront6targetE0EEEvT1_.uses_vcc, 0
	.set _ZN7rocprim17ROCPRIM_400000_NS6detail17trampoline_kernelINS0_14default_configENS1_27scan_by_key_config_selectorIxxEEZZNS1_16scan_by_key_implILNS1_25lookback_scan_determinismE0ELb0ES3_N6thrust23THRUST_200600_302600_NS6detail15normal_iteratorINS9_10device_ptrIxEEEENS9_18transform_iteratorINS9_6negateIxEESE_NS9_11use_defaultESI_EESE_xNS9_4plusIvEENS9_8equal_toIvEExEE10hipError_tPvRmT2_T3_T4_T5_mT6_T7_P12ihipStream_tbENKUlT_T0_E_clISt17integral_constantIbLb0EES14_EEDaSZ_S10_EUlSZ_E_NS1_11comp_targetILNS1_3genE10ELNS1_11target_archE1201ELNS1_3gpuE5ELNS1_3repE0EEENS1_30default_config_static_selectorELNS0_4arch9wavefront6targetE0EEEvT1_.uses_flat_scratch, 0
	.set _ZN7rocprim17ROCPRIM_400000_NS6detail17trampoline_kernelINS0_14default_configENS1_27scan_by_key_config_selectorIxxEEZZNS1_16scan_by_key_implILNS1_25lookback_scan_determinismE0ELb0ES3_N6thrust23THRUST_200600_302600_NS6detail15normal_iteratorINS9_10device_ptrIxEEEENS9_18transform_iteratorINS9_6negateIxEESE_NS9_11use_defaultESI_EESE_xNS9_4plusIvEENS9_8equal_toIvEExEE10hipError_tPvRmT2_T3_T4_T5_mT6_T7_P12ihipStream_tbENKUlT_T0_E_clISt17integral_constantIbLb0EES14_EEDaSZ_S10_EUlSZ_E_NS1_11comp_targetILNS1_3genE10ELNS1_11target_archE1201ELNS1_3gpuE5ELNS1_3repE0EEENS1_30default_config_static_selectorELNS0_4arch9wavefront6targetE0EEEvT1_.has_dyn_sized_stack, 0
	.set _ZN7rocprim17ROCPRIM_400000_NS6detail17trampoline_kernelINS0_14default_configENS1_27scan_by_key_config_selectorIxxEEZZNS1_16scan_by_key_implILNS1_25lookback_scan_determinismE0ELb0ES3_N6thrust23THRUST_200600_302600_NS6detail15normal_iteratorINS9_10device_ptrIxEEEENS9_18transform_iteratorINS9_6negateIxEESE_NS9_11use_defaultESI_EESE_xNS9_4plusIvEENS9_8equal_toIvEExEE10hipError_tPvRmT2_T3_T4_T5_mT6_T7_P12ihipStream_tbENKUlT_T0_E_clISt17integral_constantIbLb0EES14_EEDaSZ_S10_EUlSZ_E_NS1_11comp_targetILNS1_3genE10ELNS1_11target_archE1201ELNS1_3gpuE5ELNS1_3repE0EEENS1_30default_config_static_selectorELNS0_4arch9wavefront6targetE0EEEvT1_.has_recursion, 0
	.set _ZN7rocprim17ROCPRIM_400000_NS6detail17trampoline_kernelINS0_14default_configENS1_27scan_by_key_config_selectorIxxEEZZNS1_16scan_by_key_implILNS1_25lookback_scan_determinismE0ELb0ES3_N6thrust23THRUST_200600_302600_NS6detail15normal_iteratorINS9_10device_ptrIxEEEENS9_18transform_iteratorINS9_6negateIxEESE_NS9_11use_defaultESI_EESE_xNS9_4plusIvEENS9_8equal_toIvEExEE10hipError_tPvRmT2_T3_T4_T5_mT6_T7_P12ihipStream_tbENKUlT_T0_E_clISt17integral_constantIbLb0EES14_EEDaSZ_S10_EUlSZ_E_NS1_11comp_targetILNS1_3genE10ELNS1_11target_archE1201ELNS1_3gpuE5ELNS1_3repE0EEENS1_30default_config_static_selectorELNS0_4arch9wavefront6targetE0EEEvT1_.has_indirect_call, 0
	.section	.AMDGPU.csdata,"",@progbits
; Kernel info:
; codeLenInByte = 0
; TotalNumSgprs: 0
; NumVgprs: 0
; ScratchSize: 0
; MemoryBound: 0
; FloatMode: 240
; IeeeMode: 1
; LDSByteSize: 0 bytes/workgroup (compile time only)
; SGPRBlocks: 0
; VGPRBlocks: 0
; NumSGPRsForWavesPerEU: 1
; NumVGPRsForWavesPerEU: 1
; Occupancy: 16
; WaveLimiterHint : 0
; COMPUTE_PGM_RSRC2:SCRATCH_EN: 0
; COMPUTE_PGM_RSRC2:USER_SGPR: 6
; COMPUTE_PGM_RSRC2:TRAP_HANDLER: 0
; COMPUTE_PGM_RSRC2:TGID_X_EN: 1
; COMPUTE_PGM_RSRC2:TGID_Y_EN: 0
; COMPUTE_PGM_RSRC2:TGID_Z_EN: 0
; COMPUTE_PGM_RSRC2:TIDIG_COMP_CNT: 0
	.section	.text._ZN7rocprim17ROCPRIM_400000_NS6detail17trampoline_kernelINS0_14default_configENS1_27scan_by_key_config_selectorIxxEEZZNS1_16scan_by_key_implILNS1_25lookback_scan_determinismE0ELb0ES3_N6thrust23THRUST_200600_302600_NS6detail15normal_iteratorINS9_10device_ptrIxEEEENS9_18transform_iteratorINS9_6negateIxEESE_NS9_11use_defaultESI_EESE_xNS9_4plusIvEENS9_8equal_toIvEExEE10hipError_tPvRmT2_T3_T4_T5_mT6_T7_P12ihipStream_tbENKUlT_T0_E_clISt17integral_constantIbLb0EES14_EEDaSZ_S10_EUlSZ_E_NS1_11comp_targetILNS1_3genE5ELNS1_11target_archE942ELNS1_3gpuE9ELNS1_3repE0EEENS1_30default_config_static_selectorELNS0_4arch9wavefront6targetE0EEEvT1_,"axG",@progbits,_ZN7rocprim17ROCPRIM_400000_NS6detail17trampoline_kernelINS0_14default_configENS1_27scan_by_key_config_selectorIxxEEZZNS1_16scan_by_key_implILNS1_25lookback_scan_determinismE0ELb0ES3_N6thrust23THRUST_200600_302600_NS6detail15normal_iteratorINS9_10device_ptrIxEEEENS9_18transform_iteratorINS9_6negateIxEESE_NS9_11use_defaultESI_EESE_xNS9_4plusIvEENS9_8equal_toIvEExEE10hipError_tPvRmT2_T3_T4_T5_mT6_T7_P12ihipStream_tbENKUlT_T0_E_clISt17integral_constantIbLb0EES14_EEDaSZ_S10_EUlSZ_E_NS1_11comp_targetILNS1_3genE5ELNS1_11target_archE942ELNS1_3gpuE9ELNS1_3repE0EEENS1_30default_config_static_selectorELNS0_4arch9wavefront6targetE0EEEvT1_,comdat
	.protected	_ZN7rocprim17ROCPRIM_400000_NS6detail17trampoline_kernelINS0_14default_configENS1_27scan_by_key_config_selectorIxxEEZZNS1_16scan_by_key_implILNS1_25lookback_scan_determinismE0ELb0ES3_N6thrust23THRUST_200600_302600_NS6detail15normal_iteratorINS9_10device_ptrIxEEEENS9_18transform_iteratorINS9_6negateIxEESE_NS9_11use_defaultESI_EESE_xNS9_4plusIvEENS9_8equal_toIvEExEE10hipError_tPvRmT2_T3_T4_T5_mT6_T7_P12ihipStream_tbENKUlT_T0_E_clISt17integral_constantIbLb0EES14_EEDaSZ_S10_EUlSZ_E_NS1_11comp_targetILNS1_3genE5ELNS1_11target_archE942ELNS1_3gpuE9ELNS1_3repE0EEENS1_30default_config_static_selectorELNS0_4arch9wavefront6targetE0EEEvT1_ ; -- Begin function _ZN7rocprim17ROCPRIM_400000_NS6detail17trampoline_kernelINS0_14default_configENS1_27scan_by_key_config_selectorIxxEEZZNS1_16scan_by_key_implILNS1_25lookback_scan_determinismE0ELb0ES3_N6thrust23THRUST_200600_302600_NS6detail15normal_iteratorINS9_10device_ptrIxEEEENS9_18transform_iteratorINS9_6negateIxEESE_NS9_11use_defaultESI_EESE_xNS9_4plusIvEENS9_8equal_toIvEExEE10hipError_tPvRmT2_T3_T4_T5_mT6_T7_P12ihipStream_tbENKUlT_T0_E_clISt17integral_constantIbLb0EES14_EEDaSZ_S10_EUlSZ_E_NS1_11comp_targetILNS1_3genE5ELNS1_11target_archE942ELNS1_3gpuE9ELNS1_3repE0EEENS1_30default_config_static_selectorELNS0_4arch9wavefront6targetE0EEEvT1_
	.globl	_ZN7rocprim17ROCPRIM_400000_NS6detail17trampoline_kernelINS0_14default_configENS1_27scan_by_key_config_selectorIxxEEZZNS1_16scan_by_key_implILNS1_25lookback_scan_determinismE0ELb0ES3_N6thrust23THRUST_200600_302600_NS6detail15normal_iteratorINS9_10device_ptrIxEEEENS9_18transform_iteratorINS9_6negateIxEESE_NS9_11use_defaultESI_EESE_xNS9_4plusIvEENS9_8equal_toIvEExEE10hipError_tPvRmT2_T3_T4_T5_mT6_T7_P12ihipStream_tbENKUlT_T0_E_clISt17integral_constantIbLb0EES14_EEDaSZ_S10_EUlSZ_E_NS1_11comp_targetILNS1_3genE5ELNS1_11target_archE942ELNS1_3gpuE9ELNS1_3repE0EEENS1_30default_config_static_selectorELNS0_4arch9wavefront6targetE0EEEvT1_
	.p2align	8
	.type	_ZN7rocprim17ROCPRIM_400000_NS6detail17trampoline_kernelINS0_14default_configENS1_27scan_by_key_config_selectorIxxEEZZNS1_16scan_by_key_implILNS1_25lookback_scan_determinismE0ELb0ES3_N6thrust23THRUST_200600_302600_NS6detail15normal_iteratorINS9_10device_ptrIxEEEENS9_18transform_iteratorINS9_6negateIxEESE_NS9_11use_defaultESI_EESE_xNS9_4plusIvEENS9_8equal_toIvEExEE10hipError_tPvRmT2_T3_T4_T5_mT6_T7_P12ihipStream_tbENKUlT_T0_E_clISt17integral_constantIbLb0EES14_EEDaSZ_S10_EUlSZ_E_NS1_11comp_targetILNS1_3genE5ELNS1_11target_archE942ELNS1_3gpuE9ELNS1_3repE0EEENS1_30default_config_static_selectorELNS0_4arch9wavefront6targetE0EEEvT1_,@function
_ZN7rocprim17ROCPRIM_400000_NS6detail17trampoline_kernelINS0_14default_configENS1_27scan_by_key_config_selectorIxxEEZZNS1_16scan_by_key_implILNS1_25lookback_scan_determinismE0ELb0ES3_N6thrust23THRUST_200600_302600_NS6detail15normal_iteratorINS9_10device_ptrIxEEEENS9_18transform_iteratorINS9_6negateIxEESE_NS9_11use_defaultESI_EESE_xNS9_4plusIvEENS9_8equal_toIvEExEE10hipError_tPvRmT2_T3_T4_T5_mT6_T7_P12ihipStream_tbENKUlT_T0_E_clISt17integral_constantIbLb0EES14_EEDaSZ_S10_EUlSZ_E_NS1_11comp_targetILNS1_3genE5ELNS1_11target_archE942ELNS1_3gpuE9ELNS1_3repE0EEENS1_30default_config_static_selectorELNS0_4arch9wavefront6targetE0EEEvT1_: ; @_ZN7rocprim17ROCPRIM_400000_NS6detail17trampoline_kernelINS0_14default_configENS1_27scan_by_key_config_selectorIxxEEZZNS1_16scan_by_key_implILNS1_25lookback_scan_determinismE0ELb0ES3_N6thrust23THRUST_200600_302600_NS6detail15normal_iteratorINS9_10device_ptrIxEEEENS9_18transform_iteratorINS9_6negateIxEESE_NS9_11use_defaultESI_EESE_xNS9_4plusIvEENS9_8equal_toIvEExEE10hipError_tPvRmT2_T3_T4_T5_mT6_T7_P12ihipStream_tbENKUlT_T0_E_clISt17integral_constantIbLb0EES14_EEDaSZ_S10_EUlSZ_E_NS1_11comp_targetILNS1_3genE5ELNS1_11target_archE942ELNS1_3gpuE9ELNS1_3repE0EEENS1_30default_config_static_selectorELNS0_4arch9wavefront6targetE0EEEvT1_
; %bb.0:
	.section	.rodata,"a",@progbits
	.p2align	6, 0x0
	.amdhsa_kernel _ZN7rocprim17ROCPRIM_400000_NS6detail17trampoline_kernelINS0_14default_configENS1_27scan_by_key_config_selectorIxxEEZZNS1_16scan_by_key_implILNS1_25lookback_scan_determinismE0ELb0ES3_N6thrust23THRUST_200600_302600_NS6detail15normal_iteratorINS9_10device_ptrIxEEEENS9_18transform_iteratorINS9_6negateIxEESE_NS9_11use_defaultESI_EESE_xNS9_4plusIvEENS9_8equal_toIvEExEE10hipError_tPvRmT2_T3_T4_T5_mT6_T7_P12ihipStream_tbENKUlT_T0_E_clISt17integral_constantIbLb0EES14_EEDaSZ_S10_EUlSZ_E_NS1_11comp_targetILNS1_3genE5ELNS1_11target_archE942ELNS1_3gpuE9ELNS1_3repE0EEENS1_30default_config_static_selectorELNS0_4arch9wavefront6targetE0EEEvT1_
		.amdhsa_group_segment_fixed_size 0
		.amdhsa_private_segment_fixed_size 0
		.amdhsa_kernarg_size 144
		.amdhsa_user_sgpr_count 6
		.amdhsa_user_sgpr_private_segment_buffer 1
		.amdhsa_user_sgpr_dispatch_ptr 0
		.amdhsa_user_sgpr_queue_ptr 0
		.amdhsa_user_sgpr_kernarg_segment_ptr 1
		.amdhsa_user_sgpr_dispatch_id 0
		.amdhsa_user_sgpr_flat_scratch_init 0
		.amdhsa_user_sgpr_private_segment_size 0
		.amdhsa_wavefront_size32 1
		.amdhsa_uses_dynamic_stack 0
		.amdhsa_system_sgpr_private_segment_wavefront_offset 0
		.amdhsa_system_sgpr_workgroup_id_x 1
		.amdhsa_system_sgpr_workgroup_id_y 0
		.amdhsa_system_sgpr_workgroup_id_z 0
		.amdhsa_system_sgpr_workgroup_info 0
		.amdhsa_system_vgpr_workitem_id 0
		.amdhsa_next_free_vgpr 1
		.amdhsa_next_free_sgpr 1
		.amdhsa_reserve_vcc 0
		.amdhsa_reserve_flat_scratch 0
		.amdhsa_float_round_mode_32 0
		.amdhsa_float_round_mode_16_64 0
		.amdhsa_float_denorm_mode_32 3
		.amdhsa_float_denorm_mode_16_64 3
		.amdhsa_dx10_clamp 1
		.amdhsa_ieee_mode 1
		.amdhsa_fp16_overflow 0
		.amdhsa_workgroup_processor_mode 1
		.amdhsa_memory_ordered 1
		.amdhsa_forward_progress 1
		.amdhsa_shared_vgpr_count 0
		.amdhsa_exception_fp_ieee_invalid_op 0
		.amdhsa_exception_fp_denorm_src 0
		.amdhsa_exception_fp_ieee_div_zero 0
		.amdhsa_exception_fp_ieee_overflow 0
		.amdhsa_exception_fp_ieee_underflow 0
		.amdhsa_exception_fp_ieee_inexact 0
		.amdhsa_exception_int_div_zero 0
	.end_amdhsa_kernel
	.section	.text._ZN7rocprim17ROCPRIM_400000_NS6detail17trampoline_kernelINS0_14default_configENS1_27scan_by_key_config_selectorIxxEEZZNS1_16scan_by_key_implILNS1_25lookback_scan_determinismE0ELb0ES3_N6thrust23THRUST_200600_302600_NS6detail15normal_iteratorINS9_10device_ptrIxEEEENS9_18transform_iteratorINS9_6negateIxEESE_NS9_11use_defaultESI_EESE_xNS9_4plusIvEENS9_8equal_toIvEExEE10hipError_tPvRmT2_T3_T4_T5_mT6_T7_P12ihipStream_tbENKUlT_T0_E_clISt17integral_constantIbLb0EES14_EEDaSZ_S10_EUlSZ_E_NS1_11comp_targetILNS1_3genE5ELNS1_11target_archE942ELNS1_3gpuE9ELNS1_3repE0EEENS1_30default_config_static_selectorELNS0_4arch9wavefront6targetE0EEEvT1_,"axG",@progbits,_ZN7rocprim17ROCPRIM_400000_NS6detail17trampoline_kernelINS0_14default_configENS1_27scan_by_key_config_selectorIxxEEZZNS1_16scan_by_key_implILNS1_25lookback_scan_determinismE0ELb0ES3_N6thrust23THRUST_200600_302600_NS6detail15normal_iteratorINS9_10device_ptrIxEEEENS9_18transform_iteratorINS9_6negateIxEESE_NS9_11use_defaultESI_EESE_xNS9_4plusIvEENS9_8equal_toIvEExEE10hipError_tPvRmT2_T3_T4_T5_mT6_T7_P12ihipStream_tbENKUlT_T0_E_clISt17integral_constantIbLb0EES14_EEDaSZ_S10_EUlSZ_E_NS1_11comp_targetILNS1_3genE5ELNS1_11target_archE942ELNS1_3gpuE9ELNS1_3repE0EEENS1_30default_config_static_selectorELNS0_4arch9wavefront6targetE0EEEvT1_,comdat
.Lfunc_end895:
	.size	_ZN7rocprim17ROCPRIM_400000_NS6detail17trampoline_kernelINS0_14default_configENS1_27scan_by_key_config_selectorIxxEEZZNS1_16scan_by_key_implILNS1_25lookback_scan_determinismE0ELb0ES3_N6thrust23THRUST_200600_302600_NS6detail15normal_iteratorINS9_10device_ptrIxEEEENS9_18transform_iteratorINS9_6negateIxEESE_NS9_11use_defaultESI_EESE_xNS9_4plusIvEENS9_8equal_toIvEExEE10hipError_tPvRmT2_T3_T4_T5_mT6_T7_P12ihipStream_tbENKUlT_T0_E_clISt17integral_constantIbLb0EES14_EEDaSZ_S10_EUlSZ_E_NS1_11comp_targetILNS1_3genE5ELNS1_11target_archE942ELNS1_3gpuE9ELNS1_3repE0EEENS1_30default_config_static_selectorELNS0_4arch9wavefront6targetE0EEEvT1_, .Lfunc_end895-_ZN7rocprim17ROCPRIM_400000_NS6detail17trampoline_kernelINS0_14default_configENS1_27scan_by_key_config_selectorIxxEEZZNS1_16scan_by_key_implILNS1_25lookback_scan_determinismE0ELb0ES3_N6thrust23THRUST_200600_302600_NS6detail15normal_iteratorINS9_10device_ptrIxEEEENS9_18transform_iteratorINS9_6negateIxEESE_NS9_11use_defaultESI_EESE_xNS9_4plusIvEENS9_8equal_toIvEExEE10hipError_tPvRmT2_T3_T4_T5_mT6_T7_P12ihipStream_tbENKUlT_T0_E_clISt17integral_constantIbLb0EES14_EEDaSZ_S10_EUlSZ_E_NS1_11comp_targetILNS1_3genE5ELNS1_11target_archE942ELNS1_3gpuE9ELNS1_3repE0EEENS1_30default_config_static_selectorELNS0_4arch9wavefront6targetE0EEEvT1_
                                        ; -- End function
	.set _ZN7rocprim17ROCPRIM_400000_NS6detail17trampoline_kernelINS0_14default_configENS1_27scan_by_key_config_selectorIxxEEZZNS1_16scan_by_key_implILNS1_25lookback_scan_determinismE0ELb0ES3_N6thrust23THRUST_200600_302600_NS6detail15normal_iteratorINS9_10device_ptrIxEEEENS9_18transform_iteratorINS9_6negateIxEESE_NS9_11use_defaultESI_EESE_xNS9_4plusIvEENS9_8equal_toIvEExEE10hipError_tPvRmT2_T3_T4_T5_mT6_T7_P12ihipStream_tbENKUlT_T0_E_clISt17integral_constantIbLb0EES14_EEDaSZ_S10_EUlSZ_E_NS1_11comp_targetILNS1_3genE5ELNS1_11target_archE942ELNS1_3gpuE9ELNS1_3repE0EEENS1_30default_config_static_selectorELNS0_4arch9wavefront6targetE0EEEvT1_.num_vgpr, 0
	.set _ZN7rocprim17ROCPRIM_400000_NS6detail17trampoline_kernelINS0_14default_configENS1_27scan_by_key_config_selectorIxxEEZZNS1_16scan_by_key_implILNS1_25lookback_scan_determinismE0ELb0ES3_N6thrust23THRUST_200600_302600_NS6detail15normal_iteratorINS9_10device_ptrIxEEEENS9_18transform_iteratorINS9_6negateIxEESE_NS9_11use_defaultESI_EESE_xNS9_4plusIvEENS9_8equal_toIvEExEE10hipError_tPvRmT2_T3_T4_T5_mT6_T7_P12ihipStream_tbENKUlT_T0_E_clISt17integral_constantIbLb0EES14_EEDaSZ_S10_EUlSZ_E_NS1_11comp_targetILNS1_3genE5ELNS1_11target_archE942ELNS1_3gpuE9ELNS1_3repE0EEENS1_30default_config_static_selectorELNS0_4arch9wavefront6targetE0EEEvT1_.num_agpr, 0
	.set _ZN7rocprim17ROCPRIM_400000_NS6detail17trampoline_kernelINS0_14default_configENS1_27scan_by_key_config_selectorIxxEEZZNS1_16scan_by_key_implILNS1_25lookback_scan_determinismE0ELb0ES3_N6thrust23THRUST_200600_302600_NS6detail15normal_iteratorINS9_10device_ptrIxEEEENS9_18transform_iteratorINS9_6negateIxEESE_NS9_11use_defaultESI_EESE_xNS9_4plusIvEENS9_8equal_toIvEExEE10hipError_tPvRmT2_T3_T4_T5_mT6_T7_P12ihipStream_tbENKUlT_T0_E_clISt17integral_constantIbLb0EES14_EEDaSZ_S10_EUlSZ_E_NS1_11comp_targetILNS1_3genE5ELNS1_11target_archE942ELNS1_3gpuE9ELNS1_3repE0EEENS1_30default_config_static_selectorELNS0_4arch9wavefront6targetE0EEEvT1_.numbered_sgpr, 0
	.set _ZN7rocprim17ROCPRIM_400000_NS6detail17trampoline_kernelINS0_14default_configENS1_27scan_by_key_config_selectorIxxEEZZNS1_16scan_by_key_implILNS1_25lookback_scan_determinismE0ELb0ES3_N6thrust23THRUST_200600_302600_NS6detail15normal_iteratorINS9_10device_ptrIxEEEENS9_18transform_iteratorINS9_6negateIxEESE_NS9_11use_defaultESI_EESE_xNS9_4plusIvEENS9_8equal_toIvEExEE10hipError_tPvRmT2_T3_T4_T5_mT6_T7_P12ihipStream_tbENKUlT_T0_E_clISt17integral_constantIbLb0EES14_EEDaSZ_S10_EUlSZ_E_NS1_11comp_targetILNS1_3genE5ELNS1_11target_archE942ELNS1_3gpuE9ELNS1_3repE0EEENS1_30default_config_static_selectorELNS0_4arch9wavefront6targetE0EEEvT1_.num_named_barrier, 0
	.set _ZN7rocprim17ROCPRIM_400000_NS6detail17trampoline_kernelINS0_14default_configENS1_27scan_by_key_config_selectorIxxEEZZNS1_16scan_by_key_implILNS1_25lookback_scan_determinismE0ELb0ES3_N6thrust23THRUST_200600_302600_NS6detail15normal_iteratorINS9_10device_ptrIxEEEENS9_18transform_iteratorINS9_6negateIxEESE_NS9_11use_defaultESI_EESE_xNS9_4plusIvEENS9_8equal_toIvEExEE10hipError_tPvRmT2_T3_T4_T5_mT6_T7_P12ihipStream_tbENKUlT_T0_E_clISt17integral_constantIbLb0EES14_EEDaSZ_S10_EUlSZ_E_NS1_11comp_targetILNS1_3genE5ELNS1_11target_archE942ELNS1_3gpuE9ELNS1_3repE0EEENS1_30default_config_static_selectorELNS0_4arch9wavefront6targetE0EEEvT1_.private_seg_size, 0
	.set _ZN7rocprim17ROCPRIM_400000_NS6detail17trampoline_kernelINS0_14default_configENS1_27scan_by_key_config_selectorIxxEEZZNS1_16scan_by_key_implILNS1_25lookback_scan_determinismE0ELb0ES3_N6thrust23THRUST_200600_302600_NS6detail15normal_iteratorINS9_10device_ptrIxEEEENS9_18transform_iteratorINS9_6negateIxEESE_NS9_11use_defaultESI_EESE_xNS9_4plusIvEENS9_8equal_toIvEExEE10hipError_tPvRmT2_T3_T4_T5_mT6_T7_P12ihipStream_tbENKUlT_T0_E_clISt17integral_constantIbLb0EES14_EEDaSZ_S10_EUlSZ_E_NS1_11comp_targetILNS1_3genE5ELNS1_11target_archE942ELNS1_3gpuE9ELNS1_3repE0EEENS1_30default_config_static_selectorELNS0_4arch9wavefront6targetE0EEEvT1_.uses_vcc, 0
	.set _ZN7rocprim17ROCPRIM_400000_NS6detail17trampoline_kernelINS0_14default_configENS1_27scan_by_key_config_selectorIxxEEZZNS1_16scan_by_key_implILNS1_25lookback_scan_determinismE0ELb0ES3_N6thrust23THRUST_200600_302600_NS6detail15normal_iteratorINS9_10device_ptrIxEEEENS9_18transform_iteratorINS9_6negateIxEESE_NS9_11use_defaultESI_EESE_xNS9_4plusIvEENS9_8equal_toIvEExEE10hipError_tPvRmT2_T3_T4_T5_mT6_T7_P12ihipStream_tbENKUlT_T0_E_clISt17integral_constantIbLb0EES14_EEDaSZ_S10_EUlSZ_E_NS1_11comp_targetILNS1_3genE5ELNS1_11target_archE942ELNS1_3gpuE9ELNS1_3repE0EEENS1_30default_config_static_selectorELNS0_4arch9wavefront6targetE0EEEvT1_.uses_flat_scratch, 0
	.set _ZN7rocprim17ROCPRIM_400000_NS6detail17trampoline_kernelINS0_14default_configENS1_27scan_by_key_config_selectorIxxEEZZNS1_16scan_by_key_implILNS1_25lookback_scan_determinismE0ELb0ES3_N6thrust23THRUST_200600_302600_NS6detail15normal_iteratorINS9_10device_ptrIxEEEENS9_18transform_iteratorINS9_6negateIxEESE_NS9_11use_defaultESI_EESE_xNS9_4plusIvEENS9_8equal_toIvEExEE10hipError_tPvRmT2_T3_T4_T5_mT6_T7_P12ihipStream_tbENKUlT_T0_E_clISt17integral_constantIbLb0EES14_EEDaSZ_S10_EUlSZ_E_NS1_11comp_targetILNS1_3genE5ELNS1_11target_archE942ELNS1_3gpuE9ELNS1_3repE0EEENS1_30default_config_static_selectorELNS0_4arch9wavefront6targetE0EEEvT1_.has_dyn_sized_stack, 0
	.set _ZN7rocprim17ROCPRIM_400000_NS6detail17trampoline_kernelINS0_14default_configENS1_27scan_by_key_config_selectorIxxEEZZNS1_16scan_by_key_implILNS1_25lookback_scan_determinismE0ELb0ES3_N6thrust23THRUST_200600_302600_NS6detail15normal_iteratorINS9_10device_ptrIxEEEENS9_18transform_iteratorINS9_6negateIxEESE_NS9_11use_defaultESI_EESE_xNS9_4plusIvEENS9_8equal_toIvEExEE10hipError_tPvRmT2_T3_T4_T5_mT6_T7_P12ihipStream_tbENKUlT_T0_E_clISt17integral_constantIbLb0EES14_EEDaSZ_S10_EUlSZ_E_NS1_11comp_targetILNS1_3genE5ELNS1_11target_archE942ELNS1_3gpuE9ELNS1_3repE0EEENS1_30default_config_static_selectorELNS0_4arch9wavefront6targetE0EEEvT1_.has_recursion, 0
	.set _ZN7rocprim17ROCPRIM_400000_NS6detail17trampoline_kernelINS0_14default_configENS1_27scan_by_key_config_selectorIxxEEZZNS1_16scan_by_key_implILNS1_25lookback_scan_determinismE0ELb0ES3_N6thrust23THRUST_200600_302600_NS6detail15normal_iteratorINS9_10device_ptrIxEEEENS9_18transform_iteratorINS9_6negateIxEESE_NS9_11use_defaultESI_EESE_xNS9_4plusIvEENS9_8equal_toIvEExEE10hipError_tPvRmT2_T3_T4_T5_mT6_T7_P12ihipStream_tbENKUlT_T0_E_clISt17integral_constantIbLb0EES14_EEDaSZ_S10_EUlSZ_E_NS1_11comp_targetILNS1_3genE5ELNS1_11target_archE942ELNS1_3gpuE9ELNS1_3repE0EEENS1_30default_config_static_selectorELNS0_4arch9wavefront6targetE0EEEvT1_.has_indirect_call, 0
	.section	.AMDGPU.csdata,"",@progbits
; Kernel info:
; codeLenInByte = 0
; TotalNumSgprs: 0
; NumVgprs: 0
; ScratchSize: 0
; MemoryBound: 0
; FloatMode: 240
; IeeeMode: 1
; LDSByteSize: 0 bytes/workgroup (compile time only)
; SGPRBlocks: 0
; VGPRBlocks: 0
; NumSGPRsForWavesPerEU: 1
; NumVGPRsForWavesPerEU: 1
; Occupancy: 16
; WaveLimiterHint : 0
; COMPUTE_PGM_RSRC2:SCRATCH_EN: 0
; COMPUTE_PGM_RSRC2:USER_SGPR: 6
; COMPUTE_PGM_RSRC2:TRAP_HANDLER: 0
; COMPUTE_PGM_RSRC2:TGID_X_EN: 1
; COMPUTE_PGM_RSRC2:TGID_Y_EN: 0
; COMPUTE_PGM_RSRC2:TGID_Z_EN: 0
; COMPUTE_PGM_RSRC2:TIDIG_COMP_CNT: 0
	.section	.text._ZN7rocprim17ROCPRIM_400000_NS6detail17trampoline_kernelINS0_14default_configENS1_27scan_by_key_config_selectorIxxEEZZNS1_16scan_by_key_implILNS1_25lookback_scan_determinismE0ELb0ES3_N6thrust23THRUST_200600_302600_NS6detail15normal_iteratorINS9_10device_ptrIxEEEENS9_18transform_iteratorINS9_6negateIxEESE_NS9_11use_defaultESI_EESE_xNS9_4plusIvEENS9_8equal_toIvEExEE10hipError_tPvRmT2_T3_T4_T5_mT6_T7_P12ihipStream_tbENKUlT_T0_E_clISt17integral_constantIbLb0EES14_EEDaSZ_S10_EUlSZ_E_NS1_11comp_targetILNS1_3genE4ELNS1_11target_archE910ELNS1_3gpuE8ELNS1_3repE0EEENS1_30default_config_static_selectorELNS0_4arch9wavefront6targetE0EEEvT1_,"axG",@progbits,_ZN7rocprim17ROCPRIM_400000_NS6detail17trampoline_kernelINS0_14default_configENS1_27scan_by_key_config_selectorIxxEEZZNS1_16scan_by_key_implILNS1_25lookback_scan_determinismE0ELb0ES3_N6thrust23THRUST_200600_302600_NS6detail15normal_iteratorINS9_10device_ptrIxEEEENS9_18transform_iteratorINS9_6negateIxEESE_NS9_11use_defaultESI_EESE_xNS9_4plusIvEENS9_8equal_toIvEExEE10hipError_tPvRmT2_T3_T4_T5_mT6_T7_P12ihipStream_tbENKUlT_T0_E_clISt17integral_constantIbLb0EES14_EEDaSZ_S10_EUlSZ_E_NS1_11comp_targetILNS1_3genE4ELNS1_11target_archE910ELNS1_3gpuE8ELNS1_3repE0EEENS1_30default_config_static_selectorELNS0_4arch9wavefront6targetE0EEEvT1_,comdat
	.protected	_ZN7rocprim17ROCPRIM_400000_NS6detail17trampoline_kernelINS0_14default_configENS1_27scan_by_key_config_selectorIxxEEZZNS1_16scan_by_key_implILNS1_25lookback_scan_determinismE0ELb0ES3_N6thrust23THRUST_200600_302600_NS6detail15normal_iteratorINS9_10device_ptrIxEEEENS9_18transform_iteratorINS9_6negateIxEESE_NS9_11use_defaultESI_EESE_xNS9_4plusIvEENS9_8equal_toIvEExEE10hipError_tPvRmT2_T3_T4_T5_mT6_T7_P12ihipStream_tbENKUlT_T0_E_clISt17integral_constantIbLb0EES14_EEDaSZ_S10_EUlSZ_E_NS1_11comp_targetILNS1_3genE4ELNS1_11target_archE910ELNS1_3gpuE8ELNS1_3repE0EEENS1_30default_config_static_selectorELNS0_4arch9wavefront6targetE0EEEvT1_ ; -- Begin function _ZN7rocprim17ROCPRIM_400000_NS6detail17trampoline_kernelINS0_14default_configENS1_27scan_by_key_config_selectorIxxEEZZNS1_16scan_by_key_implILNS1_25lookback_scan_determinismE0ELb0ES3_N6thrust23THRUST_200600_302600_NS6detail15normal_iteratorINS9_10device_ptrIxEEEENS9_18transform_iteratorINS9_6negateIxEESE_NS9_11use_defaultESI_EESE_xNS9_4plusIvEENS9_8equal_toIvEExEE10hipError_tPvRmT2_T3_T4_T5_mT6_T7_P12ihipStream_tbENKUlT_T0_E_clISt17integral_constantIbLb0EES14_EEDaSZ_S10_EUlSZ_E_NS1_11comp_targetILNS1_3genE4ELNS1_11target_archE910ELNS1_3gpuE8ELNS1_3repE0EEENS1_30default_config_static_selectorELNS0_4arch9wavefront6targetE0EEEvT1_
	.globl	_ZN7rocprim17ROCPRIM_400000_NS6detail17trampoline_kernelINS0_14default_configENS1_27scan_by_key_config_selectorIxxEEZZNS1_16scan_by_key_implILNS1_25lookback_scan_determinismE0ELb0ES3_N6thrust23THRUST_200600_302600_NS6detail15normal_iteratorINS9_10device_ptrIxEEEENS9_18transform_iteratorINS9_6negateIxEESE_NS9_11use_defaultESI_EESE_xNS9_4plusIvEENS9_8equal_toIvEExEE10hipError_tPvRmT2_T3_T4_T5_mT6_T7_P12ihipStream_tbENKUlT_T0_E_clISt17integral_constantIbLb0EES14_EEDaSZ_S10_EUlSZ_E_NS1_11comp_targetILNS1_3genE4ELNS1_11target_archE910ELNS1_3gpuE8ELNS1_3repE0EEENS1_30default_config_static_selectorELNS0_4arch9wavefront6targetE0EEEvT1_
	.p2align	8
	.type	_ZN7rocprim17ROCPRIM_400000_NS6detail17trampoline_kernelINS0_14default_configENS1_27scan_by_key_config_selectorIxxEEZZNS1_16scan_by_key_implILNS1_25lookback_scan_determinismE0ELb0ES3_N6thrust23THRUST_200600_302600_NS6detail15normal_iteratorINS9_10device_ptrIxEEEENS9_18transform_iteratorINS9_6negateIxEESE_NS9_11use_defaultESI_EESE_xNS9_4plusIvEENS9_8equal_toIvEExEE10hipError_tPvRmT2_T3_T4_T5_mT6_T7_P12ihipStream_tbENKUlT_T0_E_clISt17integral_constantIbLb0EES14_EEDaSZ_S10_EUlSZ_E_NS1_11comp_targetILNS1_3genE4ELNS1_11target_archE910ELNS1_3gpuE8ELNS1_3repE0EEENS1_30default_config_static_selectorELNS0_4arch9wavefront6targetE0EEEvT1_,@function
_ZN7rocprim17ROCPRIM_400000_NS6detail17trampoline_kernelINS0_14default_configENS1_27scan_by_key_config_selectorIxxEEZZNS1_16scan_by_key_implILNS1_25lookback_scan_determinismE0ELb0ES3_N6thrust23THRUST_200600_302600_NS6detail15normal_iteratorINS9_10device_ptrIxEEEENS9_18transform_iteratorINS9_6negateIxEESE_NS9_11use_defaultESI_EESE_xNS9_4plusIvEENS9_8equal_toIvEExEE10hipError_tPvRmT2_T3_T4_T5_mT6_T7_P12ihipStream_tbENKUlT_T0_E_clISt17integral_constantIbLb0EES14_EEDaSZ_S10_EUlSZ_E_NS1_11comp_targetILNS1_3genE4ELNS1_11target_archE910ELNS1_3gpuE8ELNS1_3repE0EEENS1_30default_config_static_selectorELNS0_4arch9wavefront6targetE0EEEvT1_: ; @_ZN7rocprim17ROCPRIM_400000_NS6detail17trampoline_kernelINS0_14default_configENS1_27scan_by_key_config_selectorIxxEEZZNS1_16scan_by_key_implILNS1_25lookback_scan_determinismE0ELb0ES3_N6thrust23THRUST_200600_302600_NS6detail15normal_iteratorINS9_10device_ptrIxEEEENS9_18transform_iteratorINS9_6negateIxEESE_NS9_11use_defaultESI_EESE_xNS9_4plusIvEENS9_8equal_toIvEExEE10hipError_tPvRmT2_T3_T4_T5_mT6_T7_P12ihipStream_tbENKUlT_T0_E_clISt17integral_constantIbLb0EES14_EEDaSZ_S10_EUlSZ_E_NS1_11comp_targetILNS1_3genE4ELNS1_11target_archE910ELNS1_3gpuE8ELNS1_3repE0EEENS1_30default_config_static_selectorELNS0_4arch9wavefront6targetE0EEEvT1_
; %bb.0:
	.section	.rodata,"a",@progbits
	.p2align	6, 0x0
	.amdhsa_kernel _ZN7rocprim17ROCPRIM_400000_NS6detail17trampoline_kernelINS0_14default_configENS1_27scan_by_key_config_selectorIxxEEZZNS1_16scan_by_key_implILNS1_25lookback_scan_determinismE0ELb0ES3_N6thrust23THRUST_200600_302600_NS6detail15normal_iteratorINS9_10device_ptrIxEEEENS9_18transform_iteratorINS9_6negateIxEESE_NS9_11use_defaultESI_EESE_xNS9_4plusIvEENS9_8equal_toIvEExEE10hipError_tPvRmT2_T3_T4_T5_mT6_T7_P12ihipStream_tbENKUlT_T0_E_clISt17integral_constantIbLb0EES14_EEDaSZ_S10_EUlSZ_E_NS1_11comp_targetILNS1_3genE4ELNS1_11target_archE910ELNS1_3gpuE8ELNS1_3repE0EEENS1_30default_config_static_selectorELNS0_4arch9wavefront6targetE0EEEvT1_
		.amdhsa_group_segment_fixed_size 0
		.amdhsa_private_segment_fixed_size 0
		.amdhsa_kernarg_size 144
		.amdhsa_user_sgpr_count 6
		.amdhsa_user_sgpr_private_segment_buffer 1
		.amdhsa_user_sgpr_dispatch_ptr 0
		.amdhsa_user_sgpr_queue_ptr 0
		.amdhsa_user_sgpr_kernarg_segment_ptr 1
		.amdhsa_user_sgpr_dispatch_id 0
		.amdhsa_user_sgpr_flat_scratch_init 0
		.amdhsa_user_sgpr_private_segment_size 0
		.amdhsa_wavefront_size32 1
		.amdhsa_uses_dynamic_stack 0
		.amdhsa_system_sgpr_private_segment_wavefront_offset 0
		.amdhsa_system_sgpr_workgroup_id_x 1
		.amdhsa_system_sgpr_workgroup_id_y 0
		.amdhsa_system_sgpr_workgroup_id_z 0
		.amdhsa_system_sgpr_workgroup_info 0
		.amdhsa_system_vgpr_workitem_id 0
		.amdhsa_next_free_vgpr 1
		.amdhsa_next_free_sgpr 1
		.amdhsa_reserve_vcc 0
		.amdhsa_reserve_flat_scratch 0
		.amdhsa_float_round_mode_32 0
		.amdhsa_float_round_mode_16_64 0
		.amdhsa_float_denorm_mode_32 3
		.amdhsa_float_denorm_mode_16_64 3
		.amdhsa_dx10_clamp 1
		.amdhsa_ieee_mode 1
		.amdhsa_fp16_overflow 0
		.amdhsa_workgroup_processor_mode 1
		.amdhsa_memory_ordered 1
		.amdhsa_forward_progress 1
		.amdhsa_shared_vgpr_count 0
		.amdhsa_exception_fp_ieee_invalid_op 0
		.amdhsa_exception_fp_denorm_src 0
		.amdhsa_exception_fp_ieee_div_zero 0
		.amdhsa_exception_fp_ieee_overflow 0
		.amdhsa_exception_fp_ieee_underflow 0
		.amdhsa_exception_fp_ieee_inexact 0
		.amdhsa_exception_int_div_zero 0
	.end_amdhsa_kernel
	.section	.text._ZN7rocprim17ROCPRIM_400000_NS6detail17trampoline_kernelINS0_14default_configENS1_27scan_by_key_config_selectorIxxEEZZNS1_16scan_by_key_implILNS1_25lookback_scan_determinismE0ELb0ES3_N6thrust23THRUST_200600_302600_NS6detail15normal_iteratorINS9_10device_ptrIxEEEENS9_18transform_iteratorINS9_6negateIxEESE_NS9_11use_defaultESI_EESE_xNS9_4plusIvEENS9_8equal_toIvEExEE10hipError_tPvRmT2_T3_T4_T5_mT6_T7_P12ihipStream_tbENKUlT_T0_E_clISt17integral_constantIbLb0EES14_EEDaSZ_S10_EUlSZ_E_NS1_11comp_targetILNS1_3genE4ELNS1_11target_archE910ELNS1_3gpuE8ELNS1_3repE0EEENS1_30default_config_static_selectorELNS0_4arch9wavefront6targetE0EEEvT1_,"axG",@progbits,_ZN7rocprim17ROCPRIM_400000_NS6detail17trampoline_kernelINS0_14default_configENS1_27scan_by_key_config_selectorIxxEEZZNS1_16scan_by_key_implILNS1_25lookback_scan_determinismE0ELb0ES3_N6thrust23THRUST_200600_302600_NS6detail15normal_iteratorINS9_10device_ptrIxEEEENS9_18transform_iteratorINS9_6negateIxEESE_NS9_11use_defaultESI_EESE_xNS9_4plusIvEENS9_8equal_toIvEExEE10hipError_tPvRmT2_T3_T4_T5_mT6_T7_P12ihipStream_tbENKUlT_T0_E_clISt17integral_constantIbLb0EES14_EEDaSZ_S10_EUlSZ_E_NS1_11comp_targetILNS1_3genE4ELNS1_11target_archE910ELNS1_3gpuE8ELNS1_3repE0EEENS1_30default_config_static_selectorELNS0_4arch9wavefront6targetE0EEEvT1_,comdat
.Lfunc_end896:
	.size	_ZN7rocprim17ROCPRIM_400000_NS6detail17trampoline_kernelINS0_14default_configENS1_27scan_by_key_config_selectorIxxEEZZNS1_16scan_by_key_implILNS1_25lookback_scan_determinismE0ELb0ES3_N6thrust23THRUST_200600_302600_NS6detail15normal_iteratorINS9_10device_ptrIxEEEENS9_18transform_iteratorINS9_6negateIxEESE_NS9_11use_defaultESI_EESE_xNS9_4plusIvEENS9_8equal_toIvEExEE10hipError_tPvRmT2_T3_T4_T5_mT6_T7_P12ihipStream_tbENKUlT_T0_E_clISt17integral_constantIbLb0EES14_EEDaSZ_S10_EUlSZ_E_NS1_11comp_targetILNS1_3genE4ELNS1_11target_archE910ELNS1_3gpuE8ELNS1_3repE0EEENS1_30default_config_static_selectorELNS0_4arch9wavefront6targetE0EEEvT1_, .Lfunc_end896-_ZN7rocprim17ROCPRIM_400000_NS6detail17trampoline_kernelINS0_14default_configENS1_27scan_by_key_config_selectorIxxEEZZNS1_16scan_by_key_implILNS1_25lookback_scan_determinismE0ELb0ES3_N6thrust23THRUST_200600_302600_NS6detail15normal_iteratorINS9_10device_ptrIxEEEENS9_18transform_iteratorINS9_6negateIxEESE_NS9_11use_defaultESI_EESE_xNS9_4plusIvEENS9_8equal_toIvEExEE10hipError_tPvRmT2_T3_T4_T5_mT6_T7_P12ihipStream_tbENKUlT_T0_E_clISt17integral_constantIbLb0EES14_EEDaSZ_S10_EUlSZ_E_NS1_11comp_targetILNS1_3genE4ELNS1_11target_archE910ELNS1_3gpuE8ELNS1_3repE0EEENS1_30default_config_static_selectorELNS0_4arch9wavefront6targetE0EEEvT1_
                                        ; -- End function
	.set _ZN7rocprim17ROCPRIM_400000_NS6detail17trampoline_kernelINS0_14default_configENS1_27scan_by_key_config_selectorIxxEEZZNS1_16scan_by_key_implILNS1_25lookback_scan_determinismE0ELb0ES3_N6thrust23THRUST_200600_302600_NS6detail15normal_iteratorINS9_10device_ptrIxEEEENS9_18transform_iteratorINS9_6negateIxEESE_NS9_11use_defaultESI_EESE_xNS9_4plusIvEENS9_8equal_toIvEExEE10hipError_tPvRmT2_T3_T4_T5_mT6_T7_P12ihipStream_tbENKUlT_T0_E_clISt17integral_constantIbLb0EES14_EEDaSZ_S10_EUlSZ_E_NS1_11comp_targetILNS1_3genE4ELNS1_11target_archE910ELNS1_3gpuE8ELNS1_3repE0EEENS1_30default_config_static_selectorELNS0_4arch9wavefront6targetE0EEEvT1_.num_vgpr, 0
	.set _ZN7rocprim17ROCPRIM_400000_NS6detail17trampoline_kernelINS0_14default_configENS1_27scan_by_key_config_selectorIxxEEZZNS1_16scan_by_key_implILNS1_25lookback_scan_determinismE0ELb0ES3_N6thrust23THRUST_200600_302600_NS6detail15normal_iteratorINS9_10device_ptrIxEEEENS9_18transform_iteratorINS9_6negateIxEESE_NS9_11use_defaultESI_EESE_xNS9_4plusIvEENS9_8equal_toIvEExEE10hipError_tPvRmT2_T3_T4_T5_mT6_T7_P12ihipStream_tbENKUlT_T0_E_clISt17integral_constantIbLb0EES14_EEDaSZ_S10_EUlSZ_E_NS1_11comp_targetILNS1_3genE4ELNS1_11target_archE910ELNS1_3gpuE8ELNS1_3repE0EEENS1_30default_config_static_selectorELNS0_4arch9wavefront6targetE0EEEvT1_.num_agpr, 0
	.set _ZN7rocprim17ROCPRIM_400000_NS6detail17trampoline_kernelINS0_14default_configENS1_27scan_by_key_config_selectorIxxEEZZNS1_16scan_by_key_implILNS1_25lookback_scan_determinismE0ELb0ES3_N6thrust23THRUST_200600_302600_NS6detail15normal_iteratorINS9_10device_ptrIxEEEENS9_18transform_iteratorINS9_6negateIxEESE_NS9_11use_defaultESI_EESE_xNS9_4plusIvEENS9_8equal_toIvEExEE10hipError_tPvRmT2_T3_T4_T5_mT6_T7_P12ihipStream_tbENKUlT_T0_E_clISt17integral_constantIbLb0EES14_EEDaSZ_S10_EUlSZ_E_NS1_11comp_targetILNS1_3genE4ELNS1_11target_archE910ELNS1_3gpuE8ELNS1_3repE0EEENS1_30default_config_static_selectorELNS0_4arch9wavefront6targetE0EEEvT1_.numbered_sgpr, 0
	.set _ZN7rocprim17ROCPRIM_400000_NS6detail17trampoline_kernelINS0_14default_configENS1_27scan_by_key_config_selectorIxxEEZZNS1_16scan_by_key_implILNS1_25lookback_scan_determinismE0ELb0ES3_N6thrust23THRUST_200600_302600_NS6detail15normal_iteratorINS9_10device_ptrIxEEEENS9_18transform_iteratorINS9_6negateIxEESE_NS9_11use_defaultESI_EESE_xNS9_4plusIvEENS9_8equal_toIvEExEE10hipError_tPvRmT2_T3_T4_T5_mT6_T7_P12ihipStream_tbENKUlT_T0_E_clISt17integral_constantIbLb0EES14_EEDaSZ_S10_EUlSZ_E_NS1_11comp_targetILNS1_3genE4ELNS1_11target_archE910ELNS1_3gpuE8ELNS1_3repE0EEENS1_30default_config_static_selectorELNS0_4arch9wavefront6targetE0EEEvT1_.num_named_barrier, 0
	.set _ZN7rocprim17ROCPRIM_400000_NS6detail17trampoline_kernelINS0_14default_configENS1_27scan_by_key_config_selectorIxxEEZZNS1_16scan_by_key_implILNS1_25lookback_scan_determinismE0ELb0ES3_N6thrust23THRUST_200600_302600_NS6detail15normal_iteratorINS9_10device_ptrIxEEEENS9_18transform_iteratorINS9_6negateIxEESE_NS9_11use_defaultESI_EESE_xNS9_4plusIvEENS9_8equal_toIvEExEE10hipError_tPvRmT2_T3_T4_T5_mT6_T7_P12ihipStream_tbENKUlT_T0_E_clISt17integral_constantIbLb0EES14_EEDaSZ_S10_EUlSZ_E_NS1_11comp_targetILNS1_3genE4ELNS1_11target_archE910ELNS1_3gpuE8ELNS1_3repE0EEENS1_30default_config_static_selectorELNS0_4arch9wavefront6targetE0EEEvT1_.private_seg_size, 0
	.set _ZN7rocprim17ROCPRIM_400000_NS6detail17trampoline_kernelINS0_14default_configENS1_27scan_by_key_config_selectorIxxEEZZNS1_16scan_by_key_implILNS1_25lookback_scan_determinismE0ELb0ES3_N6thrust23THRUST_200600_302600_NS6detail15normal_iteratorINS9_10device_ptrIxEEEENS9_18transform_iteratorINS9_6negateIxEESE_NS9_11use_defaultESI_EESE_xNS9_4plusIvEENS9_8equal_toIvEExEE10hipError_tPvRmT2_T3_T4_T5_mT6_T7_P12ihipStream_tbENKUlT_T0_E_clISt17integral_constantIbLb0EES14_EEDaSZ_S10_EUlSZ_E_NS1_11comp_targetILNS1_3genE4ELNS1_11target_archE910ELNS1_3gpuE8ELNS1_3repE0EEENS1_30default_config_static_selectorELNS0_4arch9wavefront6targetE0EEEvT1_.uses_vcc, 0
	.set _ZN7rocprim17ROCPRIM_400000_NS6detail17trampoline_kernelINS0_14default_configENS1_27scan_by_key_config_selectorIxxEEZZNS1_16scan_by_key_implILNS1_25lookback_scan_determinismE0ELb0ES3_N6thrust23THRUST_200600_302600_NS6detail15normal_iteratorINS9_10device_ptrIxEEEENS9_18transform_iteratorINS9_6negateIxEESE_NS9_11use_defaultESI_EESE_xNS9_4plusIvEENS9_8equal_toIvEExEE10hipError_tPvRmT2_T3_T4_T5_mT6_T7_P12ihipStream_tbENKUlT_T0_E_clISt17integral_constantIbLb0EES14_EEDaSZ_S10_EUlSZ_E_NS1_11comp_targetILNS1_3genE4ELNS1_11target_archE910ELNS1_3gpuE8ELNS1_3repE0EEENS1_30default_config_static_selectorELNS0_4arch9wavefront6targetE0EEEvT1_.uses_flat_scratch, 0
	.set _ZN7rocprim17ROCPRIM_400000_NS6detail17trampoline_kernelINS0_14default_configENS1_27scan_by_key_config_selectorIxxEEZZNS1_16scan_by_key_implILNS1_25lookback_scan_determinismE0ELb0ES3_N6thrust23THRUST_200600_302600_NS6detail15normal_iteratorINS9_10device_ptrIxEEEENS9_18transform_iteratorINS9_6negateIxEESE_NS9_11use_defaultESI_EESE_xNS9_4plusIvEENS9_8equal_toIvEExEE10hipError_tPvRmT2_T3_T4_T5_mT6_T7_P12ihipStream_tbENKUlT_T0_E_clISt17integral_constantIbLb0EES14_EEDaSZ_S10_EUlSZ_E_NS1_11comp_targetILNS1_3genE4ELNS1_11target_archE910ELNS1_3gpuE8ELNS1_3repE0EEENS1_30default_config_static_selectorELNS0_4arch9wavefront6targetE0EEEvT1_.has_dyn_sized_stack, 0
	.set _ZN7rocprim17ROCPRIM_400000_NS6detail17trampoline_kernelINS0_14default_configENS1_27scan_by_key_config_selectorIxxEEZZNS1_16scan_by_key_implILNS1_25lookback_scan_determinismE0ELb0ES3_N6thrust23THRUST_200600_302600_NS6detail15normal_iteratorINS9_10device_ptrIxEEEENS9_18transform_iteratorINS9_6negateIxEESE_NS9_11use_defaultESI_EESE_xNS9_4plusIvEENS9_8equal_toIvEExEE10hipError_tPvRmT2_T3_T4_T5_mT6_T7_P12ihipStream_tbENKUlT_T0_E_clISt17integral_constantIbLb0EES14_EEDaSZ_S10_EUlSZ_E_NS1_11comp_targetILNS1_3genE4ELNS1_11target_archE910ELNS1_3gpuE8ELNS1_3repE0EEENS1_30default_config_static_selectorELNS0_4arch9wavefront6targetE0EEEvT1_.has_recursion, 0
	.set _ZN7rocprim17ROCPRIM_400000_NS6detail17trampoline_kernelINS0_14default_configENS1_27scan_by_key_config_selectorIxxEEZZNS1_16scan_by_key_implILNS1_25lookback_scan_determinismE0ELb0ES3_N6thrust23THRUST_200600_302600_NS6detail15normal_iteratorINS9_10device_ptrIxEEEENS9_18transform_iteratorINS9_6negateIxEESE_NS9_11use_defaultESI_EESE_xNS9_4plusIvEENS9_8equal_toIvEExEE10hipError_tPvRmT2_T3_T4_T5_mT6_T7_P12ihipStream_tbENKUlT_T0_E_clISt17integral_constantIbLb0EES14_EEDaSZ_S10_EUlSZ_E_NS1_11comp_targetILNS1_3genE4ELNS1_11target_archE910ELNS1_3gpuE8ELNS1_3repE0EEENS1_30default_config_static_selectorELNS0_4arch9wavefront6targetE0EEEvT1_.has_indirect_call, 0
	.section	.AMDGPU.csdata,"",@progbits
; Kernel info:
; codeLenInByte = 0
; TotalNumSgprs: 0
; NumVgprs: 0
; ScratchSize: 0
; MemoryBound: 0
; FloatMode: 240
; IeeeMode: 1
; LDSByteSize: 0 bytes/workgroup (compile time only)
; SGPRBlocks: 0
; VGPRBlocks: 0
; NumSGPRsForWavesPerEU: 1
; NumVGPRsForWavesPerEU: 1
; Occupancy: 16
; WaveLimiterHint : 0
; COMPUTE_PGM_RSRC2:SCRATCH_EN: 0
; COMPUTE_PGM_RSRC2:USER_SGPR: 6
; COMPUTE_PGM_RSRC2:TRAP_HANDLER: 0
; COMPUTE_PGM_RSRC2:TGID_X_EN: 1
; COMPUTE_PGM_RSRC2:TGID_Y_EN: 0
; COMPUTE_PGM_RSRC2:TGID_Z_EN: 0
; COMPUTE_PGM_RSRC2:TIDIG_COMP_CNT: 0
	.section	.text._ZN7rocprim17ROCPRIM_400000_NS6detail17trampoline_kernelINS0_14default_configENS1_27scan_by_key_config_selectorIxxEEZZNS1_16scan_by_key_implILNS1_25lookback_scan_determinismE0ELb0ES3_N6thrust23THRUST_200600_302600_NS6detail15normal_iteratorINS9_10device_ptrIxEEEENS9_18transform_iteratorINS9_6negateIxEESE_NS9_11use_defaultESI_EESE_xNS9_4plusIvEENS9_8equal_toIvEExEE10hipError_tPvRmT2_T3_T4_T5_mT6_T7_P12ihipStream_tbENKUlT_T0_E_clISt17integral_constantIbLb0EES14_EEDaSZ_S10_EUlSZ_E_NS1_11comp_targetILNS1_3genE3ELNS1_11target_archE908ELNS1_3gpuE7ELNS1_3repE0EEENS1_30default_config_static_selectorELNS0_4arch9wavefront6targetE0EEEvT1_,"axG",@progbits,_ZN7rocprim17ROCPRIM_400000_NS6detail17trampoline_kernelINS0_14default_configENS1_27scan_by_key_config_selectorIxxEEZZNS1_16scan_by_key_implILNS1_25lookback_scan_determinismE0ELb0ES3_N6thrust23THRUST_200600_302600_NS6detail15normal_iteratorINS9_10device_ptrIxEEEENS9_18transform_iteratorINS9_6negateIxEESE_NS9_11use_defaultESI_EESE_xNS9_4plusIvEENS9_8equal_toIvEExEE10hipError_tPvRmT2_T3_T4_T5_mT6_T7_P12ihipStream_tbENKUlT_T0_E_clISt17integral_constantIbLb0EES14_EEDaSZ_S10_EUlSZ_E_NS1_11comp_targetILNS1_3genE3ELNS1_11target_archE908ELNS1_3gpuE7ELNS1_3repE0EEENS1_30default_config_static_selectorELNS0_4arch9wavefront6targetE0EEEvT1_,comdat
	.protected	_ZN7rocprim17ROCPRIM_400000_NS6detail17trampoline_kernelINS0_14default_configENS1_27scan_by_key_config_selectorIxxEEZZNS1_16scan_by_key_implILNS1_25lookback_scan_determinismE0ELb0ES3_N6thrust23THRUST_200600_302600_NS6detail15normal_iteratorINS9_10device_ptrIxEEEENS9_18transform_iteratorINS9_6negateIxEESE_NS9_11use_defaultESI_EESE_xNS9_4plusIvEENS9_8equal_toIvEExEE10hipError_tPvRmT2_T3_T4_T5_mT6_T7_P12ihipStream_tbENKUlT_T0_E_clISt17integral_constantIbLb0EES14_EEDaSZ_S10_EUlSZ_E_NS1_11comp_targetILNS1_3genE3ELNS1_11target_archE908ELNS1_3gpuE7ELNS1_3repE0EEENS1_30default_config_static_selectorELNS0_4arch9wavefront6targetE0EEEvT1_ ; -- Begin function _ZN7rocprim17ROCPRIM_400000_NS6detail17trampoline_kernelINS0_14default_configENS1_27scan_by_key_config_selectorIxxEEZZNS1_16scan_by_key_implILNS1_25lookback_scan_determinismE0ELb0ES3_N6thrust23THRUST_200600_302600_NS6detail15normal_iteratorINS9_10device_ptrIxEEEENS9_18transform_iteratorINS9_6negateIxEESE_NS9_11use_defaultESI_EESE_xNS9_4plusIvEENS9_8equal_toIvEExEE10hipError_tPvRmT2_T3_T4_T5_mT6_T7_P12ihipStream_tbENKUlT_T0_E_clISt17integral_constantIbLb0EES14_EEDaSZ_S10_EUlSZ_E_NS1_11comp_targetILNS1_3genE3ELNS1_11target_archE908ELNS1_3gpuE7ELNS1_3repE0EEENS1_30default_config_static_selectorELNS0_4arch9wavefront6targetE0EEEvT1_
	.globl	_ZN7rocprim17ROCPRIM_400000_NS6detail17trampoline_kernelINS0_14default_configENS1_27scan_by_key_config_selectorIxxEEZZNS1_16scan_by_key_implILNS1_25lookback_scan_determinismE0ELb0ES3_N6thrust23THRUST_200600_302600_NS6detail15normal_iteratorINS9_10device_ptrIxEEEENS9_18transform_iteratorINS9_6negateIxEESE_NS9_11use_defaultESI_EESE_xNS9_4plusIvEENS9_8equal_toIvEExEE10hipError_tPvRmT2_T3_T4_T5_mT6_T7_P12ihipStream_tbENKUlT_T0_E_clISt17integral_constantIbLb0EES14_EEDaSZ_S10_EUlSZ_E_NS1_11comp_targetILNS1_3genE3ELNS1_11target_archE908ELNS1_3gpuE7ELNS1_3repE0EEENS1_30default_config_static_selectorELNS0_4arch9wavefront6targetE0EEEvT1_
	.p2align	8
	.type	_ZN7rocprim17ROCPRIM_400000_NS6detail17trampoline_kernelINS0_14default_configENS1_27scan_by_key_config_selectorIxxEEZZNS1_16scan_by_key_implILNS1_25lookback_scan_determinismE0ELb0ES3_N6thrust23THRUST_200600_302600_NS6detail15normal_iteratorINS9_10device_ptrIxEEEENS9_18transform_iteratorINS9_6negateIxEESE_NS9_11use_defaultESI_EESE_xNS9_4plusIvEENS9_8equal_toIvEExEE10hipError_tPvRmT2_T3_T4_T5_mT6_T7_P12ihipStream_tbENKUlT_T0_E_clISt17integral_constantIbLb0EES14_EEDaSZ_S10_EUlSZ_E_NS1_11comp_targetILNS1_3genE3ELNS1_11target_archE908ELNS1_3gpuE7ELNS1_3repE0EEENS1_30default_config_static_selectorELNS0_4arch9wavefront6targetE0EEEvT1_,@function
_ZN7rocprim17ROCPRIM_400000_NS6detail17trampoline_kernelINS0_14default_configENS1_27scan_by_key_config_selectorIxxEEZZNS1_16scan_by_key_implILNS1_25lookback_scan_determinismE0ELb0ES3_N6thrust23THRUST_200600_302600_NS6detail15normal_iteratorINS9_10device_ptrIxEEEENS9_18transform_iteratorINS9_6negateIxEESE_NS9_11use_defaultESI_EESE_xNS9_4plusIvEENS9_8equal_toIvEExEE10hipError_tPvRmT2_T3_T4_T5_mT6_T7_P12ihipStream_tbENKUlT_T0_E_clISt17integral_constantIbLb0EES14_EEDaSZ_S10_EUlSZ_E_NS1_11comp_targetILNS1_3genE3ELNS1_11target_archE908ELNS1_3gpuE7ELNS1_3repE0EEENS1_30default_config_static_selectorELNS0_4arch9wavefront6targetE0EEEvT1_: ; @_ZN7rocprim17ROCPRIM_400000_NS6detail17trampoline_kernelINS0_14default_configENS1_27scan_by_key_config_selectorIxxEEZZNS1_16scan_by_key_implILNS1_25lookback_scan_determinismE0ELb0ES3_N6thrust23THRUST_200600_302600_NS6detail15normal_iteratorINS9_10device_ptrIxEEEENS9_18transform_iteratorINS9_6negateIxEESE_NS9_11use_defaultESI_EESE_xNS9_4plusIvEENS9_8equal_toIvEExEE10hipError_tPvRmT2_T3_T4_T5_mT6_T7_P12ihipStream_tbENKUlT_T0_E_clISt17integral_constantIbLb0EES14_EEDaSZ_S10_EUlSZ_E_NS1_11comp_targetILNS1_3genE3ELNS1_11target_archE908ELNS1_3gpuE7ELNS1_3repE0EEENS1_30default_config_static_selectorELNS0_4arch9wavefront6targetE0EEEvT1_
; %bb.0:
	.section	.rodata,"a",@progbits
	.p2align	6, 0x0
	.amdhsa_kernel _ZN7rocprim17ROCPRIM_400000_NS6detail17trampoline_kernelINS0_14default_configENS1_27scan_by_key_config_selectorIxxEEZZNS1_16scan_by_key_implILNS1_25lookback_scan_determinismE0ELb0ES3_N6thrust23THRUST_200600_302600_NS6detail15normal_iteratorINS9_10device_ptrIxEEEENS9_18transform_iteratorINS9_6negateIxEESE_NS9_11use_defaultESI_EESE_xNS9_4plusIvEENS9_8equal_toIvEExEE10hipError_tPvRmT2_T3_T4_T5_mT6_T7_P12ihipStream_tbENKUlT_T0_E_clISt17integral_constantIbLb0EES14_EEDaSZ_S10_EUlSZ_E_NS1_11comp_targetILNS1_3genE3ELNS1_11target_archE908ELNS1_3gpuE7ELNS1_3repE0EEENS1_30default_config_static_selectorELNS0_4arch9wavefront6targetE0EEEvT1_
		.amdhsa_group_segment_fixed_size 0
		.amdhsa_private_segment_fixed_size 0
		.amdhsa_kernarg_size 144
		.amdhsa_user_sgpr_count 6
		.amdhsa_user_sgpr_private_segment_buffer 1
		.amdhsa_user_sgpr_dispatch_ptr 0
		.amdhsa_user_sgpr_queue_ptr 0
		.amdhsa_user_sgpr_kernarg_segment_ptr 1
		.amdhsa_user_sgpr_dispatch_id 0
		.amdhsa_user_sgpr_flat_scratch_init 0
		.amdhsa_user_sgpr_private_segment_size 0
		.amdhsa_wavefront_size32 1
		.amdhsa_uses_dynamic_stack 0
		.amdhsa_system_sgpr_private_segment_wavefront_offset 0
		.amdhsa_system_sgpr_workgroup_id_x 1
		.amdhsa_system_sgpr_workgroup_id_y 0
		.amdhsa_system_sgpr_workgroup_id_z 0
		.amdhsa_system_sgpr_workgroup_info 0
		.amdhsa_system_vgpr_workitem_id 0
		.amdhsa_next_free_vgpr 1
		.amdhsa_next_free_sgpr 1
		.amdhsa_reserve_vcc 0
		.amdhsa_reserve_flat_scratch 0
		.amdhsa_float_round_mode_32 0
		.amdhsa_float_round_mode_16_64 0
		.amdhsa_float_denorm_mode_32 3
		.amdhsa_float_denorm_mode_16_64 3
		.amdhsa_dx10_clamp 1
		.amdhsa_ieee_mode 1
		.amdhsa_fp16_overflow 0
		.amdhsa_workgroup_processor_mode 1
		.amdhsa_memory_ordered 1
		.amdhsa_forward_progress 1
		.amdhsa_shared_vgpr_count 0
		.amdhsa_exception_fp_ieee_invalid_op 0
		.amdhsa_exception_fp_denorm_src 0
		.amdhsa_exception_fp_ieee_div_zero 0
		.amdhsa_exception_fp_ieee_overflow 0
		.amdhsa_exception_fp_ieee_underflow 0
		.amdhsa_exception_fp_ieee_inexact 0
		.amdhsa_exception_int_div_zero 0
	.end_amdhsa_kernel
	.section	.text._ZN7rocprim17ROCPRIM_400000_NS6detail17trampoline_kernelINS0_14default_configENS1_27scan_by_key_config_selectorIxxEEZZNS1_16scan_by_key_implILNS1_25lookback_scan_determinismE0ELb0ES3_N6thrust23THRUST_200600_302600_NS6detail15normal_iteratorINS9_10device_ptrIxEEEENS9_18transform_iteratorINS9_6negateIxEESE_NS9_11use_defaultESI_EESE_xNS9_4plusIvEENS9_8equal_toIvEExEE10hipError_tPvRmT2_T3_T4_T5_mT6_T7_P12ihipStream_tbENKUlT_T0_E_clISt17integral_constantIbLb0EES14_EEDaSZ_S10_EUlSZ_E_NS1_11comp_targetILNS1_3genE3ELNS1_11target_archE908ELNS1_3gpuE7ELNS1_3repE0EEENS1_30default_config_static_selectorELNS0_4arch9wavefront6targetE0EEEvT1_,"axG",@progbits,_ZN7rocprim17ROCPRIM_400000_NS6detail17trampoline_kernelINS0_14default_configENS1_27scan_by_key_config_selectorIxxEEZZNS1_16scan_by_key_implILNS1_25lookback_scan_determinismE0ELb0ES3_N6thrust23THRUST_200600_302600_NS6detail15normal_iteratorINS9_10device_ptrIxEEEENS9_18transform_iteratorINS9_6negateIxEESE_NS9_11use_defaultESI_EESE_xNS9_4plusIvEENS9_8equal_toIvEExEE10hipError_tPvRmT2_T3_T4_T5_mT6_T7_P12ihipStream_tbENKUlT_T0_E_clISt17integral_constantIbLb0EES14_EEDaSZ_S10_EUlSZ_E_NS1_11comp_targetILNS1_3genE3ELNS1_11target_archE908ELNS1_3gpuE7ELNS1_3repE0EEENS1_30default_config_static_selectorELNS0_4arch9wavefront6targetE0EEEvT1_,comdat
.Lfunc_end897:
	.size	_ZN7rocprim17ROCPRIM_400000_NS6detail17trampoline_kernelINS0_14default_configENS1_27scan_by_key_config_selectorIxxEEZZNS1_16scan_by_key_implILNS1_25lookback_scan_determinismE0ELb0ES3_N6thrust23THRUST_200600_302600_NS6detail15normal_iteratorINS9_10device_ptrIxEEEENS9_18transform_iteratorINS9_6negateIxEESE_NS9_11use_defaultESI_EESE_xNS9_4plusIvEENS9_8equal_toIvEExEE10hipError_tPvRmT2_T3_T4_T5_mT6_T7_P12ihipStream_tbENKUlT_T0_E_clISt17integral_constantIbLb0EES14_EEDaSZ_S10_EUlSZ_E_NS1_11comp_targetILNS1_3genE3ELNS1_11target_archE908ELNS1_3gpuE7ELNS1_3repE0EEENS1_30default_config_static_selectorELNS0_4arch9wavefront6targetE0EEEvT1_, .Lfunc_end897-_ZN7rocprim17ROCPRIM_400000_NS6detail17trampoline_kernelINS0_14default_configENS1_27scan_by_key_config_selectorIxxEEZZNS1_16scan_by_key_implILNS1_25lookback_scan_determinismE0ELb0ES3_N6thrust23THRUST_200600_302600_NS6detail15normal_iteratorINS9_10device_ptrIxEEEENS9_18transform_iteratorINS9_6negateIxEESE_NS9_11use_defaultESI_EESE_xNS9_4plusIvEENS9_8equal_toIvEExEE10hipError_tPvRmT2_T3_T4_T5_mT6_T7_P12ihipStream_tbENKUlT_T0_E_clISt17integral_constantIbLb0EES14_EEDaSZ_S10_EUlSZ_E_NS1_11comp_targetILNS1_3genE3ELNS1_11target_archE908ELNS1_3gpuE7ELNS1_3repE0EEENS1_30default_config_static_selectorELNS0_4arch9wavefront6targetE0EEEvT1_
                                        ; -- End function
	.set _ZN7rocprim17ROCPRIM_400000_NS6detail17trampoline_kernelINS0_14default_configENS1_27scan_by_key_config_selectorIxxEEZZNS1_16scan_by_key_implILNS1_25lookback_scan_determinismE0ELb0ES3_N6thrust23THRUST_200600_302600_NS6detail15normal_iteratorINS9_10device_ptrIxEEEENS9_18transform_iteratorINS9_6negateIxEESE_NS9_11use_defaultESI_EESE_xNS9_4plusIvEENS9_8equal_toIvEExEE10hipError_tPvRmT2_T3_T4_T5_mT6_T7_P12ihipStream_tbENKUlT_T0_E_clISt17integral_constantIbLb0EES14_EEDaSZ_S10_EUlSZ_E_NS1_11comp_targetILNS1_3genE3ELNS1_11target_archE908ELNS1_3gpuE7ELNS1_3repE0EEENS1_30default_config_static_selectorELNS0_4arch9wavefront6targetE0EEEvT1_.num_vgpr, 0
	.set _ZN7rocprim17ROCPRIM_400000_NS6detail17trampoline_kernelINS0_14default_configENS1_27scan_by_key_config_selectorIxxEEZZNS1_16scan_by_key_implILNS1_25lookback_scan_determinismE0ELb0ES3_N6thrust23THRUST_200600_302600_NS6detail15normal_iteratorINS9_10device_ptrIxEEEENS9_18transform_iteratorINS9_6negateIxEESE_NS9_11use_defaultESI_EESE_xNS9_4plusIvEENS9_8equal_toIvEExEE10hipError_tPvRmT2_T3_T4_T5_mT6_T7_P12ihipStream_tbENKUlT_T0_E_clISt17integral_constantIbLb0EES14_EEDaSZ_S10_EUlSZ_E_NS1_11comp_targetILNS1_3genE3ELNS1_11target_archE908ELNS1_3gpuE7ELNS1_3repE0EEENS1_30default_config_static_selectorELNS0_4arch9wavefront6targetE0EEEvT1_.num_agpr, 0
	.set _ZN7rocprim17ROCPRIM_400000_NS6detail17trampoline_kernelINS0_14default_configENS1_27scan_by_key_config_selectorIxxEEZZNS1_16scan_by_key_implILNS1_25lookback_scan_determinismE0ELb0ES3_N6thrust23THRUST_200600_302600_NS6detail15normal_iteratorINS9_10device_ptrIxEEEENS9_18transform_iteratorINS9_6negateIxEESE_NS9_11use_defaultESI_EESE_xNS9_4plusIvEENS9_8equal_toIvEExEE10hipError_tPvRmT2_T3_T4_T5_mT6_T7_P12ihipStream_tbENKUlT_T0_E_clISt17integral_constantIbLb0EES14_EEDaSZ_S10_EUlSZ_E_NS1_11comp_targetILNS1_3genE3ELNS1_11target_archE908ELNS1_3gpuE7ELNS1_3repE0EEENS1_30default_config_static_selectorELNS0_4arch9wavefront6targetE0EEEvT1_.numbered_sgpr, 0
	.set _ZN7rocprim17ROCPRIM_400000_NS6detail17trampoline_kernelINS0_14default_configENS1_27scan_by_key_config_selectorIxxEEZZNS1_16scan_by_key_implILNS1_25lookback_scan_determinismE0ELb0ES3_N6thrust23THRUST_200600_302600_NS6detail15normal_iteratorINS9_10device_ptrIxEEEENS9_18transform_iteratorINS9_6negateIxEESE_NS9_11use_defaultESI_EESE_xNS9_4plusIvEENS9_8equal_toIvEExEE10hipError_tPvRmT2_T3_T4_T5_mT6_T7_P12ihipStream_tbENKUlT_T0_E_clISt17integral_constantIbLb0EES14_EEDaSZ_S10_EUlSZ_E_NS1_11comp_targetILNS1_3genE3ELNS1_11target_archE908ELNS1_3gpuE7ELNS1_3repE0EEENS1_30default_config_static_selectorELNS0_4arch9wavefront6targetE0EEEvT1_.num_named_barrier, 0
	.set _ZN7rocprim17ROCPRIM_400000_NS6detail17trampoline_kernelINS0_14default_configENS1_27scan_by_key_config_selectorIxxEEZZNS1_16scan_by_key_implILNS1_25lookback_scan_determinismE0ELb0ES3_N6thrust23THRUST_200600_302600_NS6detail15normal_iteratorINS9_10device_ptrIxEEEENS9_18transform_iteratorINS9_6negateIxEESE_NS9_11use_defaultESI_EESE_xNS9_4plusIvEENS9_8equal_toIvEExEE10hipError_tPvRmT2_T3_T4_T5_mT6_T7_P12ihipStream_tbENKUlT_T0_E_clISt17integral_constantIbLb0EES14_EEDaSZ_S10_EUlSZ_E_NS1_11comp_targetILNS1_3genE3ELNS1_11target_archE908ELNS1_3gpuE7ELNS1_3repE0EEENS1_30default_config_static_selectorELNS0_4arch9wavefront6targetE0EEEvT1_.private_seg_size, 0
	.set _ZN7rocprim17ROCPRIM_400000_NS6detail17trampoline_kernelINS0_14default_configENS1_27scan_by_key_config_selectorIxxEEZZNS1_16scan_by_key_implILNS1_25lookback_scan_determinismE0ELb0ES3_N6thrust23THRUST_200600_302600_NS6detail15normal_iteratorINS9_10device_ptrIxEEEENS9_18transform_iteratorINS9_6negateIxEESE_NS9_11use_defaultESI_EESE_xNS9_4plusIvEENS9_8equal_toIvEExEE10hipError_tPvRmT2_T3_T4_T5_mT6_T7_P12ihipStream_tbENKUlT_T0_E_clISt17integral_constantIbLb0EES14_EEDaSZ_S10_EUlSZ_E_NS1_11comp_targetILNS1_3genE3ELNS1_11target_archE908ELNS1_3gpuE7ELNS1_3repE0EEENS1_30default_config_static_selectorELNS0_4arch9wavefront6targetE0EEEvT1_.uses_vcc, 0
	.set _ZN7rocprim17ROCPRIM_400000_NS6detail17trampoline_kernelINS0_14default_configENS1_27scan_by_key_config_selectorIxxEEZZNS1_16scan_by_key_implILNS1_25lookback_scan_determinismE0ELb0ES3_N6thrust23THRUST_200600_302600_NS6detail15normal_iteratorINS9_10device_ptrIxEEEENS9_18transform_iteratorINS9_6negateIxEESE_NS9_11use_defaultESI_EESE_xNS9_4plusIvEENS9_8equal_toIvEExEE10hipError_tPvRmT2_T3_T4_T5_mT6_T7_P12ihipStream_tbENKUlT_T0_E_clISt17integral_constantIbLb0EES14_EEDaSZ_S10_EUlSZ_E_NS1_11comp_targetILNS1_3genE3ELNS1_11target_archE908ELNS1_3gpuE7ELNS1_3repE0EEENS1_30default_config_static_selectorELNS0_4arch9wavefront6targetE0EEEvT1_.uses_flat_scratch, 0
	.set _ZN7rocprim17ROCPRIM_400000_NS6detail17trampoline_kernelINS0_14default_configENS1_27scan_by_key_config_selectorIxxEEZZNS1_16scan_by_key_implILNS1_25lookback_scan_determinismE0ELb0ES3_N6thrust23THRUST_200600_302600_NS6detail15normal_iteratorINS9_10device_ptrIxEEEENS9_18transform_iteratorINS9_6negateIxEESE_NS9_11use_defaultESI_EESE_xNS9_4plusIvEENS9_8equal_toIvEExEE10hipError_tPvRmT2_T3_T4_T5_mT6_T7_P12ihipStream_tbENKUlT_T0_E_clISt17integral_constantIbLb0EES14_EEDaSZ_S10_EUlSZ_E_NS1_11comp_targetILNS1_3genE3ELNS1_11target_archE908ELNS1_3gpuE7ELNS1_3repE0EEENS1_30default_config_static_selectorELNS0_4arch9wavefront6targetE0EEEvT1_.has_dyn_sized_stack, 0
	.set _ZN7rocprim17ROCPRIM_400000_NS6detail17trampoline_kernelINS0_14default_configENS1_27scan_by_key_config_selectorIxxEEZZNS1_16scan_by_key_implILNS1_25lookback_scan_determinismE0ELb0ES3_N6thrust23THRUST_200600_302600_NS6detail15normal_iteratorINS9_10device_ptrIxEEEENS9_18transform_iteratorINS9_6negateIxEESE_NS9_11use_defaultESI_EESE_xNS9_4plusIvEENS9_8equal_toIvEExEE10hipError_tPvRmT2_T3_T4_T5_mT6_T7_P12ihipStream_tbENKUlT_T0_E_clISt17integral_constantIbLb0EES14_EEDaSZ_S10_EUlSZ_E_NS1_11comp_targetILNS1_3genE3ELNS1_11target_archE908ELNS1_3gpuE7ELNS1_3repE0EEENS1_30default_config_static_selectorELNS0_4arch9wavefront6targetE0EEEvT1_.has_recursion, 0
	.set _ZN7rocprim17ROCPRIM_400000_NS6detail17trampoline_kernelINS0_14default_configENS1_27scan_by_key_config_selectorIxxEEZZNS1_16scan_by_key_implILNS1_25lookback_scan_determinismE0ELb0ES3_N6thrust23THRUST_200600_302600_NS6detail15normal_iteratorINS9_10device_ptrIxEEEENS9_18transform_iteratorINS9_6negateIxEESE_NS9_11use_defaultESI_EESE_xNS9_4plusIvEENS9_8equal_toIvEExEE10hipError_tPvRmT2_T3_T4_T5_mT6_T7_P12ihipStream_tbENKUlT_T0_E_clISt17integral_constantIbLb0EES14_EEDaSZ_S10_EUlSZ_E_NS1_11comp_targetILNS1_3genE3ELNS1_11target_archE908ELNS1_3gpuE7ELNS1_3repE0EEENS1_30default_config_static_selectorELNS0_4arch9wavefront6targetE0EEEvT1_.has_indirect_call, 0
	.section	.AMDGPU.csdata,"",@progbits
; Kernel info:
; codeLenInByte = 0
; TotalNumSgprs: 0
; NumVgprs: 0
; ScratchSize: 0
; MemoryBound: 0
; FloatMode: 240
; IeeeMode: 1
; LDSByteSize: 0 bytes/workgroup (compile time only)
; SGPRBlocks: 0
; VGPRBlocks: 0
; NumSGPRsForWavesPerEU: 1
; NumVGPRsForWavesPerEU: 1
; Occupancy: 16
; WaveLimiterHint : 0
; COMPUTE_PGM_RSRC2:SCRATCH_EN: 0
; COMPUTE_PGM_RSRC2:USER_SGPR: 6
; COMPUTE_PGM_RSRC2:TRAP_HANDLER: 0
; COMPUTE_PGM_RSRC2:TGID_X_EN: 1
; COMPUTE_PGM_RSRC2:TGID_Y_EN: 0
; COMPUTE_PGM_RSRC2:TGID_Z_EN: 0
; COMPUTE_PGM_RSRC2:TIDIG_COMP_CNT: 0
	.section	.text._ZN7rocprim17ROCPRIM_400000_NS6detail17trampoline_kernelINS0_14default_configENS1_27scan_by_key_config_selectorIxxEEZZNS1_16scan_by_key_implILNS1_25lookback_scan_determinismE0ELb0ES3_N6thrust23THRUST_200600_302600_NS6detail15normal_iteratorINS9_10device_ptrIxEEEENS9_18transform_iteratorINS9_6negateIxEESE_NS9_11use_defaultESI_EESE_xNS9_4plusIvEENS9_8equal_toIvEExEE10hipError_tPvRmT2_T3_T4_T5_mT6_T7_P12ihipStream_tbENKUlT_T0_E_clISt17integral_constantIbLb0EES14_EEDaSZ_S10_EUlSZ_E_NS1_11comp_targetILNS1_3genE2ELNS1_11target_archE906ELNS1_3gpuE6ELNS1_3repE0EEENS1_30default_config_static_selectorELNS0_4arch9wavefront6targetE0EEEvT1_,"axG",@progbits,_ZN7rocprim17ROCPRIM_400000_NS6detail17trampoline_kernelINS0_14default_configENS1_27scan_by_key_config_selectorIxxEEZZNS1_16scan_by_key_implILNS1_25lookback_scan_determinismE0ELb0ES3_N6thrust23THRUST_200600_302600_NS6detail15normal_iteratorINS9_10device_ptrIxEEEENS9_18transform_iteratorINS9_6negateIxEESE_NS9_11use_defaultESI_EESE_xNS9_4plusIvEENS9_8equal_toIvEExEE10hipError_tPvRmT2_T3_T4_T5_mT6_T7_P12ihipStream_tbENKUlT_T0_E_clISt17integral_constantIbLb0EES14_EEDaSZ_S10_EUlSZ_E_NS1_11comp_targetILNS1_3genE2ELNS1_11target_archE906ELNS1_3gpuE6ELNS1_3repE0EEENS1_30default_config_static_selectorELNS0_4arch9wavefront6targetE0EEEvT1_,comdat
	.protected	_ZN7rocprim17ROCPRIM_400000_NS6detail17trampoline_kernelINS0_14default_configENS1_27scan_by_key_config_selectorIxxEEZZNS1_16scan_by_key_implILNS1_25lookback_scan_determinismE0ELb0ES3_N6thrust23THRUST_200600_302600_NS6detail15normal_iteratorINS9_10device_ptrIxEEEENS9_18transform_iteratorINS9_6negateIxEESE_NS9_11use_defaultESI_EESE_xNS9_4plusIvEENS9_8equal_toIvEExEE10hipError_tPvRmT2_T3_T4_T5_mT6_T7_P12ihipStream_tbENKUlT_T0_E_clISt17integral_constantIbLb0EES14_EEDaSZ_S10_EUlSZ_E_NS1_11comp_targetILNS1_3genE2ELNS1_11target_archE906ELNS1_3gpuE6ELNS1_3repE0EEENS1_30default_config_static_selectorELNS0_4arch9wavefront6targetE0EEEvT1_ ; -- Begin function _ZN7rocprim17ROCPRIM_400000_NS6detail17trampoline_kernelINS0_14default_configENS1_27scan_by_key_config_selectorIxxEEZZNS1_16scan_by_key_implILNS1_25lookback_scan_determinismE0ELb0ES3_N6thrust23THRUST_200600_302600_NS6detail15normal_iteratorINS9_10device_ptrIxEEEENS9_18transform_iteratorINS9_6negateIxEESE_NS9_11use_defaultESI_EESE_xNS9_4plusIvEENS9_8equal_toIvEExEE10hipError_tPvRmT2_T3_T4_T5_mT6_T7_P12ihipStream_tbENKUlT_T0_E_clISt17integral_constantIbLb0EES14_EEDaSZ_S10_EUlSZ_E_NS1_11comp_targetILNS1_3genE2ELNS1_11target_archE906ELNS1_3gpuE6ELNS1_3repE0EEENS1_30default_config_static_selectorELNS0_4arch9wavefront6targetE0EEEvT1_
	.globl	_ZN7rocprim17ROCPRIM_400000_NS6detail17trampoline_kernelINS0_14default_configENS1_27scan_by_key_config_selectorIxxEEZZNS1_16scan_by_key_implILNS1_25lookback_scan_determinismE0ELb0ES3_N6thrust23THRUST_200600_302600_NS6detail15normal_iteratorINS9_10device_ptrIxEEEENS9_18transform_iteratorINS9_6negateIxEESE_NS9_11use_defaultESI_EESE_xNS9_4plusIvEENS9_8equal_toIvEExEE10hipError_tPvRmT2_T3_T4_T5_mT6_T7_P12ihipStream_tbENKUlT_T0_E_clISt17integral_constantIbLb0EES14_EEDaSZ_S10_EUlSZ_E_NS1_11comp_targetILNS1_3genE2ELNS1_11target_archE906ELNS1_3gpuE6ELNS1_3repE0EEENS1_30default_config_static_selectorELNS0_4arch9wavefront6targetE0EEEvT1_
	.p2align	8
	.type	_ZN7rocprim17ROCPRIM_400000_NS6detail17trampoline_kernelINS0_14default_configENS1_27scan_by_key_config_selectorIxxEEZZNS1_16scan_by_key_implILNS1_25lookback_scan_determinismE0ELb0ES3_N6thrust23THRUST_200600_302600_NS6detail15normal_iteratorINS9_10device_ptrIxEEEENS9_18transform_iteratorINS9_6negateIxEESE_NS9_11use_defaultESI_EESE_xNS9_4plusIvEENS9_8equal_toIvEExEE10hipError_tPvRmT2_T3_T4_T5_mT6_T7_P12ihipStream_tbENKUlT_T0_E_clISt17integral_constantIbLb0EES14_EEDaSZ_S10_EUlSZ_E_NS1_11comp_targetILNS1_3genE2ELNS1_11target_archE906ELNS1_3gpuE6ELNS1_3repE0EEENS1_30default_config_static_selectorELNS0_4arch9wavefront6targetE0EEEvT1_,@function
_ZN7rocprim17ROCPRIM_400000_NS6detail17trampoline_kernelINS0_14default_configENS1_27scan_by_key_config_selectorIxxEEZZNS1_16scan_by_key_implILNS1_25lookback_scan_determinismE0ELb0ES3_N6thrust23THRUST_200600_302600_NS6detail15normal_iteratorINS9_10device_ptrIxEEEENS9_18transform_iteratorINS9_6negateIxEESE_NS9_11use_defaultESI_EESE_xNS9_4plusIvEENS9_8equal_toIvEExEE10hipError_tPvRmT2_T3_T4_T5_mT6_T7_P12ihipStream_tbENKUlT_T0_E_clISt17integral_constantIbLb0EES14_EEDaSZ_S10_EUlSZ_E_NS1_11comp_targetILNS1_3genE2ELNS1_11target_archE906ELNS1_3gpuE6ELNS1_3repE0EEENS1_30default_config_static_selectorELNS0_4arch9wavefront6targetE0EEEvT1_: ; @_ZN7rocprim17ROCPRIM_400000_NS6detail17trampoline_kernelINS0_14default_configENS1_27scan_by_key_config_selectorIxxEEZZNS1_16scan_by_key_implILNS1_25lookback_scan_determinismE0ELb0ES3_N6thrust23THRUST_200600_302600_NS6detail15normal_iteratorINS9_10device_ptrIxEEEENS9_18transform_iteratorINS9_6negateIxEESE_NS9_11use_defaultESI_EESE_xNS9_4plusIvEENS9_8equal_toIvEExEE10hipError_tPvRmT2_T3_T4_T5_mT6_T7_P12ihipStream_tbENKUlT_T0_E_clISt17integral_constantIbLb0EES14_EEDaSZ_S10_EUlSZ_E_NS1_11comp_targetILNS1_3genE2ELNS1_11target_archE906ELNS1_3gpuE6ELNS1_3repE0EEENS1_30default_config_static_selectorELNS0_4arch9wavefront6targetE0EEEvT1_
; %bb.0:
	.section	.rodata,"a",@progbits
	.p2align	6, 0x0
	.amdhsa_kernel _ZN7rocprim17ROCPRIM_400000_NS6detail17trampoline_kernelINS0_14default_configENS1_27scan_by_key_config_selectorIxxEEZZNS1_16scan_by_key_implILNS1_25lookback_scan_determinismE0ELb0ES3_N6thrust23THRUST_200600_302600_NS6detail15normal_iteratorINS9_10device_ptrIxEEEENS9_18transform_iteratorINS9_6negateIxEESE_NS9_11use_defaultESI_EESE_xNS9_4plusIvEENS9_8equal_toIvEExEE10hipError_tPvRmT2_T3_T4_T5_mT6_T7_P12ihipStream_tbENKUlT_T0_E_clISt17integral_constantIbLb0EES14_EEDaSZ_S10_EUlSZ_E_NS1_11comp_targetILNS1_3genE2ELNS1_11target_archE906ELNS1_3gpuE6ELNS1_3repE0EEENS1_30default_config_static_selectorELNS0_4arch9wavefront6targetE0EEEvT1_
		.amdhsa_group_segment_fixed_size 0
		.amdhsa_private_segment_fixed_size 0
		.amdhsa_kernarg_size 144
		.amdhsa_user_sgpr_count 6
		.amdhsa_user_sgpr_private_segment_buffer 1
		.amdhsa_user_sgpr_dispatch_ptr 0
		.amdhsa_user_sgpr_queue_ptr 0
		.amdhsa_user_sgpr_kernarg_segment_ptr 1
		.amdhsa_user_sgpr_dispatch_id 0
		.amdhsa_user_sgpr_flat_scratch_init 0
		.amdhsa_user_sgpr_private_segment_size 0
		.amdhsa_wavefront_size32 1
		.amdhsa_uses_dynamic_stack 0
		.amdhsa_system_sgpr_private_segment_wavefront_offset 0
		.amdhsa_system_sgpr_workgroup_id_x 1
		.amdhsa_system_sgpr_workgroup_id_y 0
		.amdhsa_system_sgpr_workgroup_id_z 0
		.amdhsa_system_sgpr_workgroup_info 0
		.amdhsa_system_vgpr_workitem_id 0
		.amdhsa_next_free_vgpr 1
		.amdhsa_next_free_sgpr 1
		.amdhsa_reserve_vcc 0
		.amdhsa_reserve_flat_scratch 0
		.amdhsa_float_round_mode_32 0
		.amdhsa_float_round_mode_16_64 0
		.amdhsa_float_denorm_mode_32 3
		.amdhsa_float_denorm_mode_16_64 3
		.amdhsa_dx10_clamp 1
		.amdhsa_ieee_mode 1
		.amdhsa_fp16_overflow 0
		.amdhsa_workgroup_processor_mode 1
		.amdhsa_memory_ordered 1
		.amdhsa_forward_progress 1
		.amdhsa_shared_vgpr_count 0
		.amdhsa_exception_fp_ieee_invalid_op 0
		.amdhsa_exception_fp_denorm_src 0
		.amdhsa_exception_fp_ieee_div_zero 0
		.amdhsa_exception_fp_ieee_overflow 0
		.amdhsa_exception_fp_ieee_underflow 0
		.amdhsa_exception_fp_ieee_inexact 0
		.amdhsa_exception_int_div_zero 0
	.end_amdhsa_kernel
	.section	.text._ZN7rocprim17ROCPRIM_400000_NS6detail17trampoline_kernelINS0_14default_configENS1_27scan_by_key_config_selectorIxxEEZZNS1_16scan_by_key_implILNS1_25lookback_scan_determinismE0ELb0ES3_N6thrust23THRUST_200600_302600_NS6detail15normal_iteratorINS9_10device_ptrIxEEEENS9_18transform_iteratorINS9_6negateIxEESE_NS9_11use_defaultESI_EESE_xNS9_4plusIvEENS9_8equal_toIvEExEE10hipError_tPvRmT2_T3_T4_T5_mT6_T7_P12ihipStream_tbENKUlT_T0_E_clISt17integral_constantIbLb0EES14_EEDaSZ_S10_EUlSZ_E_NS1_11comp_targetILNS1_3genE2ELNS1_11target_archE906ELNS1_3gpuE6ELNS1_3repE0EEENS1_30default_config_static_selectorELNS0_4arch9wavefront6targetE0EEEvT1_,"axG",@progbits,_ZN7rocprim17ROCPRIM_400000_NS6detail17trampoline_kernelINS0_14default_configENS1_27scan_by_key_config_selectorIxxEEZZNS1_16scan_by_key_implILNS1_25lookback_scan_determinismE0ELb0ES3_N6thrust23THRUST_200600_302600_NS6detail15normal_iteratorINS9_10device_ptrIxEEEENS9_18transform_iteratorINS9_6negateIxEESE_NS9_11use_defaultESI_EESE_xNS9_4plusIvEENS9_8equal_toIvEExEE10hipError_tPvRmT2_T3_T4_T5_mT6_T7_P12ihipStream_tbENKUlT_T0_E_clISt17integral_constantIbLb0EES14_EEDaSZ_S10_EUlSZ_E_NS1_11comp_targetILNS1_3genE2ELNS1_11target_archE906ELNS1_3gpuE6ELNS1_3repE0EEENS1_30default_config_static_selectorELNS0_4arch9wavefront6targetE0EEEvT1_,comdat
.Lfunc_end898:
	.size	_ZN7rocprim17ROCPRIM_400000_NS6detail17trampoline_kernelINS0_14default_configENS1_27scan_by_key_config_selectorIxxEEZZNS1_16scan_by_key_implILNS1_25lookback_scan_determinismE0ELb0ES3_N6thrust23THRUST_200600_302600_NS6detail15normal_iteratorINS9_10device_ptrIxEEEENS9_18transform_iteratorINS9_6negateIxEESE_NS9_11use_defaultESI_EESE_xNS9_4plusIvEENS9_8equal_toIvEExEE10hipError_tPvRmT2_T3_T4_T5_mT6_T7_P12ihipStream_tbENKUlT_T0_E_clISt17integral_constantIbLb0EES14_EEDaSZ_S10_EUlSZ_E_NS1_11comp_targetILNS1_3genE2ELNS1_11target_archE906ELNS1_3gpuE6ELNS1_3repE0EEENS1_30default_config_static_selectorELNS0_4arch9wavefront6targetE0EEEvT1_, .Lfunc_end898-_ZN7rocprim17ROCPRIM_400000_NS6detail17trampoline_kernelINS0_14default_configENS1_27scan_by_key_config_selectorIxxEEZZNS1_16scan_by_key_implILNS1_25lookback_scan_determinismE0ELb0ES3_N6thrust23THRUST_200600_302600_NS6detail15normal_iteratorINS9_10device_ptrIxEEEENS9_18transform_iteratorINS9_6negateIxEESE_NS9_11use_defaultESI_EESE_xNS9_4plusIvEENS9_8equal_toIvEExEE10hipError_tPvRmT2_T3_T4_T5_mT6_T7_P12ihipStream_tbENKUlT_T0_E_clISt17integral_constantIbLb0EES14_EEDaSZ_S10_EUlSZ_E_NS1_11comp_targetILNS1_3genE2ELNS1_11target_archE906ELNS1_3gpuE6ELNS1_3repE0EEENS1_30default_config_static_selectorELNS0_4arch9wavefront6targetE0EEEvT1_
                                        ; -- End function
	.set _ZN7rocprim17ROCPRIM_400000_NS6detail17trampoline_kernelINS0_14default_configENS1_27scan_by_key_config_selectorIxxEEZZNS1_16scan_by_key_implILNS1_25lookback_scan_determinismE0ELb0ES3_N6thrust23THRUST_200600_302600_NS6detail15normal_iteratorINS9_10device_ptrIxEEEENS9_18transform_iteratorINS9_6negateIxEESE_NS9_11use_defaultESI_EESE_xNS9_4plusIvEENS9_8equal_toIvEExEE10hipError_tPvRmT2_T3_T4_T5_mT6_T7_P12ihipStream_tbENKUlT_T0_E_clISt17integral_constantIbLb0EES14_EEDaSZ_S10_EUlSZ_E_NS1_11comp_targetILNS1_3genE2ELNS1_11target_archE906ELNS1_3gpuE6ELNS1_3repE0EEENS1_30default_config_static_selectorELNS0_4arch9wavefront6targetE0EEEvT1_.num_vgpr, 0
	.set _ZN7rocprim17ROCPRIM_400000_NS6detail17trampoline_kernelINS0_14default_configENS1_27scan_by_key_config_selectorIxxEEZZNS1_16scan_by_key_implILNS1_25lookback_scan_determinismE0ELb0ES3_N6thrust23THRUST_200600_302600_NS6detail15normal_iteratorINS9_10device_ptrIxEEEENS9_18transform_iteratorINS9_6negateIxEESE_NS9_11use_defaultESI_EESE_xNS9_4plusIvEENS9_8equal_toIvEExEE10hipError_tPvRmT2_T3_T4_T5_mT6_T7_P12ihipStream_tbENKUlT_T0_E_clISt17integral_constantIbLb0EES14_EEDaSZ_S10_EUlSZ_E_NS1_11comp_targetILNS1_3genE2ELNS1_11target_archE906ELNS1_3gpuE6ELNS1_3repE0EEENS1_30default_config_static_selectorELNS0_4arch9wavefront6targetE0EEEvT1_.num_agpr, 0
	.set _ZN7rocprim17ROCPRIM_400000_NS6detail17trampoline_kernelINS0_14default_configENS1_27scan_by_key_config_selectorIxxEEZZNS1_16scan_by_key_implILNS1_25lookback_scan_determinismE0ELb0ES3_N6thrust23THRUST_200600_302600_NS6detail15normal_iteratorINS9_10device_ptrIxEEEENS9_18transform_iteratorINS9_6negateIxEESE_NS9_11use_defaultESI_EESE_xNS9_4plusIvEENS9_8equal_toIvEExEE10hipError_tPvRmT2_T3_T4_T5_mT6_T7_P12ihipStream_tbENKUlT_T0_E_clISt17integral_constantIbLb0EES14_EEDaSZ_S10_EUlSZ_E_NS1_11comp_targetILNS1_3genE2ELNS1_11target_archE906ELNS1_3gpuE6ELNS1_3repE0EEENS1_30default_config_static_selectorELNS0_4arch9wavefront6targetE0EEEvT1_.numbered_sgpr, 0
	.set _ZN7rocprim17ROCPRIM_400000_NS6detail17trampoline_kernelINS0_14default_configENS1_27scan_by_key_config_selectorIxxEEZZNS1_16scan_by_key_implILNS1_25lookback_scan_determinismE0ELb0ES3_N6thrust23THRUST_200600_302600_NS6detail15normal_iteratorINS9_10device_ptrIxEEEENS9_18transform_iteratorINS9_6negateIxEESE_NS9_11use_defaultESI_EESE_xNS9_4plusIvEENS9_8equal_toIvEExEE10hipError_tPvRmT2_T3_T4_T5_mT6_T7_P12ihipStream_tbENKUlT_T0_E_clISt17integral_constantIbLb0EES14_EEDaSZ_S10_EUlSZ_E_NS1_11comp_targetILNS1_3genE2ELNS1_11target_archE906ELNS1_3gpuE6ELNS1_3repE0EEENS1_30default_config_static_selectorELNS0_4arch9wavefront6targetE0EEEvT1_.num_named_barrier, 0
	.set _ZN7rocprim17ROCPRIM_400000_NS6detail17trampoline_kernelINS0_14default_configENS1_27scan_by_key_config_selectorIxxEEZZNS1_16scan_by_key_implILNS1_25lookback_scan_determinismE0ELb0ES3_N6thrust23THRUST_200600_302600_NS6detail15normal_iteratorINS9_10device_ptrIxEEEENS9_18transform_iteratorINS9_6negateIxEESE_NS9_11use_defaultESI_EESE_xNS9_4plusIvEENS9_8equal_toIvEExEE10hipError_tPvRmT2_T3_T4_T5_mT6_T7_P12ihipStream_tbENKUlT_T0_E_clISt17integral_constantIbLb0EES14_EEDaSZ_S10_EUlSZ_E_NS1_11comp_targetILNS1_3genE2ELNS1_11target_archE906ELNS1_3gpuE6ELNS1_3repE0EEENS1_30default_config_static_selectorELNS0_4arch9wavefront6targetE0EEEvT1_.private_seg_size, 0
	.set _ZN7rocprim17ROCPRIM_400000_NS6detail17trampoline_kernelINS0_14default_configENS1_27scan_by_key_config_selectorIxxEEZZNS1_16scan_by_key_implILNS1_25lookback_scan_determinismE0ELb0ES3_N6thrust23THRUST_200600_302600_NS6detail15normal_iteratorINS9_10device_ptrIxEEEENS9_18transform_iteratorINS9_6negateIxEESE_NS9_11use_defaultESI_EESE_xNS9_4plusIvEENS9_8equal_toIvEExEE10hipError_tPvRmT2_T3_T4_T5_mT6_T7_P12ihipStream_tbENKUlT_T0_E_clISt17integral_constantIbLb0EES14_EEDaSZ_S10_EUlSZ_E_NS1_11comp_targetILNS1_3genE2ELNS1_11target_archE906ELNS1_3gpuE6ELNS1_3repE0EEENS1_30default_config_static_selectorELNS0_4arch9wavefront6targetE0EEEvT1_.uses_vcc, 0
	.set _ZN7rocprim17ROCPRIM_400000_NS6detail17trampoline_kernelINS0_14default_configENS1_27scan_by_key_config_selectorIxxEEZZNS1_16scan_by_key_implILNS1_25lookback_scan_determinismE0ELb0ES3_N6thrust23THRUST_200600_302600_NS6detail15normal_iteratorINS9_10device_ptrIxEEEENS9_18transform_iteratorINS9_6negateIxEESE_NS9_11use_defaultESI_EESE_xNS9_4plusIvEENS9_8equal_toIvEExEE10hipError_tPvRmT2_T3_T4_T5_mT6_T7_P12ihipStream_tbENKUlT_T0_E_clISt17integral_constantIbLb0EES14_EEDaSZ_S10_EUlSZ_E_NS1_11comp_targetILNS1_3genE2ELNS1_11target_archE906ELNS1_3gpuE6ELNS1_3repE0EEENS1_30default_config_static_selectorELNS0_4arch9wavefront6targetE0EEEvT1_.uses_flat_scratch, 0
	.set _ZN7rocprim17ROCPRIM_400000_NS6detail17trampoline_kernelINS0_14default_configENS1_27scan_by_key_config_selectorIxxEEZZNS1_16scan_by_key_implILNS1_25lookback_scan_determinismE0ELb0ES3_N6thrust23THRUST_200600_302600_NS6detail15normal_iteratorINS9_10device_ptrIxEEEENS9_18transform_iteratorINS9_6negateIxEESE_NS9_11use_defaultESI_EESE_xNS9_4plusIvEENS9_8equal_toIvEExEE10hipError_tPvRmT2_T3_T4_T5_mT6_T7_P12ihipStream_tbENKUlT_T0_E_clISt17integral_constantIbLb0EES14_EEDaSZ_S10_EUlSZ_E_NS1_11comp_targetILNS1_3genE2ELNS1_11target_archE906ELNS1_3gpuE6ELNS1_3repE0EEENS1_30default_config_static_selectorELNS0_4arch9wavefront6targetE0EEEvT1_.has_dyn_sized_stack, 0
	.set _ZN7rocprim17ROCPRIM_400000_NS6detail17trampoline_kernelINS0_14default_configENS1_27scan_by_key_config_selectorIxxEEZZNS1_16scan_by_key_implILNS1_25lookback_scan_determinismE0ELb0ES3_N6thrust23THRUST_200600_302600_NS6detail15normal_iteratorINS9_10device_ptrIxEEEENS9_18transform_iteratorINS9_6negateIxEESE_NS9_11use_defaultESI_EESE_xNS9_4plusIvEENS9_8equal_toIvEExEE10hipError_tPvRmT2_T3_T4_T5_mT6_T7_P12ihipStream_tbENKUlT_T0_E_clISt17integral_constantIbLb0EES14_EEDaSZ_S10_EUlSZ_E_NS1_11comp_targetILNS1_3genE2ELNS1_11target_archE906ELNS1_3gpuE6ELNS1_3repE0EEENS1_30default_config_static_selectorELNS0_4arch9wavefront6targetE0EEEvT1_.has_recursion, 0
	.set _ZN7rocprim17ROCPRIM_400000_NS6detail17trampoline_kernelINS0_14default_configENS1_27scan_by_key_config_selectorIxxEEZZNS1_16scan_by_key_implILNS1_25lookback_scan_determinismE0ELb0ES3_N6thrust23THRUST_200600_302600_NS6detail15normal_iteratorINS9_10device_ptrIxEEEENS9_18transform_iteratorINS9_6negateIxEESE_NS9_11use_defaultESI_EESE_xNS9_4plusIvEENS9_8equal_toIvEExEE10hipError_tPvRmT2_T3_T4_T5_mT6_T7_P12ihipStream_tbENKUlT_T0_E_clISt17integral_constantIbLb0EES14_EEDaSZ_S10_EUlSZ_E_NS1_11comp_targetILNS1_3genE2ELNS1_11target_archE906ELNS1_3gpuE6ELNS1_3repE0EEENS1_30default_config_static_selectorELNS0_4arch9wavefront6targetE0EEEvT1_.has_indirect_call, 0
	.section	.AMDGPU.csdata,"",@progbits
; Kernel info:
; codeLenInByte = 0
; TotalNumSgprs: 0
; NumVgprs: 0
; ScratchSize: 0
; MemoryBound: 0
; FloatMode: 240
; IeeeMode: 1
; LDSByteSize: 0 bytes/workgroup (compile time only)
; SGPRBlocks: 0
; VGPRBlocks: 0
; NumSGPRsForWavesPerEU: 1
; NumVGPRsForWavesPerEU: 1
; Occupancy: 16
; WaveLimiterHint : 0
; COMPUTE_PGM_RSRC2:SCRATCH_EN: 0
; COMPUTE_PGM_RSRC2:USER_SGPR: 6
; COMPUTE_PGM_RSRC2:TRAP_HANDLER: 0
; COMPUTE_PGM_RSRC2:TGID_X_EN: 1
; COMPUTE_PGM_RSRC2:TGID_Y_EN: 0
; COMPUTE_PGM_RSRC2:TGID_Z_EN: 0
; COMPUTE_PGM_RSRC2:TIDIG_COMP_CNT: 0
	.section	.text._ZN7rocprim17ROCPRIM_400000_NS6detail17trampoline_kernelINS0_14default_configENS1_27scan_by_key_config_selectorIxxEEZZNS1_16scan_by_key_implILNS1_25lookback_scan_determinismE0ELb0ES3_N6thrust23THRUST_200600_302600_NS6detail15normal_iteratorINS9_10device_ptrIxEEEENS9_18transform_iteratorINS9_6negateIxEESE_NS9_11use_defaultESI_EESE_xNS9_4plusIvEENS9_8equal_toIvEExEE10hipError_tPvRmT2_T3_T4_T5_mT6_T7_P12ihipStream_tbENKUlT_T0_E_clISt17integral_constantIbLb0EES14_EEDaSZ_S10_EUlSZ_E_NS1_11comp_targetILNS1_3genE10ELNS1_11target_archE1200ELNS1_3gpuE4ELNS1_3repE0EEENS1_30default_config_static_selectorELNS0_4arch9wavefront6targetE0EEEvT1_,"axG",@progbits,_ZN7rocprim17ROCPRIM_400000_NS6detail17trampoline_kernelINS0_14default_configENS1_27scan_by_key_config_selectorIxxEEZZNS1_16scan_by_key_implILNS1_25lookback_scan_determinismE0ELb0ES3_N6thrust23THRUST_200600_302600_NS6detail15normal_iteratorINS9_10device_ptrIxEEEENS9_18transform_iteratorINS9_6negateIxEESE_NS9_11use_defaultESI_EESE_xNS9_4plusIvEENS9_8equal_toIvEExEE10hipError_tPvRmT2_T3_T4_T5_mT6_T7_P12ihipStream_tbENKUlT_T0_E_clISt17integral_constantIbLb0EES14_EEDaSZ_S10_EUlSZ_E_NS1_11comp_targetILNS1_3genE10ELNS1_11target_archE1200ELNS1_3gpuE4ELNS1_3repE0EEENS1_30default_config_static_selectorELNS0_4arch9wavefront6targetE0EEEvT1_,comdat
	.protected	_ZN7rocprim17ROCPRIM_400000_NS6detail17trampoline_kernelINS0_14default_configENS1_27scan_by_key_config_selectorIxxEEZZNS1_16scan_by_key_implILNS1_25lookback_scan_determinismE0ELb0ES3_N6thrust23THRUST_200600_302600_NS6detail15normal_iteratorINS9_10device_ptrIxEEEENS9_18transform_iteratorINS9_6negateIxEESE_NS9_11use_defaultESI_EESE_xNS9_4plusIvEENS9_8equal_toIvEExEE10hipError_tPvRmT2_T3_T4_T5_mT6_T7_P12ihipStream_tbENKUlT_T0_E_clISt17integral_constantIbLb0EES14_EEDaSZ_S10_EUlSZ_E_NS1_11comp_targetILNS1_3genE10ELNS1_11target_archE1200ELNS1_3gpuE4ELNS1_3repE0EEENS1_30default_config_static_selectorELNS0_4arch9wavefront6targetE0EEEvT1_ ; -- Begin function _ZN7rocprim17ROCPRIM_400000_NS6detail17trampoline_kernelINS0_14default_configENS1_27scan_by_key_config_selectorIxxEEZZNS1_16scan_by_key_implILNS1_25lookback_scan_determinismE0ELb0ES3_N6thrust23THRUST_200600_302600_NS6detail15normal_iteratorINS9_10device_ptrIxEEEENS9_18transform_iteratorINS9_6negateIxEESE_NS9_11use_defaultESI_EESE_xNS9_4plusIvEENS9_8equal_toIvEExEE10hipError_tPvRmT2_T3_T4_T5_mT6_T7_P12ihipStream_tbENKUlT_T0_E_clISt17integral_constantIbLb0EES14_EEDaSZ_S10_EUlSZ_E_NS1_11comp_targetILNS1_3genE10ELNS1_11target_archE1200ELNS1_3gpuE4ELNS1_3repE0EEENS1_30default_config_static_selectorELNS0_4arch9wavefront6targetE0EEEvT1_
	.globl	_ZN7rocprim17ROCPRIM_400000_NS6detail17trampoline_kernelINS0_14default_configENS1_27scan_by_key_config_selectorIxxEEZZNS1_16scan_by_key_implILNS1_25lookback_scan_determinismE0ELb0ES3_N6thrust23THRUST_200600_302600_NS6detail15normal_iteratorINS9_10device_ptrIxEEEENS9_18transform_iteratorINS9_6negateIxEESE_NS9_11use_defaultESI_EESE_xNS9_4plusIvEENS9_8equal_toIvEExEE10hipError_tPvRmT2_T3_T4_T5_mT6_T7_P12ihipStream_tbENKUlT_T0_E_clISt17integral_constantIbLb0EES14_EEDaSZ_S10_EUlSZ_E_NS1_11comp_targetILNS1_3genE10ELNS1_11target_archE1200ELNS1_3gpuE4ELNS1_3repE0EEENS1_30default_config_static_selectorELNS0_4arch9wavefront6targetE0EEEvT1_
	.p2align	8
	.type	_ZN7rocprim17ROCPRIM_400000_NS6detail17trampoline_kernelINS0_14default_configENS1_27scan_by_key_config_selectorIxxEEZZNS1_16scan_by_key_implILNS1_25lookback_scan_determinismE0ELb0ES3_N6thrust23THRUST_200600_302600_NS6detail15normal_iteratorINS9_10device_ptrIxEEEENS9_18transform_iteratorINS9_6negateIxEESE_NS9_11use_defaultESI_EESE_xNS9_4plusIvEENS9_8equal_toIvEExEE10hipError_tPvRmT2_T3_T4_T5_mT6_T7_P12ihipStream_tbENKUlT_T0_E_clISt17integral_constantIbLb0EES14_EEDaSZ_S10_EUlSZ_E_NS1_11comp_targetILNS1_3genE10ELNS1_11target_archE1200ELNS1_3gpuE4ELNS1_3repE0EEENS1_30default_config_static_selectorELNS0_4arch9wavefront6targetE0EEEvT1_,@function
_ZN7rocprim17ROCPRIM_400000_NS6detail17trampoline_kernelINS0_14default_configENS1_27scan_by_key_config_selectorIxxEEZZNS1_16scan_by_key_implILNS1_25lookback_scan_determinismE0ELb0ES3_N6thrust23THRUST_200600_302600_NS6detail15normal_iteratorINS9_10device_ptrIxEEEENS9_18transform_iteratorINS9_6negateIxEESE_NS9_11use_defaultESI_EESE_xNS9_4plusIvEENS9_8equal_toIvEExEE10hipError_tPvRmT2_T3_T4_T5_mT6_T7_P12ihipStream_tbENKUlT_T0_E_clISt17integral_constantIbLb0EES14_EEDaSZ_S10_EUlSZ_E_NS1_11comp_targetILNS1_3genE10ELNS1_11target_archE1200ELNS1_3gpuE4ELNS1_3repE0EEENS1_30default_config_static_selectorELNS0_4arch9wavefront6targetE0EEEvT1_: ; @_ZN7rocprim17ROCPRIM_400000_NS6detail17trampoline_kernelINS0_14default_configENS1_27scan_by_key_config_selectorIxxEEZZNS1_16scan_by_key_implILNS1_25lookback_scan_determinismE0ELb0ES3_N6thrust23THRUST_200600_302600_NS6detail15normal_iteratorINS9_10device_ptrIxEEEENS9_18transform_iteratorINS9_6negateIxEESE_NS9_11use_defaultESI_EESE_xNS9_4plusIvEENS9_8equal_toIvEExEE10hipError_tPvRmT2_T3_T4_T5_mT6_T7_P12ihipStream_tbENKUlT_T0_E_clISt17integral_constantIbLb0EES14_EEDaSZ_S10_EUlSZ_E_NS1_11comp_targetILNS1_3genE10ELNS1_11target_archE1200ELNS1_3gpuE4ELNS1_3repE0EEENS1_30default_config_static_selectorELNS0_4arch9wavefront6targetE0EEEvT1_
; %bb.0:
	.section	.rodata,"a",@progbits
	.p2align	6, 0x0
	.amdhsa_kernel _ZN7rocprim17ROCPRIM_400000_NS6detail17trampoline_kernelINS0_14default_configENS1_27scan_by_key_config_selectorIxxEEZZNS1_16scan_by_key_implILNS1_25lookback_scan_determinismE0ELb0ES3_N6thrust23THRUST_200600_302600_NS6detail15normal_iteratorINS9_10device_ptrIxEEEENS9_18transform_iteratorINS9_6negateIxEESE_NS9_11use_defaultESI_EESE_xNS9_4plusIvEENS9_8equal_toIvEExEE10hipError_tPvRmT2_T3_T4_T5_mT6_T7_P12ihipStream_tbENKUlT_T0_E_clISt17integral_constantIbLb0EES14_EEDaSZ_S10_EUlSZ_E_NS1_11comp_targetILNS1_3genE10ELNS1_11target_archE1200ELNS1_3gpuE4ELNS1_3repE0EEENS1_30default_config_static_selectorELNS0_4arch9wavefront6targetE0EEEvT1_
		.amdhsa_group_segment_fixed_size 0
		.amdhsa_private_segment_fixed_size 0
		.amdhsa_kernarg_size 144
		.amdhsa_user_sgpr_count 6
		.amdhsa_user_sgpr_private_segment_buffer 1
		.amdhsa_user_sgpr_dispatch_ptr 0
		.amdhsa_user_sgpr_queue_ptr 0
		.amdhsa_user_sgpr_kernarg_segment_ptr 1
		.amdhsa_user_sgpr_dispatch_id 0
		.amdhsa_user_sgpr_flat_scratch_init 0
		.amdhsa_user_sgpr_private_segment_size 0
		.amdhsa_wavefront_size32 1
		.amdhsa_uses_dynamic_stack 0
		.amdhsa_system_sgpr_private_segment_wavefront_offset 0
		.amdhsa_system_sgpr_workgroup_id_x 1
		.amdhsa_system_sgpr_workgroup_id_y 0
		.amdhsa_system_sgpr_workgroup_id_z 0
		.amdhsa_system_sgpr_workgroup_info 0
		.amdhsa_system_vgpr_workitem_id 0
		.amdhsa_next_free_vgpr 1
		.amdhsa_next_free_sgpr 1
		.amdhsa_reserve_vcc 0
		.amdhsa_reserve_flat_scratch 0
		.amdhsa_float_round_mode_32 0
		.amdhsa_float_round_mode_16_64 0
		.amdhsa_float_denorm_mode_32 3
		.amdhsa_float_denorm_mode_16_64 3
		.amdhsa_dx10_clamp 1
		.amdhsa_ieee_mode 1
		.amdhsa_fp16_overflow 0
		.amdhsa_workgroup_processor_mode 1
		.amdhsa_memory_ordered 1
		.amdhsa_forward_progress 1
		.amdhsa_shared_vgpr_count 0
		.amdhsa_exception_fp_ieee_invalid_op 0
		.amdhsa_exception_fp_denorm_src 0
		.amdhsa_exception_fp_ieee_div_zero 0
		.amdhsa_exception_fp_ieee_overflow 0
		.amdhsa_exception_fp_ieee_underflow 0
		.amdhsa_exception_fp_ieee_inexact 0
		.amdhsa_exception_int_div_zero 0
	.end_amdhsa_kernel
	.section	.text._ZN7rocprim17ROCPRIM_400000_NS6detail17trampoline_kernelINS0_14default_configENS1_27scan_by_key_config_selectorIxxEEZZNS1_16scan_by_key_implILNS1_25lookback_scan_determinismE0ELb0ES3_N6thrust23THRUST_200600_302600_NS6detail15normal_iteratorINS9_10device_ptrIxEEEENS9_18transform_iteratorINS9_6negateIxEESE_NS9_11use_defaultESI_EESE_xNS9_4plusIvEENS9_8equal_toIvEExEE10hipError_tPvRmT2_T3_T4_T5_mT6_T7_P12ihipStream_tbENKUlT_T0_E_clISt17integral_constantIbLb0EES14_EEDaSZ_S10_EUlSZ_E_NS1_11comp_targetILNS1_3genE10ELNS1_11target_archE1200ELNS1_3gpuE4ELNS1_3repE0EEENS1_30default_config_static_selectorELNS0_4arch9wavefront6targetE0EEEvT1_,"axG",@progbits,_ZN7rocprim17ROCPRIM_400000_NS6detail17trampoline_kernelINS0_14default_configENS1_27scan_by_key_config_selectorIxxEEZZNS1_16scan_by_key_implILNS1_25lookback_scan_determinismE0ELb0ES3_N6thrust23THRUST_200600_302600_NS6detail15normal_iteratorINS9_10device_ptrIxEEEENS9_18transform_iteratorINS9_6negateIxEESE_NS9_11use_defaultESI_EESE_xNS9_4plusIvEENS9_8equal_toIvEExEE10hipError_tPvRmT2_T3_T4_T5_mT6_T7_P12ihipStream_tbENKUlT_T0_E_clISt17integral_constantIbLb0EES14_EEDaSZ_S10_EUlSZ_E_NS1_11comp_targetILNS1_3genE10ELNS1_11target_archE1200ELNS1_3gpuE4ELNS1_3repE0EEENS1_30default_config_static_selectorELNS0_4arch9wavefront6targetE0EEEvT1_,comdat
.Lfunc_end899:
	.size	_ZN7rocprim17ROCPRIM_400000_NS6detail17trampoline_kernelINS0_14default_configENS1_27scan_by_key_config_selectorIxxEEZZNS1_16scan_by_key_implILNS1_25lookback_scan_determinismE0ELb0ES3_N6thrust23THRUST_200600_302600_NS6detail15normal_iteratorINS9_10device_ptrIxEEEENS9_18transform_iteratorINS9_6negateIxEESE_NS9_11use_defaultESI_EESE_xNS9_4plusIvEENS9_8equal_toIvEExEE10hipError_tPvRmT2_T3_T4_T5_mT6_T7_P12ihipStream_tbENKUlT_T0_E_clISt17integral_constantIbLb0EES14_EEDaSZ_S10_EUlSZ_E_NS1_11comp_targetILNS1_3genE10ELNS1_11target_archE1200ELNS1_3gpuE4ELNS1_3repE0EEENS1_30default_config_static_selectorELNS0_4arch9wavefront6targetE0EEEvT1_, .Lfunc_end899-_ZN7rocprim17ROCPRIM_400000_NS6detail17trampoline_kernelINS0_14default_configENS1_27scan_by_key_config_selectorIxxEEZZNS1_16scan_by_key_implILNS1_25lookback_scan_determinismE0ELb0ES3_N6thrust23THRUST_200600_302600_NS6detail15normal_iteratorINS9_10device_ptrIxEEEENS9_18transform_iteratorINS9_6negateIxEESE_NS9_11use_defaultESI_EESE_xNS9_4plusIvEENS9_8equal_toIvEExEE10hipError_tPvRmT2_T3_T4_T5_mT6_T7_P12ihipStream_tbENKUlT_T0_E_clISt17integral_constantIbLb0EES14_EEDaSZ_S10_EUlSZ_E_NS1_11comp_targetILNS1_3genE10ELNS1_11target_archE1200ELNS1_3gpuE4ELNS1_3repE0EEENS1_30default_config_static_selectorELNS0_4arch9wavefront6targetE0EEEvT1_
                                        ; -- End function
	.set _ZN7rocprim17ROCPRIM_400000_NS6detail17trampoline_kernelINS0_14default_configENS1_27scan_by_key_config_selectorIxxEEZZNS1_16scan_by_key_implILNS1_25lookback_scan_determinismE0ELb0ES3_N6thrust23THRUST_200600_302600_NS6detail15normal_iteratorINS9_10device_ptrIxEEEENS9_18transform_iteratorINS9_6negateIxEESE_NS9_11use_defaultESI_EESE_xNS9_4plusIvEENS9_8equal_toIvEExEE10hipError_tPvRmT2_T3_T4_T5_mT6_T7_P12ihipStream_tbENKUlT_T0_E_clISt17integral_constantIbLb0EES14_EEDaSZ_S10_EUlSZ_E_NS1_11comp_targetILNS1_3genE10ELNS1_11target_archE1200ELNS1_3gpuE4ELNS1_3repE0EEENS1_30default_config_static_selectorELNS0_4arch9wavefront6targetE0EEEvT1_.num_vgpr, 0
	.set _ZN7rocprim17ROCPRIM_400000_NS6detail17trampoline_kernelINS0_14default_configENS1_27scan_by_key_config_selectorIxxEEZZNS1_16scan_by_key_implILNS1_25lookback_scan_determinismE0ELb0ES3_N6thrust23THRUST_200600_302600_NS6detail15normal_iteratorINS9_10device_ptrIxEEEENS9_18transform_iteratorINS9_6negateIxEESE_NS9_11use_defaultESI_EESE_xNS9_4plusIvEENS9_8equal_toIvEExEE10hipError_tPvRmT2_T3_T4_T5_mT6_T7_P12ihipStream_tbENKUlT_T0_E_clISt17integral_constantIbLb0EES14_EEDaSZ_S10_EUlSZ_E_NS1_11comp_targetILNS1_3genE10ELNS1_11target_archE1200ELNS1_3gpuE4ELNS1_3repE0EEENS1_30default_config_static_selectorELNS0_4arch9wavefront6targetE0EEEvT1_.num_agpr, 0
	.set _ZN7rocprim17ROCPRIM_400000_NS6detail17trampoline_kernelINS0_14default_configENS1_27scan_by_key_config_selectorIxxEEZZNS1_16scan_by_key_implILNS1_25lookback_scan_determinismE0ELb0ES3_N6thrust23THRUST_200600_302600_NS6detail15normal_iteratorINS9_10device_ptrIxEEEENS9_18transform_iteratorINS9_6negateIxEESE_NS9_11use_defaultESI_EESE_xNS9_4plusIvEENS9_8equal_toIvEExEE10hipError_tPvRmT2_T3_T4_T5_mT6_T7_P12ihipStream_tbENKUlT_T0_E_clISt17integral_constantIbLb0EES14_EEDaSZ_S10_EUlSZ_E_NS1_11comp_targetILNS1_3genE10ELNS1_11target_archE1200ELNS1_3gpuE4ELNS1_3repE0EEENS1_30default_config_static_selectorELNS0_4arch9wavefront6targetE0EEEvT1_.numbered_sgpr, 0
	.set _ZN7rocprim17ROCPRIM_400000_NS6detail17trampoline_kernelINS0_14default_configENS1_27scan_by_key_config_selectorIxxEEZZNS1_16scan_by_key_implILNS1_25lookback_scan_determinismE0ELb0ES3_N6thrust23THRUST_200600_302600_NS6detail15normal_iteratorINS9_10device_ptrIxEEEENS9_18transform_iteratorINS9_6negateIxEESE_NS9_11use_defaultESI_EESE_xNS9_4plusIvEENS9_8equal_toIvEExEE10hipError_tPvRmT2_T3_T4_T5_mT6_T7_P12ihipStream_tbENKUlT_T0_E_clISt17integral_constantIbLb0EES14_EEDaSZ_S10_EUlSZ_E_NS1_11comp_targetILNS1_3genE10ELNS1_11target_archE1200ELNS1_3gpuE4ELNS1_3repE0EEENS1_30default_config_static_selectorELNS0_4arch9wavefront6targetE0EEEvT1_.num_named_barrier, 0
	.set _ZN7rocprim17ROCPRIM_400000_NS6detail17trampoline_kernelINS0_14default_configENS1_27scan_by_key_config_selectorIxxEEZZNS1_16scan_by_key_implILNS1_25lookback_scan_determinismE0ELb0ES3_N6thrust23THRUST_200600_302600_NS6detail15normal_iteratorINS9_10device_ptrIxEEEENS9_18transform_iteratorINS9_6negateIxEESE_NS9_11use_defaultESI_EESE_xNS9_4plusIvEENS9_8equal_toIvEExEE10hipError_tPvRmT2_T3_T4_T5_mT6_T7_P12ihipStream_tbENKUlT_T0_E_clISt17integral_constantIbLb0EES14_EEDaSZ_S10_EUlSZ_E_NS1_11comp_targetILNS1_3genE10ELNS1_11target_archE1200ELNS1_3gpuE4ELNS1_3repE0EEENS1_30default_config_static_selectorELNS0_4arch9wavefront6targetE0EEEvT1_.private_seg_size, 0
	.set _ZN7rocprim17ROCPRIM_400000_NS6detail17trampoline_kernelINS0_14default_configENS1_27scan_by_key_config_selectorIxxEEZZNS1_16scan_by_key_implILNS1_25lookback_scan_determinismE0ELb0ES3_N6thrust23THRUST_200600_302600_NS6detail15normal_iteratorINS9_10device_ptrIxEEEENS9_18transform_iteratorINS9_6negateIxEESE_NS9_11use_defaultESI_EESE_xNS9_4plusIvEENS9_8equal_toIvEExEE10hipError_tPvRmT2_T3_T4_T5_mT6_T7_P12ihipStream_tbENKUlT_T0_E_clISt17integral_constantIbLb0EES14_EEDaSZ_S10_EUlSZ_E_NS1_11comp_targetILNS1_3genE10ELNS1_11target_archE1200ELNS1_3gpuE4ELNS1_3repE0EEENS1_30default_config_static_selectorELNS0_4arch9wavefront6targetE0EEEvT1_.uses_vcc, 0
	.set _ZN7rocprim17ROCPRIM_400000_NS6detail17trampoline_kernelINS0_14default_configENS1_27scan_by_key_config_selectorIxxEEZZNS1_16scan_by_key_implILNS1_25lookback_scan_determinismE0ELb0ES3_N6thrust23THRUST_200600_302600_NS6detail15normal_iteratorINS9_10device_ptrIxEEEENS9_18transform_iteratorINS9_6negateIxEESE_NS9_11use_defaultESI_EESE_xNS9_4plusIvEENS9_8equal_toIvEExEE10hipError_tPvRmT2_T3_T4_T5_mT6_T7_P12ihipStream_tbENKUlT_T0_E_clISt17integral_constantIbLb0EES14_EEDaSZ_S10_EUlSZ_E_NS1_11comp_targetILNS1_3genE10ELNS1_11target_archE1200ELNS1_3gpuE4ELNS1_3repE0EEENS1_30default_config_static_selectorELNS0_4arch9wavefront6targetE0EEEvT1_.uses_flat_scratch, 0
	.set _ZN7rocprim17ROCPRIM_400000_NS6detail17trampoline_kernelINS0_14default_configENS1_27scan_by_key_config_selectorIxxEEZZNS1_16scan_by_key_implILNS1_25lookback_scan_determinismE0ELb0ES3_N6thrust23THRUST_200600_302600_NS6detail15normal_iteratorINS9_10device_ptrIxEEEENS9_18transform_iteratorINS9_6negateIxEESE_NS9_11use_defaultESI_EESE_xNS9_4plusIvEENS9_8equal_toIvEExEE10hipError_tPvRmT2_T3_T4_T5_mT6_T7_P12ihipStream_tbENKUlT_T0_E_clISt17integral_constantIbLb0EES14_EEDaSZ_S10_EUlSZ_E_NS1_11comp_targetILNS1_3genE10ELNS1_11target_archE1200ELNS1_3gpuE4ELNS1_3repE0EEENS1_30default_config_static_selectorELNS0_4arch9wavefront6targetE0EEEvT1_.has_dyn_sized_stack, 0
	.set _ZN7rocprim17ROCPRIM_400000_NS6detail17trampoline_kernelINS0_14default_configENS1_27scan_by_key_config_selectorIxxEEZZNS1_16scan_by_key_implILNS1_25lookback_scan_determinismE0ELb0ES3_N6thrust23THRUST_200600_302600_NS6detail15normal_iteratorINS9_10device_ptrIxEEEENS9_18transform_iteratorINS9_6negateIxEESE_NS9_11use_defaultESI_EESE_xNS9_4plusIvEENS9_8equal_toIvEExEE10hipError_tPvRmT2_T3_T4_T5_mT6_T7_P12ihipStream_tbENKUlT_T0_E_clISt17integral_constantIbLb0EES14_EEDaSZ_S10_EUlSZ_E_NS1_11comp_targetILNS1_3genE10ELNS1_11target_archE1200ELNS1_3gpuE4ELNS1_3repE0EEENS1_30default_config_static_selectorELNS0_4arch9wavefront6targetE0EEEvT1_.has_recursion, 0
	.set _ZN7rocprim17ROCPRIM_400000_NS6detail17trampoline_kernelINS0_14default_configENS1_27scan_by_key_config_selectorIxxEEZZNS1_16scan_by_key_implILNS1_25lookback_scan_determinismE0ELb0ES3_N6thrust23THRUST_200600_302600_NS6detail15normal_iteratorINS9_10device_ptrIxEEEENS9_18transform_iteratorINS9_6negateIxEESE_NS9_11use_defaultESI_EESE_xNS9_4plusIvEENS9_8equal_toIvEExEE10hipError_tPvRmT2_T3_T4_T5_mT6_T7_P12ihipStream_tbENKUlT_T0_E_clISt17integral_constantIbLb0EES14_EEDaSZ_S10_EUlSZ_E_NS1_11comp_targetILNS1_3genE10ELNS1_11target_archE1200ELNS1_3gpuE4ELNS1_3repE0EEENS1_30default_config_static_selectorELNS0_4arch9wavefront6targetE0EEEvT1_.has_indirect_call, 0
	.section	.AMDGPU.csdata,"",@progbits
; Kernel info:
; codeLenInByte = 0
; TotalNumSgprs: 0
; NumVgprs: 0
; ScratchSize: 0
; MemoryBound: 0
; FloatMode: 240
; IeeeMode: 1
; LDSByteSize: 0 bytes/workgroup (compile time only)
; SGPRBlocks: 0
; VGPRBlocks: 0
; NumSGPRsForWavesPerEU: 1
; NumVGPRsForWavesPerEU: 1
; Occupancy: 16
; WaveLimiterHint : 0
; COMPUTE_PGM_RSRC2:SCRATCH_EN: 0
; COMPUTE_PGM_RSRC2:USER_SGPR: 6
; COMPUTE_PGM_RSRC2:TRAP_HANDLER: 0
; COMPUTE_PGM_RSRC2:TGID_X_EN: 1
; COMPUTE_PGM_RSRC2:TGID_Y_EN: 0
; COMPUTE_PGM_RSRC2:TGID_Z_EN: 0
; COMPUTE_PGM_RSRC2:TIDIG_COMP_CNT: 0
	.section	.text._ZN7rocprim17ROCPRIM_400000_NS6detail17trampoline_kernelINS0_14default_configENS1_27scan_by_key_config_selectorIxxEEZZNS1_16scan_by_key_implILNS1_25lookback_scan_determinismE0ELb0ES3_N6thrust23THRUST_200600_302600_NS6detail15normal_iteratorINS9_10device_ptrIxEEEENS9_18transform_iteratorINS9_6negateIxEESE_NS9_11use_defaultESI_EESE_xNS9_4plusIvEENS9_8equal_toIvEExEE10hipError_tPvRmT2_T3_T4_T5_mT6_T7_P12ihipStream_tbENKUlT_T0_E_clISt17integral_constantIbLb0EES14_EEDaSZ_S10_EUlSZ_E_NS1_11comp_targetILNS1_3genE9ELNS1_11target_archE1100ELNS1_3gpuE3ELNS1_3repE0EEENS1_30default_config_static_selectorELNS0_4arch9wavefront6targetE0EEEvT1_,"axG",@progbits,_ZN7rocprim17ROCPRIM_400000_NS6detail17trampoline_kernelINS0_14default_configENS1_27scan_by_key_config_selectorIxxEEZZNS1_16scan_by_key_implILNS1_25lookback_scan_determinismE0ELb0ES3_N6thrust23THRUST_200600_302600_NS6detail15normal_iteratorINS9_10device_ptrIxEEEENS9_18transform_iteratorINS9_6negateIxEESE_NS9_11use_defaultESI_EESE_xNS9_4plusIvEENS9_8equal_toIvEExEE10hipError_tPvRmT2_T3_T4_T5_mT6_T7_P12ihipStream_tbENKUlT_T0_E_clISt17integral_constantIbLb0EES14_EEDaSZ_S10_EUlSZ_E_NS1_11comp_targetILNS1_3genE9ELNS1_11target_archE1100ELNS1_3gpuE3ELNS1_3repE0EEENS1_30default_config_static_selectorELNS0_4arch9wavefront6targetE0EEEvT1_,comdat
	.protected	_ZN7rocprim17ROCPRIM_400000_NS6detail17trampoline_kernelINS0_14default_configENS1_27scan_by_key_config_selectorIxxEEZZNS1_16scan_by_key_implILNS1_25lookback_scan_determinismE0ELb0ES3_N6thrust23THRUST_200600_302600_NS6detail15normal_iteratorINS9_10device_ptrIxEEEENS9_18transform_iteratorINS9_6negateIxEESE_NS9_11use_defaultESI_EESE_xNS9_4plusIvEENS9_8equal_toIvEExEE10hipError_tPvRmT2_T3_T4_T5_mT6_T7_P12ihipStream_tbENKUlT_T0_E_clISt17integral_constantIbLb0EES14_EEDaSZ_S10_EUlSZ_E_NS1_11comp_targetILNS1_3genE9ELNS1_11target_archE1100ELNS1_3gpuE3ELNS1_3repE0EEENS1_30default_config_static_selectorELNS0_4arch9wavefront6targetE0EEEvT1_ ; -- Begin function _ZN7rocprim17ROCPRIM_400000_NS6detail17trampoline_kernelINS0_14default_configENS1_27scan_by_key_config_selectorIxxEEZZNS1_16scan_by_key_implILNS1_25lookback_scan_determinismE0ELb0ES3_N6thrust23THRUST_200600_302600_NS6detail15normal_iteratorINS9_10device_ptrIxEEEENS9_18transform_iteratorINS9_6negateIxEESE_NS9_11use_defaultESI_EESE_xNS9_4plusIvEENS9_8equal_toIvEExEE10hipError_tPvRmT2_T3_T4_T5_mT6_T7_P12ihipStream_tbENKUlT_T0_E_clISt17integral_constantIbLb0EES14_EEDaSZ_S10_EUlSZ_E_NS1_11comp_targetILNS1_3genE9ELNS1_11target_archE1100ELNS1_3gpuE3ELNS1_3repE0EEENS1_30default_config_static_selectorELNS0_4arch9wavefront6targetE0EEEvT1_
	.globl	_ZN7rocprim17ROCPRIM_400000_NS6detail17trampoline_kernelINS0_14default_configENS1_27scan_by_key_config_selectorIxxEEZZNS1_16scan_by_key_implILNS1_25lookback_scan_determinismE0ELb0ES3_N6thrust23THRUST_200600_302600_NS6detail15normal_iteratorINS9_10device_ptrIxEEEENS9_18transform_iteratorINS9_6negateIxEESE_NS9_11use_defaultESI_EESE_xNS9_4plusIvEENS9_8equal_toIvEExEE10hipError_tPvRmT2_T3_T4_T5_mT6_T7_P12ihipStream_tbENKUlT_T0_E_clISt17integral_constantIbLb0EES14_EEDaSZ_S10_EUlSZ_E_NS1_11comp_targetILNS1_3genE9ELNS1_11target_archE1100ELNS1_3gpuE3ELNS1_3repE0EEENS1_30default_config_static_selectorELNS0_4arch9wavefront6targetE0EEEvT1_
	.p2align	8
	.type	_ZN7rocprim17ROCPRIM_400000_NS6detail17trampoline_kernelINS0_14default_configENS1_27scan_by_key_config_selectorIxxEEZZNS1_16scan_by_key_implILNS1_25lookback_scan_determinismE0ELb0ES3_N6thrust23THRUST_200600_302600_NS6detail15normal_iteratorINS9_10device_ptrIxEEEENS9_18transform_iteratorINS9_6negateIxEESE_NS9_11use_defaultESI_EESE_xNS9_4plusIvEENS9_8equal_toIvEExEE10hipError_tPvRmT2_T3_T4_T5_mT6_T7_P12ihipStream_tbENKUlT_T0_E_clISt17integral_constantIbLb0EES14_EEDaSZ_S10_EUlSZ_E_NS1_11comp_targetILNS1_3genE9ELNS1_11target_archE1100ELNS1_3gpuE3ELNS1_3repE0EEENS1_30default_config_static_selectorELNS0_4arch9wavefront6targetE0EEEvT1_,@function
_ZN7rocprim17ROCPRIM_400000_NS6detail17trampoline_kernelINS0_14default_configENS1_27scan_by_key_config_selectorIxxEEZZNS1_16scan_by_key_implILNS1_25lookback_scan_determinismE0ELb0ES3_N6thrust23THRUST_200600_302600_NS6detail15normal_iteratorINS9_10device_ptrIxEEEENS9_18transform_iteratorINS9_6negateIxEESE_NS9_11use_defaultESI_EESE_xNS9_4plusIvEENS9_8equal_toIvEExEE10hipError_tPvRmT2_T3_T4_T5_mT6_T7_P12ihipStream_tbENKUlT_T0_E_clISt17integral_constantIbLb0EES14_EEDaSZ_S10_EUlSZ_E_NS1_11comp_targetILNS1_3genE9ELNS1_11target_archE1100ELNS1_3gpuE3ELNS1_3repE0EEENS1_30default_config_static_selectorELNS0_4arch9wavefront6targetE0EEEvT1_: ; @_ZN7rocprim17ROCPRIM_400000_NS6detail17trampoline_kernelINS0_14default_configENS1_27scan_by_key_config_selectorIxxEEZZNS1_16scan_by_key_implILNS1_25lookback_scan_determinismE0ELb0ES3_N6thrust23THRUST_200600_302600_NS6detail15normal_iteratorINS9_10device_ptrIxEEEENS9_18transform_iteratorINS9_6negateIxEESE_NS9_11use_defaultESI_EESE_xNS9_4plusIvEENS9_8equal_toIvEExEE10hipError_tPvRmT2_T3_T4_T5_mT6_T7_P12ihipStream_tbENKUlT_T0_E_clISt17integral_constantIbLb0EES14_EEDaSZ_S10_EUlSZ_E_NS1_11comp_targetILNS1_3genE9ELNS1_11target_archE1100ELNS1_3gpuE3ELNS1_3repE0EEENS1_30default_config_static_selectorELNS0_4arch9wavefront6targetE0EEEvT1_
; %bb.0:
	.section	.rodata,"a",@progbits
	.p2align	6, 0x0
	.amdhsa_kernel _ZN7rocprim17ROCPRIM_400000_NS6detail17trampoline_kernelINS0_14default_configENS1_27scan_by_key_config_selectorIxxEEZZNS1_16scan_by_key_implILNS1_25lookback_scan_determinismE0ELb0ES3_N6thrust23THRUST_200600_302600_NS6detail15normal_iteratorINS9_10device_ptrIxEEEENS9_18transform_iteratorINS9_6negateIxEESE_NS9_11use_defaultESI_EESE_xNS9_4plusIvEENS9_8equal_toIvEExEE10hipError_tPvRmT2_T3_T4_T5_mT6_T7_P12ihipStream_tbENKUlT_T0_E_clISt17integral_constantIbLb0EES14_EEDaSZ_S10_EUlSZ_E_NS1_11comp_targetILNS1_3genE9ELNS1_11target_archE1100ELNS1_3gpuE3ELNS1_3repE0EEENS1_30default_config_static_selectorELNS0_4arch9wavefront6targetE0EEEvT1_
		.amdhsa_group_segment_fixed_size 0
		.amdhsa_private_segment_fixed_size 0
		.amdhsa_kernarg_size 144
		.amdhsa_user_sgpr_count 6
		.amdhsa_user_sgpr_private_segment_buffer 1
		.amdhsa_user_sgpr_dispatch_ptr 0
		.amdhsa_user_sgpr_queue_ptr 0
		.amdhsa_user_sgpr_kernarg_segment_ptr 1
		.amdhsa_user_sgpr_dispatch_id 0
		.amdhsa_user_sgpr_flat_scratch_init 0
		.amdhsa_user_sgpr_private_segment_size 0
		.amdhsa_wavefront_size32 1
		.amdhsa_uses_dynamic_stack 0
		.amdhsa_system_sgpr_private_segment_wavefront_offset 0
		.amdhsa_system_sgpr_workgroup_id_x 1
		.amdhsa_system_sgpr_workgroup_id_y 0
		.amdhsa_system_sgpr_workgroup_id_z 0
		.amdhsa_system_sgpr_workgroup_info 0
		.amdhsa_system_vgpr_workitem_id 0
		.amdhsa_next_free_vgpr 1
		.amdhsa_next_free_sgpr 1
		.amdhsa_reserve_vcc 0
		.amdhsa_reserve_flat_scratch 0
		.amdhsa_float_round_mode_32 0
		.amdhsa_float_round_mode_16_64 0
		.amdhsa_float_denorm_mode_32 3
		.amdhsa_float_denorm_mode_16_64 3
		.amdhsa_dx10_clamp 1
		.amdhsa_ieee_mode 1
		.amdhsa_fp16_overflow 0
		.amdhsa_workgroup_processor_mode 1
		.amdhsa_memory_ordered 1
		.amdhsa_forward_progress 1
		.amdhsa_shared_vgpr_count 0
		.amdhsa_exception_fp_ieee_invalid_op 0
		.amdhsa_exception_fp_denorm_src 0
		.amdhsa_exception_fp_ieee_div_zero 0
		.amdhsa_exception_fp_ieee_overflow 0
		.amdhsa_exception_fp_ieee_underflow 0
		.amdhsa_exception_fp_ieee_inexact 0
		.amdhsa_exception_int_div_zero 0
	.end_amdhsa_kernel
	.section	.text._ZN7rocprim17ROCPRIM_400000_NS6detail17trampoline_kernelINS0_14default_configENS1_27scan_by_key_config_selectorIxxEEZZNS1_16scan_by_key_implILNS1_25lookback_scan_determinismE0ELb0ES3_N6thrust23THRUST_200600_302600_NS6detail15normal_iteratorINS9_10device_ptrIxEEEENS9_18transform_iteratorINS9_6negateIxEESE_NS9_11use_defaultESI_EESE_xNS9_4plusIvEENS9_8equal_toIvEExEE10hipError_tPvRmT2_T3_T4_T5_mT6_T7_P12ihipStream_tbENKUlT_T0_E_clISt17integral_constantIbLb0EES14_EEDaSZ_S10_EUlSZ_E_NS1_11comp_targetILNS1_3genE9ELNS1_11target_archE1100ELNS1_3gpuE3ELNS1_3repE0EEENS1_30default_config_static_selectorELNS0_4arch9wavefront6targetE0EEEvT1_,"axG",@progbits,_ZN7rocprim17ROCPRIM_400000_NS6detail17trampoline_kernelINS0_14default_configENS1_27scan_by_key_config_selectorIxxEEZZNS1_16scan_by_key_implILNS1_25lookback_scan_determinismE0ELb0ES3_N6thrust23THRUST_200600_302600_NS6detail15normal_iteratorINS9_10device_ptrIxEEEENS9_18transform_iteratorINS9_6negateIxEESE_NS9_11use_defaultESI_EESE_xNS9_4plusIvEENS9_8equal_toIvEExEE10hipError_tPvRmT2_T3_T4_T5_mT6_T7_P12ihipStream_tbENKUlT_T0_E_clISt17integral_constantIbLb0EES14_EEDaSZ_S10_EUlSZ_E_NS1_11comp_targetILNS1_3genE9ELNS1_11target_archE1100ELNS1_3gpuE3ELNS1_3repE0EEENS1_30default_config_static_selectorELNS0_4arch9wavefront6targetE0EEEvT1_,comdat
.Lfunc_end900:
	.size	_ZN7rocprim17ROCPRIM_400000_NS6detail17trampoline_kernelINS0_14default_configENS1_27scan_by_key_config_selectorIxxEEZZNS1_16scan_by_key_implILNS1_25lookback_scan_determinismE0ELb0ES3_N6thrust23THRUST_200600_302600_NS6detail15normal_iteratorINS9_10device_ptrIxEEEENS9_18transform_iteratorINS9_6negateIxEESE_NS9_11use_defaultESI_EESE_xNS9_4plusIvEENS9_8equal_toIvEExEE10hipError_tPvRmT2_T3_T4_T5_mT6_T7_P12ihipStream_tbENKUlT_T0_E_clISt17integral_constantIbLb0EES14_EEDaSZ_S10_EUlSZ_E_NS1_11comp_targetILNS1_3genE9ELNS1_11target_archE1100ELNS1_3gpuE3ELNS1_3repE0EEENS1_30default_config_static_selectorELNS0_4arch9wavefront6targetE0EEEvT1_, .Lfunc_end900-_ZN7rocprim17ROCPRIM_400000_NS6detail17trampoline_kernelINS0_14default_configENS1_27scan_by_key_config_selectorIxxEEZZNS1_16scan_by_key_implILNS1_25lookback_scan_determinismE0ELb0ES3_N6thrust23THRUST_200600_302600_NS6detail15normal_iteratorINS9_10device_ptrIxEEEENS9_18transform_iteratorINS9_6negateIxEESE_NS9_11use_defaultESI_EESE_xNS9_4plusIvEENS9_8equal_toIvEExEE10hipError_tPvRmT2_T3_T4_T5_mT6_T7_P12ihipStream_tbENKUlT_T0_E_clISt17integral_constantIbLb0EES14_EEDaSZ_S10_EUlSZ_E_NS1_11comp_targetILNS1_3genE9ELNS1_11target_archE1100ELNS1_3gpuE3ELNS1_3repE0EEENS1_30default_config_static_selectorELNS0_4arch9wavefront6targetE0EEEvT1_
                                        ; -- End function
	.set _ZN7rocprim17ROCPRIM_400000_NS6detail17trampoline_kernelINS0_14default_configENS1_27scan_by_key_config_selectorIxxEEZZNS1_16scan_by_key_implILNS1_25lookback_scan_determinismE0ELb0ES3_N6thrust23THRUST_200600_302600_NS6detail15normal_iteratorINS9_10device_ptrIxEEEENS9_18transform_iteratorINS9_6negateIxEESE_NS9_11use_defaultESI_EESE_xNS9_4plusIvEENS9_8equal_toIvEExEE10hipError_tPvRmT2_T3_T4_T5_mT6_T7_P12ihipStream_tbENKUlT_T0_E_clISt17integral_constantIbLb0EES14_EEDaSZ_S10_EUlSZ_E_NS1_11comp_targetILNS1_3genE9ELNS1_11target_archE1100ELNS1_3gpuE3ELNS1_3repE0EEENS1_30default_config_static_selectorELNS0_4arch9wavefront6targetE0EEEvT1_.num_vgpr, 0
	.set _ZN7rocprim17ROCPRIM_400000_NS6detail17trampoline_kernelINS0_14default_configENS1_27scan_by_key_config_selectorIxxEEZZNS1_16scan_by_key_implILNS1_25lookback_scan_determinismE0ELb0ES3_N6thrust23THRUST_200600_302600_NS6detail15normal_iteratorINS9_10device_ptrIxEEEENS9_18transform_iteratorINS9_6negateIxEESE_NS9_11use_defaultESI_EESE_xNS9_4plusIvEENS9_8equal_toIvEExEE10hipError_tPvRmT2_T3_T4_T5_mT6_T7_P12ihipStream_tbENKUlT_T0_E_clISt17integral_constantIbLb0EES14_EEDaSZ_S10_EUlSZ_E_NS1_11comp_targetILNS1_3genE9ELNS1_11target_archE1100ELNS1_3gpuE3ELNS1_3repE0EEENS1_30default_config_static_selectorELNS0_4arch9wavefront6targetE0EEEvT1_.num_agpr, 0
	.set _ZN7rocprim17ROCPRIM_400000_NS6detail17trampoline_kernelINS0_14default_configENS1_27scan_by_key_config_selectorIxxEEZZNS1_16scan_by_key_implILNS1_25lookback_scan_determinismE0ELb0ES3_N6thrust23THRUST_200600_302600_NS6detail15normal_iteratorINS9_10device_ptrIxEEEENS9_18transform_iteratorINS9_6negateIxEESE_NS9_11use_defaultESI_EESE_xNS9_4plusIvEENS9_8equal_toIvEExEE10hipError_tPvRmT2_T3_T4_T5_mT6_T7_P12ihipStream_tbENKUlT_T0_E_clISt17integral_constantIbLb0EES14_EEDaSZ_S10_EUlSZ_E_NS1_11comp_targetILNS1_3genE9ELNS1_11target_archE1100ELNS1_3gpuE3ELNS1_3repE0EEENS1_30default_config_static_selectorELNS0_4arch9wavefront6targetE0EEEvT1_.numbered_sgpr, 0
	.set _ZN7rocprim17ROCPRIM_400000_NS6detail17trampoline_kernelINS0_14default_configENS1_27scan_by_key_config_selectorIxxEEZZNS1_16scan_by_key_implILNS1_25lookback_scan_determinismE0ELb0ES3_N6thrust23THRUST_200600_302600_NS6detail15normal_iteratorINS9_10device_ptrIxEEEENS9_18transform_iteratorINS9_6negateIxEESE_NS9_11use_defaultESI_EESE_xNS9_4plusIvEENS9_8equal_toIvEExEE10hipError_tPvRmT2_T3_T4_T5_mT6_T7_P12ihipStream_tbENKUlT_T0_E_clISt17integral_constantIbLb0EES14_EEDaSZ_S10_EUlSZ_E_NS1_11comp_targetILNS1_3genE9ELNS1_11target_archE1100ELNS1_3gpuE3ELNS1_3repE0EEENS1_30default_config_static_selectorELNS0_4arch9wavefront6targetE0EEEvT1_.num_named_barrier, 0
	.set _ZN7rocprim17ROCPRIM_400000_NS6detail17trampoline_kernelINS0_14default_configENS1_27scan_by_key_config_selectorIxxEEZZNS1_16scan_by_key_implILNS1_25lookback_scan_determinismE0ELb0ES3_N6thrust23THRUST_200600_302600_NS6detail15normal_iteratorINS9_10device_ptrIxEEEENS9_18transform_iteratorINS9_6negateIxEESE_NS9_11use_defaultESI_EESE_xNS9_4plusIvEENS9_8equal_toIvEExEE10hipError_tPvRmT2_T3_T4_T5_mT6_T7_P12ihipStream_tbENKUlT_T0_E_clISt17integral_constantIbLb0EES14_EEDaSZ_S10_EUlSZ_E_NS1_11comp_targetILNS1_3genE9ELNS1_11target_archE1100ELNS1_3gpuE3ELNS1_3repE0EEENS1_30default_config_static_selectorELNS0_4arch9wavefront6targetE0EEEvT1_.private_seg_size, 0
	.set _ZN7rocprim17ROCPRIM_400000_NS6detail17trampoline_kernelINS0_14default_configENS1_27scan_by_key_config_selectorIxxEEZZNS1_16scan_by_key_implILNS1_25lookback_scan_determinismE0ELb0ES3_N6thrust23THRUST_200600_302600_NS6detail15normal_iteratorINS9_10device_ptrIxEEEENS9_18transform_iteratorINS9_6negateIxEESE_NS9_11use_defaultESI_EESE_xNS9_4plusIvEENS9_8equal_toIvEExEE10hipError_tPvRmT2_T3_T4_T5_mT6_T7_P12ihipStream_tbENKUlT_T0_E_clISt17integral_constantIbLb0EES14_EEDaSZ_S10_EUlSZ_E_NS1_11comp_targetILNS1_3genE9ELNS1_11target_archE1100ELNS1_3gpuE3ELNS1_3repE0EEENS1_30default_config_static_selectorELNS0_4arch9wavefront6targetE0EEEvT1_.uses_vcc, 0
	.set _ZN7rocprim17ROCPRIM_400000_NS6detail17trampoline_kernelINS0_14default_configENS1_27scan_by_key_config_selectorIxxEEZZNS1_16scan_by_key_implILNS1_25lookback_scan_determinismE0ELb0ES3_N6thrust23THRUST_200600_302600_NS6detail15normal_iteratorINS9_10device_ptrIxEEEENS9_18transform_iteratorINS9_6negateIxEESE_NS9_11use_defaultESI_EESE_xNS9_4plusIvEENS9_8equal_toIvEExEE10hipError_tPvRmT2_T3_T4_T5_mT6_T7_P12ihipStream_tbENKUlT_T0_E_clISt17integral_constantIbLb0EES14_EEDaSZ_S10_EUlSZ_E_NS1_11comp_targetILNS1_3genE9ELNS1_11target_archE1100ELNS1_3gpuE3ELNS1_3repE0EEENS1_30default_config_static_selectorELNS0_4arch9wavefront6targetE0EEEvT1_.uses_flat_scratch, 0
	.set _ZN7rocprim17ROCPRIM_400000_NS6detail17trampoline_kernelINS0_14default_configENS1_27scan_by_key_config_selectorIxxEEZZNS1_16scan_by_key_implILNS1_25lookback_scan_determinismE0ELb0ES3_N6thrust23THRUST_200600_302600_NS6detail15normal_iteratorINS9_10device_ptrIxEEEENS9_18transform_iteratorINS9_6negateIxEESE_NS9_11use_defaultESI_EESE_xNS9_4plusIvEENS9_8equal_toIvEExEE10hipError_tPvRmT2_T3_T4_T5_mT6_T7_P12ihipStream_tbENKUlT_T0_E_clISt17integral_constantIbLb0EES14_EEDaSZ_S10_EUlSZ_E_NS1_11comp_targetILNS1_3genE9ELNS1_11target_archE1100ELNS1_3gpuE3ELNS1_3repE0EEENS1_30default_config_static_selectorELNS0_4arch9wavefront6targetE0EEEvT1_.has_dyn_sized_stack, 0
	.set _ZN7rocprim17ROCPRIM_400000_NS6detail17trampoline_kernelINS0_14default_configENS1_27scan_by_key_config_selectorIxxEEZZNS1_16scan_by_key_implILNS1_25lookback_scan_determinismE0ELb0ES3_N6thrust23THRUST_200600_302600_NS6detail15normal_iteratorINS9_10device_ptrIxEEEENS9_18transform_iteratorINS9_6negateIxEESE_NS9_11use_defaultESI_EESE_xNS9_4plusIvEENS9_8equal_toIvEExEE10hipError_tPvRmT2_T3_T4_T5_mT6_T7_P12ihipStream_tbENKUlT_T0_E_clISt17integral_constantIbLb0EES14_EEDaSZ_S10_EUlSZ_E_NS1_11comp_targetILNS1_3genE9ELNS1_11target_archE1100ELNS1_3gpuE3ELNS1_3repE0EEENS1_30default_config_static_selectorELNS0_4arch9wavefront6targetE0EEEvT1_.has_recursion, 0
	.set _ZN7rocprim17ROCPRIM_400000_NS6detail17trampoline_kernelINS0_14default_configENS1_27scan_by_key_config_selectorIxxEEZZNS1_16scan_by_key_implILNS1_25lookback_scan_determinismE0ELb0ES3_N6thrust23THRUST_200600_302600_NS6detail15normal_iteratorINS9_10device_ptrIxEEEENS9_18transform_iteratorINS9_6negateIxEESE_NS9_11use_defaultESI_EESE_xNS9_4plusIvEENS9_8equal_toIvEExEE10hipError_tPvRmT2_T3_T4_T5_mT6_T7_P12ihipStream_tbENKUlT_T0_E_clISt17integral_constantIbLb0EES14_EEDaSZ_S10_EUlSZ_E_NS1_11comp_targetILNS1_3genE9ELNS1_11target_archE1100ELNS1_3gpuE3ELNS1_3repE0EEENS1_30default_config_static_selectorELNS0_4arch9wavefront6targetE0EEEvT1_.has_indirect_call, 0
	.section	.AMDGPU.csdata,"",@progbits
; Kernel info:
; codeLenInByte = 0
; TotalNumSgprs: 0
; NumVgprs: 0
; ScratchSize: 0
; MemoryBound: 0
; FloatMode: 240
; IeeeMode: 1
; LDSByteSize: 0 bytes/workgroup (compile time only)
; SGPRBlocks: 0
; VGPRBlocks: 0
; NumSGPRsForWavesPerEU: 1
; NumVGPRsForWavesPerEU: 1
; Occupancy: 16
; WaveLimiterHint : 0
; COMPUTE_PGM_RSRC2:SCRATCH_EN: 0
; COMPUTE_PGM_RSRC2:USER_SGPR: 6
; COMPUTE_PGM_RSRC2:TRAP_HANDLER: 0
; COMPUTE_PGM_RSRC2:TGID_X_EN: 1
; COMPUTE_PGM_RSRC2:TGID_Y_EN: 0
; COMPUTE_PGM_RSRC2:TGID_Z_EN: 0
; COMPUTE_PGM_RSRC2:TIDIG_COMP_CNT: 0
	.section	.text._ZN7rocprim17ROCPRIM_400000_NS6detail17trampoline_kernelINS0_14default_configENS1_27scan_by_key_config_selectorIxxEEZZNS1_16scan_by_key_implILNS1_25lookback_scan_determinismE0ELb0ES3_N6thrust23THRUST_200600_302600_NS6detail15normal_iteratorINS9_10device_ptrIxEEEENS9_18transform_iteratorINS9_6negateIxEESE_NS9_11use_defaultESI_EESE_xNS9_4plusIvEENS9_8equal_toIvEExEE10hipError_tPvRmT2_T3_T4_T5_mT6_T7_P12ihipStream_tbENKUlT_T0_E_clISt17integral_constantIbLb0EES14_EEDaSZ_S10_EUlSZ_E_NS1_11comp_targetILNS1_3genE8ELNS1_11target_archE1030ELNS1_3gpuE2ELNS1_3repE0EEENS1_30default_config_static_selectorELNS0_4arch9wavefront6targetE0EEEvT1_,"axG",@progbits,_ZN7rocprim17ROCPRIM_400000_NS6detail17trampoline_kernelINS0_14default_configENS1_27scan_by_key_config_selectorIxxEEZZNS1_16scan_by_key_implILNS1_25lookback_scan_determinismE0ELb0ES3_N6thrust23THRUST_200600_302600_NS6detail15normal_iteratorINS9_10device_ptrIxEEEENS9_18transform_iteratorINS9_6negateIxEESE_NS9_11use_defaultESI_EESE_xNS9_4plusIvEENS9_8equal_toIvEExEE10hipError_tPvRmT2_T3_T4_T5_mT6_T7_P12ihipStream_tbENKUlT_T0_E_clISt17integral_constantIbLb0EES14_EEDaSZ_S10_EUlSZ_E_NS1_11comp_targetILNS1_3genE8ELNS1_11target_archE1030ELNS1_3gpuE2ELNS1_3repE0EEENS1_30default_config_static_selectorELNS0_4arch9wavefront6targetE0EEEvT1_,comdat
	.protected	_ZN7rocprim17ROCPRIM_400000_NS6detail17trampoline_kernelINS0_14default_configENS1_27scan_by_key_config_selectorIxxEEZZNS1_16scan_by_key_implILNS1_25lookback_scan_determinismE0ELb0ES3_N6thrust23THRUST_200600_302600_NS6detail15normal_iteratorINS9_10device_ptrIxEEEENS9_18transform_iteratorINS9_6negateIxEESE_NS9_11use_defaultESI_EESE_xNS9_4plusIvEENS9_8equal_toIvEExEE10hipError_tPvRmT2_T3_T4_T5_mT6_T7_P12ihipStream_tbENKUlT_T0_E_clISt17integral_constantIbLb0EES14_EEDaSZ_S10_EUlSZ_E_NS1_11comp_targetILNS1_3genE8ELNS1_11target_archE1030ELNS1_3gpuE2ELNS1_3repE0EEENS1_30default_config_static_selectorELNS0_4arch9wavefront6targetE0EEEvT1_ ; -- Begin function _ZN7rocprim17ROCPRIM_400000_NS6detail17trampoline_kernelINS0_14default_configENS1_27scan_by_key_config_selectorIxxEEZZNS1_16scan_by_key_implILNS1_25lookback_scan_determinismE0ELb0ES3_N6thrust23THRUST_200600_302600_NS6detail15normal_iteratorINS9_10device_ptrIxEEEENS9_18transform_iteratorINS9_6negateIxEESE_NS9_11use_defaultESI_EESE_xNS9_4plusIvEENS9_8equal_toIvEExEE10hipError_tPvRmT2_T3_T4_T5_mT6_T7_P12ihipStream_tbENKUlT_T0_E_clISt17integral_constantIbLb0EES14_EEDaSZ_S10_EUlSZ_E_NS1_11comp_targetILNS1_3genE8ELNS1_11target_archE1030ELNS1_3gpuE2ELNS1_3repE0EEENS1_30default_config_static_selectorELNS0_4arch9wavefront6targetE0EEEvT1_
	.globl	_ZN7rocprim17ROCPRIM_400000_NS6detail17trampoline_kernelINS0_14default_configENS1_27scan_by_key_config_selectorIxxEEZZNS1_16scan_by_key_implILNS1_25lookback_scan_determinismE0ELb0ES3_N6thrust23THRUST_200600_302600_NS6detail15normal_iteratorINS9_10device_ptrIxEEEENS9_18transform_iteratorINS9_6negateIxEESE_NS9_11use_defaultESI_EESE_xNS9_4plusIvEENS9_8equal_toIvEExEE10hipError_tPvRmT2_T3_T4_T5_mT6_T7_P12ihipStream_tbENKUlT_T0_E_clISt17integral_constantIbLb0EES14_EEDaSZ_S10_EUlSZ_E_NS1_11comp_targetILNS1_3genE8ELNS1_11target_archE1030ELNS1_3gpuE2ELNS1_3repE0EEENS1_30default_config_static_selectorELNS0_4arch9wavefront6targetE0EEEvT1_
	.p2align	8
	.type	_ZN7rocprim17ROCPRIM_400000_NS6detail17trampoline_kernelINS0_14default_configENS1_27scan_by_key_config_selectorIxxEEZZNS1_16scan_by_key_implILNS1_25lookback_scan_determinismE0ELb0ES3_N6thrust23THRUST_200600_302600_NS6detail15normal_iteratorINS9_10device_ptrIxEEEENS9_18transform_iteratorINS9_6negateIxEESE_NS9_11use_defaultESI_EESE_xNS9_4plusIvEENS9_8equal_toIvEExEE10hipError_tPvRmT2_T3_T4_T5_mT6_T7_P12ihipStream_tbENKUlT_T0_E_clISt17integral_constantIbLb0EES14_EEDaSZ_S10_EUlSZ_E_NS1_11comp_targetILNS1_3genE8ELNS1_11target_archE1030ELNS1_3gpuE2ELNS1_3repE0EEENS1_30default_config_static_selectorELNS0_4arch9wavefront6targetE0EEEvT1_,@function
_ZN7rocprim17ROCPRIM_400000_NS6detail17trampoline_kernelINS0_14default_configENS1_27scan_by_key_config_selectorIxxEEZZNS1_16scan_by_key_implILNS1_25lookback_scan_determinismE0ELb0ES3_N6thrust23THRUST_200600_302600_NS6detail15normal_iteratorINS9_10device_ptrIxEEEENS9_18transform_iteratorINS9_6negateIxEESE_NS9_11use_defaultESI_EESE_xNS9_4plusIvEENS9_8equal_toIvEExEE10hipError_tPvRmT2_T3_T4_T5_mT6_T7_P12ihipStream_tbENKUlT_T0_E_clISt17integral_constantIbLb0EES14_EEDaSZ_S10_EUlSZ_E_NS1_11comp_targetILNS1_3genE8ELNS1_11target_archE1030ELNS1_3gpuE2ELNS1_3repE0EEENS1_30default_config_static_selectorELNS0_4arch9wavefront6targetE0EEEvT1_: ; @_ZN7rocprim17ROCPRIM_400000_NS6detail17trampoline_kernelINS0_14default_configENS1_27scan_by_key_config_selectorIxxEEZZNS1_16scan_by_key_implILNS1_25lookback_scan_determinismE0ELb0ES3_N6thrust23THRUST_200600_302600_NS6detail15normal_iteratorINS9_10device_ptrIxEEEENS9_18transform_iteratorINS9_6negateIxEESE_NS9_11use_defaultESI_EESE_xNS9_4plusIvEENS9_8equal_toIvEExEE10hipError_tPvRmT2_T3_T4_T5_mT6_T7_P12ihipStream_tbENKUlT_T0_E_clISt17integral_constantIbLb0EES14_EEDaSZ_S10_EUlSZ_E_NS1_11comp_targetILNS1_3genE8ELNS1_11target_archE1030ELNS1_3gpuE2ELNS1_3repE0EEENS1_30default_config_static_selectorELNS0_4arch9wavefront6targetE0EEEvT1_
; %bb.0:
	s_clause 0x4
	s_load_dwordx4 s[8:11], s[4:5], 0x0
	s_load_dwordx2 s[34:35], s[4:5], 0x58
	s_load_dword s7, s[4:5], 0x60
	s_load_dwordx2 s[2:3], s[4:5], 0x10
	s_load_dwordx8 s[36:43], s[4:5], 0x68
	s_mov_b32 s1, 0
	s_load_dwordx8 s[20:27], s[4:5], 0x38
	s_waitcnt lgkmcnt(0)
	s_barrier
	buffer_gl0_inv
	s_lshl_b64 s[28:29], s[10:11], 3
	s_add_u32 s8, s8, s28
	s_mul_i32 s0, s35, s7
	s_mul_hi_u32 s10, s34, s7
	s_addc_u32 s9, s9, s29
	s_add_u32 s2, s2, s28
	s_addc_u32 s3, s3, s29
	s_add_i32 s10, s10, s0
	s_cmp_lg_u64 s[40:41], 0
	s_mul_i32 s0, s6, 0xd00
	s_cselect_b32 s44, -1, 0
	s_lshl_b64 s[30:31], s[0:1], 3
	s_mul_i32 s0, s34, s7
	s_add_u32 s18, s8, s30
	s_addc_u32 s19, s9, s31
	s_add_u32 s16, s2, s30
	s_addc_u32 s17, s3, s31
	;; [unrolled: 2-line block ×3, first 2 shown]
	s_add_u32 s2, s36, -1
	s_addc_u32 s3, s37, -1
	s_mul_i32 s33, s2, 0xfffff300
	v_cmp_ge_u64_e64 s27, s[40:41], s[2:3]
	s_and_b32 vcc_lo, exec_lo, s27
	s_cbranch_vccz .LBB901_72
; %bb.1:
	v_mov_b32_e32 v1, s18
	v_mov_b32_e32 v2, s19
	s_add_i32 s45, s33, s26
	v_cmp_gt_u32_e64 s0, s45, v0
	flat_load_dwordx2 v[1:2], v[1:2]
	s_waitcnt vmcnt(0) lgkmcnt(0)
	v_mov_b32_e32 v4, v2
	v_mov_b32_e32 v3, v1
	s_and_saveexec_b32 s1, s0
	s_cbranch_execz .LBB901_3
; %bb.2:
	v_lshlrev_b32_e32 v3, 3, v0
	v_add_co_u32 v3, s2, s18, v3
	v_add_co_ci_u32_e64 v4, null, s19, 0, s2
	flat_load_dwordx2 v[3:4], v[3:4]
.LBB901_3:
	s_or_b32 exec_lo, exec_lo, s1
	v_or_b32_e32 v5, 0x100, v0
	v_cmp_gt_u32_e64 s1, s45, v5
	v_lshlrev_b32_e32 v27, 3, v5
	v_mov_b32_e32 v6, v2
	v_mov_b32_e32 v5, v1
	s_and_saveexec_b32 s2, s1
	s_cbranch_execz .LBB901_5
; %bb.4:
	v_add_co_u32 v5, s3, s18, v27
	v_add_co_ci_u32_e64 v6, null, s19, 0, s3
	flat_load_dwordx2 v[5:6], v[5:6]
.LBB901_5:
	s_or_b32 exec_lo, exec_lo, s2
	v_or_b32_e32 v7, 0x200, v0
	v_cmp_gt_u32_e64 s2, s45, v7
	v_lshlrev_b32_e32 v28, 3, v7
	v_mov_b32_e32 v8, v2
	v_mov_b32_e32 v7, v1
	s_and_saveexec_b32 s3, s2
	s_cbranch_execz .LBB901_7
; %bb.6:
	v_add_co_u32 v7, s7, s18, v28
	v_add_co_ci_u32_e64 v8, null, s19, 0, s7
	flat_load_dwordx2 v[7:8], v[7:8]
.LBB901_7:
	;; [unrolled: 13-line block ×11, first 2 shown]
	s_or_b32 exec_lo, exec_lo, s15
	v_or_b32_e32 v38, 0xc00, v0
	v_cmp_gt_u32_e64 s15, s45, v38
	v_lshlrev_b32_e32 v38, 3, v38
	s_and_saveexec_b32 s36, s15
	s_cbranch_execz .LBB901_27
; %bb.26:
	v_add_co_u32 v1, s37, s18, v38
	v_add_co_ci_u32_e64 v2, null, s19, 0, s37
	flat_load_dwordx2 v[1:2], v[1:2]
.LBB901_27:
	s_or_b32 exec_lo, exec_lo, s36
	v_lshlrev_b32_e32 v39, 3, v0
	s_cmp_eq_u64 s[40:41], 0
	s_mov_b64 s[36:37], s[18:19]
	s_waitcnt vmcnt(0) lgkmcnt(0)
	ds_write2st64_b64 v39, v[3:4], v[5:6] offset1:4
	ds_write2st64_b64 v39, v[7:8], v[9:10] offset0:8 offset1:12
	ds_write2st64_b64 v39, v[11:12], v[13:14] offset0:16 offset1:20
	;; [unrolled: 1-line block ×5, first 2 shown]
	v_mad_u32_u24 v102, 0x60, v0, v39
	ds_write_b64 v39, v[1:2] offset:24576
	s_waitcnt lgkmcnt(0)
	s_barrier
	buffer_gl0_inv
	ds_read2_b64 v[65:68], v102 offset0:2 offset1:3
	ds_read2_b64 v[57:60], v102 offset0:3 offset1:4
	ds_read2_b64 v[69:72], v102 offset1:1
	ds_read2_b64 v[73:76], v102 offset0:1 offset1:2
	ds_read2_b64 v[49:52], v102 offset0:7 offset1:8
	;; [unrolled: 1-line block ×5, first 2 shown]
	s_cbranch_scc1 .LBB901_31
; %bb.28:
	s_andn2_b32 vcc_lo, exec_lo, s44
	s_cbranch_vccnz .LBB901_237
; %bb.29:
	s_lshl_b64 s[36:37], s[40:41], 3
	s_add_u32 s36, s42, s36
	s_addc_u32 s37, s43, s37
	s_add_u32 s36, s36, -8
	s_addc_u32 s37, s37, -1
	s_cbranch_execnz .LBB901_31
.LBB901_30:
	s_add_u32 s36, s18, -8
	s_addc_u32 s37, s19, -1
.LBB901_31:
	v_mov_b32_e32 v1, s36
	v_mov_b32_e32 v2, s37
	s_mov_b32 s36, exec_lo
	flat_load_dwordx2 v[11:12], v[1:2]
	v_mad_i32_i24 v1, 0xffffffa0, v0, v102
	s_waitcnt lgkmcnt(1)
	ds_write_b64 v1, v[47:48] offset:26624
	s_waitcnt vmcnt(0) lgkmcnt(0)
	s_barrier
	buffer_gl0_inv
	v_cmpx_ne_u32_e32 0, v0
; %bb.32:
	v_mul_i32_i24_e32 v1, 0xffffffa0, v0
	v_add_nc_u32_e32 v1, v102, v1
	ds_read_b64 v[11:12], v1 offset:26616
; %bb.33:
	s_or_b32 exec_lo, exec_lo, s36
	s_waitcnt lgkmcnt(0)
	s_barrier
	buffer_gl0_inv
                                        ; implicit-def: $vgpr1_vgpr2
	s_and_saveexec_b32 s36, s0
	s_cbranch_execnz .LBB901_225
; %bb.34:
	s_or_b32 exec_lo, exec_lo, s36
                                        ; implicit-def: $vgpr3_vgpr4
	s_and_saveexec_b32 s0, s1
	s_cbranch_execnz .LBB901_226
.LBB901_35:
	s_or_b32 exec_lo, exec_lo, s0
                                        ; implicit-def: $vgpr5_vgpr6
	s_and_saveexec_b32 s0, s2
	s_cbranch_execnz .LBB901_227
.LBB901_36:
	s_or_b32 exec_lo, exec_lo, s0
                                        ; implicit-def: $vgpr7_vgpr8
	s_and_saveexec_b32 s0, s3
	s_cbranch_execnz .LBB901_228
.LBB901_37:
	s_or_b32 exec_lo, exec_lo, s0
                                        ; implicit-def: $vgpr9_vgpr10
	s_and_saveexec_b32 s0, s7
	s_cbranch_execnz .LBB901_229
.LBB901_38:
	s_or_b32 exec_lo, exec_lo, s0
                                        ; implicit-def: $vgpr13_vgpr14
	s_and_saveexec_b32 s0, s8
	s_cbranch_execnz .LBB901_230
.LBB901_39:
	s_or_b32 exec_lo, exec_lo, s0
                                        ; implicit-def: $vgpr15_vgpr16
	s_and_saveexec_b32 s0, s9
	s_cbranch_execnz .LBB901_231
.LBB901_40:
	s_or_b32 exec_lo, exec_lo, s0
                                        ; implicit-def: $vgpr17_vgpr18
	s_and_saveexec_b32 s0, s10
	s_cbranch_execnz .LBB901_232
.LBB901_41:
	s_or_b32 exec_lo, exec_lo, s0
                                        ; implicit-def: $vgpr19_vgpr20
	s_and_saveexec_b32 s0, s11
	s_cbranch_execnz .LBB901_233
.LBB901_42:
	s_or_b32 exec_lo, exec_lo, s0
                                        ; implicit-def: $vgpr21_vgpr22
	s_and_saveexec_b32 s0, s12
	s_cbranch_execnz .LBB901_234
.LBB901_43:
	s_or_b32 exec_lo, exec_lo, s0
                                        ; implicit-def: $vgpr23_vgpr24
	s_and_saveexec_b32 s0, s13
	s_cbranch_execnz .LBB901_235
.LBB901_44:
	s_or_b32 exec_lo, exec_lo, s0
                                        ; implicit-def: $vgpr25_vgpr26
	s_and_saveexec_b32 s0, s14
	s_cbranch_execnz .LBB901_236
.LBB901_45:
	s_or_b32 exec_lo, exec_lo, s0
                                        ; implicit-def: $vgpr27_vgpr28
	s_and_saveexec_b32 s0, s15
	s_cbranch_execz .LBB901_47
.LBB901_46:
	global_load_dwordx2 v[27:28], v38, s[16:17]
	s_waitcnt vmcnt(0)
	v_sub_co_u32 v27, vcc_lo, 0, v27
	v_sub_co_ci_u32_e64 v28, null, 0, v28, vcc_lo
.LBB901_47:
	s_or_b32 exec_lo, exec_lo, s0
	v_mul_u32_u24_e32 v104, 13, v0
	ds_write2st64_b64 v39, v[1:2], v[3:4] offset1:4
	ds_write2st64_b64 v39, v[5:6], v[7:8] offset0:8 offset1:12
	ds_write2st64_b64 v39, v[9:10], v[13:14] offset0:16 offset1:20
	;; [unrolled: 1-line block ×5, first 2 shown]
	ds_write_b64 v39, v[27:28] offset:24576
	v_mov_b32_e32 v5, 0
	v_mov_b32_e32 v29, 0
	;; [unrolled: 1-line block ×22, first 2 shown]
	v_cmp_gt_u32_e32 vcc_lo, s45, v104
	v_mov_b32_e32 v99, 0
	v_mov_b32_e32 v6, 0
	;; [unrolled: 1-line block ×45, first 2 shown]
	s_mov_b32 s7, 0
	s_mov_b32 s1, 0
	s_waitcnt lgkmcnt(0)
	s_barrier
	buffer_gl0_inv
                                        ; implicit-def: $sgpr8
                                        ; implicit-def: $vgpr35_vgpr36
	s_and_saveexec_b32 s9, vcc_lo
	s_cbranch_execz .LBB901_71
; %bb.48:
	ds_read_b64 v[1:2], v102
	v_add_nc_u32_e32 v3, 1, v104
	v_mov_b32_e32 v5, 0
	v_mov_b32_e32 v29, 0
	;; [unrolled: 1-line block ×4, first 2 shown]
	v_cmp_gt_u32_e64 s0, s45, v3
	v_mov_b32_e32 v31, 0
	v_mov_b32_e32 v39, 0
	;; [unrolled: 1-line block ×59, first 2 shown]
	v_cmp_ne_u64_e32 vcc_lo, v[11:12], v[69:70]
                                        ; implicit-def: $sgpr8
                                        ; implicit-def: $vgpr35_vgpr36
	s_and_saveexec_b32 s10, s0
	s_cbranch_execz .LBB901_70
; %bb.49:
	ds_read2_b64 v[9:12], v102 offset0:1 offset1:2
	v_cmp_ne_u64_e64 s0, v[71:72], v[75:76]
	v_cmp_ne_u64_e64 s2, v[69:70], v[73:74]
	v_add_nc_u32_e32 v5, 2, v104
	v_cmp_ne_u64_e64 s1, v[67:68], v[59:60]
	v_mov_b32_e32 v29, 0
	v_mov_b32_e32 v27, 0
	v_cndmask_b32_e64 v3, 0, 1, s0
	v_cmp_ne_u64_e64 s0, v[65:66], v[57:58]
	v_cndmask_b32_e64 v4, 0, 1, s2
	v_cmp_gt_u32_e64 s2, s45, v5
	v_mov_b32_e32 v5, 0
	v_mov_b32_e32 v33, 0
	;; [unrolled: 1-line block ×17, first 2 shown]
	v_lshlrev_b16 v3, 8, v3
	v_mov_b32_e32 v99, 0
	v_mov_b32_e32 v6, 0
	;; [unrolled: 1-line block ×38, first 2 shown]
	s_mov_b32 s3, 0
                                        ; implicit-def: $sgpr8
                                        ; implicit-def: $vgpr35_vgpr36
	s_and_saveexec_b32 s11, s2
	s_cbranch_execz .LBB901_69
; %bb.50:
	v_cndmask_b32_e64 v7, 0, 1, s1
	v_cndmask_b32_e64 v8, 0, 1, s0
	v_add_nc_u32_e32 v13, 3, v104
	v_mov_b32_e32 v5, 0
	v_mov_b32_e32 v29, 0
	v_lshlrev_b16 v7, 8, v7
	v_mov_b32_e32 v27, 0
	v_mov_b32_e32 v33, 0
	;; [unrolled: 1-line block ×4, first 2 shown]
	v_or_b32_e32 v53, v8, v7
	v_mov_b32_e32 v37, 0
	v_mov_b32_e32 v55, 0
	v_cmp_gt_u32_e64 s0, s45, v13
	v_mov_b32_e32 v77, 0
	v_lshlrev_b32_e32 v54, 16, v53
	v_mov_b32_e32 v25, 0
	v_mov_b32_e32 v79, 0
	;; [unrolled: 1-line block ×4, first 2 shown]
	v_or_b32_sdwa v7, v3, v54 dst_sel:DWORD dst_unused:UNUSED_PAD src0_sel:WORD_0 src1_sel:DWORD
	v_mov_b32_e32 v17, 0
	v_mov_b32_e32 v19, 0
	;; [unrolled: 1-line block ×4, first 2 shown]
	v_lshrrev_b32_e32 v93, 8, v7
	v_mov_b32_e32 v7, 0
	v_mov_b32_e32 v6, 0
	;; [unrolled: 1-line block ×34, first 2 shown]
	s_mov_b32 s1, 0
                                        ; implicit-def: $sgpr8
                                        ; implicit-def: $vgpr35_vgpr36
	s_and_saveexec_b32 s12, s0
	s_cbranch_execz .LBB901_68
; %bb.51:
	ds_read2_b64 v[13:16], v102 offset0:3 offset1:4
	v_add_nc_u32_e32 v7, 4, v104
	v_mov_b32_e32 v5, 0
	v_mov_b32_e32 v29, 0
	;; [unrolled: 1-line block ×4, first 2 shown]
	v_cmp_gt_u32_e64 s0, s45, v7
	v_mov_b32_e32 v31, 0
	v_mov_b32_e32 v39, 0
	;; [unrolled: 1-line block ×41, first 2 shown]
                                        ; implicit-def: $sgpr8
                                        ; implicit-def: $vgpr35_vgpr36
	s_and_saveexec_b32 s13, s0
	s_cbranch_execz .LBB901_67
; %bb.52:
	v_add_nc_u32_e32 v7, 5, v104
	v_mov_b32_e32 v5, 0
	v_mov_b32_e32 v29, 0
	;; [unrolled: 1-line block ×4, first 2 shown]
	v_cmp_gt_u32_e64 s0, s45, v7
	v_mov_b32_e32 v31, 0
	v_mov_b32_e32 v39, 0
	;; [unrolled: 1-line block ×34, first 2 shown]
                                        ; implicit-def: $sgpr8
                                        ; implicit-def: $vgpr35_vgpr36
	s_and_saveexec_b32 s14, s0
	s_cbranch_execz .LBB901_66
; %bb.53:
	ds_read2_b64 v[17:20], v102 offset0:5 offset1:6
	v_cmp_ne_u64_e64 s0, v[61:62], v[63:64]
	v_cmp_ne_u64_e64 s2, v[59:60], v[61:62]
	v_add_nc_u32_e32 v6, 6, v104
	v_cmp_ne_u64_e64 s1, v[49:50], v[51:52]
	v_mov_b32_e32 v29, 0
	v_mov_b32_e32 v27, 0
	v_cndmask_b32_e64 v5, 0, 1, s0
	v_cmp_ne_u64_e64 s0, v[63:64], v[49:50]
	v_cndmask_b32_e64 v38, 0, 1, s2
	v_cmp_gt_u32_e64 s2, s45, v6
	v_mov_b32_e32 v33, 0
	v_lshlrev_b16 v37, 8, v5
	v_mov_b32_e32 v5, 0
	v_mov_b32_e32 v31, 0
	;; [unrolled: 1-line block ×30, first 2 shown]
                                        ; implicit-def: $sgpr8
                                        ; implicit-def: $vgpr35_vgpr36
	s_and_saveexec_b32 s15, s2
	s_cbranch_execz .LBB901_65
; %bb.54:
	v_cndmask_b32_e64 v5, 0, 1, s1
	v_cndmask_b32_e64 v7, 0, 1, s0
	v_mov_b32_e32 v29, 0
	v_mov_b32_e32 v27, 0
	;; [unrolled: 1-line block ×3, first 2 shown]
	v_lshlrev_b16 v8, 8, v5
	v_mov_b32_e32 v5, 0
	v_mov_b32_e32 v77, 0
	;; [unrolled: 1-line block ×4, first 2 shown]
	v_or_b32_e32 v31, v7, v8
	v_mov_b32_e32 v7, 0
	v_mov_b32_e32 v21, 0
	v_add_nc_u32_e32 v23, 7, v104
	v_mov_b32_e32 v98, 0
	v_lshlrev_b32_e32 v32, 16, v31
	v_mov_b32_e32 v6, 0
	v_mov_b32_e32 v97, 0
	;; [unrolled: 1-line block ×4, first 2 shown]
	v_or_b32_sdwa v24, v37, v32 dst_sel:DWORD dst_unused:UNUSED_PAD src0_sel:WORD_0 src1_sel:DWORD
	v_mov_b32_e32 v30, 0
	v_mov_b32_e32 v28, 0
	;; [unrolled: 1-line block ×11, first 2 shown]
	v_lshrrev_b32_e32 v95, 8, v24
	v_mov_b32_e32 v83, 0
	s_mov_b32 s1, 0
	s_mov_b32 s36, exec_lo
                                        ; implicit-def: $sgpr8
                                        ; implicit-def: $vgpr35_vgpr36
	v_cmpx_gt_u32_e64 s45, v23
	s_cbranch_execz .LBB901_64
; %bb.55:
	ds_read2_b64 v[21:24], v102 offset0:7 offset1:8
	v_add_nc_u32_e32 v7, 8, v104
	v_mov_b32_e32 v5, 0
	v_mov_b32_e32 v29, 0
	;; [unrolled: 1-line block ×4, first 2 shown]
	v_cmp_gt_u32_e64 s0, s45, v7
	v_mov_b32_e32 v7, 0
	v_mov_b32_e32 v25, 0
	;; [unrolled: 1-line block ×16, first 2 shown]
                                        ; implicit-def: $sgpr8
                                        ; implicit-def: $vgpr35_vgpr36
	s_and_saveexec_b32 s37, s0
	s_cbranch_execz .LBB901_63
; %bb.56:
	v_add_nc_u32_e32 v7, 9, v104
	v_mov_b32_e32 v5, 0
	v_mov_b32_e32 v29, 0
	;; [unrolled: 1-line block ×4, first 2 shown]
	v_cmp_gt_u32_e64 s0, s45, v7
	v_mov_b32_e32 v7, 0
	v_mov_b32_e32 v6, 0
	;; [unrolled: 1-line block ×10, first 2 shown]
                                        ; implicit-def: $sgpr8
                                        ; implicit-def: $vgpr35_vgpr36
	s_and_saveexec_b32 s46, s0
	s_cbranch_execz .LBB901_62
; %bb.57:
	ds_read2_b64 v[25:28], v102 offset0:9 offset1:10
	v_add_nc_u32_e32 v5, 10, v104
	v_cmp_ne_u64_e64 s0, v[51:52], v[41:42]
	v_mov_b32_e32 v7, 0
	v_mov_b32_e32 v77, 0
	;; [unrolled: 1-line block ×3, first 2 shown]
	v_cmp_gt_u32_e64 s1, s45, v5
	v_mov_b32_e32 v5, 0
	v_mov_b32_e32 v6, 0
	;; [unrolled: 1-line block ×5, first 2 shown]
	s_mov_b32 s2, 0
                                        ; implicit-def: $sgpr8
                                        ; implicit-def: $vgpr35_vgpr36
	s_and_saveexec_b32 s47, s1
	s_cbranch_execz .LBB901_61
; %bb.58:
	v_cmp_ne_u64_e64 s1, v[41:42], v[43:44]
	v_mov_b32_e32 v7, 0
	v_add_nc_u32_e32 v5, 11, v104
	v_mov_b32_e32 v8, 0
	v_mov_b32_e32 v81, 0
	s_mov_b32 s48, exec_lo
                                        ; implicit-def: $sgpr8
                                        ; implicit-def: $vgpr35_vgpr36
	v_cmpx_gt_u32_e64 s45, v5
	s_xor_b32 s48, exec_lo, s48
	s_cbranch_execz .LBB901_60
; %bb.59:
	ds_read2_b64 v[33:36], v102 offset0:11 offset1:12
	v_add_nc_u32_e32 v5, 12, v104
	v_cmp_ne_u64_e64 s3, v[43:44], v[45:46]
	v_cmp_ne_u64_e64 s8, v[45:46], v[47:48]
	v_cmp_gt_u32_e64 s2, s45, v5
	v_cndmask_b32_e64 v81, 0, 1, s3
	s_and_b32 s3, s2, exec_lo
	s_waitcnt lgkmcnt(0)
	v_mov_b32_e32 v7, v33
	v_mov_b32_e32 v8, v34
.LBB901_60:
	s_or_b32 exec_lo, exec_lo, s48
	s_waitcnt lgkmcnt(0)
	v_mov_b32_e32 v5, v27
	v_mov_b32_e32 v78, v28
	v_cndmask_b32_e64 v94, 0, 1, s1
	v_mov_b32_e32 v6, v28
	v_mov_b32_e32 v77, v27
	s_and_b32 s2, s3, exec_lo
.LBB901_61:
	s_or_b32 exec_lo, exec_lo, s47
	v_cndmask_b32_e64 v96, 0, 1, s0
	s_waitcnt lgkmcnt(0)
	v_mov_b32_e32 v30, v26
	v_mov_b32_e32 v29, v25
	s_and_b32 s1, s2, exec_lo
	v_mov_b32_e32 v83, v96
.LBB901_62:
	s_or_b32 exec_lo, exec_lo, s46
	s_waitcnt lgkmcnt(0)
	v_mov_b32_e32 v28, v24
	v_mov_b32_e32 v80, v24
	v_lshrrev_b32_e32 v97, 24, v32
	v_mov_b32_e32 v27, v23
	v_mov_b32_e32 v82, v94
	;; [unrolled: 1-line block ×3, first 2 shown]
	s_and_b32 s1, s1, exec_lo
.LBB901_63:
	s_or_b32 exec_lo, exec_lo, s37
	s_waitcnt lgkmcnt(0)
	v_mov_b32_e32 v34, v22
	v_mov_b32_e32 v98, v31
	;; [unrolled: 1-line block ×4, first 2 shown]
	s_and_b32 s1, s1, exec_lo
.LBB901_64:
	s_or_b32 exec_lo, exec_lo, s36
	s_waitcnt lgkmcnt(0)
	v_mov_b32_e32 v32, v20
	v_mov_b32_e32 v24, v20
	v_mov_b32_e32 v31, v19
	v_mov_b32_e32 v86, v95
	v_mov_b32_e32 v85, v98
	v_mov_b32_e32 v23, v19
	s_and_b32 s3, s1, exec_lo
.LBB901_65:
	s_or_b32 exec_lo, exec_lo, s15
	s_waitcnt lgkmcnt(0)
	v_mov_b32_e32 v40, v18
	v_or_b32_e32 v99, v38, v37
	v_mov_b32_e32 v39, v17
	s_and_b32 s1, s3, exec_lo
.LBB901_66:
	s_or_b32 exec_lo, exec_lo, s14
	v_lshrrev_b32_e32 v100, 24, v54
	s_waitcnt lgkmcnt(0)
	v_mov_b32_e32 v38, v16
	v_mov_b32_e32 v20, v16
	;; [unrolled: 1-line block ×6, first 2 shown]
	s_and_b32 s1, s1, exec_lo
.LBB901_67:
	s_or_b32 exec_lo, exec_lo, s13
	s_waitcnt lgkmcnt(0)
	v_mov_b32_e32 v56, v14
	v_mov_b32_e32 v101, v53
	;; [unrolled: 1-line block ×4, first 2 shown]
	s_and_b32 s1, s1, exec_lo
.LBB901_68:
	s_or_b32 exec_lo, exec_lo, s12
	s_waitcnt lgkmcnt(0)
	v_mov_b32_e32 v54, v12
	v_mov_b32_e32 v16, v12
	;; [unrolled: 1-line block ×5, first 2 shown]
	s_and_b32 s3, s1, exec_lo
.LBB901_69:
	s_or_b32 exec_lo, exec_lo, s11
	v_or_b32_e32 v103, v4, v3
	s_waitcnt lgkmcnt(0)
	v_mov_b32_e32 v3, v9
	v_mov_b32_e32 v4, v10
	s_and_b32 s1, s3, exec_lo
	v_mov_b32_e32 v92, v103
.LBB901_70:
	s_or_b32 exec_lo, exec_lo, s10
	v_cndmask_b32_e64 v105, 0, 1, vcc_lo
	s_and_b32 s1, s1, exec_lo
	v_mov_b32_e32 v87, v105
.LBB901_71:
	s_or_b32 exec_lo, exec_lo, s9
	v_lshlrev_b32_e32 v57, 3, v0
	s_and_b32 vcc_lo, exec_lo, s7
	s_cbranch_vccnz .LBB901_73
	s_branch .LBB901_81
.LBB901_72:
                                        ; implicit-def: $sgpr8
                                        ; implicit-def: $vgpr99
                                        ; implicit-def: $vgpr95
                                        ; implicit-def: $vgpr98
                                        ; implicit-def: $vgpr97
                                        ; implicit-def: $vgpr103
                                        ; implicit-def: $vgpr93
                                        ; implicit-def: $vgpr101
                                        ; implicit-def: $vgpr100
                                        ; implicit-def: $vgpr35_vgpr36
                                        ; implicit-def: $vgpr94
                                        ; implicit-def: $vgpr5_vgpr6
                                        ; implicit-def: $vgpr96
                                        ; implicit-def: $vgpr29_vgpr30
                                        ; implicit-def: $vgpr33_vgpr34
                                        ; implicit-def: $vgpr39_vgpr40
                                        ; implicit-def: $vgpr55_vgpr56
                                        ; implicit-def: $vgpr3_vgpr4
                                        ; implicit-def: $vgpr105
                                        ; implicit-def: $vgpr88
                                        ; implicit-def: $vgpr86
                                        ; implicit-def: $vgpr85
                                        ; implicit-def: $vgpr84
                                        ; implicit-def: $vgpr92
                                        ; implicit-def: $vgpr91
                                        ; implicit-def: $vgpr90
                                        ; implicit-def: $vgpr89
                                        ; implicit-def: $vgpr81
                                        ; implicit-def: $vgpr82
                                        ; implicit-def: $vgpr77_vgpr78
                                        ; implicit-def: $vgpr83
                                        ; implicit-def: $vgpr25_vgpr26
                                        ; implicit-def: $vgpr79_vgpr80
                                        ; implicit-def: $vgpr21_vgpr22
                                        ; implicit-def: $vgpr23_vgpr24
                                        ; implicit-def: $vgpr17_vgpr18
                                        ; implicit-def: $vgpr19_vgpr20
                                        ; implicit-def: $vgpr13_vgpr14
                                        ; implicit-def: $vgpr15_vgpr16
                                        ; implicit-def: $vgpr9_vgpr10
                                        ; implicit-def: $vgpr87
	v_lshlrev_b32_e32 v57, 3, v0
	s_cbranch_execz .LBB901_81
.LBB901_73:
	s_waitcnt lgkmcnt(0)
	v_add_co_u32 v1, s0, s18, v57
	v_add_co_ci_u32_e64 v2, null, s19, 0, s0
	v_mad_u32_u24 v35, 0x60, v0, v57
	v_add_co_u32 v3, vcc_lo, 0x800, v1
	v_add_co_ci_u32_e64 v4, null, 0, v2, vcc_lo
	v_add_co_u32 v5, vcc_lo, 0x1000, v1
	v_add_co_ci_u32_e64 v6, null, 0, v2, vcc_lo
	v_add_co_u32 v7, vcc_lo, 0x1800, v1
	v_add_co_ci_u32_e64 v8, null, 0, v2, vcc_lo
	v_add_co_u32 v9, vcc_lo, 0x2000, v1
	v_add_co_ci_u32_e64 v10, null, 0, v2, vcc_lo
	v_add_co_u32 v11, vcc_lo, 0x2800, v1
	v_add_co_ci_u32_e64 v12, null, 0, v2, vcc_lo
	v_add_co_u32 v13, vcc_lo, 0x3000, v1
	v_add_co_ci_u32_e64 v14, null, 0, v2, vcc_lo
	v_add_co_u32 v15, vcc_lo, 0x3800, v1
	v_add_co_ci_u32_e64 v16, null, 0, v2, vcc_lo
	v_add_co_u32 v19, vcc_lo, 0x4000, v1
	v_add_co_ci_u32_e64 v20, null, 0, v2, vcc_lo
	v_add_co_u32 v21, vcc_lo, 0x4800, v1
	v_add_co_ci_u32_e64 v22, null, 0, v2, vcc_lo
	v_add_co_u32 v23, vcc_lo, 0x5000, v1
	v_add_co_ci_u32_e64 v24, null, 0, v2, vcc_lo
	v_add_co_u32 v25, vcc_lo, 0x5800, v1
	s_clause 0x7
	flat_load_dwordx2 v[17:18], v[1:2]
	flat_load_dwordx2 v[3:4], v[3:4]
	;; [unrolled: 1-line block ×8, first 2 shown]
	v_add_co_ci_u32_e64 v26, null, 0, v2, vcc_lo
	v_add_co_u32 v1, vcc_lo, 0x6000, v1
	v_add_co_ci_u32_e64 v2, null, 0, v2, vcc_lo
	s_clause 0x4
	flat_load_dwordx2 v[19:20], v[19:20]
	flat_load_dwordx2 v[21:22], v[21:22]
	;; [unrolled: 1-line block ×5, first 2 shown]
	s_cmp_eq_u64 s[40:41], 0
	s_waitcnt vmcnt(11) lgkmcnt(11)
	ds_write2st64_b64 v57, v[17:18], v[3:4] offset1:4
	s_waitcnt vmcnt(9) lgkmcnt(10)
	ds_write2st64_b64 v57, v[5:6], v[7:8] offset0:8 offset1:12
	s_waitcnt vmcnt(7) lgkmcnt(9)
	ds_write2st64_b64 v57, v[9:10], v[11:12] offset0:16 offset1:20
	;; [unrolled: 2-line block ×5, first 2 shown]
	s_waitcnt vmcnt(0) lgkmcnt(6)
	ds_write_b64 v57, v[1:2] offset:24576
	s_waitcnt lgkmcnt(0)
	s_barrier
	buffer_gl0_inv
	ds_read2_b64 v[1:4], v35 offset0:2 offset1:3
	ds_read2_b64 v[9:12], v35 offset0:3 offset1:4
	ds_read2_b64 v[5:8], v35 offset1:1
	ds_read2_b64 v[13:16], v35 offset0:1 offset1:2
	ds_read2_b64 v[17:20], v35 offset0:7 offset1:8
	;; [unrolled: 1-line block ×5, first 2 shown]
	s_cbranch_scc1 .LBB901_78
; %bb.74:
	s_andn2_b32 vcc_lo, exec_lo, s44
	s_cbranch_vccnz .LBB901_238
; %bb.75:
	s_lshl_b64 s[0:1], s[40:41], 3
	s_add_u32 s0, s42, s0
	s_addc_u32 s1, s43, s1
	s_add_u32 s0, s0, -8
	s_addc_u32 s1, s1, -1
	s_cbranch_execnz .LBB901_77
.LBB901_76:
	s_add_u32 s0, s18, -8
	s_addc_u32 s1, s19, -1
.LBB901_77:
	s_mov_b64 s[18:19], s[0:1]
.LBB901_78:
	v_mov_b32_e32 v34, s19
	v_mov_b32_e32 v33, s18
	v_mad_i32_i24 v36, 0xffffffa0, v0, v35
	s_mov_b32 s0, exec_lo
	flat_load_dwordx2 v[33:34], v[33:34]
	s_waitcnt lgkmcnt(1)
	ds_write_b64 v36, v[31:32] offset:26624
	s_waitcnt vmcnt(0) lgkmcnt(0)
	s_barrier
	buffer_gl0_inv
	v_cmpx_ne_u32_e32 0, v0
; %bb.79:
	v_mul_i32_i24_e32 v33, 0xffffffa0, v0
	v_add_nc_u32_e32 v33, v35, v33
	ds_read_b64 v[33:34], v33 offset:26616
; %bb.80:
	s_or_b32 exec_lo, exec_lo, s0
	v_add_co_u32 v56, s0, s16, v57
	v_add_co_ci_u32_e64 v61, null, s17, 0, s0
	s_waitcnt lgkmcnt(0)
	v_add_co_u32 v36, vcc_lo, v56, 0x1000
	v_add_co_ci_u32_e64 v37, null, 0, v61, vcc_lo
	v_add_co_u32 v42, vcc_lo, v56, 0x2000
	s_barrier
	buffer_gl0_inv
	s_clause 0x2
	global_load_dwordx2 v[38:39], v57, s[16:17]
	global_load_dwordx2 v[40:41], v[36:37], off offset:-2048
	global_load_dwordx2 v[36:37], v[36:37], off
	v_add_co_ci_u32_e64 v43, null, 0, v61, vcc_lo
	v_add_co_u32 v44, vcc_lo, v56, 0x3000
	v_add_co_ci_u32_e64 v45, null, 0, v61, vcc_lo
	v_add_co_u32 v50, vcc_lo, v56, 0x4000
	s_clause 0x2
	global_load_dwordx2 v[46:47], v[42:43], off offset:-2048
	global_load_dwordx2 v[42:43], v[42:43], off
	global_load_dwordx2 v[48:49], v[44:45], off offset:-2048
	v_add_co_ci_u32_e64 v51, null, 0, v61, vcc_lo
	v_add_co_u32 v54, vcc_lo, v56, 0x5000
	s_clause 0x1
	global_load_dwordx2 v[44:45], v[44:45], off
	global_load_dwordx2 v[52:53], v[50:51], off offset:-2048
	v_add_co_ci_u32_e64 v55, null, 0, v61, vcc_lo
	v_add_co_u32 v60, vcc_lo, v56, 0x6000
	s_clause 0x1
	global_load_dwordx2 v[50:51], v[50:51], off
	global_load_dwordx2 v[58:59], v[54:55], off offset:-2048
	v_add_co_ci_u32_e64 v61, null, 0, v61, vcc_lo
	s_clause 0x2
	global_load_dwordx2 v[54:55], v[54:55], off
	global_load_dwordx2 v[62:63], v[60:61], off offset:-2048
	global_load_dwordx2 v[60:61], v[60:61], off
	v_cmp_ne_u64_e32 vcc_lo, v[27:28], v[29:30]
	v_cmp_ne_u64_e64 s8, v[29:30], v[31:32]
	s_mov_b32 s1, -1
	v_cndmask_b32_e64 v81, 0, 1, vcc_lo
	v_cmp_ne_u64_e32 vcc_lo, v[25:26], v[27:28]
	v_cndmask_b32_e64 v94, 0, 1, vcc_lo
	v_cmp_ne_u64_e32 vcc_lo, v[19:20], v[25:26]
	v_mov_b32_e32 v82, v94
	v_cndmask_b32_e64 v96, 0, 1, vcc_lo
	v_cmp_ne_u64_e32 vcc_lo, v[21:22], v[23:24]
	v_mov_b32_e32 v83, v96
	v_cndmask_b32_e64 v25, 0, 1, vcc_lo
	v_cmp_ne_u64_e32 vcc_lo, v[11:12], v[21:22]
	v_lshlrev_b16 v64, 8, v25
	v_cndmask_b32_e64 v21, 0, 1, vcc_lo
	v_cmp_ne_u64_e32 vcc_lo, v[17:18], v[19:20]
	v_or_b32_e32 v99, v21, v64
	v_cndmask_b32_e64 v19, 0, 1, vcc_lo
	v_cmp_ne_u64_e32 vcc_lo, v[23:24], v[17:18]
	v_mov_b32_e32 v88, v99
	v_cndmask_b32_e64 v17, 0, 1, vcc_lo
	v_cmp_ne_u64_e32 vcc_lo, v[7:8], v[15:16]
	v_cndmask_b32_e64 v7, 0, 1, vcc_lo
	v_cmp_ne_u64_e32 vcc_lo, v[5:6], v[13:14]
	v_lshlrev_b16 v65, 8, v7
	v_cndmask_b32_e64 v8, 0, 1, vcc_lo
	v_cmp_ne_u64_e32 vcc_lo, v[3:4], v[11:12]
	v_or_b32_e32 v103, v8, v65
	v_cndmask_b32_e64 v3, 0, 1, vcc_lo
	v_cmp_ne_u64_e32 vcc_lo, v[1:2], v[9:10]
	v_lshlrev_b16 v2, 8, v19
	v_mov_b32_e32 v92, v103
	v_lshlrev_b16 v3, 8, v3
	v_cndmask_b32_e64 v1, 0, 1, vcc_lo
	v_cmp_ne_u64_e32 vcc_lo, v[33:34], v[5:6]
	v_or_b32_e32 v98, v17, v2
	v_or_b32_e32 v101, v1, v3
	v_cndmask_b32_e64 v105, 0, 1, vcc_lo
	v_lshlrev_b32_e32 v66, 16, v98
	v_mov_b32_e32 v85, v98
	v_lshlrev_b32_e32 v67, 16, v101
	v_mov_b32_e32 v90, v101
	v_mov_b32_e32 v87, v105
	v_lshrrev_b32_e32 v97, 24, v66
	v_lshrrev_b32_e32 v100, 24, v67
	v_mov_b32_e32 v84, v97
	v_mov_b32_e32 v89, v100
	s_waitcnt vmcnt(12)
	v_sub_co_u32 v1, vcc_lo, 0, v38
	v_sub_co_ci_u32_e64 v2, null, 0, v39, vcc_lo
	s_waitcnt vmcnt(11)
	v_sub_co_u32 v3, vcc_lo, 0, v40
	v_sub_co_ci_u32_e64 v4, null, 0, v41, vcc_lo
	;; [unrolled: 3-line block ×13, first 2 shown]
	ds_write2st64_b64 v57, v[1:2], v[3:4] offset1:4
	ds_write2st64_b64 v57, v[5:6], v[7:8] offset0:8 offset1:12
	ds_write2st64_b64 v57, v[9:10], v[11:12] offset0:16 offset1:20
	;; [unrolled: 1-line block ×5, first 2 shown]
	ds_write_b64 v57, v[25:26] offset:24576
	s_waitcnt lgkmcnt(0)
	s_barrier
	buffer_gl0_inv
	ds_read2_b64 v[27:30], v35 offset0:8 offset1:9
	ds_read2_b64 v[5:8], v35 offset0:10 offset1:11
	ds_read2_b64 v[37:40], v35 offset0:4 offset1:5
	ds_read2_b64 v[31:34], v35 offset0:6 offset1:7
	ds_read2_b64 v[1:4], v35 offset1:1
	ds_read2_b64 v[53:56], v35 offset0:2 offset1:3
	ds_read_b64 v[35:36], v35 offset:96
	v_or_b32_sdwa v9, v64, v66 dst_sel:DWORD dst_unused:UNUSED_PAD src0_sel:WORD_0 src1_sel:DWORD
	v_or_b32_sdwa v10, v65, v67 dst_sel:DWORD dst_unused:UNUSED_PAD src0_sel:WORD_0 src1_sel:DWORD
	v_lshrrev_b32_e32 v95, 8, v9
	v_lshrrev_b32_e32 v93, 8, v10
	v_mov_b32_e32 v86, v95
	v_mov_b32_e32 v91, v93
	s_waitcnt lgkmcnt(6)
	v_mov_b32_e32 v25, v29
	s_waitcnt lgkmcnt(5)
	v_mov_b32_e32 v78, v6
	v_mov_b32_e32 v80, v28
	s_waitcnt lgkmcnt(3)
	v_mov_b32_e32 v21, v33
	v_mov_b32_e32 v23, v31
	;; [unrolled: 1-line block ×4, first 2 shown]
	s_waitcnt lgkmcnt(1)
	v_mov_b32_e32 v13, v55
	v_mov_b32_e32 v15, v53
	;; [unrolled: 1-line block ×13, first 2 shown]
.LBB901_81:
	v_mov_b32_e32 v11, 0
	v_mov_b32_e32 v12, 0
	;; [unrolled: 1-line block ×3, first 2 shown]
	s_and_saveexec_b32 s0, s1
	s_cbranch_execz .LBB901_83
; %bb.82:
	v_mov_b32_e32 v10, v4
	v_mov_b32_e32 v15, v53
	;; [unrolled: 1-line block ×10, first 2 shown]
	s_waitcnt lgkmcnt(0)
	v_mov_b32_e32 v11, v35
	v_cndmask_b32_e64 v58, 0, 1, s8
	v_mov_b32_e32 v87, v105
	v_mov_b32_e32 v9, v3
	;; [unrolled: 1-line block ×22, first 2 shown]
.LBB901_83:
	s_or_b32 exec_lo, exec_lo, s0
	v_and_b32_e32 v61, 1, v88
	v_and_b32_e32 v62, 1, v84
	;; [unrolled: 1-line block ×5, first 2 shown]
	v_or_b32_e32 v55, v89, v90
	v_or_b32_e32 v54, v85, v86
	;; [unrolled: 1-line block ×3, first 2 shown]
	v_cmp_eq_u32_e64 s18, 1, v61
	v_cmp_eq_u32_e64 s16, 1, v62
	;; [unrolled: 1-line block ×3, first 2 shown]
	v_cmp_eq_u16_e64 s0, 0, v58
	v_cmp_eq_u32_e64 s15, 1, v59
	v_mbcnt_lo_u32_b32 v53, -1, 0
	s_cmp_lg_u32 s6, 0
	v_cmp_eq_u32_e32 vcc_lo, 1, v63
	s_waitcnt lgkmcnt(0)
	s_barrier
	buffer_gl0_inv
	s_cbranch_scc0 .LBB901_141
; %bb.84:
	v_mov_b32_e32 v3, 0
	v_or_b32_e32 v6, v92, v87
	v_cmp_eq_u16_sdwa s13, v92, v3 src0_sel:BYTE_0 src1_sel:DWORD
	v_cmp_eq_u16_sdwa s14, v91, v3 src0_sel:BYTE_0 src1_sel:DWORD
	;; [unrolled: 1-line block ×5, first 2 shown]
	v_cndmask_b32_e64 v5, 0, v1, s13
	v_cndmask_b32_e64 v4, 0, v2, s13
	v_cmp_eq_u16_sdwa s9, v86, v3 src0_sel:BYTE_0 src1_sel:DWORD
	v_cmp_eq_u16_sdwa s8, v85, v3 src0_sel:BYTE_0 src1_sel:DWORD
	;; [unrolled: 1-line block ×3, first 2 shown]
	v_add_co_u32 v5, s1, v5, v9
	v_add_co_ci_u32_e64 v4, null, v4, v10, s1
	v_cmp_eq_u16_sdwa s2, v83, v3 src0_sel:BYTE_0 src1_sel:DWORD
	v_cndmask_b32_e64 v5, 0, v5, s14
	v_cmp_ne_u16_sdwa s37, v56, v3 src0_sel:BYTE_0 src1_sel:DWORD
	v_cndmask_b32_e64 v4, 0, v4, s14
	v_cmp_ne_u16_sdwa s19, v6, v3 src0_sel:BYTE_0 src1_sel:DWORD
	v_cmp_ne_u16_sdwa s36, v55, v3 src0_sel:BYTE_0 src1_sel:DWORD
	v_add_co_u32 v5, s1, v5, v15
	v_add_co_ci_u32_e64 v4, null, v4, v16, s1
	v_cmp_ne_u16_sdwa s40, v54, v3 src0_sel:BYTE_0 src1_sel:DWORD
	v_cndmask_b32_e64 v5, 0, v5, s12
	s_or_b32 s17, s37, s17
	v_cndmask_b32_e64 v4, 0, v4, s12
	s_or_b32 s17, s15, s17
	s_or_b32 s16, s40, s16
	v_add_co_u32 v5, s1, v5, v13
	v_add_co_ci_u32_e64 v4, null, v4, v14, s1
	s_or_b32 s18, s36, s18
	v_cndmask_b32_e64 v5, 0, v5, s11
	v_cndmask_b32_e64 v4, 0, v4, s11
	v_add_co_u32 v5, s1, v5, v19
	v_add_co_ci_u32_e64 v4, null, v4, v20, s1
	v_cndmask_b32_e64 v5, 0, v5, s10
	v_cndmask_b32_e64 v4, 0, v4, s10
	v_add_co_u32 v5, s1, v5, v17
	v_add_co_ci_u32_e64 v4, null, v4, v18, s1
	;; [unrolled: 4-line block ×6, first 2 shown]
	v_cmp_eq_u16_sdwa s1, v82, v3 src0_sel:BYTE_0 src1_sel:DWORD
	v_cndmask_b32_e64 v5, 0, v5, s1
	v_cndmask_b32_e64 v4, 0, v4, s1
	v_add_co_u32 v5, s3, v5, v77
	v_add_co_ci_u32_e64 v4, null, v4, v78, s3
	v_cmp_eq_u16_sdwa s3, v81, v3 src0_sel:BYTE_0 src1_sel:DWORD
	v_cndmask_b32_e64 v3, 0, v4, s3
	v_cndmask_b32_e64 v4, 0, v5, s3
	v_add_co_u32 v4, s15, v4, v7
	v_add_co_ci_u32_e64 v3, null, v3, v8, s15
	s_or_b32 s15, s17, s16
	v_cndmask_b32_e64 v4, 0, v4, s0
	s_or_b32 s16, s19, vcc_lo
	v_cndmask_b32_e64 v6, 0, v3, s0
	s_or_b32 s15, s15, s18
	s_or_b32 s15, s15, s16
	v_add_co_u32 v5, vcc_lo, v4, v11
	v_cndmask_b32_e64 v3, 0, 1, s15
	v_add_co_ci_u32_e64 v6, null, v6, v12, vcc_lo
	v_and_b32_e32 v4, 15, v53
	v_mov_b32_dpp v28, v5 row_shr:1 row_mask:0xf bank_mask:0xf
	v_mov_b32_dpp v27, v3 row_shr:1 row_mask:0xf bank_mask:0xf
	;; [unrolled: 1-line block ×3, first 2 shown]
	s_mov_b32 s16, exec_lo
	v_cmpx_ne_u32_e32 0, v4
; %bb.85:
	v_cndmask_b32_e64 v28, v28, 0, s15
	v_cndmask_b32_e64 v29, v29, 0, s15
	v_and_or_b32 v3, v27, 1, v3
	v_add_co_u32 v5, vcc_lo, v28, v5
	v_add_co_ci_u32_e64 v6, null, v29, v6, vcc_lo
; %bb.86:
	s_or_b32 exec_lo, exec_lo, s16
	v_mov_b32_dpp v28, v5 row_shr:2 row_mask:0xf bank_mask:0xf
	v_mov_b32_dpp v29, v6 row_shr:2 row_mask:0xf bank_mask:0xf
	v_mov_b32_dpp v27, v3 row_shr:2 row_mask:0xf bank_mask:0xf
	s_mov_b32 s15, exec_lo
	v_cmpx_lt_u32_e32 1, v4
	s_cbranch_execz .LBB901_88
; %bb.87:
	v_cmp_eq_u16_e32 vcc_lo, 0, v3
	v_or_b32_e32 v3, v27, v3
	v_cndmask_b32_e32 v28, 0, v28, vcc_lo
	v_cndmask_b32_e32 v29, 0, v29, vcc_lo
	v_and_b32_e32 v3, 1, v3
	v_add_co_u32 v5, vcc_lo, v28, v5
	v_add_co_ci_u32_e64 v6, null, v29, v6, vcc_lo
.LBB901_88:
	s_or_b32 exec_lo, exec_lo, s15
	v_mov_b32_dpp v28, v5 row_shr:4 row_mask:0xf bank_mask:0xf
	v_mov_b32_dpp v29, v6 row_shr:4 row_mask:0xf bank_mask:0xf
	v_mov_b32_dpp v27, v3 row_shr:4 row_mask:0xf bank_mask:0xf
	s_mov_b32 s15, exec_lo
	v_cmpx_lt_u32_e32 3, v4
	s_cbranch_execz .LBB901_90
; %bb.89:
	v_cmp_eq_u16_e32 vcc_lo, 0, v3
	v_or_b32_e32 v3, v27, v3
	v_cndmask_b32_e32 v28, 0, v28, vcc_lo
	v_cndmask_b32_e32 v29, 0, v29, vcc_lo
	v_and_b32_e32 v3, 1, v3
	v_add_co_u32 v5, vcc_lo, v28, v5
	v_add_co_ci_u32_e64 v6, null, v29, v6, vcc_lo
.LBB901_90:
	;; [unrolled: 16-line block ×3, first 2 shown]
	s_or_b32 exec_lo, exec_lo, s15
	ds_swizzle_b32 v4, v5 offset:swizzle(BROADCAST,32,15)
	ds_swizzle_b32 v28, v6 offset:swizzle(BROADCAST,32,15)
	ds_swizzle_b32 v29, v3 offset:swizzle(BROADCAST,32,15)
	v_and_b32_e32 v27, 16, v53
	v_cmp_ne_u32_e32 vcc_lo, 0, v27
	v_mov_b32_e32 v27, v3
	s_and_saveexec_b32 s17, vcc_lo
	s_cbranch_execz .LBB901_94
; %bb.93:
	v_cmp_eq_u16_e32 vcc_lo, 0, v3
	v_and_b32_e32 v3, 1, v3
	s_waitcnt lgkmcnt(0)
	v_and_b32_e32 v27, 1, v29
	v_cndmask_b32_e32 v28, 0, v28, vcc_lo
	v_cndmask_b32_e32 v4, 0, v4, vcc_lo
	v_cmp_eq_u32_e32 vcc_lo, 1, v3
	v_cmp_eq_u32_e64 s15, 1, v27
	v_add_co_u32 v5, s16, v4, v5
	s_or_b32 s15, vcc_lo, s15
	v_add_co_ci_u32_e64 v6, null, v28, v6, s16
	v_cndmask_b32_e64 v3, 0, 1, s15
	v_cndmask_b32_e64 v27, 0, 1, s15
.LBB901_94:
	s_or_b32 exec_lo, exec_lo, s17
	s_waitcnt lgkmcnt(1)
	v_lshrrev_b32_e32 v28, 5, v0
	v_or_b32_e32 v4, 31, v0
	s_mov_b32 s15, exec_lo
	v_lshlrev_b32_e32 v28, 4, v28
	v_cmpx_eq_u32_e64 v0, v4
	s_cbranch_execz .LBB901_96
; %bb.95:
	ds_write_b64 v28, v[5:6]
	ds_write_b8 v28, v3 offset:8
.LBB901_96:
	s_or_b32 exec_lo, exec_lo, s15
	s_mov_b32 s17, exec_lo
	s_waitcnt lgkmcnt(0)
	s_barrier
	buffer_gl0_inv
	v_cmpx_gt_u32_e32 8, v0
	s_cbranch_execz .LBB901_104
; %bb.97:
	v_lshlrev_b32_e32 v29, 4, v0
	v_and_b32_e32 v30, 7, v53
	s_mov_b32 s15, exec_lo
	ds_read_b64 v[3:4], v29
	ds_read_b32 v34, v29 offset:8
	s_waitcnt lgkmcnt(1)
	v_mov_b32_dpp v35, v3 row_shr:1 row_mask:0xf bank_mask:0xf
	v_mov_b32_dpp v36, v4 row_shr:1 row_mask:0xf bank_mask:0xf
	s_waitcnt lgkmcnt(0)
	v_and_b32_e32 v32, 0xffffff00, v34
	v_mov_b32_dpp v37, v34 row_shr:1 row_mask:0xf bank_mask:0xf
	v_mov_b32_e32 v33, v34
	v_mov_b32_e32 v31, v34
	v_cmpx_ne_u32_e32 0, v30
	s_cbranch_execz .LBB901_99
; %bb.98:
	v_mov_b32_e32 v31, 0
	v_cmp_eq_u16_sdwa vcc_lo, v34, v31 src0_sel:BYTE_0 src1_sel:DWORD
	v_or_b32_e32 v31, v37, v34
	v_cndmask_b32_e32 v35, 0, v35, vcc_lo
	v_cndmask_b32_e32 v34, 0, v36, vcc_lo
	v_and_b32_e32 v33, 1, v31
	v_and_b32_e32 v31, 1, v31
	v_add_co_u32 v3, vcc_lo, v35, v3
	v_add_co_ci_u32_e64 v4, null, v34, v4, vcc_lo
	v_or_b32_e32 v34, v31, v32
.LBB901_99:
	s_or_b32 exec_lo, exec_lo, s15
	v_mov_b32_dpp v35, v3 row_shr:2 row_mask:0xf bank_mask:0xf
	v_mov_b32_dpp v36, v4 row_shr:2 row_mask:0xf bank_mask:0xf
	;; [unrolled: 1-line block ×3, first 2 shown]
	s_mov_b32 s18, exec_lo
	v_cmpx_lt_u32_e32 1, v30
	s_cbranch_execz .LBB901_101
; %bb.100:
	v_mov_b32_e32 v33, 0
	v_and_b32_e32 v34, 1, v31
	v_and_b32_e32 v37, 1, v37
	v_cmp_eq_u16_sdwa vcc_lo, v31, v33 src0_sel:BYTE_0 src1_sel:DWORD
	v_cmp_eq_u32_e64 s15, 1, v34
	v_cmp_eq_u32_e64 s16, 1, v37
	v_cndmask_b32_e32 v34, 0, v35, vcc_lo
	v_cndmask_b32_e32 v31, 0, v36, vcc_lo
	s_or_b32 s15, s15, s16
	v_cndmask_b32_e64 v33, 0, 1, s15
	v_cndmask_b32_e64 v35, 0, 1, s15
	v_add_co_u32 v3, vcc_lo, v34, v3
	v_add_co_ci_u32_e64 v4, null, v31, v4, vcc_lo
	v_or_b32_e32 v34, v32, v35
	v_mov_b32_e32 v31, v33
.LBB901_101:
	s_or_b32 exec_lo, exec_lo, s18
	v_mov_b32_dpp v32, v3 row_shr:4 row_mask:0xf bank_mask:0xf
	v_mov_b32_dpp v35, v4 row_shr:4 row_mask:0xf bank_mask:0xf
	;; [unrolled: 1-line block ×3, first 2 shown]
	s_mov_b32 s18, exec_lo
	v_cmpx_lt_u32_e32 3, v30
	s_cbranch_execz .LBB901_103
; %bb.102:
	v_mov_b32_e32 v30, 0
	v_cmp_eq_u16_sdwa vcc_lo, v31, v30 src0_sel:BYTE_0 src1_sel:DWORD
	v_and_b32_e32 v30, 1, v31
	v_and_b32_e32 v31, 1, v34
	v_cndmask_b32_e32 v33, 0, v35, vcc_lo
	v_cndmask_b32_e32 v32, 0, v32, vcc_lo
	v_cmp_eq_u32_e32 vcc_lo, 1, v30
	v_cmp_eq_u32_e64 s15, 1, v31
	v_add_co_u32 v3, s16, v32, v3
	s_or_b32 s15, vcc_lo, s15
	v_add_co_ci_u32_e64 v4, null, v33, v4, s16
	v_cndmask_b32_e64 v33, 0, 1, s15
.LBB901_103:
	s_or_b32 exec_lo, exec_lo, s18
	ds_write_b64 v29, v[3:4]
	ds_write_b8 v29, v33 offset:8
.LBB901_104:
	s_or_b32 exec_lo, exec_lo, s17
	v_mov_b32_e32 v3, 0
	v_mov_b32_e32 v4, 0
	;; [unrolled: 1-line block ×3, first 2 shown]
	s_mov_b32 s16, exec_lo
	v_cmp_gt_u32_e32 vcc_lo, 32, v0
	s_waitcnt lgkmcnt(0)
	s_barrier
	buffer_gl0_inv
	v_cmpx_lt_u32_e32 31, v0
	s_cbranch_execz .LBB901_106
; %bb.105:
	v_add_nc_u32_e32 v3, -16, v28
	v_add_nc_u32_e32 v28, -8, v28
	v_cmp_eq_u32_e64 s15, 0, v27
	ds_read_b64 v[3:4], v3
	ds_read_u8 v28, v28
	s_waitcnt lgkmcnt(1)
	v_cndmask_b32_e64 v30, 0, v3, s15
	v_cndmask_b32_e64 v29, 0, v4, s15
	s_waitcnt lgkmcnt(0)
	v_or_b32_e32 v27, v28, v27
	v_and_b32_e32 v33, 1, v28
	v_add_co_u32 v5, s15, v30, v5
	v_add_co_ci_u32_e64 v6, null, v29, v6, s15
	v_and_b32_e32 v27, 1, v27
.LBB901_106:
	s_or_b32 exec_lo, exec_lo, s16
	v_sub_co_u32 v28, s15, v53, 1
	v_cmp_gt_i32_e64 s16, 0, v28
	v_cndmask_b32_e64 v28, v28, v53, s16
	v_lshlrev_b32_e32 v28, 2, v28
	ds_bpermute_b32 v34, v28, v5
	ds_bpermute_b32 v35, v28, v6
	ds_bpermute_b32 v36, v28, v27
	s_and_saveexec_b32 s18, vcc_lo
	s_cbranch_execz .LBB901_146
; %bb.107:
	v_mov_b32_e32 v29, 0
	ds_read_b64 v[5:6], v29 offset:112
	ds_read_u8 v37, v29 offset:120
	s_and_saveexec_b32 s16, s15
	s_cbranch_execz .LBB901_109
; %bb.108:
	s_add_i32 s36, s6, 32
	s_mov_b32 s37, 0
	v_mov_b32_e32 v27, 1
	s_lshl_b64 s[40:41], s[36:37], 4
	v_mov_b32_e32 v28, s36
	s_add_u32 s40, s20, s40
	s_addc_u32 s41, s21, s41
	s_waitcnt lgkmcnt(1)
	global_store_dwordx2 v29, v[5:6], s[40:41]
	s_waitcnt lgkmcnt(0)
	global_store_byte v29, v37, s[40:41] offset:8
	s_waitcnt_vscnt null, 0x0
	buffer_gl1_inv
	buffer_gl0_inv
	global_store_byte v28, v27, s[24:25]
.LBB901_109:
	s_or_b32 exec_lo, exec_lo, s16
	v_xad_u32 v27, v53, -1, s6
	s_mov_b32 s17, 0
	s_mov_b32 s16, exec_lo
	v_add_nc_u32_e32 v28, 32, v27
	global_load_ubyte v38, v28, s[24:25] glc dlc
	s_waitcnt vmcnt(0)
	v_cmpx_eq_u16_e32 0, v38
	s_cbranch_execz .LBB901_113
; %bb.110:
	v_add_co_u32 v30, s19, s24, v28
	v_add_co_ci_u32_e64 v31, null, s25, 0, s19
.LBB901_111:                            ; =>This Inner Loop Header: Depth=1
	global_load_ubyte v38, v[30:31], off glc dlc
	s_waitcnt vmcnt(0)
	v_cmp_ne_u16_e32 vcc_lo, 0, v38
	s_or_b32 s17, vcc_lo, s17
	s_andn2_b32 exec_lo, exec_lo, s17
	s_cbranch_execnz .LBB901_111
; %bb.112:
	s_or_b32 exec_lo, exec_lo, s17
.LBB901_113:
	s_or_b32 exec_lo, exec_lo, s16
	v_cmp_eq_u16_e32 vcc_lo, 1, v38
	v_mov_b32_e32 v31, s20
	v_mov_b32_e32 v30, s21
	v_lshlrev_b64 v[28:29], 4, v[28:29]
	s_waitcnt lgkmcnt(0)
	s_waitcnt_vscnt null, 0x0
	buffer_gl1_inv
	buffer_gl0_inv
	v_lshlrev_b32_e64 v40, v53, -1
	v_cndmask_b32_e32 v31, s22, v31, vcc_lo
	v_cndmask_b32_e32 v30, s23, v30, vcc_lo
	s_mov_b32 s16, exec_lo
	v_add_co_u32 v28, vcc_lo, v31, v28
	v_add_co_ci_u32_e64 v29, null, v30, v29, vcc_lo
	v_cmp_ne_u32_e32 vcc_lo, 31, v53
	s_clause 0x1
	global_load_ubyte v51, v[28:29], off offset:8
	global_load_dwordx2 v[31:32], v[28:29], off
	v_add_co_ci_u32_e64 v28, null, 0, v53, vcc_lo
	v_cmp_eq_u16_e32 vcc_lo, 2, v38
	v_lshlrev_b32_e32 v39, 2, v28
	v_and_or_b32 v28, vcc_lo, v40, 0x80000000
	v_ffbl_b32_e32 v28, v28
	s_waitcnt vmcnt(1)
	v_and_b32_e32 v29, 1, v51
	s_waitcnt vmcnt(0)
	ds_bpermute_b32 v30, v39, v31
	ds_bpermute_b32 v41, v39, v32
	;; [unrolled: 1-line block ×3, first 2 shown]
	v_cmpx_lt_u32_e64 v53, v28
	s_cbranch_execz .LBB901_115
; %bb.114:
	v_mov_b32_e32 v29, 0
	v_cmp_eq_u16_sdwa vcc_lo, v51, v29 src0_sel:BYTE_0 src1_sel:DWORD
	s_waitcnt lgkmcnt(0)
	v_and_b32_e32 v29, 1, v42
	v_cndmask_b32_e32 v30, 0, v30, vcc_lo
	v_cndmask_b32_e32 v41, 0, v41, vcc_lo
	v_or_b32_e32 v51, v29, v51
	v_add_co_u32 v31, vcc_lo, v30, v31
	v_add_co_ci_u32_e64 v32, null, v41, v32, vcc_lo
	v_and_b32_e32 v29, 0xff, v51
.LBB901_115:
	s_or_b32 exec_lo, exec_lo, s16
	v_cmp_gt_u32_e32 vcc_lo, 30, v53
	s_waitcnt lgkmcnt(0)
	v_add_nc_u32_e32 v42, 2, v53
	s_mov_b32 s19, exec_lo
	v_cndmask_b32_e64 v30, 0, 2, vcc_lo
	v_add_lshl_u32 v41, v30, v53, 2
	ds_bpermute_b32 v30, v41, v31
	ds_bpermute_b32 v43, v41, v32
	ds_bpermute_b32 v44, v41, v29
	v_cmpx_le_u32_e64 v42, v28
	s_cbranch_execz .LBB901_117
; %bb.116:
	v_mov_b32_e32 v29, 0
	v_and_b32_e32 v45, 1, v51
	s_waitcnt lgkmcnt(0)
	v_and_b32_e32 v44, 1, v44
	v_cmp_eq_u16_sdwa vcc_lo, v51, v29 src0_sel:BYTE_0 src1_sel:DWORD
	v_cmp_eq_u32_e64 s16, 1, v45
	v_cmp_eq_u32_e64 s17, 1, v44
	v_cndmask_b32_e32 v30, 0, v30, vcc_lo
	v_cndmask_b32_e32 v29, 0, v43, vcc_lo
	s_or_b32 s16, s16, s17
	v_cndmask_b32_e64 v51, 0, 1, s16
	v_add_co_u32 v31, vcc_lo, v30, v31
	v_add_co_ci_u32_e64 v32, null, v29, v32, vcc_lo
	v_cndmask_b32_e64 v29, 0, 1, s16
.LBB901_117:
	s_or_b32 exec_lo, exec_lo, s19
	v_cmp_gt_u32_e32 vcc_lo, 28, v53
	s_waitcnt lgkmcnt(0)
	v_add_nc_u32_e32 v44, 4, v53
	s_mov_b32 s19, exec_lo
	v_cndmask_b32_e64 v30, 0, 4, vcc_lo
	v_add_lshl_u32 v43, v30, v53, 2
	ds_bpermute_b32 v30, v43, v31
	ds_bpermute_b32 v45, v43, v32
	ds_bpermute_b32 v46, v43, v29
	v_cmpx_le_u32_e64 v44, v28
	s_cbranch_execz .LBB901_119
; %bb.118:
	v_mov_b32_e32 v29, 0
	v_and_b32_e32 v47, 1, v51
	s_waitcnt lgkmcnt(0)
	v_and_b32_e32 v46, 1, v46
	v_cmp_eq_u16_sdwa vcc_lo, v51, v29 src0_sel:BYTE_0 src1_sel:DWORD
	v_cmp_eq_u32_e64 s16, 1, v47
	v_cmp_eq_u32_e64 s17, 1, v46
	v_cndmask_b32_e32 v30, 0, v30, vcc_lo
	v_cndmask_b32_e32 v29, 0, v45, vcc_lo
	s_or_b32 s16, s16, s17
	v_cndmask_b32_e64 v51, 0, 1, s16
	v_add_co_u32 v31, vcc_lo, v30, v31
	v_add_co_ci_u32_e64 v32, null, v29, v32, vcc_lo
	v_cndmask_b32_e64 v29, 0, 1, s16
.LBB901_119:
	;; [unrolled: 28-line block ×3, first 2 shown]
	s_or_b32 exec_lo, exec_lo, s19
	s_waitcnt lgkmcnt(0)
	v_lshl_or_b32 v48, v53, 2, 64
	v_add_nc_u32_e32 v49, 16, v53
	s_mov_b32 s19, exec_lo
	ds_bpermute_b32 v30, v48, v31
	ds_bpermute_b32 v47, v48, v32
	ds_bpermute_b32 v29, v48, v29
	v_cmpx_le_u32_e64 v49, v28
	s_cbranch_execz .LBB901_123
; %bb.122:
	v_mov_b32_e32 v28, 0
	s_waitcnt lgkmcnt(0)
	v_and_b32_e32 v29, 1, v29
	v_cmp_eq_u16_sdwa vcc_lo, v51, v28 src0_sel:BYTE_0 src1_sel:DWORD
	v_and_b32_e32 v28, 1, v51
	v_cmp_eq_u32_e64 s16, 1, v29
	v_cndmask_b32_e32 v47, 0, v47, vcc_lo
	v_cndmask_b32_e32 v30, 0, v30, vcc_lo
	v_cmp_eq_u32_e32 vcc_lo, 1, v28
	v_add_co_u32 v31, s17, v30, v31
	s_or_b32 s16, vcc_lo, s16
	v_add_co_ci_u32_e64 v32, null, v47, v32, s17
	v_cndmask_b32_e64 v51, 0, 1, s16
.LBB901_123:
	s_or_b32 exec_lo, exec_lo, s19
	v_mov_b32_e32 v28, 0
	v_mov_b32_e32 v50, 2
	s_branch .LBB901_126
.LBB901_124:                            ;   in Loop: Header=BB901_126 Depth=1
	s_or_b32 exec_lo, exec_lo, s36
	v_cmp_eq_u16_sdwa vcc_lo, v47, v28 src0_sel:BYTE_0 src1_sel:DWORD
	v_and_b32_e32 v51, 1, v47
	v_subrev_nc_u32_e32 v27, 32, v27
	v_cndmask_b32_e32 v31, 0, v31, vcc_lo
	v_cndmask_b32_e32 v32, 0, v32, vcc_lo
	v_cmp_eq_u32_e32 vcc_lo, 1, v51
	v_add_co_u32 v31, s16, v31, v29
	v_add_co_ci_u32_e64 v32, null, v32, v30, s16
	s_or_b32 s16, vcc_lo, s19
	v_cndmask_b32_e64 v51, 0, 1, s16
	s_mov_b32 s16, 0
.LBB901_125:                            ;   in Loop: Header=BB901_126 Depth=1
	s_and_b32 vcc_lo, exec_lo, s16
	s_cbranch_vccnz .LBB901_142
.LBB901_126:                            ; =>This Loop Header: Depth=1
                                        ;     Child Loop BB901_129 Depth 2
	v_cmp_ne_u16_sdwa s16, v38, v50 src0_sel:BYTE_0 src1_sel:DWORD
	s_waitcnt lgkmcnt(0)
	v_mov_b32_e32 v29, v31
	v_mov_b32_e32 v47, v51
	;; [unrolled: 1-line block ×3, first 2 shown]
                                        ; implicit-def: $vgpr51
                                        ; implicit-def: $vgpr31_vgpr32
                                        ; implicit-def: $vgpr38
	s_cmp_lg_u32 s16, exec_lo
	s_mov_b32 s16, -1
	s_cbranch_scc1 .LBB901_125
; %bb.127:                              ;   in Loop: Header=BB901_126 Depth=1
	global_load_ubyte v38, v27, s[24:25] glc dlc
	s_mov_b32 s16, exec_lo
	s_waitcnt vmcnt(0)
	v_cmpx_eq_u16_e32 0, v38
	s_cbranch_execz .LBB901_131
; %bb.128:                              ;   in Loop: Header=BB901_126 Depth=1
	v_add_co_u32 v31, s17, s24, v27
	v_add_co_ci_u32_e64 v32, null, s25, 0, s17
	s_mov_b32 s17, 0
.LBB901_129:                            ;   Parent Loop BB901_126 Depth=1
                                        ; =>  This Inner Loop Header: Depth=2
	global_load_ubyte v38, v[31:32], off glc dlc
	s_waitcnt vmcnt(0)
	v_cmp_ne_u16_e32 vcc_lo, 0, v38
	s_or_b32 s17, vcc_lo, s17
	s_andn2_b32 exec_lo, exec_lo, s17
	s_cbranch_execnz .LBB901_129
; %bb.130:                              ;   in Loop: Header=BB901_126 Depth=1
	s_or_b32 exec_lo, exec_lo, s17
.LBB901_131:                            ;   in Loop: Header=BB901_126 Depth=1
	s_or_b32 exec_lo, exec_lo, s16
	v_cmp_eq_u16_e32 vcc_lo, 1, v38
	v_mov_b32_e32 v52, s20
	v_mov_b32_e32 v51, s21
	v_lshlrev_b64 v[31:32], 4, v[27:28]
	buffer_gl1_inv
	buffer_gl0_inv
	s_mov_b32 s16, exec_lo
	v_cndmask_b32_e32 v52, s22, v52, vcc_lo
	v_cndmask_b32_e32 v51, s23, v51, vcc_lo
	v_add_co_u32 v31, vcc_lo, v52, v31
	v_add_co_ci_u32_e64 v32, null, v51, v32, vcc_lo
	v_cmp_eq_u16_e32 vcc_lo, 2, v38
	s_clause 0x1
	global_load_ubyte v52, v[31:32], off offset:8
	global_load_dwordx2 v[31:32], v[31:32], off
	v_and_or_b32 v51, vcc_lo, v40, 0x80000000
	v_ffbl_b32_e32 v51, v51
	s_waitcnt vmcnt(1)
	v_and_b32_e32 v64, 1, v52
	s_waitcnt vmcnt(0)
	ds_bpermute_b32 v65, v39, v31
	ds_bpermute_b32 v66, v39, v32
	;; [unrolled: 1-line block ×3, first 2 shown]
	v_cmpx_lt_u32_e64 v53, v51
	s_cbranch_execz .LBB901_133
; %bb.132:                              ;   in Loop: Header=BB901_126 Depth=1
	v_cmp_eq_u16_sdwa vcc_lo, v52, v28 src0_sel:BYTE_0 src1_sel:DWORD
	s_waitcnt lgkmcnt(0)
	v_and_b32_e32 v64, 1, v67
	v_cndmask_b32_e32 v65, 0, v65, vcc_lo
	v_cndmask_b32_e32 v66, 0, v66, vcc_lo
	v_or_b32_e32 v52, v64, v52
	v_add_co_u32 v31, vcc_lo, v65, v31
	v_add_co_ci_u32_e64 v32, null, v66, v32, vcc_lo
	v_and_b32_e32 v64, 0xff, v52
.LBB901_133:                            ;   in Loop: Header=BB901_126 Depth=1
	s_or_b32 exec_lo, exec_lo, s16
	s_waitcnt lgkmcnt(2)
	ds_bpermute_b32 v65, v41, v31
	s_waitcnt lgkmcnt(2)
	ds_bpermute_b32 v66, v41, v32
	s_waitcnt lgkmcnt(2)
	ds_bpermute_b32 v67, v41, v64
	v_and_b32_e32 v68, 1, v52
	s_mov_b32 s17, exec_lo
	v_cmp_eq_u32_e64 s19, 1, v68
	v_cmpx_le_u32_e64 v42, v51
	s_cbranch_execz .LBB901_135
; %bb.134:                              ;   in Loop: Header=BB901_126 Depth=1
	v_cmp_eq_u16_sdwa vcc_lo, v52, v28 src0_sel:BYTE_0 src1_sel:DWORD
	s_waitcnt lgkmcnt(0)
	v_and_b32_e32 v52, 1, v67
	v_cndmask_b32_e32 v65, 0, v65, vcc_lo
	v_cndmask_b32_e32 v64, 0, v66, vcc_lo
	v_cmp_eq_u32_e32 vcc_lo, 1, v52
	v_add_co_u32 v31, s16, v65, v31
	v_add_co_ci_u32_e64 v32, null, v64, v32, s16
	s_or_b32 s16, s19, vcc_lo
	s_andn2_b32 s19, s19, exec_lo
	v_cndmask_b32_e64 v52, 0, 1, s16
	v_cndmask_b32_e64 v64, 0, 1, s16
	s_and_b32 s16, s16, exec_lo
	s_or_b32 s19, s19, s16
.LBB901_135:                            ;   in Loop: Header=BB901_126 Depth=1
	s_or_b32 exec_lo, exec_lo, s17
	s_waitcnt lgkmcnt(2)
	ds_bpermute_b32 v65, v43, v31
	s_waitcnt lgkmcnt(2)
	ds_bpermute_b32 v66, v43, v32
	;; [unrolled: 2-line block ×3, first 2 shown]
	s_mov_b32 s36, exec_lo
	v_cmpx_le_u32_e64 v44, v51
	s_cbranch_execz .LBB901_137
; %bb.136:                              ;   in Loop: Header=BB901_126 Depth=1
	v_cmp_eq_u16_sdwa vcc_lo, v52, v28 src0_sel:BYTE_0 src1_sel:DWORD
	v_and_b32_e32 v52, 1, v52
	s_waitcnt lgkmcnt(0)
	v_and_b32_e32 v64, 1, v67
	v_cndmask_b32_e32 v66, 0, v66, vcc_lo
	v_cndmask_b32_e32 v65, 0, v65, vcc_lo
	v_cmp_eq_u32_e32 vcc_lo, 1, v52
	v_cmp_eq_u32_e64 s16, 1, v64
	v_add_co_u32 v31, s17, v65, v31
	s_or_b32 s16, vcc_lo, s16
	v_add_co_ci_u32_e64 v32, null, v66, v32, s17
	v_cndmask_b32_e64 v52, 0, 1, s16
	v_cndmask_b32_e64 v64, 0, 1, s16
	s_andn2_b32 s17, s19, exec_lo
	s_and_b32 s16, s16, exec_lo
	s_or_b32 s19, s17, s16
.LBB901_137:                            ;   in Loop: Header=BB901_126 Depth=1
	s_or_b32 exec_lo, exec_lo, s36
	s_waitcnt lgkmcnt(2)
	ds_bpermute_b32 v65, v45, v31
	s_waitcnt lgkmcnt(2)
	ds_bpermute_b32 v66, v45, v32
	;; [unrolled: 2-line block ×3, first 2 shown]
	s_mov_b32 s36, exec_lo
	v_cmpx_le_u32_e64 v46, v51
	s_cbranch_execz .LBB901_139
; %bb.138:                              ;   in Loop: Header=BB901_126 Depth=1
	v_cmp_eq_u16_sdwa vcc_lo, v52, v28 src0_sel:BYTE_0 src1_sel:DWORD
	v_and_b32_e32 v52, 1, v52
	s_waitcnt lgkmcnt(0)
	v_and_b32_e32 v64, 1, v67
	v_cndmask_b32_e32 v66, 0, v66, vcc_lo
	v_cndmask_b32_e32 v65, 0, v65, vcc_lo
	v_cmp_eq_u32_e32 vcc_lo, 1, v52
	v_cmp_eq_u32_e64 s16, 1, v64
	v_add_co_u32 v31, s17, v65, v31
	s_or_b32 s16, vcc_lo, s16
	v_add_co_ci_u32_e64 v32, null, v66, v32, s17
	v_cndmask_b32_e64 v52, 0, 1, s16
	v_cndmask_b32_e64 v64, 0, 1, s16
	s_andn2_b32 s17, s19, exec_lo
	s_and_b32 s16, s16, exec_lo
	s_or_b32 s19, s17, s16
.LBB901_139:                            ;   in Loop: Header=BB901_126 Depth=1
	s_or_b32 exec_lo, exec_lo, s36
	s_waitcnt lgkmcnt(2)
	ds_bpermute_b32 v65, v48, v31
	s_waitcnt lgkmcnt(2)
	ds_bpermute_b32 v66, v48, v32
	ds_bpermute_b32 v64, v48, v64
	s_mov_b32 s36, exec_lo
	v_cmpx_le_u32_e64 v49, v51
	s_cbranch_execz .LBB901_124
; %bb.140:                              ;   in Loop: Header=BB901_126 Depth=1
	v_cmp_eq_u16_sdwa vcc_lo, v52, v28 src0_sel:BYTE_0 src1_sel:DWORD
	v_and_b32_e32 v51, 1, v52
	s_waitcnt lgkmcnt(0)
	v_and_b32_e32 v52, 1, v64
	v_cndmask_b32_e32 v65, 0, v65, vcc_lo
	v_cndmask_b32_e32 v64, 0, v66, vcc_lo
	v_cmp_eq_u32_e32 vcc_lo, 1, v51
	v_cmp_eq_u32_e64 s16, 1, v52
	v_add_co_u32 v31, s17, v65, v31
	v_add_co_ci_u32_e64 v32, null, v64, v32, s17
	s_or_b32 s16, vcc_lo, s16
	s_andn2_b32 s17, s19, exec_lo
	s_and_b32 s16, s16, exec_lo
	s_or_b32 s19, s17, s16
	s_branch .LBB901_124
.LBB901_141:
                                        ; implicit-def: $vgpr49_vgpr50
                                        ; implicit-def: $vgpr47_vgpr48
                                        ; implicit-def: $vgpr43_vgpr44
                                        ; implicit-def: $vgpr39_vgpr40
                                        ; implicit-def: $vgpr35_vgpr36
                                        ; implicit-def: $vgpr31_vgpr32
                                        ; implicit-def: $vgpr27_vgpr28
                                        ; implicit-def: $vgpr45_vgpr46
                                        ; implicit-def: $vgpr41_vgpr42
                                        ; implicit-def: $vgpr37_vgpr38
                                        ; implicit-def: $vgpr33_vgpr34
                                        ; implicit-def: $vgpr29_vgpr30
                                        ; implicit-def: $vgpr51_vgpr52
	s_load_dwordx2 s[18:19], s[4:5], 0x20
	s_cbranch_execnz .LBB901_147
	s_branch .LBB901_176
.LBB901_142:
	s_and_saveexec_b32 s16, s15
	s_cbranch_execz .LBB901_144
; %bb.143:
	v_mov_b32_e32 v27, 0
	v_or_b32_e32 v28, v37, v47
	s_mov_b32 s21, 0
	s_add_i32 s20, s6, 32
	v_mov_b32_e32 v31, 2
	v_cmp_eq_u32_sdwa vcc_lo, v37, v27 src0_sel:BYTE_0 src1_sel:DWORD
	s_lshl_b64 s[36:37], s[20:21], 4
	v_mov_b32_e32 v38, s20
	v_and_b32_e32 v28, 1, v28
	s_add_u32 s20, s22, s36
	v_cndmask_b32_e32 v37, 0, v29, vcc_lo
	v_cndmask_b32_e32 v32, 0, v30, vcc_lo
	s_addc_u32 s21, s23, s37
	v_add_co_u32 v5, vcc_lo, v37, v5
	v_add_co_ci_u32_e64 v6, null, v32, v6, vcc_lo
	global_store_byte v27, v28, s[20:21] offset:8
	global_store_dwordx2 v27, v[5:6], s[20:21]
	s_waitcnt lgkmcnt(0)
	s_waitcnt_vscnt null, 0x0
	buffer_gl1_inv
	buffer_gl0_inv
	global_store_byte v38, v31, s[24:25]
.LBB901_144:
	s_or_b32 exec_lo, exec_lo, s16
	v_cmp_eq_u32_e32 vcc_lo, 0, v0
	s_and_b32 exec_lo, exec_lo, vcc_lo
	s_cbranch_execz .LBB901_146
; %bb.145:
	v_mov_b32_e32 v5, 0
	ds_write_b64 v5, v[29:30] offset:112
	ds_write_b8 v5, v47 offset:120
.LBB901_146:
	s_or_b32 exec_lo, exec_lo, s18
	s_waitcnt lgkmcnt(0)
	v_cndmask_b32_e64 v5, v36, v33, s15
	v_and_b32_e32 v28, 1, v87
	v_mov_b32_e32 v27, 0
	s_waitcnt_vscnt null, 0x0
	s_barrier
	v_and_b32_e32 v29, 1, v5
	v_cmp_eq_u32_e32 vcc_lo, 1, v28
	buffer_gl0_inv
	ds_read_b64 v[5:6], v27 offset:112
	v_cndmask_b32_e64 v3, v34, v3, s15
	v_cmp_eq_u32_e64 s6, 1, v29
	v_cndmask_b32_e64 v4, v35, v4, s15
	s_or_b32 s6, vcc_lo, s6
	v_cmp_eq_u16_sdwa vcc_lo, v87, v27 src0_sel:BYTE_0 src1_sel:DWORD
	v_cndmask_b32_e64 v28, 0, 1, s6
	v_cmp_eq_u32_e64 s6, 0, v0
	v_cndmask_b32_e32 v3, 0, v3, vcc_lo
	v_cndmask_b32_e32 v4, 0, v4, vcc_lo
	v_cndmask_b32_e64 v28, v28, v87, s6
	v_cndmask_b32_e64 v3, v3, 0, s6
	;; [unrolled: 1-line block ×3, first 2 shown]
	v_cmp_eq_u16_sdwa vcc_lo, v28, v27 src0_sel:BYTE_0 src1_sel:DWORD
	s_waitcnt lgkmcnt(0)
	v_cndmask_b32_e32 v6, 0, v6, vcc_lo
	v_cndmask_b32_e32 v5, 0, v5, vcc_lo
	v_add_co_u32 v3, vcc_lo, v3, v1
	v_add_co_ci_u32_e64 v4, null, v4, v2, vcc_lo
	v_add_co_u32 v51, vcc_lo, v3, v5
	v_add_co_ci_u32_e64 v52, null, v4, v6, vcc_lo
	v_cndmask_b32_e64 v3, 0, v51, s13
	v_cndmask_b32_e64 v4, 0, v52, s13
	v_add_co_u32 v27, vcc_lo, v3, v9
	v_add_co_ci_u32_e64 v28, null, v4, v10, vcc_lo
	v_cndmask_b32_e64 v3, 0, v27, s14
	v_cndmask_b32_e64 v4, 0, v28, s14
	;; [unrolled: 4-line block ×12, first 2 shown]
	v_add_co_u32 v49, vcc_lo, v3, v11
	v_add_co_ci_u32_e64 v50, null, v4, v12, vcc_lo
	s_load_dwordx2 s[18:19], s[4:5], 0x20
	s_branch .LBB901_176
.LBB901_147:
	s_cmp_lg_u64 s[34:35], 0
	v_cmp_eq_u32_e32 vcc_lo, 0, v0
	s_cselect_b32 s1, -1, 0
	s_cmp_lg_u64 s[38:39], 0
	v_cmp_ne_u32_e64 s0, 0, v0
	s_cselect_b32 s2, -1, 0
	s_and_b32 s1, s1, s2
	s_and_b32 s1, vcc_lo, s1
	s_and_saveexec_b32 s2, s1
	s_cbranch_execz .LBB901_149
; %bb.148:
	v_mov_b32_e32 v5, 0
	s_clause 0x1
	global_load_dwordx2 v[3:4], v5, s[38:39]
	global_load_ubyte v6, v5, s[38:39] offset:8
	v_cmp_eq_u16_sdwa s1, v87, v5 src0_sel:BYTE_0 src1_sel:DWORD
	s_waitcnt vmcnt(1)
	v_cndmask_b32_e64 v3, 0, v3, s1
	v_cndmask_b32_e64 v4, 0, v4, s1
	s_waitcnt vmcnt(0)
	v_or_b32_e32 v5, v87, v6
	v_add_co_u32 v1, s1, v3, v1
	v_add_co_ci_u32_e64 v2, null, v4, v2, s1
	v_and_b32_e32 v87, 1, v5
.LBB901_149:
	s_or_b32 exec_lo, exec_lo, s2
	v_mov_b32_e32 v3, 0
	v_or_b32_e32 v6, v87, v92
	v_cmp_eq_u32_e64 s12, 1, v61
	v_cmp_eq_u32_e64 s15, 1, v60
	v_cmp_eq_u32_e64 s16, 1, v59
	v_cmp_eq_u16_sdwa s1, v92, v3 src0_sel:BYTE_0 src1_sel:DWORD
	v_cmp_ne_u16_sdwa s20, v55, v3 src0_sel:BYTE_0 src1_sel:DWORD
	v_cmp_ne_u16_sdwa s21, v56, v3 src0_sel:BYTE_0 src1_sel:DWORD
	;; [unrolled: 1-line block ×4, first 2 shown]
	v_cndmask_b32_e64 v5, 0, v1, s1
	v_cndmask_b32_e64 v4, 0, v2, s1
	s_or_b32 s20, s20, s12
	s_or_b32 s12, s21, s15
	v_cmp_eq_u32_e64 s14, 1, v62
	v_add_co_u32 v27, s2, v5, v9
	v_add_co_ci_u32_e64 v28, null, v4, v10, s2
	v_cmp_eq_u16_sdwa s2, v91, v3 src0_sel:BYTE_0 src1_sel:DWORD
	s_or_b32 s15, s16, s12
	v_cmp_eq_u32_e64 s13, 1, v63
	s_or_b32 s14, s34, s14
	v_and_b32_e32 v51, 15, v53
	v_cndmask_b32_e64 v5, 0, v27, s2
	v_cndmask_b32_e64 v4, 0, v28, s2
	s_or_b32 s14, s15, s14
	s_or_b32 s13, s17, s13
	;; [unrolled: 1-line block ×3, first 2 shown]
	v_add_co_u32 v29, s3, v5, v15
	v_add_co_ci_u32_e64 v30, null, v4, v16, s3
	v_cmp_eq_u16_sdwa s3, v90, v3 src0_sel:BYTE_0 src1_sel:DWORD
	s_or_b32 s14, s14, s13
	s_mov_b32 s15, exec_lo
	v_cndmask_b32_e64 v54, 0, 1, s14
	v_cndmask_b32_e64 v5, 0, v29, s3
	;; [unrolled: 1-line block ×3, first 2 shown]
	v_mov_b32_dpp v52, v54 row_shr:1 row_mask:0xf bank_mask:0xf
	v_add_co_u32 v31, s4, v5, v13
	v_add_co_ci_u32_e64 v32, null, v4, v14, s4
	v_cmp_eq_u16_sdwa s4, v89, v3 src0_sel:BYTE_0 src1_sel:DWORD
	v_cndmask_b32_e64 v5, 0, v31, s4
	v_cndmask_b32_e64 v4, 0, v32, s4
	v_add_co_u32 v33, s5, v5, v19
	v_add_co_ci_u32_e64 v34, null, v4, v20, s5
	v_cmp_eq_u16_sdwa s5, v88, v3 src0_sel:BYTE_0 src1_sel:DWORD
	v_cndmask_b32_e64 v5, 0, v33, s5
	v_cndmask_b32_e64 v4, 0, v34, s5
	;; [unrolled: 5-line block ×8, first 2 shown]
	v_add_co_u32 v47, s12, v4, v7
	v_add_co_ci_u32_e64 v48, null, v3, v8, s12
	v_cmp_eq_u16_e64 s12, 0, v58
	v_cndmask_b32_e64 v4, 0, v47, s12
	v_cndmask_b32_e64 v3, 0, v48, s12
	v_add_co_u32 v49, s13, v4, v11
	v_add_co_ci_u32_e64 v50, null, v3, v12, s13
	v_mov_b32_e32 v3, v49
	v_mov_b32_dpp v55, v49 row_shr:1 row_mask:0xf bank_mask:0xf
	v_mov_b32_dpp v56, v50 row_shr:1 row_mask:0xf bank_mask:0xf
	v_mov_b32_e32 v4, v50
	v_mov_b32_e32 v6, v50
	;; [unrolled: 1-line block ×3, first 2 shown]
	v_cmpx_ne_u32_e32 0, v51
	s_cbranch_execz .LBB901_151
; %bb.150:
	v_cndmask_b32_e64 v3, v55, 0, s14
	v_cndmask_b32_e64 v4, v56, 0, s14
	v_and_or_b32 v54, v52, 1, v54
	v_add_co_u32 v3, s13, v49, v3
	v_add_co_ci_u32_e64 v4, null, v50, v4, s13
	v_mov_b32_e32 v5, v3
	v_mov_b32_e32 v6, v4
.LBB901_151:
	s_or_b32 exec_lo, exec_lo, s15
	v_mov_b32_dpp v55, v5 row_shr:2 row_mask:0xf bank_mask:0xf
	v_mov_b32_dpp v56, v6 row_shr:2 row_mask:0xf bank_mask:0xf
	v_mov_b32_dpp v52, v54 row_shr:2 row_mask:0xf bank_mask:0xf
	s_mov_b32 s14, exec_lo
	v_cmpx_lt_u32_e32 1, v51
	s_cbranch_execz .LBB901_153
; %bb.152:
	v_cmp_eq_u16_e64 s13, 0, v54
	v_or_b32_e32 v52, v52, v54
	v_cndmask_b32_e64 v5, 0, v55, s13
	v_cndmask_b32_e64 v6, 0, v56, s13
	v_and_b32_e32 v54, 1, v52
	v_add_co_u32 v5, s13, v5, v3
	v_add_co_ci_u32_e64 v6, null, v6, v4, s13
	v_mov_b32_e32 v3, v5
	v_mov_b32_e32 v4, v6
.LBB901_153:
	s_or_b32 exec_lo, exec_lo, s14
	v_mov_b32_dpp v55, v5 row_shr:4 row_mask:0xf bank_mask:0xf
	v_mov_b32_dpp v56, v6 row_shr:4 row_mask:0xf bank_mask:0xf
	v_mov_b32_dpp v52, v54 row_shr:4 row_mask:0xf bank_mask:0xf
	s_mov_b32 s14, exec_lo
	v_cmpx_lt_u32_e32 3, v51
	s_cbranch_execz .LBB901_155
; %bb.154:
	v_cmp_eq_u16_e64 s13, 0, v54
	v_or_b32_e32 v52, v52, v54
	v_cndmask_b32_e64 v5, 0, v55, s13
	v_cndmask_b32_e64 v6, 0, v56, s13
	v_and_b32_e32 v54, 1, v52
	v_add_co_u32 v5, s13, v5, v3
	v_add_co_ci_u32_e64 v6, null, v6, v4, s13
	v_mov_b32_e32 v3, v5
	v_mov_b32_e32 v4, v6
.LBB901_155:
	;; [unrolled: 18-line block ×3, first 2 shown]
	s_or_b32 exec_lo, exec_lo, s14
	ds_swizzle_b32 v5, v5 offset:swizzle(BROADCAST,32,15)
	ds_swizzle_b32 v6, v6 offset:swizzle(BROADCAST,32,15)
	;; [unrolled: 1-line block ×3, first 2 shown]
	v_and_b32_e32 v51, 16, v53
	v_cmp_ne_u32_e64 s13, 0, v51
	v_mov_b32_e32 v51, v54
	s_and_saveexec_b32 s16, s13
	s_cbranch_execz .LBB901_159
; %bb.158:
	v_cmp_eq_u16_e64 s13, 0, v54
	v_and_b32_e32 v51, 1, v54
	s_waitcnt lgkmcnt(0)
	v_and_b32_e32 v52, 1, v52
	v_cndmask_b32_e64 v6, 0, v6, s13
	v_cndmask_b32_e64 v5, 0, v5, s13
	v_cmp_eq_u32_e64 s13, 1, v51
	v_cmp_eq_u32_e64 s14, 1, v52
	v_add_co_u32 v3, s15, v5, v3
	s_or_b32 s13, s13, s14
	v_add_co_ci_u32_e64 v4, null, v6, v4, s15
	v_cndmask_b32_e64 v54, 0, 1, s13
	v_cndmask_b32_e64 v51, 0, 1, s13
.LBB901_159:
	s_or_b32 exec_lo, exec_lo, s16
	s_waitcnt lgkmcnt(0)
	v_or_b32_e32 v5, 31, v0
	v_lshrrev_b32_e32 v52, 5, v0
	s_mov_b32 s14, exec_lo
	v_cmpx_eq_u32_e64 v0, v5
	s_cbranch_execz .LBB901_161
; %bb.160:
	v_lshlrev_b32_e32 v5, 4, v52
	ds_write_b64 v5, v[3:4]
	ds_write_b8 v5, v54 offset:8
.LBB901_161:
	s_or_b32 exec_lo, exec_lo, s14
	s_mov_b32 s16, exec_lo
	s_waitcnt lgkmcnt(0)
	s_barrier
	buffer_gl0_inv
	v_cmpx_gt_u32_e32 8, v0
	s_cbranch_execz .LBB901_169
; %bb.162:
	v_lshlrev_b32_e32 v54, 4, v0
	v_and_b32_e32 v55, 7, v53
	s_mov_b32 s14, exec_lo
	ds_read_b64 v[5:6], v54
	ds_read_b32 v60, v54 offset:8
	s_waitcnt lgkmcnt(1)
	v_mov_b32_dpp v61, v5 row_shr:1 row_mask:0xf bank_mask:0xf
	v_mov_b32_dpp v62, v6 row_shr:1 row_mask:0xf bank_mask:0xf
	s_waitcnt lgkmcnt(0)
	v_and_b32_e32 v58, 0xffffff00, v60
	v_mov_b32_dpp v63, v60 row_shr:1 row_mask:0xf bank_mask:0xf
	v_mov_b32_e32 v59, v60
	v_mov_b32_e32 v56, v60
	v_cmpx_ne_u32_e32 0, v55
	s_cbranch_execz .LBB901_164
; %bb.163:
	v_mov_b32_e32 v56, 0
	v_cmp_eq_u16_sdwa s13, v60, v56 src0_sel:BYTE_0 src1_sel:DWORD
	v_or_b32_e32 v56, v63, v60
	v_cndmask_b32_e64 v61, 0, v61, s13
	v_cndmask_b32_e64 v60, 0, v62, s13
	v_and_b32_e32 v59, 1, v56
	v_and_b32_e32 v56, 1, v56
	v_add_co_u32 v5, s13, v61, v5
	v_add_co_ci_u32_e64 v6, null, v60, v6, s13
	v_or_b32_e32 v60, v56, v58
.LBB901_164:
	s_or_b32 exec_lo, exec_lo, s14
	v_mov_b32_dpp v61, v5 row_shr:2 row_mask:0xf bank_mask:0xf
	v_mov_b32_dpp v62, v6 row_shr:2 row_mask:0xf bank_mask:0xf
	;; [unrolled: 1-line block ×3, first 2 shown]
	s_mov_b32 s17, exec_lo
	v_cmpx_lt_u32_e32 1, v55
	s_cbranch_execz .LBB901_166
; %bb.165:
	v_mov_b32_e32 v59, 0
	v_and_b32_e32 v60, 1, v56
	v_and_b32_e32 v63, 1, v63
	v_cmp_eq_u16_sdwa s13, v56, v59 src0_sel:BYTE_0 src1_sel:DWORD
	v_cmp_eq_u32_e64 s14, 1, v60
	v_cmp_eq_u32_e64 s15, 1, v63
	v_cndmask_b32_e64 v56, 0, v62, s13
	v_cndmask_b32_e64 v60, 0, v61, s13
	s_or_b32 s13, s14, s15
	v_cndmask_b32_e64 v59, 0, 1, s13
	v_cndmask_b32_e64 v61, 0, 1, s13
	v_add_co_u32 v5, s13, v60, v5
	v_add_co_ci_u32_e64 v6, null, v56, v6, s13
	v_or_b32_e32 v60, v58, v61
	v_mov_b32_e32 v56, v59
.LBB901_166:
	s_or_b32 exec_lo, exec_lo, s17
	v_mov_b32_dpp v58, v5 row_shr:4 row_mask:0xf bank_mask:0xf
	v_mov_b32_dpp v61, v6 row_shr:4 row_mask:0xf bank_mask:0xf
	;; [unrolled: 1-line block ×3, first 2 shown]
	s_mov_b32 s17, exec_lo
	v_cmpx_lt_u32_e32 3, v55
	s_cbranch_execz .LBB901_168
; %bb.167:
	v_mov_b32_e32 v55, 0
	v_cmp_eq_u16_sdwa s13, v56, v55 src0_sel:BYTE_0 src1_sel:DWORD
	v_and_b32_e32 v55, 1, v56
	v_and_b32_e32 v56, 1, v60
	v_cndmask_b32_e64 v59, 0, v61, s13
	v_cndmask_b32_e64 v58, 0, v58, s13
	v_cmp_eq_u32_e64 s13, 1, v55
	v_cmp_eq_u32_e64 s14, 1, v56
	v_add_co_u32 v5, s15, v58, v5
	s_or_b32 s13, s13, s14
	v_add_co_ci_u32_e64 v6, null, v59, v6, s15
	v_cndmask_b32_e64 v59, 0, 1, s13
.LBB901_168:
	s_or_b32 exec_lo, exec_lo, s17
	ds_write_b64 v54, v[5:6]
	ds_write_b8 v54, v59 offset:8
.LBB901_169:
	s_or_b32 exec_lo, exec_lo, s16
	v_mov_b32_e32 v5, 0
	v_mov_b32_e32 v6, 0
	s_mov_b32 s14, exec_lo
	s_waitcnt lgkmcnt(0)
	s_barrier
	buffer_gl0_inv
	v_cmpx_lt_u32_e32 31, v0
	s_cbranch_execz .LBB901_171
; %bb.170:
	v_lshl_add_u32 v5, v52, 4, -16
	v_cmp_eq_u32_e64 s13, 0, v51
	ds_read_b64 v[5:6], v5
	s_waitcnt lgkmcnt(0)
	v_cndmask_b32_e64 v52, 0, v5, s13
	v_cndmask_b32_e64 v51, 0, v6, s13
	v_add_co_u32 v3, s13, v52, v3
	v_add_co_ci_u32_e64 v4, null, v51, v4, s13
.LBB901_171:
	s_or_b32 exec_lo, exec_lo, s14
	v_add_nc_u32_e32 v51, -1, v53
	v_cmp_gt_i32_e64 s13, 0, v51
	v_cndmask_b32_e64 v51, v51, v53, s13
	v_lshlrev_b32_e32 v51, 2, v51
	ds_bpermute_b32 v3, v51, v3
	ds_bpermute_b32 v4, v51, v4
	s_and_saveexec_b32 s13, s0
	s_cbranch_execz .LBB901_173
; %bb.172:
	v_cmp_eq_u32_e64 s0, 0, v53
	v_mov_b32_e32 v27, 0
	;;#ASMSTART
	;;#ASMEND
	s_waitcnt lgkmcnt(1)
	v_cndmask_b32_e64 v3, v3, v5, s0
	s_waitcnt lgkmcnt(0)
	v_cndmask_b32_e64 v4, v4, v6, s0
	v_cmp_eq_u16_sdwa s0, v87, v27 src0_sel:BYTE_0 src1_sel:DWORD
	v_cndmask_b32_e64 v3, 0, v3, s0
	v_cndmask_b32_e64 v4, 0, v4, s0
	v_add_co_u32 v1, s0, v3, v1
	v_add_co_ci_u32_e64 v2, null, v4, v2, s0
	v_cndmask_b32_e64 v3, 0, v1, s1
	v_cndmask_b32_e64 v4, 0, v2, s1
	v_add_co_u32 v27, s0, v3, v9
	v_add_co_ci_u32_e64 v28, null, v4, v10, s0
	;; [unrolled: 4-line block ×13, first 2 shown]
.LBB901_173:
	s_or_b32 exec_lo, exec_lo, s13
	s_and_saveexec_b32 s0, vcc_lo
	s_cbranch_execz .LBB901_175
; %bb.174:
	v_mov_b32_e32 v5, 0
	v_mov_b32_e32 v7, 2
	s_waitcnt lgkmcnt(0)
	ds_read_b64 v[3:4], v5 offset:112
	ds_read_u8 v6, v5 offset:120
	s_waitcnt lgkmcnt(1)
	global_store_dwordx2 v5, v[3:4], s[22:23] offset:512
	s_waitcnt lgkmcnt(0)
	global_store_byte v5, v6, s[22:23] offset:520
	s_waitcnt_vscnt null, 0x0
	buffer_gl1_inv
	buffer_gl0_inv
	global_store_byte v5, v7, s[24:25] offset:32
.LBB901_175:
	s_or_b32 exec_lo, exec_lo, s0
	v_mov_b32_e32 v52, v2
	v_mov_b32_e32 v51, v1
.LBB901_176:
	s_waitcnt lgkmcnt(0)
	s_add_u32 s0, s18, s28
	s_addc_u32 s1, s19, s29
	s_add_u32 s0, s0, s30
	s_addc_u32 s1, s1, s31
	s_and_b32 vcc_lo, exec_lo, s27
	s_cbranch_vccz .LBB901_220
; %bb.177:
	v_mul_u32_u24_e32 v1, 13, v0
	s_add_i32 s33, s33, s26
	s_mov_b32 s2, exec_lo
	v_cmpx_gt_u32_e64 s33, v1
	s_cbranch_execz .LBB901_195
; %bb.178:
	v_add_nc_u32_e32 v2, 1, v1
	s_mov_b32 s3, exec_lo
	v_cmpx_gt_u32_e64 s33, v2
	s_cbranch_execz .LBB901_194
; %bb.179:
	v_add_nc_u32_e32 v2, 2, v1
	;; [unrolled: 5-line block ×8, first 2 shown]
	s_mov_b32 s10, exec_lo
	v_cmpx_gt_u32_e64 s33, v2
; %bb.186:
	v_add_nc_u32_e32 v2, 9, v1
	s_mov_b32 s11, exec_lo
	v_cmpx_gt_u32_e64 s33, v2
	s_or_b32 exec_lo, exec_lo, s11
; %bb.187:
	s_or_b32 exec_lo, exec_lo, s10
.LBB901_188:
	s_or_b32 exec_lo, exec_lo, s9
.LBB901_189:
	s_or_b32 exec_lo, exec_lo, s8
.LBB901_190:
	s_or_b32 exec_lo, exec_lo, s7
.LBB901_191:
	s_or_b32 exec_lo, exec_lo, s6
.LBB901_192:
	s_or_b32 exec_lo, exec_lo, s5
.LBB901_193:
	s_or_b32 exec_lo, exec_lo, s4
.LBB901_194:
	s_or_b32 exec_lo, exec_lo, s3
.LBB901_195:
	s_or_b32 exec_lo, exec_lo, s2
	v_lshlrev_b32_e32 v53, 3, v1
	s_waitcnt_vscnt null, 0x0
	s_barrier
	buffer_gl0_inv
	v_add_co_u32 v25, s2, s0, v57
	v_mad_i32_i24 v1, 0xffffffa0, v0, v53
	ds_write2_b64 v53, v[51:52], v[27:28] offset1:1
	ds_write2_b64 v53, v[29:30], v[31:32] offset0:2 offset1:3
	ds_write2_b64 v53, v[33:34], v[35:36] offset0:4 offset1:5
	;; [unrolled: 1-line block ×5, first 2 shown]
	ds_write_b64 v53, v[49:50] offset:96
	s_waitcnt lgkmcnt(0)
	s_barrier
	buffer_gl0_inv
	ds_read2st64_b64 v[21:24], v1 offset0:4 offset1:8
	ds_read2st64_b64 v[17:20], v1 offset0:12 offset1:16
	;; [unrolled: 1-line block ×6, first 2 shown]
	v_add_co_ci_u32_e64 v26, null, s1, 0, s2
	s_mov_b32 s2, exec_lo
	v_cmpx_gt_u32_e64 s33, v0
	s_cbranch_execz .LBB901_197
; %bb.196:
	v_mul_i32_i24_e32 v54, 0xffffffa0, v0
	v_add_nc_u32_e32 v53, v53, v54
	ds_read_b64 v[53:54], v53
	s_waitcnt lgkmcnt(0)
	flat_store_dwordx2 v[25:26], v[53:54]
.LBB901_197:
	s_or_b32 exec_lo, exec_lo, s2
	v_or_b32_e32 v53, 0x100, v0
	s_mov_b32 s2, exec_lo
	v_cmpx_gt_u32_e64 s33, v53
	s_cbranch_execz .LBB901_199
; %bb.198:
	v_add_co_u32 v53, vcc_lo, 0x800, v25
	v_add_co_ci_u32_e64 v54, null, 0, v26, vcc_lo
	s_waitcnt lgkmcnt(5)
	flat_store_dwordx2 v[53:54], v[21:22]
.LBB901_199:
	s_or_b32 exec_lo, exec_lo, s2
	s_waitcnt lgkmcnt(5)
	v_or_b32_e32 v21, 0x200, v0
	s_mov_b32 s2, exec_lo
	v_cmpx_gt_u32_e64 s33, v21
	s_cbranch_execz .LBB901_201
; %bb.200:
	v_add_co_u32 v21, vcc_lo, 0x1000, v25
	v_add_co_ci_u32_e64 v22, null, 0, v26, vcc_lo
	flat_store_dwordx2 v[21:22], v[23:24]
.LBB901_201:
	s_or_b32 exec_lo, exec_lo, s2
	v_or_b32_e32 v21, 0x300, v0
	s_mov_b32 s2, exec_lo
	v_cmpx_gt_u32_e64 s33, v21
	s_cbranch_execz .LBB901_203
; %bb.202:
	v_add_co_u32 v21, vcc_lo, 0x1800, v25
	v_add_co_ci_u32_e64 v22, null, 0, v26, vcc_lo
	s_waitcnt lgkmcnt(4)
	flat_store_dwordx2 v[21:22], v[17:18]
.LBB901_203:
	s_or_b32 exec_lo, exec_lo, s2
	s_waitcnt lgkmcnt(4)
	v_or_b32_e32 v17, 0x400, v0
	s_mov_b32 s2, exec_lo
	v_cmpx_gt_u32_e64 s33, v17
	s_cbranch_execz .LBB901_205
; %bb.204:
	v_add_co_u32 v17, vcc_lo, 0x2000, v25
	v_add_co_ci_u32_e64 v18, null, 0, v26, vcc_lo
	flat_store_dwordx2 v[17:18], v[19:20]
.LBB901_205:
	;; [unrolled: 22-line block ×5, first 2 shown]
	s_or_b32 exec_lo, exec_lo, s2
	v_or_b32_e32 v5, 0xb00, v0
	s_mov_b32 s2, exec_lo
	v_cmpx_gt_u32_e64 s33, v5
	s_cbranch_execz .LBB901_219
; %bb.218:
	v_add_co_u32 v5, vcc_lo, 0x5800, v25
	v_add_co_ci_u32_e64 v6, null, 0, v26, vcc_lo
	s_waitcnt lgkmcnt(0)
	flat_store_dwordx2 v[5:6], v[1:2]
.LBB901_219:
	s_or_b32 exec_lo, exec_lo, s2
	s_waitcnt lgkmcnt(0)
	v_or_b32_e32 v1, 0xc00, v0
	v_cmp_gt_u32_e64 s2, s33, v1
	s_branch .LBB901_222
.LBB901_220:
	s_mov_b32 s2, 0
                                        ; implicit-def: $vgpr3_vgpr4
	s_cbranch_execz .LBB901_222
; %bb.221:
	v_mul_i32_i24_e32 v2, 0xffffffa0, v0
	v_mul_u32_u24_e32 v1, 0x68, v0
	s_waitcnt_vscnt null, 0x0
	s_barrier
	buffer_gl0_inv
	v_mad_u32_u24 v3, 0x68, v0, v2
	ds_write2_b64 v1, v[51:52], v[27:28] offset1:1
	ds_write2_b64 v1, v[29:30], v[31:32] offset0:2 offset1:3
	ds_write2_b64 v1, v[33:34], v[35:36] offset0:4 offset1:5
	;; [unrolled: 1-line block ×5, first 2 shown]
	ds_write_b64 v1, v[49:50] offset:96
	s_waitcnt lgkmcnt(0)
	s_barrier
	buffer_gl0_inv
	ds_read2st64_b64 v[5:8], v3 offset1:4
	ds_read2st64_b64 v[9:12], v3 offset0:8 offset1:12
	ds_read2st64_b64 v[13:16], v3 offset0:16 offset1:20
	;; [unrolled: 1-line block ×3, first 2 shown]
	v_add_co_u32 v1, s3, s0, v57
	v_add_co_ci_u32_e64 v2, null, s1, 0, s3
	ds_read2st64_b64 v[21:24], v3 offset0:32 offset1:36
	v_add_co_u32 v29, vcc_lo, 0x800, v1
	v_add_co_ci_u32_e64 v30, null, 0, v2, vcc_lo
	v_add_co_u32 v31, vcc_lo, 0x1000, v1
	v_add_co_ci_u32_e64 v32, null, 0, v2, vcc_lo
	ds_read2st64_b64 v[25:28], v3 offset0:40 offset1:44
	ds_read_b64 v[3:4], v3 offset:24576
	s_or_b32 s2, s2, exec_lo
	s_waitcnt lgkmcnt(6)
	flat_store_dwordx2 v[1:2], v[5:6]
	flat_store_dwordx2 v[29:30], v[7:8]
	s_waitcnt lgkmcnt(7)
	flat_store_dwordx2 v[31:32], v[9:10]
	v_add_co_u32 v5, vcc_lo, 0x1800, v1
	v_add_co_ci_u32_e64 v6, null, 0, v2, vcc_lo
	v_add_co_u32 v7, vcc_lo, 0x2000, v1
	v_add_co_ci_u32_e64 v8, null, 0, v2, vcc_lo
	;; [unrolled: 2-line block ×5, first 2 shown]
	flat_store_dwordx2 v[5:6], v[11:12]
	s_waitcnt lgkmcnt(8)
	flat_store_dwordx2 v[7:8], v[13:14]
	flat_store_dwordx2 v[9:10], v[15:16]
	s_waitcnt lgkmcnt(9)
	flat_store_dwordx2 v[29:30], v[17:18]
	flat_store_dwordx2 v[31:32], v[19:20]
	v_add_co_u32 v5, vcc_lo, 0x4000, v1
	v_add_co_ci_u32_e64 v6, null, 0, v2, vcc_lo
	v_add_co_u32 v7, vcc_lo, 0x4800, v1
	v_add_co_ci_u32_e64 v8, null, 0, v2, vcc_lo
	;; [unrolled: 2-line block ×4, first 2 shown]
	s_waitcnt lgkmcnt(10)
	flat_store_dwordx2 v[5:6], v[21:22]
	flat_store_dwordx2 v[7:8], v[23:24]
	s_waitcnt lgkmcnt(11)
	flat_store_dwordx2 v[9:10], v[25:26]
	flat_store_dwordx2 v[1:2], v[27:28]
.LBB901_222:
	s_and_saveexec_b32 s3, s2
	s_cbranch_execnz .LBB901_224
; %bb.223:
	s_endpgm
.LBB901_224:
	v_lshlrev_b32_e32 v0, 3, v0
	v_add_co_u32 v0, s0, s0, v0
	v_add_co_ci_u32_e64 v1, null, s1, 0, s0
	v_add_co_u32 v0, vcc_lo, 0x6000, v0
	v_add_co_ci_u32_e64 v1, null, 0, v1, vcc_lo
	s_waitcnt lgkmcnt(12)
	flat_store_dwordx2 v[0:1], v[3:4]
	s_endpgm
.LBB901_225:
	global_load_dwordx2 v[1:2], v39, s[16:17]
	s_waitcnt vmcnt(0)
	v_sub_co_u32 v1, vcc_lo, 0, v1
	v_sub_co_ci_u32_e64 v2, null, 0, v2, vcc_lo
	s_or_b32 exec_lo, exec_lo, s36
                                        ; implicit-def: $vgpr3_vgpr4
	s_and_saveexec_b32 s0, s1
	s_cbranch_execz .LBB901_35
.LBB901_226:
	global_load_dwordx2 v[3:4], v27, s[16:17]
	s_waitcnt vmcnt(0)
	v_sub_co_u32 v3, vcc_lo, 0, v3
	v_sub_co_ci_u32_e64 v4, null, 0, v4, vcc_lo
	s_or_b32 exec_lo, exec_lo, s0
                                        ; implicit-def: $vgpr5_vgpr6
	s_and_saveexec_b32 s0, s2
	s_cbranch_execz .LBB901_36
.LBB901_227:
	global_load_dwordx2 v[5:6], v28, s[16:17]
	s_waitcnt vmcnt(0)
	v_sub_co_u32 v5, vcc_lo, 0, v5
	v_sub_co_ci_u32_e64 v6, null, 0, v6, vcc_lo
	s_or_b32 exec_lo, exec_lo, s0
                                        ; implicit-def: $vgpr7_vgpr8
	s_and_saveexec_b32 s0, s3
	s_cbranch_execz .LBB901_37
.LBB901_228:
	global_load_dwordx2 v[7:8], v29, s[16:17]
	s_waitcnt vmcnt(0)
	v_sub_co_u32 v7, vcc_lo, 0, v7
	v_sub_co_ci_u32_e64 v8, null, 0, v8, vcc_lo
	s_or_b32 exec_lo, exec_lo, s0
                                        ; implicit-def: $vgpr9_vgpr10
	s_and_saveexec_b32 s0, s7
	s_cbranch_execz .LBB901_38
.LBB901_229:
	global_load_dwordx2 v[9:10], v30, s[16:17]
	s_waitcnt vmcnt(0)
	v_sub_co_u32 v9, vcc_lo, 0, v9
	v_sub_co_ci_u32_e64 v10, null, 0, v10, vcc_lo
	s_or_b32 exec_lo, exec_lo, s0
                                        ; implicit-def: $vgpr13_vgpr14
	s_and_saveexec_b32 s0, s8
	s_cbranch_execz .LBB901_39
.LBB901_230:
	global_load_dwordx2 v[13:14], v31, s[16:17]
	s_waitcnt vmcnt(0)
	v_sub_co_u32 v13, vcc_lo, 0, v13
	v_sub_co_ci_u32_e64 v14, null, 0, v14, vcc_lo
	s_or_b32 exec_lo, exec_lo, s0
                                        ; implicit-def: $vgpr15_vgpr16
	s_and_saveexec_b32 s0, s9
	s_cbranch_execz .LBB901_40
.LBB901_231:
	global_load_dwordx2 v[15:16], v32, s[16:17]
	s_waitcnt vmcnt(0)
	v_sub_co_u32 v15, vcc_lo, 0, v15
	v_sub_co_ci_u32_e64 v16, null, 0, v16, vcc_lo
	s_or_b32 exec_lo, exec_lo, s0
                                        ; implicit-def: $vgpr17_vgpr18
	s_and_saveexec_b32 s0, s10
	s_cbranch_execz .LBB901_41
.LBB901_232:
	global_load_dwordx2 v[17:18], v33, s[16:17]
	s_waitcnt vmcnt(0)
	v_sub_co_u32 v17, vcc_lo, 0, v17
	v_sub_co_ci_u32_e64 v18, null, 0, v18, vcc_lo
	s_or_b32 exec_lo, exec_lo, s0
                                        ; implicit-def: $vgpr19_vgpr20
	s_and_saveexec_b32 s0, s11
	s_cbranch_execz .LBB901_42
.LBB901_233:
	global_load_dwordx2 v[19:20], v34, s[16:17]
	s_waitcnt vmcnt(0)
	v_sub_co_u32 v19, vcc_lo, 0, v19
	v_sub_co_ci_u32_e64 v20, null, 0, v20, vcc_lo
	s_or_b32 exec_lo, exec_lo, s0
                                        ; implicit-def: $vgpr21_vgpr22
	s_and_saveexec_b32 s0, s12
	s_cbranch_execz .LBB901_43
.LBB901_234:
	global_load_dwordx2 v[21:22], v35, s[16:17]
	s_waitcnt vmcnt(0)
	v_sub_co_u32 v21, vcc_lo, 0, v21
	v_sub_co_ci_u32_e64 v22, null, 0, v22, vcc_lo
	s_or_b32 exec_lo, exec_lo, s0
                                        ; implicit-def: $vgpr23_vgpr24
	s_and_saveexec_b32 s0, s13
	s_cbranch_execz .LBB901_44
.LBB901_235:
	global_load_dwordx2 v[23:24], v36, s[16:17]
	s_waitcnt vmcnt(0)
	v_sub_co_u32 v23, vcc_lo, 0, v23
	v_sub_co_ci_u32_e64 v24, null, 0, v24, vcc_lo
	s_or_b32 exec_lo, exec_lo, s0
                                        ; implicit-def: $vgpr25_vgpr26
	s_and_saveexec_b32 s0, s14
	s_cbranch_execz .LBB901_45
.LBB901_236:
	global_load_dwordx2 v[25:26], v37, s[16:17]
	s_waitcnt vmcnt(0)
	v_sub_co_u32 v25, vcc_lo, 0, v25
	v_sub_co_ci_u32_e64 v26, null, 0, v26, vcc_lo
	s_or_b32 exec_lo, exec_lo, s0
                                        ; implicit-def: $vgpr27_vgpr28
	s_and_saveexec_b32 s0, s15
	s_cbranch_execnz .LBB901_46
	s_branch .LBB901_47
.LBB901_237:
                                        ; implicit-def: $sgpr36_sgpr37
	s_branch .LBB901_30
.LBB901_238:
                                        ; implicit-def: $sgpr0_sgpr1
	s_branch .LBB901_76
	.section	.rodata,"a",@progbits
	.p2align	6, 0x0
	.amdhsa_kernel _ZN7rocprim17ROCPRIM_400000_NS6detail17trampoline_kernelINS0_14default_configENS1_27scan_by_key_config_selectorIxxEEZZNS1_16scan_by_key_implILNS1_25lookback_scan_determinismE0ELb0ES3_N6thrust23THRUST_200600_302600_NS6detail15normal_iteratorINS9_10device_ptrIxEEEENS9_18transform_iteratorINS9_6negateIxEESE_NS9_11use_defaultESI_EESE_xNS9_4plusIvEENS9_8equal_toIvEExEE10hipError_tPvRmT2_T3_T4_T5_mT6_T7_P12ihipStream_tbENKUlT_T0_E_clISt17integral_constantIbLb0EES14_EEDaSZ_S10_EUlSZ_E_NS1_11comp_targetILNS1_3genE8ELNS1_11target_archE1030ELNS1_3gpuE2ELNS1_3repE0EEENS1_30default_config_static_selectorELNS0_4arch9wavefront6targetE0EEEvT1_
		.amdhsa_group_segment_fixed_size 30720
		.amdhsa_private_segment_fixed_size 0
		.amdhsa_kernarg_size 144
		.amdhsa_user_sgpr_count 6
		.amdhsa_user_sgpr_private_segment_buffer 1
		.amdhsa_user_sgpr_dispatch_ptr 0
		.amdhsa_user_sgpr_queue_ptr 0
		.amdhsa_user_sgpr_kernarg_segment_ptr 1
		.amdhsa_user_sgpr_dispatch_id 0
		.amdhsa_user_sgpr_flat_scratch_init 0
		.amdhsa_user_sgpr_private_segment_size 0
		.amdhsa_wavefront_size32 1
		.amdhsa_uses_dynamic_stack 0
		.amdhsa_system_sgpr_private_segment_wavefront_offset 0
		.amdhsa_system_sgpr_workgroup_id_x 1
		.amdhsa_system_sgpr_workgroup_id_y 0
		.amdhsa_system_sgpr_workgroup_id_z 0
		.amdhsa_system_sgpr_workgroup_info 0
		.amdhsa_system_vgpr_workitem_id 0
		.amdhsa_next_free_vgpr 113
		.amdhsa_next_free_sgpr 49
		.amdhsa_reserve_vcc 1
		.amdhsa_reserve_flat_scratch 1
		.amdhsa_float_round_mode_32 0
		.amdhsa_float_round_mode_16_64 0
		.amdhsa_float_denorm_mode_32 3
		.amdhsa_float_denorm_mode_16_64 3
		.amdhsa_dx10_clamp 1
		.amdhsa_ieee_mode 1
		.amdhsa_fp16_overflow 0
		.amdhsa_workgroup_processor_mode 1
		.amdhsa_memory_ordered 1
		.amdhsa_forward_progress 1
		.amdhsa_shared_vgpr_count 0
		.amdhsa_exception_fp_ieee_invalid_op 0
		.amdhsa_exception_fp_denorm_src 0
		.amdhsa_exception_fp_ieee_div_zero 0
		.amdhsa_exception_fp_ieee_overflow 0
		.amdhsa_exception_fp_ieee_underflow 0
		.amdhsa_exception_fp_ieee_inexact 0
		.amdhsa_exception_int_div_zero 0
	.end_amdhsa_kernel
	.section	.text._ZN7rocprim17ROCPRIM_400000_NS6detail17trampoline_kernelINS0_14default_configENS1_27scan_by_key_config_selectorIxxEEZZNS1_16scan_by_key_implILNS1_25lookback_scan_determinismE0ELb0ES3_N6thrust23THRUST_200600_302600_NS6detail15normal_iteratorINS9_10device_ptrIxEEEENS9_18transform_iteratorINS9_6negateIxEESE_NS9_11use_defaultESI_EESE_xNS9_4plusIvEENS9_8equal_toIvEExEE10hipError_tPvRmT2_T3_T4_T5_mT6_T7_P12ihipStream_tbENKUlT_T0_E_clISt17integral_constantIbLb0EES14_EEDaSZ_S10_EUlSZ_E_NS1_11comp_targetILNS1_3genE8ELNS1_11target_archE1030ELNS1_3gpuE2ELNS1_3repE0EEENS1_30default_config_static_selectorELNS0_4arch9wavefront6targetE0EEEvT1_,"axG",@progbits,_ZN7rocprim17ROCPRIM_400000_NS6detail17trampoline_kernelINS0_14default_configENS1_27scan_by_key_config_selectorIxxEEZZNS1_16scan_by_key_implILNS1_25lookback_scan_determinismE0ELb0ES3_N6thrust23THRUST_200600_302600_NS6detail15normal_iteratorINS9_10device_ptrIxEEEENS9_18transform_iteratorINS9_6negateIxEESE_NS9_11use_defaultESI_EESE_xNS9_4plusIvEENS9_8equal_toIvEExEE10hipError_tPvRmT2_T3_T4_T5_mT6_T7_P12ihipStream_tbENKUlT_T0_E_clISt17integral_constantIbLb0EES14_EEDaSZ_S10_EUlSZ_E_NS1_11comp_targetILNS1_3genE8ELNS1_11target_archE1030ELNS1_3gpuE2ELNS1_3repE0EEENS1_30default_config_static_selectorELNS0_4arch9wavefront6targetE0EEEvT1_,comdat
.Lfunc_end901:
	.size	_ZN7rocprim17ROCPRIM_400000_NS6detail17trampoline_kernelINS0_14default_configENS1_27scan_by_key_config_selectorIxxEEZZNS1_16scan_by_key_implILNS1_25lookback_scan_determinismE0ELb0ES3_N6thrust23THRUST_200600_302600_NS6detail15normal_iteratorINS9_10device_ptrIxEEEENS9_18transform_iteratorINS9_6negateIxEESE_NS9_11use_defaultESI_EESE_xNS9_4plusIvEENS9_8equal_toIvEExEE10hipError_tPvRmT2_T3_T4_T5_mT6_T7_P12ihipStream_tbENKUlT_T0_E_clISt17integral_constantIbLb0EES14_EEDaSZ_S10_EUlSZ_E_NS1_11comp_targetILNS1_3genE8ELNS1_11target_archE1030ELNS1_3gpuE2ELNS1_3repE0EEENS1_30default_config_static_selectorELNS0_4arch9wavefront6targetE0EEEvT1_, .Lfunc_end901-_ZN7rocprim17ROCPRIM_400000_NS6detail17trampoline_kernelINS0_14default_configENS1_27scan_by_key_config_selectorIxxEEZZNS1_16scan_by_key_implILNS1_25lookback_scan_determinismE0ELb0ES3_N6thrust23THRUST_200600_302600_NS6detail15normal_iteratorINS9_10device_ptrIxEEEENS9_18transform_iteratorINS9_6negateIxEESE_NS9_11use_defaultESI_EESE_xNS9_4plusIvEENS9_8equal_toIvEExEE10hipError_tPvRmT2_T3_T4_T5_mT6_T7_P12ihipStream_tbENKUlT_T0_E_clISt17integral_constantIbLb0EES14_EEDaSZ_S10_EUlSZ_E_NS1_11comp_targetILNS1_3genE8ELNS1_11target_archE1030ELNS1_3gpuE2ELNS1_3repE0EEENS1_30default_config_static_selectorELNS0_4arch9wavefront6targetE0EEEvT1_
                                        ; -- End function
	.set _ZN7rocprim17ROCPRIM_400000_NS6detail17trampoline_kernelINS0_14default_configENS1_27scan_by_key_config_selectorIxxEEZZNS1_16scan_by_key_implILNS1_25lookback_scan_determinismE0ELb0ES3_N6thrust23THRUST_200600_302600_NS6detail15normal_iteratorINS9_10device_ptrIxEEEENS9_18transform_iteratorINS9_6negateIxEESE_NS9_11use_defaultESI_EESE_xNS9_4plusIvEENS9_8equal_toIvEExEE10hipError_tPvRmT2_T3_T4_T5_mT6_T7_P12ihipStream_tbENKUlT_T0_E_clISt17integral_constantIbLb0EES14_EEDaSZ_S10_EUlSZ_E_NS1_11comp_targetILNS1_3genE8ELNS1_11target_archE1030ELNS1_3gpuE2ELNS1_3repE0EEENS1_30default_config_static_selectorELNS0_4arch9wavefront6targetE0EEEvT1_.num_vgpr, 106
	.set _ZN7rocprim17ROCPRIM_400000_NS6detail17trampoline_kernelINS0_14default_configENS1_27scan_by_key_config_selectorIxxEEZZNS1_16scan_by_key_implILNS1_25lookback_scan_determinismE0ELb0ES3_N6thrust23THRUST_200600_302600_NS6detail15normal_iteratorINS9_10device_ptrIxEEEENS9_18transform_iteratorINS9_6negateIxEESE_NS9_11use_defaultESI_EESE_xNS9_4plusIvEENS9_8equal_toIvEExEE10hipError_tPvRmT2_T3_T4_T5_mT6_T7_P12ihipStream_tbENKUlT_T0_E_clISt17integral_constantIbLb0EES14_EEDaSZ_S10_EUlSZ_E_NS1_11comp_targetILNS1_3genE8ELNS1_11target_archE1030ELNS1_3gpuE2ELNS1_3repE0EEENS1_30default_config_static_selectorELNS0_4arch9wavefront6targetE0EEEvT1_.num_agpr, 0
	.set _ZN7rocprim17ROCPRIM_400000_NS6detail17trampoline_kernelINS0_14default_configENS1_27scan_by_key_config_selectorIxxEEZZNS1_16scan_by_key_implILNS1_25lookback_scan_determinismE0ELb0ES3_N6thrust23THRUST_200600_302600_NS6detail15normal_iteratorINS9_10device_ptrIxEEEENS9_18transform_iteratorINS9_6negateIxEESE_NS9_11use_defaultESI_EESE_xNS9_4plusIvEENS9_8equal_toIvEExEE10hipError_tPvRmT2_T3_T4_T5_mT6_T7_P12ihipStream_tbENKUlT_T0_E_clISt17integral_constantIbLb0EES14_EEDaSZ_S10_EUlSZ_E_NS1_11comp_targetILNS1_3genE8ELNS1_11target_archE1030ELNS1_3gpuE2ELNS1_3repE0EEENS1_30default_config_static_selectorELNS0_4arch9wavefront6targetE0EEEvT1_.numbered_sgpr, 49
	.set _ZN7rocprim17ROCPRIM_400000_NS6detail17trampoline_kernelINS0_14default_configENS1_27scan_by_key_config_selectorIxxEEZZNS1_16scan_by_key_implILNS1_25lookback_scan_determinismE0ELb0ES3_N6thrust23THRUST_200600_302600_NS6detail15normal_iteratorINS9_10device_ptrIxEEEENS9_18transform_iteratorINS9_6negateIxEESE_NS9_11use_defaultESI_EESE_xNS9_4plusIvEENS9_8equal_toIvEExEE10hipError_tPvRmT2_T3_T4_T5_mT6_T7_P12ihipStream_tbENKUlT_T0_E_clISt17integral_constantIbLb0EES14_EEDaSZ_S10_EUlSZ_E_NS1_11comp_targetILNS1_3genE8ELNS1_11target_archE1030ELNS1_3gpuE2ELNS1_3repE0EEENS1_30default_config_static_selectorELNS0_4arch9wavefront6targetE0EEEvT1_.num_named_barrier, 0
	.set _ZN7rocprim17ROCPRIM_400000_NS6detail17trampoline_kernelINS0_14default_configENS1_27scan_by_key_config_selectorIxxEEZZNS1_16scan_by_key_implILNS1_25lookback_scan_determinismE0ELb0ES3_N6thrust23THRUST_200600_302600_NS6detail15normal_iteratorINS9_10device_ptrIxEEEENS9_18transform_iteratorINS9_6negateIxEESE_NS9_11use_defaultESI_EESE_xNS9_4plusIvEENS9_8equal_toIvEExEE10hipError_tPvRmT2_T3_T4_T5_mT6_T7_P12ihipStream_tbENKUlT_T0_E_clISt17integral_constantIbLb0EES14_EEDaSZ_S10_EUlSZ_E_NS1_11comp_targetILNS1_3genE8ELNS1_11target_archE1030ELNS1_3gpuE2ELNS1_3repE0EEENS1_30default_config_static_selectorELNS0_4arch9wavefront6targetE0EEEvT1_.private_seg_size, 0
	.set _ZN7rocprim17ROCPRIM_400000_NS6detail17trampoline_kernelINS0_14default_configENS1_27scan_by_key_config_selectorIxxEEZZNS1_16scan_by_key_implILNS1_25lookback_scan_determinismE0ELb0ES3_N6thrust23THRUST_200600_302600_NS6detail15normal_iteratorINS9_10device_ptrIxEEEENS9_18transform_iteratorINS9_6negateIxEESE_NS9_11use_defaultESI_EESE_xNS9_4plusIvEENS9_8equal_toIvEExEE10hipError_tPvRmT2_T3_T4_T5_mT6_T7_P12ihipStream_tbENKUlT_T0_E_clISt17integral_constantIbLb0EES14_EEDaSZ_S10_EUlSZ_E_NS1_11comp_targetILNS1_3genE8ELNS1_11target_archE1030ELNS1_3gpuE2ELNS1_3repE0EEENS1_30default_config_static_selectorELNS0_4arch9wavefront6targetE0EEEvT1_.uses_vcc, 1
	.set _ZN7rocprim17ROCPRIM_400000_NS6detail17trampoline_kernelINS0_14default_configENS1_27scan_by_key_config_selectorIxxEEZZNS1_16scan_by_key_implILNS1_25lookback_scan_determinismE0ELb0ES3_N6thrust23THRUST_200600_302600_NS6detail15normal_iteratorINS9_10device_ptrIxEEEENS9_18transform_iteratorINS9_6negateIxEESE_NS9_11use_defaultESI_EESE_xNS9_4plusIvEENS9_8equal_toIvEExEE10hipError_tPvRmT2_T3_T4_T5_mT6_T7_P12ihipStream_tbENKUlT_T0_E_clISt17integral_constantIbLb0EES14_EEDaSZ_S10_EUlSZ_E_NS1_11comp_targetILNS1_3genE8ELNS1_11target_archE1030ELNS1_3gpuE2ELNS1_3repE0EEENS1_30default_config_static_selectorELNS0_4arch9wavefront6targetE0EEEvT1_.uses_flat_scratch, 1
	.set _ZN7rocprim17ROCPRIM_400000_NS6detail17trampoline_kernelINS0_14default_configENS1_27scan_by_key_config_selectorIxxEEZZNS1_16scan_by_key_implILNS1_25lookback_scan_determinismE0ELb0ES3_N6thrust23THRUST_200600_302600_NS6detail15normal_iteratorINS9_10device_ptrIxEEEENS9_18transform_iteratorINS9_6negateIxEESE_NS9_11use_defaultESI_EESE_xNS9_4plusIvEENS9_8equal_toIvEExEE10hipError_tPvRmT2_T3_T4_T5_mT6_T7_P12ihipStream_tbENKUlT_T0_E_clISt17integral_constantIbLb0EES14_EEDaSZ_S10_EUlSZ_E_NS1_11comp_targetILNS1_3genE8ELNS1_11target_archE1030ELNS1_3gpuE2ELNS1_3repE0EEENS1_30default_config_static_selectorELNS0_4arch9wavefront6targetE0EEEvT1_.has_dyn_sized_stack, 0
	.set _ZN7rocprim17ROCPRIM_400000_NS6detail17trampoline_kernelINS0_14default_configENS1_27scan_by_key_config_selectorIxxEEZZNS1_16scan_by_key_implILNS1_25lookback_scan_determinismE0ELb0ES3_N6thrust23THRUST_200600_302600_NS6detail15normal_iteratorINS9_10device_ptrIxEEEENS9_18transform_iteratorINS9_6negateIxEESE_NS9_11use_defaultESI_EESE_xNS9_4plusIvEENS9_8equal_toIvEExEE10hipError_tPvRmT2_T3_T4_T5_mT6_T7_P12ihipStream_tbENKUlT_T0_E_clISt17integral_constantIbLb0EES14_EEDaSZ_S10_EUlSZ_E_NS1_11comp_targetILNS1_3genE8ELNS1_11target_archE1030ELNS1_3gpuE2ELNS1_3repE0EEENS1_30default_config_static_selectorELNS0_4arch9wavefront6targetE0EEEvT1_.has_recursion, 0
	.set _ZN7rocprim17ROCPRIM_400000_NS6detail17trampoline_kernelINS0_14default_configENS1_27scan_by_key_config_selectorIxxEEZZNS1_16scan_by_key_implILNS1_25lookback_scan_determinismE0ELb0ES3_N6thrust23THRUST_200600_302600_NS6detail15normal_iteratorINS9_10device_ptrIxEEEENS9_18transform_iteratorINS9_6negateIxEESE_NS9_11use_defaultESI_EESE_xNS9_4plusIvEENS9_8equal_toIvEExEE10hipError_tPvRmT2_T3_T4_T5_mT6_T7_P12ihipStream_tbENKUlT_T0_E_clISt17integral_constantIbLb0EES14_EEDaSZ_S10_EUlSZ_E_NS1_11comp_targetILNS1_3genE8ELNS1_11target_archE1030ELNS1_3gpuE2ELNS1_3repE0EEENS1_30default_config_static_selectorELNS0_4arch9wavefront6targetE0EEEvT1_.has_indirect_call, 0
	.section	.AMDGPU.csdata,"",@progbits
; Kernel info:
; codeLenInByte = 15440
; TotalNumSgprs: 51
; NumVgprs: 106
; ScratchSize: 0
; MemoryBound: 0
; FloatMode: 240
; IeeeMode: 1
; LDSByteSize: 30720 bytes/workgroup (compile time only)
; SGPRBlocks: 0
; VGPRBlocks: 14
; NumSGPRsForWavesPerEU: 51
; NumVGPRsForWavesPerEU: 113
; Occupancy: 8
; WaveLimiterHint : 1
; COMPUTE_PGM_RSRC2:SCRATCH_EN: 0
; COMPUTE_PGM_RSRC2:USER_SGPR: 6
; COMPUTE_PGM_RSRC2:TRAP_HANDLER: 0
; COMPUTE_PGM_RSRC2:TGID_X_EN: 1
; COMPUTE_PGM_RSRC2:TGID_Y_EN: 0
; COMPUTE_PGM_RSRC2:TGID_Z_EN: 0
; COMPUTE_PGM_RSRC2:TIDIG_COMP_CNT: 0
	.section	.text._ZN7rocprim17ROCPRIM_400000_NS6detail17trampoline_kernelINS0_14default_configENS1_27scan_by_key_config_selectorIxxEEZZNS1_16scan_by_key_implILNS1_25lookback_scan_determinismE0ELb0ES3_N6thrust23THRUST_200600_302600_NS6detail15normal_iteratorINS9_10device_ptrIxEEEENS9_18transform_iteratorINS9_6negateIxEESE_NS9_11use_defaultESI_EESE_xNS9_4plusIvEENS9_8equal_toIvEExEE10hipError_tPvRmT2_T3_T4_T5_mT6_T7_P12ihipStream_tbENKUlT_T0_E_clISt17integral_constantIbLb1EES14_EEDaSZ_S10_EUlSZ_E_NS1_11comp_targetILNS1_3genE0ELNS1_11target_archE4294967295ELNS1_3gpuE0ELNS1_3repE0EEENS1_30default_config_static_selectorELNS0_4arch9wavefront6targetE0EEEvT1_,"axG",@progbits,_ZN7rocprim17ROCPRIM_400000_NS6detail17trampoline_kernelINS0_14default_configENS1_27scan_by_key_config_selectorIxxEEZZNS1_16scan_by_key_implILNS1_25lookback_scan_determinismE0ELb0ES3_N6thrust23THRUST_200600_302600_NS6detail15normal_iteratorINS9_10device_ptrIxEEEENS9_18transform_iteratorINS9_6negateIxEESE_NS9_11use_defaultESI_EESE_xNS9_4plusIvEENS9_8equal_toIvEExEE10hipError_tPvRmT2_T3_T4_T5_mT6_T7_P12ihipStream_tbENKUlT_T0_E_clISt17integral_constantIbLb1EES14_EEDaSZ_S10_EUlSZ_E_NS1_11comp_targetILNS1_3genE0ELNS1_11target_archE4294967295ELNS1_3gpuE0ELNS1_3repE0EEENS1_30default_config_static_selectorELNS0_4arch9wavefront6targetE0EEEvT1_,comdat
	.protected	_ZN7rocprim17ROCPRIM_400000_NS6detail17trampoline_kernelINS0_14default_configENS1_27scan_by_key_config_selectorIxxEEZZNS1_16scan_by_key_implILNS1_25lookback_scan_determinismE0ELb0ES3_N6thrust23THRUST_200600_302600_NS6detail15normal_iteratorINS9_10device_ptrIxEEEENS9_18transform_iteratorINS9_6negateIxEESE_NS9_11use_defaultESI_EESE_xNS9_4plusIvEENS9_8equal_toIvEExEE10hipError_tPvRmT2_T3_T4_T5_mT6_T7_P12ihipStream_tbENKUlT_T0_E_clISt17integral_constantIbLb1EES14_EEDaSZ_S10_EUlSZ_E_NS1_11comp_targetILNS1_3genE0ELNS1_11target_archE4294967295ELNS1_3gpuE0ELNS1_3repE0EEENS1_30default_config_static_selectorELNS0_4arch9wavefront6targetE0EEEvT1_ ; -- Begin function _ZN7rocprim17ROCPRIM_400000_NS6detail17trampoline_kernelINS0_14default_configENS1_27scan_by_key_config_selectorIxxEEZZNS1_16scan_by_key_implILNS1_25lookback_scan_determinismE0ELb0ES3_N6thrust23THRUST_200600_302600_NS6detail15normal_iteratorINS9_10device_ptrIxEEEENS9_18transform_iteratorINS9_6negateIxEESE_NS9_11use_defaultESI_EESE_xNS9_4plusIvEENS9_8equal_toIvEExEE10hipError_tPvRmT2_T3_T4_T5_mT6_T7_P12ihipStream_tbENKUlT_T0_E_clISt17integral_constantIbLb1EES14_EEDaSZ_S10_EUlSZ_E_NS1_11comp_targetILNS1_3genE0ELNS1_11target_archE4294967295ELNS1_3gpuE0ELNS1_3repE0EEENS1_30default_config_static_selectorELNS0_4arch9wavefront6targetE0EEEvT1_
	.globl	_ZN7rocprim17ROCPRIM_400000_NS6detail17trampoline_kernelINS0_14default_configENS1_27scan_by_key_config_selectorIxxEEZZNS1_16scan_by_key_implILNS1_25lookback_scan_determinismE0ELb0ES3_N6thrust23THRUST_200600_302600_NS6detail15normal_iteratorINS9_10device_ptrIxEEEENS9_18transform_iteratorINS9_6negateIxEESE_NS9_11use_defaultESI_EESE_xNS9_4plusIvEENS9_8equal_toIvEExEE10hipError_tPvRmT2_T3_T4_T5_mT6_T7_P12ihipStream_tbENKUlT_T0_E_clISt17integral_constantIbLb1EES14_EEDaSZ_S10_EUlSZ_E_NS1_11comp_targetILNS1_3genE0ELNS1_11target_archE4294967295ELNS1_3gpuE0ELNS1_3repE0EEENS1_30default_config_static_selectorELNS0_4arch9wavefront6targetE0EEEvT1_
	.p2align	8
	.type	_ZN7rocprim17ROCPRIM_400000_NS6detail17trampoline_kernelINS0_14default_configENS1_27scan_by_key_config_selectorIxxEEZZNS1_16scan_by_key_implILNS1_25lookback_scan_determinismE0ELb0ES3_N6thrust23THRUST_200600_302600_NS6detail15normal_iteratorINS9_10device_ptrIxEEEENS9_18transform_iteratorINS9_6negateIxEESE_NS9_11use_defaultESI_EESE_xNS9_4plusIvEENS9_8equal_toIvEExEE10hipError_tPvRmT2_T3_T4_T5_mT6_T7_P12ihipStream_tbENKUlT_T0_E_clISt17integral_constantIbLb1EES14_EEDaSZ_S10_EUlSZ_E_NS1_11comp_targetILNS1_3genE0ELNS1_11target_archE4294967295ELNS1_3gpuE0ELNS1_3repE0EEENS1_30default_config_static_selectorELNS0_4arch9wavefront6targetE0EEEvT1_,@function
_ZN7rocprim17ROCPRIM_400000_NS6detail17trampoline_kernelINS0_14default_configENS1_27scan_by_key_config_selectorIxxEEZZNS1_16scan_by_key_implILNS1_25lookback_scan_determinismE0ELb0ES3_N6thrust23THRUST_200600_302600_NS6detail15normal_iteratorINS9_10device_ptrIxEEEENS9_18transform_iteratorINS9_6negateIxEESE_NS9_11use_defaultESI_EESE_xNS9_4plusIvEENS9_8equal_toIvEExEE10hipError_tPvRmT2_T3_T4_T5_mT6_T7_P12ihipStream_tbENKUlT_T0_E_clISt17integral_constantIbLb1EES14_EEDaSZ_S10_EUlSZ_E_NS1_11comp_targetILNS1_3genE0ELNS1_11target_archE4294967295ELNS1_3gpuE0ELNS1_3repE0EEENS1_30default_config_static_selectorELNS0_4arch9wavefront6targetE0EEEvT1_: ; @_ZN7rocprim17ROCPRIM_400000_NS6detail17trampoline_kernelINS0_14default_configENS1_27scan_by_key_config_selectorIxxEEZZNS1_16scan_by_key_implILNS1_25lookback_scan_determinismE0ELb0ES3_N6thrust23THRUST_200600_302600_NS6detail15normal_iteratorINS9_10device_ptrIxEEEENS9_18transform_iteratorINS9_6negateIxEESE_NS9_11use_defaultESI_EESE_xNS9_4plusIvEENS9_8equal_toIvEExEE10hipError_tPvRmT2_T3_T4_T5_mT6_T7_P12ihipStream_tbENKUlT_T0_E_clISt17integral_constantIbLb1EES14_EEDaSZ_S10_EUlSZ_E_NS1_11comp_targetILNS1_3genE0ELNS1_11target_archE4294967295ELNS1_3gpuE0ELNS1_3repE0EEENS1_30default_config_static_selectorELNS0_4arch9wavefront6targetE0EEEvT1_
; %bb.0:
	.section	.rodata,"a",@progbits
	.p2align	6, 0x0
	.amdhsa_kernel _ZN7rocprim17ROCPRIM_400000_NS6detail17trampoline_kernelINS0_14default_configENS1_27scan_by_key_config_selectorIxxEEZZNS1_16scan_by_key_implILNS1_25lookback_scan_determinismE0ELb0ES3_N6thrust23THRUST_200600_302600_NS6detail15normal_iteratorINS9_10device_ptrIxEEEENS9_18transform_iteratorINS9_6negateIxEESE_NS9_11use_defaultESI_EESE_xNS9_4plusIvEENS9_8equal_toIvEExEE10hipError_tPvRmT2_T3_T4_T5_mT6_T7_P12ihipStream_tbENKUlT_T0_E_clISt17integral_constantIbLb1EES14_EEDaSZ_S10_EUlSZ_E_NS1_11comp_targetILNS1_3genE0ELNS1_11target_archE4294967295ELNS1_3gpuE0ELNS1_3repE0EEENS1_30default_config_static_selectorELNS0_4arch9wavefront6targetE0EEEvT1_
		.amdhsa_group_segment_fixed_size 0
		.amdhsa_private_segment_fixed_size 0
		.amdhsa_kernarg_size 144
		.amdhsa_user_sgpr_count 6
		.amdhsa_user_sgpr_private_segment_buffer 1
		.amdhsa_user_sgpr_dispatch_ptr 0
		.amdhsa_user_sgpr_queue_ptr 0
		.amdhsa_user_sgpr_kernarg_segment_ptr 1
		.amdhsa_user_sgpr_dispatch_id 0
		.amdhsa_user_sgpr_flat_scratch_init 0
		.amdhsa_user_sgpr_private_segment_size 0
		.amdhsa_wavefront_size32 1
		.amdhsa_uses_dynamic_stack 0
		.amdhsa_system_sgpr_private_segment_wavefront_offset 0
		.amdhsa_system_sgpr_workgroup_id_x 1
		.amdhsa_system_sgpr_workgroup_id_y 0
		.amdhsa_system_sgpr_workgroup_id_z 0
		.amdhsa_system_sgpr_workgroup_info 0
		.amdhsa_system_vgpr_workitem_id 0
		.amdhsa_next_free_vgpr 1
		.amdhsa_next_free_sgpr 1
		.amdhsa_reserve_vcc 0
		.amdhsa_reserve_flat_scratch 0
		.amdhsa_float_round_mode_32 0
		.amdhsa_float_round_mode_16_64 0
		.amdhsa_float_denorm_mode_32 3
		.amdhsa_float_denorm_mode_16_64 3
		.amdhsa_dx10_clamp 1
		.amdhsa_ieee_mode 1
		.amdhsa_fp16_overflow 0
		.amdhsa_workgroup_processor_mode 1
		.amdhsa_memory_ordered 1
		.amdhsa_forward_progress 1
		.amdhsa_shared_vgpr_count 0
		.amdhsa_exception_fp_ieee_invalid_op 0
		.amdhsa_exception_fp_denorm_src 0
		.amdhsa_exception_fp_ieee_div_zero 0
		.amdhsa_exception_fp_ieee_overflow 0
		.amdhsa_exception_fp_ieee_underflow 0
		.amdhsa_exception_fp_ieee_inexact 0
		.amdhsa_exception_int_div_zero 0
	.end_amdhsa_kernel
	.section	.text._ZN7rocprim17ROCPRIM_400000_NS6detail17trampoline_kernelINS0_14default_configENS1_27scan_by_key_config_selectorIxxEEZZNS1_16scan_by_key_implILNS1_25lookback_scan_determinismE0ELb0ES3_N6thrust23THRUST_200600_302600_NS6detail15normal_iteratorINS9_10device_ptrIxEEEENS9_18transform_iteratorINS9_6negateIxEESE_NS9_11use_defaultESI_EESE_xNS9_4plusIvEENS9_8equal_toIvEExEE10hipError_tPvRmT2_T3_T4_T5_mT6_T7_P12ihipStream_tbENKUlT_T0_E_clISt17integral_constantIbLb1EES14_EEDaSZ_S10_EUlSZ_E_NS1_11comp_targetILNS1_3genE0ELNS1_11target_archE4294967295ELNS1_3gpuE0ELNS1_3repE0EEENS1_30default_config_static_selectorELNS0_4arch9wavefront6targetE0EEEvT1_,"axG",@progbits,_ZN7rocprim17ROCPRIM_400000_NS6detail17trampoline_kernelINS0_14default_configENS1_27scan_by_key_config_selectorIxxEEZZNS1_16scan_by_key_implILNS1_25lookback_scan_determinismE0ELb0ES3_N6thrust23THRUST_200600_302600_NS6detail15normal_iteratorINS9_10device_ptrIxEEEENS9_18transform_iteratorINS9_6negateIxEESE_NS9_11use_defaultESI_EESE_xNS9_4plusIvEENS9_8equal_toIvEExEE10hipError_tPvRmT2_T3_T4_T5_mT6_T7_P12ihipStream_tbENKUlT_T0_E_clISt17integral_constantIbLb1EES14_EEDaSZ_S10_EUlSZ_E_NS1_11comp_targetILNS1_3genE0ELNS1_11target_archE4294967295ELNS1_3gpuE0ELNS1_3repE0EEENS1_30default_config_static_selectorELNS0_4arch9wavefront6targetE0EEEvT1_,comdat
.Lfunc_end902:
	.size	_ZN7rocprim17ROCPRIM_400000_NS6detail17trampoline_kernelINS0_14default_configENS1_27scan_by_key_config_selectorIxxEEZZNS1_16scan_by_key_implILNS1_25lookback_scan_determinismE0ELb0ES3_N6thrust23THRUST_200600_302600_NS6detail15normal_iteratorINS9_10device_ptrIxEEEENS9_18transform_iteratorINS9_6negateIxEESE_NS9_11use_defaultESI_EESE_xNS9_4plusIvEENS9_8equal_toIvEExEE10hipError_tPvRmT2_T3_T4_T5_mT6_T7_P12ihipStream_tbENKUlT_T0_E_clISt17integral_constantIbLb1EES14_EEDaSZ_S10_EUlSZ_E_NS1_11comp_targetILNS1_3genE0ELNS1_11target_archE4294967295ELNS1_3gpuE0ELNS1_3repE0EEENS1_30default_config_static_selectorELNS0_4arch9wavefront6targetE0EEEvT1_, .Lfunc_end902-_ZN7rocprim17ROCPRIM_400000_NS6detail17trampoline_kernelINS0_14default_configENS1_27scan_by_key_config_selectorIxxEEZZNS1_16scan_by_key_implILNS1_25lookback_scan_determinismE0ELb0ES3_N6thrust23THRUST_200600_302600_NS6detail15normal_iteratorINS9_10device_ptrIxEEEENS9_18transform_iteratorINS9_6negateIxEESE_NS9_11use_defaultESI_EESE_xNS9_4plusIvEENS9_8equal_toIvEExEE10hipError_tPvRmT2_T3_T4_T5_mT6_T7_P12ihipStream_tbENKUlT_T0_E_clISt17integral_constantIbLb1EES14_EEDaSZ_S10_EUlSZ_E_NS1_11comp_targetILNS1_3genE0ELNS1_11target_archE4294967295ELNS1_3gpuE0ELNS1_3repE0EEENS1_30default_config_static_selectorELNS0_4arch9wavefront6targetE0EEEvT1_
                                        ; -- End function
	.set _ZN7rocprim17ROCPRIM_400000_NS6detail17trampoline_kernelINS0_14default_configENS1_27scan_by_key_config_selectorIxxEEZZNS1_16scan_by_key_implILNS1_25lookback_scan_determinismE0ELb0ES3_N6thrust23THRUST_200600_302600_NS6detail15normal_iteratorINS9_10device_ptrIxEEEENS9_18transform_iteratorINS9_6negateIxEESE_NS9_11use_defaultESI_EESE_xNS9_4plusIvEENS9_8equal_toIvEExEE10hipError_tPvRmT2_T3_T4_T5_mT6_T7_P12ihipStream_tbENKUlT_T0_E_clISt17integral_constantIbLb1EES14_EEDaSZ_S10_EUlSZ_E_NS1_11comp_targetILNS1_3genE0ELNS1_11target_archE4294967295ELNS1_3gpuE0ELNS1_3repE0EEENS1_30default_config_static_selectorELNS0_4arch9wavefront6targetE0EEEvT1_.num_vgpr, 0
	.set _ZN7rocprim17ROCPRIM_400000_NS6detail17trampoline_kernelINS0_14default_configENS1_27scan_by_key_config_selectorIxxEEZZNS1_16scan_by_key_implILNS1_25lookback_scan_determinismE0ELb0ES3_N6thrust23THRUST_200600_302600_NS6detail15normal_iteratorINS9_10device_ptrIxEEEENS9_18transform_iteratorINS9_6negateIxEESE_NS9_11use_defaultESI_EESE_xNS9_4plusIvEENS9_8equal_toIvEExEE10hipError_tPvRmT2_T3_T4_T5_mT6_T7_P12ihipStream_tbENKUlT_T0_E_clISt17integral_constantIbLb1EES14_EEDaSZ_S10_EUlSZ_E_NS1_11comp_targetILNS1_3genE0ELNS1_11target_archE4294967295ELNS1_3gpuE0ELNS1_3repE0EEENS1_30default_config_static_selectorELNS0_4arch9wavefront6targetE0EEEvT1_.num_agpr, 0
	.set _ZN7rocprim17ROCPRIM_400000_NS6detail17trampoline_kernelINS0_14default_configENS1_27scan_by_key_config_selectorIxxEEZZNS1_16scan_by_key_implILNS1_25lookback_scan_determinismE0ELb0ES3_N6thrust23THRUST_200600_302600_NS6detail15normal_iteratorINS9_10device_ptrIxEEEENS9_18transform_iteratorINS9_6negateIxEESE_NS9_11use_defaultESI_EESE_xNS9_4plusIvEENS9_8equal_toIvEExEE10hipError_tPvRmT2_T3_T4_T5_mT6_T7_P12ihipStream_tbENKUlT_T0_E_clISt17integral_constantIbLb1EES14_EEDaSZ_S10_EUlSZ_E_NS1_11comp_targetILNS1_3genE0ELNS1_11target_archE4294967295ELNS1_3gpuE0ELNS1_3repE0EEENS1_30default_config_static_selectorELNS0_4arch9wavefront6targetE0EEEvT1_.numbered_sgpr, 0
	.set _ZN7rocprim17ROCPRIM_400000_NS6detail17trampoline_kernelINS0_14default_configENS1_27scan_by_key_config_selectorIxxEEZZNS1_16scan_by_key_implILNS1_25lookback_scan_determinismE0ELb0ES3_N6thrust23THRUST_200600_302600_NS6detail15normal_iteratorINS9_10device_ptrIxEEEENS9_18transform_iteratorINS9_6negateIxEESE_NS9_11use_defaultESI_EESE_xNS9_4plusIvEENS9_8equal_toIvEExEE10hipError_tPvRmT2_T3_T4_T5_mT6_T7_P12ihipStream_tbENKUlT_T0_E_clISt17integral_constantIbLb1EES14_EEDaSZ_S10_EUlSZ_E_NS1_11comp_targetILNS1_3genE0ELNS1_11target_archE4294967295ELNS1_3gpuE0ELNS1_3repE0EEENS1_30default_config_static_selectorELNS0_4arch9wavefront6targetE0EEEvT1_.num_named_barrier, 0
	.set _ZN7rocprim17ROCPRIM_400000_NS6detail17trampoline_kernelINS0_14default_configENS1_27scan_by_key_config_selectorIxxEEZZNS1_16scan_by_key_implILNS1_25lookback_scan_determinismE0ELb0ES3_N6thrust23THRUST_200600_302600_NS6detail15normal_iteratorINS9_10device_ptrIxEEEENS9_18transform_iteratorINS9_6negateIxEESE_NS9_11use_defaultESI_EESE_xNS9_4plusIvEENS9_8equal_toIvEExEE10hipError_tPvRmT2_T3_T4_T5_mT6_T7_P12ihipStream_tbENKUlT_T0_E_clISt17integral_constantIbLb1EES14_EEDaSZ_S10_EUlSZ_E_NS1_11comp_targetILNS1_3genE0ELNS1_11target_archE4294967295ELNS1_3gpuE0ELNS1_3repE0EEENS1_30default_config_static_selectorELNS0_4arch9wavefront6targetE0EEEvT1_.private_seg_size, 0
	.set _ZN7rocprim17ROCPRIM_400000_NS6detail17trampoline_kernelINS0_14default_configENS1_27scan_by_key_config_selectorIxxEEZZNS1_16scan_by_key_implILNS1_25lookback_scan_determinismE0ELb0ES3_N6thrust23THRUST_200600_302600_NS6detail15normal_iteratorINS9_10device_ptrIxEEEENS9_18transform_iteratorINS9_6negateIxEESE_NS9_11use_defaultESI_EESE_xNS9_4plusIvEENS9_8equal_toIvEExEE10hipError_tPvRmT2_T3_T4_T5_mT6_T7_P12ihipStream_tbENKUlT_T0_E_clISt17integral_constantIbLb1EES14_EEDaSZ_S10_EUlSZ_E_NS1_11comp_targetILNS1_3genE0ELNS1_11target_archE4294967295ELNS1_3gpuE0ELNS1_3repE0EEENS1_30default_config_static_selectorELNS0_4arch9wavefront6targetE0EEEvT1_.uses_vcc, 0
	.set _ZN7rocprim17ROCPRIM_400000_NS6detail17trampoline_kernelINS0_14default_configENS1_27scan_by_key_config_selectorIxxEEZZNS1_16scan_by_key_implILNS1_25lookback_scan_determinismE0ELb0ES3_N6thrust23THRUST_200600_302600_NS6detail15normal_iteratorINS9_10device_ptrIxEEEENS9_18transform_iteratorINS9_6negateIxEESE_NS9_11use_defaultESI_EESE_xNS9_4plusIvEENS9_8equal_toIvEExEE10hipError_tPvRmT2_T3_T4_T5_mT6_T7_P12ihipStream_tbENKUlT_T0_E_clISt17integral_constantIbLb1EES14_EEDaSZ_S10_EUlSZ_E_NS1_11comp_targetILNS1_3genE0ELNS1_11target_archE4294967295ELNS1_3gpuE0ELNS1_3repE0EEENS1_30default_config_static_selectorELNS0_4arch9wavefront6targetE0EEEvT1_.uses_flat_scratch, 0
	.set _ZN7rocprim17ROCPRIM_400000_NS6detail17trampoline_kernelINS0_14default_configENS1_27scan_by_key_config_selectorIxxEEZZNS1_16scan_by_key_implILNS1_25lookback_scan_determinismE0ELb0ES3_N6thrust23THRUST_200600_302600_NS6detail15normal_iteratorINS9_10device_ptrIxEEEENS9_18transform_iteratorINS9_6negateIxEESE_NS9_11use_defaultESI_EESE_xNS9_4plusIvEENS9_8equal_toIvEExEE10hipError_tPvRmT2_T3_T4_T5_mT6_T7_P12ihipStream_tbENKUlT_T0_E_clISt17integral_constantIbLb1EES14_EEDaSZ_S10_EUlSZ_E_NS1_11comp_targetILNS1_3genE0ELNS1_11target_archE4294967295ELNS1_3gpuE0ELNS1_3repE0EEENS1_30default_config_static_selectorELNS0_4arch9wavefront6targetE0EEEvT1_.has_dyn_sized_stack, 0
	.set _ZN7rocprim17ROCPRIM_400000_NS6detail17trampoline_kernelINS0_14default_configENS1_27scan_by_key_config_selectorIxxEEZZNS1_16scan_by_key_implILNS1_25lookback_scan_determinismE0ELb0ES3_N6thrust23THRUST_200600_302600_NS6detail15normal_iteratorINS9_10device_ptrIxEEEENS9_18transform_iteratorINS9_6negateIxEESE_NS9_11use_defaultESI_EESE_xNS9_4plusIvEENS9_8equal_toIvEExEE10hipError_tPvRmT2_T3_T4_T5_mT6_T7_P12ihipStream_tbENKUlT_T0_E_clISt17integral_constantIbLb1EES14_EEDaSZ_S10_EUlSZ_E_NS1_11comp_targetILNS1_3genE0ELNS1_11target_archE4294967295ELNS1_3gpuE0ELNS1_3repE0EEENS1_30default_config_static_selectorELNS0_4arch9wavefront6targetE0EEEvT1_.has_recursion, 0
	.set _ZN7rocprim17ROCPRIM_400000_NS6detail17trampoline_kernelINS0_14default_configENS1_27scan_by_key_config_selectorIxxEEZZNS1_16scan_by_key_implILNS1_25lookback_scan_determinismE0ELb0ES3_N6thrust23THRUST_200600_302600_NS6detail15normal_iteratorINS9_10device_ptrIxEEEENS9_18transform_iteratorINS9_6negateIxEESE_NS9_11use_defaultESI_EESE_xNS9_4plusIvEENS9_8equal_toIvEExEE10hipError_tPvRmT2_T3_T4_T5_mT6_T7_P12ihipStream_tbENKUlT_T0_E_clISt17integral_constantIbLb1EES14_EEDaSZ_S10_EUlSZ_E_NS1_11comp_targetILNS1_3genE0ELNS1_11target_archE4294967295ELNS1_3gpuE0ELNS1_3repE0EEENS1_30default_config_static_selectorELNS0_4arch9wavefront6targetE0EEEvT1_.has_indirect_call, 0
	.section	.AMDGPU.csdata,"",@progbits
; Kernel info:
; codeLenInByte = 0
; TotalNumSgprs: 0
; NumVgprs: 0
; ScratchSize: 0
; MemoryBound: 0
; FloatMode: 240
; IeeeMode: 1
; LDSByteSize: 0 bytes/workgroup (compile time only)
; SGPRBlocks: 0
; VGPRBlocks: 0
; NumSGPRsForWavesPerEU: 1
; NumVGPRsForWavesPerEU: 1
; Occupancy: 16
; WaveLimiterHint : 0
; COMPUTE_PGM_RSRC2:SCRATCH_EN: 0
; COMPUTE_PGM_RSRC2:USER_SGPR: 6
; COMPUTE_PGM_RSRC2:TRAP_HANDLER: 0
; COMPUTE_PGM_RSRC2:TGID_X_EN: 1
; COMPUTE_PGM_RSRC2:TGID_Y_EN: 0
; COMPUTE_PGM_RSRC2:TGID_Z_EN: 0
; COMPUTE_PGM_RSRC2:TIDIG_COMP_CNT: 0
	.section	.text._ZN7rocprim17ROCPRIM_400000_NS6detail17trampoline_kernelINS0_14default_configENS1_27scan_by_key_config_selectorIxxEEZZNS1_16scan_by_key_implILNS1_25lookback_scan_determinismE0ELb0ES3_N6thrust23THRUST_200600_302600_NS6detail15normal_iteratorINS9_10device_ptrIxEEEENS9_18transform_iteratorINS9_6negateIxEESE_NS9_11use_defaultESI_EESE_xNS9_4plusIvEENS9_8equal_toIvEExEE10hipError_tPvRmT2_T3_T4_T5_mT6_T7_P12ihipStream_tbENKUlT_T0_E_clISt17integral_constantIbLb1EES14_EEDaSZ_S10_EUlSZ_E_NS1_11comp_targetILNS1_3genE10ELNS1_11target_archE1201ELNS1_3gpuE5ELNS1_3repE0EEENS1_30default_config_static_selectorELNS0_4arch9wavefront6targetE0EEEvT1_,"axG",@progbits,_ZN7rocprim17ROCPRIM_400000_NS6detail17trampoline_kernelINS0_14default_configENS1_27scan_by_key_config_selectorIxxEEZZNS1_16scan_by_key_implILNS1_25lookback_scan_determinismE0ELb0ES3_N6thrust23THRUST_200600_302600_NS6detail15normal_iteratorINS9_10device_ptrIxEEEENS9_18transform_iteratorINS9_6negateIxEESE_NS9_11use_defaultESI_EESE_xNS9_4plusIvEENS9_8equal_toIvEExEE10hipError_tPvRmT2_T3_T4_T5_mT6_T7_P12ihipStream_tbENKUlT_T0_E_clISt17integral_constantIbLb1EES14_EEDaSZ_S10_EUlSZ_E_NS1_11comp_targetILNS1_3genE10ELNS1_11target_archE1201ELNS1_3gpuE5ELNS1_3repE0EEENS1_30default_config_static_selectorELNS0_4arch9wavefront6targetE0EEEvT1_,comdat
	.protected	_ZN7rocprim17ROCPRIM_400000_NS6detail17trampoline_kernelINS0_14default_configENS1_27scan_by_key_config_selectorIxxEEZZNS1_16scan_by_key_implILNS1_25lookback_scan_determinismE0ELb0ES3_N6thrust23THRUST_200600_302600_NS6detail15normal_iteratorINS9_10device_ptrIxEEEENS9_18transform_iteratorINS9_6negateIxEESE_NS9_11use_defaultESI_EESE_xNS9_4plusIvEENS9_8equal_toIvEExEE10hipError_tPvRmT2_T3_T4_T5_mT6_T7_P12ihipStream_tbENKUlT_T0_E_clISt17integral_constantIbLb1EES14_EEDaSZ_S10_EUlSZ_E_NS1_11comp_targetILNS1_3genE10ELNS1_11target_archE1201ELNS1_3gpuE5ELNS1_3repE0EEENS1_30default_config_static_selectorELNS0_4arch9wavefront6targetE0EEEvT1_ ; -- Begin function _ZN7rocprim17ROCPRIM_400000_NS6detail17trampoline_kernelINS0_14default_configENS1_27scan_by_key_config_selectorIxxEEZZNS1_16scan_by_key_implILNS1_25lookback_scan_determinismE0ELb0ES3_N6thrust23THRUST_200600_302600_NS6detail15normal_iteratorINS9_10device_ptrIxEEEENS9_18transform_iteratorINS9_6negateIxEESE_NS9_11use_defaultESI_EESE_xNS9_4plusIvEENS9_8equal_toIvEExEE10hipError_tPvRmT2_T3_T4_T5_mT6_T7_P12ihipStream_tbENKUlT_T0_E_clISt17integral_constantIbLb1EES14_EEDaSZ_S10_EUlSZ_E_NS1_11comp_targetILNS1_3genE10ELNS1_11target_archE1201ELNS1_3gpuE5ELNS1_3repE0EEENS1_30default_config_static_selectorELNS0_4arch9wavefront6targetE0EEEvT1_
	.globl	_ZN7rocprim17ROCPRIM_400000_NS6detail17trampoline_kernelINS0_14default_configENS1_27scan_by_key_config_selectorIxxEEZZNS1_16scan_by_key_implILNS1_25lookback_scan_determinismE0ELb0ES3_N6thrust23THRUST_200600_302600_NS6detail15normal_iteratorINS9_10device_ptrIxEEEENS9_18transform_iteratorINS9_6negateIxEESE_NS9_11use_defaultESI_EESE_xNS9_4plusIvEENS9_8equal_toIvEExEE10hipError_tPvRmT2_T3_T4_T5_mT6_T7_P12ihipStream_tbENKUlT_T0_E_clISt17integral_constantIbLb1EES14_EEDaSZ_S10_EUlSZ_E_NS1_11comp_targetILNS1_3genE10ELNS1_11target_archE1201ELNS1_3gpuE5ELNS1_3repE0EEENS1_30default_config_static_selectorELNS0_4arch9wavefront6targetE0EEEvT1_
	.p2align	8
	.type	_ZN7rocprim17ROCPRIM_400000_NS6detail17trampoline_kernelINS0_14default_configENS1_27scan_by_key_config_selectorIxxEEZZNS1_16scan_by_key_implILNS1_25lookback_scan_determinismE0ELb0ES3_N6thrust23THRUST_200600_302600_NS6detail15normal_iteratorINS9_10device_ptrIxEEEENS9_18transform_iteratorINS9_6negateIxEESE_NS9_11use_defaultESI_EESE_xNS9_4plusIvEENS9_8equal_toIvEExEE10hipError_tPvRmT2_T3_T4_T5_mT6_T7_P12ihipStream_tbENKUlT_T0_E_clISt17integral_constantIbLb1EES14_EEDaSZ_S10_EUlSZ_E_NS1_11comp_targetILNS1_3genE10ELNS1_11target_archE1201ELNS1_3gpuE5ELNS1_3repE0EEENS1_30default_config_static_selectorELNS0_4arch9wavefront6targetE0EEEvT1_,@function
_ZN7rocprim17ROCPRIM_400000_NS6detail17trampoline_kernelINS0_14default_configENS1_27scan_by_key_config_selectorIxxEEZZNS1_16scan_by_key_implILNS1_25lookback_scan_determinismE0ELb0ES3_N6thrust23THRUST_200600_302600_NS6detail15normal_iteratorINS9_10device_ptrIxEEEENS9_18transform_iteratorINS9_6negateIxEESE_NS9_11use_defaultESI_EESE_xNS9_4plusIvEENS9_8equal_toIvEExEE10hipError_tPvRmT2_T3_T4_T5_mT6_T7_P12ihipStream_tbENKUlT_T0_E_clISt17integral_constantIbLb1EES14_EEDaSZ_S10_EUlSZ_E_NS1_11comp_targetILNS1_3genE10ELNS1_11target_archE1201ELNS1_3gpuE5ELNS1_3repE0EEENS1_30default_config_static_selectorELNS0_4arch9wavefront6targetE0EEEvT1_: ; @_ZN7rocprim17ROCPRIM_400000_NS6detail17trampoline_kernelINS0_14default_configENS1_27scan_by_key_config_selectorIxxEEZZNS1_16scan_by_key_implILNS1_25lookback_scan_determinismE0ELb0ES3_N6thrust23THRUST_200600_302600_NS6detail15normal_iteratorINS9_10device_ptrIxEEEENS9_18transform_iteratorINS9_6negateIxEESE_NS9_11use_defaultESI_EESE_xNS9_4plusIvEENS9_8equal_toIvEExEE10hipError_tPvRmT2_T3_T4_T5_mT6_T7_P12ihipStream_tbENKUlT_T0_E_clISt17integral_constantIbLb1EES14_EEDaSZ_S10_EUlSZ_E_NS1_11comp_targetILNS1_3genE10ELNS1_11target_archE1201ELNS1_3gpuE5ELNS1_3repE0EEENS1_30default_config_static_selectorELNS0_4arch9wavefront6targetE0EEEvT1_
; %bb.0:
	.section	.rodata,"a",@progbits
	.p2align	6, 0x0
	.amdhsa_kernel _ZN7rocprim17ROCPRIM_400000_NS6detail17trampoline_kernelINS0_14default_configENS1_27scan_by_key_config_selectorIxxEEZZNS1_16scan_by_key_implILNS1_25lookback_scan_determinismE0ELb0ES3_N6thrust23THRUST_200600_302600_NS6detail15normal_iteratorINS9_10device_ptrIxEEEENS9_18transform_iteratorINS9_6negateIxEESE_NS9_11use_defaultESI_EESE_xNS9_4plusIvEENS9_8equal_toIvEExEE10hipError_tPvRmT2_T3_T4_T5_mT6_T7_P12ihipStream_tbENKUlT_T0_E_clISt17integral_constantIbLb1EES14_EEDaSZ_S10_EUlSZ_E_NS1_11comp_targetILNS1_3genE10ELNS1_11target_archE1201ELNS1_3gpuE5ELNS1_3repE0EEENS1_30default_config_static_selectorELNS0_4arch9wavefront6targetE0EEEvT1_
		.amdhsa_group_segment_fixed_size 0
		.amdhsa_private_segment_fixed_size 0
		.amdhsa_kernarg_size 144
		.amdhsa_user_sgpr_count 6
		.amdhsa_user_sgpr_private_segment_buffer 1
		.amdhsa_user_sgpr_dispatch_ptr 0
		.amdhsa_user_sgpr_queue_ptr 0
		.amdhsa_user_sgpr_kernarg_segment_ptr 1
		.amdhsa_user_sgpr_dispatch_id 0
		.amdhsa_user_sgpr_flat_scratch_init 0
		.amdhsa_user_sgpr_private_segment_size 0
		.amdhsa_wavefront_size32 1
		.amdhsa_uses_dynamic_stack 0
		.amdhsa_system_sgpr_private_segment_wavefront_offset 0
		.amdhsa_system_sgpr_workgroup_id_x 1
		.amdhsa_system_sgpr_workgroup_id_y 0
		.amdhsa_system_sgpr_workgroup_id_z 0
		.amdhsa_system_sgpr_workgroup_info 0
		.amdhsa_system_vgpr_workitem_id 0
		.amdhsa_next_free_vgpr 1
		.amdhsa_next_free_sgpr 1
		.amdhsa_reserve_vcc 0
		.amdhsa_reserve_flat_scratch 0
		.amdhsa_float_round_mode_32 0
		.amdhsa_float_round_mode_16_64 0
		.amdhsa_float_denorm_mode_32 3
		.amdhsa_float_denorm_mode_16_64 3
		.amdhsa_dx10_clamp 1
		.amdhsa_ieee_mode 1
		.amdhsa_fp16_overflow 0
		.amdhsa_workgroup_processor_mode 1
		.amdhsa_memory_ordered 1
		.amdhsa_forward_progress 1
		.amdhsa_shared_vgpr_count 0
		.amdhsa_exception_fp_ieee_invalid_op 0
		.amdhsa_exception_fp_denorm_src 0
		.amdhsa_exception_fp_ieee_div_zero 0
		.amdhsa_exception_fp_ieee_overflow 0
		.amdhsa_exception_fp_ieee_underflow 0
		.amdhsa_exception_fp_ieee_inexact 0
		.amdhsa_exception_int_div_zero 0
	.end_amdhsa_kernel
	.section	.text._ZN7rocprim17ROCPRIM_400000_NS6detail17trampoline_kernelINS0_14default_configENS1_27scan_by_key_config_selectorIxxEEZZNS1_16scan_by_key_implILNS1_25lookback_scan_determinismE0ELb0ES3_N6thrust23THRUST_200600_302600_NS6detail15normal_iteratorINS9_10device_ptrIxEEEENS9_18transform_iteratorINS9_6negateIxEESE_NS9_11use_defaultESI_EESE_xNS9_4plusIvEENS9_8equal_toIvEExEE10hipError_tPvRmT2_T3_T4_T5_mT6_T7_P12ihipStream_tbENKUlT_T0_E_clISt17integral_constantIbLb1EES14_EEDaSZ_S10_EUlSZ_E_NS1_11comp_targetILNS1_3genE10ELNS1_11target_archE1201ELNS1_3gpuE5ELNS1_3repE0EEENS1_30default_config_static_selectorELNS0_4arch9wavefront6targetE0EEEvT1_,"axG",@progbits,_ZN7rocprim17ROCPRIM_400000_NS6detail17trampoline_kernelINS0_14default_configENS1_27scan_by_key_config_selectorIxxEEZZNS1_16scan_by_key_implILNS1_25lookback_scan_determinismE0ELb0ES3_N6thrust23THRUST_200600_302600_NS6detail15normal_iteratorINS9_10device_ptrIxEEEENS9_18transform_iteratorINS9_6negateIxEESE_NS9_11use_defaultESI_EESE_xNS9_4plusIvEENS9_8equal_toIvEExEE10hipError_tPvRmT2_T3_T4_T5_mT6_T7_P12ihipStream_tbENKUlT_T0_E_clISt17integral_constantIbLb1EES14_EEDaSZ_S10_EUlSZ_E_NS1_11comp_targetILNS1_3genE10ELNS1_11target_archE1201ELNS1_3gpuE5ELNS1_3repE0EEENS1_30default_config_static_selectorELNS0_4arch9wavefront6targetE0EEEvT1_,comdat
.Lfunc_end903:
	.size	_ZN7rocprim17ROCPRIM_400000_NS6detail17trampoline_kernelINS0_14default_configENS1_27scan_by_key_config_selectorIxxEEZZNS1_16scan_by_key_implILNS1_25lookback_scan_determinismE0ELb0ES3_N6thrust23THRUST_200600_302600_NS6detail15normal_iteratorINS9_10device_ptrIxEEEENS9_18transform_iteratorINS9_6negateIxEESE_NS9_11use_defaultESI_EESE_xNS9_4plusIvEENS9_8equal_toIvEExEE10hipError_tPvRmT2_T3_T4_T5_mT6_T7_P12ihipStream_tbENKUlT_T0_E_clISt17integral_constantIbLb1EES14_EEDaSZ_S10_EUlSZ_E_NS1_11comp_targetILNS1_3genE10ELNS1_11target_archE1201ELNS1_3gpuE5ELNS1_3repE0EEENS1_30default_config_static_selectorELNS0_4arch9wavefront6targetE0EEEvT1_, .Lfunc_end903-_ZN7rocprim17ROCPRIM_400000_NS6detail17trampoline_kernelINS0_14default_configENS1_27scan_by_key_config_selectorIxxEEZZNS1_16scan_by_key_implILNS1_25lookback_scan_determinismE0ELb0ES3_N6thrust23THRUST_200600_302600_NS6detail15normal_iteratorINS9_10device_ptrIxEEEENS9_18transform_iteratorINS9_6negateIxEESE_NS9_11use_defaultESI_EESE_xNS9_4plusIvEENS9_8equal_toIvEExEE10hipError_tPvRmT2_T3_T4_T5_mT6_T7_P12ihipStream_tbENKUlT_T0_E_clISt17integral_constantIbLb1EES14_EEDaSZ_S10_EUlSZ_E_NS1_11comp_targetILNS1_3genE10ELNS1_11target_archE1201ELNS1_3gpuE5ELNS1_3repE0EEENS1_30default_config_static_selectorELNS0_4arch9wavefront6targetE0EEEvT1_
                                        ; -- End function
	.set _ZN7rocprim17ROCPRIM_400000_NS6detail17trampoline_kernelINS0_14default_configENS1_27scan_by_key_config_selectorIxxEEZZNS1_16scan_by_key_implILNS1_25lookback_scan_determinismE0ELb0ES3_N6thrust23THRUST_200600_302600_NS6detail15normal_iteratorINS9_10device_ptrIxEEEENS9_18transform_iteratorINS9_6negateIxEESE_NS9_11use_defaultESI_EESE_xNS9_4plusIvEENS9_8equal_toIvEExEE10hipError_tPvRmT2_T3_T4_T5_mT6_T7_P12ihipStream_tbENKUlT_T0_E_clISt17integral_constantIbLb1EES14_EEDaSZ_S10_EUlSZ_E_NS1_11comp_targetILNS1_3genE10ELNS1_11target_archE1201ELNS1_3gpuE5ELNS1_3repE0EEENS1_30default_config_static_selectorELNS0_4arch9wavefront6targetE0EEEvT1_.num_vgpr, 0
	.set _ZN7rocprim17ROCPRIM_400000_NS6detail17trampoline_kernelINS0_14default_configENS1_27scan_by_key_config_selectorIxxEEZZNS1_16scan_by_key_implILNS1_25lookback_scan_determinismE0ELb0ES3_N6thrust23THRUST_200600_302600_NS6detail15normal_iteratorINS9_10device_ptrIxEEEENS9_18transform_iteratorINS9_6negateIxEESE_NS9_11use_defaultESI_EESE_xNS9_4plusIvEENS9_8equal_toIvEExEE10hipError_tPvRmT2_T3_T4_T5_mT6_T7_P12ihipStream_tbENKUlT_T0_E_clISt17integral_constantIbLb1EES14_EEDaSZ_S10_EUlSZ_E_NS1_11comp_targetILNS1_3genE10ELNS1_11target_archE1201ELNS1_3gpuE5ELNS1_3repE0EEENS1_30default_config_static_selectorELNS0_4arch9wavefront6targetE0EEEvT1_.num_agpr, 0
	.set _ZN7rocprim17ROCPRIM_400000_NS6detail17trampoline_kernelINS0_14default_configENS1_27scan_by_key_config_selectorIxxEEZZNS1_16scan_by_key_implILNS1_25lookback_scan_determinismE0ELb0ES3_N6thrust23THRUST_200600_302600_NS6detail15normal_iteratorINS9_10device_ptrIxEEEENS9_18transform_iteratorINS9_6negateIxEESE_NS9_11use_defaultESI_EESE_xNS9_4plusIvEENS9_8equal_toIvEExEE10hipError_tPvRmT2_T3_T4_T5_mT6_T7_P12ihipStream_tbENKUlT_T0_E_clISt17integral_constantIbLb1EES14_EEDaSZ_S10_EUlSZ_E_NS1_11comp_targetILNS1_3genE10ELNS1_11target_archE1201ELNS1_3gpuE5ELNS1_3repE0EEENS1_30default_config_static_selectorELNS0_4arch9wavefront6targetE0EEEvT1_.numbered_sgpr, 0
	.set _ZN7rocprim17ROCPRIM_400000_NS6detail17trampoline_kernelINS0_14default_configENS1_27scan_by_key_config_selectorIxxEEZZNS1_16scan_by_key_implILNS1_25lookback_scan_determinismE0ELb0ES3_N6thrust23THRUST_200600_302600_NS6detail15normal_iteratorINS9_10device_ptrIxEEEENS9_18transform_iteratorINS9_6negateIxEESE_NS9_11use_defaultESI_EESE_xNS9_4plusIvEENS9_8equal_toIvEExEE10hipError_tPvRmT2_T3_T4_T5_mT6_T7_P12ihipStream_tbENKUlT_T0_E_clISt17integral_constantIbLb1EES14_EEDaSZ_S10_EUlSZ_E_NS1_11comp_targetILNS1_3genE10ELNS1_11target_archE1201ELNS1_3gpuE5ELNS1_3repE0EEENS1_30default_config_static_selectorELNS0_4arch9wavefront6targetE0EEEvT1_.num_named_barrier, 0
	.set _ZN7rocprim17ROCPRIM_400000_NS6detail17trampoline_kernelINS0_14default_configENS1_27scan_by_key_config_selectorIxxEEZZNS1_16scan_by_key_implILNS1_25lookback_scan_determinismE0ELb0ES3_N6thrust23THRUST_200600_302600_NS6detail15normal_iteratorINS9_10device_ptrIxEEEENS9_18transform_iteratorINS9_6negateIxEESE_NS9_11use_defaultESI_EESE_xNS9_4plusIvEENS9_8equal_toIvEExEE10hipError_tPvRmT2_T3_T4_T5_mT6_T7_P12ihipStream_tbENKUlT_T0_E_clISt17integral_constantIbLb1EES14_EEDaSZ_S10_EUlSZ_E_NS1_11comp_targetILNS1_3genE10ELNS1_11target_archE1201ELNS1_3gpuE5ELNS1_3repE0EEENS1_30default_config_static_selectorELNS0_4arch9wavefront6targetE0EEEvT1_.private_seg_size, 0
	.set _ZN7rocprim17ROCPRIM_400000_NS6detail17trampoline_kernelINS0_14default_configENS1_27scan_by_key_config_selectorIxxEEZZNS1_16scan_by_key_implILNS1_25lookback_scan_determinismE0ELb0ES3_N6thrust23THRUST_200600_302600_NS6detail15normal_iteratorINS9_10device_ptrIxEEEENS9_18transform_iteratorINS9_6negateIxEESE_NS9_11use_defaultESI_EESE_xNS9_4plusIvEENS9_8equal_toIvEExEE10hipError_tPvRmT2_T3_T4_T5_mT6_T7_P12ihipStream_tbENKUlT_T0_E_clISt17integral_constantIbLb1EES14_EEDaSZ_S10_EUlSZ_E_NS1_11comp_targetILNS1_3genE10ELNS1_11target_archE1201ELNS1_3gpuE5ELNS1_3repE0EEENS1_30default_config_static_selectorELNS0_4arch9wavefront6targetE0EEEvT1_.uses_vcc, 0
	.set _ZN7rocprim17ROCPRIM_400000_NS6detail17trampoline_kernelINS0_14default_configENS1_27scan_by_key_config_selectorIxxEEZZNS1_16scan_by_key_implILNS1_25lookback_scan_determinismE0ELb0ES3_N6thrust23THRUST_200600_302600_NS6detail15normal_iteratorINS9_10device_ptrIxEEEENS9_18transform_iteratorINS9_6negateIxEESE_NS9_11use_defaultESI_EESE_xNS9_4plusIvEENS9_8equal_toIvEExEE10hipError_tPvRmT2_T3_T4_T5_mT6_T7_P12ihipStream_tbENKUlT_T0_E_clISt17integral_constantIbLb1EES14_EEDaSZ_S10_EUlSZ_E_NS1_11comp_targetILNS1_3genE10ELNS1_11target_archE1201ELNS1_3gpuE5ELNS1_3repE0EEENS1_30default_config_static_selectorELNS0_4arch9wavefront6targetE0EEEvT1_.uses_flat_scratch, 0
	.set _ZN7rocprim17ROCPRIM_400000_NS6detail17trampoline_kernelINS0_14default_configENS1_27scan_by_key_config_selectorIxxEEZZNS1_16scan_by_key_implILNS1_25lookback_scan_determinismE0ELb0ES3_N6thrust23THRUST_200600_302600_NS6detail15normal_iteratorINS9_10device_ptrIxEEEENS9_18transform_iteratorINS9_6negateIxEESE_NS9_11use_defaultESI_EESE_xNS9_4plusIvEENS9_8equal_toIvEExEE10hipError_tPvRmT2_T3_T4_T5_mT6_T7_P12ihipStream_tbENKUlT_T0_E_clISt17integral_constantIbLb1EES14_EEDaSZ_S10_EUlSZ_E_NS1_11comp_targetILNS1_3genE10ELNS1_11target_archE1201ELNS1_3gpuE5ELNS1_3repE0EEENS1_30default_config_static_selectorELNS0_4arch9wavefront6targetE0EEEvT1_.has_dyn_sized_stack, 0
	.set _ZN7rocprim17ROCPRIM_400000_NS6detail17trampoline_kernelINS0_14default_configENS1_27scan_by_key_config_selectorIxxEEZZNS1_16scan_by_key_implILNS1_25lookback_scan_determinismE0ELb0ES3_N6thrust23THRUST_200600_302600_NS6detail15normal_iteratorINS9_10device_ptrIxEEEENS9_18transform_iteratorINS9_6negateIxEESE_NS9_11use_defaultESI_EESE_xNS9_4plusIvEENS9_8equal_toIvEExEE10hipError_tPvRmT2_T3_T4_T5_mT6_T7_P12ihipStream_tbENKUlT_T0_E_clISt17integral_constantIbLb1EES14_EEDaSZ_S10_EUlSZ_E_NS1_11comp_targetILNS1_3genE10ELNS1_11target_archE1201ELNS1_3gpuE5ELNS1_3repE0EEENS1_30default_config_static_selectorELNS0_4arch9wavefront6targetE0EEEvT1_.has_recursion, 0
	.set _ZN7rocprim17ROCPRIM_400000_NS6detail17trampoline_kernelINS0_14default_configENS1_27scan_by_key_config_selectorIxxEEZZNS1_16scan_by_key_implILNS1_25lookback_scan_determinismE0ELb0ES3_N6thrust23THRUST_200600_302600_NS6detail15normal_iteratorINS9_10device_ptrIxEEEENS9_18transform_iteratorINS9_6negateIxEESE_NS9_11use_defaultESI_EESE_xNS9_4plusIvEENS9_8equal_toIvEExEE10hipError_tPvRmT2_T3_T4_T5_mT6_T7_P12ihipStream_tbENKUlT_T0_E_clISt17integral_constantIbLb1EES14_EEDaSZ_S10_EUlSZ_E_NS1_11comp_targetILNS1_3genE10ELNS1_11target_archE1201ELNS1_3gpuE5ELNS1_3repE0EEENS1_30default_config_static_selectorELNS0_4arch9wavefront6targetE0EEEvT1_.has_indirect_call, 0
	.section	.AMDGPU.csdata,"",@progbits
; Kernel info:
; codeLenInByte = 0
; TotalNumSgprs: 0
; NumVgprs: 0
; ScratchSize: 0
; MemoryBound: 0
; FloatMode: 240
; IeeeMode: 1
; LDSByteSize: 0 bytes/workgroup (compile time only)
; SGPRBlocks: 0
; VGPRBlocks: 0
; NumSGPRsForWavesPerEU: 1
; NumVGPRsForWavesPerEU: 1
; Occupancy: 16
; WaveLimiterHint : 0
; COMPUTE_PGM_RSRC2:SCRATCH_EN: 0
; COMPUTE_PGM_RSRC2:USER_SGPR: 6
; COMPUTE_PGM_RSRC2:TRAP_HANDLER: 0
; COMPUTE_PGM_RSRC2:TGID_X_EN: 1
; COMPUTE_PGM_RSRC2:TGID_Y_EN: 0
; COMPUTE_PGM_RSRC2:TGID_Z_EN: 0
; COMPUTE_PGM_RSRC2:TIDIG_COMP_CNT: 0
	.section	.text._ZN7rocprim17ROCPRIM_400000_NS6detail17trampoline_kernelINS0_14default_configENS1_27scan_by_key_config_selectorIxxEEZZNS1_16scan_by_key_implILNS1_25lookback_scan_determinismE0ELb0ES3_N6thrust23THRUST_200600_302600_NS6detail15normal_iteratorINS9_10device_ptrIxEEEENS9_18transform_iteratorINS9_6negateIxEESE_NS9_11use_defaultESI_EESE_xNS9_4plusIvEENS9_8equal_toIvEExEE10hipError_tPvRmT2_T3_T4_T5_mT6_T7_P12ihipStream_tbENKUlT_T0_E_clISt17integral_constantIbLb1EES14_EEDaSZ_S10_EUlSZ_E_NS1_11comp_targetILNS1_3genE5ELNS1_11target_archE942ELNS1_3gpuE9ELNS1_3repE0EEENS1_30default_config_static_selectorELNS0_4arch9wavefront6targetE0EEEvT1_,"axG",@progbits,_ZN7rocprim17ROCPRIM_400000_NS6detail17trampoline_kernelINS0_14default_configENS1_27scan_by_key_config_selectorIxxEEZZNS1_16scan_by_key_implILNS1_25lookback_scan_determinismE0ELb0ES3_N6thrust23THRUST_200600_302600_NS6detail15normal_iteratorINS9_10device_ptrIxEEEENS9_18transform_iteratorINS9_6negateIxEESE_NS9_11use_defaultESI_EESE_xNS9_4plusIvEENS9_8equal_toIvEExEE10hipError_tPvRmT2_T3_T4_T5_mT6_T7_P12ihipStream_tbENKUlT_T0_E_clISt17integral_constantIbLb1EES14_EEDaSZ_S10_EUlSZ_E_NS1_11comp_targetILNS1_3genE5ELNS1_11target_archE942ELNS1_3gpuE9ELNS1_3repE0EEENS1_30default_config_static_selectorELNS0_4arch9wavefront6targetE0EEEvT1_,comdat
	.protected	_ZN7rocprim17ROCPRIM_400000_NS6detail17trampoline_kernelINS0_14default_configENS1_27scan_by_key_config_selectorIxxEEZZNS1_16scan_by_key_implILNS1_25lookback_scan_determinismE0ELb0ES3_N6thrust23THRUST_200600_302600_NS6detail15normal_iteratorINS9_10device_ptrIxEEEENS9_18transform_iteratorINS9_6negateIxEESE_NS9_11use_defaultESI_EESE_xNS9_4plusIvEENS9_8equal_toIvEExEE10hipError_tPvRmT2_T3_T4_T5_mT6_T7_P12ihipStream_tbENKUlT_T0_E_clISt17integral_constantIbLb1EES14_EEDaSZ_S10_EUlSZ_E_NS1_11comp_targetILNS1_3genE5ELNS1_11target_archE942ELNS1_3gpuE9ELNS1_3repE0EEENS1_30default_config_static_selectorELNS0_4arch9wavefront6targetE0EEEvT1_ ; -- Begin function _ZN7rocprim17ROCPRIM_400000_NS6detail17trampoline_kernelINS0_14default_configENS1_27scan_by_key_config_selectorIxxEEZZNS1_16scan_by_key_implILNS1_25lookback_scan_determinismE0ELb0ES3_N6thrust23THRUST_200600_302600_NS6detail15normal_iteratorINS9_10device_ptrIxEEEENS9_18transform_iteratorINS9_6negateIxEESE_NS9_11use_defaultESI_EESE_xNS9_4plusIvEENS9_8equal_toIvEExEE10hipError_tPvRmT2_T3_T4_T5_mT6_T7_P12ihipStream_tbENKUlT_T0_E_clISt17integral_constantIbLb1EES14_EEDaSZ_S10_EUlSZ_E_NS1_11comp_targetILNS1_3genE5ELNS1_11target_archE942ELNS1_3gpuE9ELNS1_3repE0EEENS1_30default_config_static_selectorELNS0_4arch9wavefront6targetE0EEEvT1_
	.globl	_ZN7rocprim17ROCPRIM_400000_NS6detail17trampoline_kernelINS0_14default_configENS1_27scan_by_key_config_selectorIxxEEZZNS1_16scan_by_key_implILNS1_25lookback_scan_determinismE0ELb0ES3_N6thrust23THRUST_200600_302600_NS6detail15normal_iteratorINS9_10device_ptrIxEEEENS9_18transform_iteratorINS9_6negateIxEESE_NS9_11use_defaultESI_EESE_xNS9_4plusIvEENS9_8equal_toIvEExEE10hipError_tPvRmT2_T3_T4_T5_mT6_T7_P12ihipStream_tbENKUlT_T0_E_clISt17integral_constantIbLb1EES14_EEDaSZ_S10_EUlSZ_E_NS1_11comp_targetILNS1_3genE5ELNS1_11target_archE942ELNS1_3gpuE9ELNS1_3repE0EEENS1_30default_config_static_selectorELNS0_4arch9wavefront6targetE0EEEvT1_
	.p2align	8
	.type	_ZN7rocprim17ROCPRIM_400000_NS6detail17trampoline_kernelINS0_14default_configENS1_27scan_by_key_config_selectorIxxEEZZNS1_16scan_by_key_implILNS1_25lookback_scan_determinismE0ELb0ES3_N6thrust23THRUST_200600_302600_NS6detail15normal_iteratorINS9_10device_ptrIxEEEENS9_18transform_iteratorINS9_6negateIxEESE_NS9_11use_defaultESI_EESE_xNS9_4plusIvEENS9_8equal_toIvEExEE10hipError_tPvRmT2_T3_T4_T5_mT6_T7_P12ihipStream_tbENKUlT_T0_E_clISt17integral_constantIbLb1EES14_EEDaSZ_S10_EUlSZ_E_NS1_11comp_targetILNS1_3genE5ELNS1_11target_archE942ELNS1_3gpuE9ELNS1_3repE0EEENS1_30default_config_static_selectorELNS0_4arch9wavefront6targetE0EEEvT1_,@function
_ZN7rocprim17ROCPRIM_400000_NS6detail17trampoline_kernelINS0_14default_configENS1_27scan_by_key_config_selectorIxxEEZZNS1_16scan_by_key_implILNS1_25lookback_scan_determinismE0ELb0ES3_N6thrust23THRUST_200600_302600_NS6detail15normal_iteratorINS9_10device_ptrIxEEEENS9_18transform_iteratorINS9_6negateIxEESE_NS9_11use_defaultESI_EESE_xNS9_4plusIvEENS9_8equal_toIvEExEE10hipError_tPvRmT2_T3_T4_T5_mT6_T7_P12ihipStream_tbENKUlT_T0_E_clISt17integral_constantIbLb1EES14_EEDaSZ_S10_EUlSZ_E_NS1_11comp_targetILNS1_3genE5ELNS1_11target_archE942ELNS1_3gpuE9ELNS1_3repE0EEENS1_30default_config_static_selectorELNS0_4arch9wavefront6targetE0EEEvT1_: ; @_ZN7rocprim17ROCPRIM_400000_NS6detail17trampoline_kernelINS0_14default_configENS1_27scan_by_key_config_selectorIxxEEZZNS1_16scan_by_key_implILNS1_25lookback_scan_determinismE0ELb0ES3_N6thrust23THRUST_200600_302600_NS6detail15normal_iteratorINS9_10device_ptrIxEEEENS9_18transform_iteratorINS9_6negateIxEESE_NS9_11use_defaultESI_EESE_xNS9_4plusIvEENS9_8equal_toIvEExEE10hipError_tPvRmT2_T3_T4_T5_mT6_T7_P12ihipStream_tbENKUlT_T0_E_clISt17integral_constantIbLb1EES14_EEDaSZ_S10_EUlSZ_E_NS1_11comp_targetILNS1_3genE5ELNS1_11target_archE942ELNS1_3gpuE9ELNS1_3repE0EEENS1_30default_config_static_selectorELNS0_4arch9wavefront6targetE0EEEvT1_
; %bb.0:
	.section	.rodata,"a",@progbits
	.p2align	6, 0x0
	.amdhsa_kernel _ZN7rocprim17ROCPRIM_400000_NS6detail17trampoline_kernelINS0_14default_configENS1_27scan_by_key_config_selectorIxxEEZZNS1_16scan_by_key_implILNS1_25lookback_scan_determinismE0ELb0ES3_N6thrust23THRUST_200600_302600_NS6detail15normal_iteratorINS9_10device_ptrIxEEEENS9_18transform_iteratorINS9_6negateIxEESE_NS9_11use_defaultESI_EESE_xNS9_4plusIvEENS9_8equal_toIvEExEE10hipError_tPvRmT2_T3_T4_T5_mT6_T7_P12ihipStream_tbENKUlT_T0_E_clISt17integral_constantIbLb1EES14_EEDaSZ_S10_EUlSZ_E_NS1_11comp_targetILNS1_3genE5ELNS1_11target_archE942ELNS1_3gpuE9ELNS1_3repE0EEENS1_30default_config_static_selectorELNS0_4arch9wavefront6targetE0EEEvT1_
		.amdhsa_group_segment_fixed_size 0
		.amdhsa_private_segment_fixed_size 0
		.amdhsa_kernarg_size 144
		.amdhsa_user_sgpr_count 6
		.amdhsa_user_sgpr_private_segment_buffer 1
		.amdhsa_user_sgpr_dispatch_ptr 0
		.amdhsa_user_sgpr_queue_ptr 0
		.amdhsa_user_sgpr_kernarg_segment_ptr 1
		.amdhsa_user_sgpr_dispatch_id 0
		.amdhsa_user_sgpr_flat_scratch_init 0
		.amdhsa_user_sgpr_private_segment_size 0
		.amdhsa_wavefront_size32 1
		.amdhsa_uses_dynamic_stack 0
		.amdhsa_system_sgpr_private_segment_wavefront_offset 0
		.amdhsa_system_sgpr_workgroup_id_x 1
		.amdhsa_system_sgpr_workgroup_id_y 0
		.amdhsa_system_sgpr_workgroup_id_z 0
		.amdhsa_system_sgpr_workgroup_info 0
		.amdhsa_system_vgpr_workitem_id 0
		.amdhsa_next_free_vgpr 1
		.amdhsa_next_free_sgpr 1
		.amdhsa_reserve_vcc 0
		.amdhsa_reserve_flat_scratch 0
		.amdhsa_float_round_mode_32 0
		.amdhsa_float_round_mode_16_64 0
		.amdhsa_float_denorm_mode_32 3
		.amdhsa_float_denorm_mode_16_64 3
		.amdhsa_dx10_clamp 1
		.amdhsa_ieee_mode 1
		.amdhsa_fp16_overflow 0
		.amdhsa_workgroup_processor_mode 1
		.amdhsa_memory_ordered 1
		.amdhsa_forward_progress 1
		.amdhsa_shared_vgpr_count 0
		.amdhsa_exception_fp_ieee_invalid_op 0
		.amdhsa_exception_fp_denorm_src 0
		.amdhsa_exception_fp_ieee_div_zero 0
		.amdhsa_exception_fp_ieee_overflow 0
		.amdhsa_exception_fp_ieee_underflow 0
		.amdhsa_exception_fp_ieee_inexact 0
		.amdhsa_exception_int_div_zero 0
	.end_amdhsa_kernel
	.section	.text._ZN7rocprim17ROCPRIM_400000_NS6detail17trampoline_kernelINS0_14default_configENS1_27scan_by_key_config_selectorIxxEEZZNS1_16scan_by_key_implILNS1_25lookback_scan_determinismE0ELb0ES3_N6thrust23THRUST_200600_302600_NS6detail15normal_iteratorINS9_10device_ptrIxEEEENS9_18transform_iteratorINS9_6negateIxEESE_NS9_11use_defaultESI_EESE_xNS9_4plusIvEENS9_8equal_toIvEExEE10hipError_tPvRmT2_T3_T4_T5_mT6_T7_P12ihipStream_tbENKUlT_T0_E_clISt17integral_constantIbLb1EES14_EEDaSZ_S10_EUlSZ_E_NS1_11comp_targetILNS1_3genE5ELNS1_11target_archE942ELNS1_3gpuE9ELNS1_3repE0EEENS1_30default_config_static_selectorELNS0_4arch9wavefront6targetE0EEEvT1_,"axG",@progbits,_ZN7rocprim17ROCPRIM_400000_NS6detail17trampoline_kernelINS0_14default_configENS1_27scan_by_key_config_selectorIxxEEZZNS1_16scan_by_key_implILNS1_25lookback_scan_determinismE0ELb0ES3_N6thrust23THRUST_200600_302600_NS6detail15normal_iteratorINS9_10device_ptrIxEEEENS9_18transform_iteratorINS9_6negateIxEESE_NS9_11use_defaultESI_EESE_xNS9_4plusIvEENS9_8equal_toIvEExEE10hipError_tPvRmT2_T3_T4_T5_mT6_T7_P12ihipStream_tbENKUlT_T0_E_clISt17integral_constantIbLb1EES14_EEDaSZ_S10_EUlSZ_E_NS1_11comp_targetILNS1_3genE5ELNS1_11target_archE942ELNS1_3gpuE9ELNS1_3repE0EEENS1_30default_config_static_selectorELNS0_4arch9wavefront6targetE0EEEvT1_,comdat
.Lfunc_end904:
	.size	_ZN7rocprim17ROCPRIM_400000_NS6detail17trampoline_kernelINS0_14default_configENS1_27scan_by_key_config_selectorIxxEEZZNS1_16scan_by_key_implILNS1_25lookback_scan_determinismE0ELb0ES3_N6thrust23THRUST_200600_302600_NS6detail15normal_iteratorINS9_10device_ptrIxEEEENS9_18transform_iteratorINS9_6negateIxEESE_NS9_11use_defaultESI_EESE_xNS9_4plusIvEENS9_8equal_toIvEExEE10hipError_tPvRmT2_T3_T4_T5_mT6_T7_P12ihipStream_tbENKUlT_T0_E_clISt17integral_constantIbLb1EES14_EEDaSZ_S10_EUlSZ_E_NS1_11comp_targetILNS1_3genE5ELNS1_11target_archE942ELNS1_3gpuE9ELNS1_3repE0EEENS1_30default_config_static_selectorELNS0_4arch9wavefront6targetE0EEEvT1_, .Lfunc_end904-_ZN7rocprim17ROCPRIM_400000_NS6detail17trampoline_kernelINS0_14default_configENS1_27scan_by_key_config_selectorIxxEEZZNS1_16scan_by_key_implILNS1_25lookback_scan_determinismE0ELb0ES3_N6thrust23THRUST_200600_302600_NS6detail15normal_iteratorINS9_10device_ptrIxEEEENS9_18transform_iteratorINS9_6negateIxEESE_NS9_11use_defaultESI_EESE_xNS9_4plusIvEENS9_8equal_toIvEExEE10hipError_tPvRmT2_T3_T4_T5_mT6_T7_P12ihipStream_tbENKUlT_T0_E_clISt17integral_constantIbLb1EES14_EEDaSZ_S10_EUlSZ_E_NS1_11comp_targetILNS1_3genE5ELNS1_11target_archE942ELNS1_3gpuE9ELNS1_3repE0EEENS1_30default_config_static_selectorELNS0_4arch9wavefront6targetE0EEEvT1_
                                        ; -- End function
	.set _ZN7rocprim17ROCPRIM_400000_NS6detail17trampoline_kernelINS0_14default_configENS1_27scan_by_key_config_selectorIxxEEZZNS1_16scan_by_key_implILNS1_25lookback_scan_determinismE0ELb0ES3_N6thrust23THRUST_200600_302600_NS6detail15normal_iteratorINS9_10device_ptrIxEEEENS9_18transform_iteratorINS9_6negateIxEESE_NS9_11use_defaultESI_EESE_xNS9_4plusIvEENS9_8equal_toIvEExEE10hipError_tPvRmT2_T3_T4_T5_mT6_T7_P12ihipStream_tbENKUlT_T0_E_clISt17integral_constantIbLb1EES14_EEDaSZ_S10_EUlSZ_E_NS1_11comp_targetILNS1_3genE5ELNS1_11target_archE942ELNS1_3gpuE9ELNS1_3repE0EEENS1_30default_config_static_selectorELNS0_4arch9wavefront6targetE0EEEvT1_.num_vgpr, 0
	.set _ZN7rocprim17ROCPRIM_400000_NS6detail17trampoline_kernelINS0_14default_configENS1_27scan_by_key_config_selectorIxxEEZZNS1_16scan_by_key_implILNS1_25lookback_scan_determinismE0ELb0ES3_N6thrust23THRUST_200600_302600_NS6detail15normal_iteratorINS9_10device_ptrIxEEEENS9_18transform_iteratorINS9_6negateIxEESE_NS9_11use_defaultESI_EESE_xNS9_4plusIvEENS9_8equal_toIvEExEE10hipError_tPvRmT2_T3_T4_T5_mT6_T7_P12ihipStream_tbENKUlT_T0_E_clISt17integral_constantIbLb1EES14_EEDaSZ_S10_EUlSZ_E_NS1_11comp_targetILNS1_3genE5ELNS1_11target_archE942ELNS1_3gpuE9ELNS1_3repE0EEENS1_30default_config_static_selectorELNS0_4arch9wavefront6targetE0EEEvT1_.num_agpr, 0
	.set _ZN7rocprim17ROCPRIM_400000_NS6detail17trampoline_kernelINS0_14default_configENS1_27scan_by_key_config_selectorIxxEEZZNS1_16scan_by_key_implILNS1_25lookback_scan_determinismE0ELb0ES3_N6thrust23THRUST_200600_302600_NS6detail15normal_iteratorINS9_10device_ptrIxEEEENS9_18transform_iteratorINS9_6negateIxEESE_NS9_11use_defaultESI_EESE_xNS9_4plusIvEENS9_8equal_toIvEExEE10hipError_tPvRmT2_T3_T4_T5_mT6_T7_P12ihipStream_tbENKUlT_T0_E_clISt17integral_constantIbLb1EES14_EEDaSZ_S10_EUlSZ_E_NS1_11comp_targetILNS1_3genE5ELNS1_11target_archE942ELNS1_3gpuE9ELNS1_3repE0EEENS1_30default_config_static_selectorELNS0_4arch9wavefront6targetE0EEEvT1_.numbered_sgpr, 0
	.set _ZN7rocprim17ROCPRIM_400000_NS6detail17trampoline_kernelINS0_14default_configENS1_27scan_by_key_config_selectorIxxEEZZNS1_16scan_by_key_implILNS1_25lookback_scan_determinismE0ELb0ES3_N6thrust23THRUST_200600_302600_NS6detail15normal_iteratorINS9_10device_ptrIxEEEENS9_18transform_iteratorINS9_6negateIxEESE_NS9_11use_defaultESI_EESE_xNS9_4plusIvEENS9_8equal_toIvEExEE10hipError_tPvRmT2_T3_T4_T5_mT6_T7_P12ihipStream_tbENKUlT_T0_E_clISt17integral_constantIbLb1EES14_EEDaSZ_S10_EUlSZ_E_NS1_11comp_targetILNS1_3genE5ELNS1_11target_archE942ELNS1_3gpuE9ELNS1_3repE0EEENS1_30default_config_static_selectorELNS0_4arch9wavefront6targetE0EEEvT1_.num_named_barrier, 0
	.set _ZN7rocprim17ROCPRIM_400000_NS6detail17trampoline_kernelINS0_14default_configENS1_27scan_by_key_config_selectorIxxEEZZNS1_16scan_by_key_implILNS1_25lookback_scan_determinismE0ELb0ES3_N6thrust23THRUST_200600_302600_NS6detail15normal_iteratorINS9_10device_ptrIxEEEENS9_18transform_iteratorINS9_6negateIxEESE_NS9_11use_defaultESI_EESE_xNS9_4plusIvEENS9_8equal_toIvEExEE10hipError_tPvRmT2_T3_T4_T5_mT6_T7_P12ihipStream_tbENKUlT_T0_E_clISt17integral_constantIbLb1EES14_EEDaSZ_S10_EUlSZ_E_NS1_11comp_targetILNS1_3genE5ELNS1_11target_archE942ELNS1_3gpuE9ELNS1_3repE0EEENS1_30default_config_static_selectorELNS0_4arch9wavefront6targetE0EEEvT1_.private_seg_size, 0
	.set _ZN7rocprim17ROCPRIM_400000_NS6detail17trampoline_kernelINS0_14default_configENS1_27scan_by_key_config_selectorIxxEEZZNS1_16scan_by_key_implILNS1_25lookback_scan_determinismE0ELb0ES3_N6thrust23THRUST_200600_302600_NS6detail15normal_iteratorINS9_10device_ptrIxEEEENS9_18transform_iteratorINS9_6negateIxEESE_NS9_11use_defaultESI_EESE_xNS9_4plusIvEENS9_8equal_toIvEExEE10hipError_tPvRmT2_T3_T4_T5_mT6_T7_P12ihipStream_tbENKUlT_T0_E_clISt17integral_constantIbLb1EES14_EEDaSZ_S10_EUlSZ_E_NS1_11comp_targetILNS1_3genE5ELNS1_11target_archE942ELNS1_3gpuE9ELNS1_3repE0EEENS1_30default_config_static_selectorELNS0_4arch9wavefront6targetE0EEEvT1_.uses_vcc, 0
	.set _ZN7rocprim17ROCPRIM_400000_NS6detail17trampoline_kernelINS0_14default_configENS1_27scan_by_key_config_selectorIxxEEZZNS1_16scan_by_key_implILNS1_25lookback_scan_determinismE0ELb0ES3_N6thrust23THRUST_200600_302600_NS6detail15normal_iteratorINS9_10device_ptrIxEEEENS9_18transform_iteratorINS9_6negateIxEESE_NS9_11use_defaultESI_EESE_xNS9_4plusIvEENS9_8equal_toIvEExEE10hipError_tPvRmT2_T3_T4_T5_mT6_T7_P12ihipStream_tbENKUlT_T0_E_clISt17integral_constantIbLb1EES14_EEDaSZ_S10_EUlSZ_E_NS1_11comp_targetILNS1_3genE5ELNS1_11target_archE942ELNS1_3gpuE9ELNS1_3repE0EEENS1_30default_config_static_selectorELNS0_4arch9wavefront6targetE0EEEvT1_.uses_flat_scratch, 0
	.set _ZN7rocprim17ROCPRIM_400000_NS6detail17trampoline_kernelINS0_14default_configENS1_27scan_by_key_config_selectorIxxEEZZNS1_16scan_by_key_implILNS1_25lookback_scan_determinismE0ELb0ES3_N6thrust23THRUST_200600_302600_NS6detail15normal_iteratorINS9_10device_ptrIxEEEENS9_18transform_iteratorINS9_6negateIxEESE_NS9_11use_defaultESI_EESE_xNS9_4plusIvEENS9_8equal_toIvEExEE10hipError_tPvRmT2_T3_T4_T5_mT6_T7_P12ihipStream_tbENKUlT_T0_E_clISt17integral_constantIbLb1EES14_EEDaSZ_S10_EUlSZ_E_NS1_11comp_targetILNS1_3genE5ELNS1_11target_archE942ELNS1_3gpuE9ELNS1_3repE0EEENS1_30default_config_static_selectorELNS0_4arch9wavefront6targetE0EEEvT1_.has_dyn_sized_stack, 0
	.set _ZN7rocprim17ROCPRIM_400000_NS6detail17trampoline_kernelINS0_14default_configENS1_27scan_by_key_config_selectorIxxEEZZNS1_16scan_by_key_implILNS1_25lookback_scan_determinismE0ELb0ES3_N6thrust23THRUST_200600_302600_NS6detail15normal_iteratorINS9_10device_ptrIxEEEENS9_18transform_iteratorINS9_6negateIxEESE_NS9_11use_defaultESI_EESE_xNS9_4plusIvEENS9_8equal_toIvEExEE10hipError_tPvRmT2_T3_T4_T5_mT6_T7_P12ihipStream_tbENKUlT_T0_E_clISt17integral_constantIbLb1EES14_EEDaSZ_S10_EUlSZ_E_NS1_11comp_targetILNS1_3genE5ELNS1_11target_archE942ELNS1_3gpuE9ELNS1_3repE0EEENS1_30default_config_static_selectorELNS0_4arch9wavefront6targetE0EEEvT1_.has_recursion, 0
	.set _ZN7rocprim17ROCPRIM_400000_NS6detail17trampoline_kernelINS0_14default_configENS1_27scan_by_key_config_selectorIxxEEZZNS1_16scan_by_key_implILNS1_25lookback_scan_determinismE0ELb0ES3_N6thrust23THRUST_200600_302600_NS6detail15normal_iteratorINS9_10device_ptrIxEEEENS9_18transform_iteratorINS9_6negateIxEESE_NS9_11use_defaultESI_EESE_xNS9_4plusIvEENS9_8equal_toIvEExEE10hipError_tPvRmT2_T3_T4_T5_mT6_T7_P12ihipStream_tbENKUlT_T0_E_clISt17integral_constantIbLb1EES14_EEDaSZ_S10_EUlSZ_E_NS1_11comp_targetILNS1_3genE5ELNS1_11target_archE942ELNS1_3gpuE9ELNS1_3repE0EEENS1_30default_config_static_selectorELNS0_4arch9wavefront6targetE0EEEvT1_.has_indirect_call, 0
	.section	.AMDGPU.csdata,"",@progbits
; Kernel info:
; codeLenInByte = 0
; TotalNumSgprs: 0
; NumVgprs: 0
; ScratchSize: 0
; MemoryBound: 0
; FloatMode: 240
; IeeeMode: 1
; LDSByteSize: 0 bytes/workgroup (compile time only)
; SGPRBlocks: 0
; VGPRBlocks: 0
; NumSGPRsForWavesPerEU: 1
; NumVGPRsForWavesPerEU: 1
; Occupancy: 16
; WaveLimiterHint : 0
; COMPUTE_PGM_RSRC2:SCRATCH_EN: 0
; COMPUTE_PGM_RSRC2:USER_SGPR: 6
; COMPUTE_PGM_RSRC2:TRAP_HANDLER: 0
; COMPUTE_PGM_RSRC2:TGID_X_EN: 1
; COMPUTE_PGM_RSRC2:TGID_Y_EN: 0
; COMPUTE_PGM_RSRC2:TGID_Z_EN: 0
; COMPUTE_PGM_RSRC2:TIDIG_COMP_CNT: 0
	.section	.text._ZN7rocprim17ROCPRIM_400000_NS6detail17trampoline_kernelINS0_14default_configENS1_27scan_by_key_config_selectorIxxEEZZNS1_16scan_by_key_implILNS1_25lookback_scan_determinismE0ELb0ES3_N6thrust23THRUST_200600_302600_NS6detail15normal_iteratorINS9_10device_ptrIxEEEENS9_18transform_iteratorINS9_6negateIxEESE_NS9_11use_defaultESI_EESE_xNS9_4plusIvEENS9_8equal_toIvEExEE10hipError_tPvRmT2_T3_T4_T5_mT6_T7_P12ihipStream_tbENKUlT_T0_E_clISt17integral_constantIbLb1EES14_EEDaSZ_S10_EUlSZ_E_NS1_11comp_targetILNS1_3genE4ELNS1_11target_archE910ELNS1_3gpuE8ELNS1_3repE0EEENS1_30default_config_static_selectorELNS0_4arch9wavefront6targetE0EEEvT1_,"axG",@progbits,_ZN7rocprim17ROCPRIM_400000_NS6detail17trampoline_kernelINS0_14default_configENS1_27scan_by_key_config_selectorIxxEEZZNS1_16scan_by_key_implILNS1_25lookback_scan_determinismE0ELb0ES3_N6thrust23THRUST_200600_302600_NS6detail15normal_iteratorINS9_10device_ptrIxEEEENS9_18transform_iteratorINS9_6negateIxEESE_NS9_11use_defaultESI_EESE_xNS9_4plusIvEENS9_8equal_toIvEExEE10hipError_tPvRmT2_T3_T4_T5_mT6_T7_P12ihipStream_tbENKUlT_T0_E_clISt17integral_constantIbLb1EES14_EEDaSZ_S10_EUlSZ_E_NS1_11comp_targetILNS1_3genE4ELNS1_11target_archE910ELNS1_3gpuE8ELNS1_3repE0EEENS1_30default_config_static_selectorELNS0_4arch9wavefront6targetE0EEEvT1_,comdat
	.protected	_ZN7rocprim17ROCPRIM_400000_NS6detail17trampoline_kernelINS0_14default_configENS1_27scan_by_key_config_selectorIxxEEZZNS1_16scan_by_key_implILNS1_25lookback_scan_determinismE0ELb0ES3_N6thrust23THRUST_200600_302600_NS6detail15normal_iteratorINS9_10device_ptrIxEEEENS9_18transform_iteratorINS9_6negateIxEESE_NS9_11use_defaultESI_EESE_xNS9_4plusIvEENS9_8equal_toIvEExEE10hipError_tPvRmT2_T3_T4_T5_mT6_T7_P12ihipStream_tbENKUlT_T0_E_clISt17integral_constantIbLb1EES14_EEDaSZ_S10_EUlSZ_E_NS1_11comp_targetILNS1_3genE4ELNS1_11target_archE910ELNS1_3gpuE8ELNS1_3repE0EEENS1_30default_config_static_selectorELNS0_4arch9wavefront6targetE0EEEvT1_ ; -- Begin function _ZN7rocprim17ROCPRIM_400000_NS6detail17trampoline_kernelINS0_14default_configENS1_27scan_by_key_config_selectorIxxEEZZNS1_16scan_by_key_implILNS1_25lookback_scan_determinismE0ELb0ES3_N6thrust23THRUST_200600_302600_NS6detail15normal_iteratorINS9_10device_ptrIxEEEENS9_18transform_iteratorINS9_6negateIxEESE_NS9_11use_defaultESI_EESE_xNS9_4plusIvEENS9_8equal_toIvEExEE10hipError_tPvRmT2_T3_T4_T5_mT6_T7_P12ihipStream_tbENKUlT_T0_E_clISt17integral_constantIbLb1EES14_EEDaSZ_S10_EUlSZ_E_NS1_11comp_targetILNS1_3genE4ELNS1_11target_archE910ELNS1_3gpuE8ELNS1_3repE0EEENS1_30default_config_static_selectorELNS0_4arch9wavefront6targetE0EEEvT1_
	.globl	_ZN7rocprim17ROCPRIM_400000_NS6detail17trampoline_kernelINS0_14default_configENS1_27scan_by_key_config_selectorIxxEEZZNS1_16scan_by_key_implILNS1_25lookback_scan_determinismE0ELb0ES3_N6thrust23THRUST_200600_302600_NS6detail15normal_iteratorINS9_10device_ptrIxEEEENS9_18transform_iteratorINS9_6negateIxEESE_NS9_11use_defaultESI_EESE_xNS9_4plusIvEENS9_8equal_toIvEExEE10hipError_tPvRmT2_T3_T4_T5_mT6_T7_P12ihipStream_tbENKUlT_T0_E_clISt17integral_constantIbLb1EES14_EEDaSZ_S10_EUlSZ_E_NS1_11comp_targetILNS1_3genE4ELNS1_11target_archE910ELNS1_3gpuE8ELNS1_3repE0EEENS1_30default_config_static_selectorELNS0_4arch9wavefront6targetE0EEEvT1_
	.p2align	8
	.type	_ZN7rocprim17ROCPRIM_400000_NS6detail17trampoline_kernelINS0_14default_configENS1_27scan_by_key_config_selectorIxxEEZZNS1_16scan_by_key_implILNS1_25lookback_scan_determinismE0ELb0ES3_N6thrust23THRUST_200600_302600_NS6detail15normal_iteratorINS9_10device_ptrIxEEEENS9_18transform_iteratorINS9_6negateIxEESE_NS9_11use_defaultESI_EESE_xNS9_4plusIvEENS9_8equal_toIvEExEE10hipError_tPvRmT2_T3_T4_T5_mT6_T7_P12ihipStream_tbENKUlT_T0_E_clISt17integral_constantIbLb1EES14_EEDaSZ_S10_EUlSZ_E_NS1_11comp_targetILNS1_3genE4ELNS1_11target_archE910ELNS1_3gpuE8ELNS1_3repE0EEENS1_30default_config_static_selectorELNS0_4arch9wavefront6targetE0EEEvT1_,@function
_ZN7rocprim17ROCPRIM_400000_NS6detail17trampoline_kernelINS0_14default_configENS1_27scan_by_key_config_selectorIxxEEZZNS1_16scan_by_key_implILNS1_25lookback_scan_determinismE0ELb0ES3_N6thrust23THRUST_200600_302600_NS6detail15normal_iteratorINS9_10device_ptrIxEEEENS9_18transform_iteratorINS9_6negateIxEESE_NS9_11use_defaultESI_EESE_xNS9_4plusIvEENS9_8equal_toIvEExEE10hipError_tPvRmT2_T3_T4_T5_mT6_T7_P12ihipStream_tbENKUlT_T0_E_clISt17integral_constantIbLb1EES14_EEDaSZ_S10_EUlSZ_E_NS1_11comp_targetILNS1_3genE4ELNS1_11target_archE910ELNS1_3gpuE8ELNS1_3repE0EEENS1_30default_config_static_selectorELNS0_4arch9wavefront6targetE0EEEvT1_: ; @_ZN7rocprim17ROCPRIM_400000_NS6detail17trampoline_kernelINS0_14default_configENS1_27scan_by_key_config_selectorIxxEEZZNS1_16scan_by_key_implILNS1_25lookback_scan_determinismE0ELb0ES3_N6thrust23THRUST_200600_302600_NS6detail15normal_iteratorINS9_10device_ptrIxEEEENS9_18transform_iteratorINS9_6negateIxEESE_NS9_11use_defaultESI_EESE_xNS9_4plusIvEENS9_8equal_toIvEExEE10hipError_tPvRmT2_T3_T4_T5_mT6_T7_P12ihipStream_tbENKUlT_T0_E_clISt17integral_constantIbLb1EES14_EEDaSZ_S10_EUlSZ_E_NS1_11comp_targetILNS1_3genE4ELNS1_11target_archE910ELNS1_3gpuE8ELNS1_3repE0EEENS1_30default_config_static_selectorELNS0_4arch9wavefront6targetE0EEEvT1_
; %bb.0:
	.section	.rodata,"a",@progbits
	.p2align	6, 0x0
	.amdhsa_kernel _ZN7rocprim17ROCPRIM_400000_NS6detail17trampoline_kernelINS0_14default_configENS1_27scan_by_key_config_selectorIxxEEZZNS1_16scan_by_key_implILNS1_25lookback_scan_determinismE0ELb0ES3_N6thrust23THRUST_200600_302600_NS6detail15normal_iteratorINS9_10device_ptrIxEEEENS9_18transform_iteratorINS9_6negateIxEESE_NS9_11use_defaultESI_EESE_xNS9_4plusIvEENS9_8equal_toIvEExEE10hipError_tPvRmT2_T3_T4_T5_mT6_T7_P12ihipStream_tbENKUlT_T0_E_clISt17integral_constantIbLb1EES14_EEDaSZ_S10_EUlSZ_E_NS1_11comp_targetILNS1_3genE4ELNS1_11target_archE910ELNS1_3gpuE8ELNS1_3repE0EEENS1_30default_config_static_selectorELNS0_4arch9wavefront6targetE0EEEvT1_
		.amdhsa_group_segment_fixed_size 0
		.amdhsa_private_segment_fixed_size 0
		.amdhsa_kernarg_size 144
		.amdhsa_user_sgpr_count 6
		.amdhsa_user_sgpr_private_segment_buffer 1
		.amdhsa_user_sgpr_dispatch_ptr 0
		.amdhsa_user_sgpr_queue_ptr 0
		.amdhsa_user_sgpr_kernarg_segment_ptr 1
		.amdhsa_user_sgpr_dispatch_id 0
		.amdhsa_user_sgpr_flat_scratch_init 0
		.amdhsa_user_sgpr_private_segment_size 0
		.amdhsa_wavefront_size32 1
		.amdhsa_uses_dynamic_stack 0
		.amdhsa_system_sgpr_private_segment_wavefront_offset 0
		.amdhsa_system_sgpr_workgroup_id_x 1
		.amdhsa_system_sgpr_workgroup_id_y 0
		.amdhsa_system_sgpr_workgroup_id_z 0
		.amdhsa_system_sgpr_workgroup_info 0
		.amdhsa_system_vgpr_workitem_id 0
		.amdhsa_next_free_vgpr 1
		.amdhsa_next_free_sgpr 1
		.amdhsa_reserve_vcc 0
		.amdhsa_reserve_flat_scratch 0
		.amdhsa_float_round_mode_32 0
		.amdhsa_float_round_mode_16_64 0
		.amdhsa_float_denorm_mode_32 3
		.amdhsa_float_denorm_mode_16_64 3
		.amdhsa_dx10_clamp 1
		.amdhsa_ieee_mode 1
		.amdhsa_fp16_overflow 0
		.amdhsa_workgroup_processor_mode 1
		.amdhsa_memory_ordered 1
		.amdhsa_forward_progress 1
		.amdhsa_shared_vgpr_count 0
		.amdhsa_exception_fp_ieee_invalid_op 0
		.amdhsa_exception_fp_denorm_src 0
		.amdhsa_exception_fp_ieee_div_zero 0
		.amdhsa_exception_fp_ieee_overflow 0
		.amdhsa_exception_fp_ieee_underflow 0
		.amdhsa_exception_fp_ieee_inexact 0
		.amdhsa_exception_int_div_zero 0
	.end_amdhsa_kernel
	.section	.text._ZN7rocprim17ROCPRIM_400000_NS6detail17trampoline_kernelINS0_14default_configENS1_27scan_by_key_config_selectorIxxEEZZNS1_16scan_by_key_implILNS1_25lookback_scan_determinismE0ELb0ES3_N6thrust23THRUST_200600_302600_NS6detail15normal_iteratorINS9_10device_ptrIxEEEENS9_18transform_iteratorINS9_6negateIxEESE_NS9_11use_defaultESI_EESE_xNS9_4plusIvEENS9_8equal_toIvEExEE10hipError_tPvRmT2_T3_T4_T5_mT6_T7_P12ihipStream_tbENKUlT_T0_E_clISt17integral_constantIbLb1EES14_EEDaSZ_S10_EUlSZ_E_NS1_11comp_targetILNS1_3genE4ELNS1_11target_archE910ELNS1_3gpuE8ELNS1_3repE0EEENS1_30default_config_static_selectorELNS0_4arch9wavefront6targetE0EEEvT1_,"axG",@progbits,_ZN7rocprim17ROCPRIM_400000_NS6detail17trampoline_kernelINS0_14default_configENS1_27scan_by_key_config_selectorIxxEEZZNS1_16scan_by_key_implILNS1_25lookback_scan_determinismE0ELb0ES3_N6thrust23THRUST_200600_302600_NS6detail15normal_iteratorINS9_10device_ptrIxEEEENS9_18transform_iteratorINS9_6negateIxEESE_NS9_11use_defaultESI_EESE_xNS9_4plusIvEENS9_8equal_toIvEExEE10hipError_tPvRmT2_T3_T4_T5_mT6_T7_P12ihipStream_tbENKUlT_T0_E_clISt17integral_constantIbLb1EES14_EEDaSZ_S10_EUlSZ_E_NS1_11comp_targetILNS1_3genE4ELNS1_11target_archE910ELNS1_3gpuE8ELNS1_3repE0EEENS1_30default_config_static_selectorELNS0_4arch9wavefront6targetE0EEEvT1_,comdat
.Lfunc_end905:
	.size	_ZN7rocprim17ROCPRIM_400000_NS6detail17trampoline_kernelINS0_14default_configENS1_27scan_by_key_config_selectorIxxEEZZNS1_16scan_by_key_implILNS1_25lookback_scan_determinismE0ELb0ES3_N6thrust23THRUST_200600_302600_NS6detail15normal_iteratorINS9_10device_ptrIxEEEENS9_18transform_iteratorINS9_6negateIxEESE_NS9_11use_defaultESI_EESE_xNS9_4plusIvEENS9_8equal_toIvEExEE10hipError_tPvRmT2_T3_T4_T5_mT6_T7_P12ihipStream_tbENKUlT_T0_E_clISt17integral_constantIbLb1EES14_EEDaSZ_S10_EUlSZ_E_NS1_11comp_targetILNS1_3genE4ELNS1_11target_archE910ELNS1_3gpuE8ELNS1_3repE0EEENS1_30default_config_static_selectorELNS0_4arch9wavefront6targetE0EEEvT1_, .Lfunc_end905-_ZN7rocprim17ROCPRIM_400000_NS6detail17trampoline_kernelINS0_14default_configENS1_27scan_by_key_config_selectorIxxEEZZNS1_16scan_by_key_implILNS1_25lookback_scan_determinismE0ELb0ES3_N6thrust23THRUST_200600_302600_NS6detail15normal_iteratorINS9_10device_ptrIxEEEENS9_18transform_iteratorINS9_6negateIxEESE_NS9_11use_defaultESI_EESE_xNS9_4plusIvEENS9_8equal_toIvEExEE10hipError_tPvRmT2_T3_T4_T5_mT6_T7_P12ihipStream_tbENKUlT_T0_E_clISt17integral_constantIbLb1EES14_EEDaSZ_S10_EUlSZ_E_NS1_11comp_targetILNS1_3genE4ELNS1_11target_archE910ELNS1_3gpuE8ELNS1_3repE0EEENS1_30default_config_static_selectorELNS0_4arch9wavefront6targetE0EEEvT1_
                                        ; -- End function
	.set _ZN7rocprim17ROCPRIM_400000_NS6detail17trampoline_kernelINS0_14default_configENS1_27scan_by_key_config_selectorIxxEEZZNS1_16scan_by_key_implILNS1_25lookback_scan_determinismE0ELb0ES3_N6thrust23THRUST_200600_302600_NS6detail15normal_iteratorINS9_10device_ptrIxEEEENS9_18transform_iteratorINS9_6negateIxEESE_NS9_11use_defaultESI_EESE_xNS9_4plusIvEENS9_8equal_toIvEExEE10hipError_tPvRmT2_T3_T4_T5_mT6_T7_P12ihipStream_tbENKUlT_T0_E_clISt17integral_constantIbLb1EES14_EEDaSZ_S10_EUlSZ_E_NS1_11comp_targetILNS1_3genE4ELNS1_11target_archE910ELNS1_3gpuE8ELNS1_3repE0EEENS1_30default_config_static_selectorELNS0_4arch9wavefront6targetE0EEEvT1_.num_vgpr, 0
	.set _ZN7rocprim17ROCPRIM_400000_NS6detail17trampoline_kernelINS0_14default_configENS1_27scan_by_key_config_selectorIxxEEZZNS1_16scan_by_key_implILNS1_25lookback_scan_determinismE0ELb0ES3_N6thrust23THRUST_200600_302600_NS6detail15normal_iteratorINS9_10device_ptrIxEEEENS9_18transform_iteratorINS9_6negateIxEESE_NS9_11use_defaultESI_EESE_xNS9_4plusIvEENS9_8equal_toIvEExEE10hipError_tPvRmT2_T3_T4_T5_mT6_T7_P12ihipStream_tbENKUlT_T0_E_clISt17integral_constantIbLb1EES14_EEDaSZ_S10_EUlSZ_E_NS1_11comp_targetILNS1_3genE4ELNS1_11target_archE910ELNS1_3gpuE8ELNS1_3repE0EEENS1_30default_config_static_selectorELNS0_4arch9wavefront6targetE0EEEvT1_.num_agpr, 0
	.set _ZN7rocprim17ROCPRIM_400000_NS6detail17trampoline_kernelINS0_14default_configENS1_27scan_by_key_config_selectorIxxEEZZNS1_16scan_by_key_implILNS1_25lookback_scan_determinismE0ELb0ES3_N6thrust23THRUST_200600_302600_NS6detail15normal_iteratorINS9_10device_ptrIxEEEENS9_18transform_iteratorINS9_6negateIxEESE_NS9_11use_defaultESI_EESE_xNS9_4plusIvEENS9_8equal_toIvEExEE10hipError_tPvRmT2_T3_T4_T5_mT6_T7_P12ihipStream_tbENKUlT_T0_E_clISt17integral_constantIbLb1EES14_EEDaSZ_S10_EUlSZ_E_NS1_11comp_targetILNS1_3genE4ELNS1_11target_archE910ELNS1_3gpuE8ELNS1_3repE0EEENS1_30default_config_static_selectorELNS0_4arch9wavefront6targetE0EEEvT1_.numbered_sgpr, 0
	.set _ZN7rocprim17ROCPRIM_400000_NS6detail17trampoline_kernelINS0_14default_configENS1_27scan_by_key_config_selectorIxxEEZZNS1_16scan_by_key_implILNS1_25lookback_scan_determinismE0ELb0ES3_N6thrust23THRUST_200600_302600_NS6detail15normal_iteratorINS9_10device_ptrIxEEEENS9_18transform_iteratorINS9_6negateIxEESE_NS9_11use_defaultESI_EESE_xNS9_4plusIvEENS9_8equal_toIvEExEE10hipError_tPvRmT2_T3_T4_T5_mT6_T7_P12ihipStream_tbENKUlT_T0_E_clISt17integral_constantIbLb1EES14_EEDaSZ_S10_EUlSZ_E_NS1_11comp_targetILNS1_3genE4ELNS1_11target_archE910ELNS1_3gpuE8ELNS1_3repE0EEENS1_30default_config_static_selectorELNS0_4arch9wavefront6targetE0EEEvT1_.num_named_barrier, 0
	.set _ZN7rocprim17ROCPRIM_400000_NS6detail17trampoline_kernelINS0_14default_configENS1_27scan_by_key_config_selectorIxxEEZZNS1_16scan_by_key_implILNS1_25lookback_scan_determinismE0ELb0ES3_N6thrust23THRUST_200600_302600_NS6detail15normal_iteratorINS9_10device_ptrIxEEEENS9_18transform_iteratorINS9_6negateIxEESE_NS9_11use_defaultESI_EESE_xNS9_4plusIvEENS9_8equal_toIvEExEE10hipError_tPvRmT2_T3_T4_T5_mT6_T7_P12ihipStream_tbENKUlT_T0_E_clISt17integral_constantIbLb1EES14_EEDaSZ_S10_EUlSZ_E_NS1_11comp_targetILNS1_3genE4ELNS1_11target_archE910ELNS1_3gpuE8ELNS1_3repE0EEENS1_30default_config_static_selectorELNS0_4arch9wavefront6targetE0EEEvT1_.private_seg_size, 0
	.set _ZN7rocprim17ROCPRIM_400000_NS6detail17trampoline_kernelINS0_14default_configENS1_27scan_by_key_config_selectorIxxEEZZNS1_16scan_by_key_implILNS1_25lookback_scan_determinismE0ELb0ES3_N6thrust23THRUST_200600_302600_NS6detail15normal_iteratorINS9_10device_ptrIxEEEENS9_18transform_iteratorINS9_6negateIxEESE_NS9_11use_defaultESI_EESE_xNS9_4plusIvEENS9_8equal_toIvEExEE10hipError_tPvRmT2_T3_T4_T5_mT6_T7_P12ihipStream_tbENKUlT_T0_E_clISt17integral_constantIbLb1EES14_EEDaSZ_S10_EUlSZ_E_NS1_11comp_targetILNS1_3genE4ELNS1_11target_archE910ELNS1_3gpuE8ELNS1_3repE0EEENS1_30default_config_static_selectorELNS0_4arch9wavefront6targetE0EEEvT1_.uses_vcc, 0
	.set _ZN7rocprim17ROCPRIM_400000_NS6detail17trampoline_kernelINS0_14default_configENS1_27scan_by_key_config_selectorIxxEEZZNS1_16scan_by_key_implILNS1_25lookback_scan_determinismE0ELb0ES3_N6thrust23THRUST_200600_302600_NS6detail15normal_iteratorINS9_10device_ptrIxEEEENS9_18transform_iteratorINS9_6negateIxEESE_NS9_11use_defaultESI_EESE_xNS9_4plusIvEENS9_8equal_toIvEExEE10hipError_tPvRmT2_T3_T4_T5_mT6_T7_P12ihipStream_tbENKUlT_T0_E_clISt17integral_constantIbLb1EES14_EEDaSZ_S10_EUlSZ_E_NS1_11comp_targetILNS1_3genE4ELNS1_11target_archE910ELNS1_3gpuE8ELNS1_3repE0EEENS1_30default_config_static_selectorELNS0_4arch9wavefront6targetE0EEEvT1_.uses_flat_scratch, 0
	.set _ZN7rocprim17ROCPRIM_400000_NS6detail17trampoline_kernelINS0_14default_configENS1_27scan_by_key_config_selectorIxxEEZZNS1_16scan_by_key_implILNS1_25lookback_scan_determinismE0ELb0ES3_N6thrust23THRUST_200600_302600_NS6detail15normal_iteratorINS9_10device_ptrIxEEEENS9_18transform_iteratorINS9_6negateIxEESE_NS9_11use_defaultESI_EESE_xNS9_4plusIvEENS9_8equal_toIvEExEE10hipError_tPvRmT2_T3_T4_T5_mT6_T7_P12ihipStream_tbENKUlT_T0_E_clISt17integral_constantIbLb1EES14_EEDaSZ_S10_EUlSZ_E_NS1_11comp_targetILNS1_3genE4ELNS1_11target_archE910ELNS1_3gpuE8ELNS1_3repE0EEENS1_30default_config_static_selectorELNS0_4arch9wavefront6targetE0EEEvT1_.has_dyn_sized_stack, 0
	.set _ZN7rocprim17ROCPRIM_400000_NS6detail17trampoline_kernelINS0_14default_configENS1_27scan_by_key_config_selectorIxxEEZZNS1_16scan_by_key_implILNS1_25lookback_scan_determinismE0ELb0ES3_N6thrust23THRUST_200600_302600_NS6detail15normal_iteratorINS9_10device_ptrIxEEEENS9_18transform_iteratorINS9_6negateIxEESE_NS9_11use_defaultESI_EESE_xNS9_4plusIvEENS9_8equal_toIvEExEE10hipError_tPvRmT2_T3_T4_T5_mT6_T7_P12ihipStream_tbENKUlT_T0_E_clISt17integral_constantIbLb1EES14_EEDaSZ_S10_EUlSZ_E_NS1_11comp_targetILNS1_3genE4ELNS1_11target_archE910ELNS1_3gpuE8ELNS1_3repE0EEENS1_30default_config_static_selectorELNS0_4arch9wavefront6targetE0EEEvT1_.has_recursion, 0
	.set _ZN7rocprim17ROCPRIM_400000_NS6detail17trampoline_kernelINS0_14default_configENS1_27scan_by_key_config_selectorIxxEEZZNS1_16scan_by_key_implILNS1_25lookback_scan_determinismE0ELb0ES3_N6thrust23THRUST_200600_302600_NS6detail15normal_iteratorINS9_10device_ptrIxEEEENS9_18transform_iteratorINS9_6negateIxEESE_NS9_11use_defaultESI_EESE_xNS9_4plusIvEENS9_8equal_toIvEExEE10hipError_tPvRmT2_T3_T4_T5_mT6_T7_P12ihipStream_tbENKUlT_T0_E_clISt17integral_constantIbLb1EES14_EEDaSZ_S10_EUlSZ_E_NS1_11comp_targetILNS1_3genE4ELNS1_11target_archE910ELNS1_3gpuE8ELNS1_3repE0EEENS1_30default_config_static_selectorELNS0_4arch9wavefront6targetE0EEEvT1_.has_indirect_call, 0
	.section	.AMDGPU.csdata,"",@progbits
; Kernel info:
; codeLenInByte = 0
; TotalNumSgprs: 0
; NumVgprs: 0
; ScratchSize: 0
; MemoryBound: 0
; FloatMode: 240
; IeeeMode: 1
; LDSByteSize: 0 bytes/workgroup (compile time only)
; SGPRBlocks: 0
; VGPRBlocks: 0
; NumSGPRsForWavesPerEU: 1
; NumVGPRsForWavesPerEU: 1
; Occupancy: 16
; WaveLimiterHint : 0
; COMPUTE_PGM_RSRC2:SCRATCH_EN: 0
; COMPUTE_PGM_RSRC2:USER_SGPR: 6
; COMPUTE_PGM_RSRC2:TRAP_HANDLER: 0
; COMPUTE_PGM_RSRC2:TGID_X_EN: 1
; COMPUTE_PGM_RSRC2:TGID_Y_EN: 0
; COMPUTE_PGM_RSRC2:TGID_Z_EN: 0
; COMPUTE_PGM_RSRC2:TIDIG_COMP_CNT: 0
	.section	.text._ZN7rocprim17ROCPRIM_400000_NS6detail17trampoline_kernelINS0_14default_configENS1_27scan_by_key_config_selectorIxxEEZZNS1_16scan_by_key_implILNS1_25lookback_scan_determinismE0ELb0ES3_N6thrust23THRUST_200600_302600_NS6detail15normal_iteratorINS9_10device_ptrIxEEEENS9_18transform_iteratorINS9_6negateIxEESE_NS9_11use_defaultESI_EESE_xNS9_4plusIvEENS9_8equal_toIvEExEE10hipError_tPvRmT2_T3_T4_T5_mT6_T7_P12ihipStream_tbENKUlT_T0_E_clISt17integral_constantIbLb1EES14_EEDaSZ_S10_EUlSZ_E_NS1_11comp_targetILNS1_3genE3ELNS1_11target_archE908ELNS1_3gpuE7ELNS1_3repE0EEENS1_30default_config_static_selectorELNS0_4arch9wavefront6targetE0EEEvT1_,"axG",@progbits,_ZN7rocprim17ROCPRIM_400000_NS6detail17trampoline_kernelINS0_14default_configENS1_27scan_by_key_config_selectorIxxEEZZNS1_16scan_by_key_implILNS1_25lookback_scan_determinismE0ELb0ES3_N6thrust23THRUST_200600_302600_NS6detail15normal_iteratorINS9_10device_ptrIxEEEENS9_18transform_iteratorINS9_6negateIxEESE_NS9_11use_defaultESI_EESE_xNS9_4plusIvEENS9_8equal_toIvEExEE10hipError_tPvRmT2_T3_T4_T5_mT6_T7_P12ihipStream_tbENKUlT_T0_E_clISt17integral_constantIbLb1EES14_EEDaSZ_S10_EUlSZ_E_NS1_11comp_targetILNS1_3genE3ELNS1_11target_archE908ELNS1_3gpuE7ELNS1_3repE0EEENS1_30default_config_static_selectorELNS0_4arch9wavefront6targetE0EEEvT1_,comdat
	.protected	_ZN7rocprim17ROCPRIM_400000_NS6detail17trampoline_kernelINS0_14default_configENS1_27scan_by_key_config_selectorIxxEEZZNS1_16scan_by_key_implILNS1_25lookback_scan_determinismE0ELb0ES3_N6thrust23THRUST_200600_302600_NS6detail15normal_iteratorINS9_10device_ptrIxEEEENS9_18transform_iteratorINS9_6negateIxEESE_NS9_11use_defaultESI_EESE_xNS9_4plusIvEENS9_8equal_toIvEExEE10hipError_tPvRmT2_T3_T4_T5_mT6_T7_P12ihipStream_tbENKUlT_T0_E_clISt17integral_constantIbLb1EES14_EEDaSZ_S10_EUlSZ_E_NS1_11comp_targetILNS1_3genE3ELNS1_11target_archE908ELNS1_3gpuE7ELNS1_3repE0EEENS1_30default_config_static_selectorELNS0_4arch9wavefront6targetE0EEEvT1_ ; -- Begin function _ZN7rocprim17ROCPRIM_400000_NS6detail17trampoline_kernelINS0_14default_configENS1_27scan_by_key_config_selectorIxxEEZZNS1_16scan_by_key_implILNS1_25lookback_scan_determinismE0ELb0ES3_N6thrust23THRUST_200600_302600_NS6detail15normal_iteratorINS9_10device_ptrIxEEEENS9_18transform_iteratorINS9_6negateIxEESE_NS9_11use_defaultESI_EESE_xNS9_4plusIvEENS9_8equal_toIvEExEE10hipError_tPvRmT2_T3_T4_T5_mT6_T7_P12ihipStream_tbENKUlT_T0_E_clISt17integral_constantIbLb1EES14_EEDaSZ_S10_EUlSZ_E_NS1_11comp_targetILNS1_3genE3ELNS1_11target_archE908ELNS1_3gpuE7ELNS1_3repE0EEENS1_30default_config_static_selectorELNS0_4arch9wavefront6targetE0EEEvT1_
	.globl	_ZN7rocprim17ROCPRIM_400000_NS6detail17trampoline_kernelINS0_14default_configENS1_27scan_by_key_config_selectorIxxEEZZNS1_16scan_by_key_implILNS1_25lookback_scan_determinismE0ELb0ES3_N6thrust23THRUST_200600_302600_NS6detail15normal_iteratorINS9_10device_ptrIxEEEENS9_18transform_iteratorINS9_6negateIxEESE_NS9_11use_defaultESI_EESE_xNS9_4plusIvEENS9_8equal_toIvEExEE10hipError_tPvRmT2_T3_T4_T5_mT6_T7_P12ihipStream_tbENKUlT_T0_E_clISt17integral_constantIbLb1EES14_EEDaSZ_S10_EUlSZ_E_NS1_11comp_targetILNS1_3genE3ELNS1_11target_archE908ELNS1_3gpuE7ELNS1_3repE0EEENS1_30default_config_static_selectorELNS0_4arch9wavefront6targetE0EEEvT1_
	.p2align	8
	.type	_ZN7rocprim17ROCPRIM_400000_NS6detail17trampoline_kernelINS0_14default_configENS1_27scan_by_key_config_selectorIxxEEZZNS1_16scan_by_key_implILNS1_25lookback_scan_determinismE0ELb0ES3_N6thrust23THRUST_200600_302600_NS6detail15normal_iteratorINS9_10device_ptrIxEEEENS9_18transform_iteratorINS9_6negateIxEESE_NS9_11use_defaultESI_EESE_xNS9_4plusIvEENS9_8equal_toIvEExEE10hipError_tPvRmT2_T3_T4_T5_mT6_T7_P12ihipStream_tbENKUlT_T0_E_clISt17integral_constantIbLb1EES14_EEDaSZ_S10_EUlSZ_E_NS1_11comp_targetILNS1_3genE3ELNS1_11target_archE908ELNS1_3gpuE7ELNS1_3repE0EEENS1_30default_config_static_selectorELNS0_4arch9wavefront6targetE0EEEvT1_,@function
_ZN7rocprim17ROCPRIM_400000_NS6detail17trampoline_kernelINS0_14default_configENS1_27scan_by_key_config_selectorIxxEEZZNS1_16scan_by_key_implILNS1_25lookback_scan_determinismE0ELb0ES3_N6thrust23THRUST_200600_302600_NS6detail15normal_iteratorINS9_10device_ptrIxEEEENS9_18transform_iteratorINS9_6negateIxEESE_NS9_11use_defaultESI_EESE_xNS9_4plusIvEENS9_8equal_toIvEExEE10hipError_tPvRmT2_T3_T4_T5_mT6_T7_P12ihipStream_tbENKUlT_T0_E_clISt17integral_constantIbLb1EES14_EEDaSZ_S10_EUlSZ_E_NS1_11comp_targetILNS1_3genE3ELNS1_11target_archE908ELNS1_3gpuE7ELNS1_3repE0EEENS1_30default_config_static_selectorELNS0_4arch9wavefront6targetE0EEEvT1_: ; @_ZN7rocprim17ROCPRIM_400000_NS6detail17trampoline_kernelINS0_14default_configENS1_27scan_by_key_config_selectorIxxEEZZNS1_16scan_by_key_implILNS1_25lookback_scan_determinismE0ELb0ES3_N6thrust23THRUST_200600_302600_NS6detail15normal_iteratorINS9_10device_ptrIxEEEENS9_18transform_iteratorINS9_6negateIxEESE_NS9_11use_defaultESI_EESE_xNS9_4plusIvEENS9_8equal_toIvEExEE10hipError_tPvRmT2_T3_T4_T5_mT6_T7_P12ihipStream_tbENKUlT_T0_E_clISt17integral_constantIbLb1EES14_EEDaSZ_S10_EUlSZ_E_NS1_11comp_targetILNS1_3genE3ELNS1_11target_archE908ELNS1_3gpuE7ELNS1_3repE0EEENS1_30default_config_static_selectorELNS0_4arch9wavefront6targetE0EEEvT1_
; %bb.0:
	.section	.rodata,"a",@progbits
	.p2align	6, 0x0
	.amdhsa_kernel _ZN7rocprim17ROCPRIM_400000_NS6detail17trampoline_kernelINS0_14default_configENS1_27scan_by_key_config_selectorIxxEEZZNS1_16scan_by_key_implILNS1_25lookback_scan_determinismE0ELb0ES3_N6thrust23THRUST_200600_302600_NS6detail15normal_iteratorINS9_10device_ptrIxEEEENS9_18transform_iteratorINS9_6negateIxEESE_NS9_11use_defaultESI_EESE_xNS9_4plusIvEENS9_8equal_toIvEExEE10hipError_tPvRmT2_T3_T4_T5_mT6_T7_P12ihipStream_tbENKUlT_T0_E_clISt17integral_constantIbLb1EES14_EEDaSZ_S10_EUlSZ_E_NS1_11comp_targetILNS1_3genE3ELNS1_11target_archE908ELNS1_3gpuE7ELNS1_3repE0EEENS1_30default_config_static_selectorELNS0_4arch9wavefront6targetE0EEEvT1_
		.amdhsa_group_segment_fixed_size 0
		.amdhsa_private_segment_fixed_size 0
		.amdhsa_kernarg_size 144
		.amdhsa_user_sgpr_count 6
		.amdhsa_user_sgpr_private_segment_buffer 1
		.amdhsa_user_sgpr_dispatch_ptr 0
		.amdhsa_user_sgpr_queue_ptr 0
		.amdhsa_user_sgpr_kernarg_segment_ptr 1
		.amdhsa_user_sgpr_dispatch_id 0
		.amdhsa_user_sgpr_flat_scratch_init 0
		.amdhsa_user_sgpr_private_segment_size 0
		.amdhsa_wavefront_size32 1
		.amdhsa_uses_dynamic_stack 0
		.amdhsa_system_sgpr_private_segment_wavefront_offset 0
		.amdhsa_system_sgpr_workgroup_id_x 1
		.amdhsa_system_sgpr_workgroup_id_y 0
		.amdhsa_system_sgpr_workgroup_id_z 0
		.amdhsa_system_sgpr_workgroup_info 0
		.amdhsa_system_vgpr_workitem_id 0
		.amdhsa_next_free_vgpr 1
		.amdhsa_next_free_sgpr 1
		.amdhsa_reserve_vcc 0
		.amdhsa_reserve_flat_scratch 0
		.amdhsa_float_round_mode_32 0
		.amdhsa_float_round_mode_16_64 0
		.amdhsa_float_denorm_mode_32 3
		.amdhsa_float_denorm_mode_16_64 3
		.amdhsa_dx10_clamp 1
		.amdhsa_ieee_mode 1
		.amdhsa_fp16_overflow 0
		.amdhsa_workgroup_processor_mode 1
		.amdhsa_memory_ordered 1
		.amdhsa_forward_progress 1
		.amdhsa_shared_vgpr_count 0
		.amdhsa_exception_fp_ieee_invalid_op 0
		.amdhsa_exception_fp_denorm_src 0
		.amdhsa_exception_fp_ieee_div_zero 0
		.amdhsa_exception_fp_ieee_overflow 0
		.amdhsa_exception_fp_ieee_underflow 0
		.amdhsa_exception_fp_ieee_inexact 0
		.amdhsa_exception_int_div_zero 0
	.end_amdhsa_kernel
	.section	.text._ZN7rocprim17ROCPRIM_400000_NS6detail17trampoline_kernelINS0_14default_configENS1_27scan_by_key_config_selectorIxxEEZZNS1_16scan_by_key_implILNS1_25lookback_scan_determinismE0ELb0ES3_N6thrust23THRUST_200600_302600_NS6detail15normal_iteratorINS9_10device_ptrIxEEEENS9_18transform_iteratorINS9_6negateIxEESE_NS9_11use_defaultESI_EESE_xNS9_4plusIvEENS9_8equal_toIvEExEE10hipError_tPvRmT2_T3_T4_T5_mT6_T7_P12ihipStream_tbENKUlT_T0_E_clISt17integral_constantIbLb1EES14_EEDaSZ_S10_EUlSZ_E_NS1_11comp_targetILNS1_3genE3ELNS1_11target_archE908ELNS1_3gpuE7ELNS1_3repE0EEENS1_30default_config_static_selectorELNS0_4arch9wavefront6targetE0EEEvT1_,"axG",@progbits,_ZN7rocprim17ROCPRIM_400000_NS6detail17trampoline_kernelINS0_14default_configENS1_27scan_by_key_config_selectorIxxEEZZNS1_16scan_by_key_implILNS1_25lookback_scan_determinismE0ELb0ES3_N6thrust23THRUST_200600_302600_NS6detail15normal_iteratorINS9_10device_ptrIxEEEENS9_18transform_iteratorINS9_6negateIxEESE_NS9_11use_defaultESI_EESE_xNS9_4plusIvEENS9_8equal_toIvEExEE10hipError_tPvRmT2_T3_T4_T5_mT6_T7_P12ihipStream_tbENKUlT_T0_E_clISt17integral_constantIbLb1EES14_EEDaSZ_S10_EUlSZ_E_NS1_11comp_targetILNS1_3genE3ELNS1_11target_archE908ELNS1_3gpuE7ELNS1_3repE0EEENS1_30default_config_static_selectorELNS0_4arch9wavefront6targetE0EEEvT1_,comdat
.Lfunc_end906:
	.size	_ZN7rocprim17ROCPRIM_400000_NS6detail17trampoline_kernelINS0_14default_configENS1_27scan_by_key_config_selectorIxxEEZZNS1_16scan_by_key_implILNS1_25lookback_scan_determinismE0ELb0ES3_N6thrust23THRUST_200600_302600_NS6detail15normal_iteratorINS9_10device_ptrIxEEEENS9_18transform_iteratorINS9_6negateIxEESE_NS9_11use_defaultESI_EESE_xNS9_4plusIvEENS9_8equal_toIvEExEE10hipError_tPvRmT2_T3_T4_T5_mT6_T7_P12ihipStream_tbENKUlT_T0_E_clISt17integral_constantIbLb1EES14_EEDaSZ_S10_EUlSZ_E_NS1_11comp_targetILNS1_3genE3ELNS1_11target_archE908ELNS1_3gpuE7ELNS1_3repE0EEENS1_30default_config_static_selectorELNS0_4arch9wavefront6targetE0EEEvT1_, .Lfunc_end906-_ZN7rocprim17ROCPRIM_400000_NS6detail17trampoline_kernelINS0_14default_configENS1_27scan_by_key_config_selectorIxxEEZZNS1_16scan_by_key_implILNS1_25lookback_scan_determinismE0ELb0ES3_N6thrust23THRUST_200600_302600_NS6detail15normal_iteratorINS9_10device_ptrIxEEEENS9_18transform_iteratorINS9_6negateIxEESE_NS9_11use_defaultESI_EESE_xNS9_4plusIvEENS9_8equal_toIvEExEE10hipError_tPvRmT2_T3_T4_T5_mT6_T7_P12ihipStream_tbENKUlT_T0_E_clISt17integral_constantIbLb1EES14_EEDaSZ_S10_EUlSZ_E_NS1_11comp_targetILNS1_3genE3ELNS1_11target_archE908ELNS1_3gpuE7ELNS1_3repE0EEENS1_30default_config_static_selectorELNS0_4arch9wavefront6targetE0EEEvT1_
                                        ; -- End function
	.set _ZN7rocprim17ROCPRIM_400000_NS6detail17trampoline_kernelINS0_14default_configENS1_27scan_by_key_config_selectorIxxEEZZNS1_16scan_by_key_implILNS1_25lookback_scan_determinismE0ELb0ES3_N6thrust23THRUST_200600_302600_NS6detail15normal_iteratorINS9_10device_ptrIxEEEENS9_18transform_iteratorINS9_6negateIxEESE_NS9_11use_defaultESI_EESE_xNS9_4plusIvEENS9_8equal_toIvEExEE10hipError_tPvRmT2_T3_T4_T5_mT6_T7_P12ihipStream_tbENKUlT_T0_E_clISt17integral_constantIbLb1EES14_EEDaSZ_S10_EUlSZ_E_NS1_11comp_targetILNS1_3genE3ELNS1_11target_archE908ELNS1_3gpuE7ELNS1_3repE0EEENS1_30default_config_static_selectorELNS0_4arch9wavefront6targetE0EEEvT1_.num_vgpr, 0
	.set _ZN7rocprim17ROCPRIM_400000_NS6detail17trampoline_kernelINS0_14default_configENS1_27scan_by_key_config_selectorIxxEEZZNS1_16scan_by_key_implILNS1_25lookback_scan_determinismE0ELb0ES3_N6thrust23THRUST_200600_302600_NS6detail15normal_iteratorINS9_10device_ptrIxEEEENS9_18transform_iteratorINS9_6negateIxEESE_NS9_11use_defaultESI_EESE_xNS9_4plusIvEENS9_8equal_toIvEExEE10hipError_tPvRmT2_T3_T4_T5_mT6_T7_P12ihipStream_tbENKUlT_T0_E_clISt17integral_constantIbLb1EES14_EEDaSZ_S10_EUlSZ_E_NS1_11comp_targetILNS1_3genE3ELNS1_11target_archE908ELNS1_3gpuE7ELNS1_3repE0EEENS1_30default_config_static_selectorELNS0_4arch9wavefront6targetE0EEEvT1_.num_agpr, 0
	.set _ZN7rocprim17ROCPRIM_400000_NS6detail17trampoline_kernelINS0_14default_configENS1_27scan_by_key_config_selectorIxxEEZZNS1_16scan_by_key_implILNS1_25lookback_scan_determinismE0ELb0ES3_N6thrust23THRUST_200600_302600_NS6detail15normal_iteratorINS9_10device_ptrIxEEEENS9_18transform_iteratorINS9_6negateIxEESE_NS9_11use_defaultESI_EESE_xNS9_4plusIvEENS9_8equal_toIvEExEE10hipError_tPvRmT2_T3_T4_T5_mT6_T7_P12ihipStream_tbENKUlT_T0_E_clISt17integral_constantIbLb1EES14_EEDaSZ_S10_EUlSZ_E_NS1_11comp_targetILNS1_3genE3ELNS1_11target_archE908ELNS1_3gpuE7ELNS1_3repE0EEENS1_30default_config_static_selectorELNS0_4arch9wavefront6targetE0EEEvT1_.numbered_sgpr, 0
	.set _ZN7rocprim17ROCPRIM_400000_NS6detail17trampoline_kernelINS0_14default_configENS1_27scan_by_key_config_selectorIxxEEZZNS1_16scan_by_key_implILNS1_25lookback_scan_determinismE0ELb0ES3_N6thrust23THRUST_200600_302600_NS6detail15normal_iteratorINS9_10device_ptrIxEEEENS9_18transform_iteratorINS9_6negateIxEESE_NS9_11use_defaultESI_EESE_xNS9_4plusIvEENS9_8equal_toIvEExEE10hipError_tPvRmT2_T3_T4_T5_mT6_T7_P12ihipStream_tbENKUlT_T0_E_clISt17integral_constantIbLb1EES14_EEDaSZ_S10_EUlSZ_E_NS1_11comp_targetILNS1_3genE3ELNS1_11target_archE908ELNS1_3gpuE7ELNS1_3repE0EEENS1_30default_config_static_selectorELNS0_4arch9wavefront6targetE0EEEvT1_.num_named_barrier, 0
	.set _ZN7rocprim17ROCPRIM_400000_NS6detail17trampoline_kernelINS0_14default_configENS1_27scan_by_key_config_selectorIxxEEZZNS1_16scan_by_key_implILNS1_25lookback_scan_determinismE0ELb0ES3_N6thrust23THRUST_200600_302600_NS6detail15normal_iteratorINS9_10device_ptrIxEEEENS9_18transform_iteratorINS9_6negateIxEESE_NS9_11use_defaultESI_EESE_xNS9_4plusIvEENS9_8equal_toIvEExEE10hipError_tPvRmT2_T3_T4_T5_mT6_T7_P12ihipStream_tbENKUlT_T0_E_clISt17integral_constantIbLb1EES14_EEDaSZ_S10_EUlSZ_E_NS1_11comp_targetILNS1_3genE3ELNS1_11target_archE908ELNS1_3gpuE7ELNS1_3repE0EEENS1_30default_config_static_selectorELNS0_4arch9wavefront6targetE0EEEvT1_.private_seg_size, 0
	.set _ZN7rocprim17ROCPRIM_400000_NS6detail17trampoline_kernelINS0_14default_configENS1_27scan_by_key_config_selectorIxxEEZZNS1_16scan_by_key_implILNS1_25lookback_scan_determinismE0ELb0ES3_N6thrust23THRUST_200600_302600_NS6detail15normal_iteratorINS9_10device_ptrIxEEEENS9_18transform_iteratorINS9_6negateIxEESE_NS9_11use_defaultESI_EESE_xNS9_4plusIvEENS9_8equal_toIvEExEE10hipError_tPvRmT2_T3_T4_T5_mT6_T7_P12ihipStream_tbENKUlT_T0_E_clISt17integral_constantIbLb1EES14_EEDaSZ_S10_EUlSZ_E_NS1_11comp_targetILNS1_3genE3ELNS1_11target_archE908ELNS1_3gpuE7ELNS1_3repE0EEENS1_30default_config_static_selectorELNS0_4arch9wavefront6targetE0EEEvT1_.uses_vcc, 0
	.set _ZN7rocprim17ROCPRIM_400000_NS6detail17trampoline_kernelINS0_14default_configENS1_27scan_by_key_config_selectorIxxEEZZNS1_16scan_by_key_implILNS1_25lookback_scan_determinismE0ELb0ES3_N6thrust23THRUST_200600_302600_NS6detail15normal_iteratorINS9_10device_ptrIxEEEENS9_18transform_iteratorINS9_6negateIxEESE_NS9_11use_defaultESI_EESE_xNS9_4plusIvEENS9_8equal_toIvEExEE10hipError_tPvRmT2_T3_T4_T5_mT6_T7_P12ihipStream_tbENKUlT_T0_E_clISt17integral_constantIbLb1EES14_EEDaSZ_S10_EUlSZ_E_NS1_11comp_targetILNS1_3genE3ELNS1_11target_archE908ELNS1_3gpuE7ELNS1_3repE0EEENS1_30default_config_static_selectorELNS0_4arch9wavefront6targetE0EEEvT1_.uses_flat_scratch, 0
	.set _ZN7rocprim17ROCPRIM_400000_NS6detail17trampoline_kernelINS0_14default_configENS1_27scan_by_key_config_selectorIxxEEZZNS1_16scan_by_key_implILNS1_25lookback_scan_determinismE0ELb0ES3_N6thrust23THRUST_200600_302600_NS6detail15normal_iteratorINS9_10device_ptrIxEEEENS9_18transform_iteratorINS9_6negateIxEESE_NS9_11use_defaultESI_EESE_xNS9_4plusIvEENS9_8equal_toIvEExEE10hipError_tPvRmT2_T3_T4_T5_mT6_T7_P12ihipStream_tbENKUlT_T0_E_clISt17integral_constantIbLb1EES14_EEDaSZ_S10_EUlSZ_E_NS1_11comp_targetILNS1_3genE3ELNS1_11target_archE908ELNS1_3gpuE7ELNS1_3repE0EEENS1_30default_config_static_selectorELNS0_4arch9wavefront6targetE0EEEvT1_.has_dyn_sized_stack, 0
	.set _ZN7rocprim17ROCPRIM_400000_NS6detail17trampoline_kernelINS0_14default_configENS1_27scan_by_key_config_selectorIxxEEZZNS1_16scan_by_key_implILNS1_25lookback_scan_determinismE0ELb0ES3_N6thrust23THRUST_200600_302600_NS6detail15normal_iteratorINS9_10device_ptrIxEEEENS9_18transform_iteratorINS9_6negateIxEESE_NS9_11use_defaultESI_EESE_xNS9_4plusIvEENS9_8equal_toIvEExEE10hipError_tPvRmT2_T3_T4_T5_mT6_T7_P12ihipStream_tbENKUlT_T0_E_clISt17integral_constantIbLb1EES14_EEDaSZ_S10_EUlSZ_E_NS1_11comp_targetILNS1_3genE3ELNS1_11target_archE908ELNS1_3gpuE7ELNS1_3repE0EEENS1_30default_config_static_selectorELNS0_4arch9wavefront6targetE0EEEvT1_.has_recursion, 0
	.set _ZN7rocprim17ROCPRIM_400000_NS6detail17trampoline_kernelINS0_14default_configENS1_27scan_by_key_config_selectorIxxEEZZNS1_16scan_by_key_implILNS1_25lookback_scan_determinismE0ELb0ES3_N6thrust23THRUST_200600_302600_NS6detail15normal_iteratorINS9_10device_ptrIxEEEENS9_18transform_iteratorINS9_6negateIxEESE_NS9_11use_defaultESI_EESE_xNS9_4plusIvEENS9_8equal_toIvEExEE10hipError_tPvRmT2_T3_T4_T5_mT6_T7_P12ihipStream_tbENKUlT_T0_E_clISt17integral_constantIbLb1EES14_EEDaSZ_S10_EUlSZ_E_NS1_11comp_targetILNS1_3genE3ELNS1_11target_archE908ELNS1_3gpuE7ELNS1_3repE0EEENS1_30default_config_static_selectorELNS0_4arch9wavefront6targetE0EEEvT1_.has_indirect_call, 0
	.section	.AMDGPU.csdata,"",@progbits
; Kernel info:
; codeLenInByte = 0
; TotalNumSgprs: 0
; NumVgprs: 0
; ScratchSize: 0
; MemoryBound: 0
; FloatMode: 240
; IeeeMode: 1
; LDSByteSize: 0 bytes/workgroup (compile time only)
; SGPRBlocks: 0
; VGPRBlocks: 0
; NumSGPRsForWavesPerEU: 1
; NumVGPRsForWavesPerEU: 1
; Occupancy: 16
; WaveLimiterHint : 0
; COMPUTE_PGM_RSRC2:SCRATCH_EN: 0
; COMPUTE_PGM_RSRC2:USER_SGPR: 6
; COMPUTE_PGM_RSRC2:TRAP_HANDLER: 0
; COMPUTE_PGM_RSRC2:TGID_X_EN: 1
; COMPUTE_PGM_RSRC2:TGID_Y_EN: 0
; COMPUTE_PGM_RSRC2:TGID_Z_EN: 0
; COMPUTE_PGM_RSRC2:TIDIG_COMP_CNT: 0
	.section	.text._ZN7rocprim17ROCPRIM_400000_NS6detail17trampoline_kernelINS0_14default_configENS1_27scan_by_key_config_selectorIxxEEZZNS1_16scan_by_key_implILNS1_25lookback_scan_determinismE0ELb0ES3_N6thrust23THRUST_200600_302600_NS6detail15normal_iteratorINS9_10device_ptrIxEEEENS9_18transform_iteratorINS9_6negateIxEESE_NS9_11use_defaultESI_EESE_xNS9_4plusIvEENS9_8equal_toIvEExEE10hipError_tPvRmT2_T3_T4_T5_mT6_T7_P12ihipStream_tbENKUlT_T0_E_clISt17integral_constantIbLb1EES14_EEDaSZ_S10_EUlSZ_E_NS1_11comp_targetILNS1_3genE2ELNS1_11target_archE906ELNS1_3gpuE6ELNS1_3repE0EEENS1_30default_config_static_selectorELNS0_4arch9wavefront6targetE0EEEvT1_,"axG",@progbits,_ZN7rocprim17ROCPRIM_400000_NS6detail17trampoline_kernelINS0_14default_configENS1_27scan_by_key_config_selectorIxxEEZZNS1_16scan_by_key_implILNS1_25lookback_scan_determinismE0ELb0ES3_N6thrust23THRUST_200600_302600_NS6detail15normal_iteratorINS9_10device_ptrIxEEEENS9_18transform_iteratorINS9_6negateIxEESE_NS9_11use_defaultESI_EESE_xNS9_4plusIvEENS9_8equal_toIvEExEE10hipError_tPvRmT2_T3_T4_T5_mT6_T7_P12ihipStream_tbENKUlT_T0_E_clISt17integral_constantIbLb1EES14_EEDaSZ_S10_EUlSZ_E_NS1_11comp_targetILNS1_3genE2ELNS1_11target_archE906ELNS1_3gpuE6ELNS1_3repE0EEENS1_30default_config_static_selectorELNS0_4arch9wavefront6targetE0EEEvT1_,comdat
	.protected	_ZN7rocprim17ROCPRIM_400000_NS6detail17trampoline_kernelINS0_14default_configENS1_27scan_by_key_config_selectorIxxEEZZNS1_16scan_by_key_implILNS1_25lookback_scan_determinismE0ELb0ES3_N6thrust23THRUST_200600_302600_NS6detail15normal_iteratorINS9_10device_ptrIxEEEENS9_18transform_iteratorINS9_6negateIxEESE_NS9_11use_defaultESI_EESE_xNS9_4plusIvEENS9_8equal_toIvEExEE10hipError_tPvRmT2_T3_T4_T5_mT6_T7_P12ihipStream_tbENKUlT_T0_E_clISt17integral_constantIbLb1EES14_EEDaSZ_S10_EUlSZ_E_NS1_11comp_targetILNS1_3genE2ELNS1_11target_archE906ELNS1_3gpuE6ELNS1_3repE0EEENS1_30default_config_static_selectorELNS0_4arch9wavefront6targetE0EEEvT1_ ; -- Begin function _ZN7rocprim17ROCPRIM_400000_NS6detail17trampoline_kernelINS0_14default_configENS1_27scan_by_key_config_selectorIxxEEZZNS1_16scan_by_key_implILNS1_25lookback_scan_determinismE0ELb0ES3_N6thrust23THRUST_200600_302600_NS6detail15normal_iteratorINS9_10device_ptrIxEEEENS9_18transform_iteratorINS9_6negateIxEESE_NS9_11use_defaultESI_EESE_xNS9_4plusIvEENS9_8equal_toIvEExEE10hipError_tPvRmT2_T3_T4_T5_mT6_T7_P12ihipStream_tbENKUlT_T0_E_clISt17integral_constantIbLb1EES14_EEDaSZ_S10_EUlSZ_E_NS1_11comp_targetILNS1_3genE2ELNS1_11target_archE906ELNS1_3gpuE6ELNS1_3repE0EEENS1_30default_config_static_selectorELNS0_4arch9wavefront6targetE0EEEvT1_
	.globl	_ZN7rocprim17ROCPRIM_400000_NS6detail17trampoline_kernelINS0_14default_configENS1_27scan_by_key_config_selectorIxxEEZZNS1_16scan_by_key_implILNS1_25lookback_scan_determinismE0ELb0ES3_N6thrust23THRUST_200600_302600_NS6detail15normal_iteratorINS9_10device_ptrIxEEEENS9_18transform_iteratorINS9_6negateIxEESE_NS9_11use_defaultESI_EESE_xNS9_4plusIvEENS9_8equal_toIvEExEE10hipError_tPvRmT2_T3_T4_T5_mT6_T7_P12ihipStream_tbENKUlT_T0_E_clISt17integral_constantIbLb1EES14_EEDaSZ_S10_EUlSZ_E_NS1_11comp_targetILNS1_3genE2ELNS1_11target_archE906ELNS1_3gpuE6ELNS1_3repE0EEENS1_30default_config_static_selectorELNS0_4arch9wavefront6targetE0EEEvT1_
	.p2align	8
	.type	_ZN7rocprim17ROCPRIM_400000_NS6detail17trampoline_kernelINS0_14default_configENS1_27scan_by_key_config_selectorIxxEEZZNS1_16scan_by_key_implILNS1_25lookback_scan_determinismE0ELb0ES3_N6thrust23THRUST_200600_302600_NS6detail15normal_iteratorINS9_10device_ptrIxEEEENS9_18transform_iteratorINS9_6negateIxEESE_NS9_11use_defaultESI_EESE_xNS9_4plusIvEENS9_8equal_toIvEExEE10hipError_tPvRmT2_T3_T4_T5_mT6_T7_P12ihipStream_tbENKUlT_T0_E_clISt17integral_constantIbLb1EES14_EEDaSZ_S10_EUlSZ_E_NS1_11comp_targetILNS1_3genE2ELNS1_11target_archE906ELNS1_3gpuE6ELNS1_3repE0EEENS1_30default_config_static_selectorELNS0_4arch9wavefront6targetE0EEEvT1_,@function
_ZN7rocprim17ROCPRIM_400000_NS6detail17trampoline_kernelINS0_14default_configENS1_27scan_by_key_config_selectorIxxEEZZNS1_16scan_by_key_implILNS1_25lookback_scan_determinismE0ELb0ES3_N6thrust23THRUST_200600_302600_NS6detail15normal_iteratorINS9_10device_ptrIxEEEENS9_18transform_iteratorINS9_6negateIxEESE_NS9_11use_defaultESI_EESE_xNS9_4plusIvEENS9_8equal_toIvEExEE10hipError_tPvRmT2_T3_T4_T5_mT6_T7_P12ihipStream_tbENKUlT_T0_E_clISt17integral_constantIbLb1EES14_EEDaSZ_S10_EUlSZ_E_NS1_11comp_targetILNS1_3genE2ELNS1_11target_archE906ELNS1_3gpuE6ELNS1_3repE0EEENS1_30default_config_static_selectorELNS0_4arch9wavefront6targetE0EEEvT1_: ; @_ZN7rocprim17ROCPRIM_400000_NS6detail17trampoline_kernelINS0_14default_configENS1_27scan_by_key_config_selectorIxxEEZZNS1_16scan_by_key_implILNS1_25lookback_scan_determinismE0ELb0ES3_N6thrust23THRUST_200600_302600_NS6detail15normal_iteratorINS9_10device_ptrIxEEEENS9_18transform_iteratorINS9_6negateIxEESE_NS9_11use_defaultESI_EESE_xNS9_4plusIvEENS9_8equal_toIvEExEE10hipError_tPvRmT2_T3_T4_T5_mT6_T7_P12ihipStream_tbENKUlT_T0_E_clISt17integral_constantIbLb1EES14_EEDaSZ_S10_EUlSZ_E_NS1_11comp_targetILNS1_3genE2ELNS1_11target_archE906ELNS1_3gpuE6ELNS1_3repE0EEENS1_30default_config_static_selectorELNS0_4arch9wavefront6targetE0EEEvT1_
; %bb.0:
	.section	.rodata,"a",@progbits
	.p2align	6, 0x0
	.amdhsa_kernel _ZN7rocprim17ROCPRIM_400000_NS6detail17trampoline_kernelINS0_14default_configENS1_27scan_by_key_config_selectorIxxEEZZNS1_16scan_by_key_implILNS1_25lookback_scan_determinismE0ELb0ES3_N6thrust23THRUST_200600_302600_NS6detail15normal_iteratorINS9_10device_ptrIxEEEENS9_18transform_iteratorINS9_6negateIxEESE_NS9_11use_defaultESI_EESE_xNS9_4plusIvEENS9_8equal_toIvEExEE10hipError_tPvRmT2_T3_T4_T5_mT6_T7_P12ihipStream_tbENKUlT_T0_E_clISt17integral_constantIbLb1EES14_EEDaSZ_S10_EUlSZ_E_NS1_11comp_targetILNS1_3genE2ELNS1_11target_archE906ELNS1_3gpuE6ELNS1_3repE0EEENS1_30default_config_static_selectorELNS0_4arch9wavefront6targetE0EEEvT1_
		.amdhsa_group_segment_fixed_size 0
		.amdhsa_private_segment_fixed_size 0
		.amdhsa_kernarg_size 144
		.amdhsa_user_sgpr_count 6
		.amdhsa_user_sgpr_private_segment_buffer 1
		.amdhsa_user_sgpr_dispatch_ptr 0
		.amdhsa_user_sgpr_queue_ptr 0
		.amdhsa_user_sgpr_kernarg_segment_ptr 1
		.amdhsa_user_sgpr_dispatch_id 0
		.amdhsa_user_sgpr_flat_scratch_init 0
		.amdhsa_user_sgpr_private_segment_size 0
		.amdhsa_wavefront_size32 1
		.amdhsa_uses_dynamic_stack 0
		.amdhsa_system_sgpr_private_segment_wavefront_offset 0
		.amdhsa_system_sgpr_workgroup_id_x 1
		.amdhsa_system_sgpr_workgroup_id_y 0
		.amdhsa_system_sgpr_workgroup_id_z 0
		.amdhsa_system_sgpr_workgroup_info 0
		.amdhsa_system_vgpr_workitem_id 0
		.amdhsa_next_free_vgpr 1
		.amdhsa_next_free_sgpr 1
		.amdhsa_reserve_vcc 0
		.amdhsa_reserve_flat_scratch 0
		.amdhsa_float_round_mode_32 0
		.amdhsa_float_round_mode_16_64 0
		.amdhsa_float_denorm_mode_32 3
		.amdhsa_float_denorm_mode_16_64 3
		.amdhsa_dx10_clamp 1
		.amdhsa_ieee_mode 1
		.amdhsa_fp16_overflow 0
		.amdhsa_workgroup_processor_mode 1
		.amdhsa_memory_ordered 1
		.amdhsa_forward_progress 1
		.amdhsa_shared_vgpr_count 0
		.amdhsa_exception_fp_ieee_invalid_op 0
		.amdhsa_exception_fp_denorm_src 0
		.amdhsa_exception_fp_ieee_div_zero 0
		.amdhsa_exception_fp_ieee_overflow 0
		.amdhsa_exception_fp_ieee_underflow 0
		.amdhsa_exception_fp_ieee_inexact 0
		.amdhsa_exception_int_div_zero 0
	.end_amdhsa_kernel
	.section	.text._ZN7rocprim17ROCPRIM_400000_NS6detail17trampoline_kernelINS0_14default_configENS1_27scan_by_key_config_selectorIxxEEZZNS1_16scan_by_key_implILNS1_25lookback_scan_determinismE0ELb0ES3_N6thrust23THRUST_200600_302600_NS6detail15normal_iteratorINS9_10device_ptrIxEEEENS9_18transform_iteratorINS9_6negateIxEESE_NS9_11use_defaultESI_EESE_xNS9_4plusIvEENS9_8equal_toIvEExEE10hipError_tPvRmT2_T3_T4_T5_mT6_T7_P12ihipStream_tbENKUlT_T0_E_clISt17integral_constantIbLb1EES14_EEDaSZ_S10_EUlSZ_E_NS1_11comp_targetILNS1_3genE2ELNS1_11target_archE906ELNS1_3gpuE6ELNS1_3repE0EEENS1_30default_config_static_selectorELNS0_4arch9wavefront6targetE0EEEvT1_,"axG",@progbits,_ZN7rocprim17ROCPRIM_400000_NS6detail17trampoline_kernelINS0_14default_configENS1_27scan_by_key_config_selectorIxxEEZZNS1_16scan_by_key_implILNS1_25lookback_scan_determinismE0ELb0ES3_N6thrust23THRUST_200600_302600_NS6detail15normal_iteratorINS9_10device_ptrIxEEEENS9_18transform_iteratorINS9_6negateIxEESE_NS9_11use_defaultESI_EESE_xNS9_4plusIvEENS9_8equal_toIvEExEE10hipError_tPvRmT2_T3_T4_T5_mT6_T7_P12ihipStream_tbENKUlT_T0_E_clISt17integral_constantIbLb1EES14_EEDaSZ_S10_EUlSZ_E_NS1_11comp_targetILNS1_3genE2ELNS1_11target_archE906ELNS1_3gpuE6ELNS1_3repE0EEENS1_30default_config_static_selectorELNS0_4arch9wavefront6targetE0EEEvT1_,comdat
.Lfunc_end907:
	.size	_ZN7rocprim17ROCPRIM_400000_NS6detail17trampoline_kernelINS0_14default_configENS1_27scan_by_key_config_selectorIxxEEZZNS1_16scan_by_key_implILNS1_25lookback_scan_determinismE0ELb0ES3_N6thrust23THRUST_200600_302600_NS6detail15normal_iteratorINS9_10device_ptrIxEEEENS9_18transform_iteratorINS9_6negateIxEESE_NS9_11use_defaultESI_EESE_xNS9_4plusIvEENS9_8equal_toIvEExEE10hipError_tPvRmT2_T3_T4_T5_mT6_T7_P12ihipStream_tbENKUlT_T0_E_clISt17integral_constantIbLb1EES14_EEDaSZ_S10_EUlSZ_E_NS1_11comp_targetILNS1_3genE2ELNS1_11target_archE906ELNS1_3gpuE6ELNS1_3repE0EEENS1_30default_config_static_selectorELNS0_4arch9wavefront6targetE0EEEvT1_, .Lfunc_end907-_ZN7rocprim17ROCPRIM_400000_NS6detail17trampoline_kernelINS0_14default_configENS1_27scan_by_key_config_selectorIxxEEZZNS1_16scan_by_key_implILNS1_25lookback_scan_determinismE0ELb0ES3_N6thrust23THRUST_200600_302600_NS6detail15normal_iteratorINS9_10device_ptrIxEEEENS9_18transform_iteratorINS9_6negateIxEESE_NS9_11use_defaultESI_EESE_xNS9_4plusIvEENS9_8equal_toIvEExEE10hipError_tPvRmT2_T3_T4_T5_mT6_T7_P12ihipStream_tbENKUlT_T0_E_clISt17integral_constantIbLb1EES14_EEDaSZ_S10_EUlSZ_E_NS1_11comp_targetILNS1_3genE2ELNS1_11target_archE906ELNS1_3gpuE6ELNS1_3repE0EEENS1_30default_config_static_selectorELNS0_4arch9wavefront6targetE0EEEvT1_
                                        ; -- End function
	.set _ZN7rocprim17ROCPRIM_400000_NS6detail17trampoline_kernelINS0_14default_configENS1_27scan_by_key_config_selectorIxxEEZZNS1_16scan_by_key_implILNS1_25lookback_scan_determinismE0ELb0ES3_N6thrust23THRUST_200600_302600_NS6detail15normal_iteratorINS9_10device_ptrIxEEEENS9_18transform_iteratorINS9_6negateIxEESE_NS9_11use_defaultESI_EESE_xNS9_4plusIvEENS9_8equal_toIvEExEE10hipError_tPvRmT2_T3_T4_T5_mT6_T7_P12ihipStream_tbENKUlT_T0_E_clISt17integral_constantIbLb1EES14_EEDaSZ_S10_EUlSZ_E_NS1_11comp_targetILNS1_3genE2ELNS1_11target_archE906ELNS1_3gpuE6ELNS1_3repE0EEENS1_30default_config_static_selectorELNS0_4arch9wavefront6targetE0EEEvT1_.num_vgpr, 0
	.set _ZN7rocprim17ROCPRIM_400000_NS6detail17trampoline_kernelINS0_14default_configENS1_27scan_by_key_config_selectorIxxEEZZNS1_16scan_by_key_implILNS1_25lookback_scan_determinismE0ELb0ES3_N6thrust23THRUST_200600_302600_NS6detail15normal_iteratorINS9_10device_ptrIxEEEENS9_18transform_iteratorINS9_6negateIxEESE_NS9_11use_defaultESI_EESE_xNS9_4plusIvEENS9_8equal_toIvEExEE10hipError_tPvRmT2_T3_T4_T5_mT6_T7_P12ihipStream_tbENKUlT_T0_E_clISt17integral_constantIbLb1EES14_EEDaSZ_S10_EUlSZ_E_NS1_11comp_targetILNS1_3genE2ELNS1_11target_archE906ELNS1_3gpuE6ELNS1_3repE0EEENS1_30default_config_static_selectorELNS0_4arch9wavefront6targetE0EEEvT1_.num_agpr, 0
	.set _ZN7rocprim17ROCPRIM_400000_NS6detail17trampoline_kernelINS0_14default_configENS1_27scan_by_key_config_selectorIxxEEZZNS1_16scan_by_key_implILNS1_25lookback_scan_determinismE0ELb0ES3_N6thrust23THRUST_200600_302600_NS6detail15normal_iteratorINS9_10device_ptrIxEEEENS9_18transform_iteratorINS9_6negateIxEESE_NS9_11use_defaultESI_EESE_xNS9_4plusIvEENS9_8equal_toIvEExEE10hipError_tPvRmT2_T3_T4_T5_mT6_T7_P12ihipStream_tbENKUlT_T0_E_clISt17integral_constantIbLb1EES14_EEDaSZ_S10_EUlSZ_E_NS1_11comp_targetILNS1_3genE2ELNS1_11target_archE906ELNS1_3gpuE6ELNS1_3repE0EEENS1_30default_config_static_selectorELNS0_4arch9wavefront6targetE0EEEvT1_.numbered_sgpr, 0
	.set _ZN7rocprim17ROCPRIM_400000_NS6detail17trampoline_kernelINS0_14default_configENS1_27scan_by_key_config_selectorIxxEEZZNS1_16scan_by_key_implILNS1_25lookback_scan_determinismE0ELb0ES3_N6thrust23THRUST_200600_302600_NS6detail15normal_iteratorINS9_10device_ptrIxEEEENS9_18transform_iteratorINS9_6negateIxEESE_NS9_11use_defaultESI_EESE_xNS9_4plusIvEENS9_8equal_toIvEExEE10hipError_tPvRmT2_T3_T4_T5_mT6_T7_P12ihipStream_tbENKUlT_T0_E_clISt17integral_constantIbLb1EES14_EEDaSZ_S10_EUlSZ_E_NS1_11comp_targetILNS1_3genE2ELNS1_11target_archE906ELNS1_3gpuE6ELNS1_3repE0EEENS1_30default_config_static_selectorELNS0_4arch9wavefront6targetE0EEEvT1_.num_named_barrier, 0
	.set _ZN7rocprim17ROCPRIM_400000_NS6detail17trampoline_kernelINS0_14default_configENS1_27scan_by_key_config_selectorIxxEEZZNS1_16scan_by_key_implILNS1_25lookback_scan_determinismE0ELb0ES3_N6thrust23THRUST_200600_302600_NS6detail15normal_iteratorINS9_10device_ptrIxEEEENS9_18transform_iteratorINS9_6negateIxEESE_NS9_11use_defaultESI_EESE_xNS9_4plusIvEENS9_8equal_toIvEExEE10hipError_tPvRmT2_T3_T4_T5_mT6_T7_P12ihipStream_tbENKUlT_T0_E_clISt17integral_constantIbLb1EES14_EEDaSZ_S10_EUlSZ_E_NS1_11comp_targetILNS1_3genE2ELNS1_11target_archE906ELNS1_3gpuE6ELNS1_3repE0EEENS1_30default_config_static_selectorELNS0_4arch9wavefront6targetE0EEEvT1_.private_seg_size, 0
	.set _ZN7rocprim17ROCPRIM_400000_NS6detail17trampoline_kernelINS0_14default_configENS1_27scan_by_key_config_selectorIxxEEZZNS1_16scan_by_key_implILNS1_25lookback_scan_determinismE0ELb0ES3_N6thrust23THRUST_200600_302600_NS6detail15normal_iteratorINS9_10device_ptrIxEEEENS9_18transform_iteratorINS9_6negateIxEESE_NS9_11use_defaultESI_EESE_xNS9_4plusIvEENS9_8equal_toIvEExEE10hipError_tPvRmT2_T3_T4_T5_mT6_T7_P12ihipStream_tbENKUlT_T0_E_clISt17integral_constantIbLb1EES14_EEDaSZ_S10_EUlSZ_E_NS1_11comp_targetILNS1_3genE2ELNS1_11target_archE906ELNS1_3gpuE6ELNS1_3repE0EEENS1_30default_config_static_selectorELNS0_4arch9wavefront6targetE0EEEvT1_.uses_vcc, 0
	.set _ZN7rocprim17ROCPRIM_400000_NS6detail17trampoline_kernelINS0_14default_configENS1_27scan_by_key_config_selectorIxxEEZZNS1_16scan_by_key_implILNS1_25lookback_scan_determinismE0ELb0ES3_N6thrust23THRUST_200600_302600_NS6detail15normal_iteratorINS9_10device_ptrIxEEEENS9_18transform_iteratorINS9_6negateIxEESE_NS9_11use_defaultESI_EESE_xNS9_4plusIvEENS9_8equal_toIvEExEE10hipError_tPvRmT2_T3_T4_T5_mT6_T7_P12ihipStream_tbENKUlT_T0_E_clISt17integral_constantIbLb1EES14_EEDaSZ_S10_EUlSZ_E_NS1_11comp_targetILNS1_3genE2ELNS1_11target_archE906ELNS1_3gpuE6ELNS1_3repE0EEENS1_30default_config_static_selectorELNS0_4arch9wavefront6targetE0EEEvT1_.uses_flat_scratch, 0
	.set _ZN7rocprim17ROCPRIM_400000_NS6detail17trampoline_kernelINS0_14default_configENS1_27scan_by_key_config_selectorIxxEEZZNS1_16scan_by_key_implILNS1_25lookback_scan_determinismE0ELb0ES3_N6thrust23THRUST_200600_302600_NS6detail15normal_iteratorINS9_10device_ptrIxEEEENS9_18transform_iteratorINS9_6negateIxEESE_NS9_11use_defaultESI_EESE_xNS9_4plusIvEENS9_8equal_toIvEExEE10hipError_tPvRmT2_T3_T4_T5_mT6_T7_P12ihipStream_tbENKUlT_T0_E_clISt17integral_constantIbLb1EES14_EEDaSZ_S10_EUlSZ_E_NS1_11comp_targetILNS1_3genE2ELNS1_11target_archE906ELNS1_3gpuE6ELNS1_3repE0EEENS1_30default_config_static_selectorELNS0_4arch9wavefront6targetE0EEEvT1_.has_dyn_sized_stack, 0
	.set _ZN7rocprim17ROCPRIM_400000_NS6detail17trampoline_kernelINS0_14default_configENS1_27scan_by_key_config_selectorIxxEEZZNS1_16scan_by_key_implILNS1_25lookback_scan_determinismE0ELb0ES3_N6thrust23THRUST_200600_302600_NS6detail15normal_iteratorINS9_10device_ptrIxEEEENS9_18transform_iteratorINS9_6negateIxEESE_NS9_11use_defaultESI_EESE_xNS9_4plusIvEENS9_8equal_toIvEExEE10hipError_tPvRmT2_T3_T4_T5_mT6_T7_P12ihipStream_tbENKUlT_T0_E_clISt17integral_constantIbLb1EES14_EEDaSZ_S10_EUlSZ_E_NS1_11comp_targetILNS1_3genE2ELNS1_11target_archE906ELNS1_3gpuE6ELNS1_3repE0EEENS1_30default_config_static_selectorELNS0_4arch9wavefront6targetE0EEEvT1_.has_recursion, 0
	.set _ZN7rocprim17ROCPRIM_400000_NS6detail17trampoline_kernelINS0_14default_configENS1_27scan_by_key_config_selectorIxxEEZZNS1_16scan_by_key_implILNS1_25lookback_scan_determinismE0ELb0ES3_N6thrust23THRUST_200600_302600_NS6detail15normal_iteratorINS9_10device_ptrIxEEEENS9_18transform_iteratorINS9_6negateIxEESE_NS9_11use_defaultESI_EESE_xNS9_4plusIvEENS9_8equal_toIvEExEE10hipError_tPvRmT2_T3_T4_T5_mT6_T7_P12ihipStream_tbENKUlT_T0_E_clISt17integral_constantIbLb1EES14_EEDaSZ_S10_EUlSZ_E_NS1_11comp_targetILNS1_3genE2ELNS1_11target_archE906ELNS1_3gpuE6ELNS1_3repE0EEENS1_30default_config_static_selectorELNS0_4arch9wavefront6targetE0EEEvT1_.has_indirect_call, 0
	.section	.AMDGPU.csdata,"",@progbits
; Kernel info:
; codeLenInByte = 0
; TotalNumSgprs: 0
; NumVgprs: 0
; ScratchSize: 0
; MemoryBound: 0
; FloatMode: 240
; IeeeMode: 1
; LDSByteSize: 0 bytes/workgroup (compile time only)
; SGPRBlocks: 0
; VGPRBlocks: 0
; NumSGPRsForWavesPerEU: 1
; NumVGPRsForWavesPerEU: 1
; Occupancy: 16
; WaveLimiterHint : 0
; COMPUTE_PGM_RSRC2:SCRATCH_EN: 0
; COMPUTE_PGM_RSRC2:USER_SGPR: 6
; COMPUTE_PGM_RSRC2:TRAP_HANDLER: 0
; COMPUTE_PGM_RSRC2:TGID_X_EN: 1
; COMPUTE_PGM_RSRC2:TGID_Y_EN: 0
; COMPUTE_PGM_RSRC2:TGID_Z_EN: 0
; COMPUTE_PGM_RSRC2:TIDIG_COMP_CNT: 0
	.section	.text._ZN7rocprim17ROCPRIM_400000_NS6detail17trampoline_kernelINS0_14default_configENS1_27scan_by_key_config_selectorIxxEEZZNS1_16scan_by_key_implILNS1_25lookback_scan_determinismE0ELb0ES3_N6thrust23THRUST_200600_302600_NS6detail15normal_iteratorINS9_10device_ptrIxEEEENS9_18transform_iteratorINS9_6negateIxEESE_NS9_11use_defaultESI_EESE_xNS9_4plusIvEENS9_8equal_toIvEExEE10hipError_tPvRmT2_T3_T4_T5_mT6_T7_P12ihipStream_tbENKUlT_T0_E_clISt17integral_constantIbLb1EES14_EEDaSZ_S10_EUlSZ_E_NS1_11comp_targetILNS1_3genE10ELNS1_11target_archE1200ELNS1_3gpuE4ELNS1_3repE0EEENS1_30default_config_static_selectorELNS0_4arch9wavefront6targetE0EEEvT1_,"axG",@progbits,_ZN7rocprim17ROCPRIM_400000_NS6detail17trampoline_kernelINS0_14default_configENS1_27scan_by_key_config_selectorIxxEEZZNS1_16scan_by_key_implILNS1_25lookback_scan_determinismE0ELb0ES3_N6thrust23THRUST_200600_302600_NS6detail15normal_iteratorINS9_10device_ptrIxEEEENS9_18transform_iteratorINS9_6negateIxEESE_NS9_11use_defaultESI_EESE_xNS9_4plusIvEENS9_8equal_toIvEExEE10hipError_tPvRmT2_T3_T4_T5_mT6_T7_P12ihipStream_tbENKUlT_T0_E_clISt17integral_constantIbLb1EES14_EEDaSZ_S10_EUlSZ_E_NS1_11comp_targetILNS1_3genE10ELNS1_11target_archE1200ELNS1_3gpuE4ELNS1_3repE0EEENS1_30default_config_static_selectorELNS0_4arch9wavefront6targetE0EEEvT1_,comdat
	.protected	_ZN7rocprim17ROCPRIM_400000_NS6detail17trampoline_kernelINS0_14default_configENS1_27scan_by_key_config_selectorIxxEEZZNS1_16scan_by_key_implILNS1_25lookback_scan_determinismE0ELb0ES3_N6thrust23THRUST_200600_302600_NS6detail15normal_iteratorINS9_10device_ptrIxEEEENS9_18transform_iteratorINS9_6negateIxEESE_NS9_11use_defaultESI_EESE_xNS9_4plusIvEENS9_8equal_toIvEExEE10hipError_tPvRmT2_T3_T4_T5_mT6_T7_P12ihipStream_tbENKUlT_T0_E_clISt17integral_constantIbLb1EES14_EEDaSZ_S10_EUlSZ_E_NS1_11comp_targetILNS1_3genE10ELNS1_11target_archE1200ELNS1_3gpuE4ELNS1_3repE0EEENS1_30default_config_static_selectorELNS0_4arch9wavefront6targetE0EEEvT1_ ; -- Begin function _ZN7rocprim17ROCPRIM_400000_NS6detail17trampoline_kernelINS0_14default_configENS1_27scan_by_key_config_selectorIxxEEZZNS1_16scan_by_key_implILNS1_25lookback_scan_determinismE0ELb0ES3_N6thrust23THRUST_200600_302600_NS6detail15normal_iteratorINS9_10device_ptrIxEEEENS9_18transform_iteratorINS9_6negateIxEESE_NS9_11use_defaultESI_EESE_xNS9_4plusIvEENS9_8equal_toIvEExEE10hipError_tPvRmT2_T3_T4_T5_mT6_T7_P12ihipStream_tbENKUlT_T0_E_clISt17integral_constantIbLb1EES14_EEDaSZ_S10_EUlSZ_E_NS1_11comp_targetILNS1_3genE10ELNS1_11target_archE1200ELNS1_3gpuE4ELNS1_3repE0EEENS1_30default_config_static_selectorELNS0_4arch9wavefront6targetE0EEEvT1_
	.globl	_ZN7rocprim17ROCPRIM_400000_NS6detail17trampoline_kernelINS0_14default_configENS1_27scan_by_key_config_selectorIxxEEZZNS1_16scan_by_key_implILNS1_25lookback_scan_determinismE0ELb0ES3_N6thrust23THRUST_200600_302600_NS6detail15normal_iteratorINS9_10device_ptrIxEEEENS9_18transform_iteratorINS9_6negateIxEESE_NS9_11use_defaultESI_EESE_xNS9_4plusIvEENS9_8equal_toIvEExEE10hipError_tPvRmT2_T3_T4_T5_mT6_T7_P12ihipStream_tbENKUlT_T0_E_clISt17integral_constantIbLb1EES14_EEDaSZ_S10_EUlSZ_E_NS1_11comp_targetILNS1_3genE10ELNS1_11target_archE1200ELNS1_3gpuE4ELNS1_3repE0EEENS1_30default_config_static_selectorELNS0_4arch9wavefront6targetE0EEEvT1_
	.p2align	8
	.type	_ZN7rocprim17ROCPRIM_400000_NS6detail17trampoline_kernelINS0_14default_configENS1_27scan_by_key_config_selectorIxxEEZZNS1_16scan_by_key_implILNS1_25lookback_scan_determinismE0ELb0ES3_N6thrust23THRUST_200600_302600_NS6detail15normal_iteratorINS9_10device_ptrIxEEEENS9_18transform_iteratorINS9_6negateIxEESE_NS9_11use_defaultESI_EESE_xNS9_4plusIvEENS9_8equal_toIvEExEE10hipError_tPvRmT2_T3_T4_T5_mT6_T7_P12ihipStream_tbENKUlT_T0_E_clISt17integral_constantIbLb1EES14_EEDaSZ_S10_EUlSZ_E_NS1_11comp_targetILNS1_3genE10ELNS1_11target_archE1200ELNS1_3gpuE4ELNS1_3repE0EEENS1_30default_config_static_selectorELNS0_4arch9wavefront6targetE0EEEvT1_,@function
_ZN7rocprim17ROCPRIM_400000_NS6detail17trampoline_kernelINS0_14default_configENS1_27scan_by_key_config_selectorIxxEEZZNS1_16scan_by_key_implILNS1_25lookback_scan_determinismE0ELb0ES3_N6thrust23THRUST_200600_302600_NS6detail15normal_iteratorINS9_10device_ptrIxEEEENS9_18transform_iteratorINS9_6negateIxEESE_NS9_11use_defaultESI_EESE_xNS9_4plusIvEENS9_8equal_toIvEExEE10hipError_tPvRmT2_T3_T4_T5_mT6_T7_P12ihipStream_tbENKUlT_T0_E_clISt17integral_constantIbLb1EES14_EEDaSZ_S10_EUlSZ_E_NS1_11comp_targetILNS1_3genE10ELNS1_11target_archE1200ELNS1_3gpuE4ELNS1_3repE0EEENS1_30default_config_static_selectorELNS0_4arch9wavefront6targetE0EEEvT1_: ; @_ZN7rocprim17ROCPRIM_400000_NS6detail17trampoline_kernelINS0_14default_configENS1_27scan_by_key_config_selectorIxxEEZZNS1_16scan_by_key_implILNS1_25lookback_scan_determinismE0ELb0ES3_N6thrust23THRUST_200600_302600_NS6detail15normal_iteratorINS9_10device_ptrIxEEEENS9_18transform_iteratorINS9_6negateIxEESE_NS9_11use_defaultESI_EESE_xNS9_4plusIvEENS9_8equal_toIvEExEE10hipError_tPvRmT2_T3_T4_T5_mT6_T7_P12ihipStream_tbENKUlT_T0_E_clISt17integral_constantIbLb1EES14_EEDaSZ_S10_EUlSZ_E_NS1_11comp_targetILNS1_3genE10ELNS1_11target_archE1200ELNS1_3gpuE4ELNS1_3repE0EEENS1_30default_config_static_selectorELNS0_4arch9wavefront6targetE0EEEvT1_
; %bb.0:
	.section	.rodata,"a",@progbits
	.p2align	6, 0x0
	.amdhsa_kernel _ZN7rocprim17ROCPRIM_400000_NS6detail17trampoline_kernelINS0_14default_configENS1_27scan_by_key_config_selectorIxxEEZZNS1_16scan_by_key_implILNS1_25lookback_scan_determinismE0ELb0ES3_N6thrust23THRUST_200600_302600_NS6detail15normal_iteratorINS9_10device_ptrIxEEEENS9_18transform_iteratorINS9_6negateIxEESE_NS9_11use_defaultESI_EESE_xNS9_4plusIvEENS9_8equal_toIvEExEE10hipError_tPvRmT2_T3_T4_T5_mT6_T7_P12ihipStream_tbENKUlT_T0_E_clISt17integral_constantIbLb1EES14_EEDaSZ_S10_EUlSZ_E_NS1_11comp_targetILNS1_3genE10ELNS1_11target_archE1200ELNS1_3gpuE4ELNS1_3repE0EEENS1_30default_config_static_selectorELNS0_4arch9wavefront6targetE0EEEvT1_
		.amdhsa_group_segment_fixed_size 0
		.amdhsa_private_segment_fixed_size 0
		.amdhsa_kernarg_size 144
		.amdhsa_user_sgpr_count 6
		.amdhsa_user_sgpr_private_segment_buffer 1
		.amdhsa_user_sgpr_dispatch_ptr 0
		.amdhsa_user_sgpr_queue_ptr 0
		.amdhsa_user_sgpr_kernarg_segment_ptr 1
		.amdhsa_user_sgpr_dispatch_id 0
		.amdhsa_user_sgpr_flat_scratch_init 0
		.amdhsa_user_sgpr_private_segment_size 0
		.amdhsa_wavefront_size32 1
		.amdhsa_uses_dynamic_stack 0
		.amdhsa_system_sgpr_private_segment_wavefront_offset 0
		.amdhsa_system_sgpr_workgroup_id_x 1
		.amdhsa_system_sgpr_workgroup_id_y 0
		.amdhsa_system_sgpr_workgroup_id_z 0
		.amdhsa_system_sgpr_workgroup_info 0
		.amdhsa_system_vgpr_workitem_id 0
		.amdhsa_next_free_vgpr 1
		.amdhsa_next_free_sgpr 1
		.amdhsa_reserve_vcc 0
		.amdhsa_reserve_flat_scratch 0
		.amdhsa_float_round_mode_32 0
		.amdhsa_float_round_mode_16_64 0
		.amdhsa_float_denorm_mode_32 3
		.amdhsa_float_denorm_mode_16_64 3
		.amdhsa_dx10_clamp 1
		.amdhsa_ieee_mode 1
		.amdhsa_fp16_overflow 0
		.amdhsa_workgroup_processor_mode 1
		.amdhsa_memory_ordered 1
		.amdhsa_forward_progress 1
		.amdhsa_shared_vgpr_count 0
		.amdhsa_exception_fp_ieee_invalid_op 0
		.amdhsa_exception_fp_denorm_src 0
		.amdhsa_exception_fp_ieee_div_zero 0
		.amdhsa_exception_fp_ieee_overflow 0
		.amdhsa_exception_fp_ieee_underflow 0
		.amdhsa_exception_fp_ieee_inexact 0
		.amdhsa_exception_int_div_zero 0
	.end_amdhsa_kernel
	.section	.text._ZN7rocprim17ROCPRIM_400000_NS6detail17trampoline_kernelINS0_14default_configENS1_27scan_by_key_config_selectorIxxEEZZNS1_16scan_by_key_implILNS1_25lookback_scan_determinismE0ELb0ES3_N6thrust23THRUST_200600_302600_NS6detail15normal_iteratorINS9_10device_ptrIxEEEENS9_18transform_iteratorINS9_6negateIxEESE_NS9_11use_defaultESI_EESE_xNS9_4plusIvEENS9_8equal_toIvEExEE10hipError_tPvRmT2_T3_T4_T5_mT6_T7_P12ihipStream_tbENKUlT_T0_E_clISt17integral_constantIbLb1EES14_EEDaSZ_S10_EUlSZ_E_NS1_11comp_targetILNS1_3genE10ELNS1_11target_archE1200ELNS1_3gpuE4ELNS1_3repE0EEENS1_30default_config_static_selectorELNS0_4arch9wavefront6targetE0EEEvT1_,"axG",@progbits,_ZN7rocprim17ROCPRIM_400000_NS6detail17trampoline_kernelINS0_14default_configENS1_27scan_by_key_config_selectorIxxEEZZNS1_16scan_by_key_implILNS1_25lookback_scan_determinismE0ELb0ES3_N6thrust23THRUST_200600_302600_NS6detail15normal_iteratorINS9_10device_ptrIxEEEENS9_18transform_iteratorINS9_6negateIxEESE_NS9_11use_defaultESI_EESE_xNS9_4plusIvEENS9_8equal_toIvEExEE10hipError_tPvRmT2_T3_T4_T5_mT6_T7_P12ihipStream_tbENKUlT_T0_E_clISt17integral_constantIbLb1EES14_EEDaSZ_S10_EUlSZ_E_NS1_11comp_targetILNS1_3genE10ELNS1_11target_archE1200ELNS1_3gpuE4ELNS1_3repE0EEENS1_30default_config_static_selectorELNS0_4arch9wavefront6targetE0EEEvT1_,comdat
.Lfunc_end908:
	.size	_ZN7rocprim17ROCPRIM_400000_NS6detail17trampoline_kernelINS0_14default_configENS1_27scan_by_key_config_selectorIxxEEZZNS1_16scan_by_key_implILNS1_25lookback_scan_determinismE0ELb0ES3_N6thrust23THRUST_200600_302600_NS6detail15normal_iteratorINS9_10device_ptrIxEEEENS9_18transform_iteratorINS9_6negateIxEESE_NS9_11use_defaultESI_EESE_xNS9_4plusIvEENS9_8equal_toIvEExEE10hipError_tPvRmT2_T3_T4_T5_mT6_T7_P12ihipStream_tbENKUlT_T0_E_clISt17integral_constantIbLb1EES14_EEDaSZ_S10_EUlSZ_E_NS1_11comp_targetILNS1_3genE10ELNS1_11target_archE1200ELNS1_3gpuE4ELNS1_3repE0EEENS1_30default_config_static_selectorELNS0_4arch9wavefront6targetE0EEEvT1_, .Lfunc_end908-_ZN7rocprim17ROCPRIM_400000_NS6detail17trampoline_kernelINS0_14default_configENS1_27scan_by_key_config_selectorIxxEEZZNS1_16scan_by_key_implILNS1_25lookback_scan_determinismE0ELb0ES3_N6thrust23THRUST_200600_302600_NS6detail15normal_iteratorINS9_10device_ptrIxEEEENS9_18transform_iteratorINS9_6negateIxEESE_NS9_11use_defaultESI_EESE_xNS9_4plusIvEENS9_8equal_toIvEExEE10hipError_tPvRmT2_T3_T4_T5_mT6_T7_P12ihipStream_tbENKUlT_T0_E_clISt17integral_constantIbLb1EES14_EEDaSZ_S10_EUlSZ_E_NS1_11comp_targetILNS1_3genE10ELNS1_11target_archE1200ELNS1_3gpuE4ELNS1_3repE0EEENS1_30default_config_static_selectorELNS0_4arch9wavefront6targetE0EEEvT1_
                                        ; -- End function
	.set _ZN7rocprim17ROCPRIM_400000_NS6detail17trampoline_kernelINS0_14default_configENS1_27scan_by_key_config_selectorIxxEEZZNS1_16scan_by_key_implILNS1_25lookback_scan_determinismE0ELb0ES3_N6thrust23THRUST_200600_302600_NS6detail15normal_iteratorINS9_10device_ptrIxEEEENS9_18transform_iteratorINS9_6negateIxEESE_NS9_11use_defaultESI_EESE_xNS9_4plusIvEENS9_8equal_toIvEExEE10hipError_tPvRmT2_T3_T4_T5_mT6_T7_P12ihipStream_tbENKUlT_T0_E_clISt17integral_constantIbLb1EES14_EEDaSZ_S10_EUlSZ_E_NS1_11comp_targetILNS1_3genE10ELNS1_11target_archE1200ELNS1_3gpuE4ELNS1_3repE0EEENS1_30default_config_static_selectorELNS0_4arch9wavefront6targetE0EEEvT1_.num_vgpr, 0
	.set _ZN7rocprim17ROCPRIM_400000_NS6detail17trampoline_kernelINS0_14default_configENS1_27scan_by_key_config_selectorIxxEEZZNS1_16scan_by_key_implILNS1_25lookback_scan_determinismE0ELb0ES3_N6thrust23THRUST_200600_302600_NS6detail15normal_iteratorINS9_10device_ptrIxEEEENS9_18transform_iteratorINS9_6negateIxEESE_NS9_11use_defaultESI_EESE_xNS9_4plusIvEENS9_8equal_toIvEExEE10hipError_tPvRmT2_T3_T4_T5_mT6_T7_P12ihipStream_tbENKUlT_T0_E_clISt17integral_constantIbLb1EES14_EEDaSZ_S10_EUlSZ_E_NS1_11comp_targetILNS1_3genE10ELNS1_11target_archE1200ELNS1_3gpuE4ELNS1_3repE0EEENS1_30default_config_static_selectorELNS0_4arch9wavefront6targetE0EEEvT1_.num_agpr, 0
	.set _ZN7rocprim17ROCPRIM_400000_NS6detail17trampoline_kernelINS0_14default_configENS1_27scan_by_key_config_selectorIxxEEZZNS1_16scan_by_key_implILNS1_25lookback_scan_determinismE0ELb0ES3_N6thrust23THRUST_200600_302600_NS6detail15normal_iteratorINS9_10device_ptrIxEEEENS9_18transform_iteratorINS9_6negateIxEESE_NS9_11use_defaultESI_EESE_xNS9_4plusIvEENS9_8equal_toIvEExEE10hipError_tPvRmT2_T3_T4_T5_mT6_T7_P12ihipStream_tbENKUlT_T0_E_clISt17integral_constantIbLb1EES14_EEDaSZ_S10_EUlSZ_E_NS1_11comp_targetILNS1_3genE10ELNS1_11target_archE1200ELNS1_3gpuE4ELNS1_3repE0EEENS1_30default_config_static_selectorELNS0_4arch9wavefront6targetE0EEEvT1_.numbered_sgpr, 0
	.set _ZN7rocprim17ROCPRIM_400000_NS6detail17trampoline_kernelINS0_14default_configENS1_27scan_by_key_config_selectorIxxEEZZNS1_16scan_by_key_implILNS1_25lookback_scan_determinismE0ELb0ES3_N6thrust23THRUST_200600_302600_NS6detail15normal_iteratorINS9_10device_ptrIxEEEENS9_18transform_iteratorINS9_6negateIxEESE_NS9_11use_defaultESI_EESE_xNS9_4plusIvEENS9_8equal_toIvEExEE10hipError_tPvRmT2_T3_T4_T5_mT6_T7_P12ihipStream_tbENKUlT_T0_E_clISt17integral_constantIbLb1EES14_EEDaSZ_S10_EUlSZ_E_NS1_11comp_targetILNS1_3genE10ELNS1_11target_archE1200ELNS1_3gpuE4ELNS1_3repE0EEENS1_30default_config_static_selectorELNS0_4arch9wavefront6targetE0EEEvT1_.num_named_barrier, 0
	.set _ZN7rocprim17ROCPRIM_400000_NS6detail17trampoline_kernelINS0_14default_configENS1_27scan_by_key_config_selectorIxxEEZZNS1_16scan_by_key_implILNS1_25lookback_scan_determinismE0ELb0ES3_N6thrust23THRUST_200600_302600_NS6detail15normal_iteratorINS9_10device_ptrIxEEEENS9_18transform_iteratorINS9_6negateIxEESE_NS9_11use_defaultESI_EESE_xNS9_4plusIvEENS9_8equal_toIvEExEE10hipError_tPvRmT2_T3_T4_T5_mT6_T7_P12ihipStream_tbENKUlT_T0_E_clISt17integral_constantIbLb1EES14_EEDaSZ_S10_EUlSZ_E_NS1_11comp_targetILNS1_3genE10ELNS1_11target_archE1200ELNS1_3gpuE4ELNS1_3repE0EEENS1_30default_config_static_selectorELNS0_4arch9wavefront6targetE0EEEvT1_.private_seg_size, 0
	.set _ZN7rocprim17ROCPRIM_400000_NS6detail17trampoline_kernelINS0_14default_configENS1_27scan_by_key_config_selectorIxxEEZZNS1_16scan_by_key_implILNS1_25lookback_scan_determinismE0ELb0ES3_N6thrust23THRUST_200600_302600_NS6detail15normal_iteratorINS9_10device_ptrIxEEEENS9_18transform_iteratorINS9_6negateIxEESE_NS9_11use_defaultESI_EESE_xNS9_4plusIvEENS9_8equal_toIvEExEE10hipError_tPvRmT2_T3_T4_T5_mT6_T7_P12ihipStream_tbENKUlT_T0_E_clISt17integral_constantIbLb1EES14_EEDaSZ_S10_EUlSZ_E_NS1_11comp_targetILNS1_3genE10ELNS1_11target_archE1200ELNS1_3gpuE4ELNS1_3repE0EEENS1_30default_config_static_selectorELNS0_4arch9wavefront6targetE0EEEvT1_.uses_vcc, 0
	.set _ZN7rocprim17ROCPRIM_400000_NS6detail17trampoline_kernelINS0_14default_configENS1_27scan_by_key_config_selectorIxxEEZZNS1_16scan_by_key_implILNS1_25lookback_scan_determinismE0ELb0ES3_N6thrust23THRUST_200600_302600_NS6detail15normal_iteratorINS9_10device_ptrIxEEEENS9_18transform_iteratorINS9_6negateIxEESE_NS9_11use_defaultESI_EESE_xNS9_4plusIvEENS9_8equal_toIvEExEE10hipError_tPvRmT2_T3_T4_T5_mT6_T7_P12ihipStream_tbENKUlT_T0_E_clISt17integral_constantIbLb1EES14_EEDaSZ_S10_EUlSZ_E_NS1_11comp_targetILNS1_3genE10ELNS1_11target_archE1200ELNS1_3gpuE4ELNS1_3repE0EEENS1_30default_config_static_selectorELNS0_4arch9wavefront6targetE0EEEvT1_.uses_flat_scratch, 0
	.set _ZN7rocprim17ROCPRIM_400000_NS6detail17trampoline_kernelINS0_14default_configENS1_27scan_by_key_config_selectorIxxEEZZNS1_16scan_by_key_implILNS1_25lookback_scan_determinismE0ELb0ES3_N6thrust23THRUST_200600_302600_NS6detail15normal_iteratorINS9_10device_ptrIxEEEENS9_18transform_iteratorINS9_6negateIxEESE_NS9_11use_defaultESI_EESE_xNS9_4plusIvEENS9_8equal_toIvEExEE10hipError_tPvRmT2_T3_T4_T5_mT6_T7_P12ihipStream_tbENKUlT_T0_E_clISt17integral_constantIbLb1EES14_EEDaSZ_S10_EUlSZ_E_NS1_11comp_targetILNS1_3genE10ELNS1_11target_archE1200ELNS1_3gpuE4ELNS1_3repE0EEENS1_30default_config_static_selectorELNS0_4arch9wavefront6targetE0EEEvT1_.has_dyn_sized_stack, 0
	.set _ZN7rocprim17ROCPRIM_400000_NS6detail17trampoline_kernelINS0_14default_configENS1_27scan_by_key_config_selectorIxxEEZZNS1_16scan_by_key_implILNS1_25lookback_scan_determinismE0ELb0ES3_N6thrust23THRUST_200600_302600_NS6detail15normal_iteratorINS9_10device_ptrIxEEEENS9_18transform_iteratorINS9_6negateIxEESE_NS9_11use_defaultESI_EESE_xNS9_4plusIvEENS9_8equal_toIvEExEE10hipError_tPvRmT2_T3_T4_T5_mT6_T7_P12ihipStream_tbENKUlT_T0_E_clISt17integral_constantIbLb1EES14_EEDaSZ_S10_EUlSZ_E_NS1_11comp_targetILNS1_3genE10ELNS1_11target_archE1200ELNS1_3gpuE4ELNS1_3repE0EEENS1_30default_config_static_selectorELNS0_4arch9wavefront6targetE0EEEvT1_.has_recursion, 0
	.set _ZN7rocprim17ROCPRIM_400000_NS6detail17trampoline_kernelINS0_14default_configENS1_27scan_by_key_config_selectorIxxEEZZNS1_16scan_by_key_implILNS1_25lookback_scan_determinismE0ELb0ES3_N6thrust23THRUST_200600_302600_NS6detail15normal_iteratorINS9_10device_ptrIxEEEENS9_18transform_iteratorINS9_6negateIxEESE_NS9_11use_defaultESI_EESE_xNS9_4plusIvEENS9_8equal_toIvEExEE10hipError_tPvRmT2_T3_T4_T5_mT6_T7_P12ihipStream_tbENKUlT_T0_E_clISt17integral_constantIbLb1EES14_EEDaSZ_S10_EUlSZ_E_NS1_11comp_targetILNS1_3genE10ELNS1_11target_archE1200ELNS1_3gpuE4ELNS1_3repE0EEENS1_30default_config_static_selectorELNS0_4arch9wavefront6targetE0EEEvT1_.has_indirect_call, 0
	.section	.AMDGPU.csdata,"",@progbits
; Kernel info:
; codeLenInByte = 0
; TotalNumSgprs: 0
; NumVgprs: 0
; ScratchSize: 0
; MemoryBound: 0
; FloatMode: 240
; IeeeMode: 1
; LDSByteSize: 0 bytes/workgroup (compile time only)
; SGPRBlocks: 0
; VGPRBlocks: 0
; NumSGPRsForWavesPerEU: 1
; NumVGPRsForWavesPerEU: 1
; Occupancy: 16
; WaveLimiterHint : 0
; COMPUTE_PGM_RSRC2:SCRATCH_EN: 0
; COMPUTE_PGM_RSRC2:USER_SGPR: 6
; COMPUTE_PGM_RSRC2:TRAP_HANDLER: 0
; COMPUTE_PGM_RSRC2:TGID_X_EN: 1
; COMPUTE_PGM_RSRC2:TGID_Y_EN: 0
; COMPUTE_PGM_RSRC2:TGID_Z_EN: 0
; COMPUTE_PGM_RSRC2:TIDIG_COMP_CNT: 0
	.section	.text._ZN7rocprim17ROCPRIM_400000_NS6detail17trampoline_kernelINS0_14default_configENS1_27scan_by_key_config_selectorIxxEEZZNS1_16scan_by_key_implILNS1_25lookback_scan_determinismE0ELb0ES3_N6thrust23THRUST_200600_302600_NS6detail15normal_iteratorINS9_10device_ptrIxEEEENS9_18transform_iteratorINS9_6negateIxEESE_NS9_11use_defaultESI_EESE_xNS9_4plusIvEENS9_8equal_toIvEExEE10hipError_tPvRmT2_T3_T4_T5_mT6_T7_P12ihipStream_tbENKUlT_T0_E_clISt17integral_constantIbLb1EES14_EEDaSZ_S10_EUlSZ_E_NS1_11comp_targetILNS1_3genE9ELNS1_11target_archE1100ELNS1_3gpuE3ELNS1_3repE0EEENS1_30default_config_static_selectorELNS0_4arch9wavefront6targetE0EEEvT1_,"axG",@progbits,_ZN7rocprim17ROCPRIM_400000_NS6detail17trampoline_kernelINS0_14default_configENS1_27scan_by_key_config_selectorIxxEEZZNS1_16scan_by_key_implILNS1_25lookback_scan_determinismE0ELb0ES3_N6thrust23THRUST_200600_302600_NS6detail15normal_iteratorINS9_10device_ptrIxEEEENS9_18transform_iteratorINS9_6negateIxEESE_NS9_11use_defaultESI_EESE_xNS9_4plusIvEENS9_8equal_toIvEExEE10hipError_tPvRmT2_T3_T4_T5_mT6_T7_P12ihipStream_tbENKUlT_T0_E_clISt17integral_constantIbLb1EES14_EEDaSZ_S10_EUlSZ_E_NS1_11comp_targetILNS1_3genE9ELNS1_11target_archE1100ELNS1_3gpuE3ELNS1_3repE0EEENS1_30default_config_static_selectorELNS0_4arch9wavefront6targetE0EEEvT1_,comdat
	.protected	_ZN7rocprim17ROCPRIM_400000_NS6detail17trampoline_kernelINS0_14default_configENS1_27scan_by_key_config_selectorIxxEEZZNS1_16scan_by_key_implILNS1_25lookback_scan_determinismE0ELb0ES3_N6thrust23THRUST_200600_302600_NS6detail15normal_iteratorINS9_10device_ptrIxEEEENS9_18transform_iteratorINS9_6negateIxEESE_NS9_11use_defaultESI_EESE_xNS9_4plusIvEENS9_8equal_toIvEExEE10hipError_tPvRmT2_T3_T4_T5_mT6_T7_P12ihipStream_tbENKUlT_T0_E_clISt17integral_constantIbLb1EES14_EEDaSZ_S10_EUlSZ_E_NS1_11comp_targetILNS1_3genE9ELNS1_11target_archE1100ELNS1_3gpuE3ELNS1_3repE0EEENS1_30default_config_static_selectorELNS0_4arch9wavefront6targetE0EEEvT1_ ; -- Begin function _ZN7rocprim17ROCPRIM_400000_NS6detail17trampoline_kernelINS0_14default_configENS1_27scan_by_key_config_selectorIxxEEZZNS1_16scan_by_key_implILNS1_25lookback_scan_determinismE0ELb0ES3_N6thrust23THRUST_200600_302600_NS6detail15normal_iteratorINS9_10device_ptrIxEEEENS9_18transform_iteratorINS9_6negateIxEESE_NS9_11use_defaultESI_EESE_xNS9_4plusIvEENS9_8equal_toIvEExEE10hipError_tPvRmT2_T3_T4_T5_mT6_T7_P12ihipStream_tbENKUlT_T0_E_clISt17integral_constantIbLb1EES14_EEDaSZ_S10_EUlSZ_E_NS1_11comp_targetILNS1_3genE9ELNS1_11target_archE1100ELNS1_3gpuE3ELNS1_3repE0EEENS1_30default_config_static_selectorELNS0_4arch9wavefront6targetE0EEEvT1_
	.globl	_ZN7rocprim17ROCPRIM_400000_NS6detail17trampoline_kernelINS0_14default_configENS1_27scan_by_key_config_selectorIxxEEZZNS1_16scan_by_key_implILNS1_25lookback_scan_determinismE0ELb0ES3_N6thrust23THRUST_200600_302600_NS6detail15normal_iteratorINS9_10device_ptrIxEEEENS9_18transform_iteratorINS9_6negateIxEESE_NS9_11use_defaultESI_EESE_xNS9_4plusIvEENS9_8equal_toIvEExEE10hipError_tPvRmT2_T3_T4_T5_mT6_T7_P12ihipStream_tbENKUlT_T0_E_clISt17integral_constantIbLb1EES14_EEDaSZ_S10_EUlSZ_E_NS1_11comp_targetILNS1_3genE9ELNS1_11target_archE1100ELNS1_3gpuE3ELNS1_3repE0EEENS1_30default_config_static_selectorELNS0_4arch9wavefront6targetE0EEEvT1_
	.p2align	8
	.type	_ZN7rocprim17ROCPRIM_400000_NS6detail17trampoline_kernelINS0_14default_configENS1_27scan_by_key_config_selectorIxxEEZZNS1_16scan_by_key_implILNS1_25lookback_scan_determinismE0ELb0ES3_N6thrust23THRUST_200600_302600_NS6detail15normal_iteratorINS9_10device_ptrIxEEEENS9_18transform_iteratorINS9_6negateIxEESE_NS9_11use_defaultESI_EESE_xNS9_4plusIvEENS9_8equal_toIvEExEE10hipError_tPvRmT2_T3_T4_T5_mT6_T7_P12ihipStream_tbENKUlT_T0_E_clISt17integral_constantIbLb1EES14_EEDaSZ_S10_EUlSZ_E_NS1_11comp_targetILNS1_3genE9ELNS1_11target_archE1100ELNS1_3gpuE3ELNS1_3repE0EEENS1_30default_config_static_selectorELNS0_4arch9wavefront6targetE0EEEvT1_,@function
_ZN7rocprim17ROCPRIM_400000_NS6detail17trampoline_kernelINS0_14default_configENS1_27scan_by_key_config_selectorIxxEEZZNS1_16scan_by_key_implILNS1_25lookback_scan_determinismE0ELb0ES3_N6thrust23THRUST_200600_302600_NS6detail15normal_iteratorINS9_10device_ptrIxEEEENS9_18transform_iteratorINS9_6negateIxEESE_NS9_11use_defaultESI_EESE_xNS9_4plusIvEENS9_8equal_toIvEExEE10hipError_tPvRmT2_T3_T4_T5_mT6_T7_P12ihipStream_tbENKUlT_T0_E_clISt17integral_constantIbLb1EES14_EEDaSZ_S10_EUlSZ_E_NS1_11comp_targetILNS1_3genE9ELNS1_11target_archE1100ELNS1_3gpuE3ELNS1_3repE0EEENS1_30default_config_static_selectorELNS0_4arch9wavefront6targetE0EEEvT1_: ; @_ZN7rocprim17ROCPRIM_400000_NS6detail17trampoline_kernelINS0_14default_configENS1_27scan_by_key_config_selectorIxxEEZZNS1_16scan_by_key_implILNS1_25lookback_scan_determinismE0ELb0ES3_N6thrust23THRUST_200600_302600_NS6detail15normal_iteratorINS9_10device_ptrIxEEEENS9_18transform_iteratorINS9_6negateIxEESE_NS9_11use_defaultESI_EESE_xNS9_4plusIvEENS9_8equal_toIvEExEE10hipError_tPvRmT2_T3_T4_T5_mT6_T7_P12ihipStream_tbENKUlT_T0_E_clISt17integral_constantIbLb1EES14_EEDaSZ_S10_EUlSZ_E_NS1_11comp_targetILNS1_3genE9ELNS1_11target_archE1100ELNS1_3gpuE3ELNS1_3repE0EEENS1_30default_config_static_selectorELNS0_4arch9wavefront6targetE0EEEvT1_
; %bb.0:
	.section	.rodata,"a",@progbits
	.p2align	6, 0x0
	.amdhsa_kernel _ZN7rocprim17ROCPRIM_400000_NS6detail17trampoline_kernelINS0_14default_configENS1_27scan_by_key_config_selectorIxxEEZZNS1_16scan_by_key_implILNS1_25lookback_scan_determinismE0ELb0ES3_N6thrust23THRUST_200600_302600_NS6detail15normal_iteratorINS9_10device_ptrIxEEEENS9_18transform_iteratorINS9_6negateIxEESE_NS9_11use_defaultESI_EESE_xNS9_4plusIvEENS9_8equal_toIvEExEE10hipError_tPvRmT2_T3_T4_T5_mT6_T7_P12ihipStream_tbENKUlT_T0_E_clISt17integral_constantIbLb1EES14_EEDaSZ_S10_EUlSZ_E_NS1_11comp_targetILNS1_3genE9ELNS1_11target_archE1100ELNS1_3gpuE3ELNS1_3repE0EEENS1_30default_config_static_selectorELNS0_4arch9wavefront6targetE0EEEvT1_
		.amdhsa_group_segment_fixed_size 0
		.amdhsa_private_segment_fixed_size 0
		.amdhsa_kernarg_size 144
		.amdhsa_user_sgpr_count 6
		.amdhsa_user_sgpr_private_segment_buffer 1
		.amdhsa_user_sgpr_dispatch_ptr 0
		.amdhsa_user_sgpr_queue_ptr 0
		.amdhsa_user_sgpr_kernarg_segment_ptr 1
		.amdhsa_user_sgpr_dispatch_id 0
		.amdhsa_user_sgpr_flat_scratch_init 0
		.amdhsa_user_sgpr_private_segment_size 0
		.amdhsa_wavefront_size32 1
		.amdhsa_uses_dynamic_stack 0
		.amdhsa_system_sgpr_private_segment_wavefront_offset 0
		.amdhsa_system_sgpr_workgroup_id_x 1
		.amdhsa_system_sgpr_workgroup_id_y 0
		.amdhsa_system_sgpr_workgroup_id_z 0
		.amdhsa_system_sgpr_workgroup_info 0
		.amdhsa_system_vgpr_workitem_id 0
		.amdhsa_next_free_vgpr 1
		.amdhsa_next_free_sgpr 1
		.amdhsa_reserve_vcc 0
		.amdhsa_reserve_flat_scratch 0
		.amdhsa_float_round_mode_32 0
		.amdhsa_float_round_mode_16_64 0
		.amdhsa_float_denorm_mode_32 3
		.amdhsa_float_denorm_mode_16_64 3
		.amdhsa_dx10_clamp 1
		.amdhsa_ieee_mode 1
		.amdhsa_fp16_overflow 0
		.amdhsa_workgroup_processor_mode 1
		.amdhsa_memory_ordered 1
		.amdhsa_forward_progress 1
		.amdhsa_shared_vgpr_count 0
		.amdhsa_exception_fp_ieee_invalid_op 0
		.amdhsa_exception_fp_denorm_src 0
		.amdhsa_exception_fp_ieee_div_zero 0
		.amdhsa_exception_fp_ieee_overflow 0
		.amdhsa_exception_fp_ieee_underflow 0
		.amdhsa_exception_fp_ieee_inexact 0
		.amdhsa_exception_int_div_zero 0
	.end_amdhsa_kernel
	.section	.text._ZN7rocprim17ROCPRIM_400000_NS6detail17trampoline_kernelINS0_14default_configENS1_27scan_by_key_config_selectorIxxEEZZNS1_16scan_by_key_implILNS1_25lookback_scan_determinismE0ELb0ES3_N6thrust23THRUST_200600_302600_NS6detail15normal_iteratorINS9_10device_ptrIxEEEENS9_18transform_iteratorINS9_6negateIxEESE_NS9_11use_defaultESI_EESE_xNS9_4plusIvEENS9_8equal_toIvEExEE10hipError_tPvRmT2_T3_T4_T5_mT6_T7_P12ihipStream_tbENKUlT_T0_E_clISt17integral_constantIbLb1EES14_EEDaSZ_S10_EUlSZ_E_NS1_11comp_targetILNS1_3genE9ELNS1_11target_archE1100ELNS1_3gpuE3ELNS1_3repE0EEENS1_30default_config_static_selectorELNS0_4arch9wavefront6targetE0EEEvT1_,"axG",@progbits,_ZN7rocprim17ROCPRIM_400000_NS6detail17trampoline_kernelINS0_14default_configENS1_27scan_by_key_config_selectorIxxEEZZNS1_16scan_by_key_implILNS1_25lookback_scan_determinismE0ELb0ES3_N6thrust23THRUST_200600_302600_NS6detail15normal_iteratorINS9_10device_ptrIxEEEENS9_18transform_iteratorINS9_6negateIxEESE_NS9_11use_defaultESI_EESE_xNS9_4plusIvEENS9_8equal_toIvEExEE10hipError_tPvRmT2_T3_T4_T5_mT6_T7_P12ihipStream_tbENKUlT_T0_E_clISt17integral_constantIbLb1EES14_EEDaSZ_S10_EUlSZ_E_NS1_11comp_targetILNS1_3genE9ELNS1_11target_archE1100ELNS1_3gpuE3ELNS1_3repE0EEENS1_30default_config_static_selectorELNS0_4arch9wavefront6targetE0EEEvT1_,comdat
.Lfunc_end909:
	.size	_ZN7rocprim17ROCPRIM_400000_NS6detail17trampoline_kernelINS0_14default_configENS1_27scan_by_key_config_selectorIxxEEZZNS1_16scan_by_key_implILNS1_25lookback_scan_determinismE0ELb0ES3_N6thrust23THRUST_200600_302600_NS6detail15normal_iteratorINS9_10device_ptrIxEEEENS9_18transform_iteratorINS9_6negateIxEESE_NS9_11use_defaultESI_EESE_xNS9_4plusIvEENS9_8equal_toIvEExEE10hipError_tPvRmT2_T3_T4_T5_mT6_T7_P12ihipStream_tbENKUlT_T0_E_clISt17integral_constantIbLb1EES14_EEDaSZ_S10_EUlSZ_E_NS1_11comp_targetILNS1_3genE9ELNS1_11target_archE1100ELNS1_3gpuE3ELNS1_3repE0EEENS1_30default_config_static_selectorELNS0_4arch9wavefront6targetE0EEEvT1_, .Lfunc_end909-_ZN7rocprim17ROCPRIM_400000_NS6detail17trampoline_kernelINS0_14default_configENS1_27scan_by_key_config_selectorIxxEEZZNS1_16scan_by_key_implILNS1_25lookback_scan_determinismE0ELb0ES3_N6thrust23THRUST_200600_302600_NS6detail15normal_iteratorINS9_10device_ptrIxEEEENS9_18transform_iteratorINS9_6negateIxEESE_NS9_11use_defaultESI_EESE_xNS9_4plusIvEENS9_8equal_toIvEExEE10hipError_tPvRmT2_T3_T4_T5_mT6_T7_P12ihipStream_tbENKUlT_T0_E_clISt17integral_constantIbLb1EES14_EEDaSZ_S10_EUlSZ_E_NS1_11comp_targetILNS1_3genE9ELNS1_11target_archE1100ELNS1_3gpuE3ELNS1_3repE0EEENS1_30default_config_static_selectorELNS0_4arch9wavefront6targetE0EEEvT1_
                                        ; -- End function
	.set _ZN7rocprim17ROCPRIM_400000_NS6detail17trampoline_kernelINS0_14default_configENS1_27scan_by_key_config_selectorIxxEEZZNS1_16scan_by_key_implILNS1_25lookback_scan_determinismE0ELb0ES3_N6thrust23THRUST_200600_302600_NS6detail15normal_iteratorINS9_10device_ptrIxEEEENS9_18transform_iteratorINS9_6negateIxEESE_NS9_11use_defaultESI_EESE_xNS9_4plusIvEENS9_8equal_toIvEExEE10hipError_tPvRmT2_T3_T4_T5_mT6_T7_P12ihipStream_tbENKUlT_T0_E_clISt17integral_constantIbLb1EES14_EEDaSZ_S10_EUlSZ_E_NS1_11comp_targetILNS1_3genE9ELNS1_11target_archE1100ELNS1_3gpuE3ELNS1_3repE0EEENS1_30default_config_static_selectorELNS0_4arch9wavefront6targetE0EEEvT1_.num_vgpr, 0
	.set _ZN7rocprim17ROCPRIM_400000_NS6detail17trampoline_kernelINS0_14default_configENS1_27scan_by_key_config_selectorIxxEEZZNS1_16scan_by_key_implILNS1_25lookback_scan_determinismE0ELb0ES3_N6thrust23THRUST_200600_302600_NS6detail15normal_iteratorINS9_10device_ptrIxEEEENS9_18transform_iteratorINS9_6negateIxEESE_NS9_11use_defaultESI_EESE_xNS9_4plusIvEENS9_8equal_toIvEExEE10hipError_tPvRmT2_T3_T4_T5_mT6_T7_P12ihipStream_tbENKUlT_T0_E_clISt17integral_constantIbLb1EES14_EEDaSZ_S10_EUlSZ_E_NS1_11comp_targetILNS1_3genE9ELNS1_11target_archE1100ELNS1_3gpuE3ELNS1_3repE0EEENS1_30default_config_static_selectorELNS0_4arch9wavefront6targetE0EEEvT1_.num_agpr, 0
	.set _ZN7rocprim17ROCPRIM_400000_NS6detail17trampoline_kernelINS0_14default_configENS1_27scan_by_key_config_selectorIxxEEZZNS1_16scan_by_key_implILNS1_25lookback_scan_determinismE0ELb0ES3_N6thrust23THRUST_200600_302600_NS6detail15normal_iteratorINS9_10device_ptrIxEEEENS9_18transform_iteratorINS9_6negateIxEESE_NS9_11use_defaultESI_EESE_xNS9_4plusIvEENS9_8equal_toIvEExEE10hipError_tPvRmT2_T3_T4_T5_mT6_T7_P12ihipStream_tbENKUlT_T0_E_clISt17integral_constantIbLb1EES14_EEDaSZ_S10_EUlSZ_E_NS1_11comp_targetILNS1_3genE9ELNS1_11target_archE1100ELNS1_3gpuE3ELNS1_3repE0EEENS1_30default_config_static_selectorELNS0_4arch9wavefront6targetE0EEEvT1_.numbered_sgpr, 0
	.set _ZN7rocprim17ROCPRIM_400000_NS6detail17trampoline_kernelINS0_14default_configENS1_27scan_by_key_config_selectorIxxEEZZNS1_16scan_by_key_implILNS1_25lookback_scan_determinismE0ELb0ES3_N6thrust23THRUST_200600_302600_NS6detail15normal_iteratorINS9_10device_ptrIxEEEENS9_18transform_iteratorINS9_6negateIxEESE_NS9_11use_defaultESI_EESE_xNS9_4plusIvEENS9_8equal_toIvEExEE10hipError_tPvRmT2_T3_T4_T5_mT6_T7_P12ihipStream_tbENKUlT_T0_E_clISt17integral_constantIbLb1EES14_EEDaSZ_S10_EUlSZ_E_NS1_11comp_targetILNS1_3genE9ELNS1_11target_archE1100ELNS1_3gpuE3ELNS1_3repE0EEENS1_30default_config_static_selectorELNS0_4arch9wavefront6targetE0EEEvT1_.num_named_barrier, 0
	.set _ZN7rocprim17ROCPRIM_400000_NS6detail17trampoline_kernelINS0_14default_configENS1_27scan_by_key_config_selectorIxxEEZZNS1_16scan_by_key_implILNS1_25lookback_scan_determinismE0ELb0ES3_N6thrust23THRUST_200600_302600_NS6detail15normal_iteratorINS9_10device_ptrIxEEEENS9_18transform_iteratorINS9_6negateIxEESE_NS9_11use_defaultESI_EESE_xNS9_4plusIvEENS9_8equal_toIvEExEE10hipError_tPvRmT2_T3_T4_T5_mT6_T7_P12ihipStream_tbENKUlT_T0_E_clISt17integral_constantIbLb1EES14_EEDaSZ_S10_EUlSZ_E_NS1_11comp_targetILNS1_3genE9ELNS1_11target_archE1100ELNS1_3gpuE3ELNS1_3repE0EEENS1_30default_config_static_selectorELNS0_4arch9wavefront6targetE0EEEvT1_.private_seg_size, 0
	.set _ZN7rocprim17ROCPRIM_400000_NS6detail17trampoline_kernelINS0_14default_configENS1_27scan_by_key_config_selectorIxxEEZZNS1_16scan_by_key_implILNS1_25lookback_scan_determinismE0ELb0ES3_N6thrust23THRUST_200600_302600_NS6detail15normal_iteratorINS9_10device_ptrIxEEEENS9_18transform_iteratorINS9_6negateIxEESE_NS9_11use_defaultESI_EESE_xNS9_4plusIvEENS9_8equal_toIvEExEE10hipError_tPvRmT2_T3_T4_T5_mT6_T7_P12ihipStream_tbENKUlT_T0_E_clISt17integral_constantIbLb1EES14_EEDaSZ_S10_EUlSZ_E_NS1_11comp_targetILNS1_3genE9ELNS1_11target_archE1100ELNS1_3gpuE3ELNS1_3repE0EEENS1_30default_config_static_selectorELNS0_4arch9wavefront6targetE0EEEvT1_.uses_vcc, 0
	.set _ZN7rocprim17ROCPRIM_400000_NS6detail17trampoline_kernelINS0_14default_configENS1_27scan_by_key_config_selectorIxxEEZZNS1_16scan_by_key_implILNS1_25lookback_scan_determinismE0ELb0ES3_N6thrust23THRUST_200600_302600_NS6detail15normal_iteratorINS9_10device_ptrIxEEEENS9_18transform_iteratorINS9_6negateIxEESE_NS9_11use_defaultESI_EESE_xNS9_4plusIvEENS9_8equal_toIvEExEE10hipError_tPvRmT2_T3_T4_T5_mT6_T7_P12ihipStream_tbENKUlT_T0_E_clISt17integral_constantIbLb1EES14_EEDaSZ_S10_EUlSZ_E_NS1_11comp_targetILNS1_3genE9ELNS1_11target_archE1100ELNS1_3gpuE3ELNS1_3repE0EEENS1_30default_config_static_selectorELNS0_4arch9wavefront6targetE0EEEvT1_.uses_flat_scratch, 0
	.set _ZN7rocprim17ROCPRIM_400000_NS6detail17trampoline_kernelINS0_14default_configENS1_27scan_by_key_config_selectorIxxEEZZNS1_16scan_by_key_implILNS1_25lookback_scan_determinismE0ELb0ES3_N6thrust23THRUST_200600_302600_NS6detail15normal_iteratorINS9_10device_ptrIxEEEENS9_18transform_iteratorINS9_6negateIxEESE_NS9_11use_defaultESI_EESE_xNS9_4plusIvEENS9_8equal_toIvEExEE10hipError_tPvRmT2_T3_T4_T5_mT6_T7_P12ihipStream_tbENKUlT_T0_E_clISt17integral_constantIbLb1EES14_EEDaSZ_S10_EUlSZ_E_NS1_11comp_targetILNS1_3genE9ELNS1_11target_archE1100ELNS1_3gpuE3ELNS1_3repE0EEENS1_30default_config_static_selectorELNS0_4arch9wavefront6targetE0EEEvT1_.has_dyn_sized_stack, 0
	.set _ZN7rocprim17ROCPRIM_400000_NS6detail17trampoline_kernelINS0_14default_configENS1_27scan_by_key_config_selectorIxxEEZZNS1_16scan_by_key_implILNS1_25lookback_scan_determinismE0ELb0ES3_N6thrust23THRUST_200600_302600_NS6detail15normal_iteratorINS9_10device_ptrIxEEEENS9_18transform_iteratorINS9_6negateIxEESE_NS9_11use_defaultESI_EESE_xNS9_4plusIvEENS9_8equal_toIvEExEE10hipError_tPvRmT2_T3_T4_T5_mT6_T7_P12ihipStream_tbENKUlT_T0_E_clISt17integral_constantIbLb1EES14_EEDaSZ_S10_EUlSZ_E_NS1_11comp_targetILNS1_3genE9ELNS1_11target_archE1100ELNS1_3gpuE3ELNS1_3repE0EEENS1_30default_config_static_selectorELNS0_4arch9wavefront6targetE0EEEvT1_.has_recursion, 0
	.set _ZN7rocprim17ROCPRIM_400000_NS6detail17trampoline_kernelINS0_14default_configENS1_27scan_by_key_config_selectorIxxEEZZNS1_16scan_by_key_implILNS1_25lookback_scan_determinismE0ELb0ES3_N6thrust23THRUST_200600_302600_NS6detail15normal_iteratorINS9_10device_ptrIxEEEENS9_18transform_iteratorINS9_6negateIxEESE_NS9_11use_defaultESI_EESE_xNS9_4plusIvEENS9_8equal_toIvEExEE10hipError_tPvRmT2_T3_T4_T5_mT6_T7_P12ihipStream_tbENKUlT_T0_E_clISt17integral_constantIbLb1EES14_EEDaSZ_S10_EUlSZ_E_NS1_11comp_targetILNS1_3genE9ELNS1_11target_archE1100ELNS1_3gpuE3ELNS1_3repE0EEENS1_30default_config_static_selectorELNS0_4arch9wavefront6targetE0EEEvT1_.has_indirect_call, 0
	.section	.AMDGPU.csdata,"",@progbits
; Kernel info:
; codeLenInByte = 0
; TotalNumSgprs: 0
; NumVgprs: 0
; ScratchSize: 0
; MemoryBound: 0
; FloatMode: 240
; IeeeMode: 1
; LDSByteSize: 0 bytes/workgroup (compile time only)
; SGPRBlocks: 0
; VGPRBlocks: 0
; NumSGPRsForWavesPerEU: 1
; NumVGPRsForWavesPerEU: 1
; Occupancy: 16
; WaveLimiterHint : 0
; COMPUTE_PGM_RSRC2:SCRATCH_EN: 0
; COMPUTE_PGM_RSRC2:USER_SGPR: 6
; COMPUTE_PGM_RSRC2:TRAP_HANDLER: 0
; COMPUTE_PGM_RSRC2:TGID_X_EN: 1
; COMPUTE_PGM_RSRC2:TGID_Y_EN: 0
; COMPUTE_PGM_RSRC2:TGID_Z_EN: 0
; COMPUTE_PGM_RSRC2:TIDIG_COMP_CNT: 0
	.section	.text._ZN7rocprim17ROCPRIM_400000_NS6detail17trampoline_kernelINS0_14default_configENS1_27scan_by_key_config_selectorIxxEEZZNS1_16scan_by_key_implILNS1_25lookback_scan_determinismE0ELb0ES3_N6thrust23THRUST_200600_302600_NS6detail15normal_iteratorINS9_10device_ptrIxEEEENS9_18transform_iteratorINS9_6negateIxEESE_NS9_11use_defaultESI_EESE_xNS9_4plusIvEENS9_8equal_toIvEExEE10hipError_tPvRmT2_T3_T4_T5_mT6_T7_P12ihipStream_tbENKUlT_T0_E_clISt17integral_constantIbLb1EES14_EEDaSZ_S10_EUlSZ_E_NS1_11comp_targetILNS1_3genE8ELNS1_11target_archE1030ELNS1_3gpuE2ELNS1_3repE0EEENS1_30default_config_static_selectorELNS0_4arch9wavefront6targetE0EEEvT1_,"axG",@progbits,_ZN7rocprim17ROCPRIM_400000_NS6detail17trampoline_kernelINS0_14default_configENS1_27scan_by_key_config_selectorIxxEEZZNS1_16scan_by_key_implILNS1_25lookback_scan_determinismE0ELb0ES3_N6thrust23THRUST_200600_302600_NS6detail15normal_iteratorINS9_10device_ptrIxEEEENS9_18transform_iteratorINS9_6negateIxEESE_NS9_11use_defaultESI_EESE_xNS9_4plusIvEENS9_8equal_toIvEExEE10hipError_tPvRmT2_T3_T4_T5_mT6_T7_P12ihipStream_tbENKUlT_T0_E_clISt17integral_constantIbLb1EES14_EEDaSZ_S10_EUlSZ_E_NS1_11comp_targetILNS1_3genE8ELNS1_11target_archE1030ELNS1_3gpuE2ELNS1_3repE0EEENS1_30default_config_static_selectorELNS0_4arch9wavefront6targetE0EEEvT1_,comdat
	.protected	_ZN7rocprim17ROCPRIM_400000_NS6detail17trampoline_kernelINS0_14default_configENS1_27scan_by_key_config_selectorIxxEEZZNS1_16scan_by_key_implILNS1_25lookback_scan_determinismE0ELb0ES3_N6thrust23THRUST_200600_302600_NS6detail15normal_iteratorINS9_10device_ptrIxEEEENS9_18transform_iteratorINS9_6negateIxEESE_NS9_11use_defaultESI_EESE_xNS9_4plusIvEENS9_8equal_toIvEExEE10hipError_tPvRmT2_T3_T4_T5_mT6_T7_P12ihipStream_tbENKUlT_T0_E_clISt17integral_constantIbLb1EES14_EEDaSZ_S10_EUlSZ_E_NS1_11comp_targetILNS1_3genE8ELNS1_11target_archE1030ELNS1_3gpuE2ELNS1_3repE0EEENS1_30default_config_static_selectorELNS0_4arch9wavefront6targetE0EEEvT1_ ; -- Begin function _ZN7rocprim17ROCPRIM_400000_NS6detail17trampoline_kernelINS0_14default_configENS1_27scan_by_key_config_selectorIxxEEZZNS1_16scan_by_key_implILNS1_25lookback_scan_determinismE0ELb0ES3_N6thrust23THRUST_200600_302600_NS6detail15normal_iteratorINS9_10device_ptrIxEEEENS9_18transform_iteratorINS9_6negateIxEESE_NS9_11use_defaultESI_EESE_xNS9_4plusIvEENS9_8equal_toIvEExEE10hipError_tPvRmT2_T3_T4_T5_mT6_T7_P12ihipStream_tbENKUlT_T0_E_clISt17integral_constantIbLb1EES14_EEDaSZ_S10_EUlSZ_E_NS1_11comp_targetILNS1_3genE8ELNS1_11target_archE1030ELNS1_3gpuE2ELNS1_3repE0EEENS1_30default_config_static_selectorELNS0_4arch9wavefront6targetE0EEEvT1_
	.globl	_ZN7rocprim17ROCPRIM_400000_NS6detail17trampoline_kernelINS0_14default_configENS1_27scan_by_key_config_selectorIxxEEZZNS1_16scan_by_key_implILNS1_25lookback_scan_determinismE0ELb0ES3_N6thrust23THRUST_200600_302600_NS6detail15normal_iteratorINS9_10device_ptrIxEEEENS9_18transform_iteratorINS9_6negateIxEESE_NS9_11use_defaultESI_EESE_xNS9_4plusIvEENS9_8equal_toIvEExEE10hipError_tPvRmT2_T3_T4_T5_mT6_T7_P12ihipStream_tbENKUlT_T0_E_clISt17integral_constantIbLb1EES14_EEDaSZ_S10_EUlSZ_E_NS1_11comp_targetILNS1_3genE8ELNS1_11target_archE1030ELNS1_3gpuE2ELNS1_3repE0EEENS1_30default_config_static_selectorELNS0_4arch9wavefront6targetE0EEEvT1_
	.p2align	8
	.type	_ZN7rocprim17ROCPRIM_400000_NS6detail17trampoline_kernelINS0_14default_configENS1_27scan_by_key_config_selectorIxxEEZZNS1_16scan_by_key_implILNS1_25lookback_scan_determinismE0ELb0ES3_N6thrust23THRUST_200600_302600_NS6detail15normal_iteratorINS9_10device_ptrIxEEEENS9_18transform_iteratorINS9_6negateIxEESE_NS9_11use_defaultESI_EESE_xNS9_4plusIvEENS9_8equal_toIvEExEE10hipError_tPvRmT2_T3_T4_T5_mT6_T7_P12ihipStream_tbENKUlT_T0_E_clISt17integral_constantIbLb1EES14_EEDaSZ_S10_EUlSZ_E_NS1_11comp_targetILNS1_3genE8ELNS1_11target_archE1030ELNS1_3gpuE2ELNS1_3repE0EEENS1_30default_config_static_selectorELNS0_4arch9wavefront6targetE0EEEvT1_,@function
_ZN7rocprim17ROCPRIM_400000_NS6detail17trampoline_kernelINS0_14default_configENS1_27scan_by_key_config_selectorIxxEEZZNS1_16scan_by_key_implILNS1_25lookback_scan_determinismE0ELb0ES3_N6thrust23THRUST_200600_302600_NS6detail15normal_iteratorINS9_10device_ptrIxEEEENS9_18transform_iteratorINS9_6negateIxEESE_NS9_11use_defaultESI_EESE_xNS9_4plusIvEENS9_8equal_toIvEExEE10hipError_tPvRmT2_T3_T4_T5_mT6_T7_P12ihipStream_tbENKUlT_T0_E_clISt17integral_constantIbLb1EES14_EEDaSZ_S10_EUlSZ_E_NS1_11comp_targetILNS1_3genE8ELNS1_11target_archE1030ELNS1_3gpuE2ELNS1_3repE0EEENS1_30default_config_static_selectorELNS0_4arch9wavefront6targetE0EEEvT1_: ; @_ZN7rocprim17ROCPRIM_400000_NS6detail17trampoline_kernelINS0_14default_configENS1_27scan_by_key_config_selectorIxxEEZZNS1_16scan_by_key_implILNS1_25lookback_scan_determinismE0ELb0ES3_N6thrust23THRUST_200600_302600_NS6detail15normal_iteratorINS9_10device_ptrIxEEEENS9_18transform_iteratorINS9_6negateIxEESE_NS9_11use_defaultESI_EESE_xNS9_4plusIvEENS9_8equal_toIvEExEE10hipError_tPvRmT2_T3_T4_T5_mT6_T7_P12ihipStream_tbENKUlT_T0_E_clISt17integral_constantIbLb1EES14_EEDaSZ_S10_EUlSZ_E_NS1_11comp_targetILNS1_3genE8ELNS1_11target_archE1030ELNS1_3gpuE2ELNS1_3repE0EEENS1_30default_config_static_selectorELNS0_4arch9wavefront6targetE0EEEvT1_
; %bb.0:
	s_endpgm
	.section	.rodata,"a",@progbits
	.p2align	6, 0x0
	.amdhsa_kernel _ZN7rocprim17ROCPRIM_400000_NS6detail17trampoline_kernelINS0_14default_configENS1_27scan_by_key_config_selectorIxxEEZZNS1_16scan_by_key_implILNS1_25lookback_scan_determinismE0ELb0ES3_N6thrust23THRUST_200600_302600_NS6detail15normal_iteratorINS9_10device_ptrIxEEEENS9_18transform_iteratorINS9_6negateIxEESE_NS9_11use_defaultESI_EESE_xNS9_4plusIvEENS9_8equal_toIvEExEE10hipError_tPvRmT2_T3_T4_T5_mT6_T7_P12ihipStream_tbENKUlT_T0_E_clISt17integral_constantIbLb1EES14_EEDaSZ_S10_EUlSZ_E_NS1_11comp_targetILNS1_3genE8ELNS1_11target_archE1030ELNS1_3gpuE2ELNS1_3repE0EEENS1_30default_config_static_selectorELNS0_4arch9wavefront6targetE0EEEvT1_
		.amdhsa_group_segment_fixed_size 0
		.amdhsa_private_segment_fixed_size 0
		.amdhsa_kernarg_size 144
		.amdhsa_user_sgpr_count 6
		.amdhsa_user_sgpr_private_segment_buffer 1
		.amdhsa_user_sgpr_dispatch_ptr 0
		.amdhsa_user_sgpr_queue_ptr 0
		.amdhsa_user_sgpr_kernarg_segment_ptr 1
		.amdhsa_user_sgpr_dispatch_id 0
		.amdhsa_user_sgpr_flat_scratch_init 0
		.amdhsa_user_sgpr_private_segment_size 0
		.amdhsa_wavefront_size32 1
		.amdhsa_uses_dynamic_stack 0
		.amdhsa_system_sgpr_private_segment_wavefront_offset 0
		.amdhsa_system_sgpr_workgroup_id_x 1
		.amdhsa_system_sgpr_workgroup_id_y 0
		.amdhsa_system_sgpr_workgroup_id_z 0
		.amdhsa_system_sgpr_workgroup_info 0
		.amdhsa_system_vgpr_workitem_id 0
		.amdhsa_next_free_vgpr 1
		.amdhsa_next_free_sgpr 1
		.amdhsa_reserve_vcc 0
		.amdhsa_reserve_flat_scratch 0
		.amdhsa_float_round_mode_32 0
		.amdhsa_float_round_mode_16_64 0
		.amdhsa_float_denorm_mode_32 3
		.amdhsa_float_denorm_mode_16_64 3
		.amdhsa_dx10_clamp 1
		.amdhsa_ieee_mode 1
		.amdhsa_fp16_overflow 0
		.amdhsa_workgroup_processor_mode 1
		.amdhsa_memory_ordered 1
		.amdhsa_forward_progress 1
		.amdhsa_shared_vgpr_count 0
		.amdhsa_exception_fp_ieee_invalid_op 0
		.amdhsa_exception_fp_denorm_src 0
		.amdhsa_exception_fp_ieee_div_zero 0
		.amdhsa_exception_fp_ieee_overflow 0
		.amdhsa_exception_fp_ieee_underflow 0
		.amdhsa_exception_fp_ieee_inexact 0
		.amdhsa_exception_int_div_zero 0
	.end_amdhsa_kernel
	.section	.text._ZN7rocprim17ROCPRIM_400000_NS6detail17trampoline_kernelINS0_14default_configENS1_27scan_by_key_config_selectorIxxEEZZNS1_16scan_by_key_implILNS1_25lookback_scan_determinismE0ELb0ES3_N6thrust23THRUST_200600_302600_NS6detail15normal_iteratorINS9_10device_ptrIxEEEENS9_18transform_iteratorINS9_6negateIxEESE_NS9_11use_defaultESI_EESE_xNS9_4plusIvEENS9_8equal_toIvEExEE10hipError_tPvRmT2_T3_T4_T5_mT6_T7_P12ihipStream_tbENKUlT_T0_E_clISt17integral_constantIbLb1EES14_EEDaSZ_S10_EUlSZ_E_NS1_11comp_targetILNS1_3genE8ELNS1_11target_archE1030ELNS1_3gpuE2ELNS1_3repE0EEENS1_30default_config_static_selectorELNS0_4arch9wavefront6targetE0EEEvT1_,"axG",@progbits,_ZN7rocprim17ROCPRIM_400000_NS6detail17trampoline_kernelINS0_14default_configENS1_27scan_by_key_config_selectorIxxEEZZNS1_16scan_by_key_implILNS1_25lookback_scan_determinismE0ELb0ES3_N6thrust23THRUST_200600_302600_NS6detail15normal_iteratorINS9_10device_ptrIxEEEENS9_18transform_iteratorINS9_6negateIxEESE_NS9_11use_defaultESI_EESE_xNS9_4plusIvEENS9_8equal_toIvEExEE10hipError_tPvRmT2_T3_T4_T5_mT6_T7_P12ihipStream_tbENKUlT_T0_E_clISt17integral_constantIbLb1EES14_EEDaSZ_S10_EUlSZ_E_NS1_11comp_targetILNS1_3genE8ELNS1_11target_archE1030ELNS1_3gpuE2ELNS1_3repE0EEENS1_30default_config_static_selectorELNS0_4arch9wavefront6targetE0EEEvT1_,comdat
.Lfunc_end910:
	.size	_ZN7rocprim17ROCPRIM_400000_NS6detail17trampoline_kernelINS0_14default_configENS1_27scan_by_key_config_selectorIxxEEZZNS1_16scan_by_key_implILNS1_25lookback_scan_determinismE0ELb0ES3_N6thrust23THRUST_200600_302600_NS6detail15normal_iteratorINS9_10device_ptrIxEEEENS9_18transform_iteratorINS9_6negateIxEESE_NS9_11use_defaultESI_EESE_xNS9_4plusIvEENS9_8equal_toIvEExEE10hipError_tPvRmT2_T3_T4_T5_mT6_T7_P12ihipStream_tbENKUlT_T0_E_clISt17integral_constantIbLb1EES14_EEDaSZ_S10_EUlSZ_E_NS1_11comp_targetILNS1_3genE8ELNS1_11target_archE1030ELNS1_3gpuE2ELNS1_3repE0EEENS1_30default_config_static_selectorELNS0_4arch9wavefront6targetE0EEEvT1_, .Lfunc_end910-_ZN7rocprim17ROCPRIM_400000_NS6detail17trampoline_kernelINS0_14default_configENS1_27scan_by_key_config_selectorIxxEEZZNS1_16scan_by_key_implILNS1_25lookback_scan_determinismE0ELb0ES3_N6thrust23THRUST_200600_302600_NS6detail15normal_iteratorINS9_10device_ptrIxEEEENS9_18transform_iteratorINS9_6negateIxEESE_NS9_11use_defaultESI_EESE_xNS9_4plusIvEENS9_8equal_toIvEExEE10hipError_tPvRmT2_T3_T4_T5_mT6_T7_P12ihipStream_tbENKUlT_T0_E_clISt17integral_constantIbLb1EES14_EEDaSZ_S10_EUlSZ_E_NS1_11comp_targetILNS1_3genE8ELNS1_11target_archE1030ELNS1_3gpuE2ELNS1_3repE0EEENS1_30default_config_static_selectorELNS0_4arch9wavefront6targetE0EEEvT1_
                                        ; -- End function
	.set _ZN7rocprim17ROCPRIM_400000_NS6detail17trampoline_kernelINS0_14default_configENS1_27scan_by_key_config_selectorIxxEEZZNS1_16scan_by_key_implILNS1_25lookback_scan_determinismE0ELb0ES3_N6thrust23THRUST_200600_302600_NS6detail15normal_iteratorINS9_10device_ptrIxEEEENS9_18transform_iteratorINS9_6negateIxEESE_NS9_11use_defaultESI_EESE_xNS9_4plusIvEENS9_8equal_toIvEExEE10hipError_tPvRmT2_T3_T4_T5_mT6_T7_P12ihipStream_tbENKUlT_T0_E_clISt17integral_constantIbLb1EES14_EEDaSZ_S10_EUlSZ_E_NS1_11comp_targetILNS1_3genE8ELNS1_11target_archE1030ELNS1_3gpuE2ELNS1_3repE0EEENS1_30default_config_static_selectorELNS0_4arch9wavefront6targetE0EEEvT1_.num_vgpr, 0
	.set _ZN7rocprim17ROCPRIM_400000_NS6detail17trampoline_kernelINS0_14default_configENS1_27scan_by_key_config_selectorIxxEEZZNS1_16scan_by_key_implILNS1_25lookback_scan_determinismE0ELb0ES3_N6thrust23THRUST_200600_302600_NS6detail15normal_iteratorINS9_10device_ptrIxEEEENS9_18transform_iteratorINS9_6negateIxEESE_NS9_11use_defaultESI_EESE_xNS9_4plusIvEENS9_8equal_toIvEExEE10hipError_tPvRmT2_T3_T4_T5_mT6_T7_P12ihipStream_tbENKUlT_T0_E_clISt17integral_constantIbLb1EES14_EEDaSZ_S10_EUlSZ_E_NS1_11comp_targetILNS1_3genE8ELNS1_11target_archE1030ELNS1_3gpuE2ELNS1_3repE0EEENS1_30default_config_static_selectorELNS0_4arch9wavefront6targetE0EEEvT1_.num_agpr, 0
	.set _ZN7rocprim17ROCPRIM_400000_NS6detail17trampoline_kernelINS0_14default_configENS1_27scan_by_key_config_selectorIxxEEZZNS1_16scan_by_key_implILNS1_25lookback_scan_determinismE0ELb0ES3_N6thrust23THRUST_200600_302600_NS6detail15normal_iteratorINS9_10device_ptrIxEEEENS9_18transform_iteratorINS9_6negateIxEESE_NS9_11use_defaultESI_EESE_xNS9_4plusIvEENS9_8equal_toIvEExEE10hipError_tPvRmT2_T3_T4_T5_mT6_T7_P12ihipStream_tbENKUlT_T0_E_clISt17integral_constantIbLb1EES14_EEDaSZ_S10_EUlSZ_E_NS1_11comp_targetILNS1_3genE8ELNS1_11target_archE1030ELNS1_3gpuE2ELNS1_3repE0EEENS1_30default_config_static_selectorELNS0_4arch9wavefront6targetE0EEEvT1_.numbered_sgpr, 0
	.set _ZN7rocprim17ROCPRIM_400000_NS6detail17trampoline_kernelINS0_14default_configENS1_27scan_by_key_config_selectorIxxEEZZNS1_16scan_by_key_implILNS1_25lookback_scan_determinismE0ELb0ES3_N6thrust23THRUST_200600_302600_NS6detail15normal_iteratorINS9_10device_ptrIxEEEENS9_18transform_iteratorINS9_6negateIxEESE_NS9_11use_defaultESI_EESE_xNS9_4plusIvEENS9_8equal_toIvEExEE10hipError_tPvRmT2_T3_T4_T5_mT6_T7_P12ihipStream_tbENKUlT_T0_E_clISt17integral_constantIbLb1EES14_EEDaSZ_S10_EUlSZ_E_NS1_11comp_targetILNS1_3genE8ELNS1_11target_archE1030ELNS1_3gpuE2ELNS1_3repE0EEENS1_30default_config_static_selectorELNS0_4arch9wavefront6targetE0EEEvT1_.num_named_barrier, 0
	.set _ZN7rocprim17ROCPRIM_400000_NS6detail17trampoline_kernelINS0_14default_configENS1_27scan_by_key_config_selectorIxxEEZZNS1_16scan_by_key_implILNS1_25lookback_scan_determinismE0ELb0ES3_N6thrust23THRUST_200600_302600_NS6detail15normal_iteratorINS9_10device_ptrIxEEEENS9_18transform_iteratorINS9_6negateIxEESE_NS9_11use_defaultESI_EESE_xNS9_4plusIvEENS9_8equal_toIvEExEE10hipError_tPvRmT2_T3_T4_T5_mT6_T7_P12ihipStream_tbENKUlT_T0_E_clISt17integral_constantIbLb1EES14_EEDaSZ_S10_EUlSZ_E_NS1_11comp_targetILNS1_3genE8ELNS1_11target_archE1030ELNS1_3gpuE2ELNS1_3repE0EEENS1_30default_config_static_selectorELNS0_4arch9wavefront6targetE0EEEvT1_.private_seg_size, 0
	.set _ZN7rocprim17ROCPRIM_400000_NS6detail17trampoline_kernelINS0_14default_configENS1_27scan_by_key_config_selectorIxxEEZZNS1_16scan_by_key_implILNS1_25lookback_scan_determinismE0ELb0ES3_N6thrust23THRUST_200600_302600_NS6detail15normal_iteratorINS9_10device_ptrIxEEEENS9_18transform_iteratorINS9_6negateIxEESE_NS9_11use_defaultESI_EESE_xNS9_4plusIvEENS9_8equal_toIvEExEE10hipError_tPvRmT2_T3_T4_T5_mT6_T7_P12ihipStream_tbENKUlT_T0_E_clISt17integral_constantIbLb1EES14_EEDaSZ_S10_EUlSZ_E_NS1_11comp_targetILNS1_3genE8ELNS1_11target_archE1030ELNS1_3gpuE2ELNS1_3repE0EEENS1_30default_config_static_selectorELNS0_4arch9wavefront6targetE0EEEvT1_.uses_vcc, 0
	.set _ZN7rocprim17ROCPRIM_400000_NS6detail17trampoline_kernelINS0_14default_configENS1_27scan_by_key_config_selectorIxxEEZZNS1_16scan_by_key_implILNS1_25lookback_scan_determinismE0ELb0ES3_N6thrust23THRUST_200600_302600_NS6detail15normal_iteratorINS9_10device_ptrIxEEEENS9_18transform_iteratorINS9_6negateIxEESE_NS9_11use_defaultESI_EESE_xNS9_4plusIvEENS9_8equal_toIvEExEE10hipError_tPvRmT2_T3_T4_T5_mT6_T7_P12ihipStream_tbENKUlT_T0_E_clISt17integral_constantIbLb1EES14_EEDaSZ_S10_EUlSZ_E_NS1_11comp_targetILNS1_3genE8ELNS1_11target_archE1030ELNS1_3gpuE2ELNS1_3repE0EEENS1_30default_config_static_selectorELNS0_4arch9wavefront6targetE0EEEvT1_.uses_flat_scratch, 0
	.set _ZN7rocprim17ROCPRIM_400000_NS6detail17trampoline_kernelINS0_14default_configENS1_27scan_by_key_config_selectorIxxEEZZNS1_16scan_by_key_implILNS1_25lookback_scan_determinismE0ELb0ES3_N6thrust23THRUST_200600_302600_NS6detail15normal_iteratorINS9_10device_ptrIxEEEENS9_18transform_iteratorINS9_6negateIxEESE_NS9_11use_defaultESI_EESE_xNS9_4plusIvEENS9_8equal_toIvEExEE10hipError_tPvRmT2_T3_T4_T5_mT6_T7_P12ihipStream_tbENKUlT_T0_E_clISt17integral_constantIbLb1EES14_EEDaSZ_S10_EUlSZ_E_NS1_11comp_targetILNS1_3genE8ELNS1_11target_archE1030ELNS1_3gpuE2ELNS1_3repE0EEENS1_30default_config_static_selectorELNS0_4arch9wavefront6targetE0EEEvT1_.has_dyn_sized_stack, 0
	.set _ZN7rocprim17ROCPRIM_400000_NS6detail17trampoline_kernelINS0_14default_configENS1_27scan_by_key_config_selectorIxxEEZZNS1_16scan_by_key_implILNS1_25lookback_scan_determinismE0ELb0ES3_N6thrust23THRUST_200600_302600_NS6detail15normal_iteratorINS9_10device_ptrIxEEEENS9_18transform_iteratorINS9_6negateIxEESE_NS9_11use_defaultESI_EESE_xNS9_4plusIvEENS9_8equal_toIvEExEE10hipError_tPvRmT2_T3_T4_T5_mT6_T7_P12ihipStream_tbENKUlT_T0_E_clISt17integral_constantIbLb1EES14_EEDaSZ_S10_EUlSZ_E_NS1_11comp_targetILNS1_3genE8ELNS1_11target_archE1030ELNS1_3gpuE2ELNS1_3repE0EEENS1_30default_config_static_selectorELNS0_4arch9wavefront6targetE0EEEvT1_.has_recursion, 0
	.set _ZN7rocprim17ROCPRIM_400000_NS6detail17trampoline_kernelINS0_14default_configENS1_27scan_by_key_config_selectorIxxEEZZNS1_16scan_by_key_implILNS1_25lookback_scan_determinismE0ELb0ES3_N6thrust23THRUST_200600_302600_NS6detail15normal_iteratorINS9_10device_ptrIxEEEENS9_18transform_iteratorINS9_6negateIxEESE_NS9_11use_defaultESI_EESE_xNS9_4plusIvEENS9_8equal_toIvEExEE10hipError_tPvRmT2_T3_T4_T5_mT6_T7_P12ihipStream_tbENKUlT_T0_E_clISt17integral_constantIbLb1EES14_EEDaSZ_S10_EUlSZ_E_NS1_11comp_targetILNS1_3genE8ELNS1_11target_archE1030ELNS1_3gpuE2ELNS1_3repE0EEENS1_30default_config_static_selectorELNS0_4arch9wavefront6targetE0EEEvT1_.has_indirect_call, 0
	.section	.AMDGPU.csdata,"",@progbits
; Kernel info:
; codeLenInByte = 4
; TotalNumSgprs: 0
; NumVgprs: 0
; ScratchSize: 0
; MemoryBound: 0
; FloatMode: 240
; IeeeMode: 1
; LDSByteSize: 0 bytes/workgroup (compile time only)
; SGPRBlocks: 0
; VGPRBlocks: 0
; NumSGPRsForWavesPerEU: 1
; NumVGPRsForWavesPerEU: 1
; Occupancy: 16
; WaveLimiterHint : 0
; COMPUTE_PGM_RSRC2:SCRATCH_EN: 0
; COMPUTE_PGM_RSRC2:USER_SGPR: 6
; COMPUTE_PGM_RSRC2:TRAP_HANDLER: 0
; COMPUTE_PGM_RSRC2:TGID_X_EN: 1
; COMPUTE_PGM_RSRC2:TGID_Y_EN: 0
; COMPUTE_PGM_RSRC2:TGID_Z_EN: 0
; COMPUTE_PGM_RSRC2:TIDIG_COMP_CNT: 0
	.section	.text._ZN7rocprim17ROCPRIM_400000_NS6detail17trampoline_kernelINS0_14default_configENS1_27scan_by_key_config_selectorIxxEEZZNS1_16scan_by_key_implILNS1_25lookback_scan_determinismE0ELb0ES3_N6thrust23THRUST_200600_302600_NS6detail15normal_iteratorINS9_10device_ptrIxEEEENS9_18transform_iteratorINS9_6negateIxEESE_NS9_11use_defaultESI_EESE_xNS9_4plusIvEENS9_8equal_toIvEExEE10hipError_tPvRmT2_T3_T4_T5_mT6_T7_P12ihipStream_tbENKUlT_T0_E_clISt17integral_constantIbLb1EES13_IbLb0EEEEDaSZ_S10_EUlSZ_E_NS1_11comp_targetILNS1_3genE0ELNS1_11target_archE4294967295ELNS1_3gpuE0ELNS1_3repE0EEENS1_30default_config_static_selectorELNS0_4arch9wavefront6targetE0EEEvT1_,"axG",@progbits,_ZN7rocprim17ROCPRIM_400000_NS6detail17trampoline_kernelINS0_14default_configENS1_27scan_by_key_config_selectorIxxEEZZNS1_16scan_by_key_implILNS1_25lookback_scan_determinismE0ELb0ES3_N6thrust23THRUST_200600_302600_NS6detail15normal_iteratorINS9_10device_ptrIxEEEENS9_18transform_iteratorINS9_6negateIxEESE_NS9_11use_defaultESI_EESE_xNS9_4plusIvEENS9_8equal_toIvEExEE10hipError_tPvRmT2_T3_T4_T5_mT6_T7_P12ihipStream_tbENKUlT_T0_E_clISt17integral_constantIbLb1EES13_IbLb0EEEEDaSZ_S10_EUlSZ_E_NS1_11comp_targetILNS1_3genE0ELNS1_11target_archE4294967295ELNS1_3gpuE0ELNS1_3repE0EEENS1_30default_config_static_selectorELNS0_4arch9wavefront6targetE0EEEvT1_,comdat
	.protected	_ZN7rocprim17ROCPRIM_400000_NS6detail17trampoline_kernelINS0_14default_configENS1_27scan_by_key_config_selectorIxxEEZZNS1_16scan_by_key_implILNS1_25lookback_scan_determinismE0ELb0ES3_N6thrust23THRUST_200600_302600_NS6detail15normal_iteratorINS9_10device_ptrIxEEEENS9_18transform_iteratorINS9_6negateIxEESE_NS9_11use_defaultESI_EESE_xNS9_4plusIvEENS9_8equal_toIvEExEE10hipError_tPvRmT2_T3_T4_T5_mT6_T7_P12ihipStream_tbENKUlT_T0_E_clISt17integral_constantIbLb1EES13_IbLb0EEEEDaSZ_S10_EUlSZ_E_NS1_11comp_targetILNS1_3genE0ELNS1_11target_archE4294967295ELNS1_3gpuE0ELNS1_3repE0EEENS1_30default_config_static_selectorELNS0_4arch9wavefront6targetE0EEEvT1_ ; -- Begin function _ZN7rocprim17ROCPRIM_400000_NS6detail17trampoline_kernelINS0_14default_configENS1_27scan_by_key_config_selectorIxxEEZZNS1_16scan_by_key_implILNS1_25lookback_scan_determinismE0ELb0ES3_N6thrust23THRUST_200600_302600_NS6detail15normal_iteratorINS9_10device_ptrIxEEEENS9_18transform_iteratorINS9_6negateIxEESE_NS9_11use_defaultESI_EESE_xNS9_4plusIvEENS9_8equal_toIvEExEE10hipError_tPvRmT2_T3_T4_T5_mT6_T7_P12ihipStream_tbENKUlT_T0_E_clISt17integral_constantIbLb1EES13_IbLb0EEEEDaSZ_S10_EUlSZ_E_NS1_11comp_targetILNS1_3genE0ELNS1_11target_archE4294967295ELNS1_3gpuE0ELNS1_3repE0EEENS1_30default_config_static_selectorELNS0_4arch9wavefront6targetE0EEEvT1_
	.globl	_ZN7rocprim17ROCPRIM_400000_NS6detail17trampoline_kernelINS0_14default_configENS1_27scan_by_key_config_selectorIxxEEZZNS1_16scan_by_key_implILNS1_25lookback_scan_determinismE0ELb0ES3_N6thrust23THRUST_200600_302600_NS6detail15normal_iteratorINS9_10device_ptrIxEEEENS9_18transform_iteratorINS9_6negateIxEESE_NS9_11use_defaultESI_EESE_xNS9_4plusIvEENS9_8equal_toIvEExEE10hipError_tPvRmT2_T3_T4_T5_mT6_T7_P12ihipStream_tbENKUlT_T0_E_clISt17integral_constantIbLb1EES13_IbLb0EEEEDaSZ_S10_EUlSZ_E_NS1_11comp_targetILNS1_3genE0ELNS1_11target_archE4294967295ELNS1_3gpuE0ELNS1_3repE0EEENS1_30default_config_static_selectorELNS0_4arch9wavefront6targetE0EEEvT1_
	.p2align	8
	.type	_ZN7rocprim17ROCPRIM_400000_NS6detail17trampoline_kernelINS0_14default_configENS1_27scan_by_key_config_selectorIxxEEZZNS1_16scan_by_key_implILNS1_25lookback_scan_determinismE0ELb0ES3_N6thrust23THRUST_200600_302600_NS6detail15normal_iteratorINS9_10device_ptrIxEEEENS9_18transform_iteratorINS9_6negateIxEESE_NS9_11use_defaultESI_EESE_xNS9_4plusIvEENS9_8equal_toIvEExEE10hipError_tPvRmT2_T3_T4_T5_mT6_T7_P12ihipStream_tbENKUlT_T0_E_clISt17integral_constantIbLb1EES13_IbLb0EEEEDaSZ_S10_EUlSZ_E_NS1_11comp_targetILNS1_3genE0ELNS1_11target_archE4294967295ELNS1_3gpuE0ELNS1_3repE0EEENS1_30default_config_static_selectorELNS0_4arch9wavefront6targetE0EEEvT1_,@function
_ZN7rocprim17ROCPRIM_400000_NS6detail17trampoline_kernelINS0_14default_configENS1_27scan_by_key_config_selectorIxxEEZZNS1_16scan_by_key_implILNS1_25lookback_scan_determinismE0ELb0ES3_N6thrust23THRUST_200600_302600_NS6detail15normal_iteratorINS9_10device_ptrIxEEEENS9_18transform_iteratorINS9_6negateIxEESE_NS9_11use_defaultESI_EESE_xNS9_4plusIvEENS9_8equal_toIvEExEE10hipError_tPvRmT2_T3_T4_T5_mT6_T7_P12ihipStream_tbENKUlT_T0_E_clISt17integral_constantIbLb1EES13_IbLb0EEEEDaSZ_S10_EUlSZ_E_NS1_11comp_targetILNS1_3genE0ELNS1_11target_archE4294967295ELNS1_3gpuE0ELNS1_3repE0EEENS1_30default_config_static_selectorELNS0_4arch9wavefront6targetE0EEEvT1_: ; @_ZN7rocprim17ROCPRIM_400000_NS6detail17trampoline_kernelINS0_14default_configENS1_27scan_by_key_config_selectorIxxEEZZNS1_16scan_by_key_implILNS1_25lookback_scan_determinismE0ELb0ES3_N6thrust23THRUST_200600_302600_NS6detail15normal_iteratorINS9_10device_ptrIxEEEENS9_18transform_iteratorINS9_6negateIxEESE_NS9_11use_defaultESI_EESE_xNS9_4plusIvEENS9_8equal_toIvEExEE10hipError_tPvRmT2_T3_T4_T5_mT6_T7_P12ihipStream_tbENKUlT_T0_E_clISt17integral_constantIbLb1EES13_IbLb0EEEEDaSZ_S10_EUlSZ_E_NS1_11comp_targetILNS1_3genE0ELNS1_11target_archE4294967295ELNS1_3gpuE0ELNS1_3repE0EEENS1_30default_config_static_selectorELNS0_4arch9wavefront6targetE0EEEvT1_
; %bb.0:
	.section	.rodata,"a",@progbits
	.p2align	6, 0x0
	.amdhsa_kernel _ZN7rocprim17ROCPRIM_400000_NS6detail17trampoline_kernelINS0_14default_configENS1_27scan_by_key_config_selectorIxxEEZZNS1_16scan_by_key_implILNS1_25lookback_scan_determinismE0ELb0ES3_N6thrust23THRUST_200600_302600_NS6detail15normal_iteratorINS9_10device_ptrIxEEEENS9_18transform_iteratorINS9_6negateIxEESE_NS9_11use_defaultESI_EESE_xNS9_4plusIvEENS9_8equal_toIvEExEE10hipError_tPvRmT2_T3_T4_T5_mT6_T7_P12ihipStream_tbENKUlT_T0_E_clISt17integral_constantIbLb1EES13_IbLb0EEEEDaSZ_S10_EUlSZ_E_NS1_11comp_targetILNS1_3genE0ELNS1_11target_archE4294967295ELNS1_3gpuE0ELNS1_3repE0EEENS1_30default_config_static_selectorELNS0_4arch9wavefront6targetE0EEEvT1_
		.amdhsa_group_segment_fixed_size 0
		.amdhsa_private_segment_fixed_size 0
		.amdhsa_kernarg_size 144
		.amdhsa_user_sgpr_count 6
		.amdhsa_user_sgpr_private_segment_buffer 1
		.amdhsa_user_sgpr_dispatch_ptr 0
		.amdhsa_user_sgpr_queue_ptr 0
		.amdhsa_user_sgpr_kernarg_segment_ptr 1
		.amdhsa_user_sgpr_dispatch_id 0
		.amdhsa_user_sgpr_flat_scratch_init 0
		.amdhsa_user_sgpr_private_segment_size 0
		.amdhsa_wavefront_size32 1
		.amdhsa_uses_dynamic_stack 0
		.amdhsa_system_sgpr_private_segment_wavefront_offset 0
		.amdhsa_system_sgpr_workgroup_id_x 1
		.amdhsa_system_sgpr_workgroup_id_y 0
		.amdhsa_system_sgpr_workgroup_id_z 0
		.amdhsa_system_sgpr_workgroup_info 0
		.amdhsa_system_vgpr_workitem_id 0
		.amdhsa_next_free_vgpr 1
		.amdhsa_next_free_sgpr 1
		.amdhsa_reserve_vcc 0
		.amdhsa_reserve_flat_scratch 0
		.amdhsa_float_round_mode_32 0
		.amdhsa_float_round_mode_16_64 0
		.amdhsa_float_denorm_mode_32 3
		.amdhsa_float_denorm_mode_16_64 3
		.amdhsa_dx10_clamp 1
		.amdhsa_ieee_mode 1
		.amdhsa_fp16_overflow 0
		.amdhsa_workgroup_processor_mode 1
		.amdhsa_memory_ordered 1
		.amdhsa_forward_progress 1
		.amdhsa_shared_vgpr_count 0
		.amdhsa_exception_fp_ieee_invalid_op 0
		.amdhsa_exception_fp_denorm_src 0
		.amdhsa_exception_fp_ieee_div_zero 0
		.amdhsa_exception_fp_ieee_overflow 0
		.amdhsa_exception_fp_ieee_underflow 0
		.amdhsa_exception_fp_ieee_inexact 0
		.amdhsa_exception_int_div_zero 0
	.end_amdhsa_kernel
	.section	.text._ZN7rocprim17ROCPRIM_400000_NS6detail17trampoline_kernelINS0_14default_configENS1_27scan_by_key_config_selectorIxxEEZZNS1_16scan_by_key_implILNS1_25lookback_scan_determinismE0ELb0ES3_N6thrust23THRUST_200600_302600_NS6detail15normal_iteratorINS9_10device_ptrIxEEEENS9_18transform_iteratorINS9_6negateIxEESE_NS9_11use_defaultESI_EESE_xNS9_4plusIvEENS9_8equal_toIvEExEE10hipError_tPvRmT2_T3_T4_T5_mT6_T7_P12ihipStream_tbENKUlT_T0_E_clISt17integral_constantIbLb1EES13_IbLb0EEEEDaSZ_S10_EUlSZ_E_NS1_11comp_targetILNS1_3genE0ELNS1_11target_archE4294967295ELNS1_3gpuE0ELNS1_3repE0EEENS1_30default_config_static_selectorELNS0_4arch9wavefront6targetE0EEEvT1_,"axG",@progbits,_ZN7rocprim17ROCPRIM_400000_NS6detail17trampoline_kernelINS0_14default_configENS1_27scan_by_key_config_selectorIxxEEZZNS1_16scan_by_key_implILNS1_25lookback_scan_determinismE0ELb0ES3_N6thrust23THRUST_200600_302600_NS6detail15normal_iteratorINS9_10device_ptrIxEEEENS9_18transform_iteratorINS9_6negateIxEESE_NS9_11use_defaultESI_EESE_xNS9_4plusIvEENS9_8equal_toIvEExEE10hipError_tPvRmT2_T3_T4_T5_mT6_T7_P12ihipStream_tbENKUlT_T0_E_clISt17integral_constantIbLb1EES13_IbLb0EEEEDaSZ_S10_EUlSZ_E_NS1_11comp_targetILNS1_3genE0ELNS1_11target_archE4294967295ELNS1_3gpuE0ELNS1_3repE0EEENS1_30default_config_static_selectorELNS0_4arch9wavefront6targetE0EEEvT1_,comdat
.Lfunc_end911:
	.size	_ZN7rocprim17ROCPRIM_400000_NS6detail17trampoline_kernelINS0_14default_configENS1_27scan_by_key_config_selectorIxxEEZZNS1_16scan_by_key_implILNS1_25lookback_scan_determinismE0ELb0ES3_N6thrust23THRUST_200600_302600_NS6detail15normal_iteratorINS9_10device_ptrIxEEEENS9_18transform_iteratorINS9_6negateIxEESE_NS9_11use_defaultESI_EESE_xNS9_4plusIvEENS9_8equal_toIvEExEE10hipError_tPvRmT2_T3_T4_T5_mT6_T7_P12ihipStream_tbENKUlT_T0_E_clISt17integral_constantIbLb1EES13_IbLb0EEEEDaSZ_S10_EUlSZ_E_NS1_11comp_targetILNS1_3genE0ELNS1_11target_archE4294967295ELNS1_3gpuE0ELNS1_3repE0EEENS1_30default_config_static_selectorELNS0_4arch9wavefront6targetE0EEEvT1_, .Lfunc_end911-_ZN7rocprim17ROCPRIM_400000_NS6detail17trampoline_kernelINS0_14default_configENS1_27scan_by_key_config_selectorIxxEEZZNS1_16scan_by_key_implILNS1_25lookback_scan_determinismE0ELb0ES3_N6thrust23THRUST_200600_302600_NS6detail15normal_iteratorINS9_10device_ptrIxEEEENS9_18transform_iteratorINS9_6negateIxEESE_NS9_11use_defaultESI_EESE_xNS9_4plusIvEENS9_8equal_toIvEExEE10hipError_tPvRmT2_T3_T4_T5_mT6_T7_P12ihipStream_tbENKUlT_T0_E_clISt17integral_constantIbLb1EES13_IbLb0EEEEDaSZ_S10_EUlSZ_E_NS1_11comp_targetILNS1_3genE0ELNS1_11target_archE4294967295ELNS1_3gpuE0ELNS1_3repE0EEENS1_30default_config_static_selectorELNS0_4arch9wavefront6targetE0EEEvT1_
                                        ; -- End function
	.set _ZN7rocprim17ROCPRIM_400000_NS6detail17trampoline_kernelINS0_14default_configENS1_27scan_by_key_config_selectorIxxEEZZNS1_16scan_by_key_implILNS1_25lookback_scan_determinismE0ELb0ES3_N6thrust23THRUST_200600_302600_NS6detail15normal_iteratorINS9_10device_ptrIxEEEENS9_18transform_iteratorINS9_6negateIxEESE_NS9_11use_defaultESI_EESE_xNS9_4plusIvEENS9_8equal_toIvEExEE10hipError_tPvRmT2_T3_T4_T5_mT6_T7_P12ihipStream_tbENKUlT_T0_E_clISt17integral_constantIbLb1EES13_IbLb0EEEEDaSZ_S10_EUlSZ_E_NS1_11comp_targetILNS1_3genE0ELNS1_11target_archE4294967295ELNS1_3gpuE0ELNS1_3repE0EEENS1_30default_config_static_selectorELNS0_4arch9wavefront6targetE0EEEvT1_.num_vgpr, 0
	.set _ZN7rocprim17ROCPRIM_400000_NS6detail17trampoline_kernelINS0_14default_configENS1_27scan_by_key_config_selectorIxxEEZZNS1_16scan_by_key_implILNS1_25lookback_scan_determinismE0ELb0ES3_N6thrust23THRUST_200600_302600_NS6detail15normal_iteratorINS9_10device_ptrIxEEEENS9_18transform_iteratorINS9_6negateIxEESE_NS9_11use_defaultESI_EESE_xNS9_4plusIvEENS9_8equal_toIvEExEE10hipError_tPvRmT2_T3_T4_T5_mT6_T7_P12ihipStream_tbENKUlT_T0_E_clISt17integral_constantIbLb1EES13_IbLb0EEEEDaSZ_S10_EUlSZ_E_NS1_11comp_targetILNS1_3genE0ELNS1_11target_archE4294967295ELNS1_3gpuE0ELNS1_3repE0EEENS1_30default_config_static_selectorELNS0_4arch9wavefront6targetE0EEEvT1_.num_agpr, 0
	.set _ZN7rocprim17ROCPRIM_400000_NS6detail17trampoline_kernelINS0_14default_configENS1_27scan_by_key_config_selectorIxxEEZZNS1_16scan_by_key_implILNS1_25lookback_scan_determinismE0ELb0ES3_N6thrust23THRUST_200600_302600_NS6detail15normal_iteratorINS9_10device_ptrIxEEEENS9_18transform_iteratorINS9_6negateIxEESE_NS9_11use_defaultESI_EESE_xNS9_4plusIvEENS9_8equal_toIvEExEE10hipError_tPvRmT2_T3_T4_T5_mT6_T7_P12ihipStream_tbENKUlT_T0_E_clISt17integral_constantIbLb1EES13_IbLb0EEEEDaSZ_S10_EUlSZ_E_NS1_11comp_targetILNS1_3genE0ELNS1_11target_archE4294967295ELNS1_3gpuE0ELNS1_3repE0EEENS1_30default_config_static_selectorELNS0_4arch9wavefront6targetE0EEEvT1_.numbered_sgpr, 0
	.set _ZN7rocprim17ROCPRIM_400000_NS6detail17trampoline_kernelINS0_14default_configENS1_27scan_by_key_config_selectorIxxEEZZNS1_16scan_by_key_implILNS1_25lookback_scan_determinismE0ELb0ES3_N6thrust23THRUST_200600_302600_NS6detail15normal_iteratorINS9_10device_ptrIxEEEENS9_18transform_iteratorINS9_6negateIxEESE_NS9_11use_defaultESI_EESE_xNS9_4plusIvEENS9_8equal_toIvEExEE10hipError_tPvRmT2_T3_T4_T5_mT6_T7_P12ihipStream_tbENKUlT_T0_E_clISt17integral_constantIbLb1EES13_IbLb0EEEEDaSZ_S10_EUlSZ_E_NS1_11comp_targetILNS1_3genE0ELNS1_11target_archE4294967295ELNS1_3gpuE0ELNS1_3repE0EEENS1_30default_config_static_selectorELNS0_4arch9wavefront6targetE0EEEvT1_.num_named_barrier, 0
	.set _ZN7rocprim17ROCPRIM_400000_NS6detail17trampoline_kernelINS0_14default_configENS1_27scan_by_key_config_selectorIxxEEZZNS1_16scan_by_key_implILNS1_25lookback_scan_determinismE0ELb0ES3_N6thrust23THRUST_200600_302600_NS6detail15normal_iteratorINS9_10device_ptrIxEEEENS9_18transform_iteratorINS9_6negateIxEESE_NS9_11use_defaultESI_EESE_xNS9_4plusIvEENS9_8equal_toIvEExEE10hipError_tPvRmT2_T3_T4_T5_mT6_T7_P12ihipStream_tbENKUlT_T0_E_clISt17integral_constantIbLb1EES13_IbLb0EEEEDaSZ_S10_EUlSZ_E_NS1_11comp_targetILNS1_3genE0ELNS1_11target_archE4294967295ELNS1_3gpuE0ELNS1_3repE0EEENS1_30default_config_static_selectorELNS0_4arch9wavefront6targetE0EEEvT1_.private_seg_size, 0
	.set _ZN7rocprim17ROCPRIM_400000_NS6detail17trampoline_kernelINS0_14default_configENS1_27scan_by_key_config_selectorIxxEEZZNS1_16scan_by_key_implILNS1_25lookback_scan_determinismE0ELb0ES3_N6thrust23THRUST_200600_302600_NS6detail15normal_iteratorINS9_10device_ptrIxEEEENS9_18transform_iteratorINS9_6negateIxEESE_NS9_11use_defaultESI_EESE_xNS9_4plusIvEENS9_8equal_toIvEExEE10hipError_tPvRmT2_T3_T4_T5_mT6_T7_P12ihipStream_tbENKUlT_T0_E_clISt17integral_constantIbLb1EES13_IbLb0EEEEDaSZ_S10_EUlSZ_E_NS1_11comp_targetILNS1_3genE0ELNS1_11target_archE4294967295ELNS1_3gpuE0ELNS1_3repE0EEENS1_30default_config_static_selectorELNS0_4arch9wavefront6targetE0EEEvT1_.uses_vcc, 0
	.set _ZN7rocprim17ROCPRIM_400000_NS6detail17trampoline_kernelINS0_14default_configENS1_27scan_by_key_config_selectorIxxEEZZNS1_16scan_by_key_implILNS1_25lookback_scan_determinismE0ELb0ES3_N6thrust23THRUST_200600_302600_NS6detail15normal_iteratorINS9_10device_ptrIxEEEENS9_18transform_iteratorINS9_6negateIxEESE_NS9_11use_defaultESI_EESE_xNS9_4plusIvEENS9_8equal_toIvEExEE10hipError_tPvRmT2_T3_T4_T5_mT6_T7_P12ihipStream_tbENKUlT_T0_E_clISt17integral_constantIbLb1EES13_IbLb0EEEEDaSZ_S10_EUlSZ_E_NS1_11comp_targetILNS1_3genE0ELNS1_11target_archE4294967295ELNS1_3gpuE0ELNS1_3repE0EEENS1_30default_config_static_selectorELNS0_4arch9wavefront6targetE0EEEvT1_.uses_flat_scratch, 0
	.set _ZN7rocprim17ROCPRIM_400000_NS6detail17trampoline_kernelINS0_14default_configENS1_27scan_by_key_config_selectorIxxEEZZNS1_16scan_by_key_implILNS1_25lookback_scan_determinismE0ELb0ES3_N6thrust23THRUST_200600_302600_NS6detail15normal_iteratorINS9_10device_ptrIxEEEENS9_18transform_iteratorINS9_6negateIxEESE_NS9_11use_defaultESI_EESE_xNS9_4plusIvEENS9_8equal_toIvEExEE10hipError_tPvRmT2_T3_T4_T5_mT6_T7_P12ihipStream_tbENKUlT_T0_E_clISt17integral_constantIbLb1EES13_IbLb0EEEEDaSZ_S10_EUlSZ_E_NS1_11comp_targetILNS1_3genE0ELNS1_11target_archE4294967295ELNS1_3gpuE0ELNS1_3repE0EEENS1_30default_config_static_selectorELNS0_4arch9wavefront6targetE0EEEvT1_.has_dyn_sized_stack, 0
	.set _ZN7rocprim17ROCPRIM_400000_NS6detail17trampoline_kernelINS0_14default_configENS1_27scan_by_key_config_selectorIxxEEZZNS1_16scan_by_key_implILNS1_25lookback_scan_determinismE0ELb0ES3_N6thrust23THRUST_200600_302600_NS6detail15normal_iteratorINS9_10device_ptrIxEEEENS9_18transform_iteratorINS9_6negateIxEESE_NS9_11use_defaultESI_EESE_xNS9_4plusIvEENS9_8equal_toIvEExEE10hipError_tPvRmT2_T3_T4_T5_mT6_T7_P12ihipStream_tbENKUlT_T0_E_clISt17integral_constantIbLb1EES13_IbLb0EEEEDaSZ_S10_EUlSZ_E_NS1_11comp_targetILNS1_3genE0ELNS1_11target_archE4294967295ELNS1_3gpuE0ELNS1_3repE0EEENS1_30default_config_static_selectorELNS0_4arch9wavefront6targetE0EEEvT1_.has_recursion, 0
	.set _ZN7rocprim17ROCPRIM_400000_NS6detail17trampoline_kernelINS0_14default_configENS1_27scan_by_key_config_selectorIxxEEZZNS1_16scan_by_key_implILNS1_25lookback_scan_determinismE0ELb0ES3_N6thrust23THRUST_200600_302600_NS6detail15normal_iteratorINS9_10device_ptrIxEEEENS9_18transform_iteratorINS9_6negateIxEESE_NS9_11use_defaultESI_EESE_xNS9_4plusIvEENS9_8equal_toIvEExEE10hipError_tPvRmT2_T3_T4_T5_mT6_T7_P12ihipStream_tbENKUlT_T0_E_clISt17integral_constantIbLb1EES13_IbLb0EEEEDaSZ_S10_EUlSZ_E_NS1_11comp_targetILNS1_3genE0ELNS1_11target_archE4294967295ELNS1_3gpuE0ELNS1_3repE0EEENS1_30default_config_static_selectorELNS0_4arch9wavefront6targetE0EEEvT1_.has_indirect_call, 0
	.section	.AMDGPU.csdata,"",@progbits
; Kernel info:
; codeLenInByte = 0
; TotalNumSgprs: 0
; NumVgprs: 0
; ScratchSize: 0
; MemoryBound: 0
; FloatMode: 240
; IeeeMode: 1
; LDSByteSize: 0 bytes/workgroup (compile time only)
; SGPRBlocks: 0
; VGPRBlocks: 0
; NumSGPRsForWavesPerEU: 1
; NumVGPRsForWavesPerEU: 1
; Occupancy: 16
; WaveLimiterHint : 0
; COMPUTE_PGM_RSRC2:SCRATCH_EN: 0
; COMPUTE_PGM_RSRC2:USER_SGPR: 6
; COMPUTE_PGM_RSRC2:TRAP_HANDLER: 0
; COMPUTE_PGM_RSRC2:TGID_X_EN: 1
; COMPUTE_PGM_RSRC2:TGID_Y_EN: 0
; COMPUTE_PGM_RSRC2:TGID_Z_EN: 0
; COMPUTE_PGM_RSRC2:TIDIG_COMP_CNT: 0
	.section	.text._ZN7rocprim17ROCPRIM_400000_NS6detail17trampoline_kernelINS0_14default_configENS1_27scan_by_key_config_selectorIxxEEZZNS1_16scan_by_key_implILNS1_25lookback_scan_determinismE0ELb0ES3_N6thrust23THRUST_200600_302600_NS6detail15normal_iteratorINS9_10device_ptrIxEEEENS9_18transform_iteratorINS9_6negateIxEESE_NS9_11use_defaultESI_EESE_xNS9_4plusIvEENS9_8equal_toIvEExEE10hipError_tPvRmT2_T3_T4_T5_mT6_T7_P12ihipStream_tbENKUlT_T0_E_clISt17integral_constantIbLb1EES13_IbLb0EEEEDaSZ_S10_EUlSZ_E_NS1_11comp_targetILNS1_3genE10ELNS1_11target_archE1201ELNS1_3gpuE5ELNS1_3repE0EEENS1_30default_config_static_selectorELNS0_4arch9wavefront6targetE0EEEvT1_,"axG",@progbits,_ZN7rocprim17ROCPRIM_400000_NS6detail17trampoline_kernelINS0_14default_configENS1_27scan_by_key_config_selectorIxxEEZZNS1_16scan_by_key_implILNS1_25lookback_scan_determinismE0ELb0ES3_N6thrust23THRUST_200600_302600_NS6detail15normal_iteratorINS9_10device_ptrIxEEEENS9_18transform_iteratorINS9_6negateIxEESE_NS9_11use_defaultESI_EESE_xNS9_4plusIvEENS9_8equal_toIvEExEE10hipError_tPvRmT2_T3_T4_T5_mT6_T7_P12ihipStream_tbENKUlT_T0_E_clISt17integral_constantIbLb1EES13_IbLb0EEEEDaSZ_S10_EUlSZ_E_NS1_11comp_targetILNS1_3genE10ELNS1_11target_archE1201ELNS1_3gpuE5ELNS1_3repE0EEENS1_30default_config_static_selectorELNS0_4arch9wavefront6targetE0EEEvT1_,comdat
	.protected	_ZN7rocprim17ROCPRIM_400000_NS6detail17trampoline_kernelINS0_14default_configENS1_27scan_by_key_config_selectorIxxEEZZNS1_16scan_by_key_implILNS1_25lookback_scan_determinismE0ELb0ES3_N6thrust23THRUST_200600_302600_NS6detail15normal_iteratorINS9_10device_ptrIxEEEENS9_18transform_iteratorINS9_6negateIxEESE_NS9_11use_defaultESI_EESE_xNS9_4plusIvEENS9_8equal_toIvEExEE10hipError_tPvRmT2_T3_T4_T5_mT6_T7_P12ihipStream_tbENKUlT_T0_E_clISt17integral_constantIbLb1EES13_IbLb0EEEEDaSZ_S10_EUlSZ_E_NS1_11comp_targetILNS1_3genE10ELNS1_11target_archE1201ELNS1_3gpuE5ELNS1_3repE0EEENS1_30default_config_static_selectorELNS0_4arch9wavefront6targetE0EEEvT1_ ; -- Begin function _ZN7rocprim17ROCPRIM_400000_NS6detail17trampoline_kernelINS0_14default_configENS1_27scan_by_key_config_selectorIxxEEZZNS1_16scan_by_key_implILNS1_25lookback_scan_determinismE0ELb0ES3_N6thrust23THRUST_200600_302600_NS6detail15normal_iteratorINS9_10device_ptrIxEEEENS9_18transform_iteratorINS9_6negateIxEESE_NS9_11use_defaultESI_EESE_xNS9_4plusIvEENS9_8equal_toIvEExEE10hipError_tPvRmT2_T3_T4_T5_mT6_T7_P12ihipStream_tbENKUlT_T0_E_clISt17integral_constantIbLb1EES13_IbLb0EEEEDaSZ_S10_EUlSZ_E_NS1_11comp_targetILNS1_3genE10ELNS1_11target_archE1201ELNS1_3gpuE5ELNS1_3repE0EEENS1_30default_config_static_selectorELNS0_4arch9wavefront6targetE0EEEvT1_
	.globl	_ZN7rocprim17ROCPRIM_400000_NS6detail17trampoline_kernelINS0_14default_configENS1_27scan_by_key_config_selectorIxxEEZZNS1_16scan_by_key_implILNS1_25lookback_scan_determinismE0ELb0ES3_N6thrust23THRUST_200600_302600_NS6detail15normal_iteratorINS9_10device_ptrIxEEEENS9_18transform_iteratorINS9_6negateIxEESE_NS9_11use_defaultESI_EESE_xNS9_4plusIvEENS9_8equal_toIvEExEE10hipError_tPvRmT2_T3_T4_T5_mT6_T7_P12ihipStream_tbENKUlT_T0_E_clISt17integral_constantIbLb1EES13_IbLb0EEEEDaSZ_S10_EUlSZ_E_NS1_11comp_targetILNS1_3genE10ELNS1_11target_archE1201ELNS1_3gpuE5ELNS1_3repE0EEENS1_30default_config_static_selectorELNS0_4arch9wavefront6targetE0EEEvT1_
	.p2align	8
	.type	_ZN7rocprim17ROCPRIM_400000_NS6detail17trampoline_kernelINS0_14default_configENS1_27scan_by_key_config_selectorIxxEEZZNS1_16scan_by_key_implILNS1_25lookback_scan_determinismE0ELb0ES3_N6thrust23THRUST_200600_302600_NS6detail15normal_iteratorINS9_10device_ptrIxEEEENS9_18transform_iteratorINS9_6negateIxEESE_NS9_11use_defaultESI_EESE_xNS9_4plusIvEENS9_8equal_toIvEExEE10hipError_tPvRmT2_T3_T4_T5_mT6_T7_P12ihipStream_tbENKUlT_T0_E_clISt17integral_constantIbLb1EES13_IbLb0EEEEDaSZ_S10_EUlSZ_E_NS1_11comp_targetILNS1_3genE10ELNS1_11target_archE1201ELNS1_3gpuE5ELNS1_3repE0EEENS1_30default_config_static_selectorELNS0_4arch9wavefront6targetE0EEEvT1_,@function
_ZN7rocprim17ROCPRIM_400000_NS6detail17trampoline_kernelINS0_14default_configENS1_27scan_by_key_config_selectorIxxEEZZNS1_16scan_by_key_implILNS1_25lookback_scan_determinismE0ELb0ES3_N6thrust23THRUST_200600_302600_NS6detail15normal_iteratorINS9_10device_ptrIxEEEENS9_18transform_iteratorINS9_6negateIxEESE_NS9_11use_defaultESI_EESE_xNS9_4plusIvEENS9_8equal_toIvEExEE10hipError_tPvRmT2_T3_T4_T5_mT6_T7_P12ihipStream_tbENKUlT_T0_E_clISt17integral_constantIbLb1EES13_IbLb0EEEEDaSZ_S10_EUlSZ_E_NS1_11comp_targetILNS1_3genE10ELNS1_11target_archE1201ELNS1_3gpuE5ELNS1_3repE0EEENS1_30default_config_static_selectorELNS0_4arch9wavefront6targetE0EEEvT1_: ; @_ZN7rocprim17ROCPRIM_400000_NS6detail17trampoline_kernelINS0_14default_configENS1_27scan_by_key_config_selectorIxxEEZZNS1_16scan_by_key_implILNS1_25lookback_scan_determinismE0ELb0ES3_N6thrust23THRUST_200600_302600_NS6detail15normal_iteratorINS9_10device_ptrIxEEEENS9_18transform_iteratorINS9_6negateIxEESE_NS9_11use_defaultESI_EESE_xNS9_4plusIvEENS9_8equal_toIvEExEE10hipError_tPvRmT2_T3_T4_T5_mT6_T7_P12ihipStream_tbENKUlT_T0_E_clISt17integral_constantIbLb1EES13_IbLb0EEEEDaSZ_S10_EUlSZ_E_NS1_11comp_targetILNS1_3genE10ELNS1_11target_archE1201ELNS1_3gpuE5ELNS1_3repE0EEENS1_30default_config_static_selectorELNS0_4arch9wavefront6targetE0EEEvT1_
; %bb.0:
	.section	.rodata,"a",@progbits
	.p2align	6, 0x0
	.amdhsa_kernel _ZN7rocprim17ROCPRIM_400000_NS6detail17trampoline_kernelINS0_14default_configENS1_27scan_by_key_config_selectorIxxEEZZNS1_16scan_by_key_implILNS1_25lookback_scan_determinismE0ELb0ES3_N6thrust23THRUST_200600_302600_NS6detail15normal_iteratorINS9_10device_ptrIxEEEENS9_18transform_iteratorINS9_6negateIxEESE_NS9_11use_defaultESI_EESE_xNS9_4plusIvEENS9_8equal_toIvEExEE10hipError_tPvRmT2_T3_T4_T5_mT6_T7_P12ihipStream_tbENKUlT_T0_E_clISt17integral_constantIbLb1EES13_IbLb0EEEEDaSZ_S10_EUlSZ_E_NS1_11comp_targetILNS1_3genE10ELNS1_11target_archE1201ELNS1_3gpuE5ELNS1_3repE0EEENS1_30default_config_static_selectorELNS0_4arch9wavefront6targetE0EEEvT1_
		.amdhsa_group_segment_fixed_size 0
		.amdhsa_private_segment_fixed_size 0
		.amdhsa_kernarg_size 144
		.amdhsa_user_sgpr_count 6
		.amdhsa_user_sgpr_private_segment_buffer 1
		.amdhsa_user_sgpr_dispatch_ptr 0
		.amdhsa_user_sgpr_queue_ptr 0
		.amdhsa_user_sgpr_kernarg_segment_ptr 1
		.amdhsa_user_sgpr_dispatch_id 0
		.amdhsa_user_sgpr_flat_scratch_init 0
		.amdhsa_user_sgpr_private_segment_size 0
		.amdhsa_wavefront_size32 1
		.amdhsa_uses_dynamic_stack 0
		.amdhsa_system_sgpr_private_segment_wavefront_offset 0
		.amdhsa_system_sgpr_workgroup_id_x 1
		.amdhsa_system_sgpr_workgroup_id_y 0
		.amdhsa_system_sgpr_workgroup_id_z 0
		.amdhsa_system_sgpr_workgroup_info 0
		.amdhsa_system_vgpr_workitem_id 0
		.amdhsa_next_free_vgpr 1
		.amdhsa_next_free_sgpr 1
		.amdhsa_reserve_vcc 0
		.amdhsa_reserve_flat_scratch 0
		.amdhsa_float_round_mode_32 0
		.amdhsa_float_round_mode_16_64 0
		.amdhsa_float_denorm_mode_32 3
		.amdhsa_float_denorm_mode_16_64 3
		.amdhsa_dx10_clamp 1
		.amdhsa_ieee_mode 1
		.amdhsa_fp16_overflow 0
		.amdhsa_workgroup_processor_mode 1
		.amdhsa_memory_ordered 1
		.amdhsa_forward_progress 1
		.amdhsa_shared_vgpr_count 0
		.amdhsa_exception_fp_ieee_invalid_op 0
		.amdhsa_exception_fp_denorm_src 0
		.amdhsa_exception_fp_ieee_div_zero 0
		.amdhsa_exception_fp_ieee_overflow 0
		.amdhsa_exception_fp_ieee_underflow 0
		.amdhsa_exception_fp_ieee_inexact 0
		.amdhsa_exception_int_div_zero 0
	.end_amdhsa_kernel
	.section	.text._ZN7rocprim17ROCPRIM_400000_NS6detail17trampoline_kernelINS0_14default_configENS1_27scan_by_key_config_selectorIxxEEZZNS1_16scan_by_key_implILNS1_25lookback_scan_determinismE0ELb0ES3_N6thrust23THRUST_200600_302600_NS6detail15normal_iteratorINS9_10device_ptrIxEEEENS9_18transform_iteratorINS9_6negateIxEESE_NS9_11use_defaultESI_EESE_xNS9_4plusIvEENS9_8equal_toIvEExEE10hipError_tPvRmT2_T3_T4_T5_mT6_T7_P12ihipStream_tbENKUlT_T0_E_clISt17integral_constantIbLb1EES13_IbLb0EEEEDaSZ_S10_EUlSZ_E_NS1_11comp_targetILNS1_3genE10ELNS1_11target_archE1201ELNS1_3gpuE5ELNS1_3repE0EEENS1_30default_config_static_selectorELNS0_4arch9wavefront6targetE0EEEvT1_,"axG",@progbits,_ZN7rocprim17ROCPRIM_400000_NS6detail17trampoline_kernelINS0_14default_configENS1_27scan_by_key_config_selectorIxxEEZZNS1_16scan_by_key_implILNS1_25lookback_scan_determinismE0ELb0ES3_N6thrust23THRUST_200600_302600_NS6detail15normal_iteratorINS9_10device_ptrIxEEEENS9_18transform_iteratorINS9_6negateIxEESE_NS9_11use_defaultESI_EESE_xNS9_4plusIvEENS9_8equal_toIvEExEE10hipError_tPvRmT2_T3_T4_T5_mT6_T7_P12ihipStream_tbENKUlT_T0_E_clISt17integral_constantIbLb1EES13_IbLb0EEEEDaSZ_S10_EUlSZ_E_NS1_11comp_targetILNS1_3genE10ELNS1_11target_archE1201ELNS1_3gpuE5ELNS1_3repE0EEENS1_30default_config_static_selectorELNS0_4arch9wavefront6targetE0EEEvT1_,comdat
.Lfunc_end912:
	.size	_ZN7rocprim17ROCPRIM_400000_NS6detail17trampoline_kernelINS0_14default_configENS1_27scan_by_key_config_selectorIxxEEZZNS1_16scan_by_key_implILNS1_25lookback_scan_determinismE0ELb0ES3_N6thrust23THRUST_200600_302600_NS6detail15normal_iteratorINS9_10device_ptrIxEEEENS9_18transform_iteratorINS9_6negateIxEESE_NS9_11use_defaultESI_EESE_xNS9_4plusIvEENS9_8equal_toIvEExEE10hipError_tPvRmT2_T3_T4_T5_mT6_T7_P12ihipStream_tbENKUlT_T0_E_clISt17integral_constantIbLb1EES13_IbLb0EEEEDaSZ_S10_EUlSZ_E_NS1_11comp_targetILNS1_3genE10ELNS1_11target_archE1201ELNS1_3gpuE5ELNS1_3repE0EEENS1_30default_config_static_selectorELNS0_4arch9wavefront6targetE0EEEvT1_, .Lfunc_end912-_ZN7rocprim17ROCPRIM_400000_NS6detail17trampoline_kernelINS0_14default_configENS1_27scan_by_key_config_selectorIxxEEZZNS1_16scan_by_key_implILNS1_25lookback_scan_determinismE0ELb0ES3_N6thrust23THRUST_200600_302600_NS6detail15normal_iteratorINS9_10device_ptrIxEEEENS9_18transform_iteratorINS9_6negateIxEESE_NS9_11use_defaultESI_EESE_xNS9_4plusIvEENS9_8equal_toIvEExEE10hipError_tPvRmT2_T3_T4_T5_mT6_T7_P12ihipStream_tbENKUlT_T0_E_clISt17integral_constantIbLb1EES13_IbLb0EEEEDaSZ_S10_EUlSZ_E_NS1_11comp_targetILNS1_3genE10ELNS1_11target_archE1201ELNS1_3gpuE5ELNS1_3repE0EEENS1_30default_config_static_selectorELNS0_4arch9wavefront6targetE0EEEvT1_
                                        ; -- End function
	.set _ZN7rocprim17ROCPRIM_400000_NS6detail17trampoline_kernelINS0_14default_configENS1_27scan_by_key_config_selectorIxxEEZZNS1_16scan_by_key_implILNS1_25lookback_scan_determinismE0ELb0ES3_N6thrust23THRUST_200600_302600_NS6detail15normal_iteratorINS9_10device_ptrIxEEEENS9_18transform_iteratorINS9_6negateIxEESE_NS9_11use_defaultESI_EESE_xNS9_4plusIvEENS9_8equal_toIvEExEE10hipError_tPvRmT2_T3_T4_T5_mT6_T7_P12ihipStream_tbENKUlT_T0_E_clISt17integral_constantIbLb1EES13_IbLb0EEEEDaSZ_S10_EUlSZ_E_NS1_11comp_targetILNS1_3genE10ELNS1_11target_archE1201ELNS1_3gpuE5ELNS1_3repE0EEENS1_30default_config_static_selectorELNS0_4arch9wavefront6targetE0EEEvT1_.num_vgpr, 0
	.set _ZN7rocprim17ROCPRIM_400000_NS6detail17trampoline_kernelINS0_14default_configENS1_27scan_by_key_config_selectorIxxEEZZNS1_16scan_by_key_implILNS1_25lookback_scan_determinismE0ELb0ES3_N6thrust23THRUST_200600_302600_NS6detail15normal_iteratorINS9_10device_ptrIxEEEENS9_18transform_iteratorINS9_6negateIxEESE_NS9_11use_defaultESI_EESE_xNS9_4plusIvEENS9_8equal_toIvEExEE10hipError_tPvRmT2_T3_T4_T5_mT6_T7_P12ihipStream_tbENKUlT_T0_E_clISt17integral_constantIbLb1EES13_IbLb0EEEEDaSZ_S10_EUlSZ_E_NS1_11comp_targetILNS1_3genE10ELNS1_11target_archE1201ELNS1_3gpuE5ELNS1_3repE0EEENS1_30default_config_static_selectorELNS0_4arch9wavefront6targetE0EEEvT1_.num_agpr, 0
	.set _ZN7rocprim17ROCPRIM_400000_NS6detail17trampoline_kernelINS0_14default_configENS1_27scan_by_key_config_selectorIxxEEZZNS1_16scan_by_key_implILNS1_25lookback_scan_determinismE0ELb0ES3_N6thrust23THRUST_200600_302600_NS6detail15normal_iteratorINS9_10device_ptrIxEEEENS9_18transform_iteratorINS9_6negateIxEESE_NS9_11use_defaultESI_EESE_xNS9_4plusIvEENS9_8equal_toIvEExEE10hipError_tPvRmT2_T3_T4_T5_mT6_T7_P12ihipStream_tbENKUlT_T0_E_clISt17integral_constantIbLb1EES13_IbLb0EEEEDaSZ_S10_EUlSZ_E_NS1_11comp_targetILNS1_3genE10ELNS1_11target_archE1201ELNS1_3gpuE5ELNS1_3repE0EEENS1_30default_config_static_selectorELNS0_4arch9wavefront6targetE0EEEvT1_.numbered_sgpr, 0
	.set _ZN7rocprim17ROCPRIM_400000_NS6detail17trampoline_kernelINS0_14default_configENS1_27scan_by_key_config_selectorIxxEEZZNS1_16scan_by_key_implILNS1_25lookback_scan_determinismE0ELb0ES3_N6thrust23THRUST_200600_302600_NS6detail15normal_iteratorINS9_10device_ptrIxEEEENS9_18transform_iteratorINS9_6negateIxEESE_NS9_11use_defaultESI_EESE_xNS9_4plusIvEENS9_8equal_toIvEExEE10hipError_tPvRmT2_T3_T4_T5_mT6_T7_P12ihipStream_tbENKUlT_T0_E_clISt17integral_constantIbLb1EES13_IbLb0EEEEDaSZ_S10_EUlSZ_E_NS1_11comp_targetILNS1_3genE10ELNS1_11target_archE1201ELNS1_3gpuE5ELNS1_3repE0EEENS1_30default_config_static_selectorELNS0_4arch9wavefront6targetE0EEEvT1_.num_named_barrier, 0
	.set _ZN7rocprim17ROCPRIM_400000_NS6detail17trampoline_kernelINS0_14default_configENS1_27scan_by_key_config_selectorIxxEEZZNS1_16scan_by_key_implILNS1_25lookback_scan_determinismE0ELb0ES3_N6thrust23THRUST_200600_302600_NS6detail15normal_iteratorINS9_10device_ptrIxEEEENS9_18transform_iteratorINS9_6negateIxEESE_NS9_11use_defaultESI_EESE_xNS9_4plusIvEENS9_8equal_toIvEExEE10hipError_tPvRmT2_T3_T4_T5_mT6_T7_P12ihipStream_tbENKUlT_T0_E_clISt17integral_constantIbLb1EES13_IbLb0EEEEDaSZ_S10_EUlSZ_E_NS1_11comp_targetILNS1_3genE10ELNS1_11target_archE1201ELNS1_3gpuE5ELNS1_3repE0EEENS1_30default_config_static_selectorELNS0_4arch9wavefront6targetE0EEEvT1_.private_seg_size, 0
	.set _ZN7rocprim17ROCPRIM_400000_NS6detail17trampoline_kernelINS0_14default_configENS1_27scan_by_key_config_selectorIxxEEZZNS1_16scan_by_key_implILNS1_25lookback_scan_determinismE0ELb0ES3_N6thrust23THRUST_200600_302600_NS6detail15normal_iteratorINS9_10device_ptrIxEEEENS9_18transform_iteratorINS9_6negateIxEESE_NS9_11use_defaultESI_EESE_xNS9_4plusIvEENS9_8equal_toIvEExEE10hipError_tPvRmT2_T3_T4_T5_mT6_T7_P12ihipStream_tbENKUlT_T0_E_clISt17integral_constantIbLb1EES13_IbLb0EEEEDaSZ_S10_EUlSZ_E_NS1_11comp_targetILNS1_3genE10ELNS1_11target_archE1201ELNS1_3gpuE5ELNS1_3repE0EEENS1_30default_config_static_selectorELNS0_4arch9wavefront6targetE0EEEvT1_.uses_vcc, 0
	.set _ZN7rocprim17ROCPRIM_400000_NS6detail17trampoline_kernelINS0_14default_configENS1_27scan_by_key_config_selectorIxxEEZZNS1_16scan_by_key_implILNS1_25lookback_scan_determinismE0ELb0ES3_N6thrust23THRUST_200600_302600_NS6detail15normal_iteratorINS9_10device_ptrIxEEEENS9_18transform_iteratorINS9_6negateIxEESE_NS9_11use_defaultESI_EESE_xNS9_4plusIvEENS9_8equal_toIvEExEE10hipError_tPvRmT2_T3_T4_T5_mT6_T7_P12ihipStream_tbENKUlT_T0_E_clISt17integral_constantIbLb1EES13_IbLb0EEEEDaSZ_S10_EUlSZ_E_NS1_11comp_targetILNS1_3genE10ELNS1_11target_archE1201ELNS1_3gpuE5ELNS1_3repE0EEENS1_30default_config_static_selectorELNS0_4arch9wavefront6targetE0EEEvT1_.uses_flat_scratch, 0
	.set _ZN7rocprim17ROCPRIM_400000_NS6detail17trampoline_kernelINS0_14default_configENS1_27scan_by_key_config_selectorIxxEEZZNS1_16scan_by_key_implILNS1_25lookback_scan_determinismE0ELb0ES3_N6thrust23THRUST_200600_302600_NS6detail15normal_iteratorINS9_10device_ptrIxEEEENS9_18transform_iteratorINS9_6negateIxEESE_NS9_11use_defaultESI_EESE_xNS9_4plusIvEENS9_8equal_toIvEExEE10hipError_tPvRmT2_T3_T4_T5_mT6_T7_P12ihipStream_tbENKUlT_T0_E_clISt17integral_constantIbLb1EES13_IbLb0EEEEDaSZ_S10_EUlSZ_E_NS1_11comp_targetILNS1_3genE10ELNS1_11target_archE1201ELNS1_3gpuE5ELNS1_3repE0EEENS1_30default_config_static_selectorELNS0_4arch9wavefront6targetE0EEEvT1_.has_dyn_sized_stack, 0
	.set _ZN7rocprim17ROCPRIM_400000_NS6detail17trampoline_kernelINS0_14default_configENS1_27scan_by_key_config_selectorIxxEEZZNS1_16scan_by_key_implILNS1_25lookback_scan_determinismE0ELb0ES3_N6thrust23THRUST_200600_302600_NS6detail15normal_iteratorINS9_10device_ptrIxEEEENS9_18transform_iteratorINS9_6negateIxEESE_NS9_11use_defaultESI_EESE_xNS9_4plusIvEENS9_8equal_toIvEExEE10hipError_tPvRmT2_T3_T4_T5_mT6_T7_P12ihipStream_tbENKUlT_T0_E_clISt17integral_constantIbLb1EES13_IbLb0EEEEDaSZ_S10_EUlSZ_E_NS1_11comp_targetILNS1_3genE10ELNS1_11target_archE1201ELNS1_3gpuE5ELNS1_3repE0EEENS1_30default_config_static_selectorELNS0_4arch9wavefront6targetE0EEEvT1_.has_recursion, 0
	.set _ZN7rocprim17ROCPRIM_400000_NS6detail17trampoline_kernelINS0_14default_configENS1_27scan_by_key_config_selectorIxxEEZZNS1_16scan_by_key_implILNS1_25lookback_scan_determinismE0ELb0ES3_N6thrust23THRUST_200600_302600_NS6detail15normal_iteratorINS9_10device_ptrIxEEEENS9_18transform_iteratorINS9_6negateIxEESE_NS9_11use_defaultESI_EESE_xNS9_4plusIvEENS9_8equal_toIvEExEE10hipError_tPvRmT2_T3_T4_T5_mT6_T7_P12ihipStream_tbENKUlT_T0_E_clISt17integral_constantIbLb1EES13_IbLb0EEEEDaSZ_S10_EUlSZ_E_NS1_11comp_targetILNS1_3genE10ELNS1_11target_archE1201ELNS1_3gpuE5ELNS1_3repE0EEENS1_30default_config_static_selectorELNS0_4arch9wavefront6targetE0EEEvT1_.has_indirect_call, 0
	.section	.AMDGPU.csdata,"",@progbits
; Kernel info:
; codeLenInByte = 0
; TotalNumSgprs: 0
; NumVgprs: 0
; ScratchSize: 0
; MemoryBound: 0
; FloatMode: 240
; IeeeMode: 1
; LDSByteSize: 0 bytes/workgroup (compile time only)
; SGPRBlocks: 0
; VGPRBlocks: 0
; NumSGPRsForWavesPerEU: 1
; NumVGPRsForWavesPerEU: 1
; Occupancy: 16
; WaveLimiterHint : 0
; COMPUTE_PGM_RSRC2:SCRATCH_EN: 0
; COMPUTE_PGM_RSRC2:USER_SGPR: 6
; COMPUTE_PGM_RSRC2:TRAP_HANDLER: 0
; COMPUTE_PGM_RSRC2:TGID_X_EN: 1
; COMPUTE_PGM_RSRC2:TGID_Y_EN: 0
; COMPUTE_PGM_RSRC2:TGID_Z_EN: 0
; COMPUTE_PGM_RSRC2:TIDIG_COMP_CNT: 0
	.section	.text._ZN7rocprim17ROCPRIM_400000_NS6detail17trampoline_kernelINS0_14default_configENS1_27scan_by_key_config_selectorIxxEEZZNS1_16scan_by_key_implILNS1_25lookback_scan_determinismE0ELb0ES3_N6thrust23THRUST_200600_302600_NS6detail15normal_iteratorINS9_10device_ptrIxEEEENS9_18transform_iteratorINS9_6negateIxEESE_NS9_11use_defaultESI_EESE_xNS9_4plusIvEENS9_8equal_toIvEExEE10hipError_tPvRmT2_T3_T4_T5_mT6_T7_P12ihipStream_tbENKUlT_T0_E_clISt17integral_constantIbLb1EES13_IbLb0EEEEDaSZ_S10_EUlSZ_E_NS1_11comp_targetILNS1_3genE5ELNS1_11target_archE942ELNS1_3gpuE9ELNS1_3repE0EEENS1_30default_config_static_selectorELNS0_4arch9wavefront6targetE0EEEvT1_,"axG",@progbits,_ZN7rocprim17ROCPRIM_400000_NS6detail17trampoline_kernelINS0_14default_configENS1_27scan_by_key_config_selectorIxxEEZZNS1_16scan_by_key_implILNS1_25lookback_scan_determinismE0ELb0ES3_N6thrust23THRUST_200600_302600_NS6detail15normal_iteratorINS9_10device_ptrIxEEEENS9_18transform_iteratorINS9_6negateIxEESE_NS9_11use_defaultESI_EESE_xNS9_4plusIvEENS9_8equal_toIvEExEE10hipError_tPvRmT2_T3_T4_T5_mT6_T7_P12ihipStream_tbENKUlT_T0_E_clISt17integral_constantIbLb1EES13_IbLb0EEEEDaSZ_S10_EUlSZ_E_NS1_11comp_targetILNS1_3genE5ELNS1_11target_archE942ELNS1_3gpuE9ELNS1_3repE0EEENS1_30default_config_static_selectorELNS0_4arch9wavefront6targetE0EEEvT1_,comdat
	.protected	_ZN7rocprim17ROCPRIM_400000_NS6detail17trampoline_kernelINS0_14default_configENS1_27scan_by_key_config_selectorIxxEEZZNS1_16scan_by_key_implILNS1_25lookback_scan_determinismE0ELb0ES3_N6thrust23THRUST_200600_302600_NS6detail15normal_iteratorINS9_10device_ptrIxEEEENS9_18transform_iteratorINS9_6negateIxEESE_NS9_11use_defaultESI_EESE_xNS9_4plusIvEENS9_8equal_toIvEExEE10hipError_tPvRmT2_T3_T4_T5_mT6_T7_P12ihipStream_tbENKUlT_T0_E_clISt17integral_constantIbLb1EES13_IbLb0EEEEDaSZ_S10_EUlSZ_E_NS1_11comp_targetILNS1_3genE5ELNS1_11target_archE942ELNS1_3gpuE9ELNS1_3repE0EEENS1_30default_config_static_selectorELNS0_4arch9wavefront6targetE0EEEvT1_ ; -- Begin function _ZN7rocprim17ROCPRIM_400000_NS6detail17trampoline_kernelINS0_14default_configENS1_27scan_by_key_config_selectorIxxEEZZNS1_16scan_by_key_implILNS1_25lookback_scan_determinismE0ELb0ES3_N6thrust23THRUST_200600_302600_NS6detail15normal_iteratorINS9_10device_ptrIxEEEENS9_18transform_iteratorINS9_6negateIxEESE_NS9_11use_defaultESI_EESE_xNS9_4plusIvEENS9_8equal_toIvEExEE10hipError_tPvRmT2_T3_T4_T5_mT6_T7_P12ihipStream_tbENKUlT_T0_E_clISt17integral_constantIbLb1EES13_IbLb0EEEEDaSZ_S10_EUlSZ_E_NS1_11comp_targetILNS1_3genE5ELNS1_11target_archE942ELNS1_3gpuE9ELNS1_3repE0EEENS1_30default_config_static_selectorELNS0_4arch9wavefront6targetE0EEEvT1_
	.globl	_ZN7rocprim17ROCPRIM_400000_NS6detail17trampoline_kernelINS0_14default_configENS1_27scan_by_key_config_selectorIxxEEZZNS1_16scan_by_key_implILNS1_25lookback_scan_determinismE0ELb0ES3_N6thrust23THRUST_200600_302600_NS6detail15normal_iteratorINS9_10device_ptrIxEEEENS9_18transform_iteratorINS9_6negateIxEESE_NS9_11use_defaultESI_EESE_xNS9_4plusIvEENS9_8equal_toIvEExEE10hipError_tPvRmT2_T3_T4_T5_mT6_T7_P12ihipStream_tbENKUlT_T0_E_clISt17integral_constantIbLb1EES13_IbLb0EEEEDaSZ_S10_EUlSZ_E_NS1_11comp_targetILNS1_3genE5ELNS1_11target_archE942ELNS1_3gpuE9ELNS1_3repE0EEENS1_30default_config_static_selectorELNS0_4arch9wavefront6targetE0EEEvT1_
	.p2align	8
	.type	_ZN7rocprim17ROCPRIM_400000_NS6detail17trampoline_kernelINS0_14default_configENS1_27scan_by_key_config_selectorIxxEEZZNS1_16scan_by_key_implILNS1_25lookback_scan_determinismE0ELb0ES3_N6thrust23THRUST_200600_302600_NS6detail15normal_iteratorINS9_10device_ptrIxEEEENS9_18transform_iteratorINS9_6negateIxEESE_NS9_11use_defaultESI_EESE_xNS9_4plusIvEENS9_8equal_toIvEExEE10hipError_tPvRmT2_T3_T4_T5_mT6_T7_P12ihipStream_tbENKUlT_T0_E_clISt17integral_constantIbLb1EES13_IbLb0EEEEDaSZ_S10_EUlSZ_E_NS1_11comp_targetILNS1_3genE5ELNS1_11target_archE942ELNS1_3gpuE9ELNS1_3repE0EEENS1_30default_config_static_selectorELNS0_4arch9wavefront6targetE0EEEvT1_,@function
_ZN7rocprim17ROCPRIM_400000_NS6detail17trampoline_kernelINS0_14default_configENS1_27scan_by_key_config_selectorIxxEEZZNS1_16scan_by_key_implILNS1_25lookback_scan_determinismE0ELb0ES3_N6thrust23THRUST_200600_302600_NS6detail15normal_iteratorINS9_10device_ptrIxEEEENS9_18transform_iteratorINS9_6negateIxEESE_NS9_11use_defaultESI_EESE_xNS9_4plusIvEENS9_8equal_toIvEExEE10hipError_tPvRmT2_T3_T4_T5_mT6_T7_P12ihipStream_tbENKUlT_T0_E_clISt17integral_constantIbLb1EES13_IbLb0EEEEDaSZ_S10_EUlSZ_E_NS1_11comp_targetILNS1_3genE5ELNS1_11target_archE942ELNS1_3gpuE9ELNS1_3repE0EEENS1_30default_config_static_selectorELNS0_4arch9wavefront6targetE0EEEvT1_: ; @_ZN7rocprim17ROCPRIM_400000_NS6detail17trampoline_kernelINS0_14default_configENS1_27scan_by_key_config_selectorIxxEEZZNS1_16scan_by_key_implILNS1_25lookback_scan_determinismE0ELb0ES3_N6thrust23THRUST_200600_302600_NS6detail15normal_iteratorINS9_10device_ptrIxEEEENS9_18transform_iteratorINS9_6negateIxEESE_NS9_11use_defaultESI_EESE_xNS9_4plusIvEENS9_8equal_toIvEExEE10hipError_tPvRmT2_T3_T4_T5_mT6_T7_P12ihipStream_tbENKUlT_T0_E_clISt17integral_constantIbLb1EES13_IbLb0EEEEDaSZ_S10_EUlSZ_E_NS1_11comp_targetILNS1_3genE5ELNS1_11target_archE942ELNS1_3gpuE9ELNS1_3repE0EEENS1_30default_config_static_selectorELNS0_4arch9wavefront6targetE0EEEvT1_
; %bb.0:
	.section	.rodata,"a",@progbits
	.p2align	6, 0x0
	.amdhsa_kernel _ZN7rocprim17ROCPRIM_400000_NS6detail17trampoline_kernelINS0_14default_configENS1_27scan_by_key_config_selectorIxxEEZZNS1_16scan_by_key_implILNS1_25lookback_scan_determinismE0ELb0ES3_N6thrust23THRUST_200600_302600_NS6detail15normal_iteratorINS9_10device_ptrIxEEEENS9_18transform_iteratorINS9_6negateIxEESE_NS9_11use_defaultESI_EESE_xNS9_4plusIvEENS9_8equal_toIvEExEE10hipError_tPvRmT2_T3_T4_T5_mT6_T7_P12ihipStream_tbENKUlT_T0_E_clISt17integral_constantIbLb1EES13_IbLb0EEEEDaSZ_S10_EUlSZ_E_NS1_11comp_targetILNS1_3genE5ELNS1_11target_archE942ELNS1_3gpuE9ELNS1_3repE0EEENS1_30default_config_static_selectorELNS0_4arch9wavefront6targetE0EEEvT1_
		.amdhsa_group_segment_fixed_size 0
		.amdhsa_private_segment_fixed_size 0
		.amdhsa_kernarg_size 144
		.amdhsa_user_sgpr_count 6
		.amdhsa_user_sgpr_private_segment_buffer 1
		.amdhsa_user_sgpr_dispatch_ptr 0
		.amdhsa_user_sgpr_queue_ptr 0
		.amdhsa_user_sgpr_kernarg_segment_ptr 1
		.amdhsa_user_sgpr_dispatch_id 0
		.amdhsa_user_sgpr_flat_scratch_init 0
		.amdhsa_user_sgpr_private_segment_size 0
		.amdhsa_wavefront_size32 1
		.amdhsa_uses_dynamic_stack 0
		.amdhsa_system_sgpr_private_segment_wavefront_offset 0
		.amdhsa_system_sgpr_workgroup_id_x 1
		.amdhsa_system_sgpr_workgroup_id_y 0
		.amdhsa_system_sgpr_workgroup_id_z 0
		.amdhsa_system_sgpr_workgroup_info 0
		.amdhsa_system_vgpr_workitem_id 0
		.amdhsa_next_free_vgpr 1
		.amdhsa_next_free_sgpr 1
		.amdhsa_reserve_vcc 0
		.amdhsa_reserve_flat_scratch 0
		.amdhsa_float_round_mode_32 0
		.amdhsa_float_round_mode_16_64 0
		.amdhsa_float_denorm_mode_32 3
		.amdhsa_float_denorm_mode_16_64 3
		.amdhsa_dx10_clamp 1
		.amdhsa_ieee_mode 1
		.amdhsa_fp16_overflow 0
		.amdhsa_workgroup_processor_mode 1
		.amdhsa_memory_ordered 1
		.amdhsa_forward_progress 1
		.amdhsa_shared_vgpr_count 0
		.amdhsa_exception_fp_ieee_invalid_op 0
		.amdhsa_exception_fp_denorm_src 0
		.amdhsa_exception_fp_ieee_div_zero 0
		.amdhsa_exception_fp_ieee_overflow 0
		.amdhsa_exception_fp_ieee_underflow 0
		.amdhsa_exception_fp_ieee_inexact 0
		.amdhsa_exception_int_div_zero 0
	.end_amdhsa_kernel
	.section	.text._ZN7rocprim17ROCPRIM_400000_NS6detail17trampoline_kernelINS0_14default_configENS1_27scan_by_key_config_selectorIxxEEZZNS1_16scan_by_key_implILNS1_25lookback_scan_determinismE0ELb0ES3_N6thrust23THRUST_200600_302600_NS6detail15normal_iteratorINS9_10device_ptrIxEEEENS9_18transform_iteratorINS9_6negateIxEESE_NS9_11use_defaultESI_EESE_xNS9_4plusIvEENS9_8equal_toIvEExEE10hipError_tPvRmT2_T3_T4_T5_mT6_T7_P12ihipStream_tbENKUlT_T0_E_clISt17integral_constantIbLb1EES13_IbLb0EEEEDaSZ_S10_EUlSZ_E_NS1_11comp_targetILNS1_3genE5ELNS1_11target_archE942ELNS1_3gpuE9ELNS1_3repE0EEENS1_30default_config_static_selectorELNS0_4arch9wavefront6targetE0EEEvT1_,"axG",@progbits,_ZN7rocprim17ROCPRIM_400000_NS6detail17trampoline_kernelINS0_14default_configENS1_27scan_by_key_config_selectorIxxEEZZNS1_16scan_by_key_implILNS1_25lookback_scan_determinismE0ELb0ES3_N6thrust23THRUST_200600_302600_NS6detail15normal_iteratorINS9_10device_ptrIxEEEENS9_18transform_iteratorINS9_6negateIxEESE_NS9_11use_defaultESI_EESE_xNS9_4plusIvEENS9_8equal_toIvEExEE10hipError_tPvRmT2_T3_T4_T5_mT6_T7_P12ihipStream_tbENKUlT_T0_E_clISt17integral_constantIbLb1EES13_IbLb0EEEEDaSZ_S10_EUlSZ_E_NS1_11comp_targetILNS1_3genE5ELNS1_11target_archE942ELNS1_3gpuE9ELNS1_3repE0EEENS1_30default_config_static_selectorELNS0_4arch9wavefront6targetE0EEEvT1_,comdat
.Lfunc_end913:
	.size	_ZN7rocprim17ROCPRIM_400000_NS6detail17trampoline_kernelINS0_14default_configENS1_27scan_by_key_config_selectorIxxEEZZNS1_16scan_by_key_implILNS1_25lookback_scan_determinismE0ELb0ES3_N6thrust23THRUST_200600_302600_NS6detail15normal_iteratorINS9_10device_ptrIxEEEENS9_18transform_iteratorINS9_6negateIxEESE_NS9_11use_defaultESI_EESE_xNS9_4plusIvEENS9_8equal_toIvEExEE10hipError_tPvRmT2_T3_T4_T5_mT6_T7_P12ihipStream_tbENKUlT_T0_E_clISt17integral_constantIbLb1EES13_IbLb0EEEEDaSZ_S10_EUlSZ_E_NS1_11comp_targetILNS1_3genE5ELNS1_11target_archE942ELNS1_3gpuE9ELNS1_3repE0EEENS1_30default_config_static_selectorELNS0_4arch9wavefront6targetE0EEEvT1_, .Lfunc_end913-_ZN7rocprim17ROCPRIM_400000_NS6detail17trampoline_kernelINS0_14default_configENS1_27scan_by_key_config_selectorIxxEEZZNS1_16scan_by_key_implILNS1_25lookback_scan_determinismE0ELb0ES3_N6thrust23THRUST_200600_302600_NS6detail15normal_iteratorINS9_10device_ptrIxEEEENS9_18transform_iteratorINS9_6negateIxEESE_NS9_11use_defaultESI_EESE_xNS9_4plusIvEENS9_8equal_toIvEExEE10hipError_tPvRmT2_T3_T4_T5_mT6_T7_P12ihipStream_tbENKUlT_T0_E_clISt17integral_constantIbLb1EES13_IbLb0EEEEDaSZ_S10_EUlSZ_E_NS1_11comp_targetILNS1_3genE5ELNS1_11target_archE942ELNS1_3gpuE9ELNS1_3repE0EEENS1_30default_config_static_selectorELNS0_4arch9wavefront6targetE0EEEvT1_
                                        ; -- End function
	.set _ZN7rocprim17ROCPRIM_400000_NS6detail17trampoline_kernelINS0_14default_configENS1_27scan_by_key_config_selectorIxxEEZZNS1_16scan_by_key_implILNS1_25lookback_scan_determinismE0ELb0ES3_N6thrust23THRUST_200600_302600_NS6detail15normal_iteratorINS9_10device_ptrIxEEEENS9_18transform_iteratorINS9_6negateIxEESE_NS9_11use_defaultESI_EESE_xNS9_4plusIvEENS9_8equal_toIvEExEE10hipError_tPvRmT2_T3_T4_T5_mT6_T7_P12ihipStream_tbENKUlT_T0_E_clISt17integral_constantIbLb1EES13_IbLb0EEEEDaSZ_S10_EUlSZ_E_NS1_11comp_targetILNS1_3genE5ELNS1_11target_archE942ELNS1_3gpuE9ELNS1_3repE0EEENS1_30default_config_static_selectorELNS0_4arch9wavefront6targetE0EEEvT1_.num_vgpr, 0
	.set _ZN7rocprim17ROCPRIM_400000_NS6detail17trampoline_kernelINS0_14default_configENS1_27scan_by_key_config_selectorIxxEEZZNS1_16scan_by_key_implILNS1_25lookback_scan_determinismE0ELb0ES3_N6thrust23THRUST_200600_302600_NS6detail15normal_iteratorINS9_10device_ptrIxEEEENS9_18transform_iteratorINS9_6negateIxEESE_NS9_11use_defaultESI_EESE_xNS9_4plusIvEENS9_8equal_toIvEExEE10hipError_tPvRmT2_T3_T4_T5_mT6_T7_P12ihipStream_tbENKUlT_T0_E_clISt17integral_constantIbLb1EES13_IbLb0EEEEDaSZ_S10_EUlSZ_E_NS1_11comp_targetILNS1_3genE5ELNS1_11target_archE942ELNS1_3gpuE9ELNS1_3repE0EEENS1_30default_config_static_selectorELNS0_4arch9wavefront6targetE0EEEvT1_.num_agpr, 0
	.set _ZN7rocprim17ROCPRIM_400000_NS6detail17trampoline_kernelINS0_14default_configENS1_27scan_by_key_config_selectorIxxEEZZNS1_16scan_by_key_implILNS1_25lookback_scan_determinismE0ELb0ES3_N6thrust23THRUST_200600_302600_NS6detail15normal_iteratorINS9_10device_ptrIxEEEENS9_18transform_iteratorINS9_6negateIxEESE_NS9_11use_defaultESI_EESE_xNS9_4plusIvEENS9_8equal_toIvEExEE10hipError_tPvRmT2_T3_T4_T5_mT6_T7_P12ihipStream_tbENKUlT_T0_E_clISt17integral_constantIbLb1EES13_IbLb0EEEEDaSZ_S10_EUlSZ_E_NS1_11comp_targetILNS1_3genE5ELNS1_11target_archE942ELNS1_3gpuE9ELNS1_3repE0EEENS1_30default_config_static_selectorELNS0_4arch9wavefront6targetE0EEEvT1_.numbered_sgpr, 0
	.set _ZN7rocprim17ROCPRIM_400000_NS6detail17trampoline_kernelINS0_14default_configENS1_27scan_by_key_config_selectorIxxEEZZNS1_16scan_by_key_implILNS1_25lookback_scan_determinismE0ELb0ES3_N6thrust23THRUST_200600_302600_NS6detail15normal_iteratorINS9_10device_ptrIxEEEENS9_18transform_iteratorINS9_6negateIxEESE_NS9_11use_defaultESI_EESE_xNS9_4plusIvEENS9_8equal_toIvEExEE10hipError_tPvRmT2_T3_T4_T5_mT6_T7_P12ihipStream_tbENKUlT_T0_E_clISt17integral_constantIbLb1EES13_IbLb0EEEEDaSZ_S10_EUlSZ_E_NS1_11comp_targetILNS1_3genE5ELNS1_11target_archE942ELNS1_3gpuE9ELNS1_3repE0EEENS1_30default_config_static_selectorELNS0_4arch9wavefront6targetE0EEEvT1_.num_named_barrier, 0
	.set _ZN7rocprim17ROCPRIM_400000_NS6detail17trampoline_kernelINS0_14default_configENS1_27scan_by_key_config_selectorIxxEEZZNS1_16scan_by_key_implILNS1_25lookback_scan_determinismE0ELb0ES3_N6thrust23THRUST_200600_302600_NS6detail15normal_iteratorINS9_10device_ptrIxEEEENS9_18transform_iteratorINS9_6negateIxEESE_NS9_11use_defaultESI_EESE_xNS9_4plusIvEENS9_8equal_toIvEExEE10hipError_tPvRmT2_T3_T4_T5_mT6_T7_P12ihipStream_tbENKUlT_T0_E_clISt17integral_constantIbLb1EES13_IbLb0EEEEDaSZ_S10_EUlSZ_E_NS1_11comp_targetILNS1_3genE5ELNS1_11target_archE942ELNS1_3gpuE9ELNS1_3repE0EEENS1_30default_config_static_selectorELNS0_4arch9wavefront6targetE0EEEvT1_.private_seg_size, 0
	.set _ZN7rocprim17ROCPRIM_400000_NS6detail17trampoline_kernelINS0_14default_configENS1_27scan_by_key_config_selectorIxxEEZZNS1_16scan_by_key_implILNS1_25lookback_scan_determinismE0ELb0ES3_N6thrust23THRUST_200600_302600_NS6detail15normal_iteratorINS9_10device_ptrIxEEEENS9_18transform_iteratorINS9_6negateIxEESE_NS9_11use_defaultESI_EESE_xNS9_4plusIvEENS9_8equal_toIvEExEE10hipError_tPvRmT2_T3_T4_T5_mT6_T7_P12ihipStream_tbENKUlT_T0_E_clISt17integral_constantIbLb1EES13_IbLb0EEEEDaSZ_S10_EUlSZ_E_NS1_11comp_targetILNS1_3genE5ELNS1_11target_archE942ELNS1_3gpuE9ELNS1_3repE0EEENS1_30default_config_static_selectorELNS0_4arch9wavefront6targetE0EEEvT1_.uses_vcc, 0
	.set _ZN7rocprim17ROCPRIM_400000_NS6detail17trampoline_kernelINS0_14default_configENS1_27scan_by_key_config_selectorIxxEEZZNS1_16scan_by_key_implILNS1_25lookback_scan_determinismE0ELb0ES3_N6thrust23THRUST_200600_302600_NS6detail15normal_iteratorINS9_10device_ptrIxEEEENS9_18transform_iteratorINS9_6negateIxEESE_NS9_11use_defaultESI_EESE_xNS9_4plusIvEENS9_8equal_toIvEExEE10hipError_tPvRmT2_T3_T4_T5_mT6_T7_P12ihipStream_tbENKUlT_T0_E_clISt17integral_constantIbLb1EES13_IbLb0EEEEDaSZ_S10_EUlSZ_E_NS1_11comp_targetILNS1_3genE5ELNS1_11target_archE942ELNS1_3gpuE9ELNS1_3repE0EEENS1_30default_config_static_selectorELNS0_4arch9wavefront6targetE0EEEvT1_.uses_flat_scratch, 0
	.set _ZN7rocprim17ROCPRIM_400000_NS6detail17trampoline_kernelINS0_14default_configENS1_27scan_by_key_config_selectorIxxEEZZNS1_16scan_by_key_implILNS1_25lookback_scan_determinismE0ELb0ES3_N6thrust23THRUST_200600_302600_NS6detail15normal_iteratorINS9_10device_ptrIxEEEENS9_18transform_iteratorINS9_6negateIxEESE_NS9_11use_defaultESI_EESE_xNS9_4plusIvEENS9_8equal_toIvEExEE10hipError_tPvRmT2_T3_T4_T5_mT6_T7_P12ihipStream_tbENKUlT_T0_E_clISt17integral_constantIbLb1EES13_IbLb0EEEEDaSZ_S10_EUlSZ_E_NS1_11comp_targetILNS1_3genE5ELNS1_11target_archE942ELNS1_3gpuE9ELNS1_3repE0EEENS1_30default_config_static_selectorELNS0_4arch9wavefront6targetE0EEEvT1_.has_dyn_sized_stack, 0
	.set _ZN7rocprim17ROCPRIM_400000_NS6detail17trampoline_kernelINS0_14default_configENS1_27scan_by_key_config_selectorIxxEEZZNS1_16scan_by_key_implILNS1_25lookback_scan_determinismE0ELb0ES3_N6thrust23THRUST_200600_302600_NS6detail15normal_iteratorINS9_10device_ptrIxEEEENS9_18transform_iteratorINS9_6negateIxEESE_NS9_11use_defaultESI_EESE_xNS9_4plusIvEENS9_8equal_toIvEExEE10hipError_tPvRmT2_T3_T4_T5_mT6_T7_P12ihipStream_tbENKUlT_T0_E_clISt17integral_constantIbLb1EES13_IbLb0EEEEDaSZ_S10_EUlSZ_E_NS1_11comp_targetILNS1_3genE5ELNS1_11target_archE942ELNS1_3gpuE9ELNS1_3repE0EEENS1_30default_config_static_selectorELNS0_4arch9wavefront6targetE0EEEvT1_.has_recursion, 0
	.set _ZN7rocprim17ROCPRIM_400000_NS6detail17trampoline_kernelINS0_14default_configENS1_27scan_by_key_config_selectorIxxEEZZNS1_16scan_by_key_implILNS1_25lookback_scan_determinismE0ELb0ES3_N6thrust23THRUST_200600_302600_NS6detail15normal_iteratorINS9_10device_ptrIxEEEENS9_18transform_iteratorINS9_6negateIxEESE_NS9_11use_defaultESI_EESE_xNS9_4plusIvEENS9_8equal_toIvEExEE10hipError_tPvRmT2_T3_T4_T5_mT6_T7_P12ihipStream_tbENKUlT_T0_E_clISt17integral_constantIbLb1EES13_IbLb0EEEEDaSZ_S10_EUlSZ_E_NS1_11comp_targetILNS1_3genE5ELNS1_11target_archE942ELNS1_3gpuE9ELNS1_3repE0EEENS1_30default_config_static_selectorELNS0_4arch9wavefront6targetE0EEEvT1_.has_indirect_call, 0
	.section	.AMDGPU.csdata,"",@progbits
; Kernel info:
; codeLenInByte = 0
; TotalNumSgprs: 0
; NumVgprs: 0
; ScratchSize: 0
; MemoryBound: 0
; FloatMode: 240
; IeeeMode: 1
; LDSByteSize: 0 bytes/workgroup (compile time only)
; SGPRBlocks: 0
; VGPRBlocks: 0
; NumSGPRsForWavesPerEU: 1
; NumVGPRsForWavesPerEU: 1
; Occupancy: 16
; WaveLimiterHint : 0
; COMPUTE_PGM_RSRC2:SCRATCH_EN: 0
; COMPUTE_PGM_RSRC2:USER_SGPR: 6
; COMPUTE_PGM_RSRC2:TRAP_HANDLER: 0
; COMPUTE_PGM_RSRC2:TGID_X_EN: 1
; COMPUTE_PGM_RSRC2:TGID_Y_EN: 0
; COMPUTE_PGM_RSRC2:TGID_Z_EN: 0
; COMPUTE_PGM_RSRC2:TIDIG_COMP_CNT: 0
	.section	.text._ZN7rocprim17ROCPRIM_400000_NS6detail17trampoline_kernelINS0_14default_configENS1_27scan_by_key_config_selectorIxxEEZZNS1_16scan_by_key_implILNS1_25lookback_scan_determinismE0ELb0ES3_N6thrust23THRUST_200600_302600_NS6detail15normal_iteratorINS9_10device_ptrIxEEEENS9_18transform_iteratorINS9_6negateIxEESE_NS9_11use_defaultESI_EESE_xNS9_4plusIvEENS9_8equal_toIvEExEE10hipError_tPvRmT2_T3_T4_T5_mT6_T7_P12ihipStream_tbENKUlT_T0_E_clISt17integral_constantIbLb1EES13_IbLb0EEEEDaSZ_S10_EUlSZ_E_NS1_11comp_targetILNS1_3genE4ELNS1_11target_archE910ELNS1_3gpuE8ELNS1_3repE0EEENS1_30default_config_static_selectorELNS0_4arch9wavefront6targetE0EEEvT1_,"axG",@progbits,_ZN7rocprim17ROCPRIM_400000_NS6detail17trampoline_kernelINS0_14default_configENS1_27scan_by_key_config_selectorIxxEEZZNS1_16scan_by_key_implILNS1_25lookback_scan_determinismE0ELb0ES3_N6thrust23THRUST_200600_302600_NS6detail15normal_iteratorINS9_10device_ptrIxEEEENS9_18transform_iteratorINS9_6negateIxEESE_NS9_11use_defaultESI_EESE_xNS9_4plusIvEENS9_8equal_toIvEExEE10hipError_tPvRmT2_T3_T4_T5_mT6_T7_P12ihipStream_tbENKUlT_T0_E_clISt17integral_constantIbLb1EES13_IbLb0EEEEDaSZ_S10_EUlSZ_E_NS1_11comp_targetILNS1_3genE4ELNS1_11target_archE910ELNS1_3gpuE8ELNS1_3repE0EEENS1_30default_config_static_selectorELNS0_4arch9wavefront6targetE0EEEvT1_,comdat
	.protected	_ZN7rocprim17ROCPRIM_400000_NS6detail17trampoline_kernelINS0_14default_configENS1_27scan_by_key_config_selectorIxxEEZZNS1_16scan_by_key_implILNS1_25lookback_scan_determinismE0ELb0ES3_N6thrust23THRUST_200600_302600_NS6detail15normal_iteratorINS9_10device_ptrIxEEEENS9_18transform_iteratorINS9_6negateIxEESE_NS9_11use_defaultESI_EESE_xNS9_4plusIvEENS9_8equal_toIvEExEE10hipError_tPvRmT2_T3_T4_T5_mT6_T7_P12ihipStream_tbENKUlT_T0_E_clISt17integral_constantIbLb1EES13_IbLb0EEEEDaSZ_S10_EUlSZ_E_NS1_11comp_targetILNS1_3genE4ELNS1_11target_archE910ELNS1_3gpuE8ELNS1_3repE0EEENS1_30default_config_static_selectorELNS0_4arch9wavefront6targetE0EEEvT1_ ; -- Begin function _ZN7rocprim17ROCPRIM_400000_NS6detail17trampoline_kernelINS0_14default_configENS1_27scan_by_key_config_selectorIxxEEZZNS1_16scan_by_key_implILNS1_25lookback_scan_determinismE0ELb0ES3_N6thrust23THRUST_200600_302600_NS6detail15normal_iteratorINS9_10device_ptrIxEEEENS9_18transform_iteratorINS9_6negateIxEESE_NS9_11use_defaultESI_EESE_xNS9_4plusIvEENS9_8equal_toIvEExEE10hipError_tPvRmT2_T3_T4_T5_mT6_T7_P12ihipStream_tbENKUlT_T0_E_clISt17integral_constantIbLb1EES13_IbLb0EEEEDaSZ_S10_EUlSZ_E_NS1_11comp_targetILNS1_3genE4ELNS1_11target_archE910ELNS1_3gpuE8ELNS1_3repE0EEENS1_30default_config_static_selectorELNS0_4arch9wavefront6targetE0EEEvT1_
	.globl	_ZN7rocprim17ROCPRIM_400000_NS6detail17trampoline_kernelINS0_14default_configENS1_27scan_by_key_config_selectorIxxEEZZNS1_16scan_by_key_implILNS1_25lookback_scan_determinismE0ELb0ES3_N6thrust23THRUST_200600_302600_NS6detail15normal_iteratorINS9_10device_ptrIxEEEENS9_18transform_iteratorINS9_6negateIxEESE_NS9_11use_defaultESI_EESE_xNS9_4plusIvEENS9_8equal_toIvEExEE10hipError_tPvRmT2_T3_T4_T5_mT6_T7_P12ihipStream_tbENKUlT_T0_E_clISt17integral_constantIbLb1EES13_IbLb0EEEEDaSZ_S10_EUlSZ_E_NS1_11comp_targetILNS1_3genE4ELNS1_11target_archE910ELNS1_3gpuE8ELNS1_3repE0EEENS1_30default_config_static_selectorELNS0_4arch9wavefront6targetE0EEEvT1_
	.p2align	8
	.type	_ZN7rocprim17ROCPRIM_400000_NS6detail17trampoline_kernelINS0_14default_configENS1_27scan_by_key_config_selectorIxxEEZZNS1_16scan_by_key_implILNS1_25lookback_scan_determinismE0ELb0ES3_N6thrust23THRUST_200600_302600_NS6detail15normal_iteratorINS9_10device_ptrIxEEEENS9_18transform_iteratorINS9_6negateIxEESE_NS9_11use_defaultESI_EESE_xNS9_4plusIvEENS9_8equal_toIvEExEE10hipError_tPvRmT2_T3_T4_T5_mT6_T7_P12ihipStream_tbENKUlT_T0_E_clISt17integral_constantIbLb1EES13_IbLb0EEEEDaSZ_S10_EUlSZ_E_NS1_11comp_targetILNS1_3genE4ELNS1_11target_archE910ELNS1_3gpuE8ELNS1_3repE0EEENS1_30default_config_static_selectorELNS0_4arch9wavefront6targetE0EEEvT1_,@function
_ZN7rocprim17ROCPRIM_400000_NS6detail17trampoline_kernelINS0_14default_configENS1_27scan_by_key_config_selectorIxxEEZZNS1_16scan_by_key_implILNS1_25lookback_scan_determinismE0ELb0ES3_N6thrust23THRUST_200600_302600_NS6detail15normal_iteratorINS9_10device_ptrIxEEEENS9_18transform_iteratorINS9_6negateIxEESE_NS9_11use_defaultESI_EESE_xNS9_4plusIvEENS9_8equal_toIvEExEE10hipError_tPvRmT2_T3_T4_T5_mT6_T7_P12ihipStream_tbENKUlT_T0_E_clISt17integral_constantIbLb1EES13_IbLb0EEEEDaSZ_S10_EUlSZ_E_NS1_11comp_targetILNS1_3genE4ELNS1_11target_archE910ELNS1_3gpuE8ELNS1_3repE0EEENS1_30default_config_static_selectorELNS0_4arch9wavefront6targetE0EEEvT1_: ; @_ZN7rocprim17ROCPRIM_400000_NS6detail17trampoline_kernelINS0_14default_configENS1_27scan_by_key_config_selectorIxxEEZZNS1_16scan_by_key_implILNS1_25lookback_scan_determinismE0ELb0ES3_N6thrust23THRUST_200600_302600_NS6detail15normal_iteratorINS9_10device_ptrIxEEEENS9_18transform_iteratorINS9_6negateIxEESE_NS9_11use_defaultESI_EESE_xNS9_4plusIvEENS9_8equal_toIvEExEE10hipError_tPvRmT2_T3_T4_T5_mT6_T7_P12ihipStream_tbENKUlT_T0_E_clISt17integral_constantIbLb1EES13_IbLb0EEEEDaSZ_S10_EUlSZ_E_NS1_11comp_targetILNS1_3genE4ELNS1_11target_archE910ELNS1_3gpuE8ELNS1_3repE0EEENS1_30default_config_static_selectorELNS0_4arch9wavefront6targetE0EEEvT1_
; %bb.0:
	.section	.rodata,"a",@progbits
	.p2align	6, 0x0
	.amdhsa_kernel _ZN7rocprim17ROCPRIM_400000_NS6detail17trampoline_kernelINS0_14default_configENS1_27scan_by_key_config_selectorIxxEEZZNS1_16scan_by_key_implILNS1_25lookback_scan_determinismE0ELb0ES3_N6thrust23THRUST_200600_302600_NS6detail15normal_iteratorINS9_10device_ptrIxEEEENS9_18transform_iteratorINS9_6negateIxEESE_NS9_11use_defaultESI_EESE_xNS9_4plusIvEENS9_8equal_toIvEExEE10hipError_tPvRmT2_T3_T4_T5_mT6_T7_P12ihipStream_tbENKUlT_T0_E_clISt17integral_constantIbLb1EES13_IbLb0EEEEDaSZ_S10_EUlSZ_E_NS1_11comp_targetILNS1_3genE4ELNS1_11target_archE910ELNS1_3gpuE8ELNS1_3repE0EEENS1_30default_config_static_selectorELNS0_4arch9wavefront6targetE0EEEvT1_
		.amdhsa_group_segment_fixed_size 0
		.amdhsa_private_segment_fixed_size 0
		.amdhsa_kernarg_size 144
		.amdhsa_user_sgpr_count 6
		.amdhsa_user_sgpr_private_segment_buffer 1
		.amdhsa_user_sgpr_dispatch_ptr 0
		.amdhsa_user_sgpr_queue_ptr 0
		.amdhsa_user_sgpr_kernarg_segment_ptr 1
		.amdhsa_user_sgpr_dispatch_id 0
		.amdhsa_user_sgpr_flat_scratch_init 0
		.amdhsa_user_sgpr_private_segment_size 0
		.amdhsa_wavefront_size32 1
		.amdhsa_uses_dynamic_stack 0
		.amdhsa_system_sgpr_private_segment_wavefront_offset 0
		.amdhsa_system_sgpr_workgroup_id_x 1
		.amdhsa_system_sgpr_workgroup_id_y 0
		.amdhsa_system_sgpr_workgroup_id_z 0
		.amdhsa_system_sgpr_workgroup_info 0
		.amdhsa_system_vgpr_workitem_id 0
		.amdhsa_next_free_vgpr 1
		.amdhsa_next_free_sgpr 1
		.amdhsa_reserve_vcc 0
		.amdhsa_reserve_flat_scratch 0
		.amdhsa_float_round_mode_32 0
		.amdhsa_float_round_mode_16_64 0
		.amdhsa_float_denorm_mode_32 3
		.amdhsa_float_denorm_mode_16_64 3
		.amdhsa_dx10_clamp 1
		.amdhsa_ieee_mode 1
		.amdhsa_fp16_overflow 0
		.amdhsa_workgroup_processor_mode 1
		.amdhsa_memory_ordered 1
		.amdhsa_forward_progress 1
		.amdhsa_shared_vgpr_count 0
		.amdhsa_exception_fp_ieee_invalid_op 0
		.amdhsa_exception_fp_denorm_src 0
		.amdhsa_exception_fp_ieee_div_zero 0
		.amdhsa_exception_fp_ieee_overflow 0
		.amdhsa_exception_fp_ieee_underflow 0
		.amdhsa_exception_fp_ieee_inexact 0
		.amdhsa_exception_int_div_zero 0
	.end_amdhsa_kernel
	.section	.text._ZN7rocprim17ROCPRIM_400000_NS6detail17trampoline_kernelINS0_14default_configENS1_27scan_by_key_config_selectorIxxEEZZNS1_16scan_by_key_implILNS1_25lookback_scan_determinismE0ELb0ES3_N6thrust23THRUST_200600_302600_NS6detail15normal_iteratorINS9_10device_ptrIxEEEENS9_18transform_iteratorINS9_6negateIxEESE_NS9_11use_defaultESI_EESE_xNS9_4plusIvEENS9_8equal_toIvEExEE10hipError_tPvRmT2_T3_T4_T5_mT6_T7_P12ihipStream_tbENKUlT_T0_E_clISt17integral_constantIbLb1EES13_IbLb0EEEEDaSZ_S10_EUlSZ_E_NS1_11comp_targetILNS1_3genE4ELNS1_11target_archE910ELNS1_3gpuE8ELNS1_3repE0EEENS1_30default_config_static_selectorELNS0_4arch9wavefront6targetE0EEEvT1_,"axG",@progbits,_ZN7rocprim17ROCPRIM_400000_NS6detail17trampoline_kernelINS0_14default_configENS1_27scan_by_key_config_selectorIxxEEZZNS1_16scan_by_key_implILNS1_25lookback_scan_determinismE0ELb0ES3_N6thrust23THRUST_200600_302600_NS6detail15normal_iteratorINS9_10device_ptrIxEEEENS9_18transform_iteratorINS9_6negateIxEESE_NS9_11use_defaultESI_EESE_xNS9_4plusIvEENS9_8equal_toIvEExEE10hipError_tPvRmT2_T3_T4_T5_mT6_T7_P12ihipStream_tbENKUlT_T0_E_clISt17integral_constantIbLb1EES13_IbLb0EEEEDaSZ_S10_EUlSZ_E_NS1_11comp_targetILNS1_3genE4ELNS1_11target_archE910ELNS1_3gpuE8ELNS1_3repE0EEENS1_30default_config_static_selectorELNS0_4arch9wavefront6targetE0EEEvT1_,comdat
.Lfunc_end914:
	.size	_ZN7rocprim17ROCPRIM_400000_NS6detail17trampoline_kernelINS0_14default_configENS1_27scan_by_key_config_selectorIxxEEZZNS1_16scan_by_key_implILNS1_25lookback_scan_determinismE0ELb0ES3_N6thrust23THRUST_200600_302600_NS6detail15normal_iteratorINS9_10device_ptrIxEEEENS9_18transform_iteratorINS9_6negateIxEESE_NS9_11use_defaultESI_EESE_xNS9_4plusIvEENS9_8equal_toIvEExEE10hipError_tPvRmT2_T3_T4_T5_mT6_T7_P12ihipStream_tbENKUlT_T0_E_clISt17integral_constantIbLb1EES13_IbLb0EEEEDaSZ_S10_EUlSZ_E_NS1_11comp_targetILNS1_3genE4ELNS1_11target_archE910ELNS1_3gpuE8ELNS1_3repE0EEENS1_30default_config_static_selectorELNS0_4arch9wavefront6targetE0EEEvT1_, .Lfunc_end914-_ZN7rocprim17ROCPRIM_400000_NS6detail17trampoline_kernelINS0_14default_configENS1_27scan_by_key_config_selectorIxxEEZZNS1_16scan_by_key_implILNS1_25lookback_scan_determinismE0ELb0ES3_N6thrust23THRUST_200600_302600_NS6detail15normal_iteratorINS9_10device_ptrIxEEEENS9_18transform_iteratorINS9_6negateIxEESE_NS9_11use_defaultESI_EESE_xNS9_4plusIvEENS9_8equal_toIvEExEE10hipError_tPvRmT2_T3_T4_T5_mT6_T7_P12ihipStream_tbENKUlT_T0_E_clISt17integral_constantIbLb1EES13_IbLb0EEEEDaSZ_S10_EUlSZ_E_NS1_11comp_targetILNS1_3genE4ELNS1_11target_archE910ELNS1_3gpuE8ELNS1_3repE0EEENS1_30default_config_static_selectorELNS0_4arch9wavefront6targetE0EEEvT1_
                                        ; -- End function
	.set _ZN7rocprim17ROCPRIM_400000_NS6detail17trampoline_kernelINS0_14default_configENS1_27scan_by_key_config_selectorIxxEEZZNS1_16scan_by_key_implILNS1_25lookback_scan_determinismE0ELb0ES3_N6thrust23THRUST_200600_302600_NS6detail15normal_iteratorINS9_10device_ptrIxEEEENS9_18transform_iteratorINS9_6negateIxEESE_NS9_11use_defaultESI_EESE_xNS9_4plusIvEENS9_8equal_toIvEExEE10hipError_tPvRmT2_T3_T4_T5_mT6_T7_P12ihipStream_tbENKUlT_T0_E_clISt17integral_constantIbLb1EES13_IbLb0EEEEDaSZ_S10_EUlSZ_E_NS1_11comp_targetILNS1_3genE4ELNS1_11target_archE910ELNS1_3gpuE8ELNS1_3repE0EEENS1_30default_config_static_selectorELNS0_4arch9wavefront6targetE0EEEvT1_.num_vgpr, 0
	.set _ZN7rocprim17ROCPRIM_400000_NS6detail17trampoline_kernelINS0_14default_configENS1_27scan_by_key_config_selectorIxxEEZZNS1_16scan_by_key_implILNS1_25lookback_scan_determinismE0ELb0ES3_N6thrust23THRUST_200600_302600_NS6detail15normal_iteratorINS9_10device_ptrIxEEEENS9_18transform_iteratorINS9_6negateIxEESE_NS9_11use_defaultESI_EESE_xNS9_4plusIvEENS9_8equal_toIvEExEE10hipError_tPvRmT2_T3_T4_T5_mT6_T7_P12ihipStream_tbENKUlT_T0_E_clISt17integral_constantIbLb1EES13_IbLb0EEEEDaSZ_S10_EUlSZ_E_NS1_11comp_targetILNS1_3genE4ELNS1_11target_archE910ELNS1_3gpuE8ELNS1_3repE0EEENS1_30default_config_static_selectorELNS0_4arch9wavefront6targetE0EEEvT1_.num_agpr, 0
	.set _ZN7rocprim17ROCPRIM_400000_NS6detail17trampoline_kernelINS0_14default_configENS1_27scan_by_key_config_selectorIxxEEZZNS1_16scan_by_key_implILNS1_25lookback_scan_determinismE0ELb0ES3_N6thrust23THRUST_200600_302600_NS6detail15normal_iteratorINS9_10device_ptrIxEEEENS9_18transform_iteratorINS9_6negateIxEESE_NS9_11use_defaultESI_EESE_xNS9_4plusIvEENS9_8equal_toIvEExEE10hipError_tPvRmT2_T3_T4_T5_mT6_T7_P12ihipStream_tbENKUlT_T0_E_clISt17integral_constantIbLb1EES13_IbLb0EEEEDaSZ_S10_EUlSZ_E_NS1_11comp_targetILNS1_3genE4ELNS1_11target_archE910ELNS1_3gpuE8ELNS1_3repE0EEENS1_30default_config_static_selectorELNS0_4arch9wavefront6targetE0EEEvT1_.numbered_sgpr, 0
	.set _ZN7rocprim17ROCPRIM_400000_NS6detail17trampoline_kernelINS0_14default_configENS1_27scan_by_key_config_selectorIxxEEZZNS1_16scan_by_key_implILNS1_25lookback_scan_determinismE0ELb0ES3_N6thrust23THRUST_200600_302600_NS6detail15normal_iteratorINS9_10device_ptrIxEEEENS9_18transform_iteratorINS9_6negateIxEESE_NS9_11use_defaultESI_EESE_xNS9_4plusIvEENS9_8equal_toIvEExEE10hipError_tPvRmT2_T3_T4_T5_mT6_T7_P12ihipStream_tbENKUlT_T0_E_clISt17integral_constantIbLb1EES13_IbLb0EEEEDaSZ_S10_EUlSZ_E_NS1_11comp_targetILNS1_3genE4ELNS1_11target_archE910ELNS1_3gpuE8ELNS1_3repE0EEENS1_30default_config_static_selectorELNS0_4arch9wavefront6targetE0EEEvT1_.num_named_barrier, 0
	.set _ZN7rocprim17ROCPRIM_400000_NS6detail17trampoline_kernelINS0_14default_configENS1_27scan_by_key_config_selectorIxxEEZZNS1_16scan_by_key_implILNS1_25lookback_scan_determinismE0ELb0ES3_N6thrust23THRUST_200600_302600_NS6detail15normal_iteratorINS9_10device_ptrIxEEEENS9_18transform_iteratorINS9_6negateIxEESE_NS9_11use_defaultESI_EESE_xNS9_4plusIvEENS9_8equal_toIvEExEE10hipError_tPvRmT2_T3_T4_T5_mT6_T7_P12ihipStream_tbENKUlT_T0_E_clISt17integral_constantIbLb1EES13_IbLb0EEEEDaSZ_S10_EUlSZ_E_NS1_11comp_targetILNS1_3genE4ELNS1_11target_archE910ELNS1_3gpuE8ELNS1_3repE0EEENS1_30default_config_static_selectorELNS0_4arch9wavefront6targetE0EEEvT1_.private_seg_size, 0
	.set _ZN7rocprim17ROCPRIM_400000_NS6detail17trampoline_kernelINS0_14default_configENS1_27scan_by_key_config_selectorIxxEEZZNS1_16scan_by_key_implILNS1_25lookback_scan_determinismE0ELb0ES3_N6thrust23THRUST_200600_302600_NS6detail15normal_iteratorINS9_10device_ptrIxEEEENS9_18transform_iteratorINS9_6negateIxEESE_NS9_11use_defaultESI_EESE_xNS9_4plusIvEENS9_8equal_toIvEExEE10hipError_tPvRmT2_T3_T4_T5_mT6_T7_P12ihipStream_tbENKUlT_T0_E_clISt17integral_constantIbLb1EES13_IbLb0EEEEDaSZ_S10_EUlSZ_E_NS1_11comp_targetILNS1_3genE4ELNS1_11target_archE910ELNS1_3gpuE8ELNS1_3repE0EEENS1_30default_config_static_selectorELNS0_4arch9wavefront6targetE0EEEvT1_.uses_vcc, 0
	.set _ZN7rocprim17ROCPRIM_400000_NS6detail17trampoline_kernelINS0_14default_configENS1_27scan_by_key_config_selectorIxxEEZZNS1_16scan_by_key_implILNS1_25lookback_scan_determinismE0ELb0ES3_N6thrust23THRUST_200600_302600_NS6detail15normal_iteratorINS9_10device_ptrIxEEEENS9_18transform_iteratorINS9_6negateIxEESE_NS9_11use_defaultESI_EESE_xNS9_4plusIvEENS9_8equal_toIvEExEE10hipError_tPvRmT2_T3_T4_T5_mT6_T7_P12ihipStream_tbENKUlT_T0_E_clISt17integral_constantIbLb1EES13_IbLb0EEEEDaSZ_S10_EUlSZ_E_NS1_11comp_targetILNS1_3genE4ELNS1_11target_archE910ELNS1_3gpuE8ELNS1_3repE0EEENS1_30default_config_static_selectorELNS0_4arch9wavefront6targetE0EEEvT1_.uses_flat_scratch, 0
	.set _ZN7rocprim17ROCPRIM_400000_NS6detail17trampoline_kernelINS0_14default_configENS1_27scan_by_key_config_selectorIxxEEZZNS1_16scan_by_key_implILNS1_25lookback_scan_determinismE0ELb0ES3_N6thrust23THRUST_200600_302600_NS6detail15normal_iteratorINS9_10device_ptrIxEEEENS9_18transform_iteratorINS9_6negateIxEESE_NS9_11use_defaultESI_EESE_xNS9_4plusIvEENS9_8equal_toIvEExEE10hipError_tPvRmT2_T3_T4_T5_mT6_T7_P12ihipStream_tbENKUlT_T0_E_clISt17integral_constantIbLb1EES13_IbLb0EEEEDaSZ_S10_EUlSZ_E_NS1_11comp_targetILNS1_3genE4ELNS1_11target_archE910ELNS1_3gpuE8ELNS1_3repE0EEENS1_30default_config_static_selectorELNS0_4arch9wavefront6targetE0EEEvT1_.has_dyn_sized_stack, 0
	.set _ZN7rocprim17ROCPRIM_400000_NS6detail17trampoline_kernelINS0_14default_configENS1_27scan_by_key_config_selectorIxxEEZZNS1_16scan_by_key_implILNS1_25lookback_scan_determinismE0ELb0ES3_N6thrust23THRUST_200600_302600_NS6detail15normal_iteratorINS9_10device_ptrIxEEEENS9_18transform_iteratorINS9_6negateIxEESE_NS9_11use_defaultESI_EESE_xNS9_4plusIvEENS9_8equal_toIvEExEE10hipError_tPvRmT2_T3_T4_T5_mT6_T7_P12ihipStream_tbENKUlT_T0_E_clISt17integral_constantIbLb1EES13_IbLb0EEEEDaSZ_S10_EUlSZ_E_NS1_11comp_targetILNS1_3genE4ELNS1_11target_archE910ELNS1_3gpuE8ELNS1_3repE0EEENS1_30default_config_static_selectorELNS0_4arch9wavefront6targetE0EEEvT1_.has_recursion, 0
	.set _ZN7rocprim17ROCPRIM_400000_NS6detail17trampoline_kernelINS0_14default_configENS1_27scan_by_key_config_selectorIxxEEZZNS1_16scan_by_key_implILNS1_25lookback_scan_determinismE0ELb0ES3_N6thrust23THRUST_200600_302600_NS6detail15normal_iteratorINS9_10device_ptrIxEEEENS9_18transform_iteratorINS9_6negateIxEESE_NS9_11use_defaultESI_EESE_xNS9_4plusIvEENS9_8equal_toIvEExEE10hipError_tPvRmT2_T3_T4_T5_mT6_T7_P12ihipStream_tbENKUlT_T0_E_clISt17integral_constantIbLb1EES13_IbLb0EEEEDaSZ_S10_EUlSZ_E_NS1_11comp_targetILNS1_3genE4ELNS1_11target_archE910ELNS1_3gpuE8ELNS1_3repE0EEENS1_30default_config_static_selectorELNS0_4arch9wavefront6targetE0EEEvT1_.has_indirect_call, 0
	.section	.AMDGPU.csdata,"",@progbits
; Kernel info:
; codeLenInByte = 0
; TotalNumSgprs: 0
; NumVgprs: 0
; ScratchSize: 0
; MemoryBound: 0
; FloatMode: 240
; IeeeMode: 1
; LDSByteSize: 0 bytes/workgroup (compile time only)
; SGPRBlocks: 0
; VGPRBlocks: 0
; NumSGPRsForWavesPerEU: 1
; NumVGPRsForWavesPerEU: 1
; Occupancy: 16
; WaveLimiterHint : 0
; COMPUTE_PGM_RSRC2:SCRATCH_EN: 0
; COMPUTE_PGM_RSRC2:USER_SGPR: 6
; COMPUTE_PGM_RSRC2:TRAP_HANDLER: 0
; COMPUTE_PGM_RSRC2:TGID_X_EN: 1
; COMPUTE_PGM_RSRC2:TGID_Y_EN: 0
; COMPUTE_PGM_RSRC2:TGID_Z_EN: 0
; COMPUTE_PGM_RSRC2:TIDIG_COMP_CNT: 0
	.section	.text._ZN7rocprim17ROCPRIM_400000_NS6detail17trampoline_kernelINS0_14default_configENS1_27scan_by_key_config_selectorIxxEEZZNS1_16scan_by_key_implILNS1_25lookback_scan_determinismE0ELb0ES3_N6thrust23THRUST_200600_302600_NS6detail15normal_iteratorINS9_10device_ptrIxEEEENS9_18transform_iteratorINS9_6negateIxEESE_NS9_11use_defaultESI_EESE_xNS9_4plusIvEENS9_8equal_toIvEExEE10hipError_tPvRmT2_T3_T4_T5_mT6_T7_P12ihipStream_tbENKUlT_T0_E_clISt17integral_constantIbLb1EES13_IbLb0EEEEDaSZ_S10_EUlSZ_E_NS1_11comp_targetILNS1_3genE3ELNS1_11target_archE908ELNS1_3gpuE7ELNS1_3repE0EEENS1_30default_config_static_selectorELNS0_4arch9wavefront6targetE0EEEvT1_,"axG",@progbits,_ZN7rocprim17ROCPRIM_400000_NS6detail17trampoline_kernelINS0_14default_configENS1_27scan_by_key_config_selectorIxxEEZZNS1_16scan_by_key_implILNS1_25lookback_scan_determinismE0ELb0ES3_N6thrust23THRUST_200600_302600_NS6detail15normal_iteratorINS9_10device_ptrIxEEEENS9_18transform_iteratorINS9_6negateIxEESE_NS9_11use_defaultESI_EESE_xNS9_4plusIvEENS9_8equal_toIvEExEE10hipError_tPvRmT2_T3_T4_T5_mT6_T7_P12ihipStream_tbENKUlT_T0_E_clISt17integral_constantIbLb1EES13_IbLb0EEEEDaSZ_S10_EUlSZ_E_NS1_11comp_targetILNS1_3genE3ELNS1_11target_archE908ELNS1_3gpuE7ELNS1_3repE0EEENS1_30default_config_static_selectorELNS0_4arch9wavefront6targetE0EEEvT1_,comdat
	.protected	_ZN7rocprim17ROCPRIM_400000_NS6detail17trampoline_kernelINS0_14default_configENS1_27scan_by_key_config_selectorIxxEEZZNS1_16scan_by_key_implILNS1_25lookback_scan_determinismE0ELb0ES3_N6thrust23THRUST_200600_302600_NS6detail15normal_iteratorINS9_10device_ptrIxEEEENS9_18transform_iteratorINS9_6negateIxEESE_NS9_11use_defaultESI_EESE_xNS9_4plusIvEENS9_8equal_toIvEExEE10hipError_tPvRmT2_T3_T4_T5_mT6_T7_P12ihipStream_tbENKUlT_T0_E_clISt17integral_constantIbLb1EES13_IbLb0EEEEDaSZ_S10_EUlSZ_E_NS1_11comp_targetILNS1_3genE3ELNS1_11target_archE908ELNS1_3gpuE7ELNS1_3repE0EEENS1_30default_config_static_selectorELNS0_4arch9wavefront6targetE0EEEvT1_ ; -- Begin function _ZN7rocprim17ROCPRIM_400000_NS6detail17trampoline_kernelINS0_14default_configENS1_27scan_by_key_config_selectorIxxEEZZNS1_16scan_by_key_implILNS1_25lookback_scan_determinismE0ELb0ES3_N6thrust23THRUST_200600_302600_NS6detail15normal_iteratorINS9_10device_ptrIxEEEENS9_18transform_iteratorINS9_6negateIxEESE_NS9_11use_defaultESI_EESE_xNS9_4plusIvEENS9_8equal_toIvEExEE10hipError_tPvRmT2_T3_T4_T5_mT6_T7_P12ihipStream_tbENKUlT_T0_E_clISt17integral_constantIbLb1EES13_IbLb0EEEEDaSZ_S10_EUlSZ_E_NS1_11comp_targetILNS1_3genE3ELNS1_11target_archE908ELNS1_3gpuE7ELNS1_3repE0EEENS1_30default_config_static_selectorELNS0_4arch9wavefront6targetE0EEEvT1_
	.globl	_ZN7rocprim17ROCPRIM_400000_NS6detail17trampoline_kernelINS0_14default_configENS1_27scan_by_key_config_selectorIxxEEZZNS1_16scan_by_key_implILNS1_25lookback_scan_determinismE0ELb0ES3_N6thrust23THRUST_200600_302600_NS6detail15normal_iteratorINS9_10device_ptrIxEEEENS9_18transform_iteratorINS9_6negateIxEESE_NS9_11use_defaultESI_EESE_xNS9_4plusIvEENS9_8equal_toIvEExEE10hipError_tPvRmT2_T3_T4_T5_mT6_T7_P12ihipStream_tbENKUlT_T0_E_clISt17integral_constantIbLb1EES13_IbLb0EEEEDaSZ_S10_EUlSZ_E_NS1_11comp_targetILNS1_3genE3ELNS1_11target_archE908ELNS1_3gpuE7ELNS1_3repE0EEENS1_30default_config_static_selectorELNS0_4arch9wavefront6targetE0EEEvT1_
	.p2align	8
	.type	_ZN7rocprim17ROCPRIM_400000_NS6detail17trampoline_kernelINS0_14default_configENS1_27scan_by_key_config_selectorIxxEEZZNS1_16scan_by_key_implILNS1_25lookback_scan_determinismE0ELb0ES3_N6thrust23THRUST_200600_302600_NS6detail15normal_iteratorINS9_10device_ptrIxEEEENS9_18transform_iteratorINS9_6negateIxEESE_NS9_11use_defaultESI_EESE_xNS9_4plusIvEENS9_8equal_toIvEExEE10hipError_tPvRmT2_T3_T4_T5_mT6_T7_P12ihipStream_tbENKUlT_T0_E_clISt17integral_constantIbLb1EES13_IbLb0EEEEDaSZ_S10_EUlSZ_E_NS1_11comp_targetILNS1_3genE3ELNS1_11target_archE908ELNS1_3gpuE7ELNS1_3repE0EEENS1_30default_config_static_selectorELNS0_4arch9wavefront6targetE0EEEvT1_,@function
_ZN7rocprim17ROCPRIM_400000_NS6detail17trampoline_kernelINS0_14default_configENS1_27scan_by_key_config_selectorIxxEEZZNS1_16scan_by_key_implILNS1_25lookback_scan_determinismE0ELb0ES3_N6thrust23THRUST_200600_302600_NS6detail15normal_iteratorINS9_10device_ptrIxEEEENS9_18transform_iteratorINS9_6negateIxEESE_NS9_11use_defaultESI_EESE_xNS9_4plusIvEENS9_8equal_toIvEExEE10hipError_tPvRmT2_T3_T4_T5_mT6_T7_P12ihipStream_tbENKUlT_T0_E_clISt17integral_constantIbLb1EES13_IbLb0EEEEDaSZ_S10_EUlSZ_E_NS1_11comp_targetILNS1_3genE3ELNS1_11target_archE908ELNS1_3gpuE7ELNS1_3repE0EEENS1_30default_config_static_selectorELNS0_4arch9wavefront6targetE0EEEvT1_: ; @_ZN7rocprim17ROCPRIM_400000_NS6detail17trampoline_kernelINS0_14default_configENS1_27scan_by_key_config_selectorIxxEEZZNS1_16scan_by_key_implILNS1_25lookback_scan_determinismE0ELb0ES3_N6thrust23THRUST_200600_302600_NS6detail15normal_iteratorINS9_10device_ptrIxEEEENS9_18transform_iteratorINS9_6negateIxEESE_NS9_11use_defaultESI_EESE_xNS9_4plusIvEENS9_8equal_toIvEExEE10hipError_tPvRmT2_T3_T4_T5_mT6_T7_P12ihipStream_tbENKUlT_T0_E_clISt17integral_constantIbLb1EES13_IbLb0EEEEDaSZ_S10_EUlSZ_E_NS1_11comp_targetILNS1_3genE3ELNS1_11target_archE908ELNS1_3gpuE7ELNS1_3repE0EEENS1_30default_config_static_selectorELNS0_4arch9wavefront6targetE0EEEvT1_
; %bb.0:
	.section	.rodata,"a",@progbits
	.p2align	6, 0x0
	.amdhsa_kernel _ZN7rocprim17ROCPRIM_400000_NS6detail17trampoline_kernelINS0_14default_configENS1_27scan_by_key_config_selectorIxxEEZZNS1_16scan_by_key_implILNS1_25lookback_scan_determinismE0ELb0ES3_N6thrust23THRUST_200600_302600_NS6detail15normal_iteratorINS9_10device_ptrIxEEEENS9_18transform_iteratorINS9_6negateIxEESE_NS9_11use_defaultESI_EESE_xNS9_4plusIvEENS9_8equal_toIvEExEE10hipError_tPvRmT2_T3_T4_T5_mT6_T7_P12ihipStream_tbENKUlT_T0_E_clISt17integral_constantIbLb1EES13_IbLb0EEEEDaSZ_S10_EUlSZ_E_NS1_11comp_targetILNS1_3genE3ELNS1_11target_archE908ELNS1_3gpuE7ELNS1_3repE0EEENS1_30default_config_static_selectorELNS0_4arch9wavefront6targetE0EEEvT1_
		.amdhsa_group_segment_fixed_size 0
		.amdhsa_private_segment_fixed_size 0
		.amdhsa_kernarg_size 144
		.amdhsa_user_sgpr_count 6
		.amdhsa_user_sgpr_private_segment_buffer 1
		.amdhsa_user_sgpr_dispatch_ptr 0
		.amdhsa_user_sgpr_queue_ptr 0
		.amdhsa_user_sgpr_kernarg_segment_ptr 1
		.amdhsa_user_sgpr_dispatch_id 0
		.amdhsa_user_sgpr_flat_scratch_init 0
		.amdhsa_user_sgpr_private_segment_size 0
		.amdhsa_wavefront_size32 1
		.amdhsa_uses_dynamic_stack 0
		.amdhsa_system_sgpr_private_segment_wavefront_offset 0
		.amdhsa_system_sgpr_workgroup_id_x 1
		.amdhsa_system_sgpr_workgroup_id_y 0
		.amdhsa_system_sgpr_workgroup_id_z 0
		.amdhsa_system_sgpr_workgroup_info 0
		.amdhsa_system_vgpr_workitem_id 0
		.amdhsa_next_free_vgpr 1
		.amdhsa_next_free_sgpr 1
		.amdhsa_reserve_vcc 0
		.amdhsa_reserve_flat_scratch 0
		.amdhsa_float_round_mode_32 0
		.amdhsa_float_round_mode_16_64 0
		.amdhsa_float_denorm_mode_32 3
		.amdhsa_float_denorm_mode_16_64 3
		.amdhsa_dx10_clamp 1
		.amdhsa_ieee_mode 1
		.amdhsa_fp16_overflow 0
		.amdhsa_workgroup_processor_mode 1
		.amdhsa_memory_ordered 1
		.amdhsa_forward_progress 1
		.amdhsa_shared_vgpr_count 0
		.amdhsa_exception_fp_ieee_invalid_op 0
		.amdhsa_exception_fp_denorm_src 0
		.amdhsa_exception_fp_ieee_div_zero 0
		.amdhsa_exception_fp_ieee_overflow 0
		.amdhsa_exception_fp_ieee_underflow 0
		.amdhsa_exception_fp_ieee_inexact 0
		.amdhsa_exception_int_div_zero 0
	.end_amdhsa_kernel
	.section	.text._ZN7rocprim17ROCPRIM_400000_NS6detail17trampoline_kernelINS0_14default_configENS1_27scan_by_key_config_selectorIxxEEZZNS1_16scan_by_key_implILNS1_25lookback_scan_determinismE0ELb0ES3_N6thrust23THRUST_200600_302600_NS6detail15normal_iteratorINS9_10device_ptrIxEEEENS9_18transform_iteratorINS9_6negateIxEESE_NS9_11use_defaultESI_EESE_xNS9_4plusIvEENS9_8equal_toIvEExEE10hipError_tPvRmT2_T3_T4_T5_mT6_T7_P12ihipStream_tbENKUlT_T0_E_clISt17integral_constantIbLb1EES13_IbLb0EEEEDaSZ_S10_EUlSZ_E_NS1_11comp_targetILNS1_3genE3ELNS1_11target_archE908ELNS1_3gpuE7ELNS1_3repE0EEENS1_30default_config_static_selectorELNS0_4arch9wavefront6targetE0EEEvT1_,"axG",@progbits,_ZN7rocprim17ROCPRIM_400000_NS6detail17trampoline_kernelINS0_14default_configENS1_27scan_by_key_config_selectorIxxEEZZNS1_16scan_by_key_implILNS1_25lookback_scan_determinismE0ELb0ES3_N6thrust23THRUST_200600_302600_NS6detail15normal_iteratorINS9_10device_ptrIxEEEENS9_18transform_iteratorINS9_6negateIxEESE_NS9_11use_defaultESI_EESE_xNS9_4plusIvEENS9_8equal_toIvEExEE10hipError_tPvRmT2_T3_T4_T5_mT6_T7_P12ihipStream_tbENKUlT_T0_E_clISt17integral_constantIbLb1EES13_IbLb0EEEEDaSZ_S10_EUlSZ_E_NS1_11comp_targetILNS1_3genE3ELNS1_11target_archE908ELNS1_3gpuE7ELNS1_3repE0EEENS1_30default_config_static_selectorELNS0_4arch9wavefront6targetE0EEEvT1_,comdat
.Lfunc_end915:
	.size	_ZN7rocprim17ROCPRIM_400000_NS6detail17trampoline_kernelINS0_14default_configENS1_27scan_by_key_config_selectorIxxEEZZNS1_16scan_by_key_implILNS1_25lookback_scan_determinismE0ELb0ES3_N6thrust23THRUST_200600_302600_NS6detail15normal_iteratorINS9_10device_ptrIxEEEENS9_18transform_iteratorINS9_6negateIxEESE_NS9_11use_defaultESI_EESE_xNS9_4plusIvEENS9_8equal_toIvEExEE10hipError_tPvRmT2_T3_T4_T5_mT6_T7_P12ihipStream_tbENKUlT_T0_E_clISt17integral_constantIbLb1EES13_IbLb0EEEEDaSZ_S10_EUlSZ_E_NS1_11comp_targetILNS1_3genE3ELNS1_11target_archE908ELNS1_3gpuE7ELNS1_3repE0EEENS1_30default_config_static_selectorELNS0_4arch9wavefront6targetE0EEEvT1_, .Lfunc_end915-_ZN7rocprim17ROCPRIM_400000_NS6detail17trampoline_kernelINS0_14default_configENS1_27scan_by_key_config_selectorIxxEEZZNS1_16scan_by_key_implILNS1_25lookback_scan_determinismE0ELb0ES3_N6thrust23THRUST_200600_302600_NS6detail15normal_iteratorINS9_10device_ptrIxEEEENS9_18transform_iteratorINS9_6negateIxEESE_NS9_11use_defaultESI_EESE_xNS9_4plusIvEENS9_8equal_toIvEExEE10hipError_tPvRmT2_T3_T4_T5_mT6_T7_P12ihipStream_tbENKUlT_T0_E_clISt17integral_constantIbLb1EES13_IbLb0EEEEDaSZ_S10_EUlSZ_E_NS1_11comp_targetILNS1_3genE3ELNS1_11target_archE908ELNS1_3gpuE7ELNS1_3repE0EEENS1_30default_config_static_selectorELNS0_4arch9wavefront6targetE0EEEvT1_
                                        ; -- End function
	.set _ZN7rocprim17ROCPRIM_400000_NS6detail17trampoline_kernelINS0_14default_configENS1_27scan_by_key_config_selectorIxxEEZZNS1_16scan_by_key_implILNS1_25lookback_scan_determinismE0ELb0ES3_N6thrust23THRUST_200600_302600_NS6detail15normal_iteratorINS9_10device_ptrIxEEEENS9_18transform_iteratorINS9_6negateIxEESE_NS9_11use_defaultESI_EESE_xNS9_4plusIvEENS9_8equal_toIvEExEE10hipError_tPvRmT2_T3_T4_T5_mT6_T7_P12ihipStream_tbENKUlT_T0_E_clISt17integral_constantIbLb1EES13_IbLb0EEEEDaSZ_S10_EUlSZ_E_NS1_11comp_targetILNS1_3genE3ELNS1_11target_archE908ELNS1_3gpuE7ELNS1_3repE0EEENS1_30default_config_static_selectorELNS0_4arch9wavefront6targetE0EEEvT1_.num_vgpr, 0
	.set _ZN7rocprim17ROCPRIM_400000_NS6detail17trampoline_kernelINS0_14default_configENS1_27scan_by_key_config_selectorIxxEEZZNS1_16scan_by_key_implILNS1_25lookback_scan_determinismE0ELb0ES3_N6thrust23THRUST_200600_302600_NS6detail15normal_iteratorINS9_10device_ptrIxEEEENS9_18transform_iteratorINS9_6negateIxEESE_NS9_11use_defaultESI_EESE_xNS9_4plusIvEENS9_8equal_toIvEExEE10hipError_tPvRmT2_T3_T4_T5_mT6_T7_P12ihipStream_tbENKUlT_T0_E_clISt17integral_constantIbLb1EES13_IbLb0EEEEDaSZ_S10_EUlSZ_E_NS1_11comp_targetILNS1_3genE3ELNS1_11target_archE908ELNS1_3gpuE7ELNS1_3repE0EEENS1_30default_config_static_selectorELNS0_4arch9wavefront6targetE0EEEvT1_.num_agpr, 0
	.set _ZN7rocprim17ROCPRIM_400000_NS6detail17trampoline_kernelINS0_14default_configENS1_27scan_by_key_config_selectorIxxEEZZNS1_16scan_by_key_implILNS1_25lookback_scan_determinismE0ELb0ES3_N6thrust23THRUST_200600_302600_NS6detail15normal_iteratorINS9_10device_ptrIxEEEENS9_18transform_iteratorINS9_6negateIxEESE_NS9_11use_defaultESI_EESE_xNS9_4plusIvEENS9_8equal_toIvEExEE10hipError_tPvRmT2_T3_T4_T5_mT6_T7_P12ihipStream_tbENKUlT_T0_E_clISt17integral_constantIbLb1EES13_IbLb0EEEEDaSZ_S10_EUlSZ_E_NS1_11comp_targetILNS1_3genE3ELNS1_11target_archE908ELNS1_3gpuE7ELNS1_3repE0EEENS1_30default_config_static_selectorELNS0_4arch9wavefront6targetE0EEEvT1_.numbered_sgpr, 0
	.set _ZN7rocprim17ROCPRIM_400000_NS6detail17trampoline_kernelINS0_14default_configENS1_27scan_by_key_config_selectorIxxEEZZNS1_16scan_by_key_implILNS1_25lookback_scan_determinismE0ELb0ES3_N6thrust23THRUST_200600_302600_NS6detail15normal_iteratorINS9_10device_ptrIxEEEENS9_18transform_iteratorINS9_6negateIxEESE_NS9_11use_defaultESI_EESE_xNS9_4plusIvEENS9_8equal_toIvEExEE10hipError_tPvRmT2_T3_T4_T5_mT6_T7_P12ihipStream_tbENKUlT_T0_E_clISt17integral_constantIbLb1EES13_IbLb0EEEEDaSZ_S10_EUlSZ_E_NS1_11comp_targetILNS1_3genE3ELNS1_11target_archE908ELNS1_3gpuE7ELNS1_3repE0EEENS1_30default_config_static_selectorELNS0_4arch9wavefront6targetE0EEEvT1_.num_named_barrier, 0
	.set _ZN7rocprim17ROCPRIM_400000_NS6detail17trampoline_kernelINS0_14default_configENS1_27scan_by_key_config_selectorIxxEEZZNS1_16scan_by_key_implILNS1_25lookback_scan_determinismE0ELb0ES3_N6thrust23THRUST_200600_302600_NS6detail15normal_iteratorINS9_10device_ptrIxEEEENS9_18transform_iteratorINS9_6negateIxEESE_NS9_11use_defaultESI_EESE_xNS9_4plusIvEENS9_8equal_toIvEExEE10hipError_tPvRmT2_T3_T4_T5_mT6_T7_P12ihipStream_tbENKUlT_T0_E_clISt17integral_constantIbLb1EES13_IbLb0EEEEDaSZ_S10_EUlSZ_E_NS1_11comp_targetILNS1_3genE3ELNS1_11target_archE908ELNS1_3gpuE7ELNS1_3repE0EEENS1_30default_config_static_selectorELNS0_4arch9wavefront6targetE0EEEvT1_.private_seg_size, 0
	.set _ZN7rocprim17ROCPRIM_400000_NS6detail17trampoline_kernelINS0_14default_configENS1_27scan_by_key_config_selectorIxxEEZZNS1_16scan_by_key_implILNS1_25lookback_scan_determinismE0ELb0ES3_N6thrust23THRUST_200600_302600_NS6detail15normal_iteratorINS9_10device_ptrIxEEEENS9_18transform_iteratorINS9_6negateIxEESE_NS9_11use_defaultESI_EESE_xNS9_4plusIvEENS9_8equal_toIvEExEE10hipError_tPvRmT2_T3_T4_T5_mT6_T7_P12ihipStream_tbENKUlT_T0_E_clISt17integral_constantIbLb1EES13_IbLb0EEEEDaSZ_S10_EUlSZ_E_NS1_11comp_targetILNS1_3genE3ELNS1_11target_archE908ELNS1_3gpuE7ELNS1_3repE0EEENS1_30default_config_static_selectorELNS0_4arch9wavefront6targetE0EEEvT1_.uses_vcc, 0
	.set _ZN7rocprim17ROCPRIM_400000_NS6detail17trampoline_kernelINS0_14default_configENS1_27scan_by_key_config_selectorIxxEEZZNS1_16scan_by_key_implILNS1_25lookback_scan_determinismE0ELb0ES3_N6thrust23THRUST_200600_302600_NS6detail15normal_iteratorINS9_10device_ptrIxEEEENS9_18transform_iteratorINS9_6negateIxEESE_NS9_11use_defaultESI_EESE_xNS9_4plusIvEENS9_8equal_toIvEExEE10hipError_tPvRmT2_T3_T4_T5_mT6_T7_P12ihipStream_tbENKUlT_T0_E_clISt17integral_constantIbLb1EES13_IbLb0EEEEDaSZ_S10_EUlSZ_E_NS1_11comp_targetILNS1_3genE3ELNS1_11target_archE908ELNS1_3gpuE7ELNS1_3repE0EEENS1_30default_config_static_selectorELNS0_4arch9wavefront6targetE0EEEvT1_.uses_flat_scratch, 0
	.set _ZN7rocprim17ROCPRIM_400000_NS6detail17trampoline_kernelINS0_14default_configENS1_27scan_by_key_config_selectorIxxEEZZNS1_16scan_by_key_implILNS1_25lookback_scan_determinismE0ELb0ES3_N6thrust23THRUST_200600_302600_NS6detail15normal_iteratorINS9_10device_ptrIxEEEENS9_18transform_iteratorINS9_6negateIxEESE_NS9_11use_defaultESI_EESE_xNS9_4plusIvEENS9_8equal_toIvEExEE10hipError_tPvRmT2_T3_T4_T5_mT6_T7_P12ihipStream_tbENKUlT_T0_E_clISt17integral_constantIbLb1EES13_IbLb0EEEEDaSZ_S10_EUlSZ_E_NS1_11comp_targetILNS1_3genE3ELNS1_11target_archE908ELNS1_3gpuE7ELNS1_3repE0EEENS1_30default_config_static_selectorELNS0_4arch9wavefront6targetE0EEEvT1_.has_dyn_sized_stack, 0
	.set _ZN7rocprim17ROCPRIM_400000_NS6detail17trampoline_kernelINS0_14default_configENS1_27scan_by_key_config_selectorIxxEEZZNS1_16scan_by_key_implILNS1_25lookback_scan_determinismE0ELb0ES3_N6thrust23THRUST_200600_302600_NS6detail15normal_iteratorINS9_10device_ptrIxEEEENS9_18transform_iteratorINS9_6negateIxEESE_NS9_11use_defaultESI_EESE_xNS9_4plusIvEENS9_8equal_toIvEExEE10hipError_tPvRmT2_T3_T4_T5_mT6_T7_P12ihipStream_tbENKUlT_T0_E_clISt17integral_constantIbLb1EES13_IbLb0EEEEDaSZ_S10_EUlSZ_E_NS1_11comp_targetILNS1_3genE3ELNS1_11target_archE908ELNS1_3gpuE7ELNS1_3repE0EEENS1_30default_config_static_selectorELNS0_4arch9wavefront6targetE0EEEvT1_.has_recursion, 0
	.set _ZN7rocprim17ROCPRIM_400000_NS6detail17trampoline_kernelINS0_14default_configENS1_27scan_by_key_config_selectorIxxEEZZNS1_16scan_by_key_implILNS1_25lookback_scan_determinismE0ELb0ES3_N6thrust23THRUST_200600_302600_NS6detail15normal_iteratorINS9_10device_ptrIxEEEENS9_18transform_iteratorINS9_6negateIxEESE_NS9_11use_defaultESI_EESE_xNS9_4plusIvEENS9_8equal_toIvEExEE10hipError_tPvRmT2_T3_T4_T5_mT6_T7_P12ihipStream_tbENKUlT_T0_E_clISt17integral_constantIbLb1EES13_IbLb0EEEEDaSZ_S10_EUlSZ_E_NS1_11comp_targetILNS1_3genE3ELNS1_11target_archE908ELNS1_3gpuE7ELNS1_3repE0EEENS1_30default_config_static_selectorELNS0_4arch9wavefront6targetE0EEEvT1_.has_indirect_call, 0
	.section	.AMDGPU.csdata,"",@progbits
; Kernel info:
; codeLenInByte = 0
; TotalNumSgprs: 0
; NumVgprs: 0
; ScratchSize: 0
; MemoryBound: 0
; FloatMode: 240
; IeeeMode: 1
; LDSByteSize: 0 bytes/workgroup (compile time only)
; SGPRBlocks: 0
; VGPRBlocks: 0
; NumSGPRsForWavesPerEU: 1
; NumVGPRsForWavesPerEU: 1
; Occupancy: 16
; WaveLimiterHint : 0
; COMPUTE_PGM_RSRC2:SCRATCH_EN: 0
; COMPUTE_PGM_RSRC2:USER_SGPR: 6
; COMPUTE_PGM_RSRC2:TRAP_HANDLER: 0
; COMPUTE_PGM_RSRC2:TGID_X_EN: 1
; COMPUTE_PGM_RSRC2:TGID_Y_EN: 0
; COMPUTE_PGM_RSRC2:TGID_Z_EN: 0
; COMPUTE_PGM_RSRC2:TIDIG_COMP_CNT: 0
	.section	.text._ZN7rocprim17ROCPRIM_400000_NS6detail17trampoline_kernelINS0_14default_configENS1_27scan_by_key_config_selectorIxxEEZZNS1_16scan_by_key_implILNS1_25lookback_scan_determinismE0ELb0ES3_N6thrust23THRUST_200600_302600_NS6detail15normal_iteratorINS9_10device_ptrIxEEEENS9_18transform_iteratorINS9_6negateIxEESE_NS9_11use_defaultESI_EESE_xNS9_4plusIvEENS9_8equal_toIvEExEE10hipError_tPvRmT2_T3_T4_T5_mT6_T7_P12ihipStream_tbENKUlT_T0_E_clISt17integral_constantIbLb1EES13_IbLb0EEEEDaSZ_S10_EUlSZ_E_NS1_11comp_targetILNS1_3genE2ELNS1_11target_archE906ELNS1_3gpuE6ELNS1_3repE0EEENS1_30default_config_static_selectorELNS0_4arch9wavefront6targetE0EEEvT1_,"axG",@progbits,_ZN7rocprim17ROCPRIM_400000_NS6detail17trampoline_kernelINS0_14default_configENS1_27scan_by_key_config_selectorIxxEEZZNS1_16scan_by_key_implILNS1_25lookback_scan_determinismE0ELb0ES3_N6thrust23THRUST_200600_302600_NS6detail15normal_iteratorINS9_10device_ptrIxEEEENS9_18transform_iteratorINS9_6negateIxEESE_NS9_11use_defaultESI_EESE_xNS9_4plusIvEENS9_8equal_toIvEExEE10hipError_tPvRmT2_T3_T4_T5_mT6_T7_P12ihipStream_tbENKUlT_T0_E_clISt17integral_constantIbLb1EES13_IbLb0EEEEDaSZ_S10_EUlSZ_E_NS1_11comp_targetILNS1_3genE2ELNS1_11target_archE906ELNS1_3gpuE6ELNS1_3repE0EEENS1_30default_config_static_selectorELNS0_4arch9wavefront6targetE0EEEvT1_,comdat
	.protected	_ZN7rocprim17ROCPRIM_400000_NS6detail17trampoline_kernelINS0_14default_configENS1_27scan_by_key_config_selectorIxxEEZZNS1_16scan_by_key_implILNS1_25lookback_scan_determinismE0ELb0ES3_N6thrust23THRUST_200600_302600_NS6detail15normal_iteratorINS9_10device_ptrIxEEEENS9_18transform_iteratorINS9_6negateIxEESE_NS9_11use_defaultESI_EESE_xNS9_4plusIvEENS9_8equal_toIvEExEE10hipError_tPvRmT2_T3_T4_T5_mT6_T7_P12ihipStream_tbENKUlT_T0_E_clISt17integral_constantIbLb1EES13_IbLb0EEEEDaSZ_S10_EUlSZ_E_NS1_11comp_targetILNS1_3genE2ELNS1_11target_archE906ELNS1_3gpuE6ELNS1_3repE0EEENS1_30default_config_static_selectorELNS0_4arch9wavefront6targetE0EEEvT1_ ; -- Begin function _ZN7rocprim17ROCPRIM_400000_NS6detail17trampoline_kernelINS0_14default_configENS1_27scan_by_key_config_selectorIxxEEZZNS1_16scan_by_key_implILNS1_25lookback_scan_determinismE0ELb0ES3_N6thrust23THRUST_200600_302600_NS6detail15normal_iteratorINS9_10device_ptrIxEEEENS9_18transform_iteratorINS9_6negateIxEESE_NS9_11use_defaultESI_EESE_xNS9_4plusIvEENS9_8equal_toIvEExEE10hipError_tPvRmT2_T3_T4_T5_mT6_T7_P12ihipStream_tbENKUlT_T0_E_clISt17integral_constantIbLb1EES13_IbLb0EEEEDaSZ_S10_EUlSZ_E_NS1_11comp_targetILNS1_3genE2ELNS1_11target_archE906ELNS1_3gpuE6ELNS1_3repE0EEENS1_30default_config_static_selectorELNS0_4arch9wavefront6targetE0EEEvT1_
	.globl	_ZN7rocprim17ROCPRIM_400000_NS6detail17trampoline_kernelINS0_14default_configENS1_27scan_by_key_config_selectorIxxEEZZNS1_16scan_by_key_implILNS1_25lookback_scan_determinismE0ELb0ES3_N6thrust23THRUST_200600_302600_NS6detail15normal_iteratorINS9_10device_ptrIxEEEENS9_18transform_iteratorINS9_6negateIxEESE_NS9_11use_defaultESI_EESE_xNS9_4plusIvEENS9_8equal_toIvEExEE10hipError_tPvRmT2_T3_T4_T5_mT6_T7_P12ihipStream_tbENKUlT_T0_E_clISt17integral_constantIbLb1EES13_IbLb0EEEEDaSZ_S10_EUlSZ_E_NS1_11comp_targetILNS1_3genE2ELNS1_11target_archE906ELNS1_3gpuE6ELNS1_3repE0EEENS1_30default_config_static_selectorELNS0_4arch9wavefront6targetE0EEEvT1_
	.p2align	8
	.type	_ZN7rocprim17ROCPRIM_400000_NS6detail17trampoline_kernelINS0_14default_configENS1_27scan_by_key_config_selectorIxxEEZZNS1_16scan_by_key_implILNS1_25lookback_scan_determinismE0ELb0ES3_N6thrust23THRUST_200600_302600_NS6detail15normal_iteratorINS9_10device_ptrIxEEEENS9_18transform_iteratorINS9_6negateIxEESE_NS9_11use_defaultESI_EESE_xNS9_4plusIvEENS9_8equal_toIvEExEE10hipError_tPvRmT2_T3_T4_T5_mT6_T7_P12ihipStream_tbENKUlT_T0_E_clISt17integral_constantIbLb1EES13_IbLb0EEEEDaSZ_S10_EUlSZ_E_NS1_11comp_targetILNS1_3genE2ELNS1_11target_archE906ELNS1_3gpuE6ELNS1_3repE0EEENS1_30default_config_static_selectorELNS0_4arch9wavefront6targetE0EEEvT1_,@function
_ZN7rocprim17ROCPRIM_400000_NS6detail17trampoline_kernelINS0_14default_configENS1_27scan_by_key_config_selectorIxxEEZZNS1_16scan_by_key_implILNS1_25lookback_scan_determinismE0ELb0ES3_N6thrust23THRUST_200600_302600_NS6detail15normal_iteratorINS9_10device_ptrIxEEEENS9_18transform_iteratorINS9_6negateIxEESE_NS9_11use_defaultESI_EESE_xNS9_4plusIvEENS9_8equal_toIvEExEE10hipError_tPvRmT2_T3_T4_T5_mT6_T7_P12ihipStream_tbENKUlT_T0_E_clISt17integral_constantIbLb1EES13_IbLb0EEEEDaSZ_S10_EUlSZ_E_NS1_11comp_targetILNS1_3genE2ELNS1_11target_archE906ELNS1_3gpuE6ELNS1_3repE0EEENS1_30default_config_static_selectorELNS0_4arch9wavefront6targetE0EEEvT1_: ; @_ZN7rocprim17ROCPRIM_400000_NS6detail17trampoline_kernelINS0_14default_configENS1_27scan_by_key_config_selectorIxxEEZZNS1_16scan_by_key_implILNS1_25lookback_scan_determinismE0ELb0ES3_N6thrust23THRUST_200600_302600_NS6detail15normal_iteratorINS9_10device_ptrIxEEEENS9_18transform_iteratorINS9_6negateIxEESE_NS9_11use_defaultESI_EESE_xNS9_4plusIvEENS9_8equal_toIvEExEE10hipError_tPvRmT2_T3_T4_T5_mT6_T7_P12ihipStream_tbENKUlT_T0_E_clISt17integral_constantIbLb1EES13_IbLb0EEEEDaSZ_S10_EUlSZ_E_NS1_11comp_targetILNS1_3genE2ELNS1_11target_archE906ELNS1_3gpuE6ELNS1_3repE0EEENS1_30default_config_static_selectorELNS0_4arch9wavefront6targetE0EEEvT1_
; %bb.0:
	.section	.rodata,"a",@progbits
	.p2align	6, 0x0
	.amdhsa_kernel _ZN7rocprim17ROCPRIM_400000_NS6detail17trampoline_kernelINS0_14default_configENS1_27scan_by_key_config_selectorIxxEEZZNS1_16scan_by_key_implILNS1_25lookback_scan_determinismE0ELb0ES3_N6thrust23THRUST_200600_302600_NS6detail15normal_iteratorINS9_10device_ptrIxEEEENS9_18transform_iteratorINS9_6negateIxEESE_NS9_11use_defaultESI_EESE_xNS9_4plusIvEENS9_8equal_toIvEExEE10hipError_tPvRmT2_T3_T4_T5_mT6_T7_P12ihipStream_tbENKUlT_T0_E_clISt17integral_constantIbLb1EES13_IbLb0EEEEDaSZ_S10_EUlSZ_E_NS1_11comp_targetILNS1_3genE2ELNS1_11target_archE906ELNS1_3gpuE6ELNS1_3repE0EEENS1_30default_config_static_selectorELNS0_4arch9wavefront6targetE0EEEvT1_
		.amdhsa_group_segment_fixed_size 0
		.amdhsa_private_segment_fixed_size 0
		.amdhsa_kernarg_size 144
		.amdhsa_user_sgpr_count 6
		.amdhsa_user_sgpr_private_segment_buffer 1
		.amdhsa_user_sgpr_dispatch_ptr 0
		.amdhsa_user_sgpr_queue_ptr 0
		.amdhsa_user_sgpr_kernarg_segment_ptr 1
		.amdhsa_user_sgpr_dispatch_id 0
		.amdhsa_user_sgpr_flat_scratch_init 0
		.amdhsa_user_sgpr_private_segment_size 0
		.amdhsa_wavefront_size32 1
		.amdhsa_uses_dynamic_stack 0
		.amdhsa_system_sgpr_private_segment_wavefront_offset 0
		.amdhsa_system_sgpr_workgroup_id_x 1
		.amdhsa_system_sgpr_workgroup_id_y 0
		.amdhsa_system_sgpr_workgroup_id_z 0
		.amdhsa_system_sgpr_workgroup_info 0
		.amdhsa_system_vgpr_workitem_id 0
		.amdhsa_next_free_vgpr 1
		.amdhsa_next_free_sgpr 1
		.amdhsa_reserve_vcc 0
		.amdhsa_reserve_flat_scratch 0
		.amdhsa_float_round_mode_32 0
		.amdhsa_float_round_mode_16_64 0
		.amdhsa_float_denorm_mode_32 3
		.amdhsa_float_denorm_mode_16_64 3
		.amdhsa_dx10_clamp 1
		.amdhsa_ieee_mode 1
		.amdhsa_fp16_overflow 0
		.amdhsa_workgroup_processor_mode 1
		.amdhsa_memory_ordered 1
		.amdhsa_forward_progress 1
		.amdhsa_shared_vgpr_count 0
		.amdhsa_exception_fp_ieee_invalid_op 0
		.amdhsa_exception_fp_denorm_src 0
		.amdhsa_exception_fp_ieee_div_zero 0
		.amdhsa_exception_fp_ieee_overflow 0
		.amdhsa_exception_fp_ieee_underflow 0
		.amdhsa_exception_fp_ieee_inexact 0
		.amdhsa_exception_int_div_zero 0
	.end_amdhsa_kernel
	.section	.text._ZN7rocprim17ROCPRIM_400000_NS6detail17trampoline_kernelINS0_14default_configENS1_27scan_by_key_config_selectorIxxEEZZNS1_16scan_by_key_implILNS1_25lookback_scan_determinismE0ELb0ES3_N6thrust23THRUST_200600_302600_NS6detail15normal_iteratorINS9_10device_ptrIxEEEENS9_18transform_iteratorINS9_6negateIxEESE_NS9_11use_defaultESI_EESE_xNS9_4plusIvEENS9_8equal_toIvEExEE10hipError_tPvRmT2_T3_T4_T5_mT6_T7_P12ihipStream_tbENKUlT_T0_E_clISt17integral_constantIbLb1EES13_IbLb0EEEEDaSZ_S10_EUlSZ_E_NS1_11comp_targetILNS1_3genE2ELNS1_11target_archE906ELNS1_3gpuE6ELNS1_3repE0EEENS1_30default_config_static_selectorELNS0_4arch9wavefront6targetE0EEEvT1_,"axG",@progbits,_ZN7rocprim17ROCPRIM_400000_NS6detail17trampoline_kernelINS0_14default_configENS1_27scan_by_key_config_selectorIxxEEZZNS1_16scan_by_key_implILNS1_25lookback_scan_determinismE0ELb0ES3_N6thrust23THRUST_200600_302600_NS6detail15normal_iteratorINS9_10device_ptrIxEEEENS9_18transform_iteratorINS9_6negateIxEESE_NS9_11use_defaultESI_EESE_xNS9_4plusIvEENS9_8equal_toIvEExEE10hipError_tPvRmT2_T3_T4_T5_mT6_T7_P12ihipStream_tbENKUlT_T0_E_clISt17integral_constantIbLb1EES13_IbLb0EEEEDaSZ_S10_EUlSZ_E_NS1_11comp_targetILNS1_3genE2ELNS1_11target_archE906ELNS1_3gpuE6ELNS1_3repE0EEENS1_30default_config_static_selectorELNS0_4arch9wavefront6targetE0EEEvT1_,comdat
.Lfunc_end916:
	.size	_ZN7rocprim17ROCPRIM_400000_NS6detail17trampoline_kernelINS0_14default_configENS1_27scan_by_key_config_selectorIxxEEZZNS1_16scan_by_key_implILNS1_25lookback_scan_determinismE0ELb0ES3_N6thrust23THRUST_200600_302600_NS6detail15normal_iteratorINS9_10device_ptrIxEEEENS9_18transform_iteratorINS9_6negateIxEESE_NS9_11use_defaultESI_EESE_xNS9_4plusIvEENS9_8equal_toIvEExEE10hipError_tPvRmT2_T3_T4_T5_mT6_T7_P12ihipStream_tbENKUlT_T0_E_clISt17integral_constantIbLb1EES13_IbLb0EEEEDaSZ_S10_EUlSZ_E_NS1_11comp_targetILNS1_3genE2ELNS1_11target_archE906ELNS1_3gpuE6ELNS1_3repE0EEENS1_30default_config_static_selectorELNS0_4arch9wavefront6targetE0EEEvT1_, .Lfunc_end916-_ZN7rocprim17ROCPRIM_400000_NS6detail17trampoline_kernelINS0_14default_configENS1_27scan_by_key_config_selectorIxxEEZZNS1_16scan_by_key_implILNS1_25lookback_scan_determinismE0ELb0ES3_N6thrust23THRUST_200600_302600_NS6detail15normal_iteratorINS9_10device_ptrIxEEEENS9_18transform_iteratorINS9_6negateIxEESE_NS9_11use_defaultESI_EESE_xNS9_4plusIvEENS9_8equal_toIvEExEE10hipError_tPvRmT2_T3_T4_T5_mT6_T7_P12ihipStream_tbENKUlT_T0_E_clISt17integral_constantIbLb1EES13_IbLb0EEEEDaSZ_S10_EUlSZ_E_NS1_11comp_targetILNS1_3genE2ELNS1_11target_archE906ELNS1_3gpuE6ELNS1_3repE0EEENS1_30default_config_static_selectorELNS0_4arch9wavefront6targetE0EEEvT1_
                                        ; -- End function
	.set _ZN7rocprim17ROCPRIM_400000_NS6detail17trampoline_kernelINS0_14default_configENS1_27scan_by_key_config_selectorIxxEEZZNS1_16scan_by_key_implILNS1_25lookback_scan_determinismE0ELb0ES3_N6thrust23THRUST_200600_302600_NS6detail15normal_iteratorINS9_10device_ptrIxEEEENS9_18transform_iteratorINS9_6negateIxEESE_NS9_11use_defaultESI_EESE_xNS9_4plusIvEENS9_8equal_toIvEExEE10hipError_tPvRmT2_T3_T4_T5_mT6_T7_P12ihipStream_tbENKUlT_T0_E_clISt17integral_constantIbLb1EES13_IbLb0EEEEDaSZ_S10_EUlSZ_E_NS1_11comp_targetILNS1_3genE2ELNS1_11target_archE906ELNS1_3gpuE6ELNS1_3repE0EEENS1_30default_config_static_selectorELNS0_4arch9wavefront6targetE0EEEvT1_.num_vgpr, 0
	.set _ZN7rocprim17ROCPRIM_400000_NS6detail17trampoline_kernelINS0_14default_configENS1_27scan_by_key_config_selectorIxxEEZZNS1_16scan_by_key_implILNS1_25lookback_scan_determinismE0ELb0ES3_N6thrust23THRUST_200600_302600_NS6detail15normal_iteratorINS9_10device_ptrIxEEEENS9_18transform_iteratorINS9_6negateIxEESE_NS9_11use_defaultESI_EESE_xNS9_4plusIvEENS9_8equal_toIvEExEE10hipError_tPvRmT2_T3_T4_T5_mT6_T7_P12ihipStream_tbENKUlT_T0_E_clISt17integral_constantIbLb1EES13_IbLb0EEEEDaSZ_S10_EUlSZ_E_NS1_11comp_targetILNS1_3genE2ELNS1_11target_archE906ELNS1_3gpuE6ELNS1_3repE0EEENS1_30default_config_static_selectorELNS0_4arch9wavefront6targetE0EEEvT1_.num_agpr, 0
	.set _ZN7rocprim17ROCPRIM_400000_NS6detail17trampoline_kernelINS0_14default_configENS1_27scan_by_key_config_selectorIxxEEZZNS1_16scan_by_key_implILNS1_25lookback_scan_determinismE0ELb0ES3_N6thrust23THRUST_200600_302600_NS6detail15normal_iteratorINS9_10device_ptrIxEEEENS9_18transform_iteratorINS9_6negateIxEESE_NS9_11use_defaultESI_EESE_xNS9_4plusIvEENS9_8equal_toIvEExEE10hipError_tPvRmT2_T3_T4_T5_mT6_T7_P12ihipStream_tbENKUlT_T0_E_clISt17integral_constantIbLb1EES13_IbLb0EEEEDaSZ_S10_EUlSZ_E_NS1_11comp_targetILNS1_3genE2ELNS1_11target_archE906ELNS1_3gpuE6ELNS1_3repE0EEENS1_30default_config_static_selectorELNS0_4arch9wavefront6targetE0EEEvT1_.numbered_sgpr, 0
	.set _ZN7rocprim17ROCPRIM_400000_NS6detail17trampoline_kernelINS0_14default_configENS1_27scan_by_key_config_selectorIxxEEZZNS1_16scan_by_key_implILNS1_25lookback_scan_determinismE0ELb0ES3_N6thrust23THRUST_200600_302600_NS6detail15normal_iteratorINS9_10device_ptrIxEEEENS9_18transform_iteratorINS9_6negateIxEESE_NS9_11use_defaultESI_EESE_xNS9_4plusIvEENS9_8equal_toIvEExEE10hipError_tPvRmT2_T3_T4_T5_mT6_T7_P12ihipStream_tbENKUlT_T0_E_clISt17integral_constantIbLb1EES13_IbLb0EEEEDaSZ_S10_EUlSZ_E_NS1_11comp_targetILNS1_3genE2ELNS1_11target_archE906ELNS1_3gpuE6ELNS1_3repE0EEENS1_30default_config_static_selectorELNS0_4arch9wavefront6targetE0EEEvT1_.num_named_barrier, 0
	.set _ZN7rocprim17ROCPRIM_400000_NS6detail17trampoline_kernelINS0_14default_configENS1_27scan_by_key_config_selectorIxxEEZZNS1_16scan_by_key_implILNS1_25lookback_scan_determinismE0ELb0ES3_N6thrust23THRUST_200600_302600_NS6detail15normal_iteratorINS9_10device_ptrIxEEEENS9_18transform_iteratorINS9_6negateIxEESE_NS9_11use_defaultESI_EESE_xNS9_4plusIvEENS9_8equal_toIvEExEE10hipError_tPvRmT2_T3_T4_T5_mT6_T7_P12ihipStream_tbENKUlT_T0_E_clISt17integral_constantIbLb1EES13_IbLb0EEEEDaSZ_S10_EUlSZ_E_NS1_11comp_targetILNS1_3genE2ELNS1_11target_archE906ELNS1_3gpuE6ELNS1_3repE0EEENS1_30default_config_static_selectorELNS0_4arch9wavefront6targetE0EEEvT1_.private_seg_size, 0
	.set _ZN7rocprim17ROCPRIM_400000_NS6detail17trampoline_kernelINS0_14default_configENS1_27scan_by_key_config_selectorIxxEEZZNS1_16scan_by_key_implILNS1_25lookback_scan_determinismE0ELb0ES3_N6thrust23THRUST_200600_302600_NS6detail15normal_iteratorINS9_10device_ptrIxEEEENS9_18transform_iteratorINS9_6negateIxEESE_NS9_11use_defaultESI_EESE_xNS9_4plusIvEENS9_8equal_toIvEExEE10hipError_tPvRmT2_T3_T4_T5_mT6_T7_P12ihipStream_tbENKUlT_T0_E_clISt17integral_constantIbLb1EES13_IbLb0EEEEDaSZ_S10_EUlSZ_E_NS1_11comp_targetILNS1_3genE2ELNS1_11target_archE906ELNS1_3gpuE6ELNS1_3repE0EEENS1_30default_config_static_selectorELNS0_4arch9wavefront6targetE0EEEvT1_.uses_vcc, 0
	.set _ZN7rocprim17ROCPRIM_400000_NS6detail17trampoline_kernelINS0_14default_configENS1_27scan_by_key_config_selectorIxxEEZZNS1_16scan_by_key_implILNS1_25lookback_scan_determinismE0ELb0ES3_N6thrust23THRUST_200600_302600_NS6detail15normal_iteratorINS9_10device_ptrIxEEEENS9_18transform_iteratorINS9_6negateIxEESE_NS9_11use_defaultESI_EESE_xNS9_4plusIvEENS9_8equal_toIvEExEE10hipError_tPvRmT2_T3_T4_T5_mT6_T7_P12ihipStream_tbENKUlT_T0_E_clISt17integral_constantIbLb1EES13_IbLb0EEEEDaSZ_S10_EUlSZ_E_NS1_11comp_targetILNS1_3genE2ELNS1_11target_archE906ELNS1_3gpuE6ELNS1_3repE0EEENS1_30default_config_static_selectorELNS0_4arch9wavefront6targetE0EEEvT1_.uses_flat_scratch, 0
	.set _ZN7rocprim17ROCPRIM_400000_NS6detail17trampoline_kernelINS0_14default_configENS1_27scan_by_key_config_selectorIxxEEZZNS1_16scan_by_key_implILNS1_25lookback_scan_determinismE0ELb0ES3_N6thrust23THRUST_200600_302600_NS6detail15normal_iteratorINS9_10device_ptrIxEEEENS9_18transform_iteratorINS9_6negateIxEESE_NS9_11use_defaultESI_EESE_xNS9_4plusIvEENS9_8equal_toIvEExEE10hipError_tPvRmT2_T3_T4_T5_mT6_T7_P12ihipStream_tbENKUlT_T0_E_clISt17integral_constantIbLb1EES13_IbLb0EEEEDaSZ_S10_EUlSZ_E_NS1_11comp_targetILNS1_3genE2ELNS1_11target_archE906ELNS1_3gpuE6ELNS1_3repE0EEENS1_30default_config_static_selectorELNS0_4arch9wavefront6targetE0EEEvT1_.has_dyn_sized_stack, 0
	.set _ZN7rocprim17ROCPRIM_400000_NS6detail17trampoline_kernelINS0_14default_configENS1_27scan_by_key_config_selectorIxxEEZZNS1_16scan_by_key_implILNS1_25lookback_scan_determinismE0ELb0ES3_N6thrust23THRUST_200600_302600_NS6detail15normal_iteratorINS9_10device_ptrIxEEEENS9_18transform_iteratorINS9_6negateIxEESE_NS9_11use_defaultESI_EESE_xNS9_4plusIvEENS9_8equal_toIvEExEE10hipError_tPvRmT2_T3_T4_T5_mT6_T7_P12ihipStream_tbENKUlT_T0_E_clISt17integral_constantIbLb1EES13_IbLb0EEEEDaSZ_S10_EUlSZ_E_NS1_11comp_targetILNS1_3genE2ELNS1_11target_archE906ELNS1_3gpuE6ELNS1_3repE0EEENS1_30default_config_static_selectorELNS0_4arch9wavefront6targetE0EEEvT1_.has_recursion, 0
	.set _ZN7rocprim17ROCPRIM_400000_NS6detail17trampoline_kernelINS0_14default_configENS1_27scan_by_key_config_selectorIxxEEZZNS1_16scan_by_key_implILNS1_25lookback_scan_determinismE0ELb0ES3_N6thrust23THRUST_200600_302600_NS6detail15normal_iteratorINS9_10device_ptrIxEEEENS9_18transform_iteratorINS9_6negateIxEESE_NS9_11use_defaultESI_EESE_xNS9_4plusIvEENS9_8equal_toIvEExEE10hipError_tPvRmT2_T3_T4_T5_mT6_T7_P12ihipStream_tbENKUlT_T0_E_clISt17integral_constantIbLb1EES13_IbLb0EEEEDaSZ_S10_EUlSZ_E_NS1_11comp_targetILNS1_3genE2ELNS1_11target_archE906ELNS1_3gpuE6ELNS1_3repE0EEENS1_30default_config_static_selectorELNS0_4arch9wavefront6targetE0EEEvT1_.has_indirect_call, 0
	.section	.AMDGPU.csdata,"",@progbits
; Kernel info:
; codeLenInByte = 0
; TotalNumSgprs: 0
; NumVgprs: 0
; ScratchSize: 0
; MemoryBound: 0
; FloatMode: 240
; IeeeMode: 1
; LDSByteSize: 0 bytes/workgroup (compile time only)
; SGPRBlocks: 0
; VGPRBlocks: 0
; NumSGPRsForWavesPerEU: 1
; NumVGPRsForWavesPerEU: 1
; Occupancy: 16
; WaveLimiterHint : 0
; COMPUTE_PGM_RSRC2:SCRATCH_EN: 0
; COMPUTE_PGM_RSRC2:USER_SGPR: 6
; COMPUTE_PGM_RSRC2:TRAP_HANDLER: 0
; COMPUTE_PGM_RSRC2:TGID_X_EN: 1
; COMPUTE_PGM_RSRC2:TGID_Y_EN: 0
; COMPUTE_PGM_RSRC2:TGID_Z_EN: 0
; COMPUTE_PGM_RSRC2:TIDIG_COMP_CNT: 0
	.section	.text._ZN7rocprim17ROCPRIM_400000_NS6detail17trampoline_kernelINS0_14default_configENS1_27scan_by_key_config_selectorIxxEEZZNS1_16scan_by_key_implILNS1_25lookback_scan_determinismE0ELb0ES3_N6thrust23THRUST_200600_302600_NS6detail15normal_iteratorINS9_10device_ptrIxEEEENS9_18transform_iteratorINS9_6negateIxEESE_NS9_11use_defaultESI_EESE_xNS9_4plusIvEENS9_8equal_toIvEExEE10hipError_tPvRmT2_T3_T4_T5_mT6_T7_P12ihipStream_tbENKUlT_T0_E_clISt17integral_constantIbLb1EES13_IbLb0EEEEDaSZ_S10_EUlSZ_E_NS1_11comp_targetILNS1_3genE10ELNS1_11target_archE1200ELNS1_3gpuE4ELNS1_3repE0EEENS1_30default_config_static_selectorELNS0_4arch9wavefront6targetE0EEEvT1_,"axG",@progbits,_ZN7rocprim17ROCPRIM_400000_NS6detail17trampoline_kernelINS0_14default_configENS1_27scan_by_key_config_selectorIxxEEZZNS1_16scan_by_key_implILNS1_25lookback_scan_determinismE0ELb0ES3_N6thrust23THRUST_200600_302600_NS6detail15normal_iteratorINS9_10device_ptrIxEEEENS9_18transform_iteratorINS9_6negateIxEESE_NS9_11use_defaultESI_EESE_xNS9_4plusIvEENS9_8equal_toIvEExEE10hipError_tPvRmT2_T3_T4_T5_mT6_T7_P12ihipStream_tbENKUlT_T0_E_clISt17integral_constantIbLb1EES13_IbLb0EEEEDaSZ_S10_EUlSZ_E_NS1_11comp_targetILNS1_3genE10ELNS1_11target_archE1200ELNS1_3gpuE4ELNS1_3repE0EEENS1_30default_config_static_selectorELNS0_4arch9wavefront6targetE0EEEvT1_,comdat
	.protected	_ZN7rocprim17ROCPRIM_400000_NS6detail17trampoline_kernelINS0_14default_configENS1_27scan_by_key_config_selectorIxxEEZZNS1_16scan_by_key_implILNS1_25lookback_scan_determinismE0ELb0ES3_N6thrust23THRUST_200600_302600_NS6detail15normal_iteratorINS9_10device_ptrIxEEEENS9_18transform_iteratorINS9_6negateIxEESE_NS9_11use_defaultESI_EESE_xNS9_4plusIvEENS9_8equal_toIvEExEE10hipError_tPvRmT2_T3_T4_T5_mT6_T7_P12ihipStream_tbENKUlT_T0_E_clISt17integral_constantIbLb1EES13_IbLb0EEEEDaSZ_S10_EUlSZ_E_NS1_11comp_targetILNS1_3genE10ELNS1_11target_archE1200ELNS1_3gpuE4ELNS1_3repE0EEENS1_30default_config_static_selectorELNS0_4arch9wavefront6targetE0EEEvT1_ ; -- Begin function _ZN7rocprim17ROCPRIM_400000_NS6detail17trampoline_kernelINS0_14default_configENS1_27scan_by_key_config_selectorIxxEEZZNS1_16scan_by_key_implILNS1_25lookback_scan_determinismE0ELb0ES3_N6thrust23THRUST_200600_302600_NS6detail15normal_iteratorINS9_10device_ptrIxEEEENS9_18transform_iteratorINS9_6negateIxEESE_NS9_11use_defaultESI_EESE_xNS9_4plusIvEENS9_8equal_toIvEExEE10hipError_tPvRmT2_T3_T4_T5_mT6_T7_P12ihipStream_tbENKUlT_T0_E_clISt17integral_constantIbLb1EES13_IbLb0EEEEDaSZ_S10_EUlSZ_E_NS1_11comp_targetILNS1_3genE10ELNS1_11target_archE1200ELNS1_3gpuE4ELNS1_3repE0EEENS1_30default_config_static_selectorELNS0_4arch9wavefront6targetE0EEEvT1_
	.globl	_ZN7rocprim17ROCPRIM_400000_NS6detail17trampoline_kernelINS0_14default_configENS1_27scan_by_key_config_selectorIxxEEZZNS1_16scan_by_key_implILNS1_25lookback_scan_determinismE0ELb0ES3_N6thrust23THRUST_200600_302600_NS6detail15normal_iteratorINS9_10device_ptrIxEEEENS9_18transform_iteratorINS9_6negateIxEESE_NS9_11use_defaultESI_EESE_xNS9_4plusIvEENS9_8equal_toIvEExEE10hipError_tPvRmT2_T3_T4_T5_mT6_T7_P12ihipStream_tbENKUlT_T0_E_clISt17integral_constantIbLb1EES13_IbLb0EEEEDaSZ_S10_EUlSZ_E_NS1_11comp_targetILNS1_3genE10ELNS1_11target_archE1200ELNS1_3gpuE4ELNS1_3repE0EEENS1_30default_config_static_selectorELNS0_4arch9wavefront6targetE0EEEvT1_
	.p2align	8
	.type	_ZN7rocprim17ROCPRIM_400000_NS6detail17trampoline_kernelINS0_14default_configENS1_27scan_by_key_config_selectorIxxEEZZNS1_16scan_by_key_implILNS1_25lookback_scan_determinismE0ELb0ES3_N6thrust23THRUST_200600_302600_NS6detail15normal_iteratorINS9_10device_ptrIxEEEENS9_18transform_iteratorINS9_6negateIxEESE_NS9_11use_defaultESI_EESE_xNS9_4plusIvEENS9_8equal_toIvEExEE10hipError_tPvRmT2_T3_T4_T5_mT6_T7_P12ihipStream_tbENKUlT_T0_E_clISt17integral_constantIbLb1EES13_IbLb0EEEEDaSZ_S10_EUlSZ_E_NS1_11comp_targetILNS1_3genE10ELNS1_11target_archE1200ELNS1_3gpuE4ELNS1_3repE0EEENS1_30default_config_static_selectorELNS0_4arch9wavefront6targetE0EEEvT1_,@function
_ZN7rocprim17ROCPRIM_400000_NS6detail17trampoline_kernelINS0_14default_configENS1_27scan_by_key_config_selectorIxxEEZZNS1_16scan_by_key_implILNS1_25lookback_scan_determinismE0ELb0ES3_N6thrust23THRUST_200600_302600_NS6detail15normal_iteratorINS9_10device_ptrIxEEEENS9_18transform_iteratorINS9_6negateIxEESE_NS9_11use_defaultESI_EESE_xNS9_4plusIvEENS9_8equal_toIvEExEE10hipError_tPvRmT2_T3_T4_T5_mT6_T7_P12ihipStream_tbENKUlT_T0_E_clISt17integral_constantIbLb1EES13_IbLb0EEEEDaSZ_S10_EUlSZ_E_NS1_11comp_targetILNS1_3genE10ELNS1_11target_archE1200ELNS1_3gpuE4ELNS1_3repE0EEENS1_30default_config_static_selectorELNS0_4arch9wavefront6targetE0EEEvT1_: ; @_ZN7rocprim17ROCPRIM_400000_NS6detail17trampoline_kernelINS0_14default_configENS1_27scan_by_key_config_selectorIxxEEZZNS1_16scan_by_key_implILNS1_25lookback_scan_determinismE0ELb0ES3_N6thrust23THRUST_200600_302600_NS6detail15normal_iteratorINS9_10device_ptrIxEEEENS9_18transform_iteratorINS9_6negateIxEESE_NS9_11use_defaultESI_EESE_xNS9_4plusIvEENS9_8equal_toIvEExEE10hipError_tPvRmT2_T3_T4_T5_mT6_T7_P12ihipStream_tbENKUlT_T0_E_clISt17integral_constantIbLb1EES13_IbLb0EEEEDaSZ_S10_EUlSZ_E_NS1_11comp_targetILNS1_3genE10ELNS1_11target_archE1200ELNS1_3gpuE4ELNS1_3repE0EEENS1_30default_config_static_selectorELNS0_4arch9wavefront6targetE0EEEvT1_
; %bb.0:
	.section	.rodata,"a",@progbits
	.p2align	6, 0x0
	.amdhsa_kernel _ZN7rocprim17ROCPRIM_400000_NS6detail17trampoline_kernelINS0_14default_configENS1_27scan_by_key_config_selectorIxxEEZZNS1_16scan_by_key_implILNS1_25lookback_scan_determinismE0ELb0ES3_N6thrust23THRUST_200600_302600_NS6detail15normal_iteratorINS9_10device_ptrIxEEEENS9_18transform_iteratorINS9_6negateIxEESE_NS9_11use_defaultESI_EESE_xNS9_4plusIvEENS9_8equal_toIvEExEE10hipError_tPvRmT2_T3_T4_T5_mT6_T7_P12ihipStream_tbENKUlT_T0_E_clISt17integral_constantIbLb1EES13_IbLb0EEEEDaSZ_S10_EUlSZ_E_NS1_11comp_targetILNS1_3genE10ELNS1_11target_archE1200ELNS1_3gpuE4ELNS1_3repE0EEENS1_30default_config_static_selectorELNS0_4arch9wavefront6targetE0EEEvT1_
		.amdhsa_group_segment_fixed_size 0
		.amdhsa_private_segment_fixed_size 0
		.amdhsa_kernarg_size 144
		.amdhsa_user_sgpr_count 6
		.amdhsa_user_sgpr_private_segment_buffer 1
		.amdhsa_user_sgpr_dispatch_ptr 0
		.amdhsa_user_sgpr_queue_ptr 0
		.amdhsa_user_sgpr_kernarg_segment_ptr 1
		.amdhsa_user_sgpr_dispatch_id 0
		.amdhsa_user_sgpr_flat_scratch_init 0
		.amdhsa_user_sgpr_private_segment_size 0
		.amdhsa_wavefront_size32 1
		.amdhsa_uses_dynamic_stack 0
		.amdhsa_system_sgpr_private_segment_wavefront_offset 0
		.amdhsa_system_sgpr_workgroup_id_x 1
		.amdhsa_system_sgpr_workgroup_id_y 0
		.amdhsa_system_sgpr_workgroup_id_z 0
		.amdhsa_system_sgpr_workgroup_info 0
		.amdhsa_system_vgpr_workitem_id 0
		.amdhsa_next_free_vgpr 1
		.amdhsa_next_free_sgpr 1
		.amdhsa_reserve_vcc 0
		.amdhsa_reserve_flat_scratch 0
		.amdhsa_float_round_mode_32 0
		.amdhsa_float_round_mode_16_64 0
		.amdhsa_float_denorm_mode_32 3
		.amdhsa_float_denorm_mode_16_64 3
		.amdhsa_dx10_clamp 1
		.amdhsa_ieee_mode 1
		.amdhsa_fp16_overflow 0
		.amdhsa_workgroup_processor_mode 1
		.amdhsa_memory_ordered 1
		.amdhsa_forward_progress 1
		.amdhsa_shared_vgpr_count 0
		.amdhsa_exception_fp_ieee_invalid_op 0
		.amdhsa_exception_fp_denorm_src 0
		.amdhsa_exception_fp_ieee_div_zero 0
		.amdhsa_exception_fp_ieee_overflow 0
		.amdhsa_exception_fp_ieee_underflow 0
		.amdhsa_exception_fp_ieee_inexact 0
		.amdhsa_exception_int_div_zero 0
	.end_amdhsa_kernel
	.section	.text._ZN7rocprim17ROCPRIM_400000_NS6detail17trampoline_kernelINS0_14default_configENS1_27scan_by_key_config_selectorIxxEEZZNS1_16scan_by_key_implILNS1_25lookback_scan_determinismE0ELb0ES3_N6thrust23THRUST_200600_302600_NS6detail15normal_iteratorINS9_10device_ptrIxEEEENS9_18transform_iteratorINS9_6negateIxEESE_NS9_11use_defaultESI_EESE_xNS9_4plusIvEENS9_8equal_toIvEExEE10hipError_tPvRmT2_T3_T4_T5_mT6_T7_P12ihipStream_tbENKUlT_T0_E_clISt17integral_constantIbLb1EES13_IbLb0EEEEDaSZ_S10_EUlSZ_E_NS1_11comp_targetILNS1_3genE10ELNS1_11target_archE1200ELNS1_3gpuE4ELNS1_3repE0EEENS1_30default_config_static_selectorELNS0_4arch9wavefront6targetE0EEEvT1_,"axG",@progbits,_ZN7rocprim17ROCPRIM_400000_NS6detail17trampoline_kernelINS0_14default_configENS1_27scan_by_key_config_selectorIxxEEZZNS1_16scan_by_key_implILNS1_25lookback_scan_determinismE0ELb0ES3_N6thrust23THRUST_200600_302600_NS6detail15normal_iteratorINS9_10device_ptrIxEEEENS9_18transform_iteratorINS9_6negateIxEESE_NS9_11use_defaultESI_EESE_xNS9_4plusIvEENS9_8equal_toIvEExEE10hipError_tPvRmT2_T3_T4_T5_mT6_T7_P12ihipStream_tbENKUlT_T0_E_clISt17integral_constantIbLb1EES13_IbLb0EEEEDaSZ_S10_EUlSZ_E_NS1_11comp_targetILNS1_3genE10ELNS1_11target_archE1200ELNS1_3gpuE4ELNS1_3repE0EEENS1_30default_config_static_selectorELNS0_4arch9wavefront6targetE0EEEvT1_,comdat
.Lfunc_end917:
	.size	_ZN7rocprim17ROCPRIM_400000_NS6detail17trampoline_kernelINS0_14default_configENS1_27scan_by_key_config_selectorIxxEEZZNS1_16scan_by_key_implILNS1_25lookback_scan_determinismE0ELb0ES3_N6thrust23THRUST_200600_302600_NS6detail15normal_iteratorINS9_10device_ptrIxEEEENS9_18transform_iteratorINS9_6negateIxEESE_NS9_11use_defaultESI_EESE_xNS9_4plusIvEENS9_8equal_toIvEExEE10hipError_tPvRmT2_T3_T4_T5_mT6_T7_P12ihipStream_tbENKUlT_T0_E_clISt17integral_constantIbLb1EES13_IbLb0EEEEDaSZ_S10_EUlSZ_E_NS1_11comp_targetILNS1_3genE10ELNS1_11target_archE1200ELNS1_3gpuE4ELNS1_3repE0EEENS1_30default_config_static_selectorELNS0_4arch9wavefront6targetE0EEEvT1_, .Lfunc_end917-_ZN7rocprim17ROCPRIM_400000_NS6detail17trampoline_kernelINS0_14default_configENS1_27scan_by_key_config_selectorIxxEEZZNS1_16scan_by_key_implILNS1_25lookback_scan_determinismE0ELb0ES3_N6thrust23THRUST_200600_302600_NS6detail15normal_iteratorINS9_10device_ptrIxEEEENS9_18transform_iteratorINS9_6negateIxEESE_NS9_11use_defaultESI_EESE_xNS9_4plusIvEENS9_8equal_toIvEExEE10hipError_tPvRmT2_T3_T4_T5_mT6_T7_P12ihipStream_tbENKUlT_T0_E_clISt17integral_constantIbLb1EES13_IbLb0EEEEDaSZ_S10_EUlSZ_E_NS1_11comp_targetILNS1_3genE10ELNS1_11target_archE1200ELNS1_3gpuE4ELNS1_3repE0EEENS1_30default_config_static_selectorELNS0_4arch9wavefront6targetE0EEEvT1_
                                        ; -- End function
	.set _ZN7rocprim17ROCPRIM_400000_NS6detail17trampoline_kernelINS0_14default_configENS1_27scan_by_key_config_selectorIxxEEZZNS1_16scan_by_key_implILNS1_25lookback_scan_determinismE0ELb0ES3_N6thrust23THRUST_200600_302600_NS6detail15normal_iteratorINS9_10device_ptrIxEEEENS9_18transform_iteratorINS9_6negateIxEESE_NS9_11use_defaultESI_EESE_xNS9_4plusIvEENS9_8equal_toIvEExEE10hipError_tPvRmT2_T3_T4_T5_mT6_T7_P12ihipStream_tbENKUlT_T0_E_clISt17integral_constantIbLb1EES13_IbLb0EEEEDaSZ_S10_EUlSZ_E_NS1_11comp_targetILNS1_3genE10ELNS1_11target_archE1200ELNS1_3gpuE4ELNS1_3repE0EEENS1_30default_config_static_selectorELNS0_4arch9wavefront6targetE0EEEvT1_.num_vgpr, 0
	.set _ZN7rocprim17ROCPRIM_400000_NS6detail17trampoline_kernelINS0_14default_configENS1_27scan_by_key_config_selectorIxxEEZZNS1_16scan_by_key_implILNS1_25lookback_scan_determinismE0ELb0ES3_N6thrust23THRUST_200600_302600_NS6detail15normal_iteratorINS9_10device_ptrIxEEEENS9_18transform_iteratorINS9_6negateIxEESE_NS9_11use_defaultESI_EESE_xNS9_4plusIvEENS9_8equal_toIvEExEE10hipError_tPvRmT2_T3_T4_T5_mT6_T7_P12ihipStream_tbENKUlT_T0_E_clISt17integral_constantIbLb1EES13_IbLb0EEEEDaSZ_S10_EUlSZ_E_NS1_11comp_targetILNS1_3genE10ELNS1_11target_archE1200ELNS1_3gpuE4ELNS1_3repE0EEENS1_30default_config_static_selectorELNS0_4arch9wavefront6targetE0EEEvT1_.num_agpr, 0
	.set _ZN7rocprim17ROCPRIM_400000_NS6detail17trampoline_kernelINS0_14default_configENS1_27scan_by_key_config_selectorIxxEEZZNS1_16scan_by_key_implILNS1_25lookback_scan_determinismE0ELb0ES3_N6thrust23THRUST_200600_302600_NS6detail15normal_iteratorINS9_10device_ptrIxEEEENS9_18transform_iteratorINS9_6negateIxEESE_NS9_11use_defaultESI_EESE_xNS9_4plusIvEENS9_8equal_toIvEExEE10hipError_tPvRmT2_T3_T4_T5_mT6_T7_P12ihipStream_tbENKUlT_T0_E_clISt17integral_constantIbLb1EES13_IbLb0EEEEDaSZ_S10_EUlSZ_E_NS1_11comp_targetILNS1_3genE10ELNS1_11target_archE1200ELNS1_3gpuE4ELNS1_3repE0EEENS1_30default_config_static_selectorELNS0_4arch9wavefront6targetE0EEEvT1_.numbered_sgpr, 0
	.set _ZN7rocprim17ROCPRIM_400000_NS6detail17trampoline_kernelINS0_14default_configENS1_27scan_by_key_config_selectorIxxEEZZNS1_16scan_by_key_implILNS1_25lookback_scan_determinismE0ELb0ES3_N6thrust23THRUST_200600_302600_NS6detail15normal_iteratorINS9_10device_ptrIxEEEENS9_18transform_iteratorINS9_6negateIxEESE_NS9_11use_defaultESI_EESE_xNS9_4plusIvEENS9_8equal_toIvEExEE10hipError_tPvRmT2_T3_T4_T5_mT6_T7_P12ihipStream_tbENKUlT_T0_E_clISt17integral_constantIbLb1EES13_IbLb0EEEEDaSZ_S10_EUlSZ_E_NS1_11comp_targetILNS1_3genE10ELNS1_11target_archE1200ELNS1_3gpuE4ELNS1_3repE0EEENS1_30default_config_static_selectorELNS0_4arch9wavefront6targetE0EEEvT1_.num_named_barrier, 0
	.set _ZN7rocprim17ROCPRIM_400000_NS6detail17trampoline_kernelINS0_14default_configENS1_27scan_by_key_config_selectorIxxEEZZNS1_16scan_by_key_implILNS1_25lookback_scan_determinismE0ELb0ES3_N6thrust23THRUST_200600_302600_NS6detail15normal_iteratorINS9_10device_ptrIxEEEENS9_18transform_iteratorINS9_6negateIxEESE_NS9_11use_defaultESI_EESE_xNS9_4plusIvEENS9_8equal_toIvEExEE10hipError_tPvRmT2_T3_T4_T5_mT6_T7_P12ihipStream_tbENKUlT_T0_E_clISt17integral_constantIbLb1EES13_IbLb0EEEEDaSZ_S10_EUlSZ_E_NS1_11comp_targetILNS1_3genE10ELNS1_11target_archE1200ELNS1_3gpuE4ELNS1_3repE0EEENS1_30default_config_static_selectorELNS0_4arch9wavefront6targetE0EEEvT1_.private_seg_size, 0
	.set _ZN7rocprim17ROCPRIM_400000_NS6detail17trampoline_kernelINS0_14default_configENS1_27scan_by_key_config_selectorIxxEEZZNS1_16scan_by_key_implILNS1_25lookback_scan_determinismE0ELb0ES3_N6thrust23THRUST_200600_302600_NS6detail15normal_iteratorINS9_10device_ptrIxEEEENS9_18transform_iteratorINS9_6negateIxEESE_NS9_11use_defaultESI_EESE_xNS9_4plusIvEENS9_8equal_toIvEExEE10hipError_tPvRmT2_T3_T4_T5_mT6_T7_P12ihipStream_tbENKUlT_T0_E_clISt17integral_constantIbLb1EES13_IbLb0EEEEDaSZ_S10_EUlSZ_E_NS1_11comp_targetILNS1_3genE10ELNS1_11target_archE1200ELNS1_3gpuE4ELNS1_3repE0EEENS1_30default_config_static_selectorELNS0_4arch9wavefront6targetE0EEEvT1_.uses_vcc, 0
	.set _ZN7rocprim17ROCPRIM_400000_NS6detail17trampoline_kernelINS0_14default_configENS1_27scan_by_key_config_selectorIxxEEZZNS1_16scan_by_key_implILNS1_25lookback_scan_determinismE0ELb0ES3_N6thrust23THRUST_200600_302600_NS6detail15normal_iteratorINS9_10device_ptrIxEEEENS9_18transform_iteratorINS9_6negateIxEESE_NS9_11use_defaultESI_EESE_xNS9_4plusIvEENS9_8equal_toIvEExEE10hipError_tPvRmT2_T3_T4_T5_mT6_T7_P12ihipStream_tbENKUlT_T0_E_clISt17integral_constantIbLb1EES13_IbLb0EEEEDaSZ_S10_EUlSZ_E_NS1_11comp_targetILNS1_3genE10ELNS1_11target_archE1200ELNS1_3gpuE4ELNS1_3repE0EEENS1_30default_config_static_selectorELNS0_4arch9wavefront6targetE0EEEvT1_.uses_flat_scratch, 0
	.set _ZN7rocprim17ROCPRIM_400000_NS6detail17trampoline_kernelINS0_14default_configENS1_27scan_by_key_config_selectorIxxEEZZNS1_16scan_by_key_implILNS1_25lookback_scan_determinismE0ELb0ES3_N6thrust23THRUST_200600_302600_NS6detail15normal_iteratorINS9_10device_ptrIxEEEENS9_18transform_iteratorINS9_6negateIxEESE_NS9_11use_defaultESI_EESE_xNS9_4plusIvEENS9_8equal_toIvEExEE10hipError_tPvRmT2_T3_T4_T5_mT6_T7_P12ihipStream_tbENKUlT_T0_E_clISt17integral_constantIbLb1EES13_IbLb0EEEEDaSZ_S10_EUlSZ_E_NS1_11comp_targetILNS1_3genE10ELNS1_11target_archE1200ELNS1_3gpuE4ELNS1_3repE0EEENS1_30default_config_static_selectorELNS0_4arch9wavefront6targetE0EEEvT1_.has_dyn_sized_stack, 0
	.set _ZN7rocprim17ROCPRIM_400000_NS6detail17trampoline_kernelINS0_14default_configENS1_27scan_by_key_config_selectorIxxEEZZNS1_16scan_by_key_implILNS1_25lookback_scan_determinismE0ELb0ES3_N6thrust23THRUST_200600_302600_NS6detail15normal_iteratorINS9_10device_ptrIxEEEENS9_18transform_iteratorINS9_6negateIxEESE_NS9_11use_defaultESI_EESE_xNS9_4plusIvEENS9_8equal_toIvEExEE10hipError_tPvRmT2_T3_T4_T5_mT6_T7_P12ihipStream_tbENKUlT_T0_E_clISt17integral_constantIbLb1EES13_IbLb0EEEEDaSZ_S10_EUlSZ_E_NS1_11comp_targetILNS1_3genE10ELNS1_11target_archE1200ELNS1_3gpuE4ELNS1_3repE0EEENS1_30default_config_static_selectorELNS0_4arch9wavefront6targetE0EEEvT1_.has_recursion, 0
	.set _ZN7rocprim17ROCPRIM_400000_NS6detail17trampoline_kernelINS0_14default_configENS1_27scan_by_key_config_selectorIxxEEZZNS1_16scan_by_key_implILNS1_25lookback_scan_determinismE0ELb0ES3_N6thrust23THRUST_200600_302600_NS6detail15normal_iteratorINS9_10device_ptrIxEEEENS9_18transform_iteratorINS9_6negateIxEESE_NS9_11use_defaultESI_EESE_xNS9_4plusIvEENS9_8equal_toIvEExEE10hipError_tPvRmT2_T3_T4_T5_mT6_T7_P12ihipStream_tbENKUlT_T0_E_clISt17integral_constantIbLb1EES13_IbLb0EEEEDaSZ_S10_EUlSZ_E_NS1_11comp_targetILNS1_3genE10ELNS1_11target_archE1200ELNS1_3gpuE4ELNS1_3repE0EEENS1_30default_config_static_selectorELNS0_4arch9wavefront6targetE0EEEvT1_.has_indirect_call, 0
	.section	.AMDGPU.csdata,"",@progbits
; Kernel info:
; codeLenInByte = 0
; TotalNumSgprs: 0
; NumVgprs: 0
; ScratchSize: 0
; MemoryBound: 0
; FloatMode: 240
; IeeeMode: 1
; LDSByteSize: 0 bytes/workgroup (compile time only)
; SGPRBlocks: 0
; VGPRBlocks: 0
; NumSGPRsForWavesPerEU: 1
; NumVGPRsForWavesPerEU: 1
; Occupancy: 16
; WaveLimiterHint : 0
; COMPUTE_PGM_RSRC2:SCRATCH_EN: 0
; COMPUTE_PGM_RSRC2:USER_SGPR: 6
; COMPUTE_PGM_RSRC2:TRAP_HANDLER: 0
; COMPUTE_PGM_RSRC2:TGID_X_EN: 1
; COMPUTE_PGM_RSRC2:TGID_Y_EN: 0
; COMPUTE_PGM_RSRC2:TGID_Z_EN: 0
; COMPUTE_PGM_RSRC2:TIDIG_COMP_CNT: 0
	.section	.text._ZN7rocprim17ROCPRIM_400000_NS6detail17trampoline_kernelINS0_14default_configENS1_27scan_by_key_config_selectorIxxEEZZNS1_16scan_by_key_implILNS1_25lookback_scan_determinismE0ELb0ES3_N6thrust23THRUST_200600_302600_NS6detail15normal_iteratorINS9_10device_ptrIxEEEENS9_18transform_iteratorINS9_6negateIxEESE_NS9_11use_defaultESI_EESE_xNS9_4plusIvEENS9_8equal_toIvEExEE10hipError_tPvRmT2_T3_T4_T5_mT6_T7_P12ihipStream_tbENKUlT_T0_E_clISt17integral_constantIbLb1EES13_IbLb0EEEEDaSZ_S10_EUlSZ_E_NS1_11comp_targetILNS1_3genE9ELNS1_11target_archE1100ELNS1_3gpuE3ELNS1_3repE0EEENS1_30default_config_static_selectorELNS0_4arch9wavefront6targetE0EEEvT1_,"axG",@progbits,_ZN7rocprim17ROCPRIM_400000_NS6detail17trampoline_kernelINS0_14default_configENS1_27scan_by_key_config_selectorIxxEEZZNS1_16scan_by_key_implILNS1_25lookback_scan_determinismE0ELb0ES3_N6thrust23THRUST_200600_302600_NS6detail15normal_iteratorINS9_10device_ptrIxEEEENS9_18transform_iteratorINS9_6negateIxEESE_NS9_11use_defaultESI_EESE_xNS9_4plusIvEENS9_8equal_toIvEExEE10hipError_tPvRmT2_T3_T4_T5_mT6_T7_P12ihipStream_tbENKUlT_T0_E_clISt17integral_constantIbLb1EES13_IbLb0EEEEDaSZ_S10_EUlSZ_E_NS1_11comp_targetILNS1_3genE9ELNS1_11target_archE1100ELNS1_3gpuE3ELNS1_3repE0EEENS1_30default_config_static_selectorELNS0_4arch9wavefront6targetE0EEEvT1_,comdat
	.protected	_ZN7rocprim17ROCPRIM_400000_NS6detail17trampoline_kernelINS0_14default_configENS1_27scan_by_key_config_selectorIxxEEZZNS1_16scan_by_key_implILNS1_25lookback_scan_determinismE0ELb0ES3_N6thrust23THRUST_200600_302600_NS6detail15normal_iteratorINS9_10device_ptrIxEEEENS9_18transform_iteratorINS9_6negateIxEESE_NS9_11use_defaultESI_EESE_xNS9_4plusIvEENS9_8equal_toIvEExEE10hipError_tPvRmT2_T3_T4_T5_mT6_T7_P12ihipStream_tbENKUlT_T0_E_clISt17integral_constantIbLb1EES13_IbLb0EEEEDaSZ_S10_EUlSZ_E_NS1_11comp_targetILNS1_3genE9ELNS1_11target_archE1100ELNS1_3gpuE3ELNS1_3repE0EEENS1_30default_config_static_selectorELNS0_4arch9wavefront6targetE0EEEvT1_ ; -- Begin function _ZN7rocprim17ROCPRIM_400000_NS6detail17trampoline_kernelINS0_14default_configENS1_27scan_by_key_config_selectorIxxEEZZNS1_16scan_by_key_implILNS1_25lookback_scan_determinismE0ELb0ES3_N6thrust23THRUST_200600_302600_NS6detail15normal_iteratorINS9_10device_ptrIxEEEENS9_18transform_iteratorINS9_6negateIxEESE_NS9_11use_defaultESI_EESE_xNS9_4plusIvEENS9_8equal_toIvEExEE10hipError_tPvRmT2_T3_T4_T5_mT6_T7_P12ihipStream_tbENKUlT_T0_E_clISt17integral_constantIbLb1EES13_IbLb0EEEEDaSZ_S10_EUlSZ_E_NS1_11comp_targetILNS1_3genE9ELNS1_11target_archE1100ELNS1_3gpuE3ELNS1_3repE0EEENS1_30default_config_static_selectorELNS0_4arch9wavefront6targetE0EEEvT1_
	.globl	_ZN7rocprim17ROCPRIM_400000_NS6detail17trampoline_kernelINS0_14default_configENS1_27scan_by_key_config_selectorIxxEEZZNS1_16scan_by_key_implILNS1_25lookback_scan_determinismE0ELb0ES3_N6thrust23THRUST_200600_302600_NS6detail15normal_iteratorINS9_10device_ptrIxEEEENS9_18transform_iteratorINS9_6negateIxEESE_NS9_11use_defaultESI_EESE_xNS9_4plusIvEENS9_8equal_toIvEExEE10hipError_tPvRmT2_T3_T4_T5_mT6_T7_P12ihipStream_tbENKUlT_T0_E_clISt17integral_constantIbLb1EES13_IbLb0EEEEDaSZ_S10_EUlSZ_E_NS1_11comp_targetILNS1_3genE9ELNS1_11target_archE1100ELNS1_3gpuE3ELNS1_3repE0EEENS1_30default_config_static_selectorELNS0_4arch9wavefront6targetE0EEEvT1_
	.p2align	8
	.type	_ZN7rocprim17ROCPRIM_400000_NS6detail17trampoline_kernelINS0_14default_configENS1_27scan_by_key_config_selectorIxxEEZZNS1_16scan_by_key_implILNS1_25lookback_scan_determinismE0ELb0ES3_N6thrust23THRUST_200600_302600_NS6detail15normal_iteratorINS9_10device_ptrIxEEEENS9_18transform_iteratorINS9_6negateIxEESE_NS9_11use_defaultESI_EESE_xNS9_4plusIvEENS9_8equal_toIvEExEE10hipError_tPvRmT2_T3_T4_T5_mT6_T7_P12ihipStream_tbENKUlT_T0_E_clISt17integral_constantIbLb1EES13_IbLb0EEEEDaSZ_S10_EUlSZ_E_NS1_11comp_targetILNS1_3genE9ELNS1_11target_archE1100ELNS1_3gpuE3ELNS1_3repE0EEENS1_30default_config_static_selectorELNS0_4arch9wavefront6targetE0EEEvT1_,@function
_ZN7rocprim17ROCPRIM_400000_NS6detail17trampoline_kernelINS0_14default_configENS1_27scan_by_key_config_selectorIxxEEZZNS1_16scan_by_key_implILNS1_25lookback_scan_determinismE0ELb0ES3_N6thrust23THRUST_200600_302600_NS6detail15normal_iteratorINS9_10device_ptrIxEEEENS9_18transform_iteratorINS9_6negateIxEESE_NS9_11use_defaultESI_EESE_xNS9_4plusIvEENS9_8equal_toIvEExEE10hipError_tPvRmT2_T3_T4_T5_mT6_T7_P12ihipStream_tbENKUlT_T0_E_clISt17integral_constantIbLb1EES13_IbLb0EEEEDaSZ_S10_EUlSZ_E_NS1_11comp_targetILNS1_3genE9ELNS1_11target_archE1100ELNS1_3gpuE3ELNS1_3repE0EEENS1_30default_config_static_selectorELNS0_4arch9wavefront6targetE0EEEvT1_: ; @_ZN7rocprim17ROCPRIM_400000_NS6detail17trampoline_kernelINS0_14default_configENS1_27scan_by_key_config_selectorIxxEEZZNS1_16scan_by_key_implILNS1_25lookback_scan_determinismE0ELb0ES3_N6thrust23THRUST_200600_302600_NS6detail15normal_iteratorINS9_10device_ptrIxEEEENS9_18transform_iteratorINS9_6negateIxEESE_NS9_11use_defaultESI_EESE_xNS9_4plusIvEENS9_8equal_toIvEExEE10hipError_tPvRmT2_T3_T4_T5_mT6_T7_P12ihipStream_tbENKUlT_T0_E_clISt17integral_constantIbLb1EES13_IbLb0EEEEDaSZ_S10_EUlSZ_E_NS1_11comp_targetILNS1_3genE9ELNS1_11target_archE1100ELNS1_3gpuE3ELNS1_3repE0EEENS1_30default_config_static_selectorELNS0_4arch9wavefront6targetE0EEEvT1_
; %bb.0:
	.section	.rodata,"a",@progbits
	.p2align	6, 0x0
	.amdhsa_kernel _ZN7rocprim17ROCPRIM_400000_NS6detail17trampoline_kernelINS0_14default_configENS1_27scan_by_key_config_selectorIxxEEZZNS1_16scan_by_key_implILNS1_25lookback_scan_determinismE0ELb0ES3_N6thrust23THRUST_200600_302600_NS6detail15normal_iteratorINS9_10device_ptrIxEEEENS9_18transform_iteratorINS9_6negateIxEESE_NS9_11use_defaultESI_EESE_xNS9_4plusIvEENS9_8equal_toIvEExEE10hipError_tPvRmT2_T3_T4_T5_mT6_T7_P12ihipStream_tbENKUlT_T0_E_clISt17integral_constantIbLb1EES13_IbLb0EEEEDaSZ_S10_EUlSZ_E_NS1_11comp_targetILNS1_3genE9ELNS1_11target_archE1100ELNS1_3gpuE3ELNS1_3repE0EEENS1_30default_config_static_selectorELNS0_4arch9wavefront6targetE0EEEvT1_
		.amdhsa_group_segment_fixed_size 0
		.amdhsa_private_segment_fixed_size 0
		.amdhsa_kernarg_size 144
		.amdhsa_user_sgpr_count 6
		.amdhsa_user_sgpr_private_segment_buffer 1
		.amdhsa_user_sgpr_dispatch_ptr 0
		.amdhsa_user_sgpr_queue_ptr 0
		.amdhsa_user_sgpr_kernarg_segment_ptr 1
		.amdhsa_user_sgpr_dispatch_id 0
		.amdhsa_user_sgpr_flat_scratch_init 0
		.amdhsa_user_sgpr_private_segment_size 0
		.amdhsa_wavefront_size32 1
		.amdhsa_uses_dynamic_stack 0
		.amdhsa_system_sgpr_private_segment_wavefront_offset 0
		.amdhsa_system_sgpr_workgroup_id_x 1
		.amdhsa_system_sgpr_workgroup_id_y 0
		.amdhsa_system_sgpr_workgroup_id_z 0
		.amdhsa_system_sgpr_workgroup_info 0
		.amdhsa_system_vgpr_workitem_id 0
		.amdhsa_next_free_vgpr 1
		.amdhsa_next_free_sgpr 1
		.amdhsa_reserve_vcc 0
		.amdhsa_reserve_flat_scratch 0
		.amdhsa_float_round_mode_32 0
		.amdhsa_float_round_mode_16_64 0
		.amdhsa_float_denorm_mode_32 3
		.amdhsa_float_denorm_mode_16_64 3
		.amdhsa_dx10_clamp 1
		.amdhsa_ieee_mode 1
		.amdhsa_fp16_overflow 0
		.amdhsa_workgroup_processor_mode 1
		.amdhsa_memory_ordered 1
		.amdhsa_forward_progress 1
		.amdhsa_shared_vgpr_count 0
		.amdhsa_exception_fp_ieee_invalid_op 0
		.amdhsa_exception_fp_denorm_src 0
		.amdhsa_exception_fp_ieee_div_zero 0
		.amdhsa_exception_fp_ieee_overflow 0
		.amdhsa_exception_fp_ieee_underflow 0
		.amdhsa_exception_fp_ieee_inexact 0
		.amdhsa_exception_int_div_zero 0
	.end_amdhsa_kernel
	.section	.text._ZN7rocprim17ROCPRIM_400000_NS6detail17trampoline_kernelINS0_14default_configENS1_27scan_by_key_config_selectorIxxEEZZNS1_16scan_by_key_implILNS1_25lookback_scan_determinismE0ELb0ES3_N6thrust23THRUST_200600_302600_NS6detail15normal_iteratorINS9_10device_ptrIxEEEENS9_18transform_iteratorINS9_6negateIxEESE_NS9_11use_defaultESI_EESE_xNS9_4plusIvEENS9_8equal_toIvEExEE10hipError_tPvRmT2_T3_T4_T5_mT6_T7_P12ihipStream_tbENKUlT_T0_E_clISt17integral_constantIbLb1EES13_IbLb0EEEEDaSZ_S10_EUlSZ_E_NS1_11comp_targetILNS1_3genE9ELNS1_11target_archE1100ELNS1_3gpuE3ELNS1_3repE0EEENS1_30default_config_static_selectorELNS0_4arch9wavefront6targetE0EEEvT1_,"axG",@progbits,_ZN7rocprim17ROCPRIM_400000_NS6detail17trampoline_kernelINS0_14default_configENS1_27scan_by_key_config_selectorIxxEEZZNS1_16scan_by_key_implILNS1_25lookback_scan_determinismE0ELb0ES3_N6thrust23THRUST_200600_302600_NS6detail15normal_iteratorINS9_10device_ptrIxEEEENS9_18transform_iteratorINS9_6negateIxEESE_NS9_11use_defaultESI_EESE_xNS9_4plusIvEENS9_8equal_toIvEExEE10hipError_tPvRmT2_T3_T4_T5_mT6_T7_P12ihipStream_tbENKUlT_T0_E_clISt17integral_constantIbLb1EES13_IbLb0EEEEDaSZ_S10_EUlSZ_E_NS1_11comp_targetILNS1_3genE9ELNS1_11target_archE1100ELNS1_3gpuE3ELNS1_3repE0EEENS1_30default_config_static_selectorELNS0_4arch9wavefront6targetE0EEEvT1_,comdat
.Lfunc_end918:
	.size	_ZN7rocprim17ROCPRIM_400000_NS6detail17trampoline_kernelINS0_14default_configENS1_27scan_by_key_config_selectorIxxEEZZNS1_16scan_by_key_implILNS1_25lookback_scan_determinismE0ELb0ES3_N6thrust23THRUST_200600_302600_NS6detail15normal_iteratorINS9_10device_ptrIxEEEENS9_18transform_iteratorINS9_6negateIxEESE_NS9_11use_defaultESI_EESE_xNS9_4plusIvEENS9_8equal_toIvEExEE10hipError_tPvRmT2_T3_T4_T5_mT6_T7_P12ihipStream_tbENKUlT_T0_E_clISt17integral_constantIbLb1EES13_IbLb0EEEEDaSZ_S10_EUlSZ_E_NS1_11comp_targetILNS1_3genE9ELNS1_11target_archE1100ELNS1_3gpuE3ELNS1_3repE0EEENS1_30default_config_static_selectorELNS0_4arch9wavefront6targetE0EEEvT1_, .Lfunc_end918-_ZN7rocprim17ROCPRIM_400000_NS6detail17trampoline_kernelINS0_14default_configENS1_27scan_by_key_config_selectorIxxEEZZNS1_16scan_by_key_implILNS1_25lookback_scan_determinismE0ELb0ES3_N6thrust23THRUST_200600_302600_NS6detail15normal_iteratorINS9_10device_ptrIxEEEENS9_18transform_iteratorINS9_6negateIxEESE_NS9_11use_defaultESI_EESE_xNS9_4plusIvEENS9_8equal_toIvEExEE10hipError_tPvRmT2_T3_T4_T5_mT6_T7_P12ihipStream_tbENKUlT_T0_E_clISt17integral_constantIbLb1EES13_IbLb0EEEEDaSZ_S10_EUlSZ_E_NS1_11comp_targetILNS1_3genE9ELNS1_11target_archE1100ELNS1_3gpuE3ELNS1_3repE0EEENS1_30default_config_static_selectorELNS0_4arch9wavefront6targetE0EEEvT1_
                                        ; -- End function
	.set _ZN7rocprim17ROCPRIM_400000_NS6detail17trampoline_kernelINS0_14default_configENS1_27scan_by_key_config_selectorIxxEEZZNS1_16scan_by_key_implILNS1_25lookback_scan_determinismE0ELb0ES3_N6thrust23THRUST_200600_302600_NS6detail15normal_iteratorINS9_10device_ptrIxEEEENS9_18transform_iteratorINS9_6negateIxEESE_NS9_11use_defaultESI_EESE_xNS9_4plusIvEENS9_8equal_toIvEExEE10hipError_tPvRmT2_T3_T4_T5_mT6_T7_P12ihipStream_tbENKUlT_T0_E_clISt17integral_constantIbLb1EES13_IbLb0EEEEDaSZ_S10_EUlSZ_E_NS1_11comp_targetILNS1_3genE9ELNS1_11target_archE1100ELNS1_3gpuE3ELNS1_3repE0EEENS1_30default_config_static_selectorELNS0_4arch9wavefront6targetE0EEEvT1_.num_vgpr, 0
	.set _ZN7rocprim17ROCPRIM_400000_NS6detail17trampoline_kernelINS0_14default_configENS1_27scan_by_key_config_selectorIxxEEZZNS1_16scan_by_key_implILNS1_25lookback_scan_determinismE0ELb0ES3_N6thrust23THRUST_200600_302600_NS6detail15normal_iteratorINS9_10device_ptrIxEEEENS9_18transform_iteratorINS9_6negateIxEESE_NS9_11use_defaultESI_EESE_xNS9_4plusIvEENS9_8equal_toIvEExEE10hipError_tPvRmT2_T3_T4_T5_mT6_T7_P12ihipStream_tbENKUlT_T0_E_clISt17integral_constantIbLb1EES13_IbLb0EEEEDaSZ_S10_EUlSZ_E_NS1_11comp_targetILNS1_3genE9ELNS1_11target_archE1100ELNS1_3gpuE3ELNS1_3repE0EEENS1_30default_config_static_selectorELNS0_4arch9wavefront6targetE0EEEvT1_.num_agpr, 0
	.set _ZN7rocprim17ROCPRIM_400000_NS6detail17trampoline_kernelINS0_14default_configENS1_27scan_by_key_config_selectorIxxEEZZNS1_16scan_by_key_implILNS1_25lookback_scan_determinismE0ELb0ES3_N6thrust23THRUST_200600_302600_NS6detail15normal_iteratorINS9_10device_ptrIxEEEENS9_18transform_iteratorINS9_6negateIxEESE_NS9_11use_defaultESI_EESE_xNS9_4plusIvEENS9_8equal_toIvEExEE10hipError_tPvRmT2_T3_T4_T5_mT6_T7_P12ihipStream_tbENKUlT_T0_E_clISt17integral_constantIbLb1EES13_IbLb0EEEEDaSZ_S10_EUlSZ_E_NS1_11comp_targetILNS1_3genE9ELNS1_11target_archE1100ELNS1_3gpuE3ELNS1_3repE0EEENS1_30default_config_static_selectorELNS0_4arch9wavefront6targetE0EEEvT1_.numbered_sgpr, 0
	.set _ZN7rocprim17ROCPRIM_400000_NS6detail17trampoline_kernelINS0_14default_configENS1_27scan_by_key_config_selectorIxxEEZZNS1_16scan_by_key_implILNS1_25lookback_scan_determinismE0ELb0ES3_N6thrust23THRUST_200600_302600_NS6detail15normal_iteratorINS9_10device_ptrIxEEEENS9_18transform_iteratorINS9_6negateIxEESE_NS9_11use_defaultESI_EESE_xNS9_4plusIvEENS9_8equal_toIvEExEE10hipError_tPvRmT2_T3_T4_T5_mT6_T7_P12ihipStream_tbENKUlT_T0_E_clISt17integral_constantIbLb1EES13_IbLb0EEEEDaSZ_S10_EUlSZ_E_NS1_11comp_targetILNS1_3genE9ELNS1_11target_archE1100ELNS1_3gpuE3ELNS1_3repE0EEENS1_30default_config_static_selectorELNS0_4arch9wavefront6targetE0EEEvT1_.num_named_barrier, 0
	.set _ZN7rocprim17ROCPRIM_400000_NS6detail17trampoline_kernelINS0_14default_configENS1_27scan_by_key_config_selectorIxxEEZZNS1_16scan_by_key_implILNS1_25lookback_scan_determinismE0ELb0ES3_N6thrust23THRUST_200600_302600_NS6detail15normal_iteratorINS9_10device_ptrIxEEEENS9_18transform_iteratorINS9_6negateIxEESE_NS9_11use_defaultESI_EESE_xNS9_4plusIvEENS9_8equal_toIvEExEE10hipError_tPvRmT2_T3_T4_T5_mT6_T7_P12ihipStream_tbENKUlT_T0_E_clISt17integral_constantIbLb1EES13_IbLb0EEEEDaSZ_S10_EUlSZ_E_NS1_11comp_targetILNS1_3genE9ELNS1_11target_archE1100ELNS1_3gpuE3ELNS1_3repE0EEENS1_30default_config_static_selectorELNS0_4arch9wavefront6targetE0EEEvT1_.private_seg_size, 0
	.set _ZN7rocprim17ROCPRIM_400000_NS6detail17trampoline_kernelINS0_14default_configENS1_27scan_by_key_config_selectorIxxEEZZNS1_16scan_by_key_implILNS1_25lookback_scan_determinismE0ELb0ES3_N6thrust23THRUST_200600_302600_NS6detail15normal_iteratorINS9_10device_ptrIxEEEENS9_18transform_iteratorINS9_6negateIxEESE_NS9_11use_defaultESI_EESE_xNS9_4plusIvEENS9_8equal_toIvEExEE10hipError_tPvRmT2_T3_T4_T5_mT6_T7_P12ihipStream_tbENKUlT_T0_E_clISt17integral_constantIbLb1EES13_IbLb0EEEEDaSZ_S10_EUlSZ_E_NS1_11comp_targetILNS1_3genE9ELNS1_11target_archE1100ELNS1_3gpuE3ELNS1_3repE0EEENS1_30default_config_static_selectorELNS0_4arch9wavefront6targetE0EEEvT1_.uses_vcc, 0
	.set _ZN7rocprim17ROCPRIM_400000_NS6detail17trampoline_kernelINS0_14default_configENS1_27scan_by_key_config_selectorIxxEEZZNS1_16scan_by_key_implILNS1_25lookback_scan_determinismE0ELb0ES3_N6thrust23THRUST_200600_302600_NS6detail15normal_iteratorINS9_10device_ptrIxEEEENS9_18transform_iteratorINS9_6negateIxEESE_NS9_11use_defaultESI_EESE_xNS9_4plusIvEENS9_8equal_toIvEExEE10hipError_tPvRmT2_T3_T4_T5_mT6_T7_P12ihipStream_tbENKUlT_T0_E_clISt17integral_constantIbLb1EES13_IbLb0EEEEDaSZ_S10_EUlSZ_E_NS1_11comp_targetILNS1_3genE9ELNS1_11target_archE1100ELNS1_3gpuE3ELNS1_3repE0EEENS1_30default_config_static_selectorELNS0_4arch9wavefront6targetE0EEEvT1_.uses_flat_scratch, 0
	.set _ZN7rocprim17ROCPRIM_400000_NS6detail17trampoline_kernelINS0_14default_configENS1_27scan_by_key_config_selectorIxxEEZZNS1_16scan_by_key_implILNS1_25lookback_scan_determinismE0ELb0ES3_N6thrust23THRUST_200600_302600_NS6detail15normal_iteratorINS9_10device_ptrIxEEEENS9_18transform_iteratorINS9_6negateIxEESE_NS9_11use_defaultESI_EESE_xNS9_4plusIvEENS9_8equal_toIvEExEE10hipError_tPvRmT2_T3_T4_T5_mT6_T7_P12ihipStream_tbENKUlT_T0_E_clISt17integral_constantIbLb1EES13_IbLb0EEEEDaSZ_S10_EUlSZ_E_NS1_11comp_targetILNS1_3genE9ELNS1_11target_archE1100ELNS1_3gpuE3ELNS1_3repE0EEENS1_30default_config_static_selectorELNS0_4arch9wavefront6targetE0EEEvT1_.has_dyn_sized_stack, 0
	.set _ZN7rocprim17ROCPRIM_400000_NS6detail17trampoline_kernelINS0_14default_configENS1_27scan_by_key_config_selectorIxxEEZZNS1_16scan_by_key_implILNS1_25lookback_scan_determinismE0ELb0ES3_N6thrust23THRUST_200600_302600_NS6detail15normal_iteratorINS9_10device_ptrIxEEEENS9_18transform_iteratorINS9_6negateIxEESE_NS9_11use_defaultESI_EESE_xNS9_4plusIvEENS9_8equal_toIvEExEE10hipError_tPvRmT2_T3_T4_T5_mT6_T7_P12ihipStream_tbENKUlT_T0_E_clISt17integral_constantIbLb1EES13_IbLb0EEEEDaSZ_S10_EUlSZ_E_NS1_11comp_targetILNS1_3genE9ELNS1_11target_archE1100ELNS1_3gpuE3ELNS1_3repE0EEENS1_30default_config_static_selectorELNS0_4arch9wavefront6targetE0EEEvT1_.has_recursion, 0
	.set _ZN7rocprim17ROCPRIM_400000_NS6detail17trampoline_kernelINS0_14default_configENS1_27scan_by_key_config_selectorIxxEEZZNS1_16scan_by_key_implILNS1_25lookback_scan_determinismE0ELb0ES3_N6thrust23THRUST_200600_302600_NS6detail15normal_iteratorINS9_10device_ptrIxEEEENS9_18transform_iteratorINS9_6negateIxEESE_NS9_11use_defaultESI_EESE_xNS9_4plusIvEENS9_8equal_toIvEExEE10hipError_tPvRmT2_T3_T4_T5_mT6_T7_P12ihipStream_tbENKUlT_T0_E_clISt17integral_constantIbLb1EES13_IbLb0EEEEDaSZ_S10_EUlSZ_E_NS1_11comp_targetILNS1_3genE9ELNS1_11target_archE1100ELNS1_3gpuE3ELNS1_3repE0EEENS1_30default_config_static_selectorELNS0_4arch9wavefront6targetE0EEEvT1_.has_indirect_call, 0
	.section	.AMDGPU.csdata,"",@progbits
; Kernel info:
; codeLenInByte = 0
; TotalNumSgprs: 0
; NumVgprs: 0
; ScratchSize: 0
; MemoryBound: 0
; FloatMode: 240
; IeeeMode: 1
; LDSByteSize: 0 bytes/workgroup (compile time only)
; SGPRBlocks: 0
; VGPRBlocks: 0
; NumSGPRsForWavesPerEU: 1
; NumVGPRsForWavesPerEU: 1
; Occupancy: 16
; WaveLimiterHint : 0
; COMPUTE_PGM_RSRC2:SCRATCH_EN: 0
; COMPUTE_PGM_RSRC2:USER_SGPR: 6
; COMPUTE_PGM_RSRC2:TRAP_HANDLER: 0
; COMPUTE_PGM_RSRC2:TGID_X_EN: 1
; COMPUTE_PGM_RSRC2:TGID_Y_EN: 0
; COMPUTE_PGM_RSRC2:TGID_Z_EN: 0
; COMPUTE_PGM_RSRC2:TIDIG_COMP_CNT: 0
	.section	.text._ZN7rocprim17ROCPRIM_400000_NS6detail17trampoline_kernelINS0_14default_configENS1_27scan_by_key_config_selectorIxxEEZZNS1_16scan_by_key_implILNS1_25lookback_scan_determinismE0ELb0ES3_N6thrust23THRUST_200600_302600_NS6detail15normal_iteratorINS9_10device_ptrIxEEEENS9_18transform_iteratorINS9_6negateIxEESE_NS9_11use_defaultESI_EESE_xNS9_4plusIvEENS9_8equal_toIvEExEE10hipError_tPvRmT2_T3_T4_T5_mT6_T7_P12ihipStream_tbENKUlT_T0_E_clISt17integral_constantIbLb1EES13_IbLb0EEEEDaSZ_S10_EUlSZ_E_NS1_11comp_targetILNS1_3genE8ELNS1_11target_archE1030ELNS1_3gpuE2ELNS1_3repE0EEENS1_30default_config_static_selectorELNS0_4arch9wavefront6targetE0EEEvT1_,"axG",@progbits,_ZN7rocprim17ROCPRIM_400000_NS6detail17trampoline_kernelINS0_14default_configENS1_27scan_by_key_config_selectorIxxEEZZNS1_16scan_by_key_implILNS1_25lookback_scan_determinismE0ELb0ES3_N6thrust23THRUST_200600_302600_NS6detail15normal_iteratorINS9_10device_ptrIxEEEENS9_18transform_iteratorINS9_6negateIxEESE_NS9_11use_defaultESI_EESE_xNS9_4plusIvEENS9_8equal_toIvEExEE10hipError_tPvRmT2_T3_T4_T5_mT6_T7_P12ihipStream_tbENKUlT_T0_E_clISt17integral_constantIbLb1EES13_IbLb0EEEEDaSZ_S10_EUlSZ_E_NS1_11comp_targetILNS1_3genE8ELNS1_11target_archE1030ELNS1_3gpuE2ELNS1_3repE0EEENS1_30default_config_static_selectorELNS0_4arch9wavefront6targetE0EEEvT1_,comdat
	.protected	_ZN7rocprim17ROCPRIM_400000_NS6detail17trampoline_kernelINS0_14default_configENS1_27scan_by_key_config_selectorIxxEEZZNS1_16scan_by_key_implILNS1_25lookback_scan_determinismE0ELb0ES3_N6thrust23THRUST_200600_302600_NS6detail15normal_iteratorINS9_10device_ptrIxEEEENS9_18transform_iteratorINS9_6negateIxEESE_NS9_11use_defaultESI_EESE_xNS9_4plusIvEENS9_8equal_toIvEExEE10hipError_tPvRmT2_T3_T4_T5_mT6_T7_P12ihipStream_tbENKUlT_T0_E_clISt17integral_constantIbLb1EES13_IbLb0EEEEDaSZ_S10_EUlSZ_E_NS1_11comp_targetILNS1_3genE8ELNS1_11target_archE1030ELNS1_3gpuE2ELNS1_3repE0EEENS1_30default_config_static_selectorELNS0_4arch9wavefront6targetE0EEEvT1_ ; -- Begin function _ZN7rocprim17ROCPRIM_400000_NS6detail17trampoline_kernelINS0_14default_configENS1_27scan_by_key_config_selectorIxxEEZZNS1_16scan_by_key_implILNS1_25lookback_scan_determinismE0ELb0ES3_N6thrust23THRUST_200600_302600_NS6detail15normal_iteratorINS9_10device_ptrIxEEEENS9_18transform_iteratorINS9_6negateIxEESE_NS9_11use_defaultESI_EESE_xNS9_4plusIvEENS9_8equal_toIvEExEE10hipError_tPvRmT2_T3_T4_T5_mT6_T7_P12ihipStream_tbENKUlT_T0_E_clISt17integral_constantIbLb1EES13_IbLb0EEEEDaSZ_S10_EUlSZ_E_NS1_11comp_targetILNS1_3genE8ELNS1_11target_archE1030ELNS1_3gpuE2ELNS1_3repE0EEENS1_30default_config_static_selectorELNS0_4arch9wavefront6targetE0EEEvT1_
	.globl	_ZN7rocprim17ROCPRIM_400000_NS6detail17trampoline_kernelINS0_14default_configENS1_27scan_by_key_config_selectorIxxEEZZNS1_16scan_by_key_implILNS1_25lookback_scan_determinismE0ELb0ES3_N6thrust23THRUST_200600_302600_NS6detail15normal_iteratorINS9_10device_ptrIxEEEENS9_18transform_iteratorINS9_6negateIxEESE_NS9_11use_defaultESI_EESE_xNS9_4plusIvEENS9_8equal_toIvEExEE10hipError_tPvRmT2_T3_T4_T5_mT6_T7_P12ihipStream_tbENKUlT_T0_E_clISt17integral_constantIbLb1EES13_IbLb0EEEEDaSZ_S10_EUlSZ_E_NS1_11comp_targetILNS1_3genE8ELNS1_11target_archE1030ELNS1_3gpuE2ELNS1_3repE0EEENS1_30default_config_static_selectorELNS0_4arch9wavefront6targetE0EEEvT1_
	.p2align	8
	.type	_ZN7rocprim17ROCPRIM_400000_NS6detail17trampoline_kernelINS0_14default_configENS1_27scan_by_key_config_selectorIxxEEZZNS1_16scan_by_key_implILNS1_25lookback_scan_determinismE0ELb0ES3_N6thrust23THRUST_200600_302600_NS6detail15normal_iteratorINS9_10device_ptrIxEEEENS9_18transform_iteratorINS9_6negateIxEESE_NS9_11use_defaultESI_EESE_xNS9_4plusIvEENS9_8equal_toIvEExEE10hipError_tPvRmT2_T3_T4_T5_mT6_T7_P12ihipStream_tbENKUlT_T0_E_clISt17integral_constantIbLb1EES13_IbLb0EEEEDaSZ_S10_EUlSZ_E_NS1_11comp_targetILNS1_3genE8ELNS1_11target_archE1030ELNS1_3gpuE2ELNS1_3repE0EEENS1_30default_config_static_selectorELNS0_4arch9wavefront6targetE0EEEvT1_,@function
_ZN7rocprim17ROCPRIM_400000_NS6detail17trampoline_kernelINS0_14default_configENS1_27scan_by_key_config_selectorIxxEEZZNS1_16scan_by_key_implILNS1_25lookback_scan_determinismE0ELb0ES3_N6thrust23THRUST_200600_302600_NS6detail15normal_iteratorINS9_10device_ptrIxEEEENS9_18transform_iteratorINS9_6negateIxEESE_NS9_11use_defaultESI_EESE_xNS9_4plusIvEENS9_8equal_toIvEExEE10hipError_tPvRmT2_T3_T4_T5_mT6_T7_P12ihipStream_tbENKUlT_T0_E_clISt17integral_constantIbLb1EES13_IbLb0EEEEDaSZ_S10_EUlSZ_E_NS1_11comp_targetILNS1_3genE8ELNS1_11target_archE1030ELNS1_3gpuE2ELNS1_3repE0EEENS1_30default_config_static_selectorELNS0_4arch9wavefront6targetE0EEEvT1_: ; @_ZN7rocprim17ROCPRIM_400000_NS6detail17trampoline_kernelINS0_14default_configENS1_27scan_by_key_config_selectorIxxEEZZNS1_16scan_by_key_implILNS1_25lookback_scan_determinismE0ELb0ES3_N6thrust23THRUST_200600_302600_NS6detail15normal_iteratorINS9_10device_ptrIxEEEENS9_18transform_iteratorINS9_6negateIxEESE_NS9_11use_defaultESI_EESE_xNS9_4plusIvEENS9_8equal_toIvEExEE10hipError_tPvRmT2_T3_T4_T5_mT6_T7_P12ihipStream_tbENKUlT_T0_E_clISt17integral_constantIbLb1EES13_IbLb0EEEEDaSZ_S10_EUlSZ_E_NS1_11comp_targetILNS1_3genE8ELNS1_11target_archE1030ELNS1_3gpuE2ELNS1_3repE0EEENS1_30default_config_static_selectorELNS0_4arch9wavefront6targetE0EEEvT1_
; %bb.0:
	s_endpgm
	.section	.rodata,"a",@progbits
	.p2align	6, 0x0
	.amdhsa_kernel _ZN7rocprim17ROCPRIM_400000_NS6detail17trampoline_kernelINS0_14default_configENS1_27scan_by_key_config_selectorIxxEEZZNS1_16scan_by_key_implILNS1_25lookback_scan_determinismE0ELb0ES3_N6thrust23THRUST_200600_302600_NS6detail15normal_iteratorINS9_10device_ptrIxEEEENS9_18transform_iteratorINS9_6negateIxEESE_NS9_11use_defaultESI_EESE_xNS9_4plusIvEENS9_8equal_toIvEExEE10hipError_tPvRmT2_T3_T4_T5_mT6_T7_P12ihipStream_tbENKUlT_T0_E_clISt17integral_constantIbLb1EES13_IbLb0EEEEDaSZ_S10_EUlSZ_E_NS1_11comp_targetILNS1_3genE8ELNS1_11target_archE1030ELNS1_3gpuE2ELNS1_3repE0EEENS1_30default_config_static_selectorELNS0_4arch9wavefront6targetE0EEEvT1_
		.amdhsa_group_segment_fixed_size 0
		.amdhsa_private_segment_fixed_size 0
		.amdhsa_kernarg_size 144
		.amdhsa_user_sgpr_count 6
		.amdhsa_user_sgpr_private_segment_buffer 1
		.amdhsa_user_sgpr_dispatch_ptr 0
		.amdhsa_user_sgpr_queue_ptr 0
		.amdhsa_user_sgpr_kernarg_segment_ptr 1
		.amdhsa_user_sgpr_dispatch_id 0
		.amdhsa_user_sgpr_flat_scratch_init 0
		.amdhsa_user_sgpr_private_segment_size 0
		.amdhsa_wavefront_size32 1
		.amdhsa_uses_dynamic_stack 0
		.amdhsa_system_sgpr_private_segment_wavefront_offset 0
		.amdhsa_system_sgpr_workgroup_id_x 1
		.amdhsa_system_sgpr_workgroup_id_y 0
		.amdhsa_system_sgpr_workgroup_id_z 0
		.amdhsa_system_sgpr_workgroup_info 0
		.amdhsa_system_vgpr_workitem_id 0
		.amdhsa_next_free_vgpr 1
		.amdhsa_next_free_sgpr 1
		.amdhsa_reserve_vcc 0
		.amdhsa_reserve_flat_scratch 0
		.amdhsa_float_round_mode_32 0
		.amdhsa_float_round_mode_16_64 0
		.amdhsa_float_denorm_mode_32 3
		.amdhsa_float_denorm_mode_16_64 3
		.amdhsa_dx10_clamp 1
		.amdhsa_ieee_mode 1
		.amdhsa_fp16_overflow 0
		.amdhsa_workgroup_processor_mode 1
		.amdhsa_memory_ordered 1
		.amdhsa_forward_progress 1
		.amdhsa_shared_vgpr_count 0
		.amdhsa_exception_fp_ieee_invalid_op 0
		.amdhsa_exception_fp_denorm_src 0
		.amdhsa_exception_fp_ieee_div_zero 0
		.amdhsa_exception_fp_ieee_overflow 0
		.amdhsa_exception_fp_ieee_underflow 0
		.amdhsa_exception_fp_ieee_inexact 0
		.amdhsa_exception_int_div_zero 0
	.end_amdhsa_kernel
	.section	.text._ZN7rocprim17ROCPRIM_400000_NS6detail17trampoline_kernelINS0_14default_configENS1_27scan_by_key_config_selectorIxxEEZZNS1_16scan_by_key_implILNS1_25lookback_scan_determinismE0ELb0ES3_N6thrust23THRUST_200600_302600_NS6detail15normal_iteratorINS9_10device_ptrIxEEEENS9_18transform_iteratorINS9_6negateIxEESE_NS9_11use_defaultESI_EESE_xNS9_4plusIvEENS9_8equal_toIvEExEE10hipError_tPvRmT2_T3_T4_T5_mT6_T7_P12ihipStream_tbENKUlT_T0_E_clISt17integral_constantIbLb1EES13_IbLb0EEEEDaSZ_S10_EUlSZ_E_NS1_11comp_targetILNS1_3genE8ELNS1_11target_archE1030ELNS1_3gpuE2ELNS1_3repE0EEENS1_30default_config_static_selectorELNS0_4arch9wavefront6targetE0EEEvT1_,"axG",@progbits,_ZN7rocprim17ROCPRIM_400000_NS6detail17trampoline_kernelINS0_14default_configENS1_27scan_by_key_config_selectorIxxEEZZNS1_16scan_by_key_implILNS1_25lookback_scan_determinismE0ELb0ES3_N6thrust23THRUST_200600_302600_NS6detail15normal_iteratorINS9_10device_ptrIxEEEENS9_18transform_iteratorINS9_6negateIxEESE_NS9_11use_defaultESI_EESE_xNS9_4plusIvEENS9_8equal_toIvEExEE10hipError_tPvRmT2_T3_T4_T5_mT6_T7_P12ihipStream_tbENKUlT_T0_E_clISt17integral_constantIbLb1EES13_IbLb0EEEEDaSZ_S10_EUlSZ_E_NS1_11comp_targetILNS1_3genE8ELNS1_11target_archE1030ELNS1_3gpuE2ELNS1_3repE0EEENS1_30default_config_static_selectorELNS0_4arch9wavefront6targetE0EEEvT1_,comdat
.Lfunc_end919:
	.size	_ZN7rocprim17ROCPRIM_400000_NS6detail17trampoline_kernelINS0_14default_configENS1_27scan_by_key_config_selectorIxxEEZZNS1_16scan_by_key_implILNS1_25lookback_scan_determinismE0ELb0ES3_N6thrust23THRUST_200600_302600_NS6detail15normal_iteratorINS9_10device_ptrIxEEEENS9_18transform_iteratorINS9_6negateIxEESE_NS9_11use_defaultESI_EESE_xNS9_4plusIvEENS9_8equal_toIvEExEE10hipError_tPvRmT2_T3_T4_T5_mT6_T7_P12ihipStream_tbENKUlT_T0_E_clISt17integral_constantIbLb1EES13_IbLb0EEEEDaSZ_S10_EUlSZ_E_NS1_11comp_targetILNS1_3genE8ELNS1_11target_archE1030ELNS1_3gpuE2ELNS1_3repE0EEENS1_30default_config_static_selectorELNS0_4arch9wavefront6targetE0EEEvT1_, .Lfunc_end919-_ZN7rocprim17ROCPRIM_400000_NS6detail17trampoline_kernelINS0_14default_configENS1_27scan_by_key_config_selectorIxxEEZZNS1_16scan_by_key_implILNS1_25lookback_scan_determinismE0ELb0ES3_N6thrust23THRUST_200600_302600_NS6detail15normal_iteratorINS9_10device_ptrIxEEEENS9_18transform_iteratorINS9_6negateIxEESE_NS9_11use_defaultESI_EESE_xNS9_4plusIvEENS9_8equal_toIvEExEE10hipError_tPvRmT2_T3_T4_T5_mT6_T7_P12ihipStream_tbENKUlT_T0_E_clISt17integral_constantIbLb1EES13_IbLb0EEEEDaSZ_S10_EUlSZ_E_NS1_11comp_targetILNS1_3genE8ELNS1_11target_archE1030ELNS1_3gpuE2ELNS1_3repE0EEENS1_30default_config_static_selectorELNS0_4arch9wavefront6targetE0EEEvT1_
                                        ; -- End function
	.set _ZN7rocprim17ROCPRIM_400000_NS6detail17trampoline_kernelINS0_14default_configENS1_27scan_by_key_config_selectorIxxEEZZNS1_16scan_by_key_implILNS1_25lookback_scan_determinismE0ELb0ES3_N6thrust23THRUST_200600_302600_NS6detail15normal_iteratorINS9_10device_ptrIxEEEENS9_18transform_iteratorINS9_6negateIxEESE_NS9_11use_defaultESI_EESE_xNS9_4plusIvEENS9_8equal_toIvEExEE10hipError_tPvRmT2_T3_T4_T5_mT6_T7_P12ihipStream_tbENKUlT_T0_E_clISt17integral_constantIbLb1EES13_IbLb0EEEEDaSZ_S10_EUlSZ_E_NS1_11comp_targetILNS1_3genE8ELNS1_11target_archE1030ELNS1_3gpuE2ELNS1_3repE0EEENS1_30default_config_static_selectorELNS0_4arch9wavefront6targetE0EEEvT1_.num_vgpr, 0
	.set _ZN7rocprim17ROCPRIM_400000_NS6detail17trampoline_kernelINS0_14default_configENS1_27scan_by_key_config_selectorIxxEEZZNS1_16scan_by_key_implILNS1_25lookback_scan_determinismE0ELb0ES3_N6thrust23THRUST_200600_302600_NS6detail15normal_iteratorINS9_10device_ptrIxEEEENS9_18transform_iteratorINS9_6negateIxEESE_NS9_11use_defaultESI_EESE_xNS9_4plusIvEENS9_8equal_toIvEExEE10hipError_tPvRmT2_T3_T4_T5_mT6_T7_P12ihipStream_tbENKUlT_T0_E_clISt17integral_constantIbLb1EES13_IbLb0EEEEDaSZ_S10_EUlSZ_E_NS1_11comp_targetILNS1_3genE8ELNS1_11target_archE1030ELNS1_3gpuE2ELNS1_3repE0EEENS1_30default_config_static_selectorELNS0_4arch9wavefront6targetE0EEEvT1_.num_agpr, 0
	.set _ZN7rocprim17ROCPRIM_400000_NS6detail17trampoline_kernelINS0_14default_configENS1_27scan_by_key_config_selectorIxxEEZZNS1_16scan_by_key_implILNS1_25lookback_scan_determinismE0ELb0ES3_N6thrust23THRUST_200600_302600_NS6detail15normal_iteratorINS9_10device_ptrIxEEEENS9_18transform_iteratorINS9_6negateIxEESE_NS9_11use_defaultESI_EESE_xNS9_4plusIvEENS9_8equal_toIvEExEE10hipError_tPvRmT2_T3_T4_T5_mT6_T7_P12ihipStream_tbENKUlT_T0_E_clISt17integral_constantIbLb1EES13_IbLb0EEEEDaSZ_S10_EUlSZ_E_NS1_11comp_targetILNS1_3genE8ELNS1_11target_archE1030ELNS1_3gpuE2ELNS1_3repE0EEENS1_30default_config_static_selectorELNS0_4arch9wavefront6targetE0EEEvT1_.numbered_sgpr, 0
	.set _ZN7rocprim17ROCPRIM_400000_NS6detail17trampoline_kernelINS0_14default_configENS1_27scan_by_key_config_selectorIxxEEZZNS1_16scan_by_key_implILNS1_25lookback_scan_determinismE0ELb0ES3_N6thrust23THRUST_200600_302600_NS6detail15normal_iteratorINS9_10device_ptrIxEEEENS9_18transform_iteratorINS9_6negateIxEESE_NS9_11use_defaultESI_EESE_xNS9_4plusIvEENS9_8equal_toIvEExEE10hipError_tPvRmT2_T3_T4_T5_mT6_T7_P12ihipStream_tbENKUlT_T0_E_clISt17integral_constantIbLb1EES13_IbLb0EEEEDaSZ_S10_EUlSZ_E_NS1_11comp_targetILNS1_3genE8ELNS1_11target_archE1030ELNS1_3gpuE2ELNS1_3repE0EEENS1_30default_config_static_selectorELNS0_4arch9wavefront6targetE0EEEvT1_.num_named_barrier, 0
	.set _ZN7rocprim17ROCPRIM_400000_NS6detail17trampoline_kernelINS0_14default_configENS1_27scan_by_key_config_selectorIxxEEZZNS1_16scan_by_key_implILNS1_25lookback_scan_determinismE0ELb0ES3_N6thrust23THRUST_200600_302600_NS6detail15normal_iteratorINS9_10device_ptrIxEEEENS9_18transform_iteratorINS9_6negateIxEESE_NS9_11use_defaultESI_EESE_xNS9_4plusIvEENS9_8equal_toIvEExEE10hipError_tPvRmT2_T3_T4_T5_mT6_T7_P12ihipStream_tbENKUlT_T0_E_clISt17integral_constantIbLb1EES13_IbLb0EEEEDaSZ_S10_EUlSZ_E_NS1_11comp_targetILNS1_3genE8ELNS1_11target_archE1030ELNS1_3gpuE2ELNS1_3repE0EEENS1_30default_config_static_selectorELNS0_4arch9wavefront6targetE0EEEvT1_.private_seg_size, 0
	.set _ZN7rocprim17ROCPRIM_400000_NS6detail17trampoline_kernelINS0_14default_configENS1_27scan_by_key_config_selectorIxxEEZZNS1_16scan_by_key_implILNS1_25lookback_scan_determinismE0ELb0ES3_N6thrust23THRUST_200600_302600_NS6detail15normal_iteratorINS9_10device_ptrIxEEEENS9_18transform_iteratorINS9_6negateIxEESE_NS9_11use_defaultESI_EESE_xNS9_4plusIvEENS9_8equal_toIvEExEE10hipError_tPvRmT2_T3_T4_T5_mT6_T7_P12ihipStream_tbENKUlT_T0_E_clISt17integral_constantIbLb1EES13_IbLb0EEEEDaSZ_S10_EUlSZ_E_NS1_11comp_targetILNS1_3genE8ELNS1_11target_archE1030ELNS1_3gpuE2ELNS1_3repE0EEENS1_30default_config_static_selectorELNS0_4arch9wavefront6targetE0EEEvT1_.uses_vcc, 0
	.set _ZN7rocprim17ROCPRIM_400000_NS6detail17trampoline_kernelINS0_14default_configENS1_27scan_by_key_config_selectorIxxEEZZNS1_16scan_by_key_implILNS1_25lookback_scan_determinismE0ELb0ES3_N6thrust23THRUST_200600_302600_NS6detail15normal_iteratorINS9_10device_ptrIxEEEENS9_18transform_iteratorINS9_6negateIxEESE_NS9_11use_defaultESI_EESE_xNS9_4plusIvEENS9_8equal_toIvEExEE10hipError_tPvRmT2_T3_T4_T5_mT6_T7_P12ihipStream_tbENKUlT_T0_E_clISt17integral_constantIbLb1EES13_IbLb0EEEEDaSZ_S10_EUlSZ_E_NS1_11comp_targetILNS1_3genE8ELNS1_11target_archE1030ELNS1_3gpuE2ELNS1_3repE0EEENS1_30default_config_static_selectorELNS0_4arch9wavefront6targetE0EEEvT1_.uses_flat_scratch, 0
	.set _ZN7rocprim17ROCPRIM_400000_NS6detail17trampoline_kernelINS0_14default_configENS1_27scan_by_key_config_selectorIxxEEZZNS1_16scan_by_key_implILNS1_25lookback_scan_determinismE0ELb0ES3_N6thrust23THRUST_200600_302600_NS6detail15normal_iteratorINS9_10device_ptrIxEEEENS9_18transform_iteratorINS9_6negateIxEESE_NS9_11use_defaultESI_EESE_xNS9_4plusIvEENS9_8equal_toIvEExEE10hipError_tPvRmT2_T3_T4_T5_mT6_T7_P12ihipStream_tbENKUlT_T0_E_clISt17integral_constantIbLb1EES13_IbLb0EEEEDaSZ_S10_EUlSZ_E_NS1_11comp_targetILNS1_3genE8ELNS1_11target_archE1030ELNS1_3gpuE2ELNS1_3repE0EEENS1_30default_config_static_selectorELNS0_4arch9wavefront6targetE0EEEvT1_.has_dyn_sized_stack, 0
	.set _ZN7rocprim17ROCPRIM_400000_NS6detail17trampoline_kernelINS0_14default_configENS1_27scan_by_key_config_selectorIxxEEZZNS1_16scan_by_key_implILNS1_25lookback_scan_determinismE0ELb0ES3_N6thrust23THRUST_200600_302600_NS6detail15normal_iteratorINS9_10device_ptrIxEEEENS9_18transform_iteratorINS9_6negateIxEESE_NS9_11use_defaultESI_EESE_xNS9_4plusIvEENS9_8equal_toIvEExEE10hipError_tPvRmT2_T3_T4_T5_mT6_T7_P12ihipStream_tbENKUlT_T0_E_clISt17integral_constantIbLb1EES13_IbLb0EEEEDaSZ_S10_EUlSZ_E_NS1_11comp_targetILNS1_3genE8ELNS1_11target_archE1030ELNS1_3gpuE2ELNS1_3repE0EEENS1_30default_config_static_selectorELNS0_4arch9wavefront6targetE0EEEvT1_.has_recursion, 0
	.set _ZN7rocprim17ROCPRIM_400000_NS6detail17trampoline_kernelINS0_14default_configENS1_27scan_by_key_config_selectorIxxEEZZNS1_16scan_by_key_implILNS1_25lookback_scan_determinismE0ELb0ES3_N6thrust23THRUST_200600_302600_NS6detail15normal_iteratorINS9_10device_ptrIxEEEENS9_18transform_iteratorINS9_6negateIxEESE_NS9_11use_defaultESI_EESE_xNS9_4plusIvEENS9_8equal_toIvEExEE10hipError_tPvRmT2_T3_T4_T5_mT6_T7_P12ihipStream_tbENKUlT_T0_E_clISt17integral_constantIbLb1EES13_IbLb0EEEEDaSZ_S10_EUlSZ_E_NS1_11comp_targetILNS1_3genE8ELNS1_11target_archE1030ELNS1_3gpuE2ELNS1_3repE0EEENS1_30default_config_static_selectorELNS0_4arch9wavefront6targetE0EEEvT1_.has_indirect_call, 0
	.section	.AMDGPU.csdata,"",@progbits
; Kernel info:
; codeLenInByte = 4
; TotalNumSgprs: 0
; NumVgprs: 0
; ScratchSize: 0
; MemoryBound: 0
; FloatMode: 240
; IeeeMode: 1
; LDSByteSize: 0 bytes/workgroup (compile time only)
; SGPRBlocks: 0
; VGPRBlocks: 0
; NumSGPRsForWavesPerEU: 1
; NumVGPRsForWavesPerEU: 1
; Occupancy: 16
; WaveLimiterHint : 0
; COMPUTE_PGM_RSRC2:SCRATCH_EN: 0
; COMPUTE_PGM_RSRC2:USER_SGPR: 6
; COMPUTE_PGM_RSRC2:TRAP_HANDLER: 0
; COMPUTE_PGM_RSRC2:TGID_X_EN: 1
; COMPUTE_PGM_RSRC2:TGID_Y_EN: 0
; COMPUTE_PGM_RSRC2:TGID_Z_EN: 0
; COMPUTE_PGM_RSRC2:TIDIG_COMP_CNT: 0
	.section	.text._ZN7rocprim17ROCPRIM_400000_NS6detail17trampoline_kernelINS0_14default_configENS1_27scan_by_key_config_selectorIxxEEZZNS1_16scan_by_key_implILNS1_25lookback_scan_determinismE0ELb0ES3_N6thrust23THRUST_200600_302600_NS6detail15normal_iteratorINS9_10device_ptrIxEEEENS9_18transform_iteratorINS9_6negateIxEESE_NS9_11use_defaultESI_EESE_xNS9_4plusIvEENS9_8equal_toIvEExEE10hipError_tPvRmT2_T3_T4_T5_mT6_T7_P12ihipStream_tbENKUlT_T0_E_clISt17integral_constantIbLb0EES13_IbLb1EEEEDaSZ_S10_EUlSZ_E_NS1_11comp_targetILNS1_3genE0ELNS1_11target_archE4294967295ELNS1_3gpuE0ELNS1_3repE0EEENS1_30default_config_static_selectorELNS0_4arch9wavefront6targetE0EEEvT1_,"axG",@progbits,_ZN7rocprim17ROCPRIM_400000_NS6detail17trampoline_kernelINS0_14default_configENS1_27scan_by_key_config_selectorIxxEEZZNS1_16scan_by_key_implILNS1_25lookback_scan_determinismE0ELb0ES3_N6thrust23THRUST_200600_302600_NS6detail15normal_iteratorINS9_10device_ptrIxEEEENS9_18transform_iteratorINS9_6negateIxEESE_NS9_11use_defaultESI_EESE_xNS9_4plusIvEENS9_8equal_toIvEExEE10hipError_tPvRmT2_T3_T4_T5_mT6_T7_P12ihipStream_tbENKUlT_T0_E_clISt17integral_constantIbLb0EES13_IbLb1EEEEDaSZ_S10_EUlSZ_E_NS1_11comp_targetILNS1_3genE0ELNS1_11target_archE4294967295ELNS1_3gpuE0ELNS1_3repE0EEENS1_30default_config_static_selectorELNS0_4arch9wavefront6targetE0EEEvT1_,comdat
	.protected	_ZN7rocprim17ROCPRIM_400000_NS6detail17trampoline_kernelINS0_14default_configENS1_27scan_by_key_config_selectorIxxEEZZNS1_16scan_by_key_implILNS1_25lookback_scan_determinismE0ELb0ES3_N6thrust23THRUST_200600_302600_NS6detail15normal_iteratorINS9_10device_ptrIxEEEENS9_18transform_iteratorINS9_6negateIxEESE_NS9_11use_defaultESI_EESE_xNS9_4plusIvEENS9_8equal_toIvEExEE10hipError_tPvRmT2_T3_T4_T5_mT6_T7_P12ihipStream_tbENKUlT_T0_E_clISt17integral_constantIbLb0EES13_IbLb1EEEEDaSZ_S10_EUlSZ_E_NS1_11comp_targetILNS1_3genE0ELNS1_11target_archE4294967295ELNS1_3gpuE0ELNS1_3repE0EEENS1_30default_config_static_selectorELNS0_4arch9wavefront6targetE0EEEvT1_ ; -- Begin function _ZN7rocprim17ROCPRIM_400000_NS6detail17trampoline_kernelINS0_14default_configENS1_27scan_by_key_config_selectorIxxEEZZNS1_16scan_by_key_implILNS1_25lookback_scan_determinismE0ELb0ES3_N6thrust23THRUST_200600_302600_NS6detail15normal_iteratorINS9_10device_ptrIxEEEENS9_18transform_iteratorINS9_6negateIxEESE_NS9_11use_defaultESI_EESE_xNS9_4plusIvEENS9_8equal_toIvEExEE10hipError_tPvRmT2_T3_T4_T5_mT6_T7_P12ihipStream_tbENKUlT_T0_E_clISt17integral_constantIbLb0EES13_IbLb1EEEEDaSZ_S10_EUlSZ_E_NS1_11comp_targetILNS1_3genE0ELNS1_11target_archE4294967295ELNS1_3gpuE0ELNS1_3repE0EEENS1_30default_config_static_selectorELNS0_4arch9wavefront6targetE0EEEvT1_
	.globl	_ZN7rocprim17ROCPRIM_400000_NS6detail17trampoline_kernelINS0_14default_configENS1_27scan_by_key_config_selectorIxxEEZZNS1_16scan_by_key_implILNS1_25lookback_scan_determinismE0ELb0ES3_N6thrust23THRUST_200600_302600_NS6detail15normal_iteratorINS9_10device_ptrIxEEEENS9_18transform_iteratorINS9_6negateIxEESE_NS9_11use_defaultESI_EESE_xNS9_4plusIvEENS9_8equal_toIvEExEE10hipError_tPvRmT2_T3_T4_T5_mT6_T7_P12ihipStream_tbENKUlT_T0_E_clISt17integral_constantIbLb0EES13_IbLb1EEEEDaSZ_S10_EUlSZ_E_NS1_11comp_targetILNS1_3genE0ELNS1_11target_archE4294967295ELNS1_3gpuE0ELNS1_3repE0EEENS1_30default_config_static_selectorELNS0_4arch9wavefront6targetE0EEEvT1_
	.p2align	8
	.type	_ZN7rocprim17ROCPRIM_400000_NS6detail17trampoline_kernelINS0_14default_configENS1_27scan_by_key_config_selectorIxxEEZZNS1_16scan_by_key_implILNS1_25lookback_scan_determinismE0ELb0ES3_N6thrust23THRUST_200600_302600_NS6detail15normal_iteratorINS9_10device_ptrIxEEEENS9_18transform_iteratorINS9_6negateIxEESE_NS9_11use_defaultESI_EESE_xNS9_4plusIvEENS9_8equal_toIvEExEE10hipError_tPvRmT2_T3_T4_T5_mT6_T7_P12ihipStream_tbENKUlT_T0_E_clISt17integral_constantIbLb0EES13_IbLb1EEEEDaSZ_S10_EUlSZ_E_NS1_11comp_targetILNS1_3genE0ELNS1_11target_archE4294967295ELNS1_3gpuE0ELNS1_3repE0EEENS1_30default_config_static_selectorELNS0_4arch9wavefront6targetE0EEEvT1_,@function
_ZN7rocprim17ROCPRIM_400000_NS6detail17trampoline_kernelINS0_14default_configENS1_27scan_by_key_config_selectorIxxEEZZNS1_16scan_by_key_implILNS1_25lookback_scan_determinismE0ELb0ES3_N6thrust23THRUST_200600_302600_NS6detail15normal_iteratorINS9_10device_ptrIxEEEENS9_18transform_iteratorINS9_6negateIxEESE_NS9_11use_defaultESI_EESE_xNS9_4plusIvEENS9_8equal_toIvEExEE10hipError_tPvRmT2_T3_T4_T5_mT6_T7_P12ihipStream_tbENKUlT_T0_E_clISt17integral_constantIbLb0EES13_IbLb1EEEEDaSZ_S10_EUlSZ_E_NS1_11comp_targetILNS1_3genE0ELNS1_11target_archE4294967295ELNS1_3gpuE0ELNS1_3repE0EEENS1_30default_config_static_selectorELNS0_4arch9wavefront6targetE0EEEvT1_: ; @_ZN7rocprim17ROCPRIM_400000_NS6detail17trampoline_kernelINS0_14default_configENS1_27scan_by_key_config_selectorIxxEEZZNS1_16scan_by_key_implILNS1_25lookback_scan_determinismE0ELb0ES3_N6thrust23THRUST_200600_302600_NS6detail15normal_iteratorINS9_10device_ptrIxEEEENS9_18transform_iteratorINS9_6negateIxEESE_NS9_11use_defaultESI_EESE_xNS9_4plusIvEENS9_8equal_toIvEExEE10hipError_tPvRmT2_T3_T4_T5_mT6_T7_P12ihipStream_tbENKUlT_T0_E_clISt17integral_constantIbLb0EES13_IbLb1EEEEDaSZ_S10_EUlSZ_E_NS1_11comp_targetILNS1_3genE0ELNS1_11target_archE4294967295ELNS1_3gpuE0ELNS1_3repE0EEENS1_30default_config_static_selectorELNS0_4arch9wavefront6targetE0EEEvT1_
; %bb.0:
	.section	.rodata,"a",@progbits
	.p2align	6, 0x0
	.amdhsa_kernel _ZN7rocprim17ROCPRIM_400000_NS6detail17trampoline_kernelINS0_14default_configENS1_27scan_by_key_config_selectorIxxEEZZNS1_16scan_by_key_implILNS1_25lookback_scan_determinismE0ELb0ES3_N6thrust23THRUST_200600_302600_NS6detail15normal_iteratorINS9_10device_ptrIxEEEENS9_18transform_iteratorINS9_6negateIxEESE_NS9_11use_defaultESI_EESE_xNS9_4plusIvEENS9_8equal_toIvEExEE10hipError_tPvRmT2_T3_T4_T5_mT6_T7_P12ihipStream_tbENKUlT_T0_E_clISt17integral_constantIbLb0EES13_IbLb1EEEEDaSZ_S10_EUlSZ_E_NS1_11comp_targetILNS1_3genE0ELNS1_11target_archE4294967295ELNS1_3gpuE0ELNS1_3repE0EEENS1_30default_config_static_selectorELNS0_4arch9wavefront6targetE0EEEvT1_
		.amdhsa_group_segment_fixed_size 0
		.amdhsa_private_segment_fixed_size 0
		.amdhsa_kernarg_size 144
		.amdhsa_user_sgpr_count 6
		.amdhsa_user_sgpr_private_segment_buffer 1
		.amdhsa_user_sgpr_dispatch_ptr 0
		.amdhsa_user_sgpr_queue_ptr 0
		.amdhsa_user_sgpr_kernarg_segment_ptr 1
		.amdhsa_user_sgpr_dispatch_id 0
		.amdhsa_user_sgpr_flat_scratch_init 0
		.amdhsa_user_sgpr_private_segment_size 0
		.amdhsa_wavefront_size32 1
		.amdhsa_uses_dynamic_stack 0
		.amdhsa_system_sgpr_private_segment_wavefront_offset 0
		.amdhsa_system_sgpr_workgroup_id_x 1
		.amdhsa_system_sgpr_workgroup_id_y 0
		.amdhsa_system_sgpr_workgroup_id_z 0
		.amdhsa_system_sgpr_workgroup_info 0
		.amdhsa_system_vgpr_workitem_id 0
		.amdhsa_next_free_vgpr 1
		.amdhsa_next_free_sgpr 1
		.amdhsa_reserve_vcc 0
		.amdhsa_reserve_flat_scratch 0
		.amdhsa_float_round_mode_32 0
		.amdhsa_float_round_mode_16_64 0
		.amdhsa_float_denorm_mode_32 3
		.amdhsa_float_denorm_mode_16_64 3
		.amdhsa_dx10_clamp 1
		.amdhsa_ieee_mode 1
		.amdhsa_fp16_overflow 0
		.amdhsa_workgroup_processor_mode 1
		.amdhsa_memory_ordered 1
		.amdhsa_forward_progress 1
		.amdhsa_shared_vgpr_count 0
		.amdhsa_exception_fp_ieee_invalid_op 0
		.amdhsa_exception_fp_denorm_src 0
		.amdhsa_exception_fp_ieee_div_zero 0
		.amdhsa_exception_fp_ieee_overflow 0
		.amdhsa_exception_fp_ieee_underflow 0
		.amdhsa_exception_fp_ieee_inexact 0
		.amdhsa_exception_int_div_zero 0
	.end_amdhsa_kernel
	.section	.text._ZN7rocprim17ROCPRIM_400000_NS6detail17trampoline_kernelINS0_14default_configENS1_27scan_by_key_config_selectorIxxEEZZNS1_16scan_by_key_implILNS1_25lookback_scan_determinismE0ELb0ES3_N6thrust23THRUST_200600_302600_NS6detail15normal_iteratorINS9_10device_ptrIxEEEENS9_18transform_iteratorINS9_6negateIxEESE_NS9_11use_defaultESI_EESE_xNS9_4plusIvEENS9_8equal_toIvEExEE10hipError_tPvRmT2_T3_T4_T5_mT6_T7_P12ihipStream_tbENKUlT_T0_E_clISt17integral_constantIbLb0EES13_IbLb1EEEEDaSZ_S10_EUlSZ_E_NS1_11comp_targetILNS1_3genE0ELNS1_11target_archE4294967295ELNS1_3gpuE0ELNS1_3repE0EEENS1_30default_config_static_selectorELNS0_4arch9wavefront6targetE0EEEvT1_,"axG",@progbits,_ZN7rocprim17ROCPRIM_400000_NS6detail17trampoline_kernelINS0_14default_configENS1_27scan_by_key_config_selectorIxxEEZZNS1_16scan_by_key_implILNS1_25lookback_scan_determinismE0ELb0ES3_N6thrust23THRUST_200600_302600_NS6detail15normal_iteratorINS9_10device_ptrIxEEEENS9_18transform_iteratorINS9_6negateIxEESE_NS9_11use_defaultESI_EESE_xNS9_4plusIvEENS9_8equal_toIvEExEE10hipError_tPvRmT2_T3_T4_T5_mT6_T7_P12ihipStream_tbENKUlT_T0_E_clISt17integral_constantIbLb0EES13_IbLb1EEEEDaSZ_S10_EUlSZ_E_NS1_11comp_targetILNS1_3genE0ELNS1_11target_archE4294967295ELNS1_3gpuE0ELNS1_3repE0EEENS1_30default_config_static_selectorELNS0_4arch9wavefront6targetE0EEEvT1_,comdat
.Lfunc_end920:
	.size	_ZN7rocprim17ROCPRIM_400000_NS6detail17trampoline_kernelINS0_14default_configENS1_27scan_by_key_config_selectorIxxEEZZNS1_16scan_by_key_implILNS1_25lookback_scan_determinismE0ELb0ES3_N6thrust23THRUST_200600_302600_NS6detail15normal_iteratorINS9_10device_ptrIxEEEENS9_18transform_iteratorINS9_6negateIxEESE_NS9_11use_defaultESI_EESE_xNS9_4plusIvEENS9_8equal_toIvEExEE10hipError_tPvRmT2_T3_T4_T5_mT6_T7_P12ihipStream_tbENKUlT_T0_E_clISt17integral_constantIbLb0EES13_IbLb1EEEEDaSZ_S10_EUlSZ_E_NS1_11comp_targetILNS1_3genE0ELNS1_11target_archE4294967295ELNS1_3gpuE0ELNS1_3repE0EEENS1_30default_config_static_selectorELNS0_4arch9wavefront6targetE0EEEvT1_, .Lfunc_end920-_ZN7rocprim17ROCPRIM_400000_NS6detail17trampoline_kernelINS0_14default_configENS1_27scan_by_key_config_selectorIxxEEZZNS1_16scan_by_key_implILNS1_25lookback_scan_determinismE0ELb0ES3_N6thrust23THRUST_200600_302600_NS6detail15normal_iteratorINS9_10device_ptrIxEEEENS9_18transform_iteratorINS9_6negateIxEESE_NS9_11use_defaultESI_EESE_xNS9_4plusIvEENS9_8equal_toIvEExEE10hipError_tPvRmT2_T3_T4_T5_mT6_T7_P12ihipStream_tbENKUlT_T0_E_clISt17integral_constantIbLb0EES13_IbLb1EEEEDaSZ_S10_EUlSZ_E_NS1_11comp_targetILNS1_3genE0ELNS1_11target_archE4294967295ELNS1_3gpuE0ELNS1_3repE0EEENS1_30default_config_static_selectorELNS0_4arch9wavefront6targetE0EEEvT1_
                                        ; -- End function
	.set _ZN7rocprim17ROCPRIM_400000_NS6detail17trampoline_kernelINS0_14default_configENS1_27scan_by_key_config_selectorIxxEEZZNS1_16scan_by_key_implILNS1_25lookback_scan_determinismE0ELb0ES3_N6thrust23THRUST_200600_302600_NS6detail15normal_iteratorINS9_10device_ptrIxEEEENS9_18transform_iteratorINS9_6negateIxEESE_NS9_11use_defaultESI_EESE_xNS9_4plusIvEENS9_8equal_toIvEExEE10hipError_tPvRmT2_T3_T4_T5_mT6_T7_P12ihipStream_tbENKUlT_T0_E_clISt17integral_constantIbLb0EES13_IbLb1EEEEDaSZ_S10_EUlSZ_E_NS1_11comp_targetILNS1_3genE0ELNS1_11target_archE4294967295ELNS1_3gpuE0ELNS1_3repE0EEENS1_30default_config_static_selectorELNS0_4arch9wavefront6targetE0EEEvT1_.num_vgpr, 0
	.set _ZN7rocprim17ROCPRIM_400000_NS6detail17trampoline_kernelINS0_14default_configENS1_27scan_by_key_config_selectorIxxEEZZNS1_16scan_by_key_implILNS1_25lookback_scan_determinismE0ELb0ES3_N6thrust23THRUST_200600_302600_NS6detail15normal_iteratorINS9_10device_ptrIxEEEENS9_18transform_iteratorINS9_6negateIxEESE_NS9_11use_defaultESI_EESE_xNS9_4plusIvEENS9_8equal_toIvEExEE10hipError_tPvRmT2_T3_T4_T5_mT6_T7_P12ihipStream_tbENKUlT_T0_E_clISt17integral_constantIbLb0EES13_IbLb1EEEEDaSZ_S10_EUlSZ_E_NS1_11comp_targetILNS1_3genE0ELNS1_11target_archE4294967295ELNS1_3gpuE0ELNS1_3repE0EEENS1_30default_config_static_selectorELNS0_4arch9wavefront6targetE0EEEvT1_.num_agpr, 0
	.set _ZN7rocprim17ROCPRIM_400000_NS6detail17trampoline_kernelINS0_14default_configENS1_27scan_by_key_config_selectorIxxEEZZNS1_16scan_by_key_implILNS1_25lookback_scan_determinismE0ELb0ES3_N6thrust23THRUST_200600_302600_NS6detail15normal_iteratorINS9_10device_ptrIxEEEENS9_18transform_iteratorINS9_6negateIxEESE_NS9_11use_defaultESI_EESE_xNS9_4plusIvEENS9_8equal_toIvEExEE10hipError_tPvRmT2_T3_T4_T5_mT6_T7_P12ihipStream_tbENKUlT_T0_E_clISt17integral_constantIbLb0EES13_IbLb1EEEEDaSZ_S10_EUlSZ_E_NS1_11comp_targetILNS1_3genE0ELNS1_11target_archE4294967295ELNS1_3gpuE0ELNS1_3repE0EEENS1_30default_config_static_selectorELNS0_4arch9wavefront6targetE0EEEvT1_.numbered_sgpr, 0
	.set _ZN7rocprim17ROCPRIM_400000_NS6detail17trampoline_kernelINS0_14default_configENS1_27scan_by_key_config_selectorIxxEEZZNS1_16scan_by_key_implILNS1_25lookback_scan_determinismE0ELb0ES3_N6thrust23THRUST_200600_302600_NS6detail15normal_iteratorINS9_10device_ptrIxEEEENS9_18transform_iteratorINS9_6negateIxEESE_NS9_11use_defaultESI_EESE_xNS9_4plusIvEENS9_8equal_toIvEExEE10hipError_tPvRmT2_T3_T4_T5_mT6_T7_P12ihipStream_tbENKUlT_T0_E_clISt17integral_constantIbLb0EES13_IbLb1EEEEDaSZ_S10_EUlSZ_E_NS1_11comp_targetILNS1_3genE0ELNS1_11target_archE4294967295ELNS1_3gpuE0ELNS1_3repE0EEENS1_30default_config_static_selectorELNS0_4arch9wavefront6targetE0EEEvT1_.num_named_barrier, 0
	.set _ZN7rocprim17ROCPRIM_400000_NS6detail17trampoline_kernelINS0_14default_configENS1_27scan_by_key_config_selectorIxxEEZZNS1_16scan_by_key_implILNS1_25lookback_scan_determinismE0ELb0ES3_N6thrust23THRUST_200600_302600_NS6detail15normal_iteratorINS9_10device_ptrIxEEEENS9_18transform_iteratorINS9_6negateIxEESE_NS9_11use_defaultESI_EESE_xNS9_4plusIvEENS9_8equal_toIvEExEE10hipError_tPvRmT2_T3_T4_T5_mT6_T7_P12ihipStream_tbENKUlT_T0_E_clISt17integral_constantIbLb0EES13_IbLb1EEEEDaSZ_S10_EUlSZ_E_NS1_11comp_targetILNS1_3genE0ELNS1_11target_archE4294967295ELNS1_3gpuE0ELNS1_3repE0EEENS1_30default_config_static_selectorELNS0_4arch9wavefront6targetE0EEEvT1_.private_seg_size, 0
	.set _ZN7rocprim17ROCPRIM_400000_NS6detail17trampoline_kernelINS0_14default_configENS1_27scan_by_key_config_selectorIxxEEZZNS1_16scan_by_key_implILNS1_25lookback_scan_determinismE0ELb0ES3_N6thrust23THRUST_200600_302600_NS6detail15normal_iteratorINS9_10device_ptrIxEEEENS9_18transform_iteratorINS9_6negateIxEESE_NS9_11use_defaultESI_EESE_xNS9_4plusIvEENS9_8equal_toIvEExEE10hipError_tPvRmT2_T3_T4_T5_mT6_T7_P12ihipStream_tbENKUlT_T0_E_clISt17integral_constantIbLb0EES13_IbLb1EEEEDaSZ_S10_EUlSZ_E_NS1_11comp_targetILNS1_3genE0ELNS1_11target_archE4294967295ELNS1_3gpuE0ELNS1_3repE0EEENS1_30default_config_static_selectorELNS0_4arch9wavefront6targetE0EEEvT1_.uses_vcc, 0
	.set _ZN7rocprim17ROCPRIM_400000_NS6detail17trampoline_kernelINS0_14default_configENS1_27scan_by_key_config_selectorIxxEEZZNS1_16scan_by_key_implILNS1_25lookback_scan_determinismE0ELb0ES3_N6thrust23THRUST_200600_302600_NS6detail15normal_iteratorINS9_10device_ptrIxEEEENS9_18transform_iteratorINS9_6negateIxEESE_NS9_11use_defaultESI_EESE_xNS9_4plusIvEENS9_8equal_toIvEExEE10hipError_tPvRmT2_T3_T4_T5_mT6_T7_P12ihipStream_tbENKUlT_T0_E_clISt17integral_constantIbLb0EES13_IbLb1EEEEDaSZ_S10_EUlSZ_E_NS1_11comp_targetILNS1_3genE0ELNS1_11target_archE4294967295ELNS1_3gpuE0ELNS1_3repE0EEENS1_30default_config_static_selectorELNS0_4arch9wavefront6targetE0EEEvT1_.uses_flat_scratch, 0
	.set _ZN7rocprim17ROCPRIM_400000_NS6detail17trampoline_kernelINS0_14default_configENS1_27scan_by_key_config_selectorIxxEEZZNS1_16scan_by_key_implILNS1_25lookback_scan_determinismE0ELb0ES3_N6thrust23THRUST_200600_302600_NS6detail15normal_iteratorINS9_10device_ptrIxEEEENS9_18transform_iteratorINS9_6negateIxEESE_NS9_11use_defaultESI_EESE_xNS9_4plusIvEENS9_8equal_toIvEExEE10hipError_tPvRmT2_T3_T4_T5_mT6_T7_P12ihipStream_tbENKUlT_T0_E_clISt17integral_constantIbLb0EES13_IbLb1EEEEDaSZ_S10_EUlSZ_E_NS1_11comp_targetILNS1_3genE0ELNS1_11target_archE4294967295ELNS1_3gpuE0ELNS1_3repE0EEENS1_30default_config_static_selectorELNS0_4arch9wavefront6targetE0EEEvT1_.has_dyn_sized_stack, 0
	.set _ZN7rocprim17ROCPRIM_400000_NS6detail17trampoline_kernelINS0_14default_configENS1_27scan_by_key_config_selectorIxxEEZZNS1_16scan_by_key_implILNS1_25lookback_scan_determinismE0ELb0ES3_N6thrust23THRUST_200600_302600_NS6detail15normal_iteratorINS9_10device_ptrIxEEEENS9_18transform_iteratorINS9_6negateIxEESE_NS9_11use_defaultESI_EESE_xNS9_4plusIvEENS9_8equal_toIvEExEE10hipError_tPvRmT2_T3_T4_T5_mT6_T7_P12ihipStream_tbENKUlT_T0_E_clISt17integral_constantIbLb0EES13_IbLb1EEEEDaSZ_S10_EUlSZ_E_NS1_11comp_targetILNS1_3genE0ELNS1_11target_archE4294967295ELNS1_3gpuE0ELNS1_3repE0EEENS1_30default_config_static_selectorELNS0_4arch9wavefront6targetE0EEEvT1_.has_recursion, 0
	.set _ZN7rocprim17ROCPRIM_400000_NS6detail17trampoline_kernelINS0_14default_configENS1_27scan_by_key_config_selectorIxxEEZZNS1_16scan_by_key_implILNS1_25lookback_scan_determinismE0ELb0ES3_N6thrust23THRUST_200600_302600_NS6detail15normal_iteratorINS9_10device_ptrIxEEEENS9_18transform_iteratorINS9_6negateIxEESE_NS9_11use_defaultESI_EESE_xNS9_4plusIvEENS9_8equal_toIvEExEE10hipError_tPvRmT2_T3_T4_T5_mT6_T7_P12ihipStream_tbENKUlT_T0_E_clISt17integral_constantIbLb0EES13_IbLb1EEEEDaSZ_S10_EUlSZ_E_NS1_11comp_targetILNS1_3genE0ELNS1_11target_archE4294967295ELNS1_3gpuE0ELNS1_3repE0EEENS1_30default_config_static_selectorELNS0_4arch9wavefront6targetE0EEEvT1_.has_indirect_call, 0
	.section	.AMDGPU.csdata,"",@progbits
; Kernel info:
; codeLenInByte = 0
; TotalNumSgprs: 0
; NumVgprs: 0
; ScratchSize: 0
; MemoryBound: 0
; FloatMode: 240
; IeeeMode: 1
; LDSByteSize: 0 bytes/workgroup (compile time only)
; SGPRBlocks: 0
; VGPRBlocks: 0
; NumSGPRsForWavesPerEU: 1
; NumVGPRsForWavesPerEU: 1
; Occupancy: 16
; WaveLimiterHint : 0
; COMPUTE_PGM_RSRC2:SCRATCH_EN: 0
; COMPUTE_PGM_RSRC2:USER_SGPR: 6
; COMPUTE_PGM_RSRC2:TRAP_HANDLER: 0
; COMPUTE_PGM_RSRC2:TGID_X_EN: 1
; COMPUTE_PGM_RSRC2:TGID_Y_EN: 0
; COMPUTE_PGM_RSRC2:TGID_Z_EN: 0
; COMPUTE_PGM_RSRC2:TIDIG_COMP_CNT: 0
	.section	.text._ZN7rocprim17ROCPRIM_400000_NS6detail17trampoline_kernelINS0_14default_configENS1_27scan_by_key_config_selectorIxxEEZZNS1_16scan_by_key_implILNS1_25lookback_scan_determinismE0ELb0ES3_N6thrust23THRUST_200600_302600_NS6detail15normal_iteratorINS9_10device_ptrIxEEEENS9_18transform_iteratorINS9_6negateIxEESE_NS9_11use_defaultESI_EESE_xNS9_4plusIvEENS9_8equal_toIvEExEE10hipError_tPvRmT2_T3_T4_T5_mT6_T7_P12ihipStream_tbENKUlT_T0_E_clISt17integral_constantIbLb0EES13_IbLb1EEEEDaSZ_S10_EUlSZ_E_NS1_11comp_targetILNS1_3genE10ELNS1_11target_archE1201ELNS1_3gpuE5ELNS1_3repE0EEENS1_30default_config_static_selectorELNS0_4arch9wavefront6targetE0EEEvT1_,"axG",@progbits,_ZN7rocprim17ROCPRIM_400000_NS6detail17trampoline_kernelINS0_14default_configENS1_27scan_by_key_config_selectorIxxEEZZNS1_16scan_by_key_implILNS1_25lookback_scan_determinismE0ELb0ES3_N6thrust23THRUST_200600_302600_NS6detail15normal_iteratorINS9_10device_ptrIxEEEENS9_18transform_iteratorINS9_6negateIxEESE_NS9_11use_defaultESI_EESE_xNS9_4plusIvEENS9_8equal_toIvEExEE10hipError_tPvRmT2_T3_T4_T5_mT6_T7_P12ihipStream_tbENKUlT_T0_E_clISt17integral_constantIbLb0EES13_IbLb1EEEEDaSZ_S10_EUlSZ_E_NS1_11comp_targetILNS1_3genE10ELNS1_11target_archE1201ELNS1_3gpuE5ELNS1_3repE0EEENS1_30default_config_static_selectorELNS0_4arch9wavefront6targetE0EEEvT1_,comdat
	.protected	_ZN7rocprim17ROCPRIM_400000_NS6detail17trampoline_kernelINS0_14default_configENS1_27scan_by_key_config_selectorIxxEEZZNS1_16scan_by_key_implILNS1_25lookback_scan_determinismE0ELb0ES3_N6thrust23THRUST_200600_302600_NS6detail15normal_iteratorINS9_10device_ptrIxEEEENS9_18transform_iteratorINS9_6negateIxEESE_NS9_11use_defaultESI_EESE_xNS9_4plusIvEENS9_8equal_toIvEExEE10hipError_tPvRmT2_T3_T4_T5_mT6_T7_P12ihipStream_tbENKUlT_T0_E_clISt17integral_constantIbLb0EES13_IbLb1EEEEDaSZ_S10_EUlSZ_E_NS1_11comp_targetILNS1_3genE10ELNS1_11target_archE1201ELNS1_3gpuE5ELNS1_3repE0EEENS1_30default_config_static_selectorELNS0_4arch9wavefront6targetE0EEEvT1_ ; -- Begin function _ZN7rocprim17ROCPRIM_400000_NS6detail17trampoline_kernelINS0_14default_configENS1_27scan_by_key_config_selectorIxxEEZZNS1_16scan_by_key_implILNS1_25lookback_scan_determinismE0ELb0ES3_N6thrust23THRUST_200600_302600_NS6detail15normal_iteratorINS9_10device_ptrIxEEEENS9_18transform_iteratorINS9_6negateIxEESE_NS9_11use_defaultESI_EESE_xNS9_4plusIvEENS9_8equal_toIvEExEE10hipError_tPvRmT2_T3_T4_T5_mT6_T7_P12ihipStream_tbENKUlT_T0_E_clISt17integral_constantIbLb0EES13_IbLb1EEEEDaSZ_S10_EUlSZ_E_NS1_11comp_targetILNS1_3genE10ELNS1_11target_archE1201ELNS1_3gpuE5ELNS1_3repE0EEENS1_30default_config_static_selectorELNS0_4arch9wavefront6targetE0EEEvT1_
	.globl	_ZN7rocprim17ROCPRIM_400000_NS6detail17trampoline_kernelINS0_14default_configENS1_27scan_by_key_config_selectorIxxEEZZNS1_16scan_by_key_implILNS1_25lookback_scan_determinismE0ELb0ES3_N6thrust23THRUST_200600_302600_NS6detail15normal_iteratorINS9_10device_ptrIxEEEENS9_18transform_iteratorINS9_6negateIxEESE_NS9_11use_defaultESI_EESE_xNS9_4plusIvEENS9_8equal_toIvEExEE10hipError_tPvRmT2_T3_T4_T5_mT6_T7_P12ihipStream_tbENKUlT_T0_E_clISt17integral_constantIbLb0EES13_IbLb1EEEEDaSZ_S10_EUlSZ_E_NS1_11comp_targetILNS1_3genE10ELNS1_11target_archE1201ELNS1_3gpuE5ELNS1_3repE0EEENS1_30default_config_static_selectorELNS0_4arch9wavefront6targetE0EEEvT1_
	.p2align	8
	.type	_ZN7rocprim17ROCPRIM_400000_NS6detail17trampoline_kernelINS0_14default_configENS1_27scan_by_key_config_selectorIxxEEZZNS1_16scan_by_key_implILNS1_25lookback_scan_determinismE0ELb0ES3_N6thrust23THRUST_200600_302600_NS6detail15normal_iteratorINS9_10device_ptrIxEEEENS9_18transform_iteratorINS9_6negateIxEESE_NS9_11use_defaultESI_EESE_xNS9_4plusIvEENS9_8equal_toIvEExEE10hipError_tPvRmT2_T3_T4_T5_mT6_T7_P12ihipStream_tbENKUlT_T0_E_clISt17integral_constantIbLb0EES13_IbLb1EEEEDaSZ_S10_EUlSZ_E_NS1_11comp_targetILNS1_3genE10ELNS1_11target_archE1201ELNS1_3gpuE5ELNS1_3repE0EEENS1_30default_config_static_selectorELNS0_4arch9wavefront6targetE0EEEvT1_,@function
_ZN7rocprim17ROCPRIM_400000_NS6detail17trampoline_kernelINS0_14default_configENS1_27scan_by_key_config_selectorIxxEEZZNS1_16scan_by_key_implILNS1_25lookback_scan_determinismE0ELb0ES3_N6thrust23THRUST_200600_302600_NS6detail15normal_iteratorINS9_10device_ptrIxEEEENS9_18transform_iteratorINS9_6negateIxEESE_NS9_11use_defaultESI_EESE_xNS9_4plusIvEENS9_8equal_toIvEExEE10hipError_tPvRmT2_T3_T4_T5_mT6_T7_P12ihipStream_tbENKUlT_T0_E_clISt17integral_constantIbLb0EES13_IbLb1EEEEDaSZ_S10_EUlSZ_E_NS1_11comp_targetILNS1_3genE10ELNS1_11target_archE1201ELNS1_3gpuE5ELNS1_3repE0EEENS1_30default_config_static_selectorELNS0_4arch9wavefront6targetE0EEEvT1_: ; @_ZN7rocprim17ROCPRIM_400000_NS6detail17trampoline_kernelINS0_14default_configENS1_27scan_by_key_config_selectorIxxEEZZNS1_16scan_by_key_implILNS1_25lookback_scan_determinismE0ELb0ES3_N6thrust23THRUST_200600_302600_NS6detail15normal_iteratorINS9_10device_ptrIxEEEENS9_18transform_iteratorINS9_6negateIxEESE_NS9_11use_defaultESI_EESE_xNS9_4plusIvEENS9_8equal_toIvEExEE10hipError_tPvRmT2_T3_T4_T5_mT6_T7_P12ihipStream_tbENKUlT_T0_E_clISt17integral_constantIbLb0EES13_IbLb1EEEEDaSZ_S10_EUlSZ_E_NS1_11comp_targetILNS1_3genE10ELNS1_11target_archE1201ELNS1_3gpuE5ELNS1_3repE0EEENS1_30default_config_static_selectorELNS0_4arch9wavefront6targetE0EEEvT1_
; %bb.0:
	.section	.rodata,"a",@progbits
	.p2align	6, 0x0
	.amdhsa_kernel _ZN7rocprim17ROCPRIM_400000_NS6detail17trampoline_kernelINS0_14default_configENS1_27scan_by_key_config_selectorIxxEEZZNS1_16scan_by_key_implILNS1_25lookback_scan_determinismE0ELb0ES3_N6thrust23THRUST_200600_302600_NS6detail15normal_iteratorINS9_10device_ptrIxEEEENS9_18transform_iteratorINS9_6negateIxEESE_NS9_11use_defaultESI_EESE_xNS9_4plusIvEENS9_8equal_toIvEExEE10hipError_tPvRmT2_T3_T4_T5_mT6_T7_P12ihipStream_tbENKUlT_T0_E_clISt17integral_constantIbLb0EES13_IbLb1EEEEDaSZ_S10_EUlSZ_E_NS1_11comp_targetILNS1_3genE10ELNS1_11target_archE1201ELNS1_3gpuE5ELNS1_3repE0EEENS1_30default_config_static_selectorELNS0_4arch9wavefront6targetE0EEEvT1_
		.amdhsa_group_segment_fixed_size 0
		.amdhsa_private_segment_fixed_size 0
		.amdhsa_kernarg_size 144
		.amdhsa_user_sgpr_count 6
		.amdhsa_user_sgpr_private_segment_buffer 1
		.amdhsa_user_sgpr_dispatch_ptr 0
		.amdhsa_user_sgpr_queue_ptr 0
		.amdhsa_user_sgpr_kernarg_segment_ptr 1
		.amdhsa_user_sgpr_dispatch_id 0
		.amdhsa_user_sgpr_flat_scratch_init 0
		.amdhsa_user_sgpr_private_segment_size 0
		.amdhsa_wavefront_size32 1
		.amdhsa_uses_dynamic_stack 0
		.amdhsa_system_sgpr_private_segment_wavefront_offset 0
		.amdhsa_system_sgpr_workgroup_id_x 1
		.amdhsa_system_sgpr_workgroup_id_y 0
		.amdhsa_system_sgpr_workgroup_id_z 0
		.amdhsa_system_sgpr_workgroup_info 0
		.amdhsa_system_vgpr_workitem_id 0
		.amdhsa_next_free_vgpr 1
		.amdhsa_next_free_sgpr 1
		.amdhsa_reserve_vcc 0
		.amdhsa_reserve_flat_scratch 0
		.amdhsa_float_round_mode_32 0
		.amdhsa_float_round_mode_16_64 0
		.amdhsa_float_denorm_mode_32 3
		.amdhsa_float_denorm_mode_16_64 3
		.amdhsa_dx10_clamp 1
		.amdhsa_ieee_mode 1
		.amdhsa_fp16_overflow 0
		.amdhsa_workgroup_processor_mode 1
		.amdhsa_memory_ordered 1
		.amdhsa_forward_progress 1
		.amdhsa_shared_vgpr_count 0
		.amdhsa_exception_fp_ieee_invalid_op 0
		.amdhsa_exception_fp_denorm_src 0
		.amdhsa_exception_fp_ieee_div_zero 0
		.amdhsa_exception_fp_ieee_overflow 0
		.amdhsa_exception_fp_ieee_underflow 0
		.amdhsa_exception_fp_ieee_inexact 0
		.amdhsa_exception_int_div_zero 0
	.end_amdhsa_kernel
	.section	.text._ZN7rocprim17ROCPRIM_400000_NS6detail17trampoline_kernelINS0_14default_configENS1_27scan_by_key_config_selectorIxxEEZZNS1_16scan_by_key_implILNS1_25lookback_scan_determinismE0ELb0ES3_N6thrust23THRUST_200600_302600_NS6detail15normal_iteratorINS9_10device_ptrIxEEEENS9_18transform_iteratorINS9_6negateIxEESE_NS9_11use_defaultESI_EESE_xNS9_4plusIvEENS9_8equal_toIvEExEE10hipError_tPvRmT2_T3_T4_T5_mT6_T7_P12ihipStream_tbENKUlT_T0_E_clISt17integral_constantIbLb0EES13_IbLb1EEEEDaSZ_S10_EUlSZ_E_NS1_11comp_targetILNS1_3genE10ELNS1_11target_archE1201ELNS1_3gpuE5ELNS1_3repE0EEENS1_30default_config_static_selectorELNS0_4arch9wavefront6targetE0EEEvT1_,"axG",@progbits,_ZN7rocprim17ROCPRIM_400000_NS6detail17trampoline_kernelINS0_14default_configENS1_27scan_by_key_config_selectorIxxEEZZNS1_16scan_by_key_implILNS1_25lookback_scan_determinismE0ELb0ES3_N6thrust23THRUST_200600_302600_NS6detail15normal_iteratorINS9_10device_ptrIxEEEENS9_18transform_iteratorINS9_6negateIxEESE_NS9_11use_defaultESI_EESE_xNS9_4plusIvEENS9_8equal_toIvEExEE10hipError_tPvRmT2_T3_T4_T5_mT6_T7_P12ihipStream_tbENKUlT_T0_E_clISt17integral_constantIbLb0EES13_IbLb1EEEEDaSZ_S10_EUlSZ_E_NS1_11comp_targetILNS1_3genE10ELNS1_11target_archE1201ELNS1_3gpuE5ELNS1_3repE0EEENS1_30default_config_static_selectorELNS0_4arch9wavefront6targetE0EEEvT1_,comdat
.Lfunc_end921:
	.size	_ZN7rocprim17ROCPRIM_400000_NS6detail17trampoline_kernelINS0_14default_configENS1_27scan_by_key_config_selectorIxxEEZZNS1_16scan_by_key_implILNS1_25lookback_scan_determinismE0ELb0ES3_N6thrust23THRUST_200600_302600_NS6detail15normal_iteratorINS9_10device_ptrIxEEEENS9_18transform_iteratorINS9_6negateIxEESE_NS9_11use_defaultESI_EESE_xNS9_4plusIvEENS9_8equal_toIvEExEE10hipError_tPvRmT2_T3_T4_T5_mT6_T7_P12ihipStream_tbENKUlT_T0_E_clISt17integral_constantIbLb0EES13_IbLb1EEEEDaSZ_S10_EUlSZ_E_NS1_11comp_targetILNS1_3genE10ELNS1_11target_archE1201ELNS1_3gpuE5ELNS1_3repE0EEENS1_30default_config_static_selectorELNS0_4arch9wavefront6targetE0EEEvT1_, .Lfunc_end921-_ZN7rocprim17ROCPRIM_400000_NS6detail17trampoline_kernelINS0_14default_configENS1_27scan_by_key_config_selectorIxxEEZZNS1_16scan_by_key_implILNS1_25lookback_scan_determinismE0ELb0ES3_N6thrust23THRUST_200600_302600_NS6detail15normal_iteratorINS9_10device_ptrIxEEEENS9_18transform_iteratorINS9_6negateIxEESE_NS9_11use_defaultESI_EESE_xNS9_4plusIvEENS9_8equal_toIvEExEE10hipError_tPvRmT2_T3_T4_T5_mT6_T7_P12ihipStream_tbENKUlT_T0_E_clISt17integral_constantIbLb0EES13_IbLb1EEEEDaSZ_S10_EUlSZ_E_NS1_11comp_targetILNS1_3genE10ELNS1_11target_archE1201ELNS1_3gpuE5ELNS1_3repE0EEENS1_30default_config_static_selectorELNS0_4arch9wavefront6targetE0EEEvT1_
                                        ; -- End function
	.set _ZN7rocprim17ROCPRIM_400000_NS6detail17trampoline_kernelINS0_14default_configENS1_27scan_by_key_config_selectorIxxEEZZNS1_16scan_by_key_implILNS1_25lookback_scan_determinismE0ELb0ES3_N6thrust23THRUST_200600_302600_NS6detail15normal_iteratorINS9_10device_ptrIxEEEENS9_18transform_iteratorINS9_6negateIxEESE_NS9_11use_defaultESI_EESE_xNS9_4plusIvEENS9_8equal_toIvEExEE10hipError_tPvRmT2_T3_T4_T5_mT6_T7_P12ihipStream_tbENKUlT_T0_E_clISt17integral_constantIbLb0EES13_IbLb1EEEEDaSZ_S10_EUlSZ_E_NS1_11comp_targetILNS1_3genE10ELNS1_11target_archE1201ELNS1_3gpuE5ELNS1_3repE0EEENS1_30default_config_static_selectorELNS0_4arch9wavefront6targetE0EEEvT1_.num_vgpr, 0
	.set _ZN7rocprim17ROCPRIM_400000_NS6detail17trampoline_kernelINS0_14default_configENS1_27scan_by_key_config_selectorIxxEEZZNS1_16scan_by_key_implILNS1_25lookback_scan_determinismE0ELb0ES3_N6thrust23THRUST_200600_302600_NS6detail15normal_iteratorINS9_10device_ptrIxEEEENS9_18transform_iteratorINS9_6negateIxEESE_NS9_11use_defaultESI_EESE_xNS9_4plusIvEENS9_8equal_toIvEExEE10hipError_tPvRmT2_T3_T4_T5_mT6_T7_P12ihipStream_tbENKUlT_T0_E_clISt17integral_constantIbLb0EES13_IbLb1EEEEDaSZ_S10_EUlSZ_E_NS1_11comp_targetILNS1_3genE10ELNS1_11target_archE1201ELNS1_3gpuE5ELNS1_3repE0EEENS1_30default_config_static_selectorELNS0_4arch9wavefront6targetE0EEEvT1_.num_agpr, 0
	.set _ZN7rocprim17ROCPRIM_400000_NS6detail17trampoline_kernelINS0_14default_configENS1_27scan_by_key_config_selectorIxxEEZZNS1_16scan_by_key_implILNS1_25lookback_scan_determinismE0ELb0ES3_N6thrust23THRUST_200600_302600_NS6detail15normal_iteratorINS9_10device_ptrIxEEEENS9_18transform_iteratorINS9_6negateIxEESE_NS9_11use_defaultESI_EESE_xNS9_4plusIvEENS9_8equal_toIvEExEE10hipError_tPvRmT2_T3_T4_T5_mT6_T7_P12ihipStream_tbENKUlT_T0_E_clISt17integral_constantIbLb0EES13_IbLb1EEEEDaSZ_S10_EUlSZ_E_NS1_11comp_targetILNS1_3genE10ELNS1_11target_archE1201ELNS1_3gpuE5ELNS1_3repE0EEENS1_30default_config_static_selectorELNS0_4arch9wavefront6targetE0EEEvT1_.numbered_sgpr, 0
	.set _ZN7rocprim17ROCPRIM_400000_NS6detail17trampoline_kernelINS0_14default_configENS1_27scan_by_key_config_selectorIxxEEZZNS1_16scan_by_key_implILNS1_25lookback_scan_determinismE0ELb0ES3_N6thrust23THRUST_200600_302600_NS6detail15normal_iteratorINS9_10device_ptrIxEEEENS9_18transform_iteratorINS9_6negateIxEESE_NS9_11use_defaultESI_EESE_xNS9_4plusIvEENS9_8equal_toIvEExEE10hipError_tPvRmT2_T3_T4_T5_mT6_T7_P12ihipStream_tbENKUlT_T0_E_clISt17integral_constantIbLb0EES13_IbLb1EEEEDaSZ_S10_EUlSZ_E_NS1_11comp_targetILNS1_3genE10ELNS1_11target_archE1201ELNS1_3gpuE5ELNS1_3repE0EEENS1_30default_config_static_selectorELNS0_4arch9wavefront6targetE0EEEvT1_.num_named_barrier, 0
	.set _ZN7rocprim17ROCPRIM_400000_NS6detail17trampoline_kernelINS0_14default_configENS1_27scan_by_key_config_selectorIxxEEZZNS1_16scan_by_key_implILNS1_25lookback_scan_determinismE0ELb0ES3_N6thrust23THRUST_200600_302600_NS6detail15normal_iteratorINS9_10device_ptrIxEEEENS9_18transform_iteratorINS9_6negateIxEESE_NS9_11use_defaultESI_EESE_xNS9_4plusIvEENS9_8equal_toIvEExEE10hipError_tPvRmT2_T3_T4_T5_mT6_T7_P12ihipStream_tbENKUlT_T0_E_clISt17integral_constantIbLb0EES13_IbLb1EEEEDaSZ_S10_EUlSZ_E_NS1_11comp_targetILNS1_3genE10ELNS1_11target_archE1201ELNS1_3gpuE5ELNS1_3repE0EEENS1_30default_config_static_selectorELNS0_4arch9wavefront6targetE0EEEvT1_.private_seg_size, 0
	.set _ZN7rocprim17ROCPRIM_400000_NS6detail17trampoline_kernelINS0_14default_configENS1_27scan_by_key_config_selectorIxxEEZZNS1_16scan_by_key_implILNS1_25lookback_scan_determinismE0ELb0ES3_N6thrust23THRUST_200600_302600_NS6detail15normal_iteratorINS9_10device_ptrIxEEEENS9_18transform_iteratorINS9_6negateIxEESE_NS9_11use_defaultESI_EESE_xNS9_4plusIvEENS9_8equal_toIvEExEE10hipError_tPvRmT2_T3_T4_T5_mT6_T7_P12ihipStream_tbENKUlT_T0_E_clISt17integral_constantIbLb0EES13_IbLb1EEEEDaSZ_S10_EUlSZ_E_NS1_11comp_targetILNS1_3genE10ELNS1_11target_archE1201ELNS1_3gpuE5ELNS1_3repE0EEENS1_30default_config_static_selectorELNS0_4arch9wavefront6targetE0EEEvT1_.uses_vcc, 0
	.set _ZN7rocprim17ROCPRIM_400000_NS6detail17trampoline_kernelINS0_14default_configENS1_27scan_by_key_config_selectorIxxEEZZNS1_16scan_by_key_implILNS1_25lookback_scan_determinismE0ELb0ES3_N6thrust23THRUST_200600_302600_NS6detail15normal_iteratorINS9_10device_ptrIxEEEENS9_18transform_iteratorINS9_6negateIxEESE_NS9_11use_defaultESI_EESE_xNS9_4plusIvEENS9_8equal_toIvEExEE10hipError_tPvRmT2_T3_T4_T5_mT6_T7_P12ihipStream_tbENKUlT_T0_E_clISt17integral_constantIbLb0EES13_IbLb1EEEEDaSZ_S10_EUlSZ_E_NS1_11comp_targetILNS1_3genE10ELNS1_11target_archE1201ELNS1_3gpuE5ELNS1_3repE0EEENS1_30default_config_static_selectorELNS0_4arch9wavefront6targetE0EEEvT1_.uses_flat_scratch, 0
	.set _ZN7rocprim17ROCPRIM_400000_NS6detail17trampoline_kernelINS0_14default_configENS1_27scan_by_key_config_selectorIxxEEZZNS1_16scan_by_key_implILNS1_25lookback_scan_determinismE0ELb0ES3_N6thrust23THRUST_200600_302600_NS6detail15normal_iteratorINS9_10device_ptrIxEEEENS9_18transform_iteratorINS9_6negateIxEESE_NS9_11use_defaultESI_EESE_xNS9_4plusIvEENS9_8equal_toIvEExEE10hipError_tPvRmT2_T3_T4_T5_mT6_T7_P12ihipStream_tbENKUlT_T0_E_clISt17integral_constantIbLb0EES13_IbLb1EEEEDaSZ_S10_EUlSZ_E_NS1_11comp_targetILNS1_3genE10ELNS1_11target_archE1201ELNS1_3gpuE5ELNS1_3repE0EEENS1_30default_config_static_selectorELNS0_4arch9wavefront6targetE0EEEvT1_.has_dyn_sized_stack, 0
	.set _ZN7rocprim17ROCPRIM_400000_NS6detail17trampoline_kernelINS0_14default_configENS1_27scan_by_key_config_selectorIxxEEZZNS1_16scan_by_key_implILNS1_25lookback_scan_determinismE0ELb0ES3_N6thrust23THRUST_200600_302600_NS6detail15normal_iteratorINS9_10device_ptrIxEEEENS9_18transform_iteratorINS9_6negateIxEESE_NS9_11use_defaultESI_EESE_xNS9_4plusIvEENS9_8equal_toIvEExEE10hipError_tPvRmT2_T3_T4_T5_mT6_T7_P12ihipStream_tbENKUlT_T0_E_clISt17integral_constantIbLb0EES13_IbLb1EEEEDaSZ_S10_EUlSZ_E_NS1_11comp_targetILNS1_3genE10ELNS1_11target_archE1201ELNS1_3gpuE5ELNS1_3repE0EEENS1_30default_config_static_selectorELNS0_4arch9wavefront6targetE0EEEvT1_.has_recursion, 0
	.set _ZN7rocprim17ROCPRIM_400000_NS6detail17trampoline_kernelINS0_14default_configENS1_27scan_by_key_config_selectorIxxEEZZNS1_16scan_by_key_implILNS1_25lookback_scan_determinismE0ELb0ES3_N6thrust23THRUST_200600_302600_NS6detail15normal_iteratorINS9_10device_ptrIxEEEENS9_18transform_iteratorINS9_6negateIxEESE_NS9_11use_defaultESI_EESE_xNS9_4plusIvEENS9_8equal_toIvEExEE10hipError_tPvRmT2_T3_T4_T5_mT6_T7_P12ihipStream_tbENKUlT_T0_E_clISt17integral_constantIbLb0EES13_IbLb1EEEEDaSZ_S10_EUlSZ_E_NS1_11comp_targetILNS1_3genE10ELNS1_11target_archE1201ELNS1_3gpuE5ELNS1_3repE0EEENS1_30default_config_static_selectorELNS0_4arch9wavefront6targetE0EEEvT1_.has_indirect_call, 0
	.section	.AMDGPU.csdata,"",@progbits
; Kernel info:
; codeLenInByte = 0
; TotalNumSgprs: 0
; NumVgprs: 0
; ScratchSize: 0
; MemoryBound: 0
; FloatMode: 240
; IeeeMode: 1
; LDSByteSize: 0 bytes/workgroup (compile time only)
; SGPRBlocks: 0
; VGPRBlocks: 0
; NumSGPRsForWavesPerEU: 1
; NumVGPRsForWavesPerEU: 1
; Occupancy: 16
; WaveLimiterHint : 0
; COMPUTE_PGM_RSRC2:SCRATCH_EN: 0
; COMPUTE_PGM_RSRC2:USER_SGPR: 6
; COMPUTE_PGM_RSRC2:TRAP_HANDLER: 0
; COMPUTE_PGM_RSRC2:TGID_X_EN: 1
; COMPUTE_PGM_RSRC2:TGID_Y_EN: 0
; COMPUTE_PGM_RSRC2:TGID_Z_EN: 0
; COMPUTE_PGM_RSRC2:TIDIG_COMP_CNT: 0
	.section	.text._ZN7rocprim17ROCPRIM_400000_NS6detail17trampoline_kernelINS0_14default_configENS1_27scan_by_key_config_selectorIxxEEZZNS1_16scan_by_key_implILNS1_25lookback_scan_determinismE0ELb0ES3_N6thrust23THRUST_200600_302600_NS6detail15normal_iteratorINS9_10device_ptrIxEEEENS9_18transform_iteratorINS9_6negateIxEESE_NS9_11use_defaultESI_EESE_xNS9_4plusIvEENS9_8equal_toIvEExEE10hipError_tPvRmT2_T3_T4_T5_mT6_T7_P12ihipStream_tbENKUlT_T0_E_clISt17integral_constantIbLb0EES13_IbLb1EEEEDaSZ_S10_EUlSZ_E_NS1_11comp_targetILNS1_3genE5ELNS1_11target_archE942ELNS1_3gpuE9ELNS1_3repE0EEENS1_30default_config_static_selectorELNS0_4arch9wavefront6targetE0EEEvT1_,"axG",@progbits,_ZN7rocprim17ROCPRIM_400000_NS6detail17trampoline_kernelINS0_14default_configENS1_27scan_by_key_config_selectorIxxEEZZNS1_16scan_by_key_implILNS1_25lookback_scan_determinismE0ELb0ES3_N6thrust23THRUST_200600_302600_NS6detail15normal_iteratorINS9_10device_ptrIxEEEENS9_18transform_iteratorINS9_6negateIxEESE_NS9_11use_defaultESI_EESE_xNS9_4plusIvEENS9_8equal_toIvEExEE10hipError_tPvRmT2_T3_T4_T5_mT6_T7_P12ihipStream_tbENKUlT_T0_E_clISt17integral_constantIbLb0EES13_IbLb1EEEEDaSZ_S10_EUlSZ_E_NS1_11comp_targetILNS1_3genE5ELNS1_11target_archE942ELNS1_3gpuE9ELNS1_3repE0EEENS1_30default_config_static_selectorELNS0_4arch9wavefront6targetE0EEEvT1_,comdat
	.protected	_ZN7rocprim17ROCPRIM_400000_NS6detail17trampoline_kernelINS0_14default_configENS1_27scan_by_key_config_selectorIxxEEZZNS1_16scan_by_key_implILNS1_25lookback_scan_determinismE0ELb0ES3_N6thrust23THRUST_200600_302600_NS6detail15normal_iteratorINS9_10device_ptrIxEEEENS9_18transform_iteratorINS9_6negateIxEESE_NS9_11use_defaultESI_EESE_xNS9_4plusIvEENS9_8equal_toIvEExEE10hipError_tPvRmT2_T3_T4_T5_mT6_T7_P12ihipStream_tbENKUlT_T0_E_clISt17integral_constantIbLb0EES13_IbLb1EEEEDaSZ_S10_EUlSZ_E_NS1_11comp_targetILNS1_3genE5ELNS1_11target_archE942ELNS1_3gpuE9ELNS1_3repE0EEENS1_30default_config_static_selectorELNS0_4arch9wavefront6targetE0EEEvT1_ ; -- Begin function _ZN7rocprim17ROCPRIM_400000_NS6detail17trampoline_kernelINS0_14default_configENS1_27scan_by_key_config_selectorIxxEEZZNS1_16scan_by_key_implILNS1_25lookback_scan_determinismE0ELb0ES3_N6thrust23THRUST_200600_302600_NS6detail15normal_iteratorINS9_10device_ptrIxEEEENS9_18transform_iteratorINS9_6negateIxEESE_NS9_11use_defaultESI_EESE_xNS9_4plusIvEENS9_8equal_toIvEExEE10hipError_tPvRmT2_T3_T4_T5_mT6_T7_P12ihipStream_tbENKUlT_T0_E_clISt17integral_constantIbLb0EES13_IbLb1EEEEDaSZ_S10_EUlSZ_E_NS1_11comp_targetILNS1_3genE5ELNS1_11target_archE942ELNS1_3gpuE9ELNS1_3repE0EEENS1_30default_config_static_selectorELNS0_4arch9wavefront6targetE0EEEvT1_
	.globl	_ZN7rocprim17ROCPRIM_400000_NS6detail17trampoline_kernelINS0_14default_configENS1_27scan_by_key_config_selectorIxxEEZZNS1_16scan_by_key_implILNS1_25lookback_scan_determinismE0ELb0ES3_N6thrust23THRUST_200600_302600_NS6detail15normal_iteratorINS9_10device_ptrIxEEEENS9_18transform_iteratorINS9_6negateIxEESE_NS9_11use_defaultESI_EESE_xNS9_4plusIvEENS9_8equal_toIvEExEE10hipError_tPvRmT2_T3_T4_T5_mT6_T7_P12ihipStream_tbENKUlT_T0_E_clISt17integral_constantIbLb0EES13_IbLb1EEEEDaSZ_S10_EUlSZ_E_NS1_11comp_targetILNS1_3genE5ELNS1_11target_archE942ELNS1_3gpuE9ELNS1_3repE0EEENS1_30default_config_static_selectorELNS0_4arch9wavefront6targetE0EEEvT1_
	.p2align	8
	.type	_ZN7rocprim17ROCPRIM_400000_NS6detail17trampoline_kernelINS0_14default_configENS1_27scan_by_key_config_selectorIxxEEZZNS1_16scan_by_key_implILNS1_25lookback_scan_determinismE0ELb0ES3_N6thrust23THRUST_200600_302600_NS6detail15normal_iteratorINS9_10device_ptrIxEEEENS9_18transform_iteratorINS9_6negateIxEESE_NS9_11use_defaultESI_EESE_xNS9_4plusIvEENS9_8equal_toIvEExEE10hipError_tPvRmT2_T3_T4_T5_mT6_T7_P12ihipStream_tbENKUlT_T0_E_clISt17integral_constantIbLb0EES13_IbLb1EEEEDaSZ_S10_EUlSZ_E_NS1_11comp_targetILNS1_3genE5ELNS1_11target_archE942ELNS1_3gpuE9ELNS1_3repE0EEENS1_30default_config_static_selectorELNS0_4arch9wavefront6targetE0EEEvT1_,@function
_ZN7rocprim17ROCPRIM_400000_NS6detail17trampoline_kernelINS0_14default_configENS1_27scan_by_key_config_selectorIxxEEZZNS1_16scan_by_key_implILNS1_25lookback_scan_determinismE0ELb0ES3_N6thrust23THRUST_200600_302600_NS6detail15normal_iteratorINS9_10device_ptrIxEEEENS9_18transform_iteratorINS9_6negateIxEESE_NS9_11use_defaultESI_EESE_xNS9_4plusIvEENS9_8equal_toIvEExEE10hipError_tPvRmT2_T3_T4_T5_mT6_T7_P12ihipStream_tbENKUlT_T0_E_clISt17integral_constantIbLb0EES13_IbLb1EEEEDaSZ_S10_EUlSZ_E_NS1_11comp_targetILNS1_3genE5ELNS1_11target_archE942ELNS1_3gpuE9ELNS1_3repE0EEENS1_30default_config_static_selectorELNS0_4arch9wavefront6targetE0EEEvT1_: ; @_ZN7rocprim17ROCPRIM_400000_NS6detail17trampoline_kernelINS0_14default_configENS1_27scan_by_key_config_selectorIxxEEZZNS1_16scan_by_key_implILNS1_25lookback_scan_determinismE0ELb0ES3_N6thrust23THRUST_200600_302600_NS6detail15normal_iteratorINS9_10device_ptrIxEEEENS9_18transform_iteratorINS9_6negateIxEESE_NS9_11use_defaultESI_EESE_xNS9_4plusIvEENS9_8equal_toIvEExEE10hipError_tPvRmT2_T3_T4_T5_mT6_T7_P12ihipStream_tbENKUlT_T0_E_clISt17integral_constantIbLb0EES13_IbLb1EEEEDaSZ_S10_EUlSZ_E_NS1_11comp_targetILNS1_3genE5ELNS1_11target_archE942ELNS1_3gpuE9ELNS1_3repE0EEENS1_30default_config_static_selectorELNS0_4arch9wavefront6targetE0EEEvT1_
; %bb.0:
	.section	.rodata,"a",@progbits
	.p2align	6, 0x0
	.amdhsa_kernel _ZN7rocprim17ROCPRIM_400000_NS6detail17trampoline_kernelINS0_14default_configENS1_27scan_by_key_config_selectorIxxEEZZNS1_16scan_by_key_implILNS1_25lookback_scan_determinismE0ELb0ES3_N6thrust23THRUST_200600_302600_NS6detail15normal_iteratorINS9_10device_ptrIxEEEENS9_18transform_iteratorINS9_6negateIxEESE_NS9_11use_defaultESI_EESE_xNS9_4plusIvEENS9_8equal_toIvEExEE10hipError_tPvRmT2_T3_T4_T5_mT6_T7_P12ihipStream_tbENKUlT_T0_E_clISt17integral_constantIbLb0EES13_IbLb1EEEEDaSZ_S10_EUlSZ_E_NS1_11comp_targetILNS1_3genE5ELNS1_11target_archE942ELNS1_3gpuE9ELNS1_3repE0EEENS1_30default_config_static_selectorELNS0_4arch9wavefront6targetE0EEEvT1_
		.amdhsa_group_segment_fixed_size 0
		.amdhsa_private_segment_fixed_size 0
		.amdhsa_kernarg_size 144
		.amdhsa_user_sgpr_count 6
		.amdhsa_user_sgpr_private_segment_buffer 1
		.amdhsa_user_sgpr_dispatch_ptr 0
		.amdhsa_user_sgpr_queue_ptr 0
		.amdhsa_user_sgpr_kernarg_segment_ptr 1
		.amdhsa_user_sgpr_dispatch_id 0
		.amdhsa_user_sgpr_flat_scratch_init 0
		.amdhsa_user_sgpr_private_segment_size 0
		.amdhsa_wavefront_size32 1
		.amdhsa_uses_dynamic_stack 0
		.amdhsa_system_sgpr_private_segment_wavefront_offset 0
		.amdhsa_system_sgpr_workgroup_id_x 1
		.amdhsa_system_sgpr_workgroup_id_y 0
		.amdhsa_system_sgpr_workgroup_id_z 0
		.amdhsa_system_sgpr_workgroup_info 0
		.amdhsa_system_vgpr_workitem_id 0
		.amdhsa_next_free_vgpr 1
		.amdhsa_next_free_sgpr 1
		.amdhsa_reserve_vcc 0
		.amdhsa_reserve_flat_scratch 0
		.amdhsa_float_round_mode_32 0
		.amdhsa_float_round_mode_16_64 0
		.amdhsa_float_denorm_mode_32 3
		.amdhsa_float_denorm_mode_16_64 3
		.amdhsa_dx10_clamp 1
		.amdhsa_ieee_mode 1
		.amdhsa_fp16_overflow 0
		.amdhsa_workgroup_processor_mode 1
		.amdhsa_memory_ordered 1
		.amdhsa_forward_progress 1
		.amdhsa_shared_vgpr_count 0
		.amdhsa_exception_fp_ieee_invalid_op 0
		.amdhsa_exception_fp_denorm_src 0
		.amdhsa_exception_fp_ieee_div_zero 0
		.amdhsa_exception_fp_ieee_overflow 0
		.amdhsa_exception_fp_ieee_underflow 0
		.amdhsa_exception_fp_ieee_inexact 0
		.amdhsa_exception_int_div_zero 0
	.end_amdhsa_kernel
	.section	.text._ZN7rocprim17ROCPRIM_400000_NS6detail17trampoline_kernelINS0_14default_configENS1_27scan_by_key_config_selectorIxxEEZZNS1_16scan_by_key_implILNS1_25lookback_scan_determinismE0ELb0ES3_N6thrust23THRUST_200600_302600_NS6detail15normal_iteratorINS9_10device_ptrIxEEEENS9_18transform_iteratorINS9_6negateIxEESE_NS9_11use_defaultESI_EESE_xNS9_4plusIvEENS9_8equal_toIvEExEE10hipError_tPvRmT2_T3_T4_T5_mT6_T7_P12ihipStream_tbENKUlT_T0_E_clISt17integral_constantIbLb0EES13_IbLb1EEEEDaSZ_S10_EUlSZ_E_NS1_11comp_targetILNS1_3genE5ELNS1_11target_archE942ELNS1_3gpuE9ELNS1_3repE0EEENS1_30default_config_static_selectorELNS0_4arch9wavefront6targetE0EEEvT1_,"axG",@progbits,_ZN7rocprim17ROCPRIM_400000_NS6detail17trampoline_kernelINS0_14default_configENS1_27scan_by_key_config_selectorIxxEEZZNS1_16scan_by_key_implILNS1_25lookback_scan_determinismE0ELb0ES3_N6thrust23THRUST_200600_302600_NS6detail15normal_iteratorINS9_10device_ptrIxEEEENS9_18transform_iteratorINS9_6negateIxEESE_NS9_11use_defaultESI_EESE_xNS9_4plusIvEENS9_8equal_toIvEExEE10hipError_tPvRmT2_T3_T4_T5_mT6_T7_P12ihipStream_tbENKUlT_T0_E_clISt17integral_constantIbLb0EES13_IbLb1EEEEDaSZ_S10_EUlSZ_E_NS1_11comp_targetILNS1_3genE5ELNS1_11target_archE942ELNS1_3gpuE9ELNS1_3repE0EEENS1_30default_config_static_selectorELNS0_4arch9wavefront6targetE0EEEvT1_,comdat
.Lfunc_end922:
	.size	_ZN7rocprim17ROCPRIM_400000_NS6detail17trampoline_kernelINS0_14default_configENS1_27scan_by_key_config_selectorIxxEEZZNS1_16scan_by_key_implILNS1_25lookback_scan_determinismE0ELb0ES3_N6thrust23THRUST_200600_302600_NS6detail15normal_iteratorINS9_10device_ptrIxEEEENS9_18transform_iteratorINS9_6negateIxEESE_NS9_11use_defaultESI_EESE_xNS9_4plusIvEENS9_8equal_toIvEExEE10hipError_tPvRmT2_T3_T4_T5_mT6_T7_P12ihipStream_tbENKUlT_T0_E_clISt17integral_constantIbLb0EES13_IbLb1EEEEDaSZ_S10_EUlSZ_E_NS1_11comp_targetILNS1_3genE5ELNS1_11target_archE942ELNS1_3gpuE9ELNS1_3repE0EEENS1_30default_config_static_selectorELNS0_4arch9wavefront6targetE0EEEvT1_, .Lfunc_end922-_ZN7rocprim17ROCPRIM_400000_NS6detail17trampoline_kernelINS0_14default_configENS1_27scan_by_key_config_selectorIxxEEZZNS1_16scan_by_key_implILNS1_25lookback_scan_determinismE0ELb0ES3_N6thrust23THRUST_200600_302600_NS6detail15normal_iteratorINS9_10device_ptrIxEEEENS9_18transform_iteratorINS9_6negateIxEESE_NS9_11use_defaultESI_EESE_xNS9_4plusIvEENS9_8equal_toIvEExEE10hipError_tPvRmT2_T3_T4_T5_mT6_T7_P12ihipStream_tbENKUlT_T0_E_clISt17integral_constantIbLb0EES13_IbLb1EEEEDaSZ_S10_EUlSZ_E_NS1_11comp_targetILNS1_3genE5ELNS1_11target_archE942ELNS1_3gpuE9ELNS1_3repE0EEENS1_30default_config_static_selectorELNS0_4arch9wavefront6targetE0EEEvT1_
                                        ; -- End function
	.set _ZN7rocprim17ROCPRIM_400000_NS6detail17trampoline_kernelINS0_14default_configENS1_27scan_by_key_config_selectorIxxEEZZNS1_16scan_by_key_implILNS1_25lookback_scan_determinismE0ELb0ES3_N6thrust23THRUST_200600_302600_NS6detail15normal_iteratorINS9_10device_ptrIxEEEENS9_18transform_iteratorINS9_6negateIxEESE_NS9_11use_defaultESI_EESE_xNS9_4plusIvEENS9_8equal_toIvEExEE10hipError_tPvRmT2_T3_T4_T5_mT6_T7_P12ihipStream_tbENKUlT_T0_E_clISt17integral_constantIbLb0EES13_IbLb1EEEEDaSZ_S10_EUlSZ_E_NS1_11comp_targetILNS1_3genE5ELNS1_11target_archE942ELNS1_3gpuE9ELNS1_3repE0EEENS1_30default_config_static_selectorELNS0_4arch9wavefront6targetE0EEEvT1_.num_vgpr, 0
	.set _ZN7rocprim17ROCPRIM_400000_NS6detail17trampoline_kernelINS0_14default_configENS1_27scan_by_key_config_selectorIxxEEZZNS1_16scan_by_key_implILNS1_25lookback_scan_determinismE0ELb0ES3_N6thrust23THRUST_200600_302600_NS6detail15normal_iteratorINS9_10device_ptrIxEEEENS9_18transform_iteratorINS9_6negateIxEESE_NS9_11use_defaultESI_EESE_xNS9_4plusIvEENS9_8equal_toIvEExEE10hipError_tPvRmT2_T3_T4_T5_mT6_T7_P12ihipStream_tbENKUlT_T0_E_clISt17integral_constantIbLb0EES13_IbLb1EEEEDaSZ_S10_EUlSZ_E_NS1_11comp_targetILNS1_3genE5ELNS1_11target_archE942ELNS1_3gpuE9ELNS1_3repE0EEENS1_30default_config_static_selectorELNS0_4arch9wavefront6targetE0EEEvT1_.num_agpr, 0
	.set _ZN7rocprim17ROCPRIM_400000_NS6detail17trampoline_kernelINS0_14default_configENS1_27scan_by_key_config_selectorIxxEEZZNS1_16scan_by_key_implILNS1_25lookback_scan_determinismE0ELb0ES3_N6thrust23THRUST_200600_302600_NS6detail15normal_iteratorINS9_10device_ptrIxEEEENS9_18transform_iteratorINS9_6negateIxEESE_NS9_11use_defaultESI_EESE_xNS9_4plusIvEENS9_8equal_toIvEExEE10hipError_tPvRmT2_T3_T4_T5_mT6_T7_P12ihipStream_tbENKUlT_T0_E_clISt17integral_constantIbLb0EES13_IbLb1EEEEDaSZ_S10_EUlSZ_E_NS1_11comp_targetILNS1_3genE5ELNS1_11target_archE942ELNS1_3gpuE9ELNS1_3repE0EEENS1_30default_config_static_selectorELNS0_4arch9wavefront6targetE0EEEvT1_.numbered_sgpr, 0
	.set _ZN7rocprim17ROCPRIM_400000_NS6detail17trampoline_kernelINS0_14default_configENS1_27scan_by_key_config_selectorIxxEEZZNS1_16scan_by_key_implILNS1_25lookback_scan_determinismE0ELb0ES3_N6thrust23THRUST_200600_302600_NS6detail15normal_iteratorINS9_10device_ptrIxEEEENS9_18transform_iteratorINS9_6negateIxEESE_NS9_11use_defaultESI_EESE_xNS9_4plusIvEENS9_8equal_toIvEExEE10hipError_tPvRmT2_T3_T4_T5_mT6_T7_P12ihipStream_tbENKUlT_T0_E_clISt17integral_constantIbLb0EES13_IbLb1EEEEDaSZ_S10_EUlSZ_E_NS1_11comp_targetILNS1_3genE5ELNS1_11target_archE942ELNS1_3gpuE9ELNS1_3repE0EEENS1_30default_config_static_selectorELNS0_4arch9wavefront6targetE0EEEvT1_.num_named_barrier, 0
	.set _ZN7rocprim17ROCPRIM_400000_NS6detail17trampoline_kernelINS0_14default_configENS1_27scan_by_key_config_selectorIxxEEZZNS1_16scan_by_key_implILNS1_25lookback_scan_determinismE0ELb0ES3_N6thrust23THRUST_200600_302600_NS6detail15normal_iteratorINS9_10device_ptrIxEEEENS9_18transform_iteratorINS9_6negateIxEESE_NS9_11use_defaultESI_EESE_xNS9_4plusIvEENS9_8equal_toIvEExEE10hipError_tPvRmT2_T3_T4_T5_mT6_T7_P12ihipStream_tbENKUlT_T0_E_clISt17integral_constantIbLb0EES13_IbLb1EEEEDaSZ_S10_EUlSZ_E_NS1_11comp_targetILNS1_3genE5ELNS1_11target_archE942ELNS1_3gpuE9ELNS1_3repE0EEENS1_30default_config_static_selectorELNS0_4arch9wavefront6targetE0EEEvT1_.private_seg_size, 0
	.set _ZN7rocprim17ROCPRIM_400000_NS6detail17trampoline_kernelINS0_14default_configENS1_27scan_by_key_config_selectorIxxEEZZNS1_16scan_by_key_implILNS1_25lookback_scan_determinismE0ELb0ES3_N6thrust23THRUST_200600_302600_NS6detail15normal_iteratorINS9_10device_ptrIxEEEENS9_18transform_iteratorINS9_6negateIxEESE_NS9_11use_defaultESI_EESE_xNS9_4plusIvEENS9_8equal_toIvEExEE10hipError_tPvRmT2_T3_T4_T5_mT6_T7_P12ihipStream_tbENKUlT_T0_E_clISt17integral_constantIbLb0EES13_IbLb1EEEEDaSZ_S10_EUlSZ_E_NS1_11comp_targetILNS1_3genE5ELNS1_11target_archE942ELNS1_3gpuE9ELNS1_3repE0EEENS1_30default_config_static_selectorELNS0_4arch9wavefront6targetE0EEEvT1_.uses_vcc, 0
	.set _ZN7rocprim17ROCPRIM_400000_NS6detail17trampoline_kernelINS0_14default_configENS1_27scan_by_key_config_selectorIxxEEZZNS1_16scan_by_key_implILNS1_25lookback_scan_determinismE0ELb0ES3_N6thrust23THRUST_200600_302600_NS6detail15normal_iteratorINS9_10device_ptrIxEEEENS9_18transform_iteratorINS9_6negateIxEESE_NS9_11use_defaultESI_EESE_xNS9_4plusIvEENS9_8equal_toIvEExEE10hipError_tPvRmT2_T3_T4_T5_mT6_T7_P12ihipStream_tbENKUlT_T0_E_clISt17integral_constantIbLb0EES13_IbLb1EEEEDaSZ_S10_EUlSZ_E_NS1_11comp_targetILNS1_3genE5ELNS1_11target_archE942ELNS1_3gpuE9ELNS1_3repE0EEENS1_30default_config_static_selectorELNS0_4arch9wavefront6targetE0EEEvT1_.uses_flat_scratch, 0
	.set _ZN7rocprim17ROCPRIM_400000_NS6detail17trampoline_kernelINS0_14default_configENS1_27scan_by_key_config_selectorIxxEEZZNS1_16scan_by_key_implILNS1_25lookback_scan_determinismE0ELb0ES3_N6thrust23THRUST_200600_302600_NS6detail15normal_iteratorINS9_10device_ptrIxEEEENS9_18transform_iteratorINS9_6negateIxEESE_NS9_11use_defaultESI_EESE_xNS9_4plusIvEENS9_8equal_toIvEExEE10hipError_tPvRmT2_T3_T4_T5_mT6_T7_P12ihipStream_tbENKUlT_T0_E_clISt17integral_constantIbLb0EES13_IbLb1EEEEDaSZ_S10_EUlSZ_E_NS1_11comp_targetILNS1_3genE5ELNS1_11target_archE942ELNS1_3gpuE9ELNS1_3repE0EEENS1_30default_config_static_selectorELNS0_4arch9wavefront6targetE0EEEvT1_.has_dyn_sized_stack, 0
	.set _ZN7rocprim17ROCPRIM_400000_NS6detail17trampoline_kernelINS0_14default_configENS1_27scan_by_key_config_selectorIxxEEZZNS1_16scan_by_key_implILNS1_25lookback_scan_determinismE0ELb0ES3_N6thrust23THRUST_200600_302600_NS6detail15normal_iteratorINS9_10device_ptrIxEEEENS9_18transform_iteratorINS9_6negateIxEESE_NS9_11use_defaultESI_EESE_xNS9_4plusIvEENS9_8equal_toIvEExEE10hipError_tPvRmT2_T3_T4_T5_mT6_T7_P12ihipStream_tbENKUlT_T0_E_clISt17integral_constantIbLb0EES13_IbLb1EEEEDaSZ_S10_EUlSZ_E_NS1_11comp_targetILNS1_3genE5ELNS1_11target_archE942ELNS1_3gpuE9ELNS1_3repE0EEENS1_30default_config_static_selectorELNS0_4arch9wavefront6targetE0EEEvT1_.has_recursion, 0
	.set _ZN7rocprim17ROCPRIM_400000_NS6detail17trampoline_kernelINS0_14default_configENS1_27scan_by_key_config_selectorIxxEEZZNS1_16scan_by_key_implILNS1_25lookback_scan_determinismE0ELb0ES3_N6thrust23THRUST_200600_302600_NS6detail15normal_iteratorINS9_10device_ptrIxEEEENS9_18transform_iteratorINS9_6negateIxEESE_NS9_11use_defaultESI_EESE_xNS9_4plusIvEENS9_8equal_toIvEExEE10hipError_tPvRmT2_T3_T4_T5_mT6_T7_P12ihipStream_tbENKUlT_T0_E_clISt17integral_constantIbLb0EES13_IbLb1EEEEDaSZ_S10_EUlSZ_E_NS1_11comp_targetILNS1_3genE5ELNS1_11target_archE942ELNS1_3gpuE9ELNS1_3repE0EEENS1_30default_config_static_selectorELNS0_4arch9wavefront6targetE0EEEvT1_.has_indirect_call, 0
	.section	.AMDGPU.csdata,"",@progbits
; Kernel info:
; codeLenInByte = 0
; TotalNumSgprs: 0
; NumVgprs: 0
; ScratchSize: 0
; MemoryBound: 0
; FloatMode: 240
; IeeeMode: 1
; LDSByteSize: 0 bytes/workgroup (compile time only)
; SGPRBlocks: 0
; VGPRBlocks: 0
; NumSGPRsForWavesPerEU: 1
; NumVGPRsForWavesPerEU: 1
; Occupancy: 16
; WaveLimiterHint : 0
; COMPUTE_PGM_RSRC2:SCRATCH_EN: 0
; COMPUTE_PGM_RSRC2:USER_SGPR: 6
; COMPUTE_PGM_RSRC2:TRAP_HANDLER: 0
; COMPUTE_PGM_RSRC2:TGID_X_EN: 1
; COMPUTE_PGM_RSRC2:TGID_Y_EN: 0
; COMPUTE_PGM_RSRC2:TGID_Z_EN: 0
; COMPUTE_PGM_RSRC2:TIDIG_COMP_CNT: 0
	.section	.text._ZN7rocprim17ROCPRIM_400000_NS6detail17trampoline_kernelINS0_14default_configENS1_27scan_by_key_config_selectorIxxEEZZNS1_16scan_by_key_implILNS1_25lookback_scan_determinismE0ELb0ES3_N6thrust23THRUST_200600_302600_NS6detail15normal_iteratorINS9_10device_ptrIxEEEENS9_18transform_iteratorINS9_6negateIxEESE_NS9_11use_defaultESI_EESE_xNS9_4plusIvEENS9_8equal_toIvEExEE10hipError_tPvRmT2_T3_T4_T5_mT6_T7_P12ihipStream_tbENKUlT_T0_E_clISt17integral_constantIbLb0EES13_IbLb1EEEEDaSZ_S10_EUlSZ_E_NS1_11comp_targetILNS1_3genE4ELNS1_11target_archE910ELNS1_3gpuE8ELNS1_3repE0EEENS1_30default_config_static_selectorELNS0_4arch9wavefront6targetE0EEEvT1_,"axG",@progbits,_ZN7rocprim17ROCPRIM_400000_NS6detail17trampoline_kernelINS0_14default_configENS1_27scan_by_key_config_selectorIxxEEZZNS1_16scan_by_key_implILNS1_25lookback_scan_determinismE0ELb0ES3_N6thrust23THRUST_200600_302600_NS6detail15normal_iteratorINS9_10device_ptrIxEEEENS9_18transform_iteratorINS9_6negateIxEESE_NS9_11use_defaultESI_EESE_xNS9_4plusIvEENS9_8equal_toIvEExEE10hipError_tPvRmT2_T3_T4_T5_mT6_T7_P12ihipStream_tbENKUlT_T0_E_clISt17integral_constantIbLb0EES13_IbLb1EEEEDaSZ_S10_EUlSZ_E_NS1_11comp_targetILNS1_3genE4ELNS1_11target_archE910ELNS1_3gpuE8ELNS1_3repE0EEENS1_30default_config_static_selectorELNS0_4arch9wavefront6targetE0EEEvT1_,comdat
	.protected	_ZN7rocprim17ROCPRIM_400000_NS6detail17trampoline_kernelINS0_14default_configENS1_27scan_by_key_config_selectorIxxEEZZNS1_16scan_by_key_implILNS1_25lookback_scan_determinismE0ELb0ES3_N6thrust23THRUST_200600_302600_NS6detail15normal_iteratorINS9_10device_ptrIxEEEENS9_18transform_iteratorINS9_6negateIxEESE_NS9_11use_defaultESI_EESE_xNS9_4plusIvEENS9_8equal_toIvEExEE10hipError_tPvRmT2_T3_T4_T5_mT6_T7_P12ihipStream_tbENKUlT_T0_E_clISt17integral_constantIbLb0EES13_IbLb1EEEEDaSZ_S10_EUlSZ_E_NS1_11comp_targetILNS1_3genE4ELNS1_11target_archE910ELNS1_3gpuE8ELNS1_3repE0EEENS1_30default_config_static_selectorELNS0_4arch9wavefront6targetE0EEEvT1_ ; -- Begin function _ZN7rocprim17ROCPRIM_400000_NS6detail17trampoline_kernelINS0_14default_configENS1_27scan_by_key_config_selectorIxxEEZZNS1_16scan_by_key_implILNS1_25lookback_scan_determinismE0ELb0ES3_N6thrust23THRUST_200600_302600_NS6detail15normal_iteratorINS9_10device_ptrIxEEEENS9_18transform_iteratorINS9_6negateIxEESE_NS9_11use_defaultESI_EESE_xNS9_4plusIvEENS9_8equal_toIvEExEE10hipError_tPvRmT2_T3_T4_T5_mT6_T7_P12ihipStream_tbENKUlT_T0_E_clISt17integral_constantIbLb0EES13_IbLb1EEEEDaSZ_S10_EUlSZ_E_NS1_11comp_targetILNS1_3genE4ELNS1_11target_archE910ELNS1_3gpuE8ELNS1_3repE0EEENS1_30default_config_static_selectorELNS0_4arch9wavefront6targetE0EEEvT1_
	.globl	_ZN7rocprim17ROCPRIM_400000_NS6detail17trampoline_kernelINS0_14default_configENS1_27scan_by_key_config_selectorIxxEEZZNS1_16scan_by_key_implILNS1_25lookback_scan_determinismE0ELb0ES3_N6thrust23THRUST_200600_302600_NS6detail15normal_iteratorINS9_10device_ptrIxEEEENS9_18transform_iteratorINS9_6negateIxEESE_NS9_11use_defaultESI_EESE_xNS9_4plusIvEENS9_8equal_toIvEExEE10hipError_tPvRmT2_T3_T4_T5_mT6_T7_P12ihipStream_tbENKUlT_T0_E_clISt17integral_constantIbLb0EES13_IbLb1EEEEDaSZ_S10_EUlSZ_E_NS1_11comp_targetILNS1_3genE4ELNS1_11target_archE910ELNS1_3gpuE8ELNS1_3repE0EEENS1_30default_config_static_selectorELNS0_4arch9wavefront6targetE0EEEvT1_
	.p2align	8
	.type	_ZN7rocprim17ROCPRIM_400000_NS6detail17trampoline_kernelINS0_14default_configENS1_27scan_by_key_config_selectorIxxEEZZNS1_16scan_by_key_implILNS1_25lookback_scan_determinismE0ELb0ES3_N6thrust23THRUST_200600_302600_NS6detail15normal_iteratorINS9_10device_ptrIxEEEENS9_18transform_iteratorINS9_6negateIxEESE_NS9_11use_defaultESI_EESE_xNS9_4plusIvEENS9_8equal_toIvEExEE10hipError_tPvRmT2_T3_T4_T5_mT6_T7_P12ihipStream_tbENKUlT_T0_E_clISt17integral_constantIbLb0EES13_IbLb1EEEEDaSZ_S10_EUlSZ_E_NS1_11comp_targetILNS1_3genE4ELNS1_11target_archE910ELNS1_3gpuE8ELNS1_3repE0EEENS1_30default_config_static_selectorELNS0_4arch9wavefront6targetE0EEEvT1_,@function
_ZN7rocprim17ROCPRIM_400000_NS6detail17trampoline_kernelINS0_14default_configENS1_27scan_by_key_config_selectorIxxEEZZNS1_16scan_by_key_implILNS1_25lookback_scan_determinismE0ELb0ES3_N6thrust23THRUST_200600_302600_NS6detail15normal_iteratorINS9_10device_ptrIxEEEENS9_18transform_iteratorINS9_6negateIxEESE_NS9_11use_defaultESI_EESE_xNS9_4plusIvEENS9_8equal_toIvEExEE10hipError_tPvRmT2_T3_T4_T5_mT6_T7_P12ihipStream_tbENKUlT_T0_E_clISt17integral_constantIbLb0EES13_IbLb1EEEEDaSZ_S10_EUlSZ_E_NS1_11comp_targetILNS1_3genE4ELNS1_11target_archE910ELNS1_3gpuE8ELNS1_3repE0EEENS1_30default_config_static_selectorELNS0_4arch9wavefront6targetE0EEEvT1_: ; @_ZN7rocprim17ROCPRIM_400000_NS6detail17trampoline_kernelINS0_14default_configENS1_27scan_by_key_config_selectorIxxEEZZNS1_16scan_by_key_implILNS1_25lookback_scan_determinismE0ELb0ES3_N6thrust23THRUST_200600_302600_NS6detail15normal_iteratorINS9_10device_ptrIxEEEENS9_18transform_iteratorINS9_6negateIxEESE_NS9_11use_defaultESI_EESE_xNS9_4plusIvEENS9_8equal_toIvEExEE10hipError_tPvRmT2_T3_T4_T5_mT6_T7_P12ihipStream_tbENKUlT_T0_E_clISt17integral_constantIbLb0EES13_IbLb1EEEEDaSZ_S10_EUlSZ_E_NS1_11comp_targetILNS1_3genE4ELNS1_11target_archE910ELNS1_3gpuE8ELNS1_3repE0EEENS1_30default_config_static_selectorELNS0_4arch9wavefront6targetE0EEEvT1_
; %bb.0:
	.section	.rodata,"a",@progbits
	.p2align	6, 0x0
	.amdhsa_kernel _ZN7rocprim17ROCPRIM_400000_NS6detail17trampoline_kernelINS0_14default_configENS1_27scan_by_key_config_selectorIxxEEZZNS1_16scan_by_key_implILNS1_25lookback_scan_determinismE0ELb0ES3_N6thrust23THRUST_200600_302600_NS6detail15normal_iteratorINS9_10device_ptrIxEEEENS9_18transform_iteratorINS9_6negateIxEESE_NS9_11use_defaultESI_EESE_xNS9_4plusIvEENS9_8equal_toIvEExEE10hipError_tPvRmT2_T3_T4_T5_mT6_T7_P12ihipStream_tbENKUlT_T0_E_clISt17integral_constantIbLb0EES13_IbLb1EEEEDaSZ_S10_EUlSZ_E_NS1_11comp_targetILNS1_3genE4ELNS1_11target_archE910ELNS1_3gpuE8ELNS1_3repE0EEENS1_30default_config_static_selectorELNS0_4arch9wavefront6targetE0EEEvT1_
		.amdhsa_group_segment_fixed_size 0
		.amdhsa_private_segment_fixed_size 0
		.amdhsa_kernarg_size 144
		.amdhsa_user_sgpr_count 6
		.amdhsa_user_sgpr_private_segment_buffer 1
		.amdhsa_user_sgpr_dispatch_ptr 0
		.amdhsa_user_sgpr_queue_ptr 0
		.amdhsa_user_sgpr_kernarg_segment_ptr 1
		.amdhsa_user_sgpr_dispatch_id 0
		.amdhsa_user_sgpr_flat_scratch_init 0
		.amdhsa_user_sgpr_private_segment_size 0
		.amdhsa_wavefront_size32 1
		.amdhsa_uses_dynamic_stack 0
		.amdhsa_system_sgpr_private_segment_wavefront_offset 0
		.amdhsa_system_sgpr_workgroup_id_x 1
		.amdhsa_system_sgpr_workgroup_id_y 0
		.amdhsa_system_sgpr_workgroup_id_z 0
		.amdhsa_system_sgpr_workgroup_info 0
		.amdhsa_system_vgpr_workitem_id 0
		.amdhsa_next_free_vgpr 1
		.amdhsa_next_free_sgpr 1
		.amdhsa_reserve_vcc 0
		.amdhsa_reserve_flat_scratch 0
		.amdhsa_float_round_mode_32 0
		.amdhsa_float_round_mode_16_64 0
		.amdhsa_float_denorm_mode_32 3
		.amdhsa_float_denorm_mode_16_64 3
		.amdhsa_dx10_clamp 1
		.amdhsa_ieee_mode 1
		.amdhsa_fp16_overflow 0
		.amdhsa_workgroup_processor_mode 1
		.amdhsa_memory_ordered 1
		.amdhsa_forward_progress 1
		.amdhsa_shared_vgpr_count 0
		.amdhsa_exception_fp_ieee_invalid_op 0
		.amdhsa_exception_fp_denorm_src 0
		.amdhsa_exception_fp_ieee_div_zero 0
		.amdhsa_exception_fp_ieee_overflow 0
		.amdhsa_exception_fp_ieee_underflow 0
		.amdhsa_exception_fp_ieee_inexact 0
		.amdhsa_exception_int_div_zero 0
	.end_amdhsa_kernel
	.section	.text._ZN7rocprim17ROCPRIM_400000_NS6detail17trampoline_kernelINS0_14default_configENS1_27scan_by_key_config_selectorIxxEEZZNS1_16scan_by_key_implILNS1_25lookback_scan_determinismE0ELb0ES3_N6thrust23THRUST_200600_302600_NS6detail15normal_iteratorINS9_10device_ptrIxEEEENS9_18transform_iteratorINS9_6negateIxEESE_NS9_11use_defaultESI_EESE_xNS9_4plusIvEENS9_8equal_toIvEExEE10hipError_tPvRmT2_T3_T4_T5_mT6_T7_P12ihipStream_tbENKUlT_T0_E_clISt17integral_constantIbLb0EES13_IbLb1EEEEDaSZ_S10_EUlSZ_E_NS1_11comp_targetILNS1_3genE4ELNS1_11target_archE910ELNS1_3gpuE8ELNS1_3repE0EEENS1_30default_config_static_selectorELNS0_4arch9wavefront6targetE0EEEvT1_,"axG",@progbits,_ZN7rocprim17ROCPRIM_400000_NS6detail17trampoline_kernelINS0_14default_configENS1_27scan_by_key_config_selectorIxxEEZZNS1_16scan_by_key_implILNS1_25lookback_scan_determinismE0ELb0ES3_N6thrust23THRUST_200600_302600_NS6detail15normal_iteratorINS9_10device_ptrIxEEEENS9_18transform_iteratorINS9_6negateIxEESE_NS9_11use_defaultESI_EESE_xNS9_4plusIvEENS9_8equal_toIvEExEE10hipError_tPvRmT2_T3_T4_T5_mT6_T7_P12ihipStream_tbENKUlT_T0_E_clISt17integral_constantIbLb0EES13_IbLb1EEEEDaSZ_S10_EUlSZ_E_NS1_11comp_targetILNS1_3genE4ELNS1_11target_archE910ELNS1_3gpuE8ELNS1_3repE0EEENS1_30default_config_static_selectorELNS0_4arch9wavefront6targetE0EEEvT1_,comdat
.Lfunc_end923:
	.size	_ZN7rocprim17ROCPRIM_400000_NS6detail17trampoline_kernelINS0_14default_configENS1_27scan_by_key_config_selectorIxxEEZZNS1_16scan_by_key_implILNS1_25lookback_scan_determinismE0ELb0ES3_N6thrust23THRUST_200600_302600_NS6detail15normal_iteratorINS9_10device_ptrIxEEEENS9_18transform_iteratorINS9_6negateIxEESE_NS9_11use_defaultESI_EESE_xNS9_4plusIvEENS9_8equal_toIvEExEE10hipError_tPvRmT2_T3_T4_T5_mT6_T7_P12ihipStream_tbENKUlT_T0_E_clISt17integral_constantIbLb0EES13_IbLb1EEEEDaSZ_S10_EUlSZ_E_NS1_11comp_targetILNS1_3genE4ELNS1_11target_archE910ELNS1_3gpuE8ELNS1_3repE0EEENS1_30default_config_static_selectorELNS0_4arch9wavefront6targetE0EEEvT1_, .Lfunc_end923-_ZN7rocprim17ROCPRIM_400000_NS6detail17trampoline_kernelINS0_14default_configENS1_27scan_by_key_config_selectorIxxEEZZNS1_16scan_by_key_implILNS1_25lookback_scan_determinismE0ELb0ES3_N6thrust23THRUST_200600_302600_NS6detail15normal_iteratorINS9_10device_ptrIxEEEENS9_18transform_iteratorINS9_6negateIxEESE_NS9_11use_defaultESI_EESE_xNS9_4plusIvEENS9_8equal_toIvEExEE10hipError_tPvRmT2_T3_T4_T5_mT6_T7_P12ihipStream_tbENKUlT_T0_E_clISt17integral_constantIbLb0EES13_IbLb1EEEEDaSZ_S10_EUlSZ_E_NS1_11comp_targetILNS1_3genE4ELNS1_11target_archE910ELNS1_3gpuE8ELNS1_3repE0EEENS1_30default_config_static_selectorELNS0_4arch9wavefront6targetE0EEEvT1_
                                        ; -- End function
	.set _ZN7rocprim17ROCPRIM_400000_NS6detail17trampoline_kernelINS0_14default_configENS1_27scan_by_key_config_selectorIxxEEZZNS1_16scan_by_key_implILNS1_25lookback_scan_determinismE0ELb0ES3_N6thrust23THRUST_200600_302600_NS6detail15normal_iteratorINS9_10device_ptrIxEEEENS9_18transform_iteratorINS9_6negateIxEESE_NS9_11use_defaultESI_EESE_xNS9_4plusIvEENS9_8equal_toIvEExEE10hipError_tPvRmT2_T3_T4_T5_mT6_T7_P12ihipStream_tbENKUlT_T0_E_clISt17integral_constantIbLb0EES13_IbLb1EEEEDaSZ_S10_EUlSZ_E_NS1_11comp_targetILNS1_3genE4ELNS1_11target_archE910ELNS1_3gpuE8ELNS1_3repE0EEENS1_30default_config_static_selectorELNS0_4arch9wavefront6targetE0EEEvT1_.num_vgpr, 0
	.set _ZN7rocprim17ROCPRIM_400000_NS6detail17trampoline_kernelINS0_14default_configENS1_27scan_by_key_config_selectorIxxEEZZNS1_16scan_by_key_implILNS1_25lookback_scan_determinismE0ELb0ES3_N6thrust23THRUST_200600_302600_NS6detail15normal_iteratorINS9_10device_ptrIxEEEENS9_18transform_iteratorINS9_6negateIxEESE_NS9_11use_defaultESI_EESE_xNS9_4plusIvEENS9_8equal_toIvEExEE10hipError_tPvRmT2_T3_T4_T5_mT6_T7_P12ihipStream_tbENKUlT_T0_E_clISt17integral_constantIbLb0EES13_IbLb1EEEEDaSZ_S10_EUlSZ_E_NS1_11comp_targetILNS1_3genE4ELNS1_11target_archE910ELNS1_3gpuE8ELNS1_3repE0EEENS1_30default_config_static_selectorELNS0_4arch9wavefront6targetE0EEEvT1_.num_agpr, 0
	.set _ZN7rocprim17ROCPRIM_400000_NS6detail17trampoline_kernelINS0_14default_configENS1_27scan_by_key_config_selectorIxxEEZZNS1_16scan_by_key_implILNS1_25lookback_scan_determinismE0ELb0ES3_N6thrust23THRUST_200600_302600_NS6detail15normal_iteratorINS9_10device_ptrIxEEEENS9_18transform_iteratorINS9_6negateIxEESE_NS9_11use_defaultESI_EESE_xNS9_4plusIvEENS9_8equal_toIvEExEE10hipError_tPvRmT2_T3_T4_T5_mT6_T7_P12ihipStream_tbENKUlT_T0_E_clISt17integral_constantIbLb0EES13_IbLb1EEEEDaSZ_S10_EUlSZ_E_NS1_11comp_targetILNS1_3genE4ELNS1_11target_archE910ELNS1_3gpuE8ELNS1_3repE0EEENS1_30default_config_static_selectorELNS0_4arch9wavefront6targetE0EEEvT1_.numbered_sgpr, 0
	.set _ZN7rocprim17ROCPRIM_400000_NS6detail17trampoline_kernelINS0_14default_configENS1_27scan_by_key_config_selectorIxxEEZZNS1_16scan_by_key_implILNS1_25lookback_scan_determinismE0ELb0ES3_N6thrust23THRUST_200600_302600_NS6detail15normal_iteratorINS9_10device_ptrIxEEEENS9_18transform_iteratorINS9_6negateIxEESE_NS9_11use_defaultESI_EESE_xNS9_4plusIvEENS9_8equal_toIvEExEE10hipError_tPvRmT2_T3_T4_T5_mT6_T7_P12ihipStream_tbENKUlT_T0_E_clISt17integral_constantIbLb0EES13_IbLb1EEEEDaSZ_S10_EUlSZ_E_NS1_11comp_targetILNS1_3genE4ELNS1_11target_archE910ELNS1_3gpuE8ELNS1_3repE0EEENS1_30default_config_static_selectorELNS0_4arch9wavefront6targetE0EEEvT1_.num_named_barrier, 0
	.set _ZN7rocprim17ROCPRIM_400000_NS6detail17trampoline_kernelINS0_14default_configENS1_27scan_by_key_config_selectorIxxEEZZNS1_16scan_by_key_implILNS1_25lookback_scan_determinismE0ELb0ES3_N6thrust23THRUST_200600_302600_NS6detail15normal_iteratorINS9_10device_ptrIxEEEENS9_18transform_iteratorINS9_6negateIxEESE_NS9_11use_defaultESI_EESE_xNS9_4plusIvEENS9_8equal_toIvEExEE10hipError_tPvRmT2_T3_T4_T5_mT6_T7_P12ihipStream_tbENKUlT_T0_E_clISt17integral_constantIbLb0EES13_IbLb1EEEEDaSZ_S10_EUlSZ_E_NS1_11comp_targetILNS1_3genE4ELNS1_11target_archE910ELNS1_3gpuE8ELNS1_3repE0EEENS1_30default_config_static_selectorELNS0_4arch9wavefront6targetE0EEEvT1_.private_seg_size, 0
	.set _ZN7rocprim17ROCPRIM_400000_NS6detail17trampoline_kernelINS0_14default_configENS1_27scan_by_key_config_selectorIxxEEZZNS1_16scan_by_key_implILNS1_25lookback_scan_determinismE0ELb0ES3_N6thrust23THRUST_200600_302600_NS6detail15normal_iteratorINS9_10device_ptrIxEEEENS9_18transform_iteratorINS9_6negateIxEESE_NS9_11use_defaultESI_EESE_xNS9_4plusIvEENS9_8equal_toIvEExEE10hipError_tPvRmT2_T3_T4_T5_mT6_T7_P12ihipStream_tbENKUlT_T0_E_clISt17integral_constantIbLb0EES13_IbLb1EEEEDaSZ_S10_EUlSZ_E_NS1_11comp_targetILNS1_3genE4ELNS1_11target_archE910ELNS1_3gpuE8ELNS1_3repE0EEENS1_30default_config_static_selectorELNS0_4arch9wavefront6targetE0EEEvT1_.uses_vcc, 0
	.set _ZN7rocprim17ROCPRIM_400000_NS6detail17trampoline_kernelINS0_14default_configENS1_27scan_by_key_config_selectorIxxEEZZNS1_16scan_by_key_implILNS1_25lookback_scan_determinismE0ELb0ES3_N6thrust23THRUST_200600_302600_NS6detail15normal_iteratorINS9_10device_ptrIxEEEENS9_18transform_iteratorINS9_6negateIxEESE_NS9_11use_defaultESI_EESE_xNS9_4plusIvEENS9_8equal_toIvEExEE10hipError_tPvRmT2_T3_T4_T5_mT6_T7_P12ihipStream_tbENKUlT_T0_E_clISt17integral_constantIbLb0EES13_IbLb1EEEEDaSZ_S10_EUlSZ_E_NS1_11comp_targetILNS1_3genE4ELNS1_11target_archE910ELNS1_3gpuE8ELNS1_3repE0EEENS1_30default_config_static_selectorELNS0_4arch9wavefront6targetE0EEEvT1_.uses_flat_scratch, 0
	.set _ZN7rocprim17ROCPRIM_400000_NS6detail17trampoline_kernelINS0_14default_configENS1_27scan_by_key_config_selectorIxxEEZZNS1_16scan_by_key_implILNS1_25lookback_scan_determinismE0ELb0ES3_N6thrust23THRUST_200600_302600_NS6detail15normal_iteratorINS9_10device_ptrIxEEEENS9_18transform_iteratorINS9_6negateIxEESE_NS9_11use_defaultESI_EESE_xNS9_4plusIvEENS9_8equal_toIvEExEE10hipError_tPvRmT2_T3_T4_T5_mT6_T7_P12ihipStream_tbENKUlT_T0_E_clISt17integral_constantIbLb0EES13_IbLb1EEEEDaSZ_S10_EUlSZ_E_NS1_11comp_targetILNS1_3genE4ELNS1_11target_archE910ELNS1_3gpuE8ELNS1_3repE0EEENS1_30default_config_static_selectorELNS0_4arch9wavefront6targetE0EEEvT1_.has_dyn_sized_stack, 0
	.set _ZN7rocprim17ROCPRIM_400000_NS6detail17trampoline_kernelINS0_14default_configENS1_27scan_by_key_config_selectorIxxEEZZNS1_16scan_by_key_implILNS1_25lookback_scan_determinismE0ELb0ES3_N6thrust23THRUST_200600_302600_NS6detail15normal_iteratorINS9_10device_ptrIxEEEENS9_18transform_iteratorINS9_6negateIxEESE_NS9_11use_defaultESI_EESE_xNS9_4plusIvEENS9_8equal_toIvEExEE10hipError_tPvRmT2_T3_T4_T5_mT6_T7_P12ihipStream_tbENKUlT_T0_E_clISt17integral_constantIbLb0EES13_IbLb1EEEEDaSZ_S10_EUlSZ_E_NS1_11comp_targetILNS1_3genE4ELNS1_11target_archE910ELNS1_3gpuE8ELNS1_3repE0EEENS1_30default_config_static_selectorELNS0_4arch9wavefront6targetE0EEEvT1_.has_recursion, 0
	.set _ZN7rocprim17ROCPRIM_400000_NS6detail17trampoline_kernelINS0_14default_configENS1_27scan_by_key_config_selectorIxxEEZZNS1_16scan_by_key_implILNS1_25lookback_scan_determinismE0ELb0ES3_N6thrust23THRUST_200600_302600_NS6detail15normal_iteratorINS9_10device_ptrIxEEEENS9_18transform_iteratorINS9_6negateIxEESE_NS9_11use_defaultESI_EESE_xNS9_4plusIvEENS9_8equal_toIvEExEE10hipError_tPvRmT2_T3_T4_T5_mT6_T7_P12ihipStream_tbENKUlT_T0_E_clISt17integral_constantIbLb0EES13_IbLb1EEEEDaSZ_S10_EUlSZ_E_NS1_11comp_targetILNS1_3genE4ELNS1_11target_archE910ELNS1_3gpuE8ELNS1_3repE0EEENS1_30default_config_static_selectorELNS0_4arch9wavefront6targetE0EEEvT1_.has_indirect_call, 0
	.section	.AMDGPU.csdata,"",@progbits
; Kernel info:
; codeLenInByte = 0
; TotalNumSgprs: 0
; NumVgprs: 0
; ScratchSize: 0
; MemoryBound: 0
; FloatMode: 240
; IeeeMode: 1
; LDSByteSize: 0 bytes/workgroup (compile time only)
; SGPRBlocks: 0
; VGPRBlocks: 0
; NumSGPRsForWavesPerEU: 1
; NumVGPRsForWavesPerEU: 1
; Occupancy: 16
; WaveLimiterHint : 0
; COMPUTE_PGM_RSRC2:SCRATCH_EN: 0
; COMPUTE_PGM_RSRC2:USER_SGPR: 6
; COMPUTE_PGM_RSRC2:TRAP_HANDLER: 0
; COMPUTE_PGM_RSRC2:TGID_X_EN: 1
; COMPUTE_PGM_RSRC2:TGID_Y_EN: 0
; COMPUTE_PGM_RSRC2:TGID_Z_EN: 0
; COMPUTE_PGM_RSRC2:TIDIG_COMP_CNT: 0
	.section	.text._ZN7rocprim17ROCPRIM_400000_NS6detail17trampoline_kernelINS0_14default_configENS1_27scan_by_key_config_selectorIxxEEZZNS1_16scan_by_key_implILNS1_25lookback_scan_determinismE0ELb0ES3_N6thrust23THRUST_200600_302600_NS6detail15normal_iteratorINS9_10device_ptrIxEEEENS9_18transform_iteratorINS9_6negateIxEESE_NS9_11use_defaultESI_EESE_xNS9_4plusIvEENS9_8equal_toIvEExEE10hipError_tPvRmT2_T3_T4_T5_mT6_T7_P12ihipStream_tbENKUlT_T0_E_clISt17integral_constantIbLb0EES13_IbLb1EEEEDaSZ_S10_EUlSZ_E_NS1_11comp_targetILNS1_3genE3ELNS1_11target_archE908ELNS1_3gpuE7ELNS1_3repE0EEENS1_30default_config_static_selectorELNS0_4arch9wavefront6targetE0EEEvT1_,"axG",@progbits,_ZN7rocprim17ROCPRIM_400000_NS6detail17trampoline_kernelINS0_14default_configENS1_27scan_by_key_config_selectorIxxEEZZNS1_16scan_by_key_implILNS1_25lookback_scan_determinismE0ELb0ES3_N6thrust23THRUST_200600_302600_NS6detail15normal_iteratorINS9_10device_ptrIxEEEENS9_18transform_iteratorINS9_6negateIxEESE_NS9_11use_defaultESI_EESE_xNS9_4plusIvEENS9_8equal_toIvEExEE10hipError_tPvRmT2_T3_T4_T5_mT6_T7_P12ihipStream_tbENKUlT_T0_E_clISt17integral_constantIbLb0EES13_IbLb1EEEEDaSZ_S10_EUlSZ_E_NS1_11comp_targetILNS1_3genE3ELNS1_11target_archE908ELNS1_3gpuE7ELNS1_3repE0EEENS1_30default_config_static_selectorELNS0_4arch9wavefront6targetE0EEEvT1_,comdat
	.protected	_ZN7rocprim17ROCPRIM_400000_NS6detail17trampoline_kernelINS0_14default_configENS1_27scan_by_key_config_selectorIxxEEZZNS1_16scan_by_key_implILNS1_25lookback_scan_determinismE0ELb0ES3_N6thrust23THRUST_200600_302600_NS6detail15normal_iteratorINS9_10device_ptrIxEEEENS9_18transform_iteratorINS9_6negateIxEESE_NS9_11use_defaultESI_EESE_xNS9_4plusIvEENS9_8equal_toIvEExEE10hipError_tPvRmT2_T3_T4_T5_mT6_T7_P12ihipStream_tbENKUlT_T0_E_clISt17integral_constantIbLb0EES13_IbLb1EEEEDaSZ_S10_EUlSZ_E_NS1_11comp_targetILNS1_3genE3ELNS1_11target_archE908ELNS1_3gpuE7ELNS1_3repE0EEENS1_30default_config_static_selectorELNS0_4arch9wavefront6targetE0EEEvT1_ ; -- Begin function _ZN7rocprim17ROCPRIM_400000_NS6detail17trampoline_kernelINS0_14default_configENS1_27scan_by_key_config_selectorIxxEEZZNS1_16scan_by_key_implILNS1_25lookback_scan_determinismE0ELb0ES3_N6thrust23THRUST_200600_302600_NS6detail15normal_iteratorINS9_10device_ptrIxEEEENS9_18transform_iteratorINS9_6negateIxEESE_NS9_11use_defaultESI_EESE_xNS9_4plusIvEENS9_8equal_toIvEExEE10hipError_tPvRmT2_T3_T4_T5_mT6_T7_P12ihipStream_tbENKUlT_T0_E_clISt17integral_constantIbLb0EES13_IbLb1EEEEDaSZ_S10_EUlSZ_E_NS1_11comp_targetILNS1_3genE3ELNS1_11target_archE908ELNS1_3gpuE7ELNS1_3repE0EEENS1_30default_config_static_selectorELNS0_4arch9wavefront6targetE0EEEvT1_
	.globl	_ZN7rocprim17ROCPRIM_400000_NS6detail17trampoline_kernelINS0_14default_configENS1_27scan_by_key_config_selectorIxxEEZZNS1_16scan_by_key_implILNS1_25lookback_scan_determinismE0ELb0ES3_N6thrust23THRUST_200600_302600_NS6detail15normal_iteratorINS9_10device_ptrIxEEEENS9_18transform_iteratorINS9_6negateIxEESE_NS9_11use_defaultESI_EESE_xNS9_4plusIvEENS9_8equal_toIvEExEE10hipError_tPvRmT2_T3_T4_T5_mT6_T7_P12ihipStream_tbENKUlT_T0_E_clISt17integral_constantIbLb0EES13_IbLb1EEEEDaSZ_S10_EUlSZ_E_NS1_11comp_targetILNS1_3genE3ELNS1_11target_archE908ELNS1_3gpuE7ELNS1_3repE0EEENS1_30default_config_static_selectorELNS0_4arch9wavefront6targetE0EEEvT1_
	.p2align	8
	.type	_ZN7rocprim17ROCPRIM_400000_NS6detail17trampoline_kernelINS0_14default_configENS1_27scan_by_key_config_selectorIxxEEZZNS1_16scan_by_key_implILNS1_25lookback_scan_determinismE0ELb0ES3_N6thrust23THRUST_200600_302600_NS6detail15normal_iteratorINS9_10device_ptrIxEEEENS9_18transform_iteratorINS9_6negateIxEESE_NS9_11use_defaultESI_EESE_xNS9_4plusIvEENS9_8equal_toIvEExEE10hipError_tPvRmT2_T3_T4_T5_mT6_T7_P12ihipStream_tbENKUlT_T0_E_clISt17integral_constantIbLb0EES13_IbLb1EEEEDaSZ_S10_EUlSZ_E_NS1_11comp_targetILNS1_3genE3ELNS1_11target_archE908ELNS1_3gpuE7ELNS1_3repE0EEENS1_30default_config_static_selectorELNS0_4arch9wavefront6targetE0EEEvT1_,@function
_ZN7rocprim17ROCPRIM_400000_NS6detail17trampoline_kernelINS0_14default_configENS1_27scan_by_key_config_selectorIxxEEZZNS1_16scan_by_key_implILNS1_25lookback_scan_determinismE0ELb0ES3_N6thrust23THRUST_200600_302600_NS6detail15normal_iteratorINS9_10device_ptrIxEEEENS9_18transform_iteratorINS9_6negateIxEESE_NS9_11use_defaultESI_EESE_xNS9_4plusIvEENS9_8equal_toIvEExEE10hipError_tPvRmT2_T3_T4_T5_mT6_T7_P12ihipStream_tbENKUlT_T0_E_clISt17integral_constantIbLb0EES13_IbLb1EEEEDaSZ_S10_EUlSZ_E_NS1_11comp_targetILNS1_3genE3ELNS1_11target_archE908ELNS1_3gpuE7ELNS1_3repE0EEENS1_30default_config_static_selectorELNS0_4arch9wavefront6targetE0EEEvT1_: ; @_ZN7rocprim17ROCPRIM_400000_NS6detail17trampoline_kernelINS0_14default_configENS1_27scan_by_key_config_selectorIxxEEZZNS1_16scan_by_key_implILNS1_25lookback_scan_determinismE0ELb0ES3_N6thrust23THRUST_200600_302600_NS6detail15normal_iteratorINS9_10device_ptrIxEEEENS9_18transform_iteratorINS9_6negateIxEESE_NS9_11use_defaultESI_EESE_xNS9_4plusIvEENS9_8equal_toIvEExEE10hipError_tPvRmT2_T3_T4_T5_mT6_T7_P12ihipStream_tbENKUlT_T0_E_clISt17integral_constantIbLb0EES13_IbLb1EEEEDaSZ_S10_EUlSZ_E_NS1_11comp_targetILNS1_3genE3ELNS1_11target_archE908ELNS1_3gpuE7ELNS1_3repE0EEENS1_30default_config_static_selectorELNS0_4arch9wavefront6targetE0EEEvT1_
; %bb.0:
	.section	.rodata,"a",@progbits
	.p2align	6, 0x0
	.amdhsa_kernel _ZN7rocprim17ROCPRIM_400000_NS6detail17trampoline_kernelINS0_14default_configENS1_27scan_by_key_config_selectorIxxEEZZNS1_16scan_by_key_implILNS1_25lookback_scan_determinismE0ELb0ES3_N6thrust23THRUST_200600_302600_NS6detail15normal_iteratorINS9_10device_ptrIxEEEENS9_18transform_iteratorINS9_6negateIxEESE_NS9_11use_defaultESI_EESE_xNS9_4plusIvEENS9_8equal_toIvEExEE10hipError_tPvRmT2_T3_T4_T5_mT6_T7_P12ihipStream_tbENKUlT_T0_E_clISt17integral_constantIbLb0EES13_IbLb1EEEEDaSZ_S10_EUlSZ_E_NS1_11comp_targetILNS1_3genE3ELNS1_11target_archE908ELNS1_3gpuE7ELNS1_3repE0EEENS1_30default_config_static_selectorELNS0_4arch9wavefront6targetE0EEEvT1_
		.amdhsa_group_segment_fixed_size 0
		.amdhsa_private_segment_fixed_size 0
		.amdhsa_kernarg_size 144
		.amdhsa_user_sgpr_count 6
		.amdhsa_user_sgpr_private_segment_buffer 1
		.amdhsa_user_sgpr_dispatch_ptr 0
		.amdhsa_user_sgpr_queue_ptr 0
		.amdhsa_user_sgpr_kernarg_segment_ptr 1
		.amdhsa_user_sgpr_dispatch_id 0
		.amdhsa_user_sgpr_flat_scratch_init 0
		.amdhsa_user_sgpr_private_segment_size 0
		.amdhsa_wavefront_size32 1
		.amdhsa_uses_dynamic_stack 0
		.amdhsa_system_sgpr_private_segment_wavefront_offset 0
		.amdhsa_system_sgpr_workgroup_id_x 1
		.amdhsa_system_sgpr_workgroup_id_y 0
		.amdhsa_system_sgpr_workgroup_id_z 0
		.amdhsa_system_sgpr_workgroup_info 0
		.amdhsa_system_vgpr_workitem_id 0
		.amdhsa_next_free_vgpr 1
		.amdhsa_next_free_sgpr 1
		.amdhsa_reserve_vcc 0
		.amdhsa_reserve_flat_scratch 0
		.amdhsa_float_round_mode_32 0
		.amdhsa_float_round_mode_16_64 0
		.amdhsa_float_denorm_mode_32 3
		.amdhsa_float_denorm_mode_16_64 3
		.amdhsa_dx10_clamp 1
		.amdhsa_ieee_mode 1
		.amdhsa_fp16_overflow 0
		.amdhsa_workgroup_processor_mode 1
		.amdhsa_memory_ordered 1
		.amdhsa_forward_progress 1
		.amdhsa_shared_vgpr_count 0
		.amdhsa_exception_fp_ieee_invalid_op 0
		.amdhsa_exception_fp_denorm_src 0
		.amdhsa_exception_fp_ieee_div_zero 0
		.amdhsa_exception_fp_ieee_overflow 0
		.amdhsa_exception_fp_ieee_underflow 0
		.amdhsa_exception_fp_ieee_inexact 0
		.amdhsa_exception_int_div_zero 0
	.end_amdhsa_kernel
	.section	.text._ZN7rocprim17ROCPRIM_400000_NS6detail17trampoline_kernelINS0_14default_configENS1_27scan_by_key_config_selectorIxxEEZZNS1_16scan_by_key_implILNS1_25lookback_scan_determinismE0ELb0ES3_N6thrust23THRUST_200600_302600_NS6detail15normal_iteratorINS9_10device_ptrIxEEEENS9_18transform_iteratorINS9_6negateIxEESE_NS9_11use_defaultESI_EESE_xNS9_4plusIvEENS9_8equal_toIvEExEE10hipError_tPvRmT2_T3_T4_T5_mT6_T7_P12ihipStream_tbENKUlT_T0_E_clISt17integral_constantIbLb0EES13_IbLb1EEEEDaSZ_S10_EUlSZ_E_NS1_11comp_targetILNS1_3genE3ELNS1_11target_archE908ELNS1_3gpuE7ELNS1_3repE0EEENS1_30default_config_static_selectorELNS0_4arch9wavefront6targetE0EEEvT1_,"axG",@progbits,_ZN7rocprim17ROCPRIM_400000_NS6detail17trampoline_kernelINS0_14default_configENS1_27scan_by_key_config_selectorIxxEEZZNS1_16scan_by_key_implILNS1_25lookback_scan_determinismE0ELb0ES3_N6thrust23THRUST_200600_302600_NS6detail15normal_iteratorINS9_10device_ptrIxEEEENS9_18transform_iteratorINS9_6negateIxEESE_NS9_11use_defaultESI_EESE_xNS9_4plusIvEENS9_8equal_toIvEExEE10hipError_tPvRmT2_T3_T4_T5_mT6_T7_P12ihipStream_tbENKUlT_T0_E_clISt17integral_constantIbLb0EES13_IbLb1EEEEDaSZ_S10_EUlSZ_E_NS1_11comp_targetILNS1_3genE3ELNS1_11target_archE908ELNS1_3gpuE7ELNS1_3repE0EEENS1_30default_config_static_selectorELNS0_4arch9wavefront6targetE0EEEvT1_,comdat
.Lfunc_end924:
	.size	_ZN7rocprim17ROCPRIM_400000_NS6detail17trampoline_kernelINS0_14default_configENS1_27scan_by_key_config_selectorIxxEEZZNS1_16scan_by_key_implILNS1_25lookback_scan_determinismE0ELb0ES3_N6thrust23THRUST_200600_302600_NS6detail15normal_iteratorINS9_10device_ptrIxEEEENS9_18transform_iteratorINS9_6negateIxEESE_NS9_11use_defaultESI_EESE_xNS9_4plusIvEENS9_8equal_toIvEExEE10hipError_tPvRmT2_T3_T4_T5_mT6_T7_P12ihipStream_tbENKUlT_T0_E_clISt17integral_constantIbLb0EES13_IbLb1EEEEDaSZ_S10_EUlSZ_E_NS1_11comp_targetILNS1_3genE3ELNS1_11target_archE908ELNS1_3gpuE7ELNS1_3repE0EEENS1_30default_config_static_selectorELNS0_4arch9wavefront6targetE0EEEvT1_, .Lfunc_end924-_ZN7rocprim17ROCPRIM_400000_NS6detail17trampoline_kernelINS0_14default_configENS1_27scan_by_key_config_selectorIxxEEZZNS1_16scan_by_key_implILNS1_25lookback_scan_determinismE0ELb0ES3_N6thrust23THRUST_200600_302600_NS6detail15normal_iteratorINS9_10device_ptrIxEEEENS9_18transform_iteratorINS9_6negateIxEESE_NS9_11use_defaultESI_EESE_xNS9_4plusIvEENS9_8equal_toIvEExEE10hipError_tPvRmT2_T3_T4_T5_mT6_T7_P12ihipStream_tbENKUlT_T0_E_clISt17integral_constantIbLb0EES13_IbLb1EEEEDaSZ_S10_EUlSZ_E_NS1_11comp_targetILNS1_3genE3ELNS1_11target_archE908ELNS1_3gpuE7ELNS1_3repE0EEENS1_30default_config_static_selectorELNS0_4arch9wavefront6targetE0EEEvT1_
                                        ; -- End function
	.set _ZN7rocprim17ROCPRIM_400000_NS6detail17trampoline_kernelINS0_14default_configENS1_27scan_by_key_config_selectorIxxEEZZNS1_16scan_by_key_implILNS1_25lookback_scan_determinismE0ELb0ES3_N6thrust23THRUST_200600_302600_NS6detail15normal_iteratorINS9_10device_ptrIxEEEENS9_18transform_iteratorINS9_6negateIxEESE_NS9_11use_defaultESI_EESE_xNS9_4plusIvEENS9_8equal_toIvEExEE10hipError_tPvRmT2_T3_T4_T5_mT6_T7_P12ihipStream_tbENKUlT_T0_E_clISt17integral_constantIbLb0EES13_IbLb1EEEEDaSZ_S10_EUlSZ_E_NS1_11comp_targetILNS1_3genE3ELNS1_11target_archE908ELNS1_3gpuE7ELNS1_3repE0EEENS1_30default_config_static_selectorELNS0_4arch9wavefront6targetE0EEEvT1_.num_vgpr, 0
	.set _ZN7rocprim17ROCPRIM_400000_NS6detail17trampoline_kernelINS0_14default_configENS1_27scan_by_key_config_selectorIxxEEZZNS1_16scan_by_key_implILNS1_25lookback_scan_determinismE0ELb0ES3_N6thrust23THRUST_200600_302600_NS6detail15normal_iteratorINS9_10device_ptrIxEEEENS9_18transform_iteratorINS9_6negateIxEESE_NS9_11use_defaultESI_EESE_xNS9_4plusIvEENS9_8equal_toIvEExEE10hipError_tPvRmT2_T3_T4_T5_mT6_T7_P12ihipStream_tbENKUlT_T0_E_clISt17integral_constantIbLb0EES13_IbLb1EEEEDaSZ_S10_EUlSZ_E_NS1_11comp_targetILNS1_3genE3ELNS1_11target_archE908ELNS1_3gpuE7ELNS1_3repE0EEENS1_30default_config_static_selectorELNS0_4arch9wavefront6targetE0EEEvT1_.num_agpr, 0
	.set _ZN7rocprim17ROCPRIM_400000_NS6detail17trampoline_kernelINS0_14default_configENS1_27scan_by_key_config_selectorIxxEEZZNS1_16scan_by_key_implILNS1_25lookback_scan_determinismE0ELb0ES3_N6thrust23THRUST_200600_302600_NS6detail15normal_iteratorINS9_10device_ptrIxEEEENS9_18transform_iteratorINS9_6negateIxEESE_NS9_11use_defaultESI_EESE_xNS9_4plusIvEENS9_8equal_toIvEExEE10hipError_tPvRmT2_T3_T4_T5_mT6_T7_P12ihipStream_tbENKUlT_T0_E_clISt17integral_constantIbLb0EES13_IbLb1EEEEDaSZ_S10_EUlSZ_E_NS1_11comp_targetILNS1_3genE3ELNS1_11target_archE908ELNS1_3gpuE7ELNS1_3repE0EEENS1_30default_config_static_selectorELNS0_4arch9wavefront6targetE0EEEvT1_.numbered_sgpr, 0
	.set _ZN7rocprim17ROCPRIM_400000_NS6detail17trampoline_kernelINS0_14default_configENS1_27scan_by_key_config_selectorIxxEEZZNS1_16scan_by_key_implILNS1_25lookback_scan_determinismE0ELb0ES3_N6thrust23THRUST_200600_302600_NS6detail15normal_iteratorINS9_10device_ptrIxEEEENS9_18transform_iteratorINS9_6negateIxEESE_NS9_11use_defaultESI_EESE_xNS9_4plusIvEENS9_8equal_toIvEExEE10hipError_tPvRmT2_T3_T4_T5_mT6_T7_P12ihipStream_tbENKUlT_T0_E_clISt17integral_constantIbLb0EES13_IbLb1EEEEDaSZ_S10_EUlSZ_E_NS1_11comp_targetILNS1_3genE3ELNS1_11target_archE908ELNS1_3gpuE7ELNS1_3repE0EEENS1_30default_config_static_selectorELNS0_4arch9wavefront6targetE0EEEvT1_.num_named_barrier, 0
	.set _ZN7rocprim17ROCPRIM_400000_NS6detail17trampoline_kernelINS0_14default_configENS1_27scan_by_key_config_selectorIxxEEZZNS1_16scan_by_key_implILNS1_25lookback_scan_determinismE0ELb0ES3_N6thrust23THRUST_200600_302600_NS6detail15normal_iteratorINS9_10device_ptrIxEEEENS9_18transform_iteratorINS9_6negateIxEESE_NS9_11use_defaultESI_EESE_xNS9_4plusIvEENS9_8equal_toIvEExEE10hipError_tPvRmT2_T3_T4_T5_mT6_T7_P12ihipStream_tbENKUlT_T0_E_clISt17integral_constantIbLb0EES13_IbLb1EEEEDaSZ_S10_EUlSZ_E_NS1_11comp_targetILNS1_3genE3ELNS1_11target_archE908ELNS1_3gpuE7ELNS1_3repE0EEENS1_30default_config_static_selectorELNS0_4arch9wavefront6targetE0EEEvT1_.private_seg_size, 0
	.set _ZN7rocprim17ROCPRIM_400000_NS6detail17trampoline_kernelINS0_14default_configENS1_27scan_by_key_config_selectorIxxEEZZNS1_16scan_by_key_implILNS1_25lookback_scan_determinismE0ELb0ES3_N6thrust23THRUST_200600_302600_NS6detail15normal_iteratorINS9_10device_ptrIxEEEENS9_18transform_iteratorINS9_6negateIxEESE_NS9_11use_defaultESI_EESE_xNS9_4plusIvEENS9_8equal_toIvEExEE10hipError_tPvRmT2_T3_T4_T5_mT6_T7_P12ihipStream_tbENKUlT_T0_E_clISt17integral_constantIbLb0EES13_IbLb1EEEEDaSZ_S10_EUlSZ_E_NS1_11comp_targetILNS1_3genE3ELNS1_11target_archE908ELNS1_3gpuE7ELNS1_3repE0EEENS1_30default_config_static_selectorELNS0_4arch9wavefront6targetE0EEEvT1_.uses_vcc, 0
	.set _ZN7rocprim17ROCPRIM_400000_NS6detail17trampoline_kernelINS0_14default_configENS1_27scan_by_key_config_selectorIxxEEZZNS1_16scan_by_key_implILNS1_25lookback_scan_determinismE0ELb0ES3_N6thrust23THRUST_200600_302600_NS6detail15normal_iteratorINS9_10device_ptrIxEEEENS9_18transform_iteratorINS9_6negateIxEESE_NS9_11use_defaultESI_EESE_xNS9_4plusIvEENS9_8equal_toIvEExEE10hipError_tPvRmT2_T3_T4_T5_mT6_T7_P12ihipStream_tbENKUlT_T0_E_clISt17integral_constantIbLb0EES13_IbLb1EEEEDaSZ_S10_EUlSZ_E_NS1_11comp_targetILNS1_3genE3ELNS1_11target_archE908ELNS1_3gpuE7ELNS1_3repE0EEENS1_30default_config_static_selectorELNS0_4arch9wavefront6targetE0EEEvT1_.uses_flat_scratch, 0
	.set _ZN7rocprim17ROCPRIM_400000_NS6detail17trampoline_kernelINS0_14default_configENS1_27scan_by_key_config_selectorIxxEEZZNS1_16scan_by_key_implILNS1_25lookback_scan_determinismE0ELb0ES3_N6thrust23THRUST_200600_302600_NS6detail15normal_iteratorINS9_10device_ptrIxEEEENS9_18transform_iteratorINS9_6negateIxEESE_NS9_11use_defaultESI_EESE_xNS9_4plusIvEENS9_8equal_toIvEExEE10hipError_tPvRmT2_T3_T4_T5_mT6_T7_P12ihipStream_tbENKUlT_T0_E_clISt17integral_constantIbLb0EES13_IbLb1EEEEDaSZ_S10_EUlSZ_E_NS1_11comp_targetILNS1_3genE3ELNS1_11target_archE908ELNS1_3gpuE7ELNS1_3repE0EEENS1_30default_config_static_selectorELNS0_4arch9wavefront6targetE0EEEvT1_.has_dyn_sized_stack, 0
	.set _ZN7rocprim17ROCPRIM_400000_NS6detail17trampoline_kernelINS0_14default_configENS1_27scan_by_key_config_selectorIxxEEZZNS1_16scan_by_key_implILNS1_25lookback_scan_determinismE0ELb0ES3_N6thrust23THRUST_200600_302600_NS6detail15normal_iteratorINS9_10device_ptrIxEEEENS9_18transform_iteratorINS9_6negateIxEESE_NS9_11use_defaultESI_EESE_xNS9_4plusIvEENS9_8equal_toIvEExEE10hipError_tPvRmT2_T3_T4_T5_mT6_T7_P12ihipStream_tbENKUlT_T0_E_clISt17integral_constantIbLb0EES13_IbLb1EEEEDaSZ_S10_EUlSZ_E_NS1_11comp_targetILNS1_3genE3ELNS1_11target_archE908ELNS1_3gpuE7ELNS1_3repE0EEENS1_30default_config_static_selectorELNS0_4arch9wavefront6targetE0EEEvT1_.has_recursion, 0
	.set _ZN7rocprim17ROCPRIM_400000_NS6detail17trampoline_kernelINS0_14default_configENS1_27scan_by_key_config_selectorIxxEEZZNS1_16scan_by_key_implILNS1_25lookback_scan_determinismE0ELb0ES3_N6thrust23THRUST_200600_302600_NS6detail15normal_iteratorINS9_10device_ptrIxEEEENS9_18transform_iteratorINS9_6negateIxEESE_NS9_11use_defaultESI_EESE_xNS9_4plusIvEENS9_8equal_toIvEExEE10hipError_tPvRmT2_T3_T4_T5_mT6_T7_P12ihipStream_tbENKUlT_T0_E_clISt17integral_constantIbLb0EES13_IbLb1EEEEDaSZ_S10_EUlSZ_E_NS1_11comp_targetILNS1_3genE3ELNS1_11target_archE908ELNS1_3gpuE7ELNS1_3repE0EEENS1_30default_config_static_selectorELNS0_4arch9wavefront6targetE0EEEvT1_.has_indirect_call, 0
	.section	.AMDGPU.csdata,"",@progbits
; Kernel info:
; codeLenInByte = 0
; TotalNumSgprs: 0
; NumVgprs: 0
; ScratchSize: 0
; MemoryBound: 0
; FloatMode: 240
; IeeeMode: 1
; LDSByteSize: 0 bytes/workgroup (compile time only)
; SGPRBlocks: 0
; VGPRBlocks: 0
; NumSGPRsForWavesPerEU: 1
; NumVGPRsForWavesPerEU: 1
; Occupancy: 16
; WaveLimiterHint : 0
; COMPUTE_PGM_RSRC2:SCRATCH_EN: 0
; COMPUTE_PGM_RSRC2:USER_SGPR: 6
; COMPUTE_PGM_RSRC2:TRAP_HANDLER: 0
; COMPUTE_PGM_RSRC2:TGID_X_EN: 1
; COMPUTE_PGM_RSRC2:TGID_Y_EN: 0
; COMPUTE_PGM_RSRC2:TGID_Z_EN: 0
; COMPUTE_PGM_RSRC2:TIDIG_COMP_CNT: 0
	.section	.text._ZN7rocprim17ROCPRIM_400000_NS6detail17trampoline_kernelINS0_14default_configENS1_27scan_by_key_config_selectorIxxEEZZNS1_16scan_by_key_implILNS1_25lookback_scan_determinismE0ELb0ES3_N6thrust23THRUST_200600_302600_NS6detail15normal_iteratorINS9_10device_ptrIxEEEENS9_18transform_iteratorINS9_6negateIxEESE_NS9_11use_defaultESI_EESE_xNS9_4plusIvEENS9_8equal_toIvEExEE10hipError_tPvRmT2_T3_T4_T5_mT6_T7_P12ihipStream_tbENKUlT_T0_E_clISt17integral_constantIbLb0EES13_IbLb1EEEEDaSZ_S10_EUlSZ_E_NS1_11comp_targetILNS1_3genE2ELNS1_11target_archE906ELNS1_3gpuE6ELNS1_3repE0EEENS1_30default_config_static_selectorELNS0_4arch9wavefront6targetE0EEEvT1_,"axG",@progbits,_ZN7rocprim17ROCPRIM_400000_NS6detail17trampoline_kernelINS0_14default_configENS1_27scan_by_key_config_selectorIxxEEZZNS1_16scan_by_key_implILNS1_25lookback_scan_determinismE0ELb0ES3_N6thrust23THRUST_200600_302600_NS6detail15normal_iteratorINS9_10device_ptrIxEEEENS9_18transform_iteratorINS9_6negateIxEESE_NS9_11use_defaultESI_EESE_xNS9_4plusIvEENS9_8equal_toIvEExEE10hipError_tPvRmT2_T3_T4_T5_mT6_T7_P12ihipStream_tbENKUlT_T0_E_clISt17integral_constantIbLb0EES13_IbLb1EEEEDaSZ_S10_EUlSZ_E_NS1_11comp_targetILNS1_3genE2ELNS1_11target_archE906ELNS1_3gpuE6ELNS1_3repE0EEENS1_30default_config_static_selectorELNS0_4arch9wavefront6targetE0EEEvT1_,comdat
	.protected	_ZN7rocprim17ROCPRIM_400000_NS6detail17trampoline_kernelINS0_14default_configENS1_27scan_by_key_config_selectorIxxEEZZNS1_16scan_by_key_implILNS1_25lookback_scan_determinismE0ELb0ES3_N6thrust23THRUST_200600_302600_NS6detail15normal_iteratorINS9_10device_ptrIxEEEENS9_18transform_iteratorINS9_6negateIxEESE_NS9_11use_defaultESI_EESE_xNS9_4plusIvEENS9_8equal_toIvEExEE10hipError_tPvRmT2_T3_T4_T5_mT6_T7_P12ihipStream_tbENKUlT_T0_E_clISt17integral_constantIbLb0EES13_IbLb1EEEEDaSZ_S10_EUlSZ_E_NS1_11comp_targetILNS1_3genE2ELNS1_11target_archE906ELNS1_3gpuE6ELNS1_3repE0EEENS1_30default_config_static_selectorELNS0_4arch9wavefront6targetE0EEEvT1_ ; -- Begin function _ZN7rocprim17ROCPRIM_400000_NS6detail17trampoline_kernelINS0_14default_configENS1_27scan_by_key_config_selectorIxxEEZZNS1_16scan_by_key_implILNS1_25lookback_scan_determinismE0ELb0ES3_N6thrust23THRUST_200600_302600_NS6detail15normal_iteratorINS9_10device_ptrIxEEEENS9_18transform_iteratorINS9_6negateIxEESE_NS9_11use_defaultESI_EESE_xNS9_4plusIvEENS9_8equal_toIvEExEE10hipError_tPvRmT2_T3_T4_T5_mT6_T7_P12ihipStream_tbENKUlT_T0_E_clISt17integral_constantIbLb0EES13_IbLb1EEEEDaSZ_S10_EUlSZ_E_NS1_11comp_targetILNS1_3genE2ELNS1_11target_archE906ELNS1_3gpuE6ELNS1_3repE0EEENS1_30default_config_static_selectorELNS0_4arch9wavefront6targetE0EEEvT1_
	.globl	_ZN7rocprim17ROCPRIM_400000_NS6detail17trampoline_kernelINS0_14default_configENS1_27scan_by_key_config_selectorIxxEEZZNS1_16scan_by_key_implILNS1_25lookback_scan_determinismE0ELb0ES3_N6thrust23THRUST_200600_302600_NS6detail15normal_iteratorINS9_10device_ptrIxEEEENS9_18transform_iteratorINS9_6negateIxEESE_NS9_11use_defaultESI_EESE_xNS9_4plusIvEENS9_8equal_toIvEExEE10hipError_tPvRmT2_T3_T4_T5_mT6_T7_P12ihipStream_tbENKUlT_T0_E_clISt17integral_constantIbLb0EES13_IbLb1EEEEDaSZ_S10_EUlSZ_E_NS1_11comp_targetILNS1_3genE2ELNS1_11target_archE906ELNS1_3gpuE6ELNS1_3repE0EEENS1_30default_config_static_selectorELNS0_4arch9wavefront6targetE0EEEvT1_
	.p2align	8
	.type	_ZN7rocprim17ROCPRIM_400000_NS6detail17trampoline_kernelINS0_14default_configENS1_27scan_by_key_config_selectorIxxEEZZNS1_16scan_by_key_implILNS1_25lookback_scan_determinismE0ELb0ES3_N6thrust23THRUST_200600_302600_NS6detail15normal_iteratorINS9_10device_ptrIxEEEENS9_18transform_iteratorINS9_6negateIxEESE_NS9_11use_defaultESI_EESE_xNS9_4plusIvEENS9_8equal_toIvEExEE10hipError_tPvRmT2_T3_T4_T5_mT6_T7_P12ihipStream_tbENKUlT_T0_E_clISt17integral_constantIbLb0EES13_IbLb1EEEEDaSZ_S10_EUlSZ_E_NS1_11comp_targetILNS1_3genE2ELNS1_11target_archE906ELNS1_3gpuE6ELNS1_3repE0EEENS1_30default_config_static_selectorELNS0_4arch9wavefront6targetE0EEEvT1_,@function
_ZN7rocprim17ROCPRIM_400000_NS6detail17trampoline_kernelINS0_14default_configENS1_27scan_by_key_config_selectorIxxEEZZNS1_16scan_by_key_implILNS1_25lookback_scan_determinismE0ELb0ES3_N6thrust23THRUST_200600_302600_NS6detail15normal_iteratorINS9_10device_ptrIxEEEENS9_18transform_iteratorINS9_6negateIxEESE_NS9_11use_defaultESI_EESE_xNS9_4plusIvEENS9_8equal_toIvEExEE10hipError_tPvRmT2_T3_T4_T5_mT6_T7_P12ihipStream_tbENKUlT_T0_E_clISt17integral_constantIbLb0EES13_IbLb1EEEEDaSZ_S10_EUlSZ_E_NS1_11comp_targetILNS1_3genE2ELNS1_11target_archE906ELNS1_3gpuE6ELNS1_3repE0EEENS1_30default_config_static_selectorELNS0_4arch9wavefront6targetE0EEEvT1_: ; @_ZN7rocprim17ROCPRIM_400000_NS6detail17trampoline_kernelINS0_14default_configENS1_27scan_by_key_config_selectorIxxEEZZNS1_16scan_by_key_implILNS1_25lookback_scan_determinismE0ELb0ES3_N6thrust23THRUST_200600_302600_NS6detail15normal_iteratorINS9_10device_ptrIxEEEENS9_18transform_iteratorINS9_6negateIxEESE_NS9_11use_defaultESI_EESE_xNS9_4plusIvEENS9_8equal_toIvEExEE10hipError_tPvRmT2_T3_T4_T5_mT6_T7_P12ihipStream_tbENKUlT_T0_E_clISt17integral_constantIbLb0EES13_IbLb1EEEEDaSZ_S10_EUlSZ_E_NS1_11comp_targetILNS1_3genE2ELNS1_11target_archE906ELNS1_3gpuE6ELNS1_3repE0EEENS1_30default_config_static_selectorELNS0_4arch9wavefront6targetE0EEEvT1_
; %bb.0:
	.section	.rodata,"a",@progbits
	.p2align	6, 0x0
	.amdhsa_kernel _ZN7rocprim17ROCPRIM_400000_NS6detail17trampoline_kernelINS0_14default_configENS1_27scan_by_key_config_selectorIxxEEZZNS1_16scan_by_key_implILNS1_25lookback_scan_determinismE0ELb0ES3_N6thrust23THRUST_200600_302600_NS6detail15normal_iteratorINS9_10device_ptrIxEEEENS9_18transform_iteratorINS9_6negateIxEESE_NS9_11use_defaultESI_EESE_xNS9_4plusIvEENS9_8equal_toIvEExEE10hipError_tPvRmT2_T3_T4_T5_mT6_T7_P12ihipStream_tbENKUlT_T0_E_clISt17integral_constantIbLb0EES13_IbLb1EEEEDaSZ_S10_EUlSZ_E_NS1_11comp_targetILNS1_3genE2ELNS1_11target_archE906ELNS1_3gpuE6ELNS1_3repE0EEENS1_30default_config_static_selectorELNS0_4arch9wavefront6targetE0EEEvT1_
		.amdhsa_group_segment_fixed_size 0
		.amdhsa_private_segment_fixed_size 0
		.amdhsa_kernarg_size 144
		.amdhsa_user_sgpr_count 6
		.amdhsa_user_sgpr_private_segment_buffer 1
		.amdhsa_user_sgpr_dispatch_ptr 0
		.amdhsa_user_sgpr_queue_ptr 0
		.amdhsa_user_sgpr_kernarg_segment_ptr 1
		.amdhsa_user_sgpr_dispatch_id 0
		.amdhsa_user_sgpr_flat_scratch_init 0
		.amdhsa_user_sgpr_private_segment_size 0
		.amdhsa_wavefront_size32 1
		.amdhsa_uses_dynamic_stack 0
		.amdhsa_system_sgpr_private_segment_wavefront_offset 0
		.amdhsa_system_sgpr_workgroup_id_x 1
		.amdhsa_system_sgpr_workgroup_id_y 0
		.amdhsa_system_sgpr_workgroup_id_z 0
		.amdhsa_system_sgpr_workgroup_info 0
		.amdhsa_system_vgpr_workitem_id 0
		.amdhsa_next_free_vgpr 1
		.amdhsa_next_free_sgpr 1
		.amdhsa_reserve_vcc 0
		.amdhsa_reserve_flat_scratch 0
		.amdhsa_float_round_mode_32 0
		.amdhsa_float_round_mode_16_64 0
		.amdhsa_float_denorm_mode_32 3
		.amdhsa_float_denorm_mode_16_64 3
		.amdhsa_dx10_clamp 1
		.amdhsa_ieee_mode 1
		.amdhsa_fp16_overflow 0
		.amdhsa_workgroup_processor_mode 1
		.amdhsa_memory_ordered 1
		.amdhsa_forward_progress 1
		.amdhsa_shared_vgpr_count 0
		.amdhsa_exception_fp_ieee_invalid_op 0
		.amdhsa_exception_fp_denorm_src 0
		.amdhsa_exception_fp_ieee_div_zero 0
		.amdhsa_exception_fp_ieee_overflow 0
		.amdhsa_exception_fp_ieee_underflow 0
		.amdhsa_exception_fp_ieee_inexact 0
		.amdhsa_exception_int_div_zero 0
	.end_amdhsa_kernel
	.section	.text._ZN7rocprim17ROCPRIM_400000_NS6detail17trampoline_kernelINS0_14default_configENS1_27scan_by_key_config_selectorIxxEEZZNS1_16scan_by_key_implILNS1_25lookback_scan_determinismE0ELb0ES3_N6thrust23THRUST_200600_302600_NS6detail15normal_iteratorINS9_10device_ptrIxEEEENS9_18transform_iteratorINS9_6negateIxEESE_NS9_11use_defaultESI_EESE_xNS9_4plusIvEENS9_8equal_toIvEExEE10hipError_tPvRmT2_T3_T4_T5_mT6_T7_P12ihipStream_tbENKUlT_T0_E_clISt17integral_constantIbLb0EES13_IbLb1EEEEDaSZ_S10_EUlSZ_E_NS1_11comp_targetILNS1_3genE2ELNS1_11target_archE906ELNS1_3gpuE6ELNS1_3repE0EEENS1_30default_config_static_selectorELNS0_4arch9wavefront6targetE0EEEvT1_,"axG",@progbits,_ZN7rocprim17ROCPRIM_400000_NS6detail17trampoline_kernelINS0_14default_configENS1_27scan_by_key_config_selectorIxxEEZZNS1_16scan_by_key_implILNS1_25lookback_scan_determinismE0ELb0ES3_N6thrust23THRUST_200600_302600_NS6detail15normal_iteratorINS9_10device_ptrIxEEEENS9_18transform_iteratorINS9_6negateIxEESE_NS9_11use_defaultESI_EESE_xNS9_4plusIvEENS9_8equal_toIvEExEE10hipError_tPvRmT2_T3_T4_T5_mT6_T7_P12ihipStream_tbENKUlT_T0_E_clISt17integral_constantIbLb0EES13_IbLb1EEEEDaSZ_S10_EUlSZ_E_NS1_11comp_targetILNS1_3genE2ELNS1_11target_archE906ELNS1_3gpuE6ELNS1_3repE0EEENS1_30default_config_static_selectorELNS0_4arch9wavefront6targetE0EEEvT1_,comdat
.Lfunc_end925:
	.size	_ZN7rocprim17ROCPRIM_400000_NS6detail17trampoline_kernelINS0_14default_configENS1_27scan_by_key_config_selectorIxxEEZZNS1_16scan_by_key_implILNS1_25lookback_scan_determinismE0ELb0ES3_N6thrust23THRUST_200600_302600_NS6detail15normal_iteratorINS9_10device_ptrIxEEEENS9_18transform_iteratorINS9_6negateIxEESE_NS9_11use_defaultESI_EESE_xNS9_4plusIvEENS9_8equal_toIvEExEE10hipError_tPvRmT2_T3_T4_T5_mT6_T7_P12ihipStream_tbENKUlT_T0_E_clISt17integral_constantIbLb0EES13_IbLb1EEEEDaSZ_S10_EUlSZ_E_NS1_11comp_targetILNS1_3genE2ELNS1_11target_archE906ELNS1_3gpuE6ELNS1_3repE0EEENS1_30default_config_static_selectorELNS0_4arch9wavefront6targetE0EEEvT1_, .Lfunc_end925-_ZN7rocprim17ROCPRIM_400000_NS6detail17trampoline_kernelINS0_14default_configENS1_27scan_by_key_config_selectorIxxEEZZNS1_16scan_by_key_implILNS1_25lookback_scan_determinismE0ELb0ES3_N6thrust23THRUST_200600_302600_NS6detail15normal_iteratorINS9_10device_ptrIxEEEENS9_18transform_iteratorINS9_6negateIxEESE_NS9_11use_defaultESI_EESE_xNS9_4plusIvEENS9_8equal_toIvEExEE10hipError_tPvRmT2_T3_T4_T5_mT6_T7_P12ihipStream_tbENKUlT_T0_E_clISt17integral_constantIbLb0EES13_IbLb1EEEEDaSZ_S10_EUlSZ_E_NS1_11comp_targetILNS1_3genE2ELNS1_11target_archE906ELNS1_3gpuE6ELNS1_3repE0EEENS1_30default_config_static_selectorELNS0_4arch9wavefront6targetE0EEEvT1_
                                        ; -- End function
	.set _ZN7rocprim17ROCPRIM_400000_NS6detail17trampoline_kernelINS0_14default_configENS1_27scan_by_key_config_selectorIxxEEZZNS1_16scan_by_key_implILNS1_25lookback_scan_determinismE0ELb0ES3_N6thrust23THRUST_200600_302600_NS6detail15normal_iteratorINS9_10device_ptrIxEEEENS9_18transform_iteratorINS9_6negateIxEESE_NS9_11use_defaultESI_EESE_xNS9_4plusIvEENS9_8equal_toIvEExEE10hipError_tPvRmT2_T3_T4_T5_mT6_T7_P12ihipStream_tbENKUlT_T0_E_clISt17integral_constantIbLb0EES13_IbLb1EEEEDaSZ_S10_EUlSZ_E_NS1_11comp_targetILNS1_3genE2ELNS1_11target_archE906ELNS1_3gpuE6ELNS1_3repE0EEENS1_30default_config_static_selectorELNS0_4arch9wavefront6targetE0EEEvT1_.num_vgpr, 0
	.set _ZN7rocprim17ROCPRIM_400000_NS6detail17trampoline_kernelINS0_14default_configENS1_27scan_by_key_config_selectorIxxEEZZNS1_16scan_by_key_implILNS1_25lookback_scan_determinismE0ELb0ES3_N6thrust23THRUST_200600_302600_NS6detail15normal_iteratorINS9_10device_ptrIxEEEENS9_18transform_iteratorINS9_6negateIxEESE_NS9_11use_defaultESI_EESE_xNS9_4plusIvEENS9_8equal_toIvEExEE10hipError_tPvRmT2_T3_T4_T5_mT6_T7_P12ihipStream_tbENKUlT_T0_E_clISt17integral_constantIbLb0EES13_IbLb1EEEEDaSZ_S10_EUlSZ_E_NS1_11comp_targetILNS1_3genE2ELNS1_11target_archE906ELNS1_3gpuE6ELNS1_3repE0EEENS1_30default_config_static_selectorELNS0_4arch9wavefront6targetE0EEEvT1_.num_agpr, 0
	.set _ZN7rocprim17ROCPRIM_400000_NS6detail17trampoline_kernelINS0_14default_configENS1_27scan_by_key_config_selectorIxxEEZZNS1_16scan_by_key_implILNS1_25lookback_scan_determinismE0ELb0ES3_N6thrust23THRUST_200600_302600_NS6detail15normal_iteratorINS9_10device_ptrIxEEEENS9_18transform_iteratorINS9_6negateIxEESE_NS9_11use_defaultESI_EESE_xNS9_4plusIvEENS9_8equal_toIvEExEE10hipError_tPvRmT2_T3_T4_T5_mT6_T7_P12ihipStream_tbENKUlT_T0_E_clISt17integral_constantIbLb0EES13_IbLb1EEEEDaSZ_S10_EUlSZ_E_NS1_11comp_targetILNS1_3genE2ELNS1_11target_archE906ELNS1_3gpuE6ELNS1_3repE0EEENS1_30default_config_static_selectorELNS0_4arch9wavefront6targetE0EEEvT1_.numbered_sgpr, 0
	.set _ZN7rocprim17ROCPRIM_400000_NS6detail17trampoline_kernelINS0_14default_configENS1_27scan_by_key_config_selectorIxxEEZZNS1_16scan_by_key_implILNS1_25lookback_scan_determinismE0ELb0ES3_N6thrust23THRUST_200600_302600_NS6detail15normal_iteratorINS9_10device_ptrIxEEEENS9_18transform_iteratorINS9_6negateIxEESE_NS9_11use_defaultESI_EESE_xNS9_4plusIvEENS9_8equal_toIvEExEE10hipError_tPvRmT2_T3_T4_T5_mT6_T7_P12ihipStream_tbENKUlT_T0_E_clISt17integral_constantIbLb0EES13_IbLb1EEEEDaSZ_S10_EUlSZ_E_NS1_11comp_targetILNS1_3genE2ELNS1_11target_archE906ELNS1_3gpuE6ELNS1_3repE0EEENS1_30default_config_static_selectorELNS0_4arch9wavefront6targetE0EEEvT1_.num_named_barrier, 0
	.set _ZN7rocprim17ROCPRIM_400000_NS6detail17trampoline_kernelINS0_14default_configENS1_27scan_by_key_config_selectorIxxEEZZNS1_16scan_by_key_implILNS1_25lookback_scan_determinismE0ELb0ES3_N6thrust23THRUST_200600_302600_NS6detail15normal_iteratorINS9_10device_ptrIxEEEENS9_18transform_iteratorINS9_6negateIxEESE_NS9_11use_defaultESI_EESE_xNS9_4plusIvEENS9_8equal_toIvEExEE10hipError_tPvRmT2_T3_T4_T5_mT6_T7_P12ihipStream_tbENKUlT_T0_E_clISt17integral_constantIbLb0EES13_IbLb1EEEEDaSZ_S10_EUlSZ_E_NS1_11comp_targetILNS1_3genE2ELNS1_11target_archE906ELNS1_3gpuE6ELNS1_3repE0EEENS1_30default_config_static_selectorELNS0_4arch9wavefront6targetE0EEEvT1_.private_seg_size, 0
	.set _ZN7rocprim17ROCPRIM_400000_NS6detail17trampoline_kernelINS0_14default_configENS1_27scan_by_key_config_selectorIxxEEZZNS1_16scan_by_key_implILNS1_25lookback_scan_determinismE0ELb0ES3_N6thrust23THRUST_200600_302600_NS6detail15normal_iteratorINS9_10device_ptrIxEEEENS9_18transform_iteratorINS9_6negateIxEESE_NS9_11use_defaultESI_EESE_xNS9_4plusIvEENS9_8equal_toIvEExEE10hipError_tPvRmT2_T3_T4_T5_mT6_T7_P12ihipStream_tbENKUlT_T0_E_clISt17integral_constantIbLb0EES13_IbLb1EEEEDaSZ_S10_EUlSZ_E_NS1_11comp_targetILNS1_3genE2ELNS1_11target_archE906ELNS1_3gpuE6ELNS1_3repE0EEENS1_30default_config_static_selectorELNS0_4arch9wavefront6targetE0EEEvT1_.uses_vcc, 0
	.set _ZN7rocprim17ROCPRIM_400000_NS6detail17trampoline_kernelINS0_14default_configENS1_27scan_by_key_config_selectorIxxEEZZNS1_16scan_by_key_implILNS1_25lookback_scan_determinismE0ELb0ES3_N6thrust23THRUST_200600_302600_NS6detail15normal_iteratorINS9_10device_ptrIxEEEENS9_18transform_iteratorINS9_6negateIxEESE_NS9_11use_defaultESI_EESE_xNS9_4plusIvEENS9_8equal_toIvEExEE10hipError_tPvRmT2_T3_T4_T5_mT6_T7_P12ihipStream_tbENKUlT_T0_E_clISt17integral_constantIbLb0EES13_IbLb1EEEEDaSZ_S10_EUlSZ_E_NS1_11comp_targetILNS1_3genE2ELNS1_11target_archE906ELNS1_3gpuE6ELNS1_3repE0EEENS1_30default_config_static_selectorELNS0_4arch9wavefront6targetE0EEEvT1_.uses_flat_scratch, 0
	.set _ZN7rocprim17ROCPRIM_400000_NS6detail17trampoline_kernelINS0_14default_configENS1_27scan_by_key_config_selectorIxxEEZZNS1_16scan_by_key_implILNS1_25lookback_scan_determinismE0ELb0ES3_N6thrust23THRUST_200600_302600_NS6detail15normal_iteratorINS9_10device_ptrIxEEEENS9_18transform_iteratorINS9_6negateIxEESE_NS9_11use_defaultESI_EESE_xNS9_4plusIvEENS9_8equal_toIvEExEE10hipError_tPvRmT2_T3_T4_T5_mT6_T7_P12ihipStream_tbENKUlT_T0_E_clISt17integral_constantIbLb0EES13_IbLb1EEEEDaSZ_S10_EUlSZ_E_NS1_11comp_targetILNS1_3genE2ELNS1_11target_archE906ELNS1_3gpuE6ELNS1_3repE0EEENS1_30default_config_static_selectorELNS0_4arch9wavefront6targetE0EEEvT1_.has_dyn_sized_stack, 0
	.set _ZN7rocprim17ROCPRIM_400000_NS6detail17trampoline_kernelINS0_14default_configENS1_27scan_by_key_config_selectorIxxEEZZNS1_16scan_by_key_implILNS1_25lookback_scan_determinismE0ELb0ES3_N6thrust23THRUST_200600_302600_NS6detail15normal_iteratorINS9_10device_ptrIxEEEENS9_18transform_iteratorINS9_6negateIxEESE_NS9_11use_defaultESI_EESE_xNS9_4plusIvEENS9_8equal_toIvEExEE10hipError_tPvRmT2_T3_T4_T5_mT6_T7_P12ihipStream_tbENKUlT_T0_E_clISt17integral_constantIbLb0EES13_IbLb1EEEEDaSZ_S10_EUlSZ_E_NS1_11comp_targetILNS1_3genE2ELNS1_11target_archE906ELNS1_3gpuE6ELNS1_3repE0EEENS1_30default_config_static_selectorELNS0_4arch9wavefront6targetE0EEEvT1_.has_recursion, 0
	.set _ZN7rocprim17ROCPRIM_400000_NS6detail17trampoline_kernelINS0_14default_configENS1_27scan_by_key_config_selectorIxxEEZZNS1_16scan_by_key_implILNS1_25lookback_scan_determinismE0ELb0ES3_N6thrust23THRUST_200600_302600_NS6detail15normal_iteratorINS9_10device_ptrIxEEEENS9_18transform_iteratorINS9_6negateIxEESE_NS9_11use_defaultESI_EESE_xNS9_4plusIvEENS9_8equal_toIvEExEE10hipError_tPvRmT2_T3_T4_T5_mT6_T7_P12ihipStream_tbENKUlT_T0_E_clISt17integral_constantIbLb0EES13_IbLb1EEEEDaSZ_S10_EUlSZ_E_NS1_11comp_targetILNS1_3genE2ELNS1_11target_archE906ELNS1_3gpuE6ELNS1_3repE0EEENS1_30default_config_static_selectorELNS0_4arch9wavefront6targetE0EEEvT1_.has_indirect_call, 0
	.section	.AMDGPU.csdata,"",@progbits
; Kernel info:
; codeLenInByte = 0
; TotalNumSgprs: 0
; NumVgprs: 0
; ScratchSize: 0
; MemoryBound: 0
; FloatMode: 240
; IeeeMode: 1
; LDSByteSize: 0 bytes/workgroup (compile time only)
; SGPRBlocks: 0
; VGPRBlocks: 0
; NumSGPRsForWavesPerEU: 1
; NumVGPRsForWavesPerEU: 1
; Occupancy: 16
; WaveLimiterHint : 0
; COMPUTE_PGM_RSRC2:SCRATCH_EN: 0
; COMPUTE_PGM_RSRC2:USER_SGPR: 6
; COMPUTE_PGM_RSRC2:TRAP_HANDLER: 0
; COMPUTE_PGM_RSRC2:TGID_X_EN: 1
; COMPUTE_PGM_RSRC2:TGID_Y_EN: 0
; COMPUTE_PGM_RSRC2:TGID_Z_EN: 0
; COMPUTE_PGM_RSRC2:TIDIG_COMP_CNT: 0
	.section	.text._ZN7rocprim17ROCPRIM_400000_NS6detail17trampoline_kernelINS0_14default_configENS1_27scan_by_key_config_selectorIxxEEZZNS1_16scan_by_key_implILNS1_25lookback_scan_determinismE0ELb0ES3_N6thrust23THRUST_200600_302600_NS6detail15normal_iteratorINS9_10device_ptrIxEEEENS9_18transform_iteratorINS9_6negateIxEESE_NS9_11use_defaultESI_EESE_xNS9_4plusIvEENS9_8equal_toIvEExEE10hipError_tPvRmT2_T3_T4_T5_mT6_T7_P12ihipStream_tbENKUlT_T0_E_clISt17integral_constantIbLb0EES13_IbLb1EEEEDaSZ_S10_EUlSZ_E_NS1_11comp_targetILNS1_3genE10ELNS1_11target_archE1200ELNS1_3gpuE4ELNS1_3repE0EEENS1_30default_config_static_selectorELNS0_4arch9wavefront6targetE0EEEvT1_,"axG",@progbits,_ZN7rocprim17ROCPRIM_400000_NS6detail17trampoline_kernelINS0_14default_configENS1_27scan_by_key_config_selectorIxxEEZZNS1_16scan_by_key_implILNS1_25lookback_scan_determinismE0ELb0ES3_N6thrust23THRUST_200600_302600_NS6detail15normal_iteratorINS9_10device_ptrIxEEEENS9_18transform_iteratorINS9_6negateIxEESE_NS9_11use_defaultESI_EESE_xNS9_4plusIvEENS9_8equal_toIvEExEE10hipError_tPvRmT2_T3_T4_T5_mT6_T7_P12ihipStream_tbENKUlT_T0_E_clISt17integral_constantIbLb0EES13_IbLb1EEEEDaSZ_S10_EUlSZ_E_NS1_11comp_targetILNS1_3genE10ELNS1_11target_archE1200ELNS1_3gpuE4ELNS1_3repE0EEENS1_30default_config_static_selectorELNS0_4arch9wavefront6targetE0EEEvT1_,comdat
	.protected	_ZN7rocprim17ROCPRIM_400000_NS6detail17trampoline_kernelINS0_14default_configENS1_27scan_by_key_config_selectorIxxEEZZNS1_16scan_by_key_implILNS1_25lookback_scan_determinismE0ELb0ES3_N6thrust23THRUST_200600_302600_NS6detail15normal_iteratorINS9_10device_ptrIxEEEENS9_18transform_iteratorINS9_6negateIxEESE_NS9_11use_defaultESI_EESE_xNS9_4plusIvEENS9_8equal_toIvEExEE10hipError_tPvRmT2_T3_T4_T5_mT6_T7_P12ihipStream_tbENKUlT_T0_E_clISt17integral_constantIbLb0EES13_IbLb1EEEEDaSZ_S10_EUlSZ_E_NS1_11comp_targetILNS1_3genE10ELNS1_11target_archE1200ELNS1_3gpuE4ELNS1_3repE0EEENS1_30default_config_static_selectorELNS0_4arch9wavefront6targetE0EEEvT1_ ; -- Begin function _ZN7rocprim17ROCPRIM_400000_NS6detail17trampoline_kernelINS0_14default_configENS1_27scan_by_key_config_selectorIxxEEZZNS1_16scan_by_key_implILNS1_25lookback_scan_determinismE0ELb0ES3_N6thrust23THRUST_200600_302600_NS6detail15normal_iteratorINS9_10device_ptrIxEEEENS9_18transform_iteratorINS9_6negateIxEESE_NS9_11use_defaultESI_EESE_xNS9_4plusIvEENS9_8equal_toIvEExEE10hipError_tPvRmT2_T3_T4_T5_mT6_T7_P12ihipStream_tbENKUlT_T0_E_clISt17integral_constantIbLb0EES13_IbLb1EEEEDaSZ_S10_EUlSZ_E_NS1_11comp_targetILNS1_3genE10ELNS1_11target_archE1200ELNS1_3gpuE4ELNS1_3repE0EEENS1_30default_config_static_selectorELNS0_4arch9wavefront6targetE0EEEvT1_
	.globl	_ZN7rocprim17ROCPRIM_400000_NS6detail17trampoline_kernelINS0_14default_configENS1_27scan_by_key_config_selectorIxxEEZZNS1_16scan_by_key_implILNS1_25lookback_scan_determinismE0ELb0ES3_N6thrust23THRUST_200600_302600_NS6detail15normal_iteratorINS9_10device_ptrIxEEEENS9_18transform_iteratorINS9_6negateIxEESE_NS9_11use_defaultESI_EESE_xNS9_4plusIvEENS9_8equal_toIvEExEE10hipError_tPvRmT2_T3_T4_T5_mT6_T7_P12ihipStream_tbENKUlT_T0_E_clISt17integral_constantIbLb0EES13_IbLb1EEEEDaSZ_S10_EUlSZ_E_NS1_11comp_targetILNS1_3genE10ELNS1_11target_archE1200ELNS1_3gpuE4ELNS1_3repE0EEENS1_30default_config_static_selectorELNS0_4arch9wavefront6targetE0EEEvT1_
	.p2align	8
	.type	_ZN7rocprim17ROCPRIM_400000_NS6detail17trampoline_kernelINS0_14default_configENS1_27scan_by_key_config_selectorIxxEEZZNS1_16scan_by_key_implILNS1_25lookback_scan_determinismE0ELb0ES3_N6thrust23THRUST_200600_302600_NS6detail15normal_iteratorINS9_10device_ptrIxEEEENS9_18transform_iteratorINS9_6negateIxEESE_NS9_11use_defaultESI_EESE_xNS9_4plusIvEENS9_8equal_toIvEExEE10hipError_tPvRmT2_T3_T4_T5_mT6_T7_P12ihipStream_tbENKUlT_T0_E_clISt17integral_constantIbLb0EES13_IbLb1EEEEDaSZ_S10_EUlSZ_E_NS1_11comp_targetILNS1_3genE10ELNS1_11target_archE1200ELNS1_3gpuE4ELNS1_3repE0EEENS1_30default_config_static_selectorELNS0_4arch9wavefront6targetE0EEEvT1_,@function
_ZN7rocprim17ROCPRIM_400000_NS6detail17trampoline_kernelINS0_14default_configENS1_27scan_by_key_config_selectorIxxEEZZNS1_16scan_by_key_implILNS1_25lookback_scan_determinismE0ELb0ES3_N6thrust23THRUST_200600_302600_NS6detail15normal_iteratorINS9_10device_ptrIxEEEENS9_18transform_iteratorINS9_6negateIxEESE_NS9_11use_defaultESI_EESE_xNS9_4plusIvEENS9_8equal_toIvEExEE10hipError_tPvRmT2_T3_T4_T5_mT6_T7_P12ihipStream_tbENKUlT_T0_E_clISt17integral_constantIbLb0EES13_IbLb1EEEEDaSZ_S10_EUlSZ_E_NS1_11comp_targetILNS1_3genE10ELNS1_11target_archE1200ELNS1_3gpuE4ELNS1_3repE0EEENS1_30default_config_static_selectorELNS0_4arch9wavefront6targetE0EEEvT1_: ; @_ZN7rocprim17ROCPRIM_400000_NS6detail17trampoline_kernelINS0_14default_configENS1_27scan_by_key_config_selectorIxxEEZZNS1_16scan_by_key_implILNS1_25lookback_scan_determinismE0ELb0ES3_N6thrust23THRUST_200600_302600_NS6detail15normal_iteratorINS9_10device_ptrIxEEEENS9_18transform_iteratorINS9_6negateIxEESE_NS9_11use_defaultESI_EESE_xNS9_4plusIvEENS9_8equal_toIvEExEE10hipError_tPvRmT2_T3_T4_T5_mT6_T7_P12ihipStream_tbENKUlT_T0_E_clISt17integral_constantIbLb0EES13_IbLb1EEEEDaSZ_S10_EUlSZ_E_NS1_11comp_targetILNS1_3genE10ELNS1_11target_archE1200ELNS1_3gpuE4ELNS1_3repE0EEENS1_30default_config_static_selectorELNS0_4arch9wavefront6targetE0EEEvT1_
; %bb.0:
	.section	.rodata,"a",@progbits
	.p2align	6, 0x0
	.amdhsa_kernel _ZN7rocprim17ROCPRIM_400000_NS6detail17trampoline_kernelINS0_14default_configENS1_27scan_by_key_config_selectorIxxEEZZNS1_16scan_by_key_implILNS1_25lookback_scan_determinismE0ELb0ES3_N6thrust23THRUST_200600_302600_NS6detail15normal_iteratorINS9_10device_ptrIxEEEENS9_18transform_iteratorINS9_6negateIxEESE_NS9_11use_defaultESI_EESE_xNS9_4plusIvEENS9_8equal_toIvEExEE10hipError_tPvRmT2_T3_T4_T5_mT6_T7_P12ihipStream_tbENKUlT_T0_E_clISt17integral_constantIbLb0EES13_IbLb1EEEEDaSZ_S10_EUlSZ_E_NS1_11comp_targetILNS1_3genE10ELNS1_11target_archE1200ELNS1_3gpuE4ELNS1_3repE0EEENS1_30default_config_static_selectorELNS0_4arch9wavefront6targetE0EEEvT1_
		.amdhsa_group_segment_fixed_size 0
		.amdhsa_private_segment_fixed_size 0
		.amdhsa_kernarg_size 144
		.amdhsa_user_sgpr_count 6
		.amdhsa_user_sgpr_private_segment_buffer 1
		.amdhsa_user_sgpr_dispatch_ptr 0
		.amdhsa_user_sgpr_queue_ptr 0
		.amdhsa_user_sgpr_kernarg_segment_ptr 1
		.amdhsa_user_sgpr_dispatch_id 0
		.amdhsa_user_sgpr_flat_scratch_init 0
		.amdhsa_user_sgpr_private_segment_size 0
		.amdhsa_wavefront_size32 1
		.amdhsa_uses_dynamic_stack 0
		.amdhsa_system_sgpr_private_segment_wavefront_offset 0
		.amdhsa_system_sgpr_workgroup_id_x 1
		.amdhsa_system_sgpr_workgroup_id_y 0
		.amdhsa_system_sgpr_workgroup_id_z 0
		.amdhsa_system_sgpr_workgroup_info 0
		.amdhsa_system_vgpr_workitem_id 0
		.amdhsa_next_free_vgpr 1
		.amdhsa_next_free_sgpr 1
		.amdhsa_reserve_vcc 0
		.amdhsa_reserve_flat_scratch 0
		.amdhsa_float_round_mode_32 0
		.amdhsa_float_round_mode_16_64 0
		.amdhsa_float_denorm_mode_32 3
		.amdhsa_float_denorm_mode_16_64 3
		.amdhsa_dx10_clamp 1
		.amdhsa_ieee_mode 1
		.amdhsa_fp16_overflow 0
		.amdhsa_workgroup_processor_mode 1
		.amdhsa_memory_ordered 1
		.amdhsa_forward_progress 1
		.amdhsa_shared_vgpr_count 0
		.amdhsa_exception_fp_ieee_invalid_op 0
		.amdhsa_exception_fp_denorm_src 0
		.amdhsa_exception_fp_ieee_div_zero 0
		.amdhsa_exception_fp_ieee_overflow 0
		.amdhsa_exception_fp_ieee_underflow 0
		.amdhsa_exception_fp_ieee_inexact 0
		.amdhsa_exception_int_div_zero 0
	.end_amdhsa_kernel
	.section	.text._ZN7rocprim17ROCPRIM_400000_NS6detail17trampoline_kernelINS0_14default_configENS1_27scan_by_key_config_selectorIxxEEZZNS1_16scan_by_key_implILNS1_25lookback_scan_determinismE0ELb0ES3_N6thrust23THRUST_200600_302600_NS6detail15normal_iteratorINS9_10device_ptrIxEEEENS9_18transform_iteratorINS9_6negateIxEESE_NS9_11use_defaultESI_EESE_xNS9_4plusIvEENS9_8equal_toIvEExEE10hipError_tPvRmT2_T3_T4_T5_mT6_T7_P12ihipStream_tbENKUlT_T0_E_clISt17integral_constantIbLb0EES13_IbLb1EEEEDaSZ_S10_EUlSZ_E_NS1_11comp_targetILNS1_3genE10ELNS1_11target_archE1200ELNS1_3gpuE4ELNS1_3repE0EEENS1_30default_config_static_selectorELNS0_4arch9wavefront6targetE0EEEvT1_,"axG",@progbits,_ZN7rocprim17ROCPRIM_400000_NS6detail17trampoline_kernelINS0_14default_configENS1_27scan_by_key_config_selectorIxxEEZZNS1_16scan_by_key_implILNS1_25lookback_scan_determinismE0ELb0ES3_N6thrust23THRUST_200600_302600_NS6detail15normal_iteratorINS9_10device_ptrIxEEEENS9_18transform_iteratorINS9_6negateIxEESE_NS9_11use_defaultESI_EESE_xNS9_4plusIvEENS9_8equal_toIvEExEE10hipError_tPvRmT2_T3_T4_T5_mT6_T7_P12ihipStream_tbENKUlT_T0_E_clISt17integral_constantIbLb0EES13_IbLb1EEEEDaSZ_S10_EUlSZ_E_NS1_11comp_targetILNS1_3genE10ELNS1_11target_archE1200ELNS1_3gpuE4ELNS1_3repE0EEENS1_30default_config_static_selectorELNS0_4arch9wavefront6targetE0EEEvT1_,comdat
.Lfunc_end926:
	.size	_ZN7rocprim17ROCPRIM_400000_NS6detail17trampoline_kernelINS0_14default_configENS1_27scan_by_key_config_selectorIxxEEZZNS1_16scan_by_key_implILNS1_25lookback_scan_determinismE0ELb0ES3_N6thrust23THRUST_200600_302600_NS6detail15normal_iteratorINS9_10device_ptrIxEEEENS9_18transform_iteratorINS9_6negateIxEESE_NS9_11use_defaultESI_EESE_xNS9_4plusIvEENS9_8equal_toIvEExEE10hipError_tPvRmT2_T3_T4_T5_mT6_T7_P12ihipStream_tbENKUlT_T0_E_clISt17integral_constantIbLb0EES13_IbLb1EEEEDaSZ_S10_EUlSZ_E_NS1_11comp_targetILNS1_3genE10ELNS1_11target_archE1200ELNS1_3gpuE4ELNS1_3repE0EEENS1_30default_config_static_selectorELNS0_4arch9wavefront6targetE0EEEvT1_, .Lfunc_end926-_ZN7rocprim17ROCPRIM_400000_NS6detail17trampoline_kernelINS0_14default_configENS1_27scan_by_key_config_selectorIxxEEZZNS1_16scan_by_key_implILNS1_25lookback_scan_determinismE0ELb0ES3_N6thrust23THRUST_200600_302600_NS6detail15normal_iteratorINS9_10device_ptrIxEEEENS9_18transform_iteratorINS9_6negateIxEESE_NS9_11use_defaultESI_EESE_xNS9_4plusIvEENS9_8equal_toIvEExEE10hipError_tPvRmT2_T3_T4_T5_mT6_T7_P12ihipStream_tbENKUlT_T0_E_clISt17integral_constantIbLb0EES13_IbLb1EEEEDaSZ_S10_EUlSZ_E_NS1_11comp_targetILNS1_3genE10ELNS1_11target_archE1200ELNS1_3gpuE4ELNS1_3repE0EEENS1_30default_config_static_selectorELNS0_4arch9wavefront6targetE0EEEvT1_
                                        ; -- End function
	.set _ZN7rocprim17ROCPRIM_400000_NS6detail17trampoline_kernelINS0_14default_configENS1_27scan_by_key_config_selectorIxxEEZZNS1_16scan_by_key_implILNS1_25lookback_scan_determinismE0ELb0ES3_N6thrust23THRUST_200600_302600_NS6detail15normal_iteratorINS9_10device_ptrIxEEEENS9_18transform_iteratorINS9_6negateIxEESE_NS9_11use_defaultESI_EESE_xNS9_4plusIvEENS9_8equal_toIvEExEE10hipError_tPvRmT2_T3_T4_T5_mT6_T7_P12ihipStream_tbENKUlT_T0_E_clISt17integral_constantIbLb0EES13_IbLb1EEEEDaSZ_S10_EUlSZ_E_NS1_11comp_targetILNS1_3genE10ELNS1_11target_archE1200ELNS1_3gpuE4ELNS1_3repE0EEENS1_30default_config_static_selectorELNS0_4arch9wavefront6targetE0EEEvT1_.num_vgpr, 0
	.set _ZN7rocprim17ROCPRIM_400000_NS6detail17trampoline_kernelINS0_14default_configENS1_27scan_by_key_config_selectorIxxEEZZNS1_16scan_by_key_implILNS1_25lookback_scan_determinismE0ELb0ES3_N6thrust23THRUST_200600_302600_NS6detail15normal_iteratorINS9_10device_ptrIxEEEENS9_18transform_iteratorINS9_6negateIxEESE_NS9_11use_defaultESI_EESE_xNS9_4plusIvEENS9_8equal_toIvEExEE10hipError_tPvRmT2_T3_T4_T5_mT6_T7_P12ihipStream_tbENKUlT_T0_E_clISt17integral_constantIbLb0EES13_IbLb1EEEEDaSZ_S10_EUlSZ_E_NS1_11comp_targetILNS1_3genE10ELNS1_11target_archE1200ELNS1_3gpuE4ELNS1_3repE0EEENS1_30default_config_static_selectorELNS0_4arch9wavefront6targetE0EEEvT1_.num_agpr, 0
	.set _ZN7rocprim17ROCPRIM_400000_NS6detail17trampoline_kernelINS0_14default_configENS1_27scan_by_key_config_selectorIxxEEZZNS1_16scan_by_key_implILNS1_25lookback_scan_determinismE0ELb0ES3_N6thrust23THRUST_200600_302600_NS6detail15normal_iteratorINS9_10device_ptrIxEEEENS9_18transform_iteratorINS9_6negateIxEESE_NS9_11use_defaultESI_EESE_xNS9_4plusIvEENS9_8equal_toIvEExEE10hipError_tPvRmT2_T3_T4_T5_mT6_T7_P12ihipStream_tbENKUlT_T0_E_clISt17integral_constantIbLb0EES13_IbLb1EEEEDaSZ_S10_EUlSZ_E_NS1_11comp_targetILNS1_3genE10ELNS1_11target_archE1200ELNS1_3gpuE4ELNS1_3repE0EEENS1_30default_config_static_selectorELNS0_4arch9wavefront6targetE0EEEvT1_.numbered_sgpr, 0
	.set _ZN7rocprim17ROCPRIM_400000_NS6detail17trampoline_kernelINS0_14default_configENS1_27scan_by_key_config_selectorIxxEEZZNS1_16scan_by_key_implILNS1_25lookback_scan_determinismE0ELb0ES3_N6thrust23THRUST_200600_302600_NS6detail15normal_iteratorINS9_10device_ptrIxEEEENS9_18transform_iteratorINS9_6negateIxEESE_NS9_11use_defaultESI_EESE_xNS9_4plusIvEENS9_8equal_toIvEExEE10hipError_tPvRmT2_T3_T4_T5_mT6_T7_P12ihipStream_tbENKUlT_T0_E_clISt17integral_constantIbLb0EES13_IbLb1EEEEDaSZ_S10_EUlSZ_E_NS1_11comp_targetILNS1_3genE10ELNS1_11target_archE1200ELNS1_3gpuE4ELNS1_3repE0EEENS1_30default_config_static_selectorELNS0_4arch9wavefront6targetE0EEEvT1_.num_named_barrier, 0
	.set _ZN7rocprim17ROCPRIM_400000_NS6detail17trampoline_kernelINS0_14default_configENS1_27scan_by_key_config_selectorIxxEEZZNS1_16scan_by_key_implILNS1_25lookback_scan_determinismE0ELb0ES3_N6thrust23THRUST_200600_302600_NS6detail15normal_iteratorINS9_10device_ptrIxEEEENS9_18transform_iteratorINS9_6negateIxEESE_NS9_11use_defaultESI_EESE_xNS9_4plusIvEENS9_8equal_toIvEExEE10hipError_tPvRmT2_T3_T4_T5_mT6_T7_P12ihipStream_tbENKUlT_T0_E_clISt17integral_constantIbLb0EES13_IbLb1EEEEDaSZ_S10_EUlSZ_E_NS1_11comp_targetILNS1_3genE10ELNS1_11target_archE1200ELNS1_3gpuE4ELNS1_3repE0EEENS1_30default_config_static_selectorELNS0_4arch9wavefront6targetE0EEEvT1_.private_seg_size, 0
	.set _ZN7rocprim17ROCPRIM_400000_NS6detail17trampoline_kernelINS0_14default_configENS1_27scan_by_key_config_selectorIxxEEZZNS1_16scan_by_key_implILNS1_25lookback_scan_determinismE0ELb0ES3_N6thrust23THRUST_200600_302600_NS6detail15normal_iteratorINS9_10device_ptrIxEEEENS9_18transform_iteratorINS9_6negateIxEESE_NS9_11use_defaultESI_EESE_xNS9_4plusIvEENS9_8equal_toIvEExEE10hipError_tPvRmT2_T3_T4_T5_mT6_T7_P12ihipStream_tbENKUlT_T0_E_clISt17integral_constantIbLb0EES13_IbLb1EEEEDaSZ_S10_EUlSZ_E_NS1_11comp_targetILNS1_3genE10ELNS1_11target_archE1200ELNS1_3gpuE4ELNS1_3repE0EEENS1_30default_config_static_selectorELNS0_4arch9wavefront6targetE0EEEvT1_.uses_vcc, 0
	.set _ZN7rocprim17ROCPRIM_400000_NS6detail17trampoline_kernelINS0_14default_configENS1_27scan_by_key_config_selectorIxxEEZZNS1_16scan_by_key_implILNS1_25lookback_scan_determinismE0ELb0ES3_N6thrust23THRUST_200600_302600_NS6detail15normal_iteratorINS9_10device_ptrIxEEEENS9_18transform_iteratorINS9_6negateIxEESE_NS9_11use_defaultESI_EESE_xNS9_4plusIvEENS9_8equal_toIvEExEE10hipError_tPvRmT2_T3_T4_T5_mT6_T7_P12ihipStream_tbENKUlT_T0_E_clISt17integral_constantIbLb0EES13_IbLb1EEEEDaSZ_S10_EUlSZ_E_NS1_11comp_targetILNS1_3genE10ELNS1_11target_archE1200ELNS1_3gpuE4ELNS1_3repE0EEENS1_30default_config_static_selectorELNS0_4arch9wavefront6targetE0EEEvT1_.uses_flat_scratch, 0
	.set _ZN7rocprim17ROCPRIM_400000_NS6detail17trampoline_kernelINS0_14default_configENS1_27scan_by_key_config_selectorIxxEEZZNS1_16scan_by_key_implILNS1_25lookback_scan_determinismE0ELb0ES3_N6thrust23THRUST_200600_302600_NS6detail15normal_iteratorINS9_10device_ptrIxEEEENS9_18transform_iteratorINS9_6negateIxEESE_NS9_11use_defaultESI_EESE_xNS9_4plusIvEENS9_8equal_toIvEExEE10hipError_tPvRmT2_T3_T4_T5_mT6_T7_P12ihipStream_tbENKUlT_T0_E_clISt17integral_constantIbLb0EES13_IbLb1EEEEDaSZ_S10_EUlSZ_E_NS1_11comp_targetILNS1_3genE10ELNS1_11target_archE1200ELNS1_3gpuE4ELNS1_3repE0EEENS1_30default_config_static_selectorELNS0_4arch9wavefront6targetE0EEEvT1_.has_dyn_sized_stack, 0
	.set _ZN7rocprim17ROCPRIM_400000_NS6detail17trampoline_kernelINS0_14default_configENS1_27scan_by_key_config_selectorIxxEEZZNS1_16scan_by_key_implILNS1_25lookback_scan_determinismE0ELb0ES3_N6thrust23THRUST_200600_302600_NS6detail15normal_iteratorINS9_10device_ptrIxEEEENS9_18transform_iteratorINS9_6negateIxEESE_NS9_11use_defaultESI_EESE_xNS9_4plusIvEENS9_8equal_toIvEExEE10hipError_tPvRmT2_T3_T4_T5_mT6_T7_P12ihipStream_tbENKUlT_T0_E_clISt17integral_constantIbLb0EES13_IbLb1EEEEDaSZ_S10_EUlSZ_E_NS1_11comp_targetILNS1_3genE10ELNS1_11target_archE1200ELNS1_3gpuE4ELNS1_3repE0EEENS1_30default_config_static_selectorELNS0_4arch9wavefront6targetE0EEEvT1_.has_recursion, 0
	.set _ZN7rocprim17ROCPRIM_400000_NS6detail17trampoline_kernelINS0_14default_configENS1_27scan_by_key_config_selectorIxxEEZZNS1_16scan_by_key_implILNS1_25lookback_scan_determinismE0ELb0ES3_N6thrust23THRUST_200600_302600_NS6detail15normal_iteratorINS9_10device_ptrIxEEEENS9_18transform_iteratorINS9_6negateIxEESE_NS9_11use_defaultESI_EESE_xNS9_4plusIvEENS9_8equal_toIvEExEE10hipError_tPvRmT2_T3_T4_T5_mT6_T7_P12ihipStream_tbENKUlT_T0_E_clISt17integral_constantIbLb0EES13_IbLb1EEEEDaSZ_S10_EUlSZ_E_NS1_11comp_targetILNS1_3genE10ELNS1_11target_archE1200ELNS1_3gpuE4ELNS1_3repE0EEENS1_30default_config_static_selectorELNS0_4arch9wavefront6targetE0EEEvT1_.has_indirect_call, 0
	.section	.AMDGPU.csdata,"",@progbits
; Kernel info:
; codeLenInByte = 0
; TotalNumSgprs: 0
; NumVgprs: 0
; ScratchSize: 0
; MemoryBound: 0
; FloatMode: 240
; IeeeMode: 1
; LDSByteSize: 0 bytes/workgroup (compile time only)
; SGPRBlocks: 0
; VGPRBlocks: 0
; NumSGPRsForWavesPerEU: 1
; NumVGPRsForWavesPerEU: 1
; Occupancy: 16
; WaveLimiterHint : 0
; COMPUTE_PGM_RSRC2:SCRATCH_EN: 0
; COMPUTE_PGM_RSRC2:USER_SGPR: 6
; COMPUTE_PGM_RSRC2:TRAP_HANDLER: 0
; COMPUTE_PGM_RSRC2:TGID_X_EN: 1
; COMPUTE_PGM_RSRC2:TGID_Y_EN: 0
; COMPUTE_PGM_RSRC2:TGID_Z_EN: 0
; COMPUTE_PGM_RSRC2:TIDIG_COMP_CNT: 0
	.section	.text._ZN7rocprim17ROCPRIM_400000_NS6detail17trampoline_kernelINS0_14default_configENS1_27scan_by_key_config_selectorIxxEEZZNS1_16scan_by_key_implILNS1_25lookback_scan_determinismE0ELb0ES3_N6thrust23THRUST_200600_302600_NS6detail15normal_iteratorINS9_10device_ptrIxEEEENS9_18transform_iteratorINS9_6negateIxEESE_NS9_11use_defaultESI_EESE_xNS9_4plusIvEENS9_8equal_toIvEExEE10hipError_tPvRmT2_T3_T4_T5_mT6_T7_P12ihipStream_tbENKUlT_T0_E_clISt17integral_constantIbLb0EES13_IbLb1EEEEDaSZ_S10_EUlSZ_E_NS1_11comp_targetILNS1_3genE9ELNS1_11target_archE1100ELNS1_3gpuE3ELNS1_3repE0EEENS1_30default_config_static_selectorELNS0_4arch9wavefront6targetE0EEEvT1_,"axG",@progbits,_ZN7rocprim17ROCPRIM_400000_NS6detail17trampoline_kernelINS0_14default_configENS1_27scan_by_key_config_selectorIxxEEZZNS1_16scan_by_key_implILNS1_25lookback_scan_determinismE0ELb0ES3_N6thrust23THRUST_200600_302600_NS6detail15normal_iteratorINS9_10device_ptrIxEEEENS9_18transform_iteratorINS9_6negateIxEESE_NS9_11use_defaultESI_EESE_xNS9_4plusIvEENS9_8equal_toIvEExEE10hipError_tPvRmT2_T3_T4_T5_mT6_T7_P12ihipStream_tbENKUlT_T0_E_clISt17integral_constantIbLb0EES13_IbLb1EEEEDaSZ_S10_EUlSZ_E_NS1_11comp_targetILNS1_3genE9ELNS1_11target_archE1100ELNS1_3gpuE3ELNS1_3repE0EEENS1_30default_config_static_selectorELNS0_4arch9wavefront6targetE0EEEvT1_,comdat
	.protected	_ZN7rocprim17ROCPRIM_400000_NS6detail17trampoline_kernelINS0_14default_configENS1_27scan_by_key_config_selectorIxxEEZZNS1_16scan_by_key_implILNS1_25lookback_scan_determinismE0ELb0ES3_N6thrust23THRUST_200600_302600_NS6detail15normal_iteratorINS9_10device_ptrIxEEEENS9_18transform_iteratorINS9_6negateIxEESE_NS9_11use_defaultESI_EESE_xNS9_4plusIvEENS9_8equal_toIvEExEE10hipError_tPvRmT2_T3_T4_T5_mT6_T7_P12ihipStream_tbENKUlT_T0_E_clISt17integral_constantIbLb0EES13_IbLb1EEEEDaSZ_S10_EUlSZ_E_NS1_11comp_targetILNS1_3genE9ELNS1_11target_archE1100ELNS1_3gpuE3ELNS1_3repE0EEENS1_30default_config_static_selectorELNS0_4arch9wavefront6targetE0EEEvT1_ ; -- Begin function _ZN7rocprim17ROCPRIM_400000_NS6detail17trampoline_kernelINS0_14default_configENS1_27scan_by_key_config_selectorIxxEEZZNS1_16scan_by_key_implILNS1_25lookback_scan_determinismE0ELb0ES3_N6thrust23THRUST_200600_302600_NS6detail15normal_iteratorINS9_10device_ptrIxEEEENS9_18transform_iteratorINS9_6negateIxEESE_NS9_11use_defaultESI_EESE_xNS9_4plusIvEENS9_8equal_toIvEExEE10hipError_tPvRmT2_T3_T4_T5_mT6_T7_P12ihipStream_tbENKUlT_T0_E_clISt17integral_constantIbLb0EES13_IbLb1EEEEDaSZ_S10_EUlSZ_E_NS1_11comp_targetILNS1_3genE9ELNS1_11target_archE1100ELNS1_3gpuE3ELNS1_3repE0EEENS1_30default_config_static_selectorELNS0_4arch9wavefront6targetE0EEEvT1_
	.globl	_ZN7rocprim17ROCPRIM_400000_NS6detail17trampoline_kernelINS0_14default_configENS1_27scan_by_key_config_selectorIxxEEZZNS1_16scan_by_key_implILNS1_25lookback_scan_determinismE0ELb0ES3_N6thrust23THRUST_200600_302600_NS6detail15normal_iteratorINS9_10device_ptrIxEEEENS9_18transform_iteratorINS9_6negateIxEESE_NS9_11use_defaultESI_EESE_xNS9_4plusIvEENS9_8equal_toIvEExEE10hipError_tPvRmT2_T3_T4_T5_mT6_T7_P12ihipStream_tbENKUlT_T0_E_clISt17integral_constantIbLb0EES13_IbLb1EEEEDaSZ_S10_EUlSZ_E_NS1_11comp_targetILNS1_3genE9ELNS1_11target_archE1100ELNS1_3gpuE3ELNS1_3repE0EEENS1_30default_config_static_selectorELNS0_4arch9wavefront6targetE0EEEvT1_
	.p2align	8
	.type	_ZN7rocprim17ROCPRIM_400000_NS6detail17trampoline_kernelINS0_14default_configENS1_27scan_by_key_config_selectorIxxEEZZNS1_16scan_by_key_implILNS1_25lookback_scan_determinismE0ELb0ES3_N6thrust23THRUST_200600_302600_NS6detail15normal_iteratorINS9_10device_ptrIxEEEENS9_18transform_iteratorINS9_6negateIxEESE_NS9_11use_defaultESI_EESE_xNS9_4plusIvEENS9_8equal_toIvEExEE10hipError_tPvRmT2_T3_T4_T5_mT6_T7_P12ihipStream_tbENKUlT_T0_E_clISt17integral_constantIbLb0EES13_IbLb1EEEEDaSZ_S10_EUlSZ_E_NS1_11comp_targetILNS1_3genE9ELNS1_11target_archE1100ELNS1_3gpuE3ELNS1_3repE0EEENS1_30default_config_static_selectorELNS0_4arch9wavefront6targetE0EEEvT1_,@function
_ZN7rocprim17ROCPRIM_400000_NS6detail17trampoline_kernelINS0_14default_configENS1_27scan_by_key_config_selectorIxxEEZZNS1_16scan_by_key_implILNS1_25lookback_scan_determinismE0ELb0ES3_N6thrust23THRUST_200600_302600_NS6detail15normal_iteratorINS9_10device_ptrIxEEEENS9_18transform_iteratorINS9_6negateIxEESE_NS9_11use_defaultESI_EESE_xNS9_4plusIvEENS9_8equal_toIvEExEE10hipError_tPvRmT2_T3_T4_T5_mT6_T7_P12ihipStream_tbENKUlT_T0_E_clISt17integral_constantIbLb0EES13_IbLb1EEEEDaSZ_S10_EUlSZ_E_NS1_11comp_targetILNS1_3genE9ELNS1_11target_archE1100ELNS1_3gpuE3ELNS1_3repE0EEENS1_30default_config_static_selectorELNS0_4arch9wavefront6targetE0EEEvT1_: ; @_ZN7rocprim17ROCPRIM_400000_NS6detail17trampoline_kernelINS0_14default_configENS1_27scan_by_key_config_selectorIxxEEZZNS1_16scan_by_key_implILNS1_25lookback_scan_determinismE0ELb0ES3_N6thrust23THRUST_200600_302600_NS6detail15normal_iteratorINS9_10device_ptrIxEEEENS9_18transform_iteratorINS9_6negateIxEESE_NS9_11use_defaultESI_EESE_xNS9_4plusIvEENS9_8equal_toIvEExEE10hipError_tPvRmT2_T3_T4_T5_mT6_T7_P12ihipStream_tbENKUlT_T0_E_clISt17integral_constantIbLb0EES13_IbLb1EEEEDaSZ_S10_EUlSZ_E_NS1_11comp_targetILNS1_3genE9ELNS1_11target_archE1100ELNS1_3gpuE3ELNS1_3repE0EEENS1_30default_config_static_selectorELNS0_4arch9wavefront6targetE0EEEvT1_
; %bb.0:
	.section	.rodata,"a",@progbits
	.p2align	6, 0x0
	.amdhsa_kernel _ZN7rocprim17ROCPRIM_400000_NS6detail17trampoline_kernelINS0_14default_configENS1_27scan_by_key_config_selectorIxxEEZZNS1_16scan_by_key_implILNS1_25lookback_scan_determinismE0ELb0ES3_N6thrust23THRUST_200600_302600_NS6detail15normal_iteratorINS9_10device_ptrIxEEEENS9_18transform_iteratorINS9_6negateIxEESE_NS9_11use_defaultESI_EESE_xNS9_4plusIvEENS9_8equal_toIvEExEE10hipError_tPvRmT2_T3_T4_T5_mT6_T7_P12ihipStream_tbENKUlT_T0_E_clISt17integral_constantIbLb0EES13_IbLb1EEEEDaSZ_S10_EUlSZ_E_NS1_11comp_targetILNS1_3genE9ELNS1_11target_archE1100ELNS1_3gpuE3ELNS1_3repE0EEENS1_30default_config_static_selectorELNS0_4arch9wavefront6targetE0EEEvT1_
		.amdhsa_group_segment_fixed_size 0
		.amdhsa_private_segment_fixed_size 0
		.amdhsa_kernarg_size 144
		.amdhsa_user_sgpr_count 6
		.amdhsa_user_sgpr_private_segment_buffer 1
		.amdhsa_user_sgpr_dispatch_ptr 0
		.amdhsa_user_sgpr_queue_ptr 0
		.amdhsa_user_sgpr_kernarg_segment_ptr 1
		.amdhsa_user_sgpr_dispatch_id 0
		.amdhsa_user_sgpr_flat_scratch_init 0
		.amdhsa_user_sgpr_private_segment_size 0
		.amdhsa_wavefront_size32 1
		.amdhsa_uses_dynamic_stack 0
		.amdhsa_system_sgpr_private_segment_wavefront_offset 0
		.amdhsa_system_sgpr_workgroup_id_x 1
		.amdhsa_system_sgpr_workgroup_id_y 0
		.amdhsa_system_sgpr_workgroup_id_z 0
		.amdhsa_system_sgpr_workgroup_info 0
		.amdhsa_system_vgpr_workitem_id 0
		.amdhsa_next_free_vgpr 1
		.amdhsa_next_free_sgpr 1
		.amdhsa_reserve_vcc 0
		.amdhsa_reserve_flat_scratch 0
		.amdhsa_float_round_mode_32 0
		.amdhsa_float_round_mode_16_64 0
		.amdhsa_float_denorm_mode_32 3
		.amdhsa_float_denorm_mode_16_64 3
		.amdhsa_dx10_clamp 1
		.amdhsa_ieee_mode 1
		.amdhsa_fp16_overflow 0
		.amdhsa_workgroup_processor_mode 1
		.amdhsa_memory_ordered 1
		.amdhsa_forward_progress 1
		.amdhsa_shared_vgpr_count 0
		.amdhsa_exception_fp_ieee_invalid_op 0
		.amdhsa_exception_fp_denorm_src 0
		.amdhsa_exception_fp_ieee_div_zero 0
		.amdhsa_exception_fp_ieee_overflow 0
		.amdhsa_exception_fp_ieee_underflow 0
		.amdhsa_exception_fp_ieee_inexact 0
		.amdhsa_exception_int_div_zero 0
	.end_amdhsa_kernel
	.section	.text._ZN7rocprim17ROCPRIM_400000_NS6detail17trampoline_kernelINS0_14default_configENS1_27scan_by_key_config_selectorIxxEEZZNS1_16scan_by_key_implILNS1_25lookback_scan_determinismE0ELb0ES3_N6thrust23THRUST_200600_302600_NS6detail15normal_iteratorINS9_10device_ptrIxEEEENS9_18transform_iteratorINS9_6negateIxEESE_NS9_11use_defaultESI_EESE_xNS9_4plusIvEENS9_8equal_toIvEExEE10hipError_tPvRmT2_T3_T4_T5_mT6_T7_P12ihipStream_tbENKUlT_T0_E_clISt17integral_constantIbLb0EES13_IbLb1EEEEDaSZ_S10_EUlSZ_E_NS1_11comp_targetILNS1_3genE9ELNS1_11target_archE1100ELNS1_3gpuE3ELNS1_3repE0EEENS1_30default_config_static_selectorELNS0_4arch9wavefront6targetE0EEEvT1_,"axG",@progbits,_ZN7rocprim17ROCPRIM_400000_NS6detail17trampoline_kernelINS0_14default_configENS1_27scan_by_key_config_selectorIxxEEZZNS1_16scan_by_key_implILNS1_25lookback_scan_determinismE0ELb0ES3_N6thrust23THRUST_200600_302600_NS6detail15normal_iteratorINS9_10device_ptrIxEEEENS9_18transform_iteratorINS9_6negateIxEESE_NS9_11use_defaultESI_EESE_xNS9_4plusIvEENS9_8equal_toIvEExEE10hipError_tPvRmT2_T3_T4_T5_mT6_T7_P12ihipStream_tbENKUlT_T0_E_clISt17integral_constantIbLb0EES13_IbLb1EEEEDaSZ_S10_EUlSZ_E_NS1_11comp_targetILNS1_3genE9ELNS1_11target_archE1100ELNS1_3gpuE3ELNS1_3repE0EEENS1_30default_config_static_selectorELNS0_4arch9wavefront6targetE0EEEvT1_,comdat
.Lfunc_end927:
	.size	_ZN7rocprim17ROCPRIM_400000_NS6detail17trampoline_kernelINS0_14default_configENS1_27scan_by_key_config_selectorIxxEEZZNS1_16scan_by_key_implILNS1_25lookback_scan_determinismE0ELb0ES3_N6thrust23THRUST_200600_302600_NS6detail15normal_iteratorINS9_10device_ptrIxEEEENS9_18transform_iteratorINS9_6negateIxEESE_NS9_11use_defaultESI_EESE_xNS9_4plusIvEENS9_8equal_toIvEExEE10hipError_tPvRmT2_T3_T4_T5_mT6_T7_P12ihipStream_tbENKUlT_T0_E_clISt17integral_constantIbLb0EES13_IbLb1EEEEDaSZ_S10_EUlSZ_E_NS1_11comp_targetILNS1_3genE9ELNS1_11target_archE1100ELNS1_3gpuE3ELNS1_3repE0EEENS1_30default_config_static_selectorELNS0_4arch9wavefront6targetE0EEEvT1_, .Lfunc_end927-_ZN7rocprim17ROCPRIM_400000_NS6detail17trampoline_kernelINS0_14default_configENS1_27scan_by_key_config_selectorIxxEEZZNS1_16scan_by_key_implILNS1_25lookback_scan_determinismE0ELb0ES3_N6thrust23THRUST_200600_302600_NS6detail15normal_iteratorINS9_10device_ptrIxEEEENS9_18transform_iteratorINS9_6negateIxEESE_NS9_11use_defaultESI_EESE_xNS9_4plusIvEENS9_8equal_toIvEExEE10hipError_tPvRmT2_T3_T4_T5_mT6_T7_P12ihipStream_tbENKUlT_T0_E_clISt17integral_constantIbLb0EES13_IbLb1EEEEDaSZ_S10_EUlSZ_E_NS1_11comp_targetILNS1_3genE9ELNS1_11target_archE1100ELNS1_3gpuE3ELNS1_3repE0EEENS1_30default_config_static_selectorELNS0_4arch9wavefront6targetE0EEEvT1_
                                        ; -- End function
	.set _ZN7rocprim17ROCPRIM_400000_NS6detail17trampoline_kernelINS0_14default_configENS1_27scan_by_key_config_selectorIxxEEZZNS1_16scan_by_key_implILNS1_25lookback_scan_determinismE0ELb0ES3_N6thrust23THRUST_200600_302600_NS6detail15normal_iteratorINS9_10device_ptrIxEEEENS9_18transform_iteratorINS9_6negateIxEESE_NS9_11use_defaultESI_EESE_xNS9_4plusIvEENS9_8equal_toIvEExEE10hipError_tPvRmT2_T3_T4_T5_mT6_T7_P12ihipStream_tbENKUlT_T0_E_clISt17integral_constantIbLb0EES13_IbLb1EEEEDaSZ_S10_EUlSZ_E_NS1_11comp_targetILNS1_3genE9ELNS1_11target_archE1100ELNS1_3gpuE3ELNS1_3repE0EEENS1_30default_config_static_selectorELNS0_4arch9wavefront6targetE0EEEvT1_.num_vgpr, 0
	.set _ZN7rocprim17ROCPRIM_400000_NS6detail17trampoline_kernelINS0_14default_configENS1_27scan_by_key_config_selectorIxxEEZZNS1_16scan_by_key_implILNS1_25lookback_scan_determinismE0ELb0ES3_N6thrust23THRUST_200600_302600_NS6detail15normal_iteratorINS9_10device_ptrIxEEEENS9_18transform_iteratorINS9_6negateIxEESE_NS9_11use_defaultESI_EESE_xNS9_4plusIvEENS9_8equal_toIvEExEE10hipError_tPvRmT2_T3_T4_T5_mT6_T7_P12ihipStream_tbENKUlT_T0_E_clISt17integral_constantIbLb0EES13_IbLb1EEEEDaSZ_S10_EUlSZ_E_NS1_11comp_targetILNS1_3genE9ELNS1_11target_archE1100ELNS1_3gpuE3ELNS1_3repE0EEENS1_30default_config_static_selectorELNS0_4arch9wavefront6targetE0EEEvT1_.num_agpr, 0
	.set _ZN7rocprim17ROCPRIM_400000_NS6detail17trampoline_kernelINS0_14default_configENS1_27scan_by_key_config_selectorIxxEEZZNS1_16scan_by_key_implILNS1_25lookback_scan_determinismE0ELb0ES3_N6thrust23THRUST_200600_302600_NS6detail15normal_iteratorINS9_10device_ptrIxEEEENS9_18transform_iteratorINS9_6negateIxEESE_NS9_11use_defaultESI_EESE_xNS9_4plusIvEENS9_8equal_toIvEExEE10hipError_tPvRmT2_T3_T4_T5_mT6_T7_P12ihipStream_tbENKUlT_T0_E_clISt17integral_constantIbLb0EES13_IbLb1EEEEDaSZ_S10_EUlSZ_E_NS1_11comp_targetILNS1_3genE9ELNS1_11target_archE1100ELNS1_3gpuE3ELNS1_3repE0EEENS1_30default_config_static_selectorELNS0_4arch9wavefront6targetE0EEEvT1_.numbered_sgpr, 0
	.set _ZN7rocprim17ROCPRIM_400000_NS6detail17trampoline_kernelINS0_14default_configENS1_27scan_by_key_config_selectorIxxEEZZNS1_16scan_by_key_implILNS1_25lookback_scan_determinismE0ELb0ES3_N6thrust23THRUST_200600_302600_NS6detail15normal_iteratorINS9_10device_ptrIxEEEENS9_18transform_iteratorINS9_6negateIxEESE_NS9_11use_defaultESI_EESE_xNS9_4plusIvEENS9_8equal_toIvEExEE10hipError_tPvRmT2_T3_T4_T5_mT6_T7_P12ihipStream_tbENKUlT_T0_E_clISt17integral_constantIbLb0EES13_IbLb1EEEEDaSZ_S10_EUlSZ_E_NS1_11comp_targetILNS1_3genE9ELNS1_11target_archE1100ELNS1_3gpuE3ELNS1_3repE0EEENS1_30default_config_static_selectorELNS0_4arch9wavefront6targetE0EEEvT1_.num_named_barrier, 0
	.set _ZN7rocprim17ROCPRIM_400000_NS6detail17trampoline_kernelINS0_14default_configENS1_27scan_by_key_config_selectorIxxEEZZNS1_16scan_by_key_implILNS1_25lookback_scan_determinismE0ELb0ES3_N6thrust23THRUST_200600_302600_NS6detail15normal_iteratorINS9_10device_ptrIxEEEENS9_18transform_iteratorINS9_6negateIxEESE_NS9_11use_defaultESI_EESE_xNS9_4plusIvEENS9_8equal_toIvEExEE10hipError_tPvRmT2_T3_T4_T5_mT6_T7_P12ihipStream_tbENKUlT_T0_E_clISt17integral_constantIbLb0EES13_IbLb1EEEEDaSZ_S10_EUlSZ_E_NS1_11comp_targetILNS1_3genE9ELNS1_11target_archE1100ELNS1_3gpuE3ELNS1_3repE0EEENS1_30default_config_static_selectorELNS0_4arch9wavefront6targetE0EEEvT1_.private_seg_size, 0
	.set _ZN7rocprim17ROCPRIM_400000_NS6detail17trampoline_kernelINS0_14default_configENS1_27scan_by_key_config_selectorIxxEEZZNS1_16scan_by_key_implILNS1_25lookback_scan_determinismE0ELb0ES3_N6thrust23THRUST_200600_302600_NS6detail15normal_iteratorINS9_10device_ptrIxEEEENS9_18transform_iteratorINS9_6negateIxEESE_NS9_11use_defaultESI_EESE_xNS9_4plusIvEENS9_8equal_toIvEExEE10hipError_tPvRmT2_T3_T4_T5_mT6_T7_P12ihipStream_tbENKUlT_T0_E_clISt17integral_constantIbLb0EES13_IbLb1EEEEDaSZ_S10_EUlSZ_E_NS1_11comp_targetILNS1_3genE9ELNS1_11target_archE1100ELNS1_3gpuE3ELNS1_3repE0EEENS1_30default_config_static_selectorELNS0_4arch9wavefront6targetE0EEEvT1_.uses_vcc, 0
	.set _ZN7rocprim17ROCPRIM_400000_NS6detail17trampoline_kernelINS0_14default_configENS1_27scan_by_key_config_selectorIxxEEZZNS1_16scan_by_key_implILNS1_25lookback_scan_determinismE0ELb0ES3_N6thrust23THRUST_200600_302600_NS6detail15normal_iteratorINS9_10device_ptrIxEEEENS9_18transform_iteratorINS9_6negateIxEESE_NS9_11use_defaultESI_EESE_xNS9_4plusIvEENS9_8equal_toIvEExEE10hipError_tPvRmT2_T3_T4_T5_mT6_T7_P12ihipStream_tbENKUlT_T0_E_clISt17integral_constantIbLb0EES13_IbLb1EEEEDaSZ_S10_EUlSZ_E_NS1_11comp_targetILNS1_3genE9ELNS1_11target_archE1100ELNS1_3gpuE3ELNS1_3repE0EEENS1_30default_config_static_selectorELNS0_4arch9wavefront6targetE0EEEvT1_.uses_flat_scratch, 0
	.set _ZN7rocprim17ROCPRIM_400000_NS6detail17trampoline_kernelINS0_14default_configENS1_27scan_by_key_config_selectorIxxEEZZNS1_16scan_by_key_implILNS1_25lookback_scan_determinismE0ELb0ES3_N6thrust23THRUST_200600_302600_NS6detail15normal_iteratorINS9_10device_ptrIxEEEENS9_18transform_iteratorINS9_6negateIxEESE_NS9_11use_defaultESI_EESE_xNS9_4plusIvEENS9_8equal_toIvEExEE10hipError_tPvRmT2_T3_T4_T5_mT6_T7_P12ihipStream_tbENKUlT_T0_E_clISt17integral_constantIbLb0EES13_IbLb1EEEEDaSZ_S10_EUlSZ_E_NS1_11comp_targetILNS1_3genE9ELNS1_11target_archE1100ELNS1_3gpuE3ELNS1_3repE0EEENS1_30default_config_static_selectorELNS0_4arch9wavefront6targetE0EEEvT1_.has_dyn_sized_stack, 0
	.set _ZN7rocprim17ROCPRIM_400000_NS6detail17trampoline_kernelINS0_14default_configENS1_27scan_by_key_config_selectorIxxEEZZNS1_16scan_by_key_implILNS1_25lookback_scan_determinismE0ELb0ES3_N6thrust23THRUST_200600_302600_NS6detail15normal_iteratorINS9_10device_ptrIxEEEENS9_18transform_iteratorINS9_6negateIxEESE_NS9_11use_defaultESI_EESE_xNS9_4plusIvEENS9_8equal_toIvEExEE10hipError_tPvRmT2_T3_T4_T5_mT6_T7_P12ihipStream_tbENKUlT_T0_E_clISt17integral_constantIbLb0EES13_IbLb1EEEEDaSZ_S10_EUlSZ_E_NS1_11comp_targetILNS1_3genE9ELNS1_11target_archE1100ELNS1_3gpuE3ELNS1_3repE0EEENS1_30default_config_static_selectorELNS0_4arch9wavefront6targetE0EEEvT1_.has_recursion, 0
	.set _ZN7rocprim17ROCPRIM_400000_NS6detail17trampoline_kernelINS0_14default_configENS1_27scan_by_key_config_selectorIxxEEZZNS1_16scan_by_key_implILNS1_25lookback_scan_determinismE0ELb0ES3_N6thrust23THRUST_200600_302600_NS6detail15normal_iteratorINS9_10device_ptrIxEEEENS9_18transform_iteratorINS9_6negateIxEESE_NS9_11use_defaultESI_EESE_xNS9_4plusIvEENS9_8equal_toIvEExEE10hipError_tPvRmT2_T3_T4_T5_mT6_T7_P12ihipStream_tbENKUlT_T0_E_clISt17integral_constantIbLb0EES13_IbLb1EEEEDaSZ_S10_EUlSZ_E_NS1_11comp_targetILNS1_3genE9ELNS1_11target_archE1100ELNS1_3gpuE3ELNS1_3repE0EEENS1_30default_config_static_selectorELNS0_4arch9wavefront6targetE0EEEvT1_.has_indirect_call, 0
	.section	.AMDGPU.csdata,"",@progbits
; Kernel info:
; codeLenInByte = 0
; TotalNumSgprs: 0
; NumVgprs: 0
; ScratchSize: 0
; MemoryBound: 0
; FloatMode: 240
; IeeeMode: 1
; LDSByteSize: 0 bytes/workgroup (compile time only)
; SGPRBlocks: 0
; VGPRBlocks: 0
; NumSGPRsForWavesPerEU: 1
; NumVGPRsForWavesPerEU: 1
; Occupancy: 16
; WaveLimiterHint : 0
; COMPUTE_PGM_RSRC2:SCRATCH_EN: 0
; COMPUTE_PGM_RSRC2:USER_SGPR: 6
; COMPUTE_PGM_RSRC2:TRAP_HANDLER: 0
; COMPUTE_PGM_RSRC2:TGID_X_EN: 1
; COMPUTE_PGM_RSRC2:TGID_Y_EN: 0
; COMPUTE_PGM_RSRC2:TGID_Z_EN: 0
; COMPUTE_PGM_RSRC2:TIDIG_COMP_CNT: 0
	.section	.text._ZN7rocprim17ROCPRIM_400000_NS6detail17trampoline_kernelINS0_14default_configENS1_27scan_by_key_config_selectorIxxEEZZNS1_16scan_by_key_implILNS1_25lookback_scan_determinismE0ELb0ES3_N6thrust23THRUST_200600_302600_NS6detail15normal_iteratorINS9_10device_ptrIxEEEENS9_18transform_iteratorINS9_6negateIxEESE_NS9_11use_defaultESI_EESE_xNS9_4plusIvEENS9_8equal_toIvEExEE10hipError_tPvRmT2_T3_T4_T5_mT6_T7_P12ihipStream_tbENKUlT_T0_E_clISt17integral_constantIbLb0EES13_IbLb1EEEEDaSZ_S10_EUlSZ_E_NS1_11comp_targetILNS1_3genE8ELNS1_11target_archE1030ELNS1_3gpuE2ELNS1_3repE0EEENS1_30default_config_static_selectorELNS0_4arch9wavefront6targetE0EEEvT1_,"axG",@progbits,_ZN7rocprim17ROCPRIM_400000_NS6detail17trampoline_kernelINS0_14default_configENS1_27scan_by_key_config_selectorIxxEEZZNS1_16scan_by_key_implILNS1_25lookback_scan_determinismE0ELb0ES3_N6thrust23THRUST_200600_302600_NS6detail15normal_iteratorINS9_10device_ptrIxEEEENS9_18transform_iteratorINS9_6negateIxEESE_NS9_11use_defaultESI_EESE_xNS9_4plusIvEENS9_8equal_toIvEExEE10hipError_tPvRmT2_T3_T4_T5_mT6_T7_P12ihipStream_tbENKUlT_T0_E_clISt17integral_constantIbLb0EES13_IbLb1EEEEDaSZ_S10_EUlSZ_E_NS1_11comp_targetILNS1_3genE8ELNS1_11target_archE1030ELNS1_3gpuE2ELNS1_3repE0EEENS1_30default_config_static_selectorELNS0_4arch9wavefront6targetE0EEEvT1_,comdat
	.protected	_ZN7rocprim17ROCPRIM_400000_NS6detail17trampoline_kernelINS0_14default_configENS1_27scan_by_key_config_selectorIxxEEZZNS1_16scan_by_key_implILNS1_25lookback_scan_determinismE0ELb0ES3_N6thrust23THRUST_200600_302600_NS6detail15normal_iteratorINS9_10device_ptrIxEEEENS9_18transform_iteratorINS9_6negateIxEESE_NS9_11use_defaultESI_EESE_xNS9_4plusIvEENS9_8equal_toIvEExEE10hipError_tPvRmT2_T3_T4_T5_mT6_T7_P12ihipStream_tbENKUlT_T0_E_clISt17integral_constantIbLb0EES13_IbLb1EEEEDaSZ_S10_EUlSZ_E_NS1_11comp_targetILNS1_3genE8ELNS1_11target_archE1030ELNS1_3gpuE2ELNS1_3repE0EEENS1_30default_config_static_selectorELNS0_4arch9wavefront6targetE0EEEvT1_ ; -- Begin function _ZN7rocprim17ROCPRIM_400000_NS6detail17trampoline_kernelINS0_14default_configENS1_27scan_by_key_config_selectorIxxEEZZNS1_16scan_by_key_implILNS1_25lookback_scan_determinismE0ELb0ES3_N6thrust23THRUST_200600_302600_NS6detail15normal_iteratorINS9_10device_ptrIxEEEENS9_18transform_iteratorINS9_6negateIxEESE_NS9_11use_defaultESI_EESE_xNS9_4plusIvEENS9_8equal_toIvEExEE10hipError_tPvRmT2_T3_T4_T5_mT6_T7_P12ihipStream_tbENKUlT_T0_E_clISt17integral_constantIbLb0EES13_IbLb1EEEEDaSZ_S10_EUlSZ_E_NS1_11comp_targetILNS1_3genE8ELNS1_11target_archE1030ELNS1_3gpuE2ELNS1_3repE0EEENS1_30default_config_static_selectorELNS0_4arch9wavefront6targetE0EEEvT1_
	.globl	_ZN7rocprim17ROCPRIM_400000_NS6detail17trampoline_kernelINS0_14default_configENS1_27scan_by_key_config_selectorIxxEEZZNS1_16scan_by_key_implILNS1_25lookback_scan_determinismE0ELb0ES3_N6thrust23THRUST_200600_302600_NS6detail15normal_iteratorINS9_10device_ptrIxEEEENS9_18transform_iteratorINS9_6negateIxEESE_NS9_11use_defaultESI_EESE_xNS9_4plusIvEENS9_8equal_toIvEExEE10hipError_tPvRmT2_T3_T4_T5_mT6_T7_P12ihipStream_tbENKUlT_T0_E_clISt17integral_constantIbLb0EES13_IbLb1EEEEDaSZ_S10_EUlSZ_E_NS1_11comp_targetILNS1_3genE8ELNS1_11target_archE1030ELNS1_3gpuE2ELNS1_3repE0EEENS1_30default_config_static_selectorELNS0_4arch9wavefront6targetE0EEEvT1_
	.p2align	8
	.type	_ZN7rocprim17ROCPRIM_400000_NS6detail17trampoline_kernelINS0_14default_configENS1_27scan_by_key_config_selectorIxxEEZZNS1_16scan_by_key_implILNS1_25lookback_scan_determinismE0ELb0ES3_N6thrust23THRUST_200600_302600_NS6detail15normal_iteratorINS9_10device_ptrIxEEEENS9_18transform_iteratorINS9_6negateIxEESE_NS9_11use_defaultESI_EESE_xNS9_4plusIvEENS9_8equal_toIvEExEE10hipError_tPvRmT2_T3_T4_T5_mT6_T7_P12ihipStream_tbENKUlT_T0_E_clISt17integral_constantIbLb0EES13_IbLb1EEEEDaSZ_S10_EUlSZ_E_NS1_11comp_targetILNS1_3genE8ELNS1_11target_archE1030ELNS1_3gpuE2ELNS1_3repE0EEENS1_30default_config_static_selectorELNS0_4arch9wavefront6targetE0EEEvT1_,@function
_ZN7rocprim17ROCPRIM_400000_NS6detail17trampoline_kernelINS0_14default_configENS1_27scan_by_key_config_selectorIxxEEZZNS1_16scan_by_key_implILNS1_25lookback_scan_determinismE0ELb0ES3_N6thrust23THRUST_200600_302600_NS6detail15normal_iteratorINS9_10device_ptrIxEEEENS9_18transform_iteratorINS9_6negateIxEESE_NS9_11use_defaultESI_EESE_xNS9_4plusIvEENS9_8equal_toIvEExEE10hipError_tPvRmT2_T3_T4_T5_mT6_T7_P12ihipStream_tbENKUlT_T0_E_clISt17integral_constantIbLb0EES13_IbLb1EEEEDaSZ_S10_EUlSZ_E_NS1_11comp_targetILNS1_3genE8ELNS1_11target_archE1030ELNS1_3gpuE2ELNS1_3repE0EEENS1_30default_config_static_selectorELNS0_4arch9wavefront6targetE0EEEvT1_: ; @_ZN7rocprim17ROCPRIM_400000_NS6detail17trampoline_kernelINS0_14default_configENS1_27scan_by_key_config_selectorIxxEEZZNS1_16scan_by_key_implILNS1_25lookback_scan_determinismE0ELb0ES3_N6thrust23THRUST_200600_302600_NS6detail15normal_iteratorINS9_10device_ptrIxEEEENS9_18transform_iteratorINS9_6negateIxEESE_NS9_11use_defaultESI_EESE_xNS9_4plusIvEENS9_8equal_toIvEExEE10hipError_tPvRmT2_T3_T4_T5_mT6_T7_P12ihipStream_tbENKUlT_T0_E_clISt17integral_constantIbLb0EES13_IbLb1EEEEDaSZ_S10_EUlSZ_E_NS1_11comp_targetILNS1_3genE8ELNS1_11target_archE1030ELNS1_3gpuE2ELNS1_3repE0EEENS1_30default_config_static_selectorELNS0_4arch9wavefront6targetE0EEEvT1_
; %bb.0:
	s_clause 0x4
	s_load_dwordx4 s[8:11], s[4:5], 0x0
	s_load_dwordx2 s[2:3], s[4:5], 0x10
	s_load_dwordx2 s[18:19], s[4:5], 0x20
	s_load_dwordx8 s[20:27], s[4:5], 0x38
	s_load_dwordx2 s[34:35], s[4:5], 0x58
	v_cmp_ne_u32_e64 s1, 0, v0
	v_cmp_eq_u32_e64 s0, 0, v0
	s_and_saveexec_b32 s6, s0
	s_cbranch_execz .LBB928_4
; %bb.1:
	s_mov_b32 s12, exec_lo
	s_mov_b32 s7, exec_lo
	v_mbcnt_lo_u32_b32 v1, s12, 0
                                        ; implicit-def: $vgpr2
	v_cmpx_eq_u32_e32 0, v1
	s_cbranch_execz .LBB928_3
; %bb.2:
	s_load_dwordx2 s[14:15], s[4:5], 0x88
	s_bcnt1_i32_b32 s12, s12
	v_mov_b32_e32 v2, 0
	v_mov_b32_e32 v3, s12
	s_waitcnt lgkmcnt(0)
	global_atomic_add v2, v2, v3, s[14:15] glc
.LBB928_3:
	s_or_b32 exec_lo, exec_lo, s7
	s_waitcnt vmcnt(0)
	v_readfirstlane_b32 s7, v2
	v_mov_b32_e32 v2, 0
	v_add_nc_u32_e32 v1, s7, v1
	ds_write_b32 v2, v1
.LBB928_4:
	s_or_b32 exec_lo, exec_lo, s6
	v_mov_b32_e32 v1, 0
	s_clause 0x1
	s_load_dword s6, s[4:5], 0x60
	s_load_dwordx8 s[36:43], s[4:5], 0x68
	s_waitcnt lgkmcnt(0)
	s_barrier
	buffer_gl0_inv
	ds_read_b32 v1, v1
	s_lshl_b64 s[28:29], s[10:11], 3
	s_waitcnt lgkmcnt(0)
	s_add_u32 s4, s8, s28
	s_addc_u32 s5, s9, s29
	s_add_u32 s7, s2, s28
	s_addc_u32 s9, s3, s29
	s_mov_b32 s3, 0
	s_barrier
	buffer_gl0_inv
	s_barrier
	buffer_gl0_inv
	s_mul_i32 s2, s35, s6
	s_mul_hi_u32 s8, s34, s6
	s_add_i32 s8, s8, s2
	s_cmp_lg_u64 s[40:41], 0
	v_readfirstlane_b32 s46, v1
	s_cselect_b32 s15, -1, 0
	s_mul_i32 s2, s46, 0xd00
	s_lshl_b64 s[30:31], s[2:3], 3
	s_mul_i32 s2, s34, s6
	s_add_u32 s40, s4, s30
	s_addc_u32 s41, s5, s31
	s_add_u32 s16, s7, s30
	s_addc_u32 s17, s9, s31
	;; [unrolled: 2-line block ×3, first 2 shown]
	s_add_u32 s4, s36, -1
	s_addc_u32 s5, s37, -1
	s_mul_i32 s33, s4, 0xfffff300
	v_cmp_ge_u64_e64 s27, s[44:45], s[4:5]
	s_and_b32 vcc_lo, exec_lo, s27
	s_cbranch_vccz .LBB928_76
; %bb.5:
	v_mov_b32_e32 v1, s40
	v_mov_b32_e32 v2, s41
	s_add_i32 s47, s33, s26
	v_cmp_gt_u32_e64 s2, s47, v0
	flat_load_dwordx2 v[1:2], v[1:2]
	s_waitcnt vmcnt(0) lgkmcnt(0)
	v_mov_b32_e32 v4, v2
	v_mov_b32_e32 v3, v1
	s_and_saveexec_b32 s3, s2
	s_cbranch_execz .LBB928_7
; %bb.6:
	v_lshlrev_b32_e32 v3, 3, v0
	v_add_co_u32 v3, s4, s40, v3
	v_add_co_ci_u32_e64 v4, null, s41, 0, s4
	flat_load_dwordx2 v[3:4], v[3:4]
.LBB928_7:
	s_or_b32 exec_lo, exec_lo, s3
	v_or_b32_e32 v5, 0x100, v0
	v_cmp_gt_u32_e64 s3, s47, v5
	v_lshlrev_b32_e32 v27, 3, v5
	v_mov_b32_e32 v6, v2
	v_mov_b32_e32 v5, v1
	s_and_saveexec_b32 s4, s3
	s_cbranch_execz .LBB928_9
; %bb.8:
	v_add_co_u32 v5, s5, s40, v27
	v_add_co_ci_u32_e64 v6, null, s41, 0, s5
	flat_load_dwordx2 v[5:6], v[5:6]
.LBB928_9:
	s_or_b32 exec_lo, exec_lo, s4
	v_or_b32_e32 v7, 0x200, v0
	v_cmp_gt_u32_e64 s4, s47, v7
	v_lshlrev_b32_e32 v28, 3, v7
	v_mov_b32_e32 v8, v2
	v_mov_b32_e32 v7, v1
	s_and_saveexec_b32 s5, s4
	s_cbranch_execz .LBB928_11
; %bb.10:
	v_add_co_u32 v7, s6, s40, v28
	v_add_co_ci_u32_e64 v8, null, s41, 0, s6
	flat_load_dwordx2 v[7:8], v[7:8]
.LBB928_11:
	s_or_b32 exec_lo, exec_lo, s5
	v_or_b32_e32 v9, 0x300, v0
	v_cmp_gt_u32_e64 s5, s47, v9
	v_lshlrev_b32_e32 v29, 3, v9
	v_mov_b32_e32 v10, v2
	v_mov_b32_e32 v9, v1
	s_and_saveexec_b32 s6, s5
	s_cbranch_execz .LBB928_13
; %bb.12:
	v_add_co_u32 v9, s7, s40, v29
	v_add_co_ci_u32_e64 v10, null, s41, 0, s7
	flat_load_dwordx2 v[9:10], v[9:10]
.LBB928_13:
	s_or_b32 exec_lo, exec_lo, s6
	v_or_b32_e32 v11, 0x400, v0
	v_cmp_gt_u32_e64 s6, s47, v11
	v_lshlrev_b32_e32 v30, 3, v11
	v_mov_b32_e32 v12, v2
	v_mov_b32_e32 v11, v1
	s_and_saveexec_b32 s7, s6
	s_cbranch_execz .LBB928_15
; %bb.14:
	v_add_co_u32 v11, s8, s40, v30
	v_add_co_ci_u32_e64 v12, null, s41, 0, s8
	flat_load_dwordx2 v[11:12], v[11:12]
.LBB928_15:
	s_or_b32 exec_lo, exec_lo, s7
	v_or_b32_e32 v13, 0x500, v0
	v_cmp_gt_u32_e64 s7, s47, v13
	v_lshlrev_b32_e32 v31, 3, v13
	v_mov_b32_e32 v14, v2
	v_mov_b32_e32 v13, v1
	s_and_saveexec_b32 s8, s7
	s_cbranch_execz .LBB928_17
; %bb.16:
	v_add_co_u32 v13, s9, s40, v31
	v_add_co_ci_u32_e64 v14, null, s41, 0, s9
	flat_load_dwordx2 v[13:14], v[13:14]
.LBB928_17:
	s_or_b32 exec_lo, exec_lo, s8
	v_or_b32_e32 v15, 0x600, v0
	v_cmp_gt_u32_e64 s8, s47, v15
	v_lshlrev_b32_e32 v32, 3, v15
	v_mov_b32_e32 v16, v2
	v_mov_b32_e32 v15, v1
	s_and_saveexec_b32 s9, s8
	s_cbranch_execz .LBB928_19
; %bb.18:
	v_add_co_u32 v15, s10, s40, v32
	v_add_co_ci_u32_e64 v16, null, s41, 0, s10
	flat_load_dwordx2 v[15:16], v[15:16]
.LBB928_19:
	s_or_b32 exec_lo, exec_lo, s9
	v_or_b32_e32 v17, 0x700, v0
	v_cmp_gt_u32_e64 s9, s47, v17
	v_lshlrev_b32_e32 v33, 3, v17
	v_mov_b32_e32 v18, v2
	v_mov_b32_e32 v17, v1
	s_and_saveexec_b32 s10, s9
	s_cbranch_execz .LBB928_21
; %bb.20:
	v_add_co_u32 v17, s11, s40, v33
	v_add_co_ci_u32_e64 v18, null, s41, 0, s11
	flat_load_dwordx2 v[17:18], v[17:18]
.LBB928_21:
	s_or_b32 exec_lo, exec_lo, s10
	v_or_b32_e32 v19, 0x800, v0
	v_cmp_gt_u32_e64 s10, s47, v19
	v_lshlrev_b32_e32 v34, 3, v19
	v_mov_b32_e32 v20, v2
	v_mov_b32_e32 v19, v1
	s_and_saveexec_b32 s11, s10
	s_cbranch_execz .LBB928_23
; %bb.22:
	v_add_co_u32 v19, s12, s40, v34
	v_add_co_ci_u32_e64 v20, null, s41, 0, s12
	flat_load_dwordx2 v[19:20], v[19:20]
.LBB928_23:
	s_or_b32 exec_lo, exec_lo, s11
	v_or_b32_e32 v21, 0x900, v0
	v_cmp_gt_u32_e64 s11, s47, v21
	v_lshlrev_b32_e32 v35, 3, v21
	v_mov_b32_e32 v22, v2
	v_mov_b32_e32 v21, v1
	s_and_saveexec_b32 s12, s11
	s_cbranch_execz .LBB928_25
; %bb.24:
	v_add_co_u32 v21, s13, s40, v35
	v_add_co_ci_u32_e64 v22, null, s41, 0, s13
	flat_load_dwordx2 v[21:22], v[21:22]
.LBB928_25:
	s_or_b32 exec_lo, exec_lo, s12
	v_or_b32_e32 v23, 0xa00, v0
	v_cmp_gt_u32_e64 s12, s47, v23
	v_lshlrev_b32_e32 v36, 3, v23
	v_mov_b32_e32 v24, v2
	v_mov_b32_e32 v23, v1
	s_and_saveexec_b32 s13, s12
	s_cbranch_execz .LBB928_27
; %bb.26:
	v_add_co_u32 v23, s14, s40, v36
	v_add_co_ci_u32_e64 v24, null, s41, 0, s14
	flat_load_dwordx2 v[23:24], v[23:24]
.LBB928_27:
	s_or_b32 exec_lo, exec_lo, s13
	v_or_b32_e32 v25, 0xb00, v0
	v_cmp_gt_u32_e64 s13, s47, v25
	v_lshlrev_b32_e32 v37, 3, v25
	v_mov_b32_e32 v26, v2
	v_mov_b32_e32 v25, v1
	s_and_saveexec_b32 s14, s13
	s_cbranch_execz .LBB928_29
; %bb.28:
	v_add_co_u32 v25, s36, s40, v37
	v_add_co_ci_u32_e64 v26, null, s41, 0, s36
	flat_load_dwordx2 v[25:26], v[25:26]
.LBB928_29:
	s_or_b32 exec_lo, exec_lo, s14
	v_or_b32_e32 v38, 0xc00, v0
	v_cmp_gt_u32_e64 s14, s47, v38
	v_lshlrev_b32_e32 v38, 3, v38
	s_and_saveexec_b32 s36, s14
	s_cbranch_execz .LBB928_31
; %bb.30:
	v_add_co_u32 v1, s37, s40, v38
	v_add_co_ci_u32_e64 v2, null, s41, 0, s37
	flat_load_dwordx2 v[1:2], v[1:2]
.LBB928_31:
	s_or_b32 exec_lo, exec_lo, s36
	v_lshlrev_b32_e32 v39, 3, v0
	s_cmp_eq_u64 s[44:45], 0
	s_mov_b64 s[36:37], s[40:41]
	s_waitcnt vmcnt(0) lgkmcnt(0)
	ds_write2st64_b64 v39, v[3:4], v[5:6] offset1:4
	ds_write2st64_b64 v39, v[7:8], v[9:10] offset0:8 offset1:12
	ds_write2st64_b64 v39, v[11:12], v[13:14] offset0:16 offset1:20
	;; [unrolled: 1-line block ×5, first 2 shown]
	v_mad_u32_u24 v102, 0x60, v0, v39
	ds_write_b64 v39, v[1:2] offset:24576
	s_waitcnt lgkmcnt(0)
	s_barrier
	buffer_gl0_inv
	ds_read2_b64 v[65:68], v102 offset0:2 offset1:3
	ds_read2_b64 v[57:60], v102 offset0:3 offset1:4
	ds_read2_b64 v[69:72], v102 offset1:1
	ds_read2_b64 v[73:76], v102 offset0:1 offset1:2
	ds_read2_b64 v[49:52], v102 offset0:7 offset1:8
	;; [unrolled: 1-line block ×5, first 2 shown]
	s_cbranch_scc1 .LBB928_35
; %bb.32:
	s_andn2_b32 vcc_lo, exec_lo, s15
	s_cbranch_vccnz .LBB928_241
; %bb.33:
	s_lshl_b64 s[36:37], s[44:45], 3
	s_add_u32 s36, s42, s36
	s_addc_u32 s37, s43, s37
	s_add_u32 s36, s36, -8
	s_addc_u32 s37, s37, -1
	s_cbranch_execnz .LBB928_35
.LBB928_34:
	s_add_u32 s36, s40, -8
	s_addc_u32 s37, s41, -1
.LBB928_35:
	v_mov_b32_e32 v1, s36
	v_mov_b32_e32 v2, s37
	flat_load_dwordx2 v[11:12], v[1:2]
	v_mad_i32_i24 v1, 0xffffffa0, v0, v102
	s_waitcnt lgkmcnt(1)
	ds_write_b64 v1, v[47:48] offset:26624
	s_waitcnt vmcnt(0) lgkmcnt(0)
	s_barrier
	buffer_gl0_inv
	s_and_saveexec_b32 s36, s1
; %bb.36:
	v_mul_i32_i24_e32 v1, 0xffffffa0, v0
	v_add_nc_u32_e32 v1, v102, v1
	ds_read_b64 v[11:12], v1 offset:26616
; %bb.37:
	s_or_b32 exec_lo, exec_lo, s36
	s_waitcnt lgkmcnt(0)
	s_barrier
	buffer_gl0_inv
                                        ; implicit-def: $vgpr1_vgpr2
	s_and_saveexec_b32 s36, s2
	s_cbranch_execnz .LBB928_229
; %bb.38:
	s_or_b32 exec_lo, exec_lo, s36
                                        ; implicit-def: $vgpr3_vgpr4
	s_and_saveexec_b32 s2, s3
	s_cbranch_execnz .LBB928_230
.LBB928_39:
	s_or_b32 exec_lo, exec_lo, s2
                                        ; implicit-def: $vgpr5_vgpr6
	s_and_saveexec_b32 s2, s4
	s_cbranch_execnz .LBB928_231
.LBB928_40:
	s_or_b32 exec_lo, exec_lo, s2
                                        ; implicit-def: $vgpr7_vgpr8
	s_and_saveexec_b32 s2, s5
	s_cbranch_execnz .LBB928_232
.LBB928_41:
	s_or_b32 exec_lo, exec_lo, s2
                                        ; implicit-def: $vgpr9_vgpr10
	s_and_saveexec_b32 s2, s6
	s_cbranch_execnz .LBB928_233
.LBB928_42:
	s_or_b32 exec_lo, exec_lo, s2
                                        ; implicit-def: $vgpr13_vgpr14
	s_and_saveexec_b32 s2, s7
	s_cbranch_execnz .LBB928_234
.LBB928_43:
	s_or_b32 exec_lo, exec_lo, s2
                                        ; implicit-def: $vgpr15_vgpr16
	s_and_saveexec_b32 s2, s8
	s_cbranch_execnz .LBB928_235
.LBB928_44:
	s_or_b32 exec_lo, exec_lo, s2
                                        ; implicit-def: $vgpr17_vgpr18
	s_and_saveexec_b32 s2, s9
	s_cbranch_execnz .LBB928_236
.LBB928_45:
	s_or_b32 exec_lo, exec_lo, s2
                                        ; implicit-def: $vgpr19_vgpr20
	s_and_saveexec_b32 s2, s10
	s_cbranch_execnz .LBB928_237
.LBB928_46:
	s_or_b32 exec_lo, exec_lo, s2
                                        ; implicit-def: $vgpr21_vgpr22
	s_and_saveexec_b32 s2, s11
	s_cbranch_execnz .LBB928_238
.LBB928_47:
	s_or_b32 exec_lo, exec_lo, s2
                                        ; implicit-def: $vgpr23_vgpr24
	s_and_saveexec_b32 s2, s12
	s_cbranch_execnz .LBB928_239
.LBB928_48:
	s_or_b32 exec_lo, exec_lo, s2
                                        ; implicit-def: $vgpr25_vgpr26
	s_and_saveexec_b32 s2, s13
	s_cbranch_execnz .LBB928_240
.LBB928_49:
	s_or_b32 exec_lo, exec_lo, s2
                                        ; implicit-def: $vgpr27_vgpr28
	s_and_saveexec_b32 s2, s14
	s_cbranch_execz .LBB928_51
.LBB928_50:
	global_load_dwordx2 v[27:28], v38, s[16:17]
	s_waitcnt vmcnt(0)
	v_sub_co_u32 v27, vcc_lo, 0, v27
	v_sub_co_ci_u32_e64 v28, null, 0, v28, vcc_lo
.LBB928_51:
	s_or_b32 exec_lo, exec_lo, s2
	v_mul_u32_u24_e32 v104, 13, v0
	ds_write2st64_b64 v39, v[1:2], v[3:4] offset1:4
	ds_write2st64_b64 v39, v[5:6], v[7:8] offset0:8 offset1:12
	ds_write2st64_b64 v39, v[9:10], v[13:14] offset0:16 offset1:20
	;; [unrolled: 1-line block ×5, first 2 shown]
	ds_write_b64 v39, v[27:28] offset:24576
	v_mov_b32_e32 v5, 0
	v_mov_b32_e32 v29, 0
	;; [unrolled: 1-line block ×22, first 2 shown]
	v_cmp_gt_u32_e32 vcc_lo, s47, v104
	v_mov_b32_e32 v99, 0
	v_mov_b32_e32 v6, 0
	;; [unrolled: 1-line block ×45, first 2 shown]
	s_mov_b32 s6, 0
	s_mov_b32 s3, 0
	s_waitcnt lgkmcnt(0)
	s_barrier
	buffer_gl0_inv
                                        ; implicit-def: $sgpr7
                                        ; implicit-def: $vgpr35_vgpr36
	s_and_saveexec_b32 s8, vcc_lo
	s_cbranch_execz .LBB928_75
; %bb.52:
	ds_read_b64 v[1:2], v102
	v_add_nc_u32_e32 v3, 1, v104
	v_mov_b32_e32 v5, 0
	v_mov_b32_e32 v29, 0
	v_mov_b32_e32 v27, 0
	v_mov_b32_e32 v33, 0
	v_cmp_gt_u32_e64 s2, s47, v3
	v_mov_b32_e32 v31, 0
	v_mov_b32_e32 v39, 0
	;; [unrolled: 1-line block ×59, first 2 shown]
	v_cmp_ne_u64_e32 vcc_lo, v[11:12], v[69:70]
                                        ; implicit-def: $sgpr7
                                        ; implicit-def: $vgpr35_vgpr36
	s_and_saveexec_b32 s9, s2
	s_cbranch_execz .LBB928_74
; %bb.53:
	ds_read2_b64 v[9:12], v102 offset0:1 offset1:2
	v_cmp_ne_u64_e64 s2, v[71:72], v[75:76]
	v_cmp_ne_u64_e64 s4, v[69:70], v[73:74]
	v_add_nc_u32_e32 v5, 2, v104
	v_cmp_ne_u64_e64 s3, v[67:68], v[59:60]
	v_mov_b32_e32 v29, 0
	v_mov_b32_e32 v27, 0
	v_cndmask_b32_e64 v3, 0, 1, s2
	v_cmp_ne_u64_e64 s2, v[65:66], v[57:58]
	v_cndmask_b32_e64 v4, 0, 1, s4
	v_cmp_gt_u32_e64 s4, s47, v5
	v_mov_b32_e32 v5, 0
	v_mov_b32_e32 v33, 0
	;; [unrolled: 1-line block ×17, first 2 shown]
	v_lshlrev_b16 v3, 8, v3
	v_mov_b32_e32 v99, 0
	v_mov_b32_e32 v6, 0
	;; [unrolled: 1-line block ×38, first 2 shown]
	s_mov_b32 s5, 0
                                        ; implicit-def: $sgpr7
                                        ; implicit-def: $vgpr35_vgpr36
	s_and_saveexec_b32 s10, s4
	s_cbranch_execz .LBB928_73
; %bb.54:
	v_cndmask_b32_e64 v7, 0, 1, s3
	v_cndmask_b32_e64 v8, 0, 1, s2
	v_add_nc_u32_e32 v13, 3, v104
	v_mov_b32_e32 v5, 0
	v_mov_b32_e32 v29, 0
	v_lshlrev_b16 v7, 8, v7
	v_mov_b32_e32 v27, 0
	v_mov_b32_e32 v33, 0
	;; [unrolled: 1-line block ×4, first 2 shown]
	v_or_b32_e32 v53, v8, v7
	v_mov_b32_e32 v37, 0
	v_mov_b32_e32 v55, 0
	v_cmp_gt_u32_e64 s2, s47, v13
	v_mov_b32_e32 v77, 0
	v_lshlrev_b32_e32 v54, 16, v53
	v_mov_b32_e32 v25, 0
	v_mov_b32_e32 v79, 0
	;; [unrolled: 1-line block ×4, first 2 shown]
	v_or_b32_sdwa v7, v3, v54 dst_sel:DWORD dst_unused:UNUSED_PAD src0_sel:WORD_0 src1_sel:DWORD
	v_mov_b32_e32 v17, 0
	v_mov_b32_e32 v19, 0
	;; [unrolled: 1-line block ×4, first 2 shown]
	v_lshrrev_b32_e32 v93, 8, v7
	v_mov_b32_e32 v7, 0
	v_mov_b32_e32 v6, 0
	;; [unrolled: 1-line block ×34, first 2 shown]
	s_mov_b32 s3, 0
                                        ; implicit-def: $sgpr7
                                        ; implicit-def: $vgpr35_vgpr36
	s_and_saveexec_b32 s11, s2
	s_cbranch_execz .LBB928_72
; %bb.55:
	ds_read2_b64 v[13:16], v102 offset0:3 offset1:4
	v_add_nc_u32_e32 v7, 4, v104
	v_mov_b32_e32 v5, 0
	v_mov_b32_e32 v29, 0
	;; [unrolled: 1-line block ×4, first 2 shown]
	v_cmp_gt_u32_e64 s2, s47, v7
	v_mov_b32_e32 v31, 0
	v_mov_b32_e32 v39, 0
	;; [unrolled: 1-line block ×41, first 2 shown]
                                        ; implicit-def: $sgpr7
                                        ; implicit-def: $vgpr35_vgpr36
	s_and_saveexec_b32 s12, s2
	s_cbranch_execz .LBB928_71
; %bb.56:
	v_add_nc_u32_e32 v7, 5, v104
	v_mov_b32_e32 v5, 0
	v_mov_b32_e32 v29, 0
	;; [unrolled: 1-line block ×4, first 2 shown]
	v_cmp_gt_u32_e64 s2, s47, v7
	v_mov_b32_e32 v31, 0
	v_mov_b32_e32 v39, 0
	;; [unrolled: 1-line block ×34, first 2 shown]
                                        ; implicit-def: $sgpr7
                                        ; implicit-def: $vgpr35_vgpr36
	s_and_saveexec_b32 s13, s2
	s_cbranch_execz .LBB928_70
; %bb.57:
	ds_read2_b64 v[17:20], v102 offset0:5 offset1:6
	v_cmp_ne_u64_e64 s2, v[61:62], v[63:64]
	v_cmp_ne_u64_e64 s4, v[59:60], v[61:62]
	v_add_nc_u32_e32 v6, 6, v104
	v_cmp_ne_u64_e64 s3, v[49:50], v[51:52]
	v_mov_b32_e32 v29, 0
	v_mov_b32_e32 v27, 0
	v_cndmask_b32_e64 v5, 0, 1, s2
	v_cmp_ne_u64_e64 s2, v[63:64], v[49:50]
	v_cndmask_b32_e64 v38, 0, 1, s4
	v_cmp_gt_u32_e64 s4, s47, v6
	v_mov_b32_e32 v33, 0
	v_lshlrev_b16 v37, 8, v5
	v_mov_b32_e32 v5, 0
	v_mov_b32_e32 v31, 0
	;; [unrolled: 1-line block ×30, first 2 shown]
                                        ; implicit-def: $sgpr7
                                        ; implicit-def: $vgpr35_vgpr36
	s_and_saveexec_b32 s14, s4
	s_cbranch_execz .LBB928_69
; %bb.58:
	v_cndmask_b32_e64 v5, 0, 1, s3
	v_cndmask_b32_e64 v7, 0, 1, s2
	v_mov_b32_e32 v29, 0
	v_mov_b32_e32 v27, 0
	;; [unrolled: 1-line block ×3, first 2 shown]
	v_lshlrev_b16 v8, 8, v5
	v_mov_b32_e32 v5, 0
	v_mov_b32_e32 v77, 0
	;; [unrolled: 1-line block ×4, first 2 shown]
	v_or_b32_e32 v31, v7, v8
	v_mov_b32_e32 v7, 0
	v_mov_b32_e32 v21, 0
	v_add_nc_u32_e32 v23, 7, v104
	v_mov_b32_e32 v98, 0
	v_lshlrev_b32_e32 v32, 16, v31
	v_mov_b32_e32 v6, 0
	v_mov_b32_e32 v97, 0
	;; [unrolled: 1-line block ×4, first 2 shown]
	v_or_b32_sdwa v24, v37, v32 dst_sel:DWORD dst_unused:UNUSED_PAD src0_sel:WORD_0 src1_sel:DWORD
	v_mov_b32_e32 v30, 0
	v_mov_b32_e32 v28, 0
	;; [unrolled: 1-line block ×11, first 2 shown]
	v_lshrrev_b32_e32 v95, 8, v24
	v_mov_b32_e32 v83, 0
	s_mov_b32 s3, 0
	s_mov_b32 s36, exec_lo
                                        ; implicit-def: $sgpr7
                                        ; implicit-def: $vgpr35_vgpr36
	v_cmpx_gt_u32_e64 s47, v23
	s_cbranch_execz .LBB928_68
; %bb.59:
	ds_read2_b64 v[21:24], v102 offset0:7 offset1:8
	v_add_nc_u32_e32 v7, 8, v104
	v_mov_b32_e32 v5, 0
	v_mov_b32_e32 v29, 0
	;; [unrolled: 1-line block ×4, first 2 shown]
	v_cmp_gt_u32_e64 s2, s47, v7
	v_mov_b32_e32 v7, 0
	v_mov_b32_e32 v25, 0
	;; [unrolled: 1-line block ×16, first 2 shown]
                                        ; implicit-def: $sgpr7
                                        ; implicit-def: $vgpr35_vgpr36
	s_and_saveexec_b32 s37, s2
	s_cbranch_execz .LBB928_67
; %bb.60:
	v_add_nc_u32_e32 v7, 9, v104
	v_mov_b32_e32 v5, 0
	v_mov_b32_e32 v29, 0
	;; [unrolled: 1-line block ×4, first 2 shown]
	v_cmp_gt_u32_e64 s2, s47, v7
	v_mov_b32_e32 v7, 0
	v_mov_b32_e32 v6, 0
	;; [unrolled: 1-line block ×10, first 2 shown]
                                        ; implicit-def: $sgpr7
                                        ; implicit-def: $vgpr35_vgpr36
	s_and_saveexec_b32 s48, s2
	s_cbranch_execz .LBB928_66
; %bb.61:
	ds_read2_b64 v[25:28], v102 offset0:9 offset1:10
	v_add_nc_u32_e32 v5, 10, v104
	v_cmp_ne_u64_e64 s2, v[51:52], v[41:42]
	v_mov_b32_e32 v7, 0
	v_mov_b32_e32 v77, 0
	;; [unrolled: 1-line block ×3, first 2 shown]
	v_cmp_gt_u32_e64 s3, s47, v5
	v_mov_b32_e32 v5, 0
	v_mov_b32_e32 v6, 0
	;; [unrolled: 1-line block ×5, first 2 shown]
	s_mov_b32 s4, 0
                                        ; implicit-def: $sgpr7
                                        ; implicit-def: $vgpr35_vgpr36
	s_and_saveexec_b32 s49, s3
	s_cbranch_execz .LBB928_65
; %bb.62:
	v_cmp_ne_u64_e64 s3, v[41:42], v[43:44]
	v_mov_b32_e32 v7, 0
	v_add_nc_u32_e32 v5, 11, v104
	v_mov_b32_e32 v8, 0
	v_mov_b32_e32 v81, 0
	s_mov_b32 s50, exec_lo
                                        ; implicit-def: $sgpr7
                                        ; implicit-def: $vgpr35_vgpr36
	v_cmpx_gt_u32_e64 s47, v5
	s_xor_b32 s50, exec_lo, s50
	s_cbranch_execz .LBB928_64
; %bb.63:
	ds_read2_b64 v[33:36], v102 offset0:11 offset1:12
	v_add_nc_u32_e32 v5, 12, v104
	v_cmp_ne_u64_e64 s5, v[43:44], v[45:46]
	v_cmp_ne_u64_e64 s7, v[45:46], v[47:48]
	v_cmp_gt_u32_e64 s4, s47, v5
	v_cndmask_b32_e64 v81, 0, 1, s5
	s_and_b32 s5, s4, exec_lo
	s_waitcnt lgkmcnt(0)
	v_mov_b32_e32 v7, v33
	v_mov_b32_e32 v8, v34
.LBB928_64:
	s_or_b32 exec_lo, exec_lo, s50
	s_waitcnt lgkmcnt(0)
	v_mov_b32_e32 v5, v27
	v_mov_b32_e32 v78, v28
	v_cndmask_b32_e64 v94, 0, 1, s3
	v_mov_b32_e32 v6, v28
	v_mov_b32_e32 v77, v27
	s_and_b32 s4, s5, exec_lo
.LBB928_65:
	s_or_b32 exec_lo, exec_lo, s49
	v_cndmask_b32_e64 v96, 0, 1, s2
	s_waitcnt lgkmcnt(0)
	v_mov_b32_e32 v30, v26
	v_mov_b32_e32 v29, v25
	s_and_b32 s3, s4, exec_lo
	v_mov_b32_e32 v83, v96
.LBB928_66:
	s_or_b32 exec_lo, exec_lo, s48
	s_waitcnt lgkmcnt(0)
	v_mov_b32_e32 v28, v24
	v_mov_b32_e32 v80, v24
	v_lshrrev_b32_e32 v97, 24, v32
	v_mov_b32_e32 v27, v23
	v_mov_b32_e32 v82, v94
	;; [unrolled: 1-line block ×3, first 2 shown]
	s_and_b32 s3, s3, exec_lo
.LBB928_67:
	s_or_b32 exec_lo, exec_lo, s37
	s_waitcnt lgkmcnt(0)
	v_mov_b32_e32 v34, v22
	v_mov_b32_e32 v98, v31
	;; [unrolled: 1-line block ×4, first 2 shown]
	s_and_b32 s3, s3, exec_lo
.LBB928_68:
	s_or_b32 exec_lo, exec_lo, s36
	s_waitcnt lgkmcnt(0)
	v_mov_b32_e32 v32, v20
	v_mov_b32_e32 v24, v20
	;; [unrolled: 1-line block ×6, first 2 shown]
	s_and_b32 s5, s3, exec_lo
.LBB928_69:
	s_or_b32 exec_lo, exec_lo, s14
	s_waitcnt lgkmcnt(0)
	v_mov_b32_e32 v40, v18
	v_or_b32_e32 v99, v38, v37
	v_mov_b32_e32 v39, v17
	s_and_b32 s3, s5, exec_lo
.LBB928_70:
	s_or_b32 exec_lo, exec_lo, s13
	v_lshrrev_b32_e32 v100, 24, v54
	s_waitcnt lgkmcnt(0)
	v_mov_b32_e32 v38, v16
	v_mov_b32_e32 v20, v16
	;; [unrolled: 1-line block ×6, first 2 shown]
	s_and_b32 s3, s3, exec_lo
.LBB928_71:
	s_or_b32 exec_lo, exec_lo, s12
	s_waitcnt lgkmcnt(0)
	v_mov_b32_e32 v56, v14
	v_mov_b32_e32 v101, v53
	;; [unrolled: 1-line block ×4, first 2 shown]
	s_and_b32 s3, s3, exec_lo
.LBB928_72:
	s_or_b32 exec_lo, exec_lo, s11
	s_waitcnt lgkmcnt(0)
	v_mov_b32_e32 v54, v12
	v_mov_b32_e32 v16, v12
	;; [unrolled: 1-line block ×5, first 2 shown]
	s_and_b32 s5, s3, exec_lo
.LBB928_73:
	s_or_b32 exec_lo, exec_lo, s10
	v_or_b32_e32 v103, v4, v3
	s_waitcnt lgkmcnt(0)
	v_mov_b32_e32 v3, v9
	v_mov_b32_e32 v4, v10
	s_and_b32 s3, s5, exec_lo
	v_mov_b32_e32 v92, v103
.LBB928_74:
	s_or_b32 exec_lo, exec_lo, s9
	v_cndmask_b32_e64 v105, 0, 1, vcc_lo
	s_and_b32 s3, s3, exec_lo
	v_mov_b32_e32 v87, v105
.LBB928_75:
	s_or_b32 exec_lo, exec_lo, s8
	v_lshlrev_b32_e32 v57, 3, v0
	s_and_b32 vcc_lo, exec_lo, s6
	s_cbranch_vccnz .LBB928_77
	s_branch .LBB928_85
.LBB928_76:
                                        ; implicit-def: $sgpr7
                                        ; implicit-def: $vgpr99
                                        ; implicit-def: $vgpr95
                                        ; implicit-def: $vgpr98
                                        ; implicit-def: $vgpr97
                                        ; implicit-def: $vgpr103
                                        ; implicit-def: $vgpr93
                                        ; implicit-def: $vgpr101
                                        ; implicit-def: $vgpr100
                                        ; implicit-def: $vgpr35_vgpr36
                                        ; implicit-def: $vgpr94
                                        ; implicit-def: $vgpr5_vgpr6
                                        ; implicit-def: $vgpr96
                                        ; implicit-def: $vgpr29_vgpr30
                                        ; implicit-def: $vgpr33_vgpr34
                                        ; implicit-def: $vgpr39_vgpr40
                                        ; implicit-def: $vgpr55_vgpr56
                                        ; implicit-def: $vgpr3_vgpr4
                                        ; implicit-def: $vgpr105
                                        ; implicit-def: $vgpr88
                                        ; implicit-def: $vgpr86
                                        ; implicit-def: $vgpr85
                                        ; implicit-def: $vgpr84
                                        ; implicit-def: $vgpr92
                                        ; implicit-def: $vgpr91
                                        ; implicit-def: $vgpr90
                                        ; implicit-def: $vgpr89
                                        ; implicit-def: $vgpr81
                                        ; implicit-def: $vgpr82
                                        ; implicit-def: $vgpr77_vgpr78
                                        ; implicit-def: $vgpr83
                                        ; implicit-def: $vgpr25_vgpr26
                                        ; implicit-def: $vgpr79_vgpr80
                                        ; implicit-def: $vgpr21_vgpr22
                                        ; implicit-def: $vgpr23_vgpr24
                                        ; implicit-def: $vgpr17_vgpr18
                                        ; implicit-def: $vgpr19_vgpr20
                                        ; implicit-def: $vgpr13_vgpr14
                                        ; implicit-def: $vgpr15_vgpr16
                                        ; implicit-def: $vgpr9_vgpr10
                                        ; implicit-def: $vgpr87
	v_lshlrev_b32_e32 v57, 3, v0
	s_cbranch_execz .LBB928_85
.LBB928_77:
	s_waitcnt lgkmcnt(0)
	v_add_co_u32 v1, s2, s40, v57
	v_add_co_ci_u32_e64 v2, null, s41, 0, s2
	v_mad_u32_u24 v35, 0x60, v0, v57
	v_add_co_u32 v3, vcc_lo, 0x800, v1
	v_add_co_ci_u32_e64 v4, null, 0, v2, vcc_lo
	v_add_co_u32 v5, vcc_lo, 0x1000, v1
	v_add_co_ci_u32_e64 v6, null, 0, v2, vcc_lo
	;; [unrolled: 2-line block ×10, first 2 shown]
	v_add_co_u32 v25, vcc_lo, 0x5800, v1
	s_clause 0x7
	flat_load_dwordx2 v[17:18], v[1:2]
	flat_load_dwordx2 v[3:4], v[3:4]
	;; [unrolled: 1-line block ×8, first 2 shown]
	v_add_co_ci_u32_e64 v26, null, 0, v2, vcc_lo
	v_add_co_u32 v1, vcc_lo, 0x6000, v1
	v_add_co_ci_u32_e64 v2, null, 0, v2, vcc_lo
	s_clause 0x4
	flat_load_dwordx2 v[19:20], v[19:20]
	flat_load_dwordx2 v[21:22], v[21:22]
	;; [unrolled: 1-line block ×5, first 2 shown]
	s_cmp_eq_u64 s[44:45], 0
	s_waitcnt vmcnt(11) lgkmcnt(11)
	ds_write2st64_b64 v57, v[17:18], v[3:4] offset1:4
	s_waitcnt vmcnt(9) lgkmcnt(10)
	ds_write2st64_b64 v57, v[5:6], v[7:8] offset0:8 offset1:12
	s_waitcnt vmcnt(7) lgkmcnt(9)
	ds_write2st64_b64 v57, v[9:10], v[11:12] offset0:16 offset1:20
	;; [unrolled: 2-line block ×5, first 2 shown]
	s_waitcnt vmcnt(0) lgkmcnt(6)
	ds_write_b64 v57, v[1:2] offset:24576
	s_waitcnt lgkmcnt(0)
	s_barrier
	buffer_gl0_inv
	ds_read2_b64 v[1:4], v35 offset0:2 offset1:3
	ds_read2_b64 v[9:12], v35 offset0:3 offset1:4
	ds_read2_b64 v[5:8], v35 offset1:1
	ds_read2_b64 v[13:16], v35 offset0:1 offset1:2
	ds_read2_b64 v[17:20], v35 offset0:7 offset1:8
	;; [unrolled: 1-line block ×5, first 2 shown]
	s_cbranch_scc1 .LBB928_82
; %bb.78:
	s_andn2_b32 vcc_lo, exec_lo, s15
	s_cbranch_vccnz .LBB928_242
; %bb.79:
	s_lshl_b64 s[2:3], s[44:45], 3
	s_add_u32 s2, s42, s2
	s_addc_u32 s3, s43, s3
	s_add_u32 s2, s2, -8
	s_addc_u32 s3, s3, -1
	s_cbranch_execnz .LBB928_81
.LBB928_80:
	s_add_u32 s2, s40, -8
	s_addc_u32 s3, s41, -1
.LBB928_81:
	s_mov_b64 s[40:41], s[2:3]
.LBB928_82:
	v_mov_b32_e32 v33, s40
	v_mov_b32_e32 v34, s41
	v_mad_i32_i24 v36, 0xffffffa0, v0, v35
	flat_load_dwordx2 v[33:34], v[33:34]
	s_waitcnt lgkmcnt(1)
	ds_write_b64 v36, v[31:32] offset:26624
	s_waitcnt vmcnt(0) lgkmcnt(0)
	s_barrier
	buffer_gl0_inv
	s_and_saveexec_b32 s2, s1
; %bb.83:
	v_mul_i32_i24_e32 v33, 0xffffffa0, v0
	v_add_nc_u32_e32 v33, v35, v33
	ds_read_b64 v[33:34], v33 offset:26616
; %bb.84:
	s_or_b32 exec_lo, exec_lo, s2
	v_add_co_u32 v56, s2, s16, v57
	v_add_co_ci_u32_e64 v61, null, s17, 0, s2
	s_waitcnt lgkmcnt(0)
	v_add_co_u32 v36, vcc_lo, v56, 0x1000
	v_add_co_ci_u32_e64 v37, null, 0, v61, vcc_lo
	v_add_co_u32 v42, vcc_lo, v56, 0x2000
	s_barrier
	buffer_gl0_inv
	s_clause 0x2
	global_load_dwordx2 v[38:39], v57, s[16:17]
	global_load_dwordx2 v[40:41], v[36:37], off offset:-2048
	global_load_dwordx2 v[36:37], v[36:37], off
	v_add_co_ci_u32_e64 v43, null, 0, v61, vcc_lo
	v_add_co_u32 v44, vcc_lo, v56, 0x3000
	v_add_co_ci_u32_e64 v45, null, 0, v61, vcc_lo
	v_add_co_u32 v50, vcc_lo, v56, 0x4000
	s_clause 0x2
	global_load_dwordx2 v[46:47], v[42:43], off offset:-2048
	global_load_dwordx2 v[42:43], v[42:43], off
	global_load_dwordx2 v[48:49], v[44:45], off offset:-2048
	v_add_co_ci_u32_e64 v51, null, 0, v61, vcc_lo
	v_add_co_u32 v54, vcc_lo, v56, 0x5000
	s_clause 0x1
	global_load_dwordx2 v[44:45], v[44:45], off
	global_load_dwordx2 v[52:53], v[50:51], off offset:-2048
	v_add_co_ci_u32_e64 v55, null, 0, v61, vcc_lo
	v_add_co_u32 v60, vcc_lo, v56, 0x6000
	s_clause 0x1
	global_load_dwordx2 v[50:51], v[50:51], off
	global_load_dwordx2 v[58:59], v[54:55], off offset:-2048
	v_add_co_ci_u32_e64 v61, null, 0, v61, vcc_lo
	s_clause 0x2
	global_load_dwordx2 v[54:55], v[54:55], off
	global_load_dwordx2 v[62:63], v[60:61], off offset:-2048
	global_load_dwordx2 v[60:61], v[60:61], off
	v_cmp_ne_u64_e32 vcc_lo, v[27:28], v[29:30]
	v_cmp_ne_u64_e64 s7, v[29:30], v[31:32]
	s_mov_b32 s3, -1
	v_cndmask_b32_e64 v81, 0, 1, vcc_lo
	v_cmp_ne_u64_e32 vcc_lo, v[25:26], v[27:28]
	v_cndmask_b32_e64 v94, 0, 1, vcc_lo
	v_cmp_ne_u64_e32 vcc_lo, v[19:20], v[25:26]
	v_mov_b32_e32 v82, v94
	v_cndmask_b32_e64 v96, 0, 1, vcc_lo
	v_cmp_ne_u64_e32 vcc_lo, v[21:22], v[23:24]
	v_mov_b32_e32 v83, v96
	v_cndmask_b32_e64 v25, 0, 1, vcc_lo
	v_cmp_ne_u64_e32 vcc_lo, v[11:12], v[21:22]
	v_lshlrev_b16 v64, 8, v25
	v_cndmask_b32_e64 v21, 0, 1, vcc_lo
	v_cmp_ne_u64_e32 vcc_lo, v[17:18], v[19:20]
	v_or_b32_e32 v99, v21, v64
	v_cndmask_b32_e64 v19, 0, 1, vcc_lo
	v_cmp_ne_u64_e32 vcc_lo, v[23:24], v[17:18]
	v_mov_b32_e32 v88, v99
	v_cndmask_b32_e64 v17, 0, 1, vcc_lo
	v_cmp_ne_u64_e32 vcc_lo, v[7:8], v[15:16]
	v_cndmask_b32_e64 v7, 0, 1, vcc_lo
	v_cmp_ne_u64_e32 vcc_lo, v[5:6], v[13:14]
	v_lshlrev_b16 v65, 8, v7
	v_cndmask_b32_e64 v8, 0, 1, vcc_lo
	v_cmp_ne_u64_e32 vcc_lo, v[3:4], v[11:12]
	v_or_b32_e32 v103, v8, v65
	v_cndmask_b32_e64 v3, 0, 1, vcc_lo
	v_cmp_ne_u64_e32 vcc_lo, v[1:2], v[9:10]
	v_lshlrev_b16 v2, 8, v19
	v_mov_b32_e32 v92, v103
	v_lshlrev_b16 v3, 8, v3
	v_cndmask_b32_e64 v1, 0, 1, vcc_lo
	v_cmp_ne_u64_e32 vcc_lo, v[33:34], v[5:6]
	v_or_b32_e32 v98, v17, v2
	v_or_b32_e32 v101, v1, v3
	v_cndmask_b32_e64 v105, 0, 1, vcc_lo
	v_lshlrev_b32_e32 v66, 16, v98
	v_mov_b32_e32 v85, v98
	v_lshlrev_b32_e32 v67, 16, v101
	v_mov_b32_e32 v90, v101
	v_mov_b32_e32 v87, v105
	v_lshrrev_b32_e32 v97, 24, v66
	v_lshrrev_b32_e32 v100, 24, v67
	v_mov_b32_e32 v84, v97
	v_mov_b32_e32 v89, v100
	s_waitcnt vmcnt(12)
	v_sub_co_u32 v1, vcc_lo, 0, v38
	v_sub_co_ci_u32_e64 v2, null, 0, v39, vcc_lo
	s_waitcnt vmcnt(11)
	v_sub_co_u32 v3, vcc_lo, 0, v40
	v_sub_co_ci_u32_e64 v4, null, 0, v41, vcc_lo
	;; [unrolled: 3-line block ×13, first 2 shown]
	ds_write2st64_b64 v57, v[1:2], v[3:4] offset1:4
	ds_write2st64_b64 v57, v[5:6], v[7:8] offset0:8 offset1:12
	ds_write2st64_b64 v57, v[9:10], v[11:12] offset0:16 offset1:20
	;; [unrolled: 1-line block ×5, first 2 shown]
	ds_write_b64 v57, v[25:26] offset:24576
	s_waitcnt lgkmcnt(0)
	s_barrier
	buffer_gl0_inv
	ds_read2_b64 v[27:30], v35 offset0:8 offset1:9
	ds_read2_b64 v[5:8], v35 offset0:10 offset1:11
	;; [unrolled: 1-line block ×4, first 2 shown]
	ds_read2_b64 v[1:4], v35 offset1:1
	ds_read2_b64 v[53:56], v35 offset0:2 offset1:3
	ds_read_b64 v[35:36], v35 offset:96
	v_or_b32_sdwa v9, v64, v66 dst_sel:DWORD dst_unused:UNUSED_PAD src0_sel:WORD_0 src1_sel:DWORD
	v_or_b32_sdwa v10, v65, v67 dst_sel:DWORD dst_unused:UNUSED_PAD src0_sel:WORD_0 src1_sel:DWORD
	v_lshrrev_b32_e32 v95, 8, v9
	v_lshrrev_b32_e32 v93, 8, v10
	v_mov_b32_e32 v86, v95
	v_mov_b32_e32 v91, v93
	s_waitcnt lgkmcnt(6)
	v_mov_b32_e32 v25, v29
	s_waitcnt lgkmcnt(5)
	v_mov_b32_e32 v78, v6
	v_mov_b32_e32 v80, v28
	s_waitcnt lgkmcnt(3)
	v_mov_b32_e32 v21, v33
	v_mov_b32_e32 v23, v31
	;; [unrolled: 1-line block ×4, first 2 shown]
	s_waitcnt lgkmcnt(1)
	v_mov_b32_e32 v13, v55
	v_mov_b32_e32 v15, v53
	;; [unrolled: 1-line block ×13, first 2 shown]
.LBB928_85:
	v_mov_b32_e32 v11, 0
	v_mov_b32_e32 v12, 0
	;; [unrolled: 1-line block ×3, first 2 shown]
	s_and_saveexec_b32 s2, s3
	s_cbranch_execz .LBB928_87
; %bb.86:
	v_mov_b32_e32 v10, v4
	v_mov_b32_e32 v15, v53
	;; [unrolled: 1-line block ×10, first 2 shown]
	s_waitcnt lgkmcnt(0)
	v_mov_b32_e32 v11, v35
	v_cndmask_b32_e64 v58, 0, 1, s7
	v_mov_b32_e32 v87, v105
	v_mov_b32_e32 v9, v3
	v_mov_b32_e32 v16, v54
	v_mov_b32_e32 v14, v56
	v_mov_b32_e32 v20, v38
	v_mov_b32_e32 v18, v40
	v_mov_b32_e32 v24, v32
	v_mov_b32_e32 v22, v34
	v_mov_b32_e32 v79, v27
	v_mov_b32_e32 v26, v30
	v_mov_b32_e32 v83, v96
	v_mov_b32_e32 v77, v5
	v_mov_b32_e32 v82, v94
	v_mov_b32_e32 v12, v36
	v_mov_b32_e32 v92, v103
	v_mov_b32_e32 v91, v93
	v_mov_b32_e32 v90, v101
	v_mov_b32_e32 v89, v100
	v_mov_b32_e32 v88, v99
	v_mov_b32_e32 v86, v95
	v_mov_b32_e32 v85, v98
	v_mov_b32_e32 v84, v97
.LBB928_87:
	s_or_b32 exec_lo, exec_lo, s2
	v_and_b32_e32 v61, 1, v88
	v_and_b32_e32 v62, 1, v84
	;; [unrolled: 1-line block ×5, first 2 shown]
	v_or_b32_e32 v55, v89, v90
	v_or_b32_e32 v54, v85, v86
	;; [unrolled: 1-line block ×3, first 2 shown]
	v_cmp_eq_u32_e64 s17, 1, v61
	v_cmp_eq_u32_e64 s15, 1, v62
	;; [unrolled: 1-line block ×3, first 2 shown]
	v_cmp_eq_u16_e64 s2, 0, v58
	v_cmp_eq_u32_e64 s14, 1, v59
	v_mbcnt_lo_u32_b32 v53, -1, 0
	s_cmp_lg_u32 s46, 0
	v_cmp_eq_u32_e32 vcc_lo, 1, v63
	s_waitcnt lgkmcnt(0)
	s_barrier
	buffer_gl0_inv
	s_cbranch_scc0 .LBB928_145
; %bb.88:
	v_mov_b32_e32 v3, 0
	v_or_b32_e32 v6, v92, v87
	v_cmp_eq_u16_sdwa s12, v92, v3 src0_sel:BYTE_0 src1_sel:DWORD
	v_cmp_eq_u16_sdwa s13, v91, v3 src0_sel:BYTE_0 src1_sel:DWORD
	;; [unrolled: 1-line block ×5, first 2 shown]
	v_cndmask_b32_e64 v5, 0, v1, s12
	v_cndmask_b32_e64 v4, 0, v2, s12
	v_cmp_eq_u16_sdwa s8, v86, v3 src0_sel:BYTE_0 src1_sel:DWORD
	v_cmp_eq_u16_sdwa s7, v85, v3 src0_sel:BYTE_0 src1_sel:DWORD
	;; [unrolled: 1-line block ×3, first 2 shown]
	v_add_co_u32 v5, s3, v5, v9
	v_add_co_ci_u32_e64 v4, null, v4, v10, s3
	v_cmp_eq_u16_sdwa s4, v83, v3 src0_sel:BYTE_0 src1_sel:DWORD
	v_cndmask_b32_e64 v5, 0, v5, s13
	v_cmp_ne_u16_sdwa s40, v56, v3 src0_sel:BYTE_0 src1_sel:DWORD
	v_cndmask_b32_e64 v4, 0, v4, s13
	v_cmp_ne_u16_sdwa s36, v6, v3 src0_sel:BYTE_0 src1_sel:DWORD
	v_cmp_ne_u16_sdwa s37, v55, v3 src0_sel:BYTE_0 src1_sel:DWORD
	v_add_co_u32 v5, s3, v5, v15
	v_add_co_ci_u32_e64 v4, null, v4, v16, s3
	v_cmp_ne_u16_sdwa s41, v54, v3 src0_sel:BYTE_0 src1_sel:DWORD
	v_cndmask_b32_e64 v5, 0, v5, s11
	s_or_b32 s16, s40, s16
	v_cndmask_b32_e64 v4, 0, v4, s11
	s_or_b32 s16, s14, s16
	s_or_b32 s15, s41, s15
	v_add_co_u32 v5, s3, v5, v13
	v_add_co_ci_u32_e64 v4, null, v4, v14, s3
	s_or_b32 s17, s37, s17
	v_cndmask_b32_e64 v5, 0, v5, s10
	v_cndmask_b32_e64 v4, 0, v4, s10
	v_add_co_u32 v5, s3, v5, v19
	v_add_co_ci_u32_e64 v4, null, v4, v20, s3
	v_cndmask_b32_e64 v5, 0, v5, s9
	v_cndmask_b32_e64 v4, 0, v4, s9
	v_add_co_u32 v5, s3, v5, v17
	v_add_co_ci_u32_e64 v4, null, v4, v18, s3
	;; [unrolled: 4-line block ×6, first 2 shown]
	v_cmp_eq_u16_sdwa s3, v82, v3 src0_sel:BYTE_0 src1_sel:DWORD
	v_cndmask_b32_e64 v5, 0, v5, s3
	v_cndmask_b32_e64 v4, 0, v4, s3
	v_add_co_u32 v5, s5, v5, v77
	v_add_co_ci_u32_e64 v4, null, v4, v78, s5
	v_cmp_eq_u16_sdwa s5, v81, v3 src0_sel:BYTE_0 src1_sel:DWORD
	v_cndmask_b32_e64 v3, 0, v4, s5
	v_cndmask_b32_e64 v4, 0, v5, s5
	v_add_co_u32 v4, s14, v4, v7
	v_add_co_ci_u32_e64 v3, null, v3, v8, s14
	s_or_b32 s14, s16, s15
	v_cndmask_b32_e64 v4, 0, v4, s2
	s_or_b32 s15, s36, vcc_lo
	v_cndmask_b32_e64 v6, 0, v3, s2
	s_or_b32 s14, s14, s17
	s_or_b32 s14, s14, s15
	v_add_co_u32 v5, vcc_lo, v4, v11
	v_cndmask_b32_e64 v3, 0, 1, s14
	v_add_co_ci_u32_e64 v6, null, v6, v12, vcc_lo
	v_and_b32_e32 v4, 15, v53
	v_mov_b32_dpp v28, v5 row_shr:1 row_mask:0xf bank_mask:0xf
	v_mov_b32_dpp v27, v3 row_shr:1 row_mask:0xf bank_mask:0xf
	;; [unrolled: 1-line block ×3, first 2 shown]
	s_mov_b32 s15, exec_lo
	v_cmpx_ne_u32_e32 0, v4
; %bb.89:
	v_cndmask_b32_e64 v28, v28, 0, s14
	v_cndmask_b32_e64 v29, v29, 0, s14
	v_and_or_b32 v3, v27, 1, v3
	v_add_co_u32 v5, vcc_lo, v28, v5
	v_add_co_ci_u32_e64 v6, null, v29, v6, vcc_lo
; %bb.90:
	s_or_b32 exec_lo, exec_lo, s15
	v_mov_b32_dpp v28, v5 row_shr:2 row_mask:0xf bank_mask:0xf
	v_mov_b32_dpp v29, v6 row_shr:2 row_mask:0xf bank_mask:0xf
	v_mov_b32_dpp v27, v3 row_shr:2 row_mask:0xf bank_mask:0xf
	s_mov_b32 s14, exec_lo
	v_cmpx_lt_u32_e32 1, v4
	s_cbranch_execz .LBB928_92
; %bb.91:
	v_cmp_eq_u16_e32 vcc_lo, 0, v3
	v_or_b32_e32 v3, v27, v3
	v_cndmask_b32_e32 v28, 0, v28, vcc_lo
	v_cndmask_b32_e32 v29, 0, v29, vcc_lo
	v_and_b32_e32 v3, 1, v3
	v_add_co_u32 v5, vcc_lo, v28, v5
	v_add_co_ci_u32_e64 v6, null, v29, v6, vcc_lo
.LBB928_92:
	s_or_b32 exec_lo, exec_lo, s14
	v_mov_b32_dpp v28, v5 row_shr:4 row_mask:0xf bank_mask:0xf
	v_mov_b32_dpp v29, v6 row_shr:4 row_mask:0xf bank_mask:0xf
	v_mov_b32_dpp v27, v3 row_shr:4 row_mask:0xf bank_mask:0xf
	s_mov_b32 s14, exec_lo
	v_cmpx_lt_u32_e32 3, v4
	s_cbranch_execz .LBB928_94
; %bb.93:
	v_cmp_eq_u16_e32 vcc_lo, 0, v3
	v_or_b32_e32 v3, v27, v3
	v_cndmask_b32_e32 v28, 0, v28, vcc_lo
	v_cndmask_b32_e32 v29, 0, v29, vcc_lo
	v_and_b32_e32 v3, 1, v3
	v_add_co_u32 v5, vcc_lo, v28, v5
	v_add_co_ci_u32_e64 v6, null, v29, v6, vcc_lo
.LBB928_94:
	;; [unrolled: 16-line block ×3, first 2 shown]
	s_or_b32 exec_lo, exec_lo, s14
	ds_swizzle_b32 v4, v5 offset:swizzle(BROADCAST,32,15)
	ds_swizzle_b32 v28, v6 offset:swizzle(BROADCAST,32,15)
	;; [unrolled: 1-line block ×3, first 2 shown]
	v_and_b32_e32 v27, 16, v53
	v_cmp_ne_u32_e32 vcc_lo, 0, v27
	v_mov_b32_e32 v27, v3
	s_and_saveexec_b32 s16, vcc_lo
	s_cbranch_execz .LBB928_98
; %bb.97:
	v_cmp_eq_u16_e32 vcc_lo, 0, v3
	v_and_b32_e32 v3, 1, v3
	s_waitcnt lgkmcnt(0)
	v_and_b32_e32 v27, 1, v29
	v_cndmask_b32_e32 v28, 0, v28, vcc_lo
	v_cndmask_b32_e32 v4, 0, v4, vcc_lo
	v_cmp_eq_u32_e32 vcc_lo, 1, v3
	v_cmp_eq_u32_e64 s14, 1, v27
	v_add_co_u32 v5, s15, v4, v5
	s_or_b32 s14, vcc_lo, s14
	v_add_co_ci_u32_e64 v6, null, v28, v6, s15
	v_cndmask_b32_e64 v3, 0, 1, s14
	v_cndmask_b32_e64 v27, 0, 1, s14
.LBB928_98:
	s_or_b32 exec_lo, exec_lo, s16
	s_waitcnt lgkmcnt(1)
	v_lshrrev_b32_e32 v28, 5, v0
	v_or_b32_e32 v4, 31, v0
	s_mov_b32 s14, exec_lo
	v_lshlrev_b32_e32 v28, 4, v28
	v_cmpx_eq_u32_e64 v0, v4
	s_cbranch_execz .LBB928_100
; %bb.99:
	ds_write_b64 v28, v[5:6]
	ds_write_b8 v28, v3 offset:8
.LBB928_100:
	s_or_b32 exec_lo, exec_lo, s14
	s_mov_b32 s16, exec_lo
	s_waitcnt lgkmcnt(0)
	s_barrier
	buffer_gl0_inv
	v_cmpx_gt_u32_e32 8, v0
	s_cbranch_execz .LBB928_108
; %bb.101:
	v_lshlrev_b32_e32 v29, 4, v0
	v_and_b32_e32 v30, 7, v53
	s_mov_b32 s14, exec_lo
	ds_read_b64 v[3:4], v29
	ds_read_b32 v34, v29 offset:8
	s_waitcnt lgkmcnt(1)
	v_mov_b32_dpp v35, v3 row_shr:1 row_mask:0xf bank_mask:0xf
	v_mov_b32_dpp v36, v4 row_shr:1 row_mask:0xf bank_mask:0xf
	s_waitcnt lgkmcnt(0)
	v_and_b32_e32 v32, 0xffffff00, v34
	v_mov_b32_dpp v37, v34 row_shr:1 row_mask:0xf bank_mask:0xf
	v_mov_b32_e32 v33, v34
	v_mov_b32_e32 v31, v34
	v_cmpx_ne_u32_e32 0, v30
	s_cbranch_execz .LBB928_103
; %bb.102:
	v_mov_b32_e32 v31, 0
	v_cmp_eq_u16_sdwa vcc_lo, v34, v31 src0_sel:BYTE_0 src1_sel:DWORD
	v_or_b32_e32 v31, v37, v34
	v_cndmask_b32_e32 v35, 0, v35, vcc_lo
	v_cndmask_b32_e32 v34, 0, v36, vcc_lo
	v_and_b32_e32 v33, 1, v31
	v_and_b32_e32 v31, 1, v31
	v_add_co_u32 v3, vcc_lo, v35, v3
	v_add_co_ci_u32_e64 v4, null, v34, v4, vcc_lo
	v_or_b32_e32 v34, v31, v32
.LBB928_103:
	s_or_b32 exec_lo, exec_lo, s14
	v_mov_b32_dpp v35, v3 row_shr:2 row_mask:0xf bank_mask:0xf
	v_mov_b32_dpp v36, v4 row_shr:2 row_mask:0xf bank_mask:0xf
	;; [unrolled: 1-line block ×3, first 2 shown]
	s_mov_b32 s17, exec_lo
	v_cmpx_lt_u32_e32 1, v30
	s_cbranch_execz .LBB928_105
; %bb.104:
	v_mov_b32_e32 v33, 0
	v_and_b32_e32 v34, 1, v31
	v_and_b32_e32 v37, 1, v37
	v_cmp_eq_u16_sdwa vcc_lo, v31, v33 src0_sel:BYTE_0 src1_sel:DWORD
	v_cmp_eq_u32_e64 s14, 1, v34
	v_cmp_eq_u32_e64 s15, 1, v37
	v_cndmask_b32_e32 v34, 0, v35, vcc_lo
	v_cndmask_b32_e32 v31, 0, v36, vcc_lo
	s_or_b32 s14, s14, s15
	v_cndmask_b32_e64 v33, 0, 1, s14
	v_cndmask_b32_e64 v35, 0, 1, s14
	v_add_co_u32 v3, vcc_lo, v34, v3
	v_add_co_ci_u32_e64 v4, null, v31, v4, vcc_lo
	v_or_b32_e32 v34, v32, v35
	v_mov_b32_e32 v31, v33
.LBB928_105:
	s_or_b32 exec_lo, exec_lo, s17
	v_mov_b32_dpp v32, v3 row_shr:4 row_mask:0xf bank_mask:0xf
	v_mov_b32_dpp v35, v4 row_shr:4 row_mask:0xf bank_mask:0xf
	;; [unrolled: 1-line block ×3, first 2 shown]
	s_mov_b32 s17, exec_lo
	v_cmpx_lt_u32_e32 3, v30
	s_cbranch_execz .LBB928_107
; %bb.106:
	v_mov_b32_e32 v30, 0
	v_cmp_eq_u16_sdwa vcc_lo, v31, v30 src0_sel:BYTE_0 src1_sel:DWORD
	v_and_b32_e32 v30, 1, v31
	v_and_b32_e32 v31, 1, v34
	v_cndmask_b32_e32 v33, 0, v35, vcc_lo
	v_cndmask_b32_e32 v32, 0, v32, vcc_lo
	v_cmp_eq_u32_e32 vcc_lo, 1, v30
	v_cmp_eq_u32_e64 s14, 1, v31
	v_add_co_u32 v3, s15, v32, v3
	s_or_b32 s14, vcc_lo, s14
	v_add_co_ci_u32_e64 v4, null, v33, v4, s15
	v_cndmask_b32_e64 v33, 0, 1, s14
.LBB928_107:
	s_or_b32 exec_lo, exec_lo, s17
	ds_write_b64 v29, v[3:4]
	ds_write_b8 v29, v33 offset:8
.LBB928_108:
	s_or_b32 exec_lo, exec_lo, s16
	v_mov_b32_e32 v3, 0
	v_mov_b32_e32 v4, 0
	;; [unrolled: 1-line block ×3, first 2 shown]
	s_mov_b32 s15, exec_lo
	v_cmp_gt_u32_e32 vcc_lo, 32, v0
	s_waitcnt lgkmcnt(0)
	s_barrier
	buffer_gl0_inv
	v_cmpx_lt_u32_e32 31, v0
	s_cbranch_execz .LBB928_110
; %bb.109:
	v_add_nc_u32_e32 v3, -16, v28
	v_add_nc_u32_e32 v28, -8, v28
	v_cmp_eq_u32_e64 s14, 0, v27
	ds_read_b64 v[3:4], v3
	ds_read_u8 v28, v28
	s_waitcnt lgkmcnt(1)
	v_cndmask_b32_e64 v30, 0, v3, s14
	v_cndmask_b32_e64 v29, 0, v4, s14
	s_waitcnt lgkmcnt(0)
	v_or_b32_e32 v27, v28, v27
	v_and_b32_e32 v33, 1, v28
	v_add_co_u32 v5, s14, v30, v5
	v_add_co_ci_u32_e64 v6, null, v29, v6, s14
	v_and_b32_e32 v27, 1, v27
.LBB928_110:
	s_or_b32 exec_lo, exec_lo, s15
	v_sub_co_u32 v28, s14, v53, 1
	v_cmp_gt_i32_e64 s15, 0, v28
	v_cndmask_b32_e64 v28, v28, v53, s15
	v_lshlrev_b32_e32 v28, 2, v28
	ds_bpermute_b32 v34, v28, v5
	ds_bpermute_b32 v35, v28, v6
	;; [unrolled: 1-line block ×3, first 2 shown]
	s_and_saveexec_b32 s17, vcc_lo
	s_cbranch_execz .LBB928_150
; %bb.111:
	v_mov_b32_e32 v29, 0
	ds_read_b64 v[5:6], v29 offset:112
	ds_read_u8 v37, v29 offset:120
	s_and_saveexec_b32 s15, s14
	s_cbranch_execz .LBB928_113
; %bb.112:
	s_add_i32 s36, s46, 32
	s_mov_b32 s37, 0
	v_mov_b32_e32 v27, 1
	s_lshl_b64 s[40:41], s[36:37], 4
	v_mov_b32_e32 v28, s36
	s_add_u32 s40, s20, s40
	s_addc_u32 s41, s21, s41
	s_waitcnt lgkmcnt(1)
	global_store_dwordx2 v29, v[5:6], s[40:41]
	s_waitcnt lgkmcnt(0)
	global_store_byte v29, v37, s[40:41] offset:8
	s_waitcnt_vscnt null, 0x0
	buffer_gl1_inv
	buffer_gl0_inv
	global_store_byte v28, v27, s[24:25]
.LBB928_113:
	s_or_b32 exec_lo, exec_lo, s15
	v_xad_u32 v27, v53, -1, s46
	s_mov_b32 s16, 0
	s_mov_b32 s15, exec_lo
	v_add_nc_u32_e32 v28, 32, v27
	global_load_ubyte v38, v28, s[24:25] glc dlc
	s_waitcnt vmcnt(0)
	v_cmpx_eq_u16_e32 0, v38
	s_cbranch_execz .LBB928_117
; %bb.114:
	v_add_co_u32 v30, s36, s24, v28
	v_add_co_ci_u32_e64 v31, null, s25, 0, s36
.LBB928_115:                            ; =>This Inner Loop Header: Depth=1
	global_load_ubyte v38, v[30:31], off glc dlc
	s_waitcnt vmcnt(0)
	v_cmp_ne_u16_e32 vcc_lo, 0, v38
	s_or_b32 s16, vcc_lo, s16
	s_andn2_b32 exec_lo, exec_lo, s16
	s_cbranch_execnz .LBB928_115
; %bb.116:
	s_or_b32 exec_lo, exec_lo, s16
.LBB928_117:
	s_or_b32 exec_lo, exec_lo, s15
	v_cmp_eq_u16_e32 vcc_lo, 1, v38
	v_mov_b32_e32 v31, s20
	v_mov_b32_e32 v30, s21
	v_lshlrev_b64 v[28:29], 4, v[28:29]
	s_waitcnt lgkmcnt(0)
	s_waitcnt_vscnt null, 0x0
	buffer_gl1_inv
	buffer_gl0_inv
	v_lshlrev_b32_e64 v40, v53, -1
	v_cndmask_b32_e32 v31, s22, v31, vcc_lo
	v_cndmask_b32_e32 v30, s23, v30, vcc_lo
	s_mov_b32 s15, exec_lo
	v_add_co_u32 v28, vcc_lo, v31, v28
	v_add_co_ci_u32_e64 v29, null, v30, v29, vcc_lo
	v_cmp_ne_u32_e32 vcc_lo, 31, v53
	s_clause 0x1
	global_load_ubyte v51, v[28:29], off offset:8
	global_load_dwordx2 v[31:32], v[28:29], off
	v_add_co_ci_u32_e64 v28, null, 0, v53, vcc_lo
	v_cmp_eq_u16_e32 vcc_lo, 2, v38
	v_lshlrev_b32_e32 v39, 2, v28
	v_and_or_b32 v28, vcc_lo, v40, 0x80000000
	v_ffbl_b32_e32 v28, v28
	s_waitcnt vmcnt(1)
	v_and_b32_e32 v29, 1, v51
	s_waitcnt vmcnt(0)
	ds_bpermute_b32 v30, v39, v31
	ds_bpermute_b32 v41, v39, v32
	;; [unrolled: 1-line block ×3, first 2 shown]
	v_cmpx_lt_u32_e64 v53, v28
	s_cbranch_execz .LBB928_119
; %bb.118:
	v_mov_b32_e32 v29, 0
	v_cmp_eq_u16_sdwa vcc_lo, v51, v29 src0_sel:BYTE_0 src1_sel:DWORD
	s_waitcnt lgkmcnt(0)
	v_and_b32_e32 v29, 1, v42
	v_cndmask_b32_e32 v30, 0, v30, vcc_lo
	v_cndmask_b32_e32 v41, 0, v41, vcc_lo
	v_or_b32_e32 v51, v29, v51
	v_add_co_u32 v31, vcc_lo, v30, v31
	v_add_co_ci_u32_e64 v32, null, v41, v32, vcc_lo
	v_and_b32_e32 v29, 0xff, v51
.LBB928_119:
	s_or_b32 exec_lo, exec_lo, s15
	v_cmp_gt_u32_e32 vcc_lo, 30, v53
	s_waitcnt lgkmcnt(0)
	v_add_nc_u32_e32 v42, 2, v53
	s_mov_b32 s36, exec_lo
	v_cndmask_b32_e64 v30, 0, 2, vcc_lo
	v_add_lshl_u32 v41, v30, v53, 2
	ds_bpermute_b32 v30, v41, v31
	ds_bpermute_b32 v43, v41, v32
	ds_bpermute_b32 v44, v41, v29
	v_cmpx_le_u32_e64 v42, v28
	s_cbranch_execz .LBB928_121
; %bb.120:
	v_mov_b32_e32 v29, 0
	v_and_b32_e32 v45, 1, v51
	s_waitcnt lgkmcnt(0)
	v_and_b32_e32 v44, 1, v44
	v_cmp_eq_u16_sdwa vcc_lo, v51, v29 src0_sel:BYTE_0 src1_sel:DWORD
	v_cmp_eq_u32_e64 s15, 1, v45
	v_cmp_eq_u32_e64 s16, 1, v44
	v_cndmask_b32_e32 v30, 0, v30, vcc_lo
	v_cndmask_b32_e32 v29, 0, v43, vcc_lo
	s_or_b32 s15, s15, s16
	v_cndmask_b32_e64 v51, 0, 1, s15
	v_add_co_u32 v31, vcc_lo, v30, v31
	v_add_co_ci_u32_e64 v32, null, v29, v32, vcc_lo
	v_cndmask_b32_e64 v29, 0, 1, s15
.LBB928_121:
	s_or_b32 exec_lo, exec_lo, s36
	v_cmp_gt_u32_e32 vcc_lo, 28, v53
	s_waitcnt lgkmcnt(0)
	v_add_nc_u32_e32 v44, 4, v53
	s_mov_b32 s36, exec_lo
	v_cndmask_b32_e64 v30, 0, 4, vcc_lo
	v_add_lshl_u32 v43, v30, v53, 2
	ds_bpermute_b32 v30, v43, v31
	ds_bpermute_b32 v45, v43, v32
	ds_bpermute_b32 v46, v43, v29
	v_cmpx_le_u32_e64 v44, v28
	s_cbranch_execz .LBB928_123
; %bb.122:
	v_mov_b32_e32 v29, 0
	v_and_b32_e32 v47, 1, v51
	s_waitcnt lgkmcnt(0)
	v_and_b32_e32 v46, 1, v46
	v_cmp_eq_u16_sdwa vcc_lo, v51, v29 src0_sel:BYTE_0 src1_sel:DWORD
	v_cmp_eq_u32_e64 s15, 1, v47
	v_cmp_eq_u32_e64 s16, 1, v46
	v_cndmask_b32_e32 v30, 0, v30, vcc_lo
	v_cndmask_b32_e32 v29, 0, v45, vcc_lo
	s_or_b32 s15, s15, s16
	v_cndmask_b32_e64 v51, 0, 1, s15
	v_add_co_u32 v31, vcc_lo, v30, v31
	v_add_co_ci_u32_e64 v32, null, v29, v32, vcc_lo
	v_cndmask_b32_e64 v29, 0, 1, s15
.LBB928_123:
	;; [unrolled: 28-line block ×3, first 2 shown]
	s_or_b32 exec_lo, exec_lo, s36
	s_waitcnt lgkmcnt(0)
	v_lshl_or_b32 v48, v53, 2, 64
	v_add_nc_u32_e32 v49, 16, v53
	s_mov_b32 s36, exec_lo
	ds_bpermute_b32 v30, v48, v31
	ds_bpermute_b32 v47, v48, v32
	;; [unrolled: 1-line block ×3, first 2 shown]
	v_cmpx_le_u32_e64 v49, v28
	s_cbranch_execz .LBB928_127
; %bb.126:
	v_mov_b32_e32 v28, 0
	s_waitcnt lgkmcnt(0)
	v_and_b32_e32 v29, 1, v29
	v_cmp_eq_u16_sdwa vcc_lo, v51, v28 src0_sel:BYTE_0 src1_sel:DWORD
	v_and_b32_e32 v28, 1, v51
	v_cmp_eq_u32_e64 s15, 1, v29
	v_cndmask_b32_e32 v47, 0, v47, vcc_lo
	v_cndmask_b32_e32 v30, 0, v30, vcc_lo
	v_cmp_eq_u32_e32 vcc_lo, 1, v28
	v_add_co_u32 v31, s16, v30, v31
	s_or_b32 s15, vcc_lo, s15
	v_add_co_ci_u32_e64 v32, null, v47, v32, s16
	v_cndmask_b32_e64 v51, 0, 1, s15
.LBB928_127:
	s_or_b32 exec_lo, exec_lo, s36
	v_mov_b32_e32 v28, 0
	v_mov_b32_e32 v50, 2
	s_branch .LBB928_130
.LBB928_128:                            ;   in Loop: Header=BB928_130 Depth=1
	s_or_b32 exec_lo, exec_lo, s37
	v_cmp_eq_u16_sdwa vcc_lo, v47, v28 src0_sel:BYTE_0 src1_sel:DWORD
	v_and_b32_e32 v51, 1, v47
	v_subrev_nc_u32_e32 v27, 32, v27
	v_cndmask_b32_e32 v31, 0, v31, vcc_lo
	v_cndmask_b32_e32 v32, 0, v32, vcc_lo
	v_cmp_eq_u32_e32 vcc_lo, 1, v51
	v_add_co_u32 v31, s15, v31, v29
	v_add_co_ci_u32_e64 v32, null, v32, v30, s15
	s_or_b32 s15, vcc_lo, s36
	v_cndmask_b32_e64 v51, 0, 1, s15
	s_mov_b32 s15, 0
.LBB928_129:                            ;   in Loop: Header=BB928_130 Depth=1
	s_and_b32 vcc_lo, exec_lo, s15
	s_cbranch_vccnz .LBB928_146
.LBB928_130:                            ; =>This Loop Header: Depth=1
                                        ;     Child Loop BB928_133 Depth 2
	v_cmp_ne_u16_sdwa s15, v38, v50 src0_sel:BYTE_0 src1_sel:DWORD
	s_waitcnt lgkmcnt(0)
	v_mov_b32_e32 v29, v31
	v_mov_b32_e32 v47, v51
	;; [unrolled: 1-line block ×3, first 2 shown]
                                        ; implicit-def: $vgpr51
                                        ; implicit-def: $vgpr31_vgpr32
                                        ; implicit-def: $vgpr38
	s_cmp_lg_u32 s15, exec_lo
	s_mov_b32 s15, -1
	s_cbranch_scc1 .LBB928_129
; %bb.131:                              ;   in Loop: Header=BB928_130 Depth=1
	global_load_ubyte v38, v27, s[24:25] glc dlc
	s_mov_b32 s15, exec_lo
	s_waitcnt vmcnt(0)
	v_cmpx_eq_u16_e32 0, v38
	s_cbranch_execz .LBB928_135
; %bb.132:                              ;   in Loop: Header=BB928_130 Depth=1
	v_add_co_u32 v31, s16, s24, v27
	v_add_co_ci_u32_e64 v32, null, s25, 0, s16
	s_mov_b32 s16, 0
.LBB928_133:                            ;   Parent Loop BB928_130 Depth=1
                                        ; =>  This Inner Loop Header: Depth=2
	global_load_ubyte v38, v[31:32], off glc dlc
	s_waitcnt vmcnt(0)
	v_cmp_ne_u16_e32 vcc_lo, 0, v38
	s_or_b32 s16, vcc_lo, s16
	s_andn2_b32 exec_lo, exec_lo, s16
	s_cbranch_execnz .LBB928_133
; %bb.134:                              ;   in Loop: Header=BB928_130 Depth=1
	s_or_b32 exec_lo, exec_lo, s16
.LBB928_135:                            ;   in Loop: Header=BB928_130 Depth=1
	s_or_b32 exec_lo, exec_lo, s15
	v_cmp_eq_u16_e32 vcc_lo, 1, v38
	v_mov_b32_e32 v52, s20
	v_mov_b32_e32 v51, s21
	v_lshlrev_b64 v[31:32], 4, v[27:28]
	buffer_gl1_inv
	buffer_gl0_inv
	s_mov_b32 s15, exec_lo
	v_cndmask_b32_e32 v52, s22, v52, vcc_lo
	v_cndmask_b32_e32 v51, s23, v51, vcc_lo
	v_add_co_u32 v31, vcc_lo, v52, v31
	v_add_co_ci_u32_e64 v32, null, v51, v32, vcc_lo
	v_cmp_eq_u16_e32 vcc_lo, 2, v38
	s_clause 0x1
	global_load_ubyte v52, v[31:32], off offset:8
	global_load_dwordx2 v[31:32], v[31:32], off
	v_and_or_b32 v51, vcc_lo, v40, 0x80000000
	v_ffbl_b32_e32 v51, v51
	s_waitcnt vmcnt(1)
	v_and_b32_e32 v64, 1, v52
	s_waitcnt vmcnt(0)
	ds_bpermute_b32 v65, v39, v31
	ds_bpermute_b32 v66, v39, v32
	;; [unrolled: 1-line block ×3, first 2 shown]
	v_cmpx_lt_u32_e64 v53, v51
	s_cbranch_execz .LBB928_137
; %bb.136:                              ;   in Loop: Header=BB928_130 Depth=1
	v_cmp_eq_u16_sdwa vcc_lo, v52, v28 src0_sel:BYTE_0 src1_sel:DWORD
	s_waitcnt lgkmcnt(0)
	v_and_b32_e32 v64, 1, v67
	v_cndmask_b32_e32 v65, 0, v65, vcc_lo
	v_cndmask_b32_e32 v66, 0, v66, vcc_lo
	v_or_b32_e32 v52, v64, v52
	v_add_co_u32 v31, vcc_lo, v65, v31
	v_add_co_ci_u32_e64 v32, null, v66, v32, vcc_lo
	v_and_b32_e32 v64, 0xff, v52
.LBB928_137:                            ;   in Loop: Header=BB928_130 Depth=1
	s_or_b32 exec_lo, exec_lo, s15
	s_waitcnt lgkmcnt(2)
	ds_bpermute_b32 v65, v41, v31
	s_waitcnt lgkmcnt(2)
	ds_bpermute_b32 v66, v41, v32
	s_waitcnt lgkmcnt(2)
	ds_bpermute_b32 v67, v41, v64
	v_and_b32_e32 v68, 1, v52
	s_mov_b32 s16, exec_lo
	v_cmp_eq_u32_e64 s36, 1, v68
	v_cmpx_le_u32_e64 v42, v51
	s_cbranch_execz .LBB928_139
; %bb.138:                              ;   in Loop: Header=BB928_130 Depth=1
	v_cmp_eq_u16_sdwa vcc_lo, v52, v28 src0_sel:BYTE_0 src1_sel:DWORD
	s_waitcnt lgkmcnt(0)
	v_and_b32_e32 v52, 1, v67
	v_cndmask_b32_e32 v65, 0, v65, vcc_lo
	v_cndmask_b32_e32 v64, 0, v66, vcc_lo
	v_cmp_eq_u32_e32 vcc_lo, 1, v52
	v_add_co_u32 v31, s15, v65, v31
	v_add_co_ci_u32_e64 v32, null, v64, v32, s15
	s_or_b32 s15, s36, vcc_lo
	s_andn2_b32 s36, s36, exec_lo
	v_cndmask_b32_e64 v52, 0, 1, s15
	v_cndmask_b32_e64 v64, 0, 1, s15
	s_and_b32 s15, s15, exec_lo
	s_or_b32 s36, s36, s15
.LBB928_139:                            ;   in Loop: Header=BB928_130 Depth=1
	s_or_b32 exec_lo, exec_lo, s16
	s_waitcnt lgkmcnt(2)
	ds_bpermute_b32 v65, v43, v31
	s_waitcnt lgkmcnt(2)
	ds_bpermute_b32 v66, v43, v32
	;; [unrolled: 2-line block ×3, first 2 shown]
	s_mov_b32 s37, exec_lo
	v_cmpx_le_u32_e64 v44, v51
	s_cbranch_execz .LBB928_141
; %bb.140:                              ;   in Loop: Header=BB928_130 Depth=1
	v_cmp_eq_u16_sdwa vcc_lo, v52, v28 src0_sel:BYTE_0 src1_sel:DWORD
	v_and_b32_e32 v52, 1, v52
	s_waitcnt lgkmcnt(0)
	v_and_b32_e32 v64, 1, v67
	v_cndmask_b32_e32 v66, 0, v66, vcc_lo
	v_cndmask_b32_e32 v65, 0, v65, vcc_lo
	v_cmp_eq_u32_e32 vcc_lo, 1, v52
	v_cmp_eq_u32_e64 s15, 1, v64
	v_add_co_u32 v31, s16, v65, v31
	s_or_b32 s15, vcc_lo, s15
	v_add_co_ci_u32_e64 v32, null, v66, v32, s16
	v_cndmask_b32_e64 v52, 0, 1, s15
	v_cndmask_b32_e64 v64, 0, 1, s15
	s_andn2_b32 s16, s36, exec_lo
	s_and_b32 s15, s15, exec_lo
	s_or_b32 s36, s16, s15
.LBB928_141:                            ;   in Loop: Header=BB928_130 Depth=1
	s_or_b32 exec_lo, exec_lo, s37
	s_waitcnt lgkmcnt(2)
	ds_bpermute_b32 v65, v45, v31
	s_waitcnt lgkmcnt(2)
	ds_bpermute_b32 v66, v45, v32
	;; [unrolled: 2-line block ×3, first 2 shown]
	s_mov_b32 s37, exec_lo
	v_cmpx_le_u32_e64 v46, v51
	s_cbranch_execz .LBB928_143
; %bb.142:                              ;   in Loop: Header=BB928_130 Depth=1
	v_cmp_eq_u16_sdwa vcc_lo, v52, v28 src0_sel:BYTE_0 src1_sel:DWORD
	v_and_b32_e32 v52, 1, v52
	s_waitcnt lgkmcnt(0)
	v_and_b32_e32 v64, 1, v67
	v_cndmask_b32_e32 v66, 0, v66, vcc_lo
	v_cndmask_b32_e32 v65, 0, v65, vcc_lo
	v_cmp_eq_u32_e32 vcc_lo, 1, v52
	v_cmp_eq_u32_e64 s15, 1, v64
	v_add_co_u32 v31, s16, v65, v31
	s_or_b32 s15, vcc_lo, s15
	v_add_co_ci_u32_e64 v32, null, v66, v32, s16
	v_cndmask_b32_e64 v52, 0, 1, s15
	v_cndmask_b32_e64 v64, 0, 1, s15
	s_andn2_b32 s16, s36, exec_lo
	s_and_b32 s15, s15, exec_lo
	s_or_b32 s36, s16, s15
.LBB928_143:                            ;   in Loop: Header=BB928_130 Depth=1
	s_or_b32 exec_lo, exec_lo, s37
	s_waitcnt lgkmcnt(2)
	ds_bpermute_b32 v65, v48, v31
	s_waitcnt lgkmcnt(2)
	ds_bpermute_b32 v66, v48, v32
	ds_bpermute_b32 v64, v48, v64
	s_mov_b32 s37, exec_lo
	v_cmpx_le_u32_e64 v49, v51
	s_cbranch_execz .LBB928_128
; %bb.144:                              ;   in Loop: Header=BB928_130 Depth=1
	v_cmp_eq_u16_sdwa vcc_lo, v52, v28 src0_sel:BYTE_0 src1_sel:DWORD
	v_and_b32_e32 v51, 1, v52
	s_waitcnt lgkmcnt(0)
	v_and_b32_e32 v52, 1, v64
	v_cndmask_b32_e32 v65, 0, v65, vcc_lo
	v_cndmask_b32_e32 v64, 0, v66, vcc_lo
	v_cmp_eq_u32_e32 vcc_lo, 1, v51
	v_cmp_eq_u32_e64 s15, 1, v52
	v_add_co_u32 v31, s16, v65, v31
	v_add_co_ci_u32_e64 v32, null, v64, v32, s16
	s_or_b32 s15, vcc_lo, s15
	s_andn2_b32 s16, s36, exec_lo
	s_and_b32 s15, s15, exec_lo
	s_or_b32 s36, s16, s15
	s_branch .LBB928_128
.LBB928_145:
                                        ; implicit-def: $vgpr49_vgpr50
                                        ; implicit-def: $vgpr47_vgpr48
                                        ; implicit-def: $vgpr43_vgpr44
                                        ; implicit-def: $vgpr39_vgpr40
                                        ; implicit-def: $vgpr35_vgpr36
                                        ; implicit-def: $vgpr31_vgpr32
                                        ; implicit-def: $vgpr27_vgpr28
                                        ; implicit-def: $vgpr45_vgpr46
                                        ; implicit-def: $vgpr41_vgpr42
                                        ; implicit-def: $vgpr37_vgpr38
                                        ; implicit-def: $vgpr33_vgpr34
                                        ; implicit-def: $vgpr29_vgpr30
                                        ; implicit-def: $vgpr51_vgpr52
	s_cbranch_execnz .LBB928_151
	s_branch .LBB928_180
.LBB928_146:
	s_and_saveexec_b32 s15, s14
	s_cbranch_execz .LBB928_148
; %bb.147:
	v_mov_b32_e32 v27, 0
	v_or_b32_e32 v28, v37, v47
	s_mov_b32 s21, 0
	s_add_i32 s20, s46, 32
	v_mov_b32_e32 v31, 2
	v_cmp_eq_u32_sdwa vcc_lo, v37, v27 src0_sel:BYTE_0 src1_sel:DWORD
	s_lshl_b64 s[36:37], s[20:21], 4
	v_mov_b32_e32 v38, s20
	v_and_b32_e32 v28, 1, v28
	s_add_u32 s20, s22, s36
	v_cndmask_b32_e32 v37, 0, v29, vcc_lo
	v_cndmask_b32_e32 v32, 0, v30, vcc_lo
	s_addc_u32 s21, s23, s37
	v_add_co_u32 v5, vcc_lo, v37, v5
	v_add_co_ci_u32_e64 v6, null, v32, v6, vcc_lo
	global_store_byte v27, v28, s[20:21] offset:8
	global_store_dwordx2 v27, v[5:6], s[20:21]
	s_waitcnt lgkmcnt(0)
	s_waitcnt_vscnt null, 0x0
	buffer_gl1_inv
	buffer_gl0_inv
	global_store_byte v38, v31, s[24:25]
.LBB928_148:
	s_or_b32 exec_lo, exec_lo, s15
	s_and_b32 exec_lo, exec_lo, s0
	s_cbranch_execz .LBB928_150
; %bb.149:
	v_mov_b32_e32 v5, 0
	ds_write_b64 v5, v[29:30] offset:112
	ds_write_b8 v5, v47 offset:120
.LBB928_150:
	s_or_b32 exec_lo, exec_lo, s17
	s_waitcnt lgkmcnt(0)
	v_cndmask_b32_e64 v5, v36, v33, s14
	v_and_b32_e32 v28, 1, v87
	v_mov_b32_e32 v27, 0
	s_waitcnt_vscnt null, 0x0
	s_barrier
	v_and_b32_e32 v29, 1, v5
	v_cmp_eq_u32_e32 vcc_lo, 1, v28
	buffer_gl0_inv
	ds_read_b64 v[5:6], v27 offset:112
	v_cndmask_b32_e64 v3, v34, v3, s14
	v_cmp_eq_u32_e64 s15, 1, v29
	v_cndmask_b32_e64 v4, v35, v4, s14
	s_or_b32 s15, vcc_lo, s15
	v_cmp_eq_u16_sdwa vcc_lo, v87, v27 src0_sel:BYTE_0 src1_sel:DWORD
	v_cndmask_b32_e64 v28, 0, 1, s15
	v_cndmask_b32_e32 v3, 0, v3, vcc_lo
	v_cndmask_b32_e64 v28, v28, v87, s0
	v_cndmask_b32_e32 v4, 0, v4, vcc_lo
	v_cndmask_b32_e64 v3, v3, 0, s0
	v_cmp_eq_u16_sdwa vcc_lo, v28, v27 src0_sel:BYTE_0 src1_sel:DWORD
	v_cndmask_b32_e64 v4, v4, 0, s0
	s_waitcnt lgkmcnt(0)
	v_cndmask_b32_e32 v6, 0, v6, vcc_lo
	v_cndmask_b32_e32 v5, 0, v5, vcc_lo
	v_add_co_u32 v3, vcc_lo, v3, v1
	v_add_co_ci_u32_e64 v4, null, v4, v2, vcc_lo
	v_add_co_u32 v51, vcc_lo, v3, v5
	v_add_co_ci_u32_e64 v52, null, v4, v6, vcc_lo
	v_cndmask_b32_e64 v3, 0, v51, s12
	v_cndmask_b32_e64 v4, 0, v52, s12
	v_add_co_u32 v27, vcc_lo, v3, v9
	v_add_co_ci_u32_e64 v28, null, v4, v10, vcc_lo
	v_cndmask_b32_e64 v3, 0, v27, s13
	v_cndmask_b32_e64 v4, 0, v28, s13
	;; [unrolled: 4-line block ×12, first 2 shown]
	v_add_co_u32 v49, vcc_lo, v3, v11
	v_add_co_ci_u32_e64 v50, null, v4, v12, vcc_lo
	s_branch .LBB928_180
.LBB928_151:
	s_cmp_lg_u64 s[34:35], 0
	s_cselect_b32 s2, -1, 0
	s_cmp_lg_u64 s[38:39], 0
	s_cselect_b32 s3, -1, 0
	s_and_b32 s2, s2, s3
	s_and_b32 s3, s0, s2
	s_and_saveexec_b32 s2, s3
	s_cbranch_execz .LBB928_153
; %bb.152:
	v_mov_b32_e32 v5, 0
	s_clause 0x1
	global_load_dwordx2 v[3:4], v5, s[38:39]
	global_load_ubyte v6, v5, s[38:39] offset:8
	v_cmp_eq_u16_sdwa vcc_lo, v87, v5 src0_sel:BYTE_0 src1_sel:DWORD
	s_waitcnt vmcnt(1)
	v_cndmask_b32_e32 v3, 0, v3, vcc_lo
	v_cndmask_b32_e32 v4, 0, v4, vcc_lo
	s_waitcnt vmcnt(0)
	v_or_b32_e32 v5, v87, v6
	v_add_co_u32 v1, vcc_lo, v3, v1
	v_add_co_ci_u32_e64 v2, null, v4, v2, vcc_lo
	v_and_b32_e32 v87, 1, v5
.LBB928_153:
	s_or_b32 exec_lo, exec_lo, s2
	v_mov_b32_e32 v3, 0
	v_or_b32_e32 v6, v87, v92
	v_cmp_eq_u32_e64 s12, 1, v61
	v_cmp_eq_u32_e64 s15, 1, v60
	;; [unrolled: 1-line block ×3, first 2 shown]
	v_cmp_eq_u16_sdwa vcc_lo, v92, v3 src0_sel:BYTE_0 src1_sel:DWORD
	v_cmp_ne_u16_sdwa s20, v55, v3 src0_sel:BYTE_0 src1_sel:DWORD
	v_cmp_ne_u16_sdwa s21, v56, v3 src0_sel:BYTE_0 src1_sel:DWORD
	;; [unrolled: 1-line block ×4, first 2 shown]
	v_cndmask_b32_e32 v5, 0, v1, vcc_lo
	v_cndmask_b32_e32 v4, 0, v2, vcc_lo
	s_or_b32 s20, s20, s12
	s_or_b32 s12, s21, s15
	v_cmp_eq_u32_e64 s14, 1, v62
	v_add_co_u32 v27, s2, v5, v9
	v_add_co_ci_u32_e64 v28, null, v4, v10, s2
	v_cmp_eq_u16_sdwa s2, v91, v3 src0_sel:BYTE_0 src1_sel:DWORD
	s_or_b32 s15, s16, s12
	v_cmp_eq_u32_e64 s13, 1, v63
	s_or_b32 s14, s34, s14
	v_and_b32_e32 v51, 15, v53
	v_cndmask_b32_e64 v5, 0, v27, s2
	v_cndmask_b32_e64 v4, 0, v28, s2
	s_or_b32 s14, s15, s14
	s_or_b32 s13, s17, s13
	;; [unrolled: 1-line block ×3, first 2 shown]
	v_add_co_u32 v29, s3, v5, v15
	v_add_co_ci_u32_e64 v30, null, v4, v16, s3
	v_cmp_eq_u16_sdwa s3, v90, v3 src0_sel:BYTE_0 src1_sel:DWORD
	s_or_b32 s14, s14, s13
	s_mov_b32 s15, exec_lo
	v_cndmask_b32_e64 v54, 0, 1, s14
	v_cndmask_b32_e64 v5, 0, v29, s3
	;; [unrolled: 1-line block ×3, first 2 shown]
	v_mov_b32_dpp v52, v54 row_shr:1 row_mask:0xf bank_mask:0xf
	v_add_co_u32 v31, s4, v5, v13
	v_add_co_ci_u32_e64 v32, null, v4, v14, s4
	v_cmp_eq_u16_sdwa s4, v89, v3 src0_sel:BYTE_0 src1_sel:DWORD
	v_cndmask_b32_e64 v5, 0, v31, s4
	v_cndmask_b32_e64 v4, 0, v32, s4
	v_add_co_u32 v33, s5, v5, v19
	v_add_co_ci_u32_e64 v34, null, v4, v20, s5
	v_cmp_eq_u16_sdwa s5, v88, v3 src0_sel:BYTE_0 src1_sel:DWORD
	v_cndmask_b32_e64 v5, 0, v33, s5
	v_cndmask_b32_e64 v4, 0, v34, s5
	;; [unrolled: 5-line block ×8, first 2 shown]
	v_add_co_u32 v47, s12, v4, v7
	v_add_co_ci_u32_e64 v48, null, v3, v8, s12
	v_cmp_eq_u16_e64 s12, 0, v58
	v_cndmask_b32_e64 v4, 0, v47, s12
	v_cndmask_b32_e64 v3, 0, v48, s12
	v_add_co_u32 v49, s13, v4, v11
	v_add_co_ci_u32_e64 v50, null, v3, v12, s13
	v_mov_b32_e32 v3, v49
	v_mov_b32_dpp v55, v49 row_shr:1 row_mask:0xf bank_mask:0xf
	v_mov_b32_dpp v56, v50 row_shr:1 row_mask:0xf bank_mask:0xf
	v_mov_b32_e32 v4, v50
	v_mov_b32_e32 v6, v50
	v_mov_b32_e32 v5, v49
	v_cmpx_ne_u32_e32 0, v51
	s_cbranch_execz .LBB928_155
; %bb.154:
	v_cndmask_b32_e64 v3, v55, 0, s14
	v_cndmask_b32_e64 v4, v56, 0, s14
	v_and_or_b32 v54, v52, 1, v54
	v_add_co_u32 v3, s13, v49, v3
	v_add_co_ci_u32_e64 v4, null, v50, v4, s13
	v_mov_b32_e32 v5, v3
	v_mov_b32_e32 v6, v4
.LBB928_155:
	s_or_b32 exec_lo, exec_lo, s15
	v_mov_b32_dpp v55, v5 row_shr:2 row_mask:0xf bank_mask:0xf
	v_mov_b32_dpp v56, v6 row_shr:2 row_mask:0xf bank_mask:0xf
	v_mov_b32_dpp v52, v54 row_shr:2 row_mask:0xf bank_mask:0xf
	s_mov_b32 s14, exec_lo
	v_cmpx_lt_u32_e32 1, v51
	s_cbranch_execz .LBB928_157
; %bb.156:
	v_cmp_eq_u16_e64 s13, 0, v54
	v_or_b32_e32 v52, v52, v54
	v_cndmask_b32_e64 v5, 0, v55, s13
	v_cndmask_b32_e64 v6, 0, v56, s13
	v_and_b32_e32 v54, 1, v52
	v_add_co_u32 v5, s13, v5, v3
	v_add_co_ci_u32_e64 v6, null, v6, v4, s13
	v_mov_b32_e32 v3, v5
	v_mov_b32_e32 v4, v6
.LBB928_157:
	s_or_b32 exec_lo, exec_lo, s14
	v_mov_b32_dpp v55, v5 row_shr:4 row_mask:0xf bank_mask:0xf
	v_mov_b32_dpp v56, v6 row_shr:4 row_mask:0xf bank_mask:0xf
	v_mov_b32_dpp v52, v54 row_shr:4 row_mask:0xf bank_mask:0xf
	s_mov_b32 s14, exec_lo
	v_cmpx_lt_u32_e32 3, v51
	s_cbranch_execz .LBB928_159
; %bb.158:
	v_cmp_eq_u16_e64 s13, 0, v54
	v_or_b32_e32 v52, v52, v54
	v_cndmask_b32_e64 v5, 0, v55, s13
	v_cndmask_b32_e64 v6, 0, v56, s13
	v_and_b32_e32 v54, 1, v52
	v_add_co_u32 v5, s13, v5, v3
	v_add_co_ci_u32_e64 v6, null, v6, v4, s13
	v_mov_b32_e32 v3, v5
	v_mov_b32_e32 v4, v6
.LBB928_159:
	;; [unrolled: 18-line block ×3, first 2 shown]
	s_or_b32 exec_lo, exec_lo, s14
	ds_swizzle_b32 v5, v5 offset:swizzle(BROADCAST,32,15)
	ds_swizzle_b32 v6, v6 offset:swizzle(BROADCAST,32,15)
	;; [unrolled: 1-line block ×3, first 2 shown]
	v_and_b32_e32 v51, 16, v53
	v_cmp_ne_u32_e64 s13, 0, v51
	v_mov_b32_e32 v51, v54
	s_and_saveexec_b32 s16, s13
	s_cbranch_execz .LBB928_163
; %bb.162:
	v_cmp_eq_u16_e64 s13, 0, v54
	v_and_b32_e32 v51, 1, v54
	s_waitcnt lgkmcnt(0)
	v_and_b32_e32 v52, 1, v52
	v_cndmask_b32_e64 v6, 0, v6, s13
	v_cndmask_b32_e64 v5, 0, v5, s13
	v_cmp_eq_u32_e64 s13, 1, v51
	v_cmp_eq_u32_e64 s14, 1, v52
	v_add_co_u32 v3, s15, v5, v3
	s_or_b32 s13, s13, s14
	v_add_co_ci_u32_e64 v4, null, v6, v4, s15
	v_cndmask_b32_e64 v54, 0, 1, s13
	v_cndmask_b32_e64 v51, 0, 1, s13
.LBB928_163:
	s_or_b32 exec_lo, exec_lo, s16
	s_waitcnt lgkmcnt(2)
	v_or_b32_e32 v5, 31, v0
	s_waitcnt lgkmcnt(0)
	v_lshrrev_b32_e32 v52, 5, v0
	s_mov_b32 s14, exec_lo
	v_cmpx_eq_u32_e64 v0, v5
	s_cbranch_execz .LBB928_165
; %bb.164:
	v_lshlrev_b32_e32 v5, 4, v52
	ds_write_b64 v5, v[3:4]
	ds_write_b8 v5, v54 offset:8
.LBB928_165:
	s_or_b32 exec_lo, exec_lo, s14
	s_mov_b32 s16, exec_lo
	s_waitcnt lgkmcnt(0)
	s_barrier
	buffer_gl0_inv
	v_cmpx_gt_u32_e32 8, v0
	s_cbranch_execz .LBB928_173
; %bb.166:
	v_lshlrev_b32_e32 v54, 4, v0
	v_and_b32_e32 v55, 7, v53
	s_mov_b32 s14, exec_lo
	ds_read_b64 v[5:6], v54
	ds_read_b32 v60, v54 offset:8
	s_waitcnt lgkmcnt(1)
	v_mov_b32_dpp v61, v5 row_shr:1 row_mask:0xf bank_mask:0xf
	v_mov_b32_dpp v62, v6 row_shr:1 row_mask:0xf bank_mask:0xf
	s_waitcnt lgkmcnt(0)
	v_and_b32_e32 v58, 0xffffff00, v60
	v_mov_b32_dpp v63, v60 row_shr:1 row_mask:0xf bank_mask:0xf
	v_mov_b32_e32 v59, v60
	v_mov_b32_e32 v56, v60
	v_cmpx_ne_u32_e32 0, v55
	s_cbranch_execz .LBB928_168
; %bb.167:
	v_mov_b32_e32 v56, 0
	v_cmp_eq_u16_sdwa s13, v60, v56 src0_sel:BYTE_0 src1_sel:DWORD
	v_or_b32_e32 v56, v63, v60
	v_cndmask_b32_e64 v61, 0, v61, s13
	v_cndmask_b32_e64 v60, 0, v62, s13
	v_and_b32_e32 v59, 1, v56
	v_and_b32_e32 v56, 1, v56
	v_add_co_u32 v5, s13, v61, v5
	v_add_co_ci_u32_e64 v6, null, v60, v6, s13
	v_or_b32_e32 v60, v56, v58
.LBB928_168:
	s_or_b32 exec_lo, exec_lo, s14
	v_mov_b32_dpp v61, v5 row_shr:2 row_mask:0xf bank_mask:0xf
	v_mov_b32_dpp v62, v6 row_shr:2 row_mask:0xf bank_mask:0xf
	;; [unrolled: 1-line block ×3, first 2 shown]
	s_mov_b32 s17, exec_lo
	v_cmpx_lt_u32_e32 1, v55
	s_cbranch_execz .LBB928_170
; %bb.169:
	v_mov_b32_e32 v59, 0
	v_and_b32_e32 v60, 1, v56
	v_and_b32_e32 v63, 1, v63
	v_cmp_eq_u16_sdwa s13, v56, v59 src0_sel:BYTE_0 src1_sel:DWORD
	v_cmp_eq_u32_e64 s14, 1, v60
	v_cmp_eq_u32_e64 s15, 1, v63
	v_cndmask_b32_e64 v56, 0, v62, s13
	v_cndmask_b32_e64 v60, 0, v61, s13
	s_or_b32 s13, s14, s15
	v_cndmask_b32_e64 v59, 0, 1, s13
	v_cndmask_b32_e64 v61, 0, 1, s13
	v_add_co_u32 v5, s13, v60, v5
	v_add_co_ci_u32_e64 v6, null, v56, v6, s13
	v_or_b32_e32 v60, v58, v61
	v_mov_b32_e32 v56, v59
.LBB928_170:
	s_or_b32 exec_lo, exec_lo, s17
	v_mov_b32_dpp v58, v5 row_shr:4 row_mask:0xf bank_mask:0xf
	v_mov_b32_dpp v61, v6 row_shr:4 row_mask:0xf bank_mask:0xf
	;; [unrolled: 1-line block ×3, first 2 shown]
	s_mov_b32 s17, exec_lo
	v_cmpx_lt_u32_e32 3, v55
	s_cbranch_execz .LBB928_172
; %bb.171:
	v_mov_b32_e32 v55, 0
	v_cmp_eq_u16_sdwa s13, v56, v55 src0_sel:BYTE_0 src1_sel:DWORD
	v_and_b32_e32 v55, 1, v56
	v_and_b32_e32 v56, 1, v60
	v_cndmask_b32_e64 v59, 0, v61, s13
	v_cndmask_b32_e64 v58, 0, v58, s13
	v_cmp_eq_u32_e64 s13, 1, v55
	v_cmp_eq_u32_e64 s14, 1, v56
	v_add_co_u32 v5, s15, v58, v5
	s_or_b32 s13, s13, s14
	v_add_co_ci_u32_e64 v6, null, v59, v6, s15
	v_cndmask_b32_e64 v59, 0, 1, s13
.LBB928_172:
	s_or_b32 exec_lo, exec_lo, s17
	ds_write_b64 v54, v[5:6]
	ds_write_b8 v54, v59 offset:8
.LBB928_173:
	s_or_b32 exec_lo, exec_lo, s16
	v_mov_b32_e32 v5, 0
	v_mov_b32_e32 v6, 0
	s_mov_b32 s14, exec_lo
	s_waitcnt lgkmcnt(0)
	s_barrier
	buffer_gl0_inv
	v_cmpx_lt_u32_e32 31, v0
	s_cbranch_execz .LBB928_175
; %bb.174:
	v_lshl_add_u32 v5, v52, 4, -16
	v_cmp_eq_u32_e64 s13, 0, v51
	ds_read_b64 v[5:6], v5
	s_waitcnt lgkmcnt(0)
	v_cndmask_b32_e64 v52, 0, v5, s13
	v_cndmask_b32_e64 v51, 0, v6, s13
	v_add_co_u32 v3, s13, v52, v3
	v_add_co_ci_u32_e64 v4, null, v51, v4, s13
.LBB928_175:
	s_or_b32 exec_lo, exec_lo, s14
	v_add_nc_u32_e32 v51, -1, v53
	v_cmp_gt_i32_e64 s13, 0, v51
	v_cndmask_b32_e64 v51, v51, v53, s13
	v_lshlrev_b32_e32 v51, 2, v51
	ds_bpermute_b32 v3, v51, v3
	ds_bpermute_b32 v4, v51, v4
	s_and_saveexec_b32 s13, s1
	s_cbranch_execz .LBB928_177
; %bb.176:
	v_cmp_eq_u32_e64 s1, 0, v53
	v_mov_b32_e32 v27, 0
	;;#ASMSTART
	;;#ASMEND
	s_waitcnt lgkmcnt(1)
	v_cndmask_b32_e64 v3, v3, v5, s1
	s_waitcnt lgkmcnt(0)
	v_cndmask_b32_e64 v4, v4, v6, s1
	v_cmp_eq_u16_sdwa s1, v87, v27 src0_sel:BYTE_0 src1_sel:DWORD
	v_cndmask_b32_e64 v3, 0, v3, s1
	v_cndmask_b32_e64 v4, 0, v4, s1
	v_add_co_u32 v1, s1, v3, v1
	v_add_co_ci_u32_e64 v2, null, v4, v2, s1
	v_cndmask_b32_e32 v3, 0, v1, vcc_lo
	v_cndmask_b32_e32 v4, 0, v2, vcc_lo
	v_add_co_u32 v27, vcc_lo, v3, v9
	v_add_co_ci_u32_e64 v28, null, v4, v10, vcc_lo
	v_cndmask_b32_e64 v3, 0, v27, s2
	v_cndmask_b32_e64 v4, 0, v28, s2
	v_add_co_u32 v29, vcc_lo, v3, v15
	v_add_co_ci_u32_e64 v30, null, v4, v16, vcc_lo
	v_cndmask_b32_e64 v3, 0, v29, s3
	v_cndmask_b32_e64 v4, 0, v30, s3
	;; [unrolled: 4-line block ×11, first 2 shown]
	v_add_co_u32 v49, vcc_lo, v3, v11
	v_add_co_ci_u32_e64 v50, null, v4, v12, vcc_lo
.LBB928_177:
	s_or_b32 exec_lo, exec_lo, s13
	s_and_saveexec_b32 s1, s0
	s_cbranch_execz .LBB928_179
; %bb.178:
	v_mov_b32_e32 v5, 0
	v_mov_b32_e32 v7, 2
	s_waitcnt lgkmcnt(0)
	ds_read_b64 v[3:4], v5 offset:112
	ds_read_u8 v6, v5 offset:120
	s_waitcnt lgkmcnt(1)
	global_store_dwordx2 v5, v[3:4], s[22:23] offset:512
	s_waitcnt lgkmcnt(0)
	global_store_byte v5, v6, s[22:23] offset:520
	s_waitcnt_vscnt null, 0x0
	buffer_gl1_inv
	buffer_gl0_inv
	global_store_byte v5, v7, s[24:25] offset:32
.LBB928_179:
	s_or_b32 exec_lo, exec_lo, s1
	v_mov_b32_e32 v52, v2
	v_mov_b32_e32 v51, v1
.LBB928_180:
	s_add_u32 s0, s18, s28
	s_addc_u32 s1, s19, s29
	s_add_u32 s0, s0, s30
	s_addc_u32 s1, s1, s31
	s_and_b32 vcc_lo, exec_lo, s27
	s_cbranch_vccz .LBB928_224
; %bb.181:
	v_mul_u32_u24_e32 v1, 13, v0
	s_add_i32 s33, s33, s26
	s_mov_b32 s2, exec_lo
	v_cmpx_gt_u32_e64 s33, v1
	s_cbranch_execz .LBB928_199
; %bb.182:
	v_add_nc_u32_e32 v2, 1, v1
	s_mov_b32 s3, exec_lo
	v_cmpx_gt_u32_e64 s33, v2
	s_cbranch_execz .LBB928_198
; %bb.183:
	v_add_nc_u32_e32 v2, 2, v1
	;; [unrolled: 5-line block ×8, first 2 shown]
	s_mov_b32 s10, exec_lo
	v_cmpx_gt_u32_e64 s33, v2
; %bb.190:
	v_add_nc_u32_e32 v2, 9, v1
	s_mov_b32 s11, exec_lo
	v_cmpx_gt_u32_e64 s33, v2
	s_or_b32 exec_lo, exec_lo, s11
; %bb.191:
	s_or_b32 exec_lo, exec_lo, s10
.LBB928_192:
	s_or_b32 exec_lo, exec_lo, s9
.LBB928_193:
	s_or_b32 exec_lo, exec_lo, s8
.LBB928_194:
	s_or_b32 exec_lo, exec_lo, s7
.LBB928_195:
	s_or_b32 exec_lo, exec_lo, s6
.LBB928_196:
	s_or_b32 exec_lo, exec_lo, s5
.LBB928_197:
	s_or_b32 exec_lo, exec_lo, s4
.LBB928_198:
	s_or_b32 exec_lo, exec_lo, s3
.LBB928_199:
	s_or_b32 exec_lo, exec_lo, s2
	v_lshlrev_b32_e32 v53, 3, v1
	s_waitcnt lgkmcnt(0)
	s_waitcnt_vscnt null, 0x0
	s_barrier
	buffer_gl0_inv
	v_add_co_u32 v25, s2, s0, v57
	v_mad_i32_i24 v1, 0xffffffa0, v0, v53
	ds_write2_b64 v53, v[51:52], v[27:28] offset1:1
	ds_write2_b64 v53, v[29:30], v[31:32] offset0:2 offset1:3
	ds_write2_b64 v53, v[33:34], v[35:36] offset0:4 offset1:5
	ds_write2_b64 v53, v[37:38], v[39:40] offset0:6 offset1:7
	ds_write2_b64 v53, v[41:42], v[43:44] offset0:8 offset1:9
	ds_write2_b64 v53, v[45:46], v[47:48] offset0:10 offset1:11
	ds_write_b64 v53, v[49:50] offset:96
	s_waitcnt lgkmcnt(0)
	s_barrier
	buffer_gl0_inv
	ds_read2st64_b64 v[21:24], v1 offset0:4 offset1:8
	ds_read2st64_b64 v[17:20], v1 offset0:12 offset1:16
	;; [unrolled: 1-line block ×6, first 2 shown]
	v_add_co_ci_u32_e64 v26, null, s1, 0, s2
	s_mov_b32 s2, exec_lo
	v_cmpx_gt_u32_e64 s33, v0
	s_cbranch_execz .LBB928_201
; %bb.200:
	v_mul_i32_i24_e32 v54, 0xffffffa0, v0
	v_add_nc_u32_e32 v53, v53, v54
	ds_read_b64 v[53:54], v53
	s_waitcnt lgkmcnt(0)
	flat_store_dwordx2 v[25:26], v[53:54]
.LBB928_201:
	s_or_b32 exec_lo, exec_lo, s2
	v_or_b32_e32 v53, 0x100, v0
	s_mov_b32 s2, exec_lo
	v_cmpx_gt_u32_e64 s33, v53
	s_cbranch_execz .LBB928_203
; %bb.202:
	v_add_co_u32 v53, vcc_lo, 0x800, v25
	v_add_co_ci_u32_e64 v54, null, 0, v26, vcc_lo
	s_waitcnt lgkmcnt(5)
	flat_store_dwordx2 v[53:54], v[21:22]
.LBB928_203:
	s_or_b32 exec_lo, exec_lo, s2
	s_waitcnt lgkmcnt(5)
	v_or_b32_e32 v21, 0x200, v0
	s_mov_b32 s2, exec_lo
	v_cmpx_gt_u32_e64 s33, v21
	s_cbranch_execz .LBB928_205
; %bb.204:
	v_add_co_u32 v21, vcc_lo, 0x1000, v25
	v_add_co_ci_u32_e64 v22, null, 0, v26, vcc_lo
	flat_store_dwordx2 v[21:22], v[23:24]
.LBB928_205:
	s_or_b32 exec_lo, exec_lo, s2
	v_or_b32_e32 v21, 0x300, v0
	s_mov_b32 s2, exec_lo
	v_cmpx_gt_u32_e64 s33, v21
	s_cbranch_execz .LBB928_207
; %bb.206:
	v_add_co_u32 v21, vcc_lo, 0x1800, v25
	v_add_co_ci_u32_e64 v22, null, 0, v26, vcc_lo
	s_waitcnt lgkmcnt(4)
	flat_store_dwordx2 v[21:22], v[17:18]
.LBB928_207:
	s_or_b32 exec_lo, exec_lo, s2
	s_waitcnt lgkmcnt(4)
	v_or_b32_e32 v17, 0x400, v0
	s_mov_b32 s2, exec_lo
	v_cmpx_gt_u32_e64 s33, v17
	s_cbranch_execz .LBB928_209
; %bb.208:
	v_add_co_u32 v17, vcc_lo, 0x2000, v25
	v_add_co_ci_u32_e64 v18, null, 0, v26, vcc_lo
	flat_store_dwordx2 v[17:18], v[19:20]
.LBB928_209:
	;; [unrolled: 22-line block ×5, first 2 shown]
	s_or_b32 exec_lo, exec_lo, s2
	v_or_b32_e32 v5, 0xb00, v0
	s_mov_b32 s2, exec_lo
	v_cmpx_gt_u32_e64 s33, v5
	s_cbranch_execz .LBB928_223
; %bb.222:
	v_add_co_u32 v5, vcc_lo, 0x5800, v25
	v_add_co_ci_u32_e64 v6, null, 0, v26, vcc_lo
	s_waitcnt lgkmcnt(0)
	flat_store_dwordx2 v[5:6], v[1:2]
.LBB928_223:
	s_or_b32 exec_lo, exec_lo, s2
	s_waitcnt lgkmcnt(0)
	v_or_b32_e32 v1, 0xc00, v0
	v_cmp_gt_u32_e64 s2, s33, v1
	s_branch .LBB928_226
.LBB928_224:
	s_mov_b32 s2, 0
                                        ; implicit-def: $vgpr3_vgpr4
	s_cbranch_execz .LBB928_226
; %bb.225:
	v_mul_i32_i24_e32 v2, 0xffffffa0, v0
	v_mul_u32_u24_e32 v1, 0x68, v0
	s_waitcnt lgkmcnt(0)
	s_waitcnt_vscnt null, 0x0
	s_barrier
	buffer_gl0_inv
	v_mad_u32_u24 v3, 0x68, v0, v2
	ds_write2_b64 v1, v[51:52], v[27:28] offset1:1
	ds_write2_b64 v1, v[29:30], v[31:32] offset0:2 offset1:3
	ds_write2_b64 v1, v[33:34], v[35:36] offset0:4 offset1:5
	;; [unrolled: 1-line block ×5, first 2 shown]
	ds_write_b64 v1, v[49:50] offset:96
	s_waitcnt lgkmcnt(0)
	s_barrier
	buffer_gl0_inv
	ds_read2st64_b64 v[5:8], v3 offset1:4
	ds_read2st64_b64 v[9:12], v3 offset0:8 offset1:12
	ds_read2st64_b64 v[13:16], v3 offset0:16 offset1:20
	;; [unrolled: 1-line block ×3, first 2 shown]
	v_add_co_u32 v1, s3, s0, v57
	v_add_co_ci_u32_e64 v2, null, s1, 0, s3
	ds_read2st64_b64 v[21:24], v3 offset0:32 offset1:36
	v_add_co_u32 v29, vcc_lo, 0x800, v1
	v_add_co_ci_u32_e64 v30, null, 0, v2, vcc_lo
	v_add_co_u32 v31, vcc_lo, 0x1000, v1
	v_add_co_ci_u32_e64 v32, null, 0, v2, vcc_lo
	ds_read2st64_b64 v[25:28], v3 offset0:40 offset1:44
	ds_read_b64 v[3:4], v3 offset:24576
	s_or_b32 s2, s2, exec_lo
	s_waitcnt lgkmcnt(6)
	flat_store_dwordx2 v[1:2], v[5:6]
	flat_store_dwordx2 v[29:30], v[7:8]
	s_waitcnt lgkmcnt(7)
	flat_store_dwordx2 v[31:32], v[9:10]
	v_add_co_u32 v5, vcc_lo, 0x1800, v1
	v_add_co_ci_u32_e64 v6, null, 0, v2, vcc_lo
	v_add_co_u32 v7, vcc_lo, 0x2000, v1
	v_add_co_ci_u32_e64 v8, null, 0, v2, vcc_lo
	;; [unrolled: 2-line block ×5, first 2 shown]
	flat_store_dwordx2 v[5:6], v[11:12]
	s_waitcnt lgkmcnt(8)
	flat_store_dwordx2 v[7:8], v[13:14]
	flat_store_dwordx2 v[9:10], v[15:16]
	s_waitcnt lgkmcnt(9)
	flat_store_dwordx2 v[29:30], v[17:18]
	flat_store_dwordx2 v[31:32], v[19:20]
	v_add_co_u32 v5, vcc_lo, 0x4000, v1
	v_add_co_ci_u32_e64 v6, null, 0, v2, vcc_lo
	v_add_co_u32 v7, vcc_lo, 0x4800, v1
	v_add_co_ci_u32_e64 v8, null, 0, v2, vcc_lo
	;; [unrolled: 2-line block ×4, first 2 shown]
	s_waitcnt lgkmcnt(10)
	flat_store_dwordx2 v[5:6], v[21:22]
	flat_store_dwordx2 v[7:8], v[23:24]
	s_waitcnt lgkmcnt(11)
	flat_store_dwordx2 v[9:10], v[25:26]
	flat_store_dwordx2 v[1:2], v[27:28]
.LBB928_226:
	s_and_saveexec_b32 s3, s2
	s_cbranch_execnz .LBB928_228
; %bb.227:
	s_endpgm
.LBB928_228:
	v_lshlrev_b32_e32 v0, 3, v0
	v_add_co_u32 v0, s0, s0, v0
	v_add_co_ci_u32_e64 v1, null, s1, 0, s0
	v_add_co_u32 v0, vcc_lo, 0x6000, v0
	v_add_co_ci_u32_e64 v1, null, 0, v1, vcc_lo
	s_waitcnt lgkmcnt(0)
	flat_store_dwordx2 v[0:1], v[3:4]
	s_endpgm
.LBB928_229:
	global_load_dwordx2 v[1:2], v39, s[16:17]
	s_waitcnt vmcnt(0)
	v_sub_co_u32 v1, vcc_lo, 0, v1
	v_sub_co_ci_u32_e64 v2, null, 0, v2, vcc_lo
	s_or_b32 exec_lo, exec_lo, s36
                                        ; implicit-def: $vgpr3_vgpr4
	s_and_saveexec_b32 s2, s3
	s_cbranch_execz .LBB928_39
.LBB928_230:
	global_load_dwordx2 v[3:4], v27, s[16:17]
	s_waitcnt vmcnt(0)
	v_sub_co_u32 v3, vcc_lo, 0, v3
	v_sub_co_ci_u32_e64 v4, null, 0, v4, vcc_lo
	s_or_b32 exec_lo, exec_lo, s2
                                        ; implicit-def: $vgpr5_vgpr6
	s_and_saveexec_b32 s2, s4
	s_cbranch_execz .LBB928_40
.LBB928_231:
	global_load_dwordx2 v[5:6], v28, s[16:17]
	s_waitcnt vmcnt(0)
	v_sub_co_u32 v5, vcc_lo, 0, v5
	v_sub_co_ci_u32_e64 v6, null, 0, v6, vcc_lo
	s_or_b32 exec_lo, exec_lo, s2
                                        ; implicit-def: $vgpr7_vgpr8
	s_and_saveexec_b32 s2, s5
	s_cbranch_execz .LBB928_41
.LBB928_232:
	global_load_dwordx2 v[7:8], v29, s[16:17]
	s_waitcnt vmcnt(0)
	v_sub_co_u32 v7, vcc_lo, 0, v7
	v_sub_co_ci_u32_e64 v8, null, 0, v8, vcc_lo
	s_or_b32 exec_lo, exec_lo, s2
                                        ; implicit-def: $vgpr9_vgpr10
	s_and_saveexec_b32 s2, s6
	s_cbranch_execz .LBB928_42
.LBB928_233:
	global_load_dwordx2 v[9:10], v30, s[16:17]
	s_waitcnt vmcnt(0)
	v_sub_co_u32 v9, vcc_lo, 0, v9
	v_sub_co_ci_u32_e64 v10, null, 0, v10, vcc_lo
	s_or_b32 exec_lo, exec_lo, s2
                                        ; implicit-def: $vgpr13_vgpr14
	s_and_saveexec_b32 s2, s7
	s_cbranch_execz .LBB928_43
.LBB928_234:
	global_load_dwordx2 v[13:14], v31, s[16:17]
	s_waitcnt vmcnt(0)
	v_sub_co_u32 v13, vcc_lo, 0, v13
	v_sub_co_ci_u32_e64 v14, null, 0, v14, vcc_lo
	s_or_b32 exec_lo, exec_lo, s2
                                        ; implicit-def: $vgpr15_vgpr16
	s_and_saveexec_b32 s2, s8
	s_cbranch_execz .LBB928_44
.LBB928_235:
	global_load_dwordx2 v[15:16], v32, s[16:17]
	s_waitcnt vmcnt(0)
	v_sub_co_u32 v15, vcc_lo, 0, v15
	v_sub_co_ci_u32_e64 v16, null, 0, v16, vcc_lo
	s_or_b32 exec_lo, exec_lo, s2
                                        ; implicit-def: $vgpr17_vgpr18
	s_and_saveexec_b32 s2, s9
	s_cbranch_execz .LBB928_45
.LBB928_236:
	global_load_dwordx2 v[17:18], v33, s[16:17]
	s_waitcnt vmcnt(0)
	v_sub_co_u32 v17, vcc_lo, 0, v17
	v_sub_co_ci_u32_e64 v18, null, 0, v18, vcc_lo
	s_or_b32 exec_lo, exec_lo, s2
                                        ; implicit-def: $vgpr19_vgpr20
	s_and_saveexec_b32 s2, s10
	s_cbranch_execz .LBB928_46
.LBB928_237:
	global_load_dwordx2 v[19:20], v34, s[16:17]
	s_waitcnt vmcnt(0)
	v_sub_co_u32 v19, vcc_lo, 0, v19
	v_sub_co_ci_u32_e64 v20, null, 0, v20, vcc_lo
	s_or_b32 exec_lo, exec_lo, s2
                                        ; implicit-def: $vgpr21_vgpr22
	s_and_saveexec_b32 s2, s11
	s_cbranch_execz .LBB928_47
.LBB928_238:
	global_load_dwordx2 v[21:22], v35, s[16:17]
	s_waitcnt vmcnt(0)
	v_sub_co_u32 v21, vcc_lo, 0, v21
	v_sub_co_ci_u32_e64 v22, null, 0, v22, vcc_lo
	s_or_b32 exec_lo, exec_lo, s2
                                        ; implicit-def: $vgpr23_vgpr24
	s_and_saveexec_b32 s2, s12
	s_cbranch_execz .LBB928_48
.LBB928_239:
	global_load_dwordx2 v[23:24], v36, s[16:17]
	s_waitcnt vmcnt(0)
	v_sub_co_u32 v23, vcc_lo, 0, v23
	v_sub_co_ci_u32_e64 v24, null, 0, v24, vcc_lo
	s_or_b32 exec_lo, exec_lo, s2
                                        ; implicit-def: $vgpr25_vgpr26
	s_and_saveexec_b32 s2, s13
	s_cbranch_execz .LBB928_49
.LBB928_240:
	global_load_dwordx2 v[25:26], v37, s[16:17]
	s_waitcnt vmcnt(0)
	v_sub_co_u32 v25, vcc_lo, 0, v25
	v_sub_co_ci_u32_e64 v26, null, 0, v26, vcc_lo
	s_or_b32 exec_lo, exec_lo, s2
                                        ; implicit-def: $vgpr27_vgpr28
	s_and_saveexec_b32 s2, s14
	s_cbranch_execnz .LBB928_50
	s_branch .LBB928_51
.LBB928_241:
                                        ; implicit-def: $sgpr36_sgpr37
	s_branch .LBB928_34
.LBB928_242:
                                        ; implicit-def: $sgpr2_sgpr3
	s_branch .LBB928_80
	.section	.rodata,"a",@progbits
	.p2align	6, 0x0
	.amdhsa_kernel _ZN7rocprim17ROCPRIM_400000_NS6detail17trampoline_kernelINS0_14default_configENS1_27scan_by_key_config_selectorIxxEEZZNS1_16scan_by_key_implILNS1_25lookback_scan_determinismE0ELb0ES3_N6thrust23THRUST_200600_302600_NS6detail15normal_iteratorINS9_10device_ptrIxEEEENS9_18transform_iteratorINS9_6negateIxEESE_NS9_11use_defaultESI_EESE_xNS9_4plusIvEENS9_8equal_toIvEExEE10hipError_tPvRmT2_T3_T4_T5_mT6_T7_P12ihipStream_tbENKUlT_T0_E_clISt17integral_constantIbLb0EES13_IbLb1EEEEDaSZ_S10_EUlSZ_E_NS1_11comp_targetILNS1_3genE8ELNS1_11target_archE1030ELNS1_3gpuE2ELNS1_3repE0EEENS1_30default_config_static_selectorELNS0_4arch9wavefront6targetE0EEEvT1_
		.amdhsa_group_segment_fixed_size 30720
		.amdhsa_private_segment_fixed_size 0
		.amdhsa_kernarg_size 144
		.amdhsa_user_sgpr_count 6
		.amdhsa_user_sgpr_private_segment_buffer 1
		.amdhsa_user_sgpr_dispatch_ptr 0
		.amdhsa_user_sgpr_queue_ptr 0
		.amdhsa_user_sgpr_kernarg_segment_ptr 1
		.amdhsa_user_sgpr_dispatch_id 0
		.amdhsa_user_sgpr_flat_scratch_init 0
		.amdhsa_user_sgpr_private_segment_size 0
		.amdhsa_wavefront_size32 1
		.amdhsa_uses_dynamic_stack 0
		.amdhsa_system_sgpr_private_segment_wavefront_offset 0
		.amdhsa_system_sgpr_workgroup_id_x 1
		.amdhsa_system_sgpr_workgroup_id_y 0
		.amdhsa_system_sgpr_workgroup_id_z 0
		.amdhsa_system_sgpr_workgroup_info 0
		.amdhsa_system_vgpr_workitem_id 0
		.amdhsa_next_free_vgpr 113
		.amdhsa_next_free_sgpr 51
		.amdhsa_reserve_vcc 1
		.amdhsa_reserve_flat_scratch 1
		.amdhsa_float_round_mode_32 0
		.amdhsa_float_round_mode_16_64 0
		.amdhsa_float_denorm_mode_32 3
		.amdhsa_float_denorm_mode_16_64 3
		.amdhsa_dx10_clamp 1
		.amdhsa_ieee_mode 1
		.amdhsa_fp16_overflow 0
		.amdhsa_workgroup_processor_mode 1
		.amdhsa_memory_ordered 1
		.amdhsa_forward_progress 1
		.amdhsa_shared_vgpr_count 0
		.amdhsa_exception_fp_ieee_invalid_op 0
		.amdhsa_exception_fp_denorm_src 0
		.amdhsa_exception_fp_ieee_div_zero 0
		.amdhsa_exception_fp_ieee_overflow 0
		.amdhsa_exception_fp_ieee_underflow 0
		.amdhsa_exception_fp_ieee_inexact 0
		.amdhsa_exception_int_div_zero 0
	.end_amdhsa_kernel
	.section	.text._ZN7rocprim17ROCPRIM_400000_NS6detail17trampoline_kernelINS0_14default_configENS1_27scan_by_key_config_selectorIxxEEZZNS1_16scan_by_key_implILNS1_25lookback_scan_determinismE0ELb0ES3_N6thrust23THRUST_200600_302600_NS6detail15normal_iteratorINS9_10device_ptrIxEEEENS9_18transform_iteratorINS9_6negateIxEESE_NS9_11use_defaultESI_EESE_xNS9_4plusIvEENS9_8equal_toIvEExEE10hipError_tPvRmT2_T3_T4_T5_mT6_T7_P12ihipStream_tbENKUlT_T0_E_clISt17integral_constantIbLb0EES13_IbLb1EEEEDaSZ_S10_EUlSZ_E_NS1_11comp_targetILNS1_3genE8ELNS1_11target_archE1030ELNS1_3gpuE2ELNS1_3repE0EEENS1_30default_config_static_selectorELNS0_4arch9wavefront6targetE0EEEvT1_,"axG",@progbits,_ZN7rocprim17ROCPRIM_400000_NS6detail17trampoline_kernelINS0_14default_configENS1_27scan_by_key_config_selectorIxxEEZZNS1_16scan_by_key_implILNS1_25lookback_scan_determinismE0ELb0ES3_N6thrust23THRUST_200600_302600_NS6detail15normal_iteratorINS9_10device_ptrIxEEEENS9_18transform_iteratorINS9_6negateIxEESE_NS9_11use_defaultESI_EESE_xNS9_4plusIvEENS9_8equal_toIvEExEE10hipError_tPvRmT2_T3_T4_T5_mT6_T7_P12ihipStream_tbENKUlT_T0_E_clISt17integral_constantIbLb0EES13_IbLb1EEEEDaSZ_S10_EUlSZ_E_NS1_11comp_targetILNS1_3genE8ELNS1_11target_archE1030ELNS1_3gpuE2ELNS1_3repE0EEENS1_30default_config_static_selectorELNS0_4arch9wavefront6targetE0EEEvT1_,comdat
.Lfunc_end928:
	.size	_ZN7rocprim17ROCPRIM_400000_NS6detail17trampoline_kernelINS0_14default_configENS1_27scan_by_key_config_selectorIxxEEZZNS1_16scan_by_key_implILNS1_25lookback_scan_determinismE0ELb0ES3_N6thrust23THRUST_200600_302600_NS6detail15normal_iteratorINS9_10device_ptrIxEEEENS9_18transform_iteratorINS9_6negateIxEESE_NS9_11use_defaultESI_EESE_xNS9_4plusIvEENS9_8equal_toIvEExEE10hipError_tPvRmT2_T3_T4_T5_mT6_T7_P12ihipStream_tbENKUlT_T0_E_clISt17integral_constantIbLb0EES13_IbLb1EEEEDaSZ_S10_EUlSZ_E_NS1_11comp_targetILNS1_3genE8ELNS1_11target_archE1030ELNS1_3gpuE2ELNS1_3repE0EEENS1_30default_config_static_selectorELNS0_4arch9wavefront6targetE0EEEvT1_, .Lfunc_end928-_ZN7rocprim17ROCPRIM_400000_NS6detail17trampoline_kernelINS0_14default_configENS1_27scan_by_key_config_selectorIxxEEZZNS1_16scan_by_key_implILNS1_25lookback_scan_determinismE0ELb0ES3_N6thrust23THRUST_200600_302600_NS6detail15normal_iteratorINS9_10device_ptrIxEEEENS9_18transform_iteratorINS9_6negateIxEESE_NS9_11use_defaultESI_EESE_xNS9_4plusIvEENS9_8equal_toIvEExEE10hipError_tPvRmT2_T3_T4_T5_mT6_T7_P12ihipStream_tbENKUlT_T0_E_clISt17integral_constantIbLb0EES13_IbLb1EEEEDaSZ_S10_EUlSZ_E_NS1_11comp_targetILNS1_3genE8ELNS1_11target_archE1030ELNS1_3gpuE2ELNS1_3repE0EEENS1_30default_config_static_selectorELNS0_4arch9wavefront6targetE0EEEvT1_
                                        ; -- End function
	.set _ZN7rocprim17ROCPRIM_400000_NS6detail17trampoline_kernelINS0_14default_configENS1_27scan_by_key_config_selectorIxxEEZZNS1_16scan_by_key_implILNS1_25lookback_scan_determinismE0ELb0ES3_N6thrust23THRUST_200600_302600_NS6detail15normal_iteratorINS9_10device_ptrIxEEEENS9_18transform_iteratorINS9_6negateIxEESE_NS9_11use_defaultESI_EESE_xNS9_4plusIvEENS9_8equal_toIvEExEE10hipError_tPvRmT2_T3_T4_T5_mT6_T7_P12ihipStream_tbENKUlT_T0_E_clISt17integral_constantIbLb0EES13_IbLb1EEEEDaSZ_S10_EUlSZ_E_NS1_11comp_targetILNS1_3genE8ELNS1_11target_archE1030ELNS1_3gpuE2ELNS1_3repE0EEENS1_30default_config_static_selectorELNS0_4arch9wavefront6targetE0EEEvT1_.num_vgpr, 106
	.set _ZN7rocprim17ROCPRIM_400000_NS6detail17trampoline_kernelINS0_14default_configENS1_27scan_by_key_config_selectorIxxEEZZNS1_16scan_by_key_implILNS1_25lookback_scan_determinismE0ELb0ES3_N6thrust23THRUST_200600_302600_NS6detail15normal_iteratorINS9_10device_ptrIxEEEENS9_18transform_iteratorINS9_6negateIxEESE_NS9_11use_defaultESI_EESE_xNS9_4plusIvEENS9_8equal_toIvEExEE10hipError_tPvRmT2_T3_T4_T5_mT6_T7_P12ihipStream_tbENKUlT_T0_E_clISt17integral_constantIbLb0EES13_IbLb1EEEEDaSZ_S10_EUlSZ_E_NS1_11comp_targetILNS1_3genE8ELNS1_11target_archE1030ELNS1_3gpuE2ELNS1_3repE0EEENS1_30default_config_static_selectorELNS0_4arch9wavefront6targetE0EEEvT1_.num_agpr, 0
	.set _ZN7rocprim17ROCPRIM_400000_NS6detail17trampoline_kernelINS0_14default_configENS1_27scan_by_key_config_selectorIxxEEZZNS1_16scan_by_key_implILNS1_25lookback_scan_determinismE0ELb0ES3_N6thrust23THRUST_200600_302600_NS6detail15normal_iteratorINS9_10device_ptrIxEEEENS9_18transform_iteratorINS9_6negateIxEESE_NS9_11use_defaultESI_EESE_xNS9_4plusIvEENS9_8equal_toIvEExEE10hipError_tPvRmT2_T3_T4_T5_mT6_T7_P12ihipStream_tbENKUlT_T0_E_clISt17integral_constantIbLb0EES13_IbLb1EEEEDaSZ_S10_EUlSZ_E_NS1_11comp_targetILNS1_3genE8ELNS1_11target_archE1030ELNS1_3gpuE2ELNS1_3repE0EEENS1_30default_config_static_selectorELNS0_4arch9wavefront6targetE0EEEvT1_.numbered_sgpr, 51
	.set _ZN7rocprim17ROCPRIM_400000_NS6detail17trampoline_kernelINS0_14default_configENS1_27scan_by_key_config_selectorIxxEEZZNS1_16scan_by_key_implILNS1_25lookback_scan_determinismE0ELb0ES3_N6thrust23THRUST_200600_302600_NS6detail15normal_iteratorINS9_10device_ptrIxEEEENS9_18transform_iteratorINS9_6negateIxEESE_NS9_11use_defaultESI_EESE_xNS9_4plusIvEENS9_8equal_toIvEExEE10hipError_tPvRmT2_T3_T4_T5_mT6_T7_P12ihipStream_tbENKUlT_T0_E_clISt17integral_constantIbLb0EES13_IbLb1EEEEDaSZ_S10_EUlSZ_E_NS1_11comp_targetILNS1_3genE8ELNS1_11target_archE1030ELNS1_3gpuE2ELNS1_3repE0EEENS1_30default_config_static_selectorELNS0_4arch9wavefront6targetE0EEEvT1_.num_named_barrier, 0
	.set _ZN7rocprim17ROCPRIM_400000_NS6detail17trampoline_kernelINS0_14default_configENS1_27scan_by_key_config_selectorIxxEEZZNS1_16scan_by_key_implILNS1_25lookback_scan_determinismE0ELb0ES3_N6thrust23THRUST_200600_302600_NS6detail15normal_iteratorINS9_10device_ptrIxEEEENS9_18transform_iteratorINS9_6negateIxEESE_NS9_11use_defaultESI_EESE_xNS9_4plusIvEENS9_8equal_toIvEExEE10hipError_tPvRmT2_T3_T4_T5_mT6_T7_P12ihipStream_tbENKUlT_T0_E_clISt17integral_constantIbLb0EES13_IbLb1EEEEDaSZ_S10_EUlSZ_E_NS1_11comp_targetILNS1_3genE8ELNS1_11target_archE1030ELNS1_3gpuE2ELNS1_3repE0EEENS1_30default_config_static_selectorELNS0_4arch9wavefront6targetE0EEEvT1_.private_seg_size, 0
	.set _ZN7rocprim17ROCPRIM_400000_NS6detail17trampoline_kernelINS0_14default_configENS1_27scan_by_key_config_selectorIxxEEZZNS1_16scan_by_key_implILNS1_25lookback_scan_determinismE0ELb0ES3_N6thrust23THRUST_200600_302600_NS6detail15normal_iteratorINS9_10device_ptrIxEEEENS9_18transform_iteratorINS9_6negateIxEESE_NS9_11use_defaultESI_EESE_xNS9_4plusIvEENS9_8equal_toIvEExEE10hipError_tPvRmT2_T3_T4_T5_mT6_T7_P12ihipStream_tbENKUlT_T0_E_clISt17integral_constantIbLb0EES13_IbLb1EEEEDaSZ_S10_EUlSZ_E_NS1_11comp_targetILNS1_3genE8ELNS1_11target_archE1030ELNS1_3gpuE2ELNS1_3repE0EEENS1_30default_config_static_selectorELNS0_4arch9wavefront6targetE0EEEvT1_.uses_vcc, 1
	.set _ZN7rocprim17ROCPRIM_400000_NS6detail17trampoline_kernelINS0_14default_configENS1_27scan_by_key_config_selectorIxxEEZZNS1_16scan_by_key_implILNS1_25lookback_scan_determinismE0ELb0ES3_N6thrust23THRUST_200600_302600_NS6detail15normal_iteratorINS9_10device_ptrIxEEEENS9_18transform_iteratorINS9_6negateIxEESE_NS9_11use_defaultESI_EESE_xNS9_4plusIvEENS9_8equal_toIvEExEE10hipError_tPvRmT2_T3_T4_T5_mT6_T7_P12ihipStream_tbENKUlT_T0_E_clISt17integral_constantIbLb0EES13_IbLb1EEEEDaSZ_S10_EUlSZ_E_NS1_11comp_targetILNS1_3genE8ELNS1_11target_archE1030ELNS1_3gpuE2ELNS1_3repE0EEENS1_30default_config_static_selectorELNS0_4arch9wavefront6targetE0EEEvT1_.uses_flat_scratch, 1
	.set _ZN7rocprim17ROCPRIM_400000_NS6detail17trampoline_kernelINS0_14default_configENS1_27scan_by_key_config_selectorIxxEEZZNS1_16scan_by_key_implILNS1_25lookback_scan_determinismE0ELb0ES3_N6thrust23THRUST_200600_302600_NS6detail15normal_iteratorINS9_10device_ptrIxEEEENS9_18transform_iteratorINS9_6negateIxEESE_NS9_11use_defaultESI_EESE_xNS9_4plusIvEENS9_8equal_toIvEExEE10hipError_tPvRmT2_T3_T4_T5_mT6_T7_P12ihipStream_tbENKUlT_T0_E_clISt17integral_constantIbLb0EES13_IbLb1EEEEDaSZ_S10_EUlSZ_E_NS1_11comp_targetILNS1_3genE8ELNS1_11target_archE1030ELNS1_3gpuE2ELNS1_3repE0EEENS1_30default_config_static_selectorELNS0_4arch9wavefront6targetE0EEEvT1_.has_dyn_sized_stack, 0
	.set _ZN7rocprim17ROCPRIM_400000_NS6detail17trampoline_kernelINS0_14default_configENS1_27scan_by_key_config_selectorIxxEEZZNS1_16scan_by_key_implILNS1_25lookback_scan_determinismE0ELb0ES3_N6thrust23THRUST_200600_302600_NS6detail15normal_iteratorINS9_10device_ptrIxEEEENS9_18transform_iteratorINS9_6negateIxEESE_NS9_11use_defaultESI_EESE_xNS9_4plusIvEENS9_8equal_toIvEExEE10hipError_tPvRmT2_T3_T4_T5_mT6_T7_P12ihipStream_tbENKUlT_T0_E_clISt17integral_constantIbLb0EES13_IbLb1EEEEDaSZ_S10_EUlSZ_E_NS1_11comp_targetILNS1_3genE8ELNS1_11target_archE1030ELNS1_3gpuE2ELNS1_3repE0EEENS1_30default_config_static_selectorELNS0_4arch9wavefront6targetE0EEEvT1_.has_recursion, 0
	.set _ZN7rocprim17ROCPRIM_400000_NS6detail17trampoline_kernelINS0_14default_configENS1_27scan_by_key_config_selectorIxxEEZZNS1_16scan_by_key_implILNS1_25lookback_scan_determinismE0ELb0ES3_N6thrust23THRUST_200600_302600_NS6detail15normal_iteratorINS9_10device_ptrIxEEEENS9_18transform_iteratorINS9_6negateIxEESE_NS9_11use_defaultESI_EESE_xNS9_4plusIvEENS9_8equal_toIvEExEE10hipError_tPvRmT2_T3_T4_T5_mT6_T7_P12ihipStream_tbENKUlT_T0_E_clISt17integral_constantIbLb0EES13_IbLb1EEEEDaSZ_S10_EUlSZ_E_NS1_11comp_targetILNS1_3genE8ELNS1_11target_archE1030ELNS1_3gpuE2ELNS1_3repE0EEENS1_30default_config_static_selectorELNS0_4arch9wavefront6targetE0EEEvT1_.has_indirect_call, 0
	.section	.AMDGPU.csdata,"",@progbits
; Kernel info:
; codeLenInByte = 15544
; TotalNumSgprs: 53
; NumVgprs: 106
; ScratchSize: 0
; MemoryBound: 0
; FloatMode: 240
; IeeeMode: 1
; LDSByteSize: 30720 bytes/workgroup (compile time only)
; SGPRBlocks: 0
; VGPRBlocks: 14
; NumSGPRsForWavesPerEU: 53
; NumVGPRsForWavesPerEU: 113
; Occupancy: 8
; WaveLimiterHint : 1
; COMPUTE_PGM_RSRC2:SCRATCH_EN: 0
; COMPUTE_PGM_RSRC2:USER_SGPR: 6
; COMPUTE_PGM_RSRC2:TRAP_HANDLER: 0
; COMPUTE_PGM_RSRC2:TGID_X_EN: 1
; COMPUTE_PGM_RSRC2:TGID_Y_EN: 0
; COMPUTE_PGM_RSRC2:TGID_Z_EN: 0
; COMPUTE_PGM_RSRC2:TIDIG_COMP_CNT: 0
	.section	.text._ZN7rocprim17ROCPRIM_400000_NS6detail17trampoline_kernelINS0_14default_configENS1_27scan_by_key_config_selectorIiiEEZZNS1_16scan_by_key_implILNS1_25lookback_scan_determinismE0ELb0ES3_N6thrust23THRUST_200600_302600_NS6detail15normal_iteratorINS9_10device_ptrIiEEEENS9_18transform_iteratorINS9_6negateIiEESE_NS9_11use_defaultESI_EESE_iNS9_4plusIvEENS9_8equal_toIvEEiEE10hipError_tPvRmT2_T3_T4_T5_mT6_T7_P12ihipStream_tbENKUlT_T0_E_clISt17integral_constantIbLb0EES14_EEDaSZ_S10_EUlSZ_E_NS1_11comp_targetILNS1_3genE0ELNS1_11target_archE4294967295ELNS1_3gpuE0ELNS1_3repE0EEENS1_30default_config_static_selectorELNS0_4arch9wavefront6targetE0EEEvT1_,"axG",@progbits,_ZN7rocprim17ROCPRIM_400000_NS6detail17trampoline_kernelINS0_14default_configENS1_27scan_by_key_config_selectorIiiEEZZNS1_16scan_by_key_implILNS1_25lookback_scan_determinismE0ELb0ES3_N6thrust23THRUST_200600_302600_NS6detail15normal_iteratorINS9_10device_ptrIiEEEENS9_18transform_iteratorINS9_6negateIiEESE_NS9_11use_defaultESI_EESE_iNS9_4plusIvEENS9_8equal_toIvEEiEE10hipError_tPvRmT2_T3_T4_T5_mT6_T7_P12ihipStream_tbENKUlT_T0_E_clISt17integral_constantIbLb0EES14_EEDaSZ_S10_EUlSZ_E_NS1_11comp_targetILNS1_3genE0ELNS1_11target_archE4294967295ELNS1_3gpuE0ELNS1_3repE0EEENS1_30default_config_static_selectorELNS0_4arch9wavefront6targetE0EEEvT1_,comdat
	.protected	_ZN7rocprim17ROCPRIM_400000_NS6detail17trampoline_kernelINS0_14default_configENS1_27scan_by_key_config_selectorIiiEEZZNS1_16scan_by_key_implILNS1_25lookback_scan_determinismE0ELb0ES3_N6thrust23THRUST_200600_302600_NS6detail15normal_iteratorINS9_10device_ptrIiEEEENS9_18transform_iteratorINS9_6negateIiEESE_NS9_11use_defaultESI_EESE_iNS9_4plusIvEENS9_8equal_toIvEEiEE10hipError_tPvRmT2_T3_T4_T5_mT6_T7_P12ihipStream_tbENKUlT_T0_E_clISt17integral_constantIbLb0EES14_EEDaSZ_S10_EUlSZ_E_NS1_11comp_targetILNS1_3genE0ELNS1_11target_archE4294967295ELNS1_3gpuE0ELNS1_3repE0EEENS1_30default_config_static_selectorELNS0_4arch9wavefront6targetE0EEEvT1_ ; -- Begin function _ZN7rocprim17ROCPRIM_400000_NS6detail17trampoline_kernelINS0_14default_configENS1_27scan_by_key_config_selectorIiiEEZZNS1_16scan_by_key_implILNS1_25lookback_scan_determinismE0ELb0ES3_N6thrust23THRUST_200600_302600_NS6detail15normal_iteratorINS9_10device_ptrIiEEEENS9_18transform_iteratorINS9_6negateIiEESE_NS9_11use_defaultESI_EESE_iNS9_4plusIvEENS9_8equal_toIvEEiEE10hipError_tPvRmT2_T3_T4_T5_mT6_T7_P12ihipStream_tbENKUlT_T0_E_clISt17integral_constantIbLb0EES14_EEDaSZ_S10_EUlSZ_E_NS1_11comp_targetILNS1_3genE0ELNS1_11target_archE4294967295ELNS1_3gpuE0ELNS1_3repE0EEENS1_30default_config_static_selectorELNS0_4arch9wavefront6targetE0EEEvT1_
	.globl	_ZN7rocprim17ROCPRIM_400000_NS6detail17trampoline_kernelINS0_14default_configENS1_27scan_by_key_config_selectorIiiEEZZNS1_16scan_by_key_implILNS1_25lookback_scan_determinismE0ELb0ES3_N6thrust23THRUST_200600_302600_NS6detail15normal_iteratorINS9_10device_ptrIiEEEENS9_18transform_iteratorINS9_6negateIiEESE_NS9_11use_defaultESI_EESE_iNS9_4plusIvEENS9_8equal_toIvEEiEE10hipError_tPvRmT2_T3_T4_T5_mT6_T7_P12ihipStream_tbENKUlT_T0_E_clISt17integral_constantIbLb0EES14_EEDaSZ_S10_EUlSZ_E_NS1_11comp_targetILNS1_3genE0ELNS1_11target_archE4294967295ELNS1_3gpuE0ELNS1_3repE0EEENS1_30default_config_static_selectorELNS0_4arch9wavefront6targetE0EEEvT1_
	.p2align	8
	.type	_ZN7rocprim17ROCPRIM_400000_NS6detail17trampoline_kernelINS0_14default_configENS1_27scan_by_key_config_selectorIiiEEZZNS1_16scan_by_key_implILNS1_25lookback_scan_determinismE0ELb0ES3_N6thrust23THRUST_200600_302600_NS6detail15normal_iteratorINS9_10device_ptrIiEEEENS9_18transform_iteratorINS9_6negateIiEESE_NS9_11use_defaultESI_EESE_iNS9_4plusIvEENS9_8equal_toIvEEiEE10hipError_tPvRmT2_T3_T4_T5_mT6_T7_P12ihipStream_tbENKUlT_T0_E_clISt17integral_constantIbLb0EES14_EEDaSZ_S10_EUlSZ_E_NS1_11comp_targetILNS1_3genE0ELNS1_11target_archE4294967295ELNS1_3gpuE0ELNS1_3repE0EEENS1_30default_config_static_selectorELNS0_4arch9wavefront6targetE0EEEvT1_,@function
_ZN7rocprim17ROCPRIM_400000_NS6detail17trampoline_kernelINS0_14default_configENS1_27scan_by_key_config_selectorIiiEEZZNS1_16scan_by_key_implILNS1_25lookback_scan_determinismE0ELb0ES3_N6thrust23THRUST_200600_302600_NS6detail15normal_iteratorINS9_10device_ptrIiEEEENS9_18transform_iteratorINS9_6negateIiEESE_NS9_11use_defaultESI_EESE_iNS9_4plusIvEENS9_8equal_toIvEEiEE10hipError_tPvRmT2_T3_T4_T5_mT6_T7_P12ihipStream_tbENKUlT_T0_E_clISt17integral_constantIbLb0EES14_EEDaSZ_S10_EUlSZ_E_NS1_11comp_targetILNS1_3genE0ELNS1_11target_archE4294967295ELNS1_3gpuE0ELNS1_3repE0EEENS1_30default_config_static_selectorELNS0_4arch9wavefront6targetE0EEEvT1_: ; @_ZN7rocprim17ROCPRIM_400000_NS6detail17trampoline_kernelINS0_14default_configENS1_27scan_by_key_config_selectorIiiEEZZNS1_16scan_by_key_implILNS1_25lookback_scan_determinismE0ELb0ES3_N6thrust23THRUST_200600_302600_NS6detail15normal_iteratorINS9_10device_ptrIiEEEENS9_18transform_iteratorINS9_6negateIiEESE_NS9_11use_defaultESI_EESE_iNS9_4plusIvEENS9_8equal_toIvEEiEE10hipError_tPvRmT2_T3_T4_T5_mT6_T7_P12ihipStream_tbENKUlT_T0_E_clISt17integral_constantIbLb0EES14_EEDaSZ_S10_EUlSZ_E_NS1_11comp_targetILNS1_3genE0ELNS1_11target_archE4294967295ELNS1_3gpuE0ELNS1_3repE0EEENS1_30default_config_static_selectorELNS0_4arch9wavefront6targetE0EEEvT1_
; %bb.0:
	.section	.rodata,"a",@progbits
	.p2align	6, 0x0
	.amdhsa_kernel _ZN7rocprim17ROCPRIM_400000_NS6detail17trampoline_kernelINS0_14default_configENS1_27scan_by_key_config_selectorIiiEEZZNS1_16scan_by_key_implILNS1_25lookback_scan_determinismE0ELb0ES3_N6thrust23THRUST_200600_302600_NS6detail15normal_iteratorINS9_10device_ptrIiEEEENS9_18transform_iteratorINS9_6negateIiEESE_NS9_11use_defaultESI_EESE_iNS9_4plusIvEENS9_8equal_toIvEEiEE10hipError_tPvRmT2_T3_T4_T5_mT6_T7_P12ihipStream_tbENKUlT_T0_E_clISt17integral_constantIbLb0EES14_EEDaSZ_S10_EUlSZ_E_NS1_11comp_targetILNS1_3genE0ELNS1_11target_archE4294967295ELNS1_3gpuE0ELNS1_3repE0EEENS1_30default_config_static_selectorELNS0_4arch9wavefront6targetE0EEEvT1_
		.amdhsa_group_segment_fixed_size 0
		.amdhsa_private_segment_fixed_size 0
		.amdhsa_kernarg_size 120
		.amdhsa_user_sgpr_count 6
		.amdhsa_user_sgpr_private_segment_buffer 1
		.amdhsa_user_sgpr_dispatch_ptr 0
		.amdhsa_user_sgpr_queue_ptr 0
		.amdhsa_user_sgpr_kernarg_segment_ptr 1
		.amdhsa_user_sgpr_dispatch_id 0
		.amdhsa_user_sgpr_flat_scratch_init 0
		.amdhsa_user_sgpr_private_segment_size 0
		.amdhsa_wavefront_size32 1
		.amdhsa_uses_dynamic_stack 0
		.amdhsa_system_sgpr_private_segment_wavefront_offset 0
		.amdhsa_system_sgpr_workgroup_id_x 1
		.amdhsa_system_sgpr_workgroup_id_y 0
		.amdhsa_system_sgpr_workgroup_id_z 0
		.amdhsa_system_sgpr_workgroup_info 0
		.amdhsa_system_vgpr_workitem_id 0
		.amdhsa_next_free_vgpr 1
		.amdhsa_next_free_sgpr 1
		.amdhsa_reserve_vcc 0
		.amdhsa_reserve_flat_scratch 0
		.amdhsa_float_round_mode_32 0
		.amdhsa_float_round_mode_16_64 0
		.amdhsa_float_denorm_mode_32 3
		.amdhsa_float_denorm_mode_16_64 3
		.amdhsa_dx10_clamp 1
		.amdhsa_ieee_mode 1
		.amdhsa_fp16_overflow 0
		.amdhsa_workgroup_processor_mode 1
		.amdhsa_memory_ordered 1
		.amdhsa_forward_progress 1
		.amdhsa_shared_vgpr_count 0
		.amdhsa_exception_fp_ieee_invalid_op 0
		.amdhsa_exception_fp_denorm_src 0
		.amdhsa_exception_fp_ieee_div_zero 0
		.amdhsa_exception_fp_ieee_overflow 0
		.amdhsa_exception_fp_ieee_underflow 0
		.amdhsa_exception_fp_ieee_inexact 0
		.amdhsa_exception_int_div_zero 0
	.end_amdhsa_kernel
	.section	.text._ZN7rocprim17ROCPRIM_400000_NS6detail17trampoline_kernelINS0_14default_configENS1_27scan_by_key_config_selectorIiiEEZZNS1_16scan_by_key_implILNS1_25lookback_scan_determinismE0ELb0ES3_N6thrust23THRUST_200600_302600_NS6detail15normal_iteratorINS9_10device_ptrIiEEEENS9_18transform_iteratorINS9_6negateIiEESE_NS9_11use_defaultESI_EESE_iNS9_4plusIvEENS9_8equal_toIvEEiEE10hipError_tPvRmT2_T3_T4_T5_mT6_T7_P12ihipStream_tbENKUlT_T0_E_clISt17integral_constantIbLb0EES14_EEDaSZ_S10_EUlSZ_E_NS1_11comp_targetILNS1_3genE0ELNS1_11target_archE4294967295ELNS1_3gpuE0ELNS1_3repE0EEENS1_30default_config_static_selectorELNS0_4arch9wavefront6targetE0EEEvT1_,"axG",@progbits,_ZN7rocprim17ROCPRIM_400000_NS6detail17trampoline_kernelINS0_14default_configENS1_27scan_by_key_config_selectorIiiEEZZNS1_16scan_by_key_implILNS1_25lookback_scan_determinismE0ELb0ES3_N6thrust23THRUST_200600_302600_NS6detail15normal_iteratorINS9_10device_ptrIiEEEENS9_18transform_iteratorINS9_6negateIiEESE_NS9_11use_defaultESI_EESE_iNS9_4plusIvEENS9_8equal_toIvEEiEE10hipError_tPvRmT2_T3_T4_T5_mT6_T7_P12ihipStream_tbENKUlT_T0_E_clISt17integral_constantIbLb0EES14_EEDaSZ_S10_EUlSZ_E_NS1_11comp_targetILNS1_3genE0ELNS1_11target_archE4294967295ELNS1_3gpuE0ELNS1_3repE0EEENS1_30default_config_static_selectorELNS0_4arch9wavefront6targetE0EEEvT1_,comdat
.Lfunc_end929:
	.size	_ZN7rocprim17ROCPRIM_400000_NS6detail17trampoline_kernelINS0_14default_configENS1_27scan_by_key_config_selectorIiiEEZZNS1_16scan_by_key_implILNS1_25lookback_scan_determinismE0ELb0ES3_N6thrust23THRUST_200600_302600_NS6detail15normal_iteratorINS9_10device_ptrIiEEEENS9_18transform_iteratorINS9_6negateIiEESE_NS9_11use_defaultESI_EESE_iNS9_4plusIvEENS9_8equal_toIvEEiEE10hipError_tPvRmT2_T3_T4_T5_mT6_T7_P12ihipStream_tbENKUlT_T0_E_clISt17integral_constantIbLb0EES14_EEDaSZ_S10_EUlSZ_E_NS1_11comp_targetILNS1_3genE0ELNS1_11target_archE4294967295ELNS1_3gpuE0ELNS1_3repE0EEENS1_30default_config_static_selectorELNS0_4arch9wavefront6targetE0EEEvT1_, .Lfunc_end929-_ZN7rocprim17ROCPRIM_400000_NS6detail17trampoline_kernelINS0_14default_configENS1_27scan_by_key_config_selectorIiiEEZZNS1_16scan_by_key_implILNS1_25lookback_scan_determinismE0ELb0ES3_N6thrust23THRUST_200600_302600_NS6detail15normal_iteratorINS9_10device_ptrIiEEEENS9_18transform_iteratorINS9_6negateIiEESE_NS9_11use_defaultESI_EESE_iNS9_4plusIvEENS9_8equal_toIvEEiEE10hipError_tPvRmT2_T3_T4_T5_mT6_T7_P12ihipStream_tbENKUlT_T0_E_clISt17integral_constantIbLb0EES14_EEDaSZ_S10_EUlSZ_E_NS1_11comp_targetILNS1_3genE0ELNS1_11target_archE4294967295ELNS1_3gpuE0ELNS1_3repE0EEENS1_30default_config_static_selectorELNS0_4arch9wavefront6targetE0EEEvT1_
                                        ; -- End function
	.set _ZN7rocprim17ROCPRIM_400000_NS6detail17trampoline_kernelINS0_14default_configENS1_27scan_by_key_config_selectorIiiEEZZNS1_16scan_by_key_implILNS1_25lookback_scan_determinismE0ELb0ES3_N6thrust23THRUST_200600_302600_NS6detail15normal_iteratorINS9_10device_ptrIiEEEENS9_18transform_iteratorINS9_6negateIiEESE_NS9_11use_defaultESI_EESE_iNS9_4plusIvEENS9_8equal_toIvEEiEE10hipError_tPvRmT2_T3_T4_T5_mT6_T7_P12ihipStream_tbENKUlT_T0_E_clISt17integral_constantIbLb0EES14_EEDaSZ_S10_EUlSZ_E_NS1_11comp_targetILNS1_3genE0ELNS1_11target_archE4294967295ELNS1_3gpuE0ELNS1_3repE0EEENS1_30default_config_static_selectorELNS0_4arch9wavefront6targetE0EEEvT1_.num_vgpr, 0
	.set _ZN7rocprim17ROCPRIM_400000_NS6detail17trampoline_kernelINS0_14default_configENS1_27scan_by_key_config_selectorIiiEEZZNS1_16scan_by_key_implILNS1_25lookback_scan_determinismE0ELb0ES3_N6thrust23THRUST_200600_302600_NS6detail15normal_iteratorINS9_10device_ptrIiEEEENS9_18transform_iteratorINS9_6negateIiEESE_NS9_11use_defaultESI_EESE_iNS9_4plusIvEENS9_8equal_toIvEEiEE10hipError_tPvRmT2_T3_T4_T5_mT6_T7_P12ihipStream_tbENKUlT_T0_E_clISt17integral_constantIbLb0EES14_EEDaSZ_S10_EUlSZ_E_NS1_11comp_targetILNS1_3genE0ELNS1_11target_archE4294967295ELNS1_3gpuE0ELNS1_3repE0EEENS1_30default_config_static_selectorELNS0_4arch9wavefront6targetE0EEEvT1_.num_agpr, 0
	.set _ZN7rocprim17ROCPRIM_400000_NS6detail17trampoline_kernelINS0_14default_configENS1_27scan_by_key_config_selectorIiiEEZZNS1_16scan_by_key_implILNS1_25lookback_scan_determinismE0ELb0ES3_N6thrust23THRUST_200600_302600_NS6detail15normal_iteratorINS9_10device_ptrIiEEEENS9_18transform_iteratorINS9_6negateIiEESE_NS9_11use_defaultESI_EESE_iNS9_4plusIvEENS9_8equal_toIvEEiEE10hipError_tPvRmT2_T3_T4_T5_mT6_T7_P12ihipStream_tbENKUlT_T0_E_clISt17integral_constantIbLb0EES14_EEDaSZ_S10_EUlSZ_E_NS1_11comp_targetILNS1_3genE0ELNS1_11target_archE4294967295ELNS1_3gpuE0ELNS1_3repE0EEENS1_30default_config_static_selectorELNS0_4arch9wavefront6targetE0EEEvT1_.numbered_sgpr, 0
	.set _ZN7rocprim17ROCPRIM_400000_NS6detail17trampoline_kernelINS0_14default_configENS1_27scan_by_key_config_selectorIiiEEZZNS1_16scan_by_key_implILNS1_25lookback_scan_determinismE0ELb0ES3_N6thrust23THRUST_200600_302600_NS6detail15normal_iteratorINS9_10device_ptrIiEEEENS9_18transform_iteratorINS9_6negateIiEESE_NS9_11use_defaultESI_EESE_iNS9_4plusIvEENS9_8equal_toIvEEiEE10hipError_tPvRmT2_T3_T4_T5_mT6_T7_P12ihipStream_tbENKUlT_T0_E_clISt17integral_constantIbLb0EES14_EEDaSZ_S10_EUlSZ_E_NS1_11comp_targetILNS1_3genE0ELNS1_11target_archE4294967295ELNS1_3gpuE0ELNS1_3repE0EEENS1_30default_config_static_selectorELNS0_4arch9wavefront6targetE0EEEvT1_.num_named_barrier, 0
	.set _ZN7rocprim17ROCPRIM_400000_NS6detail17trampoline_kernelINS0_14default_configENS1_27scan_by_key_config_selectorIiiEEZZNS1_16scan_by_key_implILNS1_25lookback_scan_determinismE0ELb0ES3_N6thrust23THRUST_200600_302600_NS6detail15normal_iteratorINS9_10device_ptrIiEEEENS9_18transform_iteratorINS9_6negateIiEESE_NS9_11use_defaultESI_EESE_iNS9_4plusIvEENS9_8equal_toIvEEiEE10hipError_tPvRmT2_T3_T4_T5_mT6_T7_P12ihipStream_tbENKUlT_T0_E_clISt17integral_constantIbLb0EES14_EEDaSZ_S10_EUlSZ_E_NS1_11comp_targetILNS1_3genE0ELNS1_11target_archE4294967295ELNS1_3gpuE0ELNS1_3repE0EEENS1_30default_config_static_selectorELNS0_4arch9wavefront6targetE0EEEvT1_.private_seg_size, 0
	.set _ZN7rocprim17ROCPRIM_400000_NS6detail17trampoline_kernelINS0_14default_configENS1_27scan_by_key_config_selectorIiiEEZZNS1_16scan_by_key_implILNS1_25lookback_scan_determinismE0ELb0ES3_N6thrust23THRUST_200600_302600_NS6detail15normal_iteratorINS9_10device_ptrIiEEEENS9_18transform_iteratorINS9_6negateIiEESE_NS9_11use_defaultESI_EESE_iNS9_4plusIvEENS9_8equal_toIvEEiEE10hipError_tPvRmT2_T3_T4_T5_mT6_T7_P12ihipStream_tbENKUlT_T0_E_clISt17integral_constantIbLb0EES14_EEDaSZ_S10_EUlSZ_E_NS1_11comp_targetILNS1_3genE0ELNS1_11target_archE4294967295ELNS1_3gpuE0ELNS1_3repE0EEENS1_30default_config_static_selectorELNS0_4arch9wavefront6targetE0EEEvT1_.uses_vcc, 0
	.set _ZN7rocprim17ROCPRIM_400000_NS6detail17trampoline_kernelINS0_14default_configENS1_27scan_by_key_config_selectorIiiEEZZNS1_16scan_by_key_implILNS1_25lookback_scan_determinismE0ELb0ES3_N6thrust23THRUST_200600_302600_NS6detail15normal_iteratorINS9_10device_ptrIiEEEENS9_18transform_iteratorINS9_6negateIiEESE_NS9_11use_defaultESI_EESE_iNS9_4plusIvEENS9_8equal_toIvEEiEE10hipError_tPvRmT2_T3_T4_T5_mT6_T7_P12ihipStream_tbENKUlT_T0_E_clISt17integral_constantIbLb0EES14_EEDaSZ_S10_EUlSZ_E_NS1_11comp_targetILNS1_3genE0ELNS1_11target_archE4294967295ELNS1_3gpuE0ELNS1_3repE0EEENS1_30default_config_static_selectorELNS0_4arch9wavefront6targetE0EEEvT1_.uses_flat_scratch, 0
	.set _ZN7rocprim17ROCPRIM_400000_NS6detail17trampoline_kernelINS0_14default_configENS1_27scan_by_key_config_selectorIiiEEZZNS1_16scan_by_key_implILNS1_25lookback_scan_determinismE0ELb0ES3_N6thrust23THRUST_200600_302600_NS6detail15normal_iteratorINS9_10device_ptrIiEEEENS9_18transform_iteratorINS9_6negateIiEESE_NS9_11use_defaultESI_EESE_iNS9_4plusIvEENS9_8equal_toIvEEiEE10hipError_tPvRmT2_T3_T4_T5_mT6_T7_P12ihipStream_tbENKUlT_T0_E_clISt17integral_constantIbLb0EES14_EEDaSZ_S10_EUlSZ_E_NS1_11comp_targetILNS1_3genE0ELNS1_11target_archE4294967295ELNS1_3gpuE0ELNS1_3repE0EEENS1_30default_config_static_selectorELNS0_4arch9wavefront6targetE0EEEvT1_.has_dyn_sized_stack, 0
	.set _ZN7rocprim17ROCPRIM_400000_NS6detail17trampoline_kernelINS0_14default_configENS1_27scan_by_key_config_selectorIiiEEZZNS1_16scan_by_key_implILNS1_25lookback_scan_determinismE0ELb0ES3_N6thrust23THRUST_200600_302600_NS6detail15normal_iteratorINS9_10device_ptrIiEEEENS9_18transform_iteratorINS9_6negateIiEESE_NS9_11use_defaultESI_EESE_iNS9_4plusIvEENS9_8equal_toIvEEiEE10hipError_tPvRmT2_T3_T4_T5_mT6_T7_P12ihipStream_tbENKUlT_T0_E_clISt17integral_constantIbLb0EES14_EEDaSZ_S10_EUlSZ_E_NS1_11comp_targetILNS1_3genE0ELNS1_11target_archE4294967295ELNS1_3gpuE0ELNS1_3repE0EEENS1_30default_config_static_selectorELNS0_4arch9wavefront6targetE0EEEvT1_.has_recursion, 0
	.set _ZN7rocprim17ROCPRIM_400000_NS6detail17trampoline_kernelINS0_14default_configENS1_27scan_by_key_config_selectorIiiEEZZNS1_16scan_by_key_implILNS1_25lookback_scan_determinismE0ELb0ES3_N6thrust23THRUST_200600_302600_NS6detail15normal_iteratorINS9_10device_ptrIiEEEENS9_18transform_iteratorINS9_6negateIiEESE_NS9_11use_defaultESI_EESE_iNS9_4plusIvEENS9_8equal_toIvEEiEE10hipError_tPvRmT2_T3_T4_T5_mT6_T7_P12ihipStream_tbENKUlT_T0_E_clISt17integral_constantIbLb0EES14_EEDaSZ_S10_EUlSZ_E_NS1_11comp_targetILNS1_3genE0ELNS1_11target_archE4294967295ELNS1_3gpuE0ELNS1_3repE0EEENS1_30default_config_static_selectorELNS0_4arch9wavefront6targetE0EEEvT1_.has_indirect_call, 0
	.section	.AMDGPU.csdata,"",@progbits
; Kernel info:
; codeLenInByte = 0
; TotalNumSgprs: 0
; NumVgprs: 0
; ScratchSize: 0
; MemoryBound: 0
; FloatMode: 240
; IeeeMode: 1
; LDSByteSize: 0 bytes/workgroup (compile time only)
; SGPRBlocks: 0
; VGPRBlocks: 0
; NumSGPRsForWavesPerEU: 1
; NumVGPRsForWavesPerEU: 1
; Occupancy: 16
; WaveLimiterHint : 0
; COMPUTE_PGM_RSRC2:SCRATCH_EN: 0
; COMPUTE_PGM_RSRC2:USER_SGPR: 6
; COMPUTE_PGM_RSRC2:TRAP_HANDLER: 0
; COMPUTE_PGM_RSRC2:TGID_X_EN: 1
; COMPUTE_PGM_RSRC2:TGID_Y_EN: 0
; COMPUTE_PGM_RSRC2:TGID_Z_EN: 0
; COMPUTE_PGM_RSRC2:TIDIG_COMP_CNT: 0
	.section	.text._ZN7rocprim17ROCPRIM_400000_NS6detail17trampoline_kernelINS0_14default_configENS1_27scan_by_key_config_selectorIiiEEZZNS1_16scan_by_key_implILNS1_25lookback_scan_determinismE0ELb0ES3_N6thrust23THRUST_200600_302600_NS6detail15normal_iteratorINS9_10device_ptrIiEEEENS9_18transform_iteratorINS9_6negateIiEESE_NS9_11use_defaultESI_EESE_iNS9_4plusIvEENS9_8equal_toIvEEiEE10hipError_tPvRmT2_T3_T4_T5_mT6_T7_P12ihipStream_tbENKUlT_T0_E_clISt17integral_constantIbLb0EES14_EEDaSZ_S10_EUlSZ_E_NS1_11comp_targetILNS1_3genE10ELNS1_11target_archE1201ELNS1_3gpuE5ELNS1_3repE0EEENS1_30default_config_static_selectorELNS0_4arch9wavefront6targetE0EEEvT1_,"axG",@progbits,_ZN7rocprim17ROCPRIM_400000_NS6detail17trampoline_kernelINS0_14default_configENS1_27scan_by_key_config_selectorIiiEEZZNS1_16scan_by_key_implILNS1_25lookback_scan_determinismE0ELb0ES3_N6thrust23THRUST_200600_302600_NS6detail15normal_iteratorINS9_10device_ptrIiEEEENS9_18transform_iteratorINS9_6negateIiEESE_NS9_11use_defaultESI_EESE_iNS9_4plusIvEENS9_8equal_toIvEEiEE10hipError_tPvRmT2_T3_T4_T5_mT6_T7_P12ihipStream_tbENKUlT_T0_E_clISt17integral_constantIbLb0EES14_EEDaSZ_S10_EUlSZ_E_NS1_11comp_targetILNS1_3genE10ELNS1_11target_archE1201ELNS1_3gpuE5ELNS1_3repE0EEENS1_30default_config_static_selectorELNS0_4arch9wavefront6targetE0EEEvT1_,comdat
	.protected	_ZN7rocprim17ROCPRIM_400000_NS6detail17trampoline_kernelINS0_14default_configENS1_27scan_by_key_config_selectorIiiEEZZNS1_16scan_by_key_implILNS1_25lookback_scan_determinismE0ELb0ES3_N6thrust23THRUST_200600_302600_NS6detail15normal_iteratorINS9_10device_ptrIiEEEENS9_18transform_iteratorINS9_6negateIiEESE_NS9_11use_defaultESI_EESE_iNS9_4plusIvEENS9_8equal_toIvEEiEE10hipError_tPvRmT2_T3_T4_T5_mT6_T7_P12ihipStream_tbENKUlT_T0_E_clISt17integral_constantIbLb0EES14_EEDaSZ_S10_EUlSZ_E_NS1_11comp_targetILNS1_3genE10ELNS1_11target_archE1201ELNS1_3gpuE5ELNS1_3repE0EEENS1_30default_config_static_selectorELNS0_4arch9wavefront6targetE0EEEvT1_ ; -- Begin function _ZN7rocprim17ROCPRIM_400000_NS6detail17trampoline_kernelINS0_14default_configENS1_27scan_by_key_config_selectorIiiEEZZNS1_16scan_by_key_implILNS1_25lookback_scan_determinismE0ELb0ES3_N6thrust23THRUST_200600_302600_NS6detail15normal_iteratorINS9_10device_ptrIiEEEENS9_18transform_iteratorINS9_6negateIiEESE_NS9_11use_defaultESI_EESE_iNS9_4plusIvEENS9_8equal_toIvEEiEE10hipError_tPvRmT2_T3_T4_T5_mT6_T7_P12ihipStream_tbENKUlT_T0_E_clISt17integral_constantIbLb0EES14_EEDaSZ_S10_EUlSZ_E_NS1_11comp_targetILNS1_3genE10ELNS1_11target_archE1201ELNS1_3gpuE5ELNS1_3repE0EEENS1_30default_config_static_selectorELNS0_4arch9wavefront6targetE0EEEvT1_
	.globl	_ZN7rocprim17ROCPRIM_400000_NS6detail17trampoline_kernelINS0_14default_configENS1_27scan_by_key_config_selectorIiiEEZZNS1_16scan_by_key_implILNS1_25lookback_scan_determinismE0ELb0ES3_N6thrust23THRUST_200600_302600_NS6detail15normal_iteratorINS9_10device_ptrIiEEEENS9_18transform_iteratorINS9_6negateIiEESE_NS9_11use_defaultESI_EESE_iNS9_4plusIvEENS9_8equal_toIvEEiEE10hipError_tPvRmT2_T3_T4_T5_mT6_T7_P12ihipStream_tbENKUlT_T0_E_clISt17integral_constantIbLb0EES14_EEDaSZ_S10_EUlSZ_E_NS1_11comp_targetILNS1_3genE10ELNS1_11target_archE1201ELNS1_3gpuE5ELNS1_3repE0EEENS1_30default_config_static_selectorELNS0_4arch9wavefront6targetE0EEEvT1_
	.p2align	8
	.type	_ZN7rocprim17ROCPRIM_400000_NS6detail17trampoline_kernelINS0_14default_configENS1_27scan_by_key_config_selectorIiiEEZZNS1_16scan_by_key_implILNS1_25lookback_scan_determinismE0ELb0ES3_N6thrust23THRUST_200600_302600_NS6detail15normal_iteratorINS9_10device_ptrIiEEEENS9_18transform_iteratorINS9_6negateIiEESE_NS9_11use_defaultESI_EESE_iNS9_4plusIvEENS9_8equal_toIvEEiEE10hipError_tPvRmT2_T3_T4_T5_mT6_T7_P12ihipStream_tbENKUlT_T0_E_clISt17integral_constantIbLb0EES14_EEDaSZ_S10_EUlSZ_E_NS1_11comp_targetILNS1_3genE10ELNS1_11target_archE1201ELNS1_3gpuE5ELNS1_3repE0EEENS1_30default_config_static_selectorELNS0_4arch9wavefront6targetE0EEEvT1_,@function
_ZN7rocprim17ROCPRIM_400000_NS6detail17trampoline_kernelINS0_14default_configENS1_27scan_by_key_config_selectorIiiEEZZNS1_16scan_by_key_implILNS1_25lookback_scan_determinismE0ELb0ES3_N6thrust23THRUST_200600_302600_NS6detail15normal_iteratorINS9_10device_ptrIiEEEENS9_18transform_iteratorINS9_6negateIiEESE_NS9_11use_defaultESI_EESE_iNS9_4plusIvEENS9_8equal_toIvEEiEE10hipError_tPvRmT2_T3_T4_T5_mT6_T7_P12ihipStream_tbENKUlT_T0_E_clISt17integral_constantIbLb0EES14_EEDaSZ_S10_EUlSZ_E_NS1_11comp_targetILNS1_3genE10ELNS1_11target_archE1201ELNS1_3gpuE5ELNS1_3repE0EEENS1_30default_config_static_selectorELNS0_4arch9wavefront6targetE0EEEvT1_: ; @_ZN7rocprim17ROCPRIM_400000_NS6detail17trampoline_kernelINS0_14default_configENS1_27scan_by_key_config_selectorIiiEEZZNS1_16scan_by_key_implILNS1_25lookback_scan_determinismE0ELb0ES3_N6thrust23THRUST_200600_302600_NS6detail15normal_iteratorINS9_10device_ptrIiEEEENS9_18transform_iteratorINS9_6negateIiEESE_NS9_11use_defaultESI_EESE_iNS9_4plusIvEENS9_8equal_toIvEEiEE10hipError_tPvRmT2_T3_T4_T5_mT6_T7_P12ihipStream_tbENKUlT_T0_E_clISt17integral_constantIbLb0EES14_EEDaSZ_S10_EUlSZ_E_NS1_11comp_targetILNS1_3genE10ELNS1_11target_archE1201ELNS1_3gpuE5ELNS1_3repE0EEENS1_30default_config_static_selectorELNS0_4arch9wavefront6targetE0EEEvT1_
; %bb.0:
	.section	.rodata,"a",@progbits
	.p2align	6, 0x0
	.amdhsa_kernel _ZN7rocprim17ROCPRIM_400000_NS6detail17trampoline_kernelINS0_14default_configENS1_27scan_by_key_config_selectorIiiEEZZNS1_16scan_by_key_implILNS1_25lookback_scan_determinismE0ELb0ES3_N6thrust23THRUST_200600_302600_NS6detail15normal_iteratorINS9_10device_ptrIiEEEENS9_18transform_iteratorINS9_6negateIiEESE_NS9_11use_defaultESI_EESE_iNS9_4plusIvEENS9_8equal_toIvEEiEE10hipError_tPvRmT2_T3_T4_T5_mT6_T7_P12ihipStream_tbENKUlT_T0_E_clISt17integral_constantIbLb0EES14_EEDaSZ_S10_EUlSZ_E_NS1_11comp_targetILNS1_3genE10ELNS1_11target_archE1201ELNS1_3gpuE5ELNS1_3repE0EEENS1_30default_config_static_selectorELNS0_4arch9wavefront6targetE0EEEvT1_
		.amdhsa_group_segment_fixed_size 0
		.amdhsa_private_segment_fixed_size 0
		.amdhsa_kernarg_size 120
		.amdhsa_user_sgpr_count 6
		.amdhsa_user_sgpr_private_segment_buffer 1
		.amdhsa_user_sgpr_dispatch_ptr 0
		.amdhsa_user_sgpr_queue_ptr 0
		.amdhsa_user_sgpr_kernarg_segment_ptr 1
		.amdhsa_user_sgpr_dispatch_id 0
		.amdhsa_user_sgpr_flat_scratch_init 0
		.amdhsa_user_sgpr_private_segment_size 0
		.amdhsa_wavefront_size32 1
		.amdhsa_uses_dynamic_stack 0
		.amdhsa_system_sgpr_private_segment_wavefront_offset 0
		.amdhsa_system_sgpr_workgroup_id_x 1
		.amdhsa_system_sgpr_workgroup_id_y 0
		.amdhsa_system_sgpr_workgroup_id_z 0
		.amdhsa_system_sgpr_workgroup_info 0
		.amdhsa_system_vgpr_workitem_id 0
		.amdhsa_next_free_vgpr 1
		.amdhsa_next_free_sgpr 1
		.amdhsa_reserve_vcc 0
		.amdhsa_reserve_flat_scratch 0
		.amdhsa_float_round_mode_32 0
		.amdhsa_float_round_mode_16_64 0
		.amdhsa_float_denorm_mode_32 3
		.amdhsa_float_denorm_mode_16_64 3
		.amdhsa_dx10_clamp 1
		.amdhsa_ieee_mode 1
		.amdhsa_fp16_overflow 0
		.amdhsa_workgroup_processor_mode 1
		.amdhsa_memory_ordered 1
		.amdhsa_forward_progress 1
		.amdhsa_shared_vgpr_count 0
		.amdhsa_exception_fp_ieee_invalid_op 0
		.amdhsa_exception_fp_denorm_src 0
		.amdhsa_exception_fp_ieee_div_zero 0
		.amdhsa_exception_fp_ieee_overflow 0
		.amdhsa_exception_fp_ieee_underflow 0
		.amdhsa_exception_fp_ieee_inexact 0
		.amdhsa_exception_int_div_zero 0
	.end_amdhsa_kernel
	.section	.text._ZN7rocprim17ROCPRIM_400000_NS6detail17trampoline_kernelINS0_14default_configENS1_27scan_by_key_config_selectorIiiEEZZNS1_16scan_by_key_implILNS1_25lookback_scan_determinismE0ELb0ES3_N6thrust23THRUST_200600_302600_NS6detail15normal_iteratorINS9_10device_ptrIiEEEENS9_18transform_iteratorINS9_6negateIiEESE_NS9_11use_defaultESI_EESE_iNS9_4plusIvEENS9_8equal_toIvEEiEE10hipError_tPvRmT2_T3_T4_T5_mT6_T7_P12ihipStream_tbENKUlT_T0_E_clISt17integral_constantIbLb0EES14_EEDaSZ_S10_EUlSZ_E_NS1_11comp_targetILNS1_3genE10ELNS1_11target_archE1201ELNS1_3gpuE5ELNS1_3repE0EEENS1_30default_config_static_selectorELNS0_4arch9wavefront6targetE0EEEvT1_,"axG",@progbits,_ZN7rocprim17ROCPRIM_400000_NS6detail17trampoline_kernelINS0_14default_configENS1_27scan_by_key_config_selectorIiiEEZZNS1_16scan_by_key_implILNS1_25lookback_scan_determinismE0ELb0ES3_N6thrust23THRUST_200600_302600_NS6detail15normal_iteratorINS9_10device_ptrIiEEEENS9_18transform_iteratorINS9_6negateIiEESE_NS9_11use_defaultESI_EESE_iNS9_4plusIvEENS9_8equal_toIvEEiEE10hipError_tPvRmT2_T3_T4_T5_mT6_T7_P12ihipStream_tbENKUlT_T0_E_clISt17integral_constantIbLb0EES14_EEDaSZ_S10_EUlSZ_E_NS1_11comp_targetILNS1_3genE10ELNS1_11target_archE1201ELNS1_3gpuE5ELNS1_3repE0EEENS1_30default_config_static_selectorELNS0_4arch9wavefront6targetE0EEEvT1_,comdat
.Lfunc_end930:
	.size	_ZN7rocprim17ROCPRIM_400000_NS6detail17trampoline_kernelINS0_14default_configENS1_27scan_by_key_config_selectorIiiEEZZNS1_16scan_by_key_implILNS1_25lookback_scan_determinismE0ELb0ES3_N6thrust23THRUST_200600_302600_NS6detail15normal_iteratorINS9_10device_ptrIiEEEENS9_18transform_iteratorINS9_6negateIiEESE_NS9_11use_defaultESI_EESE_iNS9_4plusIvEENS9_8equal_toIvEEiEE10hipError_tPvRmT2_T3_T4_T5_mT6_T7_P12ihipStream_tbENKUlT_T0_E_clISt17integral_constantIbLb0EES14_EEDaSZ_S10_EUlSZ_E_NS1_11comp_targetILNS1_3genE10ELNS1_11target_archE1201ELNS1_3gpuE5ELNS1_3repE0EEENS1_30default_config_static_selectorELNS0_4arch9wavefront6targetE0EEEvT1_, .Lfunc_end930-_ZN7rocprim17ROCPRIM_400000_NS6detail17trampoline_kernelINS0_14default_configENS1_27scan_by_key_config_selectorIiiEEZZNS1_16scan_by_key_implILNS1_25lookback_scan_determinismE0ELb0ES3_N6thrust23THRUST_200600_302600_NS6detail15normal_iteratorINS9_10device_ptrIiEEEENS9_18transform_iteratorINS9_6negateIiEESE_NS9_11use_defaultESI_EESE_iNS9_4plusIvEENS9_8equal_toIvEEiEE10hipError_tPvRmT2_T3_T4_T5_mT6_T7_P12ihipStream_tbENKUlT_T0_E_clISt17integral_constantIbLb0EES14_EEDaSZ_S10_EUlSZ_E_NS1_11comp_targetILNS1_3genE10ELNS1_11target_archE1201ELNS1_3gpuE5ELNS1_3repE0EEENS1_30default_config_static_selectorELNS0_4arch9wavefront6targetE0EEEvT1_
                                        ; -- End function
	.set _ZN7rocprim17ROCPRIM_400000_NS6detail17trampoline_kernelINS0_14default_configENS1_27scan_by_key_config_selectorIiiEEZZNS1_16scan_by_key_implILNS1_25lookback_scan_determinismE0ELb0ES3_N6thrust23THRUST_200600_302600_NS6detail15normal_iteratorINS9_10device_ptrIiEEEENS9_18transform_iteratorINS9_6negateIiEESE_NS9_11use_defaultESI_EESE_iNS9_4plusIvEENS9_8equal_toIvEEiEE10hipError_tPvRmT2_T3_T4_T5_mT6_T7_P12ihipStream_tbENKUlT_T0_E_clISt17integral_constantIbLb0EES14_EEDaSZ_S10_EUlSZ_E_NS1_11comp_targetILNS1_3genE10ELNS1_11target_archE1201ELNS1_3gpuE5ELNS1_3repE0EEENS1_30default_config_static_selectorELNS0_4arch9wavefront6targetE0EEEvT1_.num_vgpr, 0
	.set _ZN7rocprim17ROCPRIM_400000_NS6detail17trampoline_kernelINS0_14default_configENS1_27scan_by_key_config_selectorIiiEEZZNS1_16scan_by_key_implILNS1_25lookback_scan_determinismE0ELb0ES3_N6thrust23THRUST_200600_302600_NS6detail15normal_iteratorINS9_10device_ptrIiEEEENS9_18transform_iteratorINS9_6negateIiEESE_NS9_11use_defaultESI_EESE_iNS9_4plusIvEENS9_8equal_toIvEEiEE10hipError_tPvRmT2_T3_T4_T5_mT6_T7_P12ihipStream_tbENKUlT_T0_E_clISt17integral_constantIbLb0EES14_EEDaSZ_S10_EUlSZ_E_NS1_11comp_targetILNS1_3genE10ELNS1_11target_archE1201ELNS1_3gpuE5ELNS1_3repE0EEENS1_30default_config_static_selectorELNS0_4arch9wavefront6targetE0EEEvT1_.num_agpr, 0
	.set _ZN7rocprim17ROCPRIM_400000_NS6detail17trampoline_kernelINS0_14default_configENS1_27scan_by_key_config_selectorIiiEEZZNS1_16scan_by_key_implILNS1_25lookback_scan_determinismE0ELb0ES3_N6thrust23THRUST_200600_302600_NS6detail15normal_iteratorINS9_10device_ptrIiEEEENS9_18transform_iteratorINS9_6negateIiEESE_NS9_11use_defaultESI_EESE_iNS9_4plusIvEENS9_8equal_toIvEEiEE10hipError_tPvRmT2_T3_T4_T5_mT6_T7_P12ihipStream_tbENKUlT_T0_E_clISt17integral_constantIbLb0EES14_EEDaSZ_S10_EUlSZ_E_NS1_11comp_targetILNS1_3genE10ELNS1_11target_archE1201ELNS1_3gpuE5ELNS1_3repE0EEENS1_30default_config_static_selectorELNS0_4arch9wavefront6targetE0EEEvT1_.numbered_sgpr, 0
	.set _ZN7rocprim17ROCPRIM_400000_NS6detail17trampoline_kernelINS0_14default_configENS1_27scan_by_key_config_selectorIiiEEZZNS1_16scan_by_key_implILNS1_25lookback_scan_determinismE0ELb0ES3_N6thrust23THRUST_200600_302600_NS6detail15normal_iteratorINS9_10device_ptrIiEEEENS9_18transform_iteratorINS9_6negateIiEESE_NS9_11use_defaultESI_EESE_iNS9_4plusIvEENS9_8equal_toIvEEiEE10hipError_tPvRmT2_T3_T4_T5_mT6_T7_P12ihipStream_tbENKUlT_T0_E_clISt17integral_constantIbLb0EES14_EEDaSZ_S10_EUlSZ_E_NS1_11comp_targetILNS1_3genE10ELNS1_11target_archE1201ELNS1_3gpuE5ELNS1_3repE0EEENS1_30default_config_static_selectorELNS0_4arch9wavefront6targetE0EEEvT1_.num_named_barrier, 0
	.set _ZN7rocprim17ROCPRIM_400000_NS6detail17trampoline_kernelINS0_14default_configENS1_27scan_by_key_config_selectorIiiEEZZNS1_16scan_by_key_implILNS1_25lookback_scan_determinismE0ELb0ES3_N6thrust23THRUST_200600_302600_NS6detail15normal_iteratorINS9_10device_ptrIiEEEENS9_18transform_iteratorINS9_6negateIiEESE_NS9_11use_defaultESI_EESE_iNS9_4plusIvEENS9_8equal_toIvEEiEE10hipError_tPvRmT2_T3_T4_T5_mT6_T7_P12ihipStream_tbENKUlT_T0_E_clISt17integral_constantIbLb0EES14_EEDaSZ_S10_EUlSZ_E_NS1_11comp_targetILNS1_3genE10ELNS1_11target_archE1201ELNS1_3gpuE5ELNS1_3repE0EEENS1_30default_config_static_selectorELNS0_4arch9wavefront6targetE0EEEvT1_.private_seg_size, 0
	.set _ZN7rocprim17ROCPRIM_400000_NS6detail17trampoline_kernelINS0_14default_configENS1_27scan_by_key_config_selectorIiiEEZZNS1_16scan_by_key_implILNS1_25lookback_scan_determinismE0ELb0ES3_N6thrust23THRUST_200600_302600_NS6detail15normal_iteratorINS9_10device_ptrIiEEEENS9_18transform_iteratorINS9_6negateIiEESE_NS9_11use_defaultESI_EESE_iNS9_4plusIvEENS9_8equal_toIvEEiEE10hipError_tPvRmT2_T3_T4_T5_mT6_T7_P12ihipStream_tbENKUlT_T0_E_clISt17integral_constantIbLb0EES14_EEDaSZ_S10_EUlSZ_E_NS1_11comp_targetILNS1_3genE10ELNS1_11target_archE1201ELNS1_3gpuE5ELNS1_3repE0EEENS1_30default_config_static_selectorELNS0_4arch9wavefront6targetE0EEEvT1_.uses_vcc, 0
	.set _ZN7rocprim17ROCPRIM_400000_NS6detail17trampoline_kernelINS0_14default_configENS1_27scan_by_key_config_selectorIiiEEZZNS1_16scan_by_key_implILNS1_25lookback_scan_determinismE0ELb0ES3_N6thrust23THRUST_200600_302600_NS6detail15normal_iteratorINS9_10device_ptrIiEEEENS9_18transform_iteratorINS9_6negateIiEESE_NS9_11use_defaultESI_EESE_iNS9_4plusIvEENS9_8equal_toIvEEiEE10hipError_tPvRmT2_T3_T4_T5_mT6_T7_P12ihipStream_tbENKUlT_T0_E_clISt17integral_constantIbLb0EES14_EEDaSZ_S10_EUlSZ_E_NS1_11comp_targetILNS1_3genE10ELNS1_11target_archE1201ELNS1_3gpuE5ELNS1_3repE0EEENS1_30default_config_static_selectorELNS0_4arch9wavefront6targetE0EEEvT1_.uses_flat_scratch, 0
	.set _ZN7rocprim17ROCPRIM_400000_NS6detail17trampoline_kernelINS0_14default_configENS1_27scan_by_key_config_selectorIiiEEZZNS1_16scan_by_key_implILNS1_25lookback_scan_determinismE0ELb0ES3_N6thrust23THRUST_200600_302600_NS6detail15normal_iteratorINS9_10device_ptrIiEEEENS9_18transform_iteratorINS9_6negateIiEESE_NS9_11use_defaultESI_EESE_iNS9_4plusIvEENS9_8equal_toIvEEiEE10hipError_tPvRmT2_T3_T4_T5_mT6_T7_P12ihipStream_tbENKUlT_T0_E_clISt17integral_constantIbLb0EES14_EEDaSZ_S10_EUlSZ_E_NS1_11comp_targetILNS1_3genE10ELNS1_11target_archE1201ELNS1_3gpuE5ELNS1_3repE0EEENS1_30default_config_static_selectorELNS0_4arch9wavefront6targetE0EEEvT1_.has_dyn_sized_stack, 0
	.set _ZN7rocprim17ROCPRIM_400000_NS6detail17trampoline_kernelINS0_14default_configENS1_27scan_by_key_config_selectorIiiEEZZNS1_16scan_by_key_implILNS1_25lookback_scan_determinismE0ELb0ES3_N6thrust23THRUST_200600_302600_NS6detail15normal_iteratorINS9_10device_ptrIiEEEENS9_18transform_iteratorINS9_6negateIiEESE_NS9_11use_defaultESI_EESE_iNS9_4plusIvEENS9_8equal_toIvEEiEE10hipError_tPvRmT2_T3_T4_T5_mT6_T7_P12ihipStream_tbENKUlT_T0_E_clISt17integral_constantIbLb0EES14_EEDaSZ_S10_EUlSZ_E_NS1_11comp_targetILNS1_3genE10ELNS1_11target_archE1201ELNS1_3gpuE5ELNS1_3repE0EEENS1_30default_config_static_selectorELNS0_4arch9wavefront6targetE0EEEvT1_.has_recursion, 0
	.set _ZN7rocprim17ROCPRIM_400000_NS6detail17trampoline_kernelINS0_14default_configENS1_27scan_by_key_config_selectorIiiEEZZNS1_16scan_by_key_implILNS1_25lookback_scan_determinismE0ELb0ES3_N6thrust23THRUST_200600_302600_NS6detail15normal_iteratorINS9_10device_ptrIiEEEENS9_18transform_iteratorINS9_6negateIiEESE_NS9_11use_defaultESI_EESE_iNS9_4plusIvEENS9_8equal_toIvEEiEE10hipError_tPvRmT2_T3_T4_T5_mT6_T7_P12ihipStream_tbENKUlT_T0_E_clISt17integral_constantIbLb0EES14_EEDaSZ_S10_EUlSZ_E_NS1_11comp_targetILNS1_3genE10ELNS1_11target_archE1201ELNS1_3gpuE5ELNS1_3repE0EEENS1_30default_config_static_selectorELNS0_4arch9wavefront6targetE0EEEvT1_.has_indirect_call, 0
	.section	.AMDGPU.csdata,"",@progbits
; Kernel info:
; codeLenInByte = 0
; TotalNumSgprs: 0
; NumVgprs: 0
; ScratchSize: 0
; MemoryBound: 0
; FloatMode: 240
; IeeeMode: 1
; LDSByteSize: 0 bytes/workgroup (compile time only)
; SGPRBlocks: 0
; VGPRBlocks: 0
; NumSGPRsForWavesPerEU: 1
; NumVGPRsForWavesPerEU: 1
; Occupancy: 16
; WaveLimiterHint : 0
; COMPUTE_PGM_RSRC2:SCRATCH_EN: 0
; COMPUTE_PGM_RSRC2:USER_SGPR: 6
; COMPUTE_PGM_RSRC2:TRAP_HANDLER: 0
; COMPUTE_PGM_RSRC2:TGID_X_EN: 1
; COMPUTE_PGM_RSRC2:TGID_Y_EN: 0
; COMPUTE_PGM_RSRC2:TGID_Z_EN: 0
; COMPUTE_PGM_RSRC2:TIDIG_COMP_CNT: 0
	.section	.text._ZN7rocprim17ROCPRIM_400000_NS6detail17trampoline_kernelINS0_14default_configENS1_27scan_by_key_config_selectorIiiEEZZNS1_16scan_by_key_implILNS1_25lookback_scan_determinismE0ELb0ES3_N6thrust23THRUST_200600_302600_NS6detail15normal_iteratorINS9_10device_ptrIiEEEENS9_18transform_iteratorINS9_6negateIiEESE_NS9_11use_defaultESI_EESE_iNS9_4plusIvEENS9_8equal_toIvEEiEE10hipError_tPvRmT2_T3_T4_T5_mT6_T7_P12ihipStream_tbENKUlT_T0_E_clISt17integral_constantIbLb0EES14_EEDaSZ_S10_EUlSZ_E_NS1_11comp_targetILNS1_3genE5ELNS1_11target_archE942ELNS1_3gpuE9ELNS1_3repE0EEENS1_30default_config_static_selectorELNS0_4arch9wavefront6targetE0EEEvT1_,"axG",@progbits,_ZN7rocprim17ROCPRIM_400000_NS6detail17trampoline_kernelINS0_14default_configENS1_27scan_by_key_config_selectorIiiEEZZNS1_16scan_by_key_implILNS1_25lookback_scan_determinismE0ELb0ES3_N6thrust23THRUST_200600_302600_NS6detail15normal_iteratorINS9_10device_ptrIiEEEENS9_18transform_iteratorINS9_6negateIiEESE_NS9_11use_defaultESI_EESE_iNS9_4plusIvEENS9_8equal_toIvEEiEE10hipError_tPvRmT2_T3_T4_T5_mT6_T7_P12ihipStream_tbENKUlT_T0_E_clISt17integral_constantIbLb0EES14_EEDaSZ_S10_EUlSZ_E_NS1_11comp_targetILNS1_3genE5ELNS1_11target_archE942ELNS1_3gpuE9ELNS1_3repE0EEENS1_30default_config_static_selectorELNS0_4arch9wavefront6targetE0EEEvT1_,comdat
	.protected	_ZN7rocprim17ROCPRIM_400000_NS6detail17trampoline_kernelINS0_14default_configENS1_27scan_by_key_config_selectorIiiEEZZNS1_16scan_by_key_implILNS1_25lookback_scan_determinismE0ELb0ES3_N6thrust23THRUST_200600_302600_NS6detail15normal_iteratorINS9_10device_ptrIiEEEENS9_18transform_iteratorINS9_6negateIiEESE_NS9_11use_defaultESI_EESE_iNS9_4plusIvEENS9_8equal_toIvEEiEE10hipError_tPvRmT2_T3_T4_T5_mT6_T7_P12ihipStream_tbENKUlT_T0_E_clISt17integral_constantIbLb0EES14_EEDaSZ_S10_EUlSZ_E_NS1_11comp_targetILNS1_3genE5ELNS1_11target_archE942ELNS1_3gpuE9ELNS1_3repE0EEENS1_30default_config_static_selectorELNS0_4arch9wavefront6targetE0EEEvT1_ ; -- Begin function _ZN7rocprim17ROCPRIM_400000_NS6detail17trampoline_kernelINS0_14default_configENS1_27scan_by_key_config_selectorIiiEEZZNS1_16scan_by_key_implILNS1_25lookback_scan_determinismE0ELb0ES3_N6thrust23THRUST_200600_302600_NS6detail15normal_iteratorINS9_10device_ptrIiEEEENS9_18transform_iteratorINS9_6negateIiEESE_NS9_11use_defaultESI_EESE_iNS9_4plusIvEENS9_8equal_toIvEEiEE10hipError_tPvRmT2_T3_T4_T5_mT6_T7_P12ihipStream_tbENKUlT_T0_E_clISt17integral_constantIbLb0EES14_EEDaSZ_S10_EUlSZ_E_NS1_11comp_targetILNS1_3genE5ELNS1_11target_archE942ELNS1_3gpuE9ELNS1_3repE0EEENS1_30default_config_static_selectorELNS0_4arch9wavefront6targetE0EEEvT1_
	.globl	_ZN7rocprim17ROCPRIM_400000_NS6detail17trampoline_kernelINS0_14default_configENS1_27scan_by_key_config_selectorIiiEEZZNS1_16scan_by_key_implILNS1_25lookback_scan_determinismE0ELb0ES3_N6thrust23THRUST_200600_302600_NS6detail15normal_iteratorINS9_10device_ptrIiEEEENS9_18transform_iteratorINS9_6negateIiEESE_NS9_11use_defaultESI_EESE_iNS9_4plusIvEENS9_8equal_toIvEEiEE10hipError_tPvRmT2_T3_T4_T5_mT6_T7_P12ihipStream_tbENKUlT_T0_E_clISt17integral_constantIbLb0EES14_EEDaSZ_S10_EUlSZ_E_NS1_11comp_targetILNS1_3genE5ELNS1_11target_archE942ELNS1_3gpuE9ELNS1_3repE0EEENS1_30default_config_static_selectorELNS0_4arch9wavefront6targetE0EEEvT1_
	.p2align	8
	.type	_ZN7rocprim17ROCPRIM_400000_NS6detail17trampoline_kernelINS0_14default_configENS1_27scan_by_key_config_selectorIiiEEZZNS1_16scan_by_key_implILNS1_25lookback_scan_determinismE0ELb0ES3_N6thrust23THRUST_200600_302600_NS6detail15normal_iteratorINS9_10device_ptrIiEEEENS9_18transform_iteratorINS9_6negateIiEESE_NS9_11use_defaultESI_EESE_iNS9_4plusIvEENS9_8equal_toIvEEiEE10hipError_tPvRmT2_T3_T4_T5_mT6_T7_P12ihipStream_tbENKUlT_T0_E_clISt17integral_constantIbLb0EES14_EEDaSZ_S10_EUlSZ_E_NS1_11comp_targetILNS1_3genE5ELNS1_11target_archE942ELNS1_3gpuE9ELNS1_3repE0EEENS1_30default_config_static_selectorELNS0_4arch9wavefront6targetE0EEEvT1_,@function
_ZN7rocprim17ROCPRIM_400000_NS6detail17trampoline_kernelINS0_14default_configENS1_27scan_by_key_config_selectorIiiEEZZNS1_16scan_by_key_implILNS1_25lookback_scan_determinismE0ELb0ES3_N6thrust23THRUST_200600_302600_NS6detail15normal_iteratorINS9_10device_ptrIiEEEENS9_18transform_iteratorINS9_6negateIiEESE_NS9_11use_defaultESI_EESE_iNS9_4plusIvEENS9_8equal_toIvEEiEE10hipError_tPvRmT2_T3_T4_T5_mT6_T7_P12ihipStream_tbENKUlT_T0_E_clISt17integral_constantIbLb0EES14_EEDaSZ_S10_EUlSZ_E_NS1_11comp_targetILNS1_3genE5ELNS1_11target_archE942ELNS1_3gpuE9ELNS1_3repE0EEENS1_30default_config_static_selectorELNS0_4arch9wavefront6targetE0EEEvT1_: ; @_ZN7rocprim17ROCPRIM_400000_NS6detail17trampoline_kernelINS0_14default_configENS1_27scan_by_key_config_selectorIiiEEZZNS1_16scan_by_key_implILNS1_25lookback_scan_determinismE0ELb0ES3_N6thrust23THRUST_200600_302600_NS6detail15normal_iteratorINS9_10device_ptrIiEEEENS9_18transform_iteratorINS9_6negateIiEESE_NS9_11use_defaultESI_EESE_iNS9_4plusIvEENS9_8equal_toIvEEiEE10hipError_tPvRmT2_T3_T4_T5_mT6_T7_P12ihipStream_tbENKUlT_T0_E_clISt17integral_constantIbLb0EES14_EEDaSZ_S10_EUlSZ_E_NS1_11comp_targetILNS1_3genE5ELNS1_11target_archE942ELNS1_3gpuE9ELNS1_3repE0EEENS1_30default_config_static_selectorELNS0_4arch9wavefront6targetE0EEEvT1_
; %bb.0:
	.section	.rodata,"a",@progbits
	.p2align	6, 0x0
	.amdhsa_kernel _ZN7rocprim17ROCPRIM_400000_NS6detail17trampoline_kernelINS0_14default_configENS1_27scan_by_key_config_selectorIiiEEZZNS1_16scan_by_key_implILNS1_25lookback_scan_determinismE0ELb0ES3_N6thrust23THRUST_200600_302600_NS6detail15normal_iteratorINS9_10device_ptrIiEEEENS9_18transform_iteratorINS9_6negateIiEESE_NS9_11use_defaultESI_EESE_iNS9_4plusIvEENS9_8equal_toIvEEiEE10hipError_tPvRmT2_T3_T4_T5_mT6_T7_P12ihipStream_tbENKUlT_T0_E_clISt17integral_constantIbLb0EES14_EEDaSZ_S10_EUlSZ_E_NS1_11comp_targetILNS1_3genE5ELNS1_11target_archE942ELNS1_3gpuE9ELNS1_3repE0EEENS1_30default_config_static_selectorELNS0_4arch9wavefront6targetE0EEEvT1_
		.amdhsa_group_segment_fixed_size 0
		.amdhsa_private_segment_fixed_size 0
		.amdhsa_kernarg_size 120
		.amdhsa_user_sgpr_count 6
		.amdhsa_user_sgpr_private_segment_buffer 1
		.amdhsa_user_sgpr_dispatch_ptr 0
		.amdhsa_user_sgpr_queue_ptr 0
		.amdhsa_user_sgpr_kernarg_segment_ptr 1
		.amdhsa_user_sgpr_dispatch_id 0
		.amdhsa_user_sgpr_flat_scratch_init 0
		.amdhsa_user_sgpr_private_segment_size 0
		.amdhsa_wavefront_size32 1
		.amdhsa_uses_dynamic_stack 0
		.amdhsa_system_sgpr_private_segment_wavefront_offset 0
		.amdhsa_system_sgpr_workgroup_id_x 1
		.amdhsa_system_sgpr_workgroup_id_y 0
		.amdhsa_system_sgpr_workgroup_id_z 0
		.amdhsa_system_sgpr_workgroup_info 0
		.amdhsa_system_vgpr_workitem_id 0
		.amdhsa_next_free_vgpr 1
		.amdhsa_next_free_sgpr 1
		.amdhsa_reserve_vcc 0
		.amdhsa_reserve_flat_scratch 0
		.amdhsa_float_round_mode_32 0
		.amdhsa_float_round_mode_16_64 0
		.amdhsa_float_denorm_mode_32 3
		.amdhsa_float_denorm_mode_16_64 3
		.amdhsa_dx10_clamp 1
		.amdhsa_ieee_mode 1
		.amdhsa_fp16_overflow 0
		.amdhsa_workgroup_processor_mode 1
		.amdhsa_memory_ordered 1
		.amdhsa_forward_progress 1
		.amdhsa_shared_vgpr_count 0
		.amdhsa_exception_fp_ieee_invalid_op 0
		.amdhsa_exception_fp_denorm_src 0
		.amdhsa_exception_fp_ieee_div_zero 0
		.amdhsa_exception_fp_ieee_overflow 0
		.amdhsa_exception_fp_ieee_underflow 0
		.amdhsa_exception_fp_ieee_inexact 0
		.amdhsa_exception_int_div_zero 0
	.end_amdhsa_kernel
	.section	.text._ZN7rocprim17ROCPRIM_400000_NS6detail17trampoline_kernelINS0_14default_configENS1_27scan_by_key_config_selectorIiiEEZZNS1_16scan_by_key_implILNS1_25lookback_scan_determinismE0ELb0ES3_N6thrust23THRUST_200600_302600_NS6detail15normal_iteratorINS9_10device_ptrIiEEEENS9_18transform_iteratorINS9_6negateIiEESE_NS9_11use_defaultESI_EESE_iNS9_4plusIvEENS9_8equal_toIvEEiEE10hipError_tPvRmT2_T3_T4_T5_mT6_T7_P12ihipStream_tbENKUlT_T0_E_clISt17integral_constantIbLb0EES14_EEDaSZ_S10_EUlSZ_E_NS1_11comp_targetILNS1_3genE5ELNS1_11target_archE942ELNS1_3gpuE9ELNS1_3repE0EEENS1_30default_config_static_selectorELNS0_4arch9wavefront6targetE0EEEvT1_,"axG",@progbits,_ZN7rocprim17ROCPRIM_400000_NS6detail17trampoline_kernelINS0_14default_configENS1_27scan_by_key_config_selectorIiiEEZZNS1_16scan_by_key_implILNS1_25lookback_scan_determinismE0ELb0ES3_N6thrust23THRUST_200600_302600_NS6detail15normal_iteratorINS9_10device_ptrIiEEEENS9_18transform_iteratorINS9_6negateIiEESE_NS9_11use_defaultESI_EESE_iNS9_4plusIvEENS9_8equal_toIvEEiEE10hipError_tPvRmT2_T3_T4_T5_mT6_T7_P12ihipStream_tbENKUlT_T0_E_clISt17integral_constantIbLb0EES14_EEDaSZ_S10_EUlSZ_E_NS1_11comp_targetILNS1_3genE5ELNS1_11target_archE942ELNS1_3gpuE9ELNS1_3repE0EEENS1_30default_config_static_selectorELNS0_4arch9wavefront6targetE0EEEvT1_,comdat
.Lfunc_end931:
	.size	_ZN7rocprim17ROCPRIM_400000_NS6detail17trampoline_kernelINS0_14default_configENS1_27scan_by_key_config_selectorIiiEEZZNS1_16scan_by_key_implILNS1_25lookback_scan_determinismE0ELb0ES3_N6thrust23THRUST_200600_302600_NS6detail15normal_iteratorINS9_10device_ptrIiEEEENS9_18transform_iteratorINS9_6negateIiEESE_NS9_11use_defaultESI_EESE_iNS9_4plusIvEENS9_8equal_toIvEEiEE10hipError_tPvRmT2_T3_T4_T5_mT6_T7_P12ihipStream_tbENKUlT_T0_E_clISt17integral_constantIbLb0EES14_EEDaSZ_S10_EUlSZ_E_NS1_11comp_targetILNS1_3genE5ELNS1_11target_archE942ELNS1_3gpuE9ELNS1_3repE0EEENS1_30default_config_static_selectorELNS0_4arch9wavefront6targetE0EEEvT1_, .Lfunc_end931-_ZN7rocprim17ROCPRIM_400000_NS6detail17trampoline_kernelINS0_14default_configENS1_27scan_by_key_config_selectorIiiEEZZNS1_16scan_by_key_implILNS1_25lookback_scan_determinismE0ELb0ES3_N6thrust23THRUST_200600_302600_NS6detail15normal_iteratorINS9_10device_ptrIiEEEENS9_18transform_iteratorINS9_6negateIiEESE_NS9_11use_defaultESI_EESE_iNS9_4plusIvEENS9_8equal_toIvEEiEE10hipError_tPvRmT2_T3_T4_T5_mT6_T7_P12ihipStream_tbENKUlT_T0_E_clISt17integral_constantIbLb0EES14_EEDaSZ_S10_EUlSZ_E_NS1_11comp_targetILNS1_3genE5ELNS1_11target_archE942ELNS1_3gpuE9ELNS1_3repE0EEENS1_30default_config_static_selectorELNS0_4arch9wavefront6targetE0EEEvT1_
                                        ; -- End function
	.set _ZN7rocprim17ROCPRIM_400000_NS6detail17trampoline_kernelINS0_14default_configENS1_27scan_by_key_config_selectorIiiEEZZNS1_16scan_by_key_implILNS1_25lookback_scan_determinismE0ELb0ES3_N6thrust23THRUST_200600_302600_NS6detail15normal_iteratorINS9_10device_ptrIiEEEENS9_18transform_iteratorINS9_6negateIiEESE_NS9_11use_defaultESI_EESE_iNS9_4plusIvEENS9_8equal_toIvEEiEE10hipError_tPvRmT2_T3_T4_T5_mT6_T7_P12ihipStream_tbENKUlT_T0_E_clISt17integral_constantIbLb0EES14_EEDaSZ_S10_EUlSZ_E_NS1_11comp_targetILNS1_3genE5ELNS1_11target_archE942ELNS1_3gpuE9ELNS1_3repE0EEENS1_30default_config_static_selectorELNS0_4arch9wavefront6targetE0EEEvT1_.num_vgpr, 0
	.set _ZN7rocprim17ROCPRIM_400000_NS6detail17trampoline_kernelINS0_14default_configENS1_27scan_by_key_config_selectorIiiEEZZNS1_16scan_by_key_implILNS1_25lookback_scan_determinismE0ELb0ES3_N6thrust23THRUST_200600_302600_NS6detail15normal_iteratorINS9_10device_ptrIiEEEENS9_18transform_iteratorINS9_6negateIiEESE_NS9_11use_defaultESI_EESE_iNS9_4plusIvEENS9_8equal_toIvEEiEE10hipError_tPvRmT2_T3_T4_T5_mT6_T7_P12ihipStream_tbENKUlT_T0_E_clISt17integral_constantIbLb0EES14_EEDaSZ_S10_EUlSZ_E_NS1_11comp_targetILNS1_3genE5ELNS1_11target_archE942ELNS1_3gpuE9ELNS1_3repE0EEENS1_30default_config_static_selectorELNS0_4arch9wavefront6targetE0EEEvT1_.num_agpr, 0
	.set _ZN7rocprim17ROCPRIM_400000_NS6detail17trampoline_kernelINS0_14default_configENS1_27scan_by_key_config_selectorIiiEEZZNS1_16scan_by_key_implILNS1_25lookback_scan_determinismE0ELb0ES3_N6thrust23THRUST_200600_302600_NS6detail15normal_iteratorINS9_10device_ptrIiEEEENS9_18transform_iteratorINS9_6negateIiEESE_NS9_11use_defaultESI_EESE_iNS9_4plusIvEENS9_8equal_toIvEEiEE10hipError_tPvRmT2_T3_T4_T5_mT6_T7_P12ihipStream_tbENKUlT_T0_E_clISt17integral_constantIbLb0EES14_EEDaSZ_S10_EUlSZ_E_NS1_11comp_targetILNS1_3genE5ELNS1_11target_archE942ELNS1_3gpuE9ELNS1_3repE0EEENS1_30default_config_static_selectorELNS0_4arch9wavefront6targetE0EEEvT1_.numbered_sgpr, 0
	.set _ZN7rocprim17ROCPRIM_400000_NS6detail17trampoline_kernelINS0_14default_configENS1_27scan_by_key_config_selectorIiiEEZZNS1_16scan_by_key_implILNS1_25lookback_scan_determinismE0ELb0ES3_N6thrust23THRUST_200600_302600_NS6detail15normal_iteratorINS9_10device_ptrIiEEEENS9_18transform_iteratorINS9_6negateIiEESE_NS9_11use_defaultESI_EESE_iNS9_4plusIvEENS9_8equal_toIvEEiEE10hipError_tPvRmT2_T3_T4_T5_mT6_T7_P12ihipStream_tbENKUlT_T0_E_clISt17integral_constantIbLb0EES14_EEDaSZ_S10_EUlSZ_E_NS1_11comp_targetILNS1_3genE5ELNS1_11target_archE942ELNS1_3gpuE9ELNS1_3repE0EEENS1_30default_config_static_selectorELNS0_4arch9wavefront6targetE0EEEvT1_.num_named_barrier, 0
	.set _ZN7rocprim17ROCPRIM_400000_NS6detail17trampoline_kernelINS0_14default_configENS1_27scan_by_key_config_selectorIiiEEZZNS1_16scan_by_key_implILNS1_25lookback_scan_determinismE0ELb0ES3_N6thrust23THRUST_200600_302600_NS6detail15normal_iteratorINS9_10device_ptrIiEEEENS9_18transform_iteratorINS9_6negateIiEESE_NS9_11use_defaultESI_EESE_iNS9_4plusIvEENS9_8equal_toIvEEiEE10hipError_tPvRmT2_T3_T4_T5_mT6_T7_P12ihipStream_tbENKUlT_T0_E_clISt17integral_constantIbLb0EES14_EEDaSZ_S10_EUlSZ_E_NS1_11comp_targetILNS1_3genE5ELNS1_11target_archE942ELNS1_3gpuE9ELNS1_3repE0EEENS1_30default_config_static_selectorELNS0_4arch9wavefront6targetE0EEEvT1_.private_seg_size, 0
	.set _ZN7rocprim17ROCPRIM_400000_NS6detail17trampoline_kernelINS0_14default_configENS1_27scan_by_key_config_selectorIiiEEZZNS1_16scan_by_key_implILNS1_25lookback_scan_determinismE0ELb0ES3_N6thrust23THRUST_200600_302600_NS6detail15normal_iteratorINS9_10device_ptrIiEEEENS9_18transform_iteratorINS9_6negateIiEESE_NS9_11use_defaultESI_EESE_iNS9_4plusIvEENS9_8equal_toIvEEiEE10hipError_tPvRmT2_T3_T4_T5_mT6_T7_P12ihipStream_tbENKUlT_T0_E_clISt17integral_constantIbLb0EES14_EEDaSZ_S10_EUlSZ_E_NS1_11comp_targetILNS1_3genE5ELNS1_11target_archE942ELNS1_3gpuE9ELNS1_3repE0EEENS1_30default_config_static_selectorELNS0_4arch9wavefront6targetE0EEEvT1_.uses_vcc, 0
	.set _ZN7rocprim17ROCPRIM_400000_NS6detail17trampoline_kernelINS0_14default_configENS1_27scan_by_key_config_selectorIiiEEZZNS1_16scan_by_key_implILNS1_25lookback_scan_determinismE0ELb0ES3_N6thrust23THRUST_200600_302600_NS6detail15normal_iteratorINS9_10device_ptrIiEEEENS9_18transform_iteratorINS9_6negateIiEESE_NS9_11use_defaultESI_EESE_iNS9_4plusIvEENS9_8equal_toIvEEiEE10hipError_tPvRmT2_T3_T4_T5_mT6_T7_P12ihipStream_tbENKUlT_T0_E_clISt17integral_constantIbLb0EES14_EEDaSZ_S10_EUlSZ_E_NS1_11comp_targetILNS1_3genE5ELNS1_11target_archE942ELNS1_3gpuE9ELNS1_3repE0EEENS1_30default_config_static_selectorELNS0_4arch9wavefront6targetE0EEEvT1_.uses_flat_scratch, 0
	.set _ZN7rocprim17ROCPRIM_400000_NS6detail17trampoline_kernelINS0_14default_configENS1_27scan_by_key_config_selectorIiiEEZZNS1_16scan_by_key_implILNS1_25lookback_scan_determinismE0ELb0ES3_N6thrust23THRUST_200600_302600_NS6detail15normal_iteratorINS9_10device_ptrIiEEEENS9_18transform_iteratorINS9_6negateIiEESE_NS9_11use_defaultESI_EESE_iNS9_4plusIvEENS9_8equal_toIvEEiEE10hipError_tPvRmT2_T3_T4_T5_mT6_T7_P12ihipStream_tbENKUlT_T0_E_clISt17integral_constantIbLb0EES14_EEDaSZ_S10_EUlSZ_E_NS1_11comp_targetILNS1_3genE5ELNS1_11target_archE942ELNS1_3gpuE9ELNS1_3repE0EEENS1_30default_config_static_selectorELNS0_4arch9wavefront6targetE0EEEvT1_.has_dyn_sized_stack, 0
	.set _ZN7rocprim17ROCPRIM_400000_NS6detail17trampoline_kernelINS0_14default_configENS1_27scan_by_key_config_selectorIiiEEZZNS1_16scan_by_key_implILNS1_25lookback_scan_determinismE0ELb0ES3_N6thrust23THRUST_200600_302600_NS6detail15normal_iteratorINS9_10device_ptrIiEEEENS9_18transform_iteratorINS9_6negateIiEESE_NS9_11use_defaultESI_EESE_iNS9_4plusIvEENS9_8equal_toIvEEiEE10hipError_tPvRmT2_T3_T4_T5_mT6_T7_P12ihipStream_tbENKUlT_T0_E_clISt17integral_constantIbLb0EES14_EEDaSZ_S10_EUlSZ_E_NS1_11comp_targetILNS1_3genE5ELNS1_11target_archE942ELNS1_3gpuE9ELNS1_3repE0EEENS1_30default_config_static_selectorELNS0_4arch9wavefront6targetE0EEEvT1_.has_recursion, 0
	.set _ZN7rocprim17ROCPRIM_400000_NS6detail17trampoline_kernelINS0_14default_configENS1_27scan_by_key_config_selectorIiiEEZZNS1_16scan_by_key_implILNS1_25lookback_scan_determinismE0ELb0ES3_N6thrust23THRUST_200600_302600_NS6detail15normal_iteratorINS9_10device_ptrIiEEEENS9_18transform_iteratorINS9_6negateIiEESE_NS9_11use_defaultESI_EESE_iNS9_4plusIvEENS9_8equal_toIvEEiEE10hipError_tPvRmT2_T3_T4_T5_mT6_T7_P12ihipStream_tbENKUlT_T0_E_clISt17integral_constantIbLb0EES14_EEDaSZ_S10_EUlSZ_E_NS1_11comp_targetILNS1_3genE5ELNS1_11target_archE942ELNS1_3gpuE9ELNS1_3repE0EEENS1_30default_config_static_selectorELNS0_4arch9wavefront6targetE0EEEvT1_.has_indirect_call, 0
	.section	.AMDGPU.csdata,"",@progbits
; Kernel info:
; codeLenInByte = 0
; TotalNumSgprs: 0
; NumVgprs: 0
; ScratchSize: 0
; MemoryBound: 0
; FloatMode: 240
; IeeeMode: 1
; LDSByteSize: 0 bytes/workgroup (compile time only)
; SGPRBlocks: 0
; VGPRBlocks: 0
; NumSGPRsForWavesPerEU: 1
; NumVGPRsForWavesPerEU: 1
; Occupancy: 16
; WaveLimiterHint : 0
; COMPUTE_PGM_RSRC2:SCRATCH_EN: 0
; COMPUTE_PGM_RSRC2:USER_SGPR: 6
; COMPUTE_PGM_RSRC2:TRAP_HANDLER: 0
; COMPUTE_PGM_RSRC2:TGID_X_EN: 1
; COMPUTE_PGM_RSRC2:TGID_Y_EN: 0
; COMPUTE_PGM_RSRC2:TGID_Z_EN: 0
; COMPUTE_PGM_RSRC2:TIDIG_COMP_CNT: 0
	.section	.text._ZN7rocprim17ROCPRIM_400000_NS6detail17trampoline_kernelINS0_14default_configENS1_27scan_by_key_config_selectorIiiEEZZNS1_16scan_by_key_implILNS1_25lookback_scan_determinismE0ELb0ES3_N6thrust23THRUST_200600_302600_NS6detail15normal_iteratorINS9_10device_ptrIiEEEENS9_18transform_iteratorINS9_6negateIiEESE_NS9_11use_defaultESI_EESE_iNS9_4plusIvEENS9_8equal_toIvEEiEE10hipError_tPvRmT2_T3_T4_T5_mT6_T7_P12ihipStream_tbENKUlT_T0_E_clISt17integral_constantIbLb0EES14_EEDaSZ_S10_EUlSZ_E_NS1_11comp_targetILNS1_3genE4ELNS1_11target_archE910ELNS1_3gpuE8ELNS1_3repE0EEENS1_30default_config_static_selectorELNS0_4arch9wavefront6targetE0EEEvT1_,"axG",@progbits,_ZN7rocprim17ROCPRIM_400000_NS6detail17trampoline_kernelINS0_14default_configENS1_27scan_by_key_config_selectorIiiEEZZNS1_16scan_by_key_implILNS1_25lookback_scan_determinismE0ELb0ES3_N6thrust23THRUST_200600_302600_NS6detail15normal_iteratorINS9_10device_ptrIiEEEENS9_18transform_iteratorINS9_6negateIiEESE_NS9_11use_defaultESI_EESE_iNS9_4plusIvEENS9_8equal_toIvEEiEE10hipError_tPvRmT2_T3_T4_T5_mT6_T7_P12ihipStream_tbENKUlT_T0_E_clISt17integral_constantIbLb0EES14_EEDaSZ_S10_EUlSZ_E_NS1_11comp_targetILNS1_3genE4ELNS1_11target_archE910ELNS1_3gpuE8ELNS1_3repE0EEENS1_30default_config_static_selectorELNS0_4arch9wavefront6targetE0EEEvT1_,comdat
	.protected	_ZN7rocprim17ROCPRIM_400000_NS6detail17trampoline_kernelINS0_14default_configENS1_27scan_by_key_config_selectorIiiEEZZNS1_16scan_by_key_implILNS1_25lookback_scan_determinismE0ELb0ES3_N6thrust23THRUST_200600_302600_NS6detail15normal_iteratorINS9_10device_ptrIiEEEENS9_18transform_iteratorINS9_6negateIiEESE_NS9_11use_defaultESI_EESE_iNS9_4plusIvEENS9_8equal_toIvEEiEE10hipError_tPvRmT2_T3_T4_T5_mT6_T7_P12ihipStream_tbENKUlT_T0_E_clISt17integral_constantIbLb0EES14_EEDaSZ_S10_EUlSZ_E_NS1_11comp_targetILNS1_3genE4ELNS1_11target_archE910ELNS1_3gpuE8ELNS1_3repE0EEENS1_30default_config_static_selectorELNS0_4arch9wavefront6targetE0EEEvT1_ ; -- Begin function _ZN7rocprim17ROCPRIM_400000_NS6detail17trampoline_kernelINS0_14default_configENS1_27scan_by_key_config_selectorIiiEEZZNS1_16scan_by_key_implILNS1_25lookback_scan_determinismE0ELb0ES3_N6thrust23THRUST_200600_302600_NS6detail15normal_iteratorINS9_10device_ptrIiEEEENS9_18transform_iteratorINS9_6negateIiEESE_NS9_11use_defaultESI_EESE_iNS9_4plusIvEENS9_8equal_toIvEEiEE10hipError_tPvRmT2_T3_T4_T5_mT6_T7_P12ihipStream_tbENKUlT_T0_E_clISt17integral_constantIbLb0EES14_EEDaSZ_S10_EUlSZ_E_NS1_11comp_targetILNS1_3genE4ELNS1_11target_archE910ELNS1_3gpuE8ELNS1_3repE0EEENS1_30default_config_static_selectorELNS0_4arch9wavefront6targetE0EEEvT1_
	.globl	_ZN7rocprim17ROCPRIM_400000_NS6detail17trampoline_kernelINS0_14default_configENS1_27scan_by_key_config_selectorIiiEEZZNS1_16scan_by_key_implILNS1_25lookback_scan_determinismE0ELb0ES3_N6thrust23THRUST_200600_302600_NS6detail15normal_iteratorINS9_10device_ptrIiEEEENS9_18transform_iteratorINS9_6negateIiEESE_NS9_11use_defaultESI_EESE_iNS9_4plusIvEENS9_8equal_toIvEEiEE10hipError_tPvRmT2_T3_T4_T5_mT6_T7_P12ihipStream_tbENKUlT_T0_E_clISt17integral_constantIbLb0EES14_EEDaSZ_S10_EUlSZ_E_NS1_11comp_targetILNS1_3genE4ELNS1_11target_archE910ELNS1_3gpuE8ELNS1_3repE0EEENS1_30default_config_static_selectorELNS0_4arch9wavefront6targetE0EEEvT1_
	.p2align	8
	.type	_ZN7rocprim17ROCPRIM_400000_NS6detail17trampoline_kernelINS0_14default_configENS1_27scan_by_key_config_selectorIiiEEZZNS1_16scan_by_key_implILNS1_25lookback_scan_determinismE0ELb0ES3_N6thrust23THRUST_200600_302600_NS6detail15normal_iteratorINS9_10device_ptrIiEEEENS9_18transform_iteratorINS9_6negateIiEESE_NS9_11use_defaultESI_EESE_iNS9_4plusIvEENS9_8equal_toIvEEiEE10hipError_tPvRmT2_T3_T4_T5_mT6_T7_P12ihipStream_tbENKUlT_T0_E_clISt17integral_constantIbLb0EES14_EEDaSZ_S10_EUlSZ_E_NS1_11comp_targetILNS1_3genE4ELNS1_11target_archE910ELNS1_3gpuE8ELNS1_3repE0EEENS1_30default_config_static_selectorELNS0_4arch9wavefront6targetE0EEEvT1_,@function
_ZN7rocprim17ROCPRIM_400000_NS6detail17trampoline_kernelINS0_14default_configENS1_27scan_by_key_config_selectorIiiEEZZNS1_16scan_by_key_implILNS1_25lookback_scan_determinismE0ELb0ES3_N6thrust23THRUST_200600_302600_NS6detail15normal_iteratorINS9_10device_ptrIiEEEENS9_18transform_iteratorINS9_6negateIiEESE_NS9_11use_defaultESI_EESE_iNS9_4plusIvEENS9_8equal_toIvEEiEE10hipError_tPvRmT2_T3_T4_T5_mT6_T7_P12ihipStream_tbENKUlT_T0_E_clISt17integral_constantIbLb0EES14_EEDaSZ_S10_EUlSZ_E_NS1_11comp_targetILNS1_3genE4ELNS1_11target_archE910ELNS1_3gpuE8ELNS1_3repE0EEENS1_30default_config_static_selectorELNS0_4arch9wavefront6targetE0EEEvT1_: ; @_ZN7rocprim17ROCPRIM_400000_NS6detail17trampoline_kernelINS0_14default_configENS1_27scan_by_key_config_selectorIiiEEZZNS1_16scan_by_key_implILNS1_25lookback_scan_determinismE0ELb0ES3_N6thrust23THRUST_200600_302600_NS6detail15normal_iteratorINS9_10device_ptrIiEEEENS9_18transform_iteratorINS9_6negateIiEESE_NS9_11use_defaultESI_EESE_iNS9_4plusIvEENS9_8equal_toIvEEiEE10hipError_tPvRmT2_T3_T4_T5_mT6_T7_P12ihipStream_tbENKUlT_T0_E_clISt17integral_constantIbLb0EES14_EEDaSZ_S10_EUlSZ_E_NS1_11comp_targetILNS1_3genE4ELNS1_11target_archE910ELNS1_3gpuE8ELNS1_3repE0EEENS1_30default_config_static_selectorELNS0_4arch9wavefront6targetE0EEEvT1_
; %bb.0:
	.section	.rodata,"a",@progbits
	.p2align	6, 0x0
	.amdhsa_kernel _ZN7rocprim17ROCPRIM_400000_NS6detail17trampoline_kernelINS0_14default_configENS1_27scan_by_key_config_selectorIiiEEZZNS1_16scan_by_key_implILNS1_25lookback_scan_determinismE0ELb0ES3_N6thrust23THRUST_200600_302600_NS6detail15normal_iteratorINS9_10device_ptrIiEEEENS9_18transform_iteratorINS9_6negateIiEESE_NS9_11use_defaultESI_EESE_iNS9_4plusIvEENS9_8equal_toIvEEiEE10hipError_tPvRmT2_T3_T4_T5_mT6_T7_P12ihipStream_tbENKUlT_T0_E_clISt17integral_constantIbLb0EES14_EEDaSZ_S10_EUlSZ_E_NS1_11comp_targetILNS1_3genE4ELNS1_11target_archE910ELNS1_3gpuE8ELNS1_3repE0EEENS1_30default_config_static_selectorELNS0_4arch9wavefront6targetE0EEEvT1_
		.amdhsa_group_segment_fixed_size 0
		.amdhsa_private_segment_fixed_size 0
		.amdhsa_kernarg_size 120
		.amdhsa_user_sgpr_count 6
		.amdhsa_user_sgpr_private_segment_buffer 1
		.amdhsa_user_sgpr_dispatch_ptr 0
		.amdhsa_user_sgpr_queue_ptr 0
		.amdhsa_user_sgpr_kernarg_segment_ptr 1
		.amdhsa_user_sgpr_dispatch_id 0
		.amdhsa_user_sgpr_flat_scratch_init 0
		.amdhsa_user_sgpr_private_segment_size 0
		.amdhsa_wavefront_size32 1
		.amdhsa_uses_dynamic_stack 0
		.amdhsa_system_sgpr_private_segment_wavefront_offset 0
		.amdhsa_system_sgpr_workgroup_id_x 1
		.amdhsa_system_sgpr_workgroup_id_y 0
		.amdhsa_system_sgpr_workgroup_id_z 0
		.amdhsa_system_sgpr_workgroup_info 0
		.amdhsa_system_vgpr_workitem_id 0
		.amdhsa_next_free_vgpr 1
		.amdhsa_next_free_sgpr 1
		.amdhsa_reserve_vcc 0
		.amdhsa_reserve_flat_scratch 0
		.amdhsa_float_round_mode_32 0
		.amdhsa_float_round_mode_16_64 0
		.amdhsa_float_denorm_mode_32 3
		.amdhsa_float_denorm_mode_16_64 3
		.amdhsa_dx10_clamp 1
		.amdhsa_ieee_mode 1
		.amdhsa_fp16_overflow 0
		.amdhsa_workgroup_processor_mode 1
		.amdhsa_memory_ordered 1
		.amdhsa_forward_progress 1
		.amdhsa_shared_vgpr_count 0
		.amdhsa_exception_fp_ieee_invalid_op 0
		.amdhsa_exception_fp_denorm_src 0
		.amdhsa_exception_fp_ieee_div_zero 0
		.amdhsa_exception_fp_ieee_overflow 0
		.amdhsa_exception_fp_ieee_underflow 0
		.amdhsa_exception_fp_ieee_inexact 0
		.amdhsa_exception_int_div_zero 0
	.end_amdhsa_kernel
	.section	.text._ZN7rocprim17ROCPRIM_400000_NS6detail17trampoline_kernelINS0_14default_configENS1_27scan_by_key_config_selectorIiiEEZZNS1_16scan_by_key_implILNS1_25lookback_scan_determinismE0ELb0ES3_N6thrust23THRUST_200600_302600_NS6detail15normal_iteratorINS9_10device_ptrIiEEEENS9_18transform_iteratorINS9_6negateIiEESE_NS9_11use_defaultESI_EESE_iNS9_4plusIvEENS9_8equal_toIvEEiEE10hipError_tPvRmT2_T3_T4_T5_mT6_T7_P12ihipStream_tbENKUlT_T0_E_clISt17integral_constantIbLb0EES14_EEDaSZ_S10_EUlSZ_E_NS1_11comp_targetILNS1_3genE4ELNS1_11target_archE910ELNS1_3gpuE8ELNS1_3repE0EEENS1_30default_config_static_selectorELNS0_4arch9wavefront6targetE0EEEvT1_,"axG",@progbits,_ZN7rocprim17ROCPRIM_400000_NS6detail17trampoline_kernelINS0_14default_configENS1_27scan_by_key_config_selectorIiiEEZZNS1_16scan_by_key_implILNS1_25lookback_scan_determinismE0ELb0ES3_N6thrust23THRUST_200600_302600_NS6detail15normal_iteratorINS9_10device_ptrIiEEEENS9_18transform_iteratorINS9_6negateIiEESE_NS9_11use_defaultESI_EESE_iNS9_4plusIvEENS9_8equal_toIvEEiEE10hipError_tPvRmT2_T3_T4_T5_mT6_T7_P12ihipStream_tbENKUlT_T0_E_clISt17integral_constantIbLb0EES14_EEDaSZ_S10_EUlSZ_E_NS1_11comp_targetILNS1_3genE4ELNS1_11target_archE910ELNS1_3gpuE8ELNS1_3repE0EEENS1_30default_config_static_selectorELNS0_4arch9wavefront6targetE0EEEvT1_,comdat
.Lfunc_end932:
	.size	_ZN7rocprim17ROCPRIM_400000_NS6detail17trampoline_kernelINS0_14default_configENS1_27scan_by_key_config_selectorIiiEEZZNS1_16scan_by_key_implILNS1_25lookback_scan_determinismE0ELb0ES3_N6thrust23THRUST_200600_302600_NS6detail15normal_iteratorINS9_10device_ptrIiEEEENS9_18transform_iteratorINS9_6negateIiEESE_NS9_11use_defaultESI_EESE_iNS9_4plusIvEENS9_8equal_toIvEEiEE10hipError_tPvRmT2_T3_T4_T5_mT6_T7_P12ihipStream_tbENKUlT_T0_E_clISt17integral_constantIbLb0EES14_EEDaSZ_S10_EUlSZ_E_NS1_11comp_targetILNS1_3genE4ELNS1_11target_archE910ELNS1_3gpuE8ELNS1_3repE0EEENS1_30default_config_static_selectorELNS0_4arch9wavefront6targetE0EEEvT1_, .Lfunc_end932-_ZN7rocprim17ROCPRIM_400000_NS6detail17trampoline_kernelINS0_14default_configENS1_27scan_by_key_config_selectorIiiEEZZNS1_16scan_by_key_implILNS1_25lookback_scan_determinismE0ELb0ES3_N6thrust23THRUST_200600_302600_NS6detail15normal_iteratorINS9_10device_ptrIiEEEENS9_18transform_iteratorINS9_6negateIiEESE_NS9_11use_defaultESI_EESE_iNS9_4plusIvEENS9_8equal_toIvEEiEE10hipError_tPvRmT2_T3_T4_T5_mT6_T7_P12ihipStream_tbENKUlT_T0_E_clISt17integral_constantIbLb0EES14_EEDaSZ_S10_EUlSZ_E_NS1_11comp_targetILNS1_3genE4ELNS1_11target_archE910ELNS1_3gpuE8ELNS1_3repE0EEENS1_30default_config_static_selectorELNS0_4arch9wavefront6targetE0EEEvT1_
                                        ; -- End function
	.set _ZN7rocprim17ROCPRIM_400000_NS6detail17trampoline_kernelINS0_14default_configENS1_27scan_by_key_config_selectorIiiEEZZNS1_16scan_by_key_implILNS1_25lookback_scan_determinismE0ELb0ES3_N6thrust23THRUST_200600_302600_NS6detail15normal_iteratorINS9_10device_ptrIiEEEENS9_18transform_iteratorINS9_6negateIiEESE_NS9_11use_defaultESI_EESE_iNS9_4plusIvEENS9_8equal_toIvEEiEE10hipError_tPvRmT2_T3_T4_T5_mT6_T7_P12ihipStream_tbENKUlT_T0_E_clISt17integral_constantIbLb0EES14_EEDaSZ_S10_EUlSZ_E_NS1_11comp_targetILNS1_3genE4ELNS1_11target_archE910ELNS1_3gpuE8ELNS1_3repE0EEENS1_30default_config_static_selectorELNS0_4arch9wavefront6targetE0EEEvT1_.num_vgpr, 0
	.set _ZN7rocprim17ROCPRIM_400000_NS6detail17trampoline_kernelINS0_14default_configENS1_27scan_by_key_config_selectorIiiEEZZNS1_16scan_by_key_implILNS1_25lookback_scan_determinismE0ELb0ES3_N6thrust23THRUST_200600_302600_NS6detail15normal_iteratorINS9_10device_ptrIiEEEENS9_18transform_iteratorINS9_6negateIiEESE_NS9_11use_defaultESI_EESE_iNS9_4plusIvEENS9_8equal_toIvEEiEE10hipError_tPvRmT2_T3_T4_T5_mT6_T7_P12ihipStream_tbENKUlT_T0_E_clISt17integral_constantIbLb0EES14_EEDaSZ_S10_EUlSZ_E_NS1_11comp_targetILNS1_3genE4ELNS1_11target_archE910ELNS1_3gpuE8ELNS1_3repE0EEENS1_30default_config_static_selectorELNS0_4arch9wavefront6targetE0EEEvT1_.num_agpr, 0
	.set _ZN7rocprim17ROCPRIM_400000_NS6detail17trampoline_kernelINS0_14default_configENS1_27scan_by_key_config_selectorIiiEEZZNS1_16scan_by_key_implILNS1_25lookback_scan_determinismE0ELb0ES3_N6thrust23THRUST_200600_302600_NS6detail15normal_iteratorINS9_10device_ptrIiEEEENS9_18transform_iteratorINS9_6negateIiEESE_NS9_11use_defaultESI_EESE_iNS9_4plusIvEENS9_8equal_toIvEEiEE10hipError_tPvRmT2_T3_T4_T5_mT6_T7_P12ihipStream_tbENKUlT_T0_E_clISt17integral_constantIbLb0EES14_EEDaSZ_S10_EUlSZ_E_NS1_11comp_targetILNS1_3genE4ELNS1_11target_archE910ELNS1_3gpuE8ELNS1_3repE0EEENS1_30default_config_static_selectorELNS0_4arch9wavefront6targetE0EEEvT1_.numbered_sgpr, 0
	.set _ZN7rocprim17ROCPRIM_400000_NS6detail17trampoline_kernelINS0_14default_configENS1_27scan_by_key_config_selectorIiiEEZZNS1_16scan_by_key_implILNS1_25lookback_scan_determinismE0ELb0ES3_N6thrust23THRUST_200600_302600_NS6detail15normal_iteratorINS9_10device_ptrIiEEEENS9_18transform_iteratorINS9_6negateIiEESE_NS9_11use_defaultESI_EESE_iNS9_4plusIvEENS9_8equal_toIvEEiEE10hipError_tPvRmT2_T3_T4_T5_mT6_T7_P12ihipStream_tbENKUlT_T0_E_clISt17integral_constantIbLb0EES14_EEDaSZ_S10_EUlSZ_E_NS1_11comp_targetILNS1_3genE4ELNS1_11target_archE910ELNS1_3gpuE8ELNS1_3repE0EEENS1_30default_config_static_selectorELNS0_4arch9wavefront6targetE0EEEvT1_.num_named_barrier, 0
	.set _ZN7rocprim17ROCPRIM_400000_NS6detail17trampoline_kernelINS0_14default_configENS1_27scan_by_key_config_selectorIiiEEZZNS1_16scan_by_key_implILNS1_25lookback_scan_determinismE0ELb0ES3_N6thrust23THRUST_200600_302600_NS6detail15normal_iteratorINS9_10device_ptrIiEEEENS9_18transform_iteratorINS9_6negateIiEESE_NS9_11use_defaultESI_EESE_iNS9_4plusIvEENS9_8equal_toIvEEiEE10hipError_tPvRmT2_T3_T4_T5_mT6_T7_P12ihipStream_tbENKUlT_T0_E_clISt17integral_constantIbLb0EES14_EEDaSZ_S10_EUlSZ_E_NS1_11comp_targetILNS1_3genE4ELNS1_11target_archE910ELNS1_3gpuE8ELNS1_3repE0EEENS1_30default_config_static_selectorELNS0_4arch9wavefront6targetE0EEEvT1_.private_seg_size, 0
	.set _ZN7rocprim17ROCPRIM_400000_NS6detail17trampoline_kernelINS0_14default_configENS1_27scan_by_key_config_selectorIiiEEZZNS1_16scan_by_key_implILNS1_25lookback_scan_determinismE0ELb0ES3_N6thrust23THRUST_200600_302600_NS6detail15normal_iteratorINS9_10device_ptrIiEEEENS9_18transform_iteratorINS9_6negateIiEESE_NS9_11use_defaultESI_EESE_iNS9_4plusIvEENS9_8equal_toIvEEiEE10hipError_tPvRmT2_T3_T4_T5_mT6_T7_P12ihipStream_tbENKUlT_T0_E_clISt17integral_constantIbLb0EES14_EEDaSZ_S10_EUlSZ_E_NS1_11comp_targetILNS1_3genE4ELNS1_11target_archE910ELNS1_3gpuE8ELNS1_3repE0EEENS1_30default_config_static_selectorELNS0_4arch9wavefront6targetE0EEEvT1_.uses_vcc, 0
	.set _ZN7rocprim17ROCPRIM_400000_NS6detail17trampoline_kernelINS0_14default_configENS1_27scan_by_key_config_selectorIiiEEZZNS1_16scan_by_key_implILNS1_25lookback_scan_determinismE0ELb0ES3_N6thrust23THRUST_200600_302600_NS6detail15normal_iteratorINS9_10device_ptrIiEEEENS9_18transform_iteratorINS9_6negateIiEESE_NS9_11use_defaultESI_EESE_iNS9_4plusIvEENS9_8equal_toIvEEiEE10hipError_tPvRmT2_T3_T4_T5_mT6_T7_P12ihipStream_tbENKUlT_T0_E_clISt17integral_constantIbLb0EES14_EEDaSZ_S10_EUlSZ_E_NS1_11comp_targetILNS1_3genE4ELNS1_11target_archE910ELNS1_3gpuE8ELNS1_3repE0EEENS1_30default_config_static_selectorELNS0_4arch9wavefront6targetE0EEEvT1_.uses_flat_scratch, 0
	.set _ZN7rocprim17ROCPRIM_400000_NS6detail17trampoline_kernelINS0_14default_configENS1_27scan_by_key_config_selectorIiiEEZZNS1_16scan_by_key_implILNS1_25lookback_scan_determinismE0ELb0ES3_N6thrust23THRUST_200600_302600_NS6detail15normal_iteratorINS9_10device_ptrIiEEEENS9_18transform_iteratorINS9_6negateIiEESE_NS9_11use_defaultESI_EESE_iNS9_4plusIvEENS9_8equal_toIvEEiEE10hipError_tPvRmT2_T3_T4_T5_mT6_T7_P12ihipStream_tbENKUlT_T0_E_clISt17integral_constantIbLb0EES14_EEDaSZ_S10_EUlSZ_E_NS1_11comp_targetILNS1_3genE4ELNS1_11target_archE910ELNS1_3gpuE8ELNS1_3repE0EEENS1_30default_config_static_selectorELNS0_4arch9wavefront6targetE0EEEvT1_.has_dyn_sized_stack, 0
	.set _ZN7rocprim17ROCPRIM_400000_NS6detail17trampoline_kernelINS0_14default_configENS1_27scan_by_key_config_selectorIiiEEZZNS1_16scan_by_key_implILNS1_25lookback_scan_determinismE0ELb0ES3_N6thrust23THRUST_200600_302600_NS6detail15normal_iteratorINS9_10device_ptrIiEEEENS9_18transform_iteratorINS9_6negateIiEESE_NS9_11use_defaultESI_EESE_iNS9_4plusIvEENS9_8equal_toIvEEiEE10hipError_tPvRmT2_T3_T4_T5_mT6_T7_P12ihipStream_tbENKUlT_T0_E_clISt17integral_constantIbLb0EES14_EEDaSZ_S10_EUlSZ_E_NS1_11comp_targetILNS1_3genE4ELNS1_11target_archE910ELNS1_3gpuE8ELNS1_3repE0EEENS1_30default_config_static_selectorELNS0_4arch9wavefront6targetE0EEEvT1_.has_recursion, 0
	.set _ZN7rocprim17ROCPRIM_400000_NS6detail17trampoline_kernelINS0_14default_configENS1_27scan_by_key_config_selectorIiiEEZZNS1_16scan_by_key_implILNS1_25lookback_scan_determinismE0ELb0ES3_N6thrust23THRUST_200600_302600_NS6detail15normal_iteratorINS9_10device_ptrIiEEEENS9_18transform_iteratorINS9_6negateIiEESE_NS9_11use_defaultESI_EESE_iNS9_4plusIvEENS9_8equal_toIvEEiEE10hipError_tPvRmT2_T3_T4_T5_mT6_T7_P12ihipStream_tbENKUlT_T0_E_clISt17integral_constantIbLb0EES14_EEDaSZ_S10_EUlSZ_E_NS1_11comp_targetILNS1_3genE4ELNS1_11target_archE910ELNS1_3gpuE8ELNS1_3repE0EEENS1_30default_config_static_selectorELNS0_4arch9wavefront6targetE0EEEvT1_.has_indirect_call, 0
	.section	.AMDGPU.csdata,"",@progbits
; Kernel info:
; codeLenInByte = 0
; TotalNumSgprs: 0
; NumVgprs: 0
; ScratchSize: 0
; MemoryBound: 0
; FloatMode: 240
; IeeeMode: 1
; LDSByteSize: 0 bytes/workgroup (compile time only)
; SGPRBlocks: 0
; VGPRBlocks: 0
; NumSGPRsForWavesPerEU: 1
; NumVGPRsForWavesPerEU: 1
; Occupancy: 16
; WaveLimiterHint : 0
; COMPUTE_PGM_RSRC2:SCRATCH_EN: 0
; COMPUTE_PGM_RSRC2:USER_SGPR: 6
; COMPUTE_PGM_RSRC2:TRAP_HANDLER: 0
; COMPUTE_PGM_RSRC2:TGID_X_EN: 1
; COMPUTE_PGM_RSRC2:TGID_Y_EN: 0
; COMPUTE_PGM_RSRC2:TGID_Z_EN: 0
; COMPUTE_PGM_RSRC2:TIDIG_COMP_CNT: 0
	.section	.text._ZN7rocprim17ROCPRIM_400000_NS6detail17trampoline_kernelINS0_14default_configENS1_27scan_by_key_config_selectorIiiEEZZNS1_16scan_by_key_implILNS1_25lookback_scan_determinismE0ELb0ES3_N6thrust23THRUST_200600_302600_NS6detail15normal_iteratorINS9_10device_ptrIiEEEENS9_18transform_iteratorINS9_6negateIiEESE_NS9_11use_defaultESI_EESE_iNS9_4plusIvEENS9_8equal_toIvEEiEE10hipError_tPvRmT2_T3_T4_T5_mT6_T7_P12ihipStream_tbENKUlT_T0_E_clISt17integral_constantIbLb0EES14_EEDaSZ_S10_EUlSZ_E_NS1_11comp_targetILNS1_3genE3ELNS1_11target_archE908ELNS1_3gpuE7ELNS1_3repE0EEENS1_30default_config_static_selectorELNS0_4arch9wavefront6targetE0EEEvT1_,"axG",@progbits,_ZN7rocprim17ROCPRIM_400000_NS6detail17trampoline_kernelINS0_14default_configENS1_27scan_by_key_config_selectorIiiEEZZNS1_16scan_by_key_implILNS1_25lookback_scan_determinismE0ELb0ES3_N6thrust23THRUST_200600_302600_NS6detail15normal_iteratorINS9_10device_ptrIiEEEENS9_18transform_iteratorINS9_6negateIiEESE_NS9_11use_defaultESI_EESE_iNS9_4plusIvEENS9_8equal_toIvEEiEE10hipError_tPvRmT2_T3_T4_T5_mT6_T7_P12ihipStream_tbENKUlT_T0_E_clISt17integral_constantIbLb0EES14_EEDaSZ_S10_EUlSZ_E_NS1_11comp_targetILNS1_3genE3ELNS1_11target_archE908ELNS1_3gpuE7ELNS1_3repE0EEENS1_30default_config_static_selectorELNS0_4arch9wavefront6targetE0EEEvT1_,comdat
	.protected	_ZN7rocprim17ROCPRIM_400000_NS6detail17trampoline_kernelINS0_14default_configENS1_27scan_by_key_config_selectorIiiEEZZNS1_16scan_by_key_implILNS1_25lookback_scan_determinismE0ELb0ES3_N6thrust23THRUST_200600_302600_NS6detail15normal_iteratorINS9_10device_ptrIiEEEENS9_18transform_iteratorINS9_6negateIiEESE_NS9_11use_defaultESI_EESE_iNS9_4plusIvEENS9_8equal_toIvEEiEE10hipError_tPvRmT2_T3_T4_T5_mT6_T7_P12ihipStream_tbENKUlT_T0_E_clISt17integral_constantIbLb0EES14_EEDaSZ_S10_EUlSZ_E_NS1_11comp_targetILNS1_3genE3ELNS1_11target_archE908ELNS1_3gpuE7ELNS1_3repE0EEENS1_30default_config_static_selectorELNS0_4arch9wavefront6targetE0EEEvT1_ ; -- Begin function _ZN7rocprim17ROCPRIM_400000_NS6detail17trampoline_kernelINS0_14default_configENS1_27scan_by_key_config_selectorIiiEEZZNS1_16scan_by_key_implILNS1_25lookback_scan_determinismE0ELb0ES3_N6thrust23THRUST_200600_302600_NS6detail15normal_iteratorINS9_10device_ptrIiEEEENS9_18transform_iteratorINS9_6negateIiEESE_NS9_11use_defaultESI_EESE_iNS9_4plusIvEENS9_8equal_toIvEEiEE10hipError_tPvRmT2_T3_T4_T5_mT6_T7_P12ihipStream_tbENKUlT_T0_E_clISt17integral_constantIbLb0EES14_EEDaSZ_S10_EUlSZ_E_NS1_11comp_targetILNS1_3genE3ELNS1_11target_archE908ELNS1_3gpuE7ELNS1_3repE0EEENS1_30default_config_static_selectorELNS0_4arch9wavefront6targetE0EEEvT1_
	.globl	_ZN7rocprim17ROCPRIM_400000_NS6detail17trampoline_kernelINS0_14default_configENS1_27scan_by_key_config_selectorIiiEEZZNS1_16scan_by_key_implILNS1_25lookback_scan_determinismE0ELb0ES3_N6thrust23THRUST_200600_302600_NS6detail15normal_iteratorINS9_10device_ptrIiEEEENS9_18transform_iteratorINS9_6negateIiEESE_NS9_11use_defaultESI_EESE_iNS9_4plusIvEENS9_8equal_toIvEEiEE10hipError_tPvRmT2_T3_T4_T5_mT6_T7_P12ihipStream_tbENKUlT_T0_E_clISt17integral_constantIbLb0EES14_EEDaSZ_S10_EUlSZ_E_NS1_11comp_targetILNS1_3genE3ELNS1_11target_archE908ELNS1_3gpuE7ELNS1_3repE0EEENS1_30default_config_static_selectorELNS0_4arch9wavefront6targetE0EEEvT1_
	.p2align	8
	.type	_ZN7rocprim17ROCPRIM_400000_NS6detail17trampoline_kernelINS0_14default_configENS1_27scan_by_key_config_selectorIiiEEZZNS1_16scan_by_key_implILNS1_25lookback_scan_determinismE0ELb0ES3_N6thrust23THRUST_200600_302600_NS6detail15normal_iteratorINS9_10device_ptrIiEEEENS9_18transform_iteratorINS9_6negateIiEESE_NS9_11use_defaultESI_EESE_iNS9_4plusIvEENS9_8equal_toIvEEiEE10hipError_tPvRmT2_T3_T4_T5_mT6_T7_P12ihipStream_tbENKUlT_T0_E_clISt17integral_constantIbLb0EES14_EEDaSZ_S10_EUlSZ_E_NS1_11comp_targetILNS1_3genE3ELNS1_11target_archE908ELNS1_3gpuE7ELNS1_3repE0EEENS1_30default_config_static_selectorELNS0_4arch9wavefront6targetE0EEEvT1_,@function
_ZN7rocprim17ROCPRIM_400000_NS6detail17trampoline_kernelINS0_14default_configENS1_27scan_by_key_config_selectorIiiEEZZNS1_16scan_by_key_implILNS1_25lookback_scan_determinismE0ELb0ES3_N6thrust23THRUST_200600_302600_NS6detail15normal_iteratorINS9_10device_ptrIiEEEENS9_18transform_iteratorINS9_6negateIiEESE_NS9_11use_defaultESI_EESE_iNS9_4plusIvEENS9_8equal_toIvEEiEE10hipError_tPvRmT2_T3_T4_T5_mT6_T7_P12ihipStream_tbENKUlT_T0_E_clISt17integral_constantIbLb0EES14_EEDaSZ_S10_EUlSZ_E_NS1_11comp_targetILNS1_3genE3ELNS1_11target_archE908ELNS1_3gpuE7ELNS1_3repE0EEENS1_30default_config_static_selectorELNS0_4arch9wavefront6targetE0EEEvT1_: ; @_ZN7rocprim17ROCPRIM_400000_NS6detail17trampoline_kernelINS0_14default_configENS1_27scan_by_key_config_selectorIiiEEZZNS1_16scan_by_key_implILNS1_25lookback_scan_determinismE0ELb0ES3_N6thrust23THRUST_200600_302600_NS6detail15normal_iteratorINS9_10device_ptrIiEEEENS9_18transform_iteratorINS9_6negateIiEESE_NS9_11use_defaultESI_EESE_iNS9_4plusIvEENS9_8equal_toIvEEiEE10hipError_tPvRmT2_T3_T4_T5_mT6_T7_P12ihipStream_tbENKUlT_T0_E_clISt17integral_constantIbLb0EES14_EEDaSZ_S10_EUlSZ_E_NS1_11comp_targetILNS1_3genE3ELNS1_11target_archE908ELNS1_3gpuE7ELNS1_3repE0EEENS1_30default_config_static_selectorELNS0_4arch9wavefront6targetE0EEEvT1_
; %bb.0:
	.section	.rodata,"a",@progbits
	.p2align	6, 0x0
	.amdhsa_kernel _ZN7rocprim17ROCPRIM_400000_NS6detail17trampoline_kernelINS0_14default_configENS1_27scan_by_key_config_selectorIiiEEZZNS1_16scan_by_key_implILNS1_25lookback_scan_determinismE0ELb0ES3_N6thrust23THRUST_200600_302600_NS6detail15normal_iteratorINS9_10device_ptrIiEEEENS9_18transform_iteratorINS9_6negateIiEESE_NS9_11use_defaultESI_EESE_iNS9_4plusIvEENS9_8equal_toIvEEiEE10hipError_tPvRmT2_T3_T4_T5_mT6_T7_P12ihipStream_tbENKUlT_T0_E_clISt17integral_constantIbLb0EES14_EEDaSZ_S10_EUlSZ_E_NS1_11comp_targetILNS1_3genE3ELNS1_11target_archE908ELNS1_3gpuE7ELNS1_3repE0EEENS1_30default_config_static_selectorELNS0_4arch9wavefront6targetE0EEEvT1_
		.amdhsa_group_segment_fixed_size 0
		.amdhsa_private_segment_fixed_size 0
		.amdhsa_kernarg_size 120
		.amdhsa_user_sgpr_count 6
		.amdhsa_user_sgpr_private_segment_buffer 1
		.amdhsa_user_sgpr_dispatch_ptr 0
		.amdhsa_user_sgpr_queue_ptr 0
		.amdhsa_user_sgpr_kernarg_segment_ptr 1
		.amdhsa_user_sgpr_dispatch_id 0
		.amdhsa_user_sgpr_flat_scratch_init 0
		.amdhsa_user_sgpr_private_segment_size 0
		.amdhsa_wavefront_size32 1
		.amdhsa_uses_dynamic_stack 0
		.amdhsa_system_sgpr_private_segment_wavefront_offset 0
		.amdhsa_system_sgpr_workgroup_id_x 1
		.amdhsa_system_sgpr_workgroup_id_y 0
		.amdhsa_system_sgpr_workgroup_id_z 0
		.amdhsa_system_sgpr_workgroup_info 0
		.amdhsa_system_vgpr_workitem_id 0
		.amdhsa_next_free_vgpr 1
		.amdhsa_next_free_sgpr 1
		.amdhsa_reserve_vcc 0
		.amdhsa_reserve_flat_scratch 0
		.amdhsa_float_round_mode_32 0
		.amdhsa_float_round_mode_16_64 0
		.amdhsa_float_denorm_mode_32 3
		.amdhsa_float_denorm_mode_16_64 3
		.amdhsa_dx10_clamp 1
		.amdhsa_ieee_mode 1
		.amdhsa_fp16_overflow 0
		.amdhsa_workgroup_processor_mode 1
		.amdhsa_memory_ordered 1
		.amdhsa_forward_progress 1
		.amdhsa_shared_vgpr_count 0
		.amdhsa_exception_fp_ieee_invalid_op 0
		.amdhsa_exception_fp_denorm_src 0
		.amdhsa_exception_fp_ieee_div_zero 0
		.amdhsa_exception_fp_ieee_overflow 0
		.amdhsa_exception_fp_ieee_underflow 0
		.amdhsa_exception_fp_ieee_inexact 0
		.amdhsa_exception_int_div_zero 0
	.end_amdhsa_kernel
	.section	.text._ZN7rocprim17ROCPRIM_400000_NS6detail17trampoline_kernelINS0_14default_configENS1_27scan_by_key_config_selectorIiiEEZZNS1_16scan_by_key_implILNS1_25lookback_scan_determinismE0ELb0ES3_N6thrust23THRUST_200600_302600_NS6detail15normal_iteratorINS9_10device_ptrIiEEEENS9_18transform_iteratorINS9_6negateIiEESE_NS9_11use_defaultESI_EESE_iNS9_4plusIvEENS9_8equal_toIvEEiEE10hipError_tPvRmT2_T3_T4_T5_mT6_T7_P12ihipStream_tbENKUlT_T0_E_clISt17integral_constantIbLb0EES14_EEDaSZ_S10_EUlSZ_E_NS1_11comp_targetILNS1_3genE3ELNS1_11target_archE908ELNS1_3gpuE7ELNS1_3repE0EEENS1_30default_config_static_selectorELNS0_4arch9wavefront6targetE0EEEvT1_,"axG",@progbits,_ZN7rocprim17ROCPRIM_400000_NS6detail17trampoline_kernelINS0_14default_configENS1_27scan_by_key_config_selectorIiiEEZZNS1_16scan_by_key_implILNS1_25lookback_scan_determinismE0ELb0ES3_N6thrust23THRUST_200600_302600_NS6detail15normal_iteratorINS9_10device_ptrIiEEEENS9_18transform_iteratorINS9_6negateIiEESE_NS9_11use_defaultESI_EESE_iNS9_4plusIvEENS9_8equal_toIvEEiEE10hipError_tPvRmT2_T3_T4_T5_mT6_T7_P12ihipStream_tbENKUlT_T0_E_clISt17integral_constantIbLb0EES14_EEDaSZ_S10_EUlSZ_E_NS1_11comp_targetILNS1_3genE3ELNS1_11target_archE908ELNS1_3gpuE7ELNS1_3repE0EEENS1_30default_config_static_selectorELNS0_4arch9wavefront6targetE0EEEvT1_,comdat
.Lfunc_end933:
	.size	_ZN7rocprim17ROCPRIM_400000_NS6detail17trampoline_kernelINS0_14default_configENS1_27scan_by_key_config_selectorIiiEEZZNS1_16scan_by_key_implILNS1_25lookback_scan_determinismE0ELb0ES3_N6thrust23THRUST_200600_302600_NS6detail15normal_iteratorINS9_10device_ptrIiEEEENS9_18transform_iteratorINS9_6negateIiEESE_NS9_11use_defaultESI_EESE_iNS9_4plusIvEENS9_8equal_toIvEEiEE10hipError_tPvRmT2_T3_T4_T5_mT6_T7_P12ihipStream_tbENKUlT_T0_E_clISt17integral_constantIbLb0EES14_EEDaSZ_S10_EUlSZ_E_NS1_11comp_targetILNS1_3genE3ELNS1_11target_archE908ELNS1_3gpuE7ELNS1_3repE0EEENS1_30default_config_static_selectorELNS0_4arch9wavefront6targetE0EEEvT1_, .Lfunc_end933-_ZN7rocprim17ROCPRIM_400000_NS6detail17trampoline_kernelINS0_14default_configENS1_27scan_by_key_config_selectorIiiEEZZNS1_16scan_by_key_implILNS1_25lookback_scan_determinismE0ELb0ES3_N6thrust23THRUST_200600_302600_NS6detail15normal_iteratorINS9_10device_ptrIiEEEENS9_18transform_iteratorINS9_6negateIiEESE_NS9_11use_defaultESI_EESE_iNS9_4plusIvEENS9_8equal_toIvEEiEE10hipError_tPvRmT2_T3_T4_T5_mT6_T7_P12ihipStream_tbENKUlT_T0_E_clISt17integral_constantIbLb0EES14_EEDaSZ_S10_EUlSZ_E_NS1_11comp_targetILNS1_3genE3ELNS1_11target_archE908ELNS1_3gpuE7ELNS1_3repE0EEENS1_30default_config_static_selectorELNS0_4arch9wavefront6targetE0EEEvT1_
                                        ; -- End function
	.set _ZN7rocprim17ROCPRIM_400000_NS6detail17trampoline_kernelINS0_14default_configENS1_27scan_by_key_config_selectorIiiEEZZNS1_16scan_by_key_implILNS1_25lookback_scan_determinismE0ELb0ES3_N6thrust23THRUST_200600_302600_NS6detail15normal_iteratorINS9_10device_ptrIiEEEENS9_18transform_iteratorINS9_6negateIiEESE_NS9_11use_defaultESI_EESE_iNS9_4plusIvEENS9_8equal_toIvEEiEE10hipError_tPvRmT2_T3_T4_T5_mT6_T7_P12ihipStream_tbENKUlT_T0_E_clISt17integral_constantIbLb0EES14_EEDaSZ_S10_EUlSZ_E_NS1_11comp_targetILNS1_3genE3ELNS1_11target_archE908ELNS1_3gpuE7ELNS1_3repE0EEENS1_30default_config_static_selectorELNS0_4arch9wavefront6targetE0EEEvT1_.num_vgpr, 0
	.set _ZN7rocprim17ROCPRIM_400000_NS6detail17trampoline_kernelINS0_14default_configENS1_27scan_by_key_config_selectorIiiEEZZNS1_16scan_by_key_implILNS1_25lookback_scan_determinismE0ELb0ES3_N6thrust23THRUST_200600_302600_NS6detail15normal_iteratorINS9_10device_ptrIiEEEENS9_18transform_iteratorINS9_6negateIiEESE_NS9_11use_defaultESI_EESE_iNS9_4plusIvEENS9_8equal_toIvEEiEE10hipError_tPvRmT2_T3_T4_T5_mT6_T7_P12ihipStream_tbENKUlT_T0_E_clISt17integral_constantIbLb0EES14_EEDaSZ_S10_EUlSZ_E_NS1_11comp_targetILNS1_3genE3ELNS1_11target_archE908ELNS1_3gpuE7ELNS1_3repE0EEENS1_30default_config_static_selectorELNS0_4arch9wavefront6targetE0EEEvT1_.num_agpr, 0
	.set _ZN7rocprim17ROCPRIM_400000_NS6detail17trampoline_kernelINS0_14default_configENS1_27scan_by_key_config_selectorIiiEEZZNS1_16scan_by_key_implILNS1_25lookback_scan_determinismE0ELb0ES3_N6thrust23THRUST_200600_302600_NS6detail15normal_iteratorINS9_10device_ptrIiEEEENS9_18transform_iteratorINS9_6negateIiEESE_NS9_11use_defaultESI_EESE_iNS9_4plusIvEENS9_8equal_toIvEEiEE10hipError_tPvRmT2_T3_T4_T5_mT6_T7_P12ihipStream_tbENKUlT_T0_E_clISt17integral_constantIbLb0EES14_EEDaSZ_S10_EUlSZ_E_NS1_11comp_targetILNS1_3genE3ELNS1_11target_archE908ELNS1_3gpuE7ELNS1_3repE0EEENS1_30default_config_static_selectorELNS0_4arch9wavefront6targetE0EEEvT1_.numbered_sgpr, 0
	.set _ZN7rocprim17ROCPRIM_400000_NS6detail17trampoline_kernelINS0_14default_configENS1_27scan_by_key_config_selectorIiiEEZZNS1_16scan_by_key_implILNS1_25lookback_scan_determinismE0ELb0ES3_N6thrust23THRUST_200600_302600_NS6detail15normal_iteratorINS9_10device_ptrIiEEEENS9_18transform_iteratorINS9_6negateIiEESE_NS9_11use_defaultESI_EESE_iNS9_4plusIvEENS9_8equal_toIvEEiEE10hipError_tPvRmT2_T3_T4_T5_mT6_T7_P12ihipStream_tbENKUlT_T0_E_clISt17integral_constantIbLb0EES14_EEDaSZ_S10_EUlSZ_E_NS1_11comp_targetILNS1_3genE3ELNS1_11target_archE908ELNS1_3gpuE7ELNS1_3repE0EEENS1_30default_config_static_selectorELNS0_4arch9wavefront6targetE0EEEvT1_.num_named_barrier, 0
	.set _ZN7rocprim17ROCPRIM_400000_NS6detail17trampoline_kernelINS0_14default_configENS1_27scan_by_key_config_selectorIiiEEZZNS1_16scan_by_key_implILNS1_25lookback_scan_determinismE0ELb0ES3_N6thrust23THRUST_200600_302600_NS6detail15normal_iteratorINS9_10device_ptrIiEEEENS9_18transform_iteratorINS9_6negateIiEESE_NS9_11use_defaultESI_EESE_iNS9_4plusIvEENS9_8equal_toIvEEiEE10hipError_tPvRmT2_T3_T4_T5_mT6_T7_P12ihipStream_tbENKUlT_T0_E_clISt17integral_constantIbLb0EES14_EEDaSZ_S10_EUlSZ_E_NS1_11comp_targetILNS1_3genE3ELNS1_11target_archE908ELNS1_3gpuE7ELNS1_3repE0EEENS1_30default_config_static_selectorELNS0_4arch9wavefront6targetE0EEEvT1_.private_seg_size, 0
	.set _ZN7rocprim17ROCPRIM_400000_NS6detail17trampoline_kernelINS0_14default_configENS1_27scan_by_key_config_selectorIiiEEZZNS1_16scan_by_key_implILNS1_25lookback_scan_determinismE0ELb0ES3_N6thrust23THRUST_200600_302600_NS6detail15normal_iteratorINS9_10device_ptrIiEEEENS9_18transform_iteratorINS9_6negateIiEESE_NS9_11use_defaultESI_EESE_iNS9_4plusIvEENS9_8equal_toIvEEiEE10hipError_tPvRmT2_T3_T4_T5_mT6_T7_P12ihipStream_tbENKUlT_T0_E_clISt17integral_constantIbLb0EES14_EEDaSZ_S10_EUlSZ_E_NS1_11comp_targetILNS1_3genE3ELNS1_11target_archE908ELNS1_3gpuE7ELNS1_3repE0EEENS1_30default_config_static_selectorELNS0_4arch9wavefront6targetE0EEEvT1_.uses_vcc, 0
	.set _ZN7rocprim17ROCPRIM_400000_NS6detail17trampoline_kernelINS0_14default_configENS1_27scan_by_key_config_selectorIiiEEZZNS1_16scan_by_key_implILNS1_25lookback_scan_determinismE0ELb0ES3_N6thrust23THRUST_200600_302600_NS6detail15normal_iteratorINS9_10device_ptrIiEEEENS9_18transform_iteratorINS9_6negateIiEESE_NS9_11use_defaultESI_EESE_iNS9_4plusIvEENS9_8equal_toIvEEiEE10hipError_tPvRmT2_T3_T4_T5_mT6_T7_P12ihipStream_tbENKUlT_T0_E_clISt17integral_constantIbLb0EES14_EEDaSZ_S10_EUlSZ_E_NS1_11comp_targetILNS1_3genE3ELNS1_11target_archE908ELNS1_3gpuE7ELNS1_3repE0EEENS1_30default_config_static_selectorELNS0_4arch9wavefront6targetE0EEEvT1_.uses_flat_scratch, 0
	.set _ZN7rocprim17ROCPRIM_400000_NS6detail17trampoline_kernelINS0_14default_configENS1_27scan_by_key_config_selectorIiiEEZZNS1_16scan_by_key_implILNS1_25lookback_scan_determinismE0ELb0ES3_N6thrust23THRUST_200600_302600_NS6detail15normal_iteratorINS9_10device_ptrIiEEEENS9_18transform_iteratorINS9_6negateIiEESE_NS9_11use_defaultESI_EESE_iNS9_4plusIvEENS9_8equal_toIvEEiEE10hipError_tPvRmT2_T3_T4_T5_mT6_T7_P12ihipStream_tbENKUlT_T0_E_clISt17integral_constantIbLb0EES14_EEDaSZ_S10_EUlSZ_E_NS1_11comp_targetILNS1_3genE3ELNS1_11target_archE908ELNS1_3gpuE7ELNS1_3repE0EEENS1_30default_config_static_selectorELNS0_4arch9wavefront6targetE0EEEvT1_.has_dyn_sized_stack, 0
	.set _ZN7rocprim17ROCPRIM_400000_NS6detail17trampoline_kernelINS0_14default_configENS1_27scan_by_key_config_selectorIiiEEZZNS1_16scan_by_key_implILNS1_25lookback_scan_determinismE0ELb0ES3_N6thrust23THRUST_200600_302600_NS6detail15normal_iteratorINS9_10device_ptrIiEEEENS9_18transform_iteratorINS9_6negateIiEESE_NS9_11use_defaultESI_EESE_iNS9_4plusIvEENS9_8equal_toIvEEiEE10hipError_tPvRmT2_T3_T4_T5_mT6_T7_P12ihipStream_tbENKUlT_T0_E_clISt17integral_constantIbLb0EES14_EEDaSZ_S10_EUlSZ_E_NS1_11comp_targetILNS1_3genE3ELNS1_11target_archE908ELNS1_3gpuE7ELNS1_3repE0EEENS1_30default_config_static_selectorELNS0_4arch9wavefront6targetE0EEEvT1_.has_recursion, 0
	.set _ZN7rocprim17ROCPRIM_400000_NS6detail17trampoline_kernelINS0_14default_configENS1_27scan_by_key_config_selectorIiiEEZZNS1_16scan_by_key_implILNS1_25lookback_scan_determinismE0ELb0ES3_N6thrust23THRUST_200600_302600_NS6detail15normal_iteratorINS9_10device_ptrIiEEEENS9_18transform_iteratorINS9_6negateIiEESE_NS9_11use_defaultESI_EESE_iNS9_4plusIvEENS9_8equal_toIvEEiEE10hipError_tPvRmT2_T3_T4_T5_mT6_T7_P12ihipStream_tbENKUlT_T0_E_clISt17integral_constantIbLb0EES14_EEDaSZ_S10_EUlSZ_E_NS1_11comp_targetILNS1_3genE3ELNS1_11target_archE908ELNS1_3gpuE7ELNS1_3repE0EEENS1_30default_config_static_selectorELNS0_4arch9wavefront6targetE0EEEvT1_.has_indirect_call, 0
	.section	.AMDGPU.csdata,"",@progbits
; Kernel info:
; codeLenInByte = 0
; TotalNumSgprs: 0
; NumVgprs: 0
; ScratchSize: 0
; MemoryBound: 0
; FloatMode: 240
; IeeeMode: 1
; LDSByteSize: 0 bytes/workgroup (compile time only)
; SGPRBlocks: 0
; VGPRBlocks: 0
; NumSGPRsForWavesPerEU: 1
; NumVGPRsForWavesPerEU: 1
; Occupancy: 16
; WaveLimiterHint : 0
; COMPUTE_PGM_RSRC2:SCRATCH_EN: 0
; COMPUTE_PGM_RSRC2:USER_SGPR: 6
; COMPUTE_PGM_RSRC2:TRAP_HANDLER: 0
; COMPUTE_PGM_RSRC2:TGID_X_EN: 1
; COMPUTE_PGM_RSRC2:TGID_Y_EN: 0
; COMPUTE_PGM_RSRC2:TGID_Z_EN: 0
; COMPUTE_PGM_RSRC2:TIDIG_COMP_CNT: 0
	.section	.text._ZN7rocprim17ROCPRIM_400000_NS6detail17trampoline_kernelINS0_14default_configENS1_27scan_by_key_config_selectorIiiEEZZNS1_16scan_by_key_implILNS1_25lookback_scan_determinismE0ELb0ES3_N6thrust23THRUST_200600_302600_NS6detail15normal_iteratorINS9_10device_ptrIiEEEENS9_18transform_iteratorINS9_6negateIiEESE_NS9_11use_defaultESI_EESE_iNS9_4plusIvEENS9_8equal_toIvEEiEE10hipError_tPvRmT2_T3_T4_T5_mT6_T7_P12ihipStream_tbENKUlT_T0_E_clISt17integral_constantIbLb0EES14_EEDaSZ_S10_EUlSZ_E_NS1_11comp_targetILNS1_3genE2ELNS1_11target_archE906ELNS1_3gpuE6ELNS1_3repE0EEENS1_30default_config_static_selectorELNS0_4arch9wavefront6targetE0EEEvT1_,"axG",@progbits,_ZN7rocprim17ROCPRIM_400000_NS6detail17trampoline_kernelINS0_14default_configENS1_27scan_by_key_config_selectorIiiEEZZNS1_16scan_by_key_implILNS1_25lookback_scan_determinismE0ELb0ES3_N6thrust23THRUST_200600_302600_NS6detail15normal_iteratorINS9_10device_ptrIiEEEENS9_18transform_iteratorINS9_6negateIiEESE_NS9_11use_defaultESI_EESE_iNS9_4plusIvEENS9_8equal_toIvEEiEE10hipError_tPvRmT2_T3_T4_T5_mT6_T7_P12ihipStream_tbENKUlT_T0_E_clISt17integral_constantIbLb0EES14_EEDaSZ_S10_EUlSZ_E_NS1_11comp_targetILNS1_3genE2ELNS1_11target_archE906ELNS1_3gpuE6ELNS1_3repE0EEENS1_30default_config_static_selectorELNS0_4arch9wavefront6targetE0EEEvT1_,comdat
	.protected	_ZN7rocprim17ROCPRIM_400000_NS6detail17trampoline_kernelINS0_14default_configENS1_27scan_by_key_config_selectorIiiEEZZNS1_16scan_by_key_implILNS1_25lookback_scan_determinismE0ELb0ES3_N6thrust23THRUST_200600_302600_NS6detail15normal_iteratorINS9_10device_ptrIiEEEENS9_18transform_iteratorINS9_6negateIiEESE_NS9_11use_defaultESI_EESE_iNS9_4plusIvEENS9_8equal_toIvEEiEE10hipError_tPvRmT2_T3_T4_T5_mT6_T7_P12ihipStream_tbENKUlT_T0_E_clISt17integral_constantIbLb0EES14_EEDaSZ_S10_EUlSZ_E_NS1_11comp_targetILNS1_3genE2ELNS1_11target_archE906ELNS1_3gpuE6ELNS1_3repE0EEENS1_30default_config_static_selectorELNS0_4arch9wavefront6targetE0EEEvT1_ ; -- Begin function _ZN7rocprim17ROCPRIM_400000_NS6detail17trampoline_kernelINS0_14default_configENS1_27scan_by_key_config_selectorIiiEEZZNS1_16scan_by_key_implILNS1_25lookback_scan_determinismE0ELb0ES3_N6thrust23THRUST_200600_302600_NS6detail15normal_iteratorINS9_10device_ptrIiEEEENS9_18transform_iteratorINS9_6negateIiEESE_NS9_11use_defaultESI_EESE_iNS9_4plusIvEENS9_8equal_toIvEEiEE10hipError_tPvRmT2_T3_T4_T5_mT6_T7_P12ihipStream_tbENKUlT_T0_E_clISt17integral_constantIbLb0EES14_EEDaSZ_S10_EUlSZ_E_NS1_11comp_targetILNS1_3genE2ELNS1_11target_archE906ELNS1_3gpuE6ELNS1_3repE0EEENS1_30default_config_static_selectorELNS0_4arch9wavefront6targetE0EEEvT1_
	.globl	_ZN7rocprim17ROCPRIM_400000_NS6detail17trampoline_kernelINS0_14default_configENS1_27scan_by_key_config_selectorIiiEEZZNS1_16scan_by_key_implILNS1_25lookback_scan_determinismE0ELb0ES3_N6thrust23THRUST_200600_302600_NS6detail15normal_iteratorINS9_10device_ptrIiEEEENS9_18transform_iteratorINS9_6negateIiEESE_NS9_11use_defaultESI_EESE_iNS9_4plusIvEENS9_8equal_toIvEEiEE10hipError_tPvRmT2_T3_T4_T5_mT6_T7_P12ihipStream_tbENKUlT_T0_E_clISt17integral_constantIbLb0EES14_EEDaSZ_S10_EUlSZ_E_NS1_11comp_targetILNS1_3genE2ELNS1_11target_archE906ELNS1_3gpuE6ELNS1_3repE0EEENS1_30default_config_static_selectorELNS0_4arch9wavefront6targetE0EEEvT1_
	.p2align	8
	.type	_ZN7rocprim17ROCPRIM_400000_NS6detail17trampoline_kernelINS0_14default_configENS1_27scan_by_key_config_selectorIiiEEZZNS1_16scan_by_key_implILNS1_25lookback_scan_determinismE0ELb0ES3_N6thrust23THRUST_200600_302600_NS6detail15normal_iteratorINS9_10device_ptrIiEEEENS9_18transform_iteratorINS9_6negateIiEESE_NS9_11use_defaultESI_EESE_iNS9_4plusIvEENS9_8equal_toIvEEiEE10hipError_tPvRmT2_T3_T4_T5_mT6_T7_P12ihipStream_tbENKUlT_T0_E_clISt17integral_constantIbLb0EES14_EEDaSZ_S10_EUlSZ_E_NS1_11comp_targetILNS1_3genE2ELNS1_11target_archE906ELNS1_3gpuE6ELNS1_3repE0EEENS1_30default_config_static_selectorELNS0_4arch9wavefront6targetE0EEEvT1_,@function
_ZN7rocprim17ROCPRIM_400000_NS6detail17trampoline_kernelINS0_14default_configENS1_27scan_by_key_config_selectorIiiEEZZNS1_16scan_by_key_implILNS1_25lookback_scan_determinismE0ELb0ES3_N6thrust23THRUST_200600_302600_NS6detail15normal_iteratorINS9_10device_ptrIiEEEENS9_18transform_iteratorINS9_6negateIiEESE_NS9_11use_defaultESI_EESE_iNS9_4plusIvEENS9_8equal_toIvEEiEE10hipError_tPvRmT2_T3_T4_T5_mT6_T7_P12ihipStream_tbENKUlT_T0_E_clISt17integral_constantIbLb0EES14_EEDaSZ_S10_EUlSZ_E_NS1_11comp_targetILNS1_3genE2ELNS1_11target_archE906ELNS1_3gpuE6ELNS1_3repE0EEENS1_30default_config_static_selectorELNS0_4arch9wavefront6targetE0EEEvT1_: ; @_ZN7rocprim17ROCPRIM_400000_NS6detail17trampoline_kernelINS0_14default_configENS1_27scan_by_key_config_selectorIiiEEZZNS1_16scan_by_key_implILNS1_25lookback_scan_determinismE0ELb0ES3_N6thrust23THRUST_200600_302600_NS6detail15normal_iteratorINS9_10device_ptrIiEEEENS9_18transform_iteratorINS9_6negateIiEESE_NS9_11use_defaultESI_EESE_iNS9_4plusIvEENS9_8equal_toIvEEiEE10hipError_tPvRmT2_T3_T4_T5_mT6_T7_P12ihipStream_tbENKUlT_T0_E_clISt17integral_constantIbLb0EES14_EEDaSZ_S10_EUlSZ_E_NS1_11comp_targetILNS1_3genE2ELNS1_11target_archE906ELNS1_3gpuE6ELNS1_3repE0EEENS1_30default_config_static_selectorELNS0_4arch9wavefront6targetE0EEEvT1_
; %bb.0:
	.section	.rodata,"a",@progbits
	.p2align	6, 0x0
	.amdhsa_kernel _ZN7rocprim17ROCPRIM_400000_NS6detail17trampoline_kernelINS0_14default_configENS1_27scan_by_key_config_selectorIiiEEZZNS1_16scan_by_key_implILNS1_25lookback_scan_determinismE0ELb0ES3_N6thrust23THRUST_200600_302600_NS6detail15normal_iteratorINS9_10device_ptrIiEEEENS9_18transform_iteratorINS9_6negateIiEESE_NS9_11use_defaultESI_EESE_iNS9_4plusIvEENS9_8equal_toIvEEiEE10hipError_tPvRmT2_T3_T4_T5_mT6_T7_P12ihipStream_tbENKUlT_T0_E_clISt17integral_constantIbLb0EES14_EEDaSZ_S10_EUlSZ_E_NS1_11comp_targetILNS1_3genE2ELNS1_11target_archE906ELNS1_3gpuE6ELNS1_3repE0EEENS1_30default_config_static_selectorELNS0_4arch9wavefront6targetE0EEEvT1_
		.amdhsa_group_segment_fixed_size 0
		.amdhsa_private_segment_fixed_size 0
		.amdhsa_kernarg_size 120
		.amdhsa_user_sgpr_count 6
		.amdhsa_user_sgpr_private_segment_buffer 1
		.amdhsa_user_sgpr_dispatch_ptr 0
		.amdhsa_user_sgpr_queue_ptr 0
		.amdhsa_user_sgpr_kernarg_segment_ptr 1
		.amdhsa_user_sgpr_dispatch_id 0
		.amdhsa_user_sgpr_flat_scratch_init 0
		.amdhsa_user_sgpr_private_segment_size 0
		.amdhsa_wavefront_size32 1
		.amdhsa_uses_dynamic_stack 0
		.amdhsa_system_sgpr_private_segment_wavefront_offset 0
		.amdhsa_system_sgpr_workgroup_id_x 1
		.amdhsa_system_sgpr_workgroup_id_y 0
		.amdhsa_system_sgpr_workgroup_id_z 0
		.amdhsa_system_sgpr_workgroup_info 0
		.amdhsa_system_vgpr_workitem_id 0
		.amdhsa_next_free_vgpr 1
		.amdhsa_next_free_sgpr 1
		.amdhsa_reserve_vcc 0
		.amdhsa_reserve_flat_scratch 0
		.amdhsa_float_round_mode_32 0
		.amdhsa_float_round_mode_16_64 0
		.amdhsa_float_denorm_mode_32 3
		.amdhsa_float_denorm_mode_16_64 3
		.amdhsa_dx10_clamp 1
		.amdhsa_ieee_mode 1
		.amdhsa_fp16_overflow 0
		.amdhsa_workgroup_processor_mode 1
		.amdhsa_memory_ordered 1
		.amdhsa_forward_progress 1
		.amdhsa_shared_vgpr_count 0
		.amdhsa_exception_fp_ieee_invalid_op 0
		.amdhsa_exception_fp_denorm_src 0
		.amdhsa_exception_fp_ieee_div_zero 0
		.amdhsa_exception_fp_ieee_overflow 0
		.amdhsa_exception_fp_ieee_underflow 0
		.amdhsa_exception_fp_ieee_inexact 0
		.amdhsa_exception_int_div_zero 0
	.end_amdhsa_kernel
	.section	.text._ZN7rocprim17ROCPRIM_400000_NS6detail17trampoline_kernelINS0_14default_configENS1_27scan_by_key_config_selectorIiiEEZZNS1_16scan_by_key_implILNS1_25lookback_scan_determinismE0ELb0ES3_N6thrust23THRUST_200600_302600_NS6detail15normal_iteratorINS9_10device_ptrIiEEEENS9_18transform_iteratorINS9_6negateIiEESE_NS9_11use_defaultESI_EESE_iNS9_4plusIvEENS9_8equal_toIvEEiEE10hipError_tPvRmT2_T3_T4_T5_mT6_T7_P12ihipStream_tbENKUlT_T0_E_clISt17integral_constantIbLb0EES14_EEDaSZ_S10_EUlSZ_E_NS1_11comp_targetILNS1_3genE2ELNS1_11target_archE906ELNS1_3gpuE6ELNS1_3repE0EEENS1_30default_config_static_selectorELNS0_4arch9wavefront6targetE0EEEvT1_,"axG",@progbits,_ZN7rocprim17ROCPRIM_400000_NS6detail17trampoline_kernelINS0_14default_configENS1_27scan_by_key_config_selectorIiiEEZZNS1_16scan_by_key_implILNS1_25lookback_scan_determinismE0ELb0ES3_N6thrust23THRUST_200600_302600_NS6detail15normal_iteratorINS9_10device_ptrIiEEEENS9_18transform_iteratorINS9_6negateIiEESE_NS9_11use_defaultESI_EESE_iNS9_4plusIvEENS9_8equal_toIvEEiEE10hipError_tPvRmT2_T3_T4_T5_mT6_T7_P12ihipStream_tbENKUlT_T0_E_clISt17integral_constantIbLb0EES14_EEDaSZ_S10_EUlSZ_E_NS1_11comp_targetILNS1_3genE2ELNS1_11target_archE906ELNS1_3gpuE6ELNS1_3repE0EEENS1_30default_config_static_selectorELNS0_4arch9wavefront6targetE0EEEvT1_,comdat
.Lfunc_end934:
	.size	_ZN7rocprim17ROCPRIM_400000_NS6detail17trampoline_kernelINS0_14default_configENS1_27scan_by_key_config_selectorIiiEEZZNS1_16scan_by_key_implILNS1_25lookback_scan_determinismE0ELb0ES3_N6thrust23THRUST_200600_302600_NS6detail15normal_iteratorINS9_10device_ptrIiEEEENS9_18transform_iteratorINS9_6negateIiEESE_NS9_11use_defaultESI_EESE_iNS9_4plusIvEENS9_8equal_toIvEEiEE10hipError_tPvRmT2_T3_T4_T5_mT6_T7_P12ihipStream_tbENKUlT_T0_E_clISt17integral_constantIbLb0EES14_EEDaSZ_S10_EUlSZ_E_NS1_11comp_targetILNS1_3genE2ELNS1_11target_archE906ELNS1_3gpuE6ELNS1_3repE0EEENS1_30default_config_static_selectorELNS0_4arch9wavefront6targetE0EEEvT1_, .Lfunc_end934-_ZN7rocprim17ROCPRIM_400000_NS6detail17trampoline_kernelINS0_14default_configENS1_27scan_by_key_config_selectorIiiEEZZNS1_16scan_by_key_implILNS1_25lookback_scan_determinismE0ELb0ES3_N6thrust23THRUST_200600_302600_NS6detail15normal_iteratorINS9_10device_ptrIiEEEENS9_18transform_iteratorINS9_6negateIiEESE_NS9_11use_defaultESI_EESE_iNS9_4plusIvEENS9_8equal_toIvEEiEE10hipError_tPvRmT2_T3_T4_T5_mT6_T7_P12ihipStream_tbENKUlT_T0_E_clISt17integral_constantIbLb0EES14_EEDaSZ_S10_EUlSZ_E_NS1_11comp_targetILNS1_3genE2ELNS1_11target_archE906ELNS1_3gpuE6ELNS1_3repE0EEENS1_30default_config_static_selectorELNS0_4arch9wavefront6targetE0EEEvT1_
                                        ; -- End function
	.set _ZN7rocprim17ROCPRIM_400000_NS6detail17trampoline_kernelINS0_14default_configENS1_27scan_by_key_config_selectorIiiEEZZNS1_16scan_by_key_implILNS1_25lookback_scan_determinismE0ELb0ES3_N6thrust23THRUST_200600_302600_NS6detail15normal_iteratorINS9_10device_ptrIiEEEENS9_18transform_iteratorINS9_6negateIiEESE_NS9_11use_defaultESI_EESE_iNS9_4plusIvEENS9_8equal_toIvEEiEE10hipError_tPvRmT2_T3_T4_T5_mT6_T7_P12ihipStream_tbENKUlT_T0_E_clISt17integral_constantIbLb0EES14_EEDaSZ_S10_EUlSZ_E_NS1_11comp_targetILNS1_3genE2ELNS1_11target_archE906ELNS1_3gpuE6ELNS1_3repE0EEENS1_30default_config_static_selectorELNS0_4arch9wavefront6targetE0EEEvT1_.num_vgpr, 0
	.set _ZN7rocprim17ROCPRIM_400000_NS6detail17trampoline_kernelINS0_14default_configENS1_27scan_by_key_config_selectorIiiEEZZNS1_16scan_by_key_implILNS1_25lookback_scan_determinismE0ELb0ES3_N6thrust23THRUST_200600_302600_NS6detail15normal_iteratorINS9_10device_ptrIiEEEENS9_18transform_iteratorINS9_6negateIiEESE_NS9_11use_defaultESI_EESE_iNS9_4plusIvEENS9_8equal_toIvEEiEE10hipError_tPvRmT2_T3_T4_T5_mT6_T7_P12ihipStream_tbENKUlT_T0_E_clISt17integral_constantIbLb0EES14_EEDaSZ_S10_EUlSZ_E_NS1_11comp_targetILNS1_3genE2ELNS1_11target_archE906ELNS1_3gpuE6ELNS1_3repE0EEENS1_30default_config_static_selectorELNS0_4arch9wavefront6targetE0EEEvT1_.num_agpr, 0
	.set _ZN7rocprim17ROCPRIM_400000_NS6detail17trampoline_kernelINS0_14default_configENS1_27scan_by_key_config_selectorIiiEEZZNS1_16scan_by_key_implILNS1_25lookback_scan_determinismE0ELb0ES3_N6thrust23THRUST_200600_302600_NS6detail15normal_iteratorINS9_10device_ptrIiEEEENS9_18transform_iteratorINS9_6negateIiEESE_NS9_11use_defaultESI_EESE_iNS9_4plusIvEENS9_8equal_toIvEEiEE10hipError_tPvRmT2_T3_T4_T5_mT6_T7_P12ihipStream_tbENKUlT_T0_E_clISt17integral_constantIbLb0EES14_EEDaSZ_S10_EUlSZ_E_NS1_11comp_targetILNS1_3genE2ELNS1_11target_archE906ELNS1_3gpuE6ELNS1_3repE0EEENS1_30default_config_static_selectorELNS0_4arch9wavefront6targetE0EEEvT1_.numbered_sgpr, 0
	.set _ZN7rocprim17ROCPRIM_400000_NS6detail17trampoline_kernelINS0_14default_configENS1_27scan_by_key_config_selectorIiiEEZZNS1_16scan_by_key_implILNS1_25lookback_scan_determinismE0ELb0ES3_N6thrust23THRUST_200600_302600_NS6detail15normal_iteratorINS9_10device_ptrIiEEEENS9_18transform_iteratorINS9_6negateIiEESE_NS9_11use_defaultESI_EESE_iNS9_4plusIvEENS9_8equal_toIvEEiEE10hipError_tPvRmT2_T3_T4_T5_mT6_T7_P12ihipStream_tbENKUlT_T0_E_clISt17integral_constantIbLb0EES14_EEDaSZ_S10_EUlSZ_E_NS1_11comp_targetILNS1_3genE2ELNS1_11target_archE906ELNS1_3gpuE6ELNS1_3repE0EEENS1_30default_config_static_selectorELNS0_4arch9wavefront6targetE0EEEvT1_.num_named_barrier, 0
	.set _ZN7rocprim17ROCPRIM_400000_NS6detail17trampoline_kernelINS0_14default_configENS1_27scan_by_key_config_selectorIiiEEZZNS1_16scan_by_key_implILNS1_25lookback_scan_determinismE0ELb0ES3_N6thrust23THRUST_200600_302600_NS6detail15normal_iteratorINS9_10device_ptrIiEEEENS9_18transform_iteratorINS9_6negateIiEESE_NS9_11use_defaultESI_EESE_iNS9_4plusIvEENS9_8equal_toIvEEiEE10hipError_tPvRmT2_T3_T4_T5_mT6_T7_P12ihipStream_tbENKUlT_T0_E_clISt17integral_constantIbLb0EES14_EEDaSZ_S10_EUlSZ_E_NS1_11comp_targetILNS1_3genE2ELNS1_11target_archE906ELNS1_3gpuE6ELNS1_3repE0EEENS1_30default_config_static_selectorELNS0_4arch9wavefront6targetE0EEEvT1_.private_seg_size, 0
	.set _ZN7rocprim17ROCPRIM_400000_NS6detail17trampoline_kernelINS0_14default_configENS1_27scan_by_key_config_selectorIiiEEZZNS1_16scan_by_key_implILNS1_25lookback_scan_determinismE0ELb0ES3_N6thrust23THRUST_200600_302600_NS6detail15normal_iteratorINS9_10device_ptrIiEEEENS9_18transform_iteratorINS9_6negateIiEESE_NS9_11use_defaultESI_EESE_iNS9_4plusIvEENS9_8equal_toIvEEiEE10hipError_tPvRmT2_T3_T4_T5_mT6_T7_P12ihipStream_tbENKUlT_T0_E_clISt17integral_constantIbLb0EES14_EEDaSZ_S10_EUlSZ_E_NS1_11comp_targetILNS1_3genE2ELNS1_11target_archE906ELNS1_3gpuE6ELNS1_3repE0EEENS1_30default_config_static_selectorELNS0_4arch9wavefront6targetE0EEEvT1_.uses_vcc, 0
	.set _ZN7rocprim17ROCPRIM_400000_NS6detail17trampoline_kernelINS0_14default_configENS1_27scan_by_key_config_selectorIiiEEZZNS1_16scan_by_key_implILNS1_25lookback_scan_determinismE0ELb0ES3_N6thrust23THRUST_200600_302600_NS6detail15normal_iteratorINS9_10device_ptrIiEEEENS9_18transform_iteratorINS9_6negateIiEESE_NS9_11use_defaultESI_EESE_iNS9_4plusIvEENS9_8equal_toIvEEiEE10hipError_tPvRmT2_T3_T4_T5_mT6_T7_P12ihipStream_tbENKUlT_T0_E_clISt17integral_constantIbLb0EES14_EEDaSZ_S10_EUlSZ_E_NS1_11comp_targetILNS1_3genE2ELNS1_11target_archE906ELNS1_3gpuE6ELNS1_3repE0EEENS1_30default_config_static_selectorELNS0_4arch9wavefront6targetE0EEEvT1_.uses_flat_scratch, 0
	.set _ZN7rocprim17ROCPRIM_400000_NS6detail17trampoline_kernelINS0_14default_configENS1_27scan_by_key_config_selectorIiiEEZZNS1_16scan_by_key_implILNS1_25lookback_scan_determinismE0ELb0ES3_N6thrust23THRUST_200600_302600_NS6detail15normal_iteratorINS9_10device_ptrIiEEEENS9_18transform_iteratorINS9_6negateIiEESE_NS9_11use_defaultESI_EESE_iNS9_4plusIvEENS9_8equal_toIvEEiEE10hipError_tPvRmT2_T3_T4_T5_mT6_T7_P12ihipStream_tbENKUlT_T0_E_clISt17integral_constantIbLb0EES14_EEDaSZ_S10_EUlSZ_E_NS1_11comp_targetILNS1_3genE2ELNS1_11target_archE906ELNS1_3gpuE6ELNS1_3repE0EEENS1_30default_config_static_selectorELNS0_4arch9wavefront6targetE0EEEvT1_.has_dyn_sized_stack, 0
	.set _ZN7rocprim17ROCPRIM_400000_NS6detail17trampoline_kernelINS0_14default_configENS1_27scan_by_key_config_selectorIiiEEZZNS1_16scan_by_key_implILNS1_25lookback_scan_determinismE0ELb0ES3_N6thrust23THRUST_200600_302600_NS6detail15normal_iteratorINS9_10device_ptrIiEEEENS9_18transform_iteratorINS9_6negateIiEESE_NS9_11use_defaultESI_EESE_iNS9_4plusIvEENS9_8equal_toIvEEiEE10hipError_tPvRmT2_T3_T4_T5_mT6_T7_P12ihipStream_tbENKUlT_T0_E_clISt17integral_constantIbLb0EES14_EEDaSZ_S10_EUlSZ_E_NS1_11comp_targetILNS1_3genE2ELNS1_11target_archE906ELNS1_3gpuE6ELNS1_3repE0EEENS1_30default_config_static_selectorELNS0_4arch9wavefront6targetE0EEEvT1_.has_recursion, 0
	.set _ZN7rocprim17ROCPRIM_400000_NS6detail17trampoline_kernelINS0_14default_configENS1_27scan_by_key_config_selectorIiiEEZZNS1_16scan_by_key_implILNS1_25lookback_scan_determinismE0ELb0ES3_N6thrust23THRUST_200600_302600_NS6detail15normal_iteratorINS9_10device_ptrIiEEEENS9_18transform_iteratorINS9_6negateIiEESE_NS9_11use_defaultESI_EESE_iNS9_4plusIvEENS9_8equal_toIvEEiEE10hipError_tPvRmT2_T3_T4_T5_mT6_T7_P12ihipStream_tbENKUlT_T0_E_clISt17integral_constantIbLb0EES14_EEDaSZ_S10_EUlSZ_E_NS1_11comp_targetILNS1_3genE2ELNS1_11target_archE906ELNS1_3gpuE6ELNS1_3repE0EEENS1_30default_config_static_selectorELNS0_4arch9wavefront6targetE0EEEvT1_.has_indirect_call, 0
	.section	.AMDGPU.csdata,"",@progbits
; Kernel info:
; codeLenInByte = 0
; TotalNumSgprs: 0
; NumVgprs: 0
; ScratchSize: 0
; MemoryBound: 0
; FloatMode: 240
; IeeeMode: 1
; LDSByteSize: 0 bytes/workgroup (compile time only)
; SGPRBlocks: 0
; VGPRBlocks: 0
; NumSGPRsForWavesPerEU: 1
; NumVGPRsForWavesPerEU: 1
; Occupancy: 16
; WaveLimiterHint : 0
; COMPUTE_PGM_RSRC2:SCRATCH_EN: 0
; COMPUTE_PGM_RSRC2:USER_SGPR: 6
; COMPUTE_PGM_RSRC2:TRAP_HANDLER: 0
; COMPUTE_PGM_RSRC2:TGID_X_EN: 1
; COMPUTE_PGM_RSRC2:TGID_Y_EN: 0
; COMPUTE_PGM_RSRC2:TGID_Z_EN: 0
; COMPUTE_PGM_RSRC2:TIDIG_COMP_CNT: 0
	.section	.text._ZN7rocprim17ROCPRIM_400000_NS6detail17trampoline_kernelINS0_14default_configENS1_27scan_by_key_config_selectorIiiEEZZNS1_16scan_by_key_implILNS1_25lookback_scan_determinismE0ELb0ES3_N6thrust23THRUST_200600_302600_NS6detail15normal_iteratorINS9_10device_ptrIiEEEENS9_18transform_iteratorINS9_6negateIiEESE_NS9_11use_defaultESI_EESE_iNS9_4plusIvEENS9_8equal_toIvEEiEE10hipError_tPvRmT2_T3_T4_T5_mT6_T7_P12ihipStream_tbENKUlT_T0_E_clISt17integral_constantIbLb0EES14_EEDaSZ_S10_EUlSZ_E_NS1_11comp_targetILNS1_3genE10ELNS1_11target_archE1200ELNS1_3gpuE4ELNS1_3repE0EEENS1_30default_config_static_selectorELNS0_4arch9wavefront6targetE0EEEvT1_,"axG",@progbits,_ZN7rocprim17ROCPRIM_400000_NS6detail17trampoline_kernelINS0_14default_configENS1_27scan_by_key_config_selectorIiiEEZZNS1_16scan_by_key_implILNS1_25lookback_scan_determinismE0ELb0ES3_N6thrust23THRUST_200600_302600_NS6detail15normal_iteratorINS9_10device_ptrIiEEEENS9_18transform_iteratorINS9_6negateIiEESE_NS9_11use_defaultESI_EESE_iNS9_4plusIvEENS9_8equal_toIvEEiEE10hipError_tPvRmT2_T3_T4_T5_mT6_T7_P12ihipStream_tbENKUlT_T0_E_clISt17integral_constantIbLb0EES14_EEDaSZ_S10_EUlSZ_E_NS1_11comp_targetILNS1_3genE10ELNS1_11target_archE1200ELNS1_3gpuE4ELNS1_3repE0EEENS1_30default_config_static_selectorELNS0_4arch9wavefront6targetE0EEEvT1_,comdat
	.protected	_ZN7rocprim17ROCPRIM_400000_NS6detail17trampoline_kernelINS0_14default_configENS1_27scan_by_key_config_selectorIiiEEZZNS1_16scan_by_key_implILNS1_25lookback_scan_determinismE0ELb0ES3_N6thrust23THRUST_200600_302600_NS6detail15normal_iteratorINS9_10device_ptrIiEEEENS9_18transform_iteratorINS9_6negateIiEESE_NS9_11use_defaultESI_EESE_iNS9_4plusIvEENS9_8equal_toIvEEiEE10hipError_tPvRmT2_T3_T4_T5_mT6_T7_P12ihipStream_tbENKUlT_T0_E_clISt17integral_constantIbLb0EES14_EEDaSZ_S10_EUlSZ_E_NS1_11comp_targetILNS1_3genE10ELNS1_11target_archE1200ELNS1_3gpuE4ELNS1_3repE0EEENS1_30default_config_static_selectorELNS0_4arch9wavefront6targetE0EEEvT1_ ; -- Begin function _ZN7rocprim17ROCPRIM_400000_NS6detail17trampoline_kernelINS0_14default_configENS1_27scan_by_key_config_selectorIiiEEZZNS1_16scan_by_key_implILNS1_25lookback_scan_determinismE0ELb0ES3_N6thrust23THRUST_200600_302600_NS6detail15normal_iteratorINS9_10device_ptrIiEEEENS9_18transform_iteratorINS9_6negateIiEESE_NS9_11use_defaultESI_EESE_iNS9_4plusIvEENS9_8equal_toIvEEiEE10hipError_tPvRmT2_T3_T4_T5_mT6_T7_P12ihipStream_tbENKUlT_T0_E_clISt17integral_constantIbLb0EES14_EEDaSZ_S10_EUlSZ_E_NS1_11comp_targetILNS1_3genE10ELNS1_11target_archE1200ELNS1_3gpuE4ELNS1_3repE0EEENS1_30default_config_static_selectorELNS0_4arch9wavefront6targetE0EEEvT1_
	.globl	_ZN7rocprim17ROCPRIM_400000_NS6detail17trampoline_kernelINS0_14default_configENS1_27scan_by_key_config_selectorIiiEEZZNS1_16scan_by_key_implILNS1_25lookback_scan_determinismE0ELb0ES3_N6thrust23THRUST_200600_302600_NS6detail15normal_iteratorINS9_10device_ptrIiEEEENS9_18transform_iteratorINS9_6negateIiEESE_NS9_11use_defaultESI_EESE_iNS9_4plusIvEENS9_8equal_toIvEEiEE10hipError_tPvRmT2_T3_T4_T5_mT6_T7_P12ihipStream_tbENKUlT_T0_E_clISt17integral_constantIbLb0EES14_EEDaSZ_S10_EUlSZ_E_NS1_11comp_targetILNS1_3genE10ELNS1_11target_archE1200ELNS1_3gpuE4ELNS1_3repE0EEENS1_30default_config_static_selectorELNS0_4arch9wavefront6targetE0EEEvT1_
	.p2align	8
	.type	_ZN7rocprim17ROCPRIM_400000_NS6detail17trampoline_kernelINS0_14default_configENS1_27scan_by_key_config_selectorIiiEEZZNS1_16scan_by_key_implILNS1_25lookback_scan_determinismE0ELb0ES3_N6thrust23THRUST_200600_302600_NS6detail15normal_iteratorINS9_10device_ptrIiEEEENS9_18transform_iteratorINS9_6negateIiEESE_NS9_11use_defaultESI_EESE_iNS9_4plusIvEENS9_8equal_toIvEEiEE10hipError_tPvRmT2_T3_T4_T5_mT6_T7_P12ihipStream_tbENKUlT_T0_E_clISt17integral_constantIbLb0EES14_EEDaSZ_S10_EUlSZ_E_NS1_11comp_targetILNS1_3genE10ELNS1_11target_archE1200ELNS1_3gpuE4ELNS1_3repE0EEENS1_30default_config_static_selectorELNS0_4arch9wavefront6targetE0EEEvT1_,@function
_ZN7rocprim17ROCPRIM_400000_NS6detail17trampoline_kernelINS0_14default_configENS1_27scan_by_key_config_selectorIiiEEZZNS1_16scan_by_key_implILNS1_25lookback_scan_determinismE0ELb0ES3_N6thrust23THRUST_200600_302600_NS6detail15normal_iteratorINS9_10device_ptrIiEEEENS9_18transform_iteratorINS9_6negateIiEESE_NS9_11use_defaultESI_EESE_iNS9_4plusIvEENS9_8equal_toIvEEiEE10hipError_tPvRmT2_T3_T4_T5_mT6_T7_P12ihipStream_tbENKUlT_T0_E_clISt17integral_constantIbLb0EES14_EEDaSZ_S10_EUlSZ_E_NS1_11comp_targetILNS1_3genE10ELNS1_11target_archE1200ELNS1_3gpuE4ELNS1_3repE0EEENS1_30default_config_static_selectorELNS0_4arch9wavefront6targetE0EEEvT1_: ; @_ZN7rocprim17ROCPRIM_400000_NS6detail17trampoline_kernelINS0_14default_configENS1_27scan_by_key_config_selectorIiiEEZZNS1_16scan_by_key_implILNS1_25lookback_scan_determinismE0ELb0ES3_N6thrust23THRUST_200600_302600_NS6detail15normal_iteratorINS9_10device_ptrIiEEEENS9_18transform_iteratorINS9_6negateIiEESE_NS9_11use_defaultESI_EESE_iNS9_4plusIvEENS9_8equal_toIvEEiEE10hipError_tPvRmT2_T3_T4_T5_mT6_T7_P12ihipStream_tbENKUlT_T0_E_clISt17integral_constantIbLb0EES14_EEDaSZ_S10_EUlSZ_E_NS1_11comp_targetILNS1_3genE10ELNS1_11target_archE1200ELNS1_3gpuE4ELNS1_3repE0EEENS1_30default_config_static_selectorELNS0_4arch9wavefront6targetE0EEEvT1_
; %bb.0:
	.section	.rodata,"a",@progbits
	.p2align	6, 0x0
	.amdhsa_kernel _ZN7rocprim17ROCPRIM_400000_NS6detail17trampoline_kernelINS0_14default_configENS1_27scan_by_key_config_selectorIiiEEZZNS1_16scan_by_key_implILNS1_25lookback_scan_determinismE0ELb0ES3_N6thrust23THRUST_200600_302600_NS6detail15normal_iteratorINS9_10device_ptrIiEEEENS9_18transform_iteratorINS9_6negateIiEESE_NS9_11use_defaultESI_EESE_iNS9_4plusIvEENS9_8equal_toIvEEiEE10hipError_tPvRmT2_T3_T4_T5_mT6_T7_P12ihipStream_tbENKUlT_T0_E_clISt17integral_constantIbLb0EES14_EEDaSZ_S10_EUlSZ_E_NS1_11comp_targetILNS1_3genE10ELNS1_11target_archE1200ELNS1_3gpuE4ELNS1_3repE0EEENS1_30default_config_static_selectorELNS0_4arch9wavefront6targetE0EEEvT1_
		.amdhsa_group_segment_fixed_size 0
		.amdhsa_private_segment_fixed_size 0
		.amdhsa_kernarg_size 120
		.amdhsa_user_sgpr_count 6
		.amdhsa_user_sgpr_private_segment_buffer 1
		.amdhsa_user_sgpr_dispatch_ptr 0
		.amdhsa_user_sgpr_queue_ptr 0
		.amdhsa_user_sgpr_kernarg_segment_ptr 1
		.amdhsa_user_sgpr_dispatch_id 0
		.amdhsa_user_sgpr_flat_scratch_init 0
		.amdhsa_user_sgpr_private_segment_size 0
		.amdhsa_wavefront_size32 1
		.amdhsa_uses_dynamic_stack 0
		.amdhsa_system_sgpr_private_segment_wavefront_offset 0
		.amdhsa_system_sgpr_workgroup_id_x 1
		.amdhsa_system_sgpr_workgroup_id_y 0
		.amdhsa_system_sgpr_workgroup_id_z 0
		.amdhsa_system_sgpr_workgroup_info 0
		.amdhsa_system_vgpr_workitem_id 0
		.amdhsa_next_free_vgpr 1
		.amdhsa_next_free_sgpr 1
		.amdhsa_reserve_vcc 0
		.amdhsa_reserve_flat_scratch 0
		.amdhsa_float_round_mode_32 0
		.amdhsa_float_round_mode_16_64 0
		.amdhsa_float_denorm_mode_32 3
		.amdhsa_float_denorm_mode_16_64 3
		.amdhsa_dx10_clamp 1
		.amdhsa_ieee_mode 1
		.amdhsa_fp16_overflow 0
		.amdhsa_workgroup_processor_mode 1
		.amdhsa_memory_ordered 1
		.amdhsa_forward_progress 1
		.amdhsa_shared_vgpr_count 0
		.amdhsa_exception_fp_ieee_invalid_op 0
		.amdhsa_exception_fp_denorm_src 0
		.amdhsa_exception_fp_ieee_div_zero 0
		.amdhsa_exception_fp_ieee_overflow 0
		.amdhsa_exception_fp_ieee_underflow 0
		.amdhsa_exception_fp_ieee_inexact 0
		.amdhsa_exception_int_div_zero 0
	.end_amdhsa_kernel
	.section	.text._ZN7rocprim17ROCPRIM_400000_NS6detail17trampoline_kernelINS0_14default_configENS1_27scan_by_key_config_selectorIiiEEZZNS1_16scan_by_key_implILNS1_25lookback_scan_determinismE0ELb0ES3_N6thrust23THRUST_200600_302600_NS6detail15normal_iteratorINS9_10device_ptrIiEEEENS9_18transform_iteratorINS9_6negateIiEESE_NS9_11use_defaultESI_EESE_iNS9_4plusIvEENS9_8equal_toIvEEiEE10hipError_tPvRmT2_T3_T4_T5_mT6_T7_P12ihipStream_tbENKUlT_T0_E_clISt17integral_constantIbLb0EES14_EEDaSZ_S10_EUlSZ_E_NS1_11comp_targetILNS1_3genE10ELNS1_11target_archE1200ELNS1_3gpuE4ELNS1_3repE0EEENS1_30default_config_static_selectorELNS0_4arch9wavefront6targetE0EEEvT1_,"axG",@progbits,_ZN7rocprim17ROCPRIM_400000_NS6detail17trampoline_kernelINS0_14default_configENS1_27scan_by_key_config_selectorIiiEEZZNS1_16scan_by_key_implILNS1_25lookback_scan_determinismE0ELb0ES3_N6thrust23THRUST_200600_302600_NS6detail15normal_iteratorINS9_10device_ptrIiEEEENS9_18transform_iteratorINS9_6negateIiEESE_NS9_11use_defaultESI_EESE_iNS9_4plusIvEENS9_8equal_toIvEEiEE10hipError_tPvRmT2_T3_T4_T5_mT6_T7_P12ihipStream_tbENKUlT_T0_E_clISt17integral_constantIbLb0EES14_EEDaSZ_S10_EUlSZ_E_NS1_11comp_targetILNS1_3genE10ELNS1_11target_archE1200ELNS1_3gpuE4ELNS1_3repE0EEENS1_30default_config_static_selectorELNS0_4arch9wavefront6targetE0EEEvT1_,comdat
.Lfunc_end935:
	.size	_ZN7rocprim17ROCPRIM_400000_NS6detail17trampoline_kernelINS0_14default_configENS1_27scan_by_key_config_selectorIiiEEZZNS1_16scan_by_key_implILNS1_25lookback_scan_determinismE0ELb0ES3_N6thrust23THRUST_200600_302600_NS6detail15normal_iteratorINS9_10device_ptrIiEEEENS9_18transform_iteratorINS9_6negateIiEESE_NS9_11use_defaultESI_EESE_iNS9_4plusIvEENS9_8equal_toIvEEiEE10hipError_tPvRmT2_T3_T4_T5_mT6_T7_P12ihipStream_tbENKUlT_T0_E_clISt17integral_constantIbLb0EES14_EEDaSZ_S10_EUlSZ_E_NS1_11comp_targetILNS1_3genE10ELNS1_11target_archE1200ELNS1_3gpuE4ELNS1_3repE0EEENS1_30default_config_static_selectorELNS0_4arch9wavefront6targetE0EEEvT1_, .Lfunc_end935-_ZN7rocprim17ROCPRIM_400000_NS6detail17trampoline_kernelINS0_14default_configENS1_27scan_by_key_config_selectorIiiEEZZNS1_16scan_by_key_implILNS1_25lookback_scan_determinismE0ELb0ES3_N6thrust23THRUST_200600_302600_NS6detail15normal_iteratorINS9_10device_ptrIiEEEENS9_18transform_iteratorINS9_6negateIiEESE_NS9_11use_defaultESI_EESE_iNS9_4plusIvEENS9_8equal_toIvEEiEE10hipError_tPvRmT2_T3_T4_T5_mT6_T7_P12ihipStream_tbENKUlT_T0_E_clISt17integral_constantIbLb0EES14_EEDaSZ_S10_EUlSZ_E_NS1_11comp_targetILNS1_3genE10ELNS1_11target_archE1200ELNS1_3gpuE4ELNS1_3repE0EEENS1_30default_config_static_selectorELNS0_4arch9wavefront6targetE0EEEvT1_
                                        ; -- End function
	.set _ZN7rocprim17ROCPRIM_400000_NS6detail17trampoline_kernelINS0_14default_configENS1_27scan_by_key_config_selectorIiiEEZZNS1_16scan_by_key_implILNS1_25lookback_scan_determinismE0ELb0ES3_N6thrust23THRUST_200600_302600_NS6detail15normal_iteratorINS9_10device_ptrIiEEEENS9_18transform_iteratorINS9_6negateIiEESE_NS9_11use_defaultESI_EESE_iNS9_4plusIvEENS9_8equal_toIvEEiEE10hipError_tPvRmT2_T3_T4_T5_mT6_T7_P12ihipStream_tbENKUlT_T0_E_clISt17integral_constantIbLb0EES14_EEDaSZ_S10_EUlSZ_E_NS1_11comp_targetILNS1_3genE10ELNS1_11target_archE1200ELNS1_3gpuE4ELNS1_3repE0EEENS1_30default_config_static_selectorELNS0_4arch9wavefront6targetE0EEEvT1_.num_vgpr, 0
	.set _ZN7rocprim17ROCPRIM_400000_NS6detail17trampoline_kernelINS0_14default_configENS1_27scan_by_key_config_selectorIiiEEZZNS1_16scan_by_key_implILNS1_25lookback_scan_determinismE0ELb0ES3_N6thrust23THRUST_200600_302600_NS6detail15normal_iteratorINS9_10device_ptrIiEEEENS9_18transform_iteratorINS9_6negateIiEESE_NS9_11use_defaultESI_EESE_iNS9_4plusIvEENS9_8equal_toIvEEiEE10hipError_tPvRmT2_T3_T4_T5_mT6_T7_P12ihipStream_tbENKUlT_T0_E_clISt17integral_constantIbLb0EES14_EEDaSZ_S10_EUlSZ_E_NS1_11comp_targetILNS1_3genE10ELNS1_11target_archE1200ELNS1_3gpuE4ELNS1_3repE0EEENS1_30default_config_static_selectorELNS0_4arch9wavefront6targetE0EEEvT1_.num_agpr, 0
	.set _ZN7rocprim17ROCPRIM_400000_NS6detail17trampoline_kernelINS0_14default_configENS1_27scan_by_key_config_selectorIiiEEZZNS1_16scan_by_key_implILNS1_25lookback_scan_determinismE0ELb0ES3_N6thrust23THRUST_200600_302600_NS6detail15normal_iteratorINS9_10device_ptrIiEEEENS9_18transform_iteratorINS9_6negateIiEESE_NS9_11use_defaultESI_EESE_iNS9_4plusIvEENS9_8equal_toIvEEiEE10hipError_tPvRmT2_T3_T4_T5_mT6_T7_P12ihipStream_tbENKUlT_T0_E_clISt17integral_constantIbLb0EES14_EEDaSZ_S10_EUlSZ_E_NS1_11comp_targetILNS1_3genE10ELNS1_11target_archE1200ELNS1_3gpuE4ELNS1_3repE0EEENS1_30default_config_static_selectorELNS0_4arch9wavefront6targetE0EEEvT1_.numbered_sgpr, 0
	.set _ZN7rocprim17ROCPRIM_400000_NS6detail17trampoline_kernelINS0_14default_configENS1_27scan_by_key_config_selectorIiiEEZZNS1_16scan_by_key_implILNS1_25lookback_scan_determinismE0ELb0ES3_N6thrust23THRUST_200600_302600_NS6detail15normal_iteratorINS9_10device_ptrIiEEEENS9_18transform_iteratorINS9_6negateIiEESE_NS9_11use_defaultESI_EESE_iNS9_4plusIvEENS9_8equal_toIvEEiEE10hipError_tPvRmT2_T3_T4_T5_mT6_T7_P12ihipStream_tbENKUlT_T0_E_clISt17integral_constantIbLb0EES14_EEDaSZ_S10_EUlSZ_E_NS1_11comp_targetILNS1_3genE10ELNS1_11target_archE1200ELNS1_3gpuE4ELNS1_3repE0EEENS1_30default_config_static_selectorELNS0_4arch9wavefront6targetE0EEEvT1_.num_named_barrier, 0
	.set _ZN7rocprim17ROCPRIM_400000_NS6detail17trampoline_kernelINS0_14default_configENS1_27scan_by_key_config_selectorIiiEEZZNS1_16scan_by_key_implILNS1_25lookback_scan_determinismE0ELb0ES3_N6thrust23THRUST_200600_302600_NS6detail15normal_iteratorINS9_10device_ptrIiEEEENS9_18transform_iteratorINS9_6negateIiEESE_NS9_11use_defaultESI_EESE_iNS9_4plusIvEENS9_8equal_toIvEEiEE10hipError_tPvRmT2_T3_T4_T5_mT6_T7_P12ihipStream_tbENKUlT_T0_E_clISt17integral_constantIbLb0EES14_EEDaSZ_S10_EUlSZ_E_NS1_11comp_targetILNS1_3genE10ELNS1_11target_archE1200ELNS1_3gpuE4ELNS1_3repE0EEENS1_30default_config_static_selectorELNS0_4arch9wavefront6targetE0EEEvT1_.private_seg_size, 0
	.set _ZN7rocprim17ROCPRIM_400000_NS6detail17trampoline_kernelINS0_14default_configENS1_27scan_by_key_config_selectorIiiEEZZNS1_16scan_by_key_implILNS1_25lookback_scan_determinismE0ELb0ES3_N6thrust23THRUST_200600_302600_NS6detail15normal_iteratorINS9_10device_ptrIiEEEENS9_18transform_iteratorINS9_6negateIiEESE_NS9_11use_defaultESI_EESE_iNS9_4plusIvEENS9_8equal_toIvEEiEE10hipError_tPvRmT2_T3_T4_T5_mT6_T7_P12ihipStream_tbENKUlT_T0_E_clISt17integral_constantIbLb0EES14_EEDaSZ_S10_EUlSZ_E_NS1_11comp_targetILNS1_3genE10ELNS1_11target_archE1200ELNS1_3gpuE4ELNS1_3repE0EEENS1_30default_config_static_selectorELNS0_4arch9wavefront6targetE0EEEvT1_.uses_vcc, 0
	.set _ZN7rocprim17ROCPRIM_400000_NS6detail17trampoline_kernelINS0_14default_configENS1_27scan_by_key_config_selectorIiiEEZZNS1_16scan_by_key_implILNS1_25lookback_scan_determinismE0ELb0ES3_N6thrust23THRUST_200600_302600_NS6detail15normal_iteratorINS9_10device_ptrIiEEEENS9_18transform_iteratorINS9_6negateIiEESE_NS9_11use_defaultESI_EESE_iNS9_4plusIvEENS9_8equal_toIvEEiEE10hipError_tPvRmT2_T3_T4_T5_mT6_T7_P12ihipStream_tbENKUlT_T0_E_clISt17integral_constantIbLb0EES14_EEDaSZ_S10_EUlSZ_E_NS1_11comp_targetILNS1_3genE10ELNS1_11target_archE1200ELNS1_3gpuE4ELNS1_3repE0EEENS1_30default_config_static_selectorELNS0_4arch9wavefront6targetE0EEEvT1_.uses_flat_scratch, 0
	.set _ZN7rocprim17ROCPRIM_400000_NS6detail17trampoline_kernelINS0_14default_configENS1_27scan_by_key_config_selectorIiiEEZZNS1_16scan_by_key_implILNS1_25lookback_scan_determinismE0ELb0ES3_N6thrust23THRUST_200600_302600_NS6detail15normal_iteratorINS9_10device_ptrIiEEEENS9_18transform_iteratorINS9_6negateIiEESE_NS9_11use_defaultESI_EESE_iNS9_4plusIvEENS9_8equal_toIvEEiEE10hipError_tPvRmT2_T3_T4_T5_mT6_T7_P12ihipStream_tbENKUlT_T0_E_clISt17integral_constantIbLb0EES14_EEDaSZ_S10_EUlSZ_E_NS1_11comp_targetILNS1_3genE10ELNS1_11target_archE1200ELNS1_3gpuE4ELNS1_3repE0EEENS1_30default_config_static_selectorELNS0_4arch9wavefront6targetE0EEEvT1_.has_dyn_sized_stack, 0
	.set _ZN7rocprim17ROCPRIM_400000_NS6detail17trampoline_kernelINS0_14default_configENS1_27scan_by_key_config_selectorIiiEEZZNS1_16scan_by_key_implILNS1_25lookback_scan_determinismE0ELb0ES3_N6thrust23THRUST_200600_302600_NS6detail15normal_iteratorINS9_10device_ptrIiEEEENS9_18transform_iteratorINS9_6negateIiEESE_NS9_11use_defaultESI_EESE_iNS9_4plusIvEENS9_8equal_toIvEEiEE10hipError_tPvRmT2_T3_T4_T5_mT6_T7_P12ihipStream_tbENKUlT_T0_E_clISt17integral_constantIbLb0EES14_EEDaSZ_S10_EUlSZ_E_NS1_11comp_targetILNS1_3genE10ELNS1_11target_archE1200ELNS1_3gpuE4ELNS1_3repE0EEENS1_30default_config_static_selectorELNS0_4arch9wavefront6targetE0EEEvT1_.has_recursion, 0
	.set _ZN7rocprim17ROCPRIM_400000_NS6detail17trampoline_kernelINS0_14default_configENS1_27scan_by_key_config_selectorIiiEEZZNS1_16scan_by_key_implILNS1_25lookback_scan_determinismE0ELb0ES3_N6thrust23THRUST_200600_302600_NS6detail15normal_iteratorINS9_10device_ptrIiEEEENS9_18transform_iteratorINS9_6negateIiEESE_NS9_11use_defaultESI_EESE_iNS9_4plusIvEENS9_8equal_toIvEEiEE10hipError_tPvRmT2_T3_T4_T5_mT6_T7_P12ihipStream_tbENKUlT_T0_E_clISt17integral_constantIbLb0EES14_EEDaSZ_S10_EUlSZ_E_NS1_11comp_targetILNS1_3genE10ELNS1_11target_archE1200ELNS1_3gpuE4ELNS1_3repE0EEENS1_30default_config_static_selectorELNS0_4arch9wavefront6targetE0EEEvT1_.has_indirect_call, 0
	.section	.AMDGPU.csdata,"",@progbits
; Kernel info:
; codeLenInByte = 0
; TotalNumSgprs: 0
; NumVgprs: 0
; ScratchSize: 0
; MemoryBound: 0
; FloatMode: 240
; IeeeMode: 1
; LDSByteSize: 0 bytes/workgroup (compile time only)
; SGPRBlocks: 0
; VGPRBlocks: 0
; NumSGPRsForWavesPerEU: 1
; NumVGPRsForWavesPerEU: 1
; Occupancy: 16
; WaveLimiterHint : 0
; COMPUTE_PGM_RSRC2:SCRATCH_EN: 0
; COMPUTE_PGM_RSRC2:USER_SGPR: 6
; COMPUTE_PGM_RSRC2:TRAP_HANDLER: 0
; COMPUTE_PGM_RSRC2:TGID_X_EN: 1
; COMPUTE_PGM_RSRC2:TGID_Y_EN: 0
; COMPUTE_PGM_RSRC2:TGID_Z_EN: 0
; COMPUTE_PGM_RSRC2:TIDIG_COMP_CNT: 0
	.section	.text._ZN7rocprim17ROCPRIM_400000_NS6detail17trampoline_kernelINS0_14default_configENS1_27scan_by_key_config_selectorIiiEEZZNS1_16scan_by_key_implILNS1_25lookback_scan_determinismE0ELb0ES3_N6thrust23THRUST_200600_302600_NS6detail15normal_iteratorINS9_10device_ptrIiEEEENS9_18transform_iteratorINS9_6negateIiEESE_NS9_11use_defaultESI_EESE_iNS9_4plusIvEENS9_8equal_toIvEEiEE10hipError_tPvRmT2_T3_T4_T5_mT6_T7_P12ihipStream_tbENKUlT_T0_E_clISt17integral_constantIbLb0EES14_EEDaSZ_S10_EUlSZ_E_NS1_11comp_targetILNS1_3genE9ELNS1_11target_archE1100ELNS1_3gpuE3ELNS1_3repE0EEENS1_30default_config_static_selectorELNS0_4arch9wavefront6targetE0EEEvT1_,"axG",@progbits,_ZN7rocprim17ROCPRIM_400000_NS6detail17trampoline_kernelINS0_14default_configENS1_27scan_by_key_config_selectorIiiEEZZNS1_16scan_by_key_implILNS1_25lookback_scan_determinismE0ELb0ES3_N6thrust23THRUST_200600_302600_NS6detail15normal_iteratorINS9_10device_ptrIiEEEENS9_18transform_iteratorINS9_6negateIiEESE_NS9_11use_defaultESI_EESE_iNS9_4plusIvEENS9_8equal_toIvEEiEE10hipError_tPvRmT2_T3_T4_T5_mT6_T7_P12ihipStream_tbENKUlT_T0_E_clISt17integral_constantIbLb0EES14_EEDaSZ_S10_EUlSZ_E_NS1_11comp_targetILNS1_3genE9ELNS1_11target_archE1100ELNS1_3gpuE3ELNS1_3repE0EEENS1_30default_config_static_selectorELNS0_4arch9wavefront6targetE0EEEvT1_,comdat
	.protected	_ZN7rocprim17ROCPRIM_400000_NS6detail17trampoline_kernelINS0_14default_configENS1_27scan_by_key_config_selectorIiiEEZZNS1_16scan_by_key_implILNS1_25lookback_scan_determinismE0ELb0ES3_N6thrust23THRUST_200600_302600_NS6detail15normal_iteratorINS9_10device_ptrIiEEEENS9_18transform_iteratorINS9_6negateIiEESE_NS9_11use_defaultESI_EESE_iNS9_4plusIvEENS9_8equal_toIvEEiEE10hipError_tPvRmT2_T3_T4_T5_mT6_T7_P12ihipStream_tbENKUlT_T0_E_clISt17integral_constantIbLb0EES14_EEDaSZ_S10_EUlSZ_E_NS1_11comp_targetILNS1_3genE9ELNS1_11target_archE1100ELNS1_3gpuE3ELNS1_3repE0EEENS1_30default_config_static_selectorELNS0_4arch9wavefront6targetE0EEEvT1_ ; -- Begin function _ZN7rocprim17ROCPRIM_400000_NS6detail17trampoline_kernelINS0_14default_configENS1_27scan_by_key_config_selectorIiiEEZZNS1_16scan_by_key_implILNS1_25lookback_scan_determinismE0ELb0ES3_N6thrust23THRUST_200600_302600_NS6detail15normal_iteratorINS9_10device_ptrIiEEEENS9_18transform_iteratorINS9_6negateIiEESE_NS9_11use_defaultESI_EESE_iNS9_4plusIvEENS9_8equal_toIvEEiEE10hipError_tPvRmT2_T3_T4_T5_mT6_T7_P12ihipStream_tbENKUlT_T0_E_clISt17integral_constantIbLb0EES14_EEDaSZ_S10_EUlSZ_E_NS1_11comp_targetILNS1_3genE9ELNS1_11target_archE1100ELNS1_3gpuE3ELNS1_3repE0EEENS1_30default_config_static_selectorELNS0_4arch9wavefront6targetE0EEEvT1_
	.globl	_ZN7rocprim17ROCPRIM_400000_NS6detail17trampoline_kernelINS0_14default_configENS1_27scan_by_key_config_selectorIiiEEZZNS1_16scan_by_key_implILNS1_25lookback_scan_determinismE0ELb0ES3_N6thrust23THRUST_200600_302600_NS6detail15normal_iteratorINS9_10device_ptrIiEEEENS9_18transform_iteratorINS9_6negateIiEESE_NS9_11use_defaultESI_EESE_iNS9_4plusIvEENS9_8equal_toIvEEiEE10hipError_tPvRmT2_T3_T4_T5_mT6_T7_P12ihipStream_tbENKUlT_T0_E_clISt17integral_constantIbLb0EES14_EEDaSZ_S10_EUlSZ_E_NS1_11comp_targetILNS1_3genE9ELNS1_11target_archE1100ELNS1_3gpuE3ELNS1_3repE0EEENS1_30default_config_static_selectorELNS0_4arch9wavefront6targetE0EEEvT1_
	.p2align	8
	.type	_ZN7rocprim17ROCPRIM_400000_NS6detail17trampoline_kernelINS0_14default_configENS1_27scan_by_key_config_selectorIiiEEZZNS1_16scan_by_key_implILNS1_25lookback_scan_determinismE0ELb0ES3_N6thrust23THRUST_200600_302600_NS6detail15normal_iteratorINS9_10device_ptrIiEEEENS9_18transform_iteratorINS9_6negateIiEESE_NS9_11use_defaultESI_EESE_iNS9_4plusIvEENS9_8equal_toIvEEiEE10hipError_tPvRmT2_T3_T4_T5_mT6_T7_P12ihipStream_tbENKUlT_T0_E_clISt17integral_constantIbLb0EES14_EEDaSZ_S10_EUlSZ_E_NS1_11comp_targetILNS1_3genE9ELNS1_11target_archE1100ELNS1_3gpuE3ELNS1_3repE0EEENS1_30default_config_static_selectorELNS0_4arch9wavefront6targetE0EEEvT1_,@function
_ZN7rocprim17ROCPRIM_400000_NS6detail17trampoline_kernelINS0_14default_configENS1_27scan_by_key_config_selectorIiiEEZZNS1_16scan_by_key_implILNS1_25lookback_scan_determinismE0ELb0ES3_N6thrust23THRUST_200600_302600_NS6detail15normal_iteratorINS9_10device_ptrIiEEEENS9_18transform_iteratorINS9_6negateIiEESE_NS9_11use_defaultESI_EESE_iNS9_4plusIvEENS9_8equal_toIvEEiEE10hipError_tPvRmT2_T3_T4_T5_mT6_T7_P12ihipStream_tbENKUlT_T0_E_clISt17integral_constantIbLb0EES14_EEDaSZ_S10_EUlSZ_E_NS1_11comp_targetILNS1_3genE9ELNS1_11target_archE1100ELNS1_3gpuE3ELNS1_3repE0EEENS1_30default_config_static_selectorELNS0_4arch9wavefront6targetE0EEEvT1_: ; @_ZN7rocprim17ROCPRIM_400000_NS6detail17trampoline_kernelINS0_14default_configENS1_27scan_by_key_config_selectorIiiEEZZNS1_16scan_by_key_implILNS1_25lookback_scan_determinismE0ELb0ES3_N6thrust23THRUST_200600_302600_NS6detail15normal_iteratorINS9_10device_ptrIiEEEENS9_18transform_iteratorINS9_6negateIiEESE_NS9_11use_defaultESI_EESE_iNS9_4plusIvEENS9_8equal_toIvEEiEE10hipError_tPvRmT2_T3_T4_T5_mT6_T7_P12ihipStream_tbENKUlT_T0_E_clISt17integral_constantIbLb0EES14_EEDaSZ_S10_EUlSZ_E_NS1_11comp_targetILNS1_3genE9ELNS1_11target_archE1100ELNS1_3gpuE3ELNS1_3repE0EEENS1_30default_config_static_selectorELNS0_4arch9wavefront6targetE0EEEvT1_
; %bb.0:
	.section	.rodata,"a",@progbits
	.p2align	6, 0x0
	.amdhsa_kernel _ZN7rocprim17ROCPRIM_400000_NS6detail17trampoline_kernelINS0_14default_configENS1_27scan_by_key_config_selectorIiiEEZZNS1_16scan_by_key_implILNS1_25lookback_scan_determinismE0ELb0ES3_N6thrust23THRUST_200600_302600_NS6detail15normal_iteratorINS9_10device_ptrIiEEEENS9_18transform_iteratorINS9_6negateIiEESE_NS9_11use_defaultESI_EESE_iNS9_4plusIvEENS9_8equal_toIvEEiEE10hipError_tPvRmT2_T3_T4_T5_mT6_T7_P12ihipStream_tbENKUlT_T0_E_clISt17integral_constantIbLb0EES14_EEDaSZ_S10_EUlSZ_E_NS1_11comp_targetILNS1_3genE9ELNS1_11target_archE1100ELNS1_3gpuE3ELNS1_3repE0EEENS1_30default_config_static_selectorELNS0_4arch9wavefront6targetE0EEEvT1_
		.amdhsa_group_segment_fixed_size 0
		.amdhsa_private_segment_fixed_size 0
		.amdhsa_kernarg_size 120
		.amdhsa_user_sgpr_count 6
		.amdhsa_user_sgpr_private_segment_buffer 1
		.amdhsa_user_sgpr_dispatch_ptr 0
		.amdhsa_user_sgpr_queue_ptr 0
		.amdhsa_user_sgpr_kernarg_segment_ptr 1
		.amdhsa_user_sgpr_dispatch_id 0
		.amdhsa_user_sgpr_flat_scratch_init 0
		.amdhsa_user_sgpr_private_segment_size 0
		.amdhsa_wavefront_size32 1
		.amdhsa_uses_dynamic_stack 0
		.amdhsa_system_sgpr_private_segment_wavefront_offset 0
		.amdhsa_system_sgpr_workgroup_id_x 1
		.amdhsa_system_sgpr_workgroup_id_y 0
		.amdhsa_system_sgpr_workgroup_id_z 0
		.amdhsa_system_sgpr_workgroup_info 0
		.amdhsa_system_vgpr_workitem_id 0
		.amdhsa_next_free_vgpr 1
		.amdhsa_next_free_sgpr 1
		.amdhsa_reserve_vcc 0
		.amdhsa_reserve_flat_scratch 0
		.amdhsa_float_round_mode_32 0
		.amdhsa_float_round_mode_16_64 0
		.amdhsa_float_denorm_mode_32 3
		.amdhsa_float_denorm_mode_16_64 3
		.amdhsa_dx10_clamp 1
		.amdhsa_ieee_mode 1
		.amdhsa_fp16_overflow 0
		.amdhsa_workgroup_processor_mode 1
		.amdhsa_memory_ordered 1
		.amdhsa_forward_progress 1
		.amdhsa_shared_vgpr_count 0
		.amdhsa_exception_fp_ieee_invalid_op 0
		.amdhsa_exception_fp_denorm_src 0
		.amdhsa_exception_fp_ieee_div_zero 0
		.amdhsa_exception_fp_ieee_overflow 0
		.amdhsa_exception_fp_ieee_underflow 0
		.amdhsa_exception_fp_ieee_inexact 0
		.amdhsa_exception_int_div_zero 0
	.end_amdhsa_kernel
	.section	.text._ZN7rocprim17ROCPRIM_400000_NS6detail17trampoline_kernelINS0_14default_configENS1_27scan_by_key_config_selectorIiiEEZZNS1_16scan_by_key_implILNS1_25lookback_scan_determinismE0ELb0ES3_N6thrust23THRUST_200600_302600_NS6detail15normal_iteratorINS9_10device_ptrIiEEEENS9_18transform_iteratorINS9_6negateIiEESE_NS9_11use_defaultESI_EESE_iNS9_4plusIvEENS9_8equal_toIvEEiEE10hipError_tPvRmT2_T3_T4_T5_mT6_T7_P12ihipStream_tbENKUlT_T0_E_clISt17integral_constantIbLb0EES14_EEDaSZ_S10_EUlSZ_E_NS1_11comp_targetILNS1_3genE9ELNS1_11target_archE1100ELNS1_3gpuE3ELNS1_3repE0EEENS1_30default_config_static_selectorELNS0_4arch9wavefront6targetE0EEEvT1_,"axG",@progbits,_ZN7rocprim17ROCPRIM_400000_NS6detail17trampoline_kernelINS0_14default_configENS1_27scan_by_key_config_selectorIiiEEZZNS1_16scan_by_key_implILNS1_25lookback_scan_determinismE0ELb0ES3_N6thrust23THRUST_200600_302600_NS6detail15normal_iteratorINS9_10device_ptrIiEEEENS9_18transform_iteratorINS9_6negateIiEESE_NS9_11use_defaultESI_EESE_iNS9_4plusIvEENS9_8equal_toIvEEiEE10hipError_tPvRmT2_T3_T4_T5_mT6_T7_P12ihipStream_tbENKUlT_T0_E_clISt17integral_constantIbLb0EES14_EEDaSZ_S10_EUlSZ_E_NS1_11comp_targetILNS1_3genE9ELNS1_11target_archE1100ELNS1_3gpuE3ELNS1_3repE0EEENS1_30default_config_static_selectorELNS0_4arch9wavefront6targetE0EEEvT1_,comdat
.Lfunc_end936:
	.size	_ZN7rocprim17ROCPRIM_400000_NS6detail17trampoline_kernelINS0_14default_configENS1_27scan_by_key_config_selectorIiiEEZZNS1_16scan_by_key_implILNS1_25lookback_scan_determinismE0ELb0ES3_N6thrust23THRUST_200600_302600_NS6detail15normal_iteratorINS9_10device_ptrIiEEEENS9_18transform_iteratorINS9_6negateIiEESE_NS9_11use_defaultESI_EESE_iNS9_4plusIvEENS9_8equal_toIvEEiEE10hipError_tPvRmT2_T3_T4_T5_mT6_T7_P12ihipStream_tbENKUlT_T0_E_clISt17integral_constantIbLb0EES14_EEDaSZ_S10_EUlSZ_E_NS1_11comp_targetILNS1_3genE9ELNS1_11target_archE1100ELNS1_3gpuE3ELNS1_3repE0EEENS1_30default_config_static_selectorELNS0_4arch9wavefront6targetE0EEEvT1_, .Lfunc_end936-_ZN7rocprim17ROCPRIM_400000_NS6detail17trampoline_kernelINS0_14default_configENS1_27scan_by_key_config_selectorIiiEEZZNS1_16scan_by_key_implILNS1_25lookback_scan_determinismE0ELb0ES3_N6thrust23THRUST_200600_302600_NS6detail15normal_iteratorINS9_10device_ptrIiEEEENS9_18transform_iteratorINS9_6negateIiEESE_NS9_11use_defaultESI_EESE_iNS9_4plusIvEENS9_8equal_toIvEEiEE10hipError_tPvRmT2_T3_T4_T5_mT6_T7_P12ihipStream_tbENKUlT_T0_E_clISt17integral_constantIbLb0EES14_EEDaSZ_S10_EUlSZ_E_NS1_11comp_targetILNS1_3genE9ELNS1_11target_archE1100ELNS1_3gpuE3ELNS1_3repE0EEENS1_30default_config_static_selectorELNS0_4arch9wavefront6targetE0EEEvT1_
                                        ; -- End function
	.set _ZN7rocprim17ROCPRIM_400000_NS6detail17trampoline_kernelINS0_14default_configENS1_27scan_by_key_config_selectorIiiEEZZNS1_16scan_by_key_implILNS1_25lookback_scan_determinismE0ELb0ES3_N6thrust23THRUST_200600_302600_NS6detail15normal_iteratorINS9_10device_ptrIiEEEENS9_18transform_iteratorINS9_6negateIiEESE_NS9_11use_defaultESI_EESE_iNS9_4plusIvEENS9_8equal_toIvEEiEE10hipError_tPvRmT2_T3_T4_T5_mT6_T7_P12ihipStream_tbENKUlT_T0_E_clISt17integral_constantIbLb0EES14_EEDaSZ_S10_EUlSZ_E_NS1_11comp_targetILNS1_3genE9ELNS1_11target_archE1100ELNS1_3gpuE3ELNS1_3repE0EEENS1_30default_config_static_selectorELNS0_4arch9wavefront6targetE0EEEvT1_.num_vgpr, 0
	.set _ZN7rocprim17ROCPRIM_400000_NS6detail17trampoline_kernelINS0_14default_configENS1_27scan_by_key_config_selectorIiiEEZZNS1_16scan_by_key_implILNS1_25lookback_scan_determinismE0ELb0ES3_N6thrust23THRUST_200600_302600_NS6detail15normal_iteratorINS9_10device_ptrIiEEEENS9_18transform_iteratorINS9_6negateIiEESE_NS9_11use_defaultESI_EESE_iNS9_4plusIvEENS9_8equal_toIvEEiEE10hipError_tPvRmT2_T3_T4_T5_mT6_T7_P12ihipStream_tbENKUlT_T0_E_clISt17integral_constantIbLb0EES14_EEDaSZ_S10_EUlSZ_E_NS1_11comp_targetILNS1_3genE9ELNS1_11target_archE1100ELNS1_3gpuE3ELNS1_3repE0EEENS1_30default_config_static_selectorELNS0_4arch9wavefront6targetE0EEEvT1_.num_agpr, 0
	.set _ZN7rocprim17ROCPRIM_400000_NS6detail17trampoline_kernelINS0_14default_configENS1_27scan_by_key_config_selectorIiiEEZZNS1_16scan_by_key_implILNS1_25lookback_scan_determinismE0ELb0ES3_N6thrust23THRUST_200600_302600_NS6detail15normal_iteratorINS9_10device_ptrIiEEEENS9_18transform_iteratorINS9_6negateIiEESE_NS9_11use_defaultESI_EESE_iNS9_4plusIvEENS9_8equal_toIvEEiEE10hipError_tPvRmT2_T3_T4_T5_mT6_T7_P12ihipStream_tbENKUlT_T0_E_clISt17integral_constantIbLb0EES14_EEDaSZ_S10_EUlSZ_E_NS1_11comp_targetILNS1_3genE9ELNS1_11target_archE1100ELNS1_3gpuE3ELNS1_3repE0EEENS1_30default_config_static_selectorELNS0_4arch9wavefront6targetE0EEEvT1_.numbered_sgpr, 0
	.set _ZN7rocprim17ROCPRIM_400000_NS6detail17trampoline_kernelINS0_14default_configENS1_27scan_by_key_config_selectorIiiEEZZNS1_16scan_by_key_implILNS1_25lookback_scan_determinismE0ELb0ES3_N6thrust23THRUST_200600_302600_NS6detail15normal_iteratorINS9_10device_ptrIiEEEENS9_18transform_iteratorINS9_6negateIiEESE_NS9_11use_defaultESI_EESE_iNS9_4plusIvEENS9_8equal_toIvEEiEE10hipError_tPvRmT2_T3_T4_T5_mT6_T7_P12ihipStream_tbENKUlT_T0_E_clISt17integral_constantIbLb0EES14_EEDaSZ_S10_EUlSZ_E_NS1_11comp_targetILNS1_3genE9ELNS1_11target_archE1100ELNS1_3gpuE3ELNS1_3repE0EEENS1_30default_config_static_selectorELNS0_4arch9wavefront6targetE0EEEvT1_.num_named_barrier, 0
	.set _ZN7rocprim17ROCPRIM_400000_NS6detail17trampoline_kernelINS0_14default_configENS1_27scan_by_key_config_selectorIiiEEZZNS1_16scan_by_key_implILNS1_25lookback_scan_determinismE0ELb0ES3_N6thrust23THRUST_200600_302600_NS6detail15normal_iteratorINS9_10device_ptrIiEEEENS9_18transform_iteratorINS9_6negateIiEESE_NS9_11use_defaultESI_EESE_iNS9_4plusIvEENS9_8equal_toIvEEiEE10hipError_tPvRmT2_T3_T4_T5_mT6_T7_P12ihipStream_tbENKUlT_T0_E_clISt17integral_constantIbLb0EES14_EEDaSZ_S10_EUlSZ_E_NS1_11comp_targetILNS1_3genE9ELNS1_11target_archE1100ELNS1_3gpuE3ELNS1_3repE0EEENS1_30default_config_static_selectorELNS0_4arch9wavefront6targetE0EEEvT1_.private_seg_size, 0
	.set _ZN7rocprim17ROCPRIM_400000_NS6detail17trampoline_kernelINS0_14default_configENS1_27scan_by_key_config_selectorIiiEEZZNS1_16scan_by_key_implILNS1_25lookback_scan_determinismE0ELb0ES3_N6thrust23THRUST_200600_302600_NS6detail15normal_iteratorINS9_10device_ptrIiEEEENS9_18transform_iteratorINS9_6negateIiEESE_NS9_11use_defaultESI_EESE_iNS9_4plusIvEENS9_8equal_toIvEEiEE10hipError_tPvRmT2_T3_T4_T5_mT6_T7_P12ihipStream_tbENKUlT_T0_E_clISt17integral_constantIbLb0EES14_EEDaSZ_S10_EUlSZ_E_NS1_11comp_targetILNS1_3genE9ELNS1_11target_archE1100ELNS1_3gpuE3ELNS1_3repE0EEENS1_30default_config_static_selectorELNS0_4arch9wavefront6targetE0EEEvT1_.uses_vcc, 0
	.set _ZN7rocprim17ROCPRIM_400000_NS6detail17trampoline_kernelINS0_14default_configENS1_27scan_by_key_config_selectorIiiEEZZNS1_16scan_by_key_implILNS1_25lookback_scan_determinismE0ELb0ES3_N6thrust23THRUST_200600_302600_NS6detail15normal_iteratorINS9_10device_ptrIiEEEENS9_18transform_iteratorINS9_6negateIiEESE_NS9_11use_defaultESI_EESE_iNS9_4plusIvEENS9_8equal_toIvEEiEE10hipError_tPvRmT2_T3_T4_T5_mT6_T7_P12ihipStream_tbENKUlT_T0_E_clISt17integral_constantIbLb0EES14_EEDaSZ_S10_EUlSZ_E_NS1_11comp_targetILNS1_3genE9ELNS1_11target_archE1100ELNS1_3gpuE3ELNS1_3repE0EEENS1_30default_config_static_selectorELNS0_4arch9wavefront6targetE0EEEvT1_.uses_flat_scratch, 0
	.set _ZN7rocprim17ROCPRIM_400000_NS6detail17trampoline_kernelINS0_14default_configENS1_27scan_by_key_config_selectorIiiEEZZNS1_16scan_by_key_implILNS1_25lookback_scan_determinismE0ELb0ES3_N6thrust23THRUST_200600_302600_NS6detail15normal_iteratorINS9_10device_ptrIiEEEENS9_18transform_iteratorINS9_6negateIiEESE_NS9_11use_defaultESI_EESE_iNS9_4plusIvEENS9_8equal_toIvEEiEE10hipError_tPvRmT2_T3_T4_T5_mT6_T7_P12ihipStream_tbENKUlT_T0_E_clISt17integral_constantIbLb0EES14_EEDaSZ_S10_EUlSZ_E_NS1_11comp_targetILNS1_3genE9ELNS1_11target_archE1100ELNS1_3gpuE3ELNS1_3repE0EEENS1_30default_config_static_selectorELNS0_4arch9wavefront6targetE0EEEvT1_.has_dyn_sized_stack, 0
	.set _ZN7rocprim17ROCPRIM_400000_NS6detail17trampoline_kernelINS0_14default_configENS1_27scan_by_key_config_selectorIiiEEZZNS1_16scan_by_key_implILNS1_25lookback_scan_determinismE0ELb0ES3_N6thrust23THRUST_200600_302600_NS6detail15normal_iteratorINS9_10device_ptrIiEEEENS9_18transform_iteratorINS9_6negateIiEESE_NS9_11use_defaultESI_EESE_iNS9_4plusIvEENS9_8equal_toIvEEiEE10hipError_tPvRmT2_T3_T4_T5_mT6_T7_P12ihipStream_tbENKUlT_T0_E_clISt17integral_constantIbLb0EES14_EEDaSZ_S10_EUlSZ_E_NS1_11comp_targetILNS1_3genE9ELNS1_11target_archE1100ELNS1_3gpuE3ELNS1_3repE0EEENS1_30default_config_static_selectorELNS0_4arch9wavefront6targetE0EEEvT1_.has_recursion, 0
	.set _ZN7rocprim17ROCPRIM_400000_NS6detail17trampoline_kernelINS0_14default_configENS1_27scan_by_key_config_selectorIiiEEZZNS1_16scan_by_key_implILNS1_25lookback_scan_determinismE0ELb0ES3_N6thrust23THRUST_200600_302600_NS6detail15normal_iteratorINS9_10device_ptrIiEEEENS9_18transform_iteratorINS9_6negateIiEESE_NS9_11use_defaultESI_EESE_iNS9_4plusIvEENS9_8equal_toIvEEiEE10hipError_tPvRmT2_T3_T4_T5_mT6_T7_P12ihipStream_tbENKUlT_T0_E_clISt17integral_constantIbLb0EES14_EEDaSZ_S10_EUlSZ_E_NS1_11comp_targetILNS1_3genE9ELNS1_11target_archE1100ELNS1_3gpuE3ELNS1_3repE0EEENS1_30default_config_static_selectorELNS0_4arch9wavefront6targetE0EEEvT1_.has_indirect_call, 0
	.section	.AMDGPU.csdata,"",@progbits
; Kernel info:
; codeLenInByte = 0
; TotalNumSgprs: 0
; NumVgprs: 0
; ScratchSize: 0
; MemoryBound: 0
; FloatMode: 240
; IeeeMode: 1
; LDSByteSize: 0 bytes/workgroup (compile time only)
; SGPRBlocks: 0
; VGPRBlocks: 0
; NumSGPRsForWavesPerEU: 1
; NumVGPRsForWavesPerEU: 1
; Occupancy: 16
; WaveLimiterHint : 0
; COMPUTE_PGM_RSRC2:SCRATCH_EN: 0
; COMPUTE_PGM_RSRC2:USER_SGPR: 6
; COMPUTE_PGM_RSRC2:TRAP_HANDLER: 0
; COMPUTE_PGM_RSRC2:TGID_X_EN: 1
; COMPUTE_PGM_RSRC2:TGID_Y_EN: 0
; COMPUTE_PGM_RSRC2:TGID_Z_EN: 0
; COMPUTE_PGM_RSRC2:TIDIG_COMP_CNT: 0
	.section	.text._ZN7rocprim17ROCPRIM_400000_NS6detail17trampoline_kernelINS0_14default_configENS1_27scan_by_key_config_selectorIiiEEZZNS1_16scan_by_key_implILNS1_25lookback_scan_determinismE0ELb0ES3_N6thrust23THRUST_200600_302600_NS6detail15normal_iteratorINS9_10device_ptrIiEEEENS9_18transform_iteratorINS9_6negateIiEESE_NS9_11use_defaultESI_EESE_iNS9_4plusIvEENS9_8equal_toIvEEiEE10hipError_tPvRmT2_T3_T4_T5_mT6_T7_P12ihipStream_tbENKUlT_T0_E_clISt17integral_constantIbLb0EES14_EEDaSZ_S10_EUlSZ_E_NS1_11comp_targetILNS1_3genE8ELNS1_11target_archE1030ELNS1_3gpuE2ELNS1_3repE0EEENS1_30default_config_static_selectorELNS0_4arch9wavefront6targetE0EEEvT1_,"axG",@progbits,_ZN7rocprim17ROCPRIM_400000_NS6detail17trampoline_kernelINS0_14default_configENS1_27scan_by_key_config_selectorIiiEEZZNS1_16scan_by_key_implILNS1_25lookback_scan_determinismE0ELb0ES3_N6thrust23THRUST_200600_302600_NS6detail15normal_iteratorINS9_10device_ptrIiEEEENS9_18transform_iteratorINS9_6negateIiEESE_NS9_11use_defaultESI_EESE_iNS9_4plusIvEENS9_8equal_toIvEEiEE10hipError_tPvRmT2_T3_T4_T5_mT6_T7_P12ihipStream_tbENKUlT_T0_E_clISt17integral_constantIbLb0EES14_EEDaSZ_S10_EUlSZ_E_NS1_11comp_targetILNS1_3genE8ELNS1_11target_archE1030ELNS1_3gpuE2ELNS1_3repE0EEENS1_30default_config_static_selectorELNS0_4arch9wavefront6targetE0EEEvT1_,comdat
	.protected	_ZN7rocprim17ROCPRIM_400000_NS6detail17trampoline_kernelINS0_14default_configENS1_27scan_by_key_config_selectorIiiEEZZNS1_16scan_by_key_implILNS1_25lookback_scan_determinismE0ELb0ES3_N6thrust23THRUST_200600_302600_NS6detail15normal_iteratorINS9_10device_ptrIiEEEENS9_18transform_iteratorINS9_6negateIiEESE_NS9_11use_defaultESI_EESE_iNS9_4plusIvEENS9_8equal_toIvEEiEE10hipError_tPvRmT2_T3_T4_T5_mT6_T7_P12ihipStream_tbENKUlT_T0_E_clISt17integral_constantIbLb0EES14_EEDaSZ_S10_EUlSZ_E_NS1_11comp_targetILNS1_3genE8ELNS1_11target_archE1030ELNS1_3gpuE2ELNS1_3repE0EEENS1_30default_config_static_selectorELNS0_4arch9wavefront6targetE0EEEvT1_ ; -- Begin function _ZN7rocprim17ROCPRIM_400000_NS6detail17trampoline_kernelINS0_14default_configENS1_27scan_by_key_config_selectorIiiEEZZNS1_16scan_by_key_implILNS1_25lookback_scan_determinismE0ELb0ES3_N6thrust23THRUST_200600_302600_NS6detail15normal_iteratorINS9_10device_ptrIiEEEENS9_18transform_iteratorINS9_6negateIiEESE_NS9_11use_defaultESI_EESE_iNS9_4plusIvEENS9_8equal_toIvEEiEE10hipError_tPvRmT2_T3_T4_T5_mT6_T7_P12ihipStream_tbENKUlT_T0_E_clISt17integral_constantIbLb0EES14_EEDaSZ_S10_EUlSZ_E_NS1_11comp_targetILNS1_3genE8ELNS1_11target_archE1030ELNS1_3gpuE2ELNS1_3repE0EEENS1_30default_config_static_selectorELNS0_4arch9wavefront6targetE0EEEvT1_
	.globl	_ZN7rocprim17ROCPRIM_400000_NS6detail17trampoline_kernelINS0_14default_configENS1_27scan_by_key_config_selectorIiiEEZZNS1_16scan_by_key_implILNS1_25lookback_scan_determinismE0ELb0ES3_N6thrust23THRUST_200600_302600_NS6detail15normal_iteratorINS9_10device_ptrIiEEEENS9_18transform_iteratorINS9_6negateIiEESE_NS9_11use_defaultESI_EESE_iNS9_4plusIvEENS9_8equal_toIvEEiEE10hipError_tPvRmT2_T3_T4_T5_mT6_T7_P12ihipStream_tbENKUlT_T0_E_clISt17integral_constantIbLb0EES14_EEDaSZ_S10_EUlSZ_E_NS1_11comp_targetILNS1_3genE8ELNS1_11target_archE1030ELNS1_3gpuE2ELNS1_3repE0EEENS1_30default_config_static_selectorELNS0_4arch9wavefront6targetE0EEEvT1_
	.p2align	8
	.type	_ZN7rocprim17ROCPRIM_400000_NS6detail17trampoline_kernelINS0_14default_configENS1_27scan_by_key_config_selectorIiiEEZZNS1_16scan_by_key_implILNS1_25lookback_scan_determinismE0ELb0ES3_N6thrust23THRUST_200600_302600_NS6detail15normal_iteratorINS9_10device_ptrIiEEEENS9_18transform_iteratorINS9_6negateIiEESE_NS9_11use_defaultESI_EESE_iNS9_4plusIvEENS9_8equal_toIvEEiEE10hipError_tPvRmT2_T3_T4_T5_mT6_T7_P12ihipStream_tbENKUlT_T0_E_clISt17integral_constantIbLb0EES14_EEDaSZ_S10_EUlSZ_E_NS1_11comp_targetILNS1_3genE8ELNS1_11target_archE1030ELNS1_3gpuE2ELNS1_3repE0EEENS1_30default_config_static_selectorELNS0_4arch9wavefront6targetE0EEEvT1_,@function
_ZN7rocprim17ROCPRIM_400000_NS6detail17trampoline_kernelINS0_14default_configENS1_27scan_by_key_config_selectorIiiEEZZNS1_16scan_by_key_implILNS1_25lookback_scan_determinismE0ELb0ES3_N6thrust23THRUST_200600_302600_NS6detail15normal_iteratorINS9_10device_ptrIiEEEENS9_18transform_iteratorINS9_6negateIiEESE_NS9_11use_defaultESI_EESE_iNS9_4plusIvEENS9_8equal_toIvEEiEE10hipError_tPvRmT2_T3_T4_T5_mT6_T7_P12ihipStream_tbENKUlT_T0_E_clISt17integral_constantIbLb0EES14_EEDaSZ_S10_EUlSZ_E_NS1_11comp_targetILNS1_3genE8ELNS1_11target_archE1030ELNS1_3gpuE2ELNS1_3repE0EEENS1_30default_config_static_selectorELNS0_4arch9wavefront6targetE0EEEvT1_: ; @_ZN7rocprim17ROCPRIM_400000_NS6detail17trampoline_kernelINS0_14default_configENS1_27scan_by_key_config_selectorIiiEEZZNS1_16scan_by_key_implILNS1_25lookback_scan_determinismE0ELb0ES3_N6thrust23THRUST_200600_302600_NS6detail15normal_iteratorINS9_10device_ptrIiEEEENS9_18transform_iteratorINS9_6negateIiEESE_NS9_11use_defaultESI_EESE_iNS9_4plusIvEENS9_8equal_toIvEEiEE10hipError_tPvRmT2_T3_T4_T5_mT6_T7_P12ihipStream_tbENKUlT_T0_E_clISt17integral_constantIbLb0EES14_EEDaSZ_S10_EUlSZ_E_NS1_11comp_targetILNS1_3genE8ELNS1_11target_archE1030ELNS1_3gpuE2ELNS1_3repE0EEENS1_30default_config_static_selectorELNS0_4arch9wavefront6targetE0EEEvT1_
; %bb.0:
	s_clause 0x5
	s_load_dwordx4 s[24:27], s[4:5], 0x0
	s_load_dwordx2 s[22:23], s[4:5], 0x40
	s_load_dword s7, s[4:5], 0x48
	s_load_dwordx2 s[2:3], s[4:5], 0x10
	s_load_dwordx8 s[8:15], s[4:5], 0x50
	s_load_dwordx4 s[16:19], s[4:5], 0x30
	s_mov_b32 s1, 0
	s_waitcnt lgkmcnt(0)
	s_barrier
	buffer_gl0_inv
	s_lshl_b64 s[20:21], s[26:27], 2
	s_add_u32 s24, s24, s20
	s_mul_i32 s0, s23, s7
	s_mul_hi_u32 s19, s22, s7
	s_addc_u32 s25, s25, s21
	s_add_u32 s2, s2, s20
	s_addc_u32 s28, s3, s21
	s_add_i32 s19, s19, s0
	s_cmp_lg_u64 s[12:13], 0
	s_mul_i32 s0, s6, 0x300
	s_cselect_b32 s3, -1, 0
	s_lshl_b64 s[12:13], s[0:1], 2
	s_mul_i32 s0, s22, s7
	s_add_u32 s26, s24, s12
	s_addc_u32 s27, s25, s13
	s_add_u32 s24, s2, s12
	s_addc_u32 s25, s28, s13
	;; [unrolled: 2-line block ×3, first 2 shown]
	s_add_u32 s8, s8, -1
	s_addc_u32 s9, s9, -1
	s_mul_i32 s30, s8, 0xfffffd00
	v_cmp_ge_u64_e64 s19, s[28:29], s[8:9]
	s_and_b32 vcc_lo, exec_lo, s19
	s_cbranch_vccz .LBB937_22
; %bb.1:
	v_mov_b32_e32 v1, s26
	v_mov_b32_e32 v2, s27
	s_add_i32 s7, s30, s18
	v_cmp_gt_u32_e64 s0, s7, v0
	flat_load_dword v2, v[1:2]
	s_waitcnt vmcnt(0) lgkmcnt(0)
	v_mov_b32_e32 v3, v2
	s_and_saveexec_b32 s1, s0
	s_cbranch_execz .LBB937_3
; %bb.2:
	v_lshlrev_b32_e32 v1, 2, v0
	v_add_co_u32 v3, s2, s26, v1
	v_add_co_ci_u32_e64 v4, null, s27, 0, s2
	flat_load_dword v3, v[3:4]
.LBB937_3:
	s_or_b32 exec_lo, exec_lo, s1
	v_or_b32_e32 v1, 0x100, v0
	v_mov_b32_e32 v4, v2
	v_cmp_gt_u32_e64 s1, s7, v1
	s_and_saveexec_b32 s2, s1
	s_cbranch_execz .LBB937_5
; %bb.4:
	v_lshlrev_b32_e32 v1, 2, v0
	v_add_co_u32 v4, s8, s26, v1
	v_add_co_ci_u32_e64 v5, null, s27, 0, s8
	flat_load_dword v4, v[4:5] offset:1024
.LBB937_5:
	s_or_b32 exec_lo, exec_lo, s2
	v_or_b32_e32 v1, 0x200, v0
	v_cmp_gt_u32_e64 s2, s7, v1
	v_lshlrev_b32_e32 v8, 2, v1
	s_and_saveexec_b32 s8, s2
	s_cbranch_execz .LBB937_7
; %bb.6:
	v_add_co_u32 v1, s9, s26, v8
	v_add_co_ci_u32_e64 v2, null, s27, 0, s9
	flat_load_dword v2, v[1:2]
.LBB937_7:
	s_or_b32 exec_lo, exec_lo, s8
	v_lshlrev_b32_e32 v9, 2, v0
	v_lshlrev_b32_e32 v1, 3, v0
	s_cmp_eq_u64 s[28:29], 0
	s_mov_b64 s[8:9], s[26:27]
	s_waitcnt vmcnt(0) lgkmcnt(0)
	ds_write2st64_b32 v9, v3, v4 offset1:4
	v_add_nc_u32_e32 v7, v9, v1
	ds_write_b32 v9, v2 offset:2048
	s_waitcnt lgkmcnt(0)
	s_barrier
	buffer_gl0_inv
	ds_read2_b32 v[4:5], v7 offset1:1
	ds_read_b32 v6, v7 offset:8
	s_cbranch_scc1 .LBB937_11
; %bb.8:
	s_andn2_b32 vcc_lo, exec_lo, s3
	s_cbranch_vccnz .LBB937_101
; %bb.9:
	s_lshl_b64 s[8:9], s[28:29], 2
	s_add_u32 s8, s14, s8
	s_addc_u32 s9, s15, s9
	s_add_u32 s8, s8, -4
	s_addc_u32 s9, s9, -1
	s_cbranch_execnz .LBB937_11
.LBB937_10:
	s_add_u32 s8, s26, -4
	s_addc_u32 s9, s27, -1
.LBB937_11:
	v_mov_b32_e32 v2, s8
	v_mov_b32_e32 v3, s9
	s_mov_b32 s8, exec_lo
	flat_load_dword v13, v[2:3]
	v_sub_nc_u32_e32 v2, v7, v1
	s_waitcnt lgkmcnt(1)
	ds_write_b32 v2, v6 offset:3072
	s_waitcnt vmcnt(0) lgkmcnt(0)
	s_barrier
	buffer_gl0_inv
	v_cmpx_ne_u32_e32 0, v0
; %bb.12:
	v_sub_nc_u32_e32 v1, 0, v1
	v_add_nc_u32_e32 v1, v7, v1
	ds_read_b32 v13, v1 offset:3068
; %bb.13:
	s_or_b32 exec_lo, exec_lo, s8
	v_mov_b32_e32 v1, 0
	s_waitcnt lgkmcnt(0)
	s_barrier
	buffer_gl0_inv
	v_mov_b32_e32 v2, v1
	v_mov_b32_e32 v3, v1
	s_and_saveexec_b32 s8, s0
	s_cbranch_execnz .LBB937_99
; %bb.14:
	s_or_b32 exec_lo, exec_lo, s8
	s_and_saveexec_b32 s0, s1
	s_cbranch_execnz .LBB937_100
.LBB937_15:
	s_or_b32 exec_lo, exec_lo, s0
	s_and_saveexec_b32 s0, s2
	s_cbranch_execz .LBB937_17
.LBB937_16:
	global_load_dword v3, v8, s[24:25]
	s_waitcnt vmcnt(0)
	v_sub_nc_u32_e32 v3, 0, v3
.LBB937_17:
	s_or_b32 exec_lo, exec_lo, s0
	ds_write2st64_b32 v9, v1, v2 offset1:4
	ds_write_b32 v9, v3 offset:2048
	v_mov_b32_e32 v9, 0
	v_mov_b32_e32 v11, 0
	v_mul_u32_u24_e32 v8, 3, v0
	v_mov_b32_e32 v10, 0
	v_mov_b32_e32 v12, 0
	s_mov_b32 s8, 0
	s_mov_b32 s1, 0
	s_mov_b32 s9, exec_lo
	s_waitcnt lgkmcnt(0)
	s_barrier
	buffer_gl0_inv
                                        ; implicit-def: $sgpr2
                                        ; implicit-def: $vgpr2
	v_cmpx_gt_u32_e64 s7, v8
	s_cbranch_execz .LBB937_21
; %bb.18:
	ds_read_b32 v9, v7
	v_cmp_ne_u32_e32 vcc_lo, v13, v4
	v_mov_b32_e32 v11, 0
	v_add_nc_u32_e32 v1, 1, v8
	v_mov_b32_e32 v12, 0
	s_mov_b32 s0, 0
	v_cndmask_b32_e64 v10, 0, 1, vcc_lo
	s_mov_b32 s1, exec_lo
                                        ; implicit-def: $sgpr2
                                        ; implicit-def: $vgpr2
	v_cmpx_gt_u32_e64 s7, v1
	s_xor_b32 s1, exec_lo, s1
	s_cbranch_execz .LBB937_20
; %bb.19:
	ds_read2_b32 v[1:2], v7 offset0:1 offset1:2
	v_add_nc_u32_e32 v3, 2, v8
	v_cmp_ne_u32_e64 s0, v4, v5
	v_cmp_ne_u32_e64 s2, v5, v6
	v_cmp_gt_u32_e32 vcc_lo, s7, v3
	v_cndmask_b32_e64 v12, 0, 1, s0
	s_and_b32 s0, vcc_lo, exec_lo
	s_waitcnt lgkmcnt(0)
	v_mov_b32_e32 v11, v1
.LBB937_20:
	s_or_b32 exec_lo, exec_lo, s1
	s_and_b32 s1, s0, exec_lo
.LBB937_21:
	s_or_b32 exec_lo, exec_lo, s9
	v_lshlrev_b32_e32 v18, 2, v0
	v_lshlrev_b32_e32 v19, 3, v0
	s_and_b32 vcc_lo, exec_lo, s8
	s_cbranch_vccnz .LBB937_23
	s_branch .LBB937_31
.LBB937_22:
                                        ; implicit-def: $sgpr2
                                        ; implicit-def: $vgpr2
                                        ; implicit-def: $vgpr9_vgpr10
                                        ; implicit-def: $vgpr11_vgpr12
	v_lshlrev_b32_e32 v18, 2, v0
	v_lshlrev_b32_e32 v19, 3, v0
	s_cbranch_execz .LBB937_31
.LBB937_23:
	v_add_co_u32 v1, s0, s26, v18
	v_add_co_ci_u32_e64 v2, null, s27, 0, s0
	s_cmp_eq_u64 s[28:29], 0
	v_add_co_u32 v3, vcc_lo, 0x800, v1
	v_add_co_ci_u32_e64 v4, null, 0, v2, vcc_lo
	s_clause 0x2
	flat_load_dword v5, v[1:2]
	flat_load_dword v2, v[1:2] offset:1024
	flat_load_dword v3, v[3:4]
	v_add_nc_u32_e32 v1, v18, v19
	s_waitcnt vmcnt(1) lgkmcnt(1)
	ds_write2st64_b32 v18, v5, v2 offset1:4
	s_waitcnt vmcnt(0) lgkmcnt(1)
	ds_write_b32 v18, v3 offset:2048
	s_waitcnt lgkmcnt(0)
	s_barrier
	buffer_gl0_inv
	ds_read2_b32 v[3:4], v1 offset1:1
	ds_read_b32 v5, v1 offset:8
	s_cbranch_scc1 .LBB937_28
; %bb.24:
	s_andn2_b32 vcc_lo, exec_lo, s3
	s_cbranch_vccnz .LBB937_102
; %bb.25:
	s_lshl_b64 s[0:1], s[28:29], 2
	s_add_u32 s0, s14, s0
	s_addc_u32 s1, s15, s1
	s_add_u32 s0, s0, -4
	s_addc_u32 s1, s1, -1
	s_cbranch_execnz .LBB937_27
.LBB937_26:
	s_add_u32 s0, s26, -4
	s_addc_u32 s1, s27, -1
.LBB937_27:
	s_mov_b64 s[26:27], s[0:1]
.LBB937_28:
	v_mov_b32_e32 v6, s26
	v_mov_b32_e32 v7, s27
	v_sub_nc_u32_e32 v2, v1, v19
	s_mov_b32 s0, exec_lo
	flat_load_dword v6, v[6:7]
	s_waitcnt lgkmcnt(1)
	ds_write_b32 v2, v5 offset:3072
	s_waitcnt vmcnt(0) lgkmcnt(0)
	s_barrier
	buffer_gl0_inv
	v_cmpx_ne_u32_e32 0, v0
; %bb.29:
	v_sub_nc_u32_e32 v2, 0, v19
	v_add_nc_u32_e32 v2, v1, v2
	ds_read_b32 v6, v2 offset:3068
; %bb.30:
	s_or_b32 exec_lo, exec_lo, s0
	v_add_co_u32 v2, s0, s24, v18
	v_add_co_ci_u32_e64 v8, null, s25, 0, s0
	s_waitcnt lgkmcnt(0)
	v_add_co_u32 v7, vcc_lo, 0x800, v2
	v_add_co_ci_u32_e64 v8, null, 0, v8, vcc_lo
	s_barrier
	buffer_gl0_inv
	s_clause 0x2
	global_load_dword v2, v18, s[24:25]
	global_load_dword v9, v18, s[24:25] offset:1024
	global_load_dword v7, v[7:8], off
	v_cmp_ne_u32_e32 vcc_lo, v6, v3
	v_cmp_ne_u32_e64 s2, v4, v5
	s_mov_b32 s1, -1
	v_cndmask_b32_e64 v10, 0, 1, vcc_lo
	v_cmp_ne_u32_e32 vcc_lo, v3, v4
	v_cndmask_b32_e64 v12, 0, 1, vcc_lo
	s_waitcnt vmcnt(2)
	v_sub_nc_u32_e32 v2, 0, v2
	s_waitcnt vmcnt(1)
	v_sub_nc_u32_e32 v8, 0, v9
	;; [unrolled: 2-line block ×3, first 2 shown]
	ds_write2st64_b32 v18, v2, v8 offset1:4
	ds_write_b32 v18, v7 offset:2048
	s_waitcnt lgkmcnt(0)
	s_barrier
	buffer_gl0_inv
	ds_read2_b32 v[7:8], v1 offset1:1
	ds_read_b32 v2, v1 offset:8
	s_waitcnt lgkmcnt(1)
	v_mov_b32_e32 v9, v7
	v_mov_b32_e32 v11, v8
.LBB937_31:
	v_mov_b32_e32 v13, 0
	v_mov_b32_e32 v14, 0
	s_and_saveexec_b32 s0, s1
	s_cbranch_execz .LBB937_33
; %bb.32:
	v_cndmask_b32_e64 v14, 0, 1, s2
	s_waitcnt lgkmcnt(0)
	v_mov_b32_e32 v13, v2
.LBB937_33:
	s_or_b32 exec_lo, exec_lo, s0
	v_or_b32_e32 v23, v12, v14
	v_mbcnt_lo_u32_b32 v20, -1, 0
	v_lshrrev_b32_e32 v21, 5, v0
	v_or_b32_e32 v22, 31, v0
	s_cmp_lg_u32 s6, 0
	s_mov_b32 s2, 0
	s_waitcnt lgkmcnt(0)
	s_barrier
	buffer_gl0_inv
	s_cbranch_scc0 .LBB937_59
; %bb.34:
	v_and_b32_e32 v2, 0xff, v23
	v_mov_b32_e32 v1, 0
	s_mov_b32 s3, 1
	v_and_b32_e32 v8, 15, v20
	v_cmp_gt_u64_e64 s0, s[2:3], v[11:12]
	v_cmp_gt_u64_e64 s1, s[2:3], v[13:14]
	v_cmp_eq_u64_e32 vcc_lo, 0, v[1:2]
	v_cndmask_b32_e64 v3, 0, v9, s0
	v_cndmask_b32_e32 v2, 1, v10, vcc_lo
	v_add_nc_u32_e32 v3, v3, v11
	v_and_b32_e32 v4, 0xff, v2
	v_and_b32_e32 v6, 1, v2
	v_cndmask_b32_e64 v3, 0, v3, s1
	v_mov_b32_dpp v5, v4 row_shr:1 row_mask:0xf bank_mask:0xf
	v_cmp_eq_u32_e32 vcc_lo, 1, v6
	v_add_nc_u32_e32 v3, v3, v13
	v_and_b32_e32 v5, 1, v5
	v_mov_b32_dpp v7, v3 row_shr:1 row_mask:0xf bank_mask:0xf
	v_cndmask_b32_e64 v5, v5, 1, vcc_lo
	v_cmp_eq_u16_e32 vcc_lo, 0, v4
	v_cndmask_b32_e32 v6, 0, v7, vcc_lo
	v_cmp_eq_u32_e32 vcc_lo, 0, v8
	v_cndmask_b32_e32 v4, v5, v4, vcc_lo
	v_cndmask_b32_e32 v2, v5, v2, vcc_lo
	v_cndmask_b32_e64 v6, v6, 0, vcc_lo
	v_mov_b32_dpp v5, v4 row_shr:2 row_mask:0xf bank_mask:0xf
	v_and_b32_e32 v7, 1, v2
	v_add_nc_u32_e32 v3, v6, v3
	v_cmp_eq_u16_sdwa s2, v2, v1 src0_sel:BYTE_0 src1_sel:DWORD
	v_and_b32_e32 v5, 1, v5
	v_cmp_eq_u32_e32 vcc_lo, 1, v7
	v_cndmask_b32_e64 v5, v5, 1, vcc_lo
	v_cmp_lt_u32_e32 vcc_lo, 1, v8
	v_cndmask_b32_e32 v7, v2, v5, vcc_lo
	v_cndmask_b32_e32 v4, v4, v5, vcc_lo
	v_mov_b32_dpp v2, v3 row_shr:2 row_mask:0xf bank_mask:0xf
	s_and_b32 vcc_lo, vcc_lo, s2
	v_and_b32_e32 v6, 1, v7
	v_mov_b32_dpp v5, v4 row_shr:4 row_mask:0xf bank_mask:0xf
	v_cndmask_b32_e32 v2, 0, v2, vcc_lo
	v_cmp_eq_u16_sdwa s2, v7, v1 src0_sel:BYTE_0 src1_sel:DWORD
	v_cmp_eq_u32_e32 vcc_lo, 1, v6
	v_and_b32_e32 v5, 1, v5
	v_add_nc_u32_e32 v2, v2, v3
	v_cndmask_b32_e64 v5, v5, 1, vcc_lo
	v_cmp_lt_u32_e32 vcc_lo, 3, v8
	v_cndmask_b32_e32 v3, v7, v5, vcc_lo
	v_cndmask_b32_e32 v4, v4, v5, vcc_lo
	v_mov_b32_dpp v5, v2 row_shr:4 row_mask:0xf bank_mask:0xf
	s_and_b32 vcc_lo, vcc_lo, s2
	v_and_b32_e32 v7, 1, v3
	v_mov_b32_dpp v6, v4 row_shr:8 row_mask:0xf bank_mask:0xf
	v_cndmask_b32_e32 v5, 0, v5, vcc_lo
	v_cmp_eq_u16_sdwa s2, v3, v1 src0_sel:BYTE_0 src1_sel:DWORD
	v_cmp_eq_u32_e32 vcc_lo, 1, v7
	v_and_b32_e32 v6, 1, v6
	v_add_nc_u32_e32 v2, v5, v2
	v_bfe_i32 v7, v20, 4, 1
	v_cndmask_b32_e64 v5, v6, 1, vcc_lo
	v_cmp_lt_u32_e32 vcc_lo, 7, v8
	v_mov_b32_dpp v6, v2 row_shr:8 row_mask:0xf bank_mask:0xf
	s_and_b32 s2, vcc_lo, s2
	v_cndmask_b32_e32 v4, v4, v5, vcc_lo
	v_cndmask_b32_e64 v6, 0, v6, s2
	v_cndmask_b32_e32 v3, v3, v5, vcc_lo
	ds_swizzle_b32 v5, v4 offset:swizzle(BROADCAST,32,15)
	v_add_nc_u32_e32 v2, v6, v2
	v_and_b32_e32 v8, 1, v3
	v_cmp_eq_u16_sdwa vcc_lo, v3, v1 src0_sel:BYTE_0 src1_sel:DWORD
	v_and_b32_e32 v3, 16, v20
	ds_swizzle_b32 v6, v2 offset:swizzle(BROADCAST,32,15)
	v_cmp_eq_u32_e64 s2, 0, v3
	s_waitcnt lgkmcnt(1)
	v_and_b32_e32 v5, 1, v5
	s_waitcnt lgkmcnt(0)
	v_cndmask_b32_e32 v1, 0, v6, vcc_lo
	v_cmp_eq_u32_e32 vcc_lo, 1, v8
	v_and_b32_e32 v1, v7, v1
	v_cndmask_b32_e64 v5, v5, 1, vcc_lo
	v_add_nc_u32_e32 v3, v1, v2
	v_cndmask_b32_e64 v4, v5, v4, s2
	v_lshlrev_b32_e32 v5, 3, v21
	s_mov_b32 s2, exec_lo
	v_cmpx_eq_u32_e64 v0, v22
	s_cbranch_execz .LBB937_36
; %bb.35:
	ds_write_b32 v5, v3
	ds_write_b8 v5, v4 offset:4
.LBB937_36:
	s_or_b32 exec_lo, exec_lo, s2
	s_mov_b32 s2, exec_lo
	s_waitcnt lgkmcnt(0)
	s_barrier
	buffer_gl0_inv
	v_cmpx_gt_u32_e32 8, v0
	s_cbranch_execz .LBB937_42
; %bb.37:
	ds_read_b64 v[1:2], v19
	v_and_b32_e32 v6, 7, v20
	s_mov_b32 s3, exec_lo
	s_waitcnt lgkmcnt(0)
	v_and_b32_e32 v7, 0xffffff00, v2
	v_mov_b32_dpp v15, v1 row_shr:1 row_mask:0xf bank_mask:0xf
	v_mov_b32_dpp v16, v2 row_shr:1 row_mask:0xf bank_mask:0xf
	v_mov_b32_e32 v8, v2
	v_cmpx_ne_u32_e32 0, v6
	s_cbranch_execz .LBB937_39
; %bb.38:
	v_mov_b32_e32 v8, 0
	v_and_b32_e32 v17, 1, v2
	v_and_b32_e32 v16, 1, v16
	v_cmp_eq_u16_sdwa vcc_lo, v2, v8 src0_sel:BYTE_0 src1_sel:DWORD
	v_cndmask_b32_e32 v2, 0, v15, vcc_lo
	v_cmp_eq_u32_e32 vcc_lo, 1, v17
	v_add_nc_u32_e32 v1, v2, v1
	v_cndmask_b32_e64 v15, v16, 1, vcc_lo
	v_or_b32_sdwa v8, v7, v15 dst_sel:DWORD dst_unused:UNUSED_PAD src0_sel:DWORD src1_sel:WORD_0
	v_mov_b32_e32 v2, v15
.LBB937_39:
	s_or_b32 exec_lo, exec_lo, s3
	v_mov_b32_dpp v15, v1 row_shr:2 row_mask:0xf bank_mask:0xf
	v_mov_b32_dpp v16, v8 row_shr:2 row_mask:0xf bank_mask:0xf
	s_mov_b32 s3, exec_lo
	v_cmpx_lt_u32_e32 1, v6
	s_cbranch_execz .LBB937_41
; %bb.40:
	v_mov_b32_e32 v8, 0
	v_and_b32_e32 v17, 1, v2
	v_and_b32_e32 v16, 1, v16
	v_cmp_eq_u16_sdwa vcc_lo, v2, v8 src0_sel:BYTE_0 src1_sel:DWORD
	v_cndmask_b32_e32 v2, 0, v15, vcc_lo
	v_cmp_eq_u32_e32 vcc_lo, 1, v17
	v_add_nc_u32_e32 v1, v2, v1
	v_cndmask_b32_e64 v15, v16, 1, vcc_lo
	v_or_b32_sdwa v8, v7, v15 dst_sel:DWORD dst_unused:UNUSED_PAD src0_sel:DWORD src1_sel:WORD_0
	v_mov_b32_e32 v2, v15
.LBB937_41:
	s_or_b32 exec_lo, exec_lo, s3
	v_mov_b32_dpp v7, v8 row_shr:4 row_mask:0xf bank_mask:0xf
	v_and_b32_e32 v15, 1, v2
	v_mov_b32_e32 v8, 0
	v_and_b32_e32 v7, 1, v7
	v_cmp_eq_u32_e32 vcc_lo, 1, v15
	v_cmp_eq_u16_sdwa s3, v2, v8 src0_sel:BYTE_0 src1_sel:DWORD
	v_cndmask_b32_e64 v7, v7, 1, vcc_lo
	v_cmp_lt_u32_e32 vcc_lo, 3, v6
	v_mov_b32_dpp v6, v1 row_shr:4 row_mask:0xf bank_mask:0xf
	v_cndmask_b32_e32 v2, v2, v7, vcc_lo
	s_and_b32 vcc_lo, vcc_lo, s3
	v_cndmask_b32_e32 v6, 0, v6, vcc_lo
	v_add_nc_u32_e32 v1, v6, v1
	ds_write_b32 v19, v1
	ds_write_b8 v19, v2 offset:4
.LBB937_42:
	s_or_b32 exec_lo, exec_lo, s2
	v_mov_b32_e32 v24, 0
	v_mov_b32_e32 v25, 0
	s_mov_b32 s3, exec_lo
	v_cmp_gt_u32_e32 vcc_lo, 32, v0
	s_waitcnt lgkmcnt(0)
	s_barrier
	buffer_gl0_inv
	v_cmpx_lt_u32_e32 31, v0
	s_cbranch_execz .LBB937_44
; %bb.43:
	v_add_nc_u32_e32 v1, -8, v5
	v_cmp_eq_u32_e64 s2, 0, v4
	v_and_b32_e32 v2, 1, v4
	ds_read_b32 v24, v1
	v_add_nc_u32_e32 v1, -4, v5
	ds_read_u8 v25, v1
	s_waitcnt lgkmcnt(1)
	v_cndmask_b32_e64 v1, 0, v24, s2
	v_cmp_eq_u32_e64 s2, 1, v2
	v_add_nc_u32_e32 v3, v1, v3
	s_waitcnt lgkmcnt(0)
	v_cndmask_b32_e64 v4, v25, 1, s2
.LBB937_44:
	s_or_b32 exec_lo, exec_lo, s3
	v_sub_co_u32 v1, s2, v20, 1
	v_cmp_gt_i32_e64 s3, 0, v1
	v_cndmask_b32_e64 v1, v1, v20, s3
	v_lshlrev_b32_e32 v1, 2, v1
	ds_bpermute_b32 v26, v1, v3
	ds_bpermute_b32 v27, v1, v4
	s_and_saveexec_b32 s7, vcc_lo
	s_cbranch_execz .LBB937_64
; %bb.45:
	v_mov_b32_e32 v4, 0
	ds_read_b64 v[1:2], v4 offset:56
	s_and_saveexec_b32 s3, s2
	s_cbranch_execz .LBB937_47
; %bb.46:
	s_add_i32 s8, s6, 32
	s_mov_b32 s9, 0
	v_mov_b32_e32 v3, 1
	s_lshl_b64 s[8:9], s[8:9], 4
	s_add_u32 s8, s16, s8
	s_addc_u32 s9, s17, s9
	v_mov_b32_e32 v5, s8
	v_mov_b32_e32 v6, s9
	s_waitcnt lgkmcnt(0)
	;;#ASMSTART
	global_store_dwordx4 v[5:6], v[1:4] off	
s_waitcnt vmcnt(0)
	;;#ASMEND
.LBB937_47:
	s_or_b32 exec_lo, exec_lo, s3
	v_xad_u32 v15, v20, -1, s6
	s_mov_b32 s8, 0
	v_add_nc_u32_e32 v3, 32, v15
	v_lshlrev_b64 v[5:6], 4, v[3:4]
	v_add_co_u32 v16, vcc_lo, s16, v5
	v_add_co_ci_u32_e64 v17, null, s17, v6, vcc_lo
	;;#ASMSTART
	global_load_dwordx4 v[5:8], v[16:17] off glc dlc	
s_waitcnt vmcnt(0)
	;;#ASMEND
	v_and_b32_e32 v6, 0xff, v6
	v_cmp_eq_u16_sdwa s9, v7, v4 src0_sel:BYTE_0 src1_sel:DWORD
	s_and_saveexec_b32 s3, s9
	s_cbranch_execz .LBB937_51
; %bb.48:
	v_mov_b32_e32 v3, 0
.LBB937_49:                             ; =>This Inner Loop Header: Depth=1
	;;#ASMSTART
	global_load_dwordx4 v[5:8], v[16:17] off glc dlc	
s_waitcnt vmcnt(0)
	;;#ASMEND
	v_cmp_ne_u16_sdwa s9, v7, v3 src0_sel:BYTE_0 src1_sel:DWORD
	s_or_b32 s8, s9, s8
	s_andn2_b32 exec_lo, exec_lo, s8
	s_cbranch_execnz .LBB937_49
; %bb.50:
	s_or_b32 exec_lo, exec_lo, s8
	v_and_b32_e32 v6, 0xff, v6
.LBB937_51:
	s_or_b32 exec_lo, exec_lo, s3
	v_cmp_ne_u32_e32 vcc_lo, 31, v20
	v_mov_b32_e32 v28, 2
	v_lshlrev_b32_e64 v29, v20, -1
	v_and_b32_e32 v8, 1, v6
	s_mov_b32 s8, 0
	v_add_co_ci_u32_e64 v3, null, 0, v20, vcc_lo
	v_cmp_eq_u16_sdwa s3, v7, v28 src0_sel:BYTE_0 src1_sel:DWORD
	v_cmp_eq_u32_e32 vcc_lo, 1, v8
	s_mov_b32 s9, 1
	v_lshlrev_b32_e32 v17, 2, v3
	v_add_nc_u32_e32 v37, 8, v20
	v_and_or_b32 v4, s3, v29, 0x80000000
	v_cmp_gt_u64_e64 s3, s[8:9], v[5:6]
	v_lshl_or_b32 v38, v20, 2, 64
	ds_bpermute_b32 v3, v17, v6
	ds_bpermute_b32 v16, v17, v5
	v_ffbl_b32_e32 v4, v4
	v_add_nc_u32_e32 v39, 16, v20
	s_waitcnt lgkmcnt(1)
	v_and_b32_e32 v3, 1, v3
	v_cndmask_b32_e64 v3, v3, 1, vcc_lo
	v_cmp_gt_u32_e32 vcc_lo, 30, v20
	v_and_b32_e32 v31, 0xffff, v3
	v_cndmask_b32_e64 v8, 0, 2, vcc_lo
	v_cmp_lt_u32_e32 vcc_lo, v20, v4
	v_add_lshl_u32 v30, v8, v20, 2
	v_cndmask_b32_e32 v8, v6, v31, vcc_lo
	v_cndmask_b32_e32 v3, v6, v3, vcc_lo
	s_and_b32 vcc_lo, vcc_lo, s3
	s_waitcnt lgkmcnt(0)
	v_cndmask_b32_e32 v6, 0, v16, vcc_lo
	ds_bpermute_b32 v31, v30, v8
	v_and_b32_e32 v16, 1, v3
	v_add_nc_u32_e32 v5, v6, v5
	v_cmp_eq_u32_e32 vcc_lo, 1, v16
	v_mov_b32_e32 v16, 0
	ds_bpermute_b32 v6, v30, v5
	v_cmp_eq_u16_sdwa s3, v3, v16 src0_sel:BYTE_0 src1_sel:DWORD
	s_waitcnt lgkmcnt(1)
	v_and_b32_e32 v32, 1, v31
	v_add_nc_u32_e32 v31, 2, v20
	v_cndmask_b32_e64 v33, v32, 1, vcc_lo
	v_cmp_gt_u32_e32 vcc_lo, 28, v20
	v_and_b32_e32 v34, 0xffff, v33
	v_cndmask_b32_e64 v32, 0, 4, vcc_lo
	v_cmp_gt_u32_e32 vcc_lo, v31, v4
	v_add_lshl_u32 v32, v32, v20, 2
	v_cndmask_b32_e32 v8, v34, v8, vcc_lo
	v_cndmask_b32_e32 v35, v33, v3, vcc_lo
	s_waitcnt lgkmcnt(0)
	v_cndmask_b32_e64 v3, 0, v6, s3
	v_add_nc_u32_e32 v33, 4, v20
	ds_bpermute_b32 v6, v32, v8
	v_and_b32_e32 v34, 1, v35
	v_cndmask_b32_e64 v3, v3, 0, vcc_lo
	v_cmp_eq_u16_sdwa s3, v35, v16 src0_sel:BYTE_0 src1_sel:DWORD
	v_cmp_eq_u32_e32 vcc_lo, 1, v34
	v_add_nc_u32_e32 v3, v3, v5
	ds_bpermute_b32 v5, v32, v3
	s_waitcnt lgkmcnt(1)
	v_and_b32_e32 v6, 1, v6
	v_cndmask_b32_e64 v6, v6, 1, vcc_lo
	v_cmp_gt_u32_e32 vcc_lo, 24, v20
	v_and_b32_e32 v36, 0xffff, v6
	v_cndmask_b32_e64 v34, 0, 8, vcc_lo
	v_cmp_gt_u32_e32 vcc_lo, v33, v4
	s_waitcnt lgkmcnt(0)
	v_cndmask_b32_e64 v5, 0, v5, s3
	v_add_lshl_u32 v34, v34, v20, 2
	v_cndmask_b32_e32 v8, v36, v8, vcc_lo
	v_cndmask_b32_e32 v6, v6, v35, vcc_lo
	v_cndmask_b32_e64 v5, v5, 0, vcc_lo
	ds_bpermute_b32 v35, v34, v8
	v_and_b32_e32 v36, 1, v6
	v_add_nc_u32_e32 v3, v5, v3
	v_cmp_eq_u32_e32 vcc_lo, 1, v36
	ds_bpermute_b32 v5, v34, v3
	s_waitcnt lgkmcnt(1)
	v_and_b32_e32 v35, 1, v35
	v_cndmask_b32_e64 v35, v35, 1, vcc_lo
	v_cmp_eq_u16_sdwa vcc_lo, v6, v16 src0_sel:BYTE_0 src1_sel:DWORD
	v_and_b32_e32 v36, 0xffff, v35
	s_waitcnt lgkmcnt(0)
	v_cndmask_b32_e32 v5, 0, v5, vcc_lo
	v_cmp_gt_u32_e32 vcc_lo, v37, v4
	v_cndmask_b32_e64 v5, v5, 0, vcc_lo
	v_cndmask_b32_e32 v8, v36, v8, vcc_lo
	v_cndmask_b32_e32 v6, v35, v6, vcc_lo
	v_add_nc_u32_e32 v3, v5, v3
	ds_bpermute_b32 v5, v38, v8
	v_and_b32_e32 v35, 1, v6
	v_cmp_eq_u16_sdwa vcc_lo, v6, v16 src0_sel:BYTE_0 src1_sel:DWORD
	ds_bpermute_b32 v8, v38, v3
	s_waitcnt lgkmcnt(1)
	v_and_b32_e32 v5, 1, v5
	s_waitcnt lgkmcnt(0)
	v_cndmask_b32_e32 v8, 0, v8, vcc_lo
	v_cmp_eq_u32_e32 vcc_lo, 1, v35
	v_cndmask_b32_e64 v5, v5, 1, vcc_lo
	v_cmp_gt_u32_e32 vcc_lo, v39, v4
	v_cndmask_b32_e32 v4, v5, v6, vcc_lo
	v_cndmask_b32_e64 v5, v8, 0, vcc_lo
	v_add_nc_u32_e32 v3, v5, v3
	s_branch .LBB937_55
.LBB937_52:                             ;   in Loop: Header=BB937_55 Depth=1
	s_or_b32 exec_lo, exec_lo, s14
	v_and_b32_e32 v6, 0xff, v6
.LBB937_53:                             ;   in Loop: Header=BB937_55 Depth=1
	s_or_b32 exec_lo, exec_lo, s3
	ds_bpermute_b32 v3, v17, v6
	v_cmp_eq_u16_sdwa s3, v7, v28 src0_sel:BYTE_0 src1_sel:DWORD
	v_and_b32_e32 v4, 1, v6
	v_subrev_nc_u32_e32 v15, 32, v15
	v_and_or_b32 v8, s3, v29, 0x80000000
	v_cmp_eq_u32_e32 vcc_lo, 1, v4
	v_cmp_gt_u64_e64 s3, s[8:9], v[5:6]
	v_ffbl_b32_e32 v4, v8
	ds_bpermute_b32 v8, v17, v5
	s_waitcnt lgkmcnt(1)
	v_and_b32_e32 v3, 1, v3
	v_cndmask_b32_e64 v3, v3, 1, vcc_lo
	v_cmp_lt_u32_e32 vcc_lo, v20, v4
	v_and_b32_e32 v40, 0xffff, v3
	v_cndmask_b32_e32 v3, v6, v3, vcc_lo
	v_cndmask_b32_e32 v40, v6, v40, vcc_lo
	s_and_b32 vcc_lo, vcc_lo, s3
	v_cmp_eq_u16_sdwa s3, v3, v16 src0_sel:BYTE_0 src1_sel:DWORD
	s_waitcnt lgkmcnt(0)
	v_cndmask_b32_e32 v6, 0, v8, vcc_lo
	v_and_b32_e32 v8, 1, v3
	ds_bpermute_b32 v41, v30, v40
	v_add_nc_u32_e32 v5, v6, v5
	v_cmp_eq_u32_e32 vcc_lo, 1, v8
	ds_bpermute_b32 v6, v30, v5
	s_waitcnt lgkmcnt(1)
	v_and_b32_e32 v41, 1, v41
	v_cndmask_b32_e64 v8, v41, 1, vcc_lo
	v_cmp_gt_u32_e32 vcc_lo, v31, v4
	v_and_b32_e32 v41, 0xffff, v8
	v_cndmask_b32_e32 v8, v8, v3, vcc_lo
	s_waitcnt lgkmcnt(0)
	v_cndmask_b32_e64 v3, 0, v6, s3
	v_cndmask_b32_e32 v40, v41, v40, vcc_lo
	v_and_b32_e32 v41, 1, v8
	v_cndmask_b32_e64 v3, v3, 0, vcc_lo
	v_cmp_eq_u16_sdwa s3, v8, v16 src0_sel:BYTE_0 src1_sel:DWORD
	ds_bpermute_b32 v6, v32, v40
	v_cmp_eq_u32_e32 vcc_lo, 1, v41
	v_add_nc_u32_e32 v3, v3, v5
	ds_bpermute_b32 v5, v32, v3
	s_waitcnt lgkmcnt(1)
	v_and_b32_e32 v6, 1, v6
	v_cndmask_b32_e64 v6, v6, 1, vcc_lo
	v_cmp_gt_u32_e32 vcc_lo, v33, v4
	s_waitcnt lgkmcnt(0)
	v_cndmask_b32_e64 v5, 0, v5, s3
	s_mov_b32 s3, 0
	v_and_b32_e32 v41, 0xffff, v6
	v_cndmask_b32_e32 v6, v6, v8, vcc_lo
	v_cndmask_b32_e64 v5, v5, 0, vcc_lo
	v_cndmask_b32_e32 v8, v41, v40, vcc_lo
	v_and_b32_e32 v41, 1, v6
	v_add_nc_u32_e32 v3, v5, v3
	ds_bpermute_b32 v40, v34, v8
	v_cmp_eq_u32_e32 vcc_lo, 1, v41
	ds_bpermute_b32 v5, v34, v3
	s_waitcnt lgkmcnt(1)
	v_and_b32_e32 v40, 1, v40
	v_cndmask_b32_e64 v40, v40, 1, vcc_lo
	v_cmp_eq_u16_sdwa vcc_lo, v6, v16 src0_sel:BYTE_0 src1_sel:DWORD
	v_and_b32_e32 v41, 0xffff, v40
	s_waitcnt lgkmcnt(0)
	v_cndmask_b32_e32 v5, 0, v5, vcc_lo
	v_cmp_gt_u32_e32 vcc_lo, v37, v4
	v_cndmask_b32_e64 v5, v5, 0, vcc_lo
	v_cndmask_b32_e32 v8, v41, v8, vcc_lo
	v_cndmask_b32_e32 v6, v40, v6, vcc_lo
	v_add_nc_u32_e32 v3, v5, v3
	ds_bpermute_b32 v5, v38, v8
	v_and_b32_e32 v40, 1, v6
	ds_bpermute_b32 v8, v38, v3
	v_cmp_eq_u32_e32 vcc_lo, 1, v40
	s_waitcnt lgkmcnt(1)
	v_cndmask_b32_e64 v5, v5, 1, vcc_lo
	v_cmp_eq_u16_sdwa vcc_lo, v6, v16 src0_sel:BYTE_0 src1_sel:DWORD
	s_waitcnt lgkmcnt(0)
	v_cndmask_b32_e32 v8, 0, v8, vcc_lo
	v_cmp_gt_u32_e32 vcc_lo, v39, v4
	v_cndmask_b32_e32 v4, v5, v6, vcc_lo
	v_cndmask_b32_e64 v5, v8, 0, vcc_lo
	v_cmp_eq_u16_sdwa vcc_lo, v35, v16 src0_sel:BYTE_0 src1_sel:DWORD
	v_and_b32_e32 v4, 1, v4
	v_add_nc_u32_e32 v3, v5, v3
	v_and_b32_e32 v5, 1, v35
	v_cndmask_b32_e32 v3, 0, v3, vcc_lo
	v_cmp_eq_u32_e32 vcc_lo, 1, v5
	v_add_nc_u32_e32 v3, v3, v36
	v_cndmask_b32_e64 v4, v4, 1, vcc_lo
.LBB937_54:                             ;   in Loop: Header=BB937_55 Depth=1
	s_and_b32 vcc_lo, exec_lo, s3
	s_cbranch_vccnz .LBB937_60
.LBB937_55:                             ; =>This Loop Header: Depth=1
                                        ;     Child Loop BB937_58 Depth 2
	v_cmp_ne_u16_sdwa s3, v7, v28 src0_sel:BYTE_0 src1_sel:DWORD
	v_mov_b32_e32 v35, v4
	v_mov_b32_e32 v36, v3
                                        ; implicit-def: $vgpr4
                                        ; implicit-def: $vgpr3
                                        ; implicit-def: $vgpr7
	s_cmp_lg_u32 s3, exec_lo
	s_mov_b32 s3, -1
	s_cbranch_scc1 .LBB937_54
; %bb.56:                               ;   in Loop: Header=BB937_55 Depth=1
	v_lshlrev_b64 v[3:4], 4, v[15:16]
	v_add_co_u32 v3, vcc_lo, s16, v3
	v_add_co_ci_u32_e64 v4, null, s17, v4, vcc_lo
	;;#ASMSTART
	global_load_dwordx4 v[5:8], v[3:4] off glc dlc	
s_waitcnt vmcnt(0)
	;;#ASMEND
	v_and_b32_e32 v6, 0xff, v6
	v_cmp_eq_u16_sdwa s14, v7, v16 src0_sel:BYTE_0 src1_sel:DWORD
	s_and_saveexec_b32 s3, s14
	s_cbranch_execz .LBB937_53
; %bb.57:                               ;   in Loop: Header=BB937_55 Depth=1
	s_mov_b32 s14, 0
.LBB937_58:                             ;   Parent Loop BB937_55 Depth=1
                                        ; =>  This Inner Loop Header: Depth=2
	;;#ASMSTART
	global_load_dwordx4 v[5:8], v[3:4] off glc dlc	
s_waitcnt vmcnt(0)
	;;#ASMEND
	v_cmp_ne_u16_sdwa s15, v7, v16 src0_sel:BYTE_0 src1_sel:DWORD
	s_or_b32 s14, s15, s14
	s_andn2_b32 exec_lo, exec_lo, s14
	s_cbranch_execnz .LBB937_58
	s_branch .LBB937_52
.LBB937_59:
                                        ; implicit-def: $vgpr7
                                        ; implicit-def: $vgpr5
                                        ; implicit-def: $vgpr6
	s_load_dwordx2 s[6:7], s[4:5], 0x20
	s_cbranch_execnz .LBB937_65
	s_branch .LBB937_82
.LBB937_60:
	s_and_saveexec_b32 s3, s2
	s_cbranch_execz .LBB937_62
; %bb.61:
	v_mov_b32_e32 v4, 0
	v_and_b32_e32 v3, 1, v2
	s_mov_b32 s9, 0
	s_add_i32 s8, s6, 32
	v_and_b32_e32 v5, 1, v35
	v_cmp_eq_u32_sdwa vcc_lo, v2, v4 src0_sel:BYTE_0 src1_sel:DWORD
	s_lshl_b64 s[8:9], s[8:9], 4
	s_add_u32 s8, s16, s8
	s_addc_u32 s9, s17, s9
	v_cndmask_b32_e32 v2, 0, v36, vcc_lo
	v_cmp_eq_u32_e32 vcc_lo, 1, v3
	v_mov_b32_e32 v3, 2
	v_add_nc_u32_e32 v1, v2, v1
	v_cndmask_b32_e64 v2, v5, 1, vcc_lo
	v_mov_b32_e32 v5, s8
	v_mov_b32_e32 v6, s9
	;;#ASMSTART
	global_store_dwordx4 v[5:6], v[1:4] off	
s_waitcnt vmcnt(0)
	;;#ASMEND
.LBB937_62:
	s_or_b32 exec_lo, exec_lo, s3
	v_cmp_eq_u32_e32 vcc_lo, 0, v0
	s_and_b32 exec_lo, exec_lo, vcc_lo
	s_cbranch_execz .LBB937_64
; %bb.63:
	v_mov_b32_e32 v1, 0
	ds_write_b32 v1, v36 offset:56
	ds_write_b8 v1, v35 offset:60
.LBB937_64:
	s_or_b32 exec_lo, exec_lo, s7
	s_waitcnt lgkmcnt(0)
	v_cndmask_b32_e64 v2, v27, v25, s2
	v_and_b32_e32 v4, 1, v10
	v_mov_b32_e32 v1, 0
	v_cndmask_b32_e64 v5, v26, v24, s2
	s_mov_b32 s2, 0
	v_and_b32_e32 v2, 1, v2
	v_cmp_eq_u32_e32 vcc_lo, 1, v4
	s_mov_b32 s3, 1
	s_barrier
	buffer_gl0_inv
	v_cndmask_b32_e64 v2, v2, 1, vcc_lo
	v_cmp_gt_u64_e32 vcc_lo, s[2:3], v[9:10]
	ds_read_b32 v3, v1 offset:56
	v_cndmask_b32_e32 v4, 0, v5, vcc_lo
	v_cmp_eq_u32_e32 vcc_lo, 0, v0
	v_cndmask_b32_e32 v2, v2, v10, vcc_lo
	v_cndmask_b32_e64 v4, v4, 0, vcc_lo
	v_cmp_eq_u16_sdwa vcc_lo, v2, v1 src0_sel:BYTE_0 src1_sel:DWORD
	s_waitcnt lgkmcnt(0)
	v_cndmask_b32_e32 v1, 0, v3, vcc_lo
	v_add3_u32 v7, v4, v9, v1
	v_cndmask_b32_e64 v1, 0, v7, s0
	v_add_nc_u32_e32 v5, v1, v11
	v_cndmask_b32_e64 v1, 0, v5, s1
	v_add_nc_u32_e32 v6, v1, v13
	s_load_dwordx2 s[6:7], s[4:5], 0x20
	s_branch .LBB937_82
.LBB937_65:
	s_cmp_lg_u64 s[22:23], 0
	v_cmp_eq_u32_e32 vcc_lo, 0, v0
	s_cselect_b32 s1, -1, 0
	s_cmp_lg_u64 s[10:11], 0
	v_cmp_ne_u32_e64 s0, 0, v0
	s_cselect_b32 s2, -1, 0
	s_mov_b32 s4, 0
	s_and_b32 s1, s1, s2
	s_and_b32 s1, vcc_lo, s1
	s_and_saveexec_b32 s2, s1
	s_cbranch_execz .LBB937_67
; %bb.66:
	v_mov_b32_e32 v1, 0
	s_mov_b32 s5, 1
	s_clause 0x1
	global_load_dword v2, v1, s[10:11]
	global_load_ubyte v3, v1, s[10:11] offset:4
	v_cmp_gt_u64_e64 s1, s[4:5], v[9:10]
	s_waitcnt vmcnt(1)
	v_cndmask_b32_e64 v4, 0, v2, s1
	v_and_b32_e32 v2, 1, v10
	s_waitcnt vmcnt(0)
	v_and_b32_e32 v3, 1, v3
	v_add_nc_u32_e32 v9, v4, v9
	v_cmp_eq_u64_e64 s1, 0, v[1:2]
	v_cndmask_b32_e64 v10, 1, v3, s1
.LBB937_67:
	s_or_b32 exec_lo, exec_lo, s2
	v_and_b32_e32 v2, 0xff, v23
	v_mov_b32_e32 v1, 0
	s_mov_b32 s5, 1
	v_and_b32_e32 v7, 15, v20
	v_cmp_eq_u64_e64 s1, 0, v[1:2]
	v_cmp_eq_u32_e64 s3, 0, v7
	v_cndmask_b32_e64 v2, 1, v10, s1
	v_cmp_gt_u64_e64 s1, s[4:5], v[11:12]
	v_and_b32_e32 v3, 0xff, v2
	v_and_b32_e32 v6, 1, v2
	v_cndmask_b32_e64 v5, 0, v9, s1
	v_mov_b32_dpp v4, v3 row_shr:1 row_mask:0xf bank_mask:0xf
	v_cmp_eq_u32_e64 s2, 1, v6
	v_add_nc_u32_e32 v5, v5, v11
	v_and_b32_e32 v4, 1, v4
	v_cndmask_b32_e64 v4, v4, 1, s2
	v_cmp_gt_u64_e64 s2, s[4:5], v[13:14]
	v_cmp_eq_u16_e64 s4, 0, v3
	v_cndmask_b32_e64 v8, v4, v3, s3
	v_cndmask_b32_e64 v2, v4, v2, s3
	;; [unrolled: 1-line block ×3, first 2 shown]
	v_mov_b32_dpp v4, v8 row_shr:2 row_mask:0xf bank_mask:0xf
	v_and_b32_e32 v14, 1, v2
	v_add_nc_u32_e32 v6, v6, v13
	v_and_b32_e32 v4, 1, v4
	v_mov_b32_dpp v12, v6 row_shr:1 row_mask:0xf bank_mask:0xf
	v_cndmask_b32_e64 v3, 0, v12, s4
	v_cmp_eq_u32_e64 s4, 1, v14
	v_cndmask_b32_e64 v3, v3, 0, s3
	v_cndmask_b32_e64 v4, v4, 1, s4
	v_cmp_lt_u32_e64 s4, 1, v7
	v_cmp_eq_u16_sdwa s3, v2, v1 src0_sel:BYTE_0 src1_sel:DWORD
	v_add_nc_u32_e32 v3, v3, v6
	v_cndmask_b32_e64 v12, v2, v4, s4
	v_cndmask_b32_e64 v4, v8, v4, s4
	s_and_b32 s3, s4, s3
	v_mov_b32_dpp v2, v3 row_shr:2 row_mask:0xf bank_mask:0xf
	v_and_b32_e32 v14, 1, v12
	v_mov_b32_dpp v8, v4 row_shr:4 row_mask:0xf bank_mask:0xf
	v_cmp_eq_u16_sdwa s4, v12, v1 src0_sel:BYTE_0 src1_sel:DWORD
	v_cndmask_b32_e64 v2, 0, v2, s3
	v_cmp_eq_u32_e64 s3, 1, v14
	v_and_b32_e32 v8, 1, v8
	v_add_nc_u32_e32 v2, v2, v3
	v_cndmask_b32_e64 v8, v8, 1, s3
	v_cmp_lt_u32_e64 s3, 3, v7
	v_cndmask_b32_e64 v3, v12, v8, s3
	v_cndmask_b32_e64 v4, v4, v8, s3
	v_mov_b32_dpp v8, v2 row_shr:4 row_mask:0xf bank_mask:0xf
	s_and_b32 s3, s3, s4
	v_and_b32_e32 v14, 1, v3
	v_mov_b32_dpp v12, v4 row_shr:8 row_mask:0xf bank_mask:0xf
	v_cndmask_b32_e64 v8, 0, v8, s3
	v_cmp_eq_u16_sdwa s4, v3, v1 src0_sel:BYTE_0 src1_sel:DWORD
	v_cmp_eq_u32_e64 s3, 1, v14
	v_and_b32_e32 v12, 1, v12
	v_add_nc_u32_e32 v2, v8, v2
	v_cndmask_b32_e64 v8, v12, 1, s3
	v_cmp_lt_u32_e64 s3, 7, v7
	v_mov_b32_dpp v7, v2 row_shr:8 row_mask:0xf bank_mask:0xf
	v_bfe_i32 v12, v20, 4, 1
	s_and_b32 s4, s3, s4
	v_cndmask_b32_e64 v4, v4, v8, s3
	v_cndmask_b32_e64 v7, 0, v7, s4
	;; [unrolled: 1-line block ×3, first 2 shown]
	s_mov_b32 s4, exec_lo
	v_add_nc_u32_e32 v2, v7, v2
	ds_swizzle_b32 v7, v4 offset:swizzle(BROADCAST,32,15)
	v_and_b32_e32 v14, 1, v3
	v_cmp_eq_u16_sdwa s3, v3, v1 src0_sel:BYTE_0 src1_sel:DWORD
	v_and_b32_e32 v3, 16, v20
	ds_swizzle_b32 v8, v2 offset:swizzle(BROADCAST,32,15)
	s_waitcnt lgkmcnt(0)
	v_and_b32_e32 v7, 1, v7
	v_cndmask_b32_e64 v1, 0, v8, s3
	v_cmp_eq_u32_e64 s3, 1, v14
	v_and_b32_e32 v1, v12, v1
	v_cndmask_b32_e64 v7, v7, 1, s3
	v_cmp_eq_u32_e64 s3, 0, v3
	v_add_nc_u32_e32 v3, v1, v2
	v_cndmask_b32_e64 v4, v7, v4, s3
	v_cmpx_eq_u32_e64 v0, v22
	s_cbranch_execz .LBB937_69
; %bb.68:
	v_lshlrev_b32_e32 v1, 3, v21
	ds_write_b32 v1, v3
	ds_write_b8 v1, v4 offset:4
.LBB937_69:
	s_or_b32 exec_lo, exec_lo, s4
	s_mov_b32 s4, exec_lo
	s_waitcnt lgkmcnt(0)
	s_barrier
	buffer_gl0_inv
	v_cmpx_gt_u32_e32 8, v0
	s_cbranch_execz .LBB937_75
; %bb.70:
	ds_read_b64 v[1:2], v19
	v_and_b32_e32 v7, 7, v20
	s_mov_b32 s5, exec_lo
	s_waitcnt lgkmcnt(0)
	v_and_b32_e32 v8, 0xffffff00, v2
	v_mov_b32_dpp v14, v1 row_shr:1 row_mask:0xf bank_mask:0xf
	v_mov_b32_dpp v15, v2 row_shr:1 row_mask:0xf bank_mask:0xf
	v_mov_b32_e32 v12, v2
	v_cmpx_ne_u32_e32 0, v7
	s_cbranch_execz .LBB937_72
; %bb.71:
	v_mov_b32_e32 v12, 0
	v_and_b32_e32 v16, 1, v2
	v_and_b32_e32 v15, 1, v15
	v_cmp_eq_u16_sdwa s3, v2, v12 src0_sel:BYTE_0 src1_sel:DWORD
	v_cndmask_b32_e64 v2, 0, v14, s3
	v_cmp_eq_u32_e64 s3, 1, v16
	v_add_nc_u32_e32 v1, v2, v1
	v_cndmask_b32_e64 v14, v15, 1, s3
	v_or_b32_sdwa v12, v8, v14 dst_sel:DWORD dst_unused:UNUSED_PAD src0_sel:DWORD src1_sel:WORD_0
	v_mov_b32_e32 v2, v14
.LBB937_72:
	s_or_b32 exec_lo, exec_lo, s5
	v_mov_b32_dpp v14, v1 row_shr:2 row_mask:0xf bank_mask:0xf
	v_mov_b32_dpp v15, v12 row_shr:2 row_mask:0xf bank_mask:0xf
	s_mov_b32 s5, exec_lo
	v_cmpx_lt_u32_e32 1, v7
	s_cbranch_execz .LBB937_74
; %bb.73:
	v_mov_b32_e32 v12, 0
	v_and_b32_e32 v16, 1, v2
	v_and_b32_e32 v15, 1, v15
	v_cmp_eq_u16_sdwa s3, v2, v12 src0_sel:BYTE_0 src1_sel:DWORD
	v_cndmask_b32_e64 v2, 0, v14, s3
	v_cmp_eq_u32_e64 s3, 1, v16
	v_add_nc_u32_e32 v1, v2, v1
	v_cndmask_b32_e64 v14, v15, 1, s3
	v_or_b32_sdwa v12, v8, v14 dst_sel:DWORD dst_unused:UNUSED_PAD src0_sel:DWORD src1_sel:WORD_0
	v_mov_b32_e32 v2, v14
.LBB937_74:
	s_or_b32 exec_lo, exec_lo, s5
	v_mov_b32_dpp v8, v12 row_shr:4 row_mask:0xf bank_mask:0xf
	v_and_b32_e32 v14, 1, v2
	v_mov_b32_e32 v12, 0
	v_and_b32_e32 v8, 1, v8
	v_cmp_eq_u32_e64 s3, 1, v14
	v_cmp_eq_u16_sdwa s5, v2, v12 src0_sel:BYTE_0 src1_sel:DWORD
	v_cndmask_b32_e64 v8, v8, 1, s3
	v_cmp_lt_u32_e64 s3, 3, v7
	v_mov_b32_dpp v7, v1 row_shr:4 row_mask:0xf bank_mask:0xf
	v_cndmask_b32_e64 v2, v2, v8, s3
	s_and_b32 s3, s3, s5
	v_cndmask_b32_e64 v7, 0, v7, s3
	v_add_nc_u32_e32 v1, v7, v1
	ds_write_b32 v19, v1
	ds_write_b8 v19, v2 offset:4
.LBB937_75:
	s_or_b32 exec_lo, exec_lo, s4
	v_mov_b32_e32 v1, 0
	s_mov_b32 s4, exec_lo
	s_waitcnt lgkmcnt(0)
	s_barrier
	buffer_gl0_inv
	v_cmpx_lt_u32_e32 31, v0
	s_cbranch_execz .LBB937_77
; %bb.76:
	v_lshl_add_u32 v1, v21, 3, -8
	v_cmp_eq_u32_e64 s3, 0, v4
	ds_read_b32 v1, v1
	s_waitcnt lgkmcnt(0)
	v_cndmask_b32_e64 v2, 0, v1, s3
	v_add_nc_u32_e32 v3, v2, v3
.LBB937_77:
	s_or_b32 exec_lo, exec_lo, s4
	v_add_nc_u32_e32 v2, -1, v20
	s_mov_b32 s4, 0
	v_cmp_gt_i32_e64 s3, 0, v2
	v_cndmask_b32_e64 v2, v2, v20, s3
	v_lshlrev_b32_e32 v2, 2, v2
	ds_bpermute_b32 v2, v2, v3
	s_and_saveexec_b32 s3, s0
	s_cbranch_execz .LBB937_79
; %bb.78:
	v_cmp_eq_u32_e64 s0, 0, v20
	s_mov_b32 s5, 1
	;;#ASMSTART
	;;#ASMEND
	s_waitcnt lgkmcnt(0)
	v_cndmask_b32_e64 v1, v2, v1, s0
	v_cmp_gt_u64_e64 s0, s[4:5], v[9:10]
	v_cndmask_b32_e64 v1, 0, v1, s0
	v_add_nc_u32_e32 v9, v1, v9
	v_cndmask_b32_e64 v1, 0, v9, s1
	v_add_nc_u32_e32 v5, v1, v11
	v_cndmask_b32_e64 v1, 0, v5, s2
	v_add_nc_u32_e32 v6, v1, v13
.LBB937_79:
	s_or_b32 exec_lo, exec_lo, s3
	s_and_saveexec_b32 s0, vcc_lo
	s_cbranch_execz .LBB937_81
; %bb.80:
	v_mov_b32_e32 v4, 0
	s_add_u32 s2, s16, 0x200
	s_addc_u32 s3, s17, 0
	v_mov_b32_e32 v3, 2
	v_mov_b32_e32 v8, s3
	ds_read_b32 v1, v4 offset:56
	s_waitcnt lgkmcnt(1)
	ds_read_u8 v2, v4 offset:60
	v_mov_b32_e32 v7, s2
	s_waitcnt lgkmcnt(0)
	;;#ASMSTART
	global_store_dwordx4 v[7:8], v[1:4] off	
s_waitcnt vmcnt(0)
	;;#ASMEND
.LBB937_81:
	s_or_b32 exec_lo, exec_lo, s0
	v_mov_b32_e32 v7, v9
.LBB937_82:
	s_waitcnt lgkmcnt(0)
	s_add_u32 s0, s6, s20
	v_mov_b32_e32 v3, 0
	s_addc_u32 s1, s7, s21
	s_add_u32 s0, s0, s12
	s_addc_u32 s1, s1, s13
	s_and_b32 vcc_lo, exec_lo, s19
	s_cbranch_vccz .LBB937_94
; %bb.83:
	v_mul_u32_u24_e32 v1, 3, v0
	v_mov_b32_e32 v4, 0
	v_mov_b32_e32 v2, 0
	s_add_i32 s30, s30, s18
	s_mov_b32 s2, exec_lo
	v_cmpx_gt_u32_e64 s30, v1
	s_cbranch_execz .LBB937_89
; %bb.84:
	v_add_nc_u32_e32 v3, 1, v1
	v_mov_b32_e32 v2, 0
	v_mov_b32_e32 v4, 0
	s_mov_b32 s3, exec_lo
	v_cmpx_gt_u32_e64 s30, v3
	s_cbranch_execz .LBB937_88
; %bb.85:
	v_add_nc_u32_e32 v2, 2, v1
	v_cmp_gt_u32_e32 vcc_lo, s30, v2
	v_mov_b32_e32 v2, 0
	s_and_saveexec_b32 s4, vcc_lo
; %bb.86:
	v_mov_b32_e32 v2, v6
; %bb.87:
	s_or_b32 exec_lo, exec_lo, s4
	v_mov_b32_e32 v4, v5
.LBB937_88:
	s_or_b32 exec_lo, exec_lo, s3
	v_mov_b32_e32 v3, v7
.LBB937_89:
	s_or_b32 exec_lo, exec_lo, s2
	v_lshlrev_b32_e32 v8, 2, v1
	s_barrier
	buffer_gl0_inv
	v_sub_nc_u32_e32 v1, v8, v19
	ds_write2_b32 v8, v3, v4 offset1:1
	ds_write_b32 v8, v2 offset:8
	s_waitcnt lgkmcnt(0)
	s_barrier
	buffer_gl0_inv
	ds_read2st64_b32 v[1:2], v1 offset0:4 offset1:8
	v_add_co_u32 v3, s2, s0, v18
	v_add_co_ci_u32_e64 v4, null, s1, 0, s2
	s_mov_b32 s2, exec_lo
	v_cmpx_gt_u32_e64 s30, v0
	s_cbranch_execz .LBB937_91
; %bb.90:
	v_sub_nc_u32_e32 v9, 0, v19
	v_add_nc_u32_e32 v8, v8, v9
	ds_read_b32 v8, v8
	s_waitcnt lgkmcnt(0)
	flat_store_dword v[3:4], v8
.LBB937_91:
	s_or_b32 exec_lo, exec_lo, s2
	v_or_b32_e32 v8, 0x100, v0
	s_mov_b32 s2, exec_lo
	v_cmpx_gt_u32_e64 s30, v8
	s_cbranch_execz .LBB937_93
; %bb.92:
	s_waitcnt lgkmcnt(0)
	flat_store_dword v[3:4], v1 offset:1024
.LBB937_93:
	s_or_b32 exec_lo, exec_lo, s2
	s_waitcnt lgkmcnt(0)
	v_or_b32_e32 v1, 0x200, v0
	v_cmp_gt_u32_e64 s2, s30, v1
	s_branch .LBB937_96
.LBB937_94:
	s_mov_b32 s2, 0
                                        ; implicit-def: $vgpr2
	s_cbranch_execz .LBB937_96
; %bb.95:
	v_mul_u32_u24_e32 v1, 12, v0
	s_waitcnt_vscnt null, 0x0
	s_barrier
	buffer_gl0_inv
	s_or_b32 s2, s2, exec_lo
	v_sub_nc_u32_e32 v2, v1, v19
	ds_write2_b32 v1, v7, v5 offset1:1
	ds_write_b32 v1, v6 offset:8
	s_waitcnt lgkmcnt(0)
	s_barrier
	buffer_gl0_inv
	ds_read2st64_b32 v[3:4], v2 offset1:4
	ds_read_b32 v2, v2 offset:2048
	v_add_co_u32 v5, s3, s0, v18
	v_add_co_ci_u32_e64 v6, null, s1, 0, s3
	s_waitcnt lgkmcnt(1)
	flat_store_dword v[5:6], v3
	flat_store_dword v[5:6], v4 offset:1024
.LBB937_96:
	s_and_saveexec_b32 s3, s2
	s_cbranch_execnz .LBB937_98
; %bb.97:
	s_endpgm
.LBB937_98:
	v_lshlrev_b32_e32 v0, 2, v0
	v_add_co_u32 v0, s0, s0, v0
	v_add_co_ci_u32_e64 v1, null, s1, 0, s0
	v_add_co_u32 v0, vcc_lo, 0x800, v0
	v_add_co_ci_u32_e64 v1, null, 0, v1, vcc_lo
	s_waitcnt lgkmcnt(2)
	flat_store_dword v[0:1], v2
	s_endpgm
.LBB937_99:
	global_load_dword v2, v9, s[24:25]
	v_mov_b32_e32 v11, v1
	v_mov_b32_e32 v12, v1
	s_waitcnt vmcnt(0)
	v_sub_nc_u32_e32 v10, 0, v2
	v_mov_b32_e32 v1, v10
	v_mov_b32_e32 v2, v11
	;; [unrolled: 1-line block ×3, first 2 shown]
	s_or_b32 exec_lo, exec_lo, s8
	s_and_saveexec_b32 s0, s1
	s_cbranch_execz .LBB937_15
.LBB937_100:
	global_load_dword v2, v9, s[24:25] offset:1024
	s_waitcnt vmcnt(0)
	v_sub_nc_u32_e32 v2, 0, v2
	s_or_b32 exec_lo, exec_lo, s0
	s_and_saveexec_b32 s0, s2
	s_cbranch_execnz .LBB937_16
	s_branch .LBB937_17
.LBB937_101:
                                        ; implicit-def: $sgpr8_sgpr9
	s_branch .LBB937_10
.LBB937_102:
                                        ; implicit-def: $sgpr0_sgpr1
	s_branch .LBB937_26
	.section	.rodata,"a",@progbits
	.p2align	6, 0x0
	.amdhsa_kernel _ZN7rocprim17ROCPRIM_400000_NS6detail17trampoline_kernelINS0_14default_configENS1_27scan_by_key_config_selectorIiiEEZZNS1_16scan_by_key_implILNS1_25lookback_scan_determinismE0ELb0ES3_N6thrust23THRUST_200600_302600_NS6detail15normal_iteratorINS9_10device_ptrIiEEEENS9_18transform_iteratorINS9_6negateIiEESE_NS9_11use_defaultESI_EESE_iNS9_4plusIvEENS9_8equal_toIvEEiEE10hipError_tPvRmT2_T3_T4_T5_mT6_T7_P12ihipStream_tbENKUlT_T0_E_clISt17integral_constantIbLb0EES14_EEDaSZ_S10_EUlSZ_E_NS1_11comp_targetILNS1_3genE8ELNS1_11target_archE1030ELNS1_3gpuE2ELNS1_3repE0EEENS1_30default_config_static_selectorELNS0_4arch9wavefront6targetE0EEEvT1_
		.amdhsa_group_segment_fixed_size 5120
		.amdhsa_private_segment_fixed_size 0
		.amdhsa_kernarg_size 120
		.amdhsa_user_sgpr_count 6
		.amdhsa_user_sgpr_private_segment_buffer 1
		.amdhsa_user_sgpr_dispatch_ptr 0
		.amdhsa_user_sgpr_queue_ptr 0
		.amdhsa_user_sgpr_kernarg_segment_ptr 1
		.amdhsa_user_sgpr_dispatch_id 0
		.amdhsa_user_sgpr_flat_scratch_init 0
		.amdhsa_user_sgpr_private_segment_size 0
		.amdhsa_wavefront_size32 1
		.amdhsa_uses_dynamic_stack 0
		.amdhsa_system_sgpr_private_segment_wavefront_offset 0
		.amdhsa_system_sgpr_workgroup_id_x 1
		.amdhsa_system_sgpr_workgroup_id_y 0
		.amdhsa_system_sgpr_workgroup_id_z 0
		.amdhsa_system_sgpr_workgroup_info 0
		.amdhsa_system_vgpr_workitem_id 0
		.amdhsa_next_free_vgpr 42
		.amdhsa_next_free_sgpr 31
		.amdhsa_reserve_vcc 1
		.amdhsa_reserve_flat_scratch 1
		.amdhsa_float_round_mode_32 0
		.amdhsa_float_round_mode_16_64 0
		.amdhsa_float_denorm_mode_32 3
		.amdhsa_float_denorm_mode_16_64 3
		.amdhsa_dx10_clamp 1
		.amdhsa_ieee_mode 1
		.amdhsa_fp16_overflow 0
		.amdhsa_workgroup_processor_mode 1
		.amdhsa_memory_ordered 1
		.amdhsa_forward_progress 1
		.amdhsa_shared_vgpr_count 0
		.amdhsa_exception_fp_ieee_invalid_op 0
		.amdhsa_exception_fp_denorm_src 0
		.amdhsa_exception_fp_ieee_div_zero 0
		.amdhsa_exception_fp_ieee_overflow 0
		.amdhsa_exception_fp_ieee_underflow 0
		.amdhsa_exception_fp_ieee_inexact 0
		.amdhsa_exception_int_div_zero 0
	.end_amdhsa_kernel
	.section	.text._ZN7rocprim17ROCPRIM_400000_NS6detail17trampoline_kernelINS0_14default_configENS1_27scan_by_key_config_selectorIiiEEZZNS1_16scan_by_key_implILNS1_25lookback_scan_determinismE0ELb0ES3_N6thrust23THRUST_200600_302600_NS6detail15normal_iteratorINS9_10device_ptrIiEEEENS9_18transform_iteratorINS9_6negateIiEESE_NS9_11use_defaultESI_EESE_iNS9_4plusIvEENS9_8equal_toIvEEiEE10hipError_tPvRmT2_T3_T4_T5_mT6_T7_P12ihipStream_tbENKUlT_T0_E_clISt17integral_constantIbLb0EES14_EEDaSZ_S10_EUlSZ_E_NS1_11comp_targetILNS1_3genE8ELNS1_11target_archE1030ELNS1_3gpuE2ELNS1_3repE0EEENS1_30default_config_static_selectorELNS0_4arch9wavefront6targetE0EEEvT1_,"axG",@progbits,_ZN7rocprim17ROCPRIM_400000_NS6detail17trampoline_kernelINS0_14default_configENS1_27scan_by_key_config_selectorIiiEEZZNS1_16scan_by_key_implILNS1_25lookback_scan_determinismE0ELb0ES3_N6thrust23THRUST_200600_302600_NS6detail15normal_iteratorINS9_10device_ptrIiEEEENS9_18transform_iteratorINS9_6negateIiEESE_NS9_11use_defaultESI_EESE_iNS9_4plusIvEENS9_8equal_toIvEEiEE10hipError_tPvRmT2_T3_T4_T5_mT6_T7_P12ihipStream_tbENKUlT_T0_E_clISt17integral_constantIbLb0EES14_EEDaSZ_S10_EUlSZ_E_NS1_11comp_targetILNS1_3genE8ELNS1_11target_archE1030ELNS1_3gpuE2ELNS1_3repE0EEENS1_30default_config_static_selectorELNS0_4arch9wavefront6targetE0EEEvT1_,comdat
.Lfunc_end937:
	.size	_ZN7rocprim17ROCPRIM_400000_NS6detail17trampoline_kernelINS0_14default_configENS1_27scan_by_key_config_selectorIiiEEZZNS1_16scan_by_key_implILNS1_25lookback_scan_determinismE0ELb0ES3_N6thrust23THRUST_200600_302600_NS6detail15normal_iteratorINS9_10device_ptrIiEEEENS9_18transform_iteratorINS9_6negateIiEESE_NS9_11use_defaultESI_EESE_iNS9_4plusIvEENS9_8equal_toIvEEiEE10hipError_tPvRmT2_T3_T4_T5_mT6_T7_P12ihipStream_tbENKUlT_T0_E_clISt17integral_constantIbLb0EES14_EEDaSZ_S10_EUlSZ_E_NS1_11comp_targetILNS1_3genE8ELNS1_11target_archE1030ELNS1_3gpuE2ELNS1_3repE0EEENS1_30default_config_static_selectorELNS0_4arch9wavefront6targetE0EEEvT1_, .Lfunc_end937-_ZN7rocprim17ROCPRIM_400000_NS6detail17trampoline_kernelINS0_14default_configENS1_27scan_by_key_config_selectorIiiEEZZNS1_16scan_by_key_implILNS1_25lookback_scan_determinismE0ELb0ES3_N6thrust23THRUST_200600_302600_NS6detail15normal_iteratorINS9_10device_ptrIiEEEENS9_18transform_iteratorINS9_6negateIiEESE_NS9_11use_defaultESI_EESE_iNS9_4plusIvEENS9_8equal_toIvEEiEE10hipError_tPvRmT2_T3_T4_T5_mT6_T7_P12ihipStream_tbENKUlT_T0_E_clISt17integral_constantIbLb0EES14_EEDaSZ_S10_EUlSZ_E_NS1_11comp_targetILNS1_3genE8ELNS1_11target_archE1030ELNS1_3gpuE2ELNS1_3repE0EEENS1_30default_config_static_selectorELNS0_4arch9wavefront6targetE0EEEvT1_
                                        ; -- End function
	.set _ZN7rocprim17ROCPRIM_400000_NS6detail17trampoline_kernelINS0_14default_configENS1_27scan_by_key_config_selectorIiiEEZZNS1_16scan_by_key_implILNS1_25lookback_scan_determinismE0ELb0ES3_N6thrust23THRUST_200600_302600_NS6detail15normal_iteratorINS9_10device_ptrIiEEEENS9_18transform_iteratorINS9_6negateIiEESE_NS9_11use_defaultESI_EESE_iNS9_4plusIvEENS9_8equal_toIvEEiEE10hipError_tPvRmT2_T3_T4_T5_mT6_T7_P12ihipStream_tbENKUlT_T0_E_clISt17integral_constantIbLb0EES14_EEDaSZ_S10_EUlSZ_E_NS1_11comp_targetILNS1_3genE8ELNS1_11target_archE1030ELNS1_3gpuE2ELNS1_3repE0EEENS1_30default_config_static_selectorELNS0_4arch9wavefront6targetE0EEEvT1_.num_vgpr, 42
	.set _ZN7rocprim17ROCPRIM_400000_NS6detail17trampoline_kernelINS0_14default_configENS1_27scan_by_key_config_selectorIiiEEZZNS1_16scan_by_key_implILNS1_25lookback_scan_determinismE0ELb0ES3_N6thrust23THRUST_200600_302600_NS6detail15normal_iteratorINS9_10device_ptrIiEEEENS9_18transform_iteratorINS9_6negateIiEESE_NS9_11use_defaultESI_EESE_iNS9_4plusIvEENS9_8equal_toIvEEiEE10hipError_tPvRmT2_T3_T4_T5_mT6_T7_P12ihipStream_tbENKUlT_T0_E_clISt17integral_constantIbLb0EES14_EEDaSZ_S10_EUlSZ_E_NS1_11comp_targetILNS1_3genE8ELNS1_11target_archE1030ELNS1_3gpuE2ELNS1_3repE0EEENS1_30default_config_static_selectorELNS0_4arch9wavefront6targetE0EEEvT1_.num_agpr, 0
	.set _ZN7rocprim17ROCPRIM_400000_NS6detail17trampoline_kernelINS0_14default_configENS1_27scan_by_key_config_selectorIiiEEZZNS1_16scan_by_key_implILNS1_25lookback_scan_determinismE0ELb0ES3_N6thrust23THRUST_200600_302600_NS6detail15normal_iteratorINS9_10device_ptrIiEEEENS9_18transform_iteratorINS9_6negateIiEESE_NS9_11use_defaultESI_EESE_iNS9_4plusIvEENS9_8equal_toIvEEiEE10hipError_tPvRmT2_T3_T4_T5_mT6_T7_P12ihipStream_tbENKUlT_T0_E_clISt17integral_constantIbLb0EES14_EEDaSZ_S10_EUlSZ_E_NS1_11comp_targetILNS1_3genE8ELNS1_11target_archE1030ELNS1_3gpuE2ELNS1_3repE0EEENS1_30default_config_static_selectorELNS0_4arch9wavefront6targetE0EEEvT1_.numbered_sgpr, 31
	.set _ZN7rocprim17ROCPRIM_400000_NS6detail17trampoline_kernelINS0_14default_configENS1_27scan_by_key_config_selectorIiiEEZZNS1_16scan_by_key_implILNS1_25lookback_scan_determinismE0ELb0ES3_N6thrust23THRUST_200600_302600_NS6detail15normal_iteratorINS9_10device_ptrIiEEEENS9_18transform_iteratorINS9_6negateIiEESE_NS9_11use_defaultESI_EESE_iNS9_4plusIvEENS9_8equal_toIvEEiEE10hipError_tPvRmT2_T3_T4_T5_mT6_T7_P12ihipStream_tbENKUlT_T0_E_clISt17integral_constantIbLb0EES14_EEDaSZ_S10_EUlSZ_E_NS1_11comp_targetILNS1_3genE8ELNS1_11target_archE1030ELNS1_3gpuE2ELNS1_3repE0EEENS1_30default_config_static_selectorELNS0_4arch9wavefront6targetE0EEEvT1_.num_named_barrier, 0
	.set _ZN7rocprim17ROCPRIM_400000_NS6detail17trampoline_kernelINS0_14default_configENS1_27scan_by_key_config_selectorIiiEEZZNS1_16scan_by_key_implILNS1_25lookback_scan_determinismE0ELb0ES3_N6thrust23THRUST_200600_302600_NS6detail15normal_iteratorINS9_10device_ptrIiEEEENS9_18transform_iteratorINS9_6negateIiEESE_NS9_11use_defaultESI_EESE_iNS9_4plusIvEENS9_8equal_toIvEEiEE10hipError_tPvRmT2_T3_T4_T5_mT6_T7_P12ihipStream_tbENKUlT_T0_E_clISt17integral_constantIbLb0EES14_EEDaSZ_S10_EUlSZ_E_NS1_11comp_targetILNS1_3genE8ELNS1_11target_archE1030ELNS1_3gpuE2ELNS1_3repE0EEENS1_30default_config_static_selectorELNS0_4arch9wavefront6targetE0EEEvT1_.private_seg_size, 0
	.set _ZN7rocprim17ROCPRIM_400000_NS6detail17trampoline_kernelINS0_14default_configENS1_27scan_by_key_config_selectorIiiEEZZNS1_16scan_by_key_implILNS1_25lookback_scan_determinismE0ELb0ES3_N6thrust23THRUST_200600_302600_NS6detail15normal_iteratorINS9_10device_ptrIiEEEENS9_18transform_iteratorINS9_6negateIiEESE_NS9_11use_defaultESI_EESE_iNS9_4plusIvEENS9_8equal_toIvEEiEE10hipError_tPvRmT2_T3_T4_T5_mT6_T7_P12ihipStream_tbENKUlT_T0_E_clISt17integral_constantIbLb0EES14_EEDaSZ_S10_EUlSZ_E_NS1_11comp_targetILNS1_3genE8ELNS1_11target_archE1030ELNS1_3gpuE2ELNS1_3repE0EEENS1_30default_config_static_selectorELNS0_4arch9wavefront6targetE0EEEvT1_.uses_vcc, 1
	.set _ZN7rocprim17ROCPRIM_400000_NS6detail17trampoline_kernelINS0_14default_configENS1_27scan_by_key_config_selectorIiiEEZZNS1_16scan_by_key_implILNS1_25lookback_scan_determinismE0ELb0ES3_N6thrust23THRUST_200600_302600_NS6detail15normal_iteratorINS9_10device_ptrIiEEEENS9_18transform_iteratorINS9_6negateIiEESE_NS9_11use_defaultESI_EESE_iNS9_4plusIvEENS9_8equal_toIvEEiEE10hipError_tPvRmT2_T3_T4_T5_mT6_T7_P12ihipStream_tbENKUlT_T0_E_clISt17integral_constantIbLb0EES14_EEDaSZ_S10_EUlSZ_E_NS1_11comp_targetILNS1_3genE8ELNS1_11target_archE1030ELNS1_3gpuE2ELNS1_3repE0EEENS1_30default_config_static_selectorELNS0_4arch9wavefront6targetE0EEEvT1_.uses_flat_scratch, 1
	.set _ZN7rocprim17ROCPRIM_400000_NS6detail17trampoline_kernelINS0_14default_configENS1_27scan_by_key_config_selectorIiiEEZZNS1_16scan_by_key_implILNS1_25lookback_scan_determinismE0ELb0ES3_N6thrust23THRUST_200600_302600_NS6detail15normal_iteratorINS9_10device_ptrIiEEEENS9_18transform_iteratorINS9_6negateIiEESE_NS9_11use_defaultESI_EESE_iNS9_4plusIvEENS9_8equal_toIvEEiEE10hipError_tPvRmT2_T3_T4_T5_mT6_T7_P12ihipStream_tbENKUlT_T0_E_clISt17integral_constantIbLb0EES14_EEDaSZ_S10_EUlSZ_E_NS1_11comp_targetILNS1_3genE8ELNS1_11target_archE1030ELNS1_3gpuE2ELNS1_3repE0EEENS1_30default_config_static_selectorELNS0_4arch9wavefront6targetE0EEEvT1_.has_dyn_sized_stack, 0
	.set _ZN7rocprim17ROCPRIM_400000_NS6detail17trampoline_kernelINS0_14default_configENS1_27scan_by_key_config_selectorIiiEEZZNS1_16scan_by_key_implILNS1_25lookback_scan_determinismE0ELb0ES3_N6thrust23THRUST_200600_302600_NS6detail15normal_iteratorINS9_10device_ptrIiEEEENS9_18transform_iteratorINS9_6negateIiEESE_NS9_11use_defaultESI_EESE_iNS9_4plusIvEENS9_8equal_toIvEEiEE10hipError_tPvRmT2_T3_T4_T5_mT6_T7_P12ihipStream_tbENKUlT_T0_E_clISt17integral_constantIbLb0EES14_EEDaSZ_S10_EUlSZ_E_NS1_11comp_targetILNS1_3genE8ELNS1_11target_archE1030ELNS1_3gpuE2ELNS1_3repE0EEENS1_30default_config_static_selectorELNS0_4arch9wavefront6targetE0EEEvT1_.has_recursion, 0
	.set _ZN7rocprim17ROCPRIM_400000_NS6detail17trampoline_kernelINS0_14default_configENS1_27scan_by_key_config_selectorIiiEEZZNS1_16scan_by_key_implILNS1_25lookback_scan_determinismE0ELb0ES3_N6thrust23THRUST_200600_302600_NS6detail15normal_iteratorINS9_10device_ptrIiEEEENS9_18transform_iteratorINS9_6negateIiEESE_NS9_11use_defaultESI_EESE_iNS9_4plusIvEENS9_8equal_toIvEEiEE10hipError_tPvRmT2_T3_T4_T5_mT6_T7_P12ihipStream_tbENKUlT_T0_E_clISt17integral_constantIbLb0EES14_EEDaSZ_S10_EUlSZ_E_NS1_11comp_targetILNS1_3genE8ELNS1_11target_archE1030ELNS1_3gpuE2ELNS1_3repE0EEENS1_30default_config_static_selectorELNS0_4arch9wavefront6targetE0EEEvT1_.has_indirect_call, 0
	.section	.AMDGPU.csdata,"",@progbits
; Kernel info:
; codeLenInByte = 6228
; TotalNumSgprs: 33
; NumVgprs: 42
; ScratchSize: 0
; MemoryBound: 0
; FloatMode: 240
; IeeeMode: 1
; LDSByteSize: 5120 bytes/workgroup (compile time only)
; SGPRBlocks: 0
; VGPRBlocks: 5
; NumSGPRsForWavesPerEU: 33
; NumVGPRsForWavesPerEU: 42
; Occupancy: 16
; WaveLimiterHint : 1
; COMPUTE_PGM_RSRC2:SCRATCH_EN: 0
; COMPUTE_PGM_RSRC2:USER_SGPR: 6
; COMPUTE_PGM_RSRC2:TRAP_HANDLER: 0
; COMPUTE_PGM_RSRC2:TGID_X_EN: 1
; COMPUTE_PGM_RSRC2:TGID_Y_EN: 0
; COMPUTE_PGM_RSRC2:TGID_Z_EN: 0
; COMPUTE_PGM_RSRC2:TIDIG_COMP_CNT: 0
	.section	.text._ZN7rocprim17ROCPRIM_400000_NS6detail17trampoline_kernelINS0_14default_configENS1_27scan_by_key_config_selectorIiiEEZZNS1_16scan_by_key_implILNS1_25lookback_scan_determinismE0ELb0ES3_N6thrust23THRUST_200600_302600_NS6detail15normal_iteratorINS9_10device_ptrIiEEEENS9_18transform_iteratorINS9_6negateIiEESE_NS9_11use_defaultESI_EESE_iNS9_4plusIvEENS9_8equal_toIvEEiEE10hipError_tPvRmT2_T3_T4_T5_mT6_T7_P12ihipStream_tbENKUlT_T0_E_clISt17integral_constantIbLb1EES14_EEDaSZ_S10_EUlSZ_E_NS1_11comp_targetILNS1_3genE0ELNS1_11target_archE4294967295ELNS1_3gpuE0ELNS1_3repE0EEENS1_30default_config_static_selectorELNS0_4arch9wavefront6targetE0EEEvT1_,"axG",@progbits,_ZN7rocprim17ROCPRIM_400000_NS6detail17trampoline_kernelINS0_14default_configENS1_27scan_by_key_config_selectorIiiEEZZNS1_16scan_by_key_implILNS1_25lookback_scan_determinismE0ELb0ES3_N6thrust23THRUST_200600_302600_NS6detail15normal_iteratorINS9_10device_ptrIiEEEENS9_18transform_iteratorINS9_6negateIiEESE_NS9_11use_defaultESI_EESE_iNS9_4plusIvEENS9_8equal_toIvEEiEE10hipError_tPvRmT2_T3_T4_T5_mT6_T7_P12ihipStream_tbENKUlT_T0_E_clISt17integral_constantIbLb1EES14_EEDaSZ_S10_EUlSZ_E_NS1_11comp_targetILNS1_3genE0ELNS1_11target_archE4294967295ELNS1_3gpuE0ELNS1_3repE0EEENS1_30default_config_static_selectorELNS0_4arch9wavefront6targetE0EEEvT1_,comdat
	.protected	_ZN7rocprim17ROCPRIM_400000_NS6detail17trampoline_kernelINS0_14default_configENS1_27scan_by_key_config_selectorIiiEEZZNS1_16scan_by_key_implILNS1_25lookback_scan_determinismE0ELb0ES3_N6thrust23THRUST_200600_302600_NS6detail15normal_iteratorINS9_10device_ptrIiEEEENS9_18transform_iteratorINS9_6negateIiEESE_NS9_11use_defaultESI_EESE_iNS9_4plusIvEENS9_8equal_toIvEEiEE10hipError_tPvRmT2_T3_T4_T5_mT6_T7_P12ihipStream_tbENKUlT_T0_E_clISt17integral_constantIbLb1EES14_EEDaSZ_S10_EUlSZ_E_NS1_11comp_targetILNS1_3genE0ELNS1_11target_archE4294967295ELNS1_3gpuE0ELNS1_3repE0EEENS1_30default_config_static_selectorELNS0_4arch9wavefront6targetE0EEEvT1_ ; -- Begin function _ZN7rocprim17ROCPRIM_400000_NS6detail17trampoline_kernelINS0_14default_configENS1_27scan_by_key_config_selectorIiiEEZZNS1_16scan_by_key_implILNS1_25lookback_scan_determinismE0ELb0ES3_N6thrust23THRUST_200600_302600_NS6detail15normal_iteratorINS9_10device_ptrIiEEEENS9_18transform_iteratorINS9_6negateIiEESE_NS9_11use_defaultESI_EESE_iNS9_4plusIvEENS9_8equal_toIvEEiEE10hipError_tPvRmT2_T3_T4_T5_mT6_T7_P12ihipStream_tbENKUlT_T0_E_clISt17integral_constantIbLb1EES14_EEDaSZ_S10_EUlSZ_E_NS1_11comp_targetILNS1_3genE0ELNS1_11target_archE4294967295ELNS1_3gpuE0ELNS1_3repE0EEENS1_30default_config_static_selectorELNS0_4arch9wavefront6targetE0EEEvT1_
	.globl	_ZN7rocprim17ROCPRIM_400000_NS6detail17trampoline_kernelINS0_14default_configENS1_27scan_by_key_config_selectorIiiEEZZNS1_16scan_by_key_implILNS1_25lookback_scan_determinismE0ELb0ES3_N6thrust23THRUST_200600_302600_NS6detail15normal_iteratorINS9_10device_ptrIiEEEENS9_18transform_iteratorINS9_6negateIiEESE_NS9_11use_defaultESI_EESE_iNS9_4plusIvEENS9_8equal_toIvEEiEE10hipError_tPvRmT2_T3_T4_T5_mT6_T7_P12ihipStream_tbENKUlT_T0_E_clISt17integral_constantIbLb1EES14_EEDaSZ_S10_EUlSZ_E_NS1_11comp_targetILNS1_3genE0ELNS1_11target_archE4294967295ELNS1_3gpuE0ELNS1_3repE0EEENS1_30default_config_static_selectorELNS0_4arch9wavefront6targetE0EEEvT1_
	.p2align	8
	.type	_ZN7rocprim17ROCPRIM_400000_NS6detail17trampoline_kernelINS0_14default_configENS1_27scan_by_key_config_selectorIiiEEZZNS1_16scan_by_key_implILNS1_25lookback_scan_determinismE0ELb0ES3_N6thrust23THRUST_200600_302600_NS6detail15normal_iteratorINS9_10device_ptrIiEEEENS9_18transform_iteratorINS9_6negateIiEESE_NS9_11use_defaultESI_EESE_iNS9_4plusIvEENS9_8equal_toIvEEiEE10hipError_tPvRmT2_T3_T4_T5_mT6_T7_P12ihipStream_tbENKUlT_T0_E_clISt17integral_constantIbLb1EES14_EEDaSZ_S10_EUlSZ_E_NS1_11comp_targetILNS1_3genE0ELNS1_11target_archE4294967295ELNS1_3gpuE0ELNS1_3repE0EEENS1_30default_config_static_selectorELNS0_4arch9wavefront6targetE0EEEvT1_,@function
_ZN7rocprim17ROCPRIM_400000_NS6detail17trampoline_kernelINS0_14default_configENS1_27scan_by_key_config_selectorIiiEEZZNS1_16scan_by_key_implILNS1_25lookback_scan_determinismE0ELb0ES3_N6thrust23THRUST_200600_302600_NS6detail15normal_iteratorINS9_10device_ptrIiEEEENS9_18transform_iteratorINS9_6negateIiEESE_NS9_11use_defaultESI_EESE_iNS9_4plusIvEENS9_8equal_toIvEEiEE10hipError_tPvRmT2_T3_T4_T5_mT6_T7_P12ihipStream_tbENKUlT_T0_E_clISt17integral_constantIbLb1EES14_EEDaSZ_S10_EUlSZ_E_NS1_11comp_targetILNS1_3genE0ELNS1_11target_archE4294967295ELNS1_3gpuE0ELNS1_3repE0EEENS1_30default_config_static_selectorELNS0_4arch9wavefront6targetE0EEEvT1_: ; @_ZN7rocprim17ROCPRIM_400000_NS6detail17trampoline_kernelINS0_14default_configENS1_27scan_by_key_config_selectorIiiEEZZNS1_16scan_by_key_implILNS1_25lookback_scan_determinismE0ELb0ES3_N6thrust23THRUST_200600_302600_NS6detail15normal_iteratorINS9_10device_ptrIiEEEENS9_18transform_iteratorINS9_6negateIiEESE_NS9_11use_defaultESI_EESE_iNS9_4plusIvEENS9_8equal_toIvEEiEE10hipError_tPvRmT2_T3_T4_T5_mT6_T7_P12ihipStream_tbENKUlT_T0_E_clISt17integral_constantIbLb1EES14_EEDaSZ_S10_EUlSZ_E_NS1_11comp_targetILNS1_3genE0ELNS1_11target_archE4294967295ELNS1_3gpuE0ELNS1_3repE0EEENS1_30default_config_static_selectorELNS0_4arch9wavefront6targetE0EEEvT1_
; %bb.0:
	.section	.rodata,"a",@progbits
	.p2align	6, 0x0
	.amdhsa_kernel _ZN7rocprim17ROCPRIM_400000_NS6detail17trampoline_kernelINS0_14default_configENS1_27scan_by_key_config_selectorIiiEEZZNS1_16scan_by_key_implILNS1_25lookback_scan_determinismE0ELb0ES3_N6thrust23THRUST_200600_302600_NS6detail15normal_iteratorINS9_10device_ptrIiEEEENS9_18transform_iteratorINS9_6negateIiEESE_NS9_11use_defaultESI_EESE_iNS9_4plusIvEENS9_8equal_toIvEEiEE10hipError_tPvRmT2_T3_T4_T5_mT6_T7_P12ihipStream_tbENKUlT_T0_E_clISt17integral_constantIbLb1EES14_EEDaSZ_S10_EUlSZ_E_NS1_11comp_targetILNS1_3genE0ELNS1_11target_archE4294967295ELNS1_3gpuE0ELNS1_3repE0EEENS1_30default_config_static_selectorELNS0_4arch9wavefront6targetE0EEEvT1_
		.amdhsa_group_segment_fixed_size 0
		.amdhsa_private_segment_fixed_size 0
		.amdhsa_kernarg_size 120
		.amdhsa_user_sgpr_count 6
		.amdhsa_user_sgpr_private_segment_buffer 1
		.amdhsa_user_sgpr_dispatch_ptr 0
		.amdhsa_user_sgpr_queue_ptr 0
		.amdhsa_user_sgpr_kernarg_segment_ptr 1
		.amdhsa_user_sgpr_dispatch_id 0
		.amdhsa_user_sgpr_flat_scratch_init 0
		.amdhsa_user_sgpr_private_segment_size 0
		.amdhsa_wavefront_size32 1
		.amdhsa_uses_dynamic_stack 0
		.amdhsa_system_sgpr_private_segment_wavefront_offset 0
		.amdhsa_system_sgpr_workgroup_id_x 1
		.amdhsa_system_sgpr_workgroup_id_y 0
		.amdhsa_system_sgpr_workgroup_id_z 0
		.amdhsa_system_sgpr_workgroup_info 0
		.amdhsa_system_vgpr_workitem_id 0
		.amdhsa_next_free_vgpr 1
		.amdhsa_next_free_sgpr 1
		.amdhsa_reserve_vcc 0
		.amdhsa_reserve_flat_scratch 0
		.amdhsa_float_round_mode_32 0
		.amdhsa_float_round_mode_16_64 0
		.amdhsa_float_denorm_mode_32 3
		.amdhsa_float_denorm_mode_16_64 3
		.amdhsa_dx10_clamp 1
		.amdhsa_ieee_mode 1
		.amdhsa_fp16_overflow 0
		.amdhsa_workgroup_processor_mode 1
		.amdhsa_memory_ordered 1
		.amdhsa_forward_progress 1
		.amdhsa_shared_vgpr_count 0
		.amdhsa_exception_fp_ieee_invalid_op 0
		.amdhsa_exception_fp_denorm_src 0
		.amdhsa_exception_fp_ieee_div_zero 0
		.amdhsa_exception_fp_ieee_overflow 0
		.amdhsa_exception_fp_ieee_underflow 0
		.amdhsa_exception_fp_ieee_inexact 0
		.amdhsa_exception_int_div_zero 0
	.end_amdhsa_kernel
	.section	.text._ZN7rocprim17ROCPRIM_400000_NS6detail17trampoline_kernelINS0_14default_configENS1_27scan_by_key_config_selectorIiiEEZZNS1_16scan_by_key_implILNS1_25lookback_scan_determinismE0ELb0ES3_N6thrust23THRUST_200600_302600_NS6detail15normal_iteratorINS9_10device_ptrIiEEEENS9_18transform_iteratorINS9_6negateIiEESE_NS9_11use_defaultESI_EESE_iNS9_4plusIvEENS9_8equal_toIvEEiEE10hipError_tPvRmT2_T3_T4_T5_mT6_T7_P12ihipStream_tbENKUlT_T0_E_clISt17integral_constantIbLb1EES14_EEDaSZ_S10_EUlSZ_E_NS1_11comp_targetILNS1_3genE0ELNS1_11target_archE4294967295ELNS1_3gpuE0ELNS1_3repE0EEENS1_30default_config_static_selectorELNS0_4arch9wavefront6targetE0EEEvT1_,"axG",@progbits,_ZN7rocprim17ROCPRIM_400000_NS6detail17trampoline_kernelINS0_14default_configENS1_27scan_by_key_config_selectorIiiEEZZNS1_16scan_by_key_implILNS1_25lookback_scan_determinismE0ELb0ES3_N6thrust23THRUST_200600_302600_NS6detail15normal_iteratorINS9_10device_ptrIiEEEENS9_18transform_iteratorINS9_6negateIiEESE_NS9_11use_defaultESI_EESE_iNS9_4plusIvEENS9_8equal_toIvEEiEE10hipError_tPvRmT2_T3_T4_T5_mT6_T7_P12ihipStream_tbENKUlT_T0_E_clISt17integral_constantIbLb1EES14_EEDaSZ_S10_EUlSZ_E_NS1_11comp_targetILNS1_3genE0ELNS1_11target_archE4294967295ELNS1_3gpuE0ELNS1_3repE0EEENS1_30default_config_static_selectorELNS0_4arch9wavefront6targetE0EEEvT1_,comdat
.Lfunc_end938:
	.size	_ZN7rocprim17ROCPRIM_400000_NS6detail17trampoline_kernelINS0_14default_configENS1_27scan_by_key_config_selectorIiiEEZZNS1_16scan_by_key_implILNS1_25lookback_scan_determinismE0ELb0ES3_N6thrust23THRUST_200600_302600_NS6detail15normal_iteratorINS9_10device_ptrIiEEEENS9_18transform_iteratorINS9_6negateIiEESE_NS9_11use_defaultESI_EESE_iNS9_4plusIvEENS9_8equal_toIvEEiEE10hipError_tPvRmT2_T3_T4_T5_mT6_T7_P12ihipStream_tbENKUlT_T0_E_clISt17integral_constantIbLb1EES14_EEDaSZ_S10_EUlSZ_E_NS1_11comp_targetILNS1_3genE0ELNS1_11target_archE4294967295ELNS1_3gpuE0ELNS1_3repE0EEENS1_30default_config_static_selectorELNS0_4arch9wavefront6targetE0EEEvT1_, .Lfunc_end938-_ZN7rocprim17ROCPRIM_400000_NS6detail17trampoline_kernelINS0_14default_configENS1_27scan_by_key_config_selectorIiiEEZZNS1_16scan_by_key_implILNS1_25lookback_scan_determinismE0ELb0ES3_N6thrust23THRUST_200600_302600_NS6detail15normal_iteratorINS9_10device_ptrIiEEEENS9_18transform_iteratorINS9_6negateIiEESE_NS9_11use_defaultESI_EESE_iNS9_4plusIvEENS9_8equal_toIvEEiEE10hipError_tPvRmT2_T3_T4_T5_mT6_T7_P12ihipStream_tbENKUlT_T0_E_clISt17integral_constantIbLb1EES14_EEDaSZ_S10_EUlSZ_E_NS1_11comp_targetILNS1_3genE0ELNS1_11target_archE4294967295ELNS1_3gpuE0ELNS1_3repE0EEENS1_30default_config_static_selectorELNS0_4arch9wavefront6targetE0EEEvT1_
                                        ; -- End function
	.set _ZN7rocprim17ROCPRIM_400000_NS6detail17trampoline_kernelINS0_14default_configENS1_27scan_by_key_config_selectorIiiEEZZNS1_16scan_by_key_implILNS1_25lookback_scan_determinismE0ELb0ES3_N6thrust23THRUST_200600_302600_NS6detail15normal_iteratorINS9_10device_ptrIiEEEENS9_18transform_iteratorINS9_6negateIiEESE_NS9_11use_defaultESI_EESE_iNS9_4plusIvEENS9_8equal_toIvEEiEE10hipError_tPvRmT2_T3_T4_T5_mT6_T7_P12ihipStream_tbENKUlT_T0_E_clISt17integral_constantIbLb1EES14_EEDaSZ_S10_EUlSZ_E_NS1_11comp_targetILNS1_3genE0ELNS1_11target_archE4294967295ELNS1_3gpuE0ELNS1_3repE0EEENS1_30default_config_static_selectorELNS0_4arch9wavefront6targetE0EEEvT1_.num_vgpr, 0
	.set _ZN7rocprim17ROCPRIM_400000_NS6detail17trampoline_kernelINS0_14default_configENS1_27scan_by_key_config_selectorIiiEEZZNS1_16scan_by_key_implILNS1_25lookback_scan_determinismE0ELb0ES3_N6thrust23THRUST_200600_302600_NS6detail15normal_iteratorINS9_10device_ptrIiEEEENS9_18transform_iteratorINS9_6negateIiEESE_NS9_11use_defaultESI_EESE_iNS9_4plusIvEENS9_8equal_toIvEEiEE10hipError_tPvRmT2_T3_T4_T5_mT6_T7_P12ihipStream_tbENKUlT_T0_E_clISt17integral_constantIbLb1EES14_EEDaSZ_S10_EUlSZ_E_NS1_11comp_targetILNS1_3genE0ELNS1_11target_archE4294967295ELNS1_3gpuE0ELNS1_3repE0EEENS1_30default_config_static_selectorELNS0_4arch9wavefront6targetE0EEEvT1_.num_agpr, 0
	.set _ZN7rocprim17ROCPRIM_400000_NS6detail17trampoline_kernelINS0_14default_configENS1_27scan_by_key_config_selectorIiiEEZZNS1_16scan_by_key_implILNS1_25lookback_scan_determinismE0ELb0ES3_N6thrust23THRUST_200600_302600_NS6detail15normal_iteratorINS9_10device_ptrIiEEEENS9_18transform_iteratorINS9_6negateIiEESE_NS9_11use_defaultESI_EESE_iNS9_4plusIvEENS9_8equal_toIvEEiEE10hipError_tPvRmT2_T3_T4_T5_mT6_T7_P12ihipStream_tbENKUlT_T0_E_clISt17integral_constantIbLb1EES14_EEDaSZ_S10_EUlSZ_E_NS1_11comp_targetILNS1_3genE0ELNS1_11target_archE4294967295ELNS1_3gpuE0ELNS1_3repE0EEENS1_30default_config_static_selectorELNS0_4arch9wavefront6targetE0EEEvT1_.numbered_sgpr, 0
	.set _ZN7rocprim17ROCPRIM_400000_NS6detail17trampoline_kernelINS0_14default_configENS1_27scan_by_key_config_selectorIiiEEZZNS1_16scan_by_key_implILNS1_25lookback_scan_determinismE0ELb0ES3_N6thrust23THRUST_200600_302600_NS6detail15normal_iteratorINS9_10device_ptrIiEEEENS9_18transform_iteratorINS9_6negateIiEESE_NS9_11use_defaultESI_EESE_iNS9_4plusIvEENS9_8equal_toIvEEiEE10hipError_tPvRmT2_T3_T4_T5_mT6_T7_P12ihipStream_tbENKUlT_T0_E_clISt17integral_constantIbLb1EES14_EEDaSZ_S10_EUlSZ_E_NS1_11comp_targetILNS1_3genE0ELNS1_11target_archE4294967295ELNS1_3gpuE0ELNS1_3repE0EEENS1_30default_config_static_selectorELNS0_4arch9wavefront6targetE0EEEvT1_.num_named_barrier, 0
	.set _ZN7rocprim17ROCPRIM_400000_NS6detail17trampoline_kernelINS0_14default_configENS1_27scan_by_key_config_selectorIiiEEZZNS1_16scan_by_key_implILNS1_25lookback_scan_determinismE0ELb0ES3_N6thrust23THRUST_200600_302600_NS6detail15normal_iteratorINS9_10device_ptrIiEEEENS9_18transform_iteratorINS9_6negateIiEESE_NS9_11use_defaultESI_EESE_iNS9_4plusIvEENS9_8equal_toIvEEiEE10hipError_tPvRmT2_T3_T4_T5_mT6_T7_P12ihipStream_tbENKUlT_T0_E_clISt17integral_constantIbLb1EES14_EEDaSZ_S10_EUlSZ_E_NS1_11comp_targetILNS1_3genE0ELNS1_11target_archE4294967295ELNS1_3gpuE0ELNS1_3repE0EEENS1_30default_config_static_selectorELNS0_4arch9wavefront6targetE0EEEvT1_.private_seg_size, 0
	.set _ZN7rocprim17ROCPRIM_400000_NS6detail17trampoline_kernelINS0_14default_configENS1_27scan_by_key_config_selectorIiiEEZZNS1_16scan_by_key_implILNS1_25lookback_scan_determinismE0ELb0ES3_N6thrust23THRUST_200600_302600_NS6detail15normal_iteratorINS9_10device_ptrIiEEEENS9_18transform_iteratorINS9_6negateIiEESE_NS9_11use_defaultESI_EESE_iNS9_4plusIvEENS9_8equal_toIvEEiEE10hipError_tPvRmT2_T3_T4_T5_mT6_T7_P12ihipStream_tbENKUlT_T0_E_clISt17integral_constantIbLb1EES14_EEDaSZ_S10_EUlSZ_E_NS1_11comp_targetILNS1_3genE0ELNS1_11target_archE4294967295ELNS1_3gpuE0ELNS1_3repE0EEENS1_30default_config_static_selectorELNS0_4arch9wavefront6targetE0EEEvT1_.uses_vcc, 0
	.set _ZN7rocprim17ROCPRIM_400000_NS6detail17trampoline_kernelINS0_14default_configENS1_27scan_by_key_config_selectorIiiEEZZNS1_16scan_by_key_implILNS1_25lookback_scan_determinismE0ELb0ES3_N6thrust23THRUST_200600_302600_NS6detail15normal_iteratorINS9_10device_ptrIiEEEENS9_18transform_iteratorINS9_6negateIiEESE_NS9_11use_defaultESI_EESE_iNS9_4plusIvEENS9_8equal_toIvEEiEE10hipError_tPvRmT2_T3_T4_T5_mT6_T7_P12ihipStream_tbENKUlT_T0_E_clISt17integral_constantIbLb1EES14_EEDaSZ_S10_EUlSZ_E_NS1_11comp_targetILNS1_3genE0ELNS1_11target_archE4294967295ELNS1_3gpuE0ELNS1_3repE0EEENS1_30default_config_static_selectorELNS0_4arch9wavefront6targetE0EEEvT1_.uses_flat_scratch, 0
	.set _ZN7rocprim17ROCPRIM_400000_NS6detail17trampoline_kernelINS0_14default_configENS1_27scan_by_key_config_selectorIiiEEZZNS1_16scan_by_key_implILNS1_25lookback_scan_determinismE0ELb0ES3_N6thrust23THRUST_200600_302600_NS6detail15normal_iteratorINS9_10device_ptrIiEEEENS9_18transform_iteratorINS9_6negateIiEESE_NS9_11use_defaultESI_EESE_iNS9_4plusIvEENS9_8equal_toIvEEiEE10hipError_tPvRmT2_T3_T4_T5_mT6_T7_P12ihipStream_tbENKUlT_T0_E_clISt17integral_constantIbLb1EES14_EEDaSZ_S10_EUlSZ_E_NS1_11comp_targetILNS1_3genE0ELNS1_11target_archE4294967295ELNS1_3gpuE0ELNS1_3repE0EEENS1_30default_config_static_selectorELNS0_4arch9wavefront6targetE0EEEvT1_.has_dyn_sized_stack, 0
	.set _ZN7rocprim17ROCPRIM_400000_NS6detail17trampoline_kernelINS0_14default_configENS1_27scan_by_key_config_selectorIiiEEZZNS1_16scan_by_key_implILNS1_25lookback_scan_determinismE0ELb0ES3_N6thrust23THRUST_200600_302600_NS6detail15normal_iteratorINS9_10device_ptrIiEEEENS9_18transform_iteratorINS9_6negateIiEESE_NS9_11use_defaultESI_EESE_iNS9_4plusIvEENS9_8equal_toIvEEiEE10hipError_tPvRmT2_T3_T4_T5_mT6_T7_P12ihipStream_tbENKUlT_T0_E_clISt17integral_constantIbLb1EES14_EEDaSZ_S10_EUlSZ_E_NS1_11comp_targetILNS1_3genE0ELNS1_11target_archE4294967295ELNS1_3gpuE0ELNS1_3repE0EEENS1_30default_config_static_selectorELNS0_4arch9wavefront6targetE0EEEvT1_.has_recursion, 0
	.set _ZN7rocprim17ROCPRIM_400000_NS6detail17trampoline_kernelINS0_14default_configENS1_27scan_by_key_config_selectorIiiEEZZNS1_16scan_by_key_implILNS1_25lookback_scan_determinismE0ELb0ES3_N6thrust23THRUST_200600_302600_NS6detail15normal_iteratorINS9_10device_ptrIiEEEENS9_18transform_iteratorINS9_6negateIiEESE_NS9_11use_defaultESI_EESE_iNS9_4plusIvEENS9_8equal_toIvEEiEE10hipError_tPvRmT2_T3_T4_T5_mT6_T7_P12ihipStream_tbENKUlT_T0_E_clISt17integral_constantIbLb1EES14_EEDaSZ_S10_EUlSZ_E_NS1_11comp_targetILNS1_3genE0ELNS1_11target_archE4294967295ELNS1_3gpuE0ELNS1_3repE0EEENS1_30default_config_static_selectorELNS0_4arch9wavefront6targetE0EEEvT1_.has_indirect_call, 0
	.section	.AMDGPU.csdata,"",@progbits
; Kernel info:
; codeLenInByte = 0
; TotalNumSgprs: 0
; NumVgprs: 0
; ScratchSize: 0
; MemoryBound: 0
; FloatMode: 240
; IeeeMode: 1
; LDSByteSize: 0 bytes/workgroup (compile time only)
; SGPRBlocks: 0
; VGPRBlocks: 0
; NumSGPRsForWavesPerEU: 1
; NumVGPRsForWavesPerEU: 1
; Occupancy: 16
; WaveLimiterHint : 0
; COMPUTE_PGM_RSRC2:SCRATCH_EN: 0
; COMPUTE_PGM_RSRC2:USER_SGPR: 6
; COMPUTE_PGM_RSRC2:TRAP_HANDLER: 0
; COMPUTE_PGM_RSRC2:TGID_X_EN: 1
; COMPUTE_PGM_RSRC2:TGID_Y_EN: 0
; COMPUTE_PGM_RSRC2:TGID_Z_EN: 0
; COMPUTE_PGM_RSRC2:TIDIG_COMP_CNT: 0
	.section	.text._ZN7rocprim17ROCPRIM_400000_NS6detail17trampoline_kernelINS0_14default_configENS1_27scan_by_key_config_selectorIiiEEZZNS1_16scan_by_key_implILNS1_25lookback_scan_determinismE0ELb0ES3_N6thrust23THRUST_200600_302600_NS6detail15normal_iteratorINS9_10device_ptrIiEEEENS9_18transform_iteratorINS9_6negateIiEESE_NS9_11use_defaultESI_EESE_iNS9_4plusIvEENS9_8equal_toIvEEiEE10hipError_tPvRmT2_T3_T4_T5_mT6_T7_P12ihipStream_tbENKUlT_T0_E_clISt17integral_constantIbLb1EES14_EEDaSZ_S10_EUlSZ_E_NS1_11comp_targetILNS1_3genE10ELNS1_11target_archE1201ELNS1_3gpuE5ELNS1_3repE0EEENS1_30default_config_static_selectorELNS0_4arch9wavefront6targetE0EEEvT1_,"axG",@progbits,_ZN7rocprim17ROCPRIM_400000_NS6detail17trampoline_kernelINS0_14default_configENS1_27scan_by_key_config_selectorIiiEEZZNS1_16scan_by_key_implILNS1_25lookback_scan_determinismE0ELb0ES3_N6thrust23THRUST_200600_302600_NS6detail15normal_iteratorINS9_10device_ptrIiEEEENS9_18transform_iteratorINS9_6negateIiEESE_NS9_11use_defaultESI_EESE_iNS9_4plusIvEENS9_8equal_toIvEEiEE10hipError_tPvRmT2_T3_T4_T5_mT6_T7_P12ihipStream_tbENKUlT_T0_E_clISt17integral_constantIbLb1EES14_EEDaSZ_S10_EUlSZ_E_NS1_11comp_targetILNS1_3genE10ELNS1_11target_archE1201ELNS1_3gpuE5ELNS1_3repE0EEENS1_30default_config_static_selectorELNS0_4arch9wavefront6targetE0EEEvT1_,comdat
	.protected	_ZN7rocprim17ROCPRIM_400000_NS6detail17trampoline_kernelINS0_14default_configENS1_27scan_by_key_config_selectorIiiEEZZNS1_16scan_by_key_implILNS1_25lookback_scan_determinismE0ELb0ES3_N6thrust23THRUST_200600_302600_NS6detail15normal_iteratorINS9_10device_ptrIiEEEENS9_18transform_iteratorINS9_6negateIiEESE_NS9_11use_defaultESI_EESE_iNS9_4plusIvEENS9_8equal_toIvEEiEE10hipError_tPvRmT2_T3_T4_T5_mT6_T7_P12ihipStream_tbENKUlT_T0_E_clISt17integral_constantIbLb1EES14_EEDaSZ_S10_EUlSZ_E_NS1_11comp_targetILNS1_3genE10ELNS1_11target_archE1201ELNS1_3gpuE5ELNS1_3repE0EEENS1_30default_config_static_selectorELNS0_4arch9wavefront6targetE0EEEvT1_ ; -- Begin function _ZN7rocprim17ROCPRIM_400000_NS6detail17trampoline_kernelINS0_14default_configENS1_27scan_by_key_config_selectorIiiEEZZNS1_16scan_by_key_implILNS1_25lookback_scan_determinismE0ELb0ES3_N6thrust23THRUST_200600_302600_NS6detail15normal_iteratorINS9_10device_ptrIiEEEENS9_18transform_iteratorINS9_6negateIiEESE_NS9_11use_defaultESI_EESE_iNS9_4plusIvEENS9_8equal_toIvEEiEE10hipError_tPvRmT2_T3_T4_T5_mT6_T7_P12ihipStream_tbENKUlT_T0_E_clISt17integral_constantIbLb1EES14_EEDaSZ_S10_EUlSZ_E_NS1_11comp_targetILNS1_3genE10ELNS1_11target_archE1201ELNS1_3gpuE5ELNS1_3repE0EEENS1_30default_config_static_selectorELNS0_4arch9wavefront6targetE0EEEvT1_
	.globl	_ZN7rocprim17ROCPRIM_400000_NS6detail17trampoline_kernelINS0_14default_configENS1_27scan_by_key_config_selectorIiiEEZZNS1_16scan_by_key_implILNS1_25lookback_scan_determinismE0ELb0ES3_N6thrust23THRUST_200600_302600_NS6detail15normal_iteratorINS9_10device_ptrIiEEEENS9_18transform_iteratorINS9_6negateIiEESE_NS9_11use_defaultESI_EESE_iNS9_4plusIvEENS9_8equal_toIvEEiEE10hipError_tPvRmT2_T3_T4_T5_mT6_T7_P12ihipStream_tbENKUlT_T0_E_clISt17integral_constantIbLb1EES14_EEDaSZ_S10_EUlSZ_E_NS1_11comp_targetILNS1_3genE10ELNS1_11target_archE1201ELNS1_3gpuE5ELNS1_3repE0EEENS1_30default_config_static_selectorELNS0_4arch9wavefront6targetE0EEEvT1_
	.p2align	8
	.type	_ZN7rocprim17ROCPRIM_400000_NS6detail17trampoline_kernelINS0_14default_configENS1_27scan_by_key_config_selectorIiiEEZZNS1_16scan_by_key_implILNS1_25lookback_scan_determinismE0ELb0ES3_N6thrust23THRUST_200600_302600_NS6detail15normal_iteratorINS9_10device_ptrIiEEEENS9_18transform_iteratorINS9_6negateIiEESE_NS9_11use_defaultESI_EESE_iNS9_4plusIvEENS9_8equal_toIvEEiEE10hipError_tPvRmT2_T3_T4_T5_mT6_T7_P12ihipStream_tbENKUlT_T0_E_clISt17integral_constantIbLb1EES14_EEDaSZ_S10_EUlSZ_E_NS1_11comp_targetILNS1_3genE10ELNS1_11target_archE1201ELNS1_3gpuE5ELNS1_3repE0EEENS1_30default_config_static_selectorELNS0_4arch9wavefront6targetE0EEEvT1_,@function
_ZN7rocprim17ROCPRIM_400000_NS6detail17trampoline_kernelINS0_14default_configENS1_27scan_by_key_config_selectorIiiEEZZNS1_16scan_by_key_implILNS1_25lookback_scan_determinismE0ELb0ES3_N6thrust23THRUST_200600_302600_NS6detail15normal_iteratorINS9_10device_ptrIiEEEENS9_18transform_iteratorINS9_6negateIiEESE_NS9_11use_defaultESI_EESE_iNS9_4plusIvEENS9_8equal_toIvEEiEE10hipError_tPvRmT2_T3_T4_T5_mT6_T7_P12ihipStream_tbENKUlT_T0_E_clISt17integral_constantIbLb1EES14_EEDaSZ_S10_EUlSZ_E_NS1_11comp_targetILNS1_3genE10ELNS1_11target_archE1201ELNS1_3gpuE5ELNS1_3repE0EEENS1_30default_config_static_selectorELNS0_4arch9wavefront6targetE0EEEvT1_: ; @_ZN7rocprim17ROCPRIM_400000_NS6detail17trampoline_kernelINS0_14default_configENS1_27scan_by_key_config_selectorIiiEEZZNS1_16scan_by_key_implILNS1_25lookback_scan_determinismE0ELb0ES3_N6thrust23THRUST_200600_302600_NS6detail15normal_iteratorINS9_10device_ptrIiEEEENS9_18transform_iteratorINS9_6negateIiEESE_NS9_11use_defaultESI_EESE_iNS9_4plusIvEENS9_8equal_toIvEEiEE10hipError_tPvRmT2_T3_T4_T5_mT6_T7_P12ihipStream_tbENKUlT_T0_E_clISt17integral_constantIbLb1EES14_EEDaSZ_S10_EUlSZ_E_NS1_11comp_targetILNS1_3genE10ELNS1_11target_archE1201ELNS1_3gpuE5ELNS1_3repE0EEENS1_30default_config_static_selectorELNS0_4arch9wavefront6targetE0EEEvT1_
; %bb.0:
	.section	.rodata,"a",@progbits
	.p2align	6, 0x0
	.amdhsa_kernel _ZN7rocprim17ROCPRIM_400000_NS6detail17trampoline_kernelINS0_14default_configENS1_27scan_by_key_config_selectorIiiEEZZNS1_16scan_by_key_implILNS1_25lookback_scan_determinismE0ELb0ES3_N6thrust23THRUST_200600_302600_NS6detail15normal_iteratorINS9_10device_ptrIiEEEENS9_18transform_iteratorINS9_6negateIiEESE_NS9_11use_defaultESI_EESE_iNS9_4plusIvEENS9_8equal_toIvEEiEE10hipError_tPvRmT2_T3_T4_T5_mT6_T7_P12ihipStream_tbENKUlT_T0_E_clISt17integral_constantIbLb1EES14_EEDaSZ_S10_EUlSZ_E_NS1_11comp_targetILNS1_3genE10ELNS1_11target_archE1201ELNS1_3gpuE5ELNS1_3repE0EEENS1_30default_config_static_selectorELNS0_4arch9wavefront6targetE0EEEvT1_
		.amdhsa_group_segment_fixed_size 0
		.amdhsa_private_segment_fixed_size 0
		.amdhsa_kernarg_size 120
		.amdhsa_user_sgpr_count 6
		.amdhsa_user_sgpr_private_segment_buffer 1
		.amdhsa_user_sgpr_dispatch_ptr 0
		.amdhsa_user_sgpr_queue_ptr 0
		.amdhsa_user_sgpr_kernarg_segment_ptr 1
		.amdhsa_user_sgpr_dispatch_id 0
		.amdhsa_user_sgpr_flat_scratch_init 0
		.amdhsa_user_sgpr_private_segment_size 0
		.amdhsa_wavefront_size32 1
		.amdhsa_uses_dynamic_stack 0
		.amdhsa_system_sgpr_private_segment_wavefront_offset 0
		.amdhsa_system_sgpr_workgroup_id_x 1
		.amdhsa_system_sgpr_workgroup_id_y 0
		.amdhsa_system_sgpr_workgroup_id_z 0
		.amdhsa_system_sgpr_workgroup_info 0
		.amdhsa_system_vgpr_workitem_id 0
		.amdhsa_next_free_vgpr 1
		.amdhsa_next_free_sgpr 1
		.amdhsa_reserve_vcc 0
		.amdhsa_reserve_flat_scratch 0
		.amdhsa_float_round_mode_32 0
		.amdhsa_float_round_mode_16_64 0
		.amdhsa_float_denorm_mode_32 3
		.amdhsa_float_denorm_mode_16_64 3
		.amdhsa_dx10_clamp 1
		.amdhsa_ieee_mode 1
		.amdhsa_fp16_overflow 0
		.amdhsa_workgroup_processor_mode 1
		.amdhsa_memory_ordered 1
		.amdhsa_forward_progress 1
		.amdhsa_shared_vgpr_count 0
		.amdhsa_exception_fp_ieee_invalid_op 0
		.amdhsa_exception_fp_denorm_src 0
		.amdhsa_exception_fp_ieee_div_zero 0
		.amdhsa_exception_fp_ieee_overflow 0
		.amdhsa_exception_fp_ieee_underflow 0
		.amdhsa_exception_fp_ieee_inexact 0
		.amdhsa_exception_int_div_zero 0
	.end_amdhsa_kernel
	.section	.text._ZN7rocprim17ROCPRIM_400000_NS6detail17trampoline_kernelINS0_14default_configENS1_27scan_by_key_config_selectorIiiEEZZNS1_16scan_by_key_implILNS1_25lookback_scan_determinismE0ELb0ES3_N6thrust23THRUST_200600_302600_NS6detail15normal_iteratorINS9_10device_ptrIiEEEENS9_18transform_iteratorINS9_6negateIiEESE_NS9_11use_defaultESI_EESE_iNS9_4plusIvEENS9_8equal_toIvEEiEE10hipError_tPvRmT2_T3_T4_T5_mT6_T7_P12ihipStream_tbENKUlT_T0_E_clISt17integral_constantIbLb1EES14_EEDaSZ_S10_EUlSZ_E_NS1_11comp_targetILNS1_3genE10ELNS1_11target_archE1201ELNS1_3gpuE5ELNS1_3repE0EEENS1_30default_config_static_selectorELNS0_4arch9wavefront6targetE0EEEvT1_,"axG",@progbits,_ZN7rocprim17ROCPRIM_400000_NS6detail17trampoline_kernelINS0_14default_configENS1_27scan_by_key_config_selectorIiiEEZZNS1_16scan_by_key_implILNS1_25lookback_scan_determinismE0ELb0ES3_N6thrust23THRUST_200600_302600_NS6detail15normal_iteratorINS9_10device_ptrIiEEEENS9_18transform_iteratorINS9_6negateIiEESE_NS9_11use_defaultESI_EESE_iNS9_4plusIvEENS9_8equal_toIvEEiEE10hipError_tPvRmT2_T3_T4_T5_mT6_T7_P12ihipStream_tbENKUlT_T0_E_clISt17integral_constantIbLb1EES14_EEDaSZ_S10_EUlSZ_E_NS1_11comp_targetILNS1_3genE10ELNS1_11target_archE1201ELNS1_3gpuE5ELNS1_3repE0EEENS1_30default_config_static_selectorELNS0_4arch9wavefront6targetE0EEEvT1_,comdat
.Lfunc_end939:
	.size	_ZN7rocprim17ROCPRIM_400000_NS6detail17trampoline_kernelINS0_14default_configENS1_27scan_by_key_config_selectorIiiEEZZNS1_16scan_by_key_implILNS1_25lookback_scan_determinismE0ELb0ES3_N6thrust23THRUST_200600_302600_NS6detail15normal_iteratorINS9_10device_ptrIiEEEENS9_18transform_iteratorINS9_6negateIiEESE_NS9_11use_defaultESI_EESE_iNS9_4plusIvEENS9_8equal_toIvEEiEE10hipError_tPvRmT2_T3_T4_T5_mT6_T7_P12ihipStream_tbENKUlT_T0_E_clISt17integral_constantIbLb1EES14_EEDaSZ_S10_EUlSZ_E_NS1_11comp_targetILNS1_3genE10ELNS1_11target_archE1201ELNS1_3gpuE5ELNS1_3repE0EEENS1_30default_config_static_selectorELNS0_4arch9wavefront6targetE0EEEvT1_, .Lfunc_end939-_ZN7rocprim17ROCPRIM_400000_NS6detail17trampoline_kernelINS0_14default_configENS1_27scan_by_key_config_selectorIiiEEZZNS1_16scan_by_key_implILNS1_25lookback_scan_determinismE0ELb0ES3_N6thrust23THRUST_200600_302600_NS6detail15normal_iteratorINS9_10device_ptrIiEEEENS9_18transform_iteratorINS9_6negateIiEESE_NS9_11use_defaultESI_EESE_iNS9_4plusIvEENS9_8equal_toIvEEiEE10hipError_tPvRmT2_T3_T4_T5_mT6_T7_P12ihipStream_tbENKUlT_T0_E_clISt17integral_constantIbLb1EES14_EEDaSZ_S10_EUlSZ_E_NS1_11comp_targetILNS1_3genE10ELNS1_11target_archE1201ELNS1_3gpuE5ELNS1_3repE0EEENS1_30default_config_static_selectorELNS0_4arch9wavefront6targetE0EEEvT1_
                                        ; -- End function
	.set _ZN7rocprim17ROCPRIM_400000_NS6detail17trampoline_kernelINS0_14default_configENS1_27scan_by_key_config_selectorIiiEEZZNS1_16scan_by_key_implILNS1_25lookback_scan_determinismE0ELb0ES3_N6thrust23THRUST_200600_302600_NS6detail15normal_iteratorINS9_10device_ptrIiEEEENS9_18transform_iteratorINS9_6negateIiEESE_NS9_11use_defaultESI_EESE_iNS9_4plusIvEENS9_8equal_toIvEEiEE10hipError_tPvRmT2_T3_T4_T5_mT6_T7_P12ihipStream_tbENKUlT_T0_E_clISt17integral_constantIbLb1EES14_EEDaSZ_S10_EUlSZ_E_NS1_11comp_targetILNS1_3genE10ELNS1_11target_archE1201ELNS1_3gpuE5ELNS1_3repE0EEENS1_30default_config_static_selectorELNS0_4arch9wavefront6targetE0EEEvT1_.num_vgpr, 0
	.set _ZN7rocprim17ROCPRIM_400000_NS6detail17trampoline_kernelINS0_14default_configENS1_27scan_by_key_config_selectorIiiEEZZNS1_16scan_by_key_implILNS1_25lookback_scan_determinismE0ELb0ES3_N6thrust23THRUST_200600_302600_NS6detail15normal_iteratorINS9_10device_ptrIiEEEENS9_18transform_iteratorINS9_6negateIiEESE_NS9_11use_defaultESI_EESE_iNS9_4plusIvEENS9_8equal_toIvEEiEE10hipError_tPvRmT2_T3_T4_T5_mT6_T7_P12ihipStream_tbENKUlT_T0_E_clISt17integral_constantIbLb1EES14_EEDaSZ_S10_EUlSZ_E_NS1_11comp_targetILNS1_3genE10ELNS1_11target_archE1201ELNS1_3gpuE5ELNS1_3repE0EEENS1_30default_config_static_selectorELNS0_4arch9wavefront6targetE0EEEvT1_.num_agpr, 0
	.set _ZN7rocprim17ROCPRIM_400000_NS6detail17trampoline_kernelINS0_14default_configENS1_27scan_by_key_config_selectorIiiEEZZNS1_16scan_by_key_implILNS1_25lookback_scan_determinismE0ELb0ES3_N6thrust23THRUST_200600_302600_NS6detail15normal_iteratorINS9_10device_ptrIiEEEENS9_18transform_iteratorINS9_6negateIiEESE_NS9_11use_defaultESI_EESE_iNS9_4plusIvEENS9_8equal_toIvEEiEE10hipError_tPvRmT2_T3_T4_T5_mT6_T7_P12ihipStream_tbENKUlT_T0_E_clISt17integral_constantIbLb1EES14_EEDaSZ_S10_EUlSZ_E_NS1_11comp_targetILNS1_3genE10ELNS1_11target_archE1201ELNS1_3gpuE5ELNS1_3repE0EEENS1_30default_config_static_selectorELNS0_4arch9wavefront6targetE0EEEvT1_.numbered_sgpr, 0
	.set _ZN7rocprim17ROCPRIM_400000_NS6detail17trampoline_kernelINS0_14default_configENS1_27scan_by_key_config_selectorIiiEEZZNS1_16scan_by_key_implILNS1_25lookback_scan_determinismE0ELb0ES3_N6thrust23THRUST_200600_302600_NS6detail15normal_iteratorINS9_10device_ptrIiEEEENS9_18transform_iteratorINS9_6negateIiEESE_NS9_11use_defaultESI_EESE_iNS9_4plusIvEENS9_8equal_toIvEEiEE10hipError_tPvRmT2_T3_T4_T5_mT6_T7_P12ihipStream_tbENKUlT_T0_E_clISt17integral_constantIbLb1EES14_EEDaSZ_S10_EUlSZ_E_NS1_11comp_targetILNS1_3genE10ELNS1_11target_archE1201ELNS1_3gpuE5ELNS1_3repE0EEENS1_30default_config_static_selectorELNS0_4arch9wavefront6targetE0EEEvT1_.num_named_barrier, 0
	.set _ZN7rocprim17ROCPRIM_400000_NS6detail17trampoline_kernelINS0_14default_configENS1_27scan_by_key_config_selectorIiiEEZZNS1_16scan_by_key_implILNS1_25lookback_scan_determinismE0ELb0ES3_N6thrust23THRUST_200600_302600_NS6detail15normal_iteratorINS9_10device_ptrIiEEEENS9_18transform_iteratorINS9_6negateIiEESE_NS9_11use_defaultESI_EESE_iNS9_4plusIvEENS9_8equal_toIvEEiEE10hipError_tPvRmT2_T3_T4_T5_mT6_T7_P12ihipStream_tbENKUlT_T0_E_clISt17integral_constantIbLb1EES14_EEDaSZ_S10_EUlSZ_E_NS1_11comp_targetILNS1_3genE10ELNS1_11target_archE1201ELNS1_3gpuE5ELNS1_3repE0EEENS1_30default_config_static_selectorELNS0_4arch9wavefront6targetE0EEEvT1_.private_seg_size, 0
	.set _ZN7rocprim17ROCPRIM_400000_NS6detail17trampoline_kernelINS0_14default_configENS1_27scan_by_key_config_selectorIiiEEZZNS1_16scan_by_key_implILNS1_25lookback_scan_determinismE0ELb0ES3_N6thrust23THRUST_200600_302600_NS6detail15normal_iteratorINS9_10device_ptrIiEEEENS9_18transform_iteratorINS9_6negateIiEESE_NS9_11use_defaultESI_EESE_iNS9_4plusIvEENS9_8equal_toIvEEiEE10hipError_tPvRmT2_T3_T4_T5_mT6_T7_P12ihipStream_tbENKUlT_T0_E_clISt17integral_constantIbLb1EES14_EEDaSZ_S10_EUlSZ_E_NS1_11comp_targetILNS1_3genE10ELNS1_11target_archE1201ELNS1_3gpuE5ELNS1_3repE0EEENS1_30default_config_static_selectorELNS0_4arch9wavefront6targetE0EEEvT1_.uses_vcc, 0
	.set _ZN7rocprim17ROCPRIM_400000_NS6detail17trampoline_kernelINS0_14default_configENS1_27scan_by_key_config_selectorIiiEEZZNS1_16scan_by_key_implILNS1_25lookback_scan_determinismE0ELb0ES3_N6thrust23THRUST_200600_302600_NS6detail15normal_iteratorINS9_10device_ptrIiEEEENS9_18transform_iteratorINS9_6negateIiEESE_NS9_11use_defaultESI_EESE_iNS9_4plusIvEENS9_8equal_toIvEEiEE10hipError_tPvRmT2_T3_T4_T5_mT6_T7_P12ihipStream_tbENKUlT_T0_E_clISt17integral_constantIbLb1EES14_EEDaSZ_S10_EUlSZ_E_NS1_11comp_targetILNS1_3genE10ELNS1_11target_archE1201ELNS1_3gpuE5ELNS1_3repE0EEENS1_30default_config_static_selectorELNS0_4arch9wavefront6targetE0EEEvT1_.uses_flat_scratch, 0
	.set _ZN7rocprim17ROCPRIM_400000_NS6detail17trampoline_kernelINS0_14default_configENS1_27scan_by_key_config_selectorIiiEEZZNS1_16scan_by_key_implILNS1_25lookback_scan_determinismE0ELb0ES3_N6thrust23THRUST_200600_302600_NS6detail15normal_iteratorINS9_10device_ptrIiEEEENS9_18transform_iteratorINS9_6negateIiEESE_NS9_11use_defaultESI_EESE_iNS9_4plusIvEENS9_8equal_toIvEEiEE10hipError_tPvRmT2_T3_T4_T5_mT6_T7_P12ihipStream_tbENKUlT_T0_E_clISt17integral_constantIbLb1EES14_EEDaSZ_S10_EUlSZ_E_NS1_11comp_targetILNS1_3genE10ELNS1_11target_archE1201ELNS1_3gpuE5ELNS1_3repE0EEENS1_30default_config_static_selectorELNS0_4arch9wavefront6targetE0EEEvT1_.has_dyn_sized_stack, 0
	.set _ZN7rocprim17ROCPRIM_400000_NS6detail17trampoline_kernelINS0_14default_configENS1_27scan_by_key_config_selectorIiiEEZZNS1_16scan_by_key_implILNS1_25lookback_scan_determinismE0ELb0ES3_N6thrust23THRUST_200600_302600_NS6detail15normal_iteratorINS9_10device_ptrIiEEEENS9_18transform_iteratorINS9_6negateIiEESE_NS9_11use_defaultESI_EESE_iNS9_4plusIvEENS9_8equal_toIvEEiEE10hipError_tPvRmT2_T3_T4_T5_mT6_T7_P12ihipStream_tbENKUlT_T0_E_clISt17integral_constantIbLb1EES14_EEDaSZ_S10_EUlSZ_E_NS1_11comp_targetILNS1_3genE10ELNS1_11target_archE1201ELNS1_3gpuE5ELNS1_3repE0EEENS1_30default_config_static_selectorELNS0_4arch9wavefront6targetE0EEEvT1_.has_recursion, 0
	.set _ZN7rocprim17ROCPRIM_400000_NS6detail17trampoline_kernelINS0_14default_configENS1_27scan_by_key_config_selectorIiiEEZZNS1_16scan_by_key_implILNS1_25lookback_scan_determinismE0ELb0ES3_N6thrust23THRUST_200600_302600_NS6detail15normal_iteratorINS9_10device_ptrIiEEEENS9_18transform_iteratorINS9_6negateIiEESE_NS9_11use_defaultESI_EESE_iNS9_4plusIvEENS9_8equal_toIvEEiEE10hipError_tPvRmT2_T3_T4_T5_mT6_T7_P12ihipStream_tbENKUlT_T0_E_clISt17integral_constantIbLb1EES14_EEDaSZ_S10_EUlSZ_E_NS1_11comp_targetILNS1_3genE10ELNS1_11target_archE1201ELNS1_3gpuE5ELNS1_3repE0EEENS1_30default_config_static_selectorELNS0_4arch9wavefront6targetE0EEEvT1_.has_indirect_call, 0
	.section	.AMDGPU.csdata,"",@progbits
; Kernel info:
; codeLenInByte = 0
; TotalNumSgprs: 0
; NumVgprs: 0
; ScratchSize: 0
; MemoryBound: 0
; FloatMode: 240
; IeeeMode: 1
; LDSByteSize: 0 bytes/workgroup (compile time only)
; SGPRBlocks: 0
; VGPRBlocks: 0
; NumSGPRsForWavesPerEU: 1
; NumVGPRsForWavesPerEU: 1
; Occupancy: 16
; WaveLimiterHint : 0
; COMPUTE_PGM_RSRC2:SCRATCH_EN: 0
; COMPUTE_PGM_RSRC2:USER_SGPR: 6
; COMPUTE_PGM_RSRC2:TRAP_HANDLER: 0
; COMPUTE_PGM_RSRC2:TGID_X_EN: 1
; COMPUTE_PGM_RSRC2:TGID_Y_EN: 0
; COMPUTE_PGM_RSRC2:TGID_Z_EN: 0
; COMPUTE_PGM_RSRC2:TIDIG_COMP_CNT: 0
	.section	.text._ZN7rocprim17ROCPRIM_400000_NS6detail17trampoline_kernelINS0_14default_configENS1_27scan_by_key_config_selectorIiiEEZZNS1_16scan_by_key_implILNS1_25lookback_scan_determinismE0ELb0ES3_N6thrust23THRUST_200600_302600_NS6detail15normal_iteratorINS9_10device_ptrIiEEEENS9_18transform_iteratorINS9_6negateIiEESE_NS9_11use_defaultESI_EESE_iNS9_4plusIvEENS9_8equal_toIvEEiEE10hipError_tPvRmT2_T3_T4_T5_mT6_T7_P12ihipStream_tbENKUlT_T0_E_clISt17integral_constantIbLb1EES14_EEDaSZ_S10_EUlSZ_E_NS1_11comp_targetILNS1_3genE5ELNS1_11target_archE942ELNS1_3gpuE9ELNS1_3repE0EEENS1_30default_config_static_selectorELNS0_4arch9wavefront6targetE0EEEvT1_,"axG",@progbits,_ZN7rocprim17ROCPRIM_400000_NS6detail17trampoline_kernelINS0_14default_configENS1_27scan_by_key_config_selectorIiiEEZZNS1_16scan_by_key_implILNS1_25lookback_scan_determinismE0ELb0ES3_N6thrust23THRUST_200600_302600_NS6detail15normal_iteratorINS9_10device_ptrIiEEEENS9_18transform_iteratorINS9_6negateIiEESE_NS9_11use_defaultESI_EESE_iNS9_4plusIvEENS9_8equal_toIvEEiEE10hipError_tPvRmT2_T3_T4_T5_mT6_T7_P12ihipStream_tbENKUlT_T0_E_clISt17integral_constantIbLb1EES14_EEDaSZ_S10_EUlSZ_E_NS1_11comp_targetILNS1_3genE5ELNS1_11target_archE942ELNS1_3gpuE9ELNS1_3repE0EEENS1_30default_config_static_selectorELNS0_4arch9wavefront6targetE0EEEvT1_,comdat
	.protected	_ZN7rocprim17ROCPRIM_400000_NS6detail17trampoline_kernelINS0_14default_configENS1_27scan_by_key_config_selectorIiiEEZZNS1_16scan_by_key_implILNS1_25lookback_scan_determinismE0ELb0ES3_N6thrust23THRUST_200600_302600_NS6detail15normal_iteratorINS9_10device_ptrIiEEEENS9_18transform_iteratorINS9_6negateIiEESE_NS9_11use_defaultESI_EESE_iNS9_4plusIvEENS9_8equal_toIvEEiEE10hipError_tPvRmT2_T3_T4_T5_mT6_T7_P12ihipStream_tbENKUlT_T0_E_clISt17integral_constantIbLb1EES14_EEDaSZ_S10_EUlSZ_E_NS1_11comp_targetILNS1_3genE5ELNS1_11target_archE942ELNS1_3gpuE9ELNS1_3repE0EEENS1_30default_config_static_selectorELNS0_4arch9wavefront6targetE0EEEvT1_ ; -- Begin function _ZN7rocprim17ROCPRIM_400000_NS6detail17trampoline_kernelINS0_14default_configENS1_27scan_by_key_config_selectorIiiEEZZNS1_16scan_by_key_implILNS1_25lookback_scan_determinismE0ELb0ES3_N6thrust23THRUST_200600_302600_NS6detail15normal_iteratorINS9_10device_ptrIiEEEENS9_18transform_iteratorINS9_6negateIiEESE_NS9_11use_defaultESI_EESE_iNS9_4plusIvEENS9_8equal_toIvEEiEE10hipError_tPvRmT2_T3_T4_T5_mT6_T7_P12ihipStream_tbENKUlT_T0_E_clISt17integral_constantIbLb1EES14_EEDaSZ_S10_EUlSZ_E_NS1_11comp_targetILNS1_3genE5ELNS1_11target_archE942ELNS1_3gpuE9ELNS1_3repE0EEENS1_30default_config_static_selectorELNS0_4arch9wavefront6targetE0EEEvT1_
	.globl	_ZN7rocprim17ROCPRIM_400000_NS6detail17trampoline_kernelINS0_14default_configENS1_27scan_by_key_config_selectorIiiEEZZNS1_16scan_by_key_implILNS1_25lookback_scan_determinismE0ELb0ES3_N6thrust23THRUST_200600_302600_NS6detail15normal_iteratorINS9_10device_ptrIiEEEENS9_18transform_iteratorINS9_6negateIiEESE_NS9_11use_defaultESI_EESE_iNS9_4plusIvEENS9_8equal_toIvEEiEE10hipError_tPvRmT2_T3_T4_T5_mT6_T7_P12ihipStream_tbENKUlT_T0_E_clISt17integral_constantIbLb1EES14_EEDaSZ_S10_EUlSZ_E_NS1_11comp_targetILNS1_3genE5ELNS1_11target_archE942ELNS1_3gpuE9ELNS1_3repE0EEENS1_30default_config_static_selectorELNS0_4arch9wavefront6targetE0EEEvT1_
	.p2align	8
	.type	_ZN7rocprim17ROCPRIM_400000_NS6detail17trampoline_kernelINS0_14default_configENS1_27scan_by_key_config_selectorIiiEEZZNS1_16scan_by_key_implILNS1_25lookback_scan_determinismE0ELb0ES3_N6thrust23THRUST_200600_302600_NS6detail15normal_iteratorINS9_10device_ptrIiEEEENS9_18transform_iteratorINS9_6negateIiEESE_NS9_11use_defaultESI_EESE_iNS9_4plusIvEENS9_8equal_toIvEEiEE10hipError_tPvRmT2_T3_T4_T5_mT6_T7_P12ihipStream_tbENKUlT_T0_E_clISt17integral_constantIbLb1EES14_EEDaSZ_S10_EUlSZ_E_NS1_11comp_targetILNS1_3genE5ELNS1_11target_archE942ELNS1_3gpuE9ELNS1_3repE0EEENS1_30default_config_static_selectorELNS0_4arch9wavefront6targetE0EEEvT1_,@function
_ZN7rocprim17ROCPRIM_400000_NS6detail17trampoline_kernelINS0_14default_configENS1_27scan_by_key_config_selectorIiiEEZZNS1_16scan_by_key_implILNS1_25lookback_scan_determinismE0ELb0ES3_N6thrust23THRUST_200600_302600_NS6detail15normal_iteratorINS9_10device_ptrIiEEEENS9_18transform_iteratorINS9_6negateIiEESE_NS9_11use_defaultESI_EESE_iNS9_4plusIvEENS9_8equal_toIvEEiEE10hipError_tPvRmT2_T3_T4_T5_mT6_T7_P12ihipStream_tbENKUlT_T0_E_clISt17integral_constantIbLb1EES14_EEDaSZ_S10_EUlSZ_E_NS1_11comp_targetILNS1_3genE5ELNS1_11target_archE942ELNS1_3gpuE9ELNS1_3repE0EEENS1_30default_config_static_selectorELNS0_4arch9wavefront6targetE0EEEvT1_: ; @_ZN7rocprim17ROCPRIM_400000_NS6detail17trampoline_kernelINS0_14default_configENS1_27scan_by_key_config_selectorIiiEEZZNS1_16scan_by_key_implILNS1_25lookback_scan_determinismE0ELb0ES3_N6thrust23THRUST_200600_302600_NS6detail15normal_iteratorINS9_10device_ptrIiEEEENS9_18transform_iteratorINS9_6negateIiEESE_NS9_11use_defaultESI_EESE_iNS9_4plusIvEENS9_8equal_toIvEEiEE10hipError_tPvRmT2_T3_T4_T5_mT6_T7_P12ihipStream_tbENKUlT_T0_E_clISt17integral_constantIbLb1EES14_EEDaSZ_S10_EUlSZ_E_NS1_11comp_targetILNS1_3genE5ELNS1_11target_archE942ELNS1_3gpuE9ELNS1_3repE0EEENS1_30default_config_static_selectorELNS0_4arch9wavefront6targetE0EEEvT1_
; %bb.0:
	.section	.rodata,"a",@progbits
	.p2align	6, 0x0
	.amdhsa_kernel _ZN7rocprim17ROCPRIM_400000_NS6detail17trampoline_kernelINS0_14default_configENS1_27scan_by_key_config_selectorIiiEEZZNS1_16scan_by_key_implILNS1_25lookback_scan_determinismE0ELb0ES3_N6thrust23THRUST_200600_302600_NS6detail15normal_iteratorINS9_10device_ptrIiEEEENS9_18transform_iteratorINS9_6negateIiEESE_NS9_11use_defaultESI_EESE_iNS9_4plusIvEENS9_8equal_toIvEEiEE10hipError_tPvRmT2_T3_T4_T5_mT6_T7_P12ihipStream_tbENKUlT_T0_E_clISt17integral_constantIbLb1EES14_EEDaSZ_S10_EUlSZ_E_NS1_11comp_targetILNS1_3genE5ELNS1_11target_archE942ELNS1_3gpuE9ELNS1_3repE0EEENS1_30default_config_static_selectorELNS0_4arch9wavefront6targetE0EEEvT1_
		.amdhsa_group_segment_fixed_size 0
		.amdhsa_private_segment_fixed_size 0
		.amdhsa_kernarg_size 120
		.amdhsa_user_sgpr_count 6
		.amdhsa_user_sgpr_private_segment_buffer 1
		.amdhsa_user_sgpr_dispatch_ptr 0
		.amdhsa_user_sgpr_queue_ptr 0
		.amdhsa_user_sgpr_kernarg_segment_ptr 1
		.amdhsa_user_sgpr_dispatch_id 0
		.amdhsa_user_sgpr_flat_scratch_init 0
		.amdhsa_user_sgpr_private_segment_size 0
		.amdhsa_wavefront_size32 1
		.amdhsa_uses_dynamic_stack 0
		.amdhsa_system_sgpr_private_segment_wavefront_offset 0
		.amdhsa_system_sgpr_workgroup_id_x 1
		.amdhsa_system_sgpr_workgroup_id_y 0
		.amdhsa_system_sgpr_workgroup_id_z 0
		.amdhsa_system_sgpr_workgroup_info 0
		.amdhsa_system_vgpr_workitem_id 0
		.amdhsa_next_free_vgpr 1
		.amdhsa_next_free_sgpr 1
		.amdhsa_reserve_vcc 0
		.amdhsa_reserve_flat_scratch 0
		.amdhsa_float_round_mode_32 0
		.amdhsa_float_round_mode_16_64 0
		.amdhsa_float_denorm_mode_32 3
		.amdhsa_float_denorm_mode_16_64 3
		.amdhsa_dx10_clamp 1
		.amdhsa_ieee_mode 1
		.amdhsa_fp16_overflow 0
		.amdhsa_workgroup_processor_mode 1
		.amdhsa_memory_ordered 1
		.amdhsa_forward_progress 1
		.amdhsa_shared_vgpr_count 0
		.amdhsa_exception_fp_ieee_invalid_op 0
		.amdhsa_exception_fp_denorm_src 0
		.amdhsa_exception_fp_ieee_div_zero 0
		.amdhsa_exception_fp_ieee_overflow 0
		.amdhsa_exception_fp_ieee_underflow 0
		.amdhsa_exception_fp_ieee_inexact 0
		.amdhsa_exception_int_div_zero 0
	.end_amdhsa_kernel
	.section	.text._ZN7rocprim17ROCPRIM_400000_NS6detail17trampoline_kernelINS0_14default_configENS1_27scan_by_key_config_selectorIiiEEZZNS1_16scan_by_key_implILNS1_25lookback_scan_determinismE0ELb0ES3_N6thrust23THRUST_200600_302600_NS6detail15normal_iteratorINS9_10device_ptrIiEEEENS9_18transform_iteratorINS9_6negateIiEESE_NS9_11use_defaultESI_EESE_iNS9_4plusIvEENS9_8equal_toIvEEiEE10hipError_tPvRmT2_T3_T4_T5_mT6_T7_P12ihipStream_tbENKUlT_T0_E_clISt17integral_constantIbLb1EES14_EEDaSZ_S10_EUlSZ_E_NS1_11comp_targetILNS1_3genE5ELNS1_11target_archE942ELNS1_3gpuE9ELNS1_3repE0EEENS1_30default_config_static_selectorELNS0_4arch9wavefront6targetE0EEEvT1_,"axG",@progbits,_ZN7rocprim17ROCPRIM_400000_NS6detail17trampoline_kernelINS0_14default_configENS1_27scan_by_key_config_selectorIiiEEZZNS1_16scan_by_key_implILNS1_25lookback_scan_determinismE0ELb0ES3_N6thrust23THRUST_200600_302600_NS6detail15normal_iteratorINS9_10device_ptrIiEEEENS9_18transform_iteratorINS9_6negateIiEESE_NS9_11use_defaultESI_EESE_iNS9_4plusIvEENS9_8equal_toIvEEiEE10hipError_tPvRmT2_T3_T4_T5_mT6_T7_P12ihipStream_tbENKUlT_T0_E_clISt17integral_constantIbLb1EES14_EEDaSZ_S10_EUlSZ_E_NS1_11comp_targetILNS1_3genE5ELNS1_11target_archE942ELNS1_3gpuE9ELNS1_3repE0EEENS1_30default_config_static_selectorELNS0_4arch9wavefront6targetE0EEEvT1_,comdat
.Lfunc_end940:
	.size	_ZN7rocprim17ROCPRIM_400000_NS6detail17trampoline_kernelINS0_14default_configENS1_27scan_by_key_config_selectorIiiEEZZNS1_16scan_by_key_implILNS1_25lookback_scan_determinismE0ELb0ES3_N6thrust23THRUST_200600_302600_NS6detail15normal_iteratorINS9_10device_ptrIiEEEENS9_18transform_iteratorINS9_6negateIiEESE_NS9_11use_defaultESI_EESE_iNS9_4plusIvEENS9_8equal_toIvEEiEE10hipError_tPvRmT2_T3_T4_T5_mT6_T7_P12ihipStream_tbENKUlT_T0_E_clISt17integral_constantIbLb1EES14_EEDaSZ_S10_EUlSZ_E_NS1_11comp_targetILNS1_3genE5ELNS1_11target_archE942ELNS1_3gpuE9ELNS1_3repE0EEENS1_30default_config_static_selectorELNS0_4arch9wavefront6targetE0EEEvT1_, .Lfunc_end940-_ZN7rocprim17ROCPRIM_400000_NS6detail17trampoline_kernelINS0_14default_configENS1_27scan_by_key_config_selectorIiiEEZZNS1_16scan_by_key_implILNS1_25lookback_scan_determinismE0ELb0ES3_N6thrust23THRUST_200600_302600_NS6detail15normal_iteratorINS9_10device_ptrIiEEEENS9_18transform_iteratorINS9_6negateIiEESE_NS9_11use_defaultESI_EESE_iNS9_4plusIvEENS9_8equal_toIvEEiEE10hipError_tPvRmT2_T3_T4_T5_mT6_T7_P12ihipStream_tbENKUlT_T0_E_clISt17integral_constantIbLb1EES14_EEDaSZ_S10_EUlSZ_E_NS1_11comp_targetILNS1_3genE5ELNS1_11target_archE942ELNS1_3gpuE9ELNS1_3repE0EEENS1_30default_config_static_selectorELNS0_4arch9wavefront6targetE0EEEvT1_
                                        ; -- End function
	.set _ZN7rocprim17ROCPRIM_400000_NS6detail17trampoline_kernelINS0_14default_configENS1_27scan_by_key_config_selectorIiiEEZZNS1_16scan_by_key_implILNS1_25lookback_scan_determinismE0ELb0ES3_N6thrust23THRUST_200600_302600_NS6detail15normal_iteratorINS9_10device_ptrIiEEEENS9_18transform_iteratorINS9_6negateIiEESE_NS9_11use_defaultESI_EESE_iNS9_4plusIvEENS9_8equal_toIvEEiEE10hipError_tPvRmT2_T3_T4_T5_mT6_T7_P12ihipStream_tbENKUlT_T0_E_clISt17integral_constantIbLb1EES14_EEDaSZ_S10_EUlSZ_E_NS1_11comp_targetILNS1_3genE5ELNS1_11target_archE942ELNS1_3gpuE9ELNS1_3repE0EEENS1_30default_config_static_selectorELNS0_4arch9wavefront6targetE0EEEvT1_.num_vgpr, 0
	.set _ZN7rocprim17ROCPRIM_400000_NS6detail17trampoline_kernelINS0_14default_configENS1_27scan_by_key_config_selectorIiiEEZZNS1_16scan_by_key_implILNS1_25lookback_scan_determinismE0ELb0ES3_N6thrust23THRUST_200600_302600_NS6detail15normal_iteratorINS9_10device_ptrIiEEEENS9_18transform_iteratorINS9_6negateIiEESE_NS9_11use_defaultESI_EESE_iNS9_4plusIvEENS9_8equal_toIvEEiEE10hipError_tPvRmT2_T3_T4_T5_mT6_T7_P12ihipStream_tbENKUlT_T0_E_clISt17integral_constantIbLb1EES14_EEDaSZ_S10_EUlSZ_E_NS1_11comp_targetILNS1_3genE5ELNS1_11target_archE942ELNS1_3gpuE9ELNS1_3repE0EEENS1_30default_config_static_selectorELNS0_4arch9wavefront6targetE0EEEvT1_.num_agpr, 0
	.set _ZN7rocprim17ROCPRIM_400000_NS6detail17trampoline_kernelINS0_14default_configENS1_27scan_by_key_config_selectorIiiEEZZNS1_16scan_by_key_implILNS1_25lookback_scan_determinismE0ELb0ES3_N6thrust23THRUST_200600_302600_NS6detail15normal_iteratorINS9_10device_ptrIiEEEENS9_18transform_iteratorINS9_6negateIiEESE_NS9_11use_defaultESI_EESE_iNS9_4plusIvEENS9_8equal_toIvEEiEE10hipError_tPvRmT2_T3_T4_T5_mT6_T7_P12ihipStream_tbENKUlT_T0_E_clISt17integral_constantIbLb1EES14_EEDaSZ_S10_EUlSZ_E_NS1_11comp_targetILNS1_3genE5ELNS1_11target_archE942ELNS1_3gpuE9ELNS1_3repE0EEENS1_30default_config_static_selectorELNS0_4arch9wavefront6targetE0EEEvT1_.numbered_sgpr, 0
	.set _ZN7rocprim17ROCPRIM_400000_NS6detail17trampoline_kernelINS0_14default_configENS1_27scan_by_key_config_selectorIiiEEZZNS1_16scan_by_key_implILNS1_25lookback_scan_determinismE0ELb0ES3_N6thrust23THRUST_200600_302600_NS6detail15normal_iteratorINS9_10device_ptrIiEEEENS9_18transform_iteratorINS9_6negateIiEESE_NS9_11use_defaultESI_EESE_iNS9_4plusIvEENS9_8equal_toIvEEiEE10hipError_tPvRmT2_T3_T4_T5_mT6_T7_P12ihipStream_tbENKUlT_T0_E_clISt17integral_constantIbLb1EES14_EEDaSZ_S10_EUlSZ_E_NS1_11comp_targetILNS1_3genE5ELNS1_11target_archE942ELNS1_3gpuE9ELNS1_3repE0EEENS1_30default_config_static_selectorELNS0_4arch9wavefront6targetE0EEEvT1_.num_named_barrier, 0
	.set _ZN7rocprim17ROCPRIM_400000_NS6detail17trampoline_kernelINS0_14default_configENS1_27scan_by_key_config_selectorIiiEEZZNS1_16scan_by_key_implILNS1_25lookback_scan_determinismE0ELb0ES3_N6thrust23THRUST_200600_302600_NS6detail15normal_iteratorINS9_10device_ptrIiEEEENS9_18transform_iteratorINS9_6negateIiEESE_NS9_11use_defaultESI_EESE_iNS9_4plusIvEENS9_8equal_toIvEEiEE10hipError_tPvRmT2_T3_T4_T5_mT6_T7_P12ihipStream_tbENKUlT_T0_E_clISt17integral_constantIbLb1EES14_EEDaSZ_S10_EUlSZ_E_NS1_11comp_targetILNS1_3genE5ELNS1_11target_archE942ELNS1_3gpuE9ELNS1_3repE0EEENS1_30default_config_static_selectorELNS0_4arch9wavefront6targetE0EEEvT1_.private_seg_size, 0
	.set _ZN7rocprim17ROCPRIM_400000_NS6detail17trampoline_kernelINS0_14default_configENS1_27scan_by_key_config_selectorIiiEEZZNS1_16scan_by_key_implILNS1_25lookback_scan_determinismE0ELb0ES3_N6thrust23THRUST_200600_302600_NS6detail15normal_iteratorINS9_10device_ptrIiEEEENS9_18transform_iteratorINS9_6negateIiEESE_NS9_11use_defaultESI_EESE_iNS9_4plusIvEENS9_8equal_toIvEEiEE10hipError_tPvRmT2_T3_T4_T5_mT6_T7_P12ihipStream_tbENKUlT_T0_E_clISt17integral_constantIbLb1EES14_EEDaSZ_S10_EUlSZ_E_NS1_11comp_targetILNS1_3genE5ELNS1_11target_archE942ELNS1_3gpuE9ELNS1_3repE0EEENS1_30default_config_static_selectorELNS0_4arch9wavefront6targetE0EEEvT1_.uses_vcc, 0
	.set _ZN7rocprim17ROCPRIM_400000_NS6detail17trampoline_kernelINS0_14default_configENS1_27scan_by_key_config_selectorIiiEEZZNS1_16scan_by_key_implILNS1_25lookback_scan_determinismE0ELb0ES3_N6thrust23THRUST_200600_302600_NS6detail15normal_iteratorINS9_10device_ptrIiEEEENS9_18transform_iteratorINS9_6negateIiEESE_NS9_11use_defaultESI_EESE_iNS9_4plusIvEENS9_8equal_toIvEEiEE10hipError_tPvRmT2_T3_T4_T5_mT6_T7_P12ihipStream_tbENKUlT_T0_E_clISt17integral_constantIbLb1EES14_EEDaSZ_S10_EUlSZ_E_NS1_11comp_targetILNS1_3genE5ELNS1_11target_archE942ELNS1_3gpuE9ELNS1_3repE0EEENS1_30default_config_static_selectorELNS0_4arch9wavefront6targetE0EEEvT1_.uses_flat_scratch, 0
	.set _ZN7rocprim17ROCPRIM_400000_NS6detail17trampoline_kernelINS0_14default_configENS1_27scan_by_key_config_selectorIiiEEZZNS1_16scan_by_key_implILNS1_25lookback_scan_determinismE0ELb0ES3_N6thrust23THRUST_200600_302600_NS6detail15normal_iteratorINS9_10device_ptrIiEEEENS9_18transform_iteratorINS9_6negateIiEESE_NS9_11use_defaultESI_EESE_iNS9_4plusIvEENS9_8equal_toIvEEiEE10hipError_tPvRmT2_T3_T4_T5_mT6_T7_P12ihipStream_tbENKUlT_T0_E_clISt17integral_constantIbLb1EES14_EEDaSZ_S10_EUlSZ_E_NS1_11comp_targetILNS1_3genE5ELNS1_11target_archE942ELNS1_3gpuE9ELNS1_3repE0EEENS1_30default_config_static_selectorELNS0_4arch9wavefront6targetE0EEEvT1_.has_dyn_sized_stack, 0
	.set _ZN7rocprim17ROCPRIM_400000_NS6detail17trampoline_kernelINS0_14default_configENS1_27scan_by_key_config_selectorIiiEEZZNS1_16scan_by_key_implILNS1_25lookback_scan_determinismE0ELb0ES3_N6thrust23THRUST_200600_302600_NS6detail15normal_iteratorINS9_10device_ptrIiEEEENS9_18transform_iteratorINS9_6negateIiEESE_NS9_11use_defaultESI_EESE_iNS9_4plusIvEENS9_8equal_toIvEEiEE10hipError_tPvRmT2_T3_T4_T5_mT6_T7_P12ihipStream_tbENKUlT_T0_E_clISt17integral_constantIbLb1EES14_EEDaSZ_S10_EUlSZ_E_NS1_11comp_targetILNS1_3genE5ELNS1_11target_archE942ELNS1_3gpuE9ELNS1_3repE0EEENS1_30default_config_static_selectorELNS0_4arch9wavefront6targetE0EEEvT1_.has_recursion, 0
	.set _ZN7rocprim17ROCPRIM_400000_NS6detail17trampoline_kernelINS0_14default_configENS1_27scan_by_key_config_selectorIiiEEZZNS1_16scan_by_key_implILNS1_25lookback_scan_determinismE0ELb0ES3_N6thrust23THRUST_200600_302600_NS6detail15normal_iteratorINS9_10device_ptrIiEEEENS9_18transform_iteratorINS9_6negateIiEESE_NS9_11use_defaultESI_EESE_iNS9_4plusIvEENS9_8equal_toIvEEiEE10hipError_tPvRmT2_T3_T4_T5_mT6_T7_P12ihipStream_tbENKUlT_T0_E_clISt17integral_constantIbLb1EES14_EEDaSZ_S10_EUlSZ_E_NS1_11comp_targetILNS1_3genE5ELNS1_11target_archE942ELNS1_3gpuE9ELNS1_3repE0EEENS1_30default_config_static_selectorELNS0_4arch9wavefront6targetE0EEEvT1_.has_indirect_call, 0
	.section	.AMDGPU.csdata,"",@progbits
; Kernel info:
; codeLenInByte = 0
; TotalNumSgprs: 0
; NumVgprs: 0
; ScratchSize: 0
; MemoryBound: 0
; FloatMode: 240
; IeeeMode: 1
; LDSByteSize: 0 bytes/workgroup (compile time only)
; SGPRBlocks: 0
; VGPRBlocks: 0
; NumSGPRsForWavesPerEU: 1
; NumVGPRsForWavesPerEU: 1
; Occupancy: 16
; WaveLimiterHint : 0
; COMPUTE_PGM_RSRC2:SCRATCH_EN: 0
; COMPUTE_PGM_RSRC2:USER_SGPR: 6
; COMPUTE_PGM_RSRC2:TRAP_HANDLER: 0
; COMPUTE_PGM_RSRC2:TGID_X_EN: 1
; COMPUTE_PGM_RSRC2:TGID_Y_EN: 0
; COMPUTE_PGM_RSRC2:TGID_Z_EN: 0
; COMPUTE_PGM_RSRC2:TIDIG_COMP_CNT: 0
	.section	.text._ZN7rocprim17ROCPRIM_400000_NS6detail17trampoline_kernelINS0_14default_configENS1_27scan_by_key_config_selectorIiiEEZZNS1_16scan_by_key_implILNS1_25lookback_scan_determinismE0ELb0ES3_N6thrust23THRUST_200600_302600_NS6detail15normal_iteratorINS9_10device_ptrIiEEEENS9_18transform_iteratorINS9_6negateIiEESE_NS9_11use_defaultESI_EESE_iNS9_4plusIvEENS9_8equal_toIvEEiEE10hipError_tPvRmT2_T3_T4_T5_mT6_T7_P12ihipStream_tbENKUlT_T0_E_clISt17integral_constantIbLb1EES14_EEDaSZ_S10_EUlSZ_E_NS1_11comp_targetILNS1_3genE4ELNS1_11target_archE910ELNS1_3gpuE8ELNS1_3repE0EEENS1_30default_config_static_selectorELNS0_4arch9wavefront6targetE0EEEvT1_,"axG",@progbits,_ZN7rocprim17ROCPRIM_400000_NS6detail17trampoline_kernelINS0_14default_configENS1_27scan_by_key_config_selectorIiiEEZZNS1_16scan_by_key_implILNS1_25lookback_scan_determinismE0ELb0ES3_N6thrust23THRUST_200600_302600_NS6detail15normal_iteratorINS9_10device_ptrIiEEEENS9_18transform_iteratorINS9_6negateIiEESE_NS9_11use_defaultESI_EESE_iNS9_4plusIvEENS9_8equal_toIvEEiEE10hipError_tPvRmT2_T3_T4_T5_mT6_T7_P12ihipStream_tbENKUlT_T0_E_clISt17integral_constantIbLb1EES14_EEDaSZ_S10_EUlSZ_E_NS1_11comp_targetILNS1_3genE4ELNS1_11target_archE910ELNS1_3gpuE8ELNS1_3repE0EEENS1_30default_config_static_selectorELNS0_4arch9wavefront6targetE0EEEvT1_,comdat
	.protected	_ZN7rocprim17ROCPRIM_400000_NS6detail17trampoline_kernelINS0_14default_configENS1_27scan_by_key_config_selectorIiiEEZZNS1_16scan_by_key_implILNS1_25lookback_scan_determinismE0ELb0ES3_N6thrust23THRUST_200600_302600_NS6detail15normal_iteratorINS9_10device_ptrIiEEEENS9_18transform_iteratorINS9_6negateIiEESE_NS9_11use_defaultESI_EESE_iNS9_4plusIvEENS9_8equal_toIvEEiEE10hipError_tPvRmT2_T3_T4_T5_mT6_T7_P12ihipStream_tbENKUlT_T0_E_clISt17integral_constantIbLb1EES14_EEDaSZ_S10_EUlSZ_E_NS1_11comp_targetILNS1_3genE4ELNS1_11target_archE910ELNS1_3gpuE8ELNS1_3repE0EEENS1_30default_config_static_selectorELNS0_4arch9wavefront6targetE0EEEvT1_ ; -- Begin function _ZN7rocprim17ROCPRIM_400000_NS6detail17trampoline_kernelINS0_14default_configENS1_27scan_by_key_config_selectorIiiEEZZNS1_16scan_by_key_implILNS1_25lookback_scan_determinismE0ELb0ES3_N6thrust23THRUST_200600_302600_NS6detail15normal_iteratorINS9_10device_ptrIiEEEENS9_18transform_iteratorINS9_6negateIiEESE_NS9_11use_defaultESI_EESE_iNS9_4plusIvEENS9_8equal_toIvEEiEE10hipError_tPvRmT2_T3_T4_T5_mT6_T7_P12ihipStream_tbENKUlT_T0_E_clISt17integral_constantIbLb1EES14_EEDaSZ_S10_EUlSZ_E_NS1_11comp_targetILNS1_3genE4ELNS1_11target_archE910ELNS1_3gpuE8ELNS1_3repE0EEENS1_30default_config_static_selectorELNS0_4arch9wavefront6targetE0EEEvT1_
	.globl	_ZN7rocprim17ROCPRIM_400000_NS6detail17trampoline_kernelINS0_14default_configENS1_27scan_by_key_config_selectorIiiEEZZNS1_16scan_by_key_implILNS1_25lookback_scan_determinismE0ELb0ES3_N6thrust23THRUST_200600_302600_NS6detail15normal_iteratorINS9_10device_ptrIiEEEENS9_18transform_iteratorINS9_6negateIiEESE_NS9_11use_defaultESI_EESE_iNS9_4plusIvEENS9_8equal_toIvEEiEE10hipError_tPvRmT2_T3_T4_T5_mT6_T7_P12ihipStream_tbENKUlT_T0_E_clISt17integral_constantIbLb1EES14_EEDaSZ_S10_EUlSZ_E_NS1_11comp_targetILNS1_3genE4ELNS1_11target_archE910ELNS1_3gpuE8ELNS1_3repE0EEENS1_30default_config_static_selectorELNS0_4arch9wavefront6targetE0EEEvT1_
	.p2align	8
	.type	_ZN7rocprim17ROCPRIM_400000_NS6detail17trampoline_kernelINS0_14default_configENS1_27scan_by_key_config_selectorIiiEEZZNS1_16scan_by_key_implILNS1_25lookback_scan_determinismE0ELb0ES3_N6thrust23THRUST_200600_302600_NS6detail15normal_iteratorINS9_10device_ptrIiEEEENS9_18transform_iteratorINS9_6negateIiEESE_NS9_11use_defaultESI_EESE_iNS9_4plusIvEENS9_8equal_toIvEEiEE10hipError_tPvRmT2_T3_T4_T5_mT6_T7_P12ihipStream_tbENKUlT_T0_E_clISt17integral_constantIbLb1EES14_EEDaSZ_S10_EUlSZ_E_NS1_11comp_targetILNS1_3genE4ELNS1_11target_archE910ELNS1_3gpuE8ELNS1_3repE0EEENS1_30default_config_static_selectorELNS0_4arch9wavefront6targetE0EEEvT1_,@function
_ZN7rocprim17ROCPRIM_400000_NS6detail17trampoline_kernelINS0_14default_configENS1_27scan_by_key_config_selectorIiiEEZZNS1_16scan_by_key_implILNS1_25lookback_scan_determinismE0ELb0ES3_N6thrust23THRUST_200600_302600_NS6detail15normal_iteratorINS9_10device_ptrIiEEEENS9_18transform_iteratorINS9_6negateIiEESE_NS9_11use_defaultESI_EESE_iNS9_4plusIvEENS9_8equal_toIvEEiEE10hipError_tPvRmT2_T3_T4_T5_mT6_T7_P12ihipStream_tbENKUlT_T0_E_clISt17integral_constantIbLb1EES14_EEDaSZ_S10_EUlSZ_E_NS1_11comp_targetILNS1_3genE4ELNS1_11target_archE910ELNS1_3gpuE8ELNS1_3repE0EEENS1_30default_config_static_selectorELNS0_4arch9wavefront6targetE0EEEvT1_: ; @_ZN7rocprim17ROCPRIM_400000_NS6detail17trampoline_kernelINS0_14default_configENS1_27scan_by_key_config_selectorIiiEEZZNS1_16scan_by_key_implILNS1_25lookback_scan_determinismE0ELb0ES3_N6thrust23THRUST_200600_302600_NS6detail15normal_iteratorINS9_10device_ptrIiEEEENS9_18transform_iteratorINS9_6negateIiEESE_NS9_11use_defaultESI_EESE_iNS9_4plusIvEENS9_8equal_toIvEEiEE10hipError_tPvRmT2_T3_T4_T5_mT6_T7_P12ihipStream_tbENKUlT_T0_E_clISt17integral_constantIbLb1EES14_EEDaSZ_S10_EUlSZ_E_NS1_11comp_targetILNS1_3genE4ELNS1_11target_archE910ELNS1_3gpuE8ELNS1_3repE0EEENS1_30default_config_static_selectorELNS0_4arch9wavefront6targetE0EEEvT1_
; %bb.0:
	.section	.rodata,"a",@progbits
	.p2align	6, 0x0
	.amdhsa_kernel _ZN7rocprim17ROCPRIM_400000_NS6detail17trampoline_kernelINS0_14default_configENS1_27scan_by_key_config_selectorIiiEEZZNS1_16scan_by_key_implILNS1_25lookback_scan_determinismE0ELb0ES3_N6thrust23THRUST_200600_302600_NS6detail15normal_iteratorINS9_10device_ptrIiEEEENS9_18transform_iteratorINS9_6negateIiEESE_NS9_11use_defaultESI_EESE_iNS9_4plusIvEENS9_8equal_toIvEEiEE10hipError_tPvRmT2_T3_T4_T5_mT6_T7_P12ihipStream_tbENKUlT_T0_E_clISt17integral_constantIbLb1EES14_EEDaSZ_S10_EUlSZ_E_NS1_11comp_targetILNS1_3genE4ELNS1_11target_archE910ELNS1_3gpuE8ELNS1_3repE0EEENS1_30default_config_static_selectorELNS0_4arch9wavefront6targetE0EEEvT1_
		.amdhsa_group_segment_fixed_size 0
		.amdhsa_private_segment_fixed_size 0
		.amdhsa_kernarg_size 120
		.amdhsa_user_sgpr_count 6
		.amdhsa_user_sgpr_private_segment_buffer 1
		.amdhsa_user_sgpr_dispatch_ptr 0
		.amdhsa_user_sgpr_queue_ptr 0
		.amdhsa_user_sgpr_kernarg_segment_ptr 1
		.amdhsa_user_sgpr_dispatch_id 0
		.amdhsa_user_sgpr_flat_scratch_init 0
		.amdhsa_user_sgpr_private_segment_size 0
		.amdhsa_wavefront_size32 1
		.amdhsa_uses_dynamic_stack 0
		.amdhsa_system_sgpr_private_segment_wavefront_offset 0
		.amdhsa_system_sgpr_workgroup_id_x 1
		.amdhsa_system_sgpr_workgroup_id_y 0
		.amdhsa_system_sgpr_workgroup_id_z 0
		.amdhsa_system_sgpr_workgroup_info 0
		.amdhsa_system_vgpr_workitem_id 0
		.amdhsa_next_free_vgpr 1
		.amdhsa_next_free_sgpr 1
		.amdhsa_reserve_vcc 0
		.amdhsa_reserve_flat_scratch 0
		.amdhsa_float_round_mode_32 0
		.amdhsa_float_round_mode_16_64 0
		.amdhsa_float_denorm_mode_32 3
		.amdhsa_float_denorm_mode_16_64 3
		.amdhsa_dx10_clamp 1
		.amdhsa_ieee_mode 1
		.amdhsa_fp16_overflow 0
		.amdhsa_workgroup_processor_mode 1
		.amdhsa_memory_ordered 1
		.amdhsa_forward_progress 1
		.amdhsa_shared_vgpr_count 0
		.amdhsa_exception_fp_ieee_invalid_op 0
		.amdhsa_exception_fp_denorm_src 0
		.amdhsa_exception_fp_ieee_div_zero 0
		.amdhsa_exception_fp_ieee_overflow 0
		.amdhsa_exception_fp_ieee_underflow 0
		.amdhsa_exception_fp_ieee_inexact 0
		.amdhsa_exception_int_div_zero 0
	.end_amdhsa_kernel
	.section	.text._ZN7rocprim17ROCPRIM_400000_NS6detail17trampoline_kernelINS0_14default_configENS1_27scan_by_key_config_selectorIiiEEZZNS1_16scan_by_key_implILNS1_25lookback_scan_determinismE0ELb0ES3_N6thrust23THRUST_200600_302600_NS6detail15normal_iteratorINS9_10device_ptrIiEEEENS9_18transform_iteratorINS9_6negateIiEESE_NS9_11use_defaultESI_EESE_iNS9_4plusIvEENS9_8equal_toIvEEiEE10hipError_tPvRmT2_T3_T4_T5_mT6_T7_P12ihipStream_tbENKUlT_T0_E_clISt17integral_constantIbLb1EES14_EEDaSZ_S10_EUlSZ_E_NS1_11comp_targetILNS1_3genE4ELNS1_11target_archE910ELNS1_3gpuE8ELNS1_3repE0EEENS1_30default_config_static_selectorELNS0_4arch9wavefront6targetE0EEEvT1_,"axG",@progbits,_ZN7rocprim17ROCPRIM_400000_NS6detail17trampoline_kernelINS0_14default_configENS1_27scan_by_key_config_selectorIiiEEZZNS1_16scan_by_key_implILNS1_25lookback_scan_determinismE0ELb0ES3_N6thrust23THRUST_200600_302600_NS6detail15normal_iteratorINS9_10device_ptrIiEEEENS9_18transform_iteratorINS9_6negateIiEESE_NS9_11use_defaultESI_EESE_iNS9_4plusIvEENS9_8equal_toIvEEiEE10hipError_tPvRmT2_T3_T4_T5_mT6_T7_P12ihipStream_tbENKUlT_T0_E_clISt17integral_constantIbLb1EES14_EEDaSZ_S10_EUlSZ_E_NS1_11comp_targetILNS1_3genE4ELNS1_11target_archE910ELNS1_3gpuE8ELNS1_3repE0EEENS1_30default_config_static_selectorELNS0_4arch9wavefront6targetE0EEEvT1_,comdat
.Lfunc_end941:
	.size	_ZN7rocprim17ROCPRIM_400000_NS6detail17trampoline_kernelINS0_14default_configENS1_27scan_by_key_config_selectorIiiEEZZNS1_16scan_by_key_implILNS1_25lookback_scan_determinismE0ELb0ES3_N6thrust23THRUST_200600_302600_NS6detail15normal_iteratorINS9_10device_ptrIiEEEENS9_18transform_iteratorINS9_6negateIiEESE_NS9_11use_defaultESI_EESE_iNS9_4plusIvEENS9_8equal_toIvEEiEE10hipError_tPvRmT2_T3_T4_T5_mT6_T7_P12ihipStream_tbENKUlT_T0_E_clISt17integral_constantIbLb1EES14_EEDaSZ_S10_EUlSZ_E_NS1_11comp_targetILNS1_3genE4ELNS1_11target_archE910ELNS1_3gpuE8ELNS1_3repE0EEENS1_30default_config_static_selectorELNS0_4arch9wavefront6targetE0EEEvT1_, .Lfunc_end941-_ZN7rocprim17ROCPRIM_400000_NS6detail17trampoline_kernelINS0_14default_configENS1_27scan_by_key_config_selectorIiiEEZZNS1_16scan_by_key_implILNS1_25lookback_scan_determinismE0ELb0ES3_N6thrust23THRUST_200600_302600_NS6detail15normal_iteratorINS9_10device_ptrIiEEEENS9_18transform_iteratorINS9_6negateIiEESE_NS9_11use_defaultESI_EESE_iNS9_4plusIvEENS9_8equal_toIvEEiEE10hipError_tPvRmT2_T3_T4_T5_mT6_T7_P12ihipStream_tbENKUlT_T0_E_clISt17integral_constantIbLb1EES14_EEDaSZ_S10_EUlSZ_E_NS1_11comp_targetILNS1_3genE4ELNS1_11target_archE910ELNS1_3gpuE8ELNS1_3repE0EEENS1_30default_config_static_selectorELNS0_4arch9wavefront6targetE0EEEvT1_
                                        ; -- End function
	.set _ZN7rocprim17ROCPRIM_400000_NS6detail17trampoline_kernelINS0_14default_configENS1_27scan_by_key_config_selectorIiiEEZZNS1_16scan_by_key_implILNS1_25lookback_scan_determinismE0ELb0ES3_N6thrust23THRUST_200600_302600_NS6detail15normal_iteratorINS9_10device_ptrIiEEEENS9_18transform_iteratorINS9_6negateIiEESE_NS9_11use_defaultESI_EESE_iNS9_4plusIvEENS9_8equal_toIvEEiEE10hipError_tPvRmT2_T3_T4_T5_mT6_T7_P12ihipStream_tbENKUlT_T0_E_clISt17integral_constantIbLb1EES14_EEDaSZ_S10_EUlSZ_E_NS1_11comp_targetILNS1_3genE4ELNS1_11target_archE910ELNS1_3gpuE8ELNS1_3repE0EEENS1_30default_config_static_selectorELNS0_4arch9wavefront6targetE0EEEvT1_.num_vgpr, 0
	.set _ZN7rocprim17ROCPRIM_400000_NS6detail17trampoline_kernelINS0_14default_configENS1_27scan_by_key_config_selectorIiiEEZZNS1_16scan_by_key_implILNS1_25lookback_scan_determinismE0ELb0ES3_N6thrust23THRUST_200600_302600_NS6detail15normal_iteratorINS9_10device_ptrIiEEEENS9_18transform_iteratorINS9_6negateIiEESE_NS9_11use_defaultESI_EESE_iNS9_4plusIvEENS9_8equal_toIvEEiEE10hipError_tPvRmT2_T3_T4_T5_mT6_T7_P12ihipStream_tbENKUlT_T0_E_clISt17integral_constantIbLb1EES14_EEDaSZ_S10_EUlSZ_E_NS1_11comp_targetILNS1_3genE4ELNS1_11target_archE910ELNS1_3gpuE8ELNS1_3repE0EEENS1_30default_config_static_selectorELNS0_4arch9wavefront6targetE0EEEvT1_.num_agpr, 0
	.set _ZN7rocprim17ROCPRIM_400000_NS6detail17trampoline_kernelINS0_14default_configENS1_27scan_by_key_config_selectorIiiEEZZNS1_16scan_by_key_implILNS1_25lookback_scan_determinismE0ELb0ES3_N6thrust23THRUST_200600_302600_NS6detail15normal_iteratorINS9_10device_ptrIiEEEENS9_18transform_iteratorINS9_6negateIiEESE_NS9_11use_defaultESI_EESE_iNS9_4plusIvEENS9_8equal_toIvEEiEE10hipError_tPvRmT2_T3_T4_T5_mT6_T7_P12ihipStream_tbENKUlT_T0_E_clISt17integral_constantIbLb1EES14_EEDaSZ_S10_EUlSZ_E_NS1_11comp_targetILNS1_3genE4ELNS1_11target_archE910ELNS1_3gpuE8ELNS1_3repE0EEENS1_30default_config_static_selectorELNS0_4arch9wavefront6targetE0EEEvT1_.numbered_sgpr, 0
	.set _ZN7rocprim17ROCPRIM_400000_NS6detail17trampoline_kernelINS0_14default_configENS1_27scan_by_key_config_selectorIiiEEZZNS1_16scan_by_key_implILNS1_25lookback_scan_determinismE0ELb0ES3_N6thrust23THRUST_200600_302600_NS6detail15normal_iteratorINS9_10device_ptrIiEEEENS9_18transform_iteratorINS9_6negateIiEESE_NS9_11use_defaultESI_EESE_iNS9_4plusIvEENS9_8equal_toIvEEiEE10hipError_tPvRmT2_T3_T4_T5_mT6_T7_P12ihipStream_tbENKUlT_T0_E_clISt17integral_constantIbLb1EES14_EEDaSZ_S10_EUlSZ_E_NS1_11comp_targetILNS1_3genE4ELNS1_11target_archE910ELNS1_3gpuE8ELNS1_3repE0EEENS1_30default_config_static_selectorELNS0_4arch9wavefront6targetE0EEEvT1_.num_named_barrier, 0
	.set _ZN7rocprim17ROCPRIM_400000_NS6detail17trampoline_kernelINS0_14default_configENS1_27scan_by_key_config_selectorIiiEEZZNS1_16scan_by_key_implILNS1_25lookback_scan_determinismE0ELb0ES3_N6thrust23THRUST_200600_302600_NS6detail15normal_iteratorINS9_10device_ptrIiEEEENS9_18transform_iteratorINS9_6negateIiEESE_NS9_11use_defaultESI_EESE_iNS9_4plusIvEENS9_8equal_toIvEEiEE10hipError_tPvRmT2_T3_T4_T5_mT6_T7_P12ihipStream_tbENKUlT_T0_E_clISt17integral_constantIbLb1EES14_EEDaSZ_S10_EUlSZ_E_NS1_11comp_targetILNS1_3genE4ELNS1_11target_archE910ELNS1_3gpuE8ELNS1_3repE0EEENS1_30default_config_static_selectorELNS0_4arch9wavefront6targetE0EEEvT1_.private_seg_size, 0
	.set _ZN7rocprim17ROCPRIM_400000_NS6detail17trampoline_kernelINS0_14default_configENS1_27scan_by_key_config_selectorIiiEEZZNS1_16scan_by_key_implILNS1_25lookback_scan_determinismE0ELb0ES3_N6thrust23THRUST_200600_302600_NS6detail15normal_iteratorINS9_10device_ptrIiEEEENS9_18transform_iteratorINS9_6negateIiEESE_NS9_11use_defaultESI_EESE_iNS9_4plusIvEENS9_8equal_toIvEEiEE10hipError_tPvRmT2_T3_T4_T5_mT6_T7_P12ihipStream_tbENKUlT_T0_E_clISt17integral_constantIbLb1EES14_EEDaSZ_S10_EUlSZ_E_NS1_11comp_targetILNS1_3genE4ELNS1_11target_archE910ELNS1_3gpuE8ELNS1_3repE0EEENS1_30default_config_static_selectorELNS0_4arch9wavefront6targetE0EEEvT1_.uses_vcc, 0
	.set _ZN7rocprim17ROCPRIM_400000_NS6detail17trampoline_kernelINS0_14default_configENS1_27scan_by_key_config_selectorIiiEEZZNS1_16scan_by_key_implILNS1_25lookback_scan_determinismE0ELb0ES3_N6thrust23THRUST_200600_302600_NS6detail15normal_iteratorINS9_10device_ptrIiEEEENS9_18transform_iteratorINS9_6negateIiEESE_NS9_11use_defaultESI_EESE_iNS9_4plusIvEENS9_8equal_toIvEEiEE10hipError_tPvRmT2_T3_T4_T5_mT6_T7_P12ihipStream_tbENKUlT_T0_E_clISt17integral_constantIbLb1EES14_EEDaSZ_S10_EUlSZ_E_NS1_11comp_targetILNS1_3genE4ELNS1_11target_archE910ELNS1_3gpuE8ELNS1_3repE0EEENS1_30default_config_static_selectorELNS0_4arch9wavefront6targetE0EEEvT1_.uses_flat_scratch, 0
	.set _ZN7rocprim17ROCPRIM_400000_NS6detail17trampoline_kernelINS0_14default_configENS1_27scan_by_key_config_selectorIiiEEZZNS1_16scan_by_key_implILNS1_25lookback_scan_determinismE0ELb0ES3_N6thrust23THRUST_200600_302600_NS6detail15normal_iteratorINS9_10device_ptrIiEEEENS9_18transform_iteratorINS9_6negateIiEESE_NS9_11use_defaultESI_EESE_iNS9_4plusIvEENS9_8equal_toIvEEiEE10hipError_tPvRmT2_T3_T4_T5_mT6_T7_P12ihipStream_tbENKUlT_T0_E_clISt17integral_constantIbLb1EES14_EEDaSZ_S10_EUlSZ_E_NS1_11comp_targetILNS1_3genE4ELNS1_11target_archE910ELNS1_3gpuE8ELNS1_3repE0EEENS1_30default_config_static_selectorELNS0_4arch9wavefront6targetE0EEEvT1_.has_dyn_sized_stack, 0
	.set _ZN7rocprim17ROCPRIM_400000_NS6detail17trampoline_kernelINS0_14default_configENS1_27scan_by_key_config_selectorIiiEEZZNS1_16scan_by_key_implILNS1_25lookback_scan_determinismE0ELb0ES3_N6thrust23THRUST_200600_302600_NS6detail15normal_iteratorINS9_10device_ptrIiEEEENS9_18transform_iteratorINS9_6negateIiEESE_NS9_11use_defaultESI_EESE_iNS9_4plusIvEENS9_8equal_toIvEEiEE10hipError_tPvRmT2_T3_T4_T5_mT6_T7_P12ihipStream_tbENKUlT_T0_E_clISt17integral_constantIbLb1EES14_EEDaSZ_S10_EUlSZ_E_NS1_11comp_targetILNS1_3genE4ELNS1_11target_archE910ELNS1_3gpuE8ELNS1_3repE0EEENS1_30default_config_static_selectorELNS0_4arch9wavefront6targetE0EEEvT1_.has_recursion, 0
	.set _ZN7rocprim17ROCPRIM_400000_NS6detail17trampoline_kernelINS0_14default_configENS1_27scan_by_key_config_selectorIiiEEZZNS1_16scan_by_key_implILNS1_25lookback_scan_determinismE0ELb0ES3_N6thrust23THRUST_200600_302600_NS6detail15normal_iteratorINS9_10device_ptrIiEEEENS9_18transform_iteratorINS9_6negateIiEESE_NS9_11use_defaultESI_EESE_iNS9_4plusIvEENS9_8equal_toIvEEiEE10hipError_tPvRmT2_T3_T4_T5_mT6_T7_P12ihipStream_tbENKUlT_T0_E_clISt17integral_constantIbLb1EES14_EEDaSZ_S10_EUlSZ_E_NS1_11comp_targetILNS1_3genE4ELNS1_11target_archE910ELNS1_3gpuE8ELNS1_3repE0EEENS1_30default_config_static_selectorELNS0_4arch9wavefront6targetE0EEEvT1_.has_indirect_call, 0
	.section	.AMDGPU.csdata,"",@progbits
; Kernel info:
; codeLenInByte = 0
; TotalNumSgprs: 0
; NumVgprs: 0
; ScratchSize: 0
; MemoryBound: 0
; FloatMode: 240
; IeeeMode: 1
; LDSByteSize: 0 bytes/workgroup (compile time only)
; SGPRBlocks: 0
; VGPRBlocks: 0
; NumSGPRsForWavesPerEU: 1
; NumVGPRsForWavesPerEU: 1
; Occupancy: 16
; WaveLimiterHint : 0
; COMPUTE_PGM_RSRC2:SCRATCH_EN: 0
; COMPUTE_PGM_RSRC2:USER_SGPR: 6
; COMPUTE_PGM_RSRC2:TRAP_HANDLER: 0
; COMPUTE_PGM_RSRC2:TGID_X_EN: 1
; COMPUTE_PGM_RSRC2:TGID_Y_EN: 0
; COMPUTE_PGM_RSRC2:TGID_Z_EN: 0
; COMPUTE_PGM_RSRC2:TIDIG_COMP_CNT: 0
	.section	.text._ZN7rocprim17ROCPRIM_400000_NS6detail17trampoline_kernelINS0_14default_configENS1_27scan_by_key_config_selectorIiiEEZZNS1_16scan_by_key_implILNS1_25lookback_scan_determinismE0ELb0ES3_N6thrust23THRUST_200600_302600_NS6detail15normal_iteratorINS9_10device_ptrIiEEEENS9_18transform_iteratorINS9_6negateIiEESE_NS9_11use_defaultESI_EESE_iNS9_4plusIvEENS9_8equal_toIvEEiEE10hipError_tPvRmT2_T3_T4_T5_mT6_T7_P12ihipStream_tbENKUlT_T0_E_clISt17integral_constantIbLb1EES14_EEDaSZ_S10_EUlSZ_E_NS1_11comp_targetILNS1_3genE3ELNS1_11target_archE908ELNS1_3gpuE7ELNS1_3repE0EEENS1_30default_config_static_selectorELNS0_4arch9wavefront6targetE0EEEvT1_,"axG",@progbits,_ZN7rocprim17ROCPRIM_400000_NS6detail17trampoline_kernelINS0_14default_configENS1_27scan_by_key_config_selectorIiiEEZZNS1_16scan_by_key_implILNS1_25lookback_scan_determinismE0ELb0ES3_N6thrust23THRUST_200600_302600_NS6detail15normal_iteratorINS9_10device_ptrIiEEEENS9_18transform_iteratorINS9_6negateIiEESE_NS9_11use_defaultESI_EESE_iNS9_4plusIvEENS9_8equal_toIvEEiEE10hipError_tPvRmT2_T3_T4_T5_mT6_T7_P12ihipStream_tbENKUlT_T0_E_clISt17integral_constantIbLb1EES14_EEDaSZ_S10_EUlSZ_E_NS1_11comp_targetILNS1_3genE3ELNS1_11target_archE908ELNS1_3gpuE7ELNS1_3repE0EEENS1_30default_config_static_selectorELNS0_4arch9wavefront6targetE0EEEvT1_,comdat
	.protected	_ZN7rocprim17ROCPRIM_400000_NS6detail17trampoline_kernelINS0_14default_configENS1_27scan_by_key_config_selectorIiiEEZZNS1_16scan_by_key_implILNS1_25lookback_scan_determinismE0ELb0ES3_N6thrust23THRUST_200600_302600_NS6detail15normal_iteratorINS9_10device_ptrIiEEEENS9_18transform_iteratorINS9_6negateIiEESE_NS9_11use_defaultESI_EESE_iNS9_4plusIvEENS9_8equal_toIvEEiEE10hipError_tPvRmT2_T3_T4_T5_mT6_T7_P12ihipStream_tbENKUlT_T0_E_clISt17integral_constantIbLb1EES14_EEDaSZ_S10_EUlSZ_E_NS1_11comp_targetILNS1_3genE3ELNS1_11target_archE908ELNS1_3gpuE7ELNS1_3repE0EEENS1_30default_config_static_selectorELNS0_4arch9wavefront6targetE0EEEvT1_ ; -- Begin function _ZN7rocprim17ROCPRIM_400000_NS6detail17trampoline_kernelINS0_14default_configENS1_27scan_by_key_config_selectorIiiEEZZNS1_16scan_by_key_implILNS1_25lookback_scan_determinismE0ELb0ES3_N6thrust23THRUST_200600_302600_NS6detail15normal_iteratorINS9_10device_ptrIiEEEENS9_18transform_iteratorINS9_6negateIiEESE_NS9_11use_defaultESI_EESE_iNS9_4plusIvEENS9_8equal_toIvEEiEE10hipError_tPvRmT2_T3_T4_T5_mT6_T7_P12ihipStream_tbENKUlT_T0_E_clISt17integral_constantIbLb1EES14_EEDaSZ_S10_EUlSZ_E_NS1_11comp_targetILNS1_3genE3ELNS1_11target_archE908ELNS1_3gpuE7ELNS1_3repE0EEENS1_30default_config_static_selectorELNS0_4arch9wavefront6targetE0EEEvT1_
	.globl	_ZN7rocprim17ROCPRIM_400000_NS6detail17trampoline_kernelINS0_14default_configENS1_27scan_by_key_config_selectorIiiEEZZNS1_16scan_by_key_implILNS1_25lookback_scan_determinismE0ELb0ES3_N6thrust23THRUST_200600_302600_NS6detail15normal_iteratorINS9_10device_ptrIiEEEENS9_18transform_iteratorINS9_6negateIiEESE_NS9_11use_defaultESI_EESE_iNS9_4plusIvEENS9_8equal_toIvEEiEE10hipError_tPvRmT2_T3_T4_T5_mT6_T7_P12ihipStream_tbENKUlT_T0_E_clISt17integral_constantIbLb1EES14_EEDaSZ_S10_EUlSZ_E_NS1_11comp_targetILNS1_3genE3ELNS1_11target_archE908ELNS1_3gpuE7ELNS1_3repE0EEENS1_30default_config_static_selectorELNS0_4arch9wavefront6targetE0EEEvT1_
	.p2align	8
	.type	_ZN7rocprim17ROCPRIM_400000_NS6detail17trampoline_kernelINS0_14default_configENS1_27scan_by_key_config_selectorIiiEEZZNS1_16scan_by_key_implILNS1_25lookback_scan_determinismE0ELb0ES3_N6thrust23THRUST_200600_302600_NS6detail15normal_iteratorINS9_10device_ptrIiEEEENS9_18transform_iteratorINS9_6negateIiEESE_NS9_11use_defaultESI_EESE_iNS9_4plusIvEENS9_8equal_toIvEEiEE10hipError_tPvRmT2_T3_T4_T5_mT6_T7_P12ihipStream_tbENKUlT_T0_E_clISt17integral_constantIbLb1EES14_EEDaSZ_S10_EUlSZ_E_NS1_11comp_targetILNS1_3genE3ELNS1_11target_archE908ELNS1_3gpuE7ELNS1_3repE0EEENS1_30default_config_static_selectorELNS0_4arch9wavefront6targetE0EEEvT1_,@function
_ZN7rocprim17ROCPRIM_400000_NS6detail17trampoline_kernelINS0_14default_configENS1_27scan_by_key_config_selectorIiiEEZZNS1_16scan_by_key_implILNS1_25lookback_scan_determinismE0ELb0ES3_N6thrust23THRUST_200600_302600_NS6detail15normal_iteratorINS9_10device_ptrIiEEEENS9_18transform_iteratorINS9_6negateIiEESE_NS9_11use_defaultESI_EESE_iNS9_4plusIvEENS9_8equal_toIvEEiEE10hipError_tPvRmT2_T3_T4_T5_mT6_T7_P12ihipStream_tbENKUlT_T0_E_clISt17integral_constantIbLb1EES14_EEDaSZ_S10_EUlSZ_E_NS1_11comp_targetILNS1_3genE3ELNS1_11target_archE908ELNS1_3gpuE7ELNS1_3repE0EEENS1_30default_config_static_selectorELNS0_4arch9wavefront6targetE0EEEvT1_: ; @_ZN7rocprim17ROCPRIM_400000_NS6detail17trampoline_kernelINS0_14default_configENS1_27scan_by_key_config_selectorIiiEEZZNS1_16scan_by_key_implILNS1_25lookback_scan_determinismE0ELb0ES3_N6thrust23THRUST_200600_302600_NS6detail15normal_iteratorINS9_10device_ptrIiEEEENS9_18transform_iteratorINS9_6negateIiEESE_NS9_11use_defaultESI_EESE_iNS9_4plusIvEENS9_8equal_toIvEEiEE10hipError_tPvRmT2_T3_T4_T5_mT6_T7_P12ihipStream_tbENKUlT_T0_E_clISt17integral_constantIbLb1EES14_EEDaSZ_S10_EUlSZ_E_NS1_11comp_targetILNS1_3genE3ELNS1_11target_archE908ELNS1_3gpuE7ELNS1_3repE0EEENS1_30default_config_static_selectorELNS0_4arch9wavefront6targetE0EEEvT1_
; %bb.0:
	.section	.rodata,"a",@progbits
	.p2align	6, 0x0
	.amdhsa_kernel _ZN7rocprim17ROCPRIM_400000_NS6detail17trampoline_kernelINS0_14default_configENS1_27scan_by_key_config_selectorIiiEEZZNS1_16scan_by_key_implILNS1_25lookback_scan_determinismE0ELb0ES3_N6thrust23THRUST_200600_302600_NS6detail15normal_iteratorINS9_10device_ptrIiEEEENS9_18transform_iteratorINS9_6negateIiEESE_NS9_11use_defaultESI_EESE_iNS9_4plusIvEENS9_8equal_toIvEEiEE10hipError_tPvRmT2_T3_T4_T5_mT6_T7_P12ihipStream_tbENKUlT_T0_E_clISt17integral_constantIbLb1EES14_EEDaSZ_S10_EUlSZ_E_NS1_11comp_targetILNS1_3genE3ELNS1_11target_archE908ELNS1_3gpuE7ELNS1_3repE0EEENS1_30default_config_static_selectorELNS0_4arch9wavefront6targetE0EEEvT1_
		.amdhsa_group_segment_fixed_size 0
		.amdhsa_private_segment_fixed_size 0
		.amdhsa_kernarg_size 120
		.amdhsa_user_sgpr_count 6
		.amdhsa_user_sgpr_private_segment_buffer 1
		.amdhsa_user_sgpr_dispatch_ptr 0
		.amdhsa_user_sgpr_queue_ptr 0
		.amdhsa_user_sgpr_kernarg_segment_ptr 1
		.amdhsa_user_sgpr_dispatch_id 0
		.amdhsa_user_sgpr_flat_scratch_init 0
		.amdhsa_user_sgpr_private_segment_size 0
		.amdhsa_wavefront_size32 1
		.amdhsa_uses_dynamic_stack 0
		.amdhsa_system_sgpr_private_segment_wavefront_offset 0
		.amdhsa_system_sgpr_workgroup_id_x 1
		.amdhsa_system_sgpr_workgroup_id_y 0
		.amdhsa_system_sgpr_workgroup_id_z 0
		.amdhsa_system_sgpr_workgroup_info 0
		.amdhsa_system_vgpr_workitem_id 0
		.amdhsa_next_free_vgpr 1
		.amdhsa_next_free_sgpr 1
		.amdhsa_reserve_vcc 0
		.amdhsa_reserve_flat_scratch 0
		.amdhsa_float_round_mode_32 0
		.amdhsa_float_round_mode_16_64 0
		.amdhsa_float_denorm_mode_32 3
		.amdhsa_float_denorm_mode_16_64 3
		.amdhsa_dx10_clamp 1
		.amdhsa_ieee_mode 1
		.amdhsa_fp16_overflow 0
		.amdhsa_workgroup_processor_mode 1
		.amdhsa_memory_ordered 1
		.amdhsa_forward_progress 1
		.amdhsa_shared_vgpr_count 0
		.amdhsa_exception_fp_ieee_invalid_op 0
		.amdhsa_exception_fp_denorm_src 0
		.amdhsa_exception_fp_ieee_div_zero 0
		.amdhsa_exception_fp_ieee_overflow 0
		.amdhsa_exception_fp_ieee_underflow 0
		.amdhsa_exception_fp_ieee_inexact 0
		.amdhsa_exception_int_div_zero 0
	.end_amdhsa_kernel
	.section	.text._ZN7rocprim17ROCPRIM_400000_NS6detail17trampoline_kernelINS0_14default_configENS1_27scan_by_key_config_selectorIiiEEZZNS1_16scan_by_key_implILNS1_25lookback_scan_determinismE0ELb0ES3_N6thrust23THRUST_200600_302600_NS6detail15normal_iteratorINS9_10device_ptrIiEEEENS9_18transform_iteratorINS9_6negateIiEESE_NS9_11use_defaultESI_EESE_iNS9_4plusIvEENS9_8equal_toIvEEiEE10hipError_tPvRmT2_T3_T4_T5_mT6_T7_P12ihipStream_tbENKUlT_T0_E_clISt17integral_constantIbLb1EES14_EEDaSZ_S10_EUlSZ_E_NS1_11comp_targetILNS1_3genE3ELNS1_11target_archE908ELNS1_3gpuE7ELNS1_3repE0EEENS1_30default_config_static_selectorELNS0_4arch9wavefront6targetE0EEEvT1_,"axG",@progbits,_ZN7rocprim17ROCPRIM_400000_NS6detail17trampoline_kernelINS0_14default_configENS1_27scan_by_key_config_selectorIiiEEZZNS1_16scan_by_key_implILNS1_25lookback_scan_determinismE0ELb0ES3_N6thrust23THRUST_200600_302600_NS6detail15normal_iteratorINS9_10device_ptrIiEEEENS9_18transform_iteratorINS9_6negateIiEESE_NS9_11use_defaultESI_EESE_iNS9_4plusIvEENS9_8equal_toIvEEiEE10hipError_tPvRmT2_T3_T4_T5_mT6_T7_P12ihipStream_tbENKUlT_T0_E_clISt17integral_constantIbLb1EES14_EEDaSZ_S10_EUlSZ_E_NS1_11comp_targetILNS1_3genE3ELNS1_11target_archE908ELNS1_3gpuE7ELNS1_3repE0EEENS1_30default_config_static_selectorELNS0_4arch9wavefront6targetE0EEEvT1_,comdat
.Lfunc_end942:
	.size	_ZN7rocprim17ROCPRIM_400000_NS6detail17trampoline_kernelINS0_14default_configENS1_27scan_by_key_config_selectorIiiEEZZNS1_16scan_by_key_implILNS1_25lookback_scan_determinismE0ELb0ES3_N6thrust23THRUST_200600_302600_NS6detail15normal_iteratorINS9_10device_ptrIiEEEENS9_18transform_iteratorINS9_6negateIiEESE_NS9_11use_defaultESI_EESE_iNS9_4plusIvEENS9_8equal_toIvEEiEE10hipError_tPvRmT2_T3_T4_T5_mT6_T7_P12ihipStream_tbENKUlT_T0_E_clISt17integral_constantIbLb1EES14_EEDaSZ_S10_EUlSZ_E_NS1_11comp_targetILNS1_3genE3ELNS1_11target_archE908ELNS1_3gpuE7ELNS1_3repE0EEENS1_30default_config_static_selectorELNS0_4arch9wavefront6targetE0EEEvT1_, .Lfunc_end942-_ZN7rocprim17ROCPRIM_400000_NS6detail17trampoline_kernelINS0_14default_configENS1_27scan_by_key_config_selectorIiiEEZZNS1_16scan_by_key_implILNS1_25lookback_scan_determinismE0ELb0ES3_N6thrust23THRUST_200600_302600_NS6detail15normal_iteratorINS9_10device_ptrIiEEEENS9_18transform_iteratorINS9_6negateIiEESE_NS9_11use_defaultESI_EESE_iNS9_4plusIvEENS9_8equal_toIvEEiEE10hipError_tPvRmT2_T3_T4_T5_mT6_T7_P12ihipStream_tbENKUlT_T0_E_clISt17integral_constantIbLb1EES14_EEDaSZ_S10_EUlSZ_E_NS1_11comp_targetILNS1_3genE3ELNS1_11target_archE908ELNS1_3gpuE7ELNS1_3repE0EEENS1_30default_config_static_selectorELNS0_4arch9wavefront6targetE0EEEvT1_
                                        ; -- End function
	.set _ZN7rocprim17ROCPRIM_400000_NS6detail17trampoline_kernelINS0_14default_configENS1_27scan_by_key_config_selectorIiiEEZZNS1_16scan_by_key_implILNS1_25lookback_scan_determinismE0ELb0ES3_N6thrust23THRUST_200600_302600_NS6detail15normal_iteratorINS9_10device_ptrIiEEEENS9_18transform_iteratorINS9_6negateIiEESE_NS9_11use_defaultESI_EESE_iNS9_4plusIvEENS9_8equal_toIvEEiEE10hipError_tPvRmT2_T3_T4_T5_mT6_T7_P12ihipStream_tbENKUlT_T0_E_clISt17integral_constantIbLb1EES14_EEDaSZ_S10_EUlSZ_E_NS1_11comp_targetILNS1_3genE3ELNS1_11target_archE908ELNS1_3gpuE7ELNS1_3repE0EEENS1_30default_config_static_selectorELNS0_4arch9wavefront6targetE0EEEvT1_.num_vgpr, 0
	.set _ZN7rocprim17ROCPRIM_400000_NS6detail17trampoline_kernelINS0_14default_configENS1_27scan_by_key_config_selectorIiiEEZZNS1_16scan_by_key_implILNS1_25lookback_scan_determinismE0ELb0ES3_N6thrust23THRUST_200600_302600_NS6detail15normal_iteratorINS9_10device_ptrIiEEEENS9_18transform_iteratorINS9_6negateIiEESE_NS9_11use_defaultESI_EESE_iNS9_4plusIvEENS9_8equal_toIvEEiEE10hipError_tPvRmT2_T3_T4_T5_mT6_T7_P12ihipStream_tbENKUlT_T0_E_clISt17integral_constantIbLb1EES14_EEDaSZ_S10_EUlSZ_E_NS1_11comp_targetILNS1_3genE3ELNS1_11target_archE908ELNS1_3gpuE7ELNS1_3repE0EEENS1_30default_config_static_selectorELNS0_4arch9wavefront6targetE0EEEvT1_.num_agpr, 0
	.set _ZN7rocprim17ROCPRIM_400000_NS6detail17trampoline_kernelINS0_14default_configENS1_27scan_by_key_config_selectorIiiEEZZNS1_16scan_by_key_implILNS1_25lookback_scan_determinismE0ELb0ES3_N6thrust23THRUST_200600_302600_NS6detail15normal_iteratorINS9_10device_ptrIiEEEENS9_18transform_iteratorINS9_6negateIiEESE_NS9_11use_defaultESI_EESE_iNS9_4plusIvEENS9_8equal_toIvEEiEE10hipError_tPvRmT2_T3_T4_T5_mT6_T7_P12ihipStream_tbENKUlT_T0_E_clISt17integral_constantIbLb1EES14_EEDaSZ_S10_EUlSZ_E_NS1_11comp_targetILNS1_3genE3ELNS1_11target_archE908ELNS1_3gpuE7ELNS1_3repE0EEENS1_30default_config_static_selectorELNS0_4arch9wavefront6targetE0EEEvT1_.numbered_sgpr, 0
	.set _ZN7rocprim17ROCPRIM_400000_NS6detail17trampoline_kernelINS0_14default_configENS1_27scan_by_key_config_selectorIiiEEZZNS1_16scan_by_key_implILNS1_25lookback_scan_determinismE0ELb0ES3_N6thrust23THRUST_200600_302600_NS6detail15normal_iteratorINS9_10device_ptrIiEEEENS9_18transform_iteratorINS9_6negateIiEESE_NS9_11use_defaultESI_EESE_iNS9_4plusIvEENS9_8equal_toIvEEiEE10hipError_tPvRmT2_T3_T4_T5_mT6_T7_P12ihipStream_tbENKUlT_T0_E_clISt17integral_constantIbLb1EES14_EEDaSZ_S10_EUlSZ_E_NS1_11comp_targetILNS1_3genE3ELNS1_11target_archE908ELNS1_3gpuE7ELNS1_3repE0EEENS1_30default_config_static_selectorELNS0_4arch9wavefront6targetE0EEEvT1_.num_named_barrier, 0
	.set _ZN7rocprim17ROCPRIM_400000_NS6detail17trampoline_kernelINS0_14default_configENS1_27scan_by_key_config_selectorIiiEEZZNS1_16scan_by_key_implILNS1_25lookback_scan_determinismE0ELb0ES3_N6thrust23THRUST_200600_302600_NS6detail15normal_iteratorINS9_10device_ptrIiEEEENS9_18transform_iteratorINS9_6negateIiEESE_NS9_11use_defaultESI_EESE_iNS9_4plusIvEENS9_8equal_toIvEEiEE10hipError_tPvRmT2_T3_T4_T5_mT6_T7_P12ihipStream_tbENKUlT_T0_E_clISt17integral_constantIbLb1EES14_EEDaSZ_S10_EUlSZ_E_NS1_11comp_targetILNS1_3genE3ELNS1_11target_archE908ELNS1_3gpuE7ELNS1_3repE0EEENS1_30default_config_static_selectorELNS0_4arch9wavefront6targetE0EEEvT1_.private_seg_size, 0
	.set _ZN7rocprim17ROCPRIM_400000_NS6detail17trampoline_kernelINS0_14default_configENS1_27scan_by_key_config_selectorIiiEEZZNS1_16scan_by_key_implILNS1_25lookback_scan_determinismE0ELb0ES3_N6thrust23THRUST_200600_302600_NS6detail15normal_iteratorINS9_10device_ptrIiEEEENS9_18transform_iteratorINS9_6negateIiEESE_NS9_11use_defaultESI_EESE_iNS9_4plusIvEENS9_8equal_toIvEEiEE10hipError_tPvRmT2_T3_T4_T5_mT6_T7_P12ihipStream_tbENKUlT_T0_E_clISt17integral_constantIbLb1EES14_EEDaSZ_S10_EUlSZ_E_NS1_11comp_targetILNS1_3genE3ELNS1_11target_archE908ELNS1_3gpuE7ELNS1_3repE0EEENS1_30default_config_static_selectorELNS0_4arch9wavefront6targetE0EEEvT1_.uses_vcc, 0
	.set _ZN7rocprim17ROCPRIM_400000_NS6detail17trampoline_kernelINS0_14default_configENS1_27scan_by_key_config_selectorIiiEEZZNS1_16scan_by_key_implILNS1_25lookback_scan_determinismE0ELb0ES3_N6thrust23THRUST_200600_302600_NS6detail15normal_iteratorINS9_10device_ptrIiEEEENS9_18transform_iteratorINS9_6negateIiEESE_NS9_11use_defaultESI_EESE_iNS9_4plusIvEENS9_8equal_toIvEEiEE10hipError_tPvRmT2_T3_T4_T5_mT6_T7_P12ihipStream_tbENKUlT_T0_E_clISt17integral_constantIbLb1EES14_EEDaSZ_S10_EUlSZ_E_NS1_11comp_targetILNS1_3genE3ELNS1_11target_archE908ELNS1_3gpuE7ELNS1_3repE0EEENS1_30default_config_static_selectorELNS0_4arch9wavefront6targetE0EEEvT1_.uses_flat_scratch, 0
	.set _ZN7rocprim17ROCPRIM_400000_NS6detail17trampoline_kernelINS0_14default_configENS1_27scan_by_key_config_selectorIiiEEZZNS1_16scan_by_key_implILNS1_25lookback_scan_determinismE0ELb0ES3_N6thrust23THRUST_200600_302600_NS6detail15normal_iteratorINS9_10device_ptrIiEEEENS9_18transform_iteratorINS9_6negateIiEESE_NS9_11use_defaultESI_EESE_iNS9_4plusIvEENS9_8equal_toIvEEiEE10hipError_tPvRmT2_T3_T4_T5_mT6_T7_P12ihipStream_tbENKUlT_T0_E_clISt17integral_constantIbLb1EES14_EEDaSZ_S10_EUlSZ_E_NS1_11comp_targetILNS1_3genE3ELNS1_11target_archE908ELNS1_3gpuE7ELNS1_3repE0EEENS1_30default_config_static_selectorELNS0_4arch9wavefront6targetE0EEEvT1_.has_dyn_sized_stack, 0
	.set _ZN7rocprim17ROCPRIM_400000_NS6detail17trampoline_kernelINS0_14default_configENS1_27scan_by_key_config_selectorIiiEEZZNS1_16scan_by_key_implILNS1_25lookback_scan_determinismE0ELb0ES3_N6thrust23THRUST_200600_302600_NS6detail15normal_iteratorINS9_10device_ptrIiEEEENS9_18transform_iteratorINS9_6negateIiEESE_NS9_11use_defaultESI_EESE_iNS9_4plusIvEENS9_8equal_toIvEEiEE10hipError_tPvRmT2_T3_T4_T5_mT6_T7_P12ihipStream_tbENKUlT_T0_E_clISt17integral_constantIbLb1EES14_EEDaSZ_S10_EUlSZ_E_NS1_11comp_targetILNS1_3genE3ELNS1_11target_archE908ELNS1_3gpuE7ELNS1_3repE0EEENS1_30default_config_static_selectorELNS0_4arch9wavefront6targetE0EEEvT1_.has_recursion, 0
	.set _ZN7rocprim17ROCPRIM_400000_NS6detail17trampoline_kernelINS0_14default_configENS1_27scan_by_key_config_selectorIiiEEZZNS1_16scan_by_key_implILNS1_25lookback_scan_determinismE0ELb0ES3_N6thrust23THRUST_200600_302600_NS6detail15normal_iteratorINS9_10device_ptrIiEEEENS9_18transform_iteratorINS9_6negateIiEESE_NS9_11use_defaultESI_EESE_iNS9_4plusIvEENS9_8equal_toIvEEiEE10hipError_tPvRmT2_T3_T4_T5_mT6_T7_P12ihipStream_tbENKUlT_T0_E_clISt17integral_constantIbLb1EES14_EEDaSZ_S10_EUlSZ_E_NS1_11comp_targetILNS1_3genE3ELNS1_11target_archE908ELNS1_3gpuE7ELNS1_3repE0EEENS1_30default_config_static_selectorELNS0_4arch9wavefront6targetE0EEEvT1_.has_indirect_call, 0
	.section	.AMDGPU.csdata,"",@progbits
; Kernel info:
; codeLenInByte = 0
; TotalNumSgprs: 0
; NumVgprs: 0
; ScratchSize: 0
; MemoryBound: 0
; FloatMode: 240
; IeeeMode: 1
; LDSByteSize: 0 bytes/workgroup (compile time only)
; SGPRBlocks: 0
; VGPRBlocks: 0
; NumSGPRsForWavesPerEU: 1
; NumVGPRsForWavesPerEU: 1
; Occupancy: 16
; WaveLimiterHint : 0
; COMPUTE_PGM_RSRC2:SCRATCH_EN: 0
; COMPUTE_PGM_RSRC2:USER_SGPR: 6
; COMPUTE_PGM_RSRC2:TRAP_HANDLER: 0
; COMPUTE_PGM_RSRC2:TGID_X_EN: 1
; COMPUTE_PGM_RSRC2:TGID_Y_EN: 0
; COMPUTE_PGM_RSRC2:TGID_Z_EN: 0
; COMPUTE_PGM_RSRC2:TIDIG_COMP_CNT: 0
	.section	.text._ZN7rocprim17ROCPRIM_400000_NS6detail17trampoline_kernelINS0_14default_configENS1_27scan_by_key_config_selectorIiiEEZZNS1_16scan_by_key_implILNS1_25lookback_scan_determinismE0ELb0ES3_N6thrust23THRUST_200600_302600_NS6detail15normal_iteratorINS9_10device_ptrIiEEEENS9_18transform_iteratorINS9_6negateIiEESE_NS9_11use_defaultESI_EESE_iNS9_4plusIvEENS9_8equal_toIvEEiEE10hipError_tPvRmT2_T3_T4_T5_mT6_T7_P12ihipStream_tbENKUlT_T0_E_clISt17integral_constantIbLb1EES14_EEDaSZ_S10_EUlSZ_E_NS1_11comp_targetILNS1_3genE2ELNS1_11target_archE906ELNS1_3gpuE6ELNS1_3repE0EEENS1_30default_config_static_selectorELNS0_4arch9wavefront6targetE0EEEvT1_,"axG",@progbits,_ZN7rocprim17ROCPRIM_400000_NS6detail17trampoline_kernelINS0_14default_configENS1_27scan_by_key_config_selectorIiiEEZZNS1_16scan_by_key_implILNS1_25lookback_scan_determinismE0ELb0ES3_N6thrust23THRUST_200600_302600_NS6detail15normal_iteratorINS9_10device_ptrIiEEEENS9_18transform_iteratorINS9_6negateIiEESE_NS9_11use_defaultESI_EESE_iNS9_4plusIvEENS9_8equal_toIvEEiEE10hipError_tPvRmT2_T3_T4_T5_mT6_T7_P12ihipStream_tbENKUlT_T0_E_clISt17integral_constantIbLb1EES14_EEDaSZ_S10_EUlSZ_E_NS1_11comp_targetILNS1_3genE2ELNS1_11target_archE906ELNS1_3gpuE6ELNS1_3repE0EEENS1_30default_config_static_selectorELNS0_4arch9wavefront6targetE0EEEvT1_,comdat
	.protected	_ZN7rocprim17ROCPRIM_400000_NS6detail17trampoline_kernelINS0_14default_configENS1_27scan_by_key_config_selectorIiiEEZZNS1_16scan_by_key_implILNS1_25lookback_scan_determinismE0ELb0ES3_N6thrust23THRUST_200600_302600_NS6detail15normal_iteratorINS9_10device_ptrIiEEEENS9_18transform_iteratorINS9_6negateIiEESE_NS9_11use_defaultESI_EESE_iNS9_4plusIvEENS9_8equal_toIvEEiEE10hipError_tPvRmT2_T3_T4_T5_mT6_T7_P12ihipStream_tbENKUlT_T0_E_clISt17integral_constantIbLb1EES14_EEDaSZ_S10_EUlSZ_E_NS1_11comp_targetILNS1_3genE2ELNS1_11target_archE906ELNS1_3gpuE6ELNS1_3repE0EEENS1_30default_config_static_selectorELNS0_4arch9wavefront6targetE0EEEvT1_ ; -- Begin function _ZN7rocprim17ROCPRIM_400000_NS6detail17trampoline_kernelINS0_14default_configENS1_27scan_by_key_config_selectorIiiEEZZNS1_16scan_by_key_implILNS1_25lookback_scan_determinismE0ELb0ES3_N6thrust23THRUST_200600_302600_NS6detail15normal_iteratorINS9_10device_ptrIiEEEENS9_18transform_iteratorINS9_6negateIiEESE_NS9_11use_defaultESI_EESE_iNS9_4plusIvEENS9_8equal_toIvEEiEE10hipError_tPvRmT2_T3_T4_T5_mT6_T7_P12ihipStream_tbENKUlT_T0_E_clISt17integral_constantIbLb1EES14_EEDaSZ_S10_EUlSZ_E_NS1_11comp_targetILNS1_3genE2ELNS1_11target_archE906ELNS1_3gpuE6ELNS1_3repE0EEENS1_30default_config_static_selectorELNS0_4arch9wavefront6targetE0EEEvT1_
	.globl	_ZN7rocprim17ROCPRIM_400000_NS6detail17trampoline_kernelINS0_14default_configENS1_27scan_by_key_config_selectorIiiEEZZNS1_16scan_by_key_implILNS1_25lookback_scan_determinismE0ELb0ES3_N6thrust23THRUST_200600_302600_NS6detail15normal_iteratorINS9_10device_ptrIiEEEENS9_18transform_iteratorINS9_6negateIiEESE_NS9_11use_defaultESI_EESE_iNS9_4plusIvEENS9_8equal_toIvEEiEE10hipError_tPvRmT2_T3_T4_T5_mT6_T7_P12ihipStream_tbENKUlT_T0_E_clISt17integral_constantIbLb1EES14_EEDaSZ_S10_EUlSZ_E_NS1_11comp_targetILNS1_3genE2ELNS1_11target_archE906ELNS1_3gpuE6ELNS1_3repE0EEENS1_30default_config_static_selectorELNS0_4arch9wavefront6targetE0EEEvT1_
	.p2align	8
	.type	_ZN7rocprim17ROCPRIM_400000_NS6detail17trampoline_kernelINS0_14default_configENS1_27scan_by_key_config_selectorIiiEEZZNS1_16scan_by_key_implILNS1_25lookback_scan_determinismE0ELb0ES3_N6thrust23THRUST_200600_302600_NS6detail15normal_iteratorINS9_10device_ptrIiEEEENS9_18transform_iteratorINS9_6negateIiEESE_NS9_11use_defaultESI_EESE_iNS9_4plusIvEENS9_8equal_toIvEEiEE10hipError_tPvRmT2_T3_T4_T5_mT6_T7_P12ihipStream_tbENKUlT_T0_E_clISt17integral_constantIbLb1EES14_EEDaSZ_S10_EUlSZ_E_NS1_11comp_targetILNS1_3genE2ELNS1_11target_archE906ELNS1_3gpuE6ELNS1_3repE0EEENS1_30default_config_static_selectorELNS0_4arch9wavefront6targetE0EEEvT1_,@function
_ZN7rocprim17ROCPRIM_400000_NS6detail17trampoline_kernelINS0_14default_configENS1_27scan_by_key_config_selectorIiiEEZZNS1_16scan_by_key_implILNS1_25lookback_scan_determinismE0ELb0ES3_N6thrust23THRUST_200600_302600_NS6detail15normal_iteratorINS9_10device_ptrIiEEEENS9_18transform_iteratorINS9_6negateIiEESE_NS9_11use_defaultESI_EESE_iNS9_4plusIvEENS9_8equal_toIvEEiEE10hipError_tPvRmT2_T3_T4_T5_mT6_T7_P12ihipStream_tbENKUlT_T0_E_clISt17integral_constantIbLb1EES14_EEDaSZ_S10_EUlSZ_E_NS1_11comp_targetILNS1_3genE2ELNS1_11target_archE906ELNS1_3gpuE6ELNS1_3repE0EEENS1_30default_config_static_selectorELNS0_4arch9wavefront6targetE0EEEvT1_: ; @_ZN7rocprim17ROCPRIM_400000_NS6detail17trampoline_kernelINS0_14default_configENS1_27scan_by_key_config_selectorIiiEEZZNS1_16scan_by_key_implILNS1_25lookback_scan_determinismE0ELb0ES3_N6thrust23THRUST_200600_302600_NS6detail15normal_iteratorINS9_10device_ptrIiEEEENS9_18transform_iteratorINS9_6negateIiEESE_NS9_11use_defaultESI_EESE_iNS9_4plusIvEENS9_8equal_toIvEEiEE10hipError_tPvRmT2_T3_T4_T5_mT6_T7_P12ihipStream_tbENKUlT_T0_E_clISt17integral_constantIbLb1EES14_EEDaSZ_S10_EUlSZ_E_NS1_11comp_targetILNS1_3genE2ELNS1_11target_archE906ELNS1_3gpuE6ELNS1_3repE0EEENS1_30default_config_static_selectorELNS0_4arch9wavefront6targetE0EEEvT1_
; %bb.0:
	.section	.rodata,"a",@progbits
	.p2align	6, 0x0
	.amdhsa_kernel _ZN7rocprim17ROCPRIM_400000_NS6detail17trampoline_kernelINS0_14default_configENS1_27scan_by_key_config_selectorIiiEEZZNS1_16scan_by_key_implILNS1_25lookback_scan_determinismE0ELb0ES3_N6thrust23THRUST_200600_302600_NS6detail15normal_iteratorINS9_10device_ptrIiEEEENS9_18transform_iteratorINS9_6negateIiEESE_NS9_11use_defaultESI_EESE_iNS9_4plusIvEENS9_8equal_toIvEEiEE10hipError_tPvRmT2_T3_T4_T5_mT6_T7_P12ihipStream_tbENKUlT_T0_E_clISt17integral_constantIbLb1EES14_EEDaSZ_S10_EUlSZ_E_NS1_11comp_targetILNS1_3genE2ELNS1_11target_archE906ELNS1_3gpuE6ELNS1_3repE0EEENS1_30default_config_static_selectorELNS0_4arch9wavefront6targetE0EEEvT1_
		.amdhsa_group_segment_fixed_size 0
		.amdhsa_private_segment_fixed_size 0
		.amdhsa_kernarg_size 120
		.amdhsa_user_sgpr_count 6
		.amdhsa_user_sgpr_private_segment_buffer 1
		.amdhsa_user_sgpr_dispatch_ptr 0
		.amdhsa_user_sgpr_queue_ptr 0
		.amdhsa_user_sgpr_kernarg_segment_ptr 1
		.amdhsa_user_sgpr_dispatch_id 0
		.amdhsa_user_sgpr_flat_scratch_init 0
		.amdhsa_user_sgpr_private_segment_size 0
		.amdhsa_wavefront_size32 1
		.amdhsa_uses_dynamic_stack 0
		.amdhsa_system_sgpr_private_segment_wavefront_offset 0
		.amdhsa_system_sgpr_workgroup_id_x 1
		.amdhsa_system_sgpr_workgroup_id_y 0
		.amdhsa_system_sgpr_workgroup_id_z 0
		.amdhsa_system_sgpr_workgroup_info 0
		.amdhsa_system_vgpr_workitem_id 0
		.amdhsa_next_free_vgpr 1
		.amdhsa_next_free_sgpr 1
		.amdhsa_reserve_vcc 0
		.amdhsa_reserve_flat_scratch 0
		.amdhsa_float_round_mode_32 0
		.amdhsa_float_round_mode_16_64 0
		.amdhsa_float_denorm_mode_32 3
		.amdhsa_float_denorm_mode_16_64 3
		.amdhsa_dx10_clamp 1
		.amdhsa_ieee_mode 1
		.amdhsa_fp16_overflow 0
		.amdhsa_workgroup_processor_mode 1
		.amdhsa_memory_ordered 1
		.amdhsa_forward_progress 1
		.amdhsa_shared_vgpr_count 0
		.amdhsa_exception_fp_ieee_invalid_op 0
		.amdhsa_exception_fp_denorm_src 0
		.amdhsa_exception_fp_ieee_div_zero 0
		.amdhsa_exception_fp_ieee_overflow 0
		.amdhsa_exception_fp_ieee_underflow 0
		.amdhsa_exception_fp_ieee_inexact 0
		.amdhsa_exception_int_div_zero 0
	.end_amdhsa_kernel
	.section	.text._ZN7rocprim17ROCPRIM_400000_NS6detail17trampoline_kernelINS0_14default_configENS1_27scan_by_key_config_selectorIiiEEZZNS1_16scan_by_key_implILNS1_25lookback_scan_determinismE0ELb0ES3_N6thrust23THRUST_200600_302600_NS6detail15normal_iteratorINS9_10device_ptrIiEEEENS9_18transform_iteratorINS9_6negateIiEESE_NS9_11use_defaultESI_EESE_iNS9_4plusIvEENS9_8equal_toIvEEiEE10hipError_tPvRmT2_T3_T4_T5_mT6_T7_P12ihipStream_tbENKUlT_T0_E_clISt17integral_constantIbLb1EES14_EEDaSZ_S10_EUlSZ_E_NS1_11comp_targetILNS1_3genE2ELNS1_11target_archE906ELNS1_3gpuE6ELNS1_3repE0EEENS1_30default_config_static_selectorELNS0_4arch9wavefront6targetE0EEEvT1_,"axG",@progbits,_ZN7rocprim17ROCPRIM_400000_NS6detail17trampoline_kernelINS0_14default_configENS1_27scan_by_key_config_selectorIiiEEZZNS1_16scan_by_key_implILNS1_25lookback_scan_determinismE0ELb0ES3_N6thrust23THRUST_200600_302600_NS6detail15normal_iteratorINS9_10device_ptrIiEEEENS9_18transform_iteratorINS9_6negateIiEESE_NS9_11use_defaultESI_EESE_iNS9_4plusIvEENS9_8equal_toIvEEiEE10hipError_tPvRmT2_T3_T4_T5_mT6_T7_P12ihipStream_tbENKUlT_T0_E_clISt17integral_constantIbLb1EES14_EEDaSZ_S10_EUlSZ_E_NS1_11comp_targetILNS1_3genE2ELNS1_11target_archE906ELNS1_3gpuE6ELNS1_3repE0EEENS1_30default_config_static_selectorELNS0_4arch9wavefront6targetE0EEEvT1_,comdat
.Lfunc_end943:
	.size	_ZN7rocprim17ROCPRIM_400000_NS6detail17trampoline_kernelINS0_14default_configENS1_27scan_by_key_config_selectorIiiEEZZNS1_16scan_by_key_implILNS1_25lookback_scan_determinismE0ELb0ES3_N6thrust23THRUST_200600_302600_NS6detail15normal_iteratorINS9_10device_ptrIiEEEENS9_18transform_iteratorINS9_6negateIiEESE_NS9_11use_defaultESI_EESE_iNS9_4plusIvEENS9_8equal_toIvEEiEE10hipError_tPvRmT2_T3_T4_T5_mT6_T7_P12ihipStream_tbENKUlT_T0_E_clISt17integral_constantIbLb1EES14_EEDaSZ_S10_EUlSZ_E_NS1_11comp_targetILNS1_3genE2ELNS1_11target_archE906ELNS1_3gpuE6ELNS1_3repE0EEENS1_30default_config_static_selectorELNS0_4arch9wavefront6targetE0EEEvT1_, .Lfunc_end943-_ZN7rocprim17ROCPRIM_400000_NS6detail17trampoline_kernelINS0_14default_configENS1_27scan_by_key_config_selectorIiiEEZZNS1_16scan_by_key_implILNS1_25lookback_scan_determinismE0ELb0ES3_N6thrust23THRUST_200600_302600_NS6detail15normal_iteratorINS9_10device_ptrIiEEEENS9_18transform_iteratorINS9_6negateIiEESE_NS9_11use_defaultESI_EESE_iNS9_4plusIvEENS9_8equal_toIvEEiEE10hipError_tPvRmT2_T3_T4_T5_mT6_T7_P12ihipStream_tbENKUlT_T0_E_clISt17integral_constantIbLb1EES14_EEDaSZ_S10_EUlSZ_E_NS1_11comp_targetILNS1_3genE2ELNS1_11target_archE906ELNS1_3gpuE6ELNS1_3repE0EEENS1_30default_config_static_selectorELNS0_4arch9wavefront6targetE0EEEvT1_
                                        ; -- End function
	.set _ZN7rocprim17ROCPRIM_400000_NS6detail17trampoline_kernelINS0_14default_configENS1_27scan_by_key_config_selectorIiiEEZZNS1_16scan_by_key_implILNS1_25lookback_scan_determinismE0ELb0ES3_N6thrust23THRUST_200600_302600_NS6detail15normal_iteratorINS9_10device_ptrIiEEEENS9_18transform_iteratorINS9_6negateIiEESE_NS9_11use_defaultESI_EESE_iNS9_4plusIvEENS9_8equal_toIvEEiEE10hipError_tPvRmT2_T3_T4_T5_mT6_T7_P12ihipStream_tbENKUlT_T0_E_clISt17integral_constantIbLb1EES14_EEDaSZ_S10_EUlSZ_E_NS1_11comp_targetILNS1_3genE2ELNS1_11target_archE906ELNS1_3gpuE6ELNS1_3repE0EEENS1_30default_config_static_selectorELNS0_4arch9wavefront6targetE0EEEvT1_.num_vgpr, 0
	.set _ZN7rocprim17ROCPRIM_400000_NS6detail17trampoline_kernelINS0_14default_configENS1_27scan_by_key_config_selectorIiiEEZZNS1_16scan_by_key_implILNS1_25lookback_scan_determinismE0ELb0ES3_N6thrust23THRUST_200600_302600_NS6detail15normal_iteratorINS9_10device_ptrIiEEEENS9_18transform_iteratorINS9_6negateIiEESE_NS9_11use_defaultESI_EESE_iNS9_4plusIvEENS9_8equal_toIvEEiEE10hipError_tPvRmT2_T3_T4_T5_mT6_T7_P12ihipStream_tbENKUlT_T0_E_clISt17integral_constantIbLb1EES14_EEDaSZ_S10_EUlSZ_E_NS1_11comp_targetILNS1_3genE2ELNS1_11target_archE906ELNS1_3gpuE6ELNS1_3repE0EEENS1_30default_config_static_selectorELNS0_4arch9wavefront6targetE0EEEvT1_.num_agpr, 0
	.set _ZN7rocprim17ROCPRIM_400000_NS6detail17trampoline_kernelINS0_14default_configENS1_27scan_by_key_config_selectorIiiEEZZNS1_16scan_by_key_implILNS1_25lookback_scan_determinismE0ELb0ES3_N6thrust23THRUST_200600_302600_NS6detail15normal_iteratorINS9_10device_ptrIiEEEENS9_18transform_iteratorINS9_6negateIiEESE_NS9_11use_defaultESI_EESE_iNS9_4plusIvEENS9_8equal_toIvEEiEE10hipError_tPvRmT2_T3_T4_T5_mT6_T7_P12ihipStream_tbENKUlT_T0_E_clISt17integral_constantIbLb1EES14_EEDaSZ_S10_EUlSZ_E_NS1_11comp_targetILNS1_3genE2ELNS1_11target_archE906ELNS1_3gpuE6ELNS1_3repE0EEENS1_30default_config_static_selectorELNS0_4arch9wavefront6targetE0EEEvT1_.numbered_sgpr, 0
	.set _ZN7rocprim17ROCPRIM_400000_NS6detail17trampoline_kernelINS0_14default_configENS1_27scan_by_key_config_selectorIiiEEZZNS1_16scan_by_key_implILNS1_25lookback_scan_determinismE0ELb0ES3_N6thrust23THRUST_200600_302600_NS6detail15normal_iteratorINS9_10device_ptrIiEEEENS9_18transform_iteratorINS9_6negateIiEESE_NS9_11use_defaultESI_EESE_iNS9_4plusIvEENS9_8equal_toIvEEiEE10hipError_tPvRmT2_T3_T4_T5_mT6_T7_P12ihipStream_tbENKUlT_T0_E_clISt17integral_constantIbLb1EES14_EEDaSZ_S10_EUlSZ_E_NS1_11comp_targetILNS1_3genE2ELNS1_11target_archE906ELNS1_3gpuE6ELNS1_3repE0EEENS1_30default_config_static_selectorELNS0_4arch9wavefront6targetE0EEEvT1_.num_named_barrier, 0
	.set _ZN7rocprim17ROCPRIM_400000_NS6detail17trampoline_kernelINS0_14default_configENS1_27scan_by_key_config_selectorIiiEEZZNS1_16scan_by_key_implILNS1_25lookback_scan_determinismE0ELb0ES3_N6thrust23THRUST_200600_302600_NS6detail15normal_iteratorINS9_10device_ptrIiEEEENS9_18transform_iteratorINS9_6negateIiEESE_NS9_11use_defaultESI_EESE_iNS9_4plusIvEENS9_8equal_toIvEEiEE10hipError_tPvRmT2_T3_T4_T5_mT6_T7_P12ihipStream_tbENKUlT_T0_E_clISt17integral_constantIbLb1EES14_EEDaSZ_S10_EUlSZ_E_NS1_11comp_targetILNS1_3genE2ELNS1_11target_archE906ELNS1_3gpuE6ELNS1_3repE0EEENS1_30default_config_static_selectorELNS0_4arch9wavefront6targetE0EEEvT1_.private_seg_size, 0
	.set _ZN7rocprim17ROCPRIM_400000_NS6detail17trampoline_kernelINS0_14default_configENS1_27scan_by_key_config_selectorIiiEEZZNS1_16scan_by_key_implILNS1_25lookback_scan_determinismE0ELb0ES3_N6thrust23THRUST_200600_302600_NS6detail15normal_iteratorINS9_10device_ptrIiEEEENS9_18transform_iteratorINS9_6negateIiEESE_NS9_11use_defaultESI_EESE_iNS9_4plusIvEENS9_8equal_toIvEEiEE10hipError_tPvRmT2_T3_T4_T5_mT6_T7_P12ihipStream_tbENKUlT_T0_E_clISt17integral_constantIbLb1EES14_EEDaSZ_S10_EUlSZ_E_NS1_11comp_targetILNS1_3genE2ELNS1_11target_archE906ELNS1_3gpuE6ELNS1_3repE0EEENS1_30default_config_static_selectorELNS0_4arch9wavefront6targetE0EEEvT1_.uses_vcc, 0
	.set _ZN7rocprim17ROCPRIM_400000_NS6detail17trampoline_kernelINS0_14default_configENS1_27scan_by_key_config_selectorIiiEEZZNS1_16scan_by_key_implILNS1_25lookback_scan_determinismE0ELb0ES3_N6thrust23THRUST_200600_302600_NS6detail15normal_iteratorINS9_10device_ptrIiEEEENS9_18transform_iteratorINS9_6negateIiEESE_NS9_11use_defaultESI_EESE_iNS9_4plusIvEENS9_8equal_toIvEEiEE10hipError_tPvRmT2_T3_T4_T5_mT6_T7_P12ihipStream_tbENKUlT_T0_E_clISt17integral_constantIbLb1EES14_EEDaSZ_S10_EUlSZ_E_NS1_11comp_targetILNS1_3genE2ELNS1_11target_archE906ELNS1_3gpuE6ELNS1_3repE0EEENS1_30default_config_static_selectorELNS0_4arch9wavefront6targetE0EEEvT1_.uses_flat_scratch, 0
	.set _ZN7rocprim17ROCPRIM_400000_NS6detail17trampoline_kernelINS0_14default_configENS1_27scan_by_key_config_selectorIiiEEZZNS1_16scan_by_key_implILNS1_25lookback_scan_determinismE0ELb0ES3_N6thrust23THRUST_200600_302600_NS6detail15normal_iteratorINS9_10device_ptrIiEEEENS9_18transform_iteratorINS9_6negateIiEESE_NS9_11use_defaultESI_EESE_iNS9_4plusIvEENS9_8equal_toIvEEiEE10hipError_tPvRmT2_T3_T4_T5_mT6_T7_P12ihipStream_tbENKUlT_T0_E_clISt17integral_constantIbLb1EES14_EEDaSZ_S10_EUlSZ_E_NS1_11comp_targetILNS1_3genE2ELNS1_11target_archE906ELNS1_3gpuE6ELNS1_3repE0EEENS1_30default_config_static_selectorELNS0_4arch9wavefront6targetE0EEEvT1_.has_dyn_sized_stack, 0
	.set _ZN7rocprim17ROCPRIM_400000_NS6detail17trampoline_kernelINS0_14default_configENS1_27scan_by_key_config_selectorIiiEEZZNS1_16scan_by_key_implILNS1_25lookback_scan_determinismE0ELb0ES3_N6thrust23THRUST_200600_302600_NS6detail15normal_iteratorINS9_10device_ptrIiEEEENS9_18transform_iteratorINS9_6negateIiEESE_NS9_11use_defaultESI_EESE_iNS9_4plusIvEENS9_8equal_toIvEEiEE10hipError_tPvRmT2_T3_T4_T5_mT6_T7_P12ihipStream_tbENKUlT_T0_E_clISt17integral_constantIbLb1EES14_EEDaSZ_S10_EUlSZ_E_NS1_11comp_targetILNS1_3genE2ELNS1_11target_archE906ELNS1_3gpuE6ELNS1_3repE0EEENS1_30default_config_static_selectorELNS0_4arch9wavefront6targetE0EEEvT1_.has_recursion, 0
	.set _ZN7rocprim17ROCPRIM_400000_NS6detail17trampoline_kernelINS0_14default_configENS1_27scan_by_key_config_selectorIiiEEZZNS1_16scan_by_key_implILNS1_25lookback_scan_determinismE0ELb0ES3_N6thrust23THRUST_200600_302600_NS6detail15normal_iteratorINS9_10device_ptrIiEEEENS9_18transform_iteratorINS9_6negateIiEESE_NS9_11use_defaultESI_EESE_iNS9_4plusIvEENS9_8equal_toIvEEiEE10hipError_tPvRmT2_T3_T4_T5_mT6_T7_P12ihipStream_tbENKUlT_T0_E_clISt17integral_constantIbLb1EES14_EEDaSZ_S10_EUlSZ_E_NS1_11comp_targetILNS1_3genE2ELNS1_11target_archE906ELNS1_3gpuE6ELNS1_3repE0EEENS1_30default_config_static_selectorELNS0_4arch9wavefront6targetE0EEEvT1_.has_indirect_call, 0
	.section	.AMDGPU.csdata,"",@progbits
; Kernel info:
; codeLenInByte = 0
; TotalNumSgprs: 0
; NumVgprs: 0
; ScratchSize: 0
; MemoryBound: 0
; FloatMode: 240
; IeeeMode: 1
; LDSByteSize: 0 bytes/workgroup (compile time only)
; SGPRBlocks: 0
; VGPRBlocks: 0
; NumSGPRsForWavesPerEU: 1
; NumVGPRsForWavesPerEU: 1
; Occupancy: 16
; WaveLimiterHint : 0
; COMPUTE_PGM_RSRC2:SCRATCH_EN: 0
; COMPUTE_PGM_RSRC2:USER_SGPR: 6
; COMPUTE_PGM_RSRC2:TRAP_HANDLER: 0
; COMPUTE_PGM_RSRC2:TGID_X_EN: 1
; COMPUTE_PGM_RSRC2:TGID_Y_EN: 0
; COMPUTE_PGM_RSRC2:TGID_Z_EN: 0
; COMPUTE_PGM_RSRC2:TIDIG_COMP_CNT: 0
	.section	.text._ZN7rocprim17ROCPRIM_400000_NS6detail17trampoline_kernelINS0_14default_configENS1_27scan_by_key_config_selectorIiiEEZZNS1_16scan_by_key_implILNS1_25lookback_scan_determinismE0ELb0ES3_N6thrust23THRUST_200600_302600_NS6detail15normal_iteratorINS9_10device_ptrIiEEEENS9_18transform_iteratorINS9_6negateIiEESE_NS9_11use_defaultESI_EESE_iNS9_4plusIvEENS9_8equal_toIvEEiEE10hipError_tPvRmT2_T3_T4_T5_mT6_T7_P12ihipStream_tbENKUlT_T0_E_clISt17integral_constantIbLb1EES14_EEDaSZ_S10_EUlSZ_E_NS1_11comp_targetILNS1_3genE10ELNS1_11target_archE1200ELNS1_3gpuE4ELNS1_3repE0EEENS1_30default_config_static_selectorELNS0_4arch9wavefront6targetE0EEEvT1_,"axG",@progbits,_ZN7rocprim17ROCPRIM_400000_NS6detail17trampoline_kernelINS0_14default_configENS1_27scan_by_key_config_selectorIiiEEZZNS1_16scan_by_key_implILNS1_25lookback_scan_determinismE0ELb0ES3_N6thrust23THRUST_200600_302600_NS6detail15normal_iteratorINS9_10device_ptrIiEEEENS9_18transform_iteratorINS9_6negateIiEESE_NS9_11use_defaultESI_EESE_iNS9_4plusIvEENS9_8equal_toIvEEiEE10hipError_tPvRmT2_T3_T4_T5_mT6_T7_P12ihipStream_tbENKUlT_T0_E_clISt17integral_constantIbLb1EES14_EEDaSZ_S10_EUlSZ_E_NS1_11comp_targetILNS1_3genE10ELNS1_11target_archE1200ELNS1_3gpuE4ELNS1_3repE0EEENS1_30default_config_static_selectorELNS0_4arch9wavefront6targetE0EEEvT1_,comdat
	.protected	_ZN7rocprim17ROCPRIM_400000_NS6detail17trampoline_kernelINS0_14default_configENS1_27scan_by_key_config_selectorIiiEEZZNS1_16scan_by_key_implILNS1_25lookback_scan_determinismE0ELb0ES3_N6thrust23THRUST_200600_302600_NS6detail15normal_iteratorINS9_10device_ptrIiEEEENS9_18transform_iteratorINS9_6negateIiEESE_NS9_11use_defaultESI_EESE_iNS9_4plusIvEENS9_8equal_toIvEEiEE10hipError_tPvRmT2_T3_T4_T5_mT6_T7_P12ihipStream_tbENKUlT_T0_E_clISt17integral_constantIbLb1EES14_EEDaSZ_S10_EUlSZ_E_NS1_11comp_targetILNS1_3genE10ELNS1_11target_archE1200ELNS1_3gpuE4ELNS1_3repE0EEENS1_30default_config_static_selectorELNS0_4arch9wavefront6targetE0EEEvT1_ ; -- Begin function _ZN7rocprim17ROCPRIM_400000_NS6detail17trampoline_kernelINS0_14default_configENS1_27scan_by_key_config_selectorIiiEEZZNS1_16scan_by_key_implILNS1_25lookback_scan_determinismE0ELb0ES3_N6thrust23THRUST_200600_302600_NS6detail15normal_iteratorINS9_10device_ptrIiEEEENS9_18transform_iteratorINS9_6negateIiEESE_NS9_11use_defaultESI_EESE_iNS9_4plusIvEENS9_8equal_toIvEEiEE10hipError_tPvRmT2_T3_T4_T5_mT6_T7_P12ihipStream_tbENKUlT_T0_E_clISt17integral_constantIbLb1EES14_EEDaSZ_S10_EUlSZ_E_NS1_11comp_targetILNS1_3genE10ELNS1_11target_archE1200ELNS1_3gpuE4ELNS1_3repE0EEENS1_30default_config_static_selectorELNS0_4arch9wavefront6targetE0EEEvT1_
	.globl	_ZN7rocprim17ROCPRIM_400000_NS6detail17trampoline_kernelINS0_14default_configENS1_27scan_by_key_config_selectorIiiEEZZNS1_16scan_by_key_implILNS1_25lookback_scan_determinismE0ELb0ES3_N6thrust23THRUST_200600_302600_NS6detail15normal_iteratorINS9_10device_ptrIiEEEENS9_18transform_iteratorINS9_6negateIiEESE_NS9_11use_defaultESI_EESE_iNS9_4plusIvEENS9_8equal_toIvEEiEE10hipError_tPvRmT2_T3_T4_T5_mT6_T7_P12ihipStream_tbENKUlT_T0_E_clISt17integral_constantIbLb1EES14_EEDaSZ_S10_EUlSZ_E_NS1_11comp_targetILNS1_3genE10ELNS1_11target_archE1200ELNS1_3gpuE4ELNS1_3repE0EEENS1_30default_config_static_selectorELNS0_4arch9wavefront6targetE0EEEvT1_
	.p2align	8
	.type	_ZN7rocprim17ROCPRIM_400000_NS6detail17trampoline_kernelINS0_14default_configENS1_27scan_by_key_config_selectorIiiEEZZNS1_16scan_by_key_implILNS1_25lookback_scan_determinismE0ELb0ES3_N6thrust23THRUST_200600_302600_NS6detail15normal_iteratorINS9_10device_ptrIiEEEENS9_18transform_iteratorINS9_6negateIiEESE_NS9_11use_defaultESI_EESE_iNS9_4plusIvEENS9_8equal_toIvEEiEE10hipError_tPvRmT2_T3_T4_T5_mT6_T7_P12ihipStream_tbENKUlT_T0_E_clISt17integral_constantIbLb1EES14_EEDaSZ_S10_EUlSZ_E_NS1_11comp_targetILNS1_3genE10ELNS1_11target_archE1200ELNS1_3gpuE4ELNS1_3repE0EEENS1_30default_config_static_selectorELNS0_4arch9wavefront6targetE0EEEvT1_,@function
_ZN7rocprim17ROCPRIM_400000_NS6detail17trampoline_kernelINS0_14default_configENS1_27scan_by_key_config_selectorIiiEEZZNS1_16scan_by_key_implILNS1_25lookback_scan_determinismE0ELb0ES3_N6thrust23THRUST_200600_302600_NS6detail15normal_iteratorINS9_10device_ptrIiEEEENS9_18transform_iteratorINS9_6negateIiEESE_NS9_11use_defaultESI_EESE_iNS9_4plusIvEENS9_8equal_toIvEEiEE10hipError_tPvRmT2_T3_T4_T5_mT6_T7_P12ihipStream_tbENKUlT_T0_E_clISt17integral_constantIbLb1EES14_EEDaSZ_S10_EUlSZ_E_NS1_11comp_targetILNS1_3genE10ELNS1_11target_archE1200ELNS1_3gpuE4ELNS1_3repE0EEENS1_30default_config_static_selectorELNS0_4arch9wavefront6targetE0EEEvT1_: ; @_ZN7rocprim17ROCPRIM_400000_NS6detail17trampoline_kernelINS0_14default_configENS1_27scan_by_key_config_selectorIiiEEZZNS1_16scan_by_key_implILNS1_25lookback_scan_determinismE0ELb0ES3_N6thrust23THRUST_200600_302600_NS6detail15normal_iteratorINS9_10device_ptrIiEEEENS9_18transform_iteratorINS9_6negateIiEESE_NS9_11use_defaultESI_EESE_iNS9_4plusIvEENS9_8equal_toIvEEiEE10hipError_tPvRmT2_T3_T4_T5_mT6_T7_P12ihipStream_tbENKUlT_T0_E_clISt17integral_constantIbLb1EES14_EEDaSZ_S10_EUlSZ_E_NS1_11comp_targetILNS1_3genE10ELNS1_11target_archE1200ELNS1_3gpuE4ELNS1_3repE0EEENS1_30default_config_static_selectorELNS0_4arch9wavefront6targetE0EEEvT1_
; %bb.0:
	.section	.rodata,"a",@progbits
	.p2align	6, 0x0
	.amdhsa_kernel _ZN7rocprim17ROCPRIM_400000_NS6detail17trampoline_kernelINS0_14default_configENS1_27scan_by_key_config_selectorIiiEEZZNS1_16scan_by_key_implILNS1_25lookback_scan_determinismE0ELb0ES3_N6thrust23THRUST_200600_302600_NS6detail15normal_iteratorINS9_10device_ptrIiEEEENS9_18transform_iteratorINS9_6negateIiEESE_NS9_11use_defaultESI_EESE_iNS9_4plusIvEENS9_8equal_toIvEEiEE10hipError_tPvRmT2_T3_T4_T5_mT6_T7_P12ihipStream_tbENKUlT_T0_E_clISt17integral_constantIbLb1EES14_EEDaSZ_S10_EUlSZ_E_NS1_11comp_targetILNS1_3genE10ELNS1_11target_archE1200ELNS1_3gpuE4ELNS1_3repE0EEENS1_30default_config_static_selectorELNS0_4arch9wavefront6targetE0EEEvT1_
		.amdhsa_group_segment_fixed_size 0
		.amdhsa_private_segment_fixed_size 0
		.amdhsa_kernarg_size 120
		.amdhsa_user_sgpr_count 6
		.amdhsa_user_sgpr_private_segment_buffer 1
		.amdhsa_user_sgpr_dispatch_ptr 0
		.amdhsa_user_sgpr_queue_ptr 0
		.amdhsa_user_sgpr_kernarg_segment_ptr 1
		.amdhsa_user_sgpr_dispatch_id 0
		.amdhsa_user_sgpr_flat_scratch_init 0
		.amdhsa_user_sgpr_private_segment_size 0
		.amdhsa_wavefront_size32 1
		.amdhsa_uses_dynamic_stack 0
		.amdhsa_system_sgpr_private_segment_wavefront_offset 0
		.amdhsa_system_sgpr_workgroup_id_x 1
		.amdhsa_system_sgpr_workgroup_id_y 0
		.amdhsa_system_sgpr_workgroup_id_z 0
		.amdhsa_system_sgpr_workgroup_info 0
		.amdhsa_system_vgpr_workitem_id 0
		.amdhsa_next_free_vgpr 1
		.amdhsa_next_free_sgpr 1
		.amdhsa_reserve_vcc 0
		.amdhsa_reserve_flat_scratch 0
		.amdhsa_float_round_mode_32 0
		.amdhsa_float_round_mode_16_64 0
		.amdhsa_float_denorm_mode_32 3
		.amdhsa_float_denorm_mode_16_64 3
		.amdhsa_dx10_clamp 1
		.amdhsa_ieee_mode 1
		.amdhsa_fp16_overflow 0
		.amdhsa_workgroup_processor_mode 1
		.amdhsa_memory_ordered 1
		.amdhsa_forward_progress 1
		.amdhsa_shared_vgpr_count 0
		.amdhsa_exception_fp_ieee_invalid_op 0
		.amdhsa_exception_fp_denorm_src 0
		.amdhsa_exception_fp_ieee_div_zero 0
		.amdhsa_exception_fp_ieee_overflow 0
		.amdhsa_exception_fp_ieee_underflow 0
		.amdhsa_exception_fp_ieee_inexact 0
		.amdhsa_exception_int_div_zero 0
	.end_amdhsa_kernel
	.section	.text._ZN7rocprim17ROCPRIM_400000_NS6detail17trampoline_kernelINS0_14default_configENS1_27scan_by_key_config_selectorIiiEEZZNS1_16scan_by_key_implILNS1_25lookback_scan_determinismE0ELb0ES3_N6thrust23THRUST_200600_302600_NS6detail15normal_iteratorINS9_10device_ptrIiEEEENS9_18transform_iteratorINS9_6negateIiEESE_NS9_11use_defaultESI_EESE_iNS9_4plusIvEENS9_8equal_toIvEEiEE10hipError_tPvRmT2_T3_T4_T5_mT6_T7_P12ihipStream_tbENKUlT_T0_E_clISt17integral_constantIbLb1EES14_EEDaSZ_S10_EUlSZ_E_NS1_11comp_targetILNS1_3genE10ELNS1_11target_archE1200ELNS1_3gpuE4ELNS1_3repE0EEENS1_30default_config_static_selectorELNS0_4arch9wavefront6targetE0EEEvT1_,"axG",@progbits,_ZN7rocprim17ROCPRIM_400000_NS6detail17trampoline_kernelINS0_14default_configENS1_27scan_by_key_config_selectorIiiEEZZNS1_16scan_by_key_implILNS1_25lookback_scan_determinismE0ELb0ES3_N6thrust23THRUST_200600_302600_NS6detail15normal_iteratorINS9_10device_ptrIiEEEENS9_18transform_iteratorINS9_6negateIiEESE_NS9_11use_defaultESI_EESE_iNS9_4plusIvEENS9_8equal_toIvEEiEE10hipError_tPvRmT2_T3_T4_T5_mT6_T7_P12ihipStream_tbENKUlT_T0_E_clISt17integral_constantIbLb1EES14_EEDaSZ_S10_EUlSZ_E_NS1_11comp_targetILNS1_3genE10ELNS1_11target_archE1200ELNS1_3gpuE4ELNS1_3repE0EEENS1_30default_config_static_selectorELNS0_4arch9wavefront6targetE0EEEvT1_,comdat
.Lfunc_end944:
	.size	_ZN7rocprim17ROCPRIM_400000_NS6detail17trampoline_kernelINS0_14default_configENS1_27scan_by_key_config_selectorIiiEEZZNS1_16scan_by_key_implILNS1_25lookback_scan_determinismE0ELb0ES3_N6thrust23THRUST_200600_302600_NS6detail15normal_iteratorINS9_10device_ptrIiEEEENS9_18transform_iteratorINS9_6negateIiEESE_NS9_11use_defaultESI_EESE_iNS9_4plusIvEENS9_8equal_toIvEEiEE10hipError_tPvRmT2_T3_T4_T5_mT6_T7_P12ihipStream_tbENKUlT_T0_E_clISt17integral_constantIbLb1EES14_EEDaSZ_S10_EUlSZ_E_NS1_11comp_targetILNS1_3genE10ELNS1_11target_archE1200ELNS1_3gpuE4ELNS1_3repE0EEENS1_30default_config_static_selectorELNS0_4arch9wavefront6targetE0EEEvT1_, .Lfunc_end944-_ZN7rocprim17ROCPRIM_400000_NS6detail17trampoline_kernelINS0_14default_configENS1_27scan_by_key_config_selectorIiiEEZZNS1_16scan_by_key_implILNS1_25lookback_scan_determinismE0ELb0ES3_N6thrust23THRUST_200600_302600_NS6detail15normal_iteratorINS9_10device_ptrIiEEEENS9_18transform_iteratorINS9_6negateIiEESE_NS9_11use_defaultESI_EESE_iNS9_4plusIvEENS9_8equal_toIvEEiEE10hipError_tPvRmT2_T3_T4_T5_mT6_T7_P12ihipStream_tbENKUlT_T0_E_clISt17integral_constantIbLb1EES14_EEDaSZ_S10_EUlSZ_E_NS1_11comp_targetILNS1_3genE10ELNS1_11target_archE1200ELNS1_3gpuE4ELNS1_3repE0EEENS1_30default_config_static_selectorELNS0_4arch9wavefront6targetE0EEEvT1_
                                        ; -- End function
	.set _ZN7rocprim17ROCPRIM_400000_NS6detail17trampoline_kernelINS0_14default_configENS1_27scan_by_key_config_selectorIiiEEZZNS1_16scan_by_key_implILNS1_25lookback_scan_determinismE0ELb0ES3_N6thrust23THRUST_200600_302600_NS6detail15normal_iteratorINS9_10device_ptrIiEEEENS9_18transform_iteratorINS9_6negateIiEESE_NS9_11use_defaultESI_EESE_iNS9_4plusIvEENS9_8equal_toIvEEiEE10hipError_tPvRmT2_T3_T4_T5_mT6_T7_P12ihipStream_tbENKUlT_T0_E_clISt17integral_constantIbLb1EES14_EEDaSZ_S10_EUlSZ_E_NS1_11comp_targetILNS1_3genE10ELNS1_11target_archE1200ELNS1_3gpuE4ELNS1_3repE0EEENS1_30default_config_static_selectorELNS0_4arch9wavefront6targetE0EEEvT1_.num_vgpr, 0
	.set _ZN7rocprim17ROCPRIM_400000_NS6detail17trampoline_kernelINS0_14default_configENS1_27scan_by_key_config_selectorIiiEEZZNS1_16scan_by_key_implILNS1_25lookback_scan_determinismE0ELb0ES3_N6thrust23THRUST_200600_302600_NS6detail15normal_iteratorINS9_10device_ptrIiEEEENS9_18transform_iteratorINS9_6negateIiEESE_NS9_11use_defaultESI_EESE_iNS9_4plusIvEENS9_8equal_toIvEEiEE10hipError_tPvRmT2_T3_T4_T5_mT6_T7_P12ihipStream_tbENKUlT_T0_E_clISt17integral_constantIbLb1EES14_EEDaSZ_S10_EUlSZ_E_NS1_11comp_targetILNS1_3genE10ELNS1_11target_archE1200ELNS1_3gpuE4ELNS1_3repE0EEENS1_30default_config_static_selectorELNS0_4arch9wavefront6targetE0EEEvT1_.num_agpr, 0
	.set _ZN7rocprim17ROCPRIM_400000_NS6detail17trampoline_kernelINS0_14default_configENS1_27scan_by_key_config_selectorIiiEEZZNS1_16scan_by_key_implILNS1_25lookback_scan_determinismE0ELb0ES3_N6thrust23THRUST_200600_302600_NS6detail15normal_iteratorINS9_10device_ptrIiEEEENS9_18transform_iteratorINS9_6negateIiEESE_NS9_11use_defaultESI_EESE_iNS9_4plusIvEENS9_8equal_toIvEEiEE10hipError_tPvRmT2_T3_T4_T5_mT6_T7_P12ihipStream_tbENKUlT_T0_E_clISt17integral_constantIbLb1EES14_EEDaSZ_S10_EUlSZ_E_NS1_11comp_targetILNS1_3genE10ELNS1_11target_archE1200ELNS1_3gpuE4ELNS1_3repE0EEENS1_30default_config_static_selectorELNS0_4arch9wavefront6targetE0EEEvT1_.numbered_sgpr, 0
	.set _ZN7rocprim17ROCPRIM_400000_NS6detail17trampoline_kernelINS0_14default_configENS1_27scan_by_key_config_selectorIiiEEZZNS1_16scan_by_key_implILNS1_25lookback_scan_determinismE0ELb0ES3_N6thrust23THRUST_200600_302600_NS6detail15normal_iteratorINS9_10device_ptrIiEEEENS9_18transform_iteratorINS9_6negateIiEESE_NS9_11use_defaultESI_EESE_iNS9_4plusIvEENS9_8equal_toIvEEiEE10hipError_tPvRmT2_T3_T4_T5_mT6_T7_P12ihipStream_tbENKUlT_T0_E_clISt17integral_constantIbLb1EES14_EEDaSZ_S10_EUlSZ_E_NS1_11comp_targetILNS1_3genE10ELNS1_11target_archE1200ELNS1_3gpuE4ELNS1_3repE0EEENS1_30default_config_static_selectorELNS0_4arch9wavefront6targetE0EEEvT1_.num_named_barrier, 0
	.set _ZN7rocprim17ROCPRIM_400000_NS6detail17trampoline_kernelINS0_14default_configENS1_27scan_by_key_config_selectorIiiEEZZNS1_16scan_by_key_implILNS1_25lookback_scan_determinismE0ELb0ES3_N6thrust23THRUST_200600_302600_NS6detail15normal_iteratorINS9_10device_ptrIiEEEENS9_18transform_iteratorINS9_6negateIiEESE_NS9_11use_defaultESI_EESE_iNS9_4plusIvEENS9_8equal_toIvEEiEE10hipError_tPvRmT2_T3_T4_T5_mT6_T7_P12ihipStream_tbENKUlT_T0_E_clISt17integral_constantIbLb1EES14_EEDaSZ_S10_EUlSZ_E_NS1_11comp_targetILNS1_3genE10ELNS1_11target_archE1200ELNS1_3gpuE4ELNS1_3repE0EEENS1_30default_config_static_selectorELNS0_4arch9wavefront6targetE0EEEvT1_.private_seg_size, 0
	.set _ZN7rocprim17ROCPRIM_400000_NS6detail17trampoline_kernelINS0_14default_configENS1_27scan_by_key_config_selectorIiiEEZZNS1_16scan_by_key_implILNS1_25lookback_scan_determinismE0ELb0ES3_N6thrust23THRUST_200600_302600_NS6detail15normal_iteratorINS9_10device_ptrIiEEEENS9_18transform_iteratorINS9_6negateIiEESE_NS9_11use_defaultESI_EESE_iNS9_4plusIvEENS9_8equal_toIvEEiEE10hipError_tPvRmT2_T3_T4_T5_mT6_T7_P12ihipStream_tbENKUlT_T0_E_clISt17integral_constantIbLb1EES14_EEDaSZ_S10_EUlSZ_E_NS1_11comp_targetILNS1_3genE10ELNS1_11target_archE1200ELNS1_3gpuE4ELNS1_3repE0EEENS1_30default_config_static_selectorELNS0_4arch9wavefront6targetE0EEEvT1_.uses_vcc, 0
	.set _ZN7rocprim17ROCPRIM_400000_NS6detail17trampoline_kernelINS0_14default_configENS1_27scan_by_key_config_selectorIiiEEZZNS1_16scan_by_key_implILNS1_25lookback_scan_determinismE0ELb0ES3_N6thrust23THRUST_200600_302600_NS6detail15normal_iteratorINS9_10device_ptrIiEEEENS9_18transform_iteratorINS9_6negateIiEESE_NS9_11use_defaultESI_EESE_iNS9_4plusIvEENS9_8equal_toIvEEiEE10hipError_tPvRmT2_T3_T4_T5_mT6_T7_P12ihipStream_tbENKUlT_T0_E_clISt17integral_constantIbLb1EES14_EEDaSZ_S10_EUlSZ_E_NS1_11comp_targetILNS1_3genE10ELNS1_11target_archE1200ELNS1_3gpuE4ELNS1_3repE0EEENS1_30default_config_static_selectorELNS0_4arch9wavefront6targetE0EEEvT1_.uses_flat_scratch, 0
	.set _ZN7rocprim17ROCPRIM_400000_NS6detail17trampoline_kernelINS0_14default_configENS1_27scan_by_key_config_selectorIiiEEZZNS1_16scan_by_key_implILNS1_25lookback_scan_determinismE0ELb0ES3_N6thrust23THRUST_200600_302600_NS6detail15normal_iteratorINS9_10device_ptrIiEEEENS9_18transform_iteratorINS9_6negateIiEESE_NS9_11use_defaultESI_EESE_iNS9_4plusIvEENS9_8equal_toIvEEiEE10hipError_tPvRmT2_T3_T4_T5_mT6_T7_P12ihipStream_tbENKUlT_T0_E_clISt17integral_constantIbLb1EES14_EEDaSZ_S10_EUlSZ_E_NS1_11comp_targetILNS1_3genE10ELNS1_11target_archE1200ELNS1_3gpuE4ELNS1_3repE0EEENS1_30default_config_static_selectorELNS0_4arch9wavefront6targetE0EEEvT1_.has_dyn_sized_stack, 0
	.set _ZN7rocprim17ROCPRIM_400000_NS6detail17trampoline_kernelINS0_14default_configENS1_27scan_by_key_config_selectorIiiEEZZNS1_16scan_by_key_implILNS1_25lookback_scan_determinismE0ELb0ES3_N6thrust23THRUST_200600_302600_NS6detail15normal_iteratorINS9_10device_ptrIiEEEENS9_18transform_iteratorINS9_6negateIiEESE_NS9_11use_defaultESI_EESE_iNS9_4plusIvEENS9_8equal_toIvEEiEE10hipError_tPvRmT2_T3_T4_T5_mT6_T7_P12ihipStream_tbENKUlT_T0_E_clISt17integral_constantIbLb1EES14_EEDaSZ_S10_EUlSZ_E_NS1_11comp_targetILNS1_3genE10ELNS1_11target_archE1200ELNS1_3gpuE4ELNS1_3repE0EEENS1_30default_config_static_selectorELNS0_4arch9wavefront6targetE0EEEvT1_.has_recursion, 0
	.set _ZN7rocprim17ROCPRIM_400000_NS6detail17trampoline_kernelINS0_14default_configENS1_27scan_by_key_config_selectorIiiEEZZNS1_16scan_by_key_implILNS1_25lookback_scan_determinismE0ELb0ES3_N6thrust23THRUST_200600_302600_NS6detail15normal_iteratorINS9_10device_ptrIiEEEENS9_18transform_iteratorINS9_6negateIiEESE_NS9_11use_defaultESI_EESE_iNS9_4plusIvEENS9_8equal_toIvEEiEE10hipError_tPvRmT2_T3_T4_T5_mT6_T7_P12ihipStream_tbENKUlT_T0_E_clISt17integral_constantIbLb1EES14_EEDaSZ_S10_EUlSZ_E_NS1_11comp_targetILNS1_3genE10ELNS1_11target_archE1200ELNS1_3gpuE4ELNS1_3repE0EEENS1_30default_config_static_selectorELNS0_4arch9wavefront6targetE0EEEvT1_.has_indirect_call, 0
	.section	.AMDGPU.csdata,"",@progbits
; Kernel info:
; codeLenInByte = 0
; TotalNumSgprs: 0
; NumVgprs: 0
; ScratchSize: 0
; MemoryBound: 0
; FloatMode: 240
; IeeeMode: 1
; LDSByteSize: 0 bytes/workgroup (compile time only)
; SGPRBlocks: 0
; VGPRBlocks: 0
; NumSGPRsForWavesPerEU: 1
; NumVGPRsForWavesPerEU: 1
; Occupancy: 16
; WaveLimiterHint : 0
; COMPUTE_PGM_RSRC2:SCRATCH_EN: 0
; COMPUTE_PGM_RSRC2:USER_SGPR: 6
; COMPUTE_PGM_RSRC2:TRAP_HANDLER: 0
; COMPUTE_PGM_RSRC2:TGID_X_EN: 1
; COMPUTE_PGM_RSRC2:TGID_Y_EN: 0
; COMPUTE_PGM_RSRC2:TGID_Z_EN: 0
; COMPUTE_PGM_RSRC2:TIDIG_COMP_CNT: 0
	.section	.text._ZN7rocprim17ROCPRIM_400000_NS6detail17trampoline_kernelINS0_14default_configENS1_27scan_by_key_config_selectorIiiEEZZNS1_16scan_by_key_implILNS1_25lookback_scan_determinismE0ELb0ES3_N6thrust23THRUST_200600_302600_NS6detail15normal_iteratorINS9_10device_ptrIiEEEENS9_18transform_iteratorINS9_6negateIiEESE_NS9_11use_defaultESI_EESE_iNS9_4plusIvEENS9_8equal_toIvEEiEE10hipError_tPvRmT2_T3_T4_T5_mT6_T7_P12ihipStream_tbENKUlT_T0_E_clISt17integral_constantIbLb1EES14_EEDaSZ_S10_EUlSZ_E_NS1_11comp_targetILNS1_3genE9ELNS1_11target_archE1100ELNS1_3gpuE3ELNS1_3repE0EEENS1_30default_config_static_selectorELNS0_4arch9wavefront6targetE0EEEvT1_,"axG",@progbits,_ZN7rocprim17ROCPRIM_400000_NS6detail17trampoline_kernelINS0_14default_configENS1_27scan_by_key_config_selectorIiiEEZZNS1_16scan_by_key_implILNS1_25lookback_scan_determinismE0ELb0ES3_N6thrust23THRUST_200600_302600_NS6detail15normal_iteratorINS9_10device_ptrIiEEEENS9_18transform_iteratorINS9_6negateIiEESE_NS9_11use_defaultESI_EESE_iNS9_4plusIvEENS9_8equal_toIvEEiEE10hipError_tPvRmT2_T3_T4_T5_mT6_T7_P12ihipStream_tbENKUlT_T0_E_clISt17integral_constantIbLb1EES14_EEDaSZ_S10_EUlSZ_E_NS1_11comp_targetILNS1_3genE9ELNS1_11target_archE1100ELNS1_3gpuE3ELNS1_3repE0EEENS1_30default_config_static_selectorELNS0_4arch9wavefront6targetE0EEEvT1_,comdat
	.protected	_ZN7rocprim17ROCPRIM_400000_NS6detail17trampoline_kernelINS0_14default_configENS1_27scan_by_key_config_selectorIiiEEZZNS1_16scan_by_key_implILNS1_25lookback_scan_determinismE0ELb0ES3_N6thrust23THRUST_200600_302600_NS6detail15normal_iteratorINS9_10device_ptrIiEEEENS9_18transform_iteratorINS9_6negateIiEESE_NS9_11use_defaultESI_EESE_iNS9_4plusIvEENS9_8equal_toIvEEiEE10hipError_tPvRmT2_T3_T4_T5_mT6_T7_P12ihipStream_tbENKUlT_T0_E_clISt17integral_constantIbLb1EES14_EEDaSZ_S10_EUlSZ_E_NS1_11comp_targetILNS1_3genE9ELNS1_11target_archE1100ELNS1_3gpuE3ELNS1_3repE0EEENS1_30default_config_static_selectorELNS0_4arch9wavefront6targetE0EEEvT1_ ; -- Begin function _ZN7rocprim17ROCPRIM_400000_NS6detail17trampoline_kernelINS0_14default_configENS1_27scan_by_key_config_selectorIiiEEZZNS1_16scan_by_key_implILNS1_25lookback_scan_determinismE0ELb0ES3_N6thrust23THRUST_200600_302600_NS6detail15normal_iteratorINS9_10device_ptrIiEEEENS9_18transform_iteratorINS9_6negateIiEESE_NS9_11use_defaultESI_EESE_iNS9_4plusIvEENS9_8equal_toIvEEiEE10hipError_tPvRmT2_T3_T4_T5_mT6_T7_P12ihipStream_tbENKUlT_T0_E_clISt17integral_constantIbLb1EES14_EEDaSZ_S10_EUlSZ_E_NS1_11comp_targetILNS1_3genE9ELNS1_11target_archE1100ELNS1_3gpuE3ELNS1_3repE0EEENS1_30default_config_static_selectorELNS0_4arch9wavefront6targetE0EEEvT1_
	.globl	_ZN7rocprim17ROCPRIM_400000_NS6detail17trampoline_kernelINS0_14default_configENS1_27scan_by_key_config_selectorIiiEEZZNS1_16scan_by_key_implILNS1_25lookback_scan_determinismE0ELb0ES3_N6thrust23THRUST_200600_302600_NS6detail15normal_iteratorINS9_10device_ptrIiEEEENS9_18transform_iteratorINS9_6negateIiEESE_NS9_11use_defaultESI_EESE_iNS9_4plusIvEENS9_8equal_toIvEEiEE10hipError_tPvRmT2_T3_T4_T5_mT6_T7_P12ihipStream_tbENKUlT_T0_E_clISt17integral_constantIbLb1EES14_EEDaSZ_S10_EUlSZ_E_NS1_11comp_targetILNS1_3genE9ELNS1_11target_archE1100ELNS1_3gpuE3ELNS1_3repE0EEENS1_30default_config_static_selectorELNS0_4arch9wavefront6targetE0EEEvT1_
	.p2align	8
	.type	_ZN7rocprim17ROCPRIM_400000_NS6detail17trampoline_kernelINS0_14default_configENS1_27scan_by_key_config_selectorIiiEEZZNS1_16scan_by_key_implILNS1_25lookback_scan_determinismE0ELb0ES3_N6thrust23THRUST_200600_302600_NS6detail15normal_iteratorINS9_10device_ptrIiEEEENS9_18transform_iteratorINS9_6negateIiEESE_NS9_11use_defaultESI_EESE_iNS9_4plusIvEENS9_8equal_toIvEEiEE10hipError_tPvRmT2_T3_T4_T5_mT6_T7_P12ihipStream_tbENKUlT_T0_E_clISt17integral_constantIbLb1EES14_EEDaSZ_S10_EUlSZ_E_NS1_11comp_targetILNS1_3genE9ELNS1_11target_archE1100ELNS1_3gpuE3ELNS1_3repE0EEENS1_30default_config_static_selectorELNS0_4arch9wavefront6targetE0EEEvT1_,@function
_ZN7rocprim17ROCPRIM_400000_NS6detail17trampoline_kernelINS0_14default_configENS1_27scan_by_key_config_selectorIiiEEZZNS1_16scan_by_key_implILNS1_25lookback_scan_determinismE0ELb0ES3_N6thrust23THRUST_200600_302600_NS6detail15normal_iteratorINS9_10device_ptrIiEEEENS9_18transform_iteratorINS9_6negateIiEESE_NS9_11use_defaultESI_EESE_iNS9_4plusIvEENS9_8equal_toIvEEiEE10hipError_tPvRmT2_T3_T4_T5_mT6_T7_P12ihipStream_tbENKUlT_T0_E_clISt17integral_constantIbLb1EES14_EEDaSZ_S10_EUlSZ_E_NS1_11comp_targetILNS1_3genE9ELNS1_11target_archE1100ELNS1_3gpuE3ELNS1_3repE0EEENS1_30default_config_static_selectorELNS0_4arch9wavefront6targetE0EEEvT1_: ; @_ZN7rocprim17ROCPRIM_400000_NS6detail17trampoline_kernelINS0_14default_configENS1_27scan_by_key_config_selectorIiiEEZZNS1_16scan_by_key_implILNS1_25lookback_scan_determinismE0ELb0ES3_N6thrust23THRUST_200600_302600_NS6detail15normal_iteratorINS9_10device_ptrIiEEEENS9_18transform_iteratorINS9_6negateIiEESE_NS9_11use_defaultESI_EESE_iNS9_4plusIvEENS9_8equal_toIvEEiEE10hipError_tPvRmT2_T3_T4_T5_mT6_T7_P12ihipStream_tbENKUlT_T0_E_clISt17integral_constantIbLb1EES14_EEDaSZ_S10_EUlSZ_E_NS1_11comp_targetILNS1_3genE9ELNS1_11target_archE1100ELNS1_3gpuE3ELNS1_3repE0EEENS1_30default_config_static_selectorELNS0_4arch9wavefront6targetE0EEEvT1_
; %bb.0:
	.section	.rodata,"a",@progbits
	.p2align	6, 0x0
	.amdhsa_kernel _ZN7rocprim17ROCPRIM_400000_NS6detail17trampoline_kernelINS0_14default_configENS1_27scan_by_key_config_selectorIiiEEZZNS1_16scan_by_key_implILNS1_25lookback_scan_determinismE0ELb0ES3_N6thrust23THRUST_200600_302600_NS6detail15normal_iteratorINS9_10device_ptrIiEEEENS9_18transform_iteratorINS9_6negateIiEESE_NS9_11use_defaultESI_EESE_iNS9_4plusIvEENS9_8equal_toIvEEiEE10hipError_tPvRmT2_T3_T4_T5_mT6_T7_P12ihipStream_tbENKUlT_T0_E_clISt17integral_constantIbLb1EES14_EEDaSZ_S10_EUlSZ_E_NS1_11comp_targetILNS1_3genE9ELNS1_11target_archE1100ELNS1_3gpuE3ELNS1_3repE0EEENS1_30default_config_static_selectorELNS0_4arch9wavefront6targetE0EEEvT1_
		.amdhsa_group_segment_fixed_size 0
		.amdhsa_private_segment_fixed_size 0
		.amdhsa_kernarg_size 120
		.amdhsa_user_sgpr_count 6
		.amdhsa_user_sgpr_private_segment_buffer 1
		.amdhsa_user_sgpr_dispatch_ptr 0
		.amdhsa_user_sgpr_queue_ptr 0
		.amdhsa_user_sgpr_kernarg_segment_ptr 1
		.amdhsa_user_sgpr_dispatch_id 0
		.amdhsa_user_sgpr_flat_scratch_init 0
		.amdhsa_user_sgpr_private_segment_size 0
		.amdhsa_wavefront_size32 1
		.amdhsa_uses_dynamic_stack 0
		.amdhsa_system_sgpr_private_segment_wavefront_offset 0
		.amdhsa_system_sgpr_workgroup_id_x 1
		.amdhsa_system_sgpr_workgroup_id_y 0
		.amdhsa_system_sgpr_workgroup_id_z 0
		.amdhsa_system_sgpr_workgroup_info 0
		.amdhsa_system_vgpr_workitem_id 0
		.amdhsa_next_free_vgpr 1
		.amdhsa_next_free_sgpr 1
		.amdhsa_reserve_vcc 0
		.amdhsa_reserve_flat_scratch 0
		.amdhsa_float_round_mode_32 0
		.amdhsa_float_round_mode_16_64 0
		.amdhsa_float_denorm_mode_32 3
		.amdhsa_float_denorm_mode_16_64 3
		.amdhsa_dx10_clamp 1
		.amdhsa_ieee_mode 1
		.amdhsa_fp16_overflow 0
		.amdhsa_workgroup_processor_mode 1
		.amdhsa_memory_ordered 1
		.amdhsa_forward_progress 1
		.amdhsa_shared_vgpr_count 0
		.amdhsa_exception_fp_ieee_invalid_op 0
		.amdhsa_exception_fp_denorm_src 0
		.amdhsa_exception_fp_ieee_div_zero 0
		.amdhsa_exception_fp_ieee_overflow 0
		.amdhsa_exception_fp_ieee_underflow 0
		.amdhsa_exception_fp_ieee_inexact 0
		.amdhsa_exception_int_div_zero 0
	.end_amdhsa_kernel
	.section	.text._ZN7rocprim17ROCPRIM_400000_NS6detail17trampoline_kernelINS0_14default_configENS1_27scan_by_key_config_selectorIiiEEZZNS1_16scan_by_key_implILNS1_25lookback_scan_determinismE0ELb0ES3_N6thrust23THRUST_200600_302600_NS6detail15normal_iteratorINS9_10device_ptrIiEEEENS9_18transform_iteratorINS9_6negateIiEESE_NS9_11use_defaultESI_EESE_iNS9_4plusIvEENS9_8equal_toIvEEiEE10hipError_tPvRmT2_T3_T4_T5_mT6_T7_P12ihipStream_tbENKUlT_T0_E_clISt17integral_constantIbLb1EES14_EEDaSZ_S10_EUlSZ_E_NS1_11comp_targetILNS1_3genE9ELNS1_11target_archE1100ELNS1_3gpuE3ELNS1_3repE0EEENS1_30default_config_static_selectorELNS0_4arch9wavefront6targetE0EEEvT1_,"axG",@progbits,_ZN7rocprim17ROCPRIM_400000_NS6detail17trampoline_kernelINS0_14default_configENS1_27scan_by_key_config_selectorIiiEEZZNS1_16scan_by_key_implILNS1_25lookback_scan_determinismE0ELb0ES3_N6thrust23THRUST_200600_302600_NS6detail15normal_iteratorINS9_10device_ptrIiEEEENS9_18transform_iteratorINS9_6negateIiEESE_NS9_11use_defaultESI_EESE_iNS9_4plusIvEENS9_8equal_toIvEEiEE10hipError_tPvRmT2_T3_T4_T5_mT6_T7_P12ihipStream_tbENKUlT_T0_E_clISt17integral_constantIbLb1EES14_EEDaSZ_S10_EUlSZ_E_NS1_11comp_targetILNS1_3genE9ELNS1_11target_archE1100ELNS1_3gpuE3ELNS1_3repE0EEENS1_30default_config_static_selectorELNS0_4arch9wavefront6targetE0EEEvT1_,comdat
.Lfunc_end945:
	.size	_ZN7rocprim17ROCPRIM_400000_NS6detail17trampoline_kernelINS0_14default_configENS1_27scan_by_key_config_selectorIiiEEZZNS1_16scan_by_key_implILNS1_25lookback_scan_determinismE0ELb0ES3_N6thrust23THRUST_200600_302600_NS6detail15normal_iteratorINS9_10device_ptrIiEEEENS9_18transform_iteratorINS9_6negateIiEESE_NS9_11use_defaultESI_EESE_iNS9_4plusIvEENS9_8equal_toIvEEiEE10hipError_tPvRmT2_T3_T4_T5_mT6_T7_P12ihipStream_tbENKUlT_T0_E_clISt17integral_constantIbLb1EES14_EEDaSZ_S10_EUlSZ_E_NS1_11comp_targetILNS1_3genE9ELNS1_11target_archE1100ELNS1_3gpuE3ELNS1_3repE0EEENS1_30default_config_static_selectorELNS0_4arch9wavefront6targetE0EEEvT1_, .Lfunc_end945-_ZN7rocprim17ROCPRIM_400000_NS6detail17trampoline_kernelINS0_14default_configENS1_27scan_by_key_config_selectorIiiEEZZNS1_16scan_by_key_implILNS1_25lookback_scan_determinismE0ELb0ES3_N6thrust23THRUST_200600_302600_NS6detail15normal_iteratorINS9_10device_ptrIiEEEENS9_18transform_iteratorINS9_6negateIiEESE_NS9_11use_defaultESI_EESE_iNS9_4plusIvEENS9_8equal_toIvEEiEE10hipError_tPvRmT2_T3_T4_T5_mT6_T7_P12ihipStream_tbENKUlT_T0_E_clISt17integral_constantIbLb1EES14_EEDaSZ_S10_EUlSZ_E_NS1_11comp_targetILNS1_3genE9ELNS1_11target_archE1100ELNS1_3gpuE3ELNS1_3repE0EEENS1_30default_config_static_selectorELNS0_4arch9wavefront6targetE0EEEvT1_
                                        ; -- End function
	.set _ZN7rocprim17ROCPRIM_400000_NS6detail17trampoline_kernelINS0_14default_configENS1_27scan_by_key_config_selectorIiiEEZZNS1_16scan_by_key_implILNS1_25lookback_scan_determinismE0ELb0ES3_N6thrust23THRUST_200600_302600_NS6detail15normal_iteratorINS9_10device_ptrIiEEEENS9_18transform_iteratorINS9_6negateIiEESE_NS9_11use_defaultESI_EESE_iNS9_4plusIvEENS9_8equal_toIvEEiEE10hipError_tPvRmT2_T3_T4_T5_mT6_T7_P12ihipStream_tbENKUlT_T0_E_clISt17integral_constantIbLb1EES14_EEDaSZ_S10_EUlSZ_E_NS1_11comp_targetILNS1_3genE9ELNS1_11target_archE1100ELNS1_3gpuE3ELNS1_3repE0EEENS1_30default_config_static_selectorELNS0_4arch9wavefront6targetE0EEEvT1_.num_vgpr, 0
	.set _ZN7rocprim17ROCPRIM_400000_NS6detail17trampoline_kernelINS0_14default_configENS1_27scan_by_key_config_selectorIiiEEZZNS1_16scan_by_key_implILNS1_25lookback_scan_determinismE0ELb0ES3_N6thrust23THRUST_200600_302600_NS6detail15normal_iteratorINS9_10device_ptrIiEEEENS9_18transform_iteratorINS9_6negateIiEESE_NS9_11use_defaultESI_EESE_iNS9_4plusIvEENS9_8equal_toIvEEiEE10hipError_tPvRmT2_T3_T4_T5_mT6_T7_P12ihipStream_tbENKUlT_T0_E_clISt17integral_constantIbLb1EES14_EEDaSZ_S10_EUlSZ_E_NS1_11comp_targetILNS1_3genE9ELNS1_11target_archE1100ELNS1_3gpuE3ELNS1_3repE0EEENS1_30default_config_static_selectorELNS0_4arch9wavefront6targetE0EEEvT1_.num_agpr, 0
	.set _ZN7rocprim17ROCPRIM_400000_NS6detail17trampoline_kernelINS0_14default_configENS1_27scan_by_key_config_selectorIiiEEZZNS1_16scan_by_key_implILNS1_25lookback_scan_determinismE0ELb0ES3_N6thrust23THRUST_200600_302600_NS6detail15normal_iteratorINS9_10device_ptrIiEEEENS9_18transform_iteratorINS9_6negateIiEESE_NS9_11use_defaultESI_EESE_iNS9_4plusIvEENS9_8equal_toIvEEiEE10hipError_tPvRmT2_T3_T4_T5_mT6_T7_P12ihipStream_tbENKUlT_T0_E_clISt17integral_constantIbLb1EES14_EEDaSZ_S10_EUlSZ_E_NS1_11comp_targetILNS1_3genE9ELNS1_11target_archE1100ELNS1_3gpuE3ELNS1_3repE0EEENS1_30default_config_static_selectorELNS0_4arch9wavefront6targetE0EEEvT1_.numbered_sgpr, 0
	.set _ZN7rocprim17ROCPRIM_400000_NS6detail17trampoline_kernelINS0_14default_configENS1_27scan_by_key_config_selectorIiiEEZZNS1_16scan_by_key_implILNS1_25lookback_scan_determinismE0ELb0ES3_N6thrust23THRUST_200600_302600_NS6detail15normal_iteratorINS9_10device_ptrIiEEEENS9_18transform_iteratorINS9_6negateIiEESE_NS9_11use_defaultESI_EESE_iNS9_4plusIvEENS9_8equal_toIvEEiEE10hipError_tPvRmT2_T3_T4_T5_mT6_T7_P12ihipStream_tbENKUlT_T0_E_clISt17integral_constantIbLb1EES14_EEDaSZ_S10_EUlSZ_E_NS1_11comp_targetILNS1_3genE9ELNS1_11target_archE1100ELNS1_3gpuE3ELNS1_3repE0EEENS1_30default_config_static_selectorELNS0_4arch9wavefront6targetE0EEEvT1_.num_named_barrier, 0
	.set _ZN7rocprim17ROCPRIM_400000_NS6detail17trampoline_kernelINS0_14default_configENS1_27scan_by_key_config_selectorIiiEEZZNS1_16scan_by_key_implILNS1_25lookback_scan_determinismE0ELb0ES3_N6thrust23THRUST_200600_302600_NS6detail15normal_iteratorINS9_10device_ptrIiEEEENS9_18transform_iteratorINS9_6negateIiEESE_NS9_11use_defaultESI_EESE_iNS9_4plusIvEENS9_8equal_toIvEEiEE10hipError_tPvRmT2_T3_T4_T5_mT6_T7_P12ihipStream_tbENKUlT_T0_E_clISt17integral_constantIbLb1EES14_EEDaSZ_S10_EUlSZ_E_NS1_11comp_targetILNS1_3genE9ELNS1_11target_archE1100ELNS1_3gpuE3ELNS1_3repE0EEENS1_30default_config_static_selectorELNS0_4arch9wavefront6targetE0EEEvT1_.private_seg_size, 0
	.set _ZN7rocprim17ROCPRIM_400000_NS6detail17trampoline_kernelINS0_14default_configENS1_27scan_by_key_config_selectorIiiEEZZNS1_16scan_by_key_implILNS1_25lookback_scan_determinismE0ELb0ES3_N6thrust23THRUST_200600_302600_NS6detail15normal_iteratorINS9_10device_ptrIiEEEENS9_18transform_iteratorINS9_6negateIiEESE_NS9_11use_defaultESI_EESE_iNS9_4plusIvEENS9_8equal_toIvEEiEE10hipError_tPvRmT2_T3_T4_T5_mT6_T7_P12ihipStream_tbENKUlT_T0_E_clISt17integral_constantIbLb1EES14_EEDaSZ_S10_EUlSZ_E_NS1_11comp_targetILNS1_3genE9ELNS1_11target_archE1100ELNS1_3gpuE3ELNS1_3repE0EEENS1_30default_config_static_selectorELNS0_4arch9wavefront6targetE0EEEvT1_.uses_vcc, 0
	.set _ZN7rocprim17ROCPRIM_400000_NS6detail17trampoline_kernelINS0_14default_configENS1_27scan_by_key_config_selectorIiiEEZZNS1_16scan_by_key_implILNS1_25lookback_scan_determinismE0ELb0ES3_N6thrust23THRUST_200600_302600_NS6detail15normal_iteratorINS9_10device_ptrIiEEEENS9_18transform_iteratorINS9_6negateIiEESE_NS9_11use_defaultESI_EESE_iNS9_4plusIvEENS9_8equal_toIvEEiEE10hipError_tPvRmT2_T3_T4_T5_mT6_T7_P12ihipStream_tbENKUlT_T0_E_clISt17integral_constantIbLb1EES14_EEDaSZ_S10_EUlSZ_E_NS1_11comp_targetILNS1_3genE9ELNS1_11target_archE1100ELNS1_3gpuE3ELNS1_3repE0EEENS1_30default_config_static_selectorELNS0_4arch9wavefront6targetE0EEEvT1_.uses_flat_scratch, 0
	.set _ZN7rocprim17ROCPRIM_400000_NS6detail17trampoline_kernelINS0_14default_configENS1_27scan_by_key_config_selectorIiiEEZZNS1_16scan_by_key_implILNS1_25lookback_scan_determinismE0ELb0ES3_N6thrust23THRUST_200600_302600_NS6detail15normal_iteratorINS9_10device_ptrIiEEEENS9_18transform_iteratorINS9_6negateIiEESE_NS9_11use_defaultESI_EESE_iNS9_4plusIvEENS9_8equal_toIvEEiEE10hipError_tPvRmT2_T3_T4_T5_mT6_T7_P12ihipStream_tbENKUlT_T0_E_clISt17integral_constantIbLb1EES14_EEDaSZ_S10_EUlSZ_E_NS1_11comp_targetILNS1_3genE9ELNS1_11target_archE1100ELNS1_3gpuE3ELNS1_3repE0EEENS1_30default_config_static_selectorELNS0_4arch9wavefront6targetE0EEEvT1_.has_dyn_sized_stack, 0
	.set _ZN7rocprim17ROCPRIM_400000_NS6detail17trampoline_kernelINS0_14default_configENS1_27scan_by_key_config_selectorIiiEEZZNS1_16scan_by_key_implILNS1_25lookback_scan_determinismE0ELb0ES3_N6thrust23THRUST_200600_302600_NS6detail15normal_iteratorINS9_10device_ptrIiEEEENS9_18transform_iteratorINS9_6negateIiEESE_NS9_11use_defaultESI_EESE_iNS9_4plusIvEENS9_8equal_toIvEEiEE10hipError_tPvRmT2_T3_T4_T5_mT6_T7_P12ihipStream_tbENKUlT_T0_E_clISt17integral_constantIbLb1EES14_EEDaSZ_S10_EUlSZ_E_NS1_11comp_targetILNS1_3genE9ELNS1_11target_archE1100ELNS1_3gpuE3ELNS1_3repE0EEENS1_30default_config_static_selectorELNS0_4arch9wavefront6targetE0EEEvT1_.has_recursion, 0
	.set _ZN7rocprim17ROCPRIM_400000_NS6detail17trampoline_kernelINS0_14default_configENS1_27scan_by_key_config_selectorIiiEEZZNS1_16scan_by_key_implILNS1_25lookback_scan_determinismE0ELb0ES3_N6thrust23THRUST_200600_302600_NS6detail15normal_iteratorINS9_10device_ptrIiEEEENS9_18transform_iteratorINS9_6negateIiEESE_NS9_11use_defaultESI_EESE_iNS9_4plusIvEENS9_8equal_toIvEEiEE10hipError_tPvRmT2_T3_T4_T5_mT6_T7_P12ihipStream_tbENKUlT_T0_E_clISt17integral_constantIbLb1EES14_EEDaSZ_S10_EUlSZ_E_NS1_11comp_targetILNS1_3genE9ELNS1_11target_archE1100ELNS1_3gpuE3ELNS1_3repE0EEENS1_30default_config_static_selectorELNS0_4arch9wavefront6targetE0EEEvT1_.has_indirect_call, 0
	.section	.AMDGPU.csdata,"",@progbits
; Kernel info:
; codeLenInByte = 0
; TotalNumSgprs: 0
; NumVgprs: 0
; ScratchSize: 0
; MemoryBound: 0
; FloatMode: 240
; IeeeMode: 1
; LDSByteSize: 0 bytes/workgroup (compile time only)
; SGPRBlocks: 0
; VGPRBlocks: 0
; NumSGPRsForWavesPerEU: 1
; NumVGPRsForWavesPerEU: 1
; Occupancy: 16
; WaveLimiterHint : 0
; COMPUTE_PGM_RSRC2:SCRATCH_EN: 0
; COMPUTE_PGM_RSRC2:USER_SGPR: 6
; COMPUTE_PGM_RSRC2:TRAP_HANDLER: 0
; COMPUTE_PGM_RSRC2:TGID_X_EN: 1
; COMPUTE_PGM_RSRC2:TGID_Y_EN: 0
; COMPUTE_PGM_RSRC2:TGID_Z_EN: 0
; COMPUTE_PGM_RSRC2:TIDIG_COMP_CNT: 0
	.section	.text._ZN7rocprim17ROCPRIM_400000_NS6detail17trampoline_kernelINS0_14default_configENS1_27scan_by_key_config_selectorIiiEEZZNS1_16scan_by_key_implILNS1_25lookback_scan_determinismE0ELb0ES3_N6thrust23THRUST_200600_302600_NS6detail15normal_iteratorINS9_10device_ptrIiEEEENS9_18transform_iteratorINS9_6negateIiEESE_NS9_11use_defaultESI_EESE_iNS9_4plusIvEENS9_8equal_toIvEEiEE10hipError_tPvRmT2_T3_T4_T5_mT6_T7_P12ihipStream_tbENKUlT_T0_E_clISt17integral_constantIbLb1EES14_EEDaSZ_S10_EUlSZ_E_NS1_11comp_targetILNS1_3genE8ELNS1_11target_archE1030ELNS1_3gpuE2ELNS1_3repE0EEENS1_30default_config_static_selectorELNS0_4arch9wavefront6targetE0EEEvT1_,"axG",@progbits,_ZN7rocprim17ROCPRIM_400000_NS6detail17trampoline_kernelINS0_14default_configENS1_27scan_by_key_config_selectorIiiEEZZNS1_16scan_by_key_implILNS1_25lookback_scan_determinismE0ELb0ES3_N6thrust23THRUST_200600_302600_NS6detail15normal_iteratorINS9_10device_ptrIiEEEENS9_18transform_iteratorINS9_6negateIiEESE_NS9_11use_defaultESI_EESE_iNS9_4plusIvEENS9_8equal_toIvEEiEE10hipError_tPvRmT2_T3_T4_T5_mT6_T7_P12ihipStream_tbENKUlT_T0_E_clISt17integral_constantIbLb1EES14_EEDaSZ_S10_EUlSZ_E_NS1_11comp_targetILNS1_3genE8ELNS1_11target_archE1030ELNS1_3gpuE2ELNS1_3repE0EEENS1_30default_config_static_selectorELNS0_4arch9wavefront6targetE0EEEvT1_,comdat
	.protected	_ZN7rocprim17ROCPRIM_400000_NS6detail17trampoline_kernelINS0_14default_configENS1_27scan_by_key_config_selectorIiiEEZZNS1_16scan_by_key_implILNS1_25lookback_scan_determinismE0ELb0ES3_N6thrust23THRUST_200600_302600_NS6detail15normal_iteratorINS9_10device_ptrIiEEEENS9_18transform_iteratorINS9_6negateIiEESE_NS9_11use_defaultESI_EESE_iNS9_4plusIvEENS9_8equal_toIvEEiEE10hipError_tPvRmT2_T3_T4_T5_mT6_T7_P12ihipStream_tbENKUlT_T0_E_clISt17integral_constantIbLb1EES14_EEDaSZ_S10_EUlSZ_E_NS1_11comp_targetILNS1_3genE8ELNS1_11target_archE1030ELNS1_3gpuE2ELNS1_3repE0EEENS1_30default_config_static_selectorELNS0_4arch9wavefront6targetE0EEEvT1_ ; -- Begin function _ZN7rocprim17ROCPRIM_400000_NS6detail17trampoline_kernelINS0_14default_configENS1_27scan_by_key_config_selectorIiiEEZZNS1_16scan_by_key_implILNS1_25lookback_scan_determinismE0ELb0ES3_N6thrust23THRUST_200600_302600_NS6detail15normal_iteratorINS9_10device_ptrIiEEEENS9_18transform_iteratorINS9_6negateIiEESE_NS9_11use_defaultESI_EESE_iNS9_4plusIvEENS9_8equal_toIvEEiEE10hipError_tPvRmT2_T3_T4_T5_mT6_T7_P12ihipStream_tbENKUlT_T0_E_clISt17integral_constantIbLb1EES14_EEDaSZ_S10_EUlSZ_E_NS1_11comp_targetILNS1_3genE8ELNS1_11target_archE1030ELNS1_3gpuE2ELNS1_3repE0EEENS1_30default_config_static_selectorELNS0_4arch9wavefront6targetE0EEEvT1_
	.globl	_ZN7rocprim17ROCPRIM_400000_NS6detail17trampoline_kernelINS0_14default_configENS1_27scan_by_key_config_selectorIiiEEZZNS1_16scan_by_key_implILNS1_25lookback_scan_determinismE0ELb0ES3_N6thrust23THRUST_200600_302600_NS6detail15normal_iteratorINS9_10device_ptrIiEEEENS9_18transform_iteratorINS9_6negateIiEESE_NS9_11use_defaultESI_EESE_iNS9_4plusIvEENS9_8equal_toIvEEiEE10hipError_tPvRmT2_T3_T4_T5_mT6_T7_P12ihipStream_tbENKUlT_T0_E_clISt17integral_constantIbLb1EES14_EEDaSZ_S10_EUlSZ_E_NS1_11comp_targetILNS1_3genE8ELNS1_11target_archE1030ELNS1_3gpuE2ELNS1_3repE0EEENS1_30default_config_static_selectorELNS0_4arch9wavefront6targetE0EEEvT1_
	.p2align	8
	.type	_ZN7rocprim17ROCPRIM_400000_NS6detail17trampoline_kernelINS0_14default_configENS1_27scan_by_key_config_selectorIiiEEZZNS1_16scan_by_key_implILNS1_25lookback_scan_determinismE0ELb0ES3_N6thrust23THRUST_200600_302600_NS6detail15normal_iteratorINS9_10device_ptrIiEEEENS9_18transform_iteratorINS9_6negateIiEESE_NS9_11use_defaultESI_EESE_iNS9_4plusIvEENS9_8equal_toIvEEiEE10hipError_tPvRmT2_T3_T4_T5_mT6_T7_P12ihipStream_tbENKUlT_T0_E_clISt17integral_constantIbLb1EES14_EEDaSZ_S10_EUlSZ_E_NS1_11comp_targetILNS1_3genE8ELNS1_11target_archE1030ELNS1_3gpuE2ELNS1_3repE0EEENS1_30default_config_static_selectorELNS0_4arch9wavefront6targetE0EEEvT1_,@function
_ZN7rocprim17ROCPRIM_400000_NS6detail17trampoline_kernelINS0_14default_configENS1_27scan_by_key_config_selectorIiiEEZZNS1_16scan_by_key_implILNS1_25lookback_scan_determinismE0ELb0ES3_N6thrust23THRUST_200600_302600_NS6detail15normal_iteratorINS9_10device_ptrIiEEEENS9_18transform_iteratorINS9_6negateIiEESE_NS9_11use_defaultESI_EESE_iNS9_4plusIvEENS9_8equal_toIvEEiEE10hipError_tPvRmT2_T3_T4_T5_mT6_T7_P12ihipStream_tbENKUlT_T0_E_clISt17integral_constantIbLb1EES14_EEDaSZ_S10_EUlSZ_E_NS1_11comp_targetILNS1_3genE8ELNS1_11target_archE1030ELNS1_3gpuE2ELNS1_3repE0EEENS1_30default_config_static_selectorELNS0_4arch9wavefront6targetE0EEEvT1_: ; @_ZN7rocprim17ROCPRIM_400000_NS6detail17trampoline_kernelINS0_14default_configENS1_27scan_by_key_config_selectorIiiEEZZNS1_16scan_by_key_implILNS1_25lookback_scan_determinismE0ELb0ES3_N6thrust23THRUST_200600_302600_NS6detail15normal_iteratorINS9_10device_ptrIiEEEENS9_18transform_iteratorINS9_6negateIiEESE_NS9_11use_defaultESI_EESE_iNS9_4plusIvEENS9_8equal_toIvEEiEE10hipError_tPvRmT2_T3_T4_T5_mT6_T7_P12ihipStream_tbENKUlT_T0_E_clISt17integral_constantIbLb1EES14_EEDaSZ_S10_EUlSZ_E_NS1_11comp_targetILNS1_3genE8ELNS1_11target_archE1030ELNS1_3gpuE2ELNS1_3repE0EEENS1_30default_config_static_selectorELNS0_4arch9wavefront6targetE0EEEvT1_
; %bb.0:
	s_endpgm
	.section	.rodata,"a",@progbits
	.p2align	6, 0x0
	.amdhsa_kernel _ZN7rocprim17ROCPRIM_400000_NS6detail17trampoline_kernelINS0_14default_configENS1_27scan_by_key_config_selectorIiiEEZZNS1_16scan_by_key_implILNS1_25lookback_scan_determinismE0ELb0ES3_N6thrust23THRUST_200600_302600_NS6detail15normal_iteratorINS9_10device_ptrIiEEEENS9_18transform_iteratorINS9_6negateIiEESE_NS9_11use_defaultESI_EESE_iNS9_4plusIvEENS9_8equal_toIvEEiEE10hipError_tPvRmT2_T3_T4_T5_mT6_T7_P12ihipStream_tbENKUlT_T0_E_clISt17integral_constantIbLb1EES14_EEDaSZ_S10_EUlSZ_E_NS1_11comp_targetILNS1_3genE8ELNS1_11target_archE1030ELNS1_3gpuE2ELNS1_3repE0EEENS1_30default_config_static_selectorELNS0_4arch9wavefront6targetE0EEEvT1_
		.amdhsa_group_segment_fixed_size 0
		.amdhsa_private_segment_fixed_size 0
		.amdhsa_kernarg_size 120
		.amdhsa_user_sgpr_count 6
		.amdhsa_user_sgpr_private_segment_buffer 1
		.amdhsa_user_sgpr_dispatch_ptr 0
		.amdhsa_user_sgpr_queue_ptr 0
		.amdhsa_user_sgpr_kernarg_segment_ptr 1
		.amdhsa_user_sgpr_dispatch_id 0
		.amdhsa_user_sgpr_flat_scratch_init 0
		.amdhsa_user_sgpr_private_segment_size 0
		.amdhsa_wavefront_size32 1
		.amdhsa_uses_dynamic_stack 0
		.amdhsa_system_sgpr_private_segment_wavefront_offset 0
		.amdhsa_system_sgpr_workgroup_id_x 1
		.amdhsa_system_sgpr_workgroup_id_y 0
		.amdhsa_system_sgpr_workgroup_id_z 0
		.amdhsa_system_sgpr_workgroup_info 0
		.amdhsa_system_vgpr_workitem_id 0
		.amdhsa_next_free_vgpr 1
		.amdhsa_next_free_sgpr 1
		.amdhsa_reserve_vcc 0
		.amdhsa_reserve_flat_scratch 0
		.amdhsa_float_round_mode_32 0
		.amdhsa_float_round_mode_16_64 0
		.amdhsa_float_denorm_mode_32 3
		.amdhsa_float_denorm_mode_16_64 3
		.amdhsa_dx10_clamp 1
		.amdhsa_ieee_mode 1
		.amdhsa_fp16_overflow 0
		.amdhsa_workgroup_processor_mode 1
		.amdhsa_memory_ordered 1
		.amdhsa_forward_progress 1
		.amdhsa_shared_vgpr_count 0
		.amdhsa_exception_fp_ieee_invalid_op 0
		.amdhsa_exception_fp_denorm_src 0
		.amdhsa_exception_fp_ieee_div_zero 0
		.amdhsa_exception_fp_ieee_overflow 0
		.amdhsa_exception_fp_ieee_underflow 0
		.amdhsa_exception_fp_ieee_inexact 0
		.amdhsa_exception_int_div_zero 0
	.end_amdhsa_kernel
	.section	.text._ZN7rocprim17ROCPRIM_400000_NS6detail17trampoline_kernelINS0_14default_configENS1_27scan_by_key_config_selectorIiiEEZZNS1_16scan_by_key_implILNS1_25lookback_scan_determinismE0ELb0ES3_N6thrust23THRUST_200600_302600_NS6detail15normal_iteratorINS9_10device_ptrIiEEEENS9_18transform_iteratorINS9_6negateIiEESE_NS9_11use_defaultESI_EESE_iNS9_4plusIvEENS9_8equal_toIvEEiEE10hipError_tPvRmT2_T3_T4_T5_mT6_T7_P12ihipStream_tbENKUlT_T0_E_clISt17integral_constantIbLb1EES14_EEDaSZ_S10_EUlSZ_E_NS1_11comp_targetILNS1_3genE8ELNS1_11target_archE1030ELNS1_3gpuE2ELNS1_3repE0EEENS1_30default_config_static_selectorELNS0_4arch9wavefront6targetE0EEEvT1_,"axG",@progbits,_ZN7rocprim17ROCPRIM_400000_NS6detail17trampoline_kernelINS0_14default_configENS1_27scan_by_key_config_selectorIiiEEZZNS1_16scan_by_key_implILNS1_25lookback_scan_determinismE0ELb0ES3_N6thrust23THRUST_200600_302600_NS6detail15normal_iteratorINS9_10device_ptrIiEEEENS9_18transform_iteratorINS9_6negateIiEESE_NS9_11use_defaultESI_EESE_iNS9_4plusIvEENS9_8equal_toIvEEiEE10hipError_tPvRmT2_T3_T4_T5_mT6_T7_P12ihipStream_tbENKUlT_T0_E_clISt17integral_constantIbLb1EES14_EEDaSZ_S10_EUlSZ_E_NS1_11comp_targetILNS1_3genE8ELNS1_11target_archE1030ELNS1_3gpuE2ELNS1_3repE0EEENS1_30default_config_static_selectorELNS0_4arch9wavefront6targetE0EEEvT1_,comdat
.Lfunc_end946:
	.size	_ZN7rocprim17ROCPRIM_400000_NS6detail17trampoline_kernelINS0_14default_configENS1_27scan_by_key_config_selectorIiiEEZZNS1_16scan_by_key_implILNS1_25lookback_scan_determinismE0ELb0ES3_N6thrust23THRUST_200600_302600_NS6detail15normal_iteratorINS9_10device_ptrIiEEEENS9_18transform_iteratorINS9_6negateIiEESE_NS9_11use_defaultESI_EESE_iNS9_4plusIvEENS9_8equal_toIvEEiEE10hipError_tPvRmT2_T3_T4_T5_mT6_T7_P12ihipStream_tbENKUlT_T0_E_clISt17integral_constantIbLb1EES14_EEDaSZ_S10_EUlSZ_E_NS1_11comp_targetILNS1_3genE8ELNS1_11target_archE1030ELNS1_3gpuE2ELNS1_3repE0EEENS1_30default_config_static_selectorELNS0_4arch9wavefront6targetE0EEEvT1_, .Lfunc_end946-_ZN7rocprim17ROCPRIM_400000_NS6detail17trampoline_kernelINS0_14default_configENS1_27scan_by_key_config_selectorIiiEEZZNS1_16scan_by_key_implILNS1_25lookback_scan_determinismE0ELb0ES3_N6thrust23THRUST_200600_302600_NS6detail15normal_iteratorINS9_10device_ptrIiEEEENS9_18transform_iteratorINS9_6negateIiEESE_NS9_11use_defaultESI_EESE_iNS9_4plusIvEENS9_8equal_toIvEEiEE10hipError_tPvRmT2_T3_T4_T5_mT6_T7_P12ihipStream_tbENKUlT_T0_E_clISt17integral_constantIbLb1EES14_EEDaSZ_S10_EUlSZ_E_NS1_11comp_targetILNS1_3genE8ELNS1_11target_archE1030ELNS1_3gpuE2ELNS1_3repE0EEENS1_30default_config_static_selectorELNS0_4arch9wavefront6targetE0EEEvT1_
                                        ; -- End function
	.set _ZN7rocprim17ROCPRIM_400000_NS6detail17trampoline_kernelINS0_14default_configENS1_27scan_by_key_config_selectorIiiEEZZNS1_16scan_by_key_implILNS1_25lookback_scan_determinismE0ELb0ES3_N6thrust23THRUST_200600_302600_NS6detail15normal_iteratorINS9_10device_ptrIiEEEENS9_18transform_iteratorINS9_6negateIiEESE_NS9_11use_defaultESI_EESE_iNS9_4plusIvEENS9_8equal_toIvEEiEE10hipError_tPvRmT2_T3_T4_T5_mT6_T7_P12ihipStream_tbENKUlT_T0_E_clISt17integral_constantIbLb1EES14_EEDaSZ_S10_EUlSZ_E_NS1_11comp_targetILNS1_3genE8ELNS1_11target_archE1030ELNS1_3gpuE2ELNS1_3repE0EEENS1_30default_config_static_selectorELNS0_4arch9wavefront6targetE0EEEvT1_.num_vgpr, 0
	.set _ZN7rocprim17ROCPRIM_400000_NS6detail17trampoline_kernelINS0_14default_configENS1_27scan_by_key_config_selectorIiiEEZZNS1_16scan_by_key_implILNS1_25lookback_scan_determinismE0ELb0ES3_N6thrust23THRUST_200600_302600_NS6detail15normal_iteratorINS9_10device_ptrIiEEEENS9_18transform_iteratorINS9_6negateIiEESE_NS9_11use_defaultESI_EESE_iNS9_4plusIvEENS9_8equal_toIvEEiEE10hipError_tPvRmT2_T3_T4_T5_mT6_T7_P12ihipStream_tbENKUlT_T0_E_clISt17integral_constantIbLb1EES14_EEDaSZ_S10_EUlSZ_E_NS1_11comp_targetILNS1_3genE8ELNS1_11target_archE1030ELNS1_3gpuE2ELNS1_3repE0EEENS1_30default_config_static_selectorELNS0_4arch9wavefront6targetE0EEEvT1_.num_agpr, 0
	.set _ZN7rocprim17ROCPRIM_400000_NS6detail17trampoline_kernelINS0_14default_configENS1_27scan_by_key_config_selectorIiiEEZZNS1_16scan_by_key_implILNS1_25lookback_scan_determinismE0ELb0ES3_N6thrust23THRUST_200600_302600_NS6detail15normal_iteratorINS9_10device_ptrIiEEEENS9_18transform_iteratorINS9_6negateIiEESE_NS9_11use_defaultESI_EESE_iNS9_4plusIvEENS9_8equal_toIvEEiEE10hipError_tPvRmT2_T3_T4_T5_mT6_T7_P12ihipStream_tbENKUlT_T0_E_clISt17integral_constantIbLb1EES14_EEDaSZ_S10_EUlSZ_E_NS1_11comp_targetILNS1_3genE8ELNS1_11target_archE1030ELNS1_3gpuE2ELNS1_3repE0EEENS1_30default_config_static_selectorELNS0_4arch9wavefront6targetE0EEEvT1_.numbered_sgpr, 0
	.set _ZN7rocprim17ROCPRIM_400000_NS6detail17trampoline_kernelINS0_14default_configENS1_27scan_by_key_config_selectorIiiEEZZNS1_16scan_by_key_implILNS1_25lookback_scan_determinismE0ELb0ES3_N6thrust23THRUST_200600_302600_NS6detail15normal_iteratorINS9_10device_ptrIiEEEENS9_18transform_iteratorINS9_6negateIiEESE_NS9_11use_defaultESI_EESE_iNS9_4plusIvEENS9_8equal_toIvEEiEE10hipError_tPvRmT2_T3_T4_T5_mT6_T7_P12ihipStream_tbENKUlT_T0_E_clISt17integral_constantIbLb1EES14_EEDaSZ_S10_EUlSZ_E_NS1_11comp_targetILNS1_3genE8ELNS1_11target_archE1030ELNS1_3gpuE2ELNS1_3repE0EEENS1_30default_config_static_selectorELNS0_4arch9wavefront6targetE0EEEvT1_.num_named_barrier, 0
	.set _ZN7rocprim17ROCPRIM_400000_NS6detail17trampoline_kernelINS0_14default_configENS1_27scan_by_key_config_selectorIiiEEZZNS1_16scan_by_key_implILNS1_25lookback_scan_determinismE0ELb0ES3_N6thrust23THRUST_200600_302600_NS6detail15normal_iteratorINS9_10device_ptrIiEEEENS9_18transform_iteratorINS9_6negateIiEESE_NS9_11use_defaultESI_EESE_iNS9_4plusIvEENS9_8equal_toIvEEiEE10hipError_tPvRmT2_T3_T4_T5_mT6_T7_P12ihipStream_tbENKUlT_T0_E_clISt17integral_constantIbLb1EES14_EEDaSZ_S10_EUlSZ_E_NS1_11comp_targetILNS1_3genE8ELNS1_11target_archE1030ELNS1_3gpuE2ELNS1_3repE0EEENS1_30default_config_static_selectorELNS0_4arch9wavefront6targetE0EEEvT1_.private_seg_size, 0
	.set _ZN7rocprim17ROCPRIM_400000_NS6detail17trampoline_kernelINS0_14default_configENS1_27scan_by_key_config_selectorIiiEEZZNS1_16scan_by_key_implILNS1_25lookback_scan_determinismE0ELb0ES3_N6thrust23THRUST_200600_302600_NS6detail15normal_iteratorINS9_10device_ptrIiEEEENS9_18transform_iteratorINS9_6negateIiEESE_NS9_11use_defaultESI_EESE_iNS9_4plusIvEENS9_8equal_toIvEEiEE10hipError_tPvRmT2_T3_T4_T5_mT6_T7_P12ihipStream_tbENKUlT_T0_E_clISt17integral_constantIbLb1EES14_EEDaSZ_S10_EUlSZ_E_NS1_11comp_targetILNS1_3genE8ELNS1_11target_archE1030ELNS1_3gpuE2ELNS1_3repE0EEENS1_30default_config_static_selectorELNS0_4arch9wavefront6targetE0EEEvT1_.uses_vcc, 0
	.set _ZN7rocprim17ROCPRIM_400000_NS6detail17trampoline_kernelINS0_14default_configENS1_27scan_by_key_config_selectorIiiEEZZNS1_16scan_by_key_implILNS1_25lookback_scan_determinismE0ELb0ES3_N6thrust23THRUST_200600_302600_NS6detail15normal_iteratorINS9_10device_ptrIiEEEENS9_18transform_iteratorINS9_6negateIiEESE_NS9_11use_defaultESI_EESE_iNS9_4plusIvEENS9_8equal_toIvEEiEE10hipError_tPvRmT2_T3_T4_T5_mT6_T7_P12ihipStream_tbENKUlT_T0_E_clISt17integral_constantIbLb1EES14_EEDaSZ_S10_EUlSZ_E_NS1_11comp_targetILNS1_3genE8ELNS1_11target_archE1030ELNS1_3gpuE2ELNS1_3repE0EEENS1_30default_config_static_selectorELNS0_4arch9wavefront6targetE0EEEvT1_.uses_flat_scratch, 0
	.set _ZN7rocprim17ROCPRIM_400000_NS6detail17trampoline_kernelINS0_14default_configENS1_27scan_by_key_config_selectorIiiEEZZNS1_16scan_by_key_implILNS1_25lookback_scan_determinismE0ELb0ES3_N6thrust23THRUST_200600_302600_NS6detail15normal_iteratorINS9_10device_ptrIiEEEENS9_18transform_iteratorINS9_6negateIiEESE_NS9_11use_defaultESI_EESE_iNS9_4plusIvEENS9_8equal_toIvEEiEE10hipError_tPvRmT2_T3_T4_T5_mT6_T7_P12ihipStream_tbENKUlT_T0_E_clISt17integral_constantIbLb1EES14_EEDaSZ_S10_EUlSZ_E_NS1_11comp_targetILNS1_3genE8ELNS1_11target_archE1030ELNS1_3gpuE2ELNS1_3repE0EEENS1_30default_config_static_selectorELNS0_4arch9wavefront6targetE0EEEvT1_.has_dyn_sized_stack, 0
	.set _ZN7rocprim17ROCPRIM_400000_NS6detail17trampoline_kernelINS0_14default_configENS1_27scan_by_key_config_selectorIiiEEZZNS1_16scan_by_key_implILNS1_25lookback_scan_determinismE0ELb0ES3_N6thrust23THRUST_200600_302600_NS6detail15normal_iteratorINS9_10device_ptrIiEEEENS9_18transform_iteratorINS9_6negateIiEESE_NS9_11use_defaultESI_EESE_iNS9_4plusIvEENS9_8equal_toIvEEiEE10hipError_tPvRmT2_T3_T4_T5_mT6_T7_P12ihipStream_tbENKUlT_T0_E_clISt17integral_constantIbLb1EES14_EEDaSZ_S10_EUlSZ_E_NS1_11comp_targetILNS1_3genE8ELNS1_11target_archE1030ELNS1_3gpuE2ELNS1_3repE0EEENS1_30default_config_static_selectorELNS0_4arch9wavefront6targetE0EEEvT1_.has_recursion, 0
	.set _ZN7rocprim17ROCPRIM_400000_NS6detail17trampoline_kernelINS0_14default_configENS1_27scan_by_key_config_selectorIiiEEZZNS1_16scan_by_key_implILNS1_25lookback_scan_determinismE0ELb0ES3_N6thrust23THRUST_200600_302600_NS6detail15normal_iteratorINS9_10device_ptrIiEEEENS9_18transform_iteratorINS9_6negateIiEESE_NS9_11use_defaultESI_EESE_iNS9_4plusIvEENS9_8equal_toIvEEiEE10hipError_tPvRmT2_T3_T4_T5_mT6_T7_P12ihipStream_tbENKUlT_T0_E_clISt17integral_constantIbLb1EES14_EEDaSZ_S10_EUlSZ_E_NS1_11comp_targetILNS1_3genE8ELNS1_11target_archE1030ELNS1_3gpuE2ELNS1_3repE0EEENS1_30default_config_static_selectorELNS0_4arch9wavefront6targetE0EEEvT1_.has_indirect_call, 0
	.section	.AMDGPU.csdata,"",@progbits
; Kernel info:
; codeLenInByte = 4
; TotalNumSgprs: 0
; NumVgprs: 0
; ScratchSize: 0
; MemoryBound: 0
; FloatMode: 240
; IeeeMode: 1
; LDSByteSize: 0 bytes/workgroup (compile time only)
; SGPRBlocks: 0
; VGPRBlocks: 0
; NumSGPRsForWavesPerEU: 1
; NumVGPRsForWavesPerEU: 1
; Occupancy: 16
; WaveLimiterHint : 0
; COMPUTE_PGM_RSRC2:SCRATCH_EN: 0
; COMPUTE_PGM_RSRC2:USER_SGPR: 6
; COMPUTE_PGM_RSRC2:TRAP_HANDLER: 0
; COMPUTE_PGM_RSRC2:TGID_X_EN: 1
; COMPUTE_PGM_RSRC2:TGID_Y_EN: 0
; COMPUTE_PGM_RSRC2:TGID_Z_EN: 0
; COMPUTE_PGM_RSRC2:TIDIG_COMP_CNT: 0
	.section	.text._ZN7rocprim17ROCPRIM_400000_NS6detail17trampoline_kernelINS0_14default_configENS1_27scan_by_key_config_selectorIiiEEZZNS1_16scan_by_key_implILNS1_25lookback_scan_determinismE0ELb0ES3_N6thrust23THRUST_200600_302600_NS6detail15normal_iteratorINS9_10device_ptrIiEEEENS9_18transform_iteratorINS9_6negateIiEESE_NS9_11use_defaultESI_EESE_iNS9_4plusIvEENS9_8equal_toIvEEiEE10hipError_tPvRmT2_T3_T4_T5_mT6_T7_P12ihipStream_tbENKUlT_T0_E_clISt17integral_constantIbLb1EES13_IbLb0EEEEDaSZ_S10_EUlSZ_E_NS1_11comp_targetILNS1_3genE0ELNS1_11target_archE4294967295ELNS1_3gpuE0ELNS1_3repE0EEENS1_30default_config_static_selectorELNS0_4arch9wavefront6targetE0EEEvT1_,"axG",@progbits,_ZN7rocprim17ROCPRIM_400000_NS6detail17trampoline_kernelINS0_14default_configENS1_27scan_by_key_config_selectorIiiEEZZNS1_16scan_by_key_implILNS1_25lookback_scan_determinismE0ELb0ES3_N6thrust23THRUST_200600_302600_NS6detail15normal_iteratorINS9_10device_ptrIiEEEENS9_18transform_iteratorINS9_6negateIiEESE_NS9_11use_defaultESI_EESE_iNS9_4plusIvEENS9_8equal_toIvEEiEE10hipError_tPvRmT2_T3_T4_T5_mT6_T7_P12ihipStream_tbENKUlT_T0_E_clISt17integral_constantIbLb1EES13_IbLb0EEEEDaSZ_S10_EUlSZ_E_NS1_11comp_targetILNS1_3genE0ELNS1_11target_archE4294967295ELNS1_3gpuE0ELNS1_3repE0EEENS1_30default_config_static_selectorELNS0_4arch9wavefront6targetE0EEEvT1_,comdat
	.protected	_ZN7rocprim17ROCPRIM_400000_NS6detail17trampoline_kernelINS0_14default_configENS1_27scan_by_key_config_selectorIiiEEZZNS1_16scan_by_key_implILNS1_25lookback_scan_determinismE0ELb0ES3_N6thrust23THRUST_200600_302600_NS6detail15normal_iteratorINS9_10device_ptrIiEEEENS9_18transform_iteratorINS9_6negateIiEESE_NS9_11use_defaultESI_EESE_iNS9_4plusIvEENS9_8equal_toIvEEiEE10hipError_tPvRmT2_T3_T4_T5_mT6_T7_P12ihipStream_tbENKUlT_T0_E_clISt17integral_constantIbLb1EES13_IbLb0EEEEDaSZ_S10_EUlSZ_E_NS1_11comp_targetILNS1_3genE0ELNS1_11target_archE4294967295ELNS1_3gpuE0ELNS1_3repE0EEENS1_30default_config_static_selectorELNS0_4arch9wavefront6targetE0EEEvT1_ ; -- Begin function _ZN7rocprim17ROCPRIM_400000_NS6detail17trampoline_kernelINS0_14default_configENS1_27scan_by_key_config_selectorIiiEEZZNS1_16scan_by_key_implILNS1_25lookback_scan_determinismE0ELb0ES3_N6thrust23THRUST_200600_302600_NS6detail15normal_iteratorINS9_10device_ptrIiEEEENS9_18transform_iteratorINS9_6negateIiEESE_NS9_11use_defaultESI_EESE_iNS9_4plusIvEENS9_8equal_toIvEEiEE10hipError_tPvRmT2_T3_T4_T5_mT6_T7_P12ihipStream_tbENKUlT_T0_E_clISt17integral_constantIbLb1EES13_IbLb0EEEEDaSZ_S10_EUlSZ_E_NS1_11comp_targetILNS1_3genE0ELNS1_11target_archE4294967295ELNS1_3gpuE0ELNS1_3repE0EEENS1_30default_config_static_selectorELNS0_4arch9wavefront6targetE0EEEvT1_
	.globl	_ZN7rocprim17ROCPRIM_400000_NS6detail17trampoline_kernelINS0_14default_configENS1_27scan_by_key_config_selectorIiiEEZZNS1_16scan_by_key_implILNS1_25lookback_scan_determinismE0ELb0ES3_N6thrust23THRUST_200600_302600_NS6detail15normal_iteratorINS9_10device_ptrIiEEEENS9_18transform_iteratorINS9_6negateIiEESE_NS9_11use_defaultESI_EESE_iNS9_4plusIvEENS9_8equal_toIvEEiEE10hipError_tPvRmT2_T3_T4_T5_mT6_T7_P12ihipStream_tbENKUlT_T0_E_clISt17integral_constantIbLb1EES13_IbLb0EEEEDaSZ_S10_EUlSZ_E_NS1_11comp_targetILNS1_3genE0ELNS1_11target_archE4294967295ELNS1_3gpuE0ELNS1_3repE0EEENS1_30default_config_static_selectorELNS0_4arch9wavefront6targetE0EEEvT1_
	.p2align	8
	.type	_ZN7rocprim17ROCPRIM_400000_NS6detail17trampoline_kernelINS0_14default_configENS1_27scan_by_key_config_selectorIiiEEZZNS1_16scan_by_key_implILNS1_25lookback_scan_determinismE0ELb0ES3_N6thrust23THRUST_200600_302600_NS6detail15normal_iteratorINS9_10device_ptrIiEEEENS9_18transform_iteratorINS9_6negateIiEESE_NS9_11use_defaultESI_EESE_iNS9_4plusIvEENS9_8equal_toIvEEiEE10hipError_tPvRmT2_T3_T4_T5_mT6_T7_P12ihipStream_tbENKUlT_T0_E_clISt17integral_constantIbLb1EES13_IbLb0EEEEDaSZ_S10_EUlSZ_E_NS1_11comp_targetILNS1_3genE0ELNS1_11target_archE4294967295ELNS1_3gpuE0ELNS1_3repE0EEENS1_30default_config_static_selectorELNS0_4arch9wavefront6targetE0EEEvT1_,@function
_ZN7rocprim17ROCPRIM_400000_NS6detail17trampoline_kernelINS0_14default_configENS1_27scan_by_key_config_selectorIiiEEZZNS1_16scan_by_key_implILNS1_25lookback_scan_determinismE0ELb0ES3_N6thrust23THRUST_200600_302600_NS6detail15normal_iteratorINS9_10device_ptrIiEEEENS9_18transform_iteratorINS9_6negateIiEESE_NS9_11use_defaultESI_EESE_iNS9_4plusIvEENS9_8equal_toIvEEiEE10hipError_tPvRmT2_T3_T4_T5_mT6_T7_P12ihipStream_tbENKUlT_T0_E_clISt17integral_constantIbLb1EES13_IbLb0EEEEDaSZ_S10_EUlSZ_E_NS1_11comp_targetILNS1_3genE0ELNS1_11target_archE4294967295ELNS1_3gpuE0ELNS1_3repE0EEENS1_30default_config_static_selectorELNS0_4arch9wavefront6targetE0EEEvT1_: ; @_ZN7rocprim17ROCPRIM_400000_NS6detail17trampoline_kernelINS0_14default_configENS1_27scan_by_key_config_selectorIiiEEZZNS1_16scan_by_key_implILNS1_25lookback_scan_determinismE0ELb0ES3_N6thrust23THRUST_200600_302600_NS6detail15normal_iteratorINS9_10device_ptrIiEEEENS9_18transform_iteratorINS9_6negateIiEESE_NS9_11use_defaultESI_EESE_iNS9_4plusIvEENS9_8equal_toIvEEiEE10hipError_tPvRmT2_T3_T4_T5_mT6_T7_P12ihipStream_tbENKUlT_T0_E_clISt17integral_constantIbLb1EES13_IbLb0EEEEDaSZ_S10_EUlSZ_E_NS1_11comp_targetILNS1_3genE0ELNS1_11target_archE4294967295ELNS1_3gpuE0ELNS1_3repE0EEENS1_30default_config_static_selectorELNS0_4arch9wavefront6targetE0EEEvT1_
; %bb.0:
	.section	.rodata,"a",@progbits
	.p2align	6, 0x0
	.amdhsa_kernel _ZN7rocprim17ROCPRIM_400000_NS6detail17trampoline_kernelINS0_14default_configENS1_27scan_by_key_config_selectorIiiEEZZNS1_16scan_by_key_implILNS1_25lookback_scan_determinismE0ELb0ES3_N6thrust23THRUST_200600_302600_NS6detail15normal_iteratorINS9_10device_ptrIiEEEENS9_18transform_iteratorINS9_6negateIiEESE_NS9_11use_defaultESI_EESE_iNS9_4plusIvEENS9_8equal_toIvEEiEE10hipError_tPvRmT2_T3_T4_T5_mT6_T7_P12ihipStream_tbENKUlT_T0_E_clISt17integral_constantIbLb1EES13_IbLb0EEEEDaSZ_S10_EUlSZ_E_NS1_11comp_targetILNS1_3genE0ELNS1_11target_archE4294967295ELNS1_3gpuE0ELNS1_3repE0EEENS1_30default_config_static_selectorELNS0_4arch9wavefront6targetE0EEEvT1_
		.amdhsa_group_segment_fixed_size 0
		.amdhsa_private_segment_fixed_size 0
		.amdhsa_kernarg_size 120
		.amdhsa_user_sgpr_count 6
		.amdhsa_user_sgpr_private_segment_buffer 1
		.amdhsa_user_sgpr_dispatch_ptr 0
		.amdhsa_user_sgpr_queue_ptr 0
		.amdhsa_user_sgpr_kernarg_segment_ptr 1
		.amdhsa_user_sgpr_dispatch_id 0
		.amdhsa_user_sgpr_flat_scratch_init 0
		.amdhsa_user_sgpr_private_segment_size 0
		.amdhsa_wavefront_size32 1
		.amdhsa_uses_dynamic_stack 0
		.amdhsa_system_sgpr_private_segment_wavefront_offset 0
		.amdhsa_system_sgpr_workgroup_id_x 1
		.amdhsa_system_sgpr_workgroup_id_y 0
		.amdhsa_system_sgpr_workgroup_id_z 0
		.amdhsa_system_sgpr_workgroup_info 0
		.amdhsa_system_vgpr_workitem_id 0
		.amdhsa_next_free_vgpr 1
		.amdhsa_next_free_sgpr 1
		.amdhsa_reserve_vcc 0
		.amdhsa_reserve_flat_scratch 0
		.amdhsa_float_round_mode_32 0
		.amdhsa_float_round_mode_16_64 0
		.amdhsa_float_denorm_mode_32 3
		.amdhsa_float_denorm_mode_16_64 3
		.amdhsa_dx10_clamp 1
		.amdhsa_ieee_mode 1
		.amdhsa_fp16_overflow 0
		.amdhsa_workgroup_processor_mode 1
		.amdhsa_memory_ordered 1
		.amdhsa_forward_progress 1
		.amdhsa_shared_vgpr_count 0
		.amdhsa_exception_fp_ieee_invalid_op 0
		.amdhsa_exception_fp_denorm_src 0
		.amdhsa_exception_fp_ieee_div_zero 0
		.amdhsa_exception_fp_ieee_overflow 0
		.amdhsa_exception_fp_ieee_underflow 0
		.amdhsa_exception_fp_ieee_inexact 0
		.amdhsa_exception_int_div_zero 0
	.end_amdhsa_kernel
	.section	.text._ZN7rocprim17ROCPRIM_400000_NS6detail17trampoline_kernelINS0_14default_configENS1_27scan_by_key_config_selectorIiiEEZZNS1_16scan_by_key_implILNS1_25lookback_scan_determinismE0ELb0ES3_N6thrust23THRUST_200600_302600_NS6detail15normal_iteratorINS9_10device_ptrIiEEEENS9_18transform_iteratorINS9_6negateIiEESE_NS9_11use_defaultESI_EESE_iNS9_4plusIvEENS9_8equal_toIvEEiEE10hipError_tPvRmT2_T3_T4_T5_mT6_T7_P12ihipStream_tbENKUlT_T0_E_clISt17integral_constantIbLb1EES13_IbLb0EEEEDaSZ_S10_EUlSZ_E_NS1_11comp_targetILNS1_3genE0ELNS1_11target_archE4294967295ELNS1_3gpuE0ELNS1_3repE0EEENS1_30default_config_static_selectorELNS0_4arch9wavefront6targetE0EEEvT1_,"axG",@progbits,_ZN7rocprim17ROCPRIM_400000_NS6detail17trampoline_kernelINS0_14default_configENS1_27scan_by_key_config_selectorIiiEEZZNS1_16scan_by_key_implILNS1_25lookback_scan_determinismE0ELb0ES3_N6thrust23THRUST_200600_302600_NS6detail15normal_iteratorINS9_10device_ptrIiEEEENS9_18transform_iteratorINS9_6negateIiEESE_NS9_11use_defaultESI_EESE_iNS9_4plusIvEENS9_8equal_toIvEEiEE10hipError_tPvRmT2_T3_T4_T5_mT6_T7_P12ihipStream_tbENKUlT_T0_E_clISt17integral_constantIbLb1EES13_IbLb0EEEEDaSZ_S10_EUlSZ_E_NS1_11comp_targetILNS1_3genE0ELNS1_11target_archE4294967295ELNS1_3gpuE0ELNS1_3repE0EEENS1_30default_config_static_selectorELNS0_4arch9wavefront6targetE0EEEvT1_,comdat
.Lfunc_end947:
	.size	_ZN7rocprim17ROCPRIM_400000_NS6detail17trampoline_kernelINS0_14default_configENS1_27scan_by_key_config_selectorIiiEEZZNS1_16scan_by_key_implILNS1_25lookback_scan_determinismE0ELb0ES3_N6thrust23THRUST_200600_302600_NS6detail15normal_iteratorINS9_10device_ptrIiEEEENS9_18transform_iteratorINS9_6negateIiEESE_NS9_11use_defaultESI_EESE_iNS9_4plusIvEENS9_8equal_toIvEEiEE10hipError_tPvRmT2_T3_T4_T5_mT6_T7_P12ihipStream_tbENKUlT_T0_E_clISt17integral_constantIbLb1EES13_IbLb0EEEEDaSZ_S10_EUlSZ_E_NS1_11comp_targetILNS1_3genE0ELNS1_11target_archE4294967295ELNS1_3gpuE0ELNS1_3repE0EEENS1_30default_config_static_selectorELNS0_4arch9wavefront6targetE0EEEvT1_, .Lfunc_end947-_ZN7rocprim17ROCPRIM_400000_NS6detail17trampoline_kernelINS0_14default_configENS1_27scan_by_key_config_selectorIiiEEZZNS1_16scan_by_key_implILNS1_25lookback_scan_determinismE0ELb0ES3_N6thrust23THRUST_200600_302600_NS6detail15normal_iteratorINS9_10device_ptrIiEEEENS9_18transform_iteratorINS9_6negateIiEESE_NS9_11use_defaultESI_EESE_iNS9_4plusIvEENS9_8equal_toIvEEiEE10hipError_tPvRmT2_T3_T4_T5_mT6_T7_P12ihipStream_tbENKUlT_T0_E_clISt17integral_constantIbLb1EES13_IbLb0EEEEDaSZ_S10_EUlSZ_E_NS1_11comp_targetILNS1_3genE0ELNS1_11target_archE4294967295ELNS1_3gpuE0ELNS1_3repE0EEENS1_30default_config_static_selectorELNS0_4arch9wavefront6targetE0EEEvT1_
                                        ; -- End function
	.set _ZN7rocprim17ROCPRIM_400000_NS6detail17trampoline_kernelINS0_14default_configENS1_27scan_by_key_config_selectorIiiEEZZNS1_16scan_by_key_implILNS1_25lookback_scan_determinismE0ELb0ES3_N6thrust23THRUST_200600_302600_NS6detail15normal_iteratorINS9_10device_ptrIiEEEENS9_18transform_iteratorINS9_6negateIiEESE_NS9_11use_defaultESI_EESE_iNS9_4plusIvEENS9_8equal_toIvEEiEE10hipError_tPvRmT2_T3_T4_T5_mT6_T7_P12ihipStream_tbENKUlT_T0_E_clISt17integral_constantIbLb1EES13_IbLb0EEEEDaSZ_S10_EUlSZ_E_NS1_11comp_targetILNS1_3genE0ELNS1_11target_archE4294967295ELNS1_3gpuE0ELNS1_3repE0EEENS1_30default_config_static_selectorELNS0_4arch9wavefront6targetE0EEEvT1_.num_vgpr, 0
	.set _ZN7rocprim17ROCPRIM_400000_NS6detail17trampoline_kernelINS0_14default_configENS1_27scan_by_key_config_selectorIiiEEZZNS1_16scan_by_key_implILNS1_25lookback_scan_determinismE0ELb0ES3_N6thrust23THRUST_200600_302600_NS6detail15normal_iteratorINS9_10device_ptrIiEEEENS9_18transform_iteratorINS9_6negateIiEESE_NS9_11use_defaultESI_EESE_iNS9_4plusIvEENS9_8equal_toIvEEiEE10hipError_tPvRmT2_T3_T4_T5_mT6_T7_P12ihipStream_tbENKUlT_T0_E_clISt17integral_constantIbLb1EES13_IbLb0EEEEDaSZ_S10_EUlSZ_E_NS1_11comp_targetILNS1_3genE0ELNS1_11target_archE4294967295ELNS1_3gpuE0ELNS1_3repE0EEENS1_30default_config_static_selectorELNS0_4arch9wavefront6targetE0EEEvT1_.num_agpr, 0
	.set _ZN7rocprim17ROCPRIM_400000_NS6detail17trampoline_kernelINS0_14default_configENS1_27scan_by_key_config_selectorIiiEEZZNS1_16scan_by_key_implILNS1_25lookback_scan_determinismE0ELb0ES3_N6thrust23THRUST_200600_302600_NS6detail15normal_iteratorINS9_10device_ptrIiEEEENS9_18transform_iteratorINS9_6negateIiEESE_NS9_11use_defaultESI_EESE_iNS9_4plusIvEENS9_8equal_toIvEEiEE10hipError_tPvRmT2_T3_T4_T5_mT6_T7_P12ihipStream_tbENKUlT_T0_E_clISt17integral_constantIbLb1EES13_IbLb0EEEEDaSZ_S10_EUlSZ_E_NS1_11comp_targetILNS1_3genE0ELNS1_11target_archE4294967295ELNS1_3gpuE0ELNS1_3repE0EEENS1_30default_config_static_selectorELNS0_4arch9wavefront6targetE0EEEvT1_.numbered_sgpr, 0
	.set _ZN7rocprim17ROCPRIM_400000_NS6detail17trampoline_kernelINS0_14default_configENS1_27scan_by_key_config_selectorIiiEEZZNS1_16scan_by_key_implILNS1_25lookback_scan_determinismE0ELb0ES3_N6thrust23THRUST_200600_302600_NS6detail15normal_iteratorINS9_10device_ptrIiEEEENS9_18transform_iteratorINS9_6negateIiEESE_NS9_11use_defaultESI_EESE_iNS9_4plusIvEENS9_8equal_toIvEEiEE10hipError_tPvRmT2_T3_T4_T5_mT6_T7_P12ihipStream_tbENKUlT_T0_E_clISt17integral_constantIbLb1EES13_IbLb0EEEEDaSZ_S10_EUlSZ_E_NS1_11comp_targetILNS1_3genE0ELNS1_11target_archE4294967295ELNS1_3gpuE0ELNS1_3repE0EEENS1_30default_config_static_selectorELNS0_4arch9wavefront6targetE0EEEvT1_.num_named_barrier, 0
	.set _ZN7rocprim17ROCPRIM_400000_NS6detail17trampoline_kernelINS0_14default_configENS1_27scan_by_key_config_selectorIiiEEZZNS1_16scan_by_key_implILNS1_25lookback_scan_determinismE0ELb0ES3_N6thrust23THRUST_200600_302600_NS6detail15normal_iteratorINS9_10device_ptrIiEEEENS9_18transform_iteratorINS9_6negateIiEESE_NS9_11use_defaultESI_EESE_iNS9_4plusIvEENS9_8equal_toIvEEiEE10hipError_tPvRmT2_T3_T4_T5_mT6_T7_P12ihipStream_tbENKUlT_T0_E_clISt17integral_constantIbLb1EES13_IbLb0EEEEDaSZ_S10_EUlSZ_E_NS1_11comp_targetILNS1_3genE0ELNS1_11target_archE4294967295ELNS1_3gpuE0ELNS1_3repE0EEENS1_30default_config_static_selectorELNS0_4arch9wavefront6targetE0EEEvT1_.private_seg_size, 0
	.set _ZN7rocprim17ROCPRIM_400000_NS6detail17trampoline_kernelINS0_14default_configENS1_27scan_by_key_config_selectorIiiEEZZNS1_16scan_by_key_implILNS1_25lookback_scan_determinismE0ELb0ES3_N6thrust23THRUST_200600_302600_NS6detail15normal_iteratorINS9_10device_ptrIiEEEENS9_18transform_iteratorINS9_6negateIiEESE_NS9_11use_defaultESI_EESE_iNS9_4plusIvEENS9_8equal_toIvEEiEE10hipError_tPvRmT2_T3_T4_T5_mT6_T7_P12ihipStream_tbENKUlT_T0_E_clISt17integral_constantIbLb1EES13_IbLb0EEEEDaSZ_S10_EUlSZ_E_NS1_11comp_targetILNS1_3genE0ELNS1_11target_archE4294967295ELNS1_3gpuE0ELNS1_3repE0EEENS1_30default_config_static_selectorELNS0_4arch9wavefront6targetE0EEEvT1_.uses_vcc, 0
	.set _ZN7rocprim17ROCPRIM_400000_NS6detail17trampoline_kernelINS0_14default_configENS1_27scan_by_key_config_selectorIiiEEZZNS1_16scan_by_key_implILNS1_25lookback_scan_determinismE0ELb0ES3_N6thrust23THRUST_200600_302600_NS6detail15normal_iteratorINS9_10device_ptrIiEEEENS9_18transform_iteratorINS9_6negateIiEESE_NS9_11use_defaultESI_EESE_iNS9_4plusIvEENS9_8equal_toIvEEiEE10hipError_tPvRmT2_T3_T4_T5_mT6_T7_P12ihipStream_tbENKUlT_T0_E_clISt17integral_constantIbLb1EES13_IbLb0EEEEDaSZ_S10_EUlSZ_E_NS1_11comp_targetILNS1_3genE0ELNS1_11target_archE4294967295ELNS1_3gpuE0ELNS1_3repE0EEENS1_30default_config_static_selectorELNS0_4arch9wavefront6targetE0EEEvT1_.uses_flat_scratch, 0
	.set _ZN7rocprim17ROCPRIM_400000_NS6detail17trampoline_kernelINS0_14default_configENS1_27scan_by_key_config_selectorIiiEEZZNS1_16scan_by_key_implILNS1_25lookback_scan_determinismE0ELb0ES3_N6thrust23THRUST_200600_302600_NS6detail15normal_iteratorINS9_10device_ptrIiEEEENS9_18transform_iteratorINS9_6negateIiEESE_NS9_11use_defaultESI_EESE_iNS9_4plusIvEENS9_8equal_toIvEEiEE10hipError_tPvRmT2_T3_T4_T5_mT6_T7_P12ihipStream_tbENKUlT_T0_E_clISt17integral_constantIbLb1EES13_IbLb0EEEEDaSZ_S10_EUlSZ_E_NS1_11comp_targetILNS1_3genE0ELNS1_11target_archE4294967295ELNS1_3gpuE0ELNS1_3repE0EEENS1_30default_config_static_selectorELNS0_4arch9wavefront6targetE0EEEvT1_.has_dyn_sized_stack, 0
	.set _ZN7rocprim17ROCPRIM_400000_NS6detail17trampoline_kernelINS0_14default_configENS1_27scan_by_key_config_selectorIiiEEZZNS1_16scan_by_key_implILNS1_25lookback_scan_determinismE0ELb0ES3_N6thrust23THRUST_200600_302600_NS6detail15normal_iteratorINS9_10device_ptrIiEEEENS9_18transform_iteratorINS9_6negateIiEESE_NS9_11use_defaultESI_EESE_iNS9_4plusIvEENS9_8equal_toIvEEiEE10hipError_tPvRmT2_T3_T4_T5_mT6_T7_P12ihipStream_tbENKUlT_T0_E_clISt17integral_constantIbLb1EES13_IbLb0EEEEDaSZ_S10_EUlSZ_E_NS1_11comp_targetILNS1_3genE0ELNS1_11target_archE4294967295ELNS1_3gpuE0ELNS1_3repE0EEENS1_30default_config_static_selectorELNS0_4arch9wavefront6targetE0EEEvT1_.has_recursion, 0
	.set _ZN7rocprim17ROCPRIM_400000_NS6detail17trampoline_kernelINS0_14default_configENS1_27scan_by_key_config_selectorIiiEEZZNS1_16scan_by_key_implILNS1_25lookback_scan_determinismE0ELb0ES3_N6thrust23THRUST_200600_302600_NS6detail15normal_iteratorINS9_10device_ptrIiEEEENS9_18transform_iteratorINS9_6negateIiEESE_NS9_11use_defaultESI_EESE_iNS9_4plusIvEENS9_8equal_toIvEEiEE10hipError_tPvRmT2_T3_T4_T5_mT6_T7_P12ihipStream_tbENKUlT_T0_E_clISt17integral_constantIbLb1EES13_IbLb0EEEEDaSZ_S10_EUlSZ_E_NS1_11comp_targetILNS1_3genE0ELNS1_11target_archE4294967295ELNS1_3gpuE0ELNS1_3repE0EEENS1_30default_config_static_selectorELNS0_4arch9wavefront6targetE0EEEvT1_.has_indirect_call, 0
	.section	.AMDGPU.csdata,"",@progbits
; Kernel info:
; codeLenInByte = 0
; TotalNumSgprs: 0
; NumVgprs: 0
; ScratchSize: 0
; MemoryBound: 0
; FloatMode: 240
; IeeeMode: 1
; LDSByteSize: 0 bytes/workgroup (compile time only)
; SGPRBlocks: 0
; VGPRBlocks: 0
; NumSGPRsForWavesPerEU: 1
; NumVGPRsForWavesPerEU: 1
; Occupancy: 16
; WaveLimiterHint : 0
; COMPUTE_PGM_RSRC2:SCRATCH_EN: 0
; COMPUTE_PGM_RSRC2:USER_SGPR: 6
; COMPUTE_PGM_RSRC2:TRAP_HANDLER: 0
; COMPUTE_PGM_RSRC2:TGID_X_EN: 1
; COMPUTE_PGM_RSRC2:TGID_Y_EN: 0
; COMPUTE_PGM_RSRC2:TGID_Z_EN: 0
; COMPUTE_PGM_RSRC2:TIDIG_COMP_CNT: 0
	.section	.text._ZN7rocprim17ROCPRIM_400000_NS6detail17trampoline_kernelINS0_14default_configENS1_27scan_by_key_config_selectorIiiEEZZNS1_16scan_by_key_implILNS1_25lookback_scan_determinismE0ELb0ES3_N6thrust23THRUST_200600_302600_NS6detail15normal_iteratorINS9_10device_ptrIiEEEENS9_18transform_iteratorINS9_6negateIiEESE_NS9_11use_defaultESI_EESE_iNS9_4plusIvEENS9_8equal_toIvEEiEE10hipError_tPvRmT2_T3_T4_T5_mT6_T7_P12ihipStream_tbENKUlT_T0_E_clISt17integral_constantIbLb1EES13_IbLb0EEEEDaSZ_S10_EUlSZ_E_NS1_11comp_targetILNS1_3genE10ELNS1_11target_archE1201ELNS1_3gpuE5ELNS1_3repE0EEENS1_30default_config_static_selectorELNS0_4arch9wavefront6targetE0EEEvT1_,"axG",@progbits,_ZN7rocprim17ROCPRIM_400000_NS6detail17trampoline_kernelINS0_14default_configENS1_27scan_by_key_config_selectorIiiEEZZNS1_16scan_by_key_implILNS1_25lookback_scan_determinismE0ELb0ES3_N6thrust23THRUST_200600_302600_NS6detail15normal_iteratorINS9_10device_ptrIiEEEENS9_18transform_iteratorINS9_6negateIiEESE_NS9_11use_defaultESI_EESE_iNS9_4plusIvEENS9_8equal_toIvEEiEE10hipError_tPvRmT2_T3_T4_T5_mT6_T7_P12ihipStream_tbENKUlT_T0_E_clISt17integral_constantIbLb1EES13_IbLb0EEEEDaSZ_S10_EUlSZ_E_NS1_11comp_targetILNS1_3genE10ELNS1_11target_archE1201ELNS1_3gpuE5ELNS1_3repE0EEENS1_30default_config_static_selectorELNS0_4arch9wavefront6targetE0EEEvT1_,comdat
	.protected	_ZN7rocprim17ROCPRIM_400000_NS6detail17trampoline_kernelINS0_14default_configENS1_27scan_by_key_config_selectorIiiEEZZNS1_16scan_by_key_implILNS1_25lookback_scan_determinismE0ELb0ES3_N6thrust23THRUST_200600_302600_NS6detail15normal_iteratorINS9_10device_ptrIiEEEENS9_18transform_iteratorINS9_6negateIiEESE_NS9_11use_defaultESI_EESE_iNS9_4plusIvEENS9_8equal_toIvEEiEE10hipError_tPvRmT2_T3_T4_T5_mT6_T7_P12ihipStream_tbENKUlT_T0_E_clISt17integral_constantIbLb1EES13_IbLb0EEEEDaSZ_S10_EUlSZ_E_NS1_11comp_targetILNS1_3genE10ELNS1_11target_archE1201ELNS1_3gpuE5ELNS1_3repE0EEENS1_30default_config_static_selectorELNS0_4arch9wavefront6targetE0EEEvT1_ ; -- Begin function _ZN7rocprim17ROCPRIM_400000_NS6detail17trampoline_kernelINS0_14default_configENS1_27scan_by_key_config_selectorIiiEEZZNS1_16scan_by_key_implILNS1_25lookback_scan_determinismE0ELb0ES3_N6thrust23THRUST_200600_302600_NS6detail15normal_iteratorINS9_10device_ptrIiEEEENS9_18transform_iteratorINS9_6negateIiEESE_NS9_11use_defaultESI_EESE_iNS9_4plusIvEENS9_8equal_toIvEEiEE10hipError_tPvRmT2_T3_T4_T5_mT6_T7_P12ihipStream_tbENKUlT_T0_E_clISt17integral_constantIbLb1EES13_IbLb0EEEEDaSZ_S10_EUlSZ_E_NS1_11comp_targetILNS1_3genE10ELNS1_11target_archE1201ELNS1_3gpuE5ELNS1_3repE0EEENS1_30default_config_static_selectorELNS0_4arch9wavefront6targetE0EEEvT1_
	.globl	_ZN7rocprim17ROCPRIM_400000_NS6detail17trampoline_kernelINS0_14default_configENS1_27scan_by_key_config_selectorIiiEEZZNS1_16scan_by_key_implILNS1_25lookback_scan_determinismE0ELb0ES3_N6thrust23THRUST_200600_302600_NS6detail15normal_iteratorINS9_10device_ptrIiEEEENS9_18transform_iteratorINS9_6negateIiEESE_NS9_11use_defaultESI_EESE_iNS9_4plusIvEENS9_8equal_toIvEEiEE10hipError_tPvRmT2_T3_T4_T5_mT6_T7_P12ihipStream_tbENKUlT_T0_E_clISt17integral_constantIbLb1EES13_IbLb0EEEEDaSZ_S10_EUlSZ_E_NS1_11comp_targetILNS1_3genE10ELNS1_11target_archE1201ELNS1_3gpuE5ELNS1_3repE0EEENS1_30default_config_static_selectorELNS0_4arch9wavefront6targetE0EEEvT1_
	.p2align	8
	.type	_ZN7rocprim17ROCPRIM_400000_NS6detail17trampoline_kernelINS0_14default_configENS1_27scan_by_key_config_selectorIiiEEZZNS1_16scan_by_key_implILNS1_25lookback_scan_determinismE0ELb0ES3_N6thrust23THRUST_200600_302600_NS6detail15normal_iteratorINS9_10device_ptrIiEEEENS9_18transform_iteratorINS9_6negateIiEESE_NS9_11use_defaultESI_EESE_iNS9_4plusIvEENS9_8equal_toIvEEiEE10hipError_tPvRmT2_T3_T4_T5_mT6_T7_P12ihipStream_tbENKUlT_T0_E_clISt17integral_constantIbLb1EES13_IbLb0EEEEDaSZ_S10_EUlSZ_E_NS1_11comp_targetILNS1_3genE10ELNS1_11target_archE1201ELNS1_3gpuE5ELNS1_3repE0EEENS1_30default_config_static_selectorELNS0_4arch9wavefront6targetE0EEEvT1_,@function
_ZN7rocprim17ROCPRIM_400000_NS6detail17trampoline_kernelINS0_14default_configENS1_27scan_by_key_config_selectorIiiEEZZNS1_16scan_by_key_implILNS1_25lookback_scan_determinismE0ELb0ES3_N6thrust23THRUST_200600_302600_NS6detail15normal_iteratorINS9_10device_ptrIiEEEENS9_18transform_iteratorINS9_6negateIiEESE_NS9_11use_defaultESI_EESE_iNS9_4plusIvEENS9_8equal_toIvEEiEE10hipError_tPvRmT2_T3_T4_T5_mT6_T7_P12ihipStream_tbENKUlT_T0_E_clISt17integral_constantIbLb1EES13_IbLb0EEEEDaSZ_S10_EUlSZ_E_NS1_11comp_targetILNS1_3genE10ELNS1_11target_archE1201ELNS1_3gpuE5ELNS1_3repE0EEENS1_30default_config_static_selectorELNS0_4arch9wavefront6targetE0EEEvT1_: ; @_ZN7rocprim17ROCPRIM_400000_NS6detail17trampoline_kernelINS0_14default_configENS1_27scan_by_key_config_selectorIiiEEZZNS1_16scan_by_key_implILNS1_25lookback_scan_determinismE0ELb0ES3_N6thrust23THRUST_200600_302600_NS6detail15normal_iteratorINS9_10device_ptrIiEEEENS9_18transform_iteratorINS9_6negateIiEESE_NS9_11use_defaultESI_EESE_iNS9_4plusIvEENS9_8equal_toIvEEiEE10hipError_tPvRmT2_T3_T4_T5_mT6_T7_P12ihipStream_tbENKUlT_T0_E_clISt17integral_constantIbLb1EES13_IbLb0EEEEDaSZ_S10_EUlSZ_E_NS1_11comp_targetILNS1_3genE10ELNS1_11target_archE1201ELNS1_3gpuE5ELNS1_3repE0EEENS1_30default_config_static_selectorELNS0_4arch9wavefront6targetE0EEEvT1_
; %bb.0:
	.section	.rodata,"a",@progbits
	.p2align	6, 0x0
	.amdhsa_kernel _ZN7rocprim17ROCPRIM_400000_NS6detail17trampoline_kernelINS0_14default_configENS1_27scan_by_key_config_selectorIiiEEZZNS1_16scan_by_key_implILNS1_25lookback_scan_determinismE0ELb0ES3_N6thrust23THRUST_200600_302600_NS6detail15normal_iteratorINS9_10device_ptrIiEEEENS9_18transform_iteratorINS9_6negateIiEESE_NS9_11use_defaultESI_EESE_iNS9_4plusIvEENS9_8equal_toIvEEiEE10hipError_tPvRmT2_T3_T4_T5_mT6_T7_P12ihipStream_tbENKUlT_T0_E_clISt17integral_constantIbLb1EES13_IbLb0EEEEDaSZ_S10_EUlSZ_E_NS1_11comp_targetILNS1_3genE10ELNS1_11target_archE1201ELNS1_3gpuE5ELNS1_3repE0EEENS1_30default_config_static_selectorELNS0_4arch9wavefront6targetE0EEEvT1_
		.amdhsa_group_segment_fixed_size 0
		.amdhsa_private_segment_fixed_size 0
		.amdhsa_kernarg_size 120
		.amdhsa_user_sgpr_count 6
		.amdhsa_user_sgpr_private_segment_buffer 1
		.amdhsa_user_sgpr_dispatch_ptr 0
		.amdhsa_user_sgpr_queue_ptr 0
		.amdhsa_user_sgpr_kernarg_segment_ptr 1
		.amdhsa_user_sgpr_dispatch_id 0
		.amdhsa_user_sgpr_flat_scratch_init 0
		.amdhsa_user_sgpr_private_segment_size 0
		.amdhsa_wavefront_size32 1
		.amdhsa_uses_dynamic_stack 0
		.amdhsa_system_sgpr_private_segment_wavefront_offset 0
		.amdhsa_system_sgpr_workgroup_id_x 1
		.amdhsa_system_sgpr_workgroup_id_y 0
		.amdhsa_system_sgpr_workgroup_id_z 0
		.amdhsa_system_sgpr_workgroup_info 0
		.amdhsa_system_vgpr_workitem_id 0
		.amdhsa_next_free_vgpr 1
		.amdhsa_next_free_sgpr 1
		.amdhsa_reserve_vcc 0
		.amdhsa_reserve_flat_scratch 0
		.amdhsa_float_round_mode_32 0
		.amdhsa_float_round_mode_16_64 0
		.amdhsa_float_denorm_mode_32 3
		.amdhsa_float_denorm_mode_16_64 3
		.amdhsa_dx10_clamp 1
		.amdhsa_ieee_mode 1
		.amdhsa_fp16_overflow 0
		.amdhsa_workgroup_processor_mode 1
		.amdhsa_memory_ordered 1
		.amdhsa_forward_progress 1
		.amdhsa_shared_vgpr_count 0
		.amdhsa_exception_fp_ieee_invalid_op 0
		.amdhsa_exception_fp_denorm_src 0
		.amdhsa_exception_fp_ieee_div_zero 0
		.amdhsa_exception_fp_ieee_overflow 0
		.amdhsa_exception_fp_ieee_underflow 0
		.amdhsa_exception_fp_ieee_inexact 0
		.amdhsa_exception_int_div_zero 0
	.end_amdhsa_kernel
	.section	.text._ZN7rocprim17ROCPRIM_400000_NS6detail17trampoline_kernelINS0_14default_configENS1_27scan_by_key_config_selectorIiiEEZZNS1_16scan_by_key_implILNS1_25lookback_scan_determinismE0ELb0ES3_N6thrust23THRUST_200600_302600_NS6detail15normal_iteratorINS9_10device_ptrIiEEEENS9_18transform_iteratorINS9_6negateIiEESE_NS9_11use_defaultESI_EESE_iNS9_4plusIvEENS9_8equal_toIvEEiEE10hipError_tPvRmT2_T3_T4_T5_mT6_T7_P12ihipStream_tbENKUlT_T0_E_clISt17integral_constantIbLb1EES13_IbLb0EEEEDaSZ_S10_EUlSZ_E_NS1_11comp_targetILNS1_3genE10ELNS1_11target_archE1201ELNS1_3gpuE5ELNS1_3repE0EEENS1_30default_config_static_selectorELNS0_4arch9wavefront6targetE0EEEvT1_,"axG",@progbits,_ZN7rocprim17ROCPRIM_400000_NS6detail17trampoline_kernelINS0_14default_configENS1_27scan_by_key_config_selectorIiiEEZZNS1_16scan_by_key_implILNS1_25lookback_scan_determinismE0ELb0ES3_N6thrust23THRUST_200600_302600_NS6detail15normal_iteratorINS9_10device_ptrIiEEEENS9_18transform_iteratorINS9_6negateIiEESE_NS9_11use_defaultESI_EESE_iNS9_4plusIvEENS9_8equal_toIvEEiEE10hipError_tPvRmT2_T3_T4_T5_mT6_T7_P12ihipStream_tbENKUlT_T0_E_clISt17integral_constantIbLb1EES13_IbLb0EEEEDaSZ_S10_EUlSZ_E_NS1_11comp_targetILNS1_3genE10ELNS1_11target_archE1201ELNS1_3gpuE5ELNS1_3repE0EEENS1_30default_config_static_selectorELNS0_4arch9wavefront6targetE0EEEvT1_,comdat
.Lfunc_end948:
	.size	_ZN7rocprim17ROCPRIM_400000_NS6detail17trampoline_kernelINS0_14default_configENS1_27scan_by_key_config_selectorIiiEEZZNS1_16scan_by_key_implILNS1_25lookback_scan_determinismE0ELb0ES3_N6thrust23THRUST_200600_302600_NS6detail15normal_iteratorINS9_10device_ptrIiEEEENS9_18transform_iteratorINS9_6negateIiEESE_NS9_11use_defaultESI_EESE_iNS9_4plusIvEENS9_8equal_toIvEEiEE10hipError_tPvRmT2_T3_T4_T5_mT6_T7_P12ihipStream_tbENKUlT_T0_E_clISt17integral_constantIbLb1EES13_IbLb0EEEEDaSZ_S10_EUlSZ_E_NS1_11comp_targetILNS1_3genE10ELNS1_11target_archE1201ELNS1_3gpuE5ELNS1_3repE0EEENS1_30default_config_static_selectorELNS0_4arch9wavefront6targetE0EEEvT1_, .Lfunc_end948-_ZN7rocprim17ROCPRIM_400000_NS6detail17trampoline_kernelINS0_14default_configENS1_27scan_by_key_config_selectorIiiEEZZNS1_16scan_by_key_implILNS1_25lookback_scan_determinismE0ELb0ES3_N6thrust23THRUST_200600_302600_NS6detail15normal_iteratorINS9_10device_ptrIiEEEENS9_18transform_iteratorINS9_6negateIiEESE_NS9_11use_defaultESI_EESE_iNS9_4plusIvEENS9_8equal_toIvEEiEE10hipError_tPvRmT2_T3_T4_T5_mT6_T7_P12ihipStream_tbENKUlT_T0_E_clISt17integral_constantIbLb1EES13_IbLb0EEEEDaSZ_S10_EUlSZ_E_NS1_11comp_targetILNS1_3genE10ELNS1_11target_archE1201ELNS1_3gpuE5ELNS1_3repE0EEENS1_30default_config_static_selectorELNS0_4arch9wavefront6targetE0EEEvT1_
                                        ; -- End function
	.set _ZN7rocprim17ROCPRIM_400000_NS6detail17trampoline_kernelINS0_14default_configENS1_27scan_by_key_config_selectorIiiEEZZNS1_16scan_by_key_implILNS1_25lookback_scan_determinismE0ELb0ES3_N6thrust23THRUST_200600_302600_NS6detail15normal_iteratorINS9_10device_ptrIiEEEENS9_18transform_iteratorINS9_6negateIiEESE_NS9_11use_defaultESI_EESE_iNS9_4plusIvEENS9_8equal_toIvEEiEE10hipError_tPvRmT2_T3_T4_T5_mT6_T7_P12ihipStream_tbENKUlT_T0_E_clISt17integral_constantIbLb1EES13_IbLb0EEEEDaSZ_S10_EUlSZ_E_NS1_11comp_targetILNS1_3genE10ELNS1_11target_archE1201ELNS1_3gpuE5ELNS1_3repE0EEENS1_30default_config_static_selectorELNS0_4arch9wavefront6targetE0EEEvT1_.num_vgpr, 0
	.set _ZN7rocprim17ROCPRIM_400000_NS6detail17trampoline_kernelINS0_14default_configENS1_27scan_by_key_config_selectorIiiEEZZNS1_16scan_by_key_implILNS1_25lookback_scan_determinismE0ELb0ES3_N6thrust23THRUST_200600_302600_NS6detail15normal_iteratorINS9_10device_ptrIiEEEENS9_18transform_iteratorINS9_6negateIiEESE_NS9_11use_defaultESI_EESE_iNS9_4plusIvEENS9_8equal_toIvEEiEE10hipError_tPvRmT2_T3_T4_T5_mT6_T7_P12ihipStream_tbENKUlT_T0_E_clISt17integral_constantIbLb1EES13_IbLb0EEEEDaSZ_S10_EUlSZ_E_NS1_11comp_targetILNS1_3genE10ELNS1_11target_archE1201ELNS1_3gpuE5ELNS1_3repE0EEENS1_30default_config_static_selectorELNS0_4arch9wavefront6targetE0EEEvT1_.num_agpr, 0
	.set _ZN7rocprim17ROCPRIM_400000_NS6detail17trampoline_kernelINS0_14default_configENS1_27scan_by_key_config_selectorIiiEEZZNS1_16scan_by_key_implILNS1_25lookback_scan_determinismE0ELb0ES3_N6thrust23THRUST_200600_302600_NS6detail15normal_iteratorINS9_10device_ptrIiEEEENS9_18transform_iteratorINS9_6negateIiEESE_NS9_11use_defaultESI_EESE_iNS9_4plusIvEENS9_8equal_toIvEEiEE10hipError_tPvRmT2_T3_T4_T5_mT6_T7_P12ihipStream_tbENKUlT_T0_E_clISt17integral_constantIbLb1EES13_IbLb0EEEEDaSZ_S10_EUlSZ_E_NS1_11comp_targetILNS1_3genE10ELNS1_11target_archE1201ELNS1_3gpuE5ELNS1_3repE0EEENS1_30default_config_static_selectorELNS0_4arch9wavefront6targetE0EEEvT1_.numbered_sgpr, 0
	.set _ZN7rocprim17ROCPRIM_400000_NS6detail17trampoline_kernelINS0_14default_configENS1_27scan_by_key_config_selectorIiiEEZZNS1_16scan_by_key_implILNS1_25lookback_scan_determinismE0ELb0ES3_N6thrust23THRUST_200600_302600_NS6detail15normal_iteratorINS9_10device_ptrIiEEEENS9_18transform_iteratorINS9_6negateIiEESE_NS9_11use_defaultESI_EESE_iNS9_4plusIvEENS9_8equal_toIvEEiEE10hipError_tPvRmT2_T3_T4_T5_mT6_T7_P12ihipStream_tbENKUlT_T0_E_clISt17integral_constantIbLb1EES13_IbLb0EEEEDaSZ_S10_EUlSZ_E_NS1_11comp_targetILNS1_3genE10ELNS1_11target_archE1201ELNS1_3gpuE5ELNS1_3repE0EEENS1_30default_config_static_selectorELNS0_4arch9wavefront6targetE0EEEvT1_.num_named_barrier, 0
	.set _ZN7rocprim17ROCPRIM_400000_NS6detail17trampoline_kernelINS0_14default_configENS1_27scan_by_key_config_selectorIiiEEZZNS1_16scan_by_key_implILNS1_25lookback_scan_determinismE0ELb0ES3_N6thrust23THRUST_200600_302600_NS6detail15normal_iteratorINS9_10device_ptrIiEEEENS9_18transform_iteratorINS9_6negateIiEESE_NS9_11use_defaultESI_EESE_iNS9_4plusIvEENS9_8equal_toIvEEiEE10hipError_tPvRmT2_T3_T4_T5_mT6_T7_P12ihipStream_tbENKUlT_T0_E_clISt17integral_constantIbLb1EES13_IbLb0EEEEDaSZ_S10_EUlSZ_E_NS1_11comp_targetILNS1_3genE10ELNS1_11target_archE1201ELNS1_3gpuE5ELNS1_3repE0EEENS1_30default_config_static_selectorELNS0_4arch9wavefront6targetE0EEEvT1_.private_seg_size, 0
	.set _ZN7rocprim17ROCPRIM_400000_NS6detail17trampoline_kernelINS0_14default_configENS1_27scan_by_key_config_selectorIiiEEZZNS1_16scan_by_key_implILNS1_25lookback_scan_determinismE0ELb0ES3_N6thrust23THRUST_200600_302600_NS6detail15normal_iteratorINS9_10device_ptrIiEEEENS9_18transform_iteratorINS9_6negateIiEESE_NS9_11use_defaultESI_EESE_iNS9_4plusIvEENS9_8equal_toIvEEiEE10hipError_tPvRmT2_T3_T4_T5_mT6_T7_P12ihipStream_tbENKUlT_T0_E_clISt17integral_constantIbLb1EES13_IbLb0EEEEDaSZ_S10_EUlSZ_E_NS1_11comp_targetILNS1_3genE10ELNS1_11target_archE1201ELNS1_3gpuE5ELNS1_3repE0EEENS1_30default_config_static_selectorELNS0_4arch9wavefront6targetE0EEEvT1_.uses_vcc, 0
	.set _ZN7rocprim17ROCPRIM_400000_NS6detail17trampoline_kernelINS0_14default_configENS1_27scan_by_key_config_selectorIiiEEZZNS1_16scan_by_key_implILNS1_25lookback_scan_determinismE0ELb0ES3_N6thrust23THRUST_200600_302600_NS6detail15normal_iteratorINS9_10device_ptrIiEEEENS9_18transform_iteratorINS9_6negateIiEESE_NS9_11use_defaultESI_EESE_iNS9_4plusIvEENS9_8equal_toIvEEiEE10hipError_tPvRmT2_T3_T4_T5_mT6_T7_P12ihipStream_tbENKUlT_T0_E_clISt17integral_constantIbLb1EES13_IbLb0EEEEDaSZ_S10_EUlSZ_E_NS1_11comp_targetILNS1_3genE10ELNS1_11target_archE1201ELNS1_3gpuE5ELNS1_3repE0EEENS1_30default_config_static_selectorELNS0_4arch9wavefront6targetE0EEEvT1_.uses_flat_scratch, 0
	.set _ZN7rocprim17ROCPRIM_400000_NS6detail17trampoline_kernelINS0_14default_configENS1_27scan_by_key_config_selectorIiiEEZZNS1_16scan_by_key_implILNS1_25lookback_scan_determinismE0ELb0ES3_N6thrust23THRUST_200600_302600_NS6detail15normal_iteratorINS9_10device_ptrIiEEEENS9_18transform_iteratorINS9_6negateIiEESE_NS9_11use_defaultESI_EESE_iNS9_4plusIvEENS9_8equal_toIvEEiEE10hipError_tPvRmT2_T3_T4_T5_mT6_T7_P12ihipStream_tbENKUlT_T0_E_clISt17integral_constantIbLb1EES13_IbLb0EEEEDaSZ_S10_EUlSZ_E_NS1_11comp_targetILNS1_3genE10ELNS1_11target_archE1201ELNS1_3gpuE5ELNS1_3repE0EEENS1_30default_config_static_selectorELNS0_4arch9wavefront6targetE0EEEvT1_.has_dyn_sized_stack, 0
	.set _ZN7rocprim17ROCPRIM_400000_NS6detail17trampoline_kernelINS0_14default_configENS1_27scan_by_key_config_selectorIiiEEZZNS1_16scan_by_key_implILNS1_25lookback_scan_determinismE0ELb0ES3_N6thrust23THRUST_200600_302600_NS6detail15normal_iteratorINS9_10device_ptrIiEEEENS9_18transform_iteratorINS9_6negateIiEESE_NS9_11use_defaultESI_EESE_iNS9_4plusIvEENS9_8equal_toIvEEiEE10hipError_tPvRmT2_T3_T4_T5_mT6_T7_P12ihipStream_tbENKUlT_T0_E_clISt17integral_constantIbLb1EES13_IbLb0EEEEDaSZ_S10_EUlSZ_E_NS1_11comp_targetILNS1_3genE10ELNS1_11target_archE1201ELNS1_3gpuE5ELNS1_3repE0EEENS1_30default_config_static_selectorELNS0_4arch9wavefront6targetE0EEEvT1_.has_recursion, 0
	.set _ZN7rocprim17ROCPRIM_400000_NS6detail17trampoline_kernelINS0_14default_configENS1_27scan_by_key_config_selectorIiiEEZZNS1_16scan_by_key_implILNS1_25lookback_scan_determinismE0ELb0ES3_N6thrust23THRUST_200600_302600_NS6detail15normal_iteratorINS9_10device_ptrIiEEEENS9_18transform_iteratorINS9_6negateIiEESE_NS9_11use_defaultESI_EESE_iNS9_4plusIvEENS9_8equal_toIvEEiEE10hipError_tPvRmT2_T3_T4_T5_mT6_T7_P12ihipStream_tbENKUlT_T0_E_clISt17integral_constantIbLb1EES13_IbLb0EEEEDaSZ_S10_EUlSZ_E_NS1_11comp_targetILNS1_3genE10ELNS1_11target_archE1201ELNS1_3gpuE5ELNS1_3repE0EEENS1_30default_config_static_selectorELNS0_4arch9wavefront6targetE0EEEvT1_.has_indirect_call, 0
	.section	.AMDGPU.csdata,"",@progbits
; Kernel info:
; codeLenInByte = 0
; TotalNumSgprs: 0
; NumVgprs: 0
; ScratchSize: 0
; MemoryBound: 0
; FloatMode: 240
; IeeeMode: 1
; LDSByteSize: 0 bytes/workgroup (compile time only)
; SGPRBlocks: 0
; VGPRBlocks: 0
; NumSGPRsForWavesPerEU: 1
; NumVGPRsForWavesPerEU: 1
; Occupancy: 16
; WaveLimiterHint : 0
; COMPUTE_PGM_RSRC2:SCRATCH_EN: 0
; COMPUTE_PGM_RSRC2:USER_SGPR: 6
; COMPUTE_PGM_RSRC2:TRAP_HANDLER: 0
; COMPUTE_PGM_RSRC2:TGID_X_EN: 1
; COMPUTE_PGM_RSRC2:TGID_Y_EN: 0
; COMPUTE_PGM_RSRC2:TGID_Z_EN: 0
; COMPUTE_PGM_RSRC2:TIDIG_COMP_CNT: 0
	.section	.text._ZN7rocprim17ROCPRIM_400000_NS6detail17trampoline_kernelINS0_14default_configENS1_27scan_by_key_config_selectorIiiEEZZNS1_16scan_by_key_implILNS1_25lookback_scan_determinismE0ELb0ES3_N6thrust23THRUST_200600_302600_NS6detail15normal_iteratorINS9_10device_ptrIiEEEENS9_18transform_iteratorINS9_6negateIiEESE_NS9_11use_defaultESI_EESE_iNS9_4plusIvEENS9_8equal_toIvEEiEE10hipError_tPvRmT2_T3_T4_T5_mT6_T7_P12ihipStream_tbENKUlT_T0_E_clISt17integral_constantIbLb1EES13_IbLb0EEEEDaSZ_S10_EUlSZ_E_NS1_11comp_targetILNS1_3genE5ELNS1_11target_archE942ELNS1_3gpuE9ELNS1_3repE0EEENS1_30default_config_static_selectorELNS0_4arch9wavefront6targetE0EEEvT1_,"axG",@progbits,_ZN7rocprim17ROCPRIM_400000_NS6detail17trampoline_kernelINS0_14default_configENS1_27scan_by_key_config_selectorIiiEEZZNS1_16scan_by_key_implILNS1_25lookback_scan_determinismE0ELb0ES3_N6thrust23THRUST_200600_302600_NS6detail15normal_iteratorINS9_10device_ptrIiEEEENS9_18transform_iteratorINS9_6negateIiEESE_NS9_11use_defaultESI_EESE_iNS9_4plusIvEENS9_8equal_toIvEEiEE10hipError_tPvRmT2_T3_T4_T5_mT6_T7_P12ihipStream_tbENKUlT_T0_E_clISt17integral_constantIbLb1EES13_IbLb0EEEEDaSZ_S10_EUlSZ_E_NS1_11comp_targetILNS1_3genE5ELNS1_11target_archE942ELNS1_3gpuE9ELNS1_3repE0EEENS1_30default_config_static_selectorELNS0_4arch9wavefront6targetE0EEEvT1_,comdat
	.protected	_ZN7rocprim17ROCPRIM_400000_NS6detail17trampoline_kernelINS0_14default_configENS1_27scan_by_key_config_selectorIiiEEZZNS1_16scan_by_key_implILNS1_25lookback_scan_determinismE0ELb0ES3_N6thrust23THRUST_200600_302600_NS6detail15normal_iteratorINS9_10device_ptrIiEEEENS9_18transform_iteratorINS9_6negateIiEESE_NS9_11use_defaultESI_EESE_iNS9_4plusIvEENS9_8equal_toIvEEiEE10hipError_tPvRmT2_T3_T4_T5_mT6_T7_P12ihipStream_tbENKUlT_T0_E_clISt17integral_constantIbLb1EES13_IbLb0EEEEDaSZ_S10_EUlSZ_E_NS1_11comp_targetILNS1_3genE5ELNS1_11target_archE942ELNS1_3gpuE9ELNS1_3repE0EEENS1_30default_config_static_selectorELNS0_4arch9wavefront6targetE0EEEvT1_ ; -- Begin function _ZN7rocprim17ROCPRIM_400000_NS6detail17trampoline_kernelINS0_14default_configENS1_27scan_by_key_config_selectorIiiEEZZNS1_16scan_by_key_implILNS1_25lookback_scan_determinismE0ELb0ES3_N6thrust23THRUST_200600_302600_NS6detail15normal_iteratorINS9_10device_ptrIiEEEENS9_18transform_iteratorINS9_6negateIiEESE_NS9_11use_defaultESI_EESE_iNS9_4plusIvEENS9_8equal_toIvEEiEE10hipError_tPvRmT2_T3_T4_T5_mT6_T7_P12ihipStream_tbENKUlT_T0_E_clISt17integral_constantIbLb1EES13_IbLb0EEEEDaSZ_S10_EUlSZ_E_NS1_11comp_targetILNS1_3genE5ELNS1_11target_archE942ELNS1_3gpuE9ELNS1_3repE0EEENS1_30default_config_static_selectorELNS0_4arch9wavefront6targetE0EEEvT1_
	.globl	_ZN7rocprim17ROCPRIM_400000_NS6detail17trampoline_kernelINS0_14default_configENS1_27scan_by_key_config_selectorIiiEEZZNS1_16scan_by_key_implILNS1_25lookback_scan_determinismE0ELb0ES3_N6thrust23THRUST_200600_302600_NS6detail15normal_iteratorINS9_10device_ptrIiEEEENS9_18transform_iteratorINS9_6negateIiEESE_NS9_11use_defaultESI_EESE_iNS9_4plusIvEENS9_8equal_toIvEEiEE10hipError_tPvRmT2_T3_T4_T5_mT6_T7_P12ihipStream_tbENKUlT_T0_E_clISt17integral_constantIbLb1EES13_IbLb0EEEEDaSZ_S10_EUlSZ_E_NS1_11comp_targetILNS1_3genE5ELNS1_11target_archE942ELNS1_3gpuE9ELNS1_3repE0EEENS1_30default_config_static_selectorELNS0_4arch9wavefront6targetE0EEEvT1_
	.p2align	8
	.type	_ZN7rocprim17ROCPRIM_400000_NS6detail17trampoline_kernelINS0_14default_configENS1_27scan_by_key_config_selectorIiiEEZZNS1_16scan_by_key_implILNS1_25lookback_scan_determinismE0ELb0ES3_N6thrust23THRUST_200600_302600_NS6detail15normal_iteratorINS9_10device_ptrIiEEEENS9_18transform_iteratorINS9_6negateIiEESE_NS9_11use_defaultESI_EESE_iNS9_4plusIvEENS9_8equal_toIvEEiEE10hipError_tPvRmT2_T3_T4_T5_mT6_T7_P12ihipStream_tbENKUlT_T0_E_clISt17integral_constantIbLb1EES13_IbLb0EEEEDaSZ_S10_EUlSZ_E_NS1_11comp_targetILNS1_3genE5ELNS1_11target_archE942ELNS1_3gpuE9ELNS1_3repE0EEENS1_30default_config_static_selectorELNS0_4arch9wavefront6targetE0EEEvT1_,@function
_ZN7rocprim17ROCPRIM_400000_NS6detail17trampoline_kernelINS0_14default_configENS1_27scan_by_key_config_selectorIiiEEZZNS1_16scan_by_key_implILNS1_25lookback_scan_determinismE0ELb0ES3_N6thrust23THRUST_200600_302600_NS6detail15normal_iteratorINS9_10device_ptrIiEEEENS9_18transform_iteratorINS9_6negateIiEESE_NS9_11use_defaultESI_EESE_iNS9_4plusIvEENS9_8equal_toIvEEiEE10hipError_tPvRmT2_T3_T4_T5_mT6_T7_P12ihipStream_tbENKUlT_T0_E_clISt17integral_constantIbLb1EES13_IbLb0EEEEDaSZ_S10_EUlSZ_E_NS1_11comp_targetILNS1_3genE5ELNS1_11target_archE942ELNS1_3gpuE9ELNS1_3repE0EEENS1_30default_config_static_selectorELNS0_4arch9wavefront6targetE0EEEvT1_: ; @_ZN7rocprim17ROCPRIM_400000_NS6detail17trampoline_kernelINS0_14default_configENS1_27scan_by_key_config_selectorIiiEEZZNS1_16scan_by_key_implILNS1_25lookback_scan_determinismE0ELb0ES3_N6thrust23THRUST_200600_302600_NS6detail15normal_iteratorINS9_10device_ptrIiEEEENS9_18transform_iteratorINS9_6negateIiEESE_NS9_11use_defaultESI_EESE_iNS9_4plusIvEENS9_8equal_toIvEEiEE10hipError_tPvRmT2_T3_T4_T5_mT6_T7_P12ihipStream_tbENKUlT_T0_E_clISt17integral_constantIbLb1EES13_IbLb0EEEEDaSZ_S10_EUlSZ_E_NS1_11comp_targetILNS1_3genE5ELNS1_11target_archE942ELNS1_3gpuE9ELNS1_3repE0EEENS1_30default_config_static_selectorELNS0_4arch9wavefront6targetE0EEEvT1_
; %bb.0:
	.section	.rodata,"a",@progbits
	.p2align	6, 0x0
	.amdhsa_kernel _ZN7rocprim17ROCPRIM_400000_NS6detail17trampoline_kernelINS0_14default_configENS1_27scan_by_key_config_selectorIiiEEZZNS1_16scan_by_key_implILNS1_25lookback_scan_determinismE0ELb0ES3_N6thrust23THRUST_200600_302600_NS6detail15normal_iteratorINS9_10device_ptrIiEEEENS9_18transform_iteratorINS9_6negateIiEESE_NS9_11use_defaultESI_EESE_iNS9_4plusIvEENS9_8equal_toIvEEiEE10hipError_tPvRmT2_T3_T4_T5_mT6_T7_P12ihipStream_tbENKUlT_T0_E_clISt17integral_constantIbLb1EES13_IbLb0EEEEDaSZ_S10_EUlSZ_E_NS1_11comp_targetILNS1_3genE5ELNS1_11target_archE942ELNS1_3gpuE9ELNS1_3repE0EEENS1_30default_config_static_selectorELNS0_4arch9wavefront6targetE0EEEvT1_
		.amdhsa_group_segment_fixed_size 0
		.amdhsa_private_segment_fixed_size 0
		.amdhsa_kernarg_size 120
		.amdhsa_user_sgpr_count 6
		.amdhsa_user_sgpr_private_segment_buffer 1
		.amdhsa_user_sgpr_dispatch_ptr 0
		.amdhsa_user_sgpr_queue_ptr 0
		.amdhsa_user_sgpr_kernarg_segment_ptr 1
		.amdhsa_user_sgpr_dispatch_id 0
		.amdhsa_user_sgpr_flat_scratch_init 0
		.amdhsa_user_sgpr_private_segment_size 0
		.amdhsa_wavefront_size32 1
		.amdhsa_uses_dynamic_stack 0
		.amdhsa_system_sgpr_private_segment_wavefront_offset 0
		.amdhsa_system_sgpr_workgroup_id_x 1
		.amdhsa_system_sgpr_workgroup_id_y 0
		.amdhsa_system_sgpr_workgroup_id_z 0
		.amdhsa_system_sgpr_workgroup_info 0
		.amdhsa_system_vgpr_workitem_id 0
		.amdhsa_next_free_vgpr 1
		.amdhsa_next_free_sgpr 1
		.amdhsa_reserve_vcc 0
		.amdhsa_reserve_flat_scratch 0
		.amdhsa_float_round_mode_32 0
		.amdhsa_float_round_mode_16_64 0
		.amdhsa_float_denorm_mode_32 3
		.amdhsa_float_denorm_mode_16_64 3
		.amdhsa_dx10_clamp 1
		.amdhsa_ieee_mode 1
		.amdhsa_fp16_overflow 0
		.amdhsa_workgroup_processor_mode 1
		.amdhsa_memory_ordered 1
		.amdhsa_forward_progress 1
		.amdhsa_shared_vgpr_count 0
		.amdhsa_exception_fp_ieee_invalid_op 0
		.amdhsa_exception_fp_denorm_src 0
		.amdhsa_exception_fp_ieee_div_zero 0
		.amdhsa_exception_fp_ieee_overflow 0
		.amdhsa_exception_fp_ieee_underflow 0
		.amdhsa_exception_fp_ieee_inexact 0
		.amdhsa_exception_int_div_zero 0
	.end_amdhsa_kernel
	.section	.text._ZN7rocprim17ROCPRIM_400000_NS6detail17trampoline_kernelINS0_14default_configENS1_27scan_by_key_config_selectorIiiEEZZNS1_16scan_by_key_implILNS1_25lookback_scan_determinismE0ELb0ES3_N6thrust23THRUST_200600_302600_NS6detail15normal_iteratorINS9_10device_ptrIiEEEENS9_18transform_iteratorINS9_6negateIiEESE_NS9_11use_defaultESI_EESE_iNS9_4plusIvEENS9_8equal_toIvEEiEE10hipError_tPvRmT2_T3_T4_T5_mT6_T7_P12ihipStream_tbENKUlT_T0_E_clISt17integral_constantIbLb1EES13_IbLb0EEEEDaSZ_S10_EUlSZ_E_NS1_11comp_targetILNS1_3genE5ELNS1_11target_archE942ELNS1_3gpuE9ELNS1_3repE0EEENS1_30default_config_static_selectorELNS0_4arch9wavefront6targetE0EEEvT1_,"axG",@progbits,_ZN7rocprim17ROCPRIM_400000_NS6detail17trampoline_kernelINS0_14default_configENS1_27scan_by_key_config_selectorIiiEEZZNS1_16scan_by_key_implILNS1_25lookback_scan_determinismE0ELb0ES3_N6thrust23THRUST_200600_302600_NS6detail15normal_iteratorINS9_10device_ptrIiEEEENS9_18transform_iteratorINS9_6negateIiEESE_NS9_11use_defaultESI_EESE_iNS9_4plusIvEENS9_8equal_toIvEEiEE10hipError_tPvRmT2_T3_T4_T5_mT6_T7_P12ihipStream_tbENKUlT_T0_E_clISt17integral_constantIbLb1EES13_IbLb0EEEEDaSZ_S10_EUlSZ_E_NS1_11comp_targetILNS1_3genE5ELNS1_11target_archE942ELNS1_3gpuE9ELNS1_3repE0EEENS1_30default_config_static_selectorELNS0_4arch9wavefront6targetE0EEEvT1_,comdat
.Lfunc_end949:
	.size	_ZN7rocprim17ROCPRIM_400000_NS6detail17trampoline_kernelINS0_14default_configENS1_27scan_by_key_config_selectorIiiEEZZNS1_16scan_by_key_implILNS1_25lookback_scan_determinismE0ELb0ES3_N6thrust23THRUST_200600_302600_NS6detail15normal_iteratorINS9_10device_ptrIiEEEENS9_18transform_iteratorINS9_6negateIiEESE_NS9_11use_defaultESI_EESE_iNS9_4plusIvEENS9_8equal_toIvEEiEE10hipError_tPvRmT2_T3_T4_T5_mT6_T7_P12ihipStream_tbENKUlT_T0_E_clISt17integral_constantIbLb1EES13_IbLb0EEEEDaSZ_S10_EUlSZ_E_NS1_11comp_targetILNS1_3genE5ELNS1_11target_archE942ELNS1_3gpuE9ELNS1_3repE0EEENS1_30default_config_static_selectorELNS0_4arch9wavefront6targetE0EEEvT1_, .Lfunc_end949-_ZN7rocprim17ROCPRIM_400000_NS6detail17trampoline_kernelINS0_14default_configENS1_27scan_by_key_config_selectorIiiEEZZNS1_16scan_by_key_implILNS1_25lookback_scan_determinismE0ELb0ES3_N6thrust23THRUST_200600_302600_NS6detail15normal_iteratorINS9_10device_ptrIiEEEENS9_18transform_iteratorINS9_6negateIiEESE_NS9_11use_defaultESI_EESE_iNS9_4plusIvEENS9_8equal_toIvEEiEE10hipError_tPvRmT2_T3_T4_T5_mT6_T7_P12ihipStream_tbENKUlT_T0_E_clISt17integral_constantIbLb1EES13_IbLb0EEEEDaSZ_S10_EUlSZ_E_NS1_11comp_targetILNS1_3genE5ELNS1_11target_archE942ELNS1_3gpuE9ELNS1_3repE0EEENS1_30default_config_static_selectorELNS0_4arch9wavefront6targetE0EEEvT1_
                                        ; -- End function
	.set _ZN7rocprim17ROCPRIM_400000_NS6detail17trampoline_kernelINS0_14default_configENS1_27scan_by_key_config_selectorIiiEEZZNS1_16scan_by_key_implILNS1_25lookback_scan_determinismE0ELb0ES3_N6thrust23THRUST_200600_302600_NS6detail15normal_iteratorINS9_10device_ptrIiEEEENS9_18transform_iteratorINS9_6negateIiEESE_NS9_11use_defaultESI_EESE_iNS9_4plusIvEENS9_8equal_toIvEEiEE10hipError_tPvRmT2_T3_T4_T5_mT6_T7_P12ihipStream_tbENKUlT_T0_E_clISt17integral_constantIbLb1EES13_IbLb0EEEEDaSZ_S10_EUlSZ_E_NS1_11comp_targetILNS1_3genE5ELNS1_11target_archE942ELNS1_3gpuE9ELNS1_3repE0EEENS1_30default_config_static_selectorELNS0_4arch9wavefront6targetE0EEEvT1_.num_vgpr, 0
	.set _ZN7rocprim17ROCPRIM_400000_NS6detail17trampoline_kernelINS0_14default_configENS1_27scan_by_key_config_selectorIiiEEZZNS1_16scan_by_key_implILNS1_25lookback_scan_determinismE0ELb0ES3_N6thrust23THRUST_200600_302600_NS6detail15normal_iteratorINS9_10device_ptrIiEEEENS9_18transform_iteratorINS9_6negateIiEESE_NS9_11use_defaultESI_EESE_iNS9_4plusIvEENS9_8equal_toIvEEiEE10hipError_tPvRmT2_T3_T4_T5_mT6_T7_P12ihipStream_tbENKUlT_T0_E_clISt17integral_constantIbLb1EES13_IbLb0EEEEDaSZ_S10_EUlSZ_E_NS1_11comp_targetILNS1_3genE5ELNS1_11target_archE942ELNS1_3gpuE9ELNS1_3repE0EEENS1_30default_config_static_selectorELNS0_4arch9wavefront6targetE0EEEvT1_.num_agpr, 0
	.set _ZN7rocprim17ROCPRIM_400000_NS6detail17trampoline_kernelINS0_14default_configENS1_27scan_by_key_config_selectorIiiEEZZNS1_16scan_by_key_implILNS1_25lookback_scan_determinismE0ELb0ES3_N6thrust23THRUST_200600_302600_NS6detail15normal_iteratorINS9_10device_ptrIiEEEENS9_18transform_iteratorINS9_6negateIiEESE_NS9_11use_defaultESI_EESE_iNS9_4plusIvEENS9_8equal_toIvEEiEE10hipError_tPvRmT2_T3_T4_T5_mT6_T7_P12ihipStream_tbENKUlT_T0_E_clISt17integral_constantIbLb1EES13_IbLb0EEEEDaSZ_S10_EUlSZ_E_NS1_11comp_targetILNS1_3genE5ELNS1_11target_archE942ELNS1_3gpuE9ELNS1_3repE0EEENS1_30default_config_static_selectorELNS0_4arch9wavefront6targetE0EEEvT1_.numbered_sgpr, 0
	.set _ZN7rocprim17ROCPRIM_400000_NS6detail17trampoline_kernelINS0_14default_configENS1_27scan_by_key_config_selectorIiiEEZZNS1_16scan_by_key_implILNS1_25lookback_scan_determinismE0ELb0ES3_N6thrust23THRUST_200600_302600_NS6detail15normal_iteratorINS9_10device_ptrIiEEEENS9_18transform_iteratorINS9_6negateIiEESE_NS9_11use_defaultESI_EESE_iNS9_4plusIvEENS9_8equal_toIvEEiEE10hipError_tPvRmT2_T3_T4_T5_mT6_T7_P12ihipStream_tbENKUlT_T0_E_clISt17integral_constantIbLb1EES13_IbLb0EEEEDaSZ_S10_EUlSZ_E_NS1_11comp_targetILNS1_3genE5ELNS1_11target_archE942ELNS1_3gpuE9ELNS1_3repE0EEENS1_30default_config_static_selectorELNS0_4arch9wavefront6targetE0EEEvT1_.num_named_barrier, 0
	.set _ZN7rocprim17ROCPRIM_400000_NS6detail17trampoline_kernelINS0_14default_configENS1_27scan_by_key_config_selectorIiiEEZZNS1_16scan_by_key_implILNS1_25lookback_scan_determinismE0ELb0ES3_N6thrust23THRUST_200600_302600_NS6detail15normal_iteratorINS9_10device_ptrIiEEEENS9_18transform_iteratorINS9_6negateIiEESE_NS9_11use_defaultESI_EESE_iNS9_4plusIvEENS9_8equal_toIvEEiEE10hipError_tPvRmT2_T3_T4_T5_mT6_T7_P12ihipStream_tbENKUlT_T0_E_clISt17integral_constantIbLb1EES13_IbLb0EEEEDaSZ_S10_EUlSZ_E_NS1_11comp_targetILNS1_3genE5ELNS1_11target_archE942ELNS1_3gpuE9ELNS1_3repE0EEENS1_30default_config_static_selectorELNS0_4arch9wavefront6targetE0EEEvT1_.private_seg_size, 0
	.set _ZN7rocprim17ROCPRIM_400000_NS6detail17trampoline_kernelINS0_14default_configENS1_27scan_by_key_config_selectorIiiEEZZNS1_16scan_by_key_implILNS1_25lookback_scan_determinismE0ELb0ES3_N6thrust23THRUST_200600_302600_NS6detail15normal_iteratorINS9_10device_ptrIiEEEENS9_18transform_iteratorINS9_6negateIiEESE_NS9_11use_defaultESI_EESE_iNS9_4plusIvEENS9_8equal_toIvEEiEE10hipError_tPvRmT2_T3_T4_T5_mT6_T7_P12ihipStream_tbENKUlT_T0_E_clISt17integral_constantIbLb1EES13_IbLb0EEEEDaSZ_S10_EUlSZ_E_NS1_11comp_targetILNS1_3genE5ELNS1_11target_archE942ELNS1_3gpuE9ELNS1_3repE0EEENS1_30default_config_static_selectorELNS0_4arch9wavefront6targetE0EEEvT1_.uses_vcc, 0
	.set _ZN7rocprim17ROCPRIM_400000_NS6detail17trampoline_kernelINS0_14default_configENS1_27scan_by_key_config_selectorIiiEEZZNS1_16scan_by_key_implILNS1_25lookback_scan_determinismE0ELb0ES3_N6thrust23THRUST_200600_302600_NS6detail15normal_iteratorINS9_10device_ptrIiEEEENS9_18transform_iteratorINS9_6negateIiEESE_NS9_11use_defaultESI_EESE_iNS9_4plusIvEENS9_8equal_toIvEEiEE10hipError_tPvRmT2_T3_T4_T5_mT6_T7_P12ihipStream_tbENKUlT_T0_E_clISt17integral_constantIbLb1EES13_IbLb0EEEEDaSZ_S10_EUlSZ_E_NS1_11comp_targetILNS1_3genE5ELNS1_11target_archE942ELNS1_3gpuE9ELNS1_3repE0EEENS1_30default_config_static_selectorELNS0_4arch9wavefront6targetE0EEEvT1_.uses_flat_scratch, 0
	.set _ZN7rocprim17ROCPRIM_400000_NS6detail17trampoline_kernelINS0_14default_configENS1_27scan_by_key_config_selectorIiiEEZZNS1_16scan_by_key_implILNS1_25lookback_scan_determinismE0ELb0ES3_N6thrust23THRUST_200600_302600_NS6detail15normal_iteratorINS9_10device_ptrIiEEEENS9_18transform_iteratorINS9_6negateIiEESE_NS9_11use_defaultESI_EESE_iNS9_4plusIvEENS9_8equal_toIvEEiEE10hipError_tPvRmT2_T3_T4_T5_mT6_T7_P12ihipStream_tbENKUlT_T0_E_clISt17integral_constantIbLb1EES13_IbLb0EEEEDaSZ_S10_EUlSZ_E_NS1_11comp_targetILNS1_3genE5ELNS1_11target_archE942ELNS1_3gpuE9ELNS1_3repE0EEENS1_30default_config_static_selectorELNS0_4arch9wavefront6targetE0EEEvT1_.has_dyn_sized_stack, 0
	.set _ZN7rocprim17ROCPRIM_400000_NS6detail17trampoline_kernelINS0_14default_configENS1_27scan_by_key_config_selectorIiiEEZZNS1_16scan_by_key_implILNS1_25lookback_scan_determinismE0ELb0ES3_N6thrust23THRUST_200600_302600_NS6detail15normal_iteratorINS9_10device_ptrIiEEEENS9_18transform_iteratorINS9_6negateIiEESE_NS9_11use_defaultESI_EESE_iNS9_4plusIvEENS9_8equal_toIvEEiEE10hipError_tPvRmT2_T3_T4_T5_mT6_T7_P12ihipStream_tbENKUlT_T0_E_clISt17integral_constantIbLb1EES13_IbLb0EEEEDaSZ_S10_EUlSZ_E_NS1_11comp_targetILNS1_3genE5ELNS1_11target_archE942ELNS1_3gpuE9ELNS1_3repE0EEENS1_30default_config_static_selectorELNS0_4arch9wavefront6targetE0EEEvT1_.has_recursion, 0
	.set _ZN7rocprim17ROCPRIM_400000_NS6detail17trampoline_kernelINS0_14default_configENS1_27scan_by_key_config_selectorIiiEEZZNS1_16scan_by_key_implILNS1_25lookback_scan_determinismE0ELb0ES3_N6thrust23THRUST_200600_302600_NS6detail15normal_iteratorINS9_10device_ptrIiEEEENS9_18transform_iteratorINS9_6negateIiEESE_NS9_11use_defaultESI_EESE_iNS9_4plusIvEENS9_8equal_toIvEEiEE10hipError_tPvRmT2_T3_T4_T5_mT6_T7_P12ihipStream_tbENKUlT_T0_E_clISt17integral_constantIbLb1EES13_IbLb0EEEEDaSZ_S10_EUlSZ_E_NS1_11comp_targetILNS1_3genE5ELNS1_11target_archE942ELNS1_3gpuE9ELNS1_3repE0EEENS1_30default_config_static_selectorELNS0_4arch9wavefront6targetE0EEEvT1_.has_indirect_call, 0
	.section	.AMDGPU.csdata,"",@progbits
; Kernel info:
; codeLenInByte = 0
; TotalNumSgprs: 0
; NumVgprs: 0
; ScratchSize: 0
; MemoryBound: 0
; FloatMode: 240
; IeeeMode: 1
; LDSByteSize: 0 bytes/workgroup (compile time only)
; SGPRBlocks: 0
; VGPRBlocks: 0
; NumSGPRsForWavesPerEU: 1
; NumVGPRsForWavesPerEU: 1
; Occupancy: 16
; WaveLimiterHint : 0
; COMPUTE_PGM_RSRC2:SCRATCH_EN: 0
; COMPUTE_PGM_RSRC2:USER_SGPR: 6
; COMPUTE_PGM_RSRC2:TRAP_HANDLER: 0
; COMPUTE_PGM_RSRC2:TGID_X_EN: 1
; COMPUTE_PGM_RSRC2:TGID_Y_EN: 0
; COMPUTE_PGM_RSRC2:TGID_Z_EN: 0
; COMPUTE_PGM_RSRC2:TIDIG_COMP_CNT: 0
	.section	.text._ZN7rocprim17ROCPRIM_400000_NS6detail17trampoline_kernelINS0_14default_configENS1_27scan_by_key_config_selectorIiiEEZZNS1_16scan_by_key_implILNS1_25lookback_scan_determinismE0ELb0ES3_N6thrust23THRUST_200600_302600_NS6detail15normal_iteratorINS9_10device_ptrIiEEEENS9_18transform_iteratorINS9_6negateIiEESE_NS9_11use_defaultESI_EESE_iNS9_4plusIvEENS9_8equal_toIvEEiEE10hipError_tPvRmT2_T3_T4_T5_mT6_T7_P12ihipStream_tbENKUlT_T0_E_clISt17integral_constantIbLb1EES13_IbLb0EEEEDaSZ_S10_EUlSZ_E_NS1_11comp_targetILNS1_3genE4ELNS1_11target_archE910ELNS1_3gpuE8ELNS1_3repE0EEENS1_30default_config_static_selectorELNS0_4arch9wavefront6targetE0EEEvT1_,"axG",@progbits,_ZN7rocprim17ROCPRIM_400000_NS6detail17trampoline_kernelINS0_14default_configENS1_27scan_by_key_config_selectorIiiEEZZNS1_16scan_by_key_implILNS1_25lookback_scan_determinismE0ELb0ES3_N6thrust23THRUST_200600_302600_NS6detail15normal_iteratorINS9_10device_ptrIiEEEENS9_18transform_iteratorINS9_6negateIiEESE_NS9_11use_defaultESI_EESE_iNS9_4plusIvEENS9_8equal_toIvEEiEE10hipError_tPvRmT2_T3_T4_T5_mT6_T7_P12ihipStream_tbENKUlT_T0_E_clISt17integral_constantIbLb1EES13_IbLb0EEEEDaSZ_S10_EUlSZ_E_NS1_11comp_targetILNS1_3genE4ELNS1_11target_archE910ELNS1_3gpuE8ELNS1_3repE0EEENS1_30default_config_static_selectorELNS0_4arch9wavefront6targetE0EEEvT1_,comdat
	.protected	_ZN7rocprim17ROCPRIM_400000_NS6detail17trampoline_kernelINS0_14default_configENS1_27scan_by_key_config_selectorIiiEEZZNS1_16scan_by_key_implILNS1_25lookback_scan_determinismE0ELb0ES3_N6thrust23THRUST_200600_302600_NS6detail15normal_iteratorINS9_10device_ptrIiEEEENS9_18transform_iteratorINS9_6negateIiEESE_NS9_11use_defaultESI_EESE_iNS9_4plusIvEENS9_8equal_toIvEEiEE10hipError_tPvRmT2_T3_T4_T5_mT6_T7_P12ihipStream_tbENKUlT_T0_E_clISt17integral_constantIbLb1EES13_IbLb0EEEEDaSZ_S10_EUlSZ_E_NS1_11comp_targetILNS1_3genE4ELNS1_11target_archE910ELNS1_3gpuE8ELNS1_3repE0EEENS1_30default_config_static_selectorELNS0_4arch9wavefront6targetE0EEEvT1_ ; -- Begin function _ZN7rocprim17ROCPRIM_400000_NS6detail17trampoline_kernelINS0_14default_configENS1_27scan_by_key_config_selectorIiiEEZZNS1_16scan_by_key_implILNS1_25lookback_scan_determinismE0ELb0ES3_N6thrust23THRUST_200600_302600_NS6detail15normal_iteratorINS9_10device_ptrIiEEEENS9_18transform_iteratorINS9_6negateIiEESE_NS9_11use_defaultESI_EESE_iNS9_4plusIvEENS9_8equal_toIvEEiEE10hipError_tPvRmT2_T3_T4_T5_mT6_T7_P12ihipStream_tbENKUlT_T0_E_clISt17integral_constantIbLb1EES13_IbLb0EEEEDaSZ_S10_EUlSZ_E_NS1_11comp_targetILNS1_3genE4ELNS1_11target_archE910ELNS1_3gpuE8ELNS1_3repE0EEENS1_30default_config_static_selectorELNS0_4arch9wavefront6targetE0EEEvT1_
	.globl	_ZN7rocprim17ROCPRIM_400000_NS6detail17trampoline_kernelINS0_14default_configENS1_27scan_by_key_config_selectorIiiEEZZNS1_16scan_by_key_implILNS1_25lookback_scan_determinismE0ELb0ES3_N6thrust23THRUST_200600_302600_NS6detail15normal_iteratorINS9_10device_ptrIiEEEENS9_18transform_iteratorINS9_6negateIiEESE_NS9_11use_defaultESI_EESE_iNS9_4plusIvEENS9_8equal_toIvEEiEE10hipError_tPvRmT2_T3_T4_T5_mT6_T7_P12ihipStream_tbENKUlT_T0_E_clISt17integral_constantIbLb1EES13_IbLb0EEEEDaSZ_S10_EUlSZ_E_NS1_11comp_targetILNS1_3genE4ELNS1_11target_archE910ELNS1_3gpuE8ELNS1_3repE0EEENS1_30default_config_static_selectorELNS0_4arch9wavefront6targetE0EEEvT1_
	.p2align	8
	.type	_ZN7rocprim17ROCPRIM_400000_NS6detail17trampoline_kernelINS0_14default_configENS1_27scan_by_key_config_selectorIiiEEZZNS1_16scan_by_key_implILNS1_25lookback_scan_determinismE0ELb0ES3_N6thrust23THRUST_200600_302600_NS6detail15normal_iteratorINS9_10device_ptrIiEEEENS9_18transform_iteratorINS9_6negateIiEESE_NS9_11use_defaultESI_EESE_iNS9_4plusIvEENS9_8equal_toIvEEiEE10hipError_tPvRmT2_T3_T4_T5_mT6_T7_P12ihipStream_tbENKUlT_T0_E_clISt17integral_constantIbLb1EES13_IbLb0EEEEDaSZ_S10_EUlSZ_E_NS1_11comp_targetILNS1_3genE4ELNS1_11target_archE910ELNS1_3gpuE8ELNS1_3repE0EEENS1_30default_config_static_selectorELNS0_4arch9wavefront6targetE0EEEvT1_,@function
_ZN7rocprim17ROCPRIM_400000_NS6detail17trampoline_kernelINS0_14default_configENS1_27scan_by_key_config_selectorIiiEEZZNS1_16scan_by_key_implILNS1_25lookback_scan_determinismE0ELb0ES3_N6thrust23THRUST_200600_302600_NS6detail15normal_iteratorINS9_10device_ptrIiEEEENS9_18transform_iteratorINS9_6negateIiEESE_NS9_11use_defaultESI_EESE_iNS9_4plusIvEENS9_8equal_toIvEEiEE10hipError_tPvRmT2_T3_T4_T5_mT6_T7_P12ihipStream_tbENKUlT_T0_E_clISt17integral_constantIbLb1EES13_IbLb0EEEEDaSZ_S10_EUlSZ_E_NS1_11comp_targetILNS1_3genE4ELNS1_11target_archE910ELNS1_3gpuE8ELNS1_3repE0EEENS1_30default_config_static_selectorELNS0_4arch9wavefront6targetE0EEEvT1_: ; @_ZN7rocprim17ROCPRIM_400000_NS6detail17trampoline_kernelINS0_14default_configENS1_27scan_by_key_config_selectorIiiEEZZNS1_16scan_by_key_implILNS1_25lookback_scan_determinismE0ELb0ES3_N6thrust23THRUST_200600_302600_NS6detail15normal_iteratorINS9_10device_ptrIiEEEENS9_18transform_iteratorINS9_6negateIiEESE_NS9_11use_defaultESI_EESE_iNS9_4plusIvEENS9_8equal_toIvEEiEE10hipError_tPvRmT2_T3_T4_T5_mT6_T7_P12ihipStream_tbENKUlT_T0_E_clISt17integral_constantIbLb1EES13_IbLb0EEEEDaSZ_S10_EUlSZ_E_NS1_11comp_targetILNS1_3genE4ELNS1_11target_archE910ELNS1_3gpuE8ELNS1_3repE0EEENS1_30default_config_static_selectorELNS0_4arch9wavefront6targetE0EEEvT1_
; %bb.0:
	.section	.rodata,"a",@progbits
	.p2align	6, 0x0
	.amdhsa_kernel _ZN7rocprim17ROCPRIM_400000_NS6detail17trampoline_kernelINS0_14default_configENS1_27scan_by_key_config_selectorIiiEEZZNS1_16scan_by_key_implILNS1_25lookback_scan_determinismE0ELb0ES3_N6thrust23THRUST_200600_302600_NS6detail15normal_iteratorINS9_10device_ptrIiEEEENS9_18transform_iteratorINS9_6negateIiEESE_NS9_11use_defaultESI_EESE_iNS9_4plusIvEENS9_8equal_toIvEEiEE10hipError_tPvRmT2_T3_T4_T5_mT6_T7_P12ihipStream_tbENKUlT_T0_E_clISt17integral_constantIbLb1EES13_IbLb0EEEEDaSZ_S10_EUlSZ_E_NS1_11comp_targetILNS1_3genE4ELNS1_11target_archE910ELNS1_3gpuE8ELNS1_3repE0EEENS1_30default_config_static_selectorELNS0_4arch9wavefront6targetE0EEEvT1_
		.amdhsa_group_segment_fixed_size 0
		.amdhsa_private_segment_fixed_size 0
		.amdhsa_kernarg_size 120
		.amdhsa_user_sgpr_count 6
		.amdhsa_user_sgpr_private_segment_buffer 1
		.amdhsa_user_sgpr_dispatch_ptr 0
		.amdhsa_user_sgpr_queue_ptr 0
		.amdhsa_user_sgpr_kernarg_segment_ptr 1
		.amdhsa_user_sgpr_dispatch_id 0
		.amdhsa_user_sgpr_flat_scratch_init 0
		.amdhsa_user_sgpr_private_segment_size 0
		.amdhsa_wavefront_size32 1
		.amdhsa_uses_dynamic_stack 0
		.amdhsa_system_sgpr_private_segment_wavefront_offset 0
		.amdhsa_system_sgpr_workgroup_id_x 1
		.amdhsa_system_sgpr_workgroup_id_y 0
		.amdhsa_system_sgpr_workgroup_id_z 0
		.amdhsa_system_sgpr_workgroup_info 0
		.amdhsa_system_vgpr_workitem_id 0
		.amdhsa_next_free_vgpr 1
		.amdhsa_next_free_sgpr 1
		.amdhsa_reserve_vcc 0
		.amdhsa_reserve_flat_scratch 0
		.amdhsa_float_round_mode_32 0
		.amdhsa_float_round_mode_16_64 0
		.amdhsa_float_denorm_mode_32 3
		.amdhsa_float_denorm_mode_16_64 3
		.amdhsa_dx10_clamp 1
		.amdhsa_ieee_mode 1
		.amdhsa_fp16_overflow 0
		.amdhsa_workgroup_processor_mode 1
		.amdhsa_memory_ordered 1
		.amdhsa_forward_progress 1
		.amdhsa_shared_vgpr_count 0
		.amdhsa_exception_fp_ieee_invalid_op 0
		.amdhsa_exception_fp_denorm_src 0
		.amdhsa_exception_fp_ieee_div_zero 0
		.amdhsa_exception_fp_ieee_overflow 0
		.amdhsa_exception_fp_ieee_underflow 0
		.amdhsa_exception_fp_ieee_inexact 0
		.amdhsa_exception_int_div_zero 0
	.end_amdhsa_kernel
	.section	.text._ZN7rocprim17ROCPRIM_400000_NS6detail17trampoline_kernelINS0_14default_configENS1_27scan_by_key_config_selectorIiiEEZZNS1_16scan_by_key_implILNS1_25lookback_scan_determinismE0ELb0ES3_N6thrust23THRUST_200600_302600_NS6detail15normal_iteratorINS9_10device_ptrIiEEEENS9_18transform_iteratorINS9_6negateIiEESE_NS9_11use_defaultESI_EESE_iNS9_4plusIvEENS9_8equal_toIvEEiEE10hipError_tPvRmT2_T3_T4_T5_mT6_T7_P12ihipStream_tbENKUlT_T0_E_clISt17integral_constantIbLb1EES13_IbLb0EEEEDaSZ_S10_EUlSZ_E_NS1_11comp_targetILNS1_3genE4ELNS1_11target_archE910ELNS1_3gpuE8ELNS1_3repE0EEENS1_30default_config_static_selectorELNS0_4arch9wavefront6targetE0EEEvT1_,"axG",@progbits,_ZN7rocprim17ROCPRIM_400000_NS6detail17trampoline_kernelINS0_14default_configENS1_27scan_by_key_config_selectorIiiEEZZNS1_16scan_by_key_implILNS1_25lookback_scan_determinismE0ELb0ES3_N6thrust23THRUST_200600_302600_NS6detail15normal_iteratorINS9_10device_ptrIiEEEENS9_18transform_iteratorINS9_6negateIiEESE_NS9_11use_defaultESI_EESE_iNS9_4plusIvEENS9_8equal_toIvEEiEE10hipError_tPvRmT2_T3_T4_T5_mT6_T7_P12ihipStream_tbENKUlT_T0_E_clISt17integral_constantIbLb1EES13_IbLb0EEEEDaSZ_S10_EUlSZ_E_NS1_11comp_targetILNS1_3genE4ELNS1_11target_archE910ELNS1_3gpuE8ELNS1_3repE0EEENS1_30default_config_static_selectorELNS0_4arch9wavefront6targetE0EEEvT1_,comdat
.Lfunc_end950:
	.size	_ZN7rocprim17ROCPRIM_400000_NS6detail17trampoline_kernelINS0_14default_configENS1_27scan_by_key_config_selectorIiiEEZZNS1_16scan_by_key_implILNS1_25lookback_scan_determinismE0ELb0ES3_N6thrust23THRUST_200600_302600_NS6detail15normal_iteratorINS9_10device_ptrIiEEEENS9_18transform_iteratorINS9_6negateIiEESE_NS9_11use_defaultESI_EESE_iNS9_4plusIvEENS9_8equal_toIvEEiEE10hipError_tPvRmT2_T3_T4_T5_mT6_T7_P12ihipStream_tbENKUlT_T0_E_clISt17integral_constantIbLb1EES13_IbLb0EEEEDaSZ_S10_EUlSZ_E_NS1_11comp_targetILNS1_3genE4ELNS1_11target_archE910ELNS1_3gpuE8ELNS1_3repE0EEENS1_30default_config_static_selectorELNS0_4arch9wavefront6targetE0EEEvT1_, .Lfunc_end950-_ZN7rocprim17ROCPRIM_400000_NS6detail17trampoline_kernelINS0_14default_configENS1_27scan_by_key_config_selectorIiiEEZZNS1_16scan_by_key_implILNS1_25lookback_scan_determinismE0ELb0ES3_N6thrust23THRUST_200600_302600_NS6detail15normal_iteratorINS9_10device_ptrIiEEEENS9_18transform_iteratorINS9_6negateIiEESE_NS9_11use_defaultESI_EESE_iNS9_4plusIvEENS9_8equal_toIvEEiEE10hipError_tPvRmT2_T3_T4_T5_mT6_T7_P12ihipStream_tbENKUlT_T0_E_clISt17integral_constantIbLb1EES13_IbLb0EEEEDaSZ_S10_EUlSZ_E_NS1_11comp_targetILNS1_3genE4ELNS1_11target_archE910ELNS1_3gpuE8ELNS1_3repE0EEENS1_30default_config_static_selectorELNS0_4arch9wavefront6targetE0EEEvT1_
                                        ; -- End function
	.set _ZN7rocprim17ROCPRIM_400000_NS6detail17trampoline_kernelINS0_14default_configENS1_27scan_by_key_config_selectorIiiEEZZNS1_16scan_by_key_implILNS1_25lookback_scan_determinismE0ELb0ES3_N6thrust23THRUST_200600_302600_NS6detail15normal_iteratorINS9_10device_ptrIiEEEENS9_18transform_iteratorINS9_6negateIiEESE_NS9_11use_defaultESI_EESE_iNS9_4plusIvEENS9_8equal_toIvEEiEE10hipError_tPvRmT2_T3_T4_T5_mT6_T7_P12ihipStream_tbENKUlT_T0_E_clISt17integral_constantIbLb1EES13_IbLb0EEEEDaSZ_S10_EUlSZ_E_NS1_11comp_targetILNS1_3genE4ELNS1_11target_archE910ELNS1_3gpuE8ELNS1_3repE0EEENS1_30default_config_static_selectorELNS0_4arch9wavefront6targetE0EEEvT1_.num_vgpr, 0
	.set _ZN7rocprim17ROCPRIM_400000_NS6detail17trampoline_kernelINS0_14default_configENS1_27scan_by_key_config_selectorIiiEEZZNS1_16scan_by_key_implILNS1_25lookback_scan_determinismE0ELb0ES3_N6thrust23THRUST_200600_302600_NS6detail15normal_iteratorINS9_10device_ptrIiEEEENS9_18transform_iteratorINS9_6negateIiEESE_NS9_11use_defaultESI_EESE_iNS9_4plusIvEENS9_8equal_toIvEEiEE10hipError_tPvRmT2_T3_T4_T5_mT6_T7_P12ihipStream_tbENKUlT_T0_E_clISt17integral_constantIbLb1EES13_IbLb0EEEEDaSZ_S10_EUlSZ_E_NS1_11comp_targetILNS1_3genE4ELNS1_11target_archE910ELNS1_3gpuE8ELNS1_3repE0EEENS1_30default_config_static_selectorELNS0_4arch9wavefront6targetE0EEEvT1_.num_agpr, 0
	.set _ZN7rocprim17ROCPRIM_400000_NS6detail17trampoline_kernelINS0_14default_configENS1_27scan_by_key_config_selectorIiiEEZZNS1_16scan_by_key_implILNS1_25lookback_scan_determinismE0ELb0ES3_N6thrust23THRUST_200600_302600_NS6detail15normal_iteratorINS9_10device_ptrIiEEEENS9_18transform_iteratorINS9_6negateIiEESE_NS9_11use_defaultESI_EESE_iNS9_4plusIvEENS9_8equal_toIvEEiEE10hipError_tPvRmT2_T3_T4_T5_mT6_T7_P12ihipStream_tbENKUlT_T0_E_clISt17integral_constantIbLb1EES13_IbLb0EEEEDaSZ_S10_EUlSZ_E_NS1_11comp_targetILNS1_3genE4ELNS1_11target_archE910ELNS1_3gpuE8ELNS1_3repE0EEENS1_30default_config_static_selectorELNS0_4arch9wavefront6targetE0EEEvT1_.numbered_sgpr, 0
	.set _ZN7rocprim17ROCPRIM_400000_NS6detail17trampoline_kernelINS0_14default_configENS1_27scan_by_key_config_selectorIiiEEZZNS1_16scan_by_key_implILNS1_25lookback_scan_determinismE0ELb0ES3_N6thrust23THRUST_200600_302600_NS6detail15normal_iteratorINS9_10device_ptrIiEEEENS9_18transform_iteratorINS9_6negateIiEESE_NS9_11use_defaultESI_EESE_iNS9_4plusIvEENS9_8equal_toIvEEiEE10hipError_tPvRmT2_T3_T4_T5_mT6_T7_P12ihipStream_tbENKUlT_T0_E_clISt17integral_constantIbLb1EES13_IbLb0EEEEDaSZ_S10_EUlSZ_E_NS1_11comp_targetILNS1_3genE4ELNS1_11target_archE910ELNS1_3gpuE8ELNS1_3repE0EEENS1_30default_config_static_selectorELNS0_4arch9wavefront6targetE0EEEvT1_.num_named_barrier, 0
	.set _ZN7rocprim17ROCPRIM_400000_NS6detail17trampoline_kernelINS0_14default_configENS1_27scan_by_key_config_selectorIiiEEZZNS1_16scan_by_key_implILNS1_25lookback_scan_determinismE0ELb0ES3_N6thrust23THRUST_200600_302600_NS6detail15normal_iteratorINS9_10device_ptrIiEEEENS9_18transform_iteratorINS9_6negateIiEESE_NS9_11use_defaultESI_EESE_iNS9_4plusIvEENS9_8equal_toIvEEiEE10hipError_tPvRmT2_T3_T4_T5_mT6_T7_P12ihipStream_tbENKUlT_T0_E_clISt17integral_constantIbLb1EES13_IbLb0EEEEDaSZ_S10_EUlSZ_E_NS1_11comp_targetILNS1_3genE4ELNS1_11target_archE910ELNS1_3gpuE8ELNS1_3repE0EEENS1_30default_config_static_selectorELNS0_4arch9wavefront6targetE0EEEvT1_.private_seg_size, 0
	.set _ZN7rocprim17ROCPRIM_400000_NS6detail17trampoline_kernelINS0_14default_configENS1_27scan_by_key_config_selectorIiiEEZZNS1_16scan_by_key_implILNS1_25lookback_scan_determinismE0ELb0ES3_N6thrust23THRUST_200600_302600_NS6detail15normal_iteratorINS9_10device_ptrIiEEEENS9_18transform_iteratorINS9_6negateIiEESE_NS9_11use_defaultESI_EESE_iNS9_4plusIvEENS9_8equal_toIvEEiEE10hipError_tPvRmT2_T3_T4_T5_mT6_T7_P12ihipStream_tbENKUlT_T0_E_clISt17integral_constantIbLb1EES13_IbLb0EEEEDaSZ_S10_EUlSZ_E_NS1_11comp_targetILNS1_3genE4ELNS1_11target_archE910ELNS1_3gpuE8ELNS1_3repE0EEENS1_30default_config_static_selectorELNS0_4arch9wavefront6targetE0EEEvT1_.uses_vcc, 0
	.set _ZN7rocprim17ROCPRIM_400000_NS6detail17trampoline_kernelINS0_14default_configENS1_27scan_by_key_config_selectorIiiEEZZNS1_16scan_by_key_implILNS1_25lookback_scan_determinismE0ELb0ES3_N6thrust23THRUST_200600_302600_NS6detail15normal_iteratorINS9_10device_ptrIiEEEENS9_18transform_iteratorINS9_6negateIiEESE_NS9_11use_defaultESI_EESE_iNS9_4plusIvEENS9_8equal_toIvEEiEE10hipError_tPvRmT2_T3_T4_T5_mT6_T7_P12ihipStream_tbENKUlT_T0_E_clISt17integral_constantIbLb1EES13_IbLb0EEEEDaSZ_S10_EUlSZ_E_NS1_11comp_targetILNS1_3genE4ELNS1_11target_archE910ELNS1_3gpuE8ELNS1_3repE0EEENS1_30default_config_static_selectorELNS0_4arch9wavefront6targetE0EEEvT1_.uses_flat_scratch, 0
	.set _ZN7rocprim17ROCPRIM_400000_NS6detail17trampoline_kernelINS0_14default_configENS1_27scan_by_key_config_selectorIiiEEZZNS1_16scan_by_key_implILNS1_25lookback_scan_determinismE0ELb0ES3_N6thrust23THRUST_200600_302600_NS6detail15normal_iteratorINS9_10device_ptrIiEEEENS9_18transform_iteratorINS9_6negateIiEESE_NS9_11use_defaultESI_EESE_iNS9_4plusIvEENS9_8equal_toIvEEiEE10hipError_tPvRmT2_T3_T4_T5_mT6_T7_P12ihipStream_tbENKUlT_T0_E_clISt17integral_constantIbLb1EES13_IbLb0EEEEDaSZ_S10_EUlSZ_E_NS1_11comp_targetILNS1_3genE4ELNS1_11target_archE910ELNS1_3gpuE8ELNS1_3repE0EEENS1_30default_config_static_selectorELNS0_4arch9wavefront6targetE0EEEvT1_.has_dyn_sized_stack, 0
	.set _ZN7rocprim17ROCPRIM_400000_NS6detail17trampoline_kernelINS0_14default_configENS1_27scan_by_key_config_selectorIiiEEZZNS1_16scan_by_key_implILNS1_25lookback_scan_determinismE0ELb0ES3_N6thrust23THRUST_200600_302600_NS6detail15normal_iteratorINS9_10device_ptrIiEEEENS9_18transform_iteratorINS9_6negateIiEESE_NS9_11use_defaultESI_EESE_iNS9_4plusIvEENS9_8equal_toIvEEiEE10hipError_tPvRmT2_T3_T4_T5_mT6_T7_P12ihipStream_tbENKUlT_T0_E_clISt17integral_constantIbLb1EES13_IbLb0EEEEDaSZ_S10_EUlSZ_E_NS1_11comp_targetILNS1_3genE4ELNS1_11target_archE910ELNS1_3gpuE8ELNS1_3repE0EEENS1_30default_config_static_selectorELNS0_4arch9wavefront6targetE0EEEvT1_.has_recursion, 0
	.set _ZN7rocprim17ROCPRIM_400000_NS6detail17trampoline_kernelINS0_14default_configENS1_27scan_by_key_config_selectorIiiEEZZNS1_16scan_by_key_implILNS1_25lookback_scan_determinismE0ELb0ES3_N6thrust23THRUST_200600_302600_NS6detail15normal_iteratorINS9_10device_ptrIiEEEENS9_18transform_iteratorINS9_6negateIiEESE_NS9_11use_defaultESI_EESE_iNS9_4plusIvEENS9_8equal_toIvEEiEE10hipError_tPvRmT2_T3_T4_T5_mT6_T7_P12ihipStream_tbENKUlT_T0_E_clISt17integral_constantIbLb1EES13_IbLb0EEEEDaSZ_S10_EUlSZ_E_NS1_11comp_targetILNS1_3genE4ELNS1_11target_archE910ELNS1_3gpuE8ELNS1_3repE0EEENS1_30default_config_static_selectorELNS0_4arch9wavefront6targetE0EEEvT1_.has_indirect_call, 0
	.section	.AMDGPU.csdata,"",@progbits
; Kernel info:
; codeLenInByte = 0
; TotalNumSgprs: 0
; NumVgprs: 0
; ScratchSize: 0
; MemoryBound: 0
; FloatMode: 240
; IeeeMode: 1
; LDSByteSize: 0 bytes/workgroup (compile time only)
; SGPRBlocks: 0
; VGPRBlocks: 0
; NumSGPRsForWavesPerEU: 1
; NumVGPRsForWavesPerEU: 1
; Occupancy: 16
; WaveLimiterHint : 0
; COMPUTE_PGM_RSRC2:SCRATCH_EN: 0
; COMPUTE_PGM_RSRC2:USER_SGPR: 6
; COMPUTE_PGM_RSRC2:TRAP_HANDLER: 0
; COMPUTE_PGM_RSRC2:TGID_X_EN: 1
; COMPUTE_PGM_RSRC2:TGID_Y_EN: 0
; COMPUTE_PGM_RSRC2:TGID_Z_EN: 0
; COMPUTE_PGM_RSRC2:TIDIG_COMP_CNT: 0
	.section	.text._ZN7rocprim17ROCPRIM_400000_NS6detail17trampoline_kernelINS0_14default_configENS1_27scan_by_key_config_selectorIiiEEZZNS1_16scan_by_key_implILNS1_25lookback_scan_determinismE0ELb0ES3_N6thrust23THRUST_200600_302600_NS6detail15normal_iteratorINS9_10device_ptrIiEEEENS9_18transform_iteratorINS9_6negateIiEESE_NS9_11use_defaultESI_EESE_iNS9_4plusIvEENS9_8equal_toIvEEiEE10hipError_tPvRmT2_T3_T4_T5_mT6_T7_P12ihipStream_tbENKUlT_T0_E_clISt17integral_constantIbLb1EES13_IbLb0EEEEDaSZ_S10_EUlSZ_E_NS1_11comp_targetILNS1_3genE3ELNS1_11target_archE908ELNS1_3gpuE7ELNS1_3repE0EEENS1_30default_config_static_selectorELNS0_4arch9wavefront6targetE0EEEvT1_,"axG",@progbits,_ZN7rocprim17ROCPRIM_400000_NS6detail17trampoline_kernelINS0_14default_configENS1_27scan_by_key_config_selectorIiiEEZZNS1_16scan_by_key_implILNS1_25lookback_scan_determinismE0ELb0ES3_N6thrust23THRUST_200600_302600_NS6detail15normal_iteratorINS9_10device_ptrIiEEEENS9_18transform_iteratorINS9_6negateIiEESE_NS9_11use_defaultESI_EESE_iNS9_4plusIvEENS9_8equal_toIvEEiEE10hipError_tPvRmT2_T3_T4_T5_mT6_T7_P12ihipStream_tbENKUlT_T0_E_clISt17integral_constantIbLb1EES13_IbLb0EEEEDaSZ_S10_EUlSZ_E_NS1_11comp_targetILNS1_3genE3ELNS1_11target_archE908ELNS1_3gpuE7ELNS1_3repE0EEENS1_30default_config_static_selectorELNS0_4arch9wavefront6targetE0EEEvT1_,comdat
	.protected	_ZN7rocprim17ROCPRIM_400000_NS6detail17trampoline_kernelINS0_14default_configENS1_27scan_by_key_config_selectorIiiEEZZNS1_16scan_by_key_implILNS1_25lookback_scan_determinismE0ELb0ES3_N6thrust23THRUST_200600_302600_NS6detail15normal_iteratorINS9_10device_ptrIiEEEENS9_18transform_iteratorINS9_6negateIiEESE_NS9_11use_defaultESI_EESE_iNS9_4plusIvEENS9_8equal_toIvEEiEE10hipError_tPvRmT2_T3_T4_T5_mT6_T7_P12ihipStream_tbENKUlT_T0_E_clISt17integral_constantIbLb1EES13_IbLb0EEEEDaSZ_S10_EUlSZ_E_NS1_11comp_targetILNS1_3genE3ELNS1_11target_archE908ELNS1_3gpuE7ELNS1_3repE0EEENS1_30default_config_static_selectorELNS0_4arch9wavefront6targetE0EEEvT1_ ; -- Begin function _ZN7rocprim17ROCPRIM_400000_NS6detail17trampoline_kernelINS0_14default_configENS1_27scan_by_key_config_selectorIiiEEZZNS1_16scan_by_key_implILNS1_25lookback_scan_determinismE0ELb0ES3_N6thrust23THRUST_200600_302600_NS6detail15normal_iteratorINS9_10device_ptrIiEEEENS9_18transform_iteratorINS9_6negateIiEESE_NS9_11use_defaultESI_EESE_iNS9_4plusIvEENS9_8equal_toIvEEiEE10hipError_tPvRmT2_T3_T4_T5_mT6_T7_P12ihipStream_tbENKUlT_T0_E_clISt17integral_constantIbLb1EES13_IbLb0EEEEDaSZ_S10_EUlSZ_E_NS1_11comp_targetILNS1_3genE3ELNS1_11target_archE908ELNS1_3gpuE7ELNS1_3repE0EEENS1_30default_config_static_selectorELNS0_4arch9wavefront6targetE0EEEvT1_
	.globl	_ZN7rocprim17ROCPRIM_400000_NS6detail17trampoline_kernelINS0_14default_configENS1_27scan_by_key_config_selectorIiiEEZZNS1_16scan_by_key_implILNS1_25lookback_scan_determinismE0ELb0ES3_N6thrust23THRUST_200600_302600_NS6detail15normal_iteratorINS9_10device_ptrIiEEEENS9_18transform_iteratorINS9_6negateIiEESE_NS9_11use_defaultESI_EESE_iNS9_4plusIvEENS9_8equal_toIvEEiEE10hipError_tPvRmT2_T3_T4_T5_mT6_T7_P12ihipStream_tbENKUlT_T0_E_clISt17integral_constantIbLb1EES13_IbLb0EEEEDaSZ_S10_EUlSZ_E_NS1_11comp_targetILNS1_3genE3ELNS1_11target_archE908ELNS1_3gpuE7ELNS1_3repE0EEENS1_30default_config_static_selectorELNS0_4arch9wavefront6targetE0EEEvT1_
	.p2align	8
	.type	_ZN7rocprim17ROCPRIM_400000_NS6detail17trampoline_kernelINS0_14default_configENS1_27scan_by_key_config_selectorIiiEEZZNS1_16scan_by_key_implILNS1_25lookback_scan_determinismE0ELb0ES3_N6thrust23THRUST_200600_302600_NS6detail15normal_iteratorINS9_10device_ptrIiEEEENS9_18transform_iteratorINS9_6negateIiEESE_NS9_11use_defaultESI_EESE_iNS9_4plusIvEENS9_8equal_toIvEEiEE10hipError_tPvRmT2_T3_T4_T5_mT6_T7_P12ihipStream_tbENKUlT_T0_E_clISt17integral_constantIbLb1EES13_IbLb0EEEEDaSZ_S10_EUlSZ_E_NS1_11comp_targetILNS1_3genE3ELNS1_11target_archE908ELNS1_3gpuE7ELNS1_3repE0EEENS1_30default_config_static_selectorELNS0_4arch9wavefront6targetE0EEEvT1_,@function
_ZN7rocprim17ROCPRIM_400000_NS6detail17trampoline_kernelINS0_14default_configENS1_27scan_by_key_config_selectorIiiEEZZNS1_16scan_by_key_implILNS1_25lookback_scan_determinismE0ELb0ES3_N6thrust23THRUST_200600_302600_NS6detail15normal_iteratorINS9_10device_ptrIiEEEENS9_18transform_iteratorINS9_6negateIiEESE_NS9_11use_defaultESI_EESE_iNS9_4plusIvEENS9_8equal_toIvEEiEE10hipError_tPvRmT2_T3_T4_T5_mT6_T7_P12ihipStream_tbENKUlT_T0_E_clISt17integral_constantIbLb1EES13_IbLb0EEEEDaSZ_S10_EUlSZ_E_NS1_11comp_targetILNS1_3genE3ELNS1_11target_archE908ELNS1_3gpuE7ELNS1_3repE0EEENS1_30default_config_static_selectorELNS0_4arch9wavefront6targetE0EEEvT1_: ; @_ZN7rocprim17ROCPRIM_400000_NS6detail17trampoline_kernelINS0_14default_configENS1_27scan_by_key_config_selectorIiiEEZZNS1_16scan_by_key_implILNS1_25lookback_scan_determinismE0ELb0ES3_N6thrust23THRUST_200600_302600_NS6detail15normal_iteratorINS9_10device_ptrIiEEEENS9_18transform_iteratorINS9_6negateIiEESE_NS9_11use_defaultESI_EESE_iNS9_4plusIvEENS9_8equal_toIvEEiEE10hipError_tPvRmT2_T3_T4_T5_mT6_T7_P12ihipStream_tbENKUlT_T0_E_clISt17integral_constantIbLb1EES13_IbLb0EEEEDaSZ_S10_EUlSZ_E_NS1_11comp_targetILNS1_3genE3ELNS1_11target_archE908ELNS1_3gpuE7ELNS1_3repE0EEENS1_30default_config_static_selectorELNS0_4arch9wavefront6targetE0EEEvT1_
; %bb.0:
	.section	.rodata,"a",@progbits
	.p2align	6, 0x0
	.amdhsa_kernel _ZN7rocprim17ROCPRIM_400000_NS6detail17trampoline_kernelINS0_14default_configENS1_27scan_by_key_config_selectorIiiEEZZNS1_16scan_by_key_implILNS1_25lookback_scan_determinismE0ELb0ES3_N6thrust23THRUST_200600_302600_NS6detail15normal_iteratorINS9_10device_ptrIiEEEENS9_18transform_iteratorINS9_6negateIiEESE_NS9_11use_defaultESI_EESE_iNS9_4plusIvEENS9_8equal_toIvEEiEE10hipError_tPvRmT2_T3_T4_T5_mT6_T7_P12ihipStream_tbENKUlT_T0_E_clISt17integral_constantIbLb1EES13_IbLb0EEEEDaSZ_S10_EUlSZ_E_NS1_11comp_targetILNS1_3genE3ELNS1_11target_archE908ELNS1_3gpuE7ELNS1_3repE0EEENS1_30default_config_static_selectorELNS0_4arch9wavefront6targetE0EEEvT1_
		.amdhsa_group_segment_fixed_size 0
		.amdhsa_private_segment_fixed_size 0
		.amdhsa_kernarg_size 120
		.amdhsa_user_sgpr_count 6
		.amdhsa_user_sgpr_private_segment_buffer 1
		.amdhsa_user_sgpr_dispatch_ptr 0
		.amdhsa_user_sgpr_queue_ptr 0
		.amdhsa_user_sgpr_kernarg_segment_ptr 1
		.amdhsa_user_sgpr_dispatch_id 0
		.amdhsa_user_sgpr_flat_scratch_init 0
		.amdhsa_user_sgpr_private_segment_size 0
		.amdhsa_wavefront_size32 1
		.amdhsa_uses_dynamic_stack 0
		.amdhsa_system_sgpr_private_segment_wavefront_offset 0
		.amdhsa_system_sgpr_workgroup_id_x 1
		.amdhsa_system_sgpr_workgroup_id_y 0
		.amdhsa_system_sgpr_workgroup_id_z 0
		.amdhsa_system_sgpr_workgroup_info 0
		.amdhsa_system_vgpr_workitem_id 0
		.amdhsa_next_free_vgpr 1
		.amdhsa_next_free_sgpr 1
		.amdhsa_reserve_vcc 0
		.amdhsa_reserve_flat_scratch 0
		.amdhsa_float_round_mode_32 0
		.amdhsa_float_round_mode_16_64 0
		.amdhsa_float_denorm_mode_32 3
		.amdhsa_float_denorm_mode_16_64 3
		.amdhsa_dx10_clamp 1
		.amdhsa_ieee_mode 1
		.amdhsa_fp16_overflow 0
		.amdhsa_workgroup_processor_mode 1
		.amdhsa_memory_ordered 1
		.amdhsa_forward_progress 1
		.amdhsa_shared_vgpr_count 0
		.amdhsa_exception_fp_ieee_invalid_op 0
		.amdhsa_exception_fp_denorm_src 0
		.amdhsa_exception_fp_ieee_div_zero 0
		.amdhsa_exception_fp_ieee_overflow 0
		.amdhsa_exception_fp_ieee_underflow 0
		.amdhsa_exception_fp_ieee_inexact 0
		.amdhsa_exception_int_div_zero 0
	.end_amdhsa_kernel
	.section	.text._ZN7rocprim17ROCPRIM_400000_NS6detail17trampoline_kernelINS0_14default_configENS1_27scan_by_key_config_selectorIiiEEZZNS1_16scan_by_key_implILNS1_25lookback_scan_determinismE0ELb0ES3_N6thrust23THRUST_200600_302600_NS6detail15normal_iteratorINS9_10device_ptrIiEEEENS9_18transform_iteratorINS9_6negateIiEESE_NS9_11use_defaultESI_EESE_iNS9_4plusIvEENS9_8equal_toIvEEiEE10hipError_tPvRmT2_T3_T4_T5_mT6_T7_P12ihipStream_tbENKUlT_T0_E_clISt17integral_constantIbLb1EES13_IbLb0EEEEDaSZ_S10_EUlSZ_E_NS1_11comp_targetILNS1_3genE3ELNS1_11target_archE908ELNS1_3gpuE7ELNS1_3repE0EEENS1_30default_config_static_selectorELNS0_4arch9wavefront6targetE0EEEvT1_,"axG",@progbits,_ZN7rocprim17ROCPRIM_400000_NS6detail17trampoline_kernelINS0_14default_configENS1_27scan_by_key_config_selectorIiiEEZZNS1_16scan_by_key_implILNS1_25lookback_scan_determinismE0ELb0ES3_N6thrust23THRUST_200600_302600_NS6detail15normal_iteratorINS9_10device_ptrIiEEEENS9_18transform_iteratorINS9_6negateIiEESE_NS9_11use_defaultESI_EESE_iNS9_4plusIvEENS9_8equal_toIvEEiEE10hipError_tPvRmT2_T3_T4_T5_mT6_T7_P12ihipStream_tbENKUlT_T0_E_clISt17integral_constantIbLb1EES13_IbLb0EEEEDaSZ_S10_EUlSZ_E_NS1_11comp_targetILNS1_3genE3ELNS1_11target_archE908ELNS1_3gpuE7ELNS1_3repE0EEENS1_30default_config_static_selectorELNS0_4arch9wavefront6targetE0EEEvT1_,comdat
.Lfunc_end951:
	.size	_ZN7rocprim17ROCPRIM_400000_NS6detail17trampoline_kernelINS0_14default_configENS1_27scan_by_key_config_selectorIiiEEZZNS1_16scan_by_key_implILNS1_25lookback_scan_determinismE0ELb0ES3_N6thrust23THRUST_200600_302600_NS6detail15normal_iteratorINS9_10device_ptrIiEEEENS9_18transform_iteratorINS9_6negateIiEESE_NS9_11use_defaultESI_EESE_iNS9_4plusIvEENS9_8equal_toIvEEiEE10hipError_tPvRmT2_T3_T4_T5_mT6_T7_P12ihipStream_tbENKUlT_T0_E_clISt17integral_constantIbLb1EES13_IbLb0EEEEDaSZ_S10_EUlSZ_E_NS1_11comp_targetILNS1_3genE3ELNS1_11target_archE908ELNS1_3gpuE7ELNS1_3repE0EEENS1_30default_config_static_selectorELNS0_4arch9wavefront6targetE0EEEvT1_, .Lfunc_end951-_ZN7rocprim17ROCPRIM_400000_NS6detail17trampoline_kernelINS0_14default_configENS1_27scan_by_key_config_selectorIiiEEZZNS1_16scan_by_key_implILNS1_25lookback_scan_determinismE0ELb0ES3_N6thrust23THRUST_200600_302600_NS6detail15normal_iteratorINS9_10device_ptrIiEEEENS9_18transform_iteratorINS9_6negateIiEESE_NS9_11use_defaultESI_EESE_iNS9_4plusIvEENS9_8equal_toIvEEiEE10hipError_tPvRmT2_T3_T4_T5_mT6_T7_P12ihipStream_tbENKUlT_T0_E_clISt17integral_constantIbLb1EES13_IbLb0EEEEDaSZ_S10_EUlSZ_E_NS1_11comp_targetILNS1_3genE3ELNS1_11target_archE908ELNS1_3gpuE7ELNS1_3repE0EEENS1_30default_config_static_selectorELNS0_4arch9wavefront6targetE0EEEvT1_
                                        ; -- End function
	.set _ZN7rocprim17ROCPRIM_400000_NS6detail17trampoline_kernelINS0_14default_configENS1_27scan_by_key_config_selectorIiiEEZZNS1_16scan_by_key_implILNS1_25lookback_scan_determinismE0ELb0ES3_N6thrust23THRUST_200600_302600_NS6detail15normal_iteratorINS9_10device_ptrIiEEEENS9_18transform_iteratorINS9_6negateIiEESE_NS9_11use_defaultESI_EESE_iNS9_4plusIvEENS9_8equal_toIvEEiEE10hipError_tPvRmT2_T3_T4_T5_mT6_T7_P12ihipStream_tbENKUlT_T0_E_clISt17integral_constantIbLb1EES13_IbLb0EEEEDaSZ_S10_EUlSZ_E_NS1_11comp_targetILNS1_3genE3ELNS1_11target_archE908ELNS1_3gpuE7ELNS1_3repE0EEENS1_30default_config_static_selectorELNS0_4arch9wavefront6targetE0EEEvT1_.num_vgpr, 0
	.set _ZN7rocprim17ROCPRIM_400000_NS6detail17trampoline_kernelINS0_14default_configENS1_27scan_by_key_config_selectorIiiEEZZNS1_16scan_by_key_implILNS1_25lookback_scan_determinismE0ELb0ES3_N6thrust23THRUST_200600_302600_NS6detail15normal_iteratorINS9_10device_ptrIiEEEENS9_18transform_iteratorINS9_6negateIiEESE_NS9_11use_defaultESI_EESE_iNS9_4plusIvEENS9_8equal_toIvEEiEE10hipError_tPvRmT2_T3_T4_T5_mT6_T7_P12ihipStream_tbENKUlT_T0_E_clISt17integral_constantIbLb1EES13_IbLb0EEEEDaSZ_S10_EUlSZ_E_NS1_11comp_targetILNS1_3genE3ELNS1_11target_archE908ELNS1_3gpuE7ELNS1_3repE0EEENS1_30default_config_static_selectorELNS0_4arch9wavefront6targetE0EEEvT1_.num_agpr, 0
	.set _ZN7rocprim17ROCPRIM_400000_NS6detail17trampoline_kernelINS0_14default_configENS1_27scan_by_key_config_selectorIiiEEZZNS1_16scan_by_key_implILNS1_25lookback_scan_determinismE0ELb0ES3_N6thrust23THRUST_200600_302600_NS6detail15normal_iteratorINS9_10device_ptrIiEEEENS9_18transform_iteratorINS9_6negateIiEESE_NS9_11use_defaultESI_EESE_iNS9_4plusIvEENS9_8equal_toIvEEiEE10hipError_tPvRmT2_T3_T4_T5_mT6_T7_P12ihipStream_tbENKUlT_T0_E_clISt17integral_constantIbLb1EES13_IbLb0EEEEDaSZ_S10_EUlSZ_E_NS1_11comp_targetILNS1_3genE3ELNS1_11target_archE908ELNS1_3gpuE7ELNS1_3repE0EEENS1_30default_config_static_selectorELNS0_4arch9wavefront6targetE0EEEvT1_.numbered_sgpr, 0
	.set _ZN7rocprim17ROCPRIM_400000_NS6detail17trampoline_kernelINS0_14default_configENS1_27scan_by_key_config_selectorIiiEEZZNS1_16scan_by_key_implILNS1_25lookback_scan_determinismE0ELb0ES3_N6thrust23THRUST_200600_302600_NS6detail15normal_iteratorINS9_10device_ptrIiEEEENS9_18transform_iteratorINS9_6negateIiEESE_NS9_11use_defaultESI_EESE_iNS9_4plusIvEENS9_8equal_toIvEEiEE10hipError_tPvRmT2_T3_T4_T5_mT6_T7_P12ihipStream_tbENKUlT_T0_E_clISt17integral_constantIbLb1EES13_IbLb0EEEEDaSZ_S10_EUlSZ_E_NS1_11comp_targetILNS1_3genE3ELNS1_11target_archE908ELNS1_3gpuE7ELNS1_3repE0EEENS1_30default_config_static_selectorELNS0_4arch9wavefront6targetE0EEEvT1_.num_named_barrier, 0
	.set _ZN7rocprim17ROCPRIM_400000_NS6detail17trampoline_kernelINS0_14default_configENS1_27scan_by_key_config_selectorIiiEEZZNS1_16scan_by_key_implILNS1_25lookback_scan_determinismE0ELb0ES3_N6thrust23THRUST_200600_302600_NS6detail15normal_iteratorINS9_10device_ptrIiEEEENS9_18transform_iteratorINS9_6negateIiEESE_NS9_11use_defaultESI_EESE_iNS9_4plusIvEENS9_8equal_toIvEEiEE10hipError_tPvRmT2_T3_T4_T5_mT6_T7_P12ihipStream_tbENKUlT_T0_E_clISt17integral_constantIbLb1EES13_IbLb0EEEEDaSZ_S10_EUlSZ_E_NS1_11comp_targetILNS1_3genE3ELNS1_11target_archE908ELNS1_3gpuE7ELNS1_3repE0EEENS1_30default_config_static_selectorELNS0_4arch9wavefront6targetE0EEEvT1_.private_seg_size, 0
	.set _ZN7rocprim17ROCPRIM_400000_NS6detail17trampoline_kernelINS0_14default_configENS1_27scan_by_key_config_selectorIiiEEZZNS1_16scan_by_key_implILNS1_25lookback_scan_determinismE0ELb0ES3_N6thrust23THRUST_200600_302600_NS6detail15normal_iteratorINS9_10device_ptrIiEEEENS9_18transform_iteratorINS9_6negateIiEESE_NS9_11use_defaultESI_EESE_iNS9_4plusIvEENS9_8equal_toIvEEiEE10hipError_tPvRmT2_T3_T4_T5_mT6_T7_P12ihipStream_tbENKUlT_T0_E_clISt17integral_constantIbLb1EES13_IbLb0EEEEDaSZ_S10_EUlSZ_E_NS1_11comp_targetILNS1_3genE3ELNS1_11target_archE908ELNS1_3gpuE7ELNS1_3repE0EEENS1_30default_config_static_selectorELNS0_4arch9wavefront6targetE0EEEvT1_.uses_vcc, 0
	.set _ZN7rocprim17ROCPRIM_400000_NS6detail17trampoline_kernelINS0_14default_configENS1_27scan_by_key_config_selectorIiiEEZZNS1_16scan_by_key_implILNS1_25lookback_scan_determinismE0ELb0ES3_N6thrust23THRUST_200600_302600_NS6detail15normal_iteratorINS9_10device_ptrIiEEEENS9_18transform_iteratorINS9_6negateIiEESE_NS9_11use_defaultESI_EESE_iNS9_4plusIvEENS9_8equal_toIvEEiEE10hipError_tPvRmT2_T3_T4_T5_mT6_T7_P12ihipStream_tbENKUlT_T0_E_clISt17integral_constantIbLb1EES13_IbLb0EEEEDaSZ_S10_EUlSZ_E_NS1_11comp_targetILNS1_3genE3ELNS1_11target_archE908ELNS1_3gpuE7ELNS1_3repE0EEENS1_30default_config_static_selectorELNS0_4arch9wavefront6targetE0EEEvT1_.uses_flat_scratch, 0
	.set _ZN7rocprim17ROCPRIM_400000_NS6detail17trampoline_kernelINS0_14default_configENS1_27scan_by_key_config_selectorIiiEEZZNS1_16scan_by_key_implILNS1_25lookback_scan_determinismE0ELb0ES3_N6thrust23THRUST_200600_302600_NS6detail15normal_iteratorINS9_10device_ptrIiEEEENS9_18transform_iteratorINS9_6negateIiEESE_NS9_11use_defaultESI_EESE_iNS9_4plusIvEENS9_8equal_toIvEEiEE10hipError_tPvRmT2_T3_T4_T5_mT6_T7_P12ihipStream_tbENKUlT_T0_E_clISt17integral_constantIbLb1EES13_IbLb0EEEEDaSZ_S10_EUlSZ_E_NS1_11comp_targetILNS1_3genE3ELNS1_11target_archE908ELNS1_3gpuE7ELNS1_3repE0EEENS1_30default_config_static_selectorELNS0_4arch9wavefront6targetE0EEEvT1_.has_dyn_sized_stack, 0
	.set _ZN7rocprim17ROCPRIM_400000_NS6detail17trampoline_kernelINS0_14default_configENS1_27scan_by_key_config_selectorIiiEEZZNS1_16scan_by_key_implILNS1_25lookback_scan_determinismE0ELb0ES3_N6thrust23THRUST_200600_302600_NS6detail15normal_iteratorINS9_10device_ptrIiEEEENS9_18transform_iteratorINS9_6negateIiEESE_NS9_11use_defaultESI_EESE_iNS9_4plusIvEENS9_8equal_toIvEEiEE10hipError_tPvRmT2_T3_T4_T5_mT6_T7_P12ihipStream_tbENKUlT_T0_E_clISt17integral_constantIbLb1EES13_IbLb0EEEEDaSZ_S10_EUlSZ_E_NS1_11comp_targetILNS1_3genE3ELNS1_11target_archE908ELNS1_3gpuE7ELNS1_3repE0EEENS1_30default_config_static_selectorELNS0_4arch9wavefront6targetE0EEEvT1_.has_recursion, 0
	.set _ZN7rocprim17ROCPRIM_400000_NS6detail17trampoline_kernelINS0_14default_configENS1_27scan_by_key_config_selectorIiiEEZZNS1_16scan_by_key_implILNS1_25lookback_scan_determinismE0ELb0ES3_N6thrust23THRUST_200600_302600_NS6detail15normal_iteratorINS9_10device_ptrIiEEEENS9_18transform_iteratorINS9_6negateIiEESE_NS9_11use_defaultESI_EESE_iNS9_4plusIvEENS9_8equal_toIvEEiEE10hipError_tPvRmT2_T3_T4_T5_mT6_T7_P12ihipStream_tbENKUlT_T0_E_clISt17integral_constantIbLb1EES13_IbLb0EEEEDaSZ_S10_EUlSZ_E_NS1_11comp_targetILNS1_3genE3ELNS1_11target_archE908ELNS1_3gpuE7ELNS1_3repE0EEENS1_30default_config_static_selectorELNS0_4arch9wavefront6targetE0EEEvT1_.has_indirect_call, 0
	.section	.AMDGPU.csdata,"",@progbits
; Kernel info:
; codeLenInByte = 0
; TotalNumSgprs: 0
; NumVgprs: 0
; ScratchSize: 0
; MemoryBound: 0
; FloatMode: 240
; IeeeMode: 1
; LDSByteSize: 0 bytes/workgroup (compile time only)
; SGPRBlocks: 0
; VGPRBlocks: 0
; NumSGPRsForWavesPerEU: 1
; NumVGPRsForWavesPerEU: 1
; Occupancy: 16
; WaveLimiterHint : 0
; COMPUTE_PGM_RSRC2:SCRATCH_EN: 0
; COMPUTE_PGM_RSRC2:USER_SGPR: 6
; COMPUTE_PGM_RSRC2:TRAP_HANDLER: 0
; COMPUTE_PGM_RSRC2:TGID_X_EN: 1
; COMPUTE_PGM_RSRC2:TGID_Y_EN: 0
; COMPUTE_PGM_RSRC2:TGID_Z_EN: 0
; COMPUTE_PGM_RSRC2:TIDIG_COMP_CNT: 0
	.section	.text._ZN7rocprim17ROCPRIM_400000_NS6detail17trampoline_kernelINS0_14default_configENS1_27scan_by_key_config_selectorIiiEEZZNS1_16scan_by_key_implILNS1_25lookback_scan_determinismE0ELb0ES3_N6thrust23THRUST_200600_302600_NS6detail15normal_iteratorINS9_10device_ptrIiEEEENS9_18transform_iteratorINS9_6negateIiEESE_NS9_11use_defaultESI_EESE_iNS9_4plusIvEENS9_8equal_toIvEEiEE10hipError_tPvRmT2_T3_T4_T5_mT6_T7_P12ihipStream_tbENKUlT_T0_E_clISt17integral_constantIbLb1EES13_IbLb0EEEEDaSZ_S10_EUlSZ_E_NS1_11comp_targetILNS1_3genE2ELNS1_11target_archE906ELNS1_3gpuE6ELNS1_3repE0EEENS1_30default_config_static_selectorELNS0_4arch9wavefront6targetE0EEEvT1_,"axG",@progbits,_ZN7rocprim17ROCPRIM_400000_NS6detail17trampoline_kernelINS0_14default_configENS1_27scan_by_key_config_selectorIiiEEZZNS1_16scan_by_key_implILNS1_25lookback_scan_determinismE0ELb0ES3_N6thrust23THRUST_200600_302600_NS6detail15normal_iteratorINS9_10device_ptrIiEEEENS9_18transform_iteratorINS9_6negateIiEESE_NS9_11use_defaultESI_EESE_iNS9_4plusIvEENS9_8equal_toIvEEiEE10hipError_tPvRmT2_T3_T4_T5_mT6_T7_P12ihipStream_tbENKUlT_T0_E_clISt17integral_constantIbLb1EES13_IbLb0EEEEDaSZ_S10_EUlSZ_E_NS1_11comp_targetILNS1_3genE2ELNS1_11target_archE906ELNS1_3gpuE6ELNS1_3repE0EEENS1_30default_config_static_selectorELNS0_4arch9wavefront6targetE0EEEvT1_,comdat
	.protected	_ZN7rocprim17ROCPRIM_400000_NS6detail17trampoline_kernelINS0_14default_configENS1_27scan_by_key_config_selectorIiiEEZZNS1_16scan_by_key_implILNS1_25lookback_scan_determinismE0ELb0ES3_N6thrust23THRUST_200600_302600_NS6detail15normal_iteratorINS9_10device_ptrIiEEEENS9_18transform_iteratorINS9_6negateIiEESE_NS9_11use_defaultESI_EESE_iNS9_4plusIvEENS9_8equal_toIvEEiEE10hipError_tPvRmT2_T3_T4_T5_mT6_T7_P12ihipStream_tbENKUlT_T0_E_clISt17integral_constantIbLb1EES13_IbLb0EEEEDaSZ_S10_EUlSZ_E_NS1_11comp_targetILNS1_3genE2ELNS1_11target_archE906ELNS1_3gpuE6ELNS1_3repE0EEENS1_30default_config_static_selectorELNS0_4arch9wavefront6targetE0EEEvT1_ ; -- Begin function _ZN7rocprim17ROCPRIM_400000_NS6detail17trampoline_kernelINS0_14default_configENS1_27scan_by_key_config_selectorIiiEEZZNS1_16scan_by_key_implILNS1_25lookback_scan_determinismE0ELb0ES3_N6thrust23THRUST_200600_302600_NS6detail15normal_iteratorINS9_10device_ptrIiEEEENS9_18transform_iteratorINS9_6negateIiEESE_NS9_11use_defaultESI_EESE_iNS9_4plusIvEENS9_8equal_toIvEEiEE10hipError_tPvRmT2_T3_T4_T5_mT6_T7_P12ihipStream_tbENKUlT_T0_E_clISt17integral_constantIbLb1EES13_IbLb0EEEEDaSZ_S10_EUlSZ_E_NS1_11comp_targetILNS1_3genE2ELNS1_11target_archE906ELNS1_3gpuE6ELNS1_3repE0EEENS1_30default_config_static_selectorELNS0_4arch9wavefront6targetE0EEEvT1_
	.globl	_ZN7rocprim17ROCPRIM_400000_NS6detail17trampoline_kernelINS0_14default_configENS1_27scan_by_key_config_selectorIiiEEZZNS1_16scan_by_key_implILNS1_25lookback_scan_determinismE0ELb0ES3_N6thrust23THRUST_200600_302600_NS6detail15normal_iteratorINS9_10device_ptrIiEEEENS9_18transform_iteratorINS9_6negateIiEESE_NS9_11use_defaultESI_EESE_iNS9_4plusIvEENS9_8equal_toIvEEiEE10hipError_tPvRmT2_T3_T4_T5_mT6_T7_P12ihipStream_tbENKUlT_T0_E_clISt17integral_constantIbLb1EES13_IbLb0EEEEDaSZ_S10_EUlSZ_E_NS1_11comp_targetILNS1_3genE2ELNS1_11target_archE906ELNS1_3gpuE6ELNS1_3repE0EEENS1_30default_config_static_selectorELNS0_4arch9wavefront6targetE0EEEvT1_
	.p2align	8
	.type	_ZN7rocprim17ROCPRIM_400000_NS6detail17trampoline_kernelINS0_14default_configENS1_27scan_by_key_config_selectorIiiEEZZNS1_16scan_by_key_implILNS1_25lookback_scan_determinismE0ELb0ES3_N6thrust23THRUST_200600_302600_NS6detail15normal_iteratorINS9_10device_ptrIiEEEENS9_18transform_iteratorINS9_6negateIiEESE_NS9_11use_defaultESI_EESE_iNS9_4plusIvEENS9_8equal_toIvEEiEE10hipError_tPvRmT2_T3_T4_T5_mT6_T7_P12ihipStream_tbENKUlT_T0_E_clISt17integral_constantIbLb1EES13_IbLb0EEEEDaSZ_S10_EUlSZ_E_NS1_11comp_targetILNS1_3genE2ELNS1_11target_archE906ELNS1_3gpuE6ELNS1_3repE0EEENS1_30default_config_static_selectorELNS0_4arch9wavefront6targetE0EEEvT1_,@function
_ZN7rocprim17ROCPRIM_400000_NS6detail17trampoline_kernelINS0_14default_configENS1_27scan_by_key_config_selectorIiiEEZZNS1_16scan_by_key_implILNS1_25lookback_scan_determinismE0ELb0ES3_N6thrust23THRUST_200600_302600_NS6detail15normal_iteratorINS9_10device_ptrIiEEEENS9_18transform_iteratorINS9_6negateIiEESE_NS9_11use_defaultESI_EESE_iNS9_4plusIvEENS9_8equal_toIvEEiEE10hipError_tPvRmT2_T3_T4_T5_mT6_T7_P12ihipStream_tbENKUlT_T0_E_clISt17integral_constantIbLb1EES13_IbLb0EEEEDaSZ_S10_EUlSZ_E_NS1_11comp_targetILNS1_3genE2ELNS1_11target_archE906ELNS1_3gpuE6ELNS1_3repE0EEENS1_30default_config_static_selectorELNS0_4arch9wavefront6targetE0EEEvT1_: ; @_ZN7rocprim17ROCPRIM_400000_NS6detail17trampoline_kernelINS0_14default_configENS1_27scan_by_key_config_selectorIiiEEZZNS1_16scan_by_key_implILNS1_25lookback_scan_determinismE0ELb0ES3_N6thrust23THRUST_200600_302600_NS6detail15normal_iteratorINS9_10device_ptrIiEEEENS9_18transform_iteratorINS9_6negateIiEESE_NS9_11use_defaultESI_EESE_iNS9_4plusIvEENS9_8equal_toIvEEiEE10hipError_tPvRmT2_T3_T4_T5_mT6_T7_P12ihipStream_tbENKUlT_T0_E_clISt17integral_constantIbLb1EES13_IbLb0EEEEDaSZ_S10_EUlSZ_E_NS1_11comp_targetILNS1_3genE2ELNS1_11target_archE906ELNS1_3gpuE6ELNS1_3repE0EEENS1_30default_config_static_selectorELNS0_4arch9wavefront6targetE0EEEvT1_
; %bb.0:
	.section	.rodata,"a",@progbits
	.p2align	6, 0x0
	.amdhsa_kernel _ZN7rocprim17ROCPRIM_400000_NS6detail17trampoline_kernelINS0_14default_configENS1_27scan_by_key_config_selectorIiiEEZZNS1_16scan_by_key_implILNS1_25lookback_scan_determinismE0ELb0ES3_N6thrust23THRUST_200600_302600_NS6detail15normal_iteratorINS9_10device_ptrIiEEEENS9_18transform_iteratorINS9_6negateIiEESE_NS9_11use_defaultESI_EESE_iNS9_4plusIvEENS9_8equal_toIvEEiEE10hipError_tPvRmT2_T3_T4_T5_mT6_T7_P12ihipStream_tbENKUlT_T0_E_clISt17integral_constantIbLb1EES13_IbLb0EEEEDaSZ_S10_EUlSZ_E_NS1_11comp_targetILNS1_3genE2ELNS1_11target_archE906ELNS1_3gpuE6ELNS1_3repE0EEENS1_30default_config_static_selectorELNS0_4arch9wavefront6targetE0EEEvT1_
		.amdhsa_group_segment_fixed_size 0
		.amdhsa_private_segment_fixed_size 0
		.amdhsa_kernarg_size 120
		.amdhsa_user_sgpr_count 6
		.amdhsa_user_sgpr_private_segment_buffer 1
		.amdhsa_user_sgpr_dispatch_ptr 0
		.amdhsa_user_sgpr_queue_ptr 0
		.amdhsa_user_sgpr_kernarg_segment_ptr 1
		.amdhsa_user_sgpr_dispatch_id 0
		.amdhsa_user_sgpr_flat_scratch_init 0
		.amdhsa_user_sgpr_private_segment_size 0
		.amdhsa_wavefront_size32 1
		.amdhsa_uses_dynamic_stack 0
		.amdhsa_system_sgpr_private_segment_wavefront_offset 0
		.amdhsa_system_sgpr_workgroup_id_x 1
		.amdhsa_system_sgpr_workgroup_id_y 0
		.amdhsa_system_sgpr_workgroup_id_z 0
		.amdhsa_system_sgpr_workgroup_info 0
		.amdhsa_system_vgpr_workitem_id 0
		.amdhsa_next_free_vgpr 1
		.amdhsa_next_free_sgpr 1
		.amdhsa_reserve_vcc 0
		.amdhsa_reserve_flat_scratch 0
		.amdhsa_float_round_mode_32 0
		.amdhsa_float_round_mode_16_64 0
		.amdhsa_float_denorm_mode_32 3
		.amdhsa_float_denorm_mode_16_64 3
		.amdhsa_dx10_clamp 1
		.amdhsa_ieee_mode 1
		.amdhsa_fp16_overflow 0
		.amdhsa_workgroup_processor_mode 1
		.amdhsa_memory_ordered 1
		.amdhsa_forward_progress 1
		.amdhsa_shared_vgpr_count 0
		.amdhsa_exception_fp_ieee_invalid_op 0
		.amdhsa_exception_fp_denorm_src 0
		.amdhsa_exception_fp_ieee_div_zero 0
		.amdhsa_exception_fp_ieee_overflow 0
		.amdhsa_exception_fp_ieee_underflow 0
		.amdhsa_exception_fp_ieee_inexact 0
		.amdhsa_exception_int_div_zero 0
	.end_amdhsa_kernel
	.section	.text._ZN7rocprim17ROCPRIM_400000_NS6detail17trampoline_kernelINS0_14default_configENS1_27scan_by_key_config_selectorIiiEEZZNS1_16scan_by_key_implILNS1_25lookback_scan_determinismE0ELb0ES3_N6thrust23THRUST_200600_302600_NS6detail15normal_iteratorINS9_10device_ptrIiEEEENS9_18transform_iteratorINS9_6negateIiEESE_NS9_11use_defaultESI_EESE_iNS9_4plusIvEENS9_8equal_toIvEEiEE10hipError_tPvRmT2_T3_T4_T5_mT6_T7_P12ihipStream_tbENKUlT_T0_E_clISt17integral_constantIbLb1EES13_IbLb0EEEEDaSZ_S10_EUlSZ_E_NS1_11comp_targetILNS1_3genE2ELNS1_11target_archE906ELNS1_3gpuE6ELNS1_3repE0EEENS1_30default_config_static_selectorELNS0_4arch9wavefront6targetE0EEEvT1_,"axG",@progbits,_ZN7rocprim17ROCPRIM_400000_NS6detail17trampoline_kernelINS0_14default_configENS1_27scan_by_key_config_selectorIiiEEZZNS1_16scan_by_key_implILNS1_25lookback_scan_determinismE0ELb0ES3_N6thrust23THRUST_200600_302600_NS6detail15normal_iteratorINS9_10device_ptrIiEEEENS9_18transform_iteratorINS9_6negateIiEESE_NS9_11use_defaultESI_EESE_iNS9_4plusIvEENS9_8equal_toIvEEiEE10hipError_tPvRmT2_T3_T4_T5_mT6_T7_P12ihipStream_tbENKUlT_T0_E_clISt17integral_constantIbLb1EES13_IbLb0EEEEDaSZ_S10_EUlSZ_E_NS1_11comp_targetILNS1_3genE2ELNS1_11target_archE906ELNS1_3gpuE6ELNS1_3repE0EEENS1_30default_config_static_selectorELNS0_4arch9wavefront6targetE0EEEvT1_,comdat
.Lfunc_end952:
	.size	_ZN7rocprim17ROCPRIM_400000_NS6detail17trampoline_kernelINS0_14default_configENS1_27scan_by_key_config_selectorIiiEEZZNS1_16scan_by_key_implILNS1_25lookback_scan_determinismE0ELb0ES3_N6thrust23THRUST_200600_302600_NS6detail15normal_iteratorINS9_10device_ptrIiEEEENS9_18transform_iteratorINS9_6negateIiEESE_NS9_11use_defaultESI_EESE_iNS9_4plusIvEENS9_8equal_toIvEEiEE10hipError_tPvRmT2_T3_T4_T5_mT6_T7_P12ihipStream_tbENKUlT_T0_E_clISt17integral_constantIbLb1EES13_IbLb0EEEEDaSZ_S10_EUlSZ_E_NS1_11comp_targetILNS1_3genE2ELNS1_11target_archE906ELNS1_3gpuE6ELNS1_3repE0EEENS1_30default_config_static_selectorELNS0_4arch9wavefront6targetE0EEEvT1_, .Lfunc_end952-_ZN7rocprim17ROCPRIM_400000_NS6detail17trampoline_kernelINS0_14default_configENS1_27scan_by_key_config_selectorIiiEEZZNS1_16scan_by_key_implILNS1_25lookback_scan_determinismE0ELb0ES3_N6thrust23THRUST_200600_302600_NS6detail15normal_iteratorINS9_10device_ptrIiEEEENS9_18transform_iteratorINS9_6negateIiEESE_NS9_11use_defaultESI_EESE_iNS9_4plusIvEENS9_8equal_toIvEEiEE10hipError_tPvRmT2_T3_T4_T5_mT6_T7_P12ihipStream_tbENKUlT_T0_E_clISt17integral_constantIbLb1EES13_IbLb0EEEEDaSZ_S10_EUlSZ_E_NS1_11comp_targetILNS1_3genE2ELNS1_11target_archE906ELNS1_3gpuE6ELNS1_3repE0EEENS1_30default_config_static_selectorELNS0_4arch9wavefront6targetE0EEEvT1_
                                        ; -- End function
	.set _ZN7rocprim17ROCPRIM_400000_NS6detail17trampoline_kernelINS0_14default_configENS1_27scan_by_key_config_selectorIiiEEZZNS1_16scan_by_key_implILNS1_25lookback_scan_determinismE0ELb0ES3_N6thrust23THRUST_200600_302600_NS6detail15normal_iteratorINS9_10device_ptrIiEEEENS9_18transform_iteratorINS9_6negateIiEESE_NS9_11use_defaultESI_EESE_iNS9_4plusIvEENS9_8equal_toIvEEiEE10hipError_tPvRmT2_T3_T4_T5_mT6_T7_P12ihipStream_tbENKUlT_T0_E_clISt17integral_constantIbLb1EES13_IbLb0EEEEDaSZ_S10_EUlSZ_E_NS1_11comp_targetILNS1_3genE2ELNS1_11target_archE906ELNS1_3gpuE6ELNS1_3repE0EEENS1_30default_config_static_selectorELNS0_4arch9wavefront6targetE0EEEvT1_.num_vgpr, 0
	.set _ZN7rocprim17ROCPRIM_400000_NS6detail17trampoline_kernelINS0_14default_configENS1_27scan_by_key_config_selectorIiiEEZZNS1_16scan_by_key_implILNS1_25lookback_scan_determinismE0ELb0ES3_N6thrust23THRUST_200600_302600_NS6detail15normal_iteratorINS9_10device_ptrIiEEEENS9_18transform_iteratorINS9_6negateIiEESE_NS9_11use_defaultESI_EESE_iNS9_4plusIvEENS9_8equal_toIvEEiEE10hipError_tPvRmT2_T3_T4_T5_mT6_T7_P12ihipStream_tbENKUlT_T0_E_clISt17integral_constantIbLb1EES13_IbLb0EEEEDaSZ_S10_EUlSZ_E_NS1_11comp_targetILNS1_3genE2ELNS1_11target_archE906ELNS1_3gpuE6ELNS1_3repE0EEENS1_30default_config_static_selectorELNS0_4arch9wavefront6targetE0EEEvT1_.num_agpr, 0
	.set _ZN7rocprim17ROCPRIM_400000_NS6detail17trampoline_kernelINS0_14default_configENS1_27scan_by_key_config_selectorIiiEEZZNS1_16scan_by_key_implILNS1_25lookback_scan_determinismE0ELb0ES3_N6thrust23THRUST_200600_302600_NS6detail15normal_iteratorINS9_10device_ptrIiEEEENS9_18transform_iteratorINS9_6negateIiEESE_NS9_11use_defaultESI_EESE_iNS9_4plusIvEENS9_8equal_toIvEEiEE10hipError_tPvRmT2_T3_T4_T5_mT6_T7_P12ihipStream_tbENKUlT_T0_E_clISt17integral_constantIbLb1EES13_IbLb0EEEEDaSZ_S10_EUlSZ_E_NS1_11comp_targetILNS1_3genE2ELNS1_11target_archE906ELNS1_3gpuE6ELNS1_3repE0EEENS1_30default_config_static_selectorELNS0_4arch9wavefront6targetE0EEEvT1_.numbered_sgpr, 0
	.set _ZN7rocprim17ROCPRIM_400000_NS6detail17trampoline_kernelINS0_14default_configENS1_27scan_by_key_config_selectorIiiEEZZNS1_16scan_by_key_implILNS1_25lookback_scan_determinismE0ELb0ES3_N6thrust23THRUST_200600_302600_NS6detail15normal_iteratorINS9_10device_ptrIiEEEENS9_18transform_iteratorINS9_6negateIiEESE_NS9_11use_defaultESI_EESE_iNS9_4plusIvEENS9_8equal_toIvEEiEE10hipError_tPvRmT2_T3_T4_T5_mT6_T7_P12ihipStream_tbENKUlT_T0_E_clISt17integral_constantIbLb1EES13_IbLb0EEEEDaSZ_S10_EUlSZ_E_NS1_11comp_targetILNS1_3genE2ELNS1_11target_archE906ELNS1_3gpuE6ELNS1_3repE0EEENS1_30default_config_static_selectorELNS0_4arch9wavefront6targetE0EEEvT1_.num_named_barrier, 0
	.set _ZN7rocprim17ROCPRIM_400000_NS6detail17trampoline_kernelINS0_14default_configENS1_27scan_by_key_config_selectorIiiEEZZNS1_16scan_by_key_implILNS1_25lookback_scan_determinismE0ELb0ES3_N6thrust23THRUST_200600_302600_NS6detail15normal_iteratorINS9_10device_ptrIiEEEENS9_18transform_iteratorINS9_6negateIiEESE_NS9_11use_defaultESI_EESE_iNS9_4plusIvEENS9_8equal_toIvEEiEE10hipError_tPvRmT2_T3_T4_T5_mT6_T7_P12ihipStream_tbENKUlT_T0_E_clISt17integral_constantIbLb1EES13_IbLb0EEEEDaSZ_S10_EUlSZ_E_NS1_11comp_targetILNS1_3genE2ELNS1_11target_archE906ELNS1_3gpuE6ELNS1_3repE0EEENS1_30default_config_static_selectorELNS0_4arch9wavefront6targetE0EEEvT1_.private_seg_size, 0
	.set _ZN7rocprim17ROCPRIM_400000_NS6detail17trampoline_kernelINS0_14default_configENS1_27scan_by_key_config_selectorIiiEEZZNS1_16scan_by_key_implILNS1_25lookback_scan_determinismE0ELb0ES3_N6thrust23THRUST_200600_302600_NS6detail15normal_iteratorINS9_10device_ptrIiEEEENS9_18transform_iteratorINS9_6negateIiEESE_NS9_11use_defaultESI_EESE_iNS9_4plusIvEENS9_8equal_toIvEEiEE10hipError_tPvRmT2_T3_T4_T5_mT6_T7_P12ihipStream_tbENKUlT_T0_E_clISt17integral_constantIbLb1EES13_IbLb0EEEEDaSZ_S10_EUlSZ_E_NS1_11comp_targetILNS1_3genE2ELNS1_11target_archE906ELNS1_3gpuE6ELNS1_3repE0EEENS1_30default_config_static_selectorELNS0_4arch9wavefront6targetE0EEEvT1_.uses_vcc, 0
	.set _ZN7rocprim17ROCPRIM_400000_NS6detail17trampoline_kernelINS0_14default_configENS1_27scan_by_key_config_selectorIiiEEZZNS1_16scan_by_key_implILNS1_25lookback_scan_determinismE0ELb0ES3_N6thrust23THRUST_200600_302600_NS6detail15normal_iteratorINS9_10device_ptrIiEEEENS9_18transform_iteratorINS9_6negateIiEESE_NS9_11use_defaultESI_EESE_iNS9_4plusIvEENS9_8equal_toIvEEiEE10hipError_tPvRmT2_T3_T4_T5_mT6_T7_P12ihipStream_tbENKUlT_T0_E_clISt17integral_constantIbLb1EES13_IbLb0EEEEDaSZ_S10_EUlSZ_E_NS1_11comp_targetILNS1_3genE2ELNS1_11target_archE906ELNS1_3gpuE6ELNS1_3repE0EEENS1_30default_config_static_selectorELNS0_4arch9wavefront6targetE0EEEvT1_.uses_flat_scratch, 0
	.set _ZN7rocprim17ROCPRIM_400000_NS6detail17trampoline_kernelINS0_14default_configENS1_27scan_by_key_config_selectorIiiEEZZNS1_16scan_by_key_implILNS1_25lookback_scan_determinismE0ELb0ES3_N6thrust23THRUST_200600_302600_NS6detail15normal_iteratorINS9_10device_ptrIiEEEENS9_18transform_iteratorINS9_6negateIiEESE_NS9_11use_defaultESI_EESE_iNS9_4plusIvEENS9_8equal_toIvEEiEE10hipError_tPvRmT2_T3_T4_T5_mT6_T7_P12ihipStream_tbENKUlT_T0_E_clISt17integral_constantIbLb1EES13_IbLb0EEEEDaSZ_S10_EUlSZ_E_NS1_11comp_targetILNS1_3genE2ELNS1_11target_archE906ELNS1_3gpuE6ELNS1_3repE0EEENS1_30default_config_static_selectorELNS0_4arch9wavefront6targetE0EEEvT1_.has_dyn_sized_stack, 0
	.set _ZN7rocprim17ROCPRIM_400000_NS6detail17trampoline_kernelINS0_14default_configENS1_27scan_by_key_config_selectorIiiEEZZNS1_16scan_by_key_implILNS1_25lookback_scan_determinismE0ELb0ES3_N6thrust23THRUST_200600_302600_NS6detail15normal_iteratorINS9_10device_ptrIiEEEENS9_18transform_iteratorINS9_6negateIiEESE_NS9_11use_defaultESI_EESE_iNS9_4plusIvEENS9_8equal_toIvEEiEE10hipError_tPvRmT2_T3_T4_T5_mT6_T7_P12ihipStream_tbENKUlT_T0_E_clISt17integral_constantIbLb1EES13_IbLb0EEEEDaSZ_S10_EUlSZ_E_NS1_11comp_targetILNS1_3genE2ELNS1_11target_archE906ELNS1_3gpuE6ELNS1_3repE0EEENS1_30default_config_static_selectorELNS0_4arch9wavefront6targetE0EEEvT1_.has_recursion, 0
	.set _ZN7rocprim17ROCPRIM_400000_NS6detail17trampoline_kernelINS0_14default_configENS1_27scan_by_key_config_selectorIiiEEZZNS1_16scan_by_key_implILNS1_25lookback_scan_determinismE0ELb0ES3_N6thrust23THRUST_200600_302600_NS6detail15normal_iteratorINS9_10device_ptrIiEEEENS9_18transform_iteratorINS9_6negateIiEESE_NS9_11use_defaultESI_EESE_iNS9_4plusIvEENS9_8equal_toIvEEiEE10hipError_tPvRmT2_T3_T4_T5_mT6_T7_P12ihipStream_tbENKUlT_T0_E_clISt17integral_constantIbLb1EES13_IbLb0EEEEDaSZ_S10_EUlSZ_E_NS1_11comp_targetILNS1_3genE2ELNS1_11target_archE906ELNS1_3gpuE6ELNS1_3repE0EEENS1_30default_config_static_selectorELNS0_4arch9wavefront6targetE0EEEvT1_.has_indirect_call, 0
	.section	.AMDGPU.csdata,"",@progbits
; Kernel info:
; codeLenInByte = 0
; TotalNumSgprs: 0
; NumVgprs: 0
; ScratchSize: 0
; MemoryBound: 0
; FloatMode: 240
; IeeeMode: 1
; LDSByteSize: 0 bytes/workgroup (compile time only)
; SGPRBlocks: 0
; VGPRBlocks: 0
; NumSGPRsForWavesPerEU: 1
; NumVGPRsForWavesPerEU: 1
; Occupancy: 16
; WaveLimiterHint : 0
; COMPUTE_PGM_RSRC2:SCRATCH_EN: 0
; COMPUTE_PGM_RSRC2:USER_SGPR: 6
; COMPUTE_PGM_RSRC2:TRAP_HANDLER: 0
; COMPUTE_PGM_RSRC2:TGID_X_EN: 1
; COMPUTE_PGM_RSRC2:TGID_Y_EN: 0
; COMPUTE_PGM_RSRC2:TGID_Z_EN: 0
; COMPUTE_PGM_RSRC2:TIDIG_COMP_CNT: 0
	.section	.text._ZN7rocprim17ROCPRIM_400000_NS6detail17trampoline_kernelINS0_14default_configENS1_27scan_by_key_config_selectorIiiEEZZNS1_16scan_by_key_implILNS1_25lookback_scan_determinismE0ELb0ES3_N6thrust23THRUST_200600_302600_NS6detail15normal_iteratorINS9_10device_ptrIiEEEENS9_18transform_iteratorINS9_6negateIiEESE_NS9_11use_defaultESI_EESE_iNS9_4plusIvEENS9_8equal_toIvEEiEE10hipError_tPvRmT2_T3_T4_T5_mT6_T7_P12ihipStream_tbENKUlT_T0_E_clISt17integral_constantIbLb1EES13_IbLb0EEEEDaSZ_S10_EUlSZ_E_NS1_11comp_targetILNS1_3genE10ELNS1_11target_archE1200ELNS1_3gpuE4ELNS1_3repE0EEENS1_30default_config_static_selectorELNS0_4arch9wavefront6targetE0EEEvT1_,"axG",@progbits,_ZN7rocprim17ROCPRIM_400000_NS6detail17trampoline_kernelINS0_14default_configENS1_27scan_by_key_config_selectorIiiEEZZNS1_16scan_by_key_implILNS1_25lookback_scan_determinismE0ELb0ES3_N6thrust23THRUST_200600_302600_NS6detail15normal_iteratorINS9_10device_ptrIiEEEENS9_18transform_iteratorINS9_6negateIiEESE_NS9_11use_defaultESI_EESE_iNS9_4plusIvEENS9_8equal_toIvEEiEE10hipError_tPvRmT2_T3_T4_T5_mT6_T7_P12ihipStream_tbENKUlT_T0_E_clISt17integral_constantIbLb1EES13_IbLb0EEEEDaSZ_S10_EUlSZ_E_NS1_11comp_targetILNS1_3genE10ELNS1_11target_archE1200ELNS1_3gpuE4ELNS1_3repE0EEENS1_30default_config_static_selectorELNS0_4arch9wavefront6targetE0EEEvT1_,comdat
	.protected	_ZN7rocprim17ROCPRIM_400000_NS6detail17trampoline_kernelINS0_14default_configENS1_27scan_by_key_config_selectorIiiEEZZNS1_16scan_by_key_implILNS1_25lookback_scan_determinismE0ELb0ES3_N6thrust23THRUST_200600_302600_NS6detail15normal_iteratorINS9_10device_ptrIiEEEENS9_18transform_iteratorINS9_6negateIiEESE_NS9_11use_defaultESI_EESE_iNS9_4plusIvEENS9_8equal_toIvEEiEE10hipError_tPvRmT2_T3_T4_T5_mT6_T7_P12ihipStream_tbENKUlT_T0_E_clISt17integral_constantIbLb1EES13_IbLb0EEEEDaSZ_S10_EUlSZ_E_NS1_11comp_targetILNS1_3genE10ELNS1_11target_archE1200ELNS1_3gpuE4ELNS1_3repE0EEENS1_30default_config_static_selectorELNS0_4arch9wavefront6targetE0EEEvT1_ ; -- Begin function _ZN7rocprim17ROCPRIM_400000_NS6detail17trampoline_kernelINS0_14default_configENS1_27scan_by_key_config_selectorIiiEEZZNS1_16scan_by_key_implILNS1_25lookback_scan_determinismE0ELb0ES3_N6thrust23THRUST_200600_302600_NS6detail15normal_iteratorINS9_10device_ptrIiEEEENS9_18transform_iteratorINS9_6negateIiEESE_NS9_11use_defaultESI_EESE_iNS9_4plusIvEENS9_8equal_toIvEEiEE10hipError_tPvRmT2_T3_T4_T5_mT6_T7_P12ihipStream_tbENKUlT_T0_E_clISt17integral_constantIbLb1EES13_IbLb0EEEEDaSZ_S10_EUlSZ_E_NS1_11comp_targetILNS1_3genE10ELNS1_11target_archE1200ELNS1_3gpuE4ELNS1_3repE0EEENS1_30default_config_static_selectorELNS0_4arch9wavefront6targetE0EEEvT1_
	.globl	_ZN7rocprim17ROCPRIM_400000_NS6detail17trampoline_kernelINS0_14default_configENS1_27scan_by_key_config_selectorIiiEEZZNS1_16scan_by_key_implILNS1_25lookback_scan_determinismE0ELb0ES3_N6thrust23THRUST_200600_302600_NS6detail15normal_iteratorINS9_10device_ptrIiEEEENS9_18transform_iteratorINS9_6negateIiEESE_NS9_11use_defaultESI_EESE_iNS9_4plusIvEENS9_8equal_toIvEEiEE10hipError_tPvRmT2_T3_T4_T5_mT6_T7_P12ihipStream_tbENKUlT_T0_E_clISt17integral_constantIbLb1EES13_IbLb0EEEEDaSZ_S10_EUlSZ_E_NS1_11comp_targetILNS1_3genE10ELNS1_11target_archE1200ELNS1_3gpuE4ELNS1_3repE0EEENS1_30default_config_static_selectorELNS0_4arch9wavefront6targetE0EEEvT1_
	.p2align	8
	.type	_ZN7rocprim17ROCPRIM_400000_NS6detail17trampoline_kernelINS0_14default_configENS1_27scan_by_key_config_selectorIiiEEZZNS1_16scan_by_key_implILNS1_25lookback_scan_determinismE0ELb0ES3_N6thrust23THRUST_200600_302600_NS6detail15normal_iteratorINS9_10device_ptrIiEEEENS9_18transform_iteratorINS9_6negateIiEESE_NS9_11use_defaultESI_EESE_iNS9_4plusIvEENS9_8equal_toIvEEiEE10hipError_tPvRmT2_T3_T4_T5_mT6_T7_P12ihipStream_tbENKUlT_T0_E_clISt17integral_constantIbLb1EES13_IbLb0EEEEDaSZ_S10_EUlSZ_E_NS1_11comp_targetILNS1_3genE10ELNS1_11target_archE1200ELNS1_3gpuE4ELNS1_3repE0EEENS1_30default_config_static_selectorELNS0_4arch9wavefront6targetE0EEEvT1_,@function
_ZN7rocprim17ROCPRIM_400000_NS6detail17trampoline_kernelINS0_14default_configENS1_27scan_by_key_config_selectorIiiEEZZNS1_16scan_by_key_implILNS1_25lookback_scan_determinismE0ELb0ES3_N6thrust23THRUST_200600_302600_NS6detail15normal_iteratorINS9_10device_ptrIiEEEENS9_18transform_iteratorINS9_6negateIiEESE_NS9_11use_defaultESI_EESE_iNS9_4plusIvEENS9_8equal_toIvEEiEE10hipError_tPvRmT2_T3_T4_T5_mT6_T7_P12ihipStream_tbENKUlT_T0_E_clISt17integral_constantIbLb1EES13_IbLb0EEEEDaSZ_S10_EUlSZ_E_NS1_11comp_targetILNS1_3genE10ELNS1_11target_archE1200ELNS1_3gpuE4ELNS1_3repE0EEENS1_30default_config_static_selectorELNS0_4arch9wavefront6targetE0EEEvT1_: ; @_ZN7rocprim17ROCPRIM_400000_NS6detail17trampoline_kernelINS0_14default_configENS1_27scan_by_key_config_selectorIiiEEZZNS1_16scan_by_key_implILNS1_25lookback_scan_determinismE0ELb0ES3_N6thrust23THRUST_200600_302600_NS6detail15normal_iteratorINS9_10device_ptrIiEEEENS9_18transform_iteratorINS9_6negateIiEESE_NS9_11use_defaultESI_EESE_iNS9_4plusIvEENS9_8equal_toIvEEiEE10hipError_tPvRmT2_T3_T4_T5_mT6_T7_P12ihipStream_tbENKUlT_T0_E_clISt17integral_constantIbLb1EES13_IbLb0EEEEDaSZ_S10_EUlSZ_E_NS1_11comp_targetILNS1_3genE10ELNS1_11target_archE1200ELNS1_3gpuE4ELNS1_3repE0EEENS1_30default_config_static_selectorELNS0_4arch9wavefront6targetE0EEEvT1_
; %bb.0:
	.section	.rodata,"a",@progbits
	.p2align	6, 0x0
	.amdhsa_kernel _ZN7rocprim17ROCPRIM_400000_NS6detail17trampoline_kernelINS0_14default_configENS1_27scan_by_key_config_selectorIiiEEZZNS1_16scan_by_key_implILNS1_25lookback_scan_determinismE0ELb0ES3_N6thrust23THRUST_200600_302600_NS6detail15normal_iteratorINS9_10device_ptrIiEEEENS9_18transform_iteratorINS9_6negateIiEESE_NS9_11use_defaultESI_EESE_iNS9_4plusIvEENS9_8equal_toIvEEiEE10hipError_tPvRmT2_T3_T4_T5_mT6_T7_P12ihipStream_tbENKUlT_T0_E_clISt17integral_constantIbLb1EES13_IbLb0EEEEDaSZ_S10_EUlSZ_E_NS1_11comp_targetILNS1_3genE10ELNS1_11target_archE1200ELNS1_3gpuE4ELNS1_3repE0EEENS1_30default_config_static_selectorELNS0_4arch9wavefront6targetE0EEEvT1_
		.amdhsa_group_segment_fixed_size 0
		.amdhsa_private_segment_fixed_size 0
		.amdhsa_kernarg_size 120
		.amdhsa_user_sgpr_count 6
		.amdhsa_user_sgpr_private_segment_buffer 1
		.amdhsa_user_sgpr_dispatch_ptr 0
		.amdhsa_user_sgpr_queue_ptr 0
		.amdhsa_user_sgpr_kernarg_segment_ptr 1
		.amdhsa_user_sgpr_dispatch_id 0
		.amdhsa_user_sgpr_flat_scratch_init 0
		.amdhsa_user_sgpr_private_segment_size 0
		.amdhsa_wavefront_size32 1
		.amdhsa_uses_dynamic_stack 0
		.amdhsa_system_sgpr_private_segment_wavefront_offset 0
		.amdhsa_system_sgpr_workgroup_id_x 1
		.amdhsa_system_sgpr_workgroup_id_y 0
		.amdhsa_system_sgpr_workgroup_id_z 0
		.amdhsa_system_sgpr_workgroup_info 0
		.amdhsa_system_vgpr_workitem_id 0
		.amdhsa_next_free_vgpr 1
		.amdhsa_next_free_sgpr 1
		.amdhsa_reserve_vcc 0
		.amdhsa_reserve_flat_scratch 0
		.amdhsa_float_round_mode_32 0
		.amdhsa_float_round_mode_16_64 0
		.amdhsa_float_denorm_mode_32 3
		.amdhsa_float_denorm_mode_16_64 3
		.amdhsa_dx10_clamp 1
		.amdhsa_ieee_mode 1
		.amdhsa_fp16_overflow 0
		.amdhsa_workgroup_processor_mode 1
		.amdhsa_memory_ordered 1
		.amdhsa_forward_progress 1
		.amdhsa_shared_vgpr_count 0
		.amdhsa_exception_fp_ieee_invalid_op 0
		.amdhsa_exception_fp_denorm_src 0
		.amdhsa_exception_fp_ieee_div_zero 0
		.amdhsa_exception_fp_ieee_overflow 0
		.amdhsa_exception_fp_ieee_underflow 0
		.amdhsa_exception_fp_ieee_inexact 0
		.amdhsa_exception_int_div_zero 0
	.end_amdhsa_kernel
	.section	.text._ZN7rocprim17ROCPRIM_400000_NS6detail17trampoline_kernelINS0_14default_configENS1_27scan_by_key_config_selectorIiiEEZZNS1_16scan_by_key_implILNS1_25lookback_scan_determinismE0ELb0ES3_N6thrust23THRUST_200600_302600_NS6detail15normal_iteratorINS9_10device_ptrIiEEEENS9_18transform_iteratorINS9_6negateIiEESE_NS9_11use_defaultESI_EESE_iNS9_4plusIvEENS9_8equal_toIvEEiEE10hipError_tPvRmT2_T3_T4_T5_mT6_T7_P12ihipStream_tbENKUlT_T0_E_clISt17integral_constantIbLb1EES13_IbLb0EEEEDaSZ_S10_EUlSZ_E_NS1_11comp_targetILNS1_3genE10ELNS1_11target_archE1200ELNS1_3gpuE4ELNS1_3repE0EEENS1_30default_config_static_selectorELNS0_4arch9wavefront6targetE0EEEvT1_,"axG",@progbits,_ZN7rocprim17ROCPRIM_400000_NS6detail17trampoline_kernelINS0_14default_configENS1_27scan_by_key_config_selectorIiiEEZZNS1_16scan_by_key_implILNS1_25lookback_scan_determinismE0ELb0ES3_N6thrust23THRUST_200600_302600_NS6detail15normal_iteratorINS9_10device_ptrIiEEEENS9_18transform_iteratorINS9_6negateIiEESE_NS9_11use_defaultESI_EESE_iNS9_4plusIvEENS9_8equal_toIvEEiEE10hipError_tPvRmT2_T3_T4_T5_mT6_T7_P12ihipStream_tbENKUlT_T0_E_clISt17integral_constantIbLb1EES13_IbLb0EEEEDaSZ_S10_EUlSZ_E_NS1_11comp_targetILNS1_3genE10ELNS1_11target_archE1200ELNS1_3gpuE4ELNS1_3repE0EEENS1_30default_config_static_selectorELNS0_4arch9wavefront6targetE0EEEvT1_,comdat
.Lfunc_end953:
	.size	_ZN7rocprim17ROCPRIM_400000_NS6detail17trampoline_kernelINS0_14default_configENS1_27scan_by_key_config_selectorIiiEEZZNS1_16scan_by_key_implILNS1_25lookback_scan_determinismE0ELb0ES3_N6thrust23THRUST_200600_302600_NS6detail15normal_iteratorINS9_10device_ptrIiEEEENS9_18transform_iteratorINS9_6negateIiEESE_NS9_11use_defaultESI_EESE_iNS9_4plusIvEENS9_8equal_toIvEEiEE10hipError_tPvRmT2_T3_T4_T5_mT6_T7_P12ihipStream_tbENKUlT_T0_E_clISt17integral_constantIbLb1EES13_IbLb0EEEEDaSZ_S10_EUlSZ_E_NS1_11comp_targetILNS1_3genE10ELNS1_11target_archE1200ELNS1_3gpuE4ELNS1_3repE0EEENS1_30default_config_static_selectorELNS0_4arch9wavefront6targetE0EEEvT1_, .Lfunc_end953-_ZN7rocprim17ROCPRIM_400000_NS6detail17trampoline_kernelINS0_14default_configENS1_27scan_by_key_config_selectorIiiEEZZNS1_16scan_by_key_implILNS1_25lookback_scan_determinismE0ELb0ES3_N6thrust23THRUST_200600_302600_NS6detail15normal_iteratorINS9_10device_ptrIiEEEENS9_18transform_iteratorINS9_6negateIiEESE_NS9_11use_defaultESI_EESE_iNS9_4plusIvEENS9_8equal_toIvEEiEE10hipError_tPvRmT2_T3_T4_T5_mT6_T7_P12ihipStream_tbENKUlT_T0_E_clISt17integral_constantIbLb1EES13_IbLb0EEEEDaSZ_S10_EUlSZ_E_NS1_11comp_targetILNS1_3genE10ELNS1_11target_archE1200ELNS1_3gpuE4ELNS1_3repE0EEENS1_30default_config_static_selectorELNS0_4arch9wavefront6targetE0EEEvT1_
                                        ; -- End function
	.set _ZN7rocprim17ROCPRIM_400000_NS6detail17trampoline_kernelINS0_14default_configENS1_27scan_by_key_config_selectorIiiEEZZNS1_16scan_by_key_implILNS1_25lookback_scan_determinismE0ELb0ES3_N6thrust23THRUST_200600_302600_NS6detail15normal_iteratorINS9_10device_ptrIiEEEENS9_18transform_iteratorINS9_6negateIiEESE_NS9_11use_defaultESI_EESE_iNS9_4plusIvEENS9_8equal_toIvEEiEE10hipError_tPvRmT2_T3_T4_T5_mT6_T7_P12ihipStream_tbENKUlT_T0_E_clISt17integral_constantIbLb1EES13_IbLb0EEEEDaSZ_S10_EUlSZ_E_NS1_11comp_targetILNS1_3genE10ELNS1_11target_archE1200ELNS1_3gpuE4ELNS1_3repE0EEENS1_30default_config_static_selectorELNS0_4arch9wavefront6targetE0EEEvT1_.num_vgpr, 0
	.set _ZN7rocprim17ROCPRIM_400000_NS6detail17trampoline_kernelINS0_14default_configENS1_27scan_by_key_config_selectorIiiEEZZNS1_16scan_by_key_implILNS1_25lookback_scan_determinismE0ELb0ES3_N6thrust23THRUST_200600_302600_NS6detail15normal_iteratorINS9_10device_ptrIiEEEENS9_18transform_iteratorINS9_6negateIiEESE_NS9_11use_defaultESI_EESE_iNS9_4plusIvEENS9_8equal_toIvEEiEE10hipError_tPvRmT2_T3_T4_T5_mT6_T7_P12ihipStream_tbENKUlT_T0_E_clISt17integral_constantIbLb1EES13_IbLb0EEEEDaSZ_S10_EUlSZ_E_NS1_11comp_targetILNS1_3genE10ELNS1_11target_archE1200ELNS1_3gpuE4ELNS1_3repE0EEENS1_30default_config_static_selectorELNS0_4arch9wavefront6targetE0EEEvT1_.num_agpr, 0
	.set _ZN7rocprim17ROCPRIM_400000_NS6detail17trampoline_kernelINS0_14default_configENS1_27scan_by_key_config_selectorIiiEEZZNS1_16scan_by_key_implILNS1_25lookback_scan_determinismE0ELb0ES3_N6thrust23THRUST_200600_302600_NS6detail15normal_iteratorINS9_10device_ptrIiEEEENS9_18transform_iteratorINS9_6negateIiEESE_NS9_11use_defaultESI_EESE_iNS9_4plusIvEENS9_8equal_toIvEEiEE10hipError_tPvRmT2_T3_T4_T5_mT6_T7_P12ihipStream_tbENKUlT_T0_E_clISt17integral_constantIbLb1EES13_IbLb0EEEEDaSZ_S10_EUlSZ_E_NS1_11comp_targetILNS1_3genE10ELNS1_11target_archE1200ELNS1_3gpuE4ELNS1_3repE0EEENS1_30default_config_static_selectorELNS0_4arch9wavefront6targetE0EEEvT1_.numbered_sgpr, 0
	.set _ZN7rocprim17ROCPRIM_400000_NS6detail17trampoline_kernelINS0_14default_configENS1_27scan_by_key_config_selectorIiiEEZZNS1_16scan_by_key_implILNS1_25lookback_scan_determinismE0ELb0ES3_N6thrust23THRUST_200600_302600_NS6detail15normal_iteratorINS9_10device_ptrIiEEEENS9_18transform_iteratorINS9_6negateIiEESE_NS9_11use_defaultESI_EESE_iNS9_4plusIvEENS9_8equal_toIvEEiEE10hipError_tPvRmT2_T3_T4_T5_mT6_T7_P12ihipStream_tbENKUlT_T0_E_clISt17integral_constantIbLb1EES13_IbLb0EEEEDaSZ_S10_EUlSZ_E_NS1_11comp_targetILNS1_3genE10ELNS1_11target_archE1200ELNS1_3gpuE4ELNS1_3repE0EEENS1_30default_config_static_selectorELNS0_4arch9wavefront6targetE0EEEvT1_.num_named_barrier, 0
	.set _ZN7rocprim17ROCPRIM_400000_NS6detail17trampoline_kernelINS0_14default_configENS1_27scan_by_key_config_selectorIiiEEZZNS1_16scan_by_key_implILNS1_25lookback_scan_determinismE0ELb0ES3_N6thrust23THRUST_200600_302600_NS6detail15normal_iteratorINS9_10device_ptrIiEEEENS9_18transform_iteratorINS9_6negateIiEESE_NS9_11use_defaultESI_EESE_iNS9_4plusIvEENS9_8equal_toIvEEiEE10hipError_tPvRmT2_T3_T4_T5_mT6_T7_P12ihipStream_tbENKUlT_T0_E_clISt17integral_constantIbLb1EES13_IbLb0EEEEDaSZ_S10_EUlSZ_E_NS1_11comp_targetILNS1_3genE10ELNS1_11target_archE1200ELNS1_3gpuE4ELNS1_3repE0EEENS1_30default_config_static_selectorELNS0_4arch9wavefront6targetE0EEEvT1_.private_seg_size, 0
	.set _ZN7rocprim17ROCPRIM_400000_NS6detail17trampoline_kernelINS0_14default_configENS1_27scan_by_key_config_selectorIiiEEZZNS1_16scan_by_key_implILNS1_25lookback_scan_determinismE0ELb0ES3_N6thrust23THRUST_200600_302600_NS6detail15normal_iteratorINS9_10device_ptrIiEEEENS9_18transform_iteratorINS9_6negateIiEESE_NS9_11use_defaultESI_EESE_iNS9_4plusIvEENS9_8equal_toIvEEiEE10hipError_tPvRmT2_T3_T4_T5_mT6_T7_P12ihipStream_tbENKUlT_T0_E_clISt17integral_constantIbLb1EES13_IbLb0EEEEDaSZ_S10_EUlSZ_E_NS1_11comp_targetILNS1_3genE10ELNS1_11target_archE1200ELNS1_3gpuE4ELNS1_3repE0EEENS1_30default_config_static_selectorELNS0_4arch9wavefront6targetE0EEEvT1_.uses_vcc, 0
	.set _ZN7rocprim17ROCPRIM_400000_NS6detail17trampoline_kernelINS0_14default_configENS1_27scan_by_key_config_selectorIiiEEZZNS1_16scan_by_key_implILNS1_25lookback_scan_determinismE0ELb0ES3_N6thrust23THRUST_200600_302600_NS6detail15normal_iteratorINS9_10device_ptrIiEEEENS9_18transform_iteratorINS9_6negateIiEESE_NS9_11use_defaultESI_EESE_iNS9_4plusIvEENS9_8equal_toIvEEiEE10hipError_tPvRmT2_T3_T4_T5_mT6_T7_P12ihipStream_tbENKUlT_T0_E_clISt17integral_constantIbLb1EES13_IbLb0EEEEDaSZ_S10_EUlSZ_E_NS1_11comp_targetILNS1_3genE10ELNS1_11target_archE1200ELNS1_3gpuE4ELNS1_3repE0EEENS1_30default_config_static_selectorELNS0_4arch9wavefront6targetE0EEEvT1_.uses_flat_scratch, 0
	.set _ZN7rocprim17ROCPRIM_400000_NS6detail17trampoline_kernelINS0_14default_configENS1_27scan_by_key_config_selectorIiiEEZZNS1_16scan_by_key_implILNS1_25lookback_scan_determinismE0ELb0ES3_N6thrust23THRUST_200600_302600_NS6detail15normal_iteratorINS9_10device_ptrIiEEEENS9_18transform_iteratorINS9_6negateIiEESE_NS9_11use_defaultESI_EESE_iNS9_4plusIvEENS9_8equal_toIvEEiEE10hipError_tPvRmT2_T3_T4_T5_mT6_T7_P12ihipStream_tbENKUlT_T0_E_clISt17integral_constantIbLb1EES13_IbLb0EEEEDaSZ_S10_EUlSZ_E_NS1_11comp_targetILNS1_3genE10ELNS1_11target_archE1200ELNS1_3gpuE4ELNS1_3repE0EEENS1_30default_config_static_selectorELNS0_4arch9wavefront6targetE0EEEvT1_.has_dyn_sized_stack, 0
	.set _ZN7rocprim17ROCPRIM_400000_NS6detail17trampoline_kernelINS0_14default_configENS1_27scan_by_key_config_selectorIiiEEZZNS1_16scan_by_key_implILNS1_25lookback_scan_determinismE0ELb0ES3_N6thrust23THRUST_200600_302600_NS6detail15normal_iteratorINS9_10device_ptrIiEEEENS9_18transform_iteratorINS9_6negateIiEESE_NS9_11use_defaultESI_EESE_iNS9_4plusIvEENS9_8equal_toIvEEiEE10hipError_tPvRmT2_T3_T4_T5_mT6_T7_P12ihipStream_tbENKUlT_T0_E_clISt17integral_constantIbLb1EES13_IbLb0EEEEDaSZ_S10_EUlSZ_E_NS1_11comp_targetILNS1_3genE10ELNS1_11target_archE1200ELNS1_3gpuE4ELNS1_3repE0EEENS1_30default_config_static_selectorELNS0_4arch9wavefront6targetE0EEEvT1_.has_recursion, 0
	.set _ZN7rocprim17ROCPRIM_400000_NS6detail17trampoline_kernelINS0_14default_configENS1_27scan_by_key_config_selectorIiiEEZZNS1_16scan_by_key_implILNS1_25lookback_scan_determinismE0ELb0ES3_N6thrust23THRUST_200600_302600_NS6detail15normal_iteratorINS9_10device_ptrIiEEEENS9_18transform_iteratorINS9_6negateIiEESE_NS9_11use_defaultESI_EESE_iNS9_4plusIvEENS9_8equal_toIvEEiEE10hipError_tPvRmT2_T3_T4_T5_mT6_T7_P12ihipStream_tbENKUlT_T0_E_clISt17integral_constantIbLb1EES13_IbLb0EEEEDaSZ_S10_EUlSZ_E_NS1_11comp_targetILNS1_3genE10ELNS1_11target_archE1200ELNS1_3gpuE4ELNS1_3repE0EEENS1_30default_config_static_selectorELNS0_4arch9wavefront6targetE0EEEvT1_.has_indirect_call, 0
	.section	.AMDGPU.csdata,"",@progbits
; Kernel info:
; codeLenInByte = 0
; TotalNumSgprs: 0
; NumVgprs: 0
; ScratchSize: 0
; MemoryBound: 0
; FloatMode: 240
; IeeeMode: 1
; LDSByteSize: 0 bytes/workgroup (compile time only)
; SGPRBlocks: 0
; VGPRBlocks: 0
; NumSGPRsForWavesPerEU: 1
; NumVGPRsForWavesPerEU: 1
; Occupancy: 16
; WaveLimiterHint : 0
; COMPUTE_PGM_RSRC2:SCRATCH_EN: 0
; COMPUTE_PGM_RSRC2:USER_SGPR: 6
; COMPUTE_PGM_RSRC2:TRAP_HANDLER: 0
; COMPUTE_PGM_RSRC2:TGID_X_EN: 1
; COMPUTE_PGM_RSRC2:TGID_Y_EN: 0
; COMPUTE_PGM_RSRC2:TGID_Z_EN: 0
; COMPUTE_PGM_RSRC2:TIDIG_COMP_CNT: 0
	.section	.text._ZN7rocprim17ROCPRIM_400000_NS6detail17trampoline_kernelINS0_14default_configENS1_27scan_by_key_config_selectorIiiEEZZNS1_16scan_by_key_implILNS1_25lookback_scan_determinismE0ELb0ES3_N6thrust23THRUST_200600_302600_NS6detail15normal_iteratorINS9_10device_ptrIiEEEENS9_18transform_iteratorINS9_6negateIiEESE_NS9_11use_defaultESI_EESE_iNS9_4plusIvEENS9_8equal_toIvEEiEE10hipError_tPvRmT2_T3_T4_T5_mT6_T7_P12ihipStream_tbENKUlT_T0_E_clISt17integral_constantIbLb1EES13_IbLb0EEEEDaSZ_S10_EUlSZ_E_NS1_11comp_targetILNS1_3genE9ELNS1_11target_archE1100ELNS1_3gpuE3ELNS1_3repE0EEENS1_30default_config_static_selectorELNS0_4arch9wavefront6targetE0EEEvT1_,"axG",@progbits,_ZN7rocprim17ROCPRIM_400000_NS6detail17trampoline_kernelINS0_14default_configENS1_27scan_by_key_config_selectorIiiEEZZNS1_16scan_by_key_implILNS1_25lookback_scan_determinismE0ELb0ES3_N6thrust23THRUST_200600_302600_NS6detail15normal_iteratorINS9_10device_ptrIiEEEENS9_18transform_iteratorINS9_6negateIiEESE_NS9_11use_defaultESI_EESE_iNS9_4plusIvEENS9_8equal_toIvEEiEE10hipError_tPvRmT2_T3_T4_T5_mT6_T7_P12ihipStream_tbENKUlT_T0_E_clISt17integral_constantIbLb1EES13_IbLb0EEEEDaSZ_S10_EUlSZ_E_NS1_11comp_targetILNS1_3genE9ELNS1_11target_archE1100ELNS1_3gpuE3ELNS1_3repE0EEENS1_30default_config_static_selectorELNS0_4arch9wavefront6targetE0EEEvT1_,comdat
	.protected	_ZN7rocprim17ROCPRIM_400000_NS6detail17trampoline_kernelINS0_14default_configENS1_27scan_by_key_config_selectorIiiEEZZNS1_16scan_by_key_implILNS1_25lookback_scan_determinismE0ELb0ES3_N6thrust23THRUST_200600_302600_NS6detail15normal_iteratorINS9_10device_ptrIiEEEENS9_18transform_iteratorINS9_6negateIiEESE_NS9_11use_defaultESI_EESE_iNS9_4plusIvEENS9_8equal_toIvEEiEE10hipError_tPvRmT2_T3_T4_T5_mT6_T7_P12ihipStream_tbENKUlT_T0_E_clISt17integral_constantIbLb1EES13_IbLb0EEEEDaSZ_S10_EUlSZ_E_NS1_11comp_targetILNS1_3genE9ELNS1_11target_archE1100ELNS1_3gpuE3ELNS1_3repE0EEENS1_30default_config_static_selectorELNS0_4arch9wavefront6targetE0EEEvT1_ ; -- Begin function _ZN7rocprim17ROCPRIM_400000_NS6detail17trampoline_kernelINS0_14default_configENS1_27scan_by_key_config_selectorIiiEEZZNS1_16scan_by_key_implILNS1_25lookback_scan_determinismE0ELb0ES3_N6thrust23THRUST_200600_302600_NS6detail15normal_iteratorINS9_10device_ptrIiEEEENS9_18transform_iteratorINS9_6negateIiEESE_NS9_11use_defaultESI_EESE_iNS9_4plusIvEENS9_8equal_toIvEEiEE10hipError_tPvRmT2_T3_T4_T5_mT6_T7_P12ihipStream_tbENKUlT_T0_E_clISt17integral_constantIbLb1EES13_IbLb0EEEEDaSZ_S10_EUlSZ_E_NS1_11comp_targetILNS1_3genE9ELNS1_11target_archE1100ELNS1_3gpuE3ELNS1_3repE0EEENS1_30default_config_static_selectorELNS0_4arch9wavefront6targetE0EEEvT1_
	.globl	_ZN7rocprim17ROCPRIM_400000_NS6detail17trampoline_kernelINS0_14default_configENS1_27scan_by_key_config_selectorIiiEEZZNS1_16scan_by_key_implILNS1_25lookback_scan_determinismE0ELb0ES3_N6thrust23THRUST_200600_302600_NS6detail15normal_iteratorINS9_10device_ptrIiEEEENS9_18transform_iteratorINS9_6negateIiEESE_NS9_11use_defaultESI_EESE_iNS9_4plusIvEENS9_8equal_toIvEEiEE10hipError_tPvRmT2_T3_T4_T5_mT6_T7_P12ihipStream_tbENKUlT_T0_E_clISt17integral_constantIbLb1EES13_IbLb0EEEEDaSZ_S10_EUlSZ_E_NS1_11comp_targetILNS1_3genE9ELNS1_11target_archE1100ELNS1_3gpuE3ELNS1_3repE0EEENS1_30default_config_static_selectorELNS0_4arch9wavefront6targetE0EEEvT1_
	.p2align	8
	.type	_ZN7rocprim17ROCPRIM_400000_NS6detail17trampoline_kernelINS0_14default_configENS1_27scan_by_key_config_selectorIiiEEZZNS1_16scan_by_key_implILNS1_25lookback_scan_determinismE0ELb0ES3_N6thrust23THRUST_200600_302600_NS6detail15normal_iteratorINS9_10device_ptrIiEEEENS9_18transform_iteratorINS9_6negateIiEESE_NS9_11use_defaultESI_EESE_iNS9_4plusIvEENS9_8equal_toIvEEiEE10hipError_tPvRmT2_T3_T4_T5_mT6_T7_P12ihipStream_tbENKUlT_T0_E_clISt17integral_constantIbLb1EES13_IbLb0EEEEDaSZ_S10_EUlSZ_E_NS1_11comp_targetILNS1_3genE9ELNS1_11target_archE1100ELNS1_3gpuE3ELNS1_3repE0EEENS1_30default_config_static_selectorELNS0_4arch9wavefront6targetE0EEEvT1_,@function
_ZN7rocprim17ROCPRIM_400000_NS6detail17trampoline_kernelINS0_14default_configENS1_27scan_by_key_config_selectorIiiEEZZNS1_16scan_by_key_implILNS1_25lookback_scan_determinismE0ELb0ES3_N6thrust23THRUST_200600_302600_NS6detail15normal_iteratorINS9_10device_ptrIiEEEENS9_18transform_iteratorINS9_6negateIiEESE_NS9_11use_defaultESI_EESE_iNS9_4plusIvEENS9_8equal_toIvEEiEE10hipError_tPvRmT2_T3_T4_T5_mT6_T7_P12ihipStream_tbENKUlT_T0_E_clISt17integral_constantIbLb1EES13_IbLb0EEEEDaSZ_S10_EUlSZ_E_NS1_11comp_targetILNS1_3genE9ELNS1_11target_archE1100ELNS1_3gpuE3ELNS1_3repE0EEENS1_30default_config_static_selectorELNS0_4arch9wavefront6targetE0EEEvT1_: ; @_ZN7rocprim17ROCPRIM_400000_NS6detail17trampoline_kernelINS0_14default_configENS1_27scan_by_key_config_selectorIiiEEZZNS1_16scan_by_key_implILNS1_25lookback_scan_determinismE0ELb0ES3_N6thrust23THRUST_200600_302600_NS6detail15normal_iteratorINS9_10device_ptrIiEEEENS9_18transform_iteratorINS9_6negateIiEESE_NS9_11use_defaultESI_EESE_iNS9_4plusIvEENS9_8equal_toIvEEiEE10hipError_tPvRmT2_T3_T4_T5_mT6_T7_P12ihipStream_tbENKUlT_T0_E_clISt17integral_constantIbLb1EES13_IbLb0EEEEDaSZ_S10_EUlSZ_E_NS1_11comp_targetILNS1_3genE9ELNS1_11target_archE1100ELNS1_3gpuE3ELNS1_3repE0EEENS1_30default_config_static_selectorELNS0_4arch9wavefront6targetE0EEEvT1_
; %bb.0:
	.section	.rodata,"a",@progbits
	.p2align	6, 0x0
	.amdhsa_kernel _ZN7rocprim17ROCPRIM_400000_NS6detail17trampoline_kernelINS0_14default_configENS1_27scan_by_key_config_selectorIiiEEZZNS1_16scan_by_key_implILNS1_25lookback_scan_determinismE0ELb0ES3_N6thrust23THRUST_200600_302600_NS6detail15normal_iteratorINS9_10device_ptrIiEEEENS9_18transform_iteratorINS9_6negateIiEESE_NS9_11use_defaultESI_EESE_iNS9_4plusIvEENS9_8equal_toIvEEiEE10hipError_tPvRmT2_T3_T4_T5_mT6_T7_P12ihipStream_tbENKUlT_T0_E_clISt17integral_constantIbLb1EES13_IbLb0EEEEDaSZ_S10_EUlSZ_E_NS1_11comp_targetILNS1_3genE9ELNS1_11target_archE1100ELNS1_3gpuE3ELNS1_3repE0EEENS1_30default_config_static_selectorELNS0_4arch9wavefront6targetE0EEEvT1_
		.amdhsa_group_segment_fixed_size 0
		.amdhsa_private_segment_fixed_size 0
		.amdhsa_kernarg_size 120
		.amdhsa_user_sgpr_count 6
		.amdhsa_user_sgpr_private_segment_buffer 1
		.amdhsa_user_sgpr_dispatch_ptr 0
		.amdhsa_user_sgpr_queue_ptr 0
		.amdhsa_user_sgpr_kernarg_segment_ptr 1
		.amdhsa_user_sgpr_dispatch_id 0
		.amdhsa_user_sgpr_flat_scratch_init 0
		.amdhsa_user_sgpr_private_segment_size 0
		.amdhsa_wavefront_size32 1
		.amdhsa_uses_dynamic_stack 0
		.amdhsa_system_sgpr_private_segment_wavefront_offset 0
		.amdhsa_system_sgpr_workgroup_id_x 1
		.amdhsa_system_sgpr_workgroup_id_y 0
		.amdhsa_system_sgpr_workgroup_id_z 0
		.amdhsa_system_sgpr_workgroup_info 0
		.amdhsa_system_vgpr_workitem_id 0
		.amdhsa_next_free_vgpr 1
		.amdhsa_next_free_sgpr 1
		.amdhsa_reserve_vcc 0
		.amdhsa_reserve_flat_scratch 0
		.amdhsa_float_round_mode_32 0
		.amdhsa_float_round_mode_16_64 0
		.amdhsa_float_denorm_mode_32 3
		.amdhsa_float_denorm_mode_16_64 3
		.amdhsa_dx10_clamp 1
		.amdhsa_ieee_mode 1
		.amdhsa_fp16_overflow 0
		.amdhsa_workgroup_processor_mode 1
		.amdhsa_memory_ordered 1
		.amdhsa_forward_progress 1
		.amdhsa_shared_vgpr_count 0
		.amdhsa_exception_fp_ieee_invalid_op 0
		.amdhsa_exception_fp_denorm_src 0
		.amdhsa_exception_fp_ieee_div_zero 0
		.amdhsa_exception_fp_ieee_overflow 0
		.amdhsa_exception_fp_ieee_underflow 0
		.amdhsa_exception_fp_ieee_inexact 0
		.amdhsa_exception_int_div_zero 0
	.end_amdhsa_kernel
	.section	.text._ZN7rocprim17ROCPRIM_400000_NS6detail17trampoline_kernelINS0_14default_configENS1_27scan_by_key_config_selectorIiiEEZZNS1_16scan_by_key_implILNS1_25lookback_scan_determinismE0ELb0ES3_N6thrust23THRUST_200600_302600_NS6detail15normal_iteratorINS9_10device_ptrIiEEEENS9_18transform_iteratorINS9_6negateIiEESE_NS9_11use_defaultESI_EESE_iNS9_4plusIvEENS9_8equal_toIvEEiEE10hipError_tPvRmT2_T3_T4_T5_mT6_T7_P12ihipStream_tbENKUlT_T0_E_clISt17integral_constantIbLb1EES13_IbLb0EEEEDaSZ_S10_EUlSZ_E_NS1_11comp_targetILNS1_3genE9ELNS1_11target_archE1100ELNS1_3gpuE3ELNS1_3repE0EEENS1_30default_config_static_selectorELNS0_4arch9wavefront6targetE0EEEvT1_,"axG",@progbits,_ZN7rocprim17ROCPRIM_400000_NS6detail17trampoline_kernelINS0_14default_configENS1_27scan_by_key_config_selectorIiiEEZZNS1_16scan_by_key_implILNS1_25lookback_scan_determinismE0ELb0ES3_N6thrust23THRUST_200600_302600_NS6detail15normal_iteratorINS9_10device_ptrIiEEEENS9_18transform_iteratorINS9_6negateIiEESE_NS9_11use_defaultESI_EESE_iNS9_4plusIvEENS9_8equal_toIvEEiEE10hipError_tPvRmT2_T3_T4_T5_mT6_T7_P12ihipStream_tbENKUlT_T0_E_clISt17integral_constantIbLb1EES13_IbLb0EEEEDaSZ_S10_EUlSZ_E_NS1_11comp_targetILNS1_3genE9ELNS1_11target_archE1100ELNS1_3gpuE3ELNS1_3repE0EEENS1_30default_config_static_selectorELNS0_4arch9wavefront6targetE0EEEvT1_,comdat
.Lfunc_end954:
	.size	_ZN7rocprim17ROCPRIM_400000_NS6detail17trampoline_kernelINS0_14default_configENS1_27scan_by_key_config_selectorIiiEEZZNS1_16scan_by_key_implILNS1_25lookback_scan_determinismE0ELb0ES3_N6thrust23THRUST_200600_302600_NS6detail15normal_iteratorINS9_10device_ptrIiEEEENS9_18transform_iteratorINS9_6negateIiEESE_NS9_11use_defaultESI_EESE_iNS9_4plusIvEENS9_8equal_toIvEEiEE10hipError_tPvRmT2_T3_T4_T5_mT6_T7_P12ihipStream_tbENKUlT_T0_E_clISt17integral_constantIbLb1EES13_IbLb0EEEEDaSZ_S10_EUlSZ_E_NS1_11comp_targetILNS1_3genE9ELNS1_11target_archE1100ELNS1_3gpuE3ELNS1_3repE0EEENS1_30default_config_static_selectorELNS0_4arch9wavefront6targetE0EEEvT1_, .Lfunc_end954-_ZN7rocprim17ROCPRIM_400000_NS6detail17trampoline_kernelINS0_14default_configENS1_27scan_by_key_config_selectorIiiEEZZNS1_16scan_by_key_implILNS1_25lookback_scan_determinismE0ELb0ES3_N6thrust23THRUST_200600_302600_NS6detail15normal_iteratorINS9_10device_ptrIiEEEENS9_18transform_iteratorINS9_6negateIiEESE_NS9_11use_defaultESI_EESE_iNS9_4plusIvEENS9_8equal_toIvEEiEE10hipError_tPvRmT2_T3_T4_T5_mT6_T7_P12ihipStream_tbENKUlT_T0_E_clISt17integral_constantIbLb1EES13_IbLb0EEEEDaSZ_S10_EUlSZ_E_NS1_11comp_targetILNS1_3genE9ELNS1_11target_archE1100ELNS1_3gpuE3ELNS1_3repE0EEENS1_30default_config_static_selectorELNS0_4arch9wavefront6targetE0EEEvT1_
                                        ; -- End function
	.set _ZN7rocprim17ROCPRIM_400000_NS6detail17trampoline_kernelINS0_14default_configENS1_27scan_by_key_config_selectorIiiEEZZNS1_16scan_by_key_implILNS1_25lookback_scan_determinismE0ELb0ES3_N6thrust23THRUST_200600_302600_NS6detail15normal_iteratorINS9_10device_ptrIiEEEENS9_18transform_iteratorINS9_6negateIiEESE_NS9_11use_defaultESI_EESE_iNS9_4plusIvEENS9_8equal_toIvEEiEE10hipError_tPvRmT2_T3_T4_T5_mT6_T7_P12ihipStream_tbENKUlT_T0_E_clISt17integral_constantIbLb1EES13_IbLb0EEEEDaSZ_S10_EUlSZ_E_NS1_11comp_targetILNS1_3genE9ELNS1_11target_archE1100ELNS1_3gpuE3ELNS1_3repE0EEENS1_30default_config_static_selectorELNS0_4arch9wavefront6targetE0EEEvT1_.num_vgpr, 0
	.set _ZN7rocprim17ROCPRIM_400000_NS6detail17trampoline_kernelINS0_14default_configENS1_27scan_by_key_config_selectorIiiEEZZNS1_16scan_by_key_implILNS1_25lookback_scan_determinismE0ELb0ES3_N6thrust23THRUST_200600_302600_NS6detail15normal_iteratorINS9_10device_ptrIiEEEENS9_18transform_iteratorINS9_6negateIiEESE_NS9_11use_defaultESI_EESE_iNS9_4plusIvEENS9_8equal_toIvEEiEE10hipError_tPvRmT2_T3_T4_T5_mT6_T7_P12ihipStream_tbENKUlT_T0_E_clISt17integral_constantIbLb1EES13_IbLb0EEEEDaSZ_S10_EUlSZ_E_NS1_11comp_targetILNS1_3genE9ELNS1_11target_archE1100ELNS1_3gpuE3ELNS1_3repE0EEENS1_30default_config_static_selectorELNS0_4arch9wavefront6targetE0EEEvT1_.num_agpr, 0
	.set _ZN7rocprim17ROCPRIM_400000_NS6detail17trampoline_kernelINS0_14default_configENS1_27scan_by_key_config_selectorIiiEEZZNS1_16scan_by_key_implILNS1_25lookback_scan_determinismE0ELb0ES3_N6thrust23THRUST_200600_302600_NS6detail15normal_iteratorINS9_10device_ptrIiEEEENS9_18transform_iteratorINS9_6negateIiEESE_NS9_11use_defaultESI_EESE_iNS9_4plusIvEENS9_8equal_toIvEEiEE10hipError_tPvRmT2_T3_T4_T5_mT6_T7_P12ihipStream_tbENKUlT_T0_E_clISt17integral_constantIbLb1EES13_IbLb0EEEEDaSZ_S10_EUlSZ_E_NS1_11comp_targetILNS1_3genE9ELNS1_11target_archE1100ELNS1_3gpuE3ELNS1_3repE0EEENS1_30default_config_static_selectorELNS0_4arch9wavefront6targetE0EEEvT1_.numbered_sgpr, 0
	.set _ZN7rocprim17ROCPRIM_400000_NS6detail17trampoline_kernelINS0_14default_configENS1_27scan_by_key_config_selectorIiiEEZZNS1_16scan_by_key_implILNS1_25lookback_scan_determinismE0ELb0ES3_N6thrust23THRUST_200600_302600_NS6detail15normal_iteratorINS9_10device_ptrIiEEEENS9_18transform_iteratorINS9_6negateIiEESE_NS9_11use_defaultESI_EESE_iNS9_4plusIvEENS9_8equal_toIvEEiEE10hipError_tPvRmT2_T3_T4_T5_mT6_T7_P12ihipStream_tbENKUlT_T0_E_clISt17integral_constantIbLb1EES13_IbLb0EEEEDaSZ_S10_EUlSZ_E_NS1_11comp_targetILNS1_3genE9ELNS1_11target_archE1100ELNS1_3gpuE3ELNS1_3repE0EEENS1_30default_config_static_selectorELNS0_4arch9wavefront6targetE0EEEvT1_.num_named_barrier, 0
	.set _ZN7rocprim17ROCPRIM_400000_NS6detail17trampoline_kernelINS0_14default_configENS1_27scan_by_key_config_selectorIiiEEZZNS1_16scan_by_key_implILNS1_25lookback_scan_determinismE0ELb0ES3_N6thrust23THRUST_200600_302600_NS6detail15normal_iteratorINS9_10device_ptrIiEEEENS9_18transform_iteratorINS9_6negateIiEESE_NS9_11use_defaultESI_EESE_iNS9_4plusIvEENS9_8equal_toIvEEiEE10hipError_tPvRmT2_T3_T4_T5_mT6_T7_P12ihipStream_tbENKUlT_T0_E_clISt17integral_constantIbLb1EES13_IbLb0EEEEDaSZ_S10_EUlSZ_E_NS1_11comp_targetILNS1_3genE9ELNS1_11target_archE1100ELNS1_3gpuE3ELNS1_3repE0EEENS1_30default_config_static_selectorELNS0_4arch9wavefront6targetE0EEEvT1_.private_seg_size, 0
	.set _ZN7rocprim17ROCPRIM_400000_NS6detail17trampoline_kernelINS0_14default_configENS1_27scan_by_key_config_selectorIiiEEZZNS1_16scan_by_key_implILNS1_25lookback_scan_determinismE0ELb0ES3_N6thrust23THRUST_200600_302600_NS6detail15normal_iteratorINS9_10device_ptrIiEEEENS9_18transform_iteratorINS9_6negateIiEESE_NS9_11use_defaultESI_EESE_iNS9_4plusIvEENS9_8equal_toIvEEiEE10hipError_tPvRmT2_T3_T4_T5_mT6_T7_P12ihipStream_tbENKUlT_T0_E_clISt17integral_constantIbLb1EES13_IbLb0EEEEDaSZ_S10_EUlSZ_E_NS1_11comp_targetILNS1_3genE9ELNS1_11target_archE1100ELNS1_3gpuE3ELNS1_3repE0EEENS1_30default_config_static_selectorELNS0_4arch9wavefront6targetE0EEEvT1_.uses_vcc, 0
	.set _ZN7rocprim17ROCPRIM_400000_NS6detail17trampoline_kernelINS0_14default_configENS1_27scan_by_key_config_selectorIiiEEZZNS1_16scan_by_key_implILNS1_25lookback_scan_determinismE0ELb0ES3_N6thrust23THRUST_200600_302600_NS6detail15normal_iteratorINS9_10device_ptrIiEEEENS9_18transform_iteratorINS9_6negateIiEESE_NS9_11use_defaultESI_EESE_iNS9_4plusIvEENS9_8equal_toIvEEiEE10hipError_tPvRmT2_T3_T4_T5_mT6_T7_P12ihipStream_tbENKUlT_T0_E_clISt17integral_constantIbLb1EES13_IbLb0EEEEDaSZ_S10_EUlSZ_E_NS1_11comp_targetILNS1_3genE9ELNS1_11target_archE1100ELNS1_3gpuE3ELNS1_3repE0EEENS1_30default_config_static_selectorELNS0_4arch9wavefront6targetE0EEEvT1_.uses_flat_scratch, 0
	.set _ZN7rocprim17ROCPRIM_400000_NS6detail17trampoline_kernelINS0_14default_configENS1_27scan_by_key_config_selectorIiiEEZZNS1_16scan_by_key_implILNS1_25lookback_scan_determinismE0ELb0ES3_N6thrust23THRUST_200600_302600_NS6detail15normal_iteratorINS9_10device_ptrIiEEEENS9_18transform_iteratorINS9_6negateIiEESE_NS9_11use_defaultESI_EESE_iNS9_4plusIvEENS9_8equal_toIvEEiEE10hipError_tPvRmT2_T3_T4_T5_mT6_T7_P12ihipStream_tbENKUlT_T0_E_clISt17integral_constantIbLb1EES13_IbLb0EEEEDaSZ_S10_EUlSZ_E_NS1_11comp_targetILNS1_3genE9ELNS1_11target_archE1100ELNS1_3gpuE3ELNS1_3repE0EEENS1_30default_config_static_selectorELNS0_4arch9wavefront6targetE0EEEvT1_.has_dyn_sized_stack, 0
	.set _ZN7rocprim17ROCPRIM_400000_NS6detail17trampoline_kernelINS0_14default_configENS1_27scan_by_key_config_selectorIiiEEZZNS1_16scan_by_key_implILNS1_25lookback_scan_determinismE0ELb0ES3_N6thrust23THRUST_200600_302600_NS6detail15normal_iteratorINS9_10device_ptrIiEEEENS9_18transform_iteratorINS9_6negateIiEESE_NS9_11use_defaultESI_EESE_iNS9_4plusIvEENS9_8equal_toIvEEiEE10hipError_tPvRmT2_T3_T4_T5_mT6_T7_P12ihipStream_tbENKUlT_T0_E_clISt17integral_constantIbLb1EES13_IbLb0EEEEDaSZ_S10_EUlSZ_E_NS1_11comp_targetILNS1_3genE9ELNS1_11target_archE1100ELNS1_3gpuE3ELNS1_3repE0EEENS1_30default_config_static_selectorELNS0_4arch9wavefront6targetE0EEEvT1_.has_recursion, 0
	.set _ZN7rocprim17ROCPRIM_400000_NS6detail17trampoline_kernelINS0_14default_configENS1_27scan_by_key_config_selectorIiiEEZZNS1_16scan_by_key_implILNS1_25lookback_scan_determinismE0ELb0ES3_N6thrust23THRUST_200600_302600_NS6detail15normal_iteratorINS9_10device_ptrIiEEEENS9_18transform_iteratorINS9_6negateIiEESE_NS9_11use_defaultESI_EESE_iNS9_4plusIvEENS9_8equal_toIvEEiEE10hipError_tPvRmT2_T3_T4_T5_mT6_T7_P12ihipStream_tbENKUlT_T0_E_clISt17integral_constantIbLb1EES13_IbLb0EEEEDaSZ_S10_EUlSZ_E_NS1_11comp_targetILNS1_3genE9ELNS1_11target_archE1100ELNS1_3gpuE3ELNS1_3repE0EEENS1_30default_config_static_selectorELNS0_4arch9wavefront6targetE0EEEvT1_.has_indirect_call, 0
	.section	.AMDGPU.csdata,"",@progbits
; Kernel info:
; codeLenInByte = 0
; TotalNumSgprs: 0
; NumVgprs: 0
; ScratchSize: 0
; MemoryBound: 0
; FloatMode: 240
; IeeeMode: 1
; LDSByteSize: 0 bytes/workgroup (compile time only)
; SGPRBlocks: 0
; VGPRBlocks: 0
; NumSGPRsForWavesPerEU: 1
; NumVGPRsForWavesPerEU: 1
; Occupancy: 16
; WaveLimiterHint : 0
; COMPUTE_PGM_RSRC2:SCRATCH_EN: 0
; COMPUTE_PGM_RSRC2:USER_SGPR: 6
; COMPUTE_PGM_RSRC2:TRAP_HANDLER: 0
; COMPUTE_PGM_RSRC2:TGID_X_EN: 1
; COMPUTE_PGM_RSRC2:TGID_Y_EN: 0
; COMPUTE_PGM_RSRC2:TGID_Z_EN: 0
; COMPUTE_PGM_RSRC2:TIDIG_COMP_CNT: 0
	.section	.text._ZN7rocprim17ROCPRIM_400000_NS6detail17trampoline_kernelINS0_14default_configENS1_27scan_by_key_config_selectorIiiEEZZNS1_16scan_by_key_implILNS1_25lookback_scan_determinismE0ELb0ES3_N6thrust23THRUST_200600_302600_NS6detail15normal_iteratorINS9_10device_ptrIiEEEENS9_18transform_iteratorINS9_6negateIiEESE_NS9_11use_defaultESI_EESE_iNS9_4plusIvEENS9_8equal_toIvEEiEE10hipError_tPvRmT2_T3_T4_T5_mT6_T7_P12ihipStream_tbENKUlT_T0_E_clISt17integral_constantIbLb1EES13_IbLb0EEEEDaSZ_S10_EUlSZ_E_NS1_11comp_targetILNS1_3genE8ELNS1_11target_archE1030ELNS1_3gpuE2ELNS1_3repE0EEENS1_30default_config_static_selectorELNS0_4arch9wavefront6targetE0EEEvT1_,"axG",@progbits,_ZN7rocprim17ROCPRIM_400000_NS6detail17trampoline_kernelINS0_14default_configENS1_27scan_by_key_config_selectorIiiEEZZNS1_16scan_by_key_implILNS1_25lookback_scan_determinismE0ELb0ES3_N6thrust23THRUST_200600_302600_NS6detail15normal_iteratorINS9_10device_ptrIiEEEENS9_18transform_iteratorINS9_6negateIiEESE_NS9_11use_defaultESI_EESE_iNS9_4plusIvEENS9_8equal_toIvEEiEE10hipError_tPvRmT2_T3_T4_T5_mT6_T7_P12ihipStream_tbENKUlT_T0_E_clISt17integral_constantIbLb1EES13_IbLb0EEEEDaSZ_S10_EUlSZ_E_NS1_11comp_targetILNS1_3genE8ELNS1_11target_archE1030ELNS1_3gpuE2ELNS1_3repE0EEENS1_30default_config_static_selectorELNS0_4arch9wavefront6targetE0EEEvT1_,comdat
	.protected	_ZN7rocprim17ROCPRIM_400000_NS6detail17trampoline_kernelINS0_14default_configENS1_27scan_by_key_config_selectorIiiEEZZNS1_16scan_by_key_implILNS1_25lookback_scan_determinismE0ELb0ES3_N6thrust23THRUST_200600_302600_NS6detail15normal_iteratorINS9_10device_ptrIiEEEENS9_18transform_iteratorINS9_6negateIiEESE_NS9_11use_defaultESI_EESE_iNS9_4plusIvEENS9_8equal_toIvEEiEE10hipError_tPvRmT2_T3_T4_T5_mT6_T7_P12ihipStream_tbENKUlT_T0_E_clISt17integral_constantIbLb1EES13_IbLb0EEEEDaSZ_S10_EUlSZ_E_NS1_11comp_targetILNS1_3genE8ELNS1_11target_archE1030ELNS1_3gpuE2ELNS1_3repE0EEENS1_30default_config_static_selectorELNS0_4arch9wavefront6targetE0EEEvT1_ ; -- Begin function _ZN7rocprim17ROCPRIM_400000_NS6detail17trampoline_kernelINS0_14default_configENS1_27scan_by_key_config_selectorIiiEEZZNS1_16scan_by_key_implILNS1_25lookback_scan_determinismE0ELb0ES3_N6thrust23THRUST_200600_302600_NS6detail15normal_iteratorINS9_10device_ptrIiEEEENS9_18transform_iteratorINS9_6negateIiEESE_NS9_11use_defaultESI_EESE_iNS9_4plusIvEENS9_8equal_toIvEEiEE10hipError_tPvRmT2_T3_T4_T5_mT6_T7_P12ihipStream_tbENKUlT_T0_E_clISt17integral_constantIbLb1EES13_IbLb0EEEEDaSZ_S10_EUlSZ_E_NS1_11comp_targetILNS1_3genE8ELNS1_11target_archE1030ELNS1_3gpuE2ELNS1_3repE0EEENS1_30default_config_static_selectorELNS0_4arch9wavefront6targetE0EEEvT1_
	.globl	_ZN7rocprim17ROCPRIM_400000_NS6detail17trampoline_kernelINS0_14default_configENS1_27scan_by_key_config_selectorIiiEEZZNS1_16scan_by_key_implILNS1_25lookback_scan_determinismE0ELb0ES3_N6thrust23THRUST_200600_302600_NS6detail15normal_iteratorINS9_10device_ptrIiEEEENS9_18transform_iteratorINS9_6negateIiEESE_NS9_11use_defaultESI_EESE_iNS9_4plusIvEENS9_8equal_toIvEEiEE10hipError_tPvRmT2_T3_T4_T5_mT6_T7_P12ihipStream_tbENKUlT_T0_E_clISt17integral_constantIbLb1EES13_IbLb0EEEEDaSZ_S10_EUlSZ_E_NS1_11comp_targetILNS1_3genE8ELNS1_11target_archE1030ELNS1_3gpuE2ELNS1_3repE0EEENS1_30default_config_static_selectorELNS0_4arch9wavefront6targetE0EEEvT1_
	.p2align	8
	.type	_ZN7rocprim17ROCPRIM_400000_NS6detail17trampoline_kernelINS0_14default_configENS1_27scan_by_key_config_selectorIiiEEZZNS1_16scan_by_key_implILNS1_25lookback_scan_determinismE0ELb0ES3_N6thrust23THRUST_200600_302600_NS6detail15normal_iteratorINS9_10device_ptrIiEEEENS9_18transform_iteratorINS9_6negateIiEESE_NS9_11use_defaultESI_EESE_iNS9_4plusIvEENS9_8equal_toIvEEiEE10hipError_tPvRmT2_T3_T4_T5_mT6_T7_P12ihipStream_tbENKUlT_T0_E_clISt17integral_constantIbLb1EES13_IbLb0EEEEDaSZ_S10_EUlSZ_E_NS1_11comp_targetILNS1_3genE8ELNS1_11target_archE1030ELNS1_3gpuE2ELNS1_3repE0EEENS1_30default_config_static_selectorELNS0_4arch9wavefront6targetE0EEEvT1_,@function
_ZN7rocprim17ROCPRIM_400000_NS6detail17trampoline_kernelINS0_14default_configENS1_27scan_by_key_config_selectorIiiEEZZNS1_16scan_by_key_implILNS1_25lookback_scan_determinismE0ELb0ES3_N6thrust23THRUST_200600_302600_NS6detail15normal_iteratorINS9_10device_ptrIiEEEENS9_18transform_iteratorINS9_6negateIiEESE_NS9_11use_defaultESI_EESE_iNS9_4plusIvEENS9_8equal_toIvEEiEE10hipError_tPvRmT2_T3_T4_T5_mT6_T7_P12ihipStream_tbENKUlT_T0_E_clISt17integral_constantIbLb1EES13_IbLb0EEEEDaSZ_S10_EUlSZ_E_NS1_11comp_targetILNS1_3genE8ELNS1_11target_archE1030ELNS1_3gpuE2ELNS1_3repE0EEENS1_30default_config_static_selectorELNS0_4arch9wavefront6targetE0EEEvT1_: ; @_ZN7rocprim17ROCPRIM_400000_NS6detail17trampoline_kernelINS0_14default_configENS1_27scan_by_key_config_selectorIiiEEZZNS1_16scan_by_key_implILNS1_25lookback_scan_determinismE0ELb0ES3_N6thrust23THRUST_200600_302600_NS6detail15normal_iteratorINS9_10device_ptrIiEEEENS9_18transform_iteratorINS9_6negateIiEESE_NS9_11use_defaultESI_EESE_iNS9_4plusIvEENS9_8equal_toIvEEiEE10hipError_tPvRmT2_T3_T4_T5_mT6_T7_P12ihipStream_tbENKUlT_T0_E_clISt17integral_constantIbLb1EES13_IbLb0EEEEDaSZ_S10_EUlSZ_E_NS1_11comp_targetILNS1_3genE8ELNS1_11target_archE1030ELNS1_3gpuE2ELNS1_3repE0EEENS1_30default_config_static_selectorELNS0_4arch9wavefront6targetE0EEEvT1_
; %bb.0:
	s_endpgm
	.section	.rodata,"a",@progbits
	.p2align	6, 0x0
	.amdhsa_kernel _ZN7rocprim17ROCPRIM_400000_NS6detail17trampoline_kernelINS0_14default_configENS1_27scan_by_key_config_selectorIiiEEZZNS1_16scan_by_key_implILNS1_25lookback_scan_determinismE0ELb0ES3_N6thrust23THRUST_200600_302600_NS6detail15normal_iteratorINS9_10device_ptrIiEEEENS9_18transform_iteratorINS9_6negateIiEESE_NS9_11use_defaultESI_EESE_iNS9_4plusIvEENS9_8equal_toIvEEiEE10hipError_tPvRmT2_T3_T4_T5_mT6_T7_P12ihipStream_tbENKUlT_T0_E_clISt17integral_constantIbLb1EES13_IbLb0EEEEDaSZ_S10_EUlSZ_E_NS1_11comp_targetILNS1_3genE8ELNS1_11target_archE1030ELNS1_3gpuE2ELNS1_3repE0EEENS1_30default_config_static_selectorELNS0_4arch9wavefront6targetE0EEEvT1_
		.amdhsa_group_segment_fixed_size 0
		.amdhsa_private_segment_fixed_size 0
		.amdhsa_kernarg_size 120
		.amdhsa_user_sgpr_count 6
		.amdhsa_user_sgpr_private_segment_buffer 1
		.amdhsa_user_sgpr_dispatch_ptr 0
		.amdhsa_user_sgpr_queue_ptr 0
		.amdhsa_user_sgpr_kernarg_segment_ptr 1
		.amdhsa_user_sgpr_dispatch_id 0
		.amdhsa_user_sgpr_flat_scratch_init 0
		.amdhsa_user_sgpr_private_segment_size 0
		.amdhsa_wavefront_size32 1
		.amdhsa_uses_dynamic_stack 0
		.amdhsa_system_sgpr_private_segment_wavefront_offset 0
		.amdhsa_system_sgpr_workgroup_id_x 1
		.amdhsa_system_sgpr_workgroup_id_y 0
		.amdhsa_system_sgpr_workgroup_id_z 0
		.amdhsa_system_sgpr_workgroup_info 0
		.amdhsa_system_vgpr_workitem_id 0
		.amdhsa_next_free_vgpr 1
		.amdhsa_next_free_sgpr 1
		.amdhsa_reserve_vcc 0
		.amdhsa_reserve_flat_scratch 0
		.amdhsa_float_round_mode_32 0
		.amdhsa_float_round_mode_16_64 0
		.amdhsa_float_denorm_mode_32 3
		.amdhsa_float_denorm_mode_16_64 3
		.amdhsa_dx10_clamp 1
		.amdhsa_ieee_mode 1
		.amdhsa_fp16_overflow 0
		.amdhsa_workgroup_processor_mode 1
		.amdhsa_memory_ordered 1
		.amdhsa_forward_progress 1
		.amdhsa_shared_vgpr_count 0
		.amdhsa_exception_fp_ieee_invalid_op 0
		.amdhsa_exception_fp_denorm_src 0
		.amdhsa_exception_fp_ieee_div_zero 0
		.amdhsa_exception_fp_ieee_overflow 0
		.amdhsa_exception_fp_ieee_underflow 0
		.amdhsa_exception_fp_ieee_inexact 0
		.amdhsa_exception_int_div_zero 0
	.end_amdhsa_kernel
	.section	.text._ZN7rocprim17ROCPRIM_400000_NS6detail17trampoline_kernelINS0_14default_configENS1_27scan_by_key_config_selectorIiiEEZZNS1_16scan_by_key_implILNS1_25lookback_scan_determinismE0ELb0ES3_N6thrust23THRUST_200600_302600_NS6detail15normal_iteratorINS9_10device_ptrIiEEEENS9_18transform_iteratorINS9_6negateIiEESE_NS9_11use_defaultESI_EESE_iNS9_4plusIvEENS9_8equal_toIvEEiEE10hipError_tPvRmT2_T3_T4_T5_mT6_T7_P12ihipStream_tbENKUlT_T0_E_clISt17integral_constantIbLb1EES13_IbLb0EEEEDaSZ_S10_EUlSZ_E_NS1_11comp_targetILNS1_3genE8ELNS1_11target_archE1030ELNS1_3gpuE2ELNS1_3repE0EEENS1_30default_config_static_selectorELNS0_4arch9wavefront6targetE0EEEvT1_,"axG",@progbits,_ZN7rocprim17ROCPRIM_400000_NS6detail17trampoline_kernelINS0_14default_configENS1_27scan_by_key_config_selectorIiiEEZZNS1_16scan_by_key_implILNS1_25lookback_scan_determinismE0ELb0ES3_N6thrust23THRUST_200600_302600_NS6detail15normal_iteratorINS9_10device_ptrIiEEEENS9_18transform_iteratorINS9_6negateIiEESE_NS9_11use_defaultESI_EESE_iNS9_4plusIvEENS9_8equal_toIvEEiEE10hipError_tPvRmT2_T3_T4_T5_mT6_T7_P12ihipStream_tbENKUlT_T0_E_clISt17integral_constantIbLb1EES13_IbLb0EEEEDaSZ_S10_EUlSZ_E_NS1_11comp_targetILNS1_3genE8ELNS1_11target_archE1030ELNS1_3gpuE2ELNS1_3repE0EEENS1_30default_config_static_selectorELNS0_4arch9wavefront6targetE0EEEvT1_,comdat
.Lfunc_end955:
	.size	_ZN7rocprim17ROCPRIM_400000_NS6detail17trampoline_kernelINS0_14default_configENS1_27scan_by_key_config_selectorIiiEEZZNS1_16scan_by_key_implILNS1_25lookback_scan_determinismE0ELb0ES3_N6thrust23THRUST_200600_302600_NS6detail15normal_iteratorINS9_10device_ptrIiEEEENS9_18transform_iteratorINS9_6negateIiEESE_NS9_11use_defaultESI_EESE_iNS9_4plusIvEENS9_8equal_toIvEEiEE10hipError_tPvRmT2_T3_T4_T5_mT6_T7_P12ihipStream_tbENKUlT_T0_E_clISt17integral_constantIbLb1EES13_IbLb0EEEEDaSZ_S10_EUlSZ_E_NS1_11comp_targetILNS1_3genE8ELNS1_11target_archE1030ELNS1_3gpuE2ELNS1_3repE0EEENS1_30default_config_static_selectorELNS0_4arch9wavefront6targetE0EEEvT1_, .Lfunc_end955-_ZN7rocprim17ROCPRIM_400000_NS6detail17trampoline_kernelINS0_14default_configENS1_27scan_by_key_config_selectorIiiEEZZNS1_16scan_by_key_implILNS1_25lookback_scan_determinismE0ELb0ES3_N6thrust23THRUST_200600_302600_NS6detail15normal_iteratorINS9_10device_ptrIiEEEENS9_18transform_iteratorINS9_6negateIiEESE_NS9_11use_defaultESI_EESE_iNS9_4plusIvEENS9_8equal_toIvEEiEE10hipError_tPvRmT2_T3_T4_T5_mT6_T7_P12ihipStream_tbENKUlT_T0_E_clISt17integral_constantIbLb1EES13_IbLb0EEEEDaSZ_S10_EUlSZ_E_NS1_11comp_targetILNS1_3genE8ELNS1_11target_archE1030ELNS1_3gpuE2ELNS1_3repE0EEENS1_30default_config_static_selectorELNS0_4arch9wavefront6targetE0EEEvT1_
                                        ; -- End function
	.set _ZN7rocprim17ROCPRIM_400000_NS6detail17trampoline_kernelINS0_14default_configENS1_27scan_by_key_config_selectorIiiEEZZNS1_16scan_by_key_implILNS1_25lookback_scan_determinismE0ELb0ES3_N6thrust23THRUST_200600_302600_NS6detail15normal_iteratorINS9_10device_ptrIiEEEENS9_18transform_iteratorINS9_6negateIiEESE_NS9_11use_defaultESI_EESE_iNS9_4plusIvEENS9_8equal_toIvEEiEE10hipError_tPvRmT2_T3_T4_T5_mT6_T7_P12ihipStream_tbENKUlT_T0_E_clISt17integral_constantIbLb1EES13_IbLb0EEEEDaSZ_S10_EUlSZ_E_NS1_11comp_targetILNS1_3genE8ELNS1_11target_archE1030ELNS1_3gpuE2ELNS1_3repE0EEENS1_30default_config_static_selectorELNS0_4arch9wavefront6targetE0EEEvT1_.num_vgpr, 0
	.set _ZN7rocprim17ROCPRIM_400000_NS6detail17trampoline_kernelINS0_14default_configENS1_27scan_by_key_config_selectorIiiEEZZNS1_16scan_by_key_implILNS1_25lookback_scan_determinismE0ELb0ES3_N6thrust23THRUST_200600_302600_NS6detail15normal_iteratorINS9_10device_ptrIiEEEENS9_18transform_iteratorINS9_6negateIiEESE_NS9_11use_defaultESI_EESE_iNS9_4plusIvEENS9_8equal_toIvEEiEE10hipError_tPvRmT2_T3_T4_T5_mT6_T7_P12ihipStream_tbENKUlT_T0_E_clISt17integral_constantIbLb1EES13_IbLb0EEEEDaSZ_S10_EUlSZ_E_NS1_11comp_targetILNS1_3genE8ELNS1_11target_archE1030ELNS1_3gpuE2ELNS1_3repE0EEENS1_30default_config_static_selectorELNS0_4arch9wavefront6targetE0EEEvT1_.num_agpr, 0
	.set _ZN7rocprim17ROCPRIM_400000_NS6detail17trampoline_kernelINS0_14default_configENS1_27scan_by_key_config_selectorIiiEEZZNS1_16scan_by_key_implILNS1_25lookback_scan_determinismE0ELb0ES3_N6thrust23THRUST_200600_302600_NS6detail15normal_iteratorINS9_10device_ptrIiEEEENS9_18transform_iteratorINS9_6negateIiEESE_NS9_11use_defaultESI_EESE_iNS9_4plusIvEENS9_8equal_toIvEEiEE10hipError_tPvRmT2_T3_T4_T5_mT6_T7_P12ihipStream_tbENKUlT_T0_E_clISt17integral_constantIbLb1EES13_IbLb0EEEEDaSZ_S10_EUlSZ_E_NS1_11comp_targetILNS1_3genE8ELNS1_11target_archE1030ELNS1_3gpuE2ELNS1_3repE0EEENS1_30default_config_static_selectorELNS0_4arch9wavefront6targetE0EEEvT1_.numbered_sgpr, 0
	.set _ZN7rocprim17ROCPRIM_400000_NS6detail17trampoline_kernelINS0_14default_configENS1_27scan_by_key_config_selectorIiiEEZZNS1_16scan_by_key_implILNS1_25lookback_scan_determinismE0ELb0ES3_N6thrust23THRUST_200600_302600_NS6detail15normal_iteratorINS9_10device_ptrIiEEEENS9_18transform_iteratorINS9_6negateIiEESE_NS9_11use_defaultESI_EESE_iNS9_4plusIvEENS9_8equal_toIvEEiEE10hipError_tPvRmT2_T3_T4_T5_mT6_T7_P12ihipStream_tbENKUlT_T0_E_clISt17integral_constantIbLb1EES13_IbLb0EEEEDaSZ_S10_EUlSZ_E_NS1_11comp_targetILNS1_3genE8ELNS1_11target_archE1030ELNS1_3gpuE2ELNS1_3repE0EEENS1_30default_config_static_selectorELNS0_4arch9wavefront6targetE0EEEvT1_.num_named_barrier, 0
	.set _ZN7rocprim17ROCPRIM_400000_NS6detail17trampoline_kernelINS0_14default_configENS1_27scan_by_key_config_selectorIiiEEZZNS1_16scan_by_key_implILNS1_25lookback_scan_determinismE0ELb0ES3_N6thrust23THRUST_200600_302600_NS6detail15normal_iteratorINS9_10device_ptrIiEEEENS9_18transform_iteratorINS9_6negateIiEESE_NS9_11use_defaultESI_EESE_iNS9_4plusIvEENS9_8equal_toIvEEiEE10hipError_tPvRmT2_T3_T4_T5_mT6_T7_P12ihipStream_tbENKUlT_T0_E_clISt17integral_constantIbLb1EES13_IbLb0EEEEDaSZ_S10_EUlSZ_E_NS1_11comp_targetILNS1_3genE8ELNS1_11target_archE1030ELNS1_3gpuE2ELNS1_3repE0EEENS1_30default_config_static_selectorELNS0_4arch9wavefront6targetE0EEEvT1_.private_seg_size, 0
	.set _ZN7rocprim17ROCPRIM_400000_NS6detail17trampoline_kernelINS0_14default_configENS1_27scan_by_key_config_selectorIiiEEZZNS1_16scan_by_key_implILNS1_25lookback_scan_determinismE0ELb0ES3_N6thrust23THRUST_200600_302600_NS6detail15normal_iteratorINS9_10device_ptrIiEEEENS9_18transform_iteratorINS9_6negateIiEESE_NS9_11use_defaultESI_EESE_iNS9_4plusIvEENS9_8equal_toIvEEiEE10hipError_tPvRmT2_T3_T4_T5_mT6_T7_P12ihipStream_tbENKUlT_T0_E_clISt17integral_constantIbLb1EES13_IbLb0EEEEDaSZ_S10_EUlSZ_E_NS1_11comp_targetILNS1_3genE8ELNS1_11target_archE1030ELNS1_3gpuE2ELNS1_3repE0EEENS1_30default_config_static_selectorELNS0_4arch9wavefront6targetE0EEEvT1_.uses_vcc, 0
	.set _ZN7rocprim17ROCPRIM_400000_NS6detail17trampoline_kernelINS0_14default_configENS1_27scan_by_key_config_selectorIiiEEZZNS1_16scan_by_key_implILNS1_25lookback_scan_determinismE0ELb0ES3_N6thrust23THRUST_200600_302600_NS6detail15normal_iteratorINS9_10device_ptrIiEEEENS9_18transform_iteratorINS9_6negateIiEESE_NS9_11use_defaultESI_EESE_iNS9_4plusIvEENS9_8equal_toIvEEiEE10hipError_tPvRmT2_T3_T4_T5_mT6_T7_P12ihipStream_tbENKUlT_T0_E_clISt17integral_constantIbLb1EES13_IbLb0EEEEDaSZ_S10_EUlSZ_E_NS1_11comp_targetILNS1_3genE8ELNS1_11target_archE1030ELNS1_3gpuE2ELNS1_3repE0EEENS1_30default_config_static_selectorELNS0_4arch9wavefront6targetE0EEEvT1_.uses_flat_scratch, 0
	.set _ZN7rocprim17ROCPRIM_400000_NS6detail17trampoline_kernelINS0_14default_configENS1_27scan_by_key_config_selectorIiiEEZZNS1_16scan_by_key_implILNS1_25lookback_scan_determinismE0ELb0ES3_N6thrust23THRUST_200600_302600_NS6detail15normal_iteratorINS9_10device_ptrIiEEEENS9_18transform_iteratorINS9_6negateIiEESE_NS9_11use_defaultESI_EESE_iNS9_4plusIvEENS9_8equal_toIvEEiEE10hipError_tPvRmT2_T3_T4_T5_mT6_T7_P12ihipStream_tbENKUlT_T0_E_clISt17integral_constantIbLb1EES13_IbLb0EEEEDaSZ_S10_EUlSZ_E_NS1_11comp_targetILNS1_3genE8ELNS1_11target_archE1030ELNS1_3gpuE2ELNS1_3repE0EEENS1_30default_config_static_selectorELNS0_4arch9wavefront6targetE0EEEvT1_.has_dyn_sized_stack, 0
	.set _ZN7rocprim17ROCPRIM_400000_NS6detail17trampoline_kernelINS0_14default_configENS1_27scan_by_key_config_selectorIiiEEZZNS1_16scan_by_key_implILNS1_25lookback_scan_determinismE0ELb0ES3_N6thrust23THRUST_200600_302600_NS6detail15normal_iteratorINS9_10device_ptrIiEEEENS9_18transform_iteratorINS9_6negateIiEESE_NS9_11use_defaultESI_EESE_iNS9_4plusIvEENS9_8equal_toIvEEiEE10hipError_tPvRmT2_T3_T4_T5_mT6_T7_P12ihipStream_tbENKUlT_T0_E_clISt17integral_constantIbLb1EES13_IbLb0EEEEDaSZ_S10_EUlSZ_E_NS1_11comp_targetILNS1_3genE8ELNS1_11target_archE1030ELNS1_3gpuE2ELNS1_3repE0EEENS1_30default_config_static_selectorELNS0_4arch9wavefront6targetE0EEEvT1_.has_recursion, 0
	.set _ZN7rocprim17ROCPRIM_400000_NS6detail17trampoline_kernelINS0_14default_configENS1_27scan_by_key_config_selectorIiiEEZZNS1_16scan_by_key_implILNS1_25lookback_scan_determinismE0ELb0ES3_N6thrust23THRUST_200600_302600_NS6detail15normal_iteratorINS9_10device_ptrIiEEEENS9_18transform_iteratorINS9_6negateIiEESE_NS9_11use_defaultESI_EESE_iNS9_4plusIvEENS9_8equal_toIvEEiEE10hipError_tPvRmT2_T3_T4_T5_mT6_T7_P12ihipStream_tbENKUlT_T0_E_clISt17integral_constantIbLb1EES13_IbLb0EEEEDaSZ_S10_EUlSZ_E_NS1_11comp_targetILNS1_3genE8ELNS1_11target_archE1030ELNS1_3gpuE2ELNS1_3repE0EEENS1_30default_config_static_selectorELNS0_4arch9wavefront6targetE0EEEvT1_.has_indirect_call, 0
	.section	.AMDGPU.csdata,"",@progbits
; Kernel info:
; codeLenInByte = 4
; TotalNumSgprs: 0
; NumVgprs: 0
; ScratchSize: 0
; MemoryBound: 0
; FloatMode: 240
; IeeeMode: 1
; LDSByteSize: 0 bytes/workgroup (compile time only)
; SGPRBlocks: 0
; VGPRBlocks: 0
; NumSGPRsForWavesPerEU: 1
; NumVGPRsForWavesPerEU: 1
; Occupancy: 16
; WaveLimiterHint : 0
; COMPUTE_PGM_RSRC2:SCRATCH_EN: 0
; COMPUTE_PGM_RSRC2:USER_SGPR: 6
; COMPUTE_PGM_RSRC2:TRAP_HANDLER: 0
; COMPUTE_PGM_RSRC2:TGID_X_EN: 1
; COMPUTE_PGM_RSRC2:TGID_Y_EN: 0
; COMPUTE_PGM_RSRC2:TGID_Z_EN: 0
; COMPUTE_PGM_RSRC2:TIDIG_COMP_CNT: 0
	.section	.text._ZN7rocprim17ROCPRIM_400000_NS6detail17trampoline_kernelINS0_14default_configENS1_27scan_by_key_config_selectorIiiEEZZNS1_16scan_by_key_implILNS1_25lookback_scan_determinismE0ELb0ES3_N6thrust23THRUST_200600_302600_NS6detail15normal_iteratorINS9_10device_ptrIiEEEENS9_18transform_iteratorINS9_6negateIiEESE_NS9_11use_defaultESI_EESE_iNS9_4plusIvEENS9_8equal_toIvEEiEE10hipError_tPvRmT2_T3_T4_T5_mT6_T7_P12ihipStream_tbENKUlT_T0_E_clISt17integral_constantIbLb0EES13_IbLb1EEEEDaSZ_S10_EUlSZ_E_NS1_11comp_targetILNS1_3genE0ELNS1_11target_archE4294967295ELNS1_3gpuE0ELNS1_3repE0EEENS1_30default_config_static_selectorELNS0_4arch9wavefront6targetE0EEEvT1_,"axG",@progbits,_ZN7rocprim17ROCPRIM_400000_NS6detail17trampoline_kernelINS0_14default_configENS1_27scan_by_key_config_selectorIiiEEZZNS1_16scan_by_key_implILNS1_25lookback_scan_determinismE0ELb0ES3_N6thrust23THRUST_200600_302600_NS6detail15normal_iteratorINS9_10device_ptrIiEEEENS9_18transform_iteratorINS9_6negateIiEESE_NS9_11use_defaultESI_EESE_iNS9_4plusIvEENS9_8equal_toIvEEiEE10hipError_tPvRmT2_T3_T4_T5_mT6_T7_P12ihipStream_tbENKUlT_T0_E_clISt17integral_constantIbLb0EES13_IbLb1EEEEDaSZ_S10_EUlSZ_E_NS1_11comp_targetILNS1_3genE0ELNS1_11target_archE4294967295ELNS1_3gpuE0ELNS1_3repE0EEENS1_30default_config_static_selectorELNS0_4arch9wavefront6targetE0EEEvT1_,comdat
	.protected	_ZN7rocprim17ROCPRIM_400000_NS6detail17trampoline_kernelINS0_14default_configENS1_27scan_by_key_config_selectorIiiEEZZNS1_16scan_by_key_implILNS1_25lookback_scan_determinismE0ELb0ES3_N6thrust23THRUST_200600_302600_NS6detail15normal_iteratorINS9_10device_ptrIiEEEENS9_18transform_iteratorINS9_6negateIiEESE_NS9_11use_defaultESI_EESE_iNS9_4plusIvEENS9_8equal_toIvEEiEE10hipError_tPvRmT2_T3_T4_T5_mT6_T7_P12ihipStream_tbENKUlT_T0_E_clISt17integral_constantIbLb0EES13_IbLb1EEEEDaSZ_S10_EUlSZ_E_NS1_11comp_targetILNS1_3genE0ELNS1_11target_archE4294967295ELNS1_3gpuE0ELNS1_3repE0EEENS1_30default_config_static_selectorELNS0_4arch9wavefront6targetE0EEEvT1_ ; -- Begin function _ZN7rocprim17ROCPRIM_400000_NS6detail17trampoline_kernelINS0_14default_configENS1_27scan_by_key_config_selectorIiiEEZZNS1_16scan_by_key_implILNS1_25lookback_scan_determinismE0ELb0ES3_N6thrust23THRUST_200600_302600_NS6detail15normal_iteratorINS9_10device_ptrIiEEEENS9_18transform_iteratorINS9_6negateIiEESE_NS9_11use_defaultESI_EESE_iNS9_4plusIvEENS9_8equal_toIvEEiEE10hipError_tPvRmT2_T3_T4_T5_mT6_T7_P12ihipStream_tbENKUlT_T0_E_clISt17integral_constantIbLb0EES13_IbLb1EEEEDaSZ_S10_EUlSZ_E_NS1_11comp_targetILNS1_3genE0ELNS1_11target_archE4294967295ELNS1_3gpuE0ELNS1_3repE0EEENS1_30default_config_static_selectorELNS0_4arch9wavefront6targetE0EEEvT1_
	.globl	_ZN7rocprim17ROCPRIM_400000_NS6detail17trampoline_kernelINS0_14default_configENS1_27scan_by_key_config_selectorIiiEEZZNS1_16scan_by_key_implILNS1_25lookback_scan_determinismE0ELb0ES3_N6thrust23THRUST_200600_302600_NS6detail15normal_iteratorINS9_10device_ptrIiEEEENS9_18transform_iteratorINS9_6negateIiEESE_NS9_11use_defaultESI_EESE_iNS9_4plusIvEENS9_8equal_toIvEEiEE10hipError_tPvRmT2_T3_T4_T5_mT6_T7_P12ihipStream_tbENKUlT_T0_E_clISt17integral_constantIbLb0EES13_IbLb1EEEEDaSZ_S10_EUlSZ_E_NS1_11comp_targetILNS1_3genE0ELNS1_11target_archE4294967295ELNS1_3gpuE0ELNS1_3repE0EEENS1_30default_config_static_selectorELNS0_4arch9wavefront6targetE0EEEvT1_
	.p2align	8
	.type	_ZN7rocprim17ROCPRIM_400000_NS6detail17trampoline_kernelINS0_14default_configENS1_27scan_by_key_config_selectorIiiEEZZNS1_16scan_by_key_implILNS1_25lookback_scan_determinismE0ELb0ES3_N6thrust23THRUST_200600_302600_NS6detail15normal_iteratorINS9_10device_ptrIiEEEENS9_18transform_iteratorINS9_6negateIiEESE_NS9_11use_defaultESI_EESE_iNS9_4plusIvEENS9_8equal_toIvEEiEE10hipError_tPvRmT2_T3_T4_T5_mT6_T7_P12ihipStream_tbENKUlT_T0_E_clISt17integral_constantIbLb0EES13_IbLb1EEEEDaSZ_S10_EUlSZ_E_NS1_11comp_targetILNS1_3genE0ELNS1_11target_archE4294967295ELNS1_3gpuE0ELNS1_3repE0EEENS1_30default_config_static_selectorELNS0_4arch9wavefront6targetE0EEEvT1_,@function
_ZN7rocprim17ROCPRIM_400000_NS6detail17trampoline_kernelINS0_14default_configENS1_27scan_by_key_config_selectorIiiEEZZNS1_16scan_by_key_implILNS1_25lookback_scan_determinismE0ELb0ES3_N6thrust23THRUST_200600_302600_NS6detail15normal_iteratorINS9_10device_ptrIiEEEENS9_18transform_iteratorINS9_6negateIiEESE_NS9_11use_defaultESI_EESE_iNS9_4plusIvEENS9_8equal_toIvEEiEE10hipError_tPvRmT2_T3_T4_T5_mT6_T7_P12ihipStream_tbENKUlT_T0_E_clISt17integral_constantIbLb0EES13_IbLb1EEEEDaSZ_S10_EUlSZ_E_NS1_11comp_targetILNS1_3genE0ELNS1_11target_archE4294967295ELNS1_3gpuE0ELNS1_3repE0EEENS1_30default_config_static_selectorELNS0_4arch9wavefront6targetE0EEEvT1_: ; @_ZN7rocprim17ROCPRIM_400000_NS6detail17trampoline_kernelINS0_14default_configENS1_27scan_by_key_config_selectorIiiEEZZNS1_16scan_by_key_implILNS1_25lookback_scan_determinismE0ELb0ES3_N6thrust23THRUST_200600_302600_NS6detail15normal_iteratorINS9_10device_ptrIiEEEENS9_18transform_iteratorINS9_6negateIiEESE_NS9_11use_defaultESI_EESE_iNS9_4plusIvEENS9_8equal_toIvEEiEE10hipError_tPvRmT2_T3_T4_T5_mT6_T7_P12ihipStream_tbENKUlT_T0_E_clISt17integral_constantIbLb0EES13_IbLb1EEEEDaSZ_S10_EUlSZ_E_NS1_11comp_targetILNS1_3genE0ELNS1_11target_archE4294967295ELNS1_3gpuE0ELNS1_3repE0EEENS1_30default_config_static_selectorELNS0_4arch9wavefront6targetE0EEEvT1_
; %bb.0:
	.section	.rodata,"a",@progbits
	.p2align	6, 0x0
	.amdhsa_kernel _ZN7rocprim17ROCPRIM_400000_NS6detail17trampoline_kernelINS0_14default_configENS1_27scan_by_key_config_selectorIiiEEZZNS1_16scan_by_key_implILNS1_25lookback_scan_determinismE0ELb0ES3_N6thrust23THRUST_200600_302600_NS6detail15normal_iteratorINS9_10device_ptrIiEEEENS9_18transform_iteratorINS9_6negateIiEESE_NS9_11use_defaultESI_EESE_iNS9_4plusIvEENS9_8equal_toIvEEiEE10hipError_tPvRmT2_T3_T4_T5_mT6_T7_P12ihipStream_tbENKUlT_T0_E_clISt17integral_constantIbLb0EES13_IbLb1EEEEDaSZ_S10_EUlSZ_E_NS1_11comp_targetILNS1_3genE0ELNS1_11target_archE4294967295ELNS1_3gpuE0ELNS1_3repE0EEENS1_30default_config_static_selectorELNS0_4arch9wavefront6targetE0EEEvT1_
		.amdhsa_group_segment_fixed_size 0
		.amdhsa_private_segment_fixed_size 0
		.amdhsa_kernarg_size 120
		.amdhsa_user_sgpr_count 6
		.amdhsa_user_sgpr_private_segment_buffer 1
		.amdhsa_user_sgpr_dispatch_ptr 0
		.amdhsa_user_sgpr_queue_ptr 0
		.amdhsa_user_sgpr_kernarg_segment_ptr 1
		.amdhsa_user_sgpr_dispatch_id 0
		.amdhsa_user_sgpr_flat_scratch_init 0
		.amdhsa_user_sgpr_private_segment_size 0
		.amdhsa_wavefront_size32 1
		.amdhsa_uses_dynamic_stack 0
		.amdhsa_system_sgpr_private_segment_wavefront_offset 0
		.amdhsa_system_sgpr_workgroup_id_x 1
		.amdhsa_system_sgpr_workgroup_id_y 0
		.amdhsa_system_sgpr_workgroup_id_z 0
		.amdhsa_system_sgpr_workgroup_info 0
		.amdhsa_system_vgpr_workitem_id 0
		.amdhsa_next_free_vgpr 1
		.amdhsa_next_free_sgpr 1
		.amdhsa_reserve_vcc 0
		.amdhsa_reserve_flat_scratch 0
		.amdhsa_float_round_mode_32 0
		.amdhsa_float_round_mode_16_64 0
		.amdhsa_float_denorm_mode_32 3
		.amdhsa_float_denorm_mode_16_64 3
		.amdhsa_dx10_clamp 1
		.amdhsa_ieee_mode 1
		.amdhsa_fp16_overflow 0
		.amdhsa_workgroup_processor_mode 1
		.amdhsa_memory_ordered 1
		.amdhsa_forward_progress 1
		.amdhsa_shared_vgpr_count 0
		.amdhsa_exception_fp_ieee_invalid_op 0
		.amdhsa_exception_fp_denorm_src 0
		.amdhsa_exception_fp_ieee_div_zero 0
		.amdhsa_exception_fp_ieee_overflow 0
		.amdhsa_exception_fp_ieee_underflow 0
		.amdhsa_exception_fp_ieee_inexact 0
		.amdhsa_exception_int_div_zero 0
	.end_amdhsa_kernel
	.section	.text._ZN7rocprim17ROCPRIM_400000_NS6detail17trampoline_kernelINS0_14default_configENS1_27scan_by_key_config_selectorIiiEEZZNS1_16scan_by_key_implILNS1_25lookback_scan_determinismE0ELb0ES3_N6thrust23THRUST_200600_302600_NS6detail15normal_iteratorINS9_10device_ptrIiEEEENS9_18transform_iteratorINS9_6negateIiEESE_NS9_11use_defaultESI_EESE_iNS9_4plusIvEENS9_8equal_toIvEEiEE10hipError_tPvRmT2_T3_T4_T5_mT6_T7_P12ihipStream_tbENKUlT_T0_E_clISt17integral_constantIbLb0EES13_IbLb1EEEEDaSZ_S10_EUlSZ_E_NS1_11comp_targetILNS1_3genE0ELNS1_11target_archE4294967295ELNS1_3gpuE0ELNS1_3repE0EEENS1_30default_config_static_selectorELNS0_4arch9wavefront6targetE0EEEvT1_,"axG",@progbits,_ZN7rocprim17ROCPRIM_400000_NS6detail17trampoline_kernelINS0_14default_configENS1_27scan_by_key_config_selectorIiiEEZZNS1_16scan_by_key_implILNS1_25lookback_scan_determinismE0ELb0ES3_N6thrust23THRUST_200600_302600_NS6detail15normal_iteratorINS9_10device_ptrIiEEEENS9_18transform_iteratorINS9_6negateIiEESE_NS9_11use_defaultESI_EESE_iNS9_4plusIvEENS9_8equal_toIvEEiEE10hipError_tPvRmT2_T3_T4_T5_mT6_T7_P12ihipStream_tbENKUlT_T0_E_clISt17integral_constantIbLb0EES13_IbLb1EEEEDaSZ_S10_EUlSZ_E_NS1_11comp_targetILNS1_3genE0ELNS1_11target_archE4294967295ELNS1_3gpuE0ELNS1_3repE0EEENS1_30default_config_static_selectorELNS0_4arch9wavefront6targetE0EEEvT1_,comdat
.Lfunc_end956:
	.size	_ZN7rocprim17ROCPRIM_400000_NS6detail17trampoline_kernelINS0_14default_configENS1_27scan_by_key_config_selectorIiiEEZZNS1_16scan_by_key_implILNS1_25lookback_scan_determinismE0ELb0ES3_N6thrust23THRUST_200600_302600_NS6detail15normal_iteratorINS9_10device_ptrIiEEEENS9_18transform_iteratorINS9_6negateIiEESE_NS9_11use_defaultESI_EESE_iNS9_4plusIvEENS9_8equal_toIvEEiEE10hipError_tPvRmT2_T3_T4_T5_mT6_T7_P12ihipStream_tbENKUlT_T0_E_clISt17integral_constantIbLb0EES13_IbLb1EEEEDaSZ_S10_EUlSZ_E_NS1_11comp_targetILNS1_3genE0ELNS1_11target_archE4294967295ELNS1_3gpuE0ELNS1_3repE0EEENS1_30default_config_static_selectorELNS0_4arch9wavefront6targetE0EEEvT1_, .Lfunc_end956-_ZN7rocprim17ROCPRIM_400000_NS6detail17trampoline_kernelINS0_14default_configENS1_27scan_by_key_config_selectorIiiEEZZNS1_16scan_by_key_implILNS1_25lookback_scan_determinismE0ELb0ES3_N6thrust23THRUST_200600_302600_NS6detail15normal_iteratorINS9_10device_ptrIiEEEENS9_18transform_iteratorINS9_6negateIiEESE_NS9_11use_defaultESI_EESE_iNS9_4plusIvEENS9_8equal_toIvEEiEE10hipError_tPvRmT2_T3_T4_T5_mT6_T7_P12ihipStream_tbENKUlT_T0_E_clISt17integral_constantIbLb0EES13_IbLb1EEEEDaSZ_S10_EUlSZ_E_NS1_11comp_targetILNS1_3genE0ELNS1_11target_archE4294967295ELNS1_3gpuE0ELNS1_3repE0EEENS1_30default_config_static_selectorELNS0_4arch9wavefront6targetE0EEEvT1_
                                        ; -- End function
	.set _ZN7rocprim17ROCPRIM_400000_NS6detail17trampoline_kernelINS0_14default_configENS1_27scan_by_key_config_selectorIiiEEZZNS1_16scan_by_key_implILNS1_25lookback_scan_determinismE0ELb0ES3_N6thrust23THRUST_200600_302600_NS6detail15normal_iteratorINS9_10device_ptrIiEEEENS9_18transform_iteratorINS9_6negateIiEESE_NS9_11use_defaultESI_EESE_iNS9_4plusIvEENS9_8equal_toIvEEiEE10hipError_tPvRmT2_T3_T4_T5_mT6_T7_P12ihipStream_tbENKUlT_T0_E_clISt17integral_constantIbLb0EES13_IbLb1EEEEDaSZ_S10_EUlSZ_E_NS1_11comp_targetILNS1_3genE0ELNS1_11target_archE4294967295ELNS1_3gpuE0ELNS1_3repE0EEENS1_30default_config_static_selectorELNS0_4arch9wavefront6targetE0EEEvT1_.num_vgpr, 0
	.set _ZN7rocprim17ROCPRIM_400000_NS6detail17trampoline_kernelINS0_14default_configENS1_27scan_by_key_config_selectorIiiEEZZNS1_16scan_by_key_implILNS1_25lookback_scan_determinismE0ELb0ES3_N6thrust23THRUST_200600_302600_NS6detail15normal_iteratorINS9_10device_ptrIiEEEENS9_18transform_iteratorINS9_6negateIiEESE_NS9_11use_defaultESI_EESE_iNS9_4plusIvEENS9_8equal_toIvEEiEE10hipError_tPvRmT2_T3_T4_T5_mT6_T7_P12ihipStream_tbENKUlT_T0_E_clISt17integral_constantIbLb0EES13_IbLb1EEEEDaSZ_S10_EUlSZ_E_NS1_11comp_targetILNS1_3genE0ELNS1_11target_archE4294967295ELNS1_3gpuE0ELNS1_3repE0EEENS1_30default_config_static_selectorELNS0_4arch9wavefront6targetE0EEEvT1_.num_agpr, 0
	.set _ZN7rocprim17ROCPRIM_400000_NS6detail17trampoline_kernelINS0_14default_configENS1_27scan_by_key_config_selectorIiiEEZZNS1_16scan_by_key_implILNS1_25lookback_scan_determinismE0ELb0ES3_N6thrust23THRUST_200600_302600_NS6detail15normal_iteratorINS9_10device_ptrIiEEEENS9_18transform_iteratorINS9_6negateIiEESE_NS9_11use_defaultESI_EESE_iNS9_4plusIvEENS9_8equal_toIvEEiEE10hipError_tPvRmT2_T3_T4_T5_mT6_T7_P12ihipStream_tbENKUlT_T0_E_clISt17integral_constantIbLb0EES13_IbLb1EEEEDaSZ_S10_EUlSZ_E_NS1_11comp_targetILNS1_3genE0ELNS1_11target_archE4294967295ELNS1_3gpuE0ELNS1_3repE0EEENS1_30default_config_static_selectorELNS0_4arch9wavefront6targetE0EEEvT1_.numbered_sgpr, 0
	.set _ZN7rocprim17ROCPRIM_400000_NS6detail17trampoline_kernelINS0_14default_configENS1_27scan_by_key_config_selectorIiiEEZZNS1_16scan_by_key_implILNS1_25lookback_scan_determinismE0ELb0ES3_N6thrust23THRUST_200600_302600_NS6detail15normal_iteratorINS9_10device_ptrIiEEEENS9_18transform_iteratorINS9_6negateIiEESE_NS9_11use_defaultESI_EESE_iNS9_4plusIvEENS9_8equal_toIvEEiEE10hipError_tPvRmT2_T3_T4_T5_mT6_T7_P12ihipStream_tbENKUlT_T0_E_clISt17integral_constantIbLb0EES13_IbLb1EEEEDaSZ_S10_EUlSZ_E_NS1_11comp_targetILNS1_3genE0ELNS1_11target_archE4294967295ELNS1_3gpuE0ELNS1_3repE0EEENS1_30default_config_static_selectorELNS0_4arch9wavefront6targetE0EEEvT1_.num_named_barrier, 0
	.set _ZN7rocprim17ROCPRIM_400000_NS6detail17trampoline_kernelINS0_14default_configENS1_27scan_by_key_config_selectorIiiEEZZNS1_16scan_by_key_implILNS1_25lookback_scan_determinismE0ELb0ES3_N6thrust23THRUST_200600_302600_NS6detail15normal_iteratorINS9_10device_ptrIiEEEENS9_18transform_iteratorINS9_6negateIiEESE_NS9_11use_defaultESI_EESE_iNS9_4plusIvEENS9_8equal_toIvEEiEE10hipError_tPvRmT2_T3_T4_T5_mT6_T7_P12ihipStream_tbENKUlT_T0_E_clISt17integral_constantIbLb0EES13_IbLb1EEEEDaSZ_S10_EUlSZ_E_NS1_11comp_targetILNS1_3genE0ELNS1_11target_archE4294967295ELNS1_3gpuE0ELNS1_3repE0EEENS1_30default_config_static_selectorELNS0_4arch9wavefront6targetE0EEEvT1_.private_seg_size, 0
	.set _ZN7rocprim17ROCPRIM_400000_NS6detail17trampoline_kernelINS0_14default_configENS1_27scan_by_key_config_selectorIiiEEZZNS1_16scan_by_key_implILNS1_25lookback_scan_determinismE0ELb0ES3_N6thrust23THRUST_200600_302600_NS6detail15normal_iteratorINS9_10device_ptrIiEEEENS9_18transform_iteratorINS9_6negateIiEESE_NS9_11use_defaultESI_EESE_iNS9_4plusIvEENS9_8equal_toIvEEiEE10hipError_tPvRmT2_T3_T4_T5_mT6_T7_P12ihipStream_tbENKUlT_T0_E_clISt17integral_constantIbLb0EES13_IbLb1EEEEDaSZ_S10_EUlSZ_E_NS1_11comp_targetILNS1_3genE0ELNS1_11target_archE4294967295ELNS1_3gpuE0ELNS1_3repE0EEENS1_30default_config_static_selectorELNS0_4arch9wavefront6targetE0EEEvT1_.uses_vcc, 0
	.set _ZN7rocprim17ROCPRIM_400000_NS6detail17trampoline_kernelINS0_14default_configENS1_27scan_by_key_config_selectorIiiEEZZNS1_16scan_by_key_implILNS1_25lookback_scan_determinismE0ELb0ES3_N6thrust23THRUST_200600_302600_NS6detail15normal_iteratorINS9_10device_ptrIiEEEENS9_18transform_iteratorINS9_6negateIiEESE_NS9_11use_defaultESI_EESE_iNS9_4plusIvEENS9_8equal_toIvEEiEE10hipError_tPvRmT2_T3_T4_T5_mT6_T7_P12ihipStream_tbENKUlT_T0_E_clISt17integral_constantIbLb0EES13_IbLb1EEEEDaSZ_S10_EUlSZ_E_NS1_11comp_targetILNS1_3genE0ELNS1_11target_archE4294967295ELNS1_3gpuE0ELNS1_3repE0EEENS1_30default_config_static_selectorELNS0_4arch9wavefront6targetE0EEEvT1_.uses_flat_scratch, 0
	.set _ZN7rocprim17ROCPRIM_400000_NS6detail17trampoline_kernelINS0_14default_configENS1_27scan_by_key_config_selectorIiiEEZZNS1_16scan_by_key_implILNS1_25lookback_scan_determinismE0ELb0ES3_N6thrust23THRUST_200600_302600_NS6detail15normal_iteratorINS9_10device_ptrIiEEEENS9_18transform_iteratorINS9_6negateIiEESE_NS9_11use_defaultESI_EESE_iNS9_4plusIvEENS9_8equal_toIvEEiEE10hipError_tPvRmT2_T3_T4_T5_mT6_T7_P12ihipStream_tbENKUlT_T0_E_clISt17integral_constantIbLb0EES13_IbLb1EEEEDaSZ_S10_EUlSZ_E_NS1_11comp_targetILNS1_3genE0ELNS1_11target_archE4294967295ELNS1_3gpuE0ELNS1_3repE0EEENS1_30default_config_static_selectorELNS0_4arch9wavefront6targetE0EEEvT1_.has_dyn_sized_stack, 0
	.set _ZN7rocprim17ROCPRIM_400000_NS6detail17trampoline_kernelINS0_14default_configENS1_27scan_by_key_config_selectorIiiEEZZNS1_16scan_by_key_implILNS1_25lookback_scan_determinismE0ELb0ES3_N6thrust23THRUST_200600_302600_NS6detail15normal_iteratorINS9_10device_ptrIiEEEENS9_18transform_iteratorINS9_6negateIiEESE_NS9_11use_defaultESI_EESE_iNS9_4plusIvEENS9_8equal_toIvEEiEE10hipError_tPvRmT2_T3_T4_T5_mT6_T7_P12ihipStream_tbENKUlT_T0_E_clISt17integral_constantIbLb0EES13_IbLb1EEEEDaSZ_S10_EUlSZ_E_NS1_11comp_targetILNS1_3genE0ELNS1_11target_archE4294967295ELNS1_3gpuE0ELNS1_3repE0EEENS1_30default_config_static_selectorELNS0_4arch9wavefront6targetE0EEEvT1_.has_recursion, 0
	.set _ZN7rocprim17ROCPRIM_400000_NS6detail17trampoline_kernelINS0_14default_configENS1_27scan_by_key_config_selectorIiiEEZZNS1_16scan_by_key_implILNS1_25lookback_scan_determinismE0ELb0ES3_N6thrust23THRUST_200600_302600_NS6detail15normal_iteratorINS9_10device_ptrIiEEEENS9_18transform_iteratorINS9_6negateIiEESE_NS9_11use_defaultESI_EESE_iNS9_4plusIvEENS9_8equal_toIvEEiEE10hipError_tPvRmT2_T3_T4_T5_mT6_T7_P12ihipStream_tbENKUlT_T0_E_clISt17integral_constantIbLb0EES13_IbLb1EEEEDaSZ_S10_EUlSZ_E_NS1_11comp_targetILNS1_3genE0ELNS1_11target_archE4294967295ELNS1_3gpuE0ELNS1_3repE0EEENS1_30default_config_static_selectorELNS0_4arch9wavefront6targetE0EEEvT1_.has_indirect_call, 0
	.section	.AMDGPU.csdata,"",@progbits
; Kernel info:
; codeLenInByte = 0
; TotalNumSgprs: 0
; NumVgprs: 0
; ScratchSize: 0
; MemoryBound: 0
; FloatMode: 240
; IeeeMode: 1
; LDSByteSize: 0 bytes/workgroup (compile time only)
; SGPRBlocks: 0
; VGPRBlocks: 0
; NumSGPRsForWavesPerEU: 1
; NumVGPRsForWavesPerEU: 1
; Occupancy: 16
; WaveLimiterHint : 0
; COMPUTE_PGM_RSRC2:SCRATCH_EN: 0
; COMPUTE_PGM_RSRC2:USER_SGPR: 6
; COMPUTE_PGM_RSRC2:TRAP_HANDLER: 0
; COMPUTE_PGM_RSRC2:TGID_X_EN: 1
; COMPUTE_PGM_RSRC2:TGID_Y_EN: 0
; COMPUTE_PGM_RSRC2:TGID_Z_EN: 0
; COMPUTE_PGM_RSRC2:TIDIG_COMP_CNT: 0
	.section	.text._ZN7rocprim17ROCPRIM_400000_NS6detail17trampoline_kernelINS0_14default_configENS1_27scan_by_key_config_selectorIiiEEZZNS1_16scan_by_key_implILNS1_25lookback_scan_determinismE0ELb0ES3_N6thrust23THRUST_200600_302600_NS6detail15normal_iteratorINS9_10device_ptrIiEEEENS9_18transform_iteratorINS9_6negateIiEESE_NS9_11use_defaultESI_EESE_iNS9_4plusIvEENS9_8equal_toIvEEiEE10hipError_tPvRmT2_T3_T4_T5_mT6_T7_P12ihipStream_tbENKUlT_T0_E_clISt17integral_constantIbLb0EES13_IbLb1EEEEDaSZ_S10_EUlSZ_E_NS1_11comp_targetILNS1_3genE10ELNS1_11target_archE1201ELNS1_3gpuE5ELNS1_3repE0EEENS1_30default_config_static_selectorELNS0_4arch9wavefront6targetE0EEEvT1_,"axG",@progbits,_ZN7rocprim17ROCPRIM_400000_NS6detail17trampoline_kernelINS0_14default_configENS1_27scan_by_key_config_selectorIiiEEZZNS1_16scan_by_key_implILNS1_25lookback_scan_determinismE0ELb0ES3_N6thrust23THRUST_200600_302600_NS6detail15normal_iteratorINS9_10device_ptrIiEEEENS9_18transform_iteratorINS9_6negateIiEESE_NS9_11use_defaultESI_EESE_iNS9_4plusIvEENS9_8equal_toIvEEiEE10hipError_tPvRmT2_T3_T4_T5_mT6_T7_P12ihipStream_tbENKUlT_T0_E_clISt17integral_constantIbLb0EES13_IbLb1EEEEDaSZ_S10_EUlSZ_E_NS1_11comp_targetILNS1_3genE10ELNS1_11target_archE1201ELNS1_3gpuE5ELNS1_3repE0EEENS1_30default_config_static_selectorELNS0_4arch9wavefront6targetE0EEEvT1_,comdat
	.protected	_ZN7rocprim17ROCPRIM_400000_NS6detail17trampoline_kernelINS0_14default_configENS1_27scan_by_key_config_selectorIiiEEZZNS1_16scan_by_key_implILNS1_25lookback_scan_determinismE0ELb0ES3_N6thrust23THRUST_200600_302600_NS6detail15normal_iteratorINS9_10device_ptrIiEEEENS9_18transform_iteratorINS9_6negateIiEESE_NS9_11use_defaultESI_EESE_iNS9_4plusIvEENS9_8equal_toIvEEiEE10hipError_tPvRmT2_T3_T4_T5_mT6_T7_P12ihipStream_tbENKUlT_T0_E_clISt17integral_constantIbLb0EES13_IbLb1EEEEDaSZ_S10_EUlSZ_E_NS1_11comp_targetILNS1_3genE10ELNS1_11target_archE1201ELNS1_3gpuE5ELNS1_3repE0EEENS1_30default_config_static_selectorELNS0_4arch9wavefront6targetE0EEEvT1_ ; -- Begin function _ZN7rocprim17ROCPRIM_400000_NS6detail17trampoline_kernelINS0_14default_configENS1_27scan_by_key_config_selectorIiiEEZZNS1_16scan_by_key_implILNS1_25lookback_scan_determinismE0ELb0ES3_N6thrust23THRUST_200600_302600_NS6detail15normal_iteratorINS9_10device_ptrIiEEEENS9_18transform_iteratorINS9_6negateIiEESE_NS9_11use_defaultESI_EESE_iNS9_4plusIvEENS9_8equal_toIvEEiEE10hipError_tPvRmT2_T3_T4_T5_mT6_T7_P12ihipStream_tbENKUlT_T0_E_clISt17integral_constantIbLb0EES13_IbLb1EEEEDaSZ_S10_EUlSZ_E_NS1_11comp_targetILNS1_3genE10ELNS1_11target_archE1201ELNS1_3gpuE5ELNS1_3repE0EEENS1_30default_config_static_selectorELNS0_4arch9wavefront6targetE0EEEvT1_
	.globl	_ZN7rocprim17ROCPRIM_400000_NS6detail17trampoline_kernelINS0_14default_configENS1_27scan_by_key_config_selectorIiiEEZZNS1_16scan_by_key_implILNS1_25lookback_scan_determinismE0ELb0ES3_N6thrust23THRUST_200600_302600_NS6detail15normal_iteratorINS9_10device_ptrIiEEEENS9_18transform_iteratorINS9_6negateIiEESE_NS9_11use_defaultESI_EESE_iNS9_4plusIvEENS9_8equal_toIvEEiEE10hipError_tPvRmT2_T3_T4_T5_mT6_T7_P12ihipStream_tbENKUlT_T0_E_clISt17integral_constantIbLb0EES13_IbLb1EEEEDaSZ_S10_EUlSZ_E_NS1_11comp_targetILNS1_3genE10ELNS1_11target_archE1201ELNS1_3gpuE5ELNS1_3repE0EEENS1_30default_config_static_selectorELNS0_4arch9wavefront6targetE0EEEvT1_
	.p2align	8
	.type	_ZN7rocprim17ROCPRIM_400000_NS6detail17trampoline_kernelINS0_14default_configENS1_27scan_by_key_config_selectorIiiEEZZNS1_16scan_by_key_implILNS1_25lookback_scan_determinismE0ELb0ES3_N6thrust23THRUST_200600_302600_NS6detail15normal_iteratorINS9_10device_ptrIiEEEENS9_18transform_iteratorINS9_6negateIiEESE_NS9_11use_defaultESI_EESE_iNS9_4plusIvEENS9_8equal_toIvEEiEE10hipError_tPvRmT2_T3_T4_T5_mT6_T7_P12ihipStream_tbENKUlT_T0_E_clISt17integral_constantIbLb0EES13_IbLb1EEEEDaSZ_S10_EUlSZ_E_NS1_11comp_targetILNS1_3genE10ELNS1_11target_archE1201ELNS1_3gpuE5ELNS1_3repE0EEENS1_30default_config_static_selectorELNS0_4arch9wavefront6targetE0EEEvT1_,@function
_ZN7rocprim17ROCPRIM_400000_NS6detail17trampoline_kernelINS0_14default_configENS1_27scan_by_key_config_selectorIiiEEZZNS1_16scan_by_key_implILNS1_25lookback_scan_determinismE0ELb0ES3_N6thrust23THRUST_200600_302600_NS6detail15normal_iteratorINS9_10device_ptrIiEEEENS9_18transform_iteratorINS9_6negateIiEESE_NS9_11use_defaultESI_EESE_iNS9_4plusIvEENS9_8equal_toIvEEiEE10hipError_tPvRmT2_T3_T4_T5_mT6_T7_P12ihipStream_tbENKUlT_T0_E_clISt17integral_constantIbLb0EES13_IbLb1EEEEDaSZ_S10_EUlSZ_E_NS1_11comp_targetILNS1_3genE10ELNS1_11target_archE1201ELNS1_3gpuE5ELNS1_3repE0EEENS1_30default_config_static_selectorELNS0_4arch9wavefront6targetE0EEEvT1_: ; @_ZN7rocprim17ROCPRIM_400000_NS6detail17trampoline_kernelINS0_14default_configENS1_27scan_by_key_config_selectorIiiEEZZNS1_16scan_by_key_implILNS1_25lookback_scan_determinismE0ELb0ES3_N6thrust23THRUST_200600_302600_NS6detail15normal_iteratorINS9_10device_ptrIiEEEENS9_18transform_iteratorINS9_6negateIiEESE_NS9_11use_defaultESI_EESE_iNS9_4plusIvEENS9_8equal_toIvEEiEE10hipError_tPvRmT2_T3_T4_T5_mT6_T7_P12ihipStream_tbENKUlT_T0_E_clISt17integral_constantIbLb0EES13_IbLb1EEEEDaSZ_S10_EUlSZ_E_NS1_11comp_targetILNS1_3genE10ELNS1_11target_archE1201ELNS1_3gpuE5ELNS1_3repE0EEENS1_30default_config_static_selectorELNS0_4arch9wavefront6targetE0EEEvT1_
; %bb.0:
	.section	.rodata,"a",@progbits
	.p2align	6, 0x0
	.amdhsa_kernel _ZN7rocprim17ROCPRIM_400000_NS6detail17trampoline_kernelINS0_14default_configENS1_27scan_by_key_config_selectorIiiEEZZNS1_16scan_by_key_implILNS1_25lookback_scan_determinismE0ELb0ES3_N6thrust23THRUST_200600_302600_NS6detail15normal_iteratorINS9_10device_ptrIiEEEENS9_18transform_iteratorINS9_6negateIiEESE_NS9_11use_defaultESI_EESE_iNS9_4plusIvEENS9_8equal_toIvEEiEE10hipError_tPvRmT2_T3_T4_T5_mT6_T7_P12ihipStream_tbENKUlT_T0_E_clISt17integral_constantIbLb0EES13_IbLb1EEEEDaSZ_S10_EUlSZ_E_NS1_11comp_targetILNS1_3genE10ELNS1_11target_archE1201ELNS1_3gpuE5ELNS1_3repE0EEENS1_30default_config_static_selectorELNS0_4arch9wavefront6targetE0EEEvT1_
		.amdhsa_group_segment_fixed_size 0
		.amdhsa_private_segment_fixed_size 0
		.amdhsa_kernarg_size 120
		.amdhsa_user_sgpr_count 6
		.amdhsa_user_sgpr_private_segment_buffer 1
		.amdhsa_user_sgpr_dispatch_ptr 0
		.amdhsa_user_sgpr_queue_ptr 0
		.amdhsa_user_sgpr_kernarg_segment_ptr 1
		.amdhsa_user_sgpr_dispatch_id 0
		.amdhsa_user_sgpr_flat_scratch_init 0
		.amdhsa_user_sgpr_private_segment_size 0
		.amdhsa_wavefront_size32 1
		.amdhsa_uses_dynamic_stack 0
		.amdhsa_system_sgpr_private_segment_wavefront_offset 0
		.amdhsa_system_sgpr_workgroup_id_x 1
		.amdhsa_system_sgpr_workgroup_id_y 0
		.amdhsa_system_sgpr_workgroup_id_z 0
		.amdhsa_system_sgpr_workgroup_info 0
		.amdhsa_system_vgpr_workitem_id 0
		.amdhsa_next_free_vgpr 1
		.amdhsa_next_free_sgpr 1
		.amdhsa_reserve_vcc 0
		.amdhsa_reserve_flat_scratch 0
		.amdhsa_float_round_mode_32 0
		.amdhsa_float_round_mode_16_64 0
		.amdhsa_float_denorm_mode_32 3
		.amdhsa_float_denorm_mode_16_64 3
		.amdhsa_dx10_clamp 1
		.amdhsa_ieee_mode 1
		.amdhsa_fp16_overflow 0
		.amdhsa_workgroup_processor_mode 1
		.amdhsa_memory_ordered 1
		.amdhsa_forward_progress 1
		.amdhsa_shared_vgpr_count 0
		.amdhsa_exception_fp_ieee_invalid_op 0
		.amdhsa_exception_fp_denorm_src 0
		.amdhsa_exception_fp_ieee_div_zero 0
		.amdhsa_exception_fp_ieee_overflow 0
		.amdhsa_exception_fp_ieee_underflow 0
		.amdhsa_exception_fp_ieee_inexact 0
		.amdhsa_exception_int_div_zero 0
	.end_amdhsa_kernel
	.section	.text._ZN7rocprim17ROCPRIM_400000_NS6detail17trampoline_kernelINS0_14default_configENS1_27scan_by_key_config_selectorIiiEEZZNS1_16scan_by_key_implILNS1_25lookback_scan_determinismE0ELb0ES3_N6thrust23THRUST_200600_302600_NS6detail15normal_iteratorINS9_10device_ptrIiEEEENS9_18transform_iteratorINS9_6negateIiEESE_NS9_11use_defaultESI_EESE_iNS9_4plusIvEENS9_8equal_toIvEEiEE10hipError_tPvRmT2_T3_T4_T5_mT6_T7_P12ihipStream_tbENKUlT_T0_E_clISt17integral_constantIbLb0EES13_IbLb1EEEEDaSZ_S10_EUlSZ_E_NS1_11comp_targetILNS1_3genE10ELNS1_11target_archE1201ELNS1_3gpuE5ELNS1_3repE0EEENS1_30default_config_static_selectorELNS0_4arch9wavefront6targetE0EEEvT1_,"axG",@progbits,_ZN7rocprim17ROCPRIM_400000_NS6detail17trampoline_kernelINS0_14default_configENS1_27scan_by_key_config_selectorIiiEEZZNS1_16scan_by_key_implILNS1_25lookback_scan_determinismE0ELb0ES3_N6thrust23THRUST_200600_302600_NS6detail15normal_iteratorINS9_10device_ptrIiEEEENS9_18transform_iteratorINS9_6negateIiEESE_NS9_11use_defaultESI_EESE_iNS9_4plusIvEENS9_8equal_toIvEEiEE10hipError_tPvRmT2_T3_T4_T5_mT6_T7_P12ihipStream_tbENKUlT_T0_E_clISt17integral_constantIbLb0EES13_IbLb1EEEEDaSZ_S10_EUlSZ_E_NS1_11comp_targetILNS1_3genE10ELNS1_11target_archE1201ELNS1_3gpuE5ELNS1_3repE0EEENS1_30default_config_static_selectorELNS0_4arch9wavefront6targetE0EEEvT1_,comdat
.Lfunc_end957:
	.size	_ZN7rocprim17ROCPRIM_400000_NS6detail17trampoline_kernelINS0_14default_configENS1_27scan_by_key_config_selectorIiiEEZZNS1_16scan_by_key_implILNS1_25lookback_scan_determinismE0ELb0ES3_N6thrust23THRUST_200600_302600_NS6detail15normal_iteratorINS9_10device_ptrIiEEEENS9_18transform_iteratorINS9_6negateIiEESE_NS9_11use_defaultESI_EESE_iNS9_4plusIvEENS9_8equal_toIvEEiEE10hipError_tPvRmT2_T3_T4_T5_mT6_T7_P12ihipStream_tbENKUlT_T0_E_clISt17integral_constantIbLb0EES13_IbLb1EEEEDaSZ_S10_EUlSZ_E_NS1_11comp_targetILNS1_3genE10ELNS1_11target_archE1201ELNS1_3gpuE5ELNS1_3repE0EEENS1_30default_config_static_selectorELNS0_4arch9wavefront6targetE0EEEvT1_, .Lfunc_end957-_ZN7rocprim17ROCPRIM_400000_NS6detail17trampoline_kernelINS0_14default_configENS1_27scan_by_key_config_selectorIiiEEZZNS1_16scan_by_key_implILNS1_25lookback_scan_determinismE0ELb0ES3_N6thrust23THRUST_200600_302600_NS6detail15normal_iteratorINS9_10device_ptrIiEEEENS9_18transform_iteratorINS9_6negateIiEESE_NS9_11use_defaultESI_EESE_iNS9_4plusIvEENS9_8equal_toIvEEiEE10hipError_tPvRmT2_T3_T4_T5_mT6_T7_P12ihipStream_tbENKUlT_T0_E_clISt17integral_constantIbLb0EES13_IbLb1EEEEDaSZ_S10_EUlSZ_E_NS1_11comp_targetILNS1_3genE10ELNS1_11target_archE1201ELNS1_3gpuE5ELNS1_3repE0EEENS1_30default_config_static_selectorELNS0_4arch9wavefront6targetE0EEEvT1_
                                        ; -- End function
	.set _ZN7rocprim17ROCPRIM_400000_NS6detail17trampoline_kernelINS0_14default_configENS1_27scan_by_key_config_selectorIiiEEZZNS1_16scan_by_key_implILNS1_25lookback_scan_determinismE0ELb0ES3_N6thrust23THRUST_200600_302600_NS6detail15normal_iteratorINS9_10device_ptrIiEEEENS9_18transform_iteratorINS9_6negateIiEESE_NS9_11use_defaultESI_EESE_iNS9_4plusIvEENS9_8equal_toIvEEiEE10hipError_tPvRmT2_T3_T4_T5_mT6_T7_P12ihipStream_tbENKUlT_T0_E_clISt17integral_constantIbLb0EES13_IbLb1EEEEDaSZ_S10_EUlSZ_E_NS1_11comp_targetILNS1_3genE10ELNS1_11target_archE1201ELNS1_3gpuE5ELNS1_3repE0EEENS1_30default_config_static_selectorELNS0_4arch9wavefront6targetE0EEEvT1_.num_vgpr, 0
	.set _ZN7rocprim17ROCPRIM_400000_NS6detail17trampoline_kernelINS0_14default_configENS1_27scan_by_key_config_selectorIiiEEZZNS1_16scan_by_key_implILNS1_25lookback_scan_determinismE0ELb0ES3_N6thrust23THRUST_200600_302600_NS6detail15normal_iteratorINS9_10device_ptrIiEEEENS9_18transform_iteratorINS9_6negateIiEESE_NS9_11use_defaultESI_EESE_iNS9_4plusIvEENS9_8equal_toIvEEiEE10hipError_tPvRmT2_T3_T4_T5_mT6_T7_P12ihipStream_tbENKUlT_T0_E_clISt17integral_constantIbLb0EES13_IbLb1EEEEDaSZ_S10_EUlSZ_E_NS1_11comp_targetILNS1_3genE10ELNS1_11target_archE1201ELNS1_3gpuE5ELNS1_3repE0EEENS1_30default_config_static_selectorELNS0_4arch9wavefront6targetE0EEEvT1_.num_agpr, 0
	.set _ZN7rocprim17ROCPRIM_400000_NS6detail17trampoline_kernelINS0_14default_configENS1_27scan_by_key_config_selectorIiiEEZZNS1_16scan_by_key_implILNS1_25lookback_scan_determinismE0ELb0ES3_N6thrust23THRUST_200600_302600_NS6detail15normal_iteratorINS9_10device_ptrIiEEEENS9_18transform_iteratorINS9_6negateIiEESE_NS9_11use_defaultESI_EESE_iNS9_4plusIvEENS9_8equal_toIvEEiEE10hipError_tPvRmT2_T3_T4_T5_mT6_T7_P12ihipStream_tbENKUlT_T0_E_clISt17integral_constantIbLb0EES13_IbLb1EEEEDaSZ_S10_EUlSZ_E_NS1_11comp_targetILNS1_3genE10ELNS1_11target_archE1201ELNS1_3gpuE5ELNS1_3repE0EEENS1_30default_config_static_selectorELNS0_4arch9wavefront6targetE0EEEvT1_.numbered_sgpr, 0
	.set _ZN7rocprim17ROCPRIM_400000_NS6detail17trampoline_kernelINS0_14default_configENS1_27scan_by_key_config_selectorIiiEEZZNS1_16scan_by_key_implILNS1_25lookback_scan_determinismE0ELb0ES3_N6thrust23THRUST_200600_302600_NS6detail15normal_iteratorINS9_10device_ptrIiEEEENS9_18transform_iteratorINS9_6negateIiEESE_NS9_11use_defaultESI_EESE_iNS9_4plusIvEENS9_8equal_toIvEEiEE10hipError_tPvRmT2_T3_T4_T5_mT6_T7_P12ihipStream_tbENKUlT_T0_E_clISt17integral_constantIbLb0EES13_IbLb1EEEEDaSZ_S10_EUlSZ_E_NS1_11comp_targetILNS1_3genE10ELNS1_11target_archE1201ELNS1_3gpuE5ELNS1_3repE0EEENS1_30default_config_static_selectorELNS0_4arch9wavefront6targetE0EEEvT1_.num_named_barrier, 0
	.set _ZN7rocprim17ROCPRIM_400000_NS6detail17trampoline_kernelINS0_14default_configENS1_27scan_by_key_config_selectorIiiEEZZNS1_16scan_by_key_implILNS1_25lookback_scan_determinismE0ELb0ES3_N6thrust23THRUST_200600_302600_NS6detail15normal_iteratorINS9_10device_ptrIiEEEENS9_18transform_iteratorINS9_6negateIiEESE_NS9_11use_defaultESI_EESE_iNS9_4plusIvEENS9_8equal_toIvEEiEE10hipError_tPvRmT2_T3_T4_T5_mT6_T7_P12ihipStream_tbENKUlT_T0_E_clISt17integral_constantIbLb0EES13_IbLb1EEEEDaSZ_S10_EUlSZ_E_NS1_11comp_targetILNS1_3genE10ELNS1_11target_archE1201ELNS1_3gpuE5ELNS1_3repE0EEENS1_30default_config_static_selectorELNS0_4arch9wavefront6targetE0EEEvT1_.private_seg_size, 0
	.set _ZN7rocprim17ROCPRIM_400000_NS6detail17trampoline_kernelINS0_14default_configENS1_27scan_by_key_config_selectorIiiEEZZNS1_16scan_by_key_implILNS1_25lookback_scan_determinismE0ELb0ES3_N6thrust23THRUST_200600_302600_NS6detail15normal_iteratorINS9_10device_ptrIiEEEENS9_18transform_iteratorINS9_6negateIiEESE_NS9_11use_defaultESI_EESE_iNS9_4plusIvEENS9_8equal_toIvEEiEE10hipError_tPvRmT2_T3_T4_T5_mT6_T7_P12ihipStream_tbENKUlT_T0_E_clISt17integral_constantIbLb0EES13_IbLb1EEEEDaSZ_S10_EUlSZ_E_NS1_11comp_targetILNS1_3genE10ELNS1_11target_archE1201ELNS1_3gpuE5ELNS1_3repE0EEENS1_30default_config_static_selectorELNS0_4arch9wavefront6targetE0EEEvT1_.uses_vcc, 0
	.set _ZN7rocprim17ROCPRIM_400000_NS6detail17trampoline_kernelINS0_14default_configENS1_27scan_by_key_config_selectorIiiEEZZNS1_16scan_by_key_implILNS1_25lookback_scan_determinismE0ELb0ES3_N6thrust23THRUST_200600_302600_NS6detail15normal_iteratorINS9_10device_ptrIiEEEENS9_18transform_iteratorINS9_6negateIiEESE_NS9_11use_defaultESI_EESE_iNS9_4plusIvEENS9_8equal_toIvEEiEE10hipError_tPvRmT2_T3_T4_T5_mT6_T7_P12ihipStream_tbENKUlT_T0_E_clISt17integral_constantIbLb0EES13_IbLb1EEEEDaSZ_S10_EUlSZ_E_NS1_11comp_targetILNS1_3genE10ELNS1_11target_archE1201ELNS1_3gpuE5ELNS1_3repE0EEENS1_30default_config_static_selectorELNS0_4arch9wavefront6targetE0EEEvT1_.uses_flat_scratch, 0
	.set _ZN7rocprim17ROCPRIM_400000_NS6detail17trampoline_kernelINS0_14default_configENS1_27scan_by_key_config_selectorIiiEEZZNS1_16scan_by_key_implILNS1_25lookback_scan_determinismE0ELb0ES3_N6thrust23THRUST_200600_302600_NS6detail15normal_iteratorINS9_10device_ptrIiEEEENS9_18transform_iteratorINS9_6negateIiEESE_NS9_11use_defaultESI_EESE_iNS9_4plusIvEENS9_8equal_toIvEEiEE10hipError_tPvRmT2_T3_T4_T5_mT6_T7_P12ihipStream_tbENKUlT_T0_E_clISt17integral_constantIbLb0EES13_IbLb1EEEEDaSZ_S10_EUlSZ_E_NS1_11comp_targetILNS1_3genE10ELNS1_11target_archE1201ELNS1_3gpuE5ELNS1_3repE0EEENS1_30default_config_static_selectorELNS0_4arch9wavefront6targetE0EEEvT1_.has_dyn_sized_stack, 0
	.set _ZN7rocprim17ROCPRIM_400000_NS6detail17trampoline_kernelINS0_14default_configENS1_27scan_by_key_config_selectorIiiEEZZNS1_16scan_by_key_implILNS1_25lookback_scan_determinismE0ELb0ES3_N6thrust23THRUST_200600_302600_NS6detail15normal_iteratorINS9_10device_ptrIiEEEENS9_18transform_iteratorINS9_6negateIiEESE_NS9_11use_defaultESI_EESE_iNS9_4plusIvEENS9_8equal_toIvEEiEE10hipError_tPvRmT2_T3_T4_T5_mT6_T7_P12ihipStream_tbENKUlT_T0_E_clISt17integral_constantIbLb0EES13_IbLb1EEEEDaSZ_S10_EUlSZ_E_NS1_11comp_targetILNS1_3genE10ELNS1_11target_archE1201ELNS1_3gpuE5ELNS1_3repE0EEENS1_30default_config_static_selectorELNS0_4arch9wavefront6targetE0EEEvT1_.has_recursion, 0
	.set _ZN7rocprim17ROCPRIM_400000_NS6detail17trampoline_kernelINS0_14default_configENS1_27scan_by_key_config_selectorIiiEEZZNS1_16scan_by_key_implILNS1_25lookback_scan_determinismE0ELb0ES3_N6thrust23THRUST_200600_302600_NS6detail15normal_iteratorINS9_10device_ptrIiEEEENS9_18transform_iteratorINS9_6negateIiEESE_NS9_11use_defaultESI_EESE_iNS9_4plusIvEENS9_8equal_toIvEEiEE10hipError_tPvRmT2_T3_T4_T5_mT6_T7_P12ihipStream_tbENKUlT_T0_E_clISt17integral_constantIbLb0EES13_IbLb1EEEEDaSZ_S10_EUlSZ_E_NS1_11comp_targetILNS1_3genE10ELNS1_11target_archE1201ELNS1_3gpuE5ELNS1_3repE0EEENS1_30default_config_static_selectorELNS0_4arch9wavefront6targetE0EEEvT1_.has_indirect_call, 0
	.section	.AMDGPU.csdata,"",@progbits
; Kernel info:
; codeLenInByte = 0
; TotalNumSgprs: 0
; NumVgprs: 0
; ScratchSize: 0
; MemoryBound: 0
; FloatMode: 240
; IeeeMode: 1
; LDSByteSize: 0 bytes/workgroup (compile time only)
; SGPRBlocks: 0
; VGPRBlocks: 0
; NumSGPRsForWavesPerEU: 1
; NumVGPRsForWavesPerEU: 1
; Occupancy: 16
; WaveLimiterHint : 0
; COMPUTE_PGM_RSRC2:SCRATCH_EN: 0
; COMPUTE_PGM_RSRC2:USER_SGPR: 6
; COMPUTE_PGM_RSRC2:TRAP_HANDLER: 0
; COMPUTE_PGM_RSRC2:TGID_X_EN: 1
; COMPUTE_PGM_RSRC2:TGID_Y_EN: 0
; COMPUTE_PGM_RSRC2:TGID_Z_EN: 0
; COMPUTE_PGM_RSRC2:TIDIG_COMP_CNT: 0
	.section	.text._ZN7rocprim17ROCPRIM_400000_NS6detail17trampoline_kernelINS0_14default_configENS1_27scan_by_key_config_selectorIiiEEZZNS1_16scan_by_key_implILNS1_25lookback_scan_determinismE0ELb0ES3_N6thrust23THRUST_200600_302600_NS6detail15normal_iteratorINS9_10device_ptrIiEEEENS9_18transform_iteratorINS9_6negateIiEESE_NS9_11use_defaultESI_EESE_iNS9_4plusIvEENS9_8equal_toIvEEiEE10hipError_tPvRmT2_T3_T4_T5_mT6_T7_P12ihipStream_tbENKUlT_T0_E_clISt17integral_constantIbLb0EES13_IbLb1EEEEDaSZ_S10_EUlSZ_E_NS1_11comp_targetILNS1_3genE5ELNS1_11target_archE942ELNS1_3gpuE9ELNS1_3repE0EEENS1_30default_config_static_selectorELNS0_4arch9wavefront6targetE0EEEvT1_,"axG",@progbits,_ZN7rocprim17ROCPRIM_400000_NS6detail17trampoline_kernelINS0_14default_configENS1_27scan_by_key_config_selectorIiiEEZZNS1_16scan_by_key_implILNS1_25lookback_scan_determinismE0ELb0ES3_N6thrust23THRUST_200600_302600_NS6detail15normal_iteratorINS9_10device_ptrIiEEEENS9_18transform_iteratorINS9_6negateIiEESE_NS9_11use_defaultESI_EESE_iNS9_4plusIvEENS9_8equal_toIvEEiEE10hipError_tPvRmT2_T3_T4_T5_mT6_T7_P12ihipStream_tbENKUlT_T0_E_clISt17integral_constantIbLb0EES13_IbLb1EEEEDaSZ_S10_EUlSZ_E_NS1_11comp_targetILNS1_3genE5ELNS1_11target_archE942ELNS1_3gpuE9ELNS1_3repE0EEENS1_30default_config_static_selectorELNS0_4arch9wavefront6targetE0EEEvT1_,comdat
	.protected	_ZN7rocprim17ROCPRIM_400000_NS6detail17trampoline_kernelINS0_14default_configENS1_27scan_by_key_config_selectorIiiEEZZNS1_16scan_by_key_implILNS1_25lookback_scan_determinismE0ELb0ES3_N6thrust23THRUST_200600_302600_NS6detail15normal_iteratorINS9_10device_ptrIiEEEENS9_18transform_iteratorINS9_6negateIiEESE_NS9_11use_defaultESI_EESE_iNS9_4plusIvEENS9_8equal_toIvEEiEE10hipError_tPvRmT2_T3_T4_T5_mT6_T7_P12ihipStream_tbENKUlT_T0_E_clISt17integral_constantIbLb0EES13_IbLb1EEEEDaSZ_S10_EUlSZ_E_NS1_11comp_targetILNS1_3genE5ELNS1_11target_archE942ELNS1_3gpuE9ELNS1_3repE0EEENS1_30default_config_static_selectorELNS0_4arch9wavefront6targetE0EEEvT1_ ; -- Begin function _ZN7rocprim17ROCPRIM_400000_NS6detail17trampoline_kernelINS0_14default_configENS1_27scan_by_key_config_selectorIiiEEZZNS1_16scan_by_key_implILNS1_25lookback_scan_determinismE0ELb0ES3_N6thrust23THRUST_200600_302600_NS6detail15normal_iteratorINS9_10device_ptrIiEEEENS9_18transform_iteratorINS9_6negateIiEESE_NS9_11use_defaultESI_EESE_iNS9_4plusIvEENS9_8equal_toIvEEiEE10hipError_tPvRmT2_T3_T4_T5_mT6_T7_P12ihipStream_tbENKUlT_T0_E_clISt17integral_constantIbLb0EES13_IbLb1EEEEDaSZ_S10_EUlSZ_E_NS1_11comp_targetILNS1_3genE5ELNS1_11target_archE942ELNS1_3gpuE9ELNS1_3repE0EEENS1_30default_config_static_selectorELNS0_4arch9wavefront6targetE0EEEvT1_
	.globl	_ZN7rocprim17ROCPRIM_400000_NS6detail17trampoline_kernelINS0_14default_configENS1_27scan_by_key_config_selectorIiiEEZZNS1_16scan_by_key_implILNS1_25lookback_scan_determinismE0ELb0ES3_N6thrust23THRUST_200600_302600_NS6detail15normal_iteratorINS9_10device_ptrIiEEEENS9_18transform_iteratorINS9_6negateIiEESE_NS9_11use_defaultESI_EESE_iNS9_4plusIvEENS9_8equal_toIvEEiEE10hipError_tPvRmT2_T3_T4_T5_mT6_T7_P12ihipStream_tbENKUlT_T0_E_clISt17integral_constantIbLb0EES13_IbLb1EEEEDaSZ_S10_EUlSZ_E_NS1_11comp_targetILNS1_3genE5ELNS1_11target_archE942ELNS1_3gpuE9ELNS1_3repE0EEENS1_30default_config_static_selectorELNS0_4arch9wavefront6targetE0EEEvT1_
	.p2align	8
	.type	_ZN7rocprim17ROCPRIM_400000_NS6detail17trampoline_kernelINS0_14default_configENS1_27scan_by_key_config_selectorIiiEEZZNS1_16scan_by_key_implILNS1_25lookback_scan_determinismE0ELb0ES3_N6thrust23THRUST_200600_302600_NS6detail15normal_iteratorINS9_10device_ptrIiEEEENS9_18transform_iteratorINS9_6negateIiEESE_NS9_11use_defaultESI_EESE_iNS9_4plusIvEENS9_8equal_toIvEEiEE10hipError_tPvRmT2_T3_T4_T5_mT6_T7_P12ihipStream_tbENKUlT_T0_E_clISt17integral_constantIbLb0EES13_IbLb1EEEEDaSZ_S10_EUlSZ_E_NS1_11comp_targetILNS1_3genE5ELNS1_11target_archE942ELNS1_3gpuE9ELNS1_3repE0EEENS1_30default_config_static_selectorELNS0_4arch9wavefront6targetE0EEEvT1_,@function
_ZN7rocprim17ROCPRIM_400000_NS6detail17trampoline_kernelINS0_14default_configENS1_27scan_by_key_config_selectorIiiEEZZNS1_16scan_by_key_implILNS1_25lookback_scan_determinismE0ELb0ES3_N6thrust23THRUST_200600_302600_NS6detail15normal_iteratorINS9_10device_ptrIiEEEENS9_18transform_iteratorINS9_6negateIiEESE_NS9_11use_defaultESI_EESE_iNS9_4plusIvEENS9_8equal_toIvEEiEE10hipError_tPvRmT2_T3_T4_T5_mT6_T7_P12ihipStream_tbENKUlT_T0_E_clISt17integral_constantIbLb0EES13_IbLb1EEEEDaSZ_S10_EUlSZ_E_NS1_11comp_targetILNS1_3genE5ELNS1_11target_archE942ELNS1_3gpuE9ELNS1_3repE0EEENS1_30default_config_static_selectorELNS0_4arch9wavefront6targetE0EEEvT1_: ; @_ZN7rocprim17ROCPRIM_400000_NS6detail17trampoline_kernelINS0_14default_configENS1_27scan_by_key_config_selectorIiiEEZZNS1_16scan_by_key_implILNS1_25lookback_scan_determinismE0ELb0ES3_N6thrust23THRUST_200600_302600_NS6detail15normal_iteratorINS9_10device_ptrIiEEEENS9_18transform_iteratorINS9_6negateIiEESE_NS9_11use_defaultESI_EESE_iNS9_4plusIvEENS9_8equal_toIvEEiEE10hipError_tPvRmT2_T3_T4_T5_mT6_T7_P12ihipStream_tbENKUlT_T0_E_clISt17integral_constantIbLb0EES13_IbLb1EEEEDaSZ_S10_EUlSZ_E_NS1_11comp_targetILNS1_3genE5ELNS1_11target_archE942ELNS1_3gpuE9ELNS1_3repE0EEENS1_30default_config_static_selectorELNS0_4arch9wavefront6targetE0EEEvT1_
; %bb.0:
	.section	.rodata,"a",@progbits
	.p2align	6, 0x0
	.amdhsa_kernel _ZN7rocprim17ROCPRIM_400000_NS6detail17trampoline_kernelINS0_14default_configENS1_27scan_by_key_config_selectorIiiEEZZNS1_16scan_by_key_implILNS1_25lookback_scan_determinismE0ELb0ES3_N6thrust23THRUST_200600_302600_NS6detail15normal_iteratorINS9_10device_ptrIiEEEENS9_18transform_iteratorINS9_6negateIiEESE_NS9_11use_defaultESI_EESE_iNS9_4plusIvEENS9_8equal_toIvEEiEE10hipError_tPvRmT2_T3_T4_T5_mT6_T7_P12ihipStream_tbENKUlT_T0_E_clISt17integral_constantIbLb0EES13_IbLb1EEEEDaSZ_S10_EUlSZ_E_NS1_11comp_targetILNS1_3genE5ELNS1_11target_archE942ELNS1_3gpuE9ELNS1_3repE0EEENS1_30default_config_static_selectorELNS0_4arch9wavefront6targetE0EEEvT1_
		.amdhsa_group_segment_fixed_size 0
		.amdhsa_private_segment_fixed_size 0
		.amdhsa_kernarg_size 120
		.amdhsa_user_sgpr_count 6
		.amdhsa_user_sgpr_private_segment_buffer 1
		.amdhsa_user_sgpr_dispatch_ptr 0
		.amdhsa_user_sgpr_queue_ptr 0
		.amdhsa_user_sgpr_kernarg_segment_ptr 1
		.amdhsa_user_sgpr_dispatch_id 0
		.amdhsa_user_sgpr_flat_scratch_init 0
		.amdhsa_user_sgpr_private_segment_size 0
		.amdhsa_wavefront_size32 1
		.amdhsa_uses_dynamic_stack 0
		.amdhsa_system_sgpr_private_segment_wavefront_offset 0
		.amdhsa_system_sgpr_workgroup_id_x 1
		.amdhsa_system_sgpr_workgroup_id_y 0
		.amdhsa_system_sgpr_workgroup_id_z 0
		.amdhsa_system_sgpr_workgroup_info 0
		.amdhsa_system_vgpr_workitem_id 0
		.amdhsa_next_free_vgpr 1
		.amdhsa_next_free_sgpr 1
		.amdhsa_reserve_vcc 0
		.amdhsa_reserve_flat_scratch 0
		.amdhsa_float_round_mode_32 0
		.amdhsa_float_round_mode_16_64 0
		.amdhsa_float_denorm_mode_32 3
		.amdhsa_float_denorm_mode_16_64 3
		.amdhsa_dx10_clamp 1
		.amdhsa_ieee_mode 1
		.amdhsa_fp16_overflow 0
		.amdhsa_workgroup_processor_mode 1
		.amdhsa_memory_ordered 1
		.amdhsa_forward_progress 1
		.amdhsa_shared_vgpr_count 0
		.amdhsa_exception_fp_ieee_invalid_op 0
		.amdhsa_exception_fp_denorm_src 0
		.amdhsa_exception_fp_ieee_div_zero 0
		.amdhsa_exception_fp_ieee_overflow 0
		.amdhsa_exception_fp_ieee_underflow 0
		.amdhsa_exception_fp_ieee_inexact 0
		.amdhsa_exception_int_div_zero 0
	.end_amdhsa_kernel
	.section	.text._ZN7rocprim17ROCPRIM_400000_NS6detail17trampoline_kernelINS0_14default_configENS1_27scan_by_key_config_selectorIiiEEZZNS1_16scan_by_key_implILNS1_25lookback_scan_determinismE0ELb0ES3_N6thrust23THRUST_200600_302600_NS6detail15normal_iteratorINS9_10device_ptrIiEEEENS9_18transform_iteratorINS9_6negateIiEESE_NS9_11use_defaultESI_EESE_iNS9_4plusIvEENS9_8equal_toIvEEiEE10hipError_tPvRmT2_T3_T4_T5_mT6_T7_P12ihipStream_tbENKUlT_T0_E_clISt17integral_constantIbLb0EES13_IbLb1EEEEDaSZ_S10_EUlSZ_E_NS1_11comp_targetILNS1_3genE5ELNS1_11target_archE942ELNS1_3gpuE9ELNS1_3repE0EEENS1_30default_config_static_selectorELNS0_4arch9wavefront6targetE0EEEvT1_,"axG",@progbits,_ZN7rocprim17ROCPRIM_400000_NS6detail17trampoline_kernelINS0_14default_configENS1_27scan_by_key_config_selectorIiiEEZZNS1_16scan_by_key_implILNS1_25lookback_scan_determinismE0ELb0ES3_N6thrust23THRUST_200600_302600_NS6detail15normal_iteratorINS9_10device_ptrIiEEEENS9_18transform_iteratorINS9_6negateIiEESE_NS9_11use_defaultESI_EESE_iNS9_4plusIvEENS9_8equal_toIvEEiEE10hipError_tPvRmT2_T3_T4_T5_mT6_T7_P12ihipStream_tbENKUlT_T0_E_clISt17integral_constantIbLb0EES13_IbLb1EEEEDaSZ_S10_EUlSZ_E_NS1_11comp_targetILNS1_3genE5ELNS1_11target_archE942ELNS1_3gpuE9ELNS1_3repE0EEENS1_30default_config_static_selectorELNS0_4arch9wavefront6targetE0EEEvT1_,comdat
.Lfunc_end958:
	.size	_ZN7rocprim17ROCPRIM_400000_NS6detail17trampoline_kernelINS0_14default_configENS1_27scan_by_key_config_selectorIiiEEZZNS1_16scan_by_key_implILNS1_25lookback_scan_determinismE0ELb0ES3_N6thrust23THRUST_200600_302600_NS6detail15normal_iteratorINS9_10device_ptrIiEEEENS9_18transform_iteratorINS9_6negateIiEESE_NS9_11use_defaultESI_EESE_iNS9_4plusIvEENS9_8equal_toIvEEiEE10hipError_tPvRmT2_T3_T4_T5_mT6_T7_P12ihipStream_tbENKUlT_T0_E_clISt17integral_constantIbLb0EES13_IbLb1EEEEDaSZ_S10_EUlSZ_E_NS1_11comp_targetILNS1_3genE5ELNS1_11target_archE942ELNS1_3gpuE9ELNS1_3repE0EEENS1_30default_config_static_selectorELNS0_4arch9wavefront6targetE0EEEvT1_, .Lfunc_end958-_ZN7rocprim17ROCPRIM_400000_NS6detail17trampoline_kernelINS0_14default_configENS1_27scan_by_key_config_selectorIiiEEZZNS1_16scan_by_key_implILNS1_25lookback_scan_determinismE0ELb0ES3_N6thrust23THRUST_200600_302600_NS6detail15normal_iteratorINS9_10device_ptrIiEEEENS9_18transform_iteratorINS9_6negateIiEESE_NS9_11use_defaultESI_EESE_iNS9_4plusIvEENS9_8equal_toIvEEiEE10hipError_tPvRmT2_T3_T4_T5_mT6_T7_P12ihipStream_tbENKUlT_T0_E_clISt17integral_constantIbLb0EES13_IbLb1EEEEDaSZ_S10_EUlSZ_E_NS1_11comp_targetILNS1_3genE5ELNS1_11target_archE942ELNS1_3gpuE9ELNS1_3repE0EEENS1_30default_config_static_selectorELNS0_4arch9wavefront6targetE0EEEvT1_
                                        ; -- End function
	.set _ZN7rocprim17ROCPRIM_400000_NS6detail17trampoline_kernelINS0_14default_configENS1_27scan_by_key_config_selectorIiiEEZZNS1_16scan_by_key_implILNS1_25lookback_scan_determinismE0ELb0ES3_N6thrust23THRUST_200600_302600_NS6detail15normal_iteratorINS9_10device_ptrIiEEEENS9_18transform_iteratorINS9_6negateIiEESE_NS9_11use_defaultESI_EESE_iNS9_4plusIvEENS9_8equal_toIvEEiEE10hipError_tPvRmT2_T3_T4_T5_mT6_T7_P12ihipStream_tbENKUlT_T0_E_clISt17integral_constantIbLb0EES13_IbLb1EEEEDaSZ_S10_EUlSZ_E_NS1_11comp_targetILNS1_3genE5ELNS1_11target_archE942ELNS1_3gpuE9ELNS1_3repE0EEENS1_30default_config_static_selectorELNS0_4arch9wavefront6targetE0EEEvT1_.num_vgpr, 0
	.set _ZN7rocprim17ROCPRIM_400000_NS6detail17trampoline_kernelINS0_14default_configENS1_27scan_by_key_config_selectorIiiEEZZNS1_16scan_by_key_implILNS1_25lookback_scan_determinismE0ELb0ES3_N6thrust23THRUST_200600_302600_NS6detail15normal_iteratorINS9_10device_ptrIiEEEENS9_18transform_iteratorINS9_6negateIiEESE_NS9_11use_defaultESI_EESE_iNS9_4plusIvEENS9_8equal_toIvEEiEE10hipError_tPvRmT2_T3_T4_T5_mT6_T7_P12ihipStream_tbENKUlT_T0_E_clISt17integral_constantIbLb0EES13_IbLb1EEEEDaSZ_S10_EUlSZ_E_NS1_11comp_targetILNS1_3genE5ELNS1_11target_archE942ELNS1_3gpuE9ELNS1_3repE0EEENS1_30default_config_static_selectorELNS0_4arch9wavefront6targetE0EEEvT1_.num_agpr, 0
	.set _ZN7rocprim17ROCPRIM_400000_NS6detail17trampoline_kernelINS0_14default_configENS1_27scan_by_key_config_selectorIiiEEZZNS1_16scan_by_key_implILNS1_25lookback_scan_determinismE0ELb0ES3_N6thrust23THRUST_200600_302600_NS6detail15normal_iteratorINS9_10device_ptrIiEEEENS9_18transform_iteratorINS9_6negateIiEESE_NS9_11use_defaultESI_EESE_iNS9_4plusIvEENS9_8equal_toIvEEiEE10hipError_tPvRmT2_T3_T4_T5_mT6_T7_P12ihipStream_tbENKUlT_T0_E_clISt17integral_constantIbLb0EES13_IbLb1EEEEDaSZ_S10_EUlSZ_E_NS1_11comp_targetILNS1_3genE5ELNS1_11target_archE942ELNS1_3gpuE9ELNS1_3repE0EEENS1_30default_config_static_selectorELNS0_4arch9wavefront6targetE0EEEvT1_.numbered_sgpr, 0
	.set _ZN7rocprim17ROCPRIM_400000_NS6detail17trampoline_kernelINS0_14default_configENS1_27scan_by_key_config_selectorIiiEEZZNS1_16scan_by_key_implILNS1_25lookback_scan_determinismE0ELb0ES3_N6thrust23THRUST_200600_302600_NS6detail15normal_iteratorINS9_10device_ptrIiEEEENS9_18transform_iteratorINS9_6negateIiEESE_NS9_11use_defaultESI_EESE_iNS9_4plusIvEENS9_8equal_toIvEEiEE10hipError_tPvRmT2_T3_T4_T5_mT6_T7_P12ihipStream_tbENKUlT_T0_E_clISt17integral_constantIbLb0EES13_IbLb1EEEEDaSZ_S10_EUlSZ_E_NS1_11comp_targetILNS1_3genE5ELNS1_11target_archE942ELNS1_3gpuE9ELNS1_3repE0EEENS1_30default_config_static_selectorELNS0_4arch9wavefront6targetE0EEEvT1_.num_named_barrier, 0
	.set _ZN7rocprim17ROCPRIM_400000_NS6detail17trampoline_kernelINS0_14default_configENS1_27scan_by_key_config_selectorIiiEEZZNS1_16scan_by_key_implILNS1_25lookback_scan_determinismE0ELb0ES3_N6thrust23THRUST_200600_302600_NS6detail15normal_iteratorINS9_10device_ptrIiEEEENS9_18transform_iteratorINS9_6negateIiEESE_NS9_11use_defaultESI_EESE_iNS9_4plusIvEENS9_8equal_toIvEEiEE10hipError_tPvRmT2_T3_T4_T5_mT6_T7_P12ihipStream_tbENKUlT_T0_E_clISt17integral_constantIbLb0EES13_IbLb1EEEEDaSZ_S10_EUlSZ_E_NS1_11comp_targetILNS1_3genE5ELNS1_11target_archE942ELNS1_3gpuE9ELNS1_3repE0EEENS1_30default_config_static_selectorELNS0_4arch9wavefront6targetE0EEEvT1_.private_seg_size, 0
	.set _ZN7rocprim17ROCPRIM_400000_NS6detail17trampoline_kernelINS0_14default_configENS1_27scan_by_key_config_selectorIiiEEZZNS1_16scan_by_key_implILNS1_25lookback_scan_determinismE0ELb0ES3_N6thrust23THRUST_200600_302600_NS6detail15normal_iteratorINS9_10device_ptrIiEEEENS9_18transform_iteratorINS9_6negateIiEESE_NS9_11use_defaultESI_EESE_iNS9_4plusIvEENS9_8equal_toIvEEiEE10hipError_tPvRmT2_T3_T4_T5_mT6_T7_P12ihipStream_tbENKUlT_T0_E_clISt17integral_constantIbLb0EES13_IbLb1EEEEDaSZ_S10_EUlSZ_E_NS1_11comp_targetILNS1_3genE5ELNS1_11target_archE942ELNS1_3gpuE9ELNS1_3repE0EEENS1_30default_config_static_selectorELNS0_4arch9wavefront6targetE0EEEvT1_.uses_vcc, 0
	.set _ZN7rocprim17ROCPRIM_400000_NS6detail17trampoline_kernelINS0_14default_configENS1_27scan_by_key_config_selectorIiiEEZZNS1_16scan_by_key_implILNS1_25lookback_scan_determinismE0ELb0ES3_N6thrust23THRUST_200600_302600_NS6detail15normal_iteratorINS9_10device_ptrIiEEEENS9_18transform_iteratorINS9_6negateIiEESE_NS9_11use_defaultESI_EESE_iNS9_4plusIvEENS9_8equal_toIvEEiEE10hipError_tPvRmT2_T3_T4_T5_mT6_T7_P12ihipStream_tbENKUlT_T0_E_clISt17integral_constantIbLb0EES13_IbLb1EEEEDaSZ_S10_EUlSZ_E_NS1_11comp_targetILNS1_3genE5ELNS1_11target_archE942ELNS1_3gpuE9ELNS1_3repE0EEENS1_30default_config_static_selectorELNS0_4arch9wavefront6targetE0EEEvT1_.uses_flat_scratch, 0
	.set _ZN7rocprim17ROCPRIM_400000_NS6detail17trampoline_kernelINS0_14default_configENS1_27scan_by_key_config_selectorIiiEEZZNS1_16scan_by_key_implILNS1_25lookback_scan_determinismE0ELb0ES3_N6thrust23THRUST_200600_302600_NS6detail15normal_iteratorINS9_10device_ptrIiEEEENS9_18transform_iteratorINS9_6negateIiEESE_NS9_11use_defaultESI_EESE_iNS9_4plusIvEENS9_8equal_toIvEEiEE10hipError_tPvRmT2_T3_T4_T5_mT6_T7_P12ihipStream_tbENKUlT_T0_E_clISt17integral_constantIbLb0EES13_IbLb1EEEEDaSZ_S10_EUlSZ_E_NS1_11comp_targetILNS1_3genE5ELNS1_11target_archE942ELNS1_3gpuE9ELNS1_3repE0EEENS1_30default_config_static_selectorELNS0_4arch9wavefront6targetE0EEEvT1_.has_dyn_sized_stack, 0
	.set _ZN7rocprim17ROCPRIM_400000_NS6detail17trampoline_kernelINS0_14default_configENS1_27scan_by_key_config_selectorIiiEEZZNS1_16scan_by_key_implILNS1_25lookback_scan_determinismE0ELb0ES3_N6thrust23THRUST_200600_302600_NS6detail15normal_iteratorINS9_10device_ptrIiEEEENS9_18transform_iteratorINS9_6negateIiEESE_NS9_11use_defaultESI_EESE_iNS9_4plusIvEENS9_8equal_toIvEEiEE10hipError_tPvRmT2_T3_T4_T5_mT6_T7_P12ihipStream_tbENKUlT_T0_E_clISt17integral_constantIbLb0EES13_IbLb1EEEEDaSZ_S10_EUlSZ_E_NS1_11comp_targetILNS1_3genE5ELNS1_11target_archE942ELNS1_3gpuE9ELNS1_3repE0EEENS1_30default_config_static_selectorELNS0_4arch9wavefront6targetE0EEEvT1_.has_recursion, 0
	.set _ZN7rocprim17ROCPRIM_400000_NS6detail17trampoline_kernelINS0_14default_configENS1_27scan_by_key_config_selectorIiiEEZZNS1_16scan_by_key_implILNS1_25lookback_scan_determinismE0ELb0ES3_N6thrust23THRUST_200600_302600_NS6detail15normal_iteratorINS9_10device_ptrIiEEEENS9_18transform_iteratorINS9_6negateIiEESE_NS9_11use_defaultESI_EESE_iNS9_4plusIvEENS9_8equal_toIvEEiEE10hipError_tPvRmT2_T3_T4_T5_mT6_T7_P12ihipStream_tbENKUlT_T0_E_clISt17integral_constantIbLb0EES13_IbLb1EEEEDaSZ_S10_EUlSZ_E_NS1_11comp_targetILNS1_3genE5ELNS1_11target_archE942ELNS1_3gpuE9ELNS1_3repE0EEENS1_30default_config_static_selectorELNS0_4arch9wavefront6targetE0EEEvT1_.has_indirect_call, 0
	.section	.AMDGPU.csdata,"",@progbits
; Kernel info:
; codeLenInByte = 0
; TotalNumSgprs: 0
; NumVgprs: 0
; ScratchSize: 0
; MemoryBound: 0
; FloatMode: 240
; IeeeMode: 1
; LDSByteSize: 0 bytes/workgroup (compile time only)
; SGPRBlocks: 0
; VGPRBlocks: 0
; NumSGPRsForWavesPerEU: 1
; NumVGPRsForWavesPerEU: 1
; Occupancy: 16
; WaveLimiterHint : 0
; COMPUTE_PGM_RSRC2:SCRATCH_EN: 0
; COMPUTE_PGM_RSRC2:USER_SGPR: 6
; COMPUTE_PGM_RSRC2:TRAP_HANDLER: 0
; COMPUTE_PGM_RSRC2:TGID_X_EN: 1
; COMPUTE_PGM_RSRC2:TGID_Y_EN: 0
; COMPUTE_PGM_RSRC2:TGID_Z_EN: 0
; COMPUTE_PGM_RSRC2:TIDIG_COMP_CNT: 0
	.section	.text._ZN7rocprim17ROCPRIM_400000_NS6detail17trampoline_kernelINS0_14default_configENS1_27scan_by_key_config_selectorIiiEEZZNS1_16scan_by_key_implILNS1_25lookback_scan_determinismE0ELb0ES3_N6thrust23THRUST_200600_302600_NS6detail15normal_iteratorINS9_10device_ptrIiEEEENS9_18transform_iteratorINS9_6negateIiEESE_NS9_11use_defaultESI_EESE_iNS9_4plusIvEENS9_8equal_toIvEEiEE10hipError_tPvRmT2_T3_T4_T5_mT6_T7_P12ihipStream_tbENKUlT_T0_E_clISt17integral_constantIbLb0EES13_IbLb1EEEEDaSZ_S10_EUlSZ_E_NS1_11comp_targetILNS1_3genE4ELNS1_11target_archE910ELNS1_3gpuE8ELNS1_3repE0EEENS1_30default_config_static_selectorELNS0_4arch9wavefront6targetE0EEEvT1_,"axG",@progbits,_ZN7rocprim17ROCPRIM_400000_NS6detail17trampoline_kernelINS0_14default_configENS1_27scan_by_key_config_selectorIiiEEZZNS1_16scan_by_key_implILNS1_25lookback_scan_determinismE0ELb0ES3_N6thrust23THRUST_200600_302600_NS6detail15normal_iteratorINS9_10device_ptrIiEEEENS9_18transform_iteratorINS9_6negateIiEESE_NS9_11use_defaultESI_EESE_iNS9_4plusIvEENS9_8equal_toIvEEiEE10hipError_tPvRmT2_T3_T4_T5_mT6_T7_P12ihipStream_tbENKUlT_T0_E_clISt17integral_constantIbLb0EES13_IbLb1EEEEDaSZ_S10_EUlSZ_E_NS1_11comp_targetILNS1_3genE4ELNS1_11target_archE910ELNS1_3gpuE8ELNS1_3repE0EEENS1_30default_config_static_selectorELNS0_4arch9wavefront6targetE0EEEvT1_,comdat
	.protected	_ZN7rocprim17ROCPRIM_400000_NS6detail17trampoline_kernelINS0_14default_configENS1_27scan_by_key_config_selectorIiiEEZZNS1_16scan_by_key_implILNS1_25lookback_scan_determinismE0ELb0ES3_N6thrust23THRUST_200600_302600_NS6detail15normal_iteratorINS9_10device_ptrIiEEEENS9_18transform_iteratorINS9_6negateIiEESE_NS9_11use_defaultESI_EESE_iNS9_4plusIvEENS9_8equal_toIvEEiEE10hipError_tPvRmT2_T3_T4_T5_mT6_T7_P12ihipStream_tbENKUlT_T0_E_clISt17integral_constantIbLb0EES13_IbLb1EEEEDaSZ_S10_EUlSZ_E_NS1_11comp_targetILNS1_3genE4ELNS1_11target_archE910ELNS1_3gpuE8ELNS1_3repE0EEENS1_30default_config_static_selectorELNS0_4arch9wavefront6targetE0EEEvT1_ ; -- Begin function _ZN7rocprim17ROCPRIM_400000_NS6detail17trampoline_kernelINS0_14default_configENS1_27scan_by_key_config_selectorIiiEEZZNS1_16scan_by_key_implILNS1_25lookback_scan_determinismE0ELb0ES3_N6thrust23THRUST_200600_302600_NS6detail15normal_iteratorINS9_10device_ptrIiEEEENS9_18transform_iteratorINS9_6negateIiEESE_NS9_11use_defaultESI_EESE_iNS9_4plusIvEENS9_8equal_toIvEEiEE10hipError_tPvRmT2_T3_T4_T5_mT6_T7_P12ihipStream_tbENKUlT_T0_E_clISt17integral_constantIbLb0EES13_IbLb1EEEEDaSZ_S10_EUlSZ_E_NS1_11comp_targetILNS1_3genE4ELNS1_11target_archE910ELNS1_3gpuE8ELNS1_3repE0EEENS1_30default_config_static_selectorELNS0_4arch9wavefront6targetE0EEEvT1_
	.globl	_ZN7rocprim17ROCPRIM_400000_NS6detail17trampoline_kernelINS0_14default_configENS1_27scan_by_key_config_selectorIiiEEZZNS1_16scan_by_key_implILNS1_25lookback_scan_determinismE0ELb0ES3_N6thrust23THRUST_200600_302600_NS6detail15normal_iteratorINS9_10device_ptrIiEEEENS9_18transform_iteratorINS9_6negateIiEESE_NS9_11use_defaultESI_EESE_iNS9_4plusIvEENS9_8equal_toIvEEiEE10hipError_tPvRmT2_T3_T4_T5_mT6_T7_P12ihipStream_tbENKUlT_T0_E_clISt17integral_constantIbLb0EES13_IbLb1EEEEDaSZ_S10_EUlSZ_E_NS1_11comp_targetILNS1_3genE4ELNS1_11target_archE910ELNS1_3gpuE8ELNS1_3repE0EEENS1_30default_config_static_selectorELNS0_4arch9wavefront6targetE0EEEvT1_
	.p2align	8
	.type	_ZN7rocprim17ROCPRIM_400000_NS6detail17trampoline_kernelINS0_14default_configENS1_27scan_by_key_config_selectorIiiEEZZNS1_16scan_by_key_implILNS1_25lookback_scan_determinismE0ELb0ES3_N6thrust23THRUST_200600_302600_NS6detail15normal_iteratorINS9_10device_ptrIiEEEENS9_18transform_iteratorINS9_6negateIiEESE_NS9_11use_defaultESI_EESE_iNS9_4plusIvEENS9_8equal_toIvEEiEE10hipError_tPvRmT2_T3_T4_T5_mT6_T7_P12ihipStream_tbENKUlT_T0_E_clISt17integral_constantIbLb0EES13_IbLb1EEEEDaSZ_S10_EUlSZ_E_NS1_11comp_targetILNS1_3genE4ELNS1_11target_archE910ELNS1_3gpuE8ELNS1_3repE0EEENS1_30default_config_static_selectorELNS0_4arch9wavefront6targetE0EEEvT1_,@function
_ZN7rocprim17ROCPRIM_400000_NS6detail17trampoline_kernelINS0_14default_configENS1_27scan_by_key_config_selectorIiiEEZZNS1_16scan_by_key_implILNS1_25lookback_scan_determinismE0ELb0ES3_N6thrust23THRUST_200600_302600_NS6detail15normal_iteratorINS9_10device_ptrIiEEEENS9_18transform_iteratorINS9_6negateIiEESE_NS9_11use_defaultESI_EESE_iNS9_4plusIvEENS9_8equal_toIvEEiEE10hipError_tPvRmT2_T3_T4_T5_mT6_T7_P12ihipStream_tbENKUlT_T0_E_clISt17integral_constantIbLb0EES13_IbLb1EEEEDaSZ_S10_EUlSZ_E_NS1_11comp_targetILNS1_3genE4ELNS1_11target_archE910ELNS1_3gpuE8ELNS1_3repE0EEENS1_30default_config_static_selectorELNS0_4arch9wavefront6targetE0EEEvT1_: ; @_ZN7rocprim17ROCPRIM_400000_NS6detail17trampoline_kernelINS0_14default_configENS1_27scan_by_key_config_selectorIiiEEZZNS1_16scan_by_key_implILNS1_25lookback_scan_determinismE0ELb0ES3_N6thrust23THRUST_200600_302600_NS6detail15normal_iteratorINS9_10device_ptrIiEEEENS9_18transform_iteratorINS9_6negateIiEESE_NS9_11use_defaultESI_EESE_iNS9_4plusIvEENS9_8equal_toIvEEiEE10hipError_tPvRmT2_T3_T4_T5_mT6_T7_P12ihipStream_tbENKUlT_T0_E_clISt17integral_constantIbLb0EES13_IbLb1EEEEDaSZ_S10_EUlSZ_E_NS1_11comp_targetILNS1_3genE4ELNS1_11target_archE910ELNS1_3gpuE8ELNS1_3repE0EEENS1_30default_config_static_selectorELNS0_4arch9wavefront6targetE0EEEvT1_
; %bb.0:
	.section	.rodata,"a",@progbits
	.p2align	6, 0x0
	.amdhsa_kernel _ZN7rocprim17ROCPRIM_400000_NS6detail17trampoline_kernelINS0_14default_configENS1_27scan_by_key_config_selectorIiiEEZZNS1_16scan_by_key_implILNS1_25lookback_scan_determinismE0ELb0ES3_N6thrust23THRUST_200600_302600_NS6detail15normal_iteratorINS9_10device_ptrIiEEEENS9_18transform_iteratorINS9_6negateIiEESE_NS9_11use_defaultESI_EESE_iNS9_4plusIvEENS9_8equal_toIvEEiEE10hipError_tPvRmT2_T3_T4_T5_mT6_T7_P12ihipStream_tbENKUlT_T0_E_clISt17integral_constantIbLb0EES13_IbLb1EEEEDaSZ_S10_EUlSZ_E_NS1_11comp_targetILNS1_3genE4ELNS1_11target_archE910ELNS1_3gpuE8ELNS1_3repE0EEENS1_30default_config_static_selectorELNS0_4arch9wavefront6targetE0EEEvT1_
		.amdhsa_group_segment_fixed_size 0
		.amdhsa_private_segment_fixed_size 0
		.amdhsa_kernarg_size 120
		.amdhsa_user_sgpr_count 6
		.amdhsa_user_sgpr_private_segment_buffer 1
		.amdhsa_user_sgpr_dispatch_ptr 0
		.amdhsa_user_sgpr_queue_ptr 0
		.amdhsa_user_sgpr_kernarg_segment_ptr 1
		.amdhsa_user_sgpr_dispatch_id 0
		.amdhsa_user_sgpr_flat_scratch_init 0
		.amdhsa_user_sgpr_private_segment_size 0
		.amdhsa_wavefront_size32 1
		.amdhsa_uses_dynamic_stack 0
		.amdhsa_system_sgpr_private_segment_wavefront_offset 0
		.amdhsa_system_sgpr_workgroup_id_x 1
		.amdhsa_system_sgpr_workgroup_id_y 0
		.amdhsa_system_sgpr_workgroup_id_z 0
		.amdhsa_system_sgpr_workgroup_info 0
		.amdhsa_system_vgpr_workitem_id 0
		.amdhsa_next_free_vgpr 1
		.amdhsa_next_free_sgpr 1
		.amdhsa_reserve_vcc 0
		.amdhsa_reserve_flat_scratch 0
		.amdhsa_float_round_mode_32 0
		.amdhsa_float_round_mode_16_64 0
		.amdhsa_float_denorm_mode_32 3
		.amdhsa_float_denorm_mode_16_64 3
		.amdhsa_dx10_clamp 1
		.amdhsa_ieee_mode 1
		.amdhsa_fp16_overflow 0
		.amdhsa_workgroup_processor_mode 1
		.amdhsa_memory_ordered 1
		.amdhsa_forward_progress 1
		.amdhsa_shared_vgpr_count 0
		.amdhsa_exception_fp_ieee_invalid_op 0
		.amdhsa_exception_fp_denorm_src 0
		.amdhsa_exception_fp_ieee_div_zero 0
		.amdhsa_exception_fp_ieee_overflow 0
		.amdhsa_exception_fp_ieee_underflow 0
		.amdhsa_exception_fp_ieee_inexact 0
		.amdhsa_exception_int_div_zero 0
	.end_amdhsa_kernel
	.section	.text._ZN7rocprim17ROCPRIM_400000_NS6detail17trampoline_kernelINS0_14default_configENS1_27scan_by_key_config_selectorIiiEEZZNS1_16scan_by_key_implILNS1_25lookback_scan_determinismE0ELb0ES3_N6thrust23THRUST_200600_302600_NS6detail15normal_iteratorINS9_10device_ptrIiEEEENS9_18transform_iteratorINS9_6negateIiEESE_NS9_11use_defaultESI_EESE_iNS9_4plusIvEENS9_8equal_toIvEEiEE10hipError_tPvRmT2_T3_T4_T5_mT6_T7_P12ihipStream_tbENKUlT_T0_E_clISt17integral_constantIbLb0EES13_IbLb1EEEEDaSZ_S10_EUlSZ_E_NS1_11comp_targetILNS1_3genE4ELNS1_11target_archE910ELNS1_3gpuE8ELNS1_3repE0EEENS1_30default_config_static_selectorELNS0_4arch9wavefront6targetE0EEEvT1_,"axG",@progbits,_ZN7rocprim17ROCPRIM_400000_NS6detail17trampoline_kernelINS0_14default_configENS1_27scan_by_key_config_selectorIiiEEZZNS1_16scan_by_key_implILNS1_25lookback_scan_determinismE0ELb0ES3_N6thrust23THRUST_200600_302600_NS6detail15normal_iteratorINS9_10device_ptrIiEEEENS9_18transform_iteratorINS9_6negateIiEESE_NS9_11use_defaultESI_EESE_iNS9_4plusIvEENS9_8equal_toIvEEiEE10hipError_tPvRmT2_T3_T4_T5_mT6_T7_P12ihipStream_tbENKUlT_T0_E_clISt17integral_constantIbLb0EES13_IbLb1EEEEDaSZ_S10_EUlSZ_E_NS1_11comp_targetILNS1_3genE4ELNS1_11target_archE910ELNS1_3gpuE8ELNS1_3repE0EEENS1_30default_config_static_selectorELNS0_4arch9wavefront6targetE0EEEvT1_,comdat
.Lfunc_end959:
	.size	_ZN7rocprim17ROCPRIM_400000_NS6detail17trampoline_kernelINS0_14default_configENS1_27scan_by_key_config_selectorIiiEEZZNS1_16scan_by_key_implILNS1_25lookback_scan_determinismE0ELb0ES3_N6thrust23THRUST_200600_302600_NS6detail15normal_iteratorINS9_10device_ptrIiEEEENS9_18transform_iteratorINS9_6negateIiEESE_NS9_11use_defaultESI_EESE_iNS9_4plusIvEENS9_8equal_toIvEEiEE10hipError_tPvRmT2_T3_T4_T5_mT6_T7_P12ihipStream_tbENKUlT_T0_E_clISt17integral_constantIbLb0EES13_IbLb1EEEEDaSZ_S10_EUlSZ_E_NS1_11comp_targetILNS1_3genE4ELNS1_11target_archE910ELNS1_3gpuE8ELNS1_3repE0EEENS1_30default_config_static_selectorELNS0_4arch9wavefront6targetE0EEEvT1_, .Lfunc_end959-_ZN7rocprim17ROCPRIM_400000_NS6detail17trampoline_kernelINS0_14default_configENS1_27scan_by_key_config_selectorIiiEEZZNS1_16scan_by_key_implILNS1_25lookback_scan_determinismE0ELb0ES3_N6thrust23THRUST_200600_302600_NS6detail15normal_iteratorINS9_10device_ptrIiEEEENS9_18transform_iteratorINS9_6negateIiEESE_NS9_11use_defaultESI_EESE_iNS9_4plusIvEENS9_8equal_toIvEEiEE10hipError_tPvRmT2_T3_T4_T5_mT6_T7_P12ihipStream_tbENKUlT_T0_E_clISt17integral_constantIbLb0EES13_IbLb1EEEEDaSZ_S10_EUlSZ_E_NS1_11comp_targetILNS1_3genE4ELNS1_11target_archE910ELNS1_3gpuE8ELNS1_3repE0EEENS1_30default_config_static_selectorELNS0_4arch9wavefront6targetE0EEEvT1_
                                        ; -- End function
	.set _ZN7rocprim17ROCPRIM_400000_NS6detail17trampoline_kernelINS0_14default_configENS1_27scan_by_key_config_selectorIiiEEZZNS1_16scan_by_key_implILNS1_25lookback_scan_determinismE0ELb0ES3_N6thrust23THRUST_200600_302600_NS6detail15normal_iteratorINS9_10device_ptrIiEEEENS9_18transform_iteratorINS9_6negateIiEESE_NS9_11use_defaultESI_EESE_iNS9_4plusIvEENS9_8equal_toIvEEiEE10hipError_tPvRmT2_T3_T4_T5_mT6_T7_P12ihipStream_tbENKUlT_T0_E_clISt17integral_constantIbLb0EES13_IbLb1EEEEDaSZ_S10_EUlSZ_E_NS1_11comp_targetILNS1_3genE4ELNS1_11target_archE910ELNS1_3gpuE8ELNS1_3repE0EEENS1_30default_config_static_selectorELNS0_4arch9wavefront6targetE0EEEvT1_.num_vgpr, 0
	.set _ZN7rocprim17ROCPRIM_400000_NS6detail17trampoline_kernelINS0_14default_configENS1_27scan_by_key_config_selectorIiiEEZZNS1_16scan_by_key_implILNS1_25lookback_scan_determinismE0ELb0ES3_N6thrust23THRUST_200600_302600_NS6detail15normal_iteratorINS9_10device_ptrIiEEEENS9_18transform_iteratorINS9_6negateIiEESE_NS9_11use_defaultESI_EESE_iNS9_4plusIvEENS9_8equal_toIvEEiEE10hipError_tPvRmT2_T3_T4_T5_mT6_T7_P12ihipStream_tbENKUlT_T0_E_clISt17integral_constantIbLb0EES13_IbLb1EEEEDaSZ_S10_EUlSZ_E_NS1_11comp_targetILNS1_3genE4ELNS1_11target_archE910ELNS1_3gpuE8ELNS1_3repE0EEENS1_30default_config_static_selectorELNS0_4arch9wavefront6targetE0EEEvT1_.num_agpr, 0
	.set _ZN7rocprim17ROCPRIM_400000_NS6detail17trampoline_kernelINS0_14default_configENS1_27scan_by_key_config_selectorIiiEEZZNS1_16scan_by_key_implILNS1_25lookback_scan_determinismE0ELb0ES3_N6thrust23THRUST_200600_302600_NS6detail15normal_iteratorINS9_10device_ptrIiEEEENS9_18transform_iteratorINS9_6negateIiEESE_NS9_11use_defaultESI_EESE_iNS9_4plusIvEENS9_8equal_toIvEEiEE10hipError_tPvRmT2_T3_T4_T5_mT6_T7_P12ihipStream_tbENKUlT_T0_E_clISt17integral_constantIbLb0EES13_IbLb1EEEEDaSZ_S10_EUlSZ_E_NS1_11comp_targetILNS1_3genE4ELNS1_11target_archE910ELNS1_3gpuE8ELNS1_3repE0EEENS1_30default_config_static_selectorELNS0_4arch9wavefront6targetE0EEEvT1_.numbered_sgpr, 0
	.set _ZN7rocprim17ROCPRIM_400000_NS6detail17trampoline_kernelINS0_14default_configENS1_27scan_by_key_config_selectorIiiEEZZNS1_16scan_by_key_implILNS1_25lookback_scan_determinismE0ELb0ES3_N6thrust23THRUST_200600_302600_NS6detail15normal_iteratorINS9_10device_ptrIiEEEENS9_18transform_iteratorINS9_6negateIiEESE_NS9_11use_defaultESI_EESE_iNS9_4plusIvEENS9_8equal_toIvEEiEE10hipError_tPvRmT2_T3_T4_T5_mT6_T7_P12ihipStream_tbENKUlT_T0_E_clISt17integral_constantIbLb0EES13_IbLb1EEEEDaSZ_S10_EUlSZ_E_NS1_11comp_targetILNS1_3genE4ELNS1_11target_archE910ELNS1_3gpuE8ELNS1_3repE0EEENS1_30default_config_static_selectorELNS0_4arch9wavefront6targetE0EEEvT1_.num_named_barrier, 0
	.set _ZN7rocprim17ROCPRIM_400000_NS6detail17trampoline_kernelINS0_14default_configENS1_27scan_by_key_config_selectorIiiEEZZNS1_16scan_by_key_implILNS1_25lookback_scan_determinismE0ELb0ES3_N6thrust23THRUST_200600_302600_NS6detail15normal_iteratorINS9_10device_ptrIiEEEENS9_18transform_iteratorINS9_6negateIiEESE_NS9_11use_defaultESI_EESE_iNS9_4plusIvEENS9_8equal_toIvEEiEE10hipError_tPvRmT2_T3_T4_T5_mT6_T7_P12ihipStream_tbENKUlT_T0_E_clISt17integral_constantIbLb0EES13_IbLb1EEEEDaSZ_S10_EUlSZ_E_NS1_11comp_targetILNS1_3genE4ELNS1_11target_archE910ELNS1_3gpuE8ELNS1_3repE0EEENS1_30default_config_static_selectorELNS0_4arch9wavefront6targetE0EEEvT1_.private_seg_size, 0
	.set _ZN7rocprim17ROCPRIM_400000_NS6detail17trampoline_kernelINS0_14default_configENS1_27scan_by_key_config_selectorIiiEEZZNS1_16scan_by_key_implILNS1_25lookback_scan_determinismE0ELb0ES3_N6thrust23THRUST_200600_302600_NS6detail15normal_iteratorINS9_10device_ptrIiEEEENS9_18transform_iteratorINS9_6negateIiEESE_NS9_11use_defaultESI_EESE_iNS9_4plusIvEENS9_8equal_toIvEEiEE10hipError_tPvRmT2_T3_T4_T5_mT6_T7_P12ihipStream_tbENKUlT_T0_E_clISt17integral_constantIbLb0EES13_IbLb1EEEEDaSZ_S10_EUlSZ_E_NS1_11comp_targetILNS1_3genE4ELNS1_11target_archE910ELNS1_3gpuE8ELNS1_3repE0EEENS1_30default_config_static_selectorELNS0_4arch9wavefront6targetE0EEEvT1_.uses_vcc, 0
	.set _ZN7rocprim17ROCPRIM_400000_NS6detail17trampoline_kernelINS0_14default_configENS1_27scan_by_key_config_selectorIiiEEZZNS1_16scan_by_key_implILNS1_25lookback_scan_determinismE0ELb0ES3_N6thrust23THRUST_200600_302600_NS6detail15normal_iteratorINS9_10device_ptrIiEEEENS9_18transform_iteratorINS9_6negateIiEESE_NS9_11use_defaultESI_EESE_iNS9_4plusIvEENS9_8equal_toIvEEiEE10hipError_tPvRmT2_T3_T4_T5_mT6_T7_P12ihipStream_tbENKUlT_T0_E_clISt17integral_constantIbLb0EES13_IbLb1EEEEDaSZ_S10_EUlSZ_E_NS1_11comp_targetILNS1_3genE4ELNS1_11target_archE910ELNS1_3gpuE8ELNS1_3repE0EEENS1_30default_config_static_selectorELNS0_4arch9wavefront6targetE0EEEvT1_.uses_flat_scratch, 0
	.set _ZN7rocprim17ROCPRIM_400000_NS6detail17trampoline_kernelINS0_14default_configENS1_27scan_by_key_config_selectorIiiEEZZNS1_16scan_by_key_implILNS1_25lookback_scan_determinismE0ELb0ES3_N6thrust23THRUST_200600_302600_NS6detail15normal_iteratorINS9_10device_ptrIiEEEENS9_18transform_iteratorINS9_6negateIiEESE_NS9_11use_defaultESI_EESE_iNS9_4plusIvEENS9_8equal_toIvEEiEE10hipError_tPvRmT2_T3_T4_T5_mT6_T7_P12ihipStream_tbENKUlT_T0_E_clISt17integral_constantIbLb0EES13_IbLb1EEEEDaSZ_S10_EUlSZ_E_NS1_11comp_targetILNS1_3genE4ELNS1_11target_archE910ELNS1_3gpuE8ELNS1_3repE0EEENS1_30default_config_static_selectorELNS0_4arch9wavefront6targetE0EEEvT1_.has_dyn_sized_stack, 0
	.set _ZN7rocprim17ROCPRIM_400000_NS6detail17trampoline_kernelINS0_14default_configENS1_27scan_by_key_config_selectorIiiEEZZNS1_16scan_by_key_implILNS1_25lookback_scan_determinismE0ELb0ES3_N6thrust23THRUST_200600_302600_NS6detail15normal_iteratorINS9_10device_ptrIiEEEENS9_18transform_iteratorINS9_6negateIiEESE_NS9_11use_defaultESI_EESE_iNS9_4plusIvEENS9_8equal_toIvEEiEE10hipError_tPvRmT2_T3_T4_T5_mT6_T7_P12ihipStream_tbENKUlT_T0_E_clISt17integral_constantIbLb0EES13_IbLb1EEEEDaSZ_S10_EUlSZ_E_NS1_11comp_targetILNS1_3genE4ELNS1_11target_archE910ELNS1_3gpuE8ELNS1_3repE0EEENS1_30default_config_static_selectorELNS0_4arch9wavefront6targetE0EEEvT1_.has_recursion, 0
	.set _ZN7rocprim17ROCPRIM_400000_NS6detail17trampoline_kernelINS0_14default_configENS1_27scan_by_key_config_selectorIiiEEZZNS1_16scan_by_key_implILNS1_25lookback_scan_determinismE0ELb0ES3_N6thrust23THRUST_200600_302600_NS6detail15normal_iteratorINS9_10device_ptrIiEEEENS9_18transform_iteratorINS9_6negateIiEESE_NS9_11use_defaultESI_EESE_iNS9_4plusIvEENS9_8equal_toIvEEiEE10hipError_tPvRmT2_T3_T4_T5_mT6_T7_P12ihipStream_tbENKUlT_T0_E_clISt17integral_constantIbLb0EES13_IbLb1EEEEDaSZ_S10_EUlSZ_E_NS1_11comp_targetILNS1_3genE4ELNS1_11target_archE910ELNS1_3gpuE8ELNS1_3repE0EEENS1_30default_config_static_selectorELNS0_4arch9wavefront6targetE0EEEvT1_.has_indirect_call, 0
	.section	.AMDGPU.csdata,"",@progbits
; Kernel info:
; codeLenInByte = 0
; TotalNumSgprs: 0
; NumVgprs: 0
; ScratchSize: 0
; MemoryBound: 0
; FloatMode: 240
; IeeeMode: 1
; LDSByteSize: 0 bytes/workgroup (compile time only)
; SGPRBlocks: 0
; VGPRBlocks: 0
; NumSGPRsForWavesPerEU: 1
; NumVGPRsForWavesPerEU: 1
; Occupancy: 16
; WaveLimiterHint : 0
; COMPUTE_PGM_RSRC2:SCRATCH_EN: 0
; COMPUTE_PGM_RSRC2:USER_SGPR: 6
; COMPUTE_PGM_RSRC2:TRAP_HANDLER: 0
; COMPUTE_PGM_RSRC2:TGID_X_EN: 1
; COMPUTE_PGM_RSRC2:TGID_Y_EN: 0
; COMPUTE_PGM_RSRC2:TGID_Z_EN: 0
; COMPUTE_PGM_RSRC2:TIDIG_COMP_CNT: 0
	.section	.text._ZN7rocprim17ROCPRIM_400000_NS6detail17trampoline_kernelINS0_14default_configENS1_27scan_by_key_config_selectorIiiEEZZNS1_16scan_by_key_implILNS1_25lookback_scan_determinismE0ELb0ES3_N6thrust23THRUST_200600_302600_NS6detail15normal_iteratorINS9_10device_ptrIiEEEENS9_18transform_iteratorINS9_6negateIiEESE_NS9_11use_defaultESI_EESE_iNS9_4plusIvEENS9_8equal_toIvEEiEE10hipError_tPvRmT2_T3_T4_T5_mT6_T7_P12ihipStream_tbENKUlT_T0_E_clISt17integral_constantIbLb0EES13_IbLb1EEEEDaSZ_S10_EUlSZ_E_NS1_11comp_targetILNS1_3genE3ELNS1_11target_archE908ELNS1_3gpuE7ELNS1_3repE0EEENS1_30default_config_static_selectorELNS0_4arch9wavefront6targetE0EEEvT1_,"axG",@progbits,_ZN7rocprim17ROCPRIM_400000_NS6detail17trampoline_kernelINS0_14default_configENS1_27scan_by_key_config_selectorIiiEEZZNS1_16scan_by_key_implILNS1_25lookback_scan_determinismE0ELb0ES3_N6thrust23THRUST_200600_302600_NS6detail15normal_iteratorINS9_10device_ptrIiEEEENS9_18transform_iteratorINS9_6negateIiEESE_NS9_11use_defaultESI_EESE_iNS9_4plusIvEENS9_8equal_toIvEEiEE10hipError_tPvRmT2_T3_T4_T5_mT6_T7_P12ihipStream_tbENKUlT_T0_E_clISt17integral_constantIbLb0EES13_IbLb1EEEEDaSZ_S10_EUlSZ_E_NS1_11comp_targetILNS1_3genE3ELNS1_11target_archE908ELNS1_3gpuE7ELNS1_3repE0EEENS1_30default_config_static_selectorELNS0_4arch9wavefront6targetE0EEEvT1_,comdat
	.protected	_ZN7rocprim17ROCPRIM_400000_NS6detail17trampoline_kernelINS0_14default_configENS1_27scan_by_key_config_selectorIiiEEZZNS1_16scan_by_key_implILNS1_25lookback_scan_determinismE0ELb0ES3_N6thrust23THRUST_200600_302600_NS6detail15normal_iteratorINS9_10device_ptrIiEEEENS9_18transform_iteratorINS9_6negateIiEESE_NS9_11use_defaultESI_EESE_iNS9_4plusIvEENS9_8equal_toIvEEiEE10hipError_tPvRmT2_T3_T4_T5_mT6_T7_P12ihipStream_tbENKUlT_T0_E_clISt17integral_constantIbLb0EES13_IbLb1EEEEDaSZ_S10_EUlSZ_E_NS1_11comp_targetILNS1_3genE3ELNS1_11target_archE908ELNS1_3gpuE7ELNS1_3repE0EEENS1_30default_config_static_selectorELNS0_4arch9wavefront6targetE0EEEvT1_ ; -- Begin function _ZN7rocprim17ROCPRIM_400000_NS6detail17trampoline_kernelINS0_14default_configENS1_27scan_by_key_config_selectorIiiEEZZNS1_16scan_by_key_implILNS1_25lookback_scan_determinismE0ELb0ES3_N6thrust23THRUST_200600_302600_NS6detail15normal_iteratorINS9_10device_ptrIiEEEENS9_18transform_iteratorINS9_6negateIiEESE_NS9_11use_defaultESI_EESE_iNS9_4plusIvEENS9_8equal_toIvEEiEE10hipError_tPvRmT2_T3_T4_T5_mT6_T7_P12ihipStream_tbENKUlT_T0_E_clISt17integral_constantIbLb0EES13_IbLb1EEEEDaSZ_S10_EUlSZ_E_NS1_11comp_targetILNS1_3genE3ELNS1_11target_archE908ELNS1_3gpuE7ELNS1_3repE0EEENS1_30default_config_static_selectorELNS0_4arch9wavefront6targetE0EEEvT1_
	.globl	_ZN7rocprim17ROCPRIM_400000_NS6detail17trampoline_kernelINS0_14default_configENS1_27scan_by_key_config_selectorIiiEEZZNS1_16scan_by_key_implILNS1_25lookback_scan_determinismE0ELb0ES3_N6thrust23THRUST_200600_302600_NS6detail15normal_iteratorINS9_10device_ptrIiEEEENS9_18transform_iteratorINS9_6negateIiEESE_NS9_11use_defaultESI_EESE_iNS9_4plusIvEENS9_8equal_toIvEEiEE10hipError_tPvRmT2_T3_T4_T5_mT6_T7_P12ihipStream_tbENKUlT_T0_E_clISt17integral_constantIbLb0EES13_IbLb1EEEEDaSZ_S10_EUlSZ_E_NS1_11comp_targetILNS1_3genE3ELNS1_11target_archE908ELNS1_3gpuE7ELNS1_3repE0EEENS1_30default_config_static_selectorELNS0_4arch9wavefront6targetE0EEEvT1_
	.p2align	8
	.type	_ZN7rocprim17ROCPRIM_400000_NS6detail17trampoline_kernelINS0_14default_configENS1_27scan_by_key_config_selectorIiiEEZZNS1_16scan_by_key_implILNS1_25lookback_scan_determinismE0ELb0ES3_N6thrust23THRUST_200600_302600_NS6detail15normal_iteratorINS9_10device_ptrIiEEEENS9_18transform_iteratorINS9_6negateIiEESE_NS9_11use_defaultESI_EESE_iNS9_4plusIvEENS9_8equal_toIvEEiEE10hipError_tPvRmT2_T3_T4_T5_mT6_T7_P12ihipStream_tbENKUlT_T0_E_clISt17integral_constantIbLb0EES13_IbLb1EEEEDaSZ_S10_EUlSZ_E_NS1_11comp_targetILNS1_3genE3ELNS1_11target_archE908ELNS1_3gpuE7ELNS1_3repE0EEENS1_30default_config_static_selectorELNS0_4arch9wavefront6targetE0EEEvT1_,@function
_ZN7rocprim17ROCPRIM_400000_NS6detail17trampoline_kernelINS0_14default_configENS1_27scan_by_key_config_selectorIiiEEZZNS1_16scan_by_key_implILNS1_25lookback_scan_determinismE0ELb0ES3_N6thrust23THRUST_200600_302600_NS6detail15normal_iteratorINS9_10device_ptrIiEEEENS9_18transform_iteratorINS9_6negateIiEESE_NS9_11use_defaultESI_EESE_iNS9_4plusIvEENS9_8equal_toIvEEiEE10hipError_tPvRmT2_T3_T4_T5_mT6_T7_P12ihipStream_tbENKUlT_T0_E_clISt17integral_constantIbLb0EES13_IbLb1EEEEDaSZ_S10_EUlSZ_E_NS1_11comp_targetILNS1_3genE3ELNS1_11target_archE908ELNS1_3gpuE7ELNS1_3repE0EEENS1_30default_config_static_selectorELNS0_4arch9wavefront6targetE0EEEvT1_: ; @_ZN7rocprim17ROCPRIM_400000_NS6detail17trampoline_kernelINS0_14default_configENS1_27scan_by_key_config_selectorIiiEEZZNS1_16scan_by_key_implILNS1_25lookback_scan_determinismE0ELb0ES3_N6thrust23THRUST_200600_302600_NS6detail15normal_iteratorINS9_10device_ptrIiEEEENS9_18transform_iteratorINS9_6negateIiEESE_NS9_11use_defaultESI_EESE_iNS9_4plusIvEENS9_8equal_toIvEEiEE10hipError_tPvRmT2_T3_T4_T5_mT6_T7_P12ihipStream_tbENKUlT_T0_E_clISt17integral_constantIbLb0EES13_IbLb1EEEEDaSZ_S10_EUlSZ_E_NS1_11comp_targetILNS1_3genE3ELNS1_11target_archE908ELNS1_3gpuE7ELNS1_3repE0EEENS1_30default_config_static_selectorELNS0_4arch9wavefront6targetE0EEEvT1_
; %bb.0:
	.section	.rodata,"a",@progbits
	.p2align	6, 0x0
	.amdhsa_kernel _ZN7rocprim17ROCPRIM_400000_NS6detail17trampoline_kernelINS0_14default_configENS1_27scan_by_key_config_selectorIiiEEZZNS1_16scan_by_key_implILNS1_25lookback_scan_determinismE0ELb0ES3_N6thrust23THRUST_200600_302600_NS6detail15normal_iteratorINS9_10device_ptrIiEEEENS9_18transform_iteratorINS9_6negateIiEESE_NS9_11use_defaultESI_EESE_iNS9_4plusIvEENS9_8equal_toIvEEiEE10hipError_tPvRmT2_T3_T4_T5_mT6_T7_P12ihipStream_tbENKUlT_T0_E_clISt17integral_constantIbLb0EES13_IbLb1EEEEDaSZ_S10_EUlSZ_E_NS1_11comp_targetILNS1_3genE3ELNS1_11target_archE908ELNS1_3gpuE7ELNS1_3repE0EEENS1_30default_config_static_selectorELNS0_4arch9wavefront6targetE0EEEvT1_
		.amdhsa_group_segment_fixed_size 0
		.amdhsa_private_segment_fixed_size 0
		.amdhsa_kernarg_size 120
		.amdhsa_user_sgpr_count 6
		.amdhsa_user_sgpr_private_segment_buffer 1
		.amdhsa_user_sgpr_dispatch_ptr 0
		.amdhsa_user_sgpr_queue_ptr 0
		.amdhsa_user_sgpr_kernarg_segment_ptr 1
		.amdhsa_user_sgpr_dispatch_id 0
		.amdhsa_user_sgpr_flat_scratch_init 0
		.amdhsa_user_sgpr_private_segment_size 0
		.amdhsa_wavefront_size32 1
		.amdhsa_uses_dynamic_stack 0
		.amdhsa_system_sgpr_private_segment_wavefront_offset 0
		.amdhsa_system_sgpr_workgroup_id_x 1
		.amdhsa_system_sgpr_workgroup_id_y 0
		.amdhsa_system_sgpr_workgroup_id_z 0
		.amdhsa_system_sgpr_workgroup_info 0
		.amdhsa_system_vgpr_workitem_id 0
		.amdhsa_next_free_vgpr 1
		.amdhsa_next_free_sgpr 1
		.amdhsa_reserve_vcc 0
		.amdhsa_reserve_flat_scratch 0
		.amdhsa_float_round_mode_32 0
		.amdhsa_float_round_mode_16_64 0
		.amdhsa_float_denorm_mode_32 3
		.amdhsa_float_denorm_mode_16_64 3
		.amdhsa_dx10_clamp 1
		.amdhsa_ieee_mode 1
		.amdhsa_fp16_overflow 0
		.amdhsa_workgroup_processor_mode 1
		.amdhsa_memory_ordered 1
		.amdhsa_forward_progress 1
		.amdhsa_shared_vgpr_count 0
		.amdhsa_exception_fp_ieee_invalid_op 0
		.amdhsa_exception_fp_denorm_src 0
		.amdhsa_exception_fp_ieee_div_zero 0
		.amdhsa_exception_fp_ieee_overflow 0
		.amdhsa_exception_fp_ieee_underflow 0
		.amdhsa_exception_fp_ieee_inexact 0
		.amdhsa_exception_int_div_zero 0
	.end_amdhsa_kernel
	.section	.text._ZN7rocprim17ROCPRIM_400000_NS6detail17trampoline_kernelINS0_14default_configENS1_27scan_by_key_config_selectorIiiEEZZNS1_16scan_by_key_implILNS1_25lookback_scan_determinismE0ELb0ES3_N6thrust23THRUST_200600_302600_NS6detail15normal_iteratorINS9_10device_ptrIiEEEENS9_18transform_iteratorINS9_6negateIiEESE_NS9_11use_defaultESI_EESE_iNS9_4plusIvEENS9_8equal_toIvEEiEE10hipError_tPvRmT2_T3_T4_T5_mT6_T7_P12ihipStream_tbENKUlT_T0_E_clISt17integral_constantIbLb0EES13_IbLb1EEEEDaSZ_S10_EUlSZ_E_NS1_11comp_targetILNS1_3genE3ELNS1_11target_archE908ELNS1_3gpuE7ELNS1_3repE0EEENS1_30default_config_static_selectorELNS0_4arch9wavefront6targetE0EEEvT1_,"axG",@progbits,_ZN7rocprim17ROCPRIM_400000_NS6detail17trampoline_kernelINS0_14default_configENS1_27scan_by_key_config_selectorIiiEEZZNS1_16scan_by_key_implILNS1_25lookback_scan_determinismE0ELb0ES3_N6thrust23THRUST_200600_302600_NS6detail15normal_iteratorINS9_10device_ptrIiEEEENS9_18transform_iteratorINS9_6negateIiEESE_NS9_11use_defaultESI_EESE_iNS9_4plusIvEENS9_8equal_toIvEEiEE10hipError_tPvRmT2_T3_T4_T5_mT6_T7_P12ihipStream_tbENKUlT_T0_E_clISt17integral_constantIbLb0EES13_IbLb1EEEEDaSZ_S10_EUlSZ_E_NS1_11comp_targetILNS1_3genE3ELNS1_11target_archE908ELNS1_3gpuE7ELNS1_3repE0EEENS1_30default_config_static_selectorELNS0_4arch9wavefront6targetE0EEEvT1_,comdat
.Lfunc_end960:
	.size	_ZN7rocprim17ROCPRIM_400000_NS6detail17trampoline_kernelINS0_14default_configENS1_27scan_by_key_config_selectorIiiEEZZNS1_16scan_by_key_implILNS1_25lookback_scan_determinismE0ELb0ES3_N6thrust23THRUST_200600_302600_NS6detail15normal_iteratorINS9_10device_ptrIiEEEENS9_18transform_iteratorINS9_6negateIiEESE_NS9_11use_defaultESI_EESE_iNS9_4plusIvEENS9_8equal_toIvEEiEE10hipError_tPvRmT2_T3_T4_T5_mT6_T7_P12ihipStream_tbENKUlT_T0_E_clISt17integral_constantIbLb0EES13_IbLb1EEEEDaSZ_S10_EUlSZ_E_NS1_11comp_targetILNS1_3genE3ELNS1_11target_archE908ELNS1_3gpuE7ELNS1_3repE0EEENS1_30default_config_static_selectorELNS0_4arch9wavefront6targetE0EEEvT1_, .Lfunc_end960-_ZN7rocprim17ROCPRIM_400000_NS6detail17trampoline_kernelINS0_14default_configENS1_27scan_by_key_config_selectorIiiEEZZNS1_16scan_by_key_implILNS1_25lookback_scan_determinismE0ELb0ES3_N6thrust23THRUST_200600_302600_NS6detail15normal_iteratorINS9_10device_ptrIiEEEENS9_18transform_iteratorINS9_6negateIiEESE_NS9_11use_defaultESI_EESE_iNS9_4plusIvEENS9_8equal_toIvEEiEE10hipError_tPvRmT2_T3_T4_T5_mT6_T7_P12ihipStream_tbENKUlT_T0_E_clISt17integral_constantIbLb0EES13_IbLb1EEEEDaSZ_S10_EUlSZ_E_NS1_11comp_targetILNS1_3genE3ELNS1_11target_archE908ELNS1_3gpuE7ELNS1_3repE0EEENS1_30default_config_static_selectorELNS0_4arch9wavefront6targetE0EEEvT1_
                                        ; -- End function
	.set _ZN7rocprim17ROCPRIM_400000_NS6detail17trampoline_kernelINS0_14default_configENS1_27scan_by_key_config_selectorIiiEEZZNS1_16scan_by_key_implILNS1_25lookback_scan_determinismE0ELb0ES3_N6thrust23THRUST_200600_302600_NS6detail15normal_iteratorINS9_10device_ptrIiEEEENS9_18transform_iteratorINS9_6negateIiEESE_NS9_11use_defaultESI_EESE_iNS9_4plusIvEENS9_8equal_toIvEEiEE10hipError_tPvRmT2_T3_T4_T5_mT6_T7_P12ihipStream_tbENKUlT_T0_E_clISt17integral_constantIbLb0EES13_IbLb1EEEEDaSZ_S10_EUlSZ_E_NS1_11comp_targetILNS1_3genE3ELNS1_11target_archE908ELNS1_3gpuE7ELNS1_3repE0EEENS1_30default_config_static_selectorELNS0_4arch9wavefront6targetE0EEEvT1_.num_vgpr, 0
	.set _ZN7rocprim17ROCPRIM_400000_NS6detail17trampoline_kernelINS0_14default_configENS1_27scan_by_key_config_selectorIiiEEZZNS1_16scan_by_key_implILNS1_25lookback_scan_determinismE0ELb0ES3_N6thrust23THRUST_200600_302600_NS6detail15normal_iteratorINS9_10device_ptrIiEEEENS9_18transform_iteratorINS9_6negateIiEESE_NS9_11use_defaultESI_EESE_iNS9_4plusIvEENS9_8equal_toIvEEiEE10hipError_tPvRmT2_T3_T4_T5_mT6_T7_P12ihipStream_tbENKUlT_T0_E_clISt17integral_constantIbLb0EES13_IbLb1EEEEDaSZ_S10_EUlSZ_E_NS1_11comp_targetILNS1_3genE3ELNS1_11target_archE908ELNS1_3gpuE7ELNS1_3repE0EEENS1_30default_config_static_selectorELNS0_4arch9wavefront6targetE0EEEvT1_.num_agpr, 0
	.set _ZN7rocprim17ROCPRIM_400000_NS6detail17trampoline_kernelINS0_14default_configENS1_27scan_by_key_config_selectorIiiEEZZNS1_16scan_by_key_implILNS1_25lookback_scan_determinismE0ELb0ES3_N6thrust23THRUST_200600_302600_NS6detail15normal_iteratorINS9_10device_ptrIiEEEENS9_18transform_iteratorINS9_6negateIiEESE_NS9_11use_defaultESI_EESE_iNS9_4plusIvEENS9_8equal_toIvEEiEE10hipError_tPvRmT2_T3_T4_T5_mT6_T7_P12ihipStream_tbENKUlT_T0_E_clISt17integral_constantIbLb0EES13_IbLb1EEEEDaSZ_S10_EUlSZ_E_NS1_11comp_targetILNS1_3genE3ELNS1_11target_archE908ELNS1_3gpuE7ELNS1_3repE0EEENS1_30default_config_static_selectorELNS0_4arch9wavefront6targetE0EEEvT1_.numbered_sgpr, 0
	.set _ZN7rocprim17ROCPRIM_400000_NS6detail17trampoline_kernelINS0_14default_configENS1_27scan_by_key_config_selectorIiiEEZZNS1_16scan_by_key_implILNS1_25lookback_scan_determinismE0ELb0ES3_N6thrust23THRUST_200600_302600_NS6detail15normal_iteratorINS9_10device_ptrIiEEEENS9_18transform_iteratorINS9_6negateIiEESE_NS9_11use_defaultESI_EESE_iNS9_4plusIvEENS9_8equal_toIvEEiEE10hipError_tPvRmT2_T3_T4_T5_mT6_T7_P12ihipStream_tbENKUlT_T0_E_clISt17integral_constantIbLb0EES13_IbLb1EEEEDaSZ_S10_EUlSZ_E_NS1_11comp_targetILNS1_3genE3ELNS1_11target_archE908ELNS1_3gpuE7ELNS1_3repE0EEENS1_30default_config_static_selectorELNS0_4arch9wavefront6targetE0EEEvT1_.num_named_barrier, 0
	.set _ZN7rocprim17ROCPRIM_400000_NS6detail17trampoline_kernelINS0_14default_configENS1_27scan_by_key_config_selectorIiiEEZZNS1_16scan_by_key_implILNS1_25lookback_scan_determinismE0ELb0ES3_N6thrust23THRUST_200600_302600_NS6detail15normal_iteratorINS9_10device_ptrIiEEEENS9_18transform_iteratorINS9_6negateIiEESE_NS9_11use_defaultESI_EESE_iNS9_4plusIvEENS9_8equal_toIvEEiEE10hipError_tPvRmT2_T3_T4_T5_mT6_T7_P12ihipStream_tbENKUlT_T0_E_clISt17integral_constantIbLb0EES13_IbLb1EEEEDaSZ_S10_EUlSZ_E_NS1_11comp_targetILNS1_3genE3ELNS1_11target_archE908ELNS1_3gpuE7ELNS1_3repE0EEENS1_30default_config_static_selectorELNS0_4arch9wavefront6targetE0EEEvT1_.private_seg_size, 0
	.set _ZN7rocprim17ROCPRIM_400000_NS6detail17trampoline_kernelINS0_14default_configENS1_27scan_by_key_config_selectorIiiEEZZNS1_16scan_by_key_implILNS1_25lookback_scan_determinismE0ELb0ES3_N6thrust23THRUST_200600_302600_NS6detail15normal_iteratorINS9_10device_ptrIiEEEENS9_18transform_iteratorINS9_6negateIiEESE_NS9_11use_defaultESI_EESE_iNS9_4plusIvEENS9_8equal_toIvEEiEE10hipError_tPvRmT2_T3_T4_T5_mT6_T7_P12ihipStream_tbENKUlT_T0_E_clISt17integral_constantIbLb0EES13_IbLb1EEEEDaSZ_S10_EUlSZ_E_NS1_11comp_targetILNS1_3genE3ELNS1_11target_archE908ELNS1_3gpuE7ELNS1_3repE0EEENS1_30default_config_static_selectorELNS0_4arch9wavefront6targetE0EEEvT1_.uses_vcc, 0
	.set _ZN7rocprim17ROCPRIM_400000_NS6detail17trampoline_kernelINS0_14default_configENS1_27scan_by_key_config_selectorIiiEEZZNS1_16scan_by_key_implILNS1_25lookback_scan_determinismE0ELb0ES3_N6thrust23THRUST_200600_302600_NS6detail15normal_iteratorINS9_10device_ptrIiEEEENS9_18transform_iteratorINS9_6negateIiEESE_NS9_11use_defaultESI_EESE_iNS9_4plusIvEENS9_8equal_toIvEEiEE10hipError_tPvRmT2_T3_T4_T5_mT6_T7_P12ihipStream_tbENKUlT_T0_E_clISt17integral_constantIbLb0EES13_IbLb1EEEEDaSZ_S10_EUlSZ_E_NS1_11comp_targetILNS1_3genE3ELNS1_11target_archE908ELNS1_3gpuE7ELNS1_3repE0EEENS1_30default_config_static_selectorELNS0_4arch9wavefront6targetE0EEEvT1_.uses_flat_scratch, 0
	.set _ZN7rocprim17ROCPRIM_400000_NS6detail17trampoline_kernelINS0_14default_configENS1_27scan_by_key_config_selectorIiiEEZZNS1_16scan_by_key_implILNS1_25lookback_scan_determinismE0ELb0ES3_N6thrust23THRUST_200600_302600_NS6detail15normal_iteratorINS9_10device_ptrIiEEEENS9_18transform_iteratorINS9_6negateIiEESE_NS9_11use_defaultESI_EESE_iNS9_4plusIvEENS9_8equal_toIvEEiEE10hipError_tPvRmT2_T3_T4_T5_mT6_T7_P12ihipStream_tbENKUlT_T0_E_clISt17integral_constantIbLb0EES13_IbLb1EEEEDaSZ_S10_EUlSZ_E_NS1_11comp_targetILNS1_3genE3ELNS1_11target_archE908ELNS1_3gpuE7ELNS1_3repE0EEENS1_30default_config_static_selectorELNS0_4arch9wavefront6targetE0EEEvT1_.has_dyn_sized_stack, 0
	.set _ZN7rocprim17ROCPRIM_400000_NS6detail17trampoline_kernelINS0_14default_configENS1_27scan_by_key_config_selectorIiiEEZZNS1_16scan_by_key_implILNS1_25lookback_scan_determinismE0ELb0ES3_N6thrust23THRUST_200600_302600_NS6detail15normal_iteratorINS9_10device_ptrIiEEEENS9_18transform_iteratorINS9_6negateIiEESE_NS9_11use_defaultESI_EESE_iNS9_4plusIvEENS9_8equal_toIvEEiEE10hipError_tPvRmT2_T3_T4_T5_mT6_T7_P12ihipStream_tbENKUlT_T0_E_clISt17integral_constantIbLb0EES13_IbLb1EEEEDaSZ_S10_EUlSZ_E_NS1_11comp_targetILNS1_3genE3ELNS1_11target_archE908ELNS1_3gpuE7ELNS1_3repE0EEENS1_30default_config_static_selectorELNS0_4arch9wavefront6targetE0EEEvT1_.has_recursion, 0
	.set _ZN7rocprim17ROCPRIM_400000_NS6detail17trampoline_kernelINS0_14default_configENS1_27scan_by_key_config_selectorIiiEEZZNS1_16scan_by_key_implILNS1_25lookback_scan_determinismE0ELb0ES3_N6thrust23THRUST_200600_302600_NS6detail15normal_iteratorINS9_10device_ptrIiEEEENS9_18transform_iteratorINS9_6negateIiEESE_NS9_11use_defaultESI_EESE_iNS9_4plusIvEENS9_8equal_toIvEEiEE10hipError_tPvRmT2_T3_T4_T5_mT6_T7_P12ihipStream_tbENKUlT_T0_E_clISt17integral_constantIbLb0EES13_IbLb1EEEEDaSZ_S10_EUlSZ_E_NS1_11comp_targetILNS1_3genE3ELNS1_11target_archE908ELNS1_3gpuE7ELNS1_3repE0EEENS1_30default_config_static_selectorELNS0_4arch9wavefront6targetE0EEEvT1_.has_indirect_call, 0
	.section	.AMDGPU.csdata,"",@progbits
; Kernel info:
; codeLenInByte = 0
; TotalNumSgprs: 0
; NumVgprs: 0
; ScratchSize: 0
; MemoryBound: 0
; FloatMode: 240
; IeeeMode: 1
; LDSByteSize: 0 bytes/workgroup (compile time only)
; SGPRBlocks: 0
; VGPRBlocks: 0
; NumSGPRsForWavesPerEU: 1
; NumVGPRsForWavesPerEU: 1
; Occupancy: 16
; WaveLimiterHint : 0
; COMPUTE_PGM_RSRC2:SCRATCH_EN: 0
; COMPUTE_PGM_RSRC2:USER_SGPR: 6
; COMPUTE_PGM_RSRC2:TRAP_HANDLER: 0
; COMPUTE_PGM_RSRC2:TGID_X_EN: 1
; COMPUTE_PGM_RSRC2:TGID_Y_EN: 0
; COMPUTE_PGM_RSRC2:TGID_Z_EN: 0
; COMPUTE_PGM_RSRC2:TIDIG_COMP_CNT: 0
	.section	.text._ZN7rocprim17ROCPRIM_400000_NS6detail17trampoline_kernelINS0_14default_configENS1_27scan_by_key_config_selectorIiiEEZZNS1_16scan_by_key_implILNS1_25lookback_scan_determinismE0ELb0ES3_N6thrust23THRUST_200600_302600_NS6detail15normal_iteratorINS9_10device_ptrIiEEEENS9_18transform_iteratorINS9_6negateIiEESE_NS9_11use_defaultESI_EESE_iNS9_4plusIvEENS9_8equal_toIvEEiEE10hipError_tPvRmT2_T3_T4_T5_mT6_T7_P12ihipStream_tbENKUlT_T0_E_clISt17integral_constantIbLb0EES13_IbLb1EEEEDaSZ_S10_EUlSZ_E_NS1_11comp_targetILNS1_3genE2ELNS1_11target_archE906ELNS1_3gpuE6ELNS1_3repE0EEENS1_30default_config_static_selectorELNS0_4arch9wavefront6targetE0EEEvT1_,"axG",@progbits,_ZN7rocprim17ROCPRIM_400000_NS6detail17trampoline_kernelINS0_14default_configENS1_27scan_by_key_config_selectorIiiEEZZNS1_16scan_by_key_implILNS1_25lookback_scan_determinismE0ELb0ES3_N6thrust23THRUST_200600_302600_NS6detail15normal_iteratorINS9_10device_ptrIiEEEENS9_18transform_iteratorINS9_6negateIiEESE_NS9_11use_defaultESI_EESE_iNS9_4plusIvEENS9_8equal_toIvEEiEE10hipError_tPvRmT2_T3_T4_T5_mT6_T7_P12ihipStream_tbENKUlT_T0_E_clISt17integral_constantIbLb0EES13_IbLb1EEEEDaSZ_S10_EUlSZ_E_NS1_11comp_targetILNS1_3genE2ELNS1_11target_archE906ELNS1_3gpuE6ELNS1_3repE0EEENS1_30default_config_static_selectorELNS0_4arch9wavefront6targetE0EEEvT1_,comdat
	.protected	_ZN7rocprim17ROCPRIM_400000_NS6detail17trampoline_kernelINS0_14default_configENS1_27scan_by_key_config_selectorIiiEEZZNS1_16scan_by_key_implILNS1_25lookback_scan_determinismE0ELb0ES3_N6thrust23THRUST_200600_302600_NS6detail15normal_iteratorINS9_10device_ptrIiEEEENS9_18transform_iteratorINS9_6negateIiEESE_NS9_11use_defaultESI_EESE_iNS9_4plusIvEENS9_8equal_toIvEEiEE10hipError_tPvRmT2_T3_T4_T5_mT6_T7_P12ihipStream_tbENKUlT_T0_E_clISt17integral_constantIbLb0EES13_IbLb1EEEEDaSZ_S10_EUlSZ_E_NS1_11comp_targetILNS1_3genE2ELNS1_11target_archE906ELNS1_3gpuE6ELNS1_3repE0EEENS1_30default_config_static_selectorELNS0_4arch9wavefront6targetE0EEEvT1_ ; -- Begin function _ZN7rocprim17ROCPRIM_400000_NS6detail17trampoline_kernelINS0_14default_configENS1_27scan_by_key_config_selectorIiiEEZZNS1_16scan_by_key_implILNS1_25lookback_scan_determinismE0ELb0ES3_N6thrust23THRUST_200600_302600_NS6detail15normal_iteratorINS9_10device_ptrIiEEEENS9_18transform_iteratorINS9_6negateIiEESE_NS9_11use_defaultESI_EESE_iNS9_4plusIvEENS9_8equal_toIvEEiEE10hipError_tPvRmT2_T3_T4_T5_mT6_T7_P12ihipStream_tbENKUlT_T0_E_clISt17integral_constantIbLb0EES13_IbLb1EEEEDaSZ_S10_EUlSZ_E_NS1_11comp_targetILNS1_3genE2ELNS1_11target_archE906ELNS1_3gpuE6ELNS1_3repE0EEENS1_30default_config_static_selectorELNS0_4arch9wavefront6targetE0EEEvT1_
	.globl	_ZN7rocprim17ROCPRIM_400000_NS6detail17trampoline_kernelINS0_14default_configENS1_27scan_by_key_config_selectorIiiEEZZNS1_16scan_by_key_implILNS1_25lookback_scan_determinismE0ELb0ES3_N6thrust23THRUST_200600_302600_NS6detail15normal_iteratorINS9_10device_ptrIiEEEENS9_18transform_iteratorINS9_6negateIiEESE_NS9_11use_defaultESI_EESE_iNS9_4plusIvEENS9_8equal_toIvEEiEE10hipError_tPvRmT2_T3_T4_T5_mT6_T7_P12ihipStream_tbENKUlT_T0_E_clISt17integral_constantIbLb0EES13_IbLb1EEEEDaSZ_S10_EUlSZ_E_NS1_11comp_targetILNS1_3genE2ELNS1_11target_archE906ELNS1_3gpuE6ELNS1_3repE0EEENS1_30default_config_static_selectorELNS0_4arch9wavefront6targetE0EEEvT1_
	.p2align	8
	.type	_ZN7rocprim17ROCPRIM_400000_NS6detail17trampoline_kernelINS0_14default_configENS1_27scan_by_key_config_selectorIiiEEZZNS1_16scan_by_key_implILNS1_25lookback_scan_determinismE0ELb0ES3_N6thrust23THRUST_200600_302600_NS6detail15normal_iteratorINS9_10device_ptrIiEEEENS9_18transform_iteratorINS9_6negateIiEESE_NS9_11use_defaultESI_EESE_iNS9_4plusIvEENS9_8equal_toIvEEiEE10hipError_tPvRmT2_T3_T4_T5_mT6_T7_P12ihipStream_tbENKUlT_T0_E_clISt17integral_constantIbLb0EES13_IbLb1EEEEDaSZ_S10_EUlSZ_E_NS1_11comp_targetILNS1_3genE2ELNS1_11target_archE906ELNS1_3gpuE6ELNS1_3repE0EEENS1_30default_config_static_selectorELNS0_4arch9wavefront6targetE0EEEvT1_,@function
_ZN7rocprim17ROCPRIM_400000_NS6detail17trampoline_kernelINS0_14default_configENS1_27scan_by_key_config_selectorIiiEEZZNS1_16scan_by_key_implILNS1_25lookback_scan_determinismE0ELb0ES3_N6thrust23THRUST_200600_302600_NS6detail15normal_iteratorINS9_10device_ptrIiEEEENS9_18transform_iteratorINS9_6negateIiEESE_NS9_11use_defaultESI_EESE_iNS9_4plusIvEENS9_8equal_toIvEEiEE10hipError_tPvRmT2_T3_T4_T5_mT6_T7_P12ihipStream_tbENKUlT_T0_E_clISt17integral_constantIbLb0EES13_IbLb1EEEEDaSZ_S10_EUlSZ_E_NS1_11comp_targetILNS1_3genE2ELNS1_11target_archE906ELNS1_3gpuE6ELNS1_3repE0EEENS1_30default_config_static_selectorELNS0_4arch9wavefront6targetE0EEEvT1_: ; @_ZN7rocprim17ROCPRIM_400000_NS6detail17trampoline_kernelINS0_14default_configENS1_27scan_by_key_config_selectorIiiEEZZNS1_16scan_by_key_implILNS1_25lookback_scan_determinismE0ELb0ES3_N6thrust23THRUST_200600_302600_NS6detail15normal_iteratorINS9_10device_ptrIiEEEENS9_18transform_iteratorINS9_6negateIiEESE_NS9_11use_defaultESI_EESE_iNS9_4plusIvEENS9_8equal_toIvEEiEE10hipError_tPvRmT2_T3_T4_T5_mT6_T7_P12ihipStream_tbENKUlT_T0_E_clISt17integral_constantIbLb0EES13_IbLb1EEEEDaSZ_S10_EUlSZ_E_NS1_11comp_targetILNS1_3genE2ELNS1_11target_archE906ELNS1_3gpuE6ELNS1_3repE0EEENS1_30default_config_static_selectorELNS0_4arch9wavefront6targetE0EEEvT1_
; %bb.0:
	.section	.rodata,"a",@progbits
	.p2align	6, 0x0
	.amdhsa_kernel _ZN7rocprim17ROCPRIM_400000_NS6detail17trampoline_kernelINS0_14default_configENS1_27scan_by_key_config_selectorIiiEEZZNS1_16scan_by_key_implILNS1_25lookback_scan_determinismE0ELb0ES3_N6thrust23THRUST_200600_302600_NS6detail15normal_iteratorINS9_10device_ptrIiEEEENS9_18transform_iteratorINS9_6negateIiEESE_NS9_11use_defaultESI_EESE_iNS9_4plusIvEENS9_8equal_toIvEEiEE10hipError_tPvRmT2_T3_T4_T5_mT6_T7_P12ihipStream_tbENKUlT_T0_E_clISt17integral_constantIbLb0EES13_IbLb1EEEEDaSZ_S10_EUlSZ_E_NS1_11comp_targetILNS1_3genE2ELNS1_11target_archE906ELNS1_3gpuE6ELNS1_3repE0EEENS1_30default_config_static_selectorELNS0_4arch9wavefront6targetE0EEEvT1_
		.amdhsa_group_segment_fixed_size 0
		.amdhsa_private_segment_fixed_size 0
		.amdhsa_kernarg_size 120
		.amdhsa_user_sgpr_count 6
		.amdhsa_user_sgpr_private_segment_buffer 1
		.amdhsa_user_sgpr_dispatch_ptr 0
		.amdhsa_user_sgpr_queue_ptr 0
		.amdhsa_user_sgpr_kernarg_segment_ptr 1
		.amdhsa_user_sgpr_dispatch_id 0
		.amdhsa_user_sgpr_flat_scratch_init 0
		.amdhsa_user_sgpr_private_segment_size 0
		.amdhsa_wavefront_size32 1
		.amdhsa_uses_dynamic_stack 0
		.amdhsa_system_sgpr_private_segment_wavefront_offset 0
		.amdhsa_system_sgpr_workgroup_id_x 1
		.amdhsa_system_sgpr_workgroup_id_y 0
		.amdhsa_system_sgpr_workgroup_id_z 0
		.amdhsa_system_sgpr_workgroup_info 0
		.amdhsa_system_vgpr_workitem_id 0
		.amdhsa_next_free_vgpr 1
		.amdhsa_next_free_sgpr 1
		.amdhsa_reserve_vcc 0
		.amdhsa_reserve_flat_scratch 0
		.amdhsa_float_round_mode_32 0
		.amdhsa_float_round_mode_16_64 0
		.amdhsa_float_denorm_mode_32 3
		.amdhsa_float_denorm_mode_16_64 3
		.amdhsa_dx10_clamp 1
		.amdhsa_ieee_mode 1
		.amdhsa_fp16_overflow 0
		.amdhsa_workgroup_processor_mode 1
		.amdhsa_memory_ordered 1
		.amdhsa_forward_progress 1
		.amdhsa_shared_vgpr_count 0
		.amdhsa_exception_fp_ieee_invalid_op 0
		.amdhsa_exception_fp_denorm_src 0
		.amdhsa_exception_fp_ieee_div_zero 0
		.amdhsa_exception_fp_ieee_overflow 0
		.amdhsa_exception_fp_ieee_underflow 0
		.amdhsa_exception_fp_ieee_inexact 0
		.amdhsa_exception_int_div_zero 0
	.end_amdhsa_kernel
	.section	.text._ZN7rocprim17ROCPRIM_400000_NS6detail17trampoline_kernelINS0_14default_configENS1_27scan_by_key_config_selectorIiiEEZZNS1_16scan_by_key_implILNS1_25lookback_scan_determinismE0ELb0ES3_N6thrust23THRUST_200600_302600_NS6detail15normal_iteratorINS9_10device_ptrIiEEEENS9_18transform_iteratorINS9_6negateIiEESE_NS9_11use_defaultESI_EESE_iNS9_4plusIvEENS9_8equal_toIvEEiEE10hipError_tPvRmT2_T3_T4_T5_mT6_T7_P12ihipStream_tbENKUlT_T0_E_clISt17integral_constantIbLb0EES13_IbLb1EEEEDaSZ_S10_EUlSZ_E_NS1_11comp_targetILNS1_3genE2ELNS1_11target_archE906ELNS1_3gpuE6ELNS1_3repE0EEENS1_30default_config_static_selectorELNS0_4arch9wavefront6targetE0EEEvT1_,"axG",@progbits,_ZN7rocprim17ROCPRIM_400000_NS6detail17trampoline_kernelINS0_14default_configENS1_27scan_by_key_config_selectorIiiEEZZNS1_16scan_by_key_implILNS1_25lookback_scan_determinismE0ELb0ES3_N6thrust23THRUST_200600_302600_NS6detail15normal_iteratorINS9_10device_ptrIiEEEENS9_18transform_iteratorINS9_6negateIiEESE_NS9_11use_defaultESI_EESE_iNS9_4plusIvEENS9_8equal_toIvEEiEE10hipError_tPvRmT2_T3_T4_T5_mT6_T7_P12ihipStream_tbENKUlT_T0_E_clISt17integral_constantIbLb0EES13_IbLb1EEEEDaSZ_S10_EUlSZ_E_NS1_11comp_targetILNS1_3genE2ELNS1_11target_archE906ELNS1_3gpuE6ELNS1_3repE0EEENS1_30default_config_static_selectorELNS0_4arch9wavefront6targetE0EEEvT1_,comdat
.Lfunc_end961:
	.size	_ZN7rocprim17ROCPRIM_400000_NS6detail17trampoline_kernelINS0_14default_configENS1_27scan_by_key_config_selectorIiiEEZZNS1_16scan_by_key_implILNS1_25lookback_scan_determinismE0ELb0ES3_N6thrust23THRUST_200600_302600_NS6detail15normal_iteratorINS9_10device_ptrIiEEEENS9_18transform_iteratorINS9_6negateIiEESE_NS9_11use_defaultESI_EESE_iNS9_4plusIvEENS9_8equal_toIvEEiEE10hipError_tPvRmT2_T3_T4_T5_mT6_T7_P12ihipStream_tbENKUlT_T0_E_clISt17integral_constantIbLb0EES13_IbLb1EEEEDaSZ_S10_EUlSZ_E_NS1_11comp_targetILNS1_3genE2ELNS1_11target_archE906ELNS1_3gpuE6ELNS1_3repE0EEENS1_30default_config_static_selectorELNS0_4arch9wavefront6targetE0EEEvT1_, .Lfunc_end961-_ZN7rocprim17ROCPRIM_400000_NS6detail17trampoline_kernelINS0_14default_configENS1_27scan_by_key_config_selectorIiiEEZZNS1_16scan_by_key_implILNS1_25lookback_scan_determinismE0ELb0ES3_N6thrust23THRUST_200600_302600_NS6detail15normal_iteratorINS9_10device_ptrIiEEEENS9_18transform_iteratorINS9_6negateIiEESE_NS9_11use_defaultESI_EESE_iNS9_4plusIvEENS9_8equal_toIvEEiEE10hipError_tPvRmT2_T3_T4_T5_mT6_T7_P12ihipStream_tbENKUlT_T0_E_clISt17integral_constantIbLb0EES13_IbLb1EEEEDaSZ_S10_EUlSZ_E_NS1_11comp_targetILNS1_3genE2ELNS1_11target_archE906ELNS1_3gpuE6ELNS1_3repE0EEENS1_30default_config_static_selectorELNS0_4arch9wavefront6targetE0EEEvT1_
                                        ; -- End function
	.set _ZN7rocprim17ROCPRIM_400000_NS6detail17trampoline_kernelINS0_14default_configENS1_27scan_by_key_config_selectorIiiEEZZNS1_16scan_by_key_implILNS1_25lookback_scan_determinismE0ELb0ES3_N6thrust23THRUST_200600_302600_NS6detail15normal_iteratorINS9_10device_ptrIiEEEENS9_18transform_iteratorINS9_6negateIiEESE_NS9_11use_defaultESI_EESE_iNS9_4plusIvEENS9_8equal_toIvEEiEE10hipError_tPvRmT2_T3_T4_T5_mT6_T7_P12ihipStream_tbENKUlT_T0_E_clISt17integral_constantIbLb0EES13_IbLb1EEEEDaSZ_S10_EUlSZ_E_NS1_11comp_targetILNS1_3genE2ELNS1_11target_archE906ELNS1_3gpuE6ELNS1_3repE0EEENS1_30default_config_static_selectorELNS0_4arch9wavefront6targetE0EEEvT1_.num_vgpr, 0
	.set _ZN7rocprim17ROCPRIM_400000_NS6detail17trampoline_kernelINS0_14default_configENS1_27scan_by_key_config_selectorIiiEEZZNS1_16scan_by_key_implILNS1_25lookback_scan_determinismE0ELb0ES3_N6thrust23THRUST_200600_302600_NS6detail15normal_iteratorINS9_10device_ptrIiEEEENS9_18transform_iteratorINS9_6negateIiEESE_NS9_11use_defaultESI_EESE_iNS9_4plusIvEENS9_8equal_toIvEEiEE10hipError_tPvRmT2_T3_T4_T5_mT6_T7_P12ihipStream_tbENKUlT_T0_E_clISt17integral_constantIbLb0EES13_IbLb1EEEEDaSZ_S10_EUlSZ_E_NS1_11comp_targetILNS1_3genE2ELNS1_11target_archE906ELNS1_3gpuE6ELNS1_3repE0EEENS1_30default_config_static_selectorELNS0_4arch9wavefront6targetE0EEEvT1_.num_agpr, 0
	.set _ZN7rocprim17ROCPRIM_400000_NS6detail17trampoline_kernelINS0_14default_configENS1_27scan_by_key_config_selectorIiiEEZZNS1_16scan_by_key_implILNS1_25lookback_scan_determinismE0ELb0ES3_N6thrust23THRUST_200600_302600_NS6detail15normal_iteratorINS9_10device_ptrIiEEEENS9_18transform_iteratorINS9_6negateIiEESE_NS9_11use_defaultESI_EESE_iNS9_4plusIvEENS9_8equal_toIvEEiEE10hipError_tPvRmT2_T3_T4_T5_mT6_T7_P12ihipStream_tbENKUlT_T0_E_clISt17integral_constantIbLb0EES13_IbLb1EEEEDaSZ_S10_EUlSZ_E_NS1_11comp_targetILNS1_3genE2ELNS1_11target_archE906ELNS1_3gpuE6ELNS1_3repE0EEENS1_30default_config_static_selectorELNS0_4arch9wavefront6targetE0EEEvT1_.numbered_sgpr, 0
	.set _ZN7rocprim17ROCPRIM_400000_NS6detail17trampoline_kernelINS0_14default_configENS1_27scan_by_key_config_selectorIiiEEZZNS1_16scan_by_key_implILNS1_25lookback_scan_determinismE0ELb0ES3_N6thrust23THRUST_200600_302600_NS6detail15normal_iteratorINS9_10device_ptrIiEEEENS9_18transform_iteratorINS9_6negateIiEESE_NS9_11use_defaultESI_EESE_iNS9_4plusIvEENS9_8equal_toIvEEiEE10hipError_tPvRmT2_T3_T4_T5_mT6_T7_P12ihipStream_tbENKUlT_T0_E_clISt17integral_constantIbLb0EES13_IbLb1EEEEDaSZ_S10_EUlSZ_E_NS1_11comp_targetILNS1_3genE2ELNS1_11target_archE906ELNS1_3gpuE6ELNS1_3repE0EEENS1_30default_config_static_selectorELNS0_4arch9wavefront6targetE0EEEvT1_.num_named_barrier, 0
	.set _ZN7rocprim17ROCPRIM_400000_NS6detail17trampoline_kernelINS0_14default_configENS1_27scan_by_key_config_selectorIiiEEZZNS1_16scan_by_key_implILNS1_25lookback_scan_determinismE0ELb0ES3_N6thrust23THRUST_200600_302600_NS6detail15normal_iteratorINS9_10device_ptrIiEEEENS9_18transform_iteratorINS9_6negateIiEESE_NS9_11use_defaultESI_EESE_iNS9_4plusIvEENS9_8equal_toIvEEiEE10hipError_tPvRmT2_T3_T4_T5_mT6_T7_P12ihipStream_tbENKUlT_T0_E_clISt17integral_constantIbLb0EES13_IbLb1EEEEDaSZ_S10_EUlSZ_E_NS1_11comp_targetILNS1_3genE2ELNS1_11target_archE906ELNS1_3gpuE6ELNS1_3repE0EEENS1_30default_config_static_selectorELNS0_4arch9wavefront6targetE0EEEvT1_.private_seg_size, 0
	.set _ZN7rocprim17ROCPRIM_400000_NS6detail17trampoline_kernelINS0_14default_configENS1_27scan_by_key_config_selectorIiiEEZZNS1_16scan_by_key_implILNS1_25lookback_scan_determinismE0ELb0ES3_N6thrust23THRUST_200600_302600_NS6detail15normal_iteratorINS9_10device_ptrIiEEEENS9_18transform_iteratorINS9_6negateIiEESE_NS9_11use_defaultESI_EESE_iNS9_4plusIvEENS9_8equal_toIvEEiEE10hipError_tPvRmT2_T3_T4_T5_mT6_T7_P12ihipStream_tbENKUlT_T0_E_clISt17integral_constantIbLb0EES13_IbLb1EEEEDaSZ_S10_EUlSZ_E_NS1_11comp_targetILNS1_3genE2ELNS1_11target_archE906ELNS1_3gpuE6ELNS1_3repE0EEENS1_30default_config_static_selectorELNS0_4arch9wavefront6targetE0EEEvT1_.uses_vcc, 0
	.set _ZN7rocprim17ROCPRIM_400000_NS6detail17trampoline_kernelINS0_14default_configENS1_27scan_by_key_config_selectorIiiEEZZNS1_16scan_by_key_implILNS1_25lookback_scan_determinismE0ELb0ES3_N6thrust23THRUST_200600_302600_NS6detail15normal_iteratorINS9_10device_ptrIiEEEENS9_18transform_iteratorINS9_6negateIiEESE_NS9_11use_defaultESI_EESE_iNS9_4plusIvEENS9_8equal_toIvEEiEE10hipError_tPvRmT2_T3_T4_T5_mT6_T7_P12ihipStream_tbENKUlT_T0_E_clISt17integral_constantIbLb0EES13_IbLb1EEEEDaSZ_S10_EUlSZ_E_NS1_11comp_targetILNS1_3genE2ELNS1_11target_archE906ELNS1_3gpuE6ELNS1_3repE0EEENS1_30default_config_static_selectorELNS0_4arch9wavefront6targetE0EEEvT1_.uses_flat_scratch, 0
	.set _ZN7rocprim17ROCPRIM_400000_NS6detail17trampoline_kernelINS0_14default_configENS1_27scan_by_key_config_selectorIiiEEZZNS1_16scan_by_key_implILNS1_25lookback_scan_determinismE0ELb0ES3_N6thrust23THRUST_200600_302600_NS6detail15normal_iteratorINS9_10device_ptrIiEEEENS9_18transform_iteratorINS9_6negateIiEESE_NS9_11use_defaultESI_EESE_iNS9_4plusIvEENS9_8equal_toIvEEiEE10hipError_tPvRmT2_T3_T4_T5_mT6_T7_P12ihipStream_tbENKUlT_T0_E_clISt17integral_constantIbLb0EES13_IbLb1EEEEDaSZ_S10_EUlSZ_E_NS1_11comp_targetILNS1_3genE2ELNS1_11target_archE906ELNS1_3gpuE6ELNS1_3repE0EEENS1_30default_config_static_selectorELNS0_4arch9wavefront6targetE0EEEvT1_.has_dyn_sized_stack, 0
	.set _ZN7rocprim17ROCPRIM_400000_NS6detail17trampoline_kernelINS0_14default_configENS1_27scan_by_key_config_selectorIiiEEZZNS1_16scan_by_key_implILNS1_25lookback_scan_determinismE0ELb0ES3_N6thrust23THRUST_200600_302600_NS6detail15normal_iteratorINS9_10device_ptrIiEEEENS9_18transform_iteratorINS9_6negateIiEESE_NS9_11use_defaultESI_EESE_iNS9_4plusIvEENS9_8equal_toIvEEiEE10hipError_tPvRmT2_T3_T4_T5_mT6_T7_P12ihipStream_tbENKUlT_T0_E_clISt17integral_constantIbLb0EES13_IbLb1EEEEDaSZ_S10_EUlSZ_E_NS1_11comp_targetILNS1_3genE2ELNS1_11target_archE906ELNS1_3gpuE6ELNS1_3repE0EEENS1_30default_config_static_selectorELNS0_4arch9wavefront6targetE0EEEvT1_.has_recursion, 0
	.set _ZN7rocprim17ROCPRIM_400000_NS6detail17trampoline_kernelINS0_14default_configENS1_27scan_by_key_config_selectorIiiEEZZNS1_16scan_by_key_implILNS1_25lookback_scan_determinismE0ELb0ES3_N6thrust23THRUST_200600_302600_NS6detail15normal_iteratorINS9_10device_ptrIiEEEENS9_18transform_iteratorINS9_6negateIiEESE_NS9_11use_defaultESI_EESE_iNS9_4plusIvEENS9_8equal_toIvEEiEE10hipError_tPvRmT2_T3_T4_T5_mT6_T7_P12ihipStream_tbENKUlT_T0_E_clISt17integral_constantIbLb0EES13_IbLb1EEEEDaSZ_S10_EUlSZ_E_NS1_11comp_targetILNS1_3genE2ELNS1_11target_archE906ELNS1_3gpuE6ELNS1_3repE0EEENS1_30default_config_static_selectorELNS0_4arch9wavefront6targetE0EEEvT1_.has_indirect_call, 0
	.section	.AMDGPU.csdata,"",@progbits
; Kernel info:
; codeLenInByte = 0
; TotalNumSgprs: 0
; NumVgprs: 0
; ScratchSize: 0
; MemoryBound: 0
; FloatMode: 240
; IeeeMode: 1
; LDSByteSize: 0 bytes/workgroup (compile time only)
; SGPRBlocks: 0
; VGPRBlocks: 0
; NumSGPRsForWavesPerEU: 1
; NumVGPRsForWavesPerEU: 1
; Occupancy: 16
; WaveLimiterHint : 0
; COMPUTE_PGM_RSRC2:SCRATCH_EN: 0
; COMPUTE_PGM_RSRC2:USER_SGPR: 6
; COMPUTE_PGM_RSRC2:TRAP_HANDLER: 0
; COMPUTE_PGM_RSRC2:TGID_X_EN: 1
; COMPUTE_PGM_RSRC2:TGID_Y_EN: 0
; COMPUTE_PGM_RSRC2:TGID_Z_EN: 0
; COMPUTE_PGM_RSRC2:TIDIG_COMP_CNT: 0
	.section	.text._ZN7rocprim17ROCPRIM_400000_NS6detail17trampoline_kernelINS0_14default_configENS1_27scan_by_key_config_selectorIiiEEZZNS1_16scan_by_key_implILNS1_25lookback_scan_determinismE0ELb0ES3_N6thrust23THRUST_200600_302600_NS6detail15normal_iteratorINS9_10device_ptrIiEEEENS9_18transform_iteratorINS9_6negateIiEESE_NS9_11use_defaultESI_EESE_iNS9_4plusIvEENS9_8equal_toIvEEiEE10hipError_tPvRmT2_T3_T4_T5_mT6_T7_P12ihipStream_tbENKUlT_T0_E_clISt17integral_constantIbLb0EES13_IbLb1EEEEDaSZ_S10_EUlSZ_E_NS1_11comp_targetILNS1_3genE10ELNS1_11target_archE1200ELNS1_3gpuE4ELNS1_3repE0EEENS1_30default_config_static_selectorELNS0_4arch9wavefront6targetE0EEEvT1_,"axG",@progbits,_ZN7rocprim17ROCPRIM_400000_NS6detail17trampoline_kernelINS0_14default_configENS1_27scan_by_key_config_selectorIiiEEZZNS1_16scan_by_key_implILNS1_25lookback_scan_determinismE0ELb0ES3_N6thrust23THRUST_200600_302600_NS6detail15normal_iteratorINS9_10device_ptrIiEEEENS9_18transform_iteratorINS9_6negateIiEESE_NS9_11use_defaultESI_EESE_iNS9_4plusIvEENS9_8equal_toIvEEiEE10hipError_tPvRmT2_T3_T4_T5_mT6_T7_P12ihipStream_tbENKUlT_T0_E_clISt17integral_constantIbLb0EES13_IbLb1EEEEDaSZ_S10_EUlSZ_E_NS1_11comp_targetILNS1_3genE10ELNS1_11target_archE1200ELNS1_3gpuE4ELNS1_3repE0EEENS1_30default_config_static_selectorELNS0_4arch9wavefront6targetE0EEEvT1_,comdat
	.protected	_ZN7rocprim17ROCPRIM_400000_NS6detail17trampoline_kernelINS0_14default_configENS1_27scan_by_key_config_selectorIiiEEZZNS1_16scan_by_key_implILNS1_25lookback_scan_determinismE0ELb0ES3_N6thrust23THRUST_200600_302600_NS6detail15normal_iteratorINS9_10device_ptrIiEEEENS9_18transform_iteratorINS9_6negateIiEESE_NS9_11use_defaultESI_EESE_iNS9_4plusIvEENS9_8equal_toIvEEiEE10hipError_tPvRmT2_T3_T4_T5_mT6_T7_P12ihipStream_tbENKUlT_T0_E_clISt17integral_constantIbLb0EES13_IbLb1EEEEDaSZ_S10_EUlSZ_E_NS1_11comp_targetILNS1_3genE10ELNS1_11target_archE1200ELNS1_3gpuE4ELNS1_3repE0EEENS1_30default_config_static_selectorELNS0_4arch9wavefront6targetE0EEEvT1_ ; -- Begin function _ZN7rocprim17ROCPRIM_400000_NS6detail17trampoline_kernelINS0_14default_configENS1_27scan_by_key_config_selectorIiiEEZZNS1_16scan_by_key_implILNS1_25lookback_scan_determinismE0ELb0ES3_N6thrust23THRUST_200600_302600_NS6detail15normal_iteratorINS9_10device_ptrIiEEEENS9_18transform_iteratorINS9_6negateIiEESE_NS9_11use_defaultESI_EESE_iNS9_4plusIvEENS9_8equal_toIvEEiEE10hipError_tPvRmT2_T3_T4_T5_mT6_T7_P12ihipStream_tbENKUlT_T0_E_clISt17integral_constantIbLb0EES13_IbLb1EEEEDaSZ_S10_EUlSZ_E_NS1_11comp_targetILNS1_3genE10ELNS1_11target_archE1200ELNS1_3gpuE4ELNS1_3repE0EEENS1_30default_config_static_selectorELNS0_4arch9wavefront6targetE0EEEvT1_
	.globl	_ZN7rocprim17ROCPRIM_400000_NS6detail17trampoline_kernelINS0_14default_configENS1_27scan_by_key_config_selectorIiiEEZZNS1_16scan_by_key_implILNS1_25lookback_scan_determinismE0ELb0ES3_N6thrust23THRUST_200600_302600_NS6detail15normal_iteratorINS9_10device_ptrIiEEEENS9_18transform_iteratorINS9_6negateIiEESE_NS9_11use_defaultESI_EESE_iNS9_4plusIvEENS9_8equal_toIvEEiEE10hipError_tPvRmT2_T3_T4_T5_mT6_T7_P12ihipStream_tbENKUlT_T0_E_clISt17integral_constantIbLb0EES13_IbLb1EEEEDaSZ_S10_EUlSZ_E_NS1_11comp_targetILNS1_3genE10ELNS1_11target_archE1200ELNS1_3gpuE4ELNS1_3repE0EEENS1_30default_config_static_selectorELNS0_4arch9wavefront6targetE0EEEvT1_
	.p2align	8
	.type	_ZN7rocprim17ROCPRIM_400000_NS6detail17trampoline_kernelINS0_14default_configENS1_27scan_by_key_config_selectorIiiEEZZNS1_16scan_by_key_implILNS1_25lookback_scan_determinismE0ELb0ES3_N6thrust23THRUST_200600_302600_NS6detail15normal_iteratorINS9_10device_ptrIiEEEENS9_18transform_iteratorINS9_6negateIiEESE_NS9_11use_defaultESI_EESE_iNS9_4plusIvEENS9_8equal_toIvEEiEE10hipError_tPvRmT2_T3_T4_T5_mT6_T7_P12ihipStream_tbENKUlT_T0_E_clISt17integral_constantIbLb0EES13_IbLb1EEEEDaSZ_S10_EUlSZ_E_NS1_11comp_targetILNS1_3genE10ELNS1_11target_archE1200ELNS1_3gpuE4ELNS1_3repE0EEENS1_30default_config_static_selectorELNS0_4arch9wavefront6targetE0EEEvT1_,@function
_ZN7rocprim17ROCPRIM_400000_NS6detail17trampoline_kernelINS0_14default_configENS1_27scan_by_key_config_selectorIiiEEZZNS1_16scan_by_key_implILNS1_25lookback_scan_determinismE0ELb0ES3_N6thrust23THRUST_200600_302600_NS6detail15normal_iteratorINS9_10device_ptrIiEEEENS9_18transform_iteratorINS9_6negateIiEESE_NS9_11use_defaultESI_EESE_iNS9_4plusIvEENS9_8equal_toIvEEiEE10hipError_tPvRmT2_T3_T4_T5_mT6_T7_P12ihipStream_tbENKUlT_T0_E_clISt17integral_constantIbLb0EES13_IbLb1EEEEDaSZ_S10_EUlSZ_E_NS1_11comp_targetILNS1_3genE10ELNS1_11target_archE1200ELNS1_3gpuE4ELNS1_3repE0EEENS1_30default_config_static_selectorELNS0_4arch9wavefront6targetE0EEEvT1_: ; @_ZN7rocprim17ROCPRIM_400000_NS6detail17trampoline_kernelINS0_14default_configENS1_27scan_by_key_config_selectorIiiEEZZNS1_16scan_by_key_implILNS1_25lookback_scan_determinismE0ELb0ES3_N6thrust23THRUST_200600_302600_NS6detail15normal_iteratorINS9_10device_ptrIiEEEENS9_18transform_iteratorINS9_6negateIiEESE_NS9_11use_defaultESI_EESE_iNS9_4plusIvEENS9_8equal_toIvEEiEE10hipError_tPvRmT2_T3_T4_T5_mT6_T7_P12ihipStream_tbENKUlT_T0_E_clISt17integral_constantIbLb0EES13_IbLb1EEEEDaSZ_S10_EUlSZ_E_NS1_11comp_targetILNS1_3genE10ELNS1_11target_archE1200ELNS1_3gpuE4ELNS1_3repE0EEENS1_30default_config_static_selectorELNS0_4arch9wavefront6targetE0EEEvT1_
; %bb.0:
	.section	.rodata,"a",@progbits
	.p2align	6, 0x0
	.amdhsa_kernel _ZN7rocprim17ROCPRIM_400000_NS6detail17trampoline_kernelINS0_14default_configENS1_27scan_by_key_config_selectorIiiEEZZNS1_16scan_by_key_implILNS1_25lookback_scan_determinismE0ELb0ES3_N6thrust23THRUST_200600_302600_NS6detail15normal_iteratorINS9_10device_ptrIiEEEENS9_18transform_iteratorINS9_6negateIiEESE_NS9_11use_defaultESI_EESE_iNS9_4plusIvEENS9_8equal_toIvEEiEE10hipError_tPvRmT2_T3_T4_T5_mT6_T7_P12ihipStream_tbENKUlT_T0_E_clISt17integral_constantIbLb0EES13_IbLb1EEEEDaSZ_S10_EUlSZ_E_NS1_11comp_targetILNS1_3genE10ELNS1_11target_archE1200ELNS1_3gpuE4ELNS1_3repE0EEENS1_30default_config_static_selectorELNS0_4arch9wavefront6targetE0EEEvT1_
		.amdhsa_group_segment_fixed_size 0
		.amdhsa_private_segment_fixed_size 0
		.amdhsa_kernarg_size 120
		.amdhsa_user_sgpr_count 6
		.amdhsa_user_sgpr_private_segment_buffer 1
		.amdhsa_user_sgpr_dispatch_ptr 0
		.amdhsa_user_sgpr_queue_ptr 0
		.amdhsa_user_sgpr_kernarg_segment_ptr 1
		.amdhsa_user_sgpr_dispatch_id 0
		.amdhsa_user_sgpr_flat_scratch_init 0
		.amdhsa_user_sgpr_private_segment_size 0
		.amdhsa_wavefront_size32 1
		.amdhsa_uses_dynamic_stack 0
		.amdhsa_system_sgpr_private_segment_wavefront_offset 0
		.amdhsa_system_sgpr_workgroup_id_x 1
		.amdhsa_system_sgpr_workgroup_id_y 0
		.amdhsa_system_sgpr_workgroup_id_z 0
		.amdhsa_system_sgpr_workgroup_info 0
		.amdhsa_system_vgpr_workitem_id 0
		.amdhsa_next_free_vgpr 1
		.amdhsa_next_free_sgpr 1
		.amdhsa_reserve_vcc 0
		.amdhsa_reserve_flat_scratch 0
		.amdhsa_float_round_mode_32 0
		.amdhsa_float_round_mode_16_64 0
		.amdhsa_float_denorm_mode_32 3
		.amdhsa_float_denorm_mode_16_64 3
		.amdhsa_dx10_clamp 1
		.amdhsa_ieee_mode 1
		.amdhsa_fp16_overflow 0
		.amdhsa_workgroup_processor_mode 1
		.amdhsa_memory_ordered 1
		.amdhsa_forward_progress 1
		.amdhsa_shared_vgpr_count 0
		.amdhsa_exception_fp_ieee_invalid_op 0
		.amdhsa_exception_fp_denorm_src 0
		.amdhsa_exception_fp_ieee_div_zero 0
		.amdhsa_exception_fp_ieee_overflow 0
		.amdhsa_exception_fp_ieee_underflow 0
		.amdhsa_exception_fp_ieee_inexact 0
		.amdhsa_exception_int_div_zero 0
	.end_amdhsa_kernel
	.section	.text._ZN7rocprim17ROCPRIM_400000_NS6detail17trampoline_kernelINS0_14default_configENS1_27scan_by_key_config_selectorIiiEEZZNS1_16scan_by_key_implILNS1_25lookback_scan_determinismE0ELb0ES3_N6thrust23THRUST_200600_302600_NS6detail15normal_iteratorINS9_10device_ptrIiEEEENS9_18transform_iteratorINS9_6negateIiEESE_NS9_11use_defaultESI_EESE_iNS9_4plusIvEENS9_8equal_toIvEEiEE10hipError_tPvRmT2_T3_T4_T5_mT6_T7_P12ihipStream_tbENKUlT_T0_E_clISt17integral_constantIbLb0EES13_IbLb1EEEEDaSZ_S10_EUlSZ_E_NS1_11comp_targetILNS1_3genE10ELNS1_11target_archE1200ELNS1_3gpuE4ELNS1_3repE0EEENS1_30default_config_static_selectorELNS0_4arch9wavefront6targetE0EEEvT1_,"axG",@progbits,_ZN7rocprim17ROCPRIM_400000_NS6detail17trampoline_kernelINS0_14default_configENS1_27scan_by_key_config_selectorIiiEEZZNS1_16scan_by_key_implILNS1_25lookback_scan_determinismE0ELb0ES3_N6thrust23THRUST_200600_302600_NS6detail15normal_iteratorINS9_10device_ptrIiEEEENS9_18transform_iteratorINS9_6negateIiEESE_NS9_11use_defaultESI_EESE_iNS9_4plusIvEENS9_8equal_toIvEEiEE10hipError_tPvRmT2_T3_T4_T5_mT6_T7_P12ihipStream_tbENKUlT_T0_E_clISt17integral_constantIbLb0EES13_IbLb1EEEEDaSZ_S10_EUlSZ_E_NS1_11comp_targetILNS1_3genE10ELNS1_11target_archE1200ELNS1_3gpuE4ELNS1_3repE0EEENS1_30default_config_static_selectorELNS0_4arch9wavefront6targetE0EEEvT1_,comdat
.Lfunc_end962:
	.size	_ZN7rocprim17ROCPRIM_400000_NS6detail17trampoline_kernelINS0_14default_configENS1_27scan_by_key_config_selectorIiiEEZZNS1_16scan_by_key_implILNS1_25lookback_scan_determinismE0ELb0ES3_N6thrust23THRUST_200600_302600_NS6detail15normal_iteratorINS9_10device_ptrIiEEEENS9_18transform_iteratorINS9_6negateIiEESE_NS9_11use_defaultESI_EESE_iNS9_4plusIvEENS9_8equal_toIvEEiEE10hipError_tPvRmT2_T3_T4_T5_mT6_T7_P12ihipStream_tbENKUlT_T0_E_clISt17integral_constantIbLb0EES13_IbLb1EEEEDaSZ_S10_EUlSZ_E_NS1_11comp_targetILNS1_3genE10ELNS1_11target_archE1200ELNS1_3gpuE4ELNS1_3repE0EEENS1_30default_config_static_selectorELNS0_4arch9wavefront6targetE0EEEvT1_, .Lfunc_end962-_ZN7rocprim17ROCPRIM_400000_NS6detail17trampoline_kernelINS0_14default_configENS1_27scan_by_key_config_selectorIiiEEZZNS1_16scan_by_key_implILNS1_25lookback_scan_determinismE0ELb0ES3_N6thrust23THRUST_200600_302600_NS6detail15normal_iteratorINS9_10device_ptrIiEEEENS9_18transform_iteratorINS9_6negateIiEESE_NS9_11use_defaultESI_EESE_iNS9_4plusIvEENS9_8equal_toIvEEiEE10hipError_tPvRmT2_T3_T4_T5_mT6_T7_P12ihipStream_tbENKUlT_T0_E_clISt17integral_constantIbLb0EES13_IbLb1EEEEDaSZ_S10_EUlSZ_E_NS1_11comp_targetILNS1_3genE10ELNS1_11target_archE1200ELNS1_3gpuE4ELNS1_3repE0EEENS1_30default_config_static_selectorELNS0_4arch9wavefront6targetE0EEEvT1_
                                        ; -- End function
	.set _ZN7rocprim17ROCPRIM_400000_NS6detail17trampoline_kernelINS0_14default_configENS1_27scan_by_key_config_selectorIiiEEZZNS1_16scan_by_key_implILNS1_25lookback_scan_determinismE0ELb0ES3_N6thrust23THRUST_200600_302600_NS6detail15normal_iteratorINS9_10device_ptrIiEEEENS9_18transform_iteratorINS9_6negateIiEESE_NS9_11use_defaultESI_EESE_iNS9_4plusIvEENS9_8equal_toIvEEiEE10hipError_tPvRmT2_T3_T4_T5_mT6_T7_P12ihipStream_tbENKUlT_T0_E_clISt17integral_constantIbLb0EES13_IbLb1EEEEDaSZ_S10_EUlSZ_E_NS1_11comp_targetILNS1_3genE10ELNS1_11target_archE1200ELNS1_3gpuE4ELNS1_3repE0EEENS1_30default_config_static_selectorELNS0_4arch9wavefront6targetE0EEEvT1_.num_vgpr, 0
	.set _ZN7rocprim17ROCPRIM_400000_NS6detail17trampoline_kernelINS0_14default_configENS1_27scan_by_key_config_selectorIiiEEZZNS1_16scan_by_key_implILNS1_25lookback_scan_determinismE0ELb0ES3_N6thrust23THRUST_200600_302600_NS6detail15normal_iteratorINS9_10device_ptrIiEEEENS9_18transform_iteratorINS9_6negateIiEESE_NS9_11use_defaultESI_EESE_iNS9_4plusIvEENS9_8equal_toIvEEiEE10hipError_tPvRmT2_T3_T4_T5_mT6_T7_P12ihipStream_tbENKUlT_T0_E_clISt17integral_constantIbLb0EES13_IbLb1EEEEDaSZ_S10_EUlSZ_E_NS1_11comp_targetILNS1_3genE10ELNS1_11target_archE1200ELNS1_3gpuE4ELNS1_3repE0EEENS1_30default_config_static_selectorELNS0_4arch9wavefront6targetE0EEEvT1_.num_agpr, 0
	.set _ZN7rocprim17ROCPRIM_400000_NS6detail17trampoline_kernelINS0_14default_configENS1_27scan_by_key_config_selectorIiiEEZZNS1_16scan_by_key_implILNS1_25lookback_scan_determinismE0ELb0ES3_N6thrust23THRUST_200600_302600_NS6detail15normal_iteratorINS9_10device_ptrIiEEEENS9_18transform_iteratorINS9_6negateIiEESE_NS9_11use_defaultESI_EESE_iNS9_4plusIvEENS9_8equal_toIvEEiEE10hipError_tPvRmT2_T3_T4_T5_mT6_T7_P12ihipStream_tbENKUlT_T0_E_clISt17integral_constantIbLb0EES13_IbLb1EEEEDaSZ_S10_EUlSZ_E_NS1_11comp_targetILNS1_3genE10ELNS1_11target_archE1200ELNS1_3gpuE4ELNS1_3repE0EEENS1_30default_config_static_selectorELNS0_4arch9wavefront6targetE0EEEvT1_.numbered_sgpr, 0
	.set _ZN7rocprim17ROCPRIM_400000_NS6detail17trampoline_kernelINS0_14default_configENS1_27scan_by_key_config_selectorIiiEEZZNS1_16scan_by_key_implILNS1_25lookback_scan_determinismE0ELb0ES3_N6thrust23THRUST_200600_302600_NS6detail15normal_iteratorINS9_10device_ptrIiEEEENS9_18transform_iteratorINS9_6negateIiEESE_NS9_11use_defaultESI_EESE_iNS9_4plusIvEENS9_8equal_toIvEEiEE10hipError_tPvRmT2_T3_T4_T5_mT6_T7_P12ihipStream_tbENKUlT_T0_E_clISt17integral_constantIbLb0EES13_IbLb1EEEEDaSZ_S10_EUlSZ_E_NS1_11comp_targetILNS1_3genE10ELNS1_11target_archE1200ELNS1_3gpuE4ELNS1_3repE0EEENS1_30default_config_static_selectorELNS0_4arch9wavefront6targetE0EEEvT1_.num_named_barrier, 0
	.set _ZN7rocprim17ROCPRIM_400000_NS6detail17trampoline_kernelINS0_14default_configENS1_27scan_by_key_config_selectorIiiEEZZNS1_16scan_by_key_implILNS1_25lookback_scan_determinismE0ELb0ES3_N6thrust23THRUST_200600_302600_NS6detail15normal_iteratorINS9_10device_ptrIiEEEENS9_18transform_iteratorINS9_6negateIiEESE_NS9_11use_defaultESI_EESE_iNS9_4plusIvEENS9_8equal_toIvEEiEE10hipError_tPvRmT2_T3_T4_T5_mT6_T7_P12ihipStream_tbENKUlT_T0_E_clISt17integral_constantIbLb0EES13_IbLb1EEEEDaSZ_S10_EUlSZ_E_NS1_11comp_targetILNS1_3genE10ELNS1_11target_archE1200ELNS1_3gpuE4ELNS1_3repE0EEENS1_30default_config_static_selectorELNS0_4arch9wavefront6targetE0EEEvT1_.private_seg_size, 0
	.set _ZN7rocprim17ROCPRIM_400000_NS6detail17trampoline_kernelINS0_14default_configENS1_27scan_by_key_config_selectorIiiEEZZNS1_16scan_by_key_implILNS1_25lookback_scan_determinismE0ELb0ES3_N6thrust23THRUST_200600_302600_NS6detail15normal_iteratorINS9_10device_ptrIiEEEENS9_18transform_iteratorINS9_6negateIiEESE_NS9_11use_defaultESI_EESE_iNS9_4plusIvEENS9_8equal_toIvEEiEE10hipError_tPvRmT2_T3_T4_T5_mT6_T7_P12ihipStream_tbENKUlT_T0_E_clISt17integral_constantIbLb0EES13_IbLb1EEEEDaSZ_S10_EUlSZ_E_NS1_11comp_targetILNS1_3genE10ELNS1_11target_archE1200ELNS1_3gpuE4ELNS1_3repE0EEENS1_30default_config_static_selectorELNS0_4arch9wavefront6targetE0EEEvT1_.uses_vcc, 0
	.set _ZN7rocprim17ROCPRIM_400000_NS6detail17trampoline_kernelINS0_14default_configENS1_27scan_by_key_config_selectorIiiEEZZNS1_16scan_by_key_implILNS1_25lookback_scan_determinismE0ELb0ES3_N6thrust23THRUST_200600_302600_NS6detail15normal_iteratorINS9_10device_ptrIiEEEENS9_18transform_iteratorINS9_6negateIiEESE_NS9_11use_defaultESI_EESE_iNS9_4plusIvEENS9_8equal_toIvEEiEE10hipError_tPvRmT2_T3_T4_T5_mT6_T7_P12ihipStream_tbENKUlT_T0_E_clISt17integral_constantIbLb0EES13_IbLb1EEEEDaSZ_S10_EUlSZ_E_NS1_11comp_targetILNS1_3genE10ELNS1_11target_archE1200ELNS1_3gpuE4ELNS1_3repE0EEENS1_30default_config_static_selectorELNS0_4arch9wavefront6targetE0EEEvT1_.uses_flat_scratch, 0
	.set _ZN7rocprim17ROCPRIM_400000_NS6detail17trampoline_kernelINS0_14default_configENS1_27scan_by_key_config_selectorIiiEEZZNS1_16scan_by_key_implILNS1_25lookback_scan_determinismE0ELb0ES3_N6thrust23THRUST_200600_302600_NS6detail15normal_iteratorINS9_10device_ptrIiEEEENS9_18transform_iteratorINS9_6negateIiEESE_NS9_11use_defaultESI_EESE_iNS9_4plusIvEENS9_8equal_toIvEEiEE10hipError_tPvRmT2_T3_T4_T5_mT6_T7_P12ihipStream_tbENKUlT_T0_E_clISt17integral_constantIbLb0EES13_IbLb1EEEEDaSZ_S10_EUlSZ_E_NS1_11comp_targetILNS1_3genE10ELNS1_11target_archE1200ELNS1_3gpuE4ELNS1_3repE0EEENS1_30default_config_static_selectorELNS0_4arch9wavefront6targetE0EEEvT1_.has_dyn_sized_stack, 0
	.set _ZN7rocprim17ROCPRIM_400000_NS6detail17trampoline_kernelINS0_14default_configENS1_27scan_by_key_config_selectorIiiEEZZNS1_16scan_by_key_implILNS1_25lookback_scan_determinismE0ELb0ES3_N6thrust23THRUST_200600_302600_NS6detail15normal_iteratorINS9_10device_ptrIiEEEENS9_18transform_iteratorINS9_6negateIiEESE_NS9_11use_defaultESI_EESE_iNS9_4plusIvEENS9_8equal_toIvEEiEE10hipError_tPvRmT2_T3_T4_T5_mT6_T7_P12ihipStream_tbENKUlT_T0_E_clISt17integral_constantIbLb0EES13_IbLb1EEEEDaSZ_S10_EUlSZ_E_NS1_11comp_targetILNS1_3genE10ELNS1_11target_archE1200ELNS1_3gpuE4ELNS1_3repE0EEENS1_30default_config_static_selectorELNS0_4arch9wavefront6targetE0EEEvT1_.has_recursion, 0
	.set _ZN7rocprim17ROCPRIM_400000_NS6detail17trampoline_kernelINS0_14default_configENS1_27scan_by_key_config_selectorIiiEEZZNS1_16scan_by_key_implILNS1_25lookback_scan_determinismE0ELb0ES3_N6thrust23THRUST_200600_302600_NS6detail15normal_iteratorINS9_10device_ptrIiEEEENS9_18transform_iteratorINS9_6negateIiEESE_NS9_11use_defaultESI_EESE_iNS9_4plusIvEENS9_8equal_toIvEEiEE10hipError_tPvRmT2_T3_T4_T5_mT6_T7_P12ihipStream_tbENKUlT_T0_E_clISt17integral_constantIbLb0EES13_IbLb1EEEEDaSZ_S10_EUlSZ_E_NS1_11comp_targetILNS1_3genE10ELNS1_11target_archE1200ELNS1_3gpuE4ELNS1_3repE0EEENS1_30default_config_static_selectorELNS0_4arch9wavefront6targetE0EEEvT1_.has_indirect_call, 0
	.section	.AMDGPU.csdata,"",@progbits
; Kernel info:
; codeLenInByte = 0
; TotalNumSgprs: 0
; NumVgprs: 0
; ScratchSize: 0
; MemoryBound: 0
; FloatMode: 240
; IeeeMode: 1
; LDSByteSize: 0 bytes/workgroup (compile time only)
; SGPRBlocks: 0
; VGPRBlocks: 0
; NumSGPRsForWavesPerEU: 1
; NumVGPRsForWavesPerEU: 1
; Occupancy: 16
; WaveLimiterHint : 0
; COMPUTE_PGM_RSRC2:SCRATCH_EN: 0
; COMPUTE_PGM_RSRC2:USER_SGPR: 6
; COMPUTE_PGM_RSRC2:TRAP_HANDLER: 0
; COMPUTE_PGM_RSRC2:TGID_X_EN: 1
; COMPUTE_PGM_RSRC2:TGID_Y_EN: 0
; COMPUTE_PGM_RSRC2:TGID_Z_EN: 0
; COMPUTE_PGM_RSRC2:TIDIG_COMP_CNT: 0
	.section	.text._ZN7rocprim17ROCPRIM_400000_NS6detail17trampoline_kernelINS0_14default_configENS1_27scan_by_key_config_selectorIiiEEZZNS1_16scan_by_key_implILNS1_25lookback_scan_determinismE0ELb0ES3_N6thrust23THRUST_200600_302600_NS6detail15normal_iteratorINS9_10device_ptrIiEEEENS9_18transform_iteratorINS9_6negateIiEESE_NS9_11use_defaultESI_EESE_iNS9_4plusIvEENS9_8equal_toIvEEiEE10hipError_tPvRmT2_T3_T4_T5_mT6_T7_P12ihipStream_tbENKUlT_T0_E_clISt17integral_constantIbLb0EES13_IbLb1EEEEDaSZ_S10_EUlSZ_E_NS1_11comp_targetILNS1_3genE9ELNS1_11target_archE1100ELNS1_3gpuE3ELNS1_3repE0EEENS1_30default_config_static_selectorELNS0_4arch9wavefront6targetE0EEEvT1_,"axG",@progbits,_ZN7rocprim17ROCPRIM_400000_NS6detail17trampoline_kernelINS0_14default_configENS1_27scan_by_key_config_selectorIiiEEZZNS1_16scan_by_key_implILNS1_25lookback_scan_determinismE0ELb0ES3_N6thrust23THRUST_200600_302600_NS6detail15normal_iteratorINS9_10device_ptrIiEEEENS9_18transform_iteratorINS9_6negateIiEESE_NS9_11use_defaultESI_EESE_iNS9_4plusIvEENS9_8equal_toIvEEiEE10hipError_tPvRmT2_T3_T4_T5_mT6_T7_P12ihipStream_tbENKUlT_T0_E_clISt17integral_constantIbLb0EES13_IbLb1EEEEDaSZ_S10_EUlSZ_E_NS1_11comp_targetILNS1_3genE9ELNS1_11target_archE1100ELNS1_3gpuE3ELNS1_3repE0EEENS1_30default_config_static_selectorELNS0_4arch9wavefront6targetE0EEEvT1_,comdat
	.protected	_ZN7rocprim17ROCPRIM_400000_NS6detail17trampoline_kernelINS0_14default_configENS1_27scan_by_key_config_selectorIiiEEZZNS1_16scan_by_key_implILNS1_25lookback_scan_determinismE0ELb0ES3_N6thrust23THRUST_200600_302600_NS6detail15normal_iteratorINS9_10device_ptrIiEEEENS9_18transform_iteratorINS9_6negateIiEESE_NS9_11use_defaultESI_EESE_iNS9_4plusIvEENS9_8equal_toIvEEiEE10hipError_tPvRmT2_T3_T4_T5_mT6_T7_P12ihipStream_tbENKUlT_T0_E_clISt17integral_constantIbLb0EES13_IbLb1EEEEDaSZ_S10_EUlSZ_E_NS1_11comp_targetILNS1_3genE9ELNS1_11target_archE1100ELNS1_3gpuE3ELNS1_3repE0EEENS1_30default_config_static_selectorELNS0_4arch9wavefront6targetE0EEEvT1_ ; -- Begin function _ZN7rocprim17ROCPRIM_400000_NS6detail17trampoline_kernelINS0_14default_configENS1_27scan_by_key_config_selectorIiiEEZZNS1_16scan_by_key_implILNS1_25lookback_scan_determinismE0ELb0ES3_N6thrust23THRUST_200600_302600_NS6detail15normal_iteratorINS9_10device_ptrIiEEEENS9_18transform_iteratorINS9_6negateIiEESE_NS9_11use_defaultESI_EESE_iNS9_4plusIvEENS9_8equal_toIvEEiEE10hipError_tPvRmT2_T3_T4_T5_mT6_T7_P12ihipStream_tbENKUlT_T0_E_clISt17integral_constantIbLb0EES13_IbLb1EEEEDaSZ_S10_EUlSZ_E_NS1_11comp_targetILNS1_3genE9ELNS1_11target_archE1100ELNS1_3gpuE3ELNS1_3repE0EEENS1_30default_config_static_selectorELNS0_4arch9wavefront6targetE0EEEvT1_
	.globl	_ZN7rocprim17ROCPRIM_400000_NS6detail17trampoline_kernelINS0_14default_configENS1_27scan_by_key_config_selectorIiiEEZZNS1_16scan_by_key_implILNS1_25lookback_scan_determinismE0ELb0ES3_N6thrust23THRUST_200600_302600_NS6detail15normal_iteratorINS9_10device_ptrIiEEEENS9_18transform_iteratorINS9_6negateIiEESE_NS9_11use_defaultESI_EESE_iNS9_4plusIvEENS9_8equal_toIvEEiEE10hipError_tPvRmT2_T3_T4_T5_mT6_T7_P12ihipStream_tbENKUlT_T0_E_clISt17integral_constantIbLb0EES13_IbLb1EEEEDaSZ_S10_EUlSZ_E_NS1_11comp_targetILNS1_3genE9ELNS1_11target_archE1100ELNS1_3gpuE3ELNS1_3repE0EEENS1_30default_config_static_selectorELNS0_4arch9wavefront6targetE0EEEvT1_
	.p2align	8
	.type	_ZN7rocprim17ROCPRIM_400000_NS6detail17trampoline_kernelINS0_14default_configENS1_27scan_by_key_config_selectorIiiEEZZNS1_16scan_by_key_implILNS1_25lookback_scan_determinismE0ELb0ES3_N6thrust23THRUST_200600_302600_NS6detail15normal_iteratorINS9_10device_ptrIiEEEENS9_18transform_iteratorINS9_6negateIiEESE_NS9_11use_defaultESI_EESE_iNS9_4plusIvEENS9_8equal_toIvEEiEE10hipError_tPvRmT2_T3_T4_T5_mT6_T7_P12ihipStream_tbENKUlT_T0_E_clISt17integral_constantIbLb0EES13_IbLb1EEEEDaSZ_S10_EUlSZ_E_NS1_11comp_targetILNS1_3genE9ELNS1_11target_archE1100ELNS1_3gpuE3ELNS1_3repE0EEENS1_30default_config_static_selectorELNS0_4arch9wavefront6targetE0EEEvT1_,@function
_ZN7rocprim17ROCPRIM_400000_NS6detail17trampoline_kernelINS0_14default_configENS1_27scan_by_key_config_selectorIiiEEZZNS1_16scan_by_key_implILNS1_25lookback_scan_determinismE0ELb0ES3_N6thrust23THRUST_200600_302600_NS6detail15normal_iteratorINS9_10device_ptrIiEEEENS9_18transform_iteratorINS9_6negateIiEESE_NS9_11use_defaultESI_EESE_iNS9_4plusIvEENS9_8equal_toIvEEiEE10hipError_tPvRmT2_T3_T4_T5_mT6_T7_P12ihipStream_tbENKUlT_T0_E_clISt17integral_constantIbLb0EES13_IbLb1EEEEDaSZ_S10_EUlSZ_E_NS1_11comp_targetILNS1_3genE9ELNS1_11target_archE1100ELNS1_3gpuE3ELNS1_3repE0EEENS1_30default_config_static_selectorELNS0_4arch9wavefront6targetE0EEEvT1_: ; @_ZN7rocprim17ROCPRIM_400000_NS6detail17trampoline_kernelINS0_14default_configENS1_27scan_by_key_config_selectorIiiEEZZNS1_16scan_by_key_implILNS1_25lookback_scan_determinismE0ELb0ES3_N6thrust23THRUST_200600_302600_NS6detail15normal_iteratorINS9_10device_ptrIiEEEENS9_18transform_iteratorINS9_6negateIiEESE_NS9_11use_defaultESI_EESE_iNS9_4plusIvEENS9_8equal_toIvEEiEE10hipError_tPvRmT2_T3_T4_T5_mT6_T7_P12ihipStream_tbENKUlT_T0_E_clISt17integral_constantIbLb0EES13_IbLb1EEEEDaSZ_S10_EUlSZ_E_NS1_11comp_targetILNS1_3genE9ELNS1_11target_archE1100ELNS1_3gpuE3ELNS1_3repE0EEENS1_30default_config_static_selectorELNS0_4arch9wavefront6targetE0EEEvT1_
; %bb.0:
	.section	.rodata,"a",@progbits
	.p2align	6, 0x0
	.amdhsa_kernel _ZN7rocprim17ROCPRIM_400000_NS6detail17trampoline_kernelINS0_14default_configENS1_27scan_by_key_config_selectorIiiEEZZNS1_16scan_by_key_implILNS1_25lookback_scan_determinismE0ELb0ES3_N6thrust23THRUST_200600_302600_NS6detail15normal_iteratorINS9_10device_ptrIiEEEENS9_18transform_iteratorINS9_6negateIiEESE_NS9_11use_defaultESI_EESE_iNS9_4plusIvEENS9_8equal_toIvEEiEE10hipError_tPvRmT2_T3_T4_T5_mT6_T7_P12ihipStream_tbENKUlT_T0_E_clISt17integral_constantIbLb0EES13_IbLb1EEEEDaSZ_S10_EUlSZ_E_NS1_11comp_targetILNS1_3genE9ELNS1_11target_archE1100ELNS1_3gpuE3ELNS1_3repE0EEENS1_30default_config_static_selectorELNS0_4arch9wavefront6targetE0EEEvT1_
		.amdhsa_group_segment_fixed_size 0
		.amdhsa_private_segment_fixed_size 0
		.amdhsa_kernarg_size 120
		.amdhsa_user_sgpr_count 6
		.amdhsa_user_sgpr_private_segment_buffer 1
		.amdhsa_user_sgpr_dispatch_ptr 0
		.amdhsa_user_sgpr_queue_ptr 0
		.amdhsa_user_sgpr_kernarg_segment_ptr 1
		.amdhsa_user_sgpr_dispatch_id 0
		.amdhsa_user_sgpr_flat_scratch_init 0
		.amdhsa_user_sgpr_private_segment_size 0
		.amdhsa_wavefront_size32 1
		.amdhsa_uses_dynamic_stack 0
		.amdhsa_system_sgpr_private_segment_wavefront_offset 0
		.amdhsa_system_sgpr_workgroup_id_x 1
		.amdhsa_system_sgpr_workgroup_id_y 0
		.amdhsa_system_sgpr_workgroup_id_z 0
		.amdhsa_system_sgpr_workgroup_info 0
		.amdhsa_system_vgpr_workitem_id 0
		.amdhsa_next_free_vgpr 1
		.amdhsa_next_free_sgpr 1
		.amdhsa_reserve_vcc 0
		.amdhsa_reserve_flat_scratch 0
		.amdhsa_float_round_mode_32 0
		.amdhsa_float_round_mode_16_64 0
		.amdhsa_float_denorm_mode_32 3
		.amdhsa_float_denorm_mode_16_64 3
		.amdhsa_dx10_clamp 1
		.amdhsa_ieee_mode 1
		.amdhsa_fp16_overflow 0
		.amdhsa_workgroup_processor_mode 1
		.amdhsa_memory_ordered 1
		.amdhsa_forward_progress 1
		.amdhsa_shared_vgpr_count 0
		.amdhsa_exception_fp_ieee_invalid_op 0
		.amdhsa_exception_fp_denorm_src 0
		.amdhsa_exception_fp_ieee_div_zero 0
		.amdhsa_exception_fp_ieee_overflow 0
		.amdhsa_exception_fp_ieee_underflow 0
		.amdhsa_exception_fp_ieee_inexact 0
		.amdhsa_exception_int_div_zero 0
	.end_amdhsa_kernel
	.section	.text._ZN7rocprim17ROCPRIM_400000_NS6detail17trampoline_kernelINS0_14default_configENS1_27scan_by_key_config_selectorIiiEEZZNS1_16scan_by_key_implILNS1_25lookback_scan_determinismE0ELb0ES3_N6thrust23THRUST_200600_302600_NS6detail15normal_iteratorINS9_10device_ptrIiEEEENS9_18transform_iteratorINS9_6negateIiEESE_NS9_11use_defaultESI_EESE_iNS9_4plusIvEENS9_8equal_toIvEEiEE10hipError_tPvRmT2_T3_T4_T5_mT6_T7_P12ihipStream_tbENKUlT_T0_E_clISt17integral_constantIbLb0EES13_IbLb1EEEEDaSZ_S10_EUlSZ_E_NS1_11comp_targetILNS1_3genE9ELNS1_11target_archE1100ELNS1_3gpuE3ELNS1_3repE0EEENS1_30default_config_static_selectorELNS0_4arch9wavefront6targetE0EEEvT1_,"axG",@progbits,_ZN7rocprim17ROCPRIM_400000_NS6detail17trampoline_kernelINS0_14default_configENS1_27scan_by_key_config_selectorIiiEEZZNS1_16scan_by_key_implILNS1_25lookback_scan_determinismE0ELb0ES3_N6thrust23THRUST_200600_302600_NS6detail15normal_iteratorINS9_10device_ptrIiEEEENS9_18transform_iteratorINS9_6negateIiEESE_NS9_11use_defaultESI_EESE_iNS9_4plusIvEENS9_8equal_toIvEEiEE10hipError_tPvRmT2_T3_T4_T5_mT6_T7_P12ihipStream_tbENKUlT_T0_E_clISt17integral_constantIbLb0EES13_IbLb1EEEEDaSZ_S10_EUlSZ_E_NS1_11comp_targetILNS1_3genE9ELNS1_11target_archE1100ELNS1_3gpuE3ELNS1_3repE0EEENS1_30default_config_static_selectorELNS0_4arch9wavefront6targetE0EEEvT1_,comdat
.Lfunc_end963:
	.size	_ZN7rocprim17ROCPRIM_400000_NS6detail17trampoline_kernelINS0_14default_configENS1_27scan_by_key_config_selectorIiiEEZZNS1_16scan_by_key_implILNS1_25lookback_scan_determinismE0ELb0ES3_N6thrust23THRUST_200600_302600_NS6detail15normal_iteratorINS9_10device_ptrIiEEEENS9_18transform_iteratorINS9_6negateIiEESE_NS9_11use_defaultESI_EESE_iNS9_4plusIvEENS9_8equal_toIvEEiEE10hipError_tPvRmT2_T3_T4_T5_mT6_T7_P12ihipStream_tbENKUlT_T0_E_clISt17integral_constantIbLb0EES13_IbLb1EEEEDaSZ_S10_EUlSZ_E_NS1_11comp_targetILNS1_3genE9ELNS1_11target_archE1100ELNS1_3gpuE3ELNS1_3repE0EEENS1_30default_config_static_selectorELNS0_4arch9wavefront6targetE0EEEvT1_, .Lfunc_end963-_ZN7rocprim17ROCPRIM_400000_NS6detail17trampoline_kernelINS0_14default_configENS1_27scan_by_key_config_selectorIiiEEZZNS1_16scan_by_key_implILNS1_25lookback_scan_determinismE0ELb0ES3_N6thrust23THRUST_200600_302600_NS6detail15normal_iteratorINS9_10device_ptrIiEEEENS9_18transform_iteratorINS9_6negateIiEESE_NS9_11use_defaultESI_EESE_iNS9_4plusIvEENS9_8equal_toIvEEiEE10hipError_tPvRmT2_T3_T4_T5_mT6_T7_P12ihipStream_tbENKUlT_T0_E_clISt17integral_constantIbLb0EES13_IbLb1EEEEDaSZ_S10_EUlSZ_E_NS1_11comp_targetILNS1_3genE9ELNS1_11target_archE1100ELNS1_3gpuE3ELNS1_3repE0EEENS1_30default_config_static_selectorELNS0_4arch9wavefront6targetE0EEEvT1_
                                        ; -- End function
	.set _ZN7rocprim17ROCPRIM_400000_NS6detail17trampoline_kernelINS0_14default_configENS1_27scan_by_key_config_selectorIiiEEZZNS1_16scan_by_key_implILNS1_25lookback_scan_determinismE0ELb0ES3_N6thrust23THRUST_200600_302600_NS6detail15normal_iteratorINS9_10device_ptrIiEEEENS9_18transform_iteratorINS9_6negateIiEESE_NS9_11use_defaultESI_EESE_iNS9_4plusIvEENS9_8equal_toIvEEiEE10hipError_tPvRmT2_T3_T4_T5_mT6_T7_P12ihipStream_tbENKUlT_T0_E_clISt17integral_constantIbLb0EES13_IbLb1EEEEDaSZ_S10_EUlSZ_E_NS1_11comp_targetILNS1_3genE9ELNS1_11target_archE1100ELNS1_3gpuE3ELNS1_3repE0EEENS1_30default_config_static_selectorELNS0_4arch9wavefront6targetE0EEEvT1_.num_vgpr, 0
	.set _ZN7rocprim17ROCPRIM_400000_NS6detail17trampoline_kernelINS0_14default_configENS1_27scan_by_key_config_selectorIiiEEZZNS1_16scan_by_key_implILNS1_25lookback_scan_determinismE0ELb0ES3_N6thrust23THRUST_200600_302600_NS6detail15normal_iteratorINS9_10device_ptrIiEEEENS9_18transform_iteratorINS9_6negateIiEESE_NS9_11use_defaultESI_EESE_iNS9_4plusIvEENS9_8equal_toIvEEiEE10hipError_tPvRmT2_T3_T4_T5_mT6_T7_P12ihipStream_tbENKUlT_T0_E_clISt17integral_constantIbLb0EES13_IbLb1EEEEDaSZ_S10_EUlSZ_E_NS1_11comp_targetILNS1_3genE9ELNS1_11target_archE1100ELNS1_3gpuE3ELNS1_3repE0EEENS1_30default_config_static_selectorELNS0_4arch9wavefront6targetE0EEEvT1_.num_agpr, 0
	.set _ZN7rocprim17ROCPRIM_400000_NS6detail17trampoline_kernelINS0_14default_configENS1_27scan_by_key_config_selectorIiiEEZZNS1_16scan_by_key_implILNS1_25lookback_scan_determinismE0ELb0ES3_N6thrust23THRUST_200600_302600_NS6detail15normal_iteratorINS9_10device_ptrIiEEEENS9_18transform_iteratorINS9_6negateIiEESE_NS9_11use_defaultESI_EESE_iNS9_4plusIvEENS9_8equal_toIvEEiEE10hipError_tPvRmT2_T3_T4_T5_mT6_T7_P12ihipStream_tbENKUlT_T0_E_clISt17integral_constantIbLb0EES13_IbLb1EEEEDaSZ_S10_EUlSZ_E_NS1_11comp_targetILNS1_3genE9ELNS1_11target_archE1100ELNS1_3gpuE3ELNS1_3repE0EEENS1_30default_config_static_selectorELNS0_4arch9wavefront6targetE0EEEvT1_.numbered_sgpr, 0
	.set _ZN7rocprim17ROCPRIM_400000_NS6detail17trampoline_kernelINS0_14default_configENS1_27scan_by_key_config_selectorIiiEEZZNS1_16scan_by_key_implILNS1_25lookback_scan_determinismE0ELb0ES3_N6thrust23THRUST_200600_302600_NS6detail15normal_iteratorINS9_10device_ptrIiEEEENS9_18transform_iteratorINS9_6negateIiEESE_NS9_11use_defaultESI_EESE_iNS9_4plusIvEENS9_8equal_toIvEEiEE10hipError_tPvRmT2_T3_T4_T5_mT6_T7_P12ihipStream_tbENKUlT_T0_E_clISt17integral_constantIbLb0EES13_IbLb1EEEEDaSZ_S10_EUlSZ_E_NS1_11comp_targetILNS1_3genE9ELNS1_11target_archE1100ELNS1_3gpuE3ELNS1_3repE0EEENS1_30default_config_static_selectorELNS0_4arch9wavefront6targetE0EEEvT1_.num_named_barrier, 0
	.set _ZN7rocprim17ROCPRIM_400000_NS6detail17trampoline_kernelINS0_14default_configENS1_27scan_by_key_config_selectorIiiEEZZNS1_16scan_by_key_implILNS1_25lookback_scan_determinismE0ELb0ES3_N6thrust23THRUST_200600_302600_NS6detail15normal_iteratorINS9_10device_ptrIiEEEENS9_18transform_iteratorINS9_6negateIiEESE_NS9_11use_defaultESI_EESE_iNS9_4plusIvEENS9_8equal_toIvEEiEE10hipError_tPvRmT2_T3_T4_T5_mT6_T7_P12ihipStream_tbENKUlT_T0_E_clISt17integral_constantIbLb0EES13_IbLb1EEEEDaSZ_S10_EUlSZ_E_NS1_11comp_targetILNS1_3genE9ELNS1_11target_archE1100ELNS1_3gpuE3ELNS1_3repE0EEENS1_30default_config_static_selectorELNS0_4arch9wavefront6targetE0EEEvT1_.private_seg_size, 0
	.set _ZN7rocprim17ROCPRIM_400000_NS6detail17trampoline_kernelINS0_14default_configENS1_27scan_by_key_config_selectorIiiEEZZNS1_16scan_by_key_implILNS1_25lookback_scan_determinismE0ELb0ES3_N6thrust23THRUST_200600_302600_NS6detail15normal_iteratorINS9_10device_ptrIiEEEENS9_18transform_iteratorINS9_6negateIiEESE_NS9_11use_defaultESI_EESE_iNS9_4plusIvEENS9_8equal_toIvEEiEE10hipError_tPvRmT2_T3_T4_T5_mT6_T7_P12ihipStream_tbENKUlT_T0_E_clISt17integral_constantIbLb0EES13_IbLb1EEEEDaSZ_S10_EUlSZ_E_NS1_11comp_targetILNS1_3genE9ELNS1_11target_archE1100ELNS1_3gpuE3ELNS1_3repE0EEENS1_30default_config_static_selectorELNS0_4arch9wavefront6targetE0EEEvT1_.uses_vcc, 0
	.set _ZN7rocprim17ROCPRIM_400000_NS6detail17trampoline_kernelINS0_14default_configENS1_27scan_by_key_config_selectorIiiEEZZNS1_16scan_by_key_implILNS1_25lookback_scan_determinismE0ELb0ES3_N6thrust23THRUST_200600_302600_NS6detail15normal_iteratorINS9_10device_ptrIiEEEENS9_18transform_iteratorINS9_6negateIiEESE_NS9_11use_defaultESI_EESE_iNS9_4plusIvEENS9_8equal_toIvEEiEE10hipError_tPvRmT2_T3_T4_T5_mT6_T7_P12ihipStream_tbENKUlT_T0_E_clISt17integral_constantIbLb0EES13_IbLb1EEEEDaSZ_S10_EUlSZ_E_NS1_11comp_targetILNS1_3genE9ELNS1_11target_archE1100ELNS1_3gpuE3ELNS1_3repE0EEENS1_30default_config_static_selectorELNS0_4arch9wavefront6targetE0EEEvT1_.uses_flat_scratch, 0
	.set _ZN7rocprim17ROCPRIM_400000_NS6detail17trampoline_kernelINS0_14default_configENS1_27scan_by_key_config_selectorIiiEEZZNS1_16scan_by_key_implILNS1_25lookback_scan_determinismE0ELb0ES3_N6thrust23THRUST_200600_302600_NS6detail15normal_iteratorINS9_10device_ptrIiEEEENS9_18transform_iteratorINS9_6negateIiEESE_NS9_11use_defaultESI_EESE_iNS9_4plusIvEENS9_8equal_toIvEEiEE10hipError_tPvRmT2_T3_T4_T5_mT6_T7_P12ihipStream_tbENKUlT_T0_E_clISt17integral_constantIbLb0EES13_IbLb1EEEEDaSZ_S10_EUlSZ_E_NS1_11comp_targetILNS1_3genE9ELNS1_11target_archE1100ELNS1_3gpuE3ELNS1_3repE0EEENS1_30default_config_static_selectorELNS0_4arch9wavefront6targetE0EEEvT1_.has_dyn_sized_stack, 0
	.set _ZN7rocprim17ROCPRIM_400000_NS6detail17trampoline_kernelINS0_14default_configENS1_27scan_by_key_config_selectorIiiEEZZNS1_16scan_by_key_implILNS1_25lookback_scan_determinismE0ELb0ES3_N6thrust23THRUST_200600_302600_NS6detail15normal_iteratorINS9_10device_ptrIiEEEENS9_18transform_iteratorINS9_6negateIiEESE_NS9_11use_defaultESI_EESE_iNS9_4plusIvEENS9_8equal_toIvEEiEE10hipError_tPvRmT2_T3_T4_T5_mT6_T7_P12ihipStream_tbENKUlT_T0_E_clISt17integral_constantIbLb0EES13_IbLb1EEEEDaSZ_S10_EUlSZ_E_NS1_11comp_targetILNS1_3genE9ELNS1_11target_archE1100ELNS1_3gpuE3ELNS1_3repE0EEENS1_30default_config_static_selectorELNS0_4arch9wavefront6targetE0EEEvT1_.has_recursion, 0
	.set _ZN7rocprim17ROCPRIM_400000_NS6detail17trampoline_kernelINS0_14default_configENS1_27scan_by_key_config_selectorIiiEEZZNS1_16scan_by_key_implILNS1_25lookback_scan_determinismE0ELb0ES3_N6thrust23THRUST_200600_302600_NS6detail15normal_iteratorINS9_10device_ptrIiEEEENS9_18transform_iteratorINS9_6negateIiEESE_NS9_11use_defaultESI_EESE_iNS9_4plusIvEENS9_8equal_toIvEEiEE10hipError_tPvRmT2_T3_T4_T5_mT6_T7_P12ihipStream_tbENKUlT_T0_E_clISt17integral_constantIbLb0EES13_IbLb1EEEEDaSZ_S10_EUlSZ_E_NS1_11comp_targetILNS1_3genE9ELNS1_11target_archE1100ELNS1_3gpuE3ELNS1_3repE0EEENS1_30default_config_static_selectorELNS0_4arch9wavefront6targetE0EEEvT1_.has_indirect_call, 0
	.section	.AMDGPU.csdata,"",@progbits
; Kernel info:
; codeLenInByte = 0
; TotalNumSgprs: 0
; NumVgprs: 0
; ScratchSize: 0
; MemoryBound: 0
; FloatMode: 240
; IeeeMode: 1
; LDSByteSize: 0 bytes/workgroup (compile time only)
; SGPRBlocks: 0
; VGPRBlocks: 0
; NumSGPRsForWavesPerEU: 1
; NumVGPRsForWavesPerEU: 1
; Occupancy: 16
; WaveLimiterHint : 0
; COMPUTE_PGM_RSRC2:SCRATCH_EN: 0
; COMPUTE_PGM_RSRC2:USER_SGPR: 6
; COMPUTE_PGM_RSRC2:TRAP_HANDLER: 0
; COMPUTE_PGM_RSRC2:TGID_X_EN: 1
; COMPUTE_PGM_RSRC2:TGID_Y_EN: 0
; COMPUTE_PGM_RSRC2:TGID_Z_EN: 0
; COMPUTE_PGM_RSRC2:TIDIG_COMP_CNT: 0
	.section	.text._ZN7rocprim17ROCPRIM_400000_NS6detail17trampoline_kernelINS0_14default_configENS1_27scan_by_key_config_selectorIiiEEZZNS1_16scan_by_key_implILNS1_25lookback_scan_determinismE0ELb0ES3_N6thrust23THRUST_200600_302600_NS6detail15normal_iteratorINS9_10device_ptrIiEEEENS9_18transform_iteratorINS9_6negateIiEESE_NS9_11use_defaultESI_EESE_iNS9_4plusIvEENS9_8equal_toIvEEiEE10hipError_tPvRmT2_T3_T4_T5_mT6_T7_P12ihipStream_tbENKUlT_T0_E_clISt17integral_constantIbLb0EES13_IbLb1EEEEDaSZ_S10_EUlSZ_E_NS1_11comp_targetILNS1_3genE8ELNS1_11target_archE1030ELNS1_3gpuE2ELNS1_3repE0EEENS1_30default_config_static_selectorELNS0_4arch9wavefront6targetE0EEEvT1_,"axG",@progbits,_ZN7rocprim17ROCPRIM_400000_NS6detail17trampoline_kernelINS0_14default_configENS1_27scan_by_key_config_selectorIiiEEZZNS1_16scan_by_key_implILNS1_25lookback_scan_determinismE0ELb0ES3_N6thrust23THRUST_200600_302600_NS6detail15normal_iteratorINS9_10device_ptrIiEEEENS9_18transform_iteratorINS9_6negateIiEESE_NS9_11use_defaultESI_EESE_iNS9_4plusIvEENS9_8equal_toIvEEiEE10hipError_tPvRmT2_T3_T4_T5_mT6_T7_P12ihipStream_tbENKUlT_T0_E_clISt17integral_constantIbLb0EES13_IbLb1EEEEDaSZ_S10_EUlSZ_E_NS1_11comp_targetILNS1_3genE8ELNS1_11target_archE1030ELNS1_3gpuE2ELNS1_3repE0EEENS1_30default_config_static_selectorELNS0_4arch9wavefront6targetE0EEEvT1_,comdat
	.protected	_ZN7rocprim17ROCPRIM_400000_NS6detail17trampoline_kernelINS0_14default_configENS1_27scan_by_key_config_selectorIiiEEZZNS1_16scan_by_key_implILNS1_25lookback_scan_determinismE0ELb0ES3_N6thrust23THRUST_200600_302600_NS6detail15normal_iteratorINS9_10device_ptrIiEEEENS9_18transform_iteratorINS9_6negateIiEESE_NS9_11use_defaultESI_EESE_iNS9_4plusIvEENS9_8equal_toIvEEiEE10hipError_tPvRmT2_T3_T4_T5_mT6_T7_P12ihipStream_tbENKUlT_T0_E_clISt17integral_constantIbLb0EES13_IbLb1EEEEDaSZ_S10_EUlSZ_E_NS1_11comp_targetILNS1_3genE8ELNS1_11target_archE1030ELNS1_3gpuE2ELNS1_3repE0EEENS1_30default_config_static_selectorELNS0_4arch9wavefront6targetE0EEEvT1_ ; -- Begin function _ZN7rocprim17ROCPRIM_400000_NS6detail17trampoline_kernelINS0_14default_configENS1_27scan_by_key_config_selectorIiiEEZZNS1_16scan_by_key_implILNS1_25lookback_scan_determinismE0ELb0ES3_N6thrust23THRUST_200600_302600_NS6detail15normal_iteratorINS9_10device_ptrIiEEEENS9_18transform_iteratorINS9_6negateIiEESE_NS9_11use_defaultESI_EESE_iNS9_4plusIvEENS9_8equal_toIvEEiEE10hipError_tPvRmT2_T3_T4_T5_mT6_T7_P12ihipStream_tbENKUlT_T0_E_clISt17integral_constantIbLb0EES13_IbLb1EEEEDaSZ_S10_EUlSZ_E_NS1_11comp_targetILNS1_3genE8ELNS1_11target_archE1030ELNS1_3gpuE2ELNS1_3repE0EEENS1_30default_config_static_selectorELNS0_4arch9wavefront6targetE0EEEvT1_
	.globl	_ZN7rocprim17ROCPRIM_400000_NS6detail17trampoline_kernelINS0_14default_configENS1_27scan_by_key_config_selectorIiiEEZZNS1_16scan_by_key_implILNS1_25lookback_scan_determinismE0ELb0ES3_N6thrust23THRUST_200600_302600_NS6detail15normal_iteratorINS9_10device_ptrIiEEEENS9_18transform_iteratorINS9_6negateIiEESE_NS9_11use_defaultESI_EESE_iNS9_4plusIvEENS9_8equal_toIvEEiEE10hipError_tPvRmT2_T3_T4_T5_mT6_T7_P12ihipStream_tbENKUlT_T0_E_clISt17integral_constantIbLb0EES13_IbLb1EEEEDaSZ_S10_EUlSZ_E_NS1_11comp_targetILNS1_3genE8ELNS1_11target_archE1030ELNS1_3gpuE2ELNS1_3repE0EEENS1_30default_config_static_selectorELNS0_4arch9wavefront6targetE0EEEvT1_
	.p2align	8
	.type	_ZN7rocprim17ROCPRIM_400000_NS6detail17trampoline_kernelINS0_14default_configENS1_27scan_by_key_config_selectorIiiEEZZNS1_16scan_by_key_implILNS1_25lookback_scan_determinismE0ELb0ES3_N6thrust23THRUST_200600_302600_NS6detail15normal_iteratorINS9_10device_ptrIiEEEENS9_18transform_iteratorINS9_6negateIiEESE_NS9_11use_defaultESI_EESE_iNS9_4plusIvEENS9_8equal_toIvEEiEE10hipError_tPvRmT2_T3_T4_T5_mT6_T7_P12ihipStream_tbENKUlT_T0_E_clISt17integral_constantIbLb0EES13_IbLb1EEEEDaSZ_S10_EUlSZ_E_NS1_11comp_targetILNS1_3genE8ELNS1_11target_archE1030ELNS1_3gpuE2ELNS1_3repE0EEENS1_30default_config_static_selectorELNS0_4arch9wavefront6targetE0EEEvT1_,@function
_ZN7rocprim17ROCPRIM_400000_NS6detail17trampoline_kernelINS0_14default_configENS1_27scan_by_key_config_selectorIiiEEZZNS1_16scan_by_key_implILNS1_25lookback_scan_determinismE0ELb0ES3_N6thrust23THRUST_200600_302600_NS6detail15normal_iteratorINS9_10device_ptrIiEEEENS9_18transform_iteratorINS9_6negateIiEESE_NS9_11use_defaultESI_EESE_iNS9_4plusIvEENS9_8equal_toIvEEiEE10hipError_tPvRmT2_T3_T4_T5_mT6_T7_P12ihipStream_tbENKUlT_T0_E_clISt17integral_constantIbLb0EES13_IbLb1EEEEDaSZ_S10_EUlSZ_E_NS1_11comp_targetILNS1_3genE8ELNS1_11target_archE1030ELNS1_3gpuE2ELNS1_3repE0EEENS1_30default_config_static_selectorELNS0_4arch9wavefront6targetE0EEEvT1_: ; @_ZN7rocprim17ROCPRIM_400000_NS6detail17trampoline_kernelINS0_14default_configENS1_27scan_by_key_config_selectorIiiEEZZNS1_16scan_by_key_implILNS1_25lookback_scan_determinismE0ELb0ES3_N6thrust23THRUST_200600_302600_NS6detail15normal_iteratorINS9_10device_ptrIiEEEENS9_18transform_iteratorINS9_6negateIiEESE_NS9_11use_defaultESI_EESE_iNS9_4plusIvEENS9_8equal_toIvEEiEE10hipError_tPvRmT2_T3_T4_T5_mT6_T7_P12ihipStream_tbENKUlT_T0_E_clISt17integral_constantIbLb0EES13_IbLb1EEEEDaSZ_S10_EUlSZ_E_NS1_11comp_targetILNS1_3genE8ELNS1_11target_archE1030ELNS1_3gpuE2ELNS1_3repE0EEENS1_30default_config_static_selectorELNS0_4arch9wavefront6targetE0EEEvT1_
; %bb.0:
	s_clause 0x4
	s_load_dwordx4 s[16:19], s[4:5], 0x0
	s_load_dwordx2 s[2:3], s[4:5], 0x10
	s_load_dwordx2 s[20:21], s[4:5], 0x20
	s_load_dwordx4 s[12:15], s[4:5], 0x30
	s_load_dwordx2 s[22:23], s[4:5], 0x40
	v_cmp_ne_u32_e64 s1, 0, v0
	v_cmp_eq_u32_e64 s0, 0, v0
	s_and_saveexec_b32 s6, s0
	s_cbranch_execz .LBB964_4
; %bb.1:
	s_mov_b32 s8, exec_lo
	s_mov_b32 s7, exec_lo
	v_mbcnt_lo_u32_b32 v1, s8, 0
                                        ; implicit-def: $vgpr2
	v_cmpx_eq_u32_e32 0, v1
	s_cbranch_execz .LBB964_3
; %bb.2:
	s_load_dwordx2 s[10:11], s[4:5], 0x70
	s_bcnt1_i32_b32 s8, s8
	v_mov_b32_e32 v2, 0
	v_mov_b32_e32 v3, s8
	s_waitcnt lgkmcnt(0)
	global_atomic_add v2, v2, v3, s[10:11] glc
.LBB964_3:
	s_or_b32 exec_lo, exec_lo, s7
	s_waitcnt vmcnt(0)
	v_readfirstlane_b32 s7, v2
	v_mov_b32_e32 v2, 0
	v_add_nc_u32_e32 v1, s7, v1
	ds_write_b32 v2, v1
.LBB964_4:
	s_or_b32 exec_lo, exec_lo, s6
	v_mov_b32_e32 v1, 0
	s_waitcnt lgkmcnt(0)
	s_clause 0x1
	s_load_dword s15, s[4:5], 0x48
	s_load_dwordx8 s[4:11], s[4:5], 0x50
	s_waitcnt lgkmcnt(0)
	s_barrier
	buffer_gl0_inv
	ds_read_b32 v1, v1
	s_lshl_b64 s[18:19], s[18:19], 2
	s_waitcnt lgkmcnt(0)
	s_add_u32 s16, s16, s18
	s_addc_u32 s17, s17, s19
	s_add_u32 s26, s2, s18
	s_addc_u32 s27, s3, s19
	s_mov_b32 s3, 0
	s_barrier
	buffer_gl0_inv
	s_barrier
	buffer_gl0_inv
	s_mul_i32 s2, s23, s15
	s_mul_hi_u32 s24, s22, s15
	s_add_i32 s28, s24, s2
	s_cmp_lg_u64 s[8:9], 0
	v_readfirstlane_b32 s31, v1
	s_cselect_b32 s33, -1, 0
	s_mul_i32 s2, s31, 0x300
	s_lshl_b64 s[8:9], s[2:3], 2
	s_mul_i32 s2, s22, s15
	s_add_u32 s24, s16, s8
	s_addc_u32 s25, s17, s9
	s_add_u32 s16, s26, s8
	s_addc_u32 s17, s27, s9
	;; [unrolled: 2-line block ×3, first 2 shown]
	s_add_u32 s4, s4, -1
	s_addc_u32 s5, s5, -1
	s_mul_i32 s30, s4, 0xfffffd00
	v_cmp_ge_u64_e64 s15, s[26:27], s[4:5]
	s_and_b32 vcc_lo, exec_lo, s15
	s_cbranch_vccz .LBB964_26
; %bb.5:
	v_mov_b32_e32 v1, s24
	v_mov_b32_e32 v2, s25
	s_add_i32 s5, s30, s14
	v_cmp_gt_u32_e64 s2, s5, v0
	flat_load_dword v2, v[1:2]
	s_waitcnt vmcnt(0) lgkmcnt(0)
	v_mov_b32_e32 v3, v2
	s_and_saveexec_b32 s3, s2
	s_cbranch_execz .LBB964_7
; %bb.6:
	v_lshlrev_b32_e32 v1, 2, v0
	v_add_co_u32 v3, s4, s24, v1
	v_add_co_ci_u32_e64 v4, null, s25, 0, s4
	flat_load_dword v3, v[3:4]
.LBB964_7:
	s_or_b32 exec_lo, exec_lo, s3
	v_or_b32_e32 v1, 0x100, v0
	v_mov_b32_e32 v4, v2
	v_cmp_gt_u32_e64 s3, s5, v1
	s_and_saveexec_b32 s4, s3
	s_cbranch_execz .LBB964_9
; %bb.8:
	v_lshlrev_b32_e32 v1, 2, v0
	v_add_co_u32 v4, s28, s24, v1
	v_add_co_ci_u32_e64 v5, null, s25, 0, s28
	flat_load_dword v4, v[4:5] offset:1024
.LBB964_9:
	s_or_b32 exec_lo, exec_lo, s4
	v_or_b32_e32 v1, 0x200, v0
	v_cmp_gt_u32_e64 s4, s5, v1
	v_lshlrev_b32_e32 v8, 2, v1
	s_and_saveexec_b32 s28, s4
	s_cbranch_execz .LBB964_11
; %bb.10:
	v_add_co_u32 v1, s29, s24, v8
	v_add_co_ci_u32_e64 v2, null, s25, 0, s29
	flat_load_dword v2, v[1:2]
.LBB964_11:
	s_or_b32 exec_lo, exec_lo, s28
	v_lshlrev_b32_e32 v9, 2, v0
	v_lshlrev_b32_e32 v1, 3, v0
	s_cmp_eq_u64 s[26:27], 0
	s_mov_b64 s[28:29], s[24:25]
	s_waitcnt vmcnt(0) lgkmcnt(0)
	ds_write2st64_b32 v9, v3, v4 offset1:4
	v_add_nc_u32_e32 v7, v9, v1
	ds_write_b32 v9, v2 offset:2048
	s_waitcnt lgkmcnt(0)
	s_barrier
	buffer_gl0_inv
	ds_read2_b32 v[4:5], v7 offset1:1
	ds_read_b32 v6, v7 offset:8
	s_cbranch_scc1 .LBB964_15
; %bb.12:
	s_andn2_b32 vcc_lo, exec_lo, s33
	s_cbranch_vccnz .LBB964_105
; %bb.13:
	s_lshl_b64 s[28:29], s[26:27], 2
	s_add_u32 s28, s10, s28
	s_addc_u32 s29, s11, s29
	s_add_u32 s28, s28, -4
	s_addc_u32 s29, s29, -1
	s_cbranch_execnz .LBB964_15
.LBB964_14:
	s_add_u32 s28, s24, -4
	s_addc_u32 s29, s25, -1
.LBB964_15:
	v_mov_b32_e32 v2, s28
	v_mov_b32_e32 v3, s29
	flat_load_dword v13, v[2:3]
	v_sub_nc_u32_e32 v2, v7, v1
	s_waitcnt lgkmcnt(1)
	ds_write_b32 v2, v6 offset:3072
	s_waitcnt vmcnt(0) lgkmcnt(0)
	s_barrier
	buffer_gl0_inv
	s_and_saveexec_b32 s28, s1
; %bb.16:
	v_sub_nc_u32_e32 v1, 0, v1
	v_add_nc_u32_e32 v1, v7, v1
	ds_read_b32 v13, v1 offset:3068
; %bb.17:
	s_or_b32 exec_lo, exec_lo, s28
	v_mov_b32_e32 v1, 0
	s_waitcnt lgkmcnt(0)
	s_barrier
	buffer_gl0_inv
	v_mov_b32_e32 v2, v1
	v_mov_b32_e32 v3, v1
	s_and_saveexec_b32 s28, s2
	s_cbranch_execnz .LBB964_103
; %bb.18:
	s_or_b32 exec_lo, exec_lo, s28
	s_and_saveexec_b32 s2, s3
	s_cbranch_execnz .LBB964_104
.LBB964_19:
	s_or_b32 exec_lo, exec_lo, s2
	s_and_saveexec_b32 s2, s4
	s_cbranch_execz .LBB964_21
.LBB964_20:
	global_load_dword v3, v8, s[16:17]
	s_waitcnt vmcnt(0)
	v_sub_nc_u32_e32 v3, 0, v3
.LBB964_21:
	s_or_b32 exec_lo, exec_lo, s2
	ds_write2st64_b32 v9, v1, v2 offset1:4
	ds_write_b32 v9, v3 offset:2048
	v_mov_b32_e32 v9, 0
	v_mov_b32_e32 v11, 0
	v_mul_u32_u24_e32 v8, 3, v0
	v_mov_b32_e32 v10, 0
	v_mov_b32_e32 v12, 0
	s_mov_b32 s28, 0
	s_mov_b32 s3, 0
	s_mov_b32 s29, exec_lo
	s_waitcnt lgkmcnt(0)
	s_barrier
	buffer_gl0_inv
                                        ; implicit-def: $sgpr4
                                        ; implicit-def: $vgpr2
	v_cmpx_gt_u32_e64 s5, v8
	s_cbranch_execz .LBB964_25
; %bb.22:
	ds_read_b32 v9, v7
	v_cmp_ne_u32_e32 vcc_lo, v13, v4
	v_mov_b32_e32 v11, 0
	v_add_nc_u32_e32 v1, 1, v8
	v_mov_b32_e32 v12, 0
	s_mov_b32 s2, 0
	v_cndmask_b32_e64 v10, 0, 1, vcc_lo
	s_mov_b32 s3, exec_lo
                                        ; implicit-def: $sgpr4
                                        ; implicit-def: $vgpr2
	v_cmpx_gt_u32_e64 s5, v1
	s_xor_b32 s3, exec_lo, s3
	s_cbranch_execz .LBB964_24
; %bb.23:
	ds_read2_b32 v[1:2], v7 offset0:1 offset1:2
	v_add_nc_u32_e32 v3, 2, v8
	v_cmp_ne_u32_e64 s2, v4, v5
	v_cmp_ne_u32_e64 s4, v5, v6
	v_cmp_gt_u32_e32 vcc_lo, s5, v3
	v_cndmask_b32_e64 v12, 0, 1, s2
	s_and_b32 s2, vcc_lo, exec_lo
	s_waitcnt lgkmcnt(0)
	v_mov_b32_e32 v11, v1
.LBB964_24:
	s_or_b32 exec_lo, exec_lo, s3
	s_and_b32 s3, s2, exec_lo
.LBB964_25:
	s_or_b32 exec_lo, exec_lo, s29
	v_lshlrev_b32_e32 v18, 2, v0
	v_lshlrev_b32_e32 v19, 3, v0
	s_and_b32 vcc_lo, exec_lo, s28
	s_cbranch_vccnz .LBB964_27
	s_branch .LBB964_35
.LBB964_26:
                                        ; implicit-def: $sgpr4
                                        ; implicit-def: $vgpr2
                                        ; implicit-def: $vgpr9_vgpr10
                                        ; implicit-def: $vgpr11_vgpr12
	v_lshlrev_b32_e32 v18, 2, v0
	v_lshlrev_b32_e32 v19, 3, v0
	s_cbranch_execz .LBB964_35
.LBB964_27:
	v_add_co_u32 v1, s2, s24, v18
	v_add_co_ci_u32_e64 v2, null, s25, 0, s2
	s_cmp_eq_u64 s[26:27], 0
	v_add_co_u32 v3, vcc_lo, 0x800, v1
	v_add_co_ci_u32_e64 v4, null, 0, v2, vcc_lo
	s_clause 0x2
	flat_load_dword v5, v[1:2]
	flat_load_dword v2, v[1:2] offset:1024
	flat_load_dword v3, v[3:4]
	v_add_nc_u32_e32 v1, v18, v19
	s_waitcnt vmcnt(1) lgkmcnt(1)
	ds_write2st64_b32 v18, v5, v2 offset1:4
	s_waitcnt vmcnt(0) lgkmcnt(1)
	ds_write_b32 v18, v3 offset:2048
	s_waitcnt lgkmcnt(0)
	s_barrier
	buffer_gl0_inv
	ds_read2_b32 v[3:4], v1 offset1:1
	ds_read_b32 v5, v1 offset:8
	s_cbranch_scc1 .LBB964_32
; %bb.28:
	s_andn2_b32 vcc_lo, exec_lo, s33
	s_cbranch_vccnz .LBB964_106
; %bb.29:
	s_lshl_b64 s[2:3], s[26:27], 2
	s_add_u32 s2, s10, s2
	s_addc_u32 s3, s11, s3
	s_add_u32 s2, s2, -4
	s_addc_u32 s3, s3, -1
	s_cbranch_execnz .LBB964_31
.LBB964_30:
	s_add_u32 s2, s24, -4
	s_addc_u32 s3, s25, -1
.LBB964_31:
	s_mov_b64 s[24:25], s[2:3]
.LBB964_32:
	v_mov_b32_e32 v6, s24
	v_mov_b32_e32 v7, s25
	v_sub_nc_u32_e32 v2, v1, v19
	flat_load_dword v6, v[6:7]
	s_waitcnt lgkmcnt(1)
	ds_write_b32 v2, v5 offset:3072
	s_waitcnt vmcnt(0) lgkmcnt(0)
	s_barrier
	buffer_gl0_inv
	s_and_saveexec_b32 s2, s1
; %bb.33:
	v_sub_nc_u32_e32 v2, 0, v19
	v_add_nc_u32_e32 v2, v1, v2
	ds_read_b32 v6, v2 offset:3068
; %bb.34:
	s_or_b32 exec_lo, exec_lo, s2
	v_add_co_u32 v2, s2, s16, v18
	v_add_co_ci_u32_e64 v8, null, s17, 0, s2
	s_waitcnt lgkmcnt(0)
	v_add_co_u32 v7, vcc_lo, 0x800, v2
	v_add_co_ci_u32_e64 v8, null, 0, v8, vcc_lo
	s_barrier
	buffer_gl0_inv
	s_clause 0x2
	global_load_dword v2, v18, s[16:17]
	global_load_dword v9, v18, s[16:17] offset:1024
	global_load_dword v7, v[7:8], off
	v_cmp_ne_u32_e32 vcc_lo, v6, v3
	v_cmp_ne_u32_e64 s4, v4, v5
	s_mov_b32 s3, -1
	v_cndmask_b32_e64 v10, 0, 1, vcc_lo
	v_cmp_ne_u32_e32 vcc_lo, v3, v4
	v_cndmask_b32_e64 v12, 0, 1, vcc_lo
	s_waitcnt vmcnt(2)
	v_sub_nc_u32_e32 v2, 0, v2
	s_waitcnt vmcnt(1)
	v_sub_nc_u32_e32 v8, 0, v9
	;; [unrolled: 2-line block ×3, first 2 shown]
	ds_write2st64_b32 v18, v2, v8 offset1:4
	ds_write_b32 v18, v7 offset:2048
	s_waitcnt lgkmcnt(0)
	s_barrier
	buffer_gl0_inv
	ds_read2_b32 v[7:8], v1 offset1:1
	ds_read_b32 v2, v1 offset:8
	s_waitcnt lgkmcnt(1)
	v_mov_b32_e32 v9, v7
	v_mov_b32_e32 v11, v8
.LBB964_35:
	v_mov_b32_e32 v13, 0
	v_mov_b32_e32 v14, 0
	s_and_saveexec_b32 s2, s3
	s_cbranch_execz .LBB964_37
; %bb.36:
	v_cndmask_b32_e64 v14, 0, 1, s4
	s_waitcnt lgkmcnt(0)
	v_mov_b32_e32 v13, v2
.LBB964_37:
	s_or_b32 exec_lo, exec_lo, s2
	v_or_b32_e32 v23, v12, v14
	v_mbcnt_lo_u32_b32 v20, -1, 0
	v_lshrrev_b32_e32 v21, 5, v0
	v_or_b32_e32 v22, 31, v0
	s_cmp_lg_u32 s31, 0
	s_mov_b32 s4, 0
	s_waitcnt lgkmcnt(0)
	s_barrier
	buffer_gl0_inv
	s_cbranch_scc0 .LBB964_63
; %bb.38:
	v_and_b32_e32 v2, 0xff, v23
	v_mov_b32_e32 v1, 0
	s_mov_b32 s5, 1
	v_and_b32_e32 v8, 15, v20
	v_cmp_gt_u64_e64 s2, s[4:5], v[11:12]
	v_cmp_gt_u64_e64 s3, s[4:5], v[13:14]
	v_cmp_eq_u64_e32 vcc_lo, 0, v[1:2]
	v_cndmask_b32_e64 v3, 0, v9, s2
	v_cndmask_b32_e32 v2, 1, v10, vcc_lo
	v_add_nc_u32_e32 v3, v3, v11
	v_and_b32_e32 v4, 0xff, v2
	v_and_b32_e32 v6, 1, v2
	v_cndmask_b32_e64 v3, 0, v3, s3
	v_mov_b32_dpp v5, v4 row_shr:1 row_mask:0xf bank_mask:0xf
	v_cmp_eq_u32_e32 vcc_lo, 1, v6
	v_add_nc_u32_e32 v3, v3, v13
	v_and_b32_e32 v5, 1, v5
	v_mov_b32_dpp v7, v3 row_shr:1 row_mask:0xf bank_mask:0xf
	v_cndmask_b32_e64 v5, v5, 1, vcc_lo
	v_cmp_eq_u16_e32 vcc_lo, 0, v4
	v_cndmask_b32_e32 v6, 0, v7, vcc_lo
	v_cmp_eq_u32_e32 vcc_lo, 0, v8
	v_cndmask_b32_e32 v4, v5, v4, vcc_lo
	v_cndmask_b32_e32 v2, v5, v2, vcc_lo
	v_cndmask_b32_e64 v6, v6, 0, vcc_lo
	v_mov_b32_dpp v5, v4 row_shr:2 row_mask:0xf bank_mask:0xf
	v_and_b32_e32 v7, 1, v2
	v_add_nc_u32_e32 v3, v6, v3
	v_cmp_eq_u16_sdwa s4, v2, v1 src0_sel:BYTE_0 src1_sel:DWORD
	v_and_b32_e32 v5, 1, v5
	v_cmp_eq_u32_e32 vcc_lo, 1, v7
	v_cndmask_b32_e64 v5, v5, 1, vcc_lo
	v_cmp_lt_u32_e32 vcc_lo, 1, v8
	v_cndmask_b32_e32 v7, v2, v5, vcc_lo
	v_cndmask_b32_e32 v4, v4, v5, vcc_lo
	v_mov_b32_dpp v2, v3 row_shr:2 row_mask:0xf bank_mask:0xf
	s_and_b32 vcc_lo, vcc_lo, s4
	v_and_b32_e32 v6, 1, v7
	v_mov_b32_dpp v5, v4 row_shr:4 row_mask:0xf bank_mask:0xf
	v_cndmask_b32_e32 v2, 0, v2, vcc_lo
	v_cmp_eq_u16_sdwa s4, v7, v1 src0_sel:BYTE_0 src1_sel:DWORD
	v_cmp_eq_u32_e32 vcc_lo, 1, v6
	v_and_b32_e32 v5, 1, v5
	v_add_nc_u32_e32 v2, v2, v3
	v_cndmask_b32_e64 v5, v5, 1, vcc_lo
	v_cmp_lt_u32_e32 vcc_lo, 3, v8
	v_cndmask_b32_e32 v3, v7, v5, vcc_lo
	v_cndmask_b32_e32 v4, v4, v5, vcc_lo
	v_mov_b32_dpp v5, v2 row_shr:4 row_mask:0xf bank_mask:0xf
	s_and_b32 vcc_lo, vcc_lo, s4
	v_and_b32_e32 v7, 1, v3
	v_mov_b32_dpp v6, v4 row_shr:8 row_mask:0xf bank_mask:0xf
	v_cndmask_b32_e32 v5, 0, v5, vcc_lo
	v_cmp_eq_u16_sdwa s4, v3, v1 src0_sel:BYTE_0 src1_sel:DWORD
	v_cmp_eq_u32_e32 vcc_lo, 1, v7
	v_and_b32_e32 v6, 1, v6
	v_add_nc_u32_e32 v2, v5, v2
	v_bfe_i32 v7, v20, 4, 1
	v_cndmask_b32_e64 v5, v6, 1, vcc_lo
	v_cmp_lt_u32_e32 vcc_lo, 7, v8
	v_mov_b32_dpp v6, v2 row_shr:8 row_mask:0xf bank_mask:0xf
	s_and_b32 s4, vcc_lo, s4
	v_cndmask_b32_e32 v4, v4, v5, vcc_lo
	v_cndmask_b32_e64 v6, 0, v6, s4
	v_cndmask_b32_e32 v3, v3, v5, vcc_lo
	ds_swizzle_b32 v5, v4 offset:swizzle(BROADCAST,32,15)
	v_add_nc_u32_e32 v2, v6, v2
	v_and_b32_e32 v8, 1, v3
	v_cmp_eq_u16_sdwa vcc_lo, v3, v1 src0_sel:BYTE_0 src1_sel:DWORD
	v_and_b32_e32 v3, 16, v20
	ds_swizzle_b32 v6, v2 offset:swizzle(BROADCAST,32,15)
	v_cmp_eq_u32_e64 s4, 0, v3
	s_waitcnt lgkmcnt(1)
	v_and_b32_e32 v5, 1, v5
	s_waitcnt lgkmcnt(0)
	v_cndmask_b32_e32 v1, 0, v6, vcc_lo
	v_cmp_eq_u32_e32 vcc_lo, 1, v8
	v_and_b32_e32 v1, v7, v1
	v_cndmask_b32_e64 v5, v5, 1, vcc_lo
	v_add_nc_u32_e32 v3, v1, v2
	v_cndmask_b32_e64 v4, v5, v4, s4
	v_lshlrev_b32_e32 v5, 3, v21
	s_mov_b32 s4, exec_lo
	v_cmpx_eq_u32_e64 v0, v22
	s_cbranch_execz .LBB964_40
; %bb.39:
	ds_write_b32 v5, v3
	ds_write_b8 v5, v4 offset:4
.LBB964_40:
	s_or_b32 exec_lo, exec_lo, s4
	s_mov_b32 s4, exec_lo
	s_waitcnt lgkmcnt(0)
	s_barrier
	buffer_gl0_inv
	v_cmpx_gt_u32_e32 8, v0
	s_cbranch_execz .LBB964_46
; %bb.41:
	ds_read_b64 v[1:2], v19
	v_and_b32_e32 v6, 7, v20
	s_mov_b32 s5, exec_lo
	s_waitcnt lgkmcnt(0)
	v_and_b32_e32 v7, 0xffffff00, v2
	v_mov_b32_dpp v15, v1 row_shr:1 row_mask:0xf bank_mask:0xf
	v_mov_b32_dpp v16, v2 row_shr:1 row_mask:0xf bank_mask:0xf
	v_mov_b32_e32 v8, v2
	v_cmpx_ne_u32_e32 0, v6
	s_cbranch_execz .LBB964_43
; %bb.42:
	v_mov_b32_e32 v8, 0
	v_and_b32_e32 v17, 1, v2
	v_and_b32_e32 v16, 1, v16
	v_cmp_eq_u16_sdwa vcc_lo, v2, v8 src0_sel:BYTE_0 src1_sel:DWORD
	v_cndmask_b32_e32 v2, 0, v15, vcc_lo
	v_cmp_eq_u32_e32 vcc_lo, 1, v17
	v_add_nc_u32_e32 v1, v2, v1
	v_cndmask_b32_e64 v15, v16, 1, vcc_lo
	v_or_b32_sdwa v8, v7, v15 dst_sel:DWORD dst_unused:UNUSED_PAD src0_sel:DWORD src1_sel:WORD_0
	v_mov_b32_e32 v2, v15
.LBB964_43:
	s_or_b32 exec_lo, exec_lo, s5
	v_mov_b32_dpp v15, v1 row_shr:2 row_mask:0xf bank_mask:0xf
	v_mov_b32_dpp v16, v8 row_shr:2 row_mask:0xf bank_mask:0xf
	s_mov_b32 s5, exec_lo
	v_cmpx_lt_u32_e32 1, v6
	s_cbranch_execz .LBB964_45
; %bb.44:
	v_mov_b32_e32 v8, 0
	v_and_b32_e32 v17, 1, v2
	v_and_b32_e32 v16, 1, v16
	v_cmp_eq_u16_sdwa vcc_lo, v2, v8 src0_sel:BYTE_0 src1_sel:DWORD
	v_cndmask_b32_e32 v2, 0, v15, vcc_lo
	v_cmp_eq_u32_e32 vcc_lo, 1, v17
	v_add_nc_u32_e32 v1, v2, v1
	v_cndmask_b32_e64 v15, v16, 1, vcc_lo
	v_or_b32_sdwa v8, v7, v15 dst_sel:DWORD dst_unused:UNUSED_PAD src0_sel:DWORD src1_sel:WORD_0
	v_mov_b32_e32 v2, v15
.LBB964_45:
	s_or_b32 exec_lo, exec_lo, s5
	v_mov_b32_dpp v7, v8 row_shr:4 row_mask:0xf bank_mask:0xf
	v_and_b32_e32 v15, 1, v2
	v_mov_b32_e32 v8, 0
	v_and_b32_e32 v7, 1, v7
	v_cmp_eq_u32_e32 vcc_lo, 1, v15
	v_cmp_eq_u16_sdwa s5, v2, v8 src0_sel:BYTE_0 src1_sel:DWORD
	v_cndmask_b32_e64 v7, v7, 1, vcc_lo
	v_cmp_lt_u32_e32 vcc_lo, 3, v6
	v_mov_b32_dpp v6, v1 row_shr:4 row_mask:0xf bank_mask:0xf
	v_cndmask_b32_e32 v2, v2, v7, vcc_lo
	s_and_b32 vcc_lo, vcc_lo, s5
	v_cndmask_b32_e32 v6, 0, v6, vcc_lo
	v_add_nc_u32_e32 v1, v6, v1
	ds_write_b32 v19, v1
	ds_write_b8 v19, v2 offset:4
.LBB964_46:
	s_or_b32 exec_lo, exec_lo, s4
	v_mov_b32_e32 v24, 0
	v_mov_b32_e32 v25, 0
	s_mov_b32 s5, exec_lo
	v_cmp_gt_u32_e32 vcc_lo, 32, v0
	s_waitcnt lgkmcnt(0)
	s_barrier
	buffer_gl0_inv
	v_cmpx_lt_u32_e32 31, v0
	s_cbranch_execz .LBB964_48
; %bb.47:
	v_add_nc_u32_e32 v1, -8, v5
	v_cmp_eq_u32_e64 s4, 0, v4
	v_and_b32_e32 v2, 1, v4
	ds_read_b32 v24, v1
	v_add_nc_u32_e32 v1, -4, v5
	ds_read_u8 v25, v1
	s_waitcnt lgkmcnt(1)
	v_cndmask_b32_e64 v1, 0, v24, s4
	v_cmp_eq_u32_e64 s4, 1, v2
	v_add_nc_u32_e32 v3, v1, v3
	s_waitcnt lgkmcnt(0)
	v_cndmask_b32_e64 v4, v25, 1, s4
.LBB964_48:
	s_or_b32 exec_lo, exec_lo, s5
	v_sub_co_u32 v1, s4, v20, 1
	v_cmp_gt_i32_e64 s5, 0, v1
	v_cndmask_b32_e64 v1, v1, v20, s5
	v_lshlrev_b32_e32 v1, 2, v1
	ds_bpermute_b32 v26, v1, v3
	ds_bpermute_b32 v27, v1, v4
	s_and_saveexec_b32 s16, vcc_lo
	s_cbranch_execz .LBB964_68
; %bb.49:
	v_mov_b32_e32 v4, 0
	ds_read_b64 v[1:2], v4 offset:56
	s_and_saveexec_b32 s5, s4
	s_cbranch_execz .LBB964_51
; %bb.50:
	s_add_i32 s10, s31, 32
	s_mov_b32 s11, 0
	v_mov_b32_e32 v3, 1
	s_lshl_b64 s[10:11], s[10:11], 4
	s_add_u32 s10, s12, s10
	s_addc_u32 s11, s13, s11
	v_mov_b32_e32 v5, s10
	v_mov_b32_e32 v6, s11
	s_waitcnt lgkmcnt(0)
	;;#ASMSTART
	global_store_dwordx4 v[5:6], v[1:4] off	
s_waitcnt vmcnt(0)
	;;#ASMEND
.LBB964_51:
	s_or_b32 exec_lo, exec_lo, s5
	v_xad_u32 v15, v20, -1, s31
	s_mov_b32 s10, 0
	v_add_nc_u32_e32 v3, 32, v15
	v_lshlrev_b64 v[5:6], 4, v[3:4]
	v_add_co_u32 v16, vcc_lo, s12, v5
	v_add_co_ci_u32_e64 v17, null, s13, v6, vcc_lo
	;;#ASMSTART
	global_load_dwordx4 v[5:8], v[16:17] off glc dlc	
s_waitcnt vmcnt(0)
	;;#ASMEND
	v_and_b32_e32 v6, 0xff, v6
	v_cmp_eq_u16_sdwa s11, v7, v4 src0_sel:BYTE_0 src1_sel:DWORD
	s_and_saveexec_b32 s5, s11
	s_cbranch_execz .LBB964_55
; %bb.52:
	v_mov_b32_e32 v3, 0
.LBB964_53:                             ; =>This Inner Loop Header: Depth=1
	;;#ASMSTART
	global_load_dwordx4 v[5:8], v[16:17] off glc dlc	
s_waitcnt vmcnt(0)
	;;#ASMEND
	v_cmp_ne_u16_sdwa s11, v7, v3 src0_sel:BYTE_0 src1_sel:DWORD
	s_or_b32 s10, s11, s10
	s_andn2_b32 exec_lo, exec_lo, s10
	s_cbranch_execnz .LBB964_53
; %bb.54:
	s_or_b32 exec_lo, exec_lo, s10
	v_and_b32_e32 v6, 0xff, v6
.LBB964_55:
	s_or_b32 exec_lo, exec_lo, s5
	v_cmp_ne_u32_e32 vcc_lo, 31, v20
	v_mov_b32_e32 v28, 2
	v_lshlrev_b32_e64 v29, v20, -1
	v_and_b32_e32 v8, 1, v6
	s_mov_b32 s10, 0
	v_add_co_ci_u32_e64 v3, null, 0, v20, vcc_lo
	v_cmp_eq_u16_sdwa s5, v7, v28 src0_sel:BYTE_0 src1_sel:DWORD
	v_cmp_eq_u32_e32 vcc_lo, 1, v8
	s_mov_b32 s11, 1
	v_lshlrev_b32_e32 v17, 2, v3
	v_add_nc_u32_e32 v37, 8, v20
	v_and_or_b32 v4, s5, v29, 0x80000000
	v_cmp_gt_u64_e64 s5, s[10:11], v[5:6]
	v_lshl_or_b32 v38, v20, 2, 64
	ds_bpermute_b32 v3, v17, v6
	ds_bpermute_b32 v16, v17, v5
	v_ffbl_b32_e32 v4, v4
	v_add_nc_u32_e32 v39, 16, v20
	s_waitcnt lgkmcnt(1)
	v_and_b32_e32 v3, 1, v3
	v_cndmask_b32_e64 v3, v3, 1, vcc_lo
	v_cmp_gt_u32_e32 vcc_lo, 30, v20
	v_and_b32_e32 v31, 0xffff, v3
	v_cndmask_b32_e64 v8, 0, 2, vcc_lo
	v_cmp_lt_u32_e32 vcc_lo, v20, v4
	v_add_lshl_u32 v30, v8, v20, 2
	v_cndmask_b32_e32 v8, v6, v31, vcc_lo
	v_cndmask_b32_e32 v3, v6, v3, vcc_lo
	s_and_b32 vcc_lo, vcc_lo, s5
	s_waitcnt lgkmcnt(0)
	v_cndmask_b32_e32 v6, 0, v16, vcc_lo
	ds_bpermute_b32 v31, v30, v8
	v_and_b32_e32 v16, 1, v3
	v_add_nc_u32_e32 v5, v6, v5
	v_cmp_eq_u32_e32 vcc_lo, 1, v16
	v_mov_b32_e32 v16, 0
	ds_bpermute_b32 v6, v30, v5
	v_cmp_eq_u16_sdwa s5, v3, v16 src0_sel:BYTE_0 src1_sel:DWORD
	s_waitcnt lgkmcnt(1)
	v_and_b32_e32 v32, 1, v31
	v_add_nc_u32_e32 v31, 2, v20
	v_cndmask_b32_e64 v33, v32, 1, vcc_lo
	v_cmp_gt_u32_e32 vcc_lo, 28, v20
	v_and_b32_e32 v34, 0xffff, v33
	v_cndmask_b32_e64 v32, 0, 4, vcc_lo
	v_cmp_gt_u32_e32 vcc_lo, v31, v4
	v_add_lshl_u32 v32, v32, v20, 2
	v_cndmask_b32_e32 v8, v34, v8, vcc_lo
	v_cndmask_b32_e32 v35, v33, v3, vcc_lo
	s_waitcnt lgkmcnt(0)
	v_cndmask_b32_e64 v3, 0, v6, s5
	v_add_nc_u32_e32 v33, 4, v20
	ds_bpermute_b32 v6, v32, v8
	v_and_b32_e32 v34, 1, v35
	v_cndmask_b32_e64 v3, v3, 0, vcc_lo
	v_cmp_eq_u16_sdwa s5, v35, v16 src0_sel:BYTE_0 src1_sel:DWORD
	v_cmp_eq_u32_e32 vcc_lo, 1, v34
	v_add_nc_u32_e32 v3, v3, v5
	ds_bpermute_b32 v5, v32, v3
	s_waitcnt lgkmcnt(1)
	v_and_b32_e32 v6, 1, v6
	v_cndmask_b32_e64 v6, v6, 1, vcc_lo
	v_cmp_gt_u32_e32 vcc_lo, 24, v20
	v_and_b32_e32 v36, 0xffff, v6
	v_cndmask_b32_e64 v34, 0, 8, vcc_lo
	v_cmp_gt_u32_e32 vcc_lo, v33, v4
	s_waitcnt lgkmcnt(0)
	v_cndmask_b32_e64 v5, 0, v5, s5
	v_add_lshl_u32 v34, v34, v20, 2
	v_cndmask_b32_e32 v8, v36, v8, vcc_lo
	v_cndmask_b32_e32 v6, v6, v35, vcc_lo
	v_cndmask_b32_e64 v5, v5, 0, vcc_lo
	ds_bpermute_b32 v35, v34, v8
	v_and_b32_e32 v36, 1, v6
	v_add_nc_u32_e32 v3, v5, v3
	v_cmp_eq_u32_e32 vcc_lo, 1, v36
	ds_bpermute_b32 v5, v34, v3
	s_waitcnt lgkmcnt(1)
	v_and_b32_e32 v35, 1, v35
	v_cndmask_b32_e64 v35, v35, 1, vcc_lo
	v_cmp_eq_u16_sdwa vcc_lo, v6, v16 src0_sel:BYTE_0 src1_sel:DWORD
	v_and_b32_e32 v36, 0xffff, v35
	s_waitcnt lgkmcnt(0)
	v_cndmask_b32_e32 v5, 0, v5, vcc_lo
	v_cmp_gt_u32_e32 vcc_lo, v37, v4
	v_cndmask_b32_e64 v5, v5, 0, vcc_lo
	v_cndmask_b32_e32 v8, v36, v8, vcc_lo
	v_cndmask_b32_e32 v6, v35, v6, vcc_lo
	v_add_nc_u32_e32 v3, v5, v3
	ds_bpermute_b32 v5, v38, v8
	v_and_b32_e32 v35, 1, v6
	v_cmp_eq_u16_sdwa vcc_lo, v6, v16 src0_sel:BYTE_0 src1_sel:DWORD
	ds_bpermute_b32 v8, v38, v3
	s_waitcnt lgkmcnt(1)
	v_and_b32_e32 v5, 1, v5
	s_waitcnt lgkmcnt(0)
	v_cndmask_b32_e32 v8, 0, v8, vcc_lo
	v_cmp_eq_u32_e32 vcc_lo, 1, v35
	v_cndmask_b32_e64 v5, v5, 1, vcc_lo
	v_cmp_gt_u32_e32 vcc_lo, v39, v4
	v_cndmask_b32_e32 v4, v5, v6, vcc_lo
	v_cndmask_b32_e64 v5, v8, 0, vcc_lo
	v_add_nc_u32_e32 v3, v5, v3
	s_branch .LBB964_59
.LBB964_56:                             ;   in Loop: Header=BB964_59 Depth=1
	s_or_b32 exec_lo, exec_lo, s17
	v_and_b32_e32 v6, 0xff, v6
.LBB964_57:                             ;   in Loop: Header=BB964_59 Depth=1
	s_or_b32 exec_lo, exec_lo, s5
	ds_bpermute_b32 v3, v17, v6
	v_cmp_eq_u16_sdwa s5, v7, v28 src0_sel:BYTE_0 src1_sel:DWORD
	v_and_b32_e32 v4, 1, v6
	v_subrev_nc_u32_e32 v15, 32, v15
	v_and_or_b32 v8, s5, v29, 0x80000000
	v_cmp_eq_u32_e32 vcc_lo, 1, v4
	v_cmp_gt_u64_e64 s5, s[10:11], v[5:6]
	v_ffbl_b32_e32 v4, v8
	ds_bpermute_b32 v8, v17, v5
	s_waitcnt lgkmcnt(1)
	v_and_b32_e32 v3, 1, v3
	v_cndmask_b32_e64 v3, v3, 1, vcc_lo
	v_cmp_lt_u32_e32 vcc_lo, v20, v4
	v_and_b32_e32 v40, 0xffff, v3
	v_cndmask_b32_e32 v3, v6, v3, vcc_lo
	v_cndmask_b32_e32 v40, v6, v40, vcc_lo
	s_and_b32 vcc_lo, vcc_lo, s5
	v_cmp_eq_u16_sdwa s5, v3, v16 src0_sel:BYTE_0 src1_sel:DWORD
	s_waitcnt lgkmcnt(0)
	v_cndmask_b32_e32 v6, 0, v8, vcc_lo
	v_and_b32_e32 v8, 1, v3
	ds_bpermute_b32 v41, v30, v40
	v_add_nc_u32_e32 v5, v6, v5
	v_cmp_eq_u32_e32 vcc_lo, 1, v8
	ds_bpermute_b32 v6, v30, v5
	s_waitcnt lgkmcnt(1)
	v_and_b32_e32 v41, 1, v41
	v_cndmask_b32_e64 v8, v41, 1, vcc_lo
	v_cmp_gt_u32_e32 vcc_lo, v31, v4
	v_and_b32_e32 v41, 0xffff, v8
	v_cndmask_b32_e32 v8, v8, v3, vcc_lo
	s_waitcnt lgkmcnt(0)
	v_cndmask_b32_e64 v3, 0, v6, s5
	v_cndmask_b32_e32 v40, v41, v40, vcc_lo
	v_and_b32_e32 v41, 1, v8
	v_cndmask_b32_e64 v3, v3, 0, vcc_lo
	v_cmp_eq_u16_sdwa s5, v8, v16 src0_sel:BYTE_0 src1_sel:DWORD
	ds_bpermute_b32 v6, v32, v40
	v_cmp_eq_u32_e32 vcc_lo, 1, v41
	v_add_nc_u32_e32 v3, v3, v5
	ds_bpermute_b32 v5, v32, v3
	s_waitcnt lgkmcnt(1)
	v_and_b32_e32 v6, 1, v6
	v_cndmask_b32_e64 v6, v6, 1, vcc_lo
	v_cmp_gt_u32_e32 vcc_lo, v33, v4
	s_waitcnt lgkmcnt(0)
	v_cndmask_b32_e64 v5, 0, v5, s5
	s_mov_b32 s5, 0
	v_and_b32_e32 v41, 0xffff, v6
	v_cndmask_b32_e32 v6, v6, v8, vcc_lo
	v_cndmask_b32_e64 v5, v5, 0, vcc_lo
	v_cndmask_b32_e32 v8, v41, v40, vcc_lo
	v_and_b32_e32 v41, 1, v6
	v_add_nc_u32_e32 v3, v5, v3
	ds_bpermute_b32 v40, v34, v8
	v_cmp_eq_u32_e32 vcc_lo, 1, v41
	ds_bpermute_b32 v5, v34, v3
	s_waitcnt lgkmcnt(1)
	v_and_b32_e32 v40, 1, v40
	v_cndmask_b32_e64 v40, v40, 1, vcc_lo
	v_cmp_eq_u16_sdwa vcc_lo, v6, v16 src0_sel:BYTE_0 src1_sel:DWORD
	v_and_b32_e32 v41, 0xffff, v40
	s_waitcnt lgkmcnt(0)
	v_cndmask_b32_e32 v5, 0, v5, vcc_lo
	v_cmp_gt_u32_e32 vcc_lo, v37, v4
	v_cndmask_b32_e64 v5, v5, 0, vcc_lo
	v_cndmask_b32_e32 v8, v41, v8, vcc_lo
	v_cndmask_b32_e32 v6, v40, v6, vcc_lo
	v_add_nc_u32_e32 v3, v5, v3
	ds_bpermute_b32 v5, v38, v8
	v_and_b32_e32 v40, 1, v6
	ds_bpermute_b32 v8, v38, v3
	v_cmp_eq_u32_e32 vcc_lo, 1, v40
	s_waitcnt lgkmcnt(1)
	v_cndmask_b32_e64 v5, v5, 1, vcc_lo
	v_cmp_eq_u16_sdwa vcc_lo, v6, v16 src0_sel:BYTE_0 src1_sel:DWORD
	s_waitcnt lgkmcnt(0)
	v_cndmask_b32_e32 v8, 0, v8, vcc_lo
	v_cmp_gt_u32_e32 vcc_lo, v39, v4
	v_cndmask_b32_e32 v4, v5, v6, vcc_lo
	v_cndmask_b32_e64 v5, v8, 0, vcc_lo
	v_cmp_eq_u16_sdwa vcc_lo, v35, v16 src0_sel:BYTE_0 src1_sel:DWORD
	v_and_b32_e32 v4, 1, v4
	v_add_nc_u32_e32 v3, v5, v3
	v_and_b32_e32 v5, 1, v35
	v_cndmask_b32_e32 v3, 0, v3, vcc_lo
	v_cmp_eq_u32_e32 vcc_lo, 1, v5
	v_add_nc_u32_e32 v3, v3, v36
	v_cndmask_b32_e64 v4, v4, 1, vcc_lo
.LBB964_58:                             ;   in Loop: Header=BB964_59 Depth=1
	s_and_b32 vcc_lo, exec_lo, s5
	s_cbranch_vccnz .LBB964_64
.LBB964_59:                             ; =>This Loop Header: Depth=1
                                        ;     Child Loop BB964_62 Depth 2
	v_cmp_ne_u16_sdwa s5, v7, v28 src0_sel:BYTE_0 src1_sel:DWORD
	v_mov_b32_e32 v35, v4
	v_mov_b32_e32 v36, v3
                                        ; implicit-def: $vgpr4
                                        ; implicit-def: $vgpr3
                                        ; implicit-def: $vgpr7
	s_cmp_lg_u32 s5, exec_lo
	s_mov_b32 s5, -1
	s_cbranch_scc1 .LBB964_58
; %bb.60:                               ;   in Loop: Header=BB964_59 Depth=1
	v_lshlrev_b64 v[3:4], 4, v[15:16]
	v_add_co_u32 v3, vcc_lo, s12, v3
	v_add_co_ci_u32_e64 v4, null, s13, v4, vcc_lo
	;;#ASMSTART
	global_load_dwordx4 v[5:8], v[3:4] off glc dlc	
s_waitcnt vmcnt(0)
	;;#ASMEND
	v_and_b32_e32 v6, 0xff, v6
	v_cmp_eq_u16_sdwa s17, v7, v16 src0_sel:BYTE_0 src1_sel:DWORD
	s_and_saveexec_b32 s5, s17
	s_cbranch_execz .LBB964_57
; %bb.61:                               ;   in Loop: Header=BB964_59 Depth=1
	s_mov_b32 s17, 0
.LBB964_62:                             ;   Parent Loop BB964_59 Depth=1
                                        ; =>  This Inner Loop Header: Depth=2
	;;#ASMSTART
	global_load_dwordx4 v[5:8], v[3:4] off glc dlc	
s_waitcnt vmcnt(0)
	;;#ASMEND
	v_cmp_ne_u16_sdwa s24, v7, v16 src0_sel:BYTE_0 src1_sel:DWORD
	s_or_b32 s17, s24, s17
	s_andn2_b32 exec_lo, exec_lo, s17
	s_cbranch_execnz .LBB964_62
	s_branch .LBB964_56
.LBB964_63:
                                        ; implicit-def: $vgpr7
                                        ; implicit-def: $vgpr5
                                        ; implicit-def: $vgpr6
	s_cbranch_execnz .LBB964_69
	s_branch .LBB964_86
.LBB964_64:
	s_and_saveexec_b32 s5, s4
	s_cbranch_execz .LBB964_66
; %bb.65:
	v_mov_b32_e32 v4, 0
	v_and_b32_e32 v3, 1, v2
	s_mov_b32 s11, 0
	s_add_i32 s10, s31, 32
	v_and_b32_e32 v5, 1, v35
	v_cmp_eq_u32_sdwa vcc_lo, v2, v4 src0_sel:BYTE_0 src1_sel:DWORD
	s_lshl_b64 s[10:11], s[10:11], 4
	s_add_u32 s10, s12, s10
	s_addc_u32 s11, s13, s11
	v_cndmask_b32_e32 v2, 0, v36, vcc_lo
	v_cmp_eq_u32_e32 vcc_lo, 1, v3
	v_mov_b32_e32 v3, 2
	v_add_nc_u32_e32 v1, v2, v1
	v_cndmask_b32_e64 v2, v5, 1, vcc_lo
	v_mov_b32_e32 v5, s10
	v_mov_b32_e32 v6, s11
	;;#ASMSTART
	global_store_dwordx4 v[5:6], v[1:4] off	
s_waitcnt vmcnt(0)
	;;#ASMEND
.LBB964_66:
	s_or_b32 exec_lo, exec_lo, s5
	s_and_b32 exec_lo, exec_lo, s0
	s_cbranch_execz .LBB964_68
; %bb.67:
	v_mov_b32_e32 v1, 0
	ds_write_b32 v1, v36 offset:56
	ds_write_b8 v1, v35 offset:60
.LBB964_68:
	s_or_b32 exec_lo, exec_lo, s16
	v_mov_b32_e32 v1, 0
	s_waitcnt lgkmcnt(0)
	v_cndmask_b32_e64 v2, v27, v25, s4
	v_and_b32_e32 v4, 1, v10
	s_barrier
	buffer_gl0_inv
	ds_read_b32 v3, v1 offset:56
	v_and_b32_e32 v2, 1, v2
	v_cmp_eq_u32_e32 vcc_lo, 1, v4
	v_cndmask_b32_e64 v5, v26, v24, s4
	s_mov_b32 s5, 1
	s_mov_b32 s4, 0
	v_cndmask_b32_e64 v2, v2, 1, vcc_lo
	v_cmp_gt_u64_e32 vcc_lo, s[4:5], v[9:10]
	v_cndmask_b32_e64 v2, v2, v10, s0
	v_cndmask_b32_e32 v4, 0, v5, vcc_lo
	v_cmp_eq_u16_sdwa vcc_lo, v2, v1 src0_sel:BYTE_0 src1_sel:DWORD
	v_cndmask_b32_e64 v4, v4, 0, s0
	s_waitcnt lgkmcnt(0)
	v_cndmask_b32_e32 v1, 0, v3, vcc_lo
	v_add3_u32 v7, v4, v9, v1
	v_cndmask_b32_e64 v1, 0, v7, s2
	v_add_nc_u32_e32 v5, v1, v11
	v_cndmask_b32_e64 v1, 0, v5, s3
	v_add_nc_u32_e32 v6, v1, v13
	s_branch .LBB964_86
.LBB964_69:
	s_cmp_lg_u64 s[22:23], 0
	s_cselect_b32 s2, -1, 0
	s_cmp_lg_u64 s[6:7], 0
	s_cselect_b32 s3, -1, 0
	s_and_b32 s2, s2, s3
	s_and_b32 s3, s0, s2
	s_and_saveexec_b32 s2, s3
	s_cbranch_execz .LBB964_71
; %bb.70:
	v_mov_b32_e32 v1, 0
	s_mov_b32 s4, 0
	s_mov_b32 s5, 1
	s_clause 0x1
	global_load_dword v2, v1, s[6:7]
	global_load_ubyte v3, v1, s[6:7] offset:4
	v_cmp_gt_u64_e32 vcc_lo, s[4:5], v[9:10]
	s_waitcnt vmcnt(1)
	v_cndmask_b32_e32 v4, 0, v2, vcc_lo
	v_and_b32_e32 v2, 1, v10
	s_waitcnt vmcnt(0)
	v_and_b32_e32 v3, 1, v3
	v_add_nc_u32_e32 v9, v4, v9
	v_cmp_eq_u64_e32 vcc_lo, 0, v[1:2]
	v_cndmask_b32_e32 v10, 1, v3, vcc_lo
.LBB964_71:
	s_or_b32 exec_lo, exec_lo, s2
	v_and_b32_e32 v2, 0xff, v23
	v_mov_b32_e32 v1, 0
	s_mov_b32 s4, 0
	s_mov_b32 s5, 1
	v_and_b32_e32 v7, 15, v20
	v_cmp_eq_u64_e32 vcc_lo, 0, v[1:2]
	v_cmp_eq_u32_e64 s3, 0, v7
	v_cndmask_b32_e32 v2, 1, v10, vcc_lo
	v_cmp_gt_u64_e32 vcc_lo, s[4:5], v[11:12]
	v_and_b32_e32 v3, 0xff, v2
	v_and_b32_e32 v6, 1, v2
	v_cndmask_b32_e32 v5, 0, v9, vcc_lo
	v_mov_b32_dpp v4, v3 row_shr:1 row_mask:0xf bank_mask:0xf
	v_cmp_eq_u32_e64 s2, 1, v6
	v_add_nc_u32_e32 v5, v5, v11
	v_and_b32_e32 v4, 1, v4
	v_cndmask_b32_e64 v4, v4, 1, s2
	v_cmp_gt_u64_e64 s2, s[4:5], v[13:14]
	v_cmp_eq_u16_e64 s4, 0, v3
	v_cndmask_b32_e64 v8, v4, v3, s3
	v_cndmask_b32_e64 v2, v4, v2, s3
	;; [unrolled: 1-line block ×3, first 2 shown]
	v_mov_b32_dpp v4, v8 row_shr:2 row_mask:0xf bank_mask:0xf
	v_and_b32_e32 v14, 1, v2
	v_add_nc_u32_e32 v6, v6, v13
	v_and_b32_e32 v4, 1, v4
	v_mov_b32_dpp v12, v6 row_shr:1 row_mask:0xf bank_mask:0xf
	v_cndmask_b32_e64 v3, 0, v12, s4
	v_cmp_eq_u32_e64 s4, 1, v14
	v_cndmask_b32_e64 v3, v3, 0, s3
	v_cndmask_b32_e64 v4, v4, 1, s4
	v_cmp_lt_u32_e64 s4, 1, v7
	v_cmp_eq_u16_sdwa s3, v2, v1 src0_sel:BYTE_0 src1_sel:DWORD
	v_add_nc_u32_e32 v3, v3, v6
	v_cndmask_b32_e64 v12, v2, v4, s4
	v_cndmask_b32_e64 v4, v8, v4, s4
	s_and_b32 s3, s4, s3
	v_mov_b32_dpp v2, v3 row_shr:2 row_mask:0xf bank_mask:0xf
	v_and_b32_e32 v14, 1, v12
	v_mov_b32_dpp v8, v4 row_shr:4 row_mask:0xf bank_mask:0xf
	v_cmp_eq_u16_sdwa s4, v12, v1 src0_sel:BYTE_0 src1_sel:DWORD
	v_cndmask_b32_e64 v2, 0, v2, s3
	v_cmp_eq_u32_e64 s3, 1, v14
	v_and_b32_e32 v8, 1, v8
	v_add_nc_u32_e32 v2, v2, v3
	v_cndmask_b32_e64 v8, v8, 1, s3
	v_cmp_lt_u32_e64 s3, 3, v7
	v_cndmask_b32_e64 v3, v12, v8, s3
	v_cndmask_b32_e64 v4, v4, v8, s3
	v_mov_b32_dpp v8, v2 row_shr:4 row_mask:0xf bank_mask:0xf
	s_and_b32 s3, s3, s4
	v_and_b32_e32 v14, 1, v3
	v_mov_b32_dpp v12, v4 row_shr:8 row_mask:0xf bank_mask:0xf
	v_cndmask_b32_e64 v8, 0, v8, s3
	v_cmp_eq_u16_sdwa s4, v3, v1 src0_sel:BYTE_0 src1_sel:DWORD
	v_cmp_eq_u32_e64 s3, 1, v14
	v_and_b32_e32 v12, 1, v12
	v_add_nc_u32_e32 v2, v8, v2
	v_cndmask_b32_e64 v8, v12, 1, s3
	v_cmp_lt_u32_e64 s3, 7, v7
	v_mov_b32_dpp v7, v2 row_shr:8 row_mask:0xf bank_mask:0xf
	v_bfe_i32 v12, v20, 4, 1
	s_and_b32 s4, s3, s4
	v_cndmask_b32_e64 v4, v4, v8, s3
	v_cndmask_b32_e64 v7, 0, v7, s4
	;; [unrolled: 1-line block ×3, first 2 shown]
	s_mov_b32 s4, exec_lo
	v_add_nc_u32_e32 v2, v7, v2
	ds_swizzle_b32 v7, v4 offset:swizzle(BROADCAST,32,15)
	v_and_b32_e32 v14, 1, v3
	v_cmp_eq_u16_sdwa s3, v3, v1 src0_sel:BYTE_0 src1_sel:DWORD
	v_and_b32_e32 v3, 16, v20
	ds_swizzle_b32 v8, v2 offset:swizzle(BROADCAST,32,15)
	s_waitcnt lgkmcnt(1)
	v_and_b32_e32 v7, 1, v7
	s_waitcnt lgkmcnt(0)
	v_cndmask_b32_e64 v1, 0, v8, s3
	v_cmp_eq_u32_e64 s3, 1, v14
	v_and_b32_e32 v1, v12, v1
	v_cndmask_b32_e64 v7, v7, 1, s3
	v_cmp_eq_u32_e64 s3, 0, v3
	v_add_nc_u32_e32 v3, v1, v2
	v_cndmask_b32_e64 v4, v7, v4, s3
	v_cmpx_eq_u32_e64 v0, v22
	s_cbranch_execz .LBB964_73
; %bb.72:
	v_lshlrev_b32_e32 v1, 3, v21
	ds_write_b32 v1, v3
	ds_write_b8 v1, v4 offset:4
.LBB964_73:
	s_or_b32 exec_lo, exec_lo, s4
	s_mov_b32 s4, exec_lo
	s_waitcnt lgkmcnt(0)
	s_barrier
	buffer_gl0_inv
	v_cmpx_gt_u32_e32 8, v0
	s_cbranch_execz .LBB964_79
; %bb.74:
	ds_read_b64 v[1:2], v19
	v_and_b32_e32 v7, 7, v20
	s_mov_b32 s5, exec_lo
	s_waitcnt lgkmcnt(0)
	v_and_b32_e32 v8, 0xffffff00, v2
	v_mov_b32_dpp v14, v1 row_shr:1 row_mask:0xf bank_mask:0xf
	v_mov_b32_dpp v15, v2 row_shr:1 row_mask:0xf bank_mask:0xf
	v_mov_b32_e32 v12, v2
	v_cmpx_ne_u32_e32 0, v7
	s_cbranch_execz .LBB964_76
; %bb.75:
	v_mov_b32_e32 v12, 0
	v_and_b32_e32 v16, 1, v2
	v_and_b32_e32 v15, 1, v15
	v_cmp_eq_u16_sdwa s3, v2, v12 src0_sel:BYTE_0 src1_sel:DWORD
	v_cndmask_b32_e64 v2, 0, v14, s3
	v_cmp_eq_u32_e64 s3, 1, v16
	v_add_nc_u32_e32 v1, v2, v1
	v_cndmask_b32_e64 v14, v15, 1, s3
	v_or_b32_sdwa v12, v8, v14 dst_sel:DWORD dst_unused:UNUSED_PAD src0_sel:DWORD src1_sel:WORD_0
	v_mov_b32_e32 v2, v14
.LBB964_76:
	s_or_b32 exec_lo, exec_lo, s5
	v_mov_b32_dpp v14, v1 row_shr:2 row_mask:0xf bank_mask:0xf
	v_mov_b32_dpp v15, v12 row_shr:2 row_mask:0xf bank_mask:0xf
	s_mov_b32 s5, exec_lo
	v_cmpx_lt_u32_e32 1, v7
	s_cbranch_execz .LBB964_78
; %bb.77:
	v_mov_b32_e32 v12, 0
	v_and_b32_e32 v16, 1, v2
	v_and_b32_e32 v15, 1, v15
	v_cmp_eq_u16_sdwa s3, v2, v12 src0_sel:BYTE_0 src1_sel:DWORD
	v_cndmask_b32_e64 v2, 0, v14, s3
	v_cmp_eq_u32_e64 s3, 1, v16
	v_add_nc_u32_e32 v1, v2, v1
	v_cndmask_b32_e64 v14, v15, 1, s3
	v_or_b32_sdwa v12, v8, v14 dst_sel:DWORD dst_unused:UNUSED_PAD src0_sel:DWORD src1_sel:WORD_0
	v_mov_b32_e32 v2, v14
.LBB964_78:
	s_or_b32 exec_lo, exec_lo, s5
	v_mov_b32_dpp v8, v12 row_shr:4 row_mask:0xf bank_mask:0xf
	v_and_b32_e32 v14, 1, v2
	v_mov_b32_e32 v12, 0
	v_and_b32_e32 v8, 1, v8
	v_cmp_eq_u32_e64 s3, 1, v14
	v_cmp_eq_u16_sdwa s5, v2, v12 src0_sel:BYTE_0 src1_sel:DWORD
	v_cndmask_b32_e64 v8, v8, 1, s3
	v_cmp_lt_u32_e64 s3, 3, v7
	v_mov_b32_dpp v7, v1 row_shr:4 row_mask:0xf bank_mask:0xf
	v_cndmask_b32_e64 v2, v2, v8, s3
	s_and_b32 s3, s3, s5
	v_cndmask_b32_e64 v7, 0, v7, s3
	v_add_nc_u32_e32 v1, v7, v1
	ds_write_b32 v19, v1
	ds_write_b8 v19, v2 offset:4
.LBB964_79:
	s_or_b32 exec_lo, exec_lo, s4
	v_mov_b32_e32 v1, 0
	s_mov_b32 s4, exec_lo
	s_waitcnt lgkmcnt(0)
	s_barrier
	buffer_gl0_inv
	v_cmpx_lt_u32_e32 31, v0
	s_cbranch_execz .LBB964_81
; %bb.80:
	v_lshl_add_u32 v1, v21, 3, -8
	v_cmp_eq_u32_e64 s3, 0, v4
	ds_read_b32 v1, v1
	s_waitcnt lgkmcnt(0)
	v_cndmask_b32_e64 v2, 0, v1, s3
	v_add_nc_u32_e32 v3, v2, v3
.LBB964_81:
	s_or_b32 exec_lo, exec_lo, s4
	v_add_nc_u32_e32 v2, -1, v20
	s_mov_b32 s4, 0
	v_cmp_gt_i32_e64 s3, 0, v2
	v_cndmask_b32_e64 v2, v2, v20, s3
	v_lshlrev_b32_e32 v2, 2, v2
	ds_bpermute_b32 v2, v2, v3
	s_and_saveexec_b32 s3, s1
	s_cbranch_execz .LBB964_83
; %bb.82:
	v_cmp_eq_u32_e64 s1, 0, v20
	s_mov_b32 s5, 1
	;;#ASMSTART
	;;#ASMEND
	s_waitcnt lgkmcnt(0)
	v_cndmask_b32_e64 v1, v2, v1, s1
	v_cmp_gt_u64_e64 s1, s[4:5], v[9:10]
	v_cndmask_b32_e64 v1, 0, v1, s1
	v_add_nc_u32_e32 v9, v1, v9
	v_cndmask_b32_e32 v1, 0, v9, vcc_lo
	v_add_nc_u32_e32 v5, v1, v11
	v_cndmask_b32_e64 v1, 0, v5, s2
	v_add_nc_u32_e32 v6, v1, v13
.LBB964_83:
	s_or_b32 exec_lo, exec_lo, s3
	s_and_saveexec_b32 s1, s0
	s_cbranch_execz .LBB964_85
; %bb.84:
	v_mov_b32_e32 v4, 0
	s_add_u32 s2, s12, 0x200
	s_addc_u32 s3, s13, 0
	v_mov_b32_e32 v3, 2
	v_mov_b32_e32 v8, s3
	ds_read_b32 v1, v4 offset:56
	s_waitcnt lgkmcnt(1)
	ds_read_u8 v2, v4 offset:60
	v_mov_b32_e32 v7, s2
	s_waitcnt lgkmcnt(0)
	;;#ASMSTART
	global_store_dwordx4 v[7:8], v[1:4] off	
s_waitcnt vmcnt(0)
	;;#ASMEND
.LBB964_85:
	s_or_b32 exec_lo, exec_lo, s1
	v_mov_b32_e32 v7, v9
.LBB964_86:
	s_add_u32 s0, s20, s18
	v_mov_b32_e32 v3, 0
	s_addc_u32 s1, s21, s19
	s_add_u32 s0, s0, s8
	s_addc_u32 s1, s1, s9
	s_and_b32 vcc_lo, exec_lo, s15
	s_cbranch_vccz .LBB964_98
; %bb.87:
	v_mul_u32_u24_e32 v1, 3, v0
	v_mov_b32_e32 v4, 0
	s_waitcnt lgkmcnt(0)
	v_mov_b32_e32 v2, 0
	s_add_i32 s30, s30, s14
	s_mov_b32 s2, exec_lo
	v_cmpx_gt_u32_e64 s30, v1
	s_cbranch_execz .LBB964_93
; %bb.88:
	v_add_nc_u32_e32 v3, 1, v1
	v_mov_b32_e32 v2, 0
	v_mov_b32_e32 v4, 0
	s_mov_b32 s3, exec_lo
	v_cmpx_gt_u32_e64 s30, v3
	s_cbranch_execz .LBB964_92
; %bb.89:
	v_add_nc_u32_e32 v2, 2, v1
	v_cmp_gt_u32_e32 vcc_lo, s30, v2
	v_mov_b32_e32 v2, 0
	s_and_saveexec_b32 s4, vcc_lo
; %bb.90:
	v_mov_b32_e32 v2, v6
; %bb.91:
	s_or_b32 exec_lo, exec_lo, s4
	v_mov_b32_e32 v4, v5
.LBB964_92:
	s_or_b32 exec_lo, exec_lo, s3
	v_mov_b32_e32 v3, v7
.LBB964_93:
	s_or_b32 exec_lo, exec_lo, s2
	v_lshlrev_b32_e32 v8, 2, v1
	s_barrier
	buffer_gl0_inv
	v_sub_nc_u32_e32 v1, v8, v19
	ds_write2_b32 v8, v3, v4 offset1:1
	ds_write_b32 v8, v2 offset:8
	s_waitcnt lgkmcnt(0)
	s_barrier
	buffer_gl0_inv
	ds_read2st64_b32 v[1:2], v1 offset0:4 offset1:8
	v_add_co_u32 v3, s2, s0, v18
	v_add_co_ci_u32_e64 v4, null, s1, 0, s2
	s_mov_b32 s2, exec_lo
	v_cmpx_gt_u32_e64 s30, v0
	s_cbranch_execz .LBB964_95
; %bb.94:
	v_sub_nc_u32_e32 v9, 0, v19
	v_add_nc_u32_e32 v8, v8, v9
	ds_read_b32 v8, v8
	s_waitcnt lgkmcnt(0)
	flat_store_dword v[3:4], v8
.LBB964_95:
	s_or_b32 exec_lo, exec_lo, s2
	v_or_b32_e32 v8, 0x100, v0
	s_mov_b32 s2, exec_lo
	v_cmpx_gt_u32_e64 s30, v8
	s_cbranch_execz .LBB964_97
; %bb.96:
	s_waitcnt lgkmcnt(0)
	flat_store_dword v[3:4], v1 offset:1024
.LBB964_97:
	s_or_b32 exec_lo, exec_lo, s2
	s_waitcnt lgkmcnt(0)
	v_or_b32_e32 v1, 0x200, v0
	v_cmp_gt_u32_e64 s2, s30, v1
	s_branch .LBB964_100
.LBB964_98:
	s_mov_b32 s2, 0
                                        ; implicit-def: $vgpr2
	s_cbranch_execz .LBB964_100
; %bb.99:
	v_mul_u32_u24_e32 v1, 12, v0
	s_waitcnt lgkmcnt(0)
	s_waitcnt_vscnt null, 0x0
	s_barrier
	buffer_gl0_inv
	s_or_b32 s2, s2, exec_lo
	v_sub_nc_u32_e32 v2, v1, v19
	ds_write2_b32 v1, v7, v5 offset1:1
	ds_write_b32 v1, v6 offset:8
	s_waitcnt lgkmcnt(0)
	s_barrier
	buffer_gl0_inv
	ds_read2st64_b32 v[3:4], v2 offset1:4
	ds_read_b32 v2, v2 offset:2048
	v_add_co_u32 v5, s3, s0, v18
	v_add_co_ci_u32_e64 v6, null, s1, 0, s3
	s_waitcnt lgkmcnt(1)
	flat_store_dword v[5:6], v3
	flat_store_dword v[5:6], v4 offset:1024
.LBB964_100:
	s_and_saveexec_b32 s3, s2
	s_cbranch_execnz .LBB964_102
; %bb.101:
	s_endpgm
.LBB964_102:
	v_lshlrev_b32_e32 v0, 2, v0
	v_add_co_u32 v0, s0, s0, v0
	v_add_co_ci_u32_e64 v1, null, s1, 0, s0
	v_add_co_u32 v0, vcc_lo, 0x800, v0
	v_add_co_ci_u32_e64 v1, null, 0, v1, vcc_lo
	s_waitcnt lgkmcnt(0)
	flat_store_dword v[0:1], v2
	s_endpgm
.LBB964_103:
	global_load_dword v2, v9, s[16:17]
	v_mov_b32_e32 v11, v1
	v_mov_b32_e32 v12, v1
	s_waitcnt vmcnt(0)
	v_sub_nc_u32_e32 v10, 0, v2
	v_mov_b32_e32 v1, v10
	v_mov_b32_e32 v2, v11
	;; [unrolled: 1-line block ×3, first 2 shown]
	s_or_b32 exec_lo, exec_lo, s28
	s_and_saveexec_b32 s2, s3
	s_cbranch_execz .LBB964_19
.LBB964_104:
	global_load_dword v2, v9, s[16:17] offset:1024
	s_waitcnt vmcnt(0)
	v_sub_nc_u32_e32 v2, 0, v2
	s_or_b32 exec_lo, exec_lo, s2
	s_and_saveexec_b32 s2, s4
	s_cbranch_execnz .LBB964_20
	s_branch .LBB964_21
.LBB964_105:
                                        ; implicit-def: $sgpr28_sgpr29
	s_branch .LBB964_14
.LBB964_106:
                                        ; implicit-def: $sgpr2_sgpr3
	s_branch .LBB964_30
	.section	.rodata,"a",@progbits
	.p2align	6, 0x0
	.amdhsa_kernel _ZN7rocprim17ROCPRIM_400000_NS6detail17trampoline_kernelINS0_14default_configENS1_27scan_by_key_config_selectorIiiEEZZNS1_16scan_by_key_implILNS1_25lookback_scan_determinismE0ELb0ES3_N6thrust23THRUST_200600_302600_NS6detail15normal_iteratorINS9_10device_ptrIiEEEENS9_18transform_iteratorINS9_6negateIiEESE_NS9_11use_defaultESI_EESE_iNS9_4plusIvEENS9_8equal_toIvEEiEE10hipError_tPvRmT2_T3_T4_T5_mT6_T7_P12ihipStream_tbENKUlT_T0_E_clISt17integral_constantIbLb0EES13_IbLb1EEEEDaSZ_S10_EUlSZ_E_NS1_11comp_targetILNS1_3genE8ELNS1_11target_archE1030ELNS1_3gpuE2ELNS1_3repE0EEENS1_30default_config_static_selectorELNS0_4arch9wavefront6targetE0EEEvT1_
		.amdhsa_group_segment_fixed_size 5120
		.amdhsa_private_segment_fixed_size 0
		.amdhsa_kernarg_size 120
		.amdhsa_user_sgpr_count 6
		.amdhsa_user_sgpr_private_segment_buffer 1
		.amdhsa_user_sgpr_dispatch_ptr 0
		.amdhsa_user_sgpr_queue_ptr 0
		.amdhsa_user_sgpr_kernarg_segment_ptr 1
		.amdhsa_user_sgpr_dispatch_id 0
		.amdhsa_user_sgpr_flat_scratch_init 0
		.amdhsa_user_sgpr_private_segment_size 0
		.amdhsa_wavefront_size32 1
		.amdhsa_uses_dynamic_stack 0
		.amdhsa_system_sgpr_private_segment_wavefront_offset 0
		.amdhsa_system_sgpr_workgroup_id_x 1
		.amdhsa_system_sgpr_workgroup_id_y 0
		.amdhsa_system_sgpr_workgroup_id_z 0
		.amdhsa_system_sgpr_workgroup_info 0
		.amdhsa_system_vgpr_workitem_id 0
		.amdhsa_next_free_vgpr 42
		.amdhsa_next_free_sgpr 34
		.amdhsa_reserve_vcc 1
		.amdhsa_reserve_flat_scratch 1
		.amdhsa_float_round_mode_32 0
		.amdhsa_float_round_mode_16_64 0
		.amdhsa_float_denorm_mode_32 3
		.amdhsa_float_denorm_mode_16_64 3
		.amdhsa_dx10_clamp 1
		.amdhsa_ieee_mode 1
		.amdhsa_fp16_overflow 0
		.amdhsa_workgroup_processor_mode 1
		.amdhsa_memory_ordered 1
		.amdhsa_forward_progress 1
		.amdhsa_shared_vgpr_count 0
		.amdhsa_exception_fp_ieee_invalid_op 0
		.amdhsa_exception_fp_denorm_src 0
		.amdhsa_exception_fp_ieee_div_zero 0
		.amdhsa_exception_fp_ieee_overflow 0
		.amdhsa_exception_fp_ieee_underflow 0
		.amdhsa_exception_fp_ieee_inexact 0
		.amdhsa_exception_int_div_zero 0
	.end_amdhsa_kernel
	.section	.text._ZN7rocprim17ROCPRIM_400000_NS6detail17trampoline_kernelINS0_14default_configENS1_27scan_by_key_config_selectorIiiEEZZNS1_16scan_by_key_implILNS1_25lookback_scan_determinismE0ELb0ES3_N6thrust23THRUST_200600_302600_NS6detail15normal_iteratorINS9_10device_ptrIiEEEENS9_18transform_iteratorINS9_6negateIiEESE_NS9_11use_defaultESI_EESE_iNS9_4plusIvEENS9_8equal_toIvEEiEE10hipError_tPvRmT2_T3_T4_T5_mT6_T7_P12ihipStream_tbENKUlT_T0_E_clISt17integral_constantIbLb0EES13_IbLb1EEEEDaSZ_S10_EUlSZ_E_NS1_11comp_targetILNS1_3genE8ELNS1_11target_archE1030ELNS1_3gpuE2ELNS1_3repE0EEENS1_30default_config_static_selectorELNS0_4arch9wavefront6targetE0EEEvT1_,"axG",@progbits,_ZN7rocprim17ROCPRIM_400000_NS6detail17trampoline_kernelINS0_14default_configENS1_27scan_by_key_config_selectorIiiEEZZNS1_16scan_by_key_implILNS1_25lookback_scan_determinismE0ELb0ES3_N6thrust23THRUST_200600_302600_NS6detail15normal_iteratorINS9_10device_ptrIiEEEENS9_18transform_iteratorINS9_6negateIiEESE_NS9_11use_defaultESI_EESE_iNS9_4plusIvEENS9_8equal_toIvEEiEE10hipError_tPvRmT2_T3_T4_T5_mT6_T7_P12ihipStream_tbENKUlT_T0_E_clISt17integral_constantIbLb0EES13_IbLb1EEEEDaSZ_S10_EUlSZ_E_NS1_11comp_targetILNS1_3genE8ELNS1_11target_archE1030ELNS1_3gpuE2ELNS1_3repE0EEENS1_30default_config_static_selectorELNS0_4arch9wavefront6targetE0EEEvT1_,comdat
.Lfunc_end964:
	.size	_ZN7rocprim17ROCPRIM_400000_NS6detail17trampoline_kernelINS0_14default_configENS1_27scan_by_key_config_selectorIiiEEZZNS1_16scan_by_key_implILNS1_25lookback_scan_determinismE0ELb0ES3_N6thrust23THRUST_200600_302600_NS6detail15normal_iteratorINS9_10device_ptrIiEEEENS9_18transform_iteratorINS9_6negateIiEESE_NS9_11use_defaultESI_EESE_iNS9_4plusIvEENS9_8equal_toIvEEiEE10hipError_tPvRmT2_T3_T4_T5_mT6_T7_P12ihipStream_tbENKUlT_T0_E_clISt17integral_constantIbLb0EES13_IbLb1EEEEDaSZ_S10_EUlSZ_E_NS1_11comp_targetILNS1_3genE8ELNS1_11target_archE1030ELNS1_3gpuE2ELNS1_3repE0EEENS1_30default_config_static_selectorELNS0_4arch9wavefront6targetE0EEEvT1_, .Lfunc_end964-_ZN7rocprim17ROCPRIM_400000_NS6detail17trampoline_kernelINS0_14default_configENS1_27scan_by_key_config_selectorIiiEEZZNS1_16scan_by_key_implILNS1_25lookback_scan_determinismE0ELb0ES3_N6thrust23THRUST_200600_302600_NS6detail15normal_iteratorINS9_10device_ptrIiEEEENS9_18transform_iteratorINS9_6negateIiEESE_NS9_11use_defaultESI_EESE_iNS9_4plusIvEENS9_8equal_toIvEEiEE10hipError_tPvRmT2_T3_T4_T5_mT6_T7_P12ihipStream_tbENKUlT_T0_E_clISt17integral_constantIbLb0EES13_IbLb1EEEEDaSZ_S10_EUlSZ_E_NS1_11comp_targetILNS1_3genE8ELNS1_11target_archE1030ELNS1_3gpuE2ELNS1_3repE0EEENS1_30default_config_static_selectorELNS0_4arch9wavefront6targetE0EEEvT1_
                                        ; -- End function
	.set _ZN7rocprim17ROCPRIM_400000_NS6detail17trampoline_kernelINS0_14default_configENS1_27scan_by_key_config_selectorIiiEEZZNS1_16scan_by_key_implILNS1_25lookback_scan_determinismE0ELb0ES3_N6thrust23THRUST_200600_302600_NS6detail15normal_iteratorINS9_10device_ptrIiEEEENS9_18transform_iteratorINS9_6negateIiEESE_NS9_11use_defaultESI_EESE_iNS9_4plusIvEENS9_8equal_toIvEEiEE10hipError_tPvRmT2_T3_T4_T5_mT6_T7_P12ihipStream_tbENKUlT_T0_E_clISt17integral_constantIbLb0EES13_IbLb1EEEEDaSZ_S10_EUlSZ_E_NS1_11comp_targetILNS1_3genE8ELNS1_11target_archE1030ELNS1_3gpuE2ELNS1_3repE0EEENS1_30default_config_static_selectorELNS0_4arch9wavefront6targetE0EEEvT1_.num_vgpr, 42
	.set _ZN7rocprim17ROCPRIM_400000_NS6detail17trampoline_kernelINS0_14default_configENS1_27scan_by_key_config_selectorIiiEEZZNS1_16scan_by_key_implILNS1_25lookback_scan_determinismE0ELb0ES3_N6thrust23THRUST_200600_302600_NS6detail15normal_iteratorINS9_10device_ptrIiEEEENS9_18transform_iteratorINS9_6negateIiEESE_NS9_11use_defaultESI_EESE_iNS9_4plusIvEENS9_8equal_toIvEEiEE10hipError_tPvRmT2_T3_T4_T5_mT6_T7_P12ihipStream_tbENKUlT_T0_E_clISt17integral_constantIbLb0EES13_IbLb1EEEEDaSZ_S10_EUlSZ_E_NS1_11comp_targetILNS1_3genE8ELNS1_11target_archE1030ELNS1_3gpuE2ELNS1_3repE0EEENS1_30default_config_static_selectorELNS0_4arch9wavefront6targetE0EEEvT1_.num_agpr, 0
	.set _ZN7rocprim17ROCPRIM_400000_NS6detail17trampoline_kernelINS0_14default_configENS1_27scan_by_key_config_selectorIiiEEZZNS1_16scan_by_key_implILNS1_25lookback_scan_determinismE0ELb0ES3_N6thrust23THRUST_200600_302600_NS6detail15normal_iteratorINS9_10device_ptrIiEEEENS9_18transform_iteratorINS9_6negateIiEESE_NS9_11use_defaultESI_EESE_iNS9_4plusIvEENS9_8equal_toIvEEiEE10hipError_tPvRmT2_T3_T4_T5_mT6_T7_P12ihipStream_tbENKUlT_T0_E_clISt17integral_constantIbLb0EES13_IbLb1EEEEDaSZ_S10_EUlSZ_E_NS1_11comp_targetILNS1_3genE8ELNS1_11target_archE1030ELNS1_3gpuE2ELNS1_3repE0EEENS1_30default_config_static_selectorELNS0_4arch9wavefront6targetE0EEEvT1_.numbered_sgpr, 34
	.set _ZN7rocprim17ROCPRIM_400000_NS6detail17trampoline_kernelINS0_14default_configENS1_27scan_by_key_config_selectorIiiEEZZNS1_16scan_by_key_implILNS1_25lookback_scan_determinismE0ELb0ES3_N6thrust23THRUST_200600_302600_NS6detail15normal_iteratorINS9_10device_ptrIiEEEENS9_18transform_iteratorINS9_6negateIiEESE_NS9_11use_defaultESI_EESE_iNS9_4plusIvEENS9_8equal_toIvEEiEE10hipError_tPvRmT2_T3_T4_T5_mT6_T7_P12ihipStream_tbENKUlT_T0_E_clISt17integral_constantIbLb0EES13_IbLb1EEEEDaSZ_S10_EUlSZ_E_NS1_11comp_targetILNS1_3genE8ELNS1_11target_archE1030ELNS1_3gpuE2ELNS1_3repE0EEENS1_30default_config_static_selectorELNS0_4arch9wavefront6targetE0EEEvT1_.num_named_barrier, 0
	.set _ZN7rocprim17ROCPRIM_400000_NS6detail17trampoline_kernelINS0_14default_configENS1_27scan_by_key_config_selectorIiiEEZZNS1_16scan_by_key_implILNS1_25lookback_scan_determinismE0ELb0ES3_N6thrust23THRUST_200600_302600_NS6detail15normal_iteratorINS9_10device_ptrIiEEEENS9_18transform_iteratorINS9_6negateIiEESE_NS9_11use_defaultESI_EESE_iNS9_4plusIvEENS9_8equal_toIvEEiEE10hipError_tPvRmT2_T3_T4_T5_mT6_T7_P12ihipStream_tbENKUlT_T0_E_clISt17integral_constantIbLb0EES13_IbLb1EEEEDaSZ_S10_EUlSZ_E_NS1_11comp_targetILNS1_3genE8ELNS1_11target_archE1030ELNS1_3gpuE2ELNS1_3repE0EEENS1_30default_config_static_selectorELNS0_4arch9wavefront6targetE0EEEvT1_.private_seg_size, 0
	.set _ZN7rocprim17ROCPRIM_400000_NS6detail17trampoline_kernelINS0_14default_configENS1_27scan_by_key_config_selectorIiiEEZZNS1_16scan_by_key_implILNS1_25lookback_scan_determinismE0ELb0ES3_N6thrust23THRUST_200600_302600_NS6detail15normal_iteratorINS9_10device_ptrIiEEEENS9_18transform_iteratorINS9_6negateIiEESE_NS9_11use_defaultESI_EESE_iNS9_4plusIvEENS9_8equal_toIvEEiEE10hipError_tPvRmT2_T3_T4_T5_mT6_T7_P12ihipStream_tbENKUlT_T0_E_clISt17integral_constantIbLb0EES13_IbLb1EEEEDaSZ_S10_EUlSZ_E_NS1_11comp_targetILNS1_3genE8ELNS1_11target_archE1030ELNS1_3gpuE2ELNS1_3repE0EEENS1_30default_config_static_selectorELNS0_4arch9wavefront6targetE0EEEvT1_.uses_vcc, 1
	.set _ZN7rocprim17ROCPRIM_400000_NS6detail17trampoline_kernelINS0_14default_configENS1_27scan_by_key_config_selectorIiiEEZZNS1_16scan_by_key_implILNS1_25lookback_scan_determinismE0ELb0ES3_N6thrust23THRUST_200600_302600_NS6detail15normal_iteratorINS9_10device_ptrIiEEEENS9_18transform_iteratorINS9_6negateIiEESE_NS9_11use_defaultESI_EESE_iNS9_4plusIvEENS9_8equal_toIvEEiEE10hipError_tPvRmT2_T3_T4_T5_mT6_T7_P12ihipStream_tbENKUlT_T0_E_clISt17integral_constantIbLb0EES13_IbLb1EEEEDaSZ_S10_EUlSZ_E_NS1_11comp_targetILNS1_3genE8ELNS1_11target_archE1030ELNS1_3gpuE2ELNS1_3repE0EEENS1_30default_config_static_selectorELNS0_4arch9wavefront6targetE0EEEvT1_.uses_flat_scratch, 1
	.set _ZN7rocprim17ROCPRIM_400000_NS6detail17trampoline_kernelINS0_14default_configENS1_27scan_by_key_config_selectorIiiEEZZNS1_16scan_by_key_implILNS1_25lookback_scan_determinismE0ELb0ES3_N6thrust23THRUST_200600_302600_NS6detail15normal_iteratorINS9_10device_ptrIiEEEENS9_18transform_iteratorINS9_6negateIiEESE_NS9_11use_defaultESI_EESE_iNS9_4plusIvEENS9_8equal_toIvEEiEE10hipError_tPvRmT2_T3_T4_T5_mT6_T7_P12ihipStream_tbENKUlT_T0_E_clISt17integral_constantIbLb0EES13_IbLb1EEEEDaSZ_S10_EUlSZ_E_NS1_11comp_targetILNS1_3genE8ELNS1_11target_archE1030ELNS1_3gpuE2ELNS1_3repE0EEENS1_30default_config_static_selectorELNS0_4arch9wavefront6targetE0EEEvT1_.has_dyn_sized_stack, 0
	.set _ZN7rocprim17ROCPRIM_400000_NS6detail17trampoline_kernelINS0_14default_configENS1_27scan_by_key_config_selectorIiiEEZZNS1_16scan_by_key_implILNS1_25lookback_scan_determinismE0ELb0ES3_N6thrust23THRUST_200600_302600_NS6detail15normal_iteratorINS9_10device_ptrIiEEEENS9_18transform_iteratorINS9_6negateIiEESE_NS9_11use_defaultESI_EESE_iNS9_4plusIvEENS9_8equal_toIvEEiEE10hipError_tPvRmT2_T3_T4_T5_mT6_T7_P12ihipStream_tbENKUlT_T0_E_clISt17integral_constantIbLb0EES13_IbLb1EEEEDaSZ_S10_EUlSZ_E_NS1_11comp_targetILNS1_3genE8ELNS1_11target_archE1030ELNS1_3gpuE2ELNS1_3repE0EEENS1_30default_config_static_selectorELNS0_4arch9wavefront6targetE0EEEvT1_.has_recursion, 0
	.set _ZN7rocprim17ROCPRIM_400000_NS6detail17trampoline_kernelINS0_14default_configENS1_27scan_by_key_config_selectorIiiEEZZNS1_16scan_by_key_implILNS1_25lookback_scan_determinismE0ELb0ES3_N6thrust23THRUST_200600_302600_NS6detail15normal_iteratorINS9_10device_ptrIiEEEENS9_18transform_iteratorINS9_6negateIiEESE_NS9_11use_defaultESI_EESE_iNS9_4plusIvEENS9_8equal_toIvEEiEE10hipError_tPvRmT2_T3_T4_T5_mT6_T7_P12ihipStream_tbENKUlT_T0_E_clISt17integral_constantIbLb0EES13_IbLb1EEEEDaSZ_S10_EUlSZ_E_NS1_11comp_targetILNS1_3genE8ELNS1_11target_archE1030ELNS1_3gpuE2ELNS1_3repE0EEENS1_30default_config_static_selectorELNS0_4arch9wavefront6targetE0EEEvT1_.has_indirect_call, 0
	.section	.AMDGPU.csdata,"",@progbits
; Kernel info:
; codeLenInByte = 6336
; TotalNumSgprs: 36
; NumVgprs: 42
; ScratchSize: 0
; MemoryBound: 0
; FloatMode: 240
; IeeeMode: 1
; LDSByteSize: 5120 bytes/workgroup (compile time only)
; SGPRBlocks: 0
; VGPRBlocks: 5
; NumSGPRsForWavesPerEU: 36
; NumVGPRsForWavesPerEU: 42
; Occupancy: 16
; WaveLimiterHint : 1
; COMPUTE_PGM_RSRC2:SCRATCH_EN: 0
; COMPUTE_PGM_RSRC2:USER_SGPR: 6
; COMPUTE_PGM_RSRC2:TRAP_HANDLER: 0
; COMPUTE_PGM_RSRC2:TGID_X_EN: 1
; COMPUTE_PGM_RSRC2:TGID_Y_EN: 0
; COMPUTE_PGM_RSRC2:TGID_Z_EN: 0
; COMPUTE_PGM_RSRC2:TIDIG_COMP_CNT: 0
	.section	.text._ZN7rocprim17ROCPRIM_400000_NS6detail17trampoline_kernelINS0_14default_configENS1_27scan_by_key_config_selectorIssEEZZNS1_16scan_by_key_implILNS1_25lookback_scan_determinismE0ELb0ES3_N6thrust23THRUST_200600_302600_NS6detail15normal_iteratorINS9_10device_ptrIsEEEENS9_18transform_iteratorINS9_6negateIsEESE_NS9_11use_defaultESI_EESE_sNS9_4plusIvEENS9_8equal_toIvEEsEE10hipError_tPvRmT2_T3_T4_T5_mT6_T7_P12ihipStream_tbENKUlT_T0_E_clISt17integral_constantIbLb0EES14_EEDaSZ_S10_EUlSZ_E_NS1_11comp_targetILNS1_3genE0ELNS1_11target_archE4294967295ELNS1_3gpuE0ELNS1_3repE0EEENS1_30default_config_static_selectorELNS0_4arch9wavefront6targetE0EEEvT1_,"axG",@progbits,_ZN7rocprim17ROCPRIM_400000_NS6detail17trampoline_kernelINS0_14default_configENS1_27scan_by_key_config_selectorIssEEZZNS1_16scan_by_key_implILNS1_25lookback_scan_determinismE0ELb0ES3_N6thrust23THRUST_200600_302600_NS6detail15normal_iteratorINS9_10device_ptrIsEEEENS9_18transform_iteratorINS9_6negateIsEESE_NS9_11use_defaultESI_EESE_sNS9_4plusIvEENS9_8equal_toIvEEsEE10hipError_tPvRmT2_T3_T4_T5_mT6_T7_P12ihipStream_tbENKUlT_T0_E_clISt17integral_constantIbLb0EES14_EEDaSZ_S10_EUlSZ_E_NS1_11comp_targetILNS1_3genE0ELNS1_11target_archE4294967295ELNS1_3gpuE0ELNS1_3repE0EEENS1_30default_config_static_selectorELNS0_4arch9wavefront6targetE0EEEvT1_,comdat
	.protected	_ZN7rocprim17ROCPRIM_400000_NS6detail17trampoline_kernelINS0_14default_configENS1_27scan_by_key_config_selectorIssEEZZNS1_16scan_by_key_implILNS1_25lookback_scan_determinismE0ELb0ES3_N6thrust23THRUST_200600_302600_NS6detail15normal_iteratorINS9_10device_ptrIsEEEENS9_18transform_iteratorINS9_6negateIsEESE_NS9_11use_defaultESI_EESE_sNS9_4plusIvEENS9_8equal_toIvEEsEE10hipError_tPvRmT2_T3_T4_T5_mT6_T7_P12ihipStream_tbENKUlT_T0_E_clISt17integral_constantIbLb0EES14_EEDaSZ_S10_EUlSZ_E_NS1_11comp_targetILNS1_3genE0ELNS1_11target_archE4294967295ELNS1_3gpuE0ELNS1_3repE0EEENS1_30default_config_static_selectorELNS0_4arch9wavefront6targetE0EEEvT1_ ; -- Begin function _ZN7rocprim17ROCPRIM_400000_NS6detail17trampoline_kernelINS0_14default_configENS1_27scan_by_key_config_selectorIssEEZZNS1_16scan_by_key_implILNS1_25lookback_scan_determinismE0ELb0ES3_N6thrust23THRUST_200600_302600_NS6detail15normal_iteratorINS9_10device_ptrIsEEEENS9_18transform_iteratorINS9_6negateIsEESE_NS9_11use_defaultESI_EESE_sNS9_4plusIvEENS9_8equal_toIvEEsEE10hipError_tPvRmT2_T3_T4_T5_mT6_T7_P12ihipStream_tbENKUlT_T0_E_clISt17integral_constantIbLb0EES14_EEDaSZ_S10_EUlSZ_E_NS1_11comp_targetILNS1_3genE0ELNS1_11target_archE4294967295ELNS1_3gpuE0ELNS1_3repE0EEENS1_30default_config_static_selectorELNS0_4arch9wavefront6targetE0EEEvT1_
	.globl	_ZN7rocprim17ROCPRIM_400000_NS6detail17trampoline_kernelINS0_14default_configENS1_27scan_by_key_config_selectorIssEEZZNS1_16scan_by_key_implILNS1_25lookback_scan_determinismE0ELb0ES3_N6thrust23THRUST_200600_302600_NS6detail15normal_iteratorINS9_10device_ptrIsEEEENS9_18transform_iteratorINS9_6negateIsEESE_NS9_11use_defaultESI_EESE_sNS9_4plusIvEENS9_8equal_toIvEEsEE10hipError_tPvRmT2_T3_T4_T5_mT6_T7_P12ihipStream_tbENKUlT_T0_E_clISt17integral_constantIbLb0EES14_EEDaSZ_S10_EUlSZ_E_NS1_11comp_targetILNS1_3genE0ELNS1_11target_archE4294967295ELNS1_3gpuE0ELNS1_3repE0EEENS1_30default_config_static_selectorELNS0_4arch9wavefront6targetE0EEEvT1_
	.p2align	8
	.type	_ZN7rocprim17ROCPRIM_400000_NS6detail17trampoline_kernelINS0_14default_configENS1_27scan_by_key_config_selectorIssEEZZNS1_16scan_by_key_implILNS1_25lookback_scan_determinismE0ELb0ES3_N6thrust23THRUST_200600_302600_NS6detail15normal_iteratorINS9_10device_ptrIsEEEENS9_18transform_iteratorINS9_6negateIsEESE_NS9_11use_defaultESI_EESE_sNS9_4plusIvEENS9_8equal_toIvEEsEE10hipError_tPvRmT2_T3_T4_T5_mT6_T7_P12ihipStream_tbENKUlT_T0_E_clISt17integral_constantIbLb0EES14_EEDaSZ_S10_EUlSZ_E_NS1_11comp_targetILNS1_3genE0ELNS1_11target_archE4294967295ELNS1_3gpuE0ELNS1_3repE0EEENS1_30default_config_static_selectorELNS0_4arch9wavefront6targetE0EEEvT1_,@function
_ZN7rocprim17ROCPRIM_400000_NS6detail17trampoline_kernelINS0_14default_configENS1_27scan_by_key_config_selectorIssEEZZNS1_16scan_by_key_implILNS1_25lookback_scan_determinismE0ELb0ES3_N6thrust23THRUST_200600_302600_NS6detail15normal_iteratorINS9_10device_ptrIsEEEENS9_18transform_iteratorINS9_6negateIsEESE_NS9_11use_defaultESI_EESE_sNS9_4plusIvEENS9_8equal_toIvEEsEE10hipError_tPvRmT2_T3_T4_T5_mT6_T7_P12ihipStream_tbENKUlT_T0_E_clISt17integral_constantIbLb0EES14_EEDaSZ_S10_EUlSZ_E_NS1_11comp_targetILNS1_3genE0ELNS1_11target_archE4294967295ELNS1_3gpuE0ELNS1_3repE0EEENS1_30default_config_static_selectorELNS0_4arch9wavefront6targetE0EEEvT1_: ; @_ZN7rocprim17ROCPRIM_400000_NS6detail17trampoline_kernelINS0_14default_configENS1_27scan_by_key_config_selectorIssEEZZNS1_16scan_by_key_implILNS1_25lookback_scan_determinismE0ELb0ES3_N6thrust23THRUST_200600_302600_NS6detail15normal_iteratorINS9_10device_ptrIsEEEENS9_18transform_iteratorINS9_6negateIsEESE_NS9_11use_defaultESI_EESE_sNS9_4plusIvEENS9_8equal_toIvEEsEE10hipError_tPvRmT2_T3_T4_T5_mT6_T7_P12ihipStream_tbENKUlT_T0_E_clISt17integral_constantIbLb0EES14_EEDaSZ_S10_EUlSZ_E_NS1_11comp_targetILNS1_3genE0ELNS1_11target_archE4294967295ELNS1_3gpuE0ELNS1_3repE0EEENS1_30default_config_static_selectorELNS0_4arch9wavefront6targetE0EEEvT1_
; %bb.0:
	.section	.rodata,"a",@progbits
	.p2align	6, 0x0
	.amdhsa_kernel _ZN7rocprim17ROCPRIM_400000_NS6detail17trampoline_kernelINS0_14default_configENS1_27scan_by_key_config_selectorIssEEZZNS1_16scan_by_key_implILNS1_25lookback_scan_determinismE0ELb0ES3_N6thrust23THRUST_200600_302600_NS6detail15normal_iteratorINS9_10device_ptrIsEEEENS9_18transform_iteratorINS9_6negateIsEESE_NS9_11use_defaultESI_EESE_sNS9_4plusIvEENS9_8equal_toIvEEsEE10hipError_tPvRmT2_T3_T4_T5_mT6_T7_P12ihipStream_tbENKUlT_T0_E_clISt17integral_constantIbLb0EES14_EEDaSZ_S10_EUlSZ_E_NS1_11comp_targetILNS1_3genE0ELNS1_11target_archE4294967295ELNS1_3gpuE0ELNS1_3repE0EEENS1_30default_config_static_selectorELNS0_4arch9wavefront6targetE0EEEvT1_
		.amdhsa_group_segment_fixed_size 0
		.amdhsa_private_segment_fixed_size 0
		.amdhsa_kernarg_size 120
		.amdhsa_user_sgpr_count 6
		.amdhsa_user_sgpr_private_segment_buffer 1
		.amdhsa_user_sgpr_dispatch_ptr 0
		.amdhsa_user_sgpr_queue_ptr 0
		.amdhsa_user_sgpr_kernarg_segment_ptr 1
		.amdhsa_user_sgpr_dispatch_id 0
		.amdhsa_user_sgpr_flat_scratch_init 0
		.amdhsa_user_sgpr_private_segment_size 0
		.amdhsa_wavefront_size32 1
		.amdhsa_uses_dynamic_stack 0
		.amdhsa_system_sgpr_private_segment_wavefront_offset 0
		.amdhsa_system_sgpr_workgroup_id_x 1
		.amdhsa_system_sgpr_workgroup_id_y 0
		.amdhsa_system_sgpr_workgroup_id_z 0
		.amdhsa_system_sgpr_workgroup_info 0
		.amdhsa_system_vgpr_workitem_id 0
		.amdhsa_next_free_vgpr 1
		.amdhsa_next_free_sgpr 1
		.amdhsa_reserve_vcc 0
		.amdhsa_reserve_flat_scratch 0
		.amdhsa_float_round_mode_32 0
		.amdhsa_float_round_mode_16_64 0
		.amdhsa_float_denorm_mode_32 3
		.amdhsa_float_denorm_mode_16_64 3
		.amdhsa_dx10_clamp 1
		.amdhsa_ieee_mode 1
		.amdhsa_fp16_overflow 0
		.amdhsa_workgroup_processor_mode 1
		.amdhsa_memory_ordered 1
		.amdhsa_forward_progress 1
		.amdhsa_shared_vgpr_count 0
		.amdhsa_exception_fp_ieee_invalid_op 0
		.amdhsa_exception_fp_denorm_src 0
		.amdhsa_exception_fp_ieee_div_zero 0
		.amdhsa_exception_fp_ieee_overflow 0
		.amdhsa_exception_fp_ieee_underflow 0
		.amdhsa_exception_fp_ieee_inexact 0
		.amdhsa_exception_int_div_zero 0
	.end_amdhsa_kernel
	.section	.text._ZN7rocprim17ROCPRIM_400000_NS6detail17trampoline_kernelINS0_14default_configENS1_27scan_by_key_config_selectorIssEEZZNS1_16scan_by_key_implILNS1_25lookback_scan_determinismE0ELb0ES3_N6thrust23THRUST_200600_302600_NS6detail15normal_iteratorINS9_10device_ptrIsEEEENS9_18transform_iteratorINS9_6negateIsEESE_NS9_11use_defaultESI_EESE_sNS9_4plusIvEENS9_8equal_toIvEEsEE10hipError_tPvRmT2_T3_T4_T5_mT6_T7_P12ihipStream_tbENKUlT_T0_E_clISt17integral_constantIbLb0EES14_EEDaSZ_S10_EUlSZ_E_NS1_11comp_targetILNS1_3genE0ELNS1_11target_archE4294967295ELNS1_3gpuE0ELNS1_3repE0EEENS1_30default_config_static_selectorELNS0_4arch9wavefront6targetE0EEEvT1_,"axG",@progbits,_ZN7rocprim17ROCPRIM_400000_NS6detail17trampoline_kernelINS0_14default_configENS1_27scan_by_key_config_selectorIssEEZZNS1_16scan_by_key_implILNS1_25lookback_scan_determinismE0ELb0ES3_N6thrust23THRUST_200600_302600_NS6detail15normal_iteratorINS9_10device_ptrIsEEEENS9_18transform_iteratorINS9_6negateIsEESE_NS9_11use_defaultESI_EESE_sNS9_4plusIvEENS9_8equal_toIvEEsEE10hipError_tPvRmT2_T3_T4_T5_mT6_T7_P12ihipStream_tbENKUlT_T0_E_clISt17integral_constantIbLb0EES14_EEDaSZ_S10_EUlSZ_E_NS1_11comp_targetILNS1_3genE0ELNS1_11target_archE4294967295ELNS1_3gpuE0ELNS1_3repE0EEENS1_30default_config_static_selectorELNS0_4arch9wavefront6targetE0EEEvT1_,comdat
.Lfunc_end965:
	.size	_ZN7rocprim17ROCPRIM_400000_NS6detail17trampoline_kernelINS0_14default_configENS1_27scan_by_key_config_selectorIssEEZZNS1_16scan_by_key_implILNS1_25lookback_scan_determinismE0ELb0ES3_N6thrust23THRUST_200600_302600_NS6detail15normal_iteratorINS9_10device_ptrIsEEEENS9_18transform_iteratorINS9_6negateIsEESE_NS9_11use_defaultESI_EESE_sNS9_4plusIvEENS9_8equal_toIvEEsEE10hipError_tPvRmT2_T3_T4_T5_mT6_T7_P12ihipStream_tbENKUlT_T0_E_clISt17integral_constantIbLb0EES14_EEDaSZ_S10_EUlSZ_E_NS1_11comp_targetILNS1_3genE0ELNS1_11target_archE4294967295ELNS1_3gpuE0ELNS1_3repE0EEENS1_30default_config_static_selectorELNS0_4arch9wavefront6targetE0EEEvT1_, .Lfunc_end965-_ZN7rocprim17ROCPRIM_400000_NS6detail17trampoline_kernelINS0_14default_configENS1_27scan_by_key_config_selectorIssEEZZNS1_16scan_by_key_implILNS1_25lookback_scan_determinismE0ELb0ES3_N6thrust23THRUST_200600_302600_NS6detail15normal_iteratorINS9_10device_ptrIsEEEENS9_18transform_iteratorINS9_6negateIsEESE_NS9_11use_defaultESI_EESE_sNS9_4plusIvEENS9_8equal_toIvEEsEE10hipError_tPvRmT2_T3_T4_T5_mT6_T7_P12ihipStream_tbENKUlT_T0_E_clISt17integral_constantIbLb0EES14_EEDaSZ_S10_EUlSZ_E_NS1_11comp_targetILNS1_3genE0ELNS1_11target_archE4294967295ELNS1_3gpuE0ELNS1_3repE0EEENS1_30default_config_static_selectorELNS0_4arch9wavefront6targetE0EEEvT1_
                                        ; -- End function
	.set _ZN7rocprim17ROCPRIM_400000_NS6detail17trampoline_kernelINS0_14default_configENS1_27scan_by_key_config_selectorIssEEZZNS1_16scan_by_key_implILNS1_25lookback_scan_determinismE0ELb0ES3_N6thrust23THRUST_200600_302600_NS6detail15normal_iteratorINS9_10device_ptrIsEEEENS9_18transform_iteratorINS9_6negateIsEESE_NS9_11use_defaultESI_EESE_sNS9_4plusIvEENS9_8equal_toIvEEsEE10hipError_tPvRmT2_T3_T4_T5_mT6_T7_P12ihipStream_tbENKUlT_T0_E_clISt17integral_constantIbLb0EES14_EEDaSZ_S10_EUlSZ_E_NS1_11comp_targetILNS1_3genE0ELNS1_11target_archE4294967295ELNS1_3gpuE0ELNS1_3repE0EEENS1_30default_config_static_selectorELNS0_4arch9wavefront6targetE0EEEvT1_.num_vgpr, 0
	.set _ZN7rocprim17ROCPRIM_400000_NS6detail17trampoline_kernelINS0_14default_configENS1_27scan_by_key_config_selectorIssEEZZNS1_16scan_by_key_implILNS1_25lookback_scan_determinismE0ELb0ES3_N6thrust23THRUST_200600_302600_NS6detail15normal_iteratorINS9_10device_ptrIsEEEENS9_18transform_iteratorINS9_6negateIsEESE_NS9_11use_defaultESI_EESE_sNS9_4plusIvEENS9_8equal_toIvEEsEE10hipError_tPvRmT2_T3_T4_T5_mT6_T7_P12ihipStream_tbENKUlT_T0_E_clISt17integral_constantIbLb0EES14_EEDaSZ_S10_EUlSZ_E_NS1_11comp_targetILNS1_3genE0ELNS1_11target_archE4294967295ELNS1_3gpuE0ELNS1_3repE0EEENS1_30default_config_static_selectorELNS0_4arch9wavefront6targetE0EEEvT1_.num_agpr, 0
	.set _ZN7rocprim17ROCPRIM_400000_NS6detail17trampoline_kernelINS0_14default_configENS1_27scan_by_key_config_selectorIssEEZZNS1_16scan_by_key_implILNS1_25lookback_scan_determinismE0ELb0ES3_N6thrust23THRUST_200600_302600_NS6detail15normal_iteratorINS9_10device_ptrIsEEEENS9_18transform_iteratorINS9_6negateIsEESE_NS9_11use_defaultESI_EESE_sNS9_4plusIvEENS9_8equal_toIvEEsEE10hipError_tPvRmT2_T3_T4_T5_mT6_T7_P12ihipStream_tbENKUlT_T0_E_clISt17integral_constantIbLb0EES14_EEDaSZ_S10_EUlSZ_E_NS1_11comp_targetILNS1_3genE0ELNS1_11target_archE4294967295ELNS1_3gpuE0ELNS1_3repE0EEENS1_30default_config_static_selectorELNS0_4arch9wavefront6targetE0EEEvT1_.numbered_sgpr, 0
	.set _ZN7rocprim17ROCPRIM_400000_NS6detail17trampoline_kernelINS0_14default_configENS1_27scan_by_key_config_selectorIssEEZZNS1_16scan_by_key_implILNS1_25lookback_scan_determinismE0ELb0ES3_N6thrust23THRUST_200600_302600_NS6detail15normal_iteratorINS9_10device_ptrIsEEEENS9_18transform_iteratorINS9_6negateIsEESE_NS9_11use_defaultESI_EESE_sNS9_4plusIvEENS9_8equal_toIvEEsEE10hipError_tPvRmT2_T3_T4_T5_mT6_T7_P12ihipStream_tbENKUlT_T0_E_clISt17integral_constantIbLb0EES14_EEDaSZ_S10_EUlSZ_E_NS1_11comp_targetILNS1_3genE0ELNS1_11target_archE4294967295ELNS1_3gpuE0ELNS1_3repE0EEENS1_30default_config_static_selectorELNS0_4arch9wavefront6targetE0EEEvT1_.num_named_barrier, 0
	.set _ZN7rocprim17ROCPRIM_400000_NS6detail17trampoline_kernelINS0_14default_configENS1_27scan_by_key_config_selectorIssEEZZNS1_16scan_by_key_implILNS1_25lookback_scan_determinismE0ELb0ES3_N6thrust23THRUST_200600_302600_NS6detail15normal_iteratorINS9_10device_ptrIsEEEENS9_18transform_iteratorINS9_6negateIsEESE_NS9_11use_defaultESI_EESE_sNS9_4plusIvEENS9_8equal_toIvEEsEE10hipError_tPvRmT2_T3_T4_T5_mT6_T7_P12ihipStream_tbENKUlT_T0_E_clISt17integral_constantIbLb0EES14_EEDaSZ_S10_EUlSZ_E_NS1_11comp_targetILNS1_3genE0ELNS1_11target_archE4294967295ELNS1_3gpuE0ELNS1_3repE0EEENS1_30default_config_static_selectorELNS0_4arch9wavefront6targetE0EEEvT1_.private_seg_size, 0
	.set _ZN7rocprim17ROCPRIM_400000_NS6detail17trampoline_kernelINS0_14default_configENS1_27scan_by_key_config_selectorIssEEZZNS1_16scan_by_key_implILNS1_25lookback_scan_determinismE0ELb0ES3_N6thrust23THRUST_200600_302600_NS6detail15normal_iteratorINS9_10device_ptrIsEEEENS9_18transform_iteratorINS9_6negateIsEESE_NS9_11use_defaultESI_EESE_sNS9_4plusIvEENS9_8equal_toIvEEsEE10hipError_tPvRmT2_T3_T4_T5_mT6_T7_P12ihipStream_tbENKUlT_T0_E_clISt17integral_constantIbLb0EES14_EEDaSZ_S10_EUlSZ_E_NS1_11comp_targetILNS1_3genE0ELNS1_11target_archE4294967295ELNS1_3gpuE0ELNS1_3repE0EEENS1_30default_config_static_selectorELNS0_4arch9wavefront6targetE0EEEvT1_.uses_vcc, 0
	.set _ZN7rocprim17ROCPRIM_400000_NS6detail17trampoline_kernelINS0_14default_configENS1_27scan_by_key_config_selectorIssEEZZNS1_16scan_by_key_implILNS1_25lookback_scan_determinismE0ELb0ES3_N6thrust23THRUST_200600_302600_NS6detail15normal_iteratorINS9_10device_ptrIsEEEENS9_18transform_iteratorINS9_6negateIsEESE_NS9_11use_defaultESI_EESE_sNS9_4plusIvEENS9_8equal_toIvEEsEE10hipError_tPvRmT2_T3_T4_T5_mT6_T7_P12ihipStream_tbENKUlT_T0_E_clISt17integral_constantIbLb0EES14_EEDaSZ_S10_EUlSZ_E_NS1_11comp_targetILNS1_3genE0ELNS1_11target_archE4294967295ELNS1_3gpuE0ELNS1_3repE0EEENS1_30default_config_static_selectorELNS0_4arch9wavefront6targetE0EEEvT1_.uses_flat_scratch, 0
	.set _ZN7rocprim17ROCPRIM_400000_NS6detail17trampoline_kernelINS0_14default_configENS1_27scan_by_key_config_selectorIssEEZZNS1_16scan_by_key_implILNS1_25lookback_scan_determinismE0ELb0ES3_N6thrust23THRUST_200600_302600_NS6detail15normal_iteratorINS9_10device_ptrIsEEEENS9_18transform_iteratorINS9_6negateIsEESE_NS9_11use_defaultESI_EESE_sNS9_4plusIvEENS9_8equal_toIvEEsEE10hipError_tPvRmT2_T3_T4_T5_mT6_T7_P12ihipStream_tbENKUlT_T0_E_clISt17integral_constantIbLb0EES14_EEDaSZ_S10_EUlSZ_E_NS1_11comp_targetILNS1_3genE0ELNS1_11target_archE4294967295ELNS1_3gpuE0ELNS1_3repE0EEENS1_30default_config_static_selectorELNS0_4arch9wavefront6targetE0EEEvT1_.has_dyn_sized_stack, 0
	.set _ZN7rocprim17ROCPRIM_400000_NS6detail17trampoline_kernelINS0_14default_configENS1_27scan_by_key_config_selectorIssEEZZNS1_16scan_by_key_implILNS1_25lookback_scan_determinismE0ELb0ES3_N6thrust23THRUST_200600_302600_NS6detail15normal_iteratorINS9_10device_ptrIsEEEENS9_18transform_iteratorINS9_6negateIsEESE_NS9_11use_defaultESI_EESE_sNS9_4plusIvEENS9_8equal_toIvEEsEE10hipError_tPvRmT2_T3_T4_T5_mT6_T7_P12ihipStream_tbENKUlT_T0_E_clISt17integral_constantIbLb0EES14_EEDaSZ_S10_EUlSZ_E_NS1_11comp_targetILNS1_3genE0ELNS1_11target_archE4294967295ELNS1_3gpuE0ELNS1_3repE0EEENS1_30default_config_static_selectorELNS0_4arch9wavefront6targetE0EEEvT1_.has_recursion, 0
	.set _ZN7rocprim17ROCPRIM_400000_NS6detail17trampoline_kernelINS0_14default_configENS1_27scan_by_key_config_selectorIssEEZZNS1_16scan_by_key_implILNS1_25lookback_scan_determinismE0ELb0ES3_N6thrust23THRUST_200600_302600_NS6detail15normal_iteratorINS9_10device_ptrIsEEEENS9_18transform_iteratorINS9_6negateIsEESE_NS9_11use_defaultESI_EESE_sNS9_4plusIvEENS9_8equal_toIvEEsEE10hipError_tPvRmT2_T3_T4_T5_mT6_T7_P12ihipStream_tbENKUlT_T0_E_clISt17integral_constantIbLb0EES14_EEDaSZ_S10_EUlSZ_E_NS1_11comp_targetILNS1_3genE0ELNS1_11target_archE4294967295ELNS1_3gpuE0ELNS1_3repE0EEENS1_30default_config_static_selectorELNS0_4arch9wavefront6targetE0EEEvT1_.has_indirect_call, 0
	.section	.AMDGPU.csdata,"",@progbits
; Kernel info:
; codeLenInByte = 0
; TotalNumSgprs: 0
; NumVgprs: 0
; ScratchSize: 0
; MemoryBound: 0
; FloatMode: 240
; IeeeMode: 1
; LDSByteSize: 0 bytes/workgroup (compile time only)
; SGPRBlocks: 0
; VGPRBlocks: 0
; NumSGPRsForWavesPerEU: 1
; NumVGPRsForWavesPerEU: 1
; Occupancy: 16
; WaveLimiterHint : 0
; COMPUTE_PGM_RSRC2:SCRATCH_EN: 0
; COMPUTE_PGM_RSRC2:USER_SGPR: 6
; COMPUTE_PGM_RSRC2:TRAP_HANDLER: 0
; COMPUTE_PGM_RSRC2:TGID_X_EN: 1
; COMPUTE_PGM_RSRC2:TGID_Y_EN: 0
; COMPUTE_PGM_RSRC2:TGID_Z_EN: 0
; COMPUTE_PGM_RSRC2:TIDIG_COMP_CNT: 0
	.section	.text._ZN7rocprim17ROCPRIM_400000_NS6detail17trampoline_kernelINS0_14default_configENS1_27scan_by_key_config_selectorIssEEZZNS1_16scan_by_key_implILNS1_25lookback_scan_determinismE0ELb0ES3_N6thrust23THRUST_200600_302600_NS6detail15normal_iteratorINS9_10device_ptrIsEEEENS9_18transform_iteratorINS9_6negateIsEESE_NS9_11use_defaultESI_EESE_sNS9_4plusIvEENS9_8equal_toIvEEsEE10hipError_tPvRmT2_T3_T4_T5_mT6_T7_P12ihipStream_tbENKUlT_T0_E_clISt17integral_constantIbLb0EES14_EEDaSZ_S10_EUlSZ_E_NS1_11comp_targetILNS1_3genE10ELNS1_11target_archE1201ELNS1_3gpuE5ELNS1_3repE0EEENS1_30default_config_static_selectorELNS0_4arch9wavefront6targetE0EEEvT1_,"axG",@progbits,_ZN7rocprim17ROCPRIM_400000_NS6detail17trampoline_kernelINS0_14default_configENS1_27scan_by_key_config_selectorIssEEZZNS1_16scan_by_key_implILNS1_25lookback_scan_determinismE0ELb0ES3_N6thrust23THRUST_200600_302600_NS6detail15normal_iteratorINS9_10device_ptrIsEEEENS9_18transform_iteratorINS9_6negateIsEESE_NS9_11use_defaultESI_EESE_sNS9_4plusIvEENS9_8equal_toIvEEsEE10hipError_tPvRmT2_T3_T4_T5_mT6_T7_P12ihipStream_tbENKUlT_T0_E_clISt17integral_constantIbLb0EES14_EEDaSZ_S10_EUlSZ_E_NS1_11comp_targetILNS1_3genE10ELNS1_11target_archE1201ELNS1_3gpuE5ELNS1_3repE0EEENS1_30default_config_static_selectorELNS0_4arch9wavefront6targetE0EEEvT1_,comdat
	.protected	_ZN7rocprim17ROCPRIM_400000_NS6detail17trampoline_kernelINS0_14default_configENS1_27scan_by_key_config_selectorIssEEZZNS1_16scan_by_key_implILNS1_25lookback_scan_determinismE0ELb0ES3_N6thrust23THRUST_200600_302600_NS6detail15normal_iteratorINS9_10device_ptrIsEEEENS9_18transform_iteratorINS9_6negateIsEESE_NS9_11use_defaultESI_EESE_sNS9_4plusIvEENS9_8equal_toIvEEsEE10hipError_tPvRmT2_T3_T4_T5_mT6_T7_P12ihipStream_tbENKUlT_T0_E_clISt17integral_constantIbLb0EES14_EEDaSZ_S10_EUlSZ_E_NS1_11comp_targetILNS1_3genE10ELNS1_11target_archE1201ELNS1_3gpuE5ELNS1_3repE0EEENS1_30default_config_static_selectorELNS0_4arch9wavefront6targetE0EEEvT1_ ; -- Begin function _ZN7rocprim17ROCPRIM_400000_NS6detail17trampoline_kernelINS0_14default_configENS1_27scan_by_key_config_selectorIssEEZZNS1_16scan_by_key_implILNS1_25lookback_scan_determinismE0ELb0ES3_N6thrust23THRUST_200600_302600_NS6detail15normal_iteratorINS9_10device_ptrIsEEEENS9_18transform_iteratorINS9_6negateIsEESE_NS9_11use_defaultESI_EESE_sNS9_4plusIvEENS9_8equal_toIvEEsEE10hipError_tPvRmT2_T3_T4_T5_mT6_T7_P12ihipStream_tbENKUlT_T0_E_clISt17integral_constantIbLb0EES14_EEDaSZ_S10_EUlSZ_E_NS1_11comp_targetILNS1_3genE10ELNS1_11target_archE1201ELNS1_3gpuE5ELNS1_3repE0EEENS1_30default_config_static_selectorELNS0_4arch9wavefront6targetE0EEEvT1_
	.globl	_ZN7rocprim17ROCPRIM_400000_NS6detail17trampoline_kernelINS0_14default_configENS1_27scan_by_key_config_selectorIssEEZZNS1_16scan_by_key_implILNS1_25lookback_scan_determinismE0ELb0ES3_N6thrust23THRUST_200600_302600_NS6detail15normal_iteratorINS9_10device_ptrIsEEEENS9_18transform_iteratorINS9_6negateIsEESE_NS9_11use_defaultESI_EESE_sNS9_4plusIvEENS9_8equal_toIvEEsEE10hipError_tPvRmT2_T3_T4_T5_mT6_T7_P12ihipStream_tbENKUlT_T0_E_clISt17integral_constantIbLb0EES14_EEDaSZ_S10_EUlSZ_E_NS1_11comp_targetILNS1_3genE10ELNS1_11target_archE1201ELNS1_3gpuE5ELNS1_3repE0EEENS1_30default_config_static_selectorELNS0_4arch9wavefront6targetE0EEEvT1_
	.p2align	8
	.type	_ZN7rocprim17ROCPRIM_400000_NS6detail17trampoline_kernelINS0_14default_configENS1_27scan_by_key_config_selectorIssEEZZNS1_16scan_by_key_implILNS1_25lookback_scan_determinismE0ELb0ES3_N6thrust23THRUST_200600_302600_NS6detail15normal_iteratorINS9_10device_ptrIsEEEENS9_18transform_iteratorINS9_6negateIsEESE_NS9_11use_defaultESI_EESE_sNS9_4plusIvEENS9_8equal_toIvEEsEE10hipError_tPvRmT2_T3_T4_T5_mT6_T7_P12ihipStream_tbENKUlT_T0_E_clISt17integral_constantIbLb0EES14_EEDaSZ_S10_EUlSZ_E_NS1_11comp_targetILNS1_3genE10ELNS1_11target_archE1201ELNS1_3gpuE5ELNS1_3repE0EEENS1_30default_config_static_selectorELNS0_4arch9wavefront6targetE0EEEvT1_,@function
_ZN7rocprim17ROCPRIM_400000_NS6detail17trampoline_kernelINS0_14default_configENS1_27scan_by_key_config_selectorIssEEZZNS1_16scan_by_key_implILNS1_25lookback_scan_determinismE0ELb0ES3_N6thrust23THRUST_200600_302600_NS6detail15normal_iteratorINS9_10device_ptrIsEEEENS9_18transform_iteratorINS9_6negateIsEESE_NS9_11use_defaultESI_EESE_sNS9_4plusIvEENS9_8equal_toIvEEsEE10hipError_tPvRmT2_T3_T4_T5_mT6_T7_P12ihipStream_tbENKUlT_T0_E_clISt17integral_constantIbLb0EES14_EEDaSZ_S10_EUlSZ_E_NS1_11comp_targetILNS1_3genE10ELNS1_11target_archE1201ELNS1_3gpuE5ELNS1_3repE0EEENS1_30default_config_static_selectorELNS0_4arch9wavefront6targetE0EEEvT1_: ; @_ZN7rocprim17ROCPRIM_400000_NS6detail17trampoline_kernelINS0_14default_configENS1_27scan_by_key_config_selectorIssEEZZNS1_16scan_by_key_implILNS1_25lookback_scan_determinismE0ELb0ES3_N6thrust23THRUST_200600_302600_NS6detail15normal_iteratorINS9_10device_ptrIsEEEENS9_18transform_iteratorINS9_6negateIsEESE_NS9_11use_defaultESI_EESE_sNS9_4plusIvEENS9_8equal_toIvEEsEE10hipError_tPvRmT2_T3_T4_T5_mT6_T7_P12ihipStream_tbENKUlT_T0_E_clISt17integral_constantIbLb0EES14_EEDaSZ_S10_EUlSZ_E_NS1_11comp_targetILNS1_3genE10ELNS1_11target_archE1201ELNS1_3gpuE5ELNS1_3repE0EEENS1_30default_config_static_selectorELNS0_4arch9wavefront6targetE0EEEvT1_
; %bb.0:
	.section	.rodata,"a",@progbits
	.p2align	6, 0x0
	.amdhsa_kernel _ZN7rocprim17ROCPRIM_400000_NS6detail17trampoline_kernelINS0_14default_configENS1_27scan_by_key_config_selectorIssEEZZNS1_16scan_by_key_implILNS1_25lookback_scan_determinismE0ELb0ES3_N6thrust23THRUST_200600_302600_NS6detail15normal_iteratorINS9_10device_ptrIsEEEENS9_18transform_iteratorINS9_6negateIsEESE_NS9_11use_defaultESI_EESE_sNS9_4plusIvEENS9_8equal_toIvEEsEE10hipError_tPvRmT2_T3_T4_T5_mT6_T7_P12ihipStream_tbENKUlT_T0_E_clISt17integral_constantIbLb0EES14_EEDaSZ_S10_EUlSZ_E_NS1_11comp_targetILNS1_3genE10ELNS1_11target_archE1201ELNS1_3gpuE5ELNS1_3repE0EEENS1_30default_config_static_selectorELNS0_4arch9wavefront6targetE0EEEvT1_
		.amdhsa_group_segment_fixed_size 0
		.amdhsa_private_segment_fixed_size 0
		.amdhsa_kernarg_size 120
		.amdhsa_user_sgpr_count 6
		.amdhsa_user_sgpr_private_segment_buffer 1
		.amdhsa_user_sgpr_dispatch_ptr 0
		.amdhsa_user_sgpr_queue_ptr 0
		.amdhsa_user_sgpr_kernarg_segment_ptr 1
		.amdhsa_user_sgpr_dispatch_id 0
		.amdhsa_user_sgpr_flat_scratch_init 0
		.amdhsa_user_sgpr_private_segment_size 0
		.amdhsa_wavefront_size32 1
		.amdhsa_uses_dynamic_stack 0
		.amdhsa_system_sgpr_private_segment_wavefront_offset 0
		.amdhsa_system_sgpr_workgroup_id_x 1
		.amdhsa_system_sgpr_workgroup_id_y 0
		.amdhsa_system_sgpr_workgroup_id_z 0
		.amdhsa_system_sgpr_workgroup_info 0
		.amdhsa_system_vgpr_workitem_id 0
		.amdhsa_next_free_vgpr 1
		.amdhsa_next_free_sgpr 1
		.amdhsa_reserve_vcc 0
		.amdhsa_reserve_flat_scratch 0
		.amdhsa_float_round_mode_32 0
		.amdhsa_float_round_mode_16_64 0
		.amdhsa_float_denorm_mode_32 3
		.amdhsa_float_denorm_mode_16_64 3
		.amdhsa_dx10_clamp 1
		.amdhsa_ieee_mode 1
		.amdhsa_fp16_overflow 0
		.amdhsa_workgroup_processor_mode 1
		.amdhsa_memory_ordered 1
		.amdhsa_forward_progress 1
		.amdhsa_shared_vgpr_count 0
		.amdhsa_exception_fp_ieee_invalid_op 0
		.amdhsa_exception_fp_denorm_src 0
		.amdhsa_exception_fp_ieee_div_zero 0
		.amdhsa_exception_fp_ieee_overflow 0
		.amdhsa_exception_fp_ieee_underflow 0
		.amdhsa_exception_fp_ieee_inexact 0
		.amdhsa_exception_int_div_zero 0
	.end_amdhsa_kernel
	.section	.text._ZN7rocprim17ROCPRIM_400000_NS6detail17trampoline_kernelINS0_14default_configENS1_27scan_by_key_config_selectorIssEEZZNS1_16scan_by_key_implILNS1_25lookback_scan_determinismE0ELb0ES3_N6thrust23THRUST_200600_302600_NS6detail15normal_iteratorINS9_10device_ptrIsEEEENS9_18transform_iteratorINS9_6negateIsEESE_NS9_11use_defaultESI_EESE_sNS9_4plusIvEENS9_8equal_toIvEEsEE10hipError_tPvRmT2_T3_T4_T5_mT6_T7_P12ihipStream_tbENKUlT_T0_E_clISt17integral_constantIbLb0EES14_EEDaSZ_S10_EUlSZ_E_NS1_11comp_targetILNS1_3genE10ELNS1_11target_archE1201ELNS1_3gpuE5ELNS1_3repE0EEENS1_30default_config_static_selectorELNS0_4arch9wavefront6targetE0EEEvT1_,"axG",@progbits,_ZN7rocprim17ROCPRIM_400000_NS6detail17trampoline_kernelINS0_14default_configENS1_27scan_by_key_config_selectorIssEEZZNS1_16scan_by_key_implILNS1_25lookback_scan_determinismE0ELb0ES3_N6thrust23THRUST_200600_302600_NS6detail15normal_iteratorINS9_10device_ptrIsEEEENS9_18transform_iteratorINS9_6negateIsEESE_NS9_11use_defaultESI_EESE_sNS9_4plusIvEENS9_8equal_toIvEEsEE10hipError_tPvRmT2_T3_T4_T5_mT6_T7_P12ihipStream_tbENKUlT_T0_E_clISt17integral_constantIbLb0EES14_EEDaSZ_S10_EUlSZ_E_NS1_11comp_targetILNS1_3genE10ELNS1_11target_archE1201ELNS1_3gpuE5ELNS1_3repE0EEENS1_30default_config_static_selectorELNS0_4arch9wavefront6targetE0EEEvT1_,comdat
.Lfunc_end966:
	.size	_ZN7rocprim17ROCPRIM_400000_NS6detail17trampoline_kernelINS0_14default_configENS1_27scan_by_key_config_selectorIssEEZZNS1_16scan_by_key_implILNS1_25lookback_scan_determinismE0ELb0ES3_N6thrust23THRUST_200600_302600_NS6detail15normal_iteratorINS9_10device_ptrIsEEEENS9_18transform_iteratorINS9_6negateIsEESE_NS9_11use_defaultESI_EESE_sNS9_4plusIvEENS9_8equal_toIvEEsEE10hipError_tPvRmT2_T3_T4_T5_mT6_T7_P12ihipStream_tbENKUlT_T0_E_clISt17integral_constantIbLb0EES14_EEDaSZ_S10_EUlSZ_E_NS1_11comp_targetILNS1_3genE10ELNS1_11target_archE1201ELNS1_3gpuE5ELNS1_3repE0EEENS1_30default_config_static_selectorELNS0_4arch9wavefront6targetE0EEEvT1_, .Lfunc_end966-_ZN7rocprim17ROCPRIM_400000_NS6detail17trampoline_kernelINS0_14default_configENS1_27scan_by_key_config_selectorIssEEZZNS1_16scan_by_key_implILNS1_25lookback_scan_determinismE0ELb0ES3_N6thrust23THRUST_200600_302600_NS6detail15normal_iteratorINS9_10device_ptrIsEEEENS9_18transform_iteratorINS9_6negateIsEESE_NS9_11use_defaultESI_EESE_sNS9_4plusIvEENS9_8equal_toIvEEsEE10hipError_tPvRmT2_T3_T4_T5_mT6_T7_P12ihipStream_tbENKUlT_T0_E_clISt17integral_constantIbLb0EES14_EEDaSZ_S10_EUlSZ_E_NS1_11comp_targetILNS1_3genE10ELNS1_11target_archE1201ELNS1_3gpuE5ELNS1_3repE0EEENS1_30default_config_static_selectorELNS0_4arch9wavefront6targetE0EEEvT1_
                                        ; -- End function
	.set _ZN7rocprim17ROCPRIM_400000_NS6detail17trampoline_kernelINS0_14default_configENS1_27scan_by_key_config_selectorIssEEZZNS1_16scan_by_key_implILNS1_25lookback_scan_determinismE0ELb0ES3_N6thrust23THRUST_200600_302600_NS6detail15normal_iteratorINS9_10device_ptrIsEEEENS9_18transform_iteratorINS9_6negateIsEESE_NS9_11use_defaultESI_EESE_sNS9_4plusIvEENS9_8equal_toIvEEsEE10hipError_tPvRmT2_T3_T4_T5_mT6_T7_P12ihipStream_tbENKUlT_T0_E_clISt17integral_constantIbLb0EES14_EEDaSZ_S10_EUlSZ_E_NS1_11comp_targetILNS1_3genE10ELNS1_11target_archE1201ELNS1_3gpuE5ELNS1_3repE0EEENS1_30default_config_static_selectorELNS0_4arch9wavefront6targetE0EEEvT1_.num_vgpr, 0
	.set _ZN7rocprim17ROCPRIM_400000_NS6detail17trampoline_kernelINS0_14default_configENS1_27scan_by_key_config_selectorIssEEZZNS1_16scan_by_key_implILNS1_25lookback_scan_determinismE0ELb0ES3_N6thrust23THRUST_200600_302600_NS6detail15normal_iteratorINS9_10device_ptrIsEEEENS9_18transform_iteratorINS9_6negateIsEESE_NS9_11use_defaultESI_EESE_sNS9_4plusIvEENS9_8equal_toIvEEsEE10hipError_tPvRmT2_T3_T4_T5_mT6_T7_P12ihipStream_tbENKUlT_T0_E_clISt17integral_constantIbLb0EES14_EEDaSZ_S10_EUlSZ_E_NS1_11comp_targetILNS1_3genE10ELNS1_11target_archE1201ELNS1_3gpuE5ELNS1_3repE0EEENS1_30default_config_static_selectorELNS0_4arch9wavefront6targetE0EEEvT1_.num_agpr, 0
	.set _ZN7rocprim17ROCPRIM_400000_NS6detail17trampoline_kernelINS0_14default_configENS1_27scan_by_key_config_selectorIssEEZZNS1_16scan_by_key_implILNS1_25lookback_scan_determinismE0ELb0ES3_N6thrust23THRUST_200600_302600_NS6detail15normal_iteratorINS9_10device_ptrIsEEEENS9_18transform_iteratorINS9_6negateIsEESE_NS9_11use_defaultESI_EESE_sNS9_4plusIvEENS9_8equal_toIvEEsEE10hipError_tPvRmT2_T3_T4_T5_mT6_T7_P12ihipStream_tbENKUlT_T0_E_clISt17integral_constantIbLb0EES14_EEDaSZ_S10_EUlSZ_E_NS1_11comp_targetILNS1_3genE10ELNS1_11target_archE1201ELNS1_3gpuE5ELNS1_3repE0EEENS1_30default_config_static_selectorELNS0_4arch9wavefront6targetE0EEEvT1_.numbered_sgpr, 0
	.set _ZN7rocprim17ROCPRIM_400000_NS6detail17trampoline_kernelINS0_14default_configENS1_27scan_by_key_config_selectorIssEEZZNS1_16scan_by_key_implILNS1_25lookback_scan_determinismE0ELb0ES3_N6thrust23THRUST_200600_302600_NS6detail15normal_iteratorINS9_10device_ptrIsEEEENS9_18transform_iteratorINS9_6negateIsEESE_NS9_11use_defaultESI_EESE_sNS9_4plusIvEENS9_8equal_toIvEEsEE10hipError_tPvRmT2_T3_T4_T5_mT6_T7_P12ihipStream_tbENKUlT_T0_E_clISt17integral_constantIbLb0EES14_EEDaSZ_S10_EUlSZ_E_NS1_11comp_targetILNS1_3genE10ELNS1_11target_archE1201ELNS1_3gpuE5ELNS1_3repE0EEENS1_30default_config_static_selectorELNS0_4arch9wavefront6targetE0EEEvT1_.num_named_barrier, 0
	.set _ZN7rocprim17ROCPRIM_400000_NS6detail17trampoline_kernelINS0_14default_configENS1_27scan_by_key_config_selectorIssEEZZNS1_16scan_by_key_implILNS1_25lookback_scan_determinismE0ELb0ES3_N6thrust23THRUST_200600_302600_NS6detail15normal_iteratorINS9_10device_ptrIsEEEENS9_18transform_iteratorINS9_6negateIsEESE_NS9_11use_defaultESI_EESE_sNS9_4plusIvEENS9_8equal_toIvEEsEE10hipError_tPvRmT2_T3_T4_T5_mT6_T7_P12ihipStream_tbENKUlT_T0_E_clISt17integral_constantIbLb0EES14_EEDaSZ_S10_EUlSZ_E_NS1_11comp_targetILNS1_3genE10ELNS1_11target_archE1201ELNS1_3gpuE5ELNS1_3repE0EEENS1_30default_config_static_selectorELNS0_4arch9wavefront6targetE0EEEvT1_.private_seg_size, 0
	.set _ZN7rocprim17ROCPRIM_400000_NS6detail17trampoline_kernelINS0_14default_configENS1_27scan_by_key_config_selectorIssEEZZNS1_16scan_by_key_implILNS1_25lookback_scan_determinismE0ELb0ES3_N6thrust23THRUST_200600_302600_NS6detail15normal_iteratorINS9_10device_ptrIsEEEENS9_18transform_iteratorINS9_6negateIsEESE_NS9_11use_defaultESI_EESE_sNS9_4plusIvEENS9_8equal_toIvEEsEE10hipError_tPvRmT2_T3_T4_T5_mT6_T7_P12ihipStream_tbENKUlT_T0_E_clISt17integral_constantIbLb0EES14_EEDaSZ_S10_EUlSZ_E_NS1_11comp_targetILNS1_3genE10ELNS1_11target_archE1201ELNS1_3gpuE5ELNS1_3repE0EEENS1_30default_config_static_selectorELNS0_4arch9wavefront6targetE0EEEvT1_.uses_vcc, 0
	.set _ZN7rocprim17ROCPRIM_400000_NS6detail17trampoline_kernelINS0_14default_configENS1_27scan_by_key_config_selectorIssEEZZNS1_16scan_by_key_implILNS1_25lookback_scan_determinismE0ELb0ES3_N6thrust23THRUST_200600_302600_NS6detail15normal_iteratorINS9_10device_ptrIsEEEENS9_18transform_iteratorINS9_6negateIsEESE_NS9_11use_defaultESI_EESE_sNS9_4plusIvEENS9_8equal_toIvEEsEE10hipError_tPvRmT2_T3_T4_T5_mT6_T7_P12ihipStream_tbENKUlT_T0_E_clISt17integral_constantIbLb0EES14_EEDaSZ_S10_EUlSZ_E_NS1_11comp_targetILNS1_3genE10ELNS1_11target_archE1201ELNS1_3gpuE5ELNS1_3repE0EEENS1_30default_config_static_selectorELNS0_4arch9wavefront6targetE0EEEvT1_.uses_flat_scratch, 0
	.set _ZN7rocprim17ROCPRIM_400000_NS6detail17trampoline_kernelINS0_14default_configENS1_27scan_by_key_config_selectorIssEEZZNS1_16scan_by_key_implILNS1_25lookback_scan_determinismE0ELb0ES3_N6thrust23THRUST_200600_302600_NS6detail15normal_iteratorINS9_10device_ptrIsEEEENS9_18transform_iteratorINS9_6negateIsEESE_NS9_11use_defaultESI_EESE_sNS9_4plusIvEENS9_8equal_toIvEEsEE10hipError_tPvRmT2_T3_T4_T5_mT6_T7_P12ihipStream_tbENKUlT_T0_E_clISt17integral_constantIbLb0EES14_EEDaSZ_S10_EUlSZ_E_NS1_11comp_targetILNS1_3genE10ELNS1_11target_archE1201ELNS1_3gpuE5ELNS1_3repE0EEENS1_30default_config_static_selectorELNS0_4arch9wavefront6targetE0EEEvT1_.has_dyn_sized_stack, 0
	.set _ZN7rocprim17ROCPRIM_400000_NS6detail17trampoline_kernelINS0_14default_configENS1_27scan_by_key_config_selectorIssEEZZNS1_16scan_by_key_implILNS1_25lookback_scan_determinismE0ELb0ES3_N6thrust23THRUST_200600_302600_NS6detail15normal_iteratorINS9_10device_ptrIsEEEENS9_18transform_iteratorINS9_6negateIsEESE_NS9_11use_defaultESI_EESE_sNS9_4plusIvEENS9_8equal_toIvEEsEE10hipError_tPvRmT2_T3_T4_T5_mT6_T7_P12ihipStream_tbENKUlT_T0_E_clISt17integral_constantIbLb0EES14_EEDaSZ_S10_EUlSZ_E_NS1_11comp_targetILNS1_3genE10ELNS1_11target_archE1201ELNS1_3gpuE5ELNS1_3repE0EEENS1_30default_config_static_selectorELNS0_4arch9wavefront6targetE0EEEvT1_.has_recursion, 0
	.set _ZN7rocprim17ROCPRIM_400000_NS6detail17trampoline_kernelINS0_14default_configENS1_27scan_by_key_config_selectorIssEEZZNS1_16scan_by_key_implILNS1_25lookback_scan_determinismE0ELb0ES3_N6thrust23THRUST_200600_302600_NS6detail15normal_iteratorINS9_10device_ptrIsEEEENS9_18transform_iteratorINS9_6negateIsEESE_NS9_11use_defaultESI_EESE_sNS9_4plusIvEENS9_8equal_toIvEEsEE10hipError_tPvRmT2_T3_T4_T5_mT6_T7_P12ihipStream_tbENKUlT_T0_E_clISt17integral_constantIbLb0EES14_EEDaSZ_S10_EUlSZ_E_NS1_11comp_targetILNS1_3genE10ELNS1_11target_archE1201ELNS1_3gpuE5ELNS1_3repE0EEENS1_30default_config_static_selectorELNS0_4arch9wavefront6targetE0EEEvT1_.has_indirect_call, 0
	.section	.AMDGPU.csdata,"",@progbits
; Kernel info:
; codeLenInByte = 0
; TotalNumSgprs: 0
; NumVgprs: 0
; ScratchSize: 0
; MemoryBound: 0
; FloatMode: 240
; IeeeMode: 1
; LDSByteSize: 0 bytes/workgroup (compile time only)
; SGPRBlocks: 0
; VGPRBlocks: 0
; NumSGPRsForWavesPerEU: 1
; NumVGPRsForWavesPerEU: 1
; Occupancy: 16
; WaveLimiterHint : 0
; COMPUTE_PGM_RSRC2:SCRATCH_EN: 0
; COMPUTE_PGM_RSRC2:USER_SGPR: 6
; COMPUTE_PGM_RSRC2:TRAP_HANDLER: 0
; COMPUTE_PGM_RSRC2:TGID_X_EN: 1
; COMPUTE_PGM_RSRC2:TGID_Y_EN: 0
; COMPUTE_PGM_RSRC2:TGID_Z_EN: 0
; COMPUTE_PGM_RSRC2:TIDIG_COMP_CNT: 0
	.section	.text._ZN7rocprim17ROCPRIM_400000_NS6detail17trampoline_kernelINS0_14default_configENS1_27scan_by_key_config_selectorIssEEZZNS1_16scan_by_key_implILNS1_25lookback_scan_determinismE0ELb0ES3_N6thrust23THRUST_200600_302600_NS6detail15normal_iteratorINS9_10device_ptrIsEEEENS9_18transform_iteratorINS9_6negateIsEESE_NS9_11use_defaultESI_EESE_sNS9_4plusIvEENS9_8equal_toIvEEsEE10hipError_tPvRmT2_T3_T4_T5_mT6_T7_P12ihipStream_tbENKUlT_T0_E_clISt17integral_constantIbLb0EES14_EEDaSZ_S10_EUlSZ_E_NS1_11comp_targetILNS1_3genE5ELNS1_11target_archE942ELNS1_3gpuE9ELNS1_3repE0EEENS1_30default_config_static_selectorELNS0_4arch9wavefront6targetE0EEEvT1_,"axG",@progbits,_ZN7rocprim17ROCPRIM_400000_NS6detail17trampoline_kernelINS0_14default_configENS1_27scan_by_key_config_selectorIssEEZZNS1_16scan_by_key_implILNS1_25lookback_scan_determinismE0ELb0ES3_N6thrust23THRUST_200600_302600_NS6detail15normal_iteratorINS9_10device_ptrIsEEEENS9_18transform_iteratorINS9_6negateIsEESE_NS9_11use_defaultESI_EESE_sNS9_4plusIvEENS9_8equal_toIvEEsEE10hipError_tPvRmT2_T3_T4_T5_mT6_T7_P12ihipStream_tbENKUlT_T0_E_clISt17integral_constantIbLb0EES14_EEDaSZ_S10_EUlSZ_E_NS1_11comp_targetILNS1_3genE5ELNS1_11target_archE942ELNS1_3gpuE9ELNS1_3repE0EEENS1_30default_config_static_selectorELNS0_4arch9wavefront6targetE0EEEvT1_,comdat
	.protected	_ZN7rocprim17ROCPRIM_400000_NS6detail17trampoline_kernelINS0_14default_configENS1_27scan_by_key_config_selectorIssEEZZNS1_16scan_by_key_implILNS1_25lookback_scan_determinismE0ELb0ES3_N6thrust23THRUST_200600_302600_NS6detail15normal_iteratorINS9_10device_ptrIsEEEENS9_18transform_iteratorINS9_6negateIsEESE_NS9_11use_defaultESI_EESE_sNS9_4plusIvEENS9_8equal_toIvEEsEE10hipError_tPvRmT2_T3_T4_T5_mT6_T7_P12ihipStream_tbENKUlT_T0_E_clISt17integral_constantIbLb0EES14_EEDaSZ_S10_EUlSZ_E_NS1_11comp_targetILNS1_3genE5ELNS1_11target_archE942ELNS1_3gpuE9ELNS1_3repE0EEENS1_30default_config_static_selectorELNS0_4arch9wavefront6targetE0EEEvT1_ ; -- Begin function _ZN7rocprim17ROCPRIM_400000_NS6detail17trampoline_kernelINS0_14default_configENS1_27scan_by_key_config_selectorIssEEZZNS1_16scan_by_key_implILNS1_25lookback_scan_determinismE0ELb0ES3_N6thrust23THRUST_200600_302600_NS6detail15normal_iteratorINS9_10device_ptrIsEEEENS9_18transform_iteratorINS9_6negateIsEESE_NS9_11use_defaultESI_EESE_sNS9_4plusIvEENS9_8equal_toIvEEsEE10hipError_tPvRmT2_T3_T4_T5_mT6_T7_P12ihipStream_tbENKUlT_T0_E_clISt17integral_constantIbLb0EES14_EEDaSZ_S10_EUlSZ_E_NS1_11comp_targetILNS1_3genE5ELNS1_11target_archE942ELNS1_3gpuE9ELNS1_3repE0EEENS1_30default_config_static_selectorELNS0_4arch9wavefront6targetE0EEEvT1_
	.globl	_ZN7rocprim17ROCPRIM_400000_NS6detail17trampoline_kernelINS0_14default_configENS1_27scan_by_key_config_selectorIssEEZZNS1_16scan_by_key_implILNS1_25lookback_scan_determinismE0ELb0ES3_N6thrust23THRUST_200600_302600_NS6detail15normal_iteratorINS9_10device_ptrIsEEEENS9_18transform_iteratorINS9_6negateIsEESE_NS9_11use_defaultESI_EESE_sNS9_4plusIvEENS9_8equal_toIvEEsEE10hipError_tPvRmT2_T3_T4_T5_mT6_T7_P12ihipStream_tbENKUlT_T0_E_clISt17integral_constantIbLb0EES14_EEDaSZ_S10_EUlSZ_E_NS1_11comp_targetILNS1_3genE5ELNS1_11target_archE942ELNS1_3gpuE9ELNS1_3repE0EEENS1_30default_config_static_selectorELNS0_4arch9wavefront6targetE0EEEvT1_
	.p2align	8
	.type	_ZN7rocprim17ROCPRIM_400000_NS6detail17trampoline_kernelINS0_14default_configENS1_27scan_by_key_config_selectorIssEEZZNS1_16scan_by_key_implILNS1_25lookback_scan_determinismE0ELb0ES3_N6thrust23THRUST_200600_302600_NS6detail15normal_iteratorINS9_10device_ptrIsEEEENS9_18transform_iteratorINS9_6negateIsEESE_NS9_11use_defaultESI_EESE_sNS9_4plusIvEENS9_8equal_toIvEEsEE10hipError_tPvRmT2_T3_T4_T5_mT6_T7_P12ihipStream_tbENKUlT_T0_E_clISt17integral_constantIbLb0EES14_EEDaSZ_S10_EUlSZ_E_NS1_11comp_targetILNS1_3genE5ELNS1_11target_archE942ELNS1_3gpuE9ELNS1_3repE0EEENS1_30default_config_static_selectorELNS0_4arch9wavefront6targetE0EEEvT1_,@function
_ZN7rocprim17ROCPRIM_400000_NS6detail17trampoline_kernelINS0_14default_configENS1_27scan_by_key_config_selectorIssEEZZNS1_16scan_by_key_implILNS1_25lookback_scan_determinismE0ELb0ES3_N6thrust23THRUST_200600_302600_NS6detail15normal_iteratorINS9_10device_ptrIsEEEENS9_18transform_iteratorINS9_6negateIsEESE_NS9_11use_defaultESI_EESE_sNS9_4plusIvEENS9_8equal_toIvEEsEE10hipError_tPvRmT2_T3_T4_T5_mT6_T7_P12ihipStream_tbENKUlT_T0_E_clISt17integral_constantIbLb0EES14_EEDaSZ_S10_EUlSZ_E_NS1_11comp_targetILNS1_3genE5ELNS1_11target_archE942ELNS1_3gpuE9ELNS1_3repE0EEENS1_30default_config_static_selectorELNS0_4arch9wavefront6targetE0EEEvT1_: ; @_ZN7rocprim17ROCPRIM_400000_NS6detail17trampoline_kernelINS0_14default_configENS1_27scan_by_key_config_selectorIssEEZZNS1_16scan_by_key_implILNS1_25lookback_scan_determinismE0ELb0ES3_N6thrust23THRUST_200600_302600_NS6detail15normal_iteratorINS9_10device_ptrIsEEEENS9_18transform_iteratorINS9_6negateIsEESE_NS9_11use_defaultESI_EESE_sNS9_4plusIvEENS9_8equal_toIvEEsEE10hipError_tPvRmT2_T3_T4_T5_mT6_T7_P12ihipStream_tbENKUlT_T0_E_clISt17integral_constantIbLb0EES14_EEDaSZ_S10_EUlSZ_E_NS1_11comp_targetILNS1_3genE5ELNS1_11target_archE942ELNS1_3gpuE9ELNS1_3repE0EEENS1_30default_config_static_selectorELNS0_4arch9wavefront6targetE0EEEvT1_
; %bb.0:
	.section	.rodata,"a",@progbits
	.p2align	6, 0x0
	.amdhsa_kernel _ZN7rocprim17ROCPRIM_400000_NS6detail17trampoline_kernelINS0_14default_configENS1_27scan_by_key_config_selectorIssEEZZNS1_16scan_by_key_implILNS1_25lookback_scan_determinismE0ELb0ES3_N6thrust23THRUST_200600_302600_NS6detail15normal_iteratorINS9_10device_ptrIsEEEENS9_18transform_iteratorINS9_6negateIsEESE_NS9_11use_defaultESI_EESE_sNS9_4plusIvEENS9_8equal_toIvEEsEE10hipError_tPvRmT2_T3_T4_T5_mT6_T7_P12ihipStream_tbENKUlT_T0_E_clISt17integral_constantIbLb0EES14_EEDaSZ_S10_EUlSZ_E_NS1_11comp_targetILNS1_3genE5ELNS1_11target_archE942ELNS1_3gpuE9ELNS1_3repE0EEENS1_30default_config_static_selectorELNS0_4arch9wavefront6targetE0EEEvT1_
		.amdhsa_group_segment_fixed_size 0
		.amdhsa_private_segment_fixed_size 0
		.amdhsa_kernarg_size 120
		.amdhsa_user_sgpr_count 6
		.amdhsa_user_sgpr_private_segment_buffer 1
		.amdhsa_user_sgpr_dispatch_ptr 0
		.amdhsa_user_sgpr_queue_ptr 0
		.amdhsa_user_sgpr_kernarg_segment_ptr 1
		.amdhsa_user_sgpr_dispatch_id 0
		.amdhsa_user_sgpr_flat_scratch_init 0
		.amdhsa_user_sgpr_private_segment_size 0
		.amdhsa_wavefront_size32 1
		.amdhsa_uses_dynamic_stack 0
		.amdhsa_system_sgpr_private_segment_wavefront_offset 0
		.amdhsa_system_sgpr_workgroup_id_x 1
		.amdhsa_system_sgpr_workgroup_id_y 0
		.amdhsa_system_sgpr_workgroup_id_z 0
		.amdhsa_system_sgpr_workgroup_info 0
		.amdhsa_system_vgpr_workitem_id 0
		.amdhsa_next_free_vgpr 1
		.amdhsa_next_free_sgpr 1
		.amdhsa_reserve_vcc 0
		.amdhsa_reserve_flat_scratch 0
		.amdhsa_float_round_mode_32 0
		.amdhsa_float_round_mode_16_64 0
		.amdhsa_float_denorm_mode_32 3
		.amdhsa_float_denorm_mode_16_64 3
		.amdhsa_dx10_clamp 1
		.amdhsa_ieee_mode 1
		.amdhsa_fp16_overflow 0
		.amdhsa_workgroup_processor_mode 1
		.amdhsa_memory_ordered 1
		.amdhsa_forward_progress 1
		.amdhsa_shared_vgpr_count 0
		.amdhsa_exception_fp_ieee_invalid_op 0
		.amdhsa_exception_fp_denorm_src 0
		.amdhsa_exception_fp_ieee_div_zero 0
		.amdhsa_exception_fp_ieee_overflow 0
		.amdhsa_exception_fp_ieee_underflow 0
		.amdhsa_exception_fp_ieee_inexact 0
		.amdhsa_exception_int_div_zero 0
	.end_amdhsa_kernel
	.section	.text._ZN7rocprim17ROCPRIM_400000_NS6detail17trampoline_kernelINS0_14default_configENS1_27scan_by_key_config_selectorIssEEZZNS1_16scan_by_key_implILNS1_25lookback_scan_determinismE0ELb0ES3_N6thrust23THRUST_200600_302600_NS6detail15normal_iteratorINS9_10device_ptrIsEEEENS9_18transform_iteratorINS9_6negateIsEESE_NS9_11use_defaultESI_EESE_sNS9_4plusIvEENS9_8equal_toIvEEsEE10hipError_tPvRmT2_T3_T4_T5_mT6_T7_P12ihipStream_tbENKUlT_T0_E_clISt17integral_constantIbLb0EES14_EEDaSZ_S10_EUlSZ_E_NS1_11comp_targetILNS1_3genE5ELNS1_11target_archE942ELNS1_3gpuE9ELNS1_3repE0EEENS1_30default_config_static_selectorELNS0_4arch9wavefront6targetE0EEEvT1_,"axG",@progbits,_ZN7rocprim17ROCPRIM_400000_NS6detail17trampoline_kernelINS0_14default_configENS1_27scan_by_key_config_selectorIssEEZZNS1_16scan_by_key_implILNS1_25lookback_scan_determinismE0ELb0ES3_N6thrust23THRUST_200600_302600_NS6detail15normal_iteratorINS9_10device_ptrIsEEEENS9_18transform_iteratorINS9_6negateIsEESE_NS9_11use_defaultESI_EESE_sNS9_4plusIvEENS9_8equal_toIvEEsEE10hipError_tPvRmT2_T3_T4_T5_mT6_T7_P12ihipStream_tbENKUlT_T0_E_clISt17integral_constantIbLb0EES14_EEDaSZ_S10_EUlSZ_E_NS1_11comp_targetILNS1_3genE5ELNS1_11target_archE942ELNS1_3gpuE9ELNS1_3repE0EEENS1_30default_config_static_selectorELNS0_4arch9wavefront6targetE0EEEvT1_,comdat
.Lfunc_end967:
	.size	_ZN7rocprim17ROCPRIM_400000_NS6detail17trampoline_kernelINS0_14default_configENS1_27scan_by_key_config_selectorIssEEZZNS1_16scan_by_key_implILNS1_25lookback_scan_determinismE0ELb0ES3_N6thrust23THRUST_200600_302600_NS6detail15normal_iteratorINS9_10device_ptrIsEEEENS9_18transform_iteratorINS9_6negateIsEESE_NS9_11use_defaultESI_EESE_sNS9_4plusIvEENS9_8equal_toIvEEsEE10hipError_tPvRmT2_T3_T4_T5_mT6_T7_P12ihipStream_tbENKUlT_T0_E_clISt17integral_constantIbLb0EES14_EEDaSZ_S10_EUlSZ_E_NS1_11comp_targetILNS1_3genE5ELNS1_11target_archE942ELNS1_3gpuE9ELNS1_3repE0EEENS1_30default_config_static_selectorELNS0_4arch9wavefront6targetE0EEEvT1_, .Lfunc_end967-_ZN7rocprim17ROCPRIM_400000_NS6detail17trampoline_kernelINS0_14default_configENS1_27scan_by_key_config_selectorIssEEZZNS1_16scan_by_key_implILNS1_25lookback_scan_determinismE0ELb0ES3_N6thrust23THRUST_200600_302600_NS6detail15normal_iteratorINS9_10device_ptrIsEEEENS9_18transform_iteratorINS9_6negateIsEESE_NS9_11use_defaultESI_EESE_sNS9_4plusIvEENS9_8equal_toIvEEsEE10hipError_tPvRmT2_T3_T4_T5_mT6_T7_P12ihipStream_tbENKUlT_T0_E_clISt17integral_constantIbLb0EES14_EEDaSZ_S10_EUlSZ_E_NS1_11comp_targetILNS1_3genE5ELNS1_11target_archE942ELNS1_3gpuE9ELNS1_3repE0EEENS1_30default_config_static_selectorELNS0_4arch9wavefront6targetE0EEEvT1_
                                        ; -- End function
	.set _ZN7rocprim17ROCPRIM_400000_NS6detail17trampoline_kernelINS0_14default_configENS1_27scan_by_key_config_selectorIssEEZZNS1_16scan_by_key_implILNS1_25lookback_scan_determinismE0ELb0ES3_N6thrust23THRUST_200600_302600_NS6detail15normal_iteratorINS9_10device_ptrIsEEEENS9_18transform_iteratorINS9_6negateIsEESE_NS9_11use_defaultESI_EESE_sNS9_4plusIvEENS9_8equal_toIvEEsEE10hipError_tPvRmT2_T3_T4_T5_mT6_T7_P12ihipStream_tbENKUlT_T0_E_clISt17integral_constantIbLb0EES14_EEDaSZ_S10_EUlSZ_E_NS1_11comp_targetILNS1_3genE5ELNS1_11target_archE942ELNS1_3gpuE9ELNS1_3repE0EEENS1_30default_config_static_selectorELNS0_4arch9wavefront6targetE0EEEvT1_.num_vgpr, 0
	.set _ZN7rocprim17ROCPRIM_400000_NS6detail17trampoline_kernelINS0_14default_configENS1_27scan_by_key_config_selectorIssEEZZNS1_16scan_by_key_implILNS1_25lookback_scan_determinismE0ELb0ES3_N6thrust23THRUST_200600_302600_NS6detail15normal_iteratorINS9_10device_ptrIsEEEENS9_18transform_iteratorINS9_6negateIsEESE_NS9_11use_defaultESI_EESE_sNS9_4plusIvEENS9_8equal_toIvEEsEE10hipError_tPvRmT2_T3_T4_T5_mT6_T7_P12ihipStream_tbENKUlT_T0_E_clISt17integral_constantIbLb0EES14_EEDaSZ_S10_EUlSZ_E_NS1_11comp_targetILNS1_3genE5ELNS1_11target_archE942ELNS1_3gpuE9ELNS1_3repE0EEENS1_30default_config_static_selectorELNS0_4arch9wavefront6targetE0EEEvT1_.num_agpr, 0
	.set _ZN7rocprim17ROCPRIM_400000_NS6detail17trampoline_kernelINS0_14default_configENS1_27scan_by_key_config_selectorIssEEZZNS1_16scan_by_key_implILNS1_25lookback_scan_determinismE0ELb0ES3_N6thrust23THRUST_200600_302600_NS6detail15normal_iteratorINS9_10device_ptrIsEEEENS9_18transform_iteratorINS9_6negateIsEESE_NS9_11use_defaultESI_EESE_sNS9_4plusIvEENS9_8equal_toIvEEsEE10hipError_tPvRmT2_T3_T4_T5_mT6_T7_P12ihipStream_tbENKUlT_T0_E_clISt17integral_constantIbLb0EES14_EEDaSZ_S10_EUlSZ_E_NS1_11comp_targetILNS1_3genE5ELNS1_11target_archE942ELNS1_3gpuE9ELNS1_3repE0EEENS1_30default_config_static_selectorELNS0_4arch9wavefront6targetE0EEEvT1_.numbered_sgpr, 0
	.set _ZN7rocprim17ROCPRIM_400000_NS6detail17trampoline_kernelINS0_14default_configENS1_27scan_by_key_config_selectorIssEEZZNS1_16scan_by_key_implILNS1_25lookback_scan_determinismE0ELb0ES3_N6thrust23THRUST_200600_302600_NS6detail15normal_iteratorINS9_10device_ptrIsEEEENS9_18transform_iteratorINS9_6negateIsEESE_NS9_11use_defaultESI_EESE_sNS9_4plusIvEENS9_8equal_toIvEEsEE10hipError_tPvRmT2_T3_T4_T5_mT6_T7_P12ihipStream_tbENKUlT_T0_E_clISt17integral_constantIbLb0EES14_EEDaSZ_S10_EUlSZ_E_NS1_11comp_targetILNS1_3genE5ELNS1_11target_archE942ELNS1_3gpuE9ELNS1_3repE0EEENS1_30default_config_static_selectorELNS0_4arch9wavefront6targetE0EEEvT1_.num_named_barrier, 0
	.set _ZN7rocprim17ROCPRIM_400000_NS6detail17trampoline_kernelINS0_14default_configENS1_27scan_by_key_config_selectorIssEEZZNS1_16scan_by_key_implILNS1_25lookback_scan_determinismE0ELb0ES3_N6thrust23THRUST_200600_302600_NS6detail15normal_iteratorINS9_10device_ptrIsEEEENS9_18transform_iteratorINS9_6negateIsEESE_NS9_11use_defaultESI_EESE_sNS9_4plusIvEENS9_8equal_toIvEEsEE10hipError_tPvRmT2_T3_T4_T5_mT6_T7_P12ihipStream_tbENKUlT_T0_E_clISt17integral_constantIbLb0EES14_EEDaSZ_S10_EUlSZ_E_NS1_11comp_targetILNS1_3genE5ELNS1_11target_archE942ELNS1_3gpuE9ELNS1_3repE0EEENS1_30default_config_static_selectorELNS0_4arch9wavefront6targetE0EEEvT1_.private_seg_size, 0
	.set _ZN7rocprim17ROCPRIM_400000_NS6detail17trampoline_kernelINS0_14default_configENS1_27scan_by_key_config_selectorIssEEZZNS1_16scan_by_key_implILNS1_25lookback_scan_determinismE0ELb0ES3_N6thrust23THRUST_200600_302600_NS6detail15normal_iteratorINS9_10device_ptrIsEEEENS9_18transform_iteratorINS9_6negateIsEESE_NS9_11use_defaultESI_EESE_sNS9_4plusIvEENS9_8equal_toIvEEsEE10hipError_tPvRmT2_T3_T4_T5_mT6_T7_P12ihipStream_tbENKUlT_T0_E_clISt17integral_constantIbLb0EES14_EEDaSZ_S10_EUlSZ_E_NS1_11comp_targetILNS1_3genE5ELNS1_11target_archE942ELNS1_3gpuE9ELNS1_3repE0EEENS1_30default_config_static_selectorELNS0_4arch9wavefront6targetE0EEEvT1_.uses_vcc, 0
	.set _ZN7rocprim17ROCPRIM_400000_NS6detail17trampoline_kernelINS0_14default_configENS1_27scan_by_key_config_selectorIssEEZZNS1_16scan_by_key_implILNS1_25lookback_scan_determinismE0ELb0ES3_N6thrust23THRUST_200600_302600_NS6detail15normal_iteratorINS9_10device_ptrIsEEEENS9_18transform_iteratorINS9_6negateIsEESE_NS9_11use_defaultESI_EESE_sNS9_4plusIvEENS9_8equal_toIvEEsEE10hipError_tPvRmT2_T3_T4_T5_mT6_T7_P12ihipStream_tbENKUlT_T0_E_clISt17integral_constantIbLb0EES14_EEDaSZ_S10_EUlSZ_E_NS1_11comp_targetILNS1_3genE5ELNS1_11target_archE942ELNS1_3gpuE9ELNS1_3repE0EEENS1_30default_config_static_selectorELNS0_4arch9wavefront6targetE0EEEvT1_.uses_flat_scratch, 0
	.set _ZN7rocprim17ROCPRIM_400000_NS6detail17trampoline_kernelINS0_14default_configENS1_27scan_by_key_config_selectorIssEEZZNS1_16scan_by_key_implILNS1_25lookback_scan_determinismE0ELb0ES3_N6thrust23THRUST_200600_302600_NS6detail15normal_iteratorINS9_10device_ptrIsEEEENS9_18transform_iteratorINS9_6negateIsEESE_NS9_11use_defaultESI_EESE_sNS9_4plusIvEENS9_8equal_toIvEEsEE10hipError_tPvRmT2_T3_T4_T5_mT6_T7_P12ihipStream_tbENKUlT_T0_E_clISt17integral_constantIbLb0EES14_EEDaSZ_S10_EUlSZ_E_NS1_11comp_targetILNS1_3genE5ELNS1_11target_archE942ELNS1_3gpuE9ELNS1_3repE0EEENS1_30default_config_static_selectorELNS0_4arch9wavefront6targetE0EEEvT1_.has_dyn_sized_stack, 0
	.set _ZN7rocprim17ROCPRIM_400000_NS6detail17trampoline_kernelINS0_14default_configENS1_27scan_by_key_config_selectorIssEEZZNS1_16scan_by_key_implILNS1_25lookback_scan_determinismE0ELb0ES3_N6thrust23THRUST_200600_302600_NS6detail15normal_iteratorINS9_10device_ptrIsEEEENS9_18transform_iteratorINS9_6negateIsEESE_NS9_11use_defaultESI_EESE_sNS9_4plusIvEENS9_8equal_toIvEEsEE10hipError_tPvRmT2_T3_T4_T5_mT6_T7_P12ihipStream_tbENKUlT_T0_E_clISt17integral_constantIbLb0EES14_EEDaSZ_S10_EUlSZ_E_NS1_11comp_targetILNS1_3genE5ELNS1_11target_archE942ELNS1_3gpuE9ELNS1_3repE0EEENS1_30default_config_static_selectorELNS0_4arch9wavefront6targetE0EEEvT1_.has_recursion, 0
	.set _ZN7rocprim17ROCPRIM_400000_NS6detail17trampoline_kernelINS0_14default_configENS1_27scan_by_key_config_selectorIssEEZZNS1_16scan_by_key_implILNS1_25lookback_scan_determinismE0ELb0ES3_N6thrust23THRUST_200600_302600_NS6detail15normal_iteratorINS9_10device_ptrIsEEEENS9_18transform_iteratorINS9_6negateIsEESE_NS9_11use_defaultESI_EESE_sNS9_4plusIvEENS9_8equal_toIvEEsEE10hipError_tPvRmT2_T3_T4_T5_mT6_T7_P12ihipStream_tbENKUlT_T0_E_clISt17integral_constantIbLb0EES14_EEDaSZ_S10_EUlSZ_E_NS1_11comp_targetILNS1_3genE5ELNS1_11target_archE942ELNS1_3gpuE9ELNS1_3repE0EEENS1_30default_config_static_selectorELNS0_4arch9wavefront6targetE0EEEvT1_.has_indirect_call, 0
	.section	.AMDGPU.csdata,"",@progbits
; Kernel info:
; codeLenInByte = 0
; TotalNumSgprs: 0
; NumVgprs: 0
; ScratchSize: 0
; MemoryBound: 0
; FloatMode: 240
; IeeeMode: 1
; LDSByteSize: 0 bytes/workgroup (compile time only)
; SGPRBlocks: 0
; VGPRBlocks: 0
; NumSGPRsForWavesPerEU: 1
; NumVGPRsForWavesPerEU: 1
; Occupancy: 16
; WaveLimiterHint : 0
; COMPUTE_PGM_RSRC2:SCRATCH_EN: 0
; COMPUTE_PGM_RSRC2:USER_SGPR: 6
; COMPUTE_PGM_RSRC2:TRAP_HANDLER: 0
; COMPUTE_PGM_RSRC2:TGID_X_EN: 1
; COMPUTE_PGM_RSRC2:TGID_Y_EN: 0
; COMPUTE_PGM_RSRC2:TGID_Z_EN: 0
; COMPUTE_PGM_RSRC2:TIDIG_COMP_CNT: 0
	.section	.text._ZN7rocprim17ROCPRIM_400000_NS6detail17trampoline_kernelINS0_14default_configENS1_27scan_by_key_config_selectorIssEEZZNS1_16scan_by_key_implILNS1_25lookback_scan_determinismE0ELb0ES3_N6thrust23THRUST_200600_302600_NS6detail15normal_iteratorINS9_10device_ptrIsEEEENS9_18transform_iteratorINS9_6negateIsEESE_NS9_11use_defaultESI_EESE_sNS9_4plusIvEENS9_8equal_toIvEEsEE10hipError_tPvRmT2_T3_T4_T5_mT6_T7_P12ihipStream_tbENKUlT_T0_E_clISt17integral_constantIbLb0EES14_EEDaSZ_S10_EUlSZ_E_NS1_11comp_targetILNS1_3genE4ELNS1_11target_archE910ELNS1_3gpuE8ELNS1_3repE0EEENS1_30default_config_static_selectorELNS0_4arch9wavefront6targetE0EEEvT1_,"axG",@progbits,_ZN7rocprim17ROCPRIM_400000_NS6detail17trampoline_kernelINS0_14default_configENS1_27scan_by_key_config_selectorIssEEZZNS1_16scan_by_key_implILNS1_25lookback_scan_determinismE0ELb0ES3_N6thrust23THRUST_200600_302600_NS6detail15normal_iteratorINS9_10device_ptrIsEEEENS9_18transform_iteratorINS9_6negateIsEESE_NS9_11use_defaultESI_EESE_sNS9_4plusIvEENS9_8equal_toIvEEsEE10hipError_tPvRmT2_T3_T4_T5_mT6_T7_P12ihipStream_tbENKUlT_T0_E_clISt17integral_constantIbLb0EES14_EEDaSZ_S10_EUlSZ_E_NS1_11comp_targetILNS1_3genE4ELNS1_11target_archE910ELNS1_3gpuE8ELNS1_3repE0EEENS1_30default_config_static_selectorELNS0_4arch9wavefront6targetE0EEEvT1_,comdat
	.protected	_ZN7rocprim17ROCPRIM_400000_NS6detail17trampoline_kernelINS0_14default_configENS1_27scan_by_key_config_selectorIssEEZZNS1_16scan_by_key_implILNS1_25lookback_scan_determinismE0ELb0ES3_N6thrust23THRUST_200600_302600_NS6detail15normal_iteratorINS9_10device_ptrIsEEEENS9_18transform_iteratorINS9_6negateIsEESE_NS9_11use_defaultESI_EESE_sNS9_4plusIvEENS9_8equal_toIvEEsEE10hipError_tPvRmT2_T3_T4_T5_mT6_T7_P12ihipStream_tbENKUlT_T0_E_clISt17integral_constantIbLb0EES14_EEDaSZ_S10_EUlSZ_E_NS1_11comp_targetILNS1_3genE4ELNS1_11target_archE910ELNS1_3gpuE8ELNS1_3repE0EEENS1_30default_config_static_selectorELNS0_4arch9wavefront6targetE0EEEvT1_ ; -- Begin function _ZN7rocprim17ROCPRIM_400000_NS6detail17trampoline_kernelINS0_14default_configENS1_27scan_by_key_config_selectorIssEEZZNS1_16scan_by_key_implILNS1_25lookback_scan_determinismE0ELb0ES3_N6thrust23THRUST_200600_302600_NS6detail15normal_iteratorINS9_10device_ptrIsEEEENS9_18transform_iteratorINS9_6negateIsEESE_NS9_11use_defaultESI_EESE_sNS9_4plusIvEENS9_8equal_toIvEEsEE10hipError_tPvRmT2_T3_T4_T5_mT6_T7_P12ihipStream_tbENKUlT_T0_E_clISt17integral_constantIbLb0EES14_EEDaSZ_S10_EUlSZ_E_NS1_11comp_targetILNS1_3genE4ELNS1_11target_archE910ELNS1_3gpuE8ELNS1_3repE0EEENS1_30default_config_static_selectorELNS0_4arch9wavefront6targetE0EEEvT1_
	.globl	_ZN7rocprim17ROCPRIM_400000_NS6detail17trampoline_kernelINS0_14default_configENS1_27scan_by_key_config_selectorIssEEZZNS1_16scan_by_key_implILNS1_25lookback_scan_determinismE0ELb0ES3_N6thrust23THRUST_200600_302600_NS6detail15normal_iteratorINS9_10device_ptrIsEEEENS9_18transform_iteratorINS9_6negateIsEESE_NS9_11use_defaultESI_EESE_sNS9_4plusIvEENS9_8equal_toIvEEsEE10hipError_tPvRmT2_T3_T4_T5_mT6_T7_P12ihipStream_tbENKUlT_T0_E_clISt17integral_constantIbLb0EES14_EEDaSZ_S10_EUlSZ_E_NS1_11comp_targetILNS1_3genE4ELNS1_11target_archE910ELNS1_3gpuE8ELNS1_3repE0EEENS1_30default_config_static_selectorELNS0_4arch9wavefront6targetE0EEEvT1_
	.p2align	8
	.type	_ZN7rocprim17ROCPRIM_400000_NS6detail17trampoline_kernelINS0_14default_configENS1_27scan_by_key_config_selectorIssEEZZNS1_16scan_by_key_implILNS1_25lookback_scan_determinismE0ELb0ES3_N6thrust23THRUST_200600_302600_NS6detail15normal_iteratorINS9_10device_ptrIsEEEENS9_18transform_iteratorINS9_6negateIsEESE_NS9_11use_defaultESI_EESE_sNS9_4plusIvEENS9_8equal_toIvEEsEE10hipError_tPvRmT2_T3_T4_T5_mT6_T7_P12ihipStream_tbENKUlT_T0_E_clISt17integral_constantIbLb0EES14_EEDaSZ_S10_EUlSZ_E_NS1_11comp_targetILNS1_3genE4ELNS1_11target_archE910ELNS1_3gpuE8ELNS1_3repE0EEENS1_30default_config_static_selectorELNS0_4arch9wavefront6targetE0EEEvT1_,@function
_ZN7rocprim17ROCPRIM_400000_NS6detail17trampoline_kernelINS0_14default_configENS1_27scan_by_key_config_selectorIssEEZZNS1_16scan_by_key_implILNS1_25lookback_scan_determinismE0ELb0ES3_N6thrust23THRUST_200600_302600_NS6detail15normal_iteratorINS9_10device_ptrIsEEEENS9_18transform_iteratorINS9_6negateIsEESE_NS9_11use_defaultESI_EESE_sNS9_4plusIvEENS9_8equal_toIvEEsEE10hipError_tPvRmT2_T3_T4_T5_mT6_T7_P12ihipStream_tbENKUlT_T0_E_clISt17integral_constantIbLb0EES14_EEDaSZ_S10_EUlSZ_E_NS1_11comp_targetILNS1_3genE4ELNS1_11target_archE910ELNS1_3gpuE8ELNS1_3repE0EEENS1_30default_config_static_selectorELNS0_4arch9wavefront6targetE0EEEvT1_: ; @_ZN7rocprim17ROCPRIM_400000_NS6detail17trampoline_kernelINS0_14default_configENS1_27scan_by_key_config_selectorIssEEZZNS1_16scan_by_key_implILNS1_25lookback_scan_determinismE0ELb0ES3_N6thrust23THRUST_200600_302600_NS6detail15normal_iteratorINS9_10device_ptrIsEEEENS9_18transform_iteratorINS9_6negateIsEESE_NS9_11use_defaultESI_EESE_sNS9_4plusIvEENS9_8equal_toIvEEsEE10hipError_tPvRmT2_T3_T4_T5_mT6_T7_P12ihipStream_tbENKUlT_T0_E_clISt17integral_constantIbLb0EES14_EEDaSZ_S10_EUlSZ_E_NS1_11comp_targetILNS1_3genE4ELNS1_11target_archE910ELNS1_3gpuE8ELNS1_3repE0EEENS1_30default_config_static_selectorELNS0_4arch9wavefront6targetE0EEEvT1_
; %bb.0:
	.section	.rodata,"a",@progbits
	.p2align	6, 0x0
	.amdhsa_kernel _ZN7rocprim17ROCPRIM_400000_NS6detail17trampoline_kernelINS0_14default_configENS1_27scan_by_key_config_selectorIssEEZZNS1_16scan_by_key_implILNS1_25lookback_scan_determinismE0ELb0ES3_N6thrust23THRUST_200600_302600_NS6detail15normal_iteratorINS9_10device_ptrIsEEEENS9_18transform_iteratorINS9_6negateIsEESE_NS9_11use_defaultESI_EESE_sNS9_4plusIvEENS9_8equal_toIvEEsEE10hipError_tPvRmT2_T3_T4_T5_mT6_T7_P12ihipStream_tbENKUlT_T0_E_clISt17integral_constantIbLb0EES14_EEDaSZ_S10_EUlSZ_E_NS1_11comp_targetILNS1_3genE4ELNS1_11target_archE910ELNS1_3gpuE8ELNS1_3repE0EEENS1_30default_config_static_selectorELNS0_4arch9wavefront6targetE0EEEvT1_
		.amdhsa_group_segment_fixed_size 0
		.amdhsa_private_segment_fixed_size 0
		.amdhsa_kernarg_size 120
		.amdhsa_user_sgpr_count 6
		.amdhsa_user_sgpr_private_segment_buffer 1
		.amdhsa_user_sgpr_dispatch_ptr 0
		.amdhsa_user_sgpr_queue_ptr 0
		.amdhsa_user_sgpr_kernarg_segment_ptr 1
		.amdhsa_user_sgpr_dispatch_id 0
		.amdhsa_user_sgpr_flat_scratch_init 0
		.amdhsa_user_sgpr_private_segment_size 0
		.amdhsa_wavefront_size32 1
		.amdhsa_uses_dynamic_stack 0
		.amdhsa_system_sgpr_private_segment_wavefront_offset 0
		.amdhsa_system_sgpr_workgroup_id_x 1
		.amdhsa_system_sgpr_workgroup_id_y 0
		.amdhsa_system_sgpr_workgroup_id_z 0
		.amdhsa_system_sgpr_workgroup_info 0
		.amdhsa_system_vgpr_workitem_id 0
		.amdhsa_next_free_vgpr 1
		.amdhsa_next_free_sgpr 1
		.amdhsa_reserve_vcc 0
		.amdhsa_reserve_flat_scratch 0
		.amdhsa_float_round_mode_32 0
		.amdhsa_float_round_mode_16_64 0
		.amdhsa_float_denorm_mode_32 3
		.amdhsa_float_denorm_mode_16_64 3
		.amdhsa_dx10_clamp 1
		.amdhsa_ieee_mode 1
		.amdhsa_fp16_overflow 0
		.amdhsa_workgroup_processor_mode 1
		.amdhsa_memory_ordered 1
		.amdhsa_forward_progress 1
		.amdhsa_shared_vgpr_count 0
		.amdhsa_exception_fp_ieee_invalid_op 0
		.amdhsa_exception_fp_denorm_src 0
		.amdhsa_exception_fp_ieee_div_zero 0
		.amdhsa_exception_fp_ieee_overflow 0
		.amdhsa_exception_fp_ieee_underflow 0
		.amdhsa_exception_fp_ieee_inexact 0
		.amdhsa_exception_int_div_zero 0
	.end_amdhsa_kernel
	.section	.text._ZN7rocprim17ROCPRIM_400000_NS6detail17trampoline_kernelINS0_14default_configENS1_27scan_by_key_config_selectorIssEEZZNS1_16scan_by_key_implILNS1_25lookback_scan_determinismE0ELb0ES3_N6thrust23THRUST_200600_302600_NS6detail15normal_iteratorINS9_10device_ptrIsEEEENS9_18transform_iteratorINS9_6negateIsEESE_NS9_11use_defaultESI_EESE_sNS9_4plusIvEENS9_8equal_toIvEEsEE10hipError_tPvRmT2_T3_T4_T5_mT6_T7_P12ihipStream_tbENKUlT_T0_E_clISt17integral_constantIbLb0EES14_EEDaSZ_S10_EUlSZ_E_NS1_11comp_targetILNS1_3genE4ELNS1_11target_archE910ELNS1_3gpuE8ELNS1_3repE0EEENS1_30default_config_static_selectorELNS0_4arch9wavefront6targetE0EEEvT1_,"axG",@progbits,_ZN7rocprim17ROCPRIM_400000_NS6detail17trampoline_kernelINS0_14default_configENS1_27scan_by_key_config_selectorIssEEZZNS1_16scan_by_key_implILNS1_25lookback_scan_determinismE0ELb0ES3_N6thrust23THRUST_200600_302600_NS6detail15normal_iteratorINS9_10device_ptrIsEEEENS9_18transform_iteratorINS9_6negateIsEESE_NS9_11use_defaultESI_EESE_sNS9_4plusIvEENS9_8equal_toIvEEsEE10hipError_tPvRmT2_T3_T4_T5_mT6_T7_P12ihipStream_tbENKUlT_T0_E_clISt17integral_constantIbLb0EES14_EEDaSZ_S10_EUlSZ_E_NS1_11comp_targetILNS1_3genE4ELNS1_11target_archE910ELNS1_3gpuE8ELNS1_3repE0EEENS1_30default_config_static_selectorELNS0_4arch9wavefront6targetE0EEEvT1_,comdat
.Lfunc_end968:
	.size	_ZN7rocprim17ROCPRIM_400000_NS6detail17trampoline_kernelINS0_14default_configENS1_27scan_by_key_config_selectorIssEEZZNS1_16scan_by_key_implILNS1_25lookback_scan_determinismE0ELb0ES3_N6thrust23THRUST_200600_302600_NS6detail15normal_iteratorINS9_10device_ptrIsEEEENS9_18transform_iteratorINS9_6negateIsEESE_NS9_11use_defaultESI_EESE_sNS9_4plusIvEENS9_8equal_toIvEEsEE10hipError_tPvRmT2_T3_T4_T5_mT6_T7_P12ihipStream_tbENKUlT_T0_E_clISt17integral_constantIbLb0EES14_EEDaSZ_S10_EUlSZ_E_NS1_11comp_targetILNS1_3genE4ELNS1_11target_archE910ELNS1_3gpuE8ELNS1_3repE0EEENS1_30default_config_static_selectorELNS0_4arch9wavefront6targetE0EEEvT1_, .Lfunc_end968-_ZN7rocprim17ROCPRIM_400000_NS6detail17trampoline_kernelINS0_14default_configENS1_27scan_by_key_config_selectorIssEEZZNS1_16scan_by_key_implILNS1_25lookback_scan_determinismE0ELb0ES3_N6thrust23THRUST_200600_302600_NS6detail15normal_iteratorINS9_10device_ptrIsEEEENS9_18transform_iteratorINS9_6negateIsEESE_NS9_11use_defaultESI_EESE_sNS9_4plusIvEENS9_8equal_toIvEEsEE10hipError_tPvRmT2_T3_T4_T5_mT6_T7_P12ihipStream_tbENKUlT_T0_E_clISt17integral_constantIbLb0EES14_EEDaSZ_S10_EUlSZ_E_NS1_11comp_targetILNS1_3genE4ELNS1_11target_archE910ELNS1_3gpuE8ELNS1_3repE0EEENS1_30default_config_static_selectorELNS0_4arch9wavefront6targetE0EEEvT1_
                                        ; -- End function
	.set _ZN7rocprim17ROCPRIM_400000_NS6detail17trampoline_kernelINS0_14default_configENS1_27scan_by_key_config_selectorIssEEZZNS1_16scan_by_key_implILNS1_25lookback_scan_determinismE0ELb0ES3_N6thrust23THRUST_200600_302600_NS6detail15normal_iteratorINS9_10device_ptrIsEEEENS9_18transform_iteratorINS9_6negateIsEESE_NS9_11use_defaultESI_EESE_sNS9_4plusIvEENS9_8equal_toIvEEsEE10hipError_tPvRmT2_T3_T4_T5_mT6_T7_P12ihipStream_tbENKUlT_T0_E_clISt17integral_constantIbLb0EES14_EEDaSZ_S10_EUlSZ_E_NS1_11comp_targetILNS1_3genE4ELNS1_11target_archE910ELNS1_3gpuE8ELNS1_3repE0EEENS1_30default_config_static_selectorELNS0_4arch9wavefront6targetE0EEEvT1_.num_vgpr, 0
	.set _ZN7rocprim17ROCPRIM_400000_NS6detail17trampoline_kernelINS0_14default_configENS1_27scan_by_key_config_selectorIssEEZZNS1_16scan_by_key_implILNS1_25lookback_scan_determinismE0ELb0ES3_N6thrust23THRUST_200600_302600_NS6detail15normal_iteratorINS9_10device_ptrIsEEEENS9_18transform_iteratorINS9_6negateIsEESE_NS9_11use_defaultESI_EESE_sNS9_4plusIvEENS9_8equal_toIvEEsEE10hipError_tPvRmT2_T3_T4_T5_mT6_T7_P12ihipStream_tbENKUlT_T0_E_clISt17integral_constantIbLb0EES14_EEDaSZ_S10_EUlSZ_E_NS1_11comp_targetILNS1_3genE4ELNS1_11target_archE910ELNS1_3gpuE8ELNS1_3repE0EEENS1_30default_config_static_selectorELNS0_4arch9wavefront6targetE0EEEvT1_.num_agpr, 0
	.set _ZN7rocprim17ROCPRIM_400000_NS6detail17trampoline_kernelINS0_14default_configENS1_27scan_by_key_config_selectorIssEEZZNS1_16scan_by_key_implILNS1_25lookback_scan_determinismE0ELb0ES3_N6thrust23THRUST_200600_302600_NS6detail15normal_iteratorINS9_10device_ptrIsEEEENS9_18transform_iteratorINS9_6negateIsEESE_NS9_11use_defaultESI_EESE_sNS9_4plusIvEENS9_8equal_toIvEEsEE10hipError_tPvRmT2_T3_T4_T5_mT6_T7_P12ihipStream_tbENKUlT_T0_E_clISt17integral_constantIbLb0EES14_EEDaSZ_S10_EUlSZ_E_NS1_11comp_targetILNS1_3genE4ELNS1_11target_archE910ELNS1_3gpuE8ELNS1_3repE0EEENS1_30default_config_static_selectorELNS0_4arch9wavefront6targetE0EEEvT1_.numbered_sgpr, 0
	.set _ZN7rocprim17ROCPRIM_400000_NS6detail17trampoline_kernelINS0_14default_configENS1_27scan_by_key_config_selectorIssEEZZNS1_16scan_by_key_implILNS1_25lookback_scan_determinismE0ELb0ES3_N6thrust23THRUST_200600_302600_NS6detail15normal_iteratorINS9_10device_ptrIsEEEENS9_18transform_iteratorINS9_6negateIsEESE_NS9_11use_defaultESI_EESE_sNS9_4plusIvEENS9_8equal_toIvEEsEE10hipError_tPvRmT2_T3_T4_T5_mT6_T7_P12ihipStream_tbENKUlT_T0_E_clISt17integral_constantIbLb0EES14_EEDaSZ_S10_EUlSZ_E_NS1_11comp_targetILNS1_3genE4ELNS1_11target_archE910ELNS1_3gpuE8ELNS1_3repE0EEENS1_30default_config_static_selectorELNS0_4arch9wavefront6targetE0EEEvT1_.num_named_barrier, 0
	.set _ZN7rocprim17ROCPRIM_400000_NS6detail17trampoline_kernelINS0_14default_configENS1_27scan_by_key_config_selectorIssEEZZNS1_16scan_by_key_implILNS1_25lookback_scan_determinismE0ELb0ES3_N6thrust23THRUST_200600_302600_NS6detail15normal_iteratorINS9_10device_ptrIsEEEENS9_18transform_iteratorINS9_6negateIsEESE_NS9_11use_defaultESI_EESE_sNS9_4plusIvEENS9_8equal_toIvEEsEE10hipError_tPvRmT2_T3_T4_T5_mT6_T7_P12ihipStream_tbENKUlT_T0_E_clISt17integral_constantIbLb0EES14_EEDaSZ_S10_EUlSZ_E_NS1_11comp_targetILNS1_3genE4ELNS1_11target_archE910ELNS1_3gpuE8ELNS1_3repE0EEENS1_30default_config_static_selectorELNS0_4arch9wavefront6targetE0EEEvT1_.private_seg_size, 0
	.set _ZN7rocprim17ROCPRIM_400000_NS6detail17trampoline_kernelINS0_14default_configENS1_27scan_by_key_config_selectorIssEEZZNS1_16scan_by_key_implILNS1_25lookback_scan_determinismE0ELb0ES3_N6thrust23THRUST_200600_302600_NS6detail15normal_iteratorINS9_10device_ptrIsEEEENS9_18transform_iteratorINS9_6negateIsEESE_NS9_11use_defaultESI_EESE_sNS9_4plusIvEENS9_8equal_toIvEEsEE10hipError_tPvRmT2_T3_T4_T5_mT6_T7_P12ihipStream_tbENKUlT_T0_E_clISt17integral_constantIbLb0EES14_EEDaSZ_S10_EUlSZ_E_NS1_11comp_targetILNS1_3genE4ELNS1_11target_archE910ELNS1_3gpuE8ELNS1_3repE0EEENS1_30default_config_static_selectorELNS0_4arch9wavefront6targetE0EEEvT1_.uses_vcc, 0
	.set _ZN7rocprim17ROCPRIM_400000_NS6detail17trampoline_kernelINS0_14default_configENS1_27scan_by_key_config_selectorIssEEZZNS1_16scan_by_key_implILNS1_25lookback_scan_determinismE0ELb0ES3_N6thrust23THRUST_200600_302600_NS6detail15normal_iteratorINS9_10device_ptrIsEEEENS9_18transform_iteratorINS9_6negateIsEESE_NS9_11use_defaultESI_EESE_sNS9_4plusIvEENS9_8equal_toIvEEsEE10hipError_tPvRmT2_T3_T4_T5_mT6_T7_P12ihipStream_tbENKUlT_T0_E_clISt17integral_constantIbLb0EES14_EEDaSZ_S10_EUlSZ_E_NS1_11comp_targetILNS1_3genE4ELNS1_11target_archE910ELNS1_3gpuE8ELNS1_3repE0EEENS1_30default_config_static_selectorELNS0_4arch9wavefront6targetE0EEEvT1_.uses_flat_scratch, 0
	.set _ZN7rocprim17ROCPRIM_400000_NS6detail17trampoline_kernelINS0_14default_configENS1_27scan_by_key_config_selectorIssEEZZNS1_16scan_by_key_implILNS1_25lookback_scan_determinismE0ELb0ES3_N6thrust23THRUST_200600_302600_NS6detail15normal_iteratorINS9_10device_ptrIsEEEENS9_18transform_iteratorINS9_6negateIsEESE_NS9_11use_defaultESI_EESE_sNS9_4plusIvEENS9_8equal_toIvEEsEE10hipError_tPvRmT2_T3_T4_T5_mT6_T7_P12ihipStream_tbENKUlT_T0_E_clISt17integral_constantIbLb0EES14_EEDaSZ_S10_EUlSZ_E_NS1_11comp_targetILNS1_3genE4ELNS1_11target_archE910ELNS1_3gpuE8ELNS1_3repE0EEENS1_30default_config_static_selectorELNS0_4arch9wavefront6targetE0EEEvT1_.has_dyn_sized_stack, 0
	.set _ZN7rocprim17ROCPRIM_400000_NS6detail17trampoline_kernelINS0_14default_configENS1_27scan_by_key_config_selectorIssEEZZNS1_16scan_by_key_implILNS1_25lookback_scan_determinismE0ELb0ES3_N6thrust23THRUST_200600_302600_NS6detail15normal_iteratorINS9_10device_ptrIsEEEENS9_18transform_iteratorINS9_6negateIsEESE_NS9_11use_defaultESI_EESE_sNS9_4plusIvEENS9_8equal_toIvEEsEE10hipError_tPvRmT2_T3_T4_T5_mT6_T7_P12ihipStream_tbENKUlT_T0_E_clISt17integral_constantIbLb0EES14_EEDaSZ_S10_EUlSZ_E_NS1_11comp_targetILNS1_3genE4ELNS1_11target_archE910ELNS1_3gpuE8ELNS1_3repE0EEENS1_30default_config_static_selectorELNS0_4arch9wavefront6targetE0EEEvT1_.has_recursion, 0
	.set _ZN7rocprim17ROCPRIM_400000_NS6detail17trampoline_kernelINS0_14default_configENS1_27scan_by_key_config_selectorIssEEZZNS1_16scan_by_key_implILNS1_25lookback_scan_determinismE0ELb0ES3_N6thrust23THRUST_200600_302600_NS6detail15normal_iteratorINS9_10device_ptrIsEEEENS9_18transform_iteratorINS9_6negateIsEESE_NS9_11use_defaultESI_EESE_sNS9_4plusIvEENS9_8equal_toIvEEsEE10hipError_tPvRmT2_T3_T4_T5_mT6_T7_P12ihipStream_tbENKUlT_T0_E_clISt17integral_constantIbLb0EES14_EEDaSZ_S10_EUlSZ_E_NS1_11comp_targetILNS1_3genE4ELNS1_11target_archE910ELNS1_3gpuE8ELNS1_3repE0EEENS1_30default_config_static_selectorELNS0_4arch9wavefront6targetE0EEEvT1_.has_indirect_call, 0
	.section	.AMDGPU.csdata,"",@progbits
; Kernel info:
; codeLenInByte = 0
; TotalNumSgprs: 0
; NumVgprs: 0
; ScratchSize: 0
; MemoryBound: 0
; FloatMode: 240
; IeeeMode: 1
; LDSByteSize: 0 bytes/workgroup (compile time only)
; SGPRBlocks: 0
; VGPRBlocks: 0
; NumSGPRsForWavesPerEU: 1
; NumVGPRsForWavesPerEU: 1
; Occupancy: 16
; WaveLimiterHint : 0
; COMPUTE_PGM_RSRC2:SCRATCH_EN: 0
; COMPUTE_PGM_RSRC2:USER_SGPR: 6
; COMPUTE_PGM_RSRC2:TRAP_HANDLER: 0
; COMPUTE_PGM_RSRC2:TGID_X_EN: 1
; COMPUTE_PGM_RSRC2:TGID_Y_EN: 0
; COMPUTE_PGM_RSRC2:TGID_Z_EN: 0
; COMPUTE_PGM_RSRC2:TIDIG_COMP_CNT: 0
	.section	.text._ZN7rocprim17ROCPRIM_400000_NS6detail17trampoline_kernelINS0_14default_configENS1_27scan_by_key_config_selectorIssEEZZNS1_16scan_by_key_implILNS1_25lookback_scan_determinismE0ELb0ES3_N6thrust23THRUST_200600_302600_NS6detail15normal_iteratorINS9_10device_ptrIsEEEENS9_18transform_iteratorINS9_6negateIsEESE_NS9_11use_defaultESI_EESE_sNS9_4plusIvEENS9_8equal_toIvEEsEE10hipError_tPvRmT2_T3_T4_T5_mT6_T7_P12ihipStream_tbENKUlT_T0_E_clISt17integral_constantIbLb0EES14_EEDaSZ_S10_EUlSZ_E_NS1_11comp_targetILNS1_3genE3ELNS1_11target_archE908ELNS1_3gpuE7ELNS1_3repE0EEENS1_30default_config_static_selectorELNS0_4arch9wavefront6targetE0EEEvT1_,"axG",@progbits,_ZN7rocprim17ROCPRIM_400000_NS6detail17trampoline_kernelINS0_14default_configENS1_27scan_by_key_config_selectorIssEEZZNS1_16scan_by_key_implILNS1_25lookback_scan_determinismE0ELb0ES3_N6thrust23THRUST_200600_302600_NS6detail15normal_iteratorINS9_10device_ptrIsEEEENS9_18transform_iteratorINS9_6negateIsEESE_NS9_11use_defaultESI_EESE_sNS9_4plusIvEENS9_8equal_toIvEEsEE10hipError_tPvRmT2_T3_T4_T5_mT6_T7_P12ihipStream_tbENKUlT_T0_E_clISt17integral_constantIbLb0EES14_EEDaSZ_S10_EUlSZ_E_NS1_11comp_targetILNS1_3genE3ELNS1_11target_archE908ELNS1_3gpuE7ELNS1_3repE0EEENS1_30default_config_static_selectorELNS0_4arch9wavefront6targetE0EEEvT1_,comdat
	.protected	_ZN7rocprim17ROCPRIM_400000_NS6detail17trampoline_kernelINS0_14default_configENS1_27scan_by_key_config_selectorIssEEZZNS1_16scan_by_key_implILNS1_25lookback_scan_determinismE0ELb0ES3_N6thrust23THRUST_200600_302600_NS6detail15normal_iteratorINS9_10device_ptrIsEEEENS9_18transform_iteratorINS9_6negateIsEESE_NS9_11use_defaultESI_EESE_sNS9_4plusIvEENS9_8equal_toIvEEsEE10hipError_tPvRmT2_T3_T4_T5_mT6_T7_P12ihipStream_tbENKUlT_T0_E_clISt17integral_constantIbLb0EES14_EEDaSZ_S10_EUlSZ_E_NS1_11comp_targetILNS1_3genE3ELNS1_11target_archE908ELNS1_3gpuE7ELNS1_3repE0EEENS1_30default_config_static_selectorELNS0_4arch9wavefront6targetE0EEEvT1_ ; -- Begin function _ZN7rocprim17ROCPRIM_400000_NS6detail17trampoline_kernelINS0_14default_configENS1_27scan_by_key_config_selectorIssEEZZNS1_16scan_by_key_implILNS1_25lookback_scan_determinismE0ELb0ES3_N6thrust23THRUST_200600_302600_NS6detail15normal_iteratorINS9_10device_ptrIsEEEENS9_18transform_iteratorINS9_6negateIsEESE_NS9_11use_defaultESI_EESE_sNS9_4plusIvEENS9_8equal_toIvEEsEE10hipError_tPvRmT2_T3_T4_T5_mT6_T7_P12ihipStream_tbENKUlT_T0_E_clISt17integral_constantIbLb0EES14_EEDaSZ_S10_EUlSZ_E_NS1_11comp_targetILNS1_3genE3ELNS1_11target_archE908ELNS1_3gpuE7ELNS1_3repE0EEENS1_30default_config_static_selectorELNS0_4arch9wavefront6targetE0EEEvT1_
	.globl	_ZN7rocprim17ROCPRIM_400000_NS6detail17trampoline_kernelINS0_14default_configENS1_27scan_by_key_config_selectorIssEEZZNS1_16scan_by_key_implILNS1_25lookback_scan_determinismE0ELb0ES3_N6thrust23THRUST_200600_302600_NS6detail15normal_iteratorINS9_10device_ptrIsEEEENS9_18transform_iteratorINS9_6negateIsEESE_NS9_11use_defaultESI_EESE_sNS9_4plusIvEENS9_8equal_toIvEEsEE10hipError_tPvRmT2_T3_T4_T5_mT6_T7_P12ihipStream_tbENKUlT_T0_E_clISt17integral_constantIbLb0EES14_EEDaSZ_S10_EUlSZ_E_NS1_11comp_targetILNS1_3genE3ELNS1_11target_archE908ELNS1_3gpuE7ELNS1_3repE0EEENS1_30default_config_static_selectorELNS0_4arch9wavefront6targetE0EEEvT1_
	.p2align	8
	.type	_ZN7rocprim17ROCPRIM_400000_NS6detail17trampoline_kernelINS0_14default_configENS1_27scan_by_key_config_selectorIssEEZZNS1_16scan_by_key_implILNS1_25lookback_scan_determinismE0ELb0ES3_N6thrust23THRUST_200600_302600_NS6detail15normal_iteratorINS9_10device_ptrIsEEEENS9_18transform_iteratorINS9_6negateIsEESE_NS9_11use_defaultESI_EESE_sNS9_4plusIvEENS9_8equal_toIvEEsEE10hipError_tPvRmT2_T3_T4_T5_mT6_T7_P12ihipStream_tbENKUlT_T0_E_clISt17integral_constantIbLb0EES14_EEDaSZ_S10_EUlSZ_E_NS1_11comp_targetILNS1_3genE3ELNS1_11target_archE908ELNS1_3gpuE7ELNS1_3repE0EEENS1_30default_config_static_selectorELNS0_4arch9wavefront6targetE0EEEvT1_,@function
_ZN7rocprim17ROCPRIM_400000_NS6detail17trampoline_kernelINS0_14default_configENS1_27scan_by_key_config_selectorIssEEZZNS1_16scan_by_key_implILNS1_25lookback_scan_determinismE0ELb0ES3_N6thrust23THRUST_200600_302600_NS6detail15normal_iteratorINS9_10device_ptrIsEEEENS9_18transform_iteratorINS9_6negateIsEESE_NS9_11use_defaultESI_EESE_sNS9_4plusIvEENS9_8equal_toIvEEsEE10hipError_tPvRmT2_T3_T4_T5_mT6_T7_P12ihipStream_tbENKUlT_T0_E_clISt17integral_constantIbLb0EES14_EEDaSZ_S10_EUlSZ_E_NS1_11comp_targetILNS1_3genE3ELNS1_11target_archE908ELNS1_3gpuE7ELNS1_3repE0EEENS1_30default_config_static_selectorELNS0_4arch9wavefront6targetE0EEEvT1_: ; @_ZN7rocprim17ROCPRIM_400000_NS6detail17trampoline_kernelINS0_14default_configENS1_27scan_by_key_config_selectorIssEEZZNS1_16scan_by_key_implILNS1_25lookback_scan_determinismE0ELb0ES3_N6thrust23THRUST_200600_302600_NS6detail15normal_iteratorINS9_10device_ptrIsEEEENS9_18transform_iteratorINS9_6negateIsEESE_NS9_11use_defaultESI_EESE_sNS9_4plusIvEENS9_8equal_toIvEEsEE10hipError_tPvRmT2_T3_T4_T5_mT6_T7_P12ihipStream_tbENKUlT_T0_E_clISt17integral_constantIbLb0EES14_EEDaSZ_S10_EUlSZ_E_NS1_11comp_targetILNS1_3genE3ELNS1_11target_archE908ELNS1_3gpuE7ELNS1_3repE0EEENS1_30default_config_static_selectorELNS0_4arch9wavefront6targetE0EEEvT1_
; %bb.0:
	.section	.rodata,"a",@progbits
	.p2align	6, 0x0
	.amdhsa_kernel _ZN7rocprim17ROCPRIM_400000_NS6detail17trampoline_kernelINS0_14default_configENS1_27scan_by_key_config_selectorIssEEZZNS1_16scan_by_key_implILNS1_25lookback_scan_determinismE0ELb0ES3_N6thrust23THRUST_200600_302600_NS6detail15normal_iteratorINS9_10device_ptrIsEEEENS9_18transform_iteratorINS9_6negateIsEESE_NS9_11use_defaultESI_EESE_sNS9_4plusIvEENS9_8equal_toIvEEsEE10hipError_tPvRmT2_T3_T4_T5_mT6_T7_P12ihipStream_tbENKUlT_T0_E_clISt17integral_constantIbLb0EES14_EEDaSZ_S10_EUlSZ_E_NS1_11comp_targetILNS1_3genE3ELNS1_11target_archE908ELNS1_3gpuE7ELNS1_3repE0EEENS1_30default_config_static_selectorELNS0_4arch9wavefront6targetE0EEEvT1_
		.amdhsa_group_segment_fixed_size 0
		.amdhsa_private_segment_fixed_size 0
		.amdhsa_kernarg_size 120
		.amdhsa_user_sgpr_count 6
		.amdhsa_user_sgpr_private_segment_buffer 1
		.amdhsa_user_sgpr_dispatch_ptr 0
		.amdhsa_user_sgpr_queue_ptr 0
		.amdhsa_user_sgpr_kernarg_segment_ptr 1
		.amdhsa_user_sgpr_dispatch_id 0
		.amdhsa_user_sgpr_flat_scratch_init 0
		.amdhsa_user_sgpr_private_segment_size 0
		.amdhsa_wavefront_size32 1
		.amdhsa_uses_dynamic_stack 0
		.amdhsa_system_sgpr_private_segment_wavefront_offset 0
		.amdhsa_system_sgpr_workgroup_id_x 1
		.amdhsa_system_sgpr_workgroup_id_y 0
		.amdhsa_system_sgpr_workgroup_id_z 0
		.amdhsa_system_sgpr_workgroup_info 0
		.amdhsa_system_vgpr_workitem_id 0
		.amdhsa_next_free_vgpr 1
		.amdhsa_next_free_sgpr 1
		.amdhsa_reserve_vcc 0
		.amdhsa_reserve_flat_scratch 0
		.amdhsa_float_round_mode_32 0
		.amdhsa_float_round_mode_16_64 0
		.amdhsa_float_denorm_mode_32 3
		.amdhsa_float_denorm_mode_16_64 3
		.amdhsa_dx10_clamp 1
		.amdhsa_ieee_mode 1
		.amdhsa_fp16_overflow 0
		.amdhsa_workgroup_processor_mode 1
		.amdhsa_memory_ordered 1
		.amdhsa_forward_progress 1
		.amdhsa_shared_vgpr_count 0
		.amdhsa_exception_fp_ieee_invalid_op 0
		.amdhsa_exception_fp_denorm_src 0
		.amdhsa_exception_fp_ieee_div_zero 0
		.amdhsa_exception_fp_ieee_overflow 0
		.amdhsa_exception_fp_ieee_underflow 0
		.amdhsa_exception_fp_ieee_inexact 0
		.amdhsa_exception_int_div_zero 0
	.end_amdhsa_kernel
	.section	.text._ZN7rocprim17ROCPRIM_400000_NS6detail17trampoline_kernelINS0_14default_configENS1_27scan_by_key_config_selectorIssEEZZNS1_16scan_by_key_implILNS1_25lookback_scan_determinismE0ELb0ES3_N6thrust23THRUST_200600_302600_NS6detail15normal_iteratorINS9_10device_ptrIsEEEENS9_18transform_iteratorINS9_6negateIsEESE_NS9_11use_defaultESI_EESE_sNS9_4plusIvEENS9_8equal_toIvEEsEE10hipError_tPvRmT2_T3_T4_T5_mT6_T7_P12ihipStream_tbENKUlT_T0_E_clISt17integral_constantIbLb0EES14_EEDaSZ_S10_EUlSZ_E_NS1_11comp_targetILNS1_3genE3ELNS1_11target_archE908ELNS1_3gpuE7ELNS1_3repE0EEENS1_30default_config_static_selectorELNS0_4arch9wavefront6targetE0EEEvT1_,"axG",@progbits,_ZN7rocprim17ROCPRIM_400000_NS6detail17trampoline_kernelINS0_14default_configENS1_27scan_by_key_config_selectorIssEEZZNS1_16scan_by_key_implILNS1_25lookback_scan_determinismE0ELb0ES3_N6thrust23THRUST_200600_302600_NS6detail15normal_iteratorINS9_10device_ptrIsEEEENS9_18transform_iteratorINS9_6negateIsEESE_NS9_11use_defaultESI_EESE_sNS9_4plusIvEENS9_8equal_toIvEEsEE10hipError_tPvRmT2_T3_T4_T5_mT6_T7_P12ihipStream_tbENKUlT_T0_E_clISt17integral_constantIbLb0EES14_EEDaSZ_S10_EUlSZ_E_NS1_11comp_targetILNS1_3genE3ELNS1_11target_archE908ELNS1_3gpuE7ELNS1_3repE0EEENS1_30default_config_static_selectorELNS0_4arch9wavefront6targetE0EEEvT1_,comdat
.Lfunc_end969:
	.size	_ZN7rocprim17ROCPRIM_400000_NS6detail17trampoline_kernelINS0_14default_configENS1_27scan_by_key_config_selectorIssEEZZNS1_16scan_by_key_implILNS1_25lookback_scan_determinismE0ELb0ES3_N6thrust23THRUST_200600_302600_NS6detail15normal_iteratorINS9_10device_ptrIsEEEENS9_18transform_iteratorINS9_6negateIsEESE_NS9_11use_defaultESI_EESE_sNS9_4plusIvEENS9_8equal_toIvEEsEE10hipError_tPvRmT2_T3_T4_T5_mT6_T7_P12ihipStream_tbENKUlT_T0_E_clISt17integral_constantIbLb0EES14_EEDaSZ_S10_EUlSZ_E_NS1_11comp_targetILNS1_3genE3ELNS1_11target_archE908ELNS1_3gpuE7ELNS1_3repE0EEENS1_30default_config_static_selectorELNS0_4arch9wavefront6targetE0EEEvT1_, .Lfunc_end969-_ZN7rocprim17ROCPRIM_400000_NS6detail17trampoline_kernelINS0_14default_configENS1_27scan_by_key_config_selectorIssEEZZNS1_16scan_by_key_implILNS1_25lookback_scan_determinismE0ELb0ES3_N6thrust23THRUST_200600_302600_NS6detail15normal_iteratorINS9_10device_ptrIsEEEENS9_18transform_iteratorINS9_6negateIsEESE_NS9_11use_defaultESI_EESE_sNS9_4plusIvEENS9_8equal_toIvEEsEE10hipError_tPvRmT2_T3_T4_T5_mT6_T7_P12ihipStream_tbENKUlT_T0_E_clISt17integral_constantIbLb0EES14_EEDaSZ_S10_EUlSZ_E_NS1_11comp_targetILNS1_3genE3ELNS1_11target_archE908ELNS1_3gpuE7ELNS1_3repE0EEENS1_30default_config_static_selectorELNS0_4arch9wavefront6targetE0EEEvT1_
                                        ; -- End function
	.set _ZN7rocprim17ROCPRIM_400000_NS6detail17trampoline_kernelINS0_14default_configENS1_27scan_by_key_config_selectorIssEEZZNS1_16scan_by_key_implILNS1_25lookback_scan_determinismE0ELb0ES3_N6thrust23THRUST_200600_302600_NS6detail15normal_iteratorINS9_10device_ptrIsEEEENS9_18transform_iteratorINS9_6negateIsEESE_NS9_11use_defaultESI_EESE_sNS9_4plusIvEENS9_8equal_toIvEEsEE10hipError_tPvRmT2_T3_T4_T5_mT6_T7_P12ihipStream_tbENKUlT_T0_E_clISt17integral_constantIbLb0EES14_EEDaSZ_S10_EUlSZ_E_NS1_11comp_targetILNS1_3genE3ELNS1_11target_archE908ELNS1_3gpuE7ELNS1_3repE0EEENS1_30default_config_static_selectorELNS0_4arch9wavefront6targetE0EEEvT1_.num_vgpr, 0
	.set _ZN7rocprim17ROCPRIM_400000_NS6detail17trampoline_kernelINS0_14default_configENS1_27scan_by_key_config_selectorIssEEZZNS1_16scan_by_key_implILNS1_25lookback_scan_determinismE0ELb0ES3_N6thrust23THRUST_200600_302600_NS6detail15normal_iteratorINS9_10device_ptrIsEEEENS9_18transform_iteratorINS9_6negateIsEESE_NS9_11use_defaultESI_EESE_sNS9_4plusIvEENS9_8equal_toIvEEsEE10hipError_tPvRmT2_T3_T4_T5_mT6_T7_P12ihipStream_tbENKUlT_T0_E_clISt17integral_constantIbLb0EES14_EEDaSZ_S10_EUlSZ_E_NS1_11comp_targetILNS1_3genE3ELNS1_11target_archE908ELNS1_3gpuE7ELNS1_3repE0EEENS1_30default_config_static_selectorELNS0_4arch9wavefront6targetE0EEEvT1_.num_agpr, 0
	.set _ZN7rocprim17ROCPRIM_400000_NS6detail17trampoline_kernelINS0_14default_configENS1_27scan_by_key_config_selectorIssEEZZNS1_16scan_by_key_implILNS1_25lookback_scan_determinismE0ELb0ES3_N6thrust23THRUST_200600_302600_NS6detail15normal_iteratorINS9_10device_ptrIsEEEENS9_18transform_iteratorINS9_6negateIsEESE_NS9_11use_defaultESI_EESE_sNS9_4plusIvEENS9_8equal_toIvEEsEE10hipError_tPvRmT2_T3_T4_T5_mT6_T7_P12ihipStream_tbENKUlT_T0_E_clISt17integral_constantIbLb0EES14_EEDaSZ_S10_EUlSZ_E_NS1_11comp_targetILNS1_3genE3ELNS1_11target_archE908ELNS1_3gpuE7ELNS1_3repE0EEENS1_30default_config_static_selectorELNS0_4arch9wavefront6targetE0EEEvT1_.numbered_sgpr, 0
	.set _ZN7rocprim17ROCPRIM_400000_NS6detail17trampoline_kernelINS0_14default_configENS1_27scan_by_key_config_selectorIssEEZZNS1_16scan_by_key_implILNS1_25lookback_scan_determinismE0ELb0ES3_N6thrust23THRUST_200600_302600_NS6detail15normal_iteratorINS9_10device_ptrIsEEEENS9_18transform_iteratorINS9_6negateIsEESE_NS9_11use_defaultESI_EESE_sNS9_4plusIvEENS9_8equal_toIvEEsEE10hipError_tPvRmT2_T3_T4_T5_mT6_T7_P12ihipStream_tbENKUlT_T0_E_clISt17integral_constantIbLb0EES14_EEDaSZ_S10_EUlSZ_E_NS1_11comp_targetILNS1_3genE3ELNS1_11target_archE908ELNS1_3gpuE7ELNS1_3repE0EEENS1_30default_config_static_selectorELNS0_4arch9wavefront6targetE0EEEvT1_.num_named_barrier, 0
	.set _ZN7rocprim17ROCPRIM_400000_NS6detail17trampoline_kernelINS0_14default_configENS1_27scan_by_key_config_selectorIssEEZZNS1_16scan_by_key_implILNS1_25lookback_scan_determinismE0ELb0ES3_N6thrust23THRUST_200600_302600_NS6detail15normal_iteratorINS9_10device_ptrIsEEEENS9_18transform_iteratorINS9_6negateIsEESE_NS9_11use_defaultESI_EESE_sNS9_4plusIvEENS9_8equal_toIvEEsEE10hipError_tPvRmT2_T3_T4_T5_mT6_T7_P12ihipStream_tbENKUlT_T0_E_clISt17integral_constantIbLb0EES14_EEDaSZ_S10_EUlSZ_E_NS1_11comp_targetILNS1_3genE3ELNS1_11target_archE908ELNS1_3gpuE7ELNS1_3repE0EEENS1_30default_config_static_selectorELNS0_4arch9wavefront6targetE0EEEvT1_.private_seg_size, 0
	.set _ZN7rocprim17ROCPRIM_400000_NS6detail17trampoline_kernelINS0_14default_configENS1_27scan_by_key_config_selectorIssEEZZNS1_16scan_by_key_implILNS1_25lookback_scan_determinismE0ELb0ES3_N6thrust23THRUST_200600_302600_NS6detail15normal_iteratorINS9_10device_ptrIsEEEENS9_18transform_iteratorINS9_6negateIsEESE_NS9_11use_defaultESI_EESE_sNS9_4plusIvEENS9_8equal_toIvEEsEE10hipError_tPvRmT2_T3_T4_T5_mT6_T7_P12ihipStream_tbENKUlT_T0_E_clISt17integral_constantIbLb0EES14_EEDaSZ_S10_EUlSZ_E_NS1_11comp_targetILNS1_3genE3ELNS1_11target_archE908ELNS1_3gpuE7ELNS1_3repE0EEENS1_30default_config_static_selectorELNS0_4arch9wavefront6targetE0EEEvT1_.uses_vcc, 0
	.set _ZN7rocprim17ROCPRIM_400000_NS6detail17trampoline_kernelINS0_14default_configENS1_27scan_by_key_config_selectorIssEEZZNS1_16scan_by_key_implILNS1_25lookback_scan_determinismE0ELb0ES3_N6thrust23THRUST_200600_302600_NS6detail15normal_iteratorINS9_10device_ptrIsEEEENS9_18transform_iteratorINS9_6negateIsEESE_NS9_11use_defaultESI_EESE_sNS9_4plusIvEENS9_8equal_toIvEEsEE10hipError_tPvRmT2_T3_T4_T5_mT6_T7_P12ihipStream_tbENKUlT_T0_E_clISt17integral_constantIbLb0EES14_EEDaSZ_S10_EUlSZ_E_NS1_11comp_targetILNS1_3genE3ELNS1_11target_archE908ELNS1_3gpuE7ELNS1_3repE0EEENS1_30default_config_static_selectorELNS0_4arch9wavefront6targetE0EEEvT1_.uses_flat_scratch, 0
	.set _ZN7rocprim17ROCPRIM_400000_NS6detail17trampoline_kernelINS0_14default_configENS1_27scan_by_key_config_selectorIssEEZZNS1_16scan_by_key_implILNS1_25lookback_scan_determinismE0ELb0ES3_N6thrust23THRUST_200600_302600_NS6detail15normal_iteratorINS9_10device_ptrIsEEEENS9_18transform_iteratorINS9_6negateIsEESE_NS9_11use_defaultESI_EESE_sNS9_4plusIvEENS9_8equal_toIvEEsEE10hipError_tPvRmT2_T3_T4_T5_mT6_T7_P12ihipStream_tbENKUlT_T0_E_clISt17integral_constantIbLb0EES14_EEDaSZ_S10_EUlSZ_E_NS1_11comp_targetILNS1_3genE3ELNS1_11target_archE908ELNS1_3gpuE7ELNS1_3repE0EEENS1_30default_config_static_selectorELNS0_4arch9wavefront6targetE0EEEvT1_.has_dyn_sized_stack, 0
	.set _ZN7rocprim17ROCPRIM_400000_NS6detail17trampoline_kernelINS0_14default_configENS1_27scan_by_key_config_selectorIssEEZZNS1_16scan_by_key_implILNS1_25lookback_scan_determinismE0ELb0ES3_N6thrust23THRUST_200600_302600_NS6detail15normal_iteratorINS9_10device_ptrIsEEEENS9_18transform_iteratorINS9_6negateIsEESE_NS9_11use_defaultESI_EESE_sNS9_4plusIvEENS9_8equal_toIvEEsEE10hipError_tPvRmT2_T3_T4_T5_mT6_T7_P12ihipStream_tbENKUlT_T0_E_clISt17integral_constantIbLb0EES14_EEDaSZ_S10_EUlSZ_E_NS1_11comp_targetILNS1_3genE3ELNS1_11target_archE908ELNS1_3gpuE7ELNS1_3repE0EEENS1_30default_config_static_selectorELNS0_4arch9wavefront6targetE0EEEvT1_.has_recursion, 0
	.set _ZN7rocprim17ROCPRIM_400000_NS6detail17trampoline_kernelINS0_14default_configENS1_27scan_by_key_config_selectorIssEEZZNS1_16scan_by_key_implILNS1_25lookback_scan_determinismE0ELb0ES3_N6thrust23THRUST_200600_302600_NS6detail15normal_iteratorINS9_10device_ptrIsEEEENS9_18transform_iteratorINS9_6negateIsEESE_NS9_11use_defaultESI_EESE_sNS9_4plusIvEENS9_8equal_toIvEEsEE10hipError_tPvRmT2_T3_T4_T5_mT6_T7_P12ihipStream_tbENKUlT_T0_E_clISt17integral_constantIbLb0EES14_EEDaSZ_S10_EUlSZ_E_NS1_11comp_targetILNS1_3genE3ELNS1_11target_archE908ELNS1_3gpuE7ELNS1_3repE0EEENS1_30default_config_static_selectorELNS0_4arch9wavefront6targetE0EEEvT1_.has_indirect_call, 0
	.section	.AMDGPU.csdata,"",@progbits
; Kernel info:
; codeLenInByte = 0
; TotalNumSgprs: 0
; NumVgprs: 0
; ScratchSize: 0
; MemoryBound: 0
; FloatMode: 240
; IeeeMode: 1
; LDSByteSize: 0 bytes/workgroup (compile time only)
; SGPRBlocks: 0
; VGPRBlocks: 0
; NumSGPRsForWavesPerEU: 1
; NumVGPRsForWavesPerEU: 1
; Occupancy: 16
; WaveLimiterHint : 0
; COMPUTE_PGM_RSRC2:SCRATCH_EN: 0
; COMPUTE_PGM_RSRC2:USER_SGPR: 6
; COMPUTE_PGM_RSRC2:TRAP_HANDLER: 0
; COMPUTE_PGM_RSRC2:TGID_X_EN: 1
; COMPUTE_PGM_RSRC2:TGID_Y_EN: 0
; COMPUTE_PGM_RSRC2:TGID_Z_EN: 0
; COMPUTE_PGM_RSRC2:TIDIG_COMP_CNT: 0
	.section	.text._ZN7rocprim17ROCPRIM_400000_NS6detail17trampoline_kernelINS0_14default_configENS1_27scan_by_key_config_selectorIssEEZZNS1_16scan_by_key_implILNS1_25lookback_scan_determinismE0ELb0ES3_N6thrust23THRUST_200600_302600_NS6detail15normal_iteratorINS9_10device_ptrIsEEEENS9_18transform_iteratorINS9_6negateIsEESE_NS9_11use_defaultESI_EESE_sNS9_4plusIvEENS9_8equal_toIvEEsEE10hipError_tPvRmT2_T3_T4_T5_mT6_T7_P12ihipStream_tbENKUlT_T0_E_clISt17integral_constantIbLb0EES14_EEDaSZ_S10_EUlSZ_E_NS1_11comp_targetILNS1_3genE2ELNS1_11target_archE906ELNS1_3gpuE6ELNS1_3repE0EEENS1_30default_config_static_selectorELNS0_4arch9wavefront6targetE0EEEvT1_,"axG",@progbits,_ZN7rocprim17ROCPRIM_400000_NS6detail17trampoline_kernelINS0_14default_configENS1_27scan_by_key_config_selectorIssEEZZNS1_16scan_by_key_implILNS1_25lookback_scan_determinismE0ELb0ES3_N6thrust23THRUST_200600_302600_NS6detail15normal_iteratorINS9_10device_ptrIsEEEENS9_18transform_iteratorINS9_6negateIsEESE_NS9_11use_defaultESI_EESE_sNS9_4plusIvEENS9_8equal_toIvEEsEE10hipError_tPvRmT2_T3_T4_T5_mT6_T7_P12ihipStream_tbENKUlT_T0_E_clISt17integral_constantIbLb0EES14_EEDaSZ_S10_EUlSZ_E_NS1_11comp_targetILNS1_3genE2ELNS1_11target_archE906ELNS1_3gpuE6ELNS1_3repE0EEENS1_30default_config_static_selectorELNS0_4arch9wavefront6targetE0EEEvT1_,comdat
	.protected	_ZN7rocprim17ROCPRIM_400000_NS6detail17trampoline_kernelINS0_14default_configENS1_27scan_by_key_config_selectorIssEEZZNS1_16scan_by_key_implILNS1_25lookback_scan_determinismE0ELb0ES3_N6thrust23THRUST_200600_302600_NS6detail15normal_iteratorINS9_10device_ptrIsEEEENS9_18transform_iteratorINS9_6negateIsEESE_NS9_11use_defaultESI_EESE_sNS9_4plusIvEENS9_8equal_toIvEEsEE10hipError_tPvRmT2_T3_T4_T5_mT6_T7_P12ihipStream_tbENKUlT_T0_E_clISt17integral_constantIbLb0EES14_EEDaSZ_S10_EUlSZ_E_NS1_11comp_targetILNS1_3genE2ELNS1_11target_archE906ELNS1_3gpuE6ELNS1_3repE0EEENS1_30default_config_static_selectorELNS0_4arch9wavefront6targetE0EEEvT1_ ; -- Begin function _ZN7rocprim17ROCPRIM_400000_NS6detail17trampoline_kernelINS0_14default_configENS1_27scan_by_key_config_selectorIssEEZZNS1_16scan_by_key_implILNS1_25lookback_scan_determinismE0ELb0ES3_N6thrust23THRUST_200600_302600_NS6detail15normal_iteratorINS9_10device_ptrIsEEEENS9_18transform_iteratorINS9_6negateIsEESE_NS9_11use_defaultESI_EESE_sNS9_4plusIvEENS9_8equal_toIvEEsEE10hipError_tPvRmT2_T3_T4_T5_mT6_T7_P12ihipStream_tbENKUlT_T0_E_clISt17integral_constantIbLb0EES14_EEDaSZ_S10_EUlSZ_E_NS1_11comp_targetILNS1_3genE2ELNS1_11target_archE906ELNS1_3gpuE6ELNS1_3repE0EEENS1_30default_config_static_selectorELNS0_4arch9wavefront6targetE0EEEvT1_
	.globl	_ZN7rocprim17ROCPRIM_400000_NS6detail17trampoline_kernelINS0_14default_configENS1_27scan_by_key_config_selectorIssEEZZNS1_16scan_by_key_implILNS1_25lookback_scan_determinismE0ELb0ES3_N6thrust23THRUST_200600_302600_NS6detail15normal_iteratorINS9_10device_ptrIsEEEENS9_18transform_iteratorINS9_6negateIsEESE_NS9_11use_defaultESI_EESE_sNS9_4plusIvEENS9_8equal_toIvEEsEE10hipError_tPvRmT2_T3_T4_T5_mT6_T7_P12ihipStream_tbENKUlT_T0_E_clISt17integral_constantIbLb0EES14_EEDaSZ_S10_EUlSZ_E_NS1_11comp_targetILNS1_3genE2ELNS1_11target_archE906ELNS1_3gpuE6ELNS1_3repE0EEENS1_30default_config_static_selectorELNS0_4arch9wavefront6targetE0EEEvT1_
	.p2align	8
	.type	_ZN7rocprim17ROCPRIM_400000_NS6detail17trampoline_kernelINS0_14default_configENS1_27scan_by_key_config_selectorIssEEZZNS1_16scan_by_key_implILNS1_25lookback_scan_determinismE0ELb0ES3_N6thrust23THRUST_200600_302600_NS6detail15normal_iteratorINS9_10device_ptrIsEEEENS9_18transform_iteratorINS9_6negateIsEESE_NS9_11use_defaultESI_EESE_sNS9_4plusIvEENS9_8equal_toIvEEsEE10hipError_tPvRmT2_T3_T4_T5_mT6_T7_P12ihipStream_tbENKUlT_T0_E_clISt17integral_constantIbLb0EES14_EEDaSZ_S10_EUlSZ_E_NS1_11comp_targetILNS1_3genE2ELNS1_11target_archE906ELNS1_3gpuE6ELNS1_3repE0EEENS1_30default_config_static_selectorELNS0_4arch9wavefront6targetE0EEEvT1_,@function
_ZN7rocprim17ROCPRIM_400000_NS6detail17trampoline_kernelINS0_14default_configENS1_27scan_by_key_config_selectorIssEEZZNS1_16scan_by_key_implILNS1_25lookback_scan_determinismE0ELb0ES3_N6thrust23THRUST_200600_302600_NS6detail15normal_iteratorINS9_10device_ptrIsEEEENS9_18transform_iteratorINS9_6negateIsEESE_NS9_11use_defaultESI_EESE_sNS9_4plusIvEENS9_8equal_toIvEEsEE10hipError_tPvRmT2_T3_T4_T5_mT6_T7_P12ihipStream_tbENKUlT_T0_E_clISt17integral_constantIbLb0EES14_EEDaSZ_S10_EUlSZ_E_NS1_11comp_targetILNS1_3genE2ELNS1_11target_archE906ELNS1_3gpuE6ELNS1_3repE0EEENS1_30default_config_static_selectorELNS0_4arch9wavefront6targetE0EEEvT1_: ; @_ZN7rocprim17ROCPRIM_400000_NS6detail17trampoline_kernelINS0_14default_configENS1_27scan_by_key_config_selectorIssEEZZNS1_16scan_by_key_implILNS1_25lookback_scan_determinismE0ELb0ES3_N6thrust23THRUST_200600_302600_NS6detail15normal_iteratorINS9_10device_ptrIsEEEENS9_18transform_iteratorINS9_6negateIsEESE_NS9_11use_defaultESI_EESE_sNS9_4plusIvEENS9_8equal_toIvEEsEE10hipError_tPvRmT2_T3_T4_T5_mT6_T7_P12ihipStream_tbENKUlT_T0_E_clISt17integral_constantIbLb0EES14_EEDaSZ_S10_EUlSZ_E_NS1_11comp_targetILNS1_3genE2ELNS1_11target_archE906ELNS1_3gpuE6ELNS1_3repE0EEENS1_30default_config_static_selectorELNS0_4arch9wavefront6targetE0EEEvT1_
; %bb.0:
	.section	.rodata,"a",@progbits
	.p2align	6, 0x0
	.amdhsa_kernel _ZN7rocprim17ROCPRIM_400000_NS6detail17trampoline_kernelINS0_14default_configENS1_27scan_by_key_config_selectorIssEEZZNS1_16scan_by_key_implILNS1_25lookback_scan_determinismE0ELb0ES3_N6thrust23THRUST_200600_302600_NS6detail15normal_iteratorINS9_10device_ptrIsEEEENS9_18transform_iteratorINS9_6negateIsEESE_NS9_11use_defaultESI_EESE_sNS9_4plusIvEENS9_8equal_toIvEEsEE10hipError_tPvRmT2_T3_T4_T5_mT6_T7_P12ihipStream_tbENKUlT_T0_E_clISt17integral_constantIbLb0EES14_EEDaSZ_S10_EUlSZ_E_NS1_11comp_targetILNS1_3genE2ELNS1_11target_archE906ELNS1_3gpuE6ELNS1_3repE0EEENS1_30default_config_static_selectorELNS0_4arch9wavefront6targetE0EEEvT1_
		.amdhsa_group_segment_fixed_size 0
		.amdhsa_private_segment_fixed_size 0
		.amdhsa_kernarg_size 120
		.amdhsa_user_sgpr_count 6
		.amdhsa_user_sgpr_private_segment_buffer 1
		.amdhsa_user_sgpr_dispatch_ptr 0
		.amdhsa_user_sgpr_queue_ptr 0
		.amdhsa_user_sgpr_kernarg_segment_ptr 1
		.amdhsa_user_sgpr_dispatch_id 0
		.amdhsa_user_sgpr_flat_scratch_init 0
		.amdhsa_user_sgpr_private_segment_size 0
		.amdhsa_wavefront_size32 1
		.amdhsa_uses_dynamic_stack 0
		.amdhsa_system_sgpr_private_segment_wavefront_offset 0
		.amdhsa_system_sgpr_workgroup_id_x 1
		.amdhsa_system_sgpr_workgroup_id_y 0
		.amdhsa_system_sgpr_workgroup_id_z 0
		.amdhsa_system_sgpr_workgroup_info 0
		.amdhsa_system_vgpr_workitem_id 0
		.amdhsa_next_free_vgpr 1
		.amdhsa_next_free_sgpr 1
		.amdhsa_reserve_vcc 0
		.amdhsa_reserve_flat_scratch 0
		.amdhsa_float_round_mode_32 0
		.amdhsa_float_round_mode_16_64 0
		.amdhsa_float_denorm_mode_32 3
		.amdhsa_float_denorm_mode_16_64 3
		.amdhsa_dx10_clamp 1
		.amdhsa_ieee_mode 1
		.amdhsa_fp16_overflow 0
		.amdhsa_workgroup_processor_mode 1
		.amdhsa_memory_ordered 1
		.amdhsa_forward_progress 1
		.amdhsa_shared_vgpr_count 0
		.amdhsa_exception_fp_ieee_invalid_op 0
		.amdhsa_exception_fp_denorm_src 0
		.amdhsa_exception_fp_ieee_div_zero 0
		.amdhsa_exception_fp_ieee_overflow 0
		.amdhsa_exception_fp_ieee_underflow 0
		.amdhsa_exception_fp_ieee_inexact 0
		.amdhsa_exception_int_div_zero 0
	.end_amdhsa_kernel
	.section	.text._ZN7rocprim17ROCPRIM_400000_NS6detail17trampoline_kernelINS0_14default_configENS1_27scan_by_key_config_selectorIssEEZZNS1_16scan_by_key_implILNS1_25lookback_scan_determinismE0ELb0ES3_N6thrust23THRUST_200600_302600_NS6detail15normal_iteratorINS9_10device_ptrIsEEEENS9_18transform_iteratorINS9_6negateIsEESE_NS9_11use_defaultESI_EESE_sNS9_4plusIvEENS9_8equal_toIvEEsEE10hipError_tPvRmT2_T3_T4_T5_mT6_T7_P12ihipStream_tbENKUlT_T0_E_clISt17integral_constantIbLb0EES14_EEDaSZ_S10_EUlSZ_E_NS1_11comp_targetILNS1_3genE2ELNS1_11target_archE906ELNS1_3gpuE6ELNS1_3repE0EEENS1_30default_config_static_selectorELNS0_4arch9wavefront6targetE0EEEvT1_,"axG",@progbits,_ZN7rocprim17ROCPRIM_400000_NS6detail17trampoline_kernelINS0_14default_configENS1_27scan_by_key_config_selectorIssEEZZNS1_16scan_by_key_implILNS1_25lookback_scan_determinismE0ELb0ES3_N6thrust23THRUST_200600_302600_NS6detail15normal_iteratorINS9_10device_ptrIsEEEENS9_18transform_iteratorINS9_6negateIsEESE_NS9_11use_defaultESI_EESE_sNS9_4plusIvEENS9_8equal_toIvEEsEE10hipError_tPvRmT2_T3_T4_T5_mT6_T7_P12ihipStream_tbENKUlT_T0_E_clISt17integral_constantIbLb0EES14_EEDaSZ_S10_EUlSZ_E_NS1_11comp_targetILNS1_3genE2ELNS1_11target_archE906ELNS1_3gpuE6ELNS1_3repE0EEENS1_30default_config_static_selectorELNS0_4arch9wavefront6targetE0EEEvT1_,comdat
.Lfunc_end970:
	.size	_ZN7rocprim17ROCPRIM_400000_NS6detail17trampoline_kernelINS0_14default_configENS1_27scan_by_key_config_selectorIssEEZZNS1_16scan_by_key_implILNS1_25lookback_scan_determinismE0ELb0ES3_N6thrust23THRUST_200600_302600_NS6detail15normal_iteratorINS9_10device_ptrIsEEEENS9_18transform_iteratorINS9_6negateIsEESE_NS9_11use_defaultESI_EESE_sNS9_4plusIvEENS9_8equal_toIvEEsEE10hipError_tPvRmT2_T3_T4_T5_mT6_T7_P12ihipStream_tbENKUlT_T0_E_clISt17integral_constantIbLb0EES14_EEDaSZ_S10_EUlSZ_E_NS1_11comp_targetILNS1_3genE2ELNS1_11target_archE906ELNS1_3gpuE6ELNS1_3repE0EEENS1_30default_config_static_selectorELNS0_4arch9wavefront6targetE0EEEvT1_, .Lfunc_end970-_ZN7rocprim17ROCPRIM_400000_NS6detail17trampoline_kernelINS0_14default_configENS1_27scan_by_key_config_selectorIssEEZZNS1_16scan_by_key_implILNS1_25lookback_scan_determinismE0ELb0ES3_N6thrust23THRUST_200600_302600_NS6detail15normal_iteratorINS9_10device_ptrIsEEEENS9_18transform_iteratorINS9_6negateIsEESE_NS9_11use_defaultESI_EESE_sNS9_4plusIvEENS9_8equal_toIvEEsEE10hipError_tPvRmT2_T3_T4_T5_mT6_T7_P12ihipStream_tbENKUlT_T0_E_clISt17integral_constantIbLb0EES14_EEDaSZ_S10_EUlSZ_E_NS1_11comp_targetILNS1_3genE2ELNS1_11target_archE906ELNS1_3gpuE6ELNS1_3repE0EEENS1_30default_config_static_selectorELNS0_4arch9wavefront6targetE0EEEvT1_
                                        ; -- End function
	.set _ZN7rocprim17ROCPRIM_400000_NS6detail17trampoline_kernelINS0_14default_configENS1_27scan_by_key_config_selectorIssEEZZNS1_16scan_by_key_implILNS1_25lookback_scan_determinismE0ELb0ES3_N6thrust23THRUST_200600_302600_NS6detail15normal_iteratorINS9_10device_ptrIsEEEENS9_18transform_iteratorINS9_6negateIsEESE_NS9_11use_defaultESI_EESE_sNS9_4plusIvEENS9_8equal_toIvEEsEE10hipError_tPvRmT2_T3_T4_T5_mT6_T7_P12ihipStream_tbENKUlT_T0_E_clISt17integral_constantIbLb0EES14_EEDaSZ_S10_EUlSZ_E_NS1_11comp_targetILNS1_3genE2ELNS1_11target_archE906ELNS1_3gpuE6ELNS1_3repE0EEENS1_30default_config_static_selectorELNS0_4arch9wavefront6targetE0EEEvT1_.num_vgpr, 0
	.set _ZN7rocprim17ROCPRIM_400000_NS6detail17trampoline_kernelINS0_14default_configENS1_27scan_by_key_config_selectorIssEEZZNS1_16scan_by_key_implILNS1_25lookback_scan_determinismE0ELb0ES3_N6thrust23THRUST_200600_302600_NS6detail15normal_iteratorINS9_10device_ptrIsEEEENS9_18transform_iteratorINS9_6negateIsEESE_NS9_11use_defaultESI_EESE_sNS9_4plusIvEENS9_8equal_toIvEEsEE10hipError_tPvRmT2_T3_T4_T5_mT6_T7_P12ihipStream_tbENKUlT_T0_E_clISt17integral_constantIbLb0EES14_EEDaSZ_S10_EUlSZ_E_NS1_11comp_targetILNS1_3genE2ELNS1_11target_archE906ELNS1_3gpuE6ELNS1_3repE0EEENS1_30default_config_static_selectorELNS0_4arch9wavefront6targetE0EEEvT1_.num_agpr, 0
	.set _ZN7rocprim17ROCPRIM_400000_NS6detail17trampoline_kernelINS0_14default_configENS1_27scan_by_key_config_selectorIssEEZZNS1_16scan_by_key_implILNS1_25lookback_scan_determinismE0ELb0ES3_N6thrust23THRUST_200600_302600_NS6detail15normal_iteratorINS9_10device_ptrIsEEEENS9_18transform_iteratorINS9_6negateIsEESE_NS9_11use_defaultESI_EESE_sNS9_4plusIvEENS9_8equal_toIvEEsEE10hipError_tPvRmT2_T3_T4_T5_mT6_T7_P12ihipStream_tbENKUlT_T0_E_clISt17integral_constantIbLb0EES14_EEDaSZ_S10_EUlSZ_E_NS1_11comp_targetILNS1_3genE2ELNS1_11target_archE906ELNS1_3gpuE6ELNS1_3repE0EEENS1_30default_config_static_selectorELNS0_4arch9wavefront6targetE0EEEvT1_.numbered_sgpr, 0
	.set _ZN7rocprim17ROCPRIM_400000_NS6detail17trampoline_kernelINS0_14default_configENS1_27scan_by_key_config_selectorIssEEZZNS1_16scan_by_key_implILNS1_25lookback_scan_determinismE0ELb0ES3_N6thrust23THRUST_200600_302600_NS6detail15normal_iteratorINS9_10device_ptrIsEEEENS9_18transform_iteratorINS9_6negateIsEESE_NS9_11use_defaultESI_EESE_sNS9_4plusIvEENS9_8equal_toIvEEsEE10hipError_tPvRmT2_T3_T4_T5_mT6_T7_P12ihipStream_tbENKUlT_T0_E_clISt17integral_constantIbLb0EES14_EEDaSZ_S10_EUlSZ_E_NS1_11comp_targetILNS1_3genE2ELNS1_11target_archE906ELNS1_3gpuE6ELNS1_3repE0EEENS1_30default_config_static_selectorELNS0_4arch9wavefront6targetE0EEEvT1_.num_named_barrier, 0
	.set _ZN7rocprim17ROCPRIM_400000_NS6detail17trampoline_kernelINS0_14default_configENS1_27scan_by_key_config_selectorIssEEZZNS1_16scan_by_key_implILNS1_25lookback_scan_determinismE0ELb0ES3_N6thrust23THRUST_200600_302600_NS6detail15normal_iteratorINS9_10device_ptrIsEEEENS9_18transform_iteratorINS9_6negateIsEESE_NS9_11use_defaultESI_EESE_sNS9_4plusIvEENS9_8equal_toIvEEsEE10hipError_tPvRmT2_T3_T4_T5_mT6_T7_P12ihipStream_tbENKUlT_T0_E_clISt17integral_constantIbLb0EES14_EEDaSZ_S10_EUlSZ_E_NS1_11comp_targetILNS1_3genE2ELNS1_11target_archE906ELNS1_3gpuE6ELNS1_3repE0EEENS1_30default_config_static_selectorELNS0_4arch9wavefront6targetE0EEEvT1_.private_seg_size, 0
	.set _ZN7rocprim17ROCPRIM_400000_NS6detail17trampoline_kernelINS0_14default_configENS1_27scan_by_key_config_selectorIssEEZZNS1_16scan_by_key_implILNS1_25lookback_scan_determinismE0ELb0ES3_N6thrust23THRUST_200600_302600_NS6detail15normal_iteratorINS9_10device_ptrIsEEEENS9_18transform_iteratorINS9_6negateIsEESE_NS9_11use_defaultESI_EESE_sNS9_4plusIvEENS9_8equal_toIvEEsEE10hipError_tPvRmT2_T3_T4_T5_mT6_T7_P12ihipStream_tbENKUlT_T0_E_clISt17integral_constantIbLb0EES14_EEDaSZ_S10_EUlSZ_E_NS1_11comp_targetILNS1_3genE2ELNS1_11target_archE906ELNS1_3gpuE6ELNS1_3repE0EEENS1_30default_config_static_selectorELNS0_4arch9wavefront6targetE0EEEvT1_.uses_vcc, 0
	.set _ZN7rocprim17ROCPRIM_400000_NS6detail17trampoline_kernelINS0_14default_configENS1_27scan_by_key_config_selectorIssEEZZNS1_16scan_by_key_implILNS1_25lookback_scan_determinismE0ELb0ES3_N6thrust23THRUST_200600_302600_NS6detail15normal_iteratorINS9_10device_ptrIsEEEENS9_18transform_iteratorINS9_6negateIsEESE_NS9_11use_defaultESI_EESE_sNS9_4plusIvEENS9_8equal_toIvEEsEE10hipError_tPvRmT2_T3_T4_T5_mT6_T7_P12ihipStream_tbENKUlT_T0_E_clISt17integral_constantIbLb0EES14_EEDaSZ_S10_EUlSZ_E_NS1_11comp_targetILNS1_3genE2ELNS1_11target_archE906ELNS1_3gpuE6ELNS1_3repE0EEENS1_30default_config_static_selectorELNS0_4arch9wavefront6targetE0EEEvT1_.uses_flat_scratch, 0
	.set _ZN7rocprim17ROCPRIM_400000_NS6detail17trampoline_kernelINS0_14default_configENS1_27scan_by_key_config_selectorIssEEZZNS1_16scan_by_key_implILNS1_25lookback_scan_determinismE0ELb0ES3_N6thrust23THRUST_200600_302600_NS6detail15normal_iteratorINS9_10device_ptrIsEEEENS9_18transform_iteratorINS9_6negateIsEESE_NS9_11use_defaultESI_EESE_sNS9_4plusIvEENS9_8equal_toIvEEsEE10hipError_tPvRmT2_T3_T4_T5_mT6_T7_P12ihipStream_tbENKUlT_T0_E_clISt17integral_constantIbLb0EES14_EEDaSZ_S10_EUlSZ_E_NS1_11comp_targetILNS1_3genE2ELNS1_11target_archE906ELNS1_3gpuE6ELNS1_3repE0EEENS1_30default_config_static_selectorELNS0_4arch9wavefront6targetE0EEEvT1_.has_dyn_sized_stack, 0
	.set _ZN7rocprim17ROCPRIM_400000_NS6detail17trampoline_kernelINS0_14default_configENS1_27scan_by_key_config_selectorIssEEZZNS1_16scan_by_key_implILNS1_25lookback_scan_determinismE0ELb0ES3_N6thrust23THRUST_200600_302600_NS6detail15normal_iteratorINS9_10device_ptrIsEEEENS9_18transform_iteratorINS9_6negateIsEESE_NS9_11use_defaultESI_EESE_sNS9_4plusIvEENS9_8equal_toIvEEsEE10hipError_tPvRmT2_T3_T4_T5_mT6_T7_P12ihipStream_tbENKUlT_T0_E_clISt17integral_constantIbLb0EES14_EEDaSZ_S10_EUlSZ_E_NS1_11comp_targetILNS1_3genE2ELNS1_11target_archE906ELNS1_3gpuE6ELNS1_3repE0EEENS1_30default_config_static_selectorELNS0_4arch9wavefront6targetE0EEEvT1_.has_recursion, 0
	.set _ZN7rocprim17ROCPRIM_400000_NS6detail17trampoline_kernelINS0_14default_configENS1_27scan_by_key_config_selectorIssEEZZNS1_16scan_by_key_implILNS1_25lookback_scan_determinismE0ELb0ES3_N6thrust23THRUST_200600_302600_NS6detail15normal_iteratorINS9_10device_ptrIsEEEENS9_18transform_iteratorINS9_6negateIsEESE_NS9_11use_defaultESI_EESE_sNS9_4plusIvEENS9_8equal_toIvEEsEE10hipError_tPvRmT2_T3_T4_T5_mT6_T7_P12ihipStream_tbENKUlT_T0_E_clISt17integral_constantIbLb0EES14_EEDaSZ_S10_EUlSZ_E_NS1_11comp_targetILNS1_3genE2ELNS1_11target_archE906ELNS1_3gpuE6ELNS1_3repE0EEENS1_30default_config_static_selectorELNS0_4arch9wavefront6targetE0EEEvT1_.has_indirect_call, 0
	.section	.AMDGPU.csdata,"",@progbits
; Kernel info:
; codeLenInByte = 0
; TotalNumSgprs: 0
; NumVgprs: 0
; ScratchSize: 0
; MemoryBound: 0
; FloatMode: 240
; IeeeMode: 1
; LDSByteSize: 0 bytes/workgroup (compile time only)
; SGPRBlocks: 0
; VGPRBlocks: 0
; NumSGPRsForWavesPerEU: 1
; NumVGPRsForWavesPerEU: 1
; Occupancy: 16
; WaveLimiterHint : 0
; COMPUTE_PGM_RSRC2:SCRATCH_EN: 0
; COMPUTE_PGM_RSRC2:USER_SGPR: 6
; COMPUTE_PGM_RSRC2:TRAP_HANDLER: 0
; COMPUTE_PGM_RSRC2:TGID_X_EN: 1
; COMPUTE_PGM_RSRC2:TGID_Y_EN: 0
; COMPUTE_PGM_RSRC2:TGID_Z_EN: 0
; COMPUTE_PGM_RSRC2:TIDIG_COMP_CNT: 0
	.section	.text._ZN7rocprim17ROCPRIM_400000_NS6detail17trampoline_kernelINS0_14default_configENS1_27scan_by_key_config_selectorIssEEZZNS1_16scan_by_key_implILNS1_25lookback_scan_determinismE0ELb0ES3_N6thrust23THRUST_200600_302600_NS6detail15normal_iteratorINS9_10device_ptrIsEEEENS9_18transform_iteratorINS9_6negateIsEESE_NS9_11use_defaultESI_EESE_sNS9_4plusIvEENS9_8equal_toIvEEsEE10hipError_tPvRmT2_T3_T4_T5_mT6_T7_P12ihipStream_tbENKUlT_T0_E_clISt17integral_constantIbLb0EES14_EEDaSZ_S10_EUlSZ_E_NS1_11comp_targetILNS1_3genE10ELNS1_11target_archE1200ELNS1_3gpuE4ELNS1_3repE0EEENS1_30default_config_static_selectorELNS0_4arch9wavefront6targetE0EEEvT1_,"axG",@progbits,_ZN7rocprim17ROCPRIM_400000_NS6detail17trampoline_kernelINS0_14default_configENS1_27scan_by_key_config_selectorIssEEZZNS1_16scan_by_key_implILNS1_25lookback_scan_determinismE0ELb0ES3_N6thrust23THRUST_200600_302600_NS6detail15normal_iteratorINS9_10device_ptrIsEEEENS9_18transform_iteratorINS9_6negateIsEESE_NS9_11use_defaultESI_EESE_sNS9_4plusIvEENS9_8equal_toIvEEsEE10hipError_tPvRmT2_T3_T4_T5_mT6_T7_P12ihipStream_tbENKUlT_T0_E_clISt17integral_constantIbLb0EES14_EEDaSZ_S10_EUlSZ_E_NS1_11comp_targetILNS1_3genE10ELNS1_11target_archE1200ELNS1_3gpuE4ELNS1_3repE0EEENS1_30default_config_static_selectorELNS0_4arch9wavefront6targetE0EEEvT1_,comdat
	.protected	_ZN7rocprim17ROCPRIM_400000_NS6detail17trampoline_kernelINS0_14default_configENS1_27scan_by_key_config_selectorIssEEZZNS1_16scan_by_key_implILNS1_25lookback_scan_determinismE0ELb0ES3_N6thrust23THRUST_200600_302600_NS6detail15normal_iteratorINS9_10device_ptrIsEEEENS9_18transform_iteratorINS9_6negateIsEESE_NS9_11use_defaultESI_EESE_sNS9_4plusIvEENS9_8equal_toIvEEsEE10hipError_tPvRmT2_T3_T4_T5_mT6_T7_P12ihipStream_tbENKUlT_T0_E_clISt17integral_constantIbLb0EES14_EEDaSZ_S10_EUlSZ_E_NS1_11comp_targetILNS1_3genE10ELNS1_11target_archE1200ELNS1_3gpuE4ELNS1_3repE0EEENS1_30default_config_static_selectorELNS0_4arch9wavefront6targetE0EEEvT1_ ; -- Begin function _ZN7rocprim17ROCPRIM_400000_NS6detail17trampoline_kernelINS0_14default_configENS1_27scan_by_key_config_selectorIssEEZZNS1_16scan_by_key_implILNS1_25lookback_scan_determinismE0ELb0ES3_N6thrust23THRUST_200600_302600_NS6detail15normal_iteratorINS9_10device_ptrIsEEEENS9_18transform_iteratorINS9_6negateIsEESE_NS9_11use_defaultESI_EESE_sNS9_4plusIvEENS9_8equal_toIvEEsEE10hipError_tPvRmT2_T3_T4_T5_mT6_T7_P12ihipStream_tbENKUlT_T0_E_clISt17integral_constantIbLb0EES14_EEDaSZ_S10_EUlSZ_E_NS1_11comp_targetILNS1_3genE10ELNS1_11target_archE1200ELNS1_3gpuE4ELNS1_3repE0EEENS1_30default_config_static_selectorELNS0_4arch9wavefront6targetE0EEEvT1_
	.globl	_ZN7rocprim17ROCPRIM_400000_NS6detail17trampoline_kernelINS0_14default_configENS1_27scan_by_key_config_selectorIssEEZZNS1_16scan_by_key_implILNS1_25lookback_scan_determinismE0ELb0ES3_N6thrust23THRUST_200600_302600_NS6detail15normal_iteratorINS9_10device_ptrIsEEEENS9_18transform_iteratorINS9_6negateIsEESE_NS9_11use_defaultESI_EESE_sNS9_4plusIvEENS9_8equal_toIvEEsEE10hipError_tPvRmT2_T3_T4_T5_mT6_T7_P12ihipStream_tbENKUlT_T0_E_clISt17integral_constantIbLb0EES14_EEDaSZ_S10_EUlSZ_E_NS1_11comp_targetILNS1_3genE10ELNS1_11target_archE1200ELNS1_3gpuE4ELNS1_3repE0EEENS1_30default_config_static_selectorELNS0_4arch9wavefront6targetE0EEEvT1_
	.p2align	8
	.type	_ZN7rocprim17ROCPRIM_400000_NS6detail17trampoline_kernelINS0_14default_configENS1_27scan_by_key_config_selectorIssEEZZNS1_16scan_by_key_implILNS1_25lookback_scan_determinismE0ELb0ES3_N6thrust23THRUST_200600_302600_NS6detail15normal_iteratorINS9_10device_ptrIsEEEENS9_18transform_iteratorINS9_6negateIsEESE_NS9_11use_defaultESI_EESE_sNS9_4plusIvEENS9_8equal_toIvEEsEE10hipError_tPvRmT2_T3_T4_T5_mT6_T7_P12ihipStream_tbENKUlT_T0_E_clISt17integral_constantIbLb0EES14_EEDaSZ_S10_EUlSZ_E_NS1_11comp_targetILNS1_3genE10ELNS1_11target_archE1200ELNS1_3gpuE4ELNS1_3repE0EEENS1_30default_config_static_selectorELNS0_4arch9wavefront6targetE0EEEvT1_,@function
_ZN7rocprim17ROCPRIM_400000_NS6detail17trampoline_kernelINS0_14default_configENS1_27scan_by_key_config_selectorIssEEZZNS1_16scan_by_key_implILNS1_25lookback_scan_determinismE0ELb0ES3_N6thrust23THRUST_200600_302600_NS6detail15normal_iteratorINS9_10device_ptrIsEEEENS9_18transform_iteratorINS9_6negateIsEESE_NS9_11use_defaultESI_EESE_sNS9_4plusIvEENS9_8equal_toIvEEsEE10hipError_tPvRmT2_T3_T4_T5_mT6_T7_P12ihipStream_tbENKUlT_T0_E_clISt17integral_constantIbLb0EES14_EEDaSZ_S10_EUlSZ_E_NS1_11comp_targetILNS1_3genE10ELNS1_11target_archE1200ELNS1_3gpuE4ELNS1_3repE0EEENS1_30default_config_static_selectorELNS0_4arch9wavefront6targetE0EEEvT1_: ; @_ZN7rocprim17ROCPRIM_400000_NS6detail17trampoline_kernelINS0_14default_configENS1_27scan_by_key_config_selectorIssEEZZNS1_16scan_by_key_implILNS1_25lookback_scan_determinismE0ELb0ES3_N6thrust23THRUST_200600_302600_NS6detail15normal_iteratorINS9_10device_ptrIsEEEENS9_18transform_iteratorINS9_6negateIsEESE_NS9_11use_defaultESI_EESE_sNS9_4plusIvEENS9_8equal_toIvEEsEE10hipError_tPvRmT2_T3_T4_T5_mT6_T7_P12ihipStream_tbENKUlT_T0_E_clISt17integral_constantIbLb0EES14_EEDaSZ_S10_EUlSZ_E_NS1_11comp_targetILNS1_3genE10ELNS1_11target_archE1200ELNS1_3gpuE4ELNS1_3repE0EEENS1_30default_config_static_selectorELNS0_4arch9wavefront6targetE0EEEvT1_
; %bb.0:
	.section	.rodata,"a",@progbits
	.p2align	6, 0x0
	.amdhsa_kernel _ZN7rocprim17ROCPRIM_400000_NS6detail17trampoline_kernelINS0_14default_configENS1_27scan_by_key_config_selectorIssEEZZNS1_16scan_by_key_implILNS1_25lookback_scan_determinismE0ELb0ES3_N6thrust23THRUST_200600_302600_NS6detail15normal_iteratorINS9_10device_ptrIsEEEENS9_18transform_iteratorINS9_6negateIsEESE_NS9_11use_defaultESI_EESE_sNS9_4plusIvEENS9_8equal_toIvEEsEE10hipError_tPvRmT2_T3_T4_T5_mT6_T7_P12ihipStream_tbENKUlT_T0_E_clISt17integral_constantIbLb0EES14_EEDaSZ_S10_EUlSZ_E_NS1_11comp_targetILNS1_3genE10ELNS1_11target_archE1200ELNS1_3gpuE4ELNS1_3repE0EEENS1_30default_config_static_selectorELNS0_4arch9wavefront6targetE0EEEvT1_
		.amdhsa_group_segment_fixed_size 0
		.amdhsa_private_segment_fixed_size 0
		.amdhsa_kernarg_size 120
		.amdhsa_user_sgpr_count 6
		.amdhsa_user_sgpr_private_segment_buffer 1
		.amdhsa_user_sgpr_dispatch_ptr 0
		.amdhsa_user_sgpr_queue_ptr 0
		.amdhsa_user_sgpr_kernarg_segment_ptr 1
		.amdhsa_user_sgpr_dispatch_id 0
		.amdhsa_user_sgpr_flat_scratch_init 0
		.amdhsa_user_sgpr_private_segment_size 0
		.amdhsa_wavefront_size32 1
		.amdhsa_uses_dynamic_stack 0
		.amdhsa_system_sgpr_private_segment_wavefront_offset 0
		.amdhsa_system_sgpr_workgroup_id_x 1
		.amdhsa_system_sgpr_workgroup_id_y 0
		.amdhsa_system_sgpr_workgroup_id_z 0
		.amdhsa_system_sgpr_workgroup_info 0
		.amdhsa_system_vgpr_workitem_id 0
		.amdhsa_next_free_vgpr 1
		.amdhsa_next_free_sgpr 1
		.amdhsa_reserve_vcc 0
		.amdhsa_reserve_flat_scratch 0
		.amdhsa_float_round_mode_32 0
		.amdhsa_float_round_mode_16_64 0
		.amdhsa_float_denorm_mode_32 3
		.amdhsa_float_denorm_mode_16_64 3
		.amdhsa_dx10_clamp 1
		.amdhsa_ieee_mode 1
		.amdhsa_fp16_overflow 0
		.amdhsa_workgroup_processor_mode 1
		.amdhsa_memory_ordered 1
		.amdhsa_forward_progress 1
		.amdhsa_shared_vgpr_count 0
		.amdhsa_exception_fp_ieee_invalid_op 0
		.amdhsa_exception_fp_denorm_src 0
		.amdhsa_exception_fp_ieee_div_zero 0
		.amdhsa_exception_fp_ieee_overflow 0
		.amdhsa_exception_fp_ieee_underflow 0
		.amdhsa_exception_fp_ieee_inexact 0
		.amdhsa_exception_int_div_zero 0
	.end_amdhsa_kernel
	.section	.text._ZN7rocprim17ROCPRIM_400000_NS6detail17trampoline_kernelINS0_14default_configENS1_27scan_by_key_config_selectorIssEEZZNS1_16scan_by_key_implILNS1_25lookback_scan_determinismE0ELb0ES3_N6thrust23THRUST_200600_302600_NS6detail15normal_iteratorINS9_10device_ptrIsEEEENS9_18transform_iteratorINS9_6negateIsEESE_NS9_11use_defaultESI_EESE_sNS9_4plusIvEENS9_8equal_toIvEEsEE10hipError_tPvRmT2_T3_T4_T5_mT6_T7_P12ihipStream_tbENKUlT_T0_E_clISt17integral_constantIbLb0EES14_EEDaSZ_S10_EUlSZ_E_NS1_11comp_targetILNS1_3genE10ELNS1_11target_archE1200ELNS1_3gpuE4ELNS1_3repE0EEENS1_30default_config_static_selectorELNS0_4arch9wavefront6targetE0EEEvT1_,"axG",@progbits,_ZN7rocprim17ROCPRIM_400000_NS6detail17trampoline_kernelINS0_14default_configENS1_27scan_by_key_config_selectorIssEEZZNS1_16scan_by_key_implILNS1_25lookback_scan_determinismE0ELb0ES3_N6thrust23THRUST_200600_302600_NS6detail15normal_iteratorINS9_10device_ptrIsEEEENS9_18transform_iteratorINS9_6negateIsEESE_NS9_11use_defaultESI_EESE_sNS9_4plusIvEENS9_8equal_toIvEEsEE10hipError_tPvRmT2_T3_T4_T5_mT6_T7_P12ihipStream_tbENKUlT_T0_E_clISt17integral_constantIbLb0EES14_EEDaSZ_S10_EUlSZ_E_NS1_11comp_targetILNS1_3genE10ELNS1_11target_archE1200ELNS1_3gpuE4ELNS1_3repE0EEENS1_30default_config_static_selectorELNS0_4arch9wavefront6targetE0EEEvT1_,comdat
.Lfunc_end971:
	.size	_ZN7rocprim17ROCPRIM_400000_NS6detail17trampoline_kernelINS0_14default_configENS1_27scan_by_key_config_selectorIssEEZZNS1_16scan_by_key_implILNS1_25lookback_scan_determinismE0ELb0ES3_N6thrust23THRUST_200600_302600_NS6detail15normal_iteratorINS9_10device_ptrIsEEEENS9_18transform_iteratorINS9_6negateIsEESE_NS9_11use_defaultESI_EESE_sNS9_4plusIvEENS9_8equal_toIvEEsEE10hipError_tPvRmT2_T3_T4_T5_mT6_T7_P12ihipStream_tbENKUlT_T0_E_clISt17integral_constantIbLb0EES14_EEDaSZ_S10_EUlSZ_E_NS1_11comp_targetILNS1_3genE10ELNS1_11target_archE1200ELNS1_3gpuE4ELNS1_3repE0EEENS1_30default_config_static_selectorELNS0_4arch9wavefront6targetE0EEEvT1_, .Lfunc_end971-_ZN7rocprim17ROCPRIM_400000_NS6detail17trampoline_kernelINS0_14default_configENS1_27scan_by_key_config_selectorIssEEZZNS1_16scan_by_key_implILNS1_25lookback_scan_determinismE0ELb0ES3_N6thrust23THRUST_200600_302600_NS6detail15normal_iteratorINS9_10device_ptrIsEEEENS9_18transform_iteratorINS9_6negateIsEESE_NS9_11use_defaultESI_EESE_sNS9_4plusIvEENS9_8equal_toIvEEsEE10hipError_tPvRmT2_T3_T4_T5_mT6_T7_P12ihipStream_tbENKUlT_T0_E_clISt17integral_constantIbLb0EES14_EEDaSZ_S10_EUlSZ_E_NS1_11comp_targetILNS1_3genE10ELNS1_11target_archE1200ELNS1_3gpuE4ELNS1_3repE0EEENS1_30default_config_static_selectorELNS0_4arch9wavefront6targetE0EEEvT1_
                                        ; -- End function
	.set _ZN7rocprim17ROCPRIM_400000_NS6detail17trampoline_kernelINS0_14default_configENS1_27scan_by_key_config_selectorIssEEZZNS1_16scan_by_key_implILNS1_25lookback_scan_determinismE0ELb0ES3_N6thrust23THRUST_200600_302600_NS6detail15normal_iteratorINS9_10device_ptrIsEEEENS9_18transform_iteratorINS9_6negateIsEESE_NS9_11use_defaultESI_EESE_sNS9_4plusIvEENS9_8equal_toIvEEsEE10hipError_tPvRmT2_T3_T4_T5_mT6_T7_P12ihipStream_tbENKUlT_T0_E_clISt17integral_constantIbLb0EES14_EEDaSZ_S10_EUlSZ_E_NS1_11comp_targetILNS1_3genE10ELNS1_11target_archE1200ELNS1_3gpuE4ELNS1_3repE0EEENS1_30default_config_static_selectorELNS0_4arch9wavefront6targetE0EEEvT1_.num_vgpr, 0
	.set _ZN7rocprim17ROCPRIM_400000_NS6detail17trampoline_kernelINS0_14default_configENS1_27scan_by_key_config_selectorIssEEZZNS1_16scan_by_key_implILNS1_25lookback_scan_determinismE0ELb0ES3_N6thrust23THRUST_200600_302600_NS6detail15normal_iteratorINS9_10device_ptrIsEEEENS9_18transform_iteratorINS9_6negateIsEESE_NS9_11use_defaultESI_EESE_sNS9_4plusIvEENS9_8equal_toIvEEsEE10hipError_tPvRmT2_T3_T4_T5_mT6_T7_P12ihipStream_tbENKUlT_T0_E_clISt17integral_constantIbLb0EES14_EEDaSZ_S10_EUlSZ_E_NS1_11comp_targetILNS1_3genE10ELNS1_11target_archE1200ELNS1_3gpuE4ELNS1_3repE0EEENS1_30default_config_static_selectorELNS0_4arch9wavefront6targetE0EEEvT1_.num_agpr, 0
	.set _ZN7rocprim17ROCPRIM_400000_NS6detail17trampoline_kernelINS0_14default_configENS1_27scan_by_key_config_selectorIssEEZZNS1_16scan_by_key_implILNS1_25lookback_scan_determinismE0ELb0ES3_N6thrust23THRUST_200600_302600_NS6detail15normal_iteratorINS9_10device_ptrIsEEEENS9_18transform_iteratorINS9_6negateIsEESE_NS9_11use_defaultESI_EESE_sNS9_4plusIvEENS9_8equal_toIvEEsEE10hipError_tPvRmT2_T3_T4_T5_mT6_T7_P12ihipStream_tbENKUlT_T0_E_clISt17integral_constantIbLb0EES14_EEDaSZ_S10_EUlSZ_E_NS1_11comp_targetILNS1_3genE10ELNS1_11target_archE1200ELNS1_3gpuE4ELNS1_3repE0EEENS1_30default_config_static_selectorELNS0_4arch9wavefront6targetE0EEEvT1_.numbered_sgpr, 0
	.set _ZN7rocprim17ROCPRIM_400000_NS6detail17trampoline_kernelINS0_14default_configENS1_27scan_by_key_config_selectorIssEEZZNS1_16scan_by_key_implILNS1_25lookback_scan_determinismE0ELb0ES3_N6thrust23THRUST_200600_302600_NS6detail15normal_iteratorINS9_10device_ptrIsEEEENS9_18transform_iteratorINS9_6negateIsEESE_NS9_11use_defaultESI_EESE_sNS9_4plusIvEENS9_8equal_toIvEEsEE10hipError_tPvRmT2_T3_T4_T5_mT6_T7_P12ihipStream_tbENKUlT_T0_E_clISt17integral_constantIbLb0EES14_EEDaSZ_S10_EUlSZ_E_NS1_11comp_targetILNS1_3genE10ELNS1_11target_archE1200ELNS1_3gpuE4ELNS1_3repE0EEENS1_30default_config_static_selectorELNS0_4arch9wavefront6targetE0EEEvT1_.num_named_barrier, 0
	.set _ZN7rocprim17ROCPRIM_400000_NS6detail17trampoline_kernelINS0_14default_configENS1_27scan_by_key_config_selectorIssEEZZNS1_16scan_by_key_implILNS1_25lookback_scan_determinismE0ELb0ES3_N6thrust23THRUST_200600_302600_NS6detail15normal_iteratorINS9_10device_ptrIsEEEENS9_18transform_iteratorINS9_6negateIsEESE_NS9_11use_defaultESI_EESE_sNS9_4plusIvEENS9_8equal_toIvEEsEE10hipError_tPvRmT2_T3_T4_T5_mT6_T7_P12ihipStream_tbENKUlT_T0_E_clISt17integral_constantIbLb0EES14_EEDaSZ_S10_EUlSZ_E_NS1_11comp_targetILNS1_3genE10ELNS1_11target_archE1200ELNS1_3gpuE4ELNS1_3repE0EEENS1_30default_config_static_selectorELNS0_4arch9wavefront6targetE0EEEvT1_.private_seg_size, 0
	.set _ZN7rocprim17ROCPRIM_400000_NS6detail17trampoline_kernelINS0_14default_configENS1_27scan_by_key_config_selectorIssEEZZNS1_16scan_by_key_implILNS1_25lookback_scan_determinismE0ELb0ES3_N6thrust23THRUST_200600_302600_NS6detail15normal_iteratorINS9_10device_ptrIsEEEENS9_18transform_iteratorINS9_6negateIsEESE_NS9_11use_defaultESI_EESE_sNS9_4plusIvEENS9_8equal_toIvEEsEE10hipError_tPvRmT2_T3_T4_T5_mT6_T7_P12ihipStream_tbENKUlT_T0_E_clISt17integral_constantIbLb0EES14_EEDaSZ_S10_EUlSZ_E_NS1_11comp_targetILNS1_3genE10ELNS1_11target_archE1200ELNS1_3gpuE4ELNS1_3repE0EEENS1_30default_config_static_selectorELNS0_4arch9wavefront6targetE0EEEvT1_.uses_vcc, 0
	.set _ZN7rocprim17ROCPRIM_400000_NS6detail17trampoline_kernelINS0_14default_configENS1_27scan_by_key_config_selectorIssEEZZNS1_16scan_by_key_implILNS1_25lookback_scan_determinismE0ELb0ES3_N6thrust23THRUST_200600_302600_NS6detail15normal_iteratorINS9_10device_ptrIsEEEENS9_18transform_iteratorINS9_6negateIsEESE_NS9_11use_defaultESI_EESE_sNS9_4plusIvEENS9_8equal_toIvEEsEE10hipError_tPvRmT2_T3_T4_T5_mT6_T7_P12ihipStream_tbENKUlT_T0_E_clISt17integral_constantIbLb0EES14_EEDaSZ_S10_EUlSZ_E_NS1_11comp_targetILNS1_3genE10ELNS1_11target_archE1200ELNS1_3gpuE4ELNS1_3repE0EEENS1_30default_config_static_selectorELNS0_4arch9wavefront6targetE0EEEvT1_.uses_flat_scratch, 0
	.set _ZN7rocprim17ROCPRIM_400000_NS6detail17trampoline_kernelINS0_14default_configENS1_27scan_by_key_config_selectorIssEEZZNS1_16scan_by_key_implILNS1_25lookback_scan_determinismE0ELb0ES3_N6thrust23THRUST_200600_302600_NS6detail15normal_iteratorINS9_10device_ptrIsEEEENS9_18transform_iteratorINS9_6negateIsEESE_NS9_11use_defaultESI_EESE_sNS9_4plusIvEENS9_8equal_toIvEEsEE10hipError_tPvRmT2_T3_T4_T5_mT6_T7_P12ihipStream_tbENKUlT_T0_E_clISt17integral_constantIbLb0EES14_EEDaSZ_S10_EUlSZ_E_NS1_11comp_targetILNS1_3genE10ELNS1_11target_archE1200ELNS1_3gpuE4ELNS1_3repE0EEENS1_30default_config_static_selectorELNS0_4arch9wavefront6targetE0EEEvT1_.has_dyn_sized_stack, 0
	.set _ZN7rocprim17ROCPRIM_400000_NS6detail17trampoline_kernelINS0_14default_configENS1_27scan_by_key_config_selectorIssEEZZNS1_16scan_by_key_implILNS1_25lookback_scan_determinismE0ELb0ES3_N6thrust23THRUST_200600_302600_NS6detail15normal_iteratorINS9_10device_ptrIsEEEENS9_18transform_iteratorINS9_6negateIsEESE_NS9_11use_defaultESI_EESE_sNS9_4plusIvEENS9_8equal_toIvEEsEE10hipError_tPvRmT2_T3_T4_T5_mT6_T7_P12ihipStream_tbENKUlT_T0_E_clISt17integral_constantIbLb0EES14_EEDaSZ_S10_EUlSZ_E_NS1_11comp_targetILNS1_3genE10ELNS1_11target_archE1200ELNS1_3gpuE4ELNS1_3repE0EEENS1_30default_config_static_selectorELNS0_4arch9wavefront6targetE0EEEvT1_.has_recursion, 0
	.set _ZN7rocprim17ROCPRIM_400000_NS6detail17trampoline_kernelINS0_14default_configENS1_27scan_by_key_config_selectorIssEEZZNS1_16scan_by_key_implILNS1_25lookback_scan_determinismE0ELb0ES3_N6thrust23THRUST_200600_302600_NS6detail15normal_iteratorINS9_10device_ptrIsEEEENS9_18transform_iteratorINS9_6negateIsEESE_NS9_11use_defaultESI_EESE_sNS9_4plusIvEENS9_8equal_toIvEEsEE10hipError_tPvRmT2_T3_T4_T5_mT6_T7_P12ihipStream_tbENKUlT_T0_E_clISt17integral_constantIbLb0EES14_EEDaSZ_S10_EUlSZ_E_NS1_11comp_targetILNS1_3genE10ELNS1_11target_archE1200ELNS1_3gpuE4ELNS1_3repE0EEENS1_30default_config_static_selectorELNS0_4arch9wavefront6targetE0EEEvT1_.has_indirect_call, 0
	.section	.AMDGPU.csdata,"",@progbits
; Kernel info:
; codeLenInByte = 0
; TotalNumSgprs: 0
; NumVgprs: 0
; ScratchSize: 0
; MemoryBound: 0
; FloatMode: 240
; IeeeMode: 1
; LDSByteSize: 0 bytes/workgroup (compile time only)
; SGPRBlocks: 0
; VGPRBlocks: 0
; NumSGPRsForWavesPerEU: 1
; NumVGPRsForWavesPerEU: 1
; Occupancy: 16
; WaveLimiterHint : 0
; COMPUTE_PGM_RSRC2:SCRATCH_EN: 0
; COMPUTE_PGM_RSRC2:USER_SGPR: 6
; COMPUTE_PGM_RSRC2:TRAP_HANDLER: 0
; COMPUTE_PGM_RSRC2:TGID_X_EN: 1
; COMPUTE_PGM_RSRC2:TGID_Y_EN: 0
; COMPUTE_PGM_RSRC2:TGID_Z_EN: 0
; COMPUTE_PGM_RSRC2:TIDIG_COMP_CNT: 0
	.section	.text._ZN7rocprim17ROCPRIM_400000_NS6detail17trampoline_kernelINS0_14default_configENS1_27scan_by_key_config_selectorIssEEZZNS1_16scan_by_key_implILNS1_25lookback_scan_determinismE0ELb0ES3_N6thrust23THRUST_200600_302600_NS6detail15normal_iteratorINS9_10device_ptrIsEEEENS9_18transform_iteratorINS9_6negateIsEESE_NS9_11use_defaultESI_EESE_sNS9_4plusIvEENS9_8equal_toIvEEsEE10hipError_tPvRmT2_T3_T4_T5_mT6_T7_P12ihipStream_tbENKUlT_T0_E_clISt17integral_constantIbLb0EES14_EEDaSZ_S10_EUlSZ_E_NS1_11comp_targetILNS1_3genE9ELNS1_11target_archE1100ELNS1_3gpuE3ELNS1_3repE0EEENS1_30default_config_static_selectorELNS0_4arch9wavefront6targetE0EEEvT1_,"axG",@progbits,_ZN7rocprim17ROCPRIM_400000_NS6detail17trampoline_kernelINS0_14default_configENS1_27scan_by_key_config_selectorIssEEZZNS1_16scan_by_key_implILNS1_25lookback_scan_determinismE0ELb0ES3_N6thrust23THRUST_200600_302600_NS6detail15normal_iteratorINS9_10device_ptrIsEEEENS9_18transform_iteratorINS9_6negateIsEESE_NS9_11use_defaultESI_EESE_sNS9_4plusIvEENS9_8equal_toIvEEsEE10hipError_tPvRmT2_T3_T4_T5_mT6_T7_P12ihipStream_tbENKUlT_T0_E_clISt17integral_constantIbLb0EES14_EEDaSZ_S10_EUlSZ_E_NS1_11comp_targetILNS1_3genE9ELNS1_11target_archE1100ELNS1_3gpuE3ELNS1_3repE0EEENS1_30default_config_static_selectorELNS0_4arch9wavefront6targetE0EEEvT1_,comdat
	.protected	_ZN7rocprim17ROCPRIM_400000_NS6detail17trampoline_kernelINS0_14default_configENS1_27scan_by_key_config_selectorIssEEZZNS1_16scan_by_key_implILNS1_25lookback_scan_determinismE0ELb0ES3_N6thrust23THRUST_200600_302600_NS6detail15normal_iteratorINS9_10device_ptrIsEEEENS9_18transform_iteratorINS9_6negateIsEESE_NS9_11use_defaultESI_EESE_sNS9_4plusIvEENS9_8equal_toIvEEsEE10hipError_tPvRmT2_T3_T4_T5_mT6_T7_P12ihipStream_tbENKUlT_T0_E_clISt17integral_constantIbLb0EES14_EEDaSZ_S10_EUlSZ_E_NS1_11comp_targetILNS1_3genE9ELNS1_11target_archE1100ELNS1_3gpuE3ELNS1_3repE0EEENS1_30default_config_static_selectorELNS0_4arch9wavefront6targetE0EEEvT1_ ; -- Begin function _ZN7rocprim17ROCPRIM_400000_NS6detail17trampoline_kernelINS0_14default_configENS1_27scan_by_key_config_selectorIssEEZZNS1_16scan_by_key_implILNS1_25lookback_scan_determinismE0ELb0ES3_N6thrust23THRUST_200600_302600_NS6detail15normal_iteratorINS9_10device_ptrIsEEEENS9_18transform_iteratorINS9_6negateIsEESE_NS9_11use_defaultESI_EESE_sNS9_4plusIvEENS9_8equal_toIvEEsEE10hipError_tPvRmT2_T3_T4_T5_mT6_T7_P12ihipStream_tbENKUlT_T0_E_clISt17integral_constantIbLb0EES14_EEDaSZ_S10_EUlSZ_E_NS1_11comp_targetILNS1_3genE9ELNS1_11target_archE1100ELNS1_3gpuE3ELNS1_3repE0EEENS1_30default_config_static_selectorELNS0_4arch9wavefront6targetE0EEEvT1_
	.globl	_ZN7rocprim17ROCPRIM_400000_NS6detail17trampoline_kernelINS0_14default_configENS1_27scan_by_key_config_selectorIssEEZZNS1_16scan_by_key_implILNS1_25lookback_scan_determinismE0ELb0ES3_N6thrust23THRUST_200600_302600_NS6detail15normal_iteratorINS9_10device_ptrIsEEEENS9_18transform_iteratorINS9_6negateIsEESE_NS9_11use_defaultESI_EESE_sNS9_4plusIvEENS9_8equal_toIvEEsEE10hipError_tPvRmT2_T3_T4_T5_mT6_T7_P12ihipStream_tbENKUlT_T0_E_clISt17integral_constantIbLb0EES14_EEDaSZ_S10_EUlSZ_E_NS1_11comp_targetILNS1_3genE9ELNS1_11target_archE1100ELNS1_3gpuE3ELNS1_3repE0EEENS1_30default_config_static_selectorELNS0_4arch9wavefront6targetE0EEEvT1_
	.p2align	8
	.type	_ZN7rocprim17ROCPRIM_400000_NS6detail17trampoline_kernelINS0_14default_configENS1_27scan_by_key_config_selectorIssEEZZNS1_16scan_by_key_implILNS1_25lookback_scan_determinismE0ELb0ES3_N6thrust23THRUST_200600_302600_NS6detail15normal_iteratorINS9_10device_ptrIsEEEENS9_18transform_iteratorINS9_6negateIsEESE_NS9_11use_defaultESI_EESE_sNS9_4plusIvEENS9_8equal_toIvEEsEE10hipError_tPvRmT2_T3_T4_T5_mT6_T7_P12ihipStream_tbENKUlT_T0_E_clISt17integral_constantIbLb0EES14_EEDaSZ_S10_EUlSZ_E_NS1_11comp_targetILNS1_3genE9ELNS1_11target_archE1100ELNS1_3gpuE3ELNS1_3repE0EEENS1_30default_config_static_selectorELNS0_4arch9wavefront6targetE0EEEvT1_,@function
_ZN7rocprim17ROCPRIM_400000_NS6detail17trampoline_kernelINS0_14default_configENS1_27scan_by_key_config_selectorIssEEZZNS1_16scan_by_key_implILNS1_25lookback_scan_determinismE0ELb0ES3_N6thrust23THRUST_200600_302600_NS6detail15normal_iteratorINS9_10device_ptrIsEEEENS9_18transform_iteratorINS9_6negateIsEESE_NS9_11use_defaultESI_EESE_sNS9_4plusIvEENS9_8equal_toIvEEsEE10hipError_tPvRmT2_T3_T4_T5_mT6_T7_P12ihipStream_tbENKUlT_T0_E_clISt17integral_constantIbLb0EES14_EEDaSZ_S10_EUlSZ_E_NS1_11comp_targetILNS1_3genE9ELNS1_11target_archE1100ELNS1_3gpuE3ELNS1_3repE0EEENS1_30default_config_static_selectorELNS0_4arch9wavefront6targetE0EEEvT1_: ; @_ZN7rocprim17ROCPRIM_400000_NS6detail17trampoline_kernelINS0_14default_configENS1_27scan_by_key_config_selectorIssEEZZNS1_16scan_by_key_implILNS1_25lookback_scan_determinismE0ELb0ES3_N6thrust23THRUST_200600_302600_NS6detail15normal_iteratorINS9_10device_ptrIsEEEENS9_18transform_iteratorINS9_6negateIsEESE_NS9_11use_defaultESI_EESE_sNS9_4plusIvEENS9_8equal_toIvEEsEE10hipError_tPvRmT2_T3_T4_T5_mT6_T7_P12ihipStream_tbENKUlT_T0_E_clISt17integral_constantIbLb0EES14_EEDaSZ_S10_EUlSZ_E_NS1_11comp_targetILNS1_3genE9ELNS1_11target_archE1100ELNS1_3gpuE3ELNS1_3repE0EEENS1_30default_config_static_selectorELNS0_4arch9wavefront6targetE0EEEvT1_
; %bb.0:
	.section	.rodata,"a",@progbits
	.p2align	6, 0x0
	.amdhsa_kernel _ZN7rocprim17ROCPRIM_400000_NS6detail17trampoline_kernelINS0_14default_configENS1_27scan_by_key_config_selectorIssEEZZNS1_16scan_by_key_implILNS1_25lookback_scan_determinismE0ELb0ES3_N6thrust23THRUST_200600_302600_NS6detail15normal_iteratorINS9_10device_ptrIsEEEENS9_18transform_iteratorINS9_6negateIsEESE_NS9_11use_defaultESI_EESE_sNS9_4plusIvEENS9_8equal_toIvEEsEE10hipError_tPvRmT2_T3_T4_T5_mT6_T7_P12ihipStream_tbENKUlT_T0_E_clISt17integral_constantIbLb0EES14_EEDaSZ_S10_EUlSZ_E_NS1_11comp_targetILNS1_3genE9ELNS1_11target_archE1100ELNS1_3gpuE3ELNS1_3repE0EEENS1_30default_config_static_selectorELNS0_4arch9wavefront6targetE0EEEvT1_
		.amdhsa_group_segment_fixed_size 0
		.amdhsa_private_segment_fixed_size 0
		.amdhsa_kernarg_size 120
		.amdhsa_user_sgpr_count 6
		.amdhsa_user_sgpr_private_segment_buffer 1
		.amdhsa_user_sgpr_dispatch_ptr 0
		.amdhsa_user_sgpr_queue_ptr 0
		.amdhsa_user_sgpr_kernarg_segment_ptr 1
		.amdhsa_user_sgpr_dispatch_id 0
		.amdhsa_user_sgpr_flat_scratch_init 0
		.amdhsa_user_sgpr_private_segment_size 0
		.amdhsa_wavefront_size32 1
		.amdhsa_uses_dynamic_stack 0
		.amdhsa_system_sgpr_private_segment_wavefront_offset 0
		.amdhsa_system_sgpr_workgroup_id_x 1
		.amdhsa_system_sgpr_workgroup_id_y 0
		.amdhsa_system_sgpr_workgroup_id_z 0
		.amdhsa_system_sgpr_workgroup_info 0
		.amdhsa_system_vgpr_workitem_id 0
		.amdhsa_next_free_vgpr 1
		.amdhsa_next_free_sgpr 1
		.amdhsa_reserve_vcc 0
		.amdhsa_reserve_flat_scratch 0
		.amdhsa_float_round_mode_32 0
		.amdhsa_float_round_mode_16_64 0
		.amdhsa_float_denorm_mode_32 3
		.amdhsa_float_denorm_mode_16_64 3
		.amdhsa_dx10_clamp 1
		.amdhsa_ieee_mode 1
		.amdhsa_fp16_overflow 0
		.amdhsa_workgroup_processor_mode 1
		.amdhsa_memory_ordered 1
		.amdhsa_forward_progress 1
		.amdhsa_shared_vgpr_count 0
		.amdhsa_exception_fp_ieee_invalid_op 0
		.amdhsa_exception_fp_denorm_src 0
		.amdhsa_exception_fp_ieee_div_zero 0
		.amdhsa_exception_fp_ieee_overflow 0
		.amdhsa_exception_fp_ieee_underflow 0
		.amdhsa_exception_fp_ieee_inexact 0
		.amdhsa_exception_int_div_zero 0
	.end_amdhsa_kernel
	.section	.text._ZN7rocprim17ROCPRIM_400000_NS6detail17trampoline_kernelINS0_14default_configENS1_27scan_by_key_config_selectorIssEEZZNS1_16scan_by_key_implILNS1_25lookback_scan_determinismE0ELb0ES3_N6thrust23THRUST_200600_302600_NS6detail15normal_iteratorINS9_10device_ptrIsEEEENS9_18transform_iteratorINS9_6negateIsEESE_NS9_11use_defaultESI_EESE_sNS9_4plusIvEENS9_8equal_toIvEEsEE10hipError_tPvRmT2_T3_T4_T5_mT6_T7_P12ihipStream_tbENKUlT_T0_E_clISt17integral_constantIbLb0EES14_EEDaSZ_S10_EUlSZ_E_NS1_11comp_targetILNS1_3genE9ELNS1_11target_archE1100ELNS1_3gpuE3ELNS1_3repE0EEENS1_30default_config_static_selectorELNS0_4arch9wavefront6targetE0EEEvT1_,"axG",@progbits,_ZN7rocprim17ROCPRIM_400000_NS6detail17trampoline_kernelINS0_14default_configENS1_27scan_by_key_config_selectorIssEEZZNS1_16scan_by_key_implILNS1_25lookback_scan_determinismE0ELb0ES3_N6thrust23THRUST_200600_302600_NS6detail15normal_iteratorINS9_10device_ptrIsEEEENS9_18transform_iteratorINS9_6negateIsEESE_NS9_11use_defaultESI_EESE_sNS9_4plusIvEENS9_8equal_toIvEEsEE10hipError_tPvRmT2_T3_T4_T5_mT6_T7_P12ihipStream_tbENKUlT_T0_E_clISt17integral_constantIbLb0EES14_EEDaSZ_S10_EUlSZ_E_NS1_11comp_targetILNS1_3genE9ELNS1_11target_archE1100ELNS1_3gpuE3ELNS1_3repE0EEENS1_30default_config_static_selectorELNS0_4arch9wavefront6targetE0EEEvT1_,comdat
.Lfunc_end972:
	.size	_ZN7rocprim17ROCPRIM_400000_NS6detail17trampoline_kernelINS0_14default_configENS1_27scan_by_key_config_selectorIssEEZZNS1_16scan_by_key_implILNS1_25lookback_scan_determinismE0ELb0ES3_N6thrust23THRUST_200600_302600_NS6detail15normal_iteratorINS9_10device_ptrIsEEEENS9_18transform_iteratorINS9_6negateIsEESE_NS9_11use_defaultESI_EESE_sNS9_4plusIvEENS9_8equal_toIvEEsEE10hipError_tPvRmT2_T3_T4_T5_mT6_T7_P12ihipStream_tbENKUlT_T0_E_clISt17integral_constantIbLb0EES14_EEDaSZ_S10_EUlSZ_E_NS1_11comp_targetILNS1_3genE9ELNS1_11target_archE1100ELNS1_3gpuE3ELNS1_3repE0EEENS1_30default_config_static_selectorELNS0_4arch9wavefront6targetE0EEEvT1_, .Lfunc_end972-_ZN7rocprim17ROCPRIM_400000_NS6detail17trampoline_kernelINS0_14default_configENS1_27scan_by_key_config_selectorIssEEZZNS1_16scan_by_key_implILNS1_25lookback_scan_determinismE0ELb0ES3_N6thrust23THRUST_200600_302600_NS6detail15normal_iteratorINS9_10device_ptrIsEEEENS9_18transform_iteratorINS9_6negateIsEESE_NS9_11use_defaultESI_EESE_sNS9_4plusIvEENS9_8equal_toIvEEsEE10hipError_tPvRmT2_T3_T4_T5_mT6_T7_P12ihipStream_tbENKUlT_T0_E_clISt17integral_constantIbLb0EES14_EEDaSZ_S10_EUlSZ_E_NS1_11comp_targetILNS1_3genE9ELNS1_11target_archE1100ELNS1_3gpuE3ELNS1_3repE0EEENS1_30default_config_static_selectorELNS0_4arch9wavefront6targetE0EEEvT1_
                                        ; -- End function
	.set _ZN7rocprim17ROCPRIM_400000_NS6detail17trampoline_kernelINS0_14default_configENS1_27scan_by_key_config_selectorIssEEZZNS1_16scan_by_key_implILNS1_25lookback_scan_determinismE0ELb0ES3_N6thrust23THRUST_200600_302600_NS6detail15normal_iteratorINS9_10device_ptrIsEEEENS9_18transform_iteratorINS9_6negateIsEESE_NS9_11use_defaultESI_EESE_sNS9_4plusIvEENS9_8equal_toIvEEsEE10hipError_tPvRmT2_T3_T4_T5_mT6_T7_P12ihipStream_tbENKUlT_T0_E_clISt17integral_constantIbLb0EES14_EEDaSZ_S10_EUlSZ_E_NS1_11comp_targetILNS1_3genE9ELNS1_11target_archE1100ELNS1_3gpuE3ELNS1_3repE0EEENS1_30default_config_static_selectorELNS0_4arch9wavefront6targetE0EEEvT1_.num_vgpr, 0
	.set _ZN7rocprim17ROCPRIM_400000_NS6detail17trampoline_kernelINS0_14default_configENS1_27scan_by_key_config_selectorIssEEZZNS1_16scan_by_key_implILNS1_25lookback_scan_determinismE0ELb0ES3_N6thrust23THRUST_200600_302600_NS6detail15normal_iteratorINS9_10device_ptrIsEEEENS9_18transform_iteratorINS9_6negateIsEESE_NS9_11use_defaultESI_EESE_sNS9_4plusIvEENS9_8equal_toIvEEsEE10hipError_tPvRmT2_T3_T4_T5_mT6_T7_P12ihipStream_tbENKUlT_T0_E_clISt17integral_constantIbLb0EES14_EEDaSZ_S10_EUlSZ_E_NS1_11comp_targetILNS1_3genE9ELNS1_11target_archE1100ELNS1_3gpuE3ELNS1_3repE0EEENS1_30default_config_static_selectorELNS0_4arch9wavefront6targetE0EEEvT1_.num_agpr, 0
	.set _ZN7rocprim17ROCPRIM_400000_NS6detail17trampoline_kernelINS0_14default_configENS1_27scan_by_key_config_selectorIssEEZZNS1_16scan_by_key_implILNS1_25lookback_scan_determinismE0ELb0ES3_N6thrust23THRUST_200600_302600_NS6detail15normal_iteratorINS9_10device_ptrIsEEEENS9_18transform_iteratorINS9_6negateIsEESE_NS9_11use_defaultESI_EESE_sNS9_4plusIvEENS9_8equal_toIvEEsEE10hipError_tPvRmT2_T3_T4_T5_mT6_T7_P12ihipStream_tbENKUlT_T0_E_clISt17integral_constantIbLb0EES14_EEDaSZ_S10_EUlSZ_E_NS1_11comp_targetILNS1_3genE9ELNS1_11target_archE1100ELNS1_3gpuE3ELNS1_3repE0EEENS1_30default_config_static_selectorELNS0_4arch9wavefront6targetE0EEEvT1_.numbered_sgpr, 0
	.set _ZN7rocprim17ROCPRIM_400000_NS6detail17trampoline_kernelINS0_14default_configENS1_27scan_by_key_config_selectorIssEEZZNS1_16scan_by_key_implILNS1_25lookback_scan_determinismE0ELb0ES3_N6thrust23THRUST_200600_302600_NS6detail15normal_iteratorINS9_10device_ptrIsEEEENS9_18transform_iteratorINS9_6negateIsEESE_NS9_11use_defaultESI_EESE_sNS9_4plusIvEENS9_8equal_toIvEEsEE10hipError_tPvRmT2_T3_T4_T5_mT6_T7_P12ihipStream_tbENKUlT_T0_E_clISt17integral_constantIbLb0EES14_EEDaSZ_S10_EUlSZ_E_NS1_11comp_targetILNS1_3genE9ELNS1_11target_archE1100ELNS1_3gpuE3ELNS1_3repE0EEENS1_30default_config_static_selectorELNS0_4arch9wavefront6targetE0EEEvT1_.num_named_barrier, 0
	.set _ZN7rocprim17ROCPRIM_400000_NS6detail17trampoline_kernelINS0_14default_configENS1_27scan_by_key_config_selectorIssEEZZNS1_16scan_by_key_implILNS1_25lookback_scan_determinismE0ELb0ES3_N6thrust23THRUST_200600_302600_NS6detail15normal_iteratorINS9_10device_ptrIsEEEENS9_18transform_iteratorINS9_6negateIsEESE_NS9_11use_defaultESI_EESE_sNS9_4plusIvEENS9_8equal_toIvEEsEE10hipError_tPvRmT2_T3_T4_T5_mT6_T7_P12ihipStream_tbENKUlT_T0_E_clISt17integral_constantIbLb0EES14_EEDaSZ_S10_EUlSZ_E_NS1_11comp_targetILNS1_3genE9ELNS1_11target_archE1100ELNS1_3gpuE3ELNS1_3repE0EEENS1_30default_config_static_selectorELNS0_4arch9wavefront6targetE0EEEvT1_.private_seg_size, 0
	.set _ZN7rocprim17ROCPRIM_400000_NS6detail17trampoline_kernelINS0_14default_configENS1_27scan_by_key_config_selectorIssEEZZNS1_16scan_by_key_implILNS1_25lookback_scan_determinismE0ELb0ES3_N6thrust23THRUST_200600_302600_NS6detail15normal_iteratorINS9_10device_ptrIsEEEENS9_18transform_iteratorINS9_6negateIsEESE_NS9_11use_defaultESI_EESE_sNS9_4plusIvEENS9_8equal_toIvEEsEE10hipError_tPvRmT2_T3_T4_T5_mT6_T7_P12ihipStream_tbENKUlT_T0_E_clISt17integral_constantIbLb0EES14_EEDaSZ_S10_EUlSZ_E_NS1_11comp_targetILNS1_3genE9ELNS1_11target_archE1100ELNS1_3gpuE3ELNS1_3repE0EEENS1_30default_config_static_selectorELNS0_4arch9wavefront6targetE0EEEvT1_.uses_vcc, 0
	.set _ZN7rocprim17ROCPRIM_400000_NS6detail17trampoline_kernelINS0_14default_configENS1_27scan_by_key_config_selectorIssEEZZNS1_16scan_by_key_implILNS1_25lookback_scan_determinismE0ELb0ES3_N6thrust23THRUST_200600_302600_NS6detail15normal_iteratorINS9_10device_ptrIsEEEENS9_18transform_iteratorINS9_6negateIsEESE_NS9_11use_defaultESI_EESE_sNS9_4plusIvEENS9_8equal_toIvEEsEE10hipError_tPvRmT2_T3_T4_T5_mT6_T7_P12ihipStream_tbENKUlT_T0_E_clISt17integral_constantIbLb0EES14_EEDaSZ_S10_EUlSZ_E_NS1_11comp_targetILNS1_3genE9ELNS1_11target_archE1100ELNS1_3gpuE3ELNS1_3repE0EEENS1_30default_config_static_selectorELNS0_4arch9wavefront6targetE0EEEvT1_.uses_flat_scratch, 0
	.set _ZN7rocprim17ROCPRIM_400000_NS6detail17trampoline_kernelINS0_14default_configENS1_27scan_by_key_config_selectorIssEEZZNS1_16scan_by_key_implILNS1_25lookback_scan_determinismE0ELb0ES3_N6thrust23THRUST_200600_302600_NS6detail15normal_iteratorINS9_10device_ptrIsEEEENS9_18transform_iteratorINS9_6negateIsEESE_NS9_11use_defaultESI_EESE_sNS9_4plusIvEENS9_8equal_toIvEEsEE10hipError_tPvRmT2_T3_T4_T5_mT6_T7_P12ihipStream_tbENKUlT_T0_E_clISt17integral_constantIbLb0EES14_EEDaSZ_S10_EUlSZ_E_NS1_11comp_targetILNS1_3genE9ELNS1_11target_archE1100ELNS1_3gpuE3ELNS1_3repE0EEENS1_30default_config_static_selectorELNS0_4arch9wavefront6targetE0EEEvT1_.has_dyn_sized_stack, 0
	.set _ZN7rocprim17ROCPRIM_400000_NS6detail17trampoline_kernelINS0_14default_configENS1_27scan_by_key_config_selectorIssEEZZNS1_16scan_by_key_implILNS1_25lookback_scan_determinismE0ELb0ES3_N6thrust23THRUST_200600_302600_NS6detail15normal_iteratorINS9_10device_ptrIsEEEENS9_18transform_iteratorINS9_6negateIsEESE_NS9_11use_defaultESI_EESE_sNS9_4plusIvEENS9_8equal_toIvEEsEE10hipError_tPvRmT2_T3_T4_T5_mT6_T7_P12ihipStream_tbENKUlT_T0_E_clISt17integral_constantIbLb0EES14_EEDaSZ_S10_EUlSZ_E_NS1_11comp_targetILNS1_3genE9ELNS1_11target_archE1100ELNS1_3gpuE3ELNS1_3repE0EEENS1_30default_config_static_selectorELNS0_4arch9wavefront6targetE0EEEvT1_.has_recursion, 0
	.set _ZN7rocprim17ROCPRIM_400000_NS6detail17trampoline_kernelINS0_14default_configENS1_27scan_by_key_config_selectorIssEEZZNS1_16scan_by_key_implILNS1_25lookback_scan_determinismE0ELb0ES3_N6thrust23THRUST_200600_302600_NS6detail15normal_iteratorINS9_10device_ptrIsEEEENS9_18transform_iteratorINS9_6negateIsEESE_NS9_11use_defaultESI_EESE_sNS9_4plusIvEENS9_8equal_toIvEEsEE10hipError_tPvRmT2_T3_T4_T5_mT6_T7_P12ihipStream_tbENKUlT_T0_E_clISt17integral_constantIbLb0EES14_EEDaSZ_S10_EUlSZ_E_NS1_11comp_targetILNS1_3genE9ELNS1_11target_archE1100ELNS1_3gpuE3ELNS1_3repE0EEENS1_30default_config_static_selectorELNS0_4arch9wavefront6targetE0EEEvT1_.has_indirect_call, 0
	.section	.AMDGPU.csdata,"",@progbits
; Kernel info:
; codeLenInByte = 0
; TotalNumSgprs: 0
; NumVgprs: 0
; ScratchSize: 0
; MemoryBound: 0
; FloatMode: 240
; IeeeMode: 1
; LDSByteSize: 0 bytes/workgroup (compile time only)
; SGPRBlocks: 0
; VGPRBlocks: 0
; NumSGPRsForWavesPerEU: 1
; NumVGPRsForWavesPerEU: 1
; Occupancy: 16
; WaveLimiterHint : 0
; COMPUTE_PGM_RSRC2:SCRATCH_EN: 0
; COMPUTE_PGM_RSRC2:USER_SGPR: 6
; COMPUTE_PGM_RSRC2:TRAP_HANDLER: 0
; COMPUTE_PGM_RSRC2:TGID_X_EN: 1
; COMPUTE_PGM_RSRC2:TGID_Y_EN: 0
; COMPUTE_PGM_RSRC2:TGID_Z_EN: 0
; COMPUTE_PGM_RSRC2:TIDIG_COMP_CNT: 0
	.section	.text._ZN7rocprim17ROCPRIM_400000_NS6detail17trampoline_kernelINS0_14default_configENS1_27scan_by_key_config_selectorIssEEZZNS1_16scan_by_key_implILNS1_25lookback_scan_determinismE0ELb0ES3_N6thrust23THRUST_200600_302600_NS6detail15normal_iteratorINS9_10device_ptrIsEEEENS9_18transform_iteratorINS9_6negateIsEESE_NS9_11use_defaultESI_EESE_sNS9_4plusIvEENS9_8equal_toIvEEsEE10hipError_tPvRmT2_T3_T4_T5_mT6_T7_P12ihipStream_tbENKUlT_T0_E_clISt17integral_constantIbLb0EES14_EEDaSZ_S10_EUlSZ_E_NS1_11comp_targetILNS1_3genE8ELNS1_11target_archE1030ELNS1_3gpuE2ELNS1_3repE0EEENS1_30default_config_static_selectorELNS0_4arch9wavefront6targetE0EEEvT1_,"axG",@progbits,_ZN7rocprim17ROCPRIM_400000_NS6detail17trampoline_kernelINS0_14default_configENS1_27scan_by_key_config_selectorIssEEZZNS1_16scan_by_key_implILNS1_25lookback_scan_determinismE0ELb0ES3_N6thrust23THRUST_200600_302600_NS6detail15normal_iteratorINS9_10device_ptrIsEEEENS9_18transform_iteratorINS9_6negateIsEESE_NS9_11use_defaultESI_EESE_sNS9_4plusIvEENS9_8equal_toIvEEsEE10hipError_tPvRmT2_T3_T4_T5_mT6_T7_P12ihipStream_tbENKUlT_T0_E_clISt17integral_constantIbLb0EES14_EEDaSZ_S10_EUlSZ_E_NS1_11comp_targetILNS1_3genE8ELNS1_11target_archE1030ELNS1_3gpuE2ELNS1_3repE0EEENS1_30default_config_static_selectorELNS0_4arch9wavefront6targetE0EEEvT1_,comdat
	.protected	_ZN7rocprim17ROCPRIM_400000_NS6detail17trampoline_kernelINS0_14default_configENS1_27scan_by_key_config_selectorIssEEZZNS1_16scan_by_key_implILNS1_25lookback_scan_determinismE0ELb0ES3_N6thrust23THRUST_200600_302600_NS6detail15normal_iteratorINS9_10device_ptrIsEEEENS9_18transform_iteratorINS9_6negateIsEESE_NS9_11use_defaultESI_EESE_sNS9_4plusIvEENS9_8equal_toIvEEsEE10hipError_tPvRmT2_T3_T4_T5_mT6_T7_P12ihipStream_tbENKUlT_T0_E_clISt17integral_constantIbLb0EES14_EEDaSZ_S10_EUlSZ_E_NS1_11comp_targetILNS1_3genE8ELNS1_11target_archE1030ELNS1_3gpuE2ELNS1_3repE0EEENS1_30default_config_static_selectorELNS0_4arch9wavefront6targetE0EEEvT1_ ; -- Begin function _ZN7rocprim17ROCPRIM_400000_NS6detail17trampoline_kernelINS0_14default_configENS1_27scan_by_key_config_selectorIssEEZZNS1_16scan_by_key_implILNS1_25lookback_scan_determinismE0ELb0ES3_N6thrust23THRUST_200600_302600_NS6detail15normal_iteratorINS9_10device_ptrIsEEEENS9_18transform_iteratorINS9_6negateIsEESE_NS9_11use_defaultESI_EESE_sNS9_4plusIvEENS9_8equal_toIvEEsEE10hipError_tPvRmT2_T3_T4_T5_mT6_T7_P12ihipStream_tbENKUlT_T0_E_clISt17integral_constantIbLb0EES14_EEDaSZ_S10_EUlSZ_E_NS1_11comp_targetILNS1_3genE8ELNS1_11target_archE1030ELNS1_3gpuE2ELNS1_3repE0EEENS1_30default_config_static_selectorELNS0_4arch9wavefront6targetE0EEEvT1_
	.globl	_ZN7rocprim17ROCPRIM_400000_NS6detail17trampoline_kernelINS0_14default_configENS1_27scan_by_key_config_selectorIssEEZZNS1_16scan_by_key_implILNS1_25lookback_scan_determinismE0ELb0ES3_N6thrust23THRUST_200600_302600_NS6detail15normal_iteratorINS9_10device_ptrIsEEEENS9_18transform_iteratorINS9_6negateIsEESE_NS9_11use_defaultESI_EESE_sNS9_4plusIvEENS9_8equal_toIvEEsEE10hipError_tPvRmT2_T3_T4_T5_mT6_T7_P12ihipStream_tbENKUlT_T0_E_clISt17integral_constantIbLb0EES14_EEDaSZ_S10_EUlSZ_E_NS1_11comp_targetILNS1_3genE8ELNS1_11target_archE1030ELNS1_3gpuE2ELNS1_3repE0EEENS1_30default_config_static_selectorELNS0_4arch9wavefront6targetE0EEEvT1_
	.p2align	8
	.type	_ZN7rocprim17ROCPRIM_400000_NS6detail17trampoline_kernelINS0_14default_configENS1_27scan_by_key_config_selectorIssEEZZNS1_16scan_by_key_implILNS1_25lookback_scan_determinismE0ELb0ES3_N6thrust23THRUST_200600_302600_NS6detail15normal_iteratorINS9_10device_ptrIsEEEENS9_18transform_iteratorINS9_6negateIsEESE_NS9_11use_defaultESI_EESE_sNS9_4plusIvEENS9_8equal_toIvEEsEE10hipError_tPvRmT2_T3_T4_T5_mT6_T7_P12ihipStream_tbENKUlT_T0_E_clISt17integral_constantIbLb0EES14_EEDaSZ_S10_EUlSZ_E_NS1_11comp_targetILNS1_3genE8ELNS1_11target_archE1030ELNS1_3gpuE2ELNS1_3repE0EEENS1_30default_config_static_selectorELNS0_4arch9wavefront6targetE0EEEvT1_,@function
_ZN7rocprim17ROCPRIM_400000_NS6detail17trampoline_kernelINS0_14default_configENS1_27scan_by_key_config_selectorIssEEZZNS1_16scan_by_key_implILNS1_25lookback_scan_determinismE0ELb0ES3_N6thrust23THRUST_200600_302600_NS6detail15normal_iteratorINS9_10device_ptrIsEEEENS9_18transform_iteratorINS9_6negateIsEESE_NS9_11use_defaultESI_EESE_sNS9_4plusIvEENS9_8equal_toIvEEsEE10hipError_tPvRmT2_T3_T4_T5_mT6_T7_P12ihipStream_tbENKUlT_T0_E_clISt17integral_constantIbLb0EES14_EEDaSZ_S10_EUlSZ_E_NS1_11comp_targetILNS1_3genE8ELNS1_11target_archE1030ELNS1_3gpuE2ELNS1_3repE0EEENS1_30default_config_static_selectorELNS0_4arch9wavefront6targetE0EEEvT1_: ; @_ZN7rocprim17ROCPRIM_400000_NS6detail17trampoline_kernelINS0_14default_configENS1_27scan_by_key_config_selectorIssEEZZNS1_16scan_by_key_implILNS1_25lookback_scan_determinismE0ELb0ES3_N6thrust23THRUST_200600_302600_NS6detail15normal_iteratorINS9_10device_ptrIsEEEENS9_18transform_iteratorINS9_6negateIsEESE_NS9_11use_defaultESI_EESE_sNS9_4plusIvEENS9_8equal_toIvEEsEE10hipError_tPvRmT2_T3_T4_T5_mT6_T7_P12ihipStream_tbENKUlT_T0_E_clISt17integral_constantIbLb0EES14_EEDaSZ_S10_EUlSZ_E_NS1_11comp_targetILNS1_3genE8ELNS1_11target_archE1030ELNS1_3gpuE2ELNS1_3repE0EEENS1_30default_config_static_selectorELNS0_4arch9wavefront6targetE0EEEvT1_
; %bb.0:
	s_clause 0x5
	s_load_dwordx4 s[8:11], s[4:5], 0x0
	s_load_dwordx2 s[26:27], s[4:5], 0x40
	s_load_dword s7, s[4:5], 0x48
	s_load_dwordx2 s[2:3], s[4:5], 0x10
	s_load_dwordx8 s[12:19], s[4:5], 0x50
	s_load_dwordx4 s[20:23], s[4:5], 0x30
	s_mov_b32 s1, 0
	s_waitcnt lgkmcnt(0)
	s_barrier
	buffer_gl0_inv
	s_lshl_b64 s[24:25], s[10:11], 1
	s_add_u32 s8, s8, s24
	s_mul_i32 s0, s27, s7
	s_mul_hi_u32 s10, s26, s7
	s_addc_u32 s9, s9, s25
	s_add_u32 s2, s2, s24
	s_addc_u32 s3, s3, s25
	s_add_i32 s10, s10, s0
	s_cmp_lg_u64 s[16:17], 0
	s_mul_i32 s0, s6, 0x280
	s_cselect_b32 s38, -1, 0
	s_lshl_b64 s[16:17], s[0:1], 1
	s_mul_i32 s0, s26, s7
	s_add_u32 s30, s8, s16
	s_addc_u32 s31, s9, s17
	s_add_u32 s28, s2, s16
	s_addc_u32 s29, s3, s17
	;; [unrolled: 2-line block ×3, first 2 shown]
	s_add_u32 s2, s12, -1
	s_addc_u32 s3, s13, -1
	s_mul_i32 s33, s2, 0xfffffd80
	v_cmp_ge_u64_e64 s23, s[34:35], s[2:3]
	s_and_b32 vcc_lo, exec_lo, s23
	s_cbranch_vccz .LBB973_57
; %bb.1:
	v_mov_b32_e32 v1, s30
	v_mov_b32_e32 v2, s31
	s_add_i32 s13, s33, s22
	v_cmp_gt_u32_e64 s12, s13, v0
	flat_load_ushort v1, v[1:2]
	s_waitcnt vmcnt(0) lgkmcnt(0)
	v_mov_b32_e32 v2, v1
	s_and_saveexec_b32 s0, s12
	s_cbranch_execz .LBB973_3
; %bb.2:
	v_lshlrev_b32_e32 v2, 1, v0
	v_add_co_u32 v2, s1, s30, v2
	v_add_co_ci_u32_e64 v3, null, s31, 0, s1
	flat_load_ushort v2, v[2:3]
.LBB973_3:
	s_or_b32 exec_lo, exec_lo, s0
	v_or_b32_e32 v3, 64, v0
	v_cmp_gt_u32_e64 s11, s13, v3
	v_mov_b32_e32 v3, v1
	s_and_saveexec_b32 s0, s11
	s_cbranch_execz .LBB973_5
; %bb.4:
	v_lshlrev_b32_e32 v3, 1, v0
	v_add_co_u32 v3, s1, s30, v3
	v_add_co_ci_u32_e64 v4, null, s31, 0, s1
	flat_load_ushort v3, v[3:4] offset:128
.LBB973_5:
	s_or_b32 exec_lo, exec_lo, s0
	v_or_b32_e32 v4, 0x80, v0
	v_cmp_gt_u32_e64 s10, s13, v4
	v_mov_b32_e32 v4, v1
	s_and_saveexec_b32 s0, s10
	s_cbranch_execz .LBB973_7
; %bb.6:
	v_lshlrev_b32_e32 v4, 1, v0
	v_add_co_u32 v4, s1, s30, v4
	v_add_co_ci_u32_e64 v5, null, s31, 0, s1
	flat_load_ushort v4, v[4:5] offset:256
.LBB973_7:
	;; [unrolled: 12-line block ×8, first 2 shown]
	s_or_b32 exec_lo, exec_lo, s0
	v_or_b32_e32 v11, 0x240, v0
	s_mov_b32 s36, exec_lo
	v_cmp_gt_u32_e64 s0, s13, v11
	v_cmpx_le_u32_e64 s13, v11
	s_xor_b32 s36, exec_lo, s36
	s_andn2_saveexec_b32 s36, s36
	s_cbranch_execz .LBB973_21
; %bb.20:
	v_lshlrev_b32_e32 v1, 1, v0
	v_add_co_u32 v11, s37, s30, v1
	v_add_co_ci_u32_e64 v12, null, s31, 0, s37
	flat_load_ushort v1, v[11:12] offset:1152
.LBB973_21:
	s_or_b32 exec_lo, exec_lo, s36
	v_lshlrev_b32_e32 v13, 1, v0
	s_cmp_eq_u64 s[34:35], 0
	s_mov_b64 s[36:37], s[30:31]
	s_waitcnt vmcnt(0) lgkmcnt(0)
	ds_write_b16 v13, v2
	ds_write_b16 v13, v3 offset:128
	ds_write_b16 v13, v4 offset:256
	;; [unrolled: 1-line block ×8, first 2 shown]
	v_mad_u32_u24 v23, v0, 18, v13
	ds_write_b16 v13, v1 offset:1152
	s_waitcnt lgkmcnt(0)
	s_barrier
	buffer_gl0_inv
	ds_read2_b32 v[11:12], v23 offset1:1
	ds_read2_b32 v[9:10], v23 offset0:2 offset1:3
	ds_read_b32 v22, v23 offset:16
	s_cbranch_scc1 .LBB973_25
; %bb.22:
	s_andn2_b32 vcc_lo, exec_lo, s38
	s_cbranch_vccnz .LBB973_197
; %bb.23:
	s_lshl_b64 s[36:37], s[34:35], 1
	s_add_u32 s36, s18, s36
	s_addc_u32 s37, s19, s37
	s_add_u32 s36, s36, -2
	s_addc_u32 s37, s37, -1
	s_cbranch_execnz .LBB973_25
.LBB973_24:
	s_add_u32 s36, s30, -2
	s_addc_u32 s37, s31, -1
.LBB973_25:
	v_mov_b32_e32 v1, s36
	v_mov_b32_e32 v2, s37
	s_waitcnt lgkmcnt(0)
	v_lshrrev_b32_e32 v24, 16, v22
	s_mov_b32 s36, exec_lo
	flat_load_ushort v28, v[1:2]
	v_mad_i32_i24 v1, 0xffffffee, v0, v23
	ds_write_b16 v1, v24 offset:1280
	s_waitcnt vmcnt(0) lgkmcnt(0)
	s_barrier
	buffer_gl0_inv
	v_cmpx_ne_u32_e32 0, v0
; %bb.26:
	v_mul_i32_i24_e32 v1, 0xffffffee, v0
	v_add_nc_u32_e32 v1, v23, v1
	ds_read_u16 v28, v1 offset:1278
; %bb.27:
	s_or_b32 exec_lo, exec_lo, s36
	v_mov_b32_e32 v1, 0
	v_lshlrev_b32_e32 v14, 1, v0
	s_waitcnt lgkmcnt(0)
	s_barrier
	buffer_gl0_inv
	v_mov_b32_e32 v2, v1
	v_mov_b32_e32 v3, v1
	;; [unrolled: 1-line block ×4, first 2 shown]
	s_and_saveexec_b32 s36, s12
	s_cbranch_execnz .LBB973_188
; %bb.28:
	s_or_b32 exec_lo, exec_lo, s36
	s_and_saveexec_b32 s12, s11
	s_cbranch_execnz .LBB973_189
.LBB973_29:
	s_or_b32 exec_lo, exec_lo, s12
	s_and_saveexec_b32 s11, s10
	s_cbranch_execnz .LBB973_190
.LBB973_30:
	s_or_b32 exec_lo, exec_lo, s11
	s_and_saveexec_b32 s10, s9
	s_cbranch_execnz .LBB973_191
.LBB973_31:
	s_or_b32 exec_lo, exec_lo, s10
	s_and_saveexec_b32 s9, s8
	s_cbranch_execnz .LBB973_192
.LBB973_32:
	s_or_b32 exec_lo, exec_lo, s9
	s_and_saveexec_b32 s8, s7
	s_cbranch_execnz .LBB973_193
.LBB973_33:
	s_or_b32 exec_lo, exec_lo, s8
	s_and_saveexec_b32 s7, s3
	s_cbranch_execnz .LBB973_194
.LBB973_34:
	s_or_b32 exec_lo, exec_lo, s7
	s_and_saveexec_b32 s3, s2
	s_cbranch_execnz .LBB973_195
.LBB973_35:
	s_or_b32 exec_lo, exec_lo, s3
	s_and_saveexec_b32 s2, s1
	s_cbranch_execnz .LBB973_196
.LBB973_36:
	s_or_b32 exec_lo, exec_lo, s2
	s_and_saveexec_b32 s1, s0
	s_cbranch_execz .LBB973_38
.LBB973_37:
	global_load_ushort v6, v14, s[28:29] offset:1152
	s_waitcnt vmcnt(0)
	v_sub_nc_u16 v6, 0, v6
	v_perm_b32 v5, v6, v5, 0x5040100
.LBB973_38:
	s_or_b32 exec_lo, exec_lo, s1
	v_mul_u32_u24_e32 v29, 10, v0
	ds_write_b16 v13, v1
	ds_write_b16_d16_hi v13, v1 offset:128
	ds_write_b16 v13, v2 offset:256
	ds_write_b16_d16_hi v13, v2 offset:384
	ds_write_b16 v13, v3 offset:512
	;; [unrolled: 2-line block ×4, first 2 shown]
	ds_write_b16_d16_hi v13, v5 offset:1152
	v_mov_b32_e32 v18, 0
	v_mov_b32_e32 v1, 0
	v_mov_b32_e32 v27, 0
	v_cmp_gt_u32_e32 vcc_lo, s13, v29
	v_mov_b32_e32 v26, 0
	v_mov_b32_e32 v25, 0
	;; [unrolled: 1-line block ×13, first 2 shown]
	s_mov_b32 s0, 0
	s_mov_b32 s1, 0
	s_waitcnt lgkmcnt(0)
	s_barrier
	buffer_gl0_inv
                                        ; implicit-def: $sgpr2
                                        ; implicit-def: $vgpr7
	s_and_saveexec_b32 s3, vcc_lo
	s_cbranch_execz .LBB973_56
; %bb.39:
	ds_read_u16 v18, v23
	v_cmp_eq_u16_e32 vcc_lo, v28, v11
	v_or_b32_e32 v2, 1, v29
	v_mov_b32_e32 v1, 0
	v_mov_b32_e32 v27, 0
	;; [unrolled: 1-line block ×3, first 2 shown]
	v_cndmask_b32_e64 v21, 0x10000, 0, vcc_lo
	v_mov_b32_e32 v25, 0
	v_mov_b32_e32 v8, 0
	;; [unrolled: 1-line block ×11, first 2 shown]
	s_mov_b32 s7, 0
	s_mov_b32 s1, exec_lo
                                        ; implicit-def: $sgpr2
                                        ; implicit-def: $vgpr7
	v_cmpx_gt_u32_e64 s13, v2
	s_cbranch_execz .LBB973_55
; %bb.40:
	ds_read_b128 v[1:4], v23 offset:2
	v_add_nc_u32_e32 v5, 2, v29
	v_cmp_eq_u16_sdwa s2, v11, v11 src0_sel:DWORD src1_sel:WORD_1
	v_mov_b32_e32 v27, 0
	v_mov_b32_e32 v26, 0
	;; [unrolled: 1-line block ×3, first 2 shown]
	v_cmp_gt_u32_e32 vcc_lo, s13, v5
	v_cndmask_b32_e64 v20, 0x10000, 0, s2
	v_mov_b32_e32 v8, 0
	v_mov_b32_e32 v6, 0
	;; [unrolled: 1-line block ×9, first 2 shown]
	s_mov_b32 s8, 0
                                        ; implicit-def: $sgpr2
                                        ; implicit-def: $vgpr7
	s_and_saveexec_b32 s7, vcc_lo
	s_cbranch_execz .LBB973_54
; %bb.41:
	v_add_nc_u32_e32 v5, 3, v29
	v_cmp_eq_u16_sdwa s2, v11, v12 src0_sel:WORD_1 src1_sel:DWORD
	v_mov_b32_e32 v26, 0
	v_mov_b32_e32 v25, 0
	;; [unrolled: 1-line block ×3, first 2 shown]
	v_cmp_gt_u32_e32 vcc_lo, s13, v5
	v_cndmask_b32_e64 v11, 0x10000, 0, s2
	v_mov_b32_e32 v6, 0
	v_mov_b32_e32 v5, 0
	v_mov_b32_e32 v17, 0
	v_mov_b32_e32 v16, 0
	v_mov_b32_e32 v15, 0
	v_mov_b32_e32 v14, 0
	v_mov_b32_e32 v13, 0
	s_mov_b32 s9, 0
                                        ; implicit-def: $sgpr2
                                        ; implicit-def: $vgpr7
	s_and_saveexec_b32 s8, vcc_lo
	s_cbranch_execz .LBB973_53
; %bb.42:
	v_add_nc_u32_e32 v5, 4, v29
	v_cmp_eq_u16_sdwa s2, v12, v12 src0_sel:DWORD src1_sel:WORD_1
	v_mov_b32_e32 v25, 0
	v_mov_b32_e32 v8, 0
	;; [unrolled: 1-line block ×3, first 2 shown]
	v_cmp_gt_u32_e32 vcc_lo, s13, v5
	v_cndmask_b32_e64 v17, 0x10000, 0, s2
	v_mov_b32_e32 v5, 0
	v_mov_b32_e32 v16, 0
	;; [unrolled: 1-line block ×5, first 2 shown]
	s_mov_b32 s10, 0
                                        ; implicit-def: $sgpr2
                                        ; implicit-def: $vgpr7
	s_and_saveexec_b32 s9, vcc_lo
	s_cbranch_execz .LBB973_52
; %bb.43:
	v_add_nc_u32_e32 v5, 5, v29
	v_cmp_eq_u16_sdwa s2, v12, v9 src0_sel:WORD_1 src1_sel:DWORD
	v_mov_b32_e32 v8, 0
	v_mov_b32_e32 v6, 0
	;; [unrolled: 1-line block ×3, first 2 shown]
	v_cmp_gt_u32_e32 vcc_lo, s13, v5
	v_cndmask_b32_e64 v12, 0x10000, 0, s2
	v_mov_b32_e32 v5, 0
	v_mov_b32_e32 v14, 0
	;; [unrolled: 1-line block ×3, first 2 shown]
	s_mov_b32 s11, 0
                                        ; implicit-def: $sgpr2
                                        ; implicit-def: $vgpr7
	s_and_saveexec_b32 s10, vcc_lo
	s_cbranch_execz .LBB973_51
; %bb.44:
	v_add_nc_u32_e32 v7, 6, v29
	v_cmp_eq_u16_sdwa s2, v9, v9 src0_sel:DWORD src1_sel:WORD_1
	v_mov_b32_e32 v6, 0
	v_mov_b32_e32 v5, 0
	;; [unrolled: 1-line block ×3, first 2 shown]
	v_cmp_gt_u32_e32 vcc_lo, s13, v7
	v_cndmask_b32_e64 v8, 0x10000, 0, s2
	v_mov_b32_e32 v13, 0
	s_mov_b32 s12, 0
                                        ; implicit-def: $sgpr2
                                        ; implicit-def: $vgpr7
	s_and_saveexec_b32 s11, vcc_lo
	s_cbranch_execz .LBB973_50
; %bb.45:
	v_add_nc_u32_e32 v7, 7, v29
	v_cmp_eq_u16_sdwa s2, v9, v10 src0_sel:WORD_1 src1_sel:DWORD
	v_mov_b32_e32 v5, 0
	v_mov_b32_e32 v13, 0
	s_mov_b32 s36, 0
	v_cmp_gt_u32_e32 vcc_lo, s13, v7
	v_cndmask_b32_e64 v6, 0x10000, 0, s2
                                        ; implicit-def: $sgpr2
                                        ; implicit-def: $vgpr7
	s_and_saveexec_b32 s12, vcc_lo
	s_cbranch_execz .LBB973_49
; %bb.46:
	v_add_nc_u32_e32 v7, 8, v29
	v_cmp_eq_u16_sdwa s2, v10, v10 src0_sel:DWORD src1_sel:WORD_1
	v_mov_b32_e32 v13, 0
	v_cmp_gt_u32_e32 vcc_lo, s13, v7
	v_cndmask_b32_e64 v5, 0x10000, 0, s2
                                        ; implicit-def: $sgpr2
                                        ; implicit-def: $vgpr7
	s_and_saveexec_b32 s37, vcc_lo
	s_xor_b32 s37, exec_lo, s37
	s_cbranch_execz .LBB973_48
; %bb.47:
	ds_read_u16 v7, v23 offset:18
	v_cmp_eq_u16_sdwa s2, v10, v22 src0_sel:WORD_1 src1_sel:DWORD
	v_add_nc_u32_e32 v9, 9, v29
	v_cndmask_b32_e64 v10, 0x10000, 0, s2
	v_cmp_gt_u32_e32 vcc_lo, s13, v9
	v_cmp_ne_u16_e64 s2, v22, v24
	s_waitcnt lgkmcnt(1)
	v_or_b32_sdwa v13, v10, v4 dst_sel:DWORD dst_unused:UNUSED_PAD src0_sel:DWORD src1_sel:WORD_1
	s_and_b32 s36, vcc_lo, exec_lo
.LBB973_48:
	s_or_b32 exec_lo, exec_lo, s37
	s_waitcnt lgkmcnt(0)
	v_and_or_b32 v5, 0xffff, v4, v5
	s_and_b32 s36, s36, exec_lo
.LBB973_49:
	s_or_b32 exec_lo, exec_lo, s12
	s_waitcnt lgkmcnt(0)
	v_or_b32_sdwa v6, v6, v3 dst_sel:DWORD dst_unused:UNUSED_PAD src0_sel:DWORD src1_sel:WORD_1
	v_mov_b32_e32 v14, v5
	s_and_b32 s12, s36, exec_lo
.LBB973_50:
	s_or_b32 exec_lo, exec_lo, s11
	s_waitcnt lgkmcnt(0)
	v_and_or_b32 v8, 0xffff, v3, v8
	v_mov_b32_e32 v15, v6
	s_and_b32 s11, s12, exec_lo
.LBB973_51:
	s_or_b32 exec_lo, exec_lo, s10
	s_waitcnt lgkmcnt(0)
	v_or_b32_sdwa v25, v12, v2 dst_sel:DWORD dst_unused:UNUSED_PAD src0_sel:DWORD src1_sel:WORD_1
	v_mov_b32_e32 v16, v8
	s_and_b32 s10, s11, exec_lo
.LBB973_52:
	s_or_b32 exec_lo, exec_lo, s9
	s_waitcnt lgkmcnt(0)
	v_and_or_b32 v26, 0xffff, v2, v17
	v_mov_b32_e32 v17, v25
	s_and_b32 s9, s10, exec_lo
.LBB973_53:
	s_or_b32 exec_lo, exec_lo, s8
	s_waitcnt lgkmcnt(0)
	v_or_b32_sdwa v27, v11, v1 dst_sel:DWORD dst_unused:UNUSED_PAD src0_sel:DWORD src1_sel:WORD_1
	v_mov_b32_e32 v19, v26
	s_and_b32 s8, s9, exec_lo
.LBB973_54:
	s_or_b32 exec_lo, exec_lo, s7
	s_waitcnt lgkmcnt(0)
	v_and_or_b32 v1, 0xffff, v1, v20
	v_mov_b32_e32 v20, v27
	s_and_b32 s7, s8, exec_lo
.LBB973_55:
	s_or_b32 exec_lo, exec_lo, s1
	s_waitcnt lgkmcnt(0)
	v_or_b32_e32 v18, v21, v18
	v_mov_b32_e32 v21, v1
	s_and_b32 s1, s7, exec_lo
.LBB973_56:
	s_or_b32 exec_lo, exec_lo, s3
	v_lshlrev_b32_e32 v9, 1, v0
	s_and_b32 vcc_lo, exec_lo, s0
	s_cbranch_vccnz .LBB973_58
	s_branch .LBB973_66
.LBB973_57:
                                        ; implicit-def: $sgpr2
                                        ; implicit-def: $vgpr7
                                        ; implicit-def: $vgpr18
                                        ; implicit-def: $vgpr1
                                        ; implicit-def: $vgpr27
                                        ; implicit-def: $vgpr26
                                        ; implicit-def: $vgpr25
                                        ; implicit-def: $vgpr8
                                        ; implicit-def: $vgpr6
                                        ; implicit-def: $vgpr5
                                        ; implicit-def: $vgpr21
                                        ; implicit-def: $vgpr20
                                        ; implicit-def: $vgpr19
                                        ; implicit-def: $vgpr17
                                        ; implicit-def: $vgpr16
                                        ; implicit-def: $vgpr15
                                        ; implicit-def: $vgpr14
                                        ; implicit-def: $vgpr13
	v_lshlrev_b32_e32 v9, 1, v0
	s_cbranch_execz .LBB973_66
.LBB973_58:
	v_add_co_u32 v1, s0, s30, v9
	v_add_co_ci_u32_e64 v2, null, s31, 0, s0
	v_mad_u32_u24 v6, v0, 18, v9
	s_cmp_eq_u64 s[34:35], 0
	s_clause 0x9
	flat_load_ushort v3, v[1:2]
	flat_load_ushort v4, v[1:2] offset:128
	flat_load_ushort v5, v[1:2] offset:256
	;; [unrolled: 1-line block ×9, first 2 shown]
	s_waitcnt vmcnt(9) lgkmcnt(9)
	ds_write_b16 v9, v3
	s_waitcnt vmcnt(8) lgkmcnt(9)
	ds_write_b16 v9, v4 offset:128
	s_waitcnt vmcnt(7) lgkmcnt(9)
	ds_write_b16 v9, v5 offset:256
	;; [unrolled: 2-line block ×9, first 2 shown]
	s_waitcnt lgkmcnt(0)
	s_barrier
	buffer_gl0_inv
	ds_read2_b32 v[3:4], v6 offset1:1
	ds_read2_b32 v[1:2], v6 offset0:2 offset1:3
	ds_read_b32 v5, v6 offset:16
	s_cbranch_scc1 .LBB973_63
; %bb.59:
	s_andn2_b32 vcc_lo, exec_lo, s38
	s_cbranch_vccnz .LBB973_198
; %bb.60:
	s_lshl_b64 s[0:1], s[34:35], 1
	s_add_u32 s0, s18, s0
	s_addc_u32 s1, s19, s1
	s_add_u32 s0, s0, -2
	s_addc_u32 s1, s1, -1
	s_cbranch_execnz .LBB973_62
.LBB973_61:
	s_add_u32 s0, s30, -2
	s_addc_u32 s1, s31, -1
.LBB973_62:
	s_mov_b64 s[30:31], s[0:1]
.LBB973_63:
	v_mov_b32_e32 v7, s30
	v_mov_b32_e32 v8, s31
	v_mad_i32_i24 v10, 0xffffffee, v0, v6
	s_mov_b32 s0, exec_lo
	flat_load_ushort v8, v[7:8]
	s_waitcnt lgkmcnt(1)
	v_lshrrev_b32_e32 v7, 16, v5
	ds_write_b16 v10, v7 offset:1280
	s_waitcnt vmcnt(0) lgkmcnt(0)
	s_barrier
	buffer_gl0_inv
	v_cmpx_ne_u32_e32 0, v0
; %bb.64:
	v_mul_i32_i24_e32 v8, 0xffffffee, v0
	v_add_nc_u32_e32 v8, v6, v8
	ds_read_u16 v8, v8 offset:1278
; %bb.65:
	s_or_b32 exec_lo, exec_lo, s0
	s_waitcnt lgkmcnt(0)
	s_barrier
	buffer_gl0_inv
	s_clause 0x9
	global_load_ushort v10, v9, s[28:29]
	global_load_ushort v11, v9, s[28:29] offset:128
	global_load_ushort v12, v9, s[28:29] offset:256
	;; [unrolled: 1-line block ×9, first 2 shown]
	v_cmp_eq_u16_sdwa s0, v3, v3 src0_sel:DWORD src1_sel:WORD_1
	v_cmp_eq_u16_e32 vcc_lo, v8, v3
	v_cmp_ne_u16_e64 s2, v5, v7
	s_mov_b32 s1, -1
	v_cndmask_b32_e64 v8, 0x10000, 0, s0
	v_cmp_eq_u16_sdwa s0, v3, v4 src0_sel:WORD_1 src1_sel:DWORD
	v_cndmask_b32_e64 v3, 0x10000, 0, s0
	v_cmp_eq_u16_sdwa s0, v4, v4 src0_sel:DWORD src1_sel:WORD_1
	s_waitcnt vmcnt(9)
	v_sub_nc_u16 v10, 0, v10
	s_waitcnt vmcnt(8)
	v_sub_nc_u16 v11, 0, v11
	;; [unrolled: 2-line block ×10, first 2 shown]
	ds_write_b16 v9, v10
	ds_write_b16 v9, v11 offset:128
	ds_write_b16 v9, v12 offset:256
	;; [unrolled: 1-line block ×9, first 2 shown]
	v_cndmask_b32_e64 v15, 0x10000, 0, s0
	v_cmp_eq_u16_sdwa s0, v4, v1 src0_sel:WORD_1 src1_sel:DWORD
	s_waitcnt lgkmcnt(0)
	s_barrier
	buffer_gl0_inv
	ds_read2_b32 v[10:11], v6 offset1:1
	ds_read2_b32 v[12:13], v6 offset0:2 offset1:3
	ds_read_b32 v14, v6 offset:16
	v_cndmask_b32_e64 v4, 0x10000, 0, s0
	v_cmp_eq_u16_sdwa s0, v1, v1 src0_sel:DWORD src1_sel:WORD_1
	v_cndmask_b32_e64 v6, 0x10000, 0, vcc_lo
	v_cndmask_b32_e64 v16, 0x10000, 0, s0
	v_cmp_eq_u16_sdwa s0, v1, v2 src0_sel:WORD_1 src1_sel:DWORD
	v_cndmask_b32_e64 v17, 0x10000, 0, s0
	v_cmp_eq_u16_sdwa s0, v2, v2 src0_sel:DWORD src1_sel:WORD_1
	s_waitcnt lgkmcnt(2)
	v_and_or_b32 v18, 0xffff, v10, v6
	v_cndmask_b32_e64 v19, 0x10000, 0, s0
	v_cmp_eq_u16_sdwa s0, v2, v5 src0_sel:WORD_1 src1_sel:DWORD
	v_or_b32_sdwa v1, v8, v10 dst_sel:DWORD dst_unused:UNUSED_PAD src0_sel:DWORD src1_sel:WORD_1
	v_and_or_b32 v27, 0xffff, v11, v3
	v_or_b32_sdwa v26, v15, v11 dst_sel:DWORD dst_unused:UNUSED_PAD src0_sel:DWORD src1_sel:WORD_1
	s_waitcnt lgkmcnt(1)
	v_and_or_b32 v25, 0xffff, v12, v4
	v_cndmask_b32_e64 v2, 0x10000, 0, s0
	v_or_b32_sdwa v8, v16, v12 dst_sel:DWORD dst_unused:UNUSED_PAD src0_sel:DWORD src1_sel:WORD_1
	v_and_or_b32 v6, 0xffff, v13, v17
	v_or_b32_sdwa v5, v19, v13 dst_sel:DWORD dst_unused:UNUSED_PAD src0_sel:DWORD src1_sel:WORD_1
	s_waitcnt lgkmcnt(0)
	v_lshrrev_b32_e32 v7, 16, v14
	v_and_or_b32 v13, 0xffff, v14, v2
	v_mov_b32_e32 v21, v1
	v_mov_b32_e32 v20, v27
	;; [unrolled: 1-line block ×7, first 2 shown]
.LBB973_66:
	v_mov_b32_e32 v10, 0
	s_and_saveexec_b32 s0, s1
	s_cbranch_execz .LBB973_68
; %bb.67:
	v_cndmask_b32_e64 v2, 0, 0x10000, s2
	v_mov_b32_e32 v14, v5
	v_mov_b32_e32 v15, v6
	;; [unrolled: 1-line block ×4, first 2 shown]
	v_or_b32_sdwa v10, v2, v7 dst_sel:DWORD dst_unused:UNUSED_PAD src0_sel:DWORD src1_sel:WORD_0
	v_mov_b32_e32 v19, v26
	v_mov_b32_e32 v20, v27
	;; [unrolled: 1-line block ×3, first 2 shown]
.LBB973_68:
	s_or_b32 exec_lo, exec_lo, s0
	v_or3_b32 v1, v14, v13, v15
	v_cmp_gt_u32_e64 s11, 0x10000, v21
	v_cmp_gt_u32_e64 s10, 0x10000, v20
	v_cmp_gt_u32_e64 s9, 0x10000, v19
	v_cmp_gt_u32_e64 s8, 0x10000, v17
	v_cmp_gt_u32_e64 s7, 0x10000, v16
	v_cmp_gt_u32_e64 s3, 0x10000, v15
	v_cmp_gt_u32_e64 s2, 0x10000, v14
	v_cmp_gt_u32_e64 s0, 0x10000, v13
	v_or3_b32 v12, v1, v16, v17
	v_cmp_gt_u32_e64 s1, 0x10000, v10
	v_lshrrev_b32_e32 v11, 3, v0
	s_cmp_lg_u32 s6, 0
	v_cmp_gt_u32_e32 vcc_lo, 32, v0
	s_barrier
	buffer_gl0_inv
	s_cbranch_scc0 .LBB973_118
; %bb.69:
	v_cndmask_b32_e64 v1, 0, v18, s11
	v_or3_b32 v2, v12, v19, v20
	v_and_b32_e32 v3, 4, v11
	v_lshrrev_b32_e32 v22, 16, v18
	v_add_nc_u16 v1, v1, v21
	v_or3_b32 v2, v2, v21, v10
	v_lshl_add_u32 v3, v0, 2, v3
	v_cndmask_b32_e64 v1, 0, v1, s10
	v_and_b32_e32 v2, 0xff0000, v2
	v_add_nc_u16 v1, v1, v20
	v_cmp_eq_u32_e64 s12, 0, v2
	v_cndmask_b32_e64 v1, 0, v1, s9
	v_cndmask_b32_e64 v23, 1, v22, s12
	v_add_nc_u16 v1, v1, v19
	v_cndmask_b32_e64 v1, 0, v1, s8
	v_add_nc_u16 v1, v1, v17
	;; [unrolled: 2-line block ×7, first 2 shown]
	ds_write_b8 v3, v23 offset:2
	ds_write_b16 v3, v24
	s_waitcnt lgkmcnt(0)
	s_barrier
	buffer_gl0_inv
	s_and_saveexec_b32 s13, vcc_lo
	s_cbranch_execz .LBB973_81
; %bb.70:
	v_lshrrev_b32_e32 v1, 2, v0
	v_lshlrev_b32_e32 v2, 3, v0
	s_mov_b32 s18, exec_lo
	v_and_b32_e32 v1, 12, v1
	v_add_nc_u32_e32 v1, v1, v2
	ds_read_u8 v3, v1 offset:6
	ds_read_b32 v2, v1
	ds_read_u16 v4, v1 offset:4
	s_waitcnt lgkmcnt(2)
	v_cmp_eq_u16_e64 s12, 0, v3
	v_and_b32_e32 v6, 1, v3
	s_waitcnt lgkmcnt(1)
	v_and_b32_e32 v3, 0x10000, v2
	v_cndmask_b32_e64 v5, 0, v2, s12
	v_cmp_eq_u32_e64 s12, 1, v6
	v_mbcnt_lo_u32_b32 v6, -1, 0
	s_waitcnt lgkmcnt(0)
	v_add_nc_u16 v5, v5, v4
	v_and_b32_e32 v4, 0xff000000, v2
	v_cndmask_b32_e64 v7, v3, 0x10000, s12
	v_and_b32_e32 v8, 0xffff, v5
	v_or_b32_e32 v25, v7, v4
	v_or3_b32 v26, v4, v8, v7
	v_and_b32_e32 v7, 15, v6
	v_lshrrev_b32_e32 v8, 16, v25
	v_mov_b32_dpp v27, v26 row_shr:1 row_mask:0xf bank_mask:0xf
	v_cmpx_ne_u32_e32 0, v7
	s_cbranch_execz .LBB973_72
; %bb.71:
	v_mov_b32_e32 v8, 0xff
	v_mov_b32_e32 v26, 1
	v_and_b32_sdwa v8, v25, v8 dst_sel:DWORD dst_unused:UNUSED_PAD src0_sel:WORD_1 src1_sel:DWORD
	v_and_b32_e32 v25, 0x10000, v25
	v_and_b32_sdwa v26, v27, v26 dst_sel:DWORD dst_unused:UNUSED_PAD src0_sel:WORD_1 src1_sel:DWORD
	v_cmp_eq_u16_e64 s12, 0, v8
	v_cndmask_b32_e64 v27, 0, v27, s12
	v_cmp_ne_u32_e64 s12, 0, v25
	v_add_nc_u16 v5, v27, v5
	v_cndmask_b32_e64 v8, v26, 1, s12
	v_and_b32_e32 v26, 0xffff, v5
	v_lshlrev_b32_e32 v25, 16, v8
	v_or3_b32 v26, v25, v26, v4
.LBB973_72:
	s_or_b32 exec_lo, exec_lo, s18
	v_lshrrev_b32_e32 v25, 16, v26
	v_mov_b32_dpp v27, v26 row_shr:2 row_mask:0xf bank_mask:0xf
	s_mov_b32 s18, exec_lo
	v_cmpx_lt_u32_e32 1, v7
	s_cbranch_execz .LBB973_74
; %bb.73:
	v_mov_b32_e32 v28, 0
	v_mov_b32_e32 v8, 1
	v_and_b32_e32 v26, 0x10000, v26
	v_cmp_eq_u16_sdwa s12, v25, v28 src0_sel:BYTE_0 src1_sel:DWORD
	v_and_b32_sdwa v8, v27, v8 dst_sel:DWORD dst_unused:UNUSED_PAD src0_sel:WORD_1 src1_sel:DWORD
	v_cndmask_b32_e64 v25, 0, v27, s12
	v_cmp_ne_u32_e64 s12, 0, v26
	v_add_nc_u16 v5, v25, v5
	v_cndmask_b32_e64 v8, v8, 1, s12
	v_and_b32_e32 v26, 0xffff, v5
	v_lshlrev_b32_e32 v25, 16, v8
	v_or3_b32 v26, v25, v26, v4
	v_mov_b32_e32 v25, v8
.LBB973_74:
	s_or_b32 exec_lo, exec_lo, s18
	v_mov_b32_dpp v27, v26 row_shr:4 row_mask:0xf bank_mask:0xf
	s_mov_b32 s18, exec_lo
	v_cmpx_lt_u32_e32 3, v7
	s_cbranch_execz .LBB973_76
; %bb.75:
	v_mov_b32_e32 v26, 0
	v_mov_b32_e32 v8, 1
	v_and_b32_e32 v28, 1, v25
	v_cmp_eq_u16_sdwa s12, v25, v26 src0_sel:BYTE_0 src1_sel:DWORD
	v_and_b32_sdwa v8, v27, v8 dst_sel:DWORD dst_unused:UNUSED_PAD src0_sel:WORD_1 src1_sel:DWORD
	v_cndmask_b32_e64 v25, 0, v27, s12
	v_cmp_eq_u32_e64 s12, 1, v28
	v_add_nc_u16 v5, v25, v5
	v_cndmask_b32_e64 v8, v8, 1, s12
	v_and_b32_e32 v26, 0xffff, v5
	v_lshlrev_b32_e32 v25, 16, v8
	v_or3_b32 v26, v25, v26, v4
	v_mov_b32_e32 v25, v8
.LBB973_76:
	s_or_b32 exec_lo, exec_lo, s18
	v_mov_b32_dpp v27, v26 row_shr:8 row_mask:0xf bank_mask:0xf
	s_mov_b32 s18, exec_lo
	v_cmpx_lt_u32_e32 7, v7
	s_cbranch_execz .LBB973_78
; %bb.77:
	v_mov_b32_e32 v8, 0
	v_mov_b32_e32 v7, 1
	v_and_b32_e32 v26, 1, v25
	v_cmp_eq_u16_sdwa s12, v25, v8 src0_sel:BYTE_0 src1_sel:DWORD
	v_and_b32_sdwa v7, v27, v7 dst_sel:DWORD dst_unused:UNUSED_PAD src0_sel:WORD_1 src1_sel:DWORD
	v_cndmask_b32_e64 v25, 0, v27, s12
	v_cmp_eq_u32_e64 s12, 1, v26
	v_add_nc_u16 v5, v25, v5
	v_cndmask_b32_e64 v8, v7, 1, s12
	v_and_b32_e32 v25, 0xffff, v5
	v_lshlrev_b32_e32 v7, 16, v8
	v_or3_b32 v26, v7, v25, v4
	v_mov_b32_e32 v25, v8
.LBB973_78:
	s_or_b32 exec_lo, exec_lo, s18
	ds_swizzle_b32 v7, v26 offset:swizzle(BROADCAST,32,15)
	v_and_b32_e32 v26, 16, v6
	s_mov_b32 s18, exec_lo
	v_cmpx_ne_u32_e32 0, v26
	s_cbranch_execz .LBB973_80
; %bb.79:
	v_mov_b32_e32 v8, 0
	v_mov_b32_e32 v26, 1
	v_cmp_eq_u16_sdwa s12, v25, v8 src0_sel:BYTE_0 src1_sel:DWORD
	v_and_b32_e32 v25, 1, v25
	s_waitcnt lgkmcnt(0)
	v_cndmask_b32_e64 v8, 0, v7, s12
	v_and_b32_sdwa v7, v7, v26 dst_sel:DWORD dst_unused:UNUSED_PAD src0_sel:WORD_1 src1_sel:DWORD
	v_cmp_eq_u32_e64 s12, 1, v25
	v_add_nc_u16 v5, v8, v5
	v_cndmask_b32_e64 v8, v7, 1, s12
.LBB973_80:
	s_or_b32 exec_lo, exec_lo, s18
	s_waitcnt lgkmcnt(0)
	v_and_b32_e32 v7, 0xff, v8
	v_add_nc_u32_e32 v8, -1, v6
	v_and_b32_e32 v5, 0xffff, v5
	; wave barrier
	v_lshlrev_b32_e32 v7, 16, v7
	v_cmp_gt_i32_e64 s12, 0, v8
	v_or3_b32 v4, v7, v5, v4
	v_cndmask_b32_e64 v6, v8, v6, s12
	v_lshlrev_b32_e32 v5, 2, v6
	v_mov_b32_e32 v6, 1
	ds_bpermute_b32 v4, v5, v4
	v_and_b32_e32 v5, 0xff0000, v2
	v_cmp_eq_u32_e64 s12, 0, v5
	s_waitcnt lgkmcnt(0)
	v_cndmask_b32_e64 v5, 0, v4, s12
	v_and_b32_sdwa v4, v4, v6 dst_sel:DWORD dst_unused:UNUSED_PAD src0_sel:WORD_1 src1_sel:DWORD
	v_cmp_eq_u32_e64 s12, 0, v3
	v_add_nc_u16 v2, v5, v2
	v_cndmask_b32_e64 v3, 1, v4, s12
	v_cmp_eq_u32_e64 s12, 0, v0
	v_cndmask_b32_e64 v2, v2, v24, s12
	v_cndmask_b32_e64 v3, v3, v23, s12
	ds_write_b16 v1, v2
	ds_write_b8 v1, v3 offset:2
	; wave barrier
	ds_read_u8 v4, v1 offset:6
	ds_read_u16 v5, v1 offset:4
	s_waitcnt lgkmcnt(1)
	v_cmp_eq_u16_e64 s12, 0, v4
	v_and_b32_e32 v4, 1, v4
	v_cndmask_b32_e64 v2, 0, v2, s12
	v_cmp_eq_u32_e64 s12, 1, v4
	s_waitcnt lgkmcnt(0)
	v_add_nc_u16 v2, v2, v5
	v_cndmask_b32_e64 v3, v3, 1, s12
	ds_write_b16 v1, v2 offset:4
	ds_write_b8 v1, v3 offset:6
.LBB973_81:
	s_or_b32 exec_lo, exec_lo, s13
	v_cmp_eq_u32_e64 s12, 0, v0
	s_mov_b32 s18, exec_lo
	s_waitcnt lgkmcnt(0)
	s_barrier
	buffer_gl0_inv
	v_cmpx_ne_u32_e32 0, v0
	s_cbranch_execz .LBB973_83
; %bb.82:
	v_add_nc_u32_e32 v1, -1, v0
	v_lshrrev_b32_e32 v2, 3, v1
	v_and_b32_e32 v2, 0x1ffffffc, v2
	v_lshl_add_u32 v1, v1, 2, v2
	ds_read_u16 v24, v1
	ds_read_u8 v23, v1 offset:2
.LBB973_83:
	s_or_b32 exec_lo, exec_lo, s18
	s_and_saveexec_b32 s28, vcc_lo
	s_cbranch_execz .LBB973_123
; %bb.84:
	v_mov_b32_e32 v6, 0
	v_mbcnt_lo_u32_b32 v25, -1, 0
	s_mov_b32 s19, 0
	ds_read_b32 v1, v6 offset:256
	v_cmp_eq_u32_e64 s13, 0, v25
	s_and_saveexec_b32 s29, s13
	s_cbranch_execz .LBB973_86
; %bb.85:
	s_add_i32 s18, s6, 32
	v_mov_b32_e32 v2, 1
	s_lshl_b64 s[18:19], s[18:19], 3
	s_add_u32 s18, s20, s18
	s_addc_u32 s19, s21, s19
	s_waitcnt lgkmcnt(0)
	global_store_dwordx2 v6, v[1:2], s[18:19]
.LBB973_86:
	s_or_b32 exec_lo, exec_lo, s29
	v_xad_u32 v2, v25, -1, s6
	v_add_nc_u32_e32 v5, 32, v2
	v_lshlrev_b64 v[3:4], 3, v[5:6]
	v_add_co_u32 v7, vcc_lo, s20, v3
	v_add_co_ci_u32_e64 v8, null, s21, v4, vcc_lo
	global_load_dwordx2 v[4:5], v[7:8], off glc dlc
	s_waitcnt vmcnt(0)
	v_cmp_eq_u16_sdwa s19, v5, v6 src0_sel:BYTE_0 src1_sel:DWORD
	s_and_saveexec_b32 s18, s19
	s_cbranch_execz .LBB973_90
; %bb.87:
	v_mov_b32_e32 v3, 0
	s_mov_b32 s19, 0
.LBB973_88:                             ; =>This Inner Loop Header: Depth=1
	global_load_dwordx2 v[4:5], v[7:8], off glc dlc
	s_waitcnt vmcnt(0)
	v_cmp_ne_u16_sdwa s29, v5, v3 src0_sel:BYTE_0 src1_sel:DWORD
	s_or_b32 s19, s29, s19
	s_andn2_b32 exec_lo, exec_lo, s19
	s_cbranch_execnz .LBB973_88
; %bb.89:
	s_or_b32 exec_lo, exec_lo, s19
.LBB973_90:
	s_or_b32 exec_lo, exec_lo, s18
	v_cmp_ne_u32_e32 vcc_lo, 31, v25
	v_and_b32_e32 v33, 0xffffff, v4
	v_mov_b32_e32 v6, 2
	v_lshlrev_b32_e64 v26, v25, -1
	v_bfe_u32 v7, v4, 16, 8
	v_add_co_ci_u32_e64 v3, null, 0, v25, vcc_lo
	v_cmp_eq_u16_sdwa s18, v5, v6 src0_sel:BYTE_0 src1_sel:DWORD
	v_lshrrev_b32_e32 v6, 16, v4
	v_lshlrev_b32_e32 v8, 2, v3
	v_and_or_b32 v3, s18, v26, 0x80000000
	s_mov_b32 s18, exec_lo
	ds_bpermute_b32 v27, v8, v33
	v_ffbl_b32_e32 v3, v3
	v_cmpx_lt_u32_e64 v25, v3
	s_cbranch_execz .LBB973_92
; %bb.91:
	v_and_b32_e32 v6, 0xff0000, v4
	v_mov_b32_e32 v7, 1
	v_and_b32_e32 v28, 0x10000, v6
	v_cmp_eq_u32_e32 vcc_lo, 0, v6
	s_waitcnt lgkmcnt(0)
	v_and_b32_sdwa v7, v27, v7 dst_sel:DWORD dst_unused:UNUSED_PAD src0_sel:WORD_1 src1_sel:DWORD
	v_cndmask_b32_e32 v27, 0, v27, vcc_lo
	v_cmp_ne_u32_e32 vcc_lo, 0, v28
	v_add_nc_u16 v4, v27, v4
	v_cndmask_b32_e64 v6, v7, 1, vcc_lo
	v_lshlrev_b32_e32 v7, 16, v6
	v_or_b32_sdwa v33, v7, v4 dst_sel:DWORD dst_unused:UNUSED_PAD src0_sel:DWORD src1_sel:WORD_0
	v_mov_b32_e32 v7, v6
.LBB973_92:
	s_or_b32 exec_lo, exec_lo, s18
	v_cmp_gt_u32_e32 vcc_lo, 30, v25
	v_add_nc_u32_e32 v28, 2, v25
	s_mov_b32 s18, exec_lo
	s_waitcnt lgkmcnt(0)
	v_cndmask_b32_e64 v27, 0, 2, vcc_lo
	v_add_lshl_u32 v27, v27, v25, 2
	ds_bpermute_b32 v29, v27, v33
	v_cmpx_le_u32_e64 v28, v3
	s_cbranch_execz .LBB973_94
; %bb.93:
	v_mov_b32_e32 v6, 1
	v_and_b32_e32 v30, 1, v7
	v_cmp_eq_u16_e32 vcc_lo, 0, v7
	s_waitcnt lgkmcnt(0)
	v_and_b32_sdwa v6, v29, v6 dst_sel:DWORD dst_unused:UNUSED_PAD src0_sel:WORD_1 src1_sel:DWORD
	v_cndmask_b32_e32 v7, 0, v29, vcc_lo
	v_cmp_eq_u32_e32 vcc_lo, 1, v30
	v_add_nc_u16 v4, v7, v4
	v_cndmask_b32_e64 v6, v6, 1, vcc_lo
	v_lshlrev_b32_e32 v7, 16, v6
	v_or_b32_sdwa v33, v7, v4 dst_sel:DWORD dst_unused:UNUSED_PAD src0_sel:DWORD src1_sel:WORD_0
	v_mov_b32_e32 v7, v6
.LBB973_94:
	s_or_b32 exec_lo, exec_lo, s18
	v_cmp_gt_u32_e32 vcc_lo, 28, v25
	v_add_nc_u32_e32 v30, 4, v25
	s_mov_b32 s18, exec_lo
	s_waitcnt lgkmcnt(0)
	v_cndmask_b32_e64 v29, 0, 4, vcc_lo
	v_add_lshl_u32 v29, v29, v25, 2
	ds_bpermute_b32 v31, v29, v33
	v_cmpx_le_u32_e64 v30, v3
	s_cbranch_execz .LBB973_96
; %bb.95:
	v_mov_b32_e32 v6, 1
	v_and_b32_e32 v32, 1, v7
	v_cmp_eq_u16_e32 vcc_lo, 0, v7
	s_waitcnt lgkmcnt(0)
	v_and_b32_sdwa v6, v31, v6 dst_sel:DWORD dst_unused:UNUSED_PAD src0_sel:WORD_1 src1_sel:DWORD
	v_cndmask_b32_e32 v7, 0, v31, vcc_lo
	v_cmp_eq_u32_e32 vcc_lo, 1, v32
	v_add_nc_u16 v4, v7, v4
	v_cndmask_b32_e64 v6, v6, 1, vcc_lo
	v_lshlrev_b32_e32 v7, 16, v6
	v_or_b32_sdwa v33, v7, v4 dst_sel:DWORD dst_unused:UNUSED_PAD src0_sel:DWORD src1_sel:WORD_0
	v_mov_b32_e32 v7, v6
.LBB973_96:
	s_or_b32 exec_lo, exec_lo, s18
	v_cmp_gt_u32_e32 vcc_lo, 24, v25
	v_add_nc_u32_e32 v32, 8, v25
	s_mov_b32 s18, exec_lo
	s_waitcnt lgkmcnt(0)
	v_cndmask_b32_e64 v31, 0, 8, vcc_lo
	v_add_lshl_u32 v31, v31, v25, 2
	ds_bpermute_b32 v34, v31, v33
	v_cmpx_le_u32_e64 v32, v3
	s_cbranch_execz .LBB973_98
; %bb.97:
	v_mov_b32_e32 v6, 1
	v_and_b32_e32 v33, 1, v7
	v_cmp_eq_u16_e32 vcc_lo, 0, v7
	s_waitcnt lgkmcnt(0)
	v_and_b32_sdwa v6, v34, v6 dst_sel:DWORD dst_unused:UNUSED_PAD src0_sel:WORD_1 src1_sel:DWORD
	v_cndmask_b32_e32 v7, 0, v34, vcc_lo
	v_cmp_eq_u32_e32 vcc_lo, 1, v33
	v_add_nc_u16 v4, v7, v4
	v_cndmask_b32_e64 v6, v6, 1, vcc_lo
	v_lshlrev_b32_e32 v7, 16, v6
	v_or_b32_sdwa v33, v7, v4 dst_sel:DWORD dst_unused:UNUSED_PAD src0_sel:DWORD src1_sel:WORD_0
	v_mov_b32_e32 v7, v6
.LBB973_98:
	s_or_b32 exec_lo, exec_lo, s18
	v_lshl_or_b32 v35, v25, 2, 64
	v_add_nc_u32_e32 v36, 16, v25
	s_mov_b32 s18, exec_lo
	ds_bpermute_b32 v33, v35, v33
	v_cmpx_le_u32_e64 v36, v3
	s_cbranch_execz .LBB973_100
; %bb.99:
	v_mov_b32_e32 v3, 1
	v_cmp_eq_u16_e32 vcc_lo, 0, v7
	v_and_b32_e32 v7, 1, v7
	s_waitcnt lgkmcnt(0)
	v_and_b32_sdwa v3, v33, v3 dst_sel:DWORD dst_unused:UNUSED_PAD src0_sel:WORD_1 src1_sel:DWORD
	v_cndmask_b32_e32 v6, 0, v33, vcc_lo
	v_cmp_eq_u32_e32 vcc_lo, 1, v7
	v_add_nc_u16 v4, v6, v4
	v_cndmask_b32_e64 v6, v3, 1, vcc_lo
.LBB973_100:
	s_or_b32 exec_lo, exec_lo, s18
	v_mov_b32_e32 v3, 0
	v_mov_b32_e32 v37, 2
	;; [unrolled: 1-line block ×3, first 2 shown]
	s_branch .LBB973_103
.LBB973_101:                            ;   in Loop: Header=BB973_103 Depth=1
	s_or_b32 exec_lo, exec_lo, s18
	v_cmp_eq_u16_sdwa vcc_lo, v33, v3 src0_sel:BYTE_0 src1_sel:DWORD
	v_and_b32_e32 v6, 1, v33
	v_and_b32_e32 v7, 1, v7
	v_subrev_nc_u32_e32 v2, 32, v2
	s_mov_b32 s18, 0
	v_cndmask_b32_e32 v4, 0, v4, vcc_lo
	v_cmp_eq_u32_e32 vcc_lo, 1, v6
	v_add_nc_u16 v4, v4, v34
	v_cndmask_b32_e64 v6, v7, 1, vcc_lo
.LBB973_102:                            ;   in Loop: Header=BB973_103 Depth=1
	s_and_b32 vcc_lo, exec_lo, s18
	s_cbranch_vccnz .LBB973_119
.LBB973_103:                            ; =>This Loop Header: Depth=1
                                        ;     Child Loop BB973_106 Depth 2
	v_cmp_ne_u16_sdwa s18, v5, v37 src0_sel:BYTE_0 src1_sel:DWORD
	s_waitcnt lgkmcnt(0)
	v_mov_b32_e32 v33, v6
	v_mov_b32_e32 v34, v4
                                        ; implicit-def: $vgpr6
                                        ; implicit-def: $vgpr4
	s_cmp_lg_u32 s18, exec_lo
	s_mov_b32 s18, -1
	s_cbranch_scc1 .LBB973_102
; %bb.104:                              ;   in Loop: Header=BB973_103 Depth=1
	v_lshlrev_b64 v[4:5], 3, v[2:3]
	v_add_co_u32 v6, vcc_lo, s20, v4
	v_add_co_ci_u32_e64 v7, null, s21, v5, vcc_lo
	global_load_dwordx2 v[4:5], v[6:7], off glc dlc
	s_waitcnt vmcnt(0)
	v_cmp_eq_u16_sdwa s19, v5, v3 src0_sel:BYTE_0 src1_sel:DWORD
	s_and_saveexec_b32 s18, s19
	s_cbranch_execz .LBB973_108
; %bb.105:                              ;   in Loop: Header=BB973_103 Depth=1
	s_mov_b32 s19, 0
.LBB973_106:                            ;   Parent Loop BB973_103 Depth=1
                                        ; =>  This Inner Loop Header: Depth=2
	global_load_dwordx2 v[4:5], v[6:7], off glc dlc
	s_waitcnt vmcnt(0)
	v_cmp_ne_u16_sdwa s29, v5, v3 src0_sel:BYTE_0 src1_sel:DWORD
	s_or_b32 s19, s29, s19
	s_andn2_b32 exec_lo, exec_lo, s19
	s_cbranch_execnz .LBB973_106
; %bb.107:                              ;   in Loop: Header=BB973_103 Depth=1
	s_or_b32 exec_lo, exec_lo, s19
.LBB973_108:                            ;   in Loop: Header=BB973_103 Depth=1
	s_or_b32 exec_lo, exec_lo, s18
	v_and_b32_e32 v40, 0xffffff, v4
	v_cmp_eq_u16_sdwa s18, v5, v37 src0_sel:BYTE_0 src1_sel:DWORD
	v_lshrrev_b32_e32 v7, 16, v4
	v_bfe_u32 v39, v4, 16, 8
	ds_bpermute_b32 v41, v8, v40
	v_and_or_b32 v6, s18, v26, 0x80000000
	s_mov_b32 s18, exec_lo
	v_ffbl_b32_e32 v6, v6
	v_cmpx_lt_u32_e64 v25, v6
	s_cbranch_execz .LBB973_110
; %bb.109:                              ;   in Loop: Header=BB973_103 Depth=1
	v_and_b32_e32 v7, 0xff0000, v4
	s_waitcnt lgkmcnt(0)
	v_and_b32_sdwa v40, v41, v38 dst_sel:DWORD dst_unused:UNUSED_PAD src0_sel:WORD_1 src1_sel:DWORD
	v_and_b32_e32 v39, 0x10000, v7
	v_cmp_eq_u32_e32 vcc_lo, 0, v7
	v_cndmask_b32_e32 v41, 0, v41, vcc_lo
	v_cmp_ne_u32_e32 vcc_lo, 0, v39
	v_add_nc_u16 v4, v41, v4
	v_cndmask_b32_e64 v7, v40, 1, vcc_lo
	v_lshlrev_b32_e32 v39, 16, v7
	v_or_b32_sdwa v40, v39, v4 dst_sel:DWORD dst_unused:UNUSED_PAD src0_sel:DWORD src1_sel:WORD_0
	v_mov_b32_e32 v39, v7
.LBB973_110:                            ;   in Loop: Header=BB973_103 Depth=1
	s_or_b32 exec_lo, exec_lo, s18
	s_waitcnt lgkmcnt(0)
	ds_bpermute_b32 v41, v27, v40
	s_mov_b32 s18, exec_lo
	v_cmpx_le_u32_e64 v28, v6
	s_cbranch_execz .LBB973_112
; %bb.111:                              ;   in Loop: Header=BB973_103 Depth=1
	v_and_b32_e32 v7, 1, v39
	v_cmp_eq_u16_e32 vcc_lo, 0, v39
	s_waitcnt lgkmcnt(0)
	v_and_b32_sdwa v40, v41, v38 dst_sel:DWORD dst_unused:UNUSED_PAD src0_sel:WORD_1 src1_sel:DWORD
	v_cndmask_b32_e32 v39, 0, v41, vcc_lo
	v_cmp_eq_u32_e32 vcc_lo, 1, v7
	v_add_nc_u16 v4, v39, v4
	v_cndmask_b32_e64 v7, v40, 1, vcc_lo
	v_lshlrev_b32_e32 v39, 16, v7
	v_or_b32_sdwa v40, v39, v4 dst_sel:DWORD dst_unused:UNUSED_PAD src0_sel:DWORD src1_sel:WORD_0
	v_mov_b32_e32 v39, v7
.LBB973_112:                            ;   in Loop: Header=BB973_103 Depth=1
	s_or_b32 exec_lo, exec_lo, s18
	s_waitcnt lgkmcnt(0)
	ds_bpermute_b32 v41, v29, v40
	s_mov_b32 s18, exec_lo
	v_cmpx_le_u32_e64 v30, v6
	s_cbranch_execz .LBB973_114
; %bb.113:                              ;   in Loop: Header=BB973_103 Depth=1
	v_and_b32_e32 v7, 1, v39
	v_cmp_eq_u16_e32 vcc_lo, 0, v39
	s_waitcnt lgkmcnt(0)
	v_and_b32_sdwa v40, v41, v38 dst_sel:DWORD dst_unused:UNUSED_PAD src0_sel:WORD_1 src1_sel:DWORD
	v_cndmask_b32_e32 v39, 0, v41, vcc_lo
	v_cmp_eq_u32_e32 vcc_lo, 1, v7
	v_add_nc_u16 v4, v39, v4
	v_cndmask_b32_e64 v7, v40, 1, vcc_lo
	v_lshlrev_b32_e32 v39, 16, v7
	v_or_b32_sdwa v40, v39, v4 dst_sel:DWORD dst_unused:UNUSED_PAD src0_sel:DWORD src1_sel:WORD_0
	v_mov_b32_e32 v39, v7
.LBB973_114:                            ;   in Loop: Header=BB973_103 Depth=1
	;; [unrolled: 19-line block ×3, first 2 shown]
	s_or_b32 exec_lo, exec_lo, s18
	ds_bpermute_b32 v40, v35, v40
	s_mov_b32 s18, exec_lo
	v_cmpx_le_u32_e64 v36, v6
	s_cbranch_execz .LBB973_101
; %bb.117:                              ;   in Loop: Header=BB973_103 Depth=1
	v_cmp_eq_u16_e32 vcc_lo, 0, v39
	v_and_b32_e32 v7, 1, v39
	s_waitcnt lgkmcnt(0)
	v_lshrrev_b32_e32 v39, 16, v40
	v_cndmask_b32_e32 v6, 0, v40, vcc_lo
	v_cmp_eq_u32_e32 vcc_lo, 1, v7
	v_add_nc_u16 v4, v6, v4
	v_cndmask_b32_e64 v7, v39, 1, vcc_lo
	s_branch .LBB973_101
.LBB973_118:
                                        ; implicit-def: $vgpr25
                                        ; implicit-def: $vgpr3
                                        ; implicit-def: $vgpr4
                                        ; implicit-def: $vgpr5
                                        ; implicit-def: $vgpr6
                                        ; implicit-def: $vgpr7
                                        ; implicit-def: $vgpr8
                                        ; implicit-def: $vgpr22
                                        ; implicit-def: $vgpr23
                                        ; implicit-def: $vgpr24
	s_load_dwordx2 s[12:13], s[4:5], 0x20
	s_cbranch_execnz .LBB973_124
	s_branch .LBB973_143
.LBB973_119:
	s_and_saveexec_b32 s18, s13
	s_cbranch_execz .LBB973_121
; %bb.120:
	v_and_b32_e32 v2, 0xff0000, v1
	v_mov_b32_e32 v3, 1
	v_and_b32_e32 v4, 0x10000, v1
	s_mov_b32 s31, 0
	s_add_i32 s30, s6, 32
	v_cmp_eq_u32_e32 vcc_lo, 0, v2
	v_and_b32_sdwa v3, v33, v3 dst_sel:WORD_1 dst_unused:UNUSED_PAD src0_sel:DWORD src1_sel:DWORD
	s_lshl_b64 s[30:31], s[30:31], 3
	s_add_u32 s30, s20, s30
	v_cndmask_b32_e32 v2, 0, v34, vcc_lo
	v_cmp_eq_u32_e32 vcc_lo, 0, v4
	s_addc_u32 s31, s21, s31
	v_add_nc_u16 v1, v2, v1
	v_cndmask_b32_e32 v2, 0x10000, v3, vcc_lo
	v_mov_b32_e32 v3, 0
	v_or_b32_sdwa v1, v2, v1 dst_sel:DWORD dst_unused:UNUSED_PAD src0_sel:DWORD src1_sel:WORD_0
	v_mov_b32_e32 v2, 2
	global_store_dwordx2 v3, v[1:2], s[30:31]
.LBB973_121:
	s_or_b32 exec_lo, exec_lo, s18
	s_and_b32 exec_lo, exec_lo, s12
	s_cbranch_execz .LBB973_123
; %bb.122:
	v_mov_b32_e32 v1, 0
	ds_write_b16 v1, v34
	ds_write_b8 v1, v33 offset:2
.LBB973_123:
	s_or_b32 exec_lo, exec_lo, s28
	v_mov_b32_e32 v1, 0
	v_and_b32_e32 v3, 0x10000, v18
	v_cmp_gt_u32_e32 vcc_lo, 0x10000, v18
	s_waitcnt lgkmcnt(0)
	s_waitcnt_vscnt null, 0x0
	s_barrier
	buffer_gl0_inv
	ds_read_b32 v2, v1
	v_cndmask_b32_e32 v4, 0, v24, vcc_lo
	v_cmp_ne_u32_e32 vcc_lo, 0, v3
	v_cndmask_b32_e64 v4, v4, 0, s12
	v_cndmask_b32_e64 v3, v23, 1, vcc_lo
	v_add_nc_u16 v4, v4, v18
	v_cndmask_b32_e64 v3, v3, v22, s12
	v_cmp_eq_u16_sdwa vcc_lo, v3, v1 src0_sel:BYTE_0 src1_sel:DWORD
	s_waitcnt lgkmcnt(0)
	v_cndmask_b32_e32 v1, 0, v2, vcc_lo
	v_add_nc_u16 v1, v4, v1
	v_cndmask_b32_e64 v2, 0, v1, s11
	v_and_b32_e32 v25, 0xffff, v1
	v_add_nc_u16 v3, v2, v21
	v_cndmask_b32_e64 v2, 0, v3, s10
	v_add_nc_u16 v4, v2, v20
	v_cndmask_b32_e64 v2, 0, v4, s9
	;; [unrolled: 2-line block ×8, first 2 shown]
	v_add_nc_u16 v24, v2, v10
	s_load_dwordx2 s[12:13], s[4:5], 0x20
	s_branch .LBB973_143
.LBB973_124:
	s_cmp_lg_u64 s[26:27], 0
	v_cmp_eq_u32_e32 vcc_lo, 0, v0
	s_cselect_b32 s1, -1, 0
	s_cmp_lg_u64 s[14:15], 0
	v_cmp_ne_u32_e64 s0, 0, v0
	s_cselect_b32 s2, -1, 0
	s_and_b32 s1, s1, s2
	s_and_b32 s1, vcc_lo, s1
	s_and_saveexec_b32 s2, s1
	s_cbranch_execz .LBB973_126
; %bb.125:
	v_mov_b32_e32 v1, 0
	v_mov_b32_e32 v3, 1
	v_cmp_gt_u32_e64 s1, 0x10000, v18
	v_and_b32_e32 v4, 0x10000, v18
	s_clause 0x1
	global_load_ushort v2, v1, s[14:15]
	global_load_ubyte v1, v1, s[14:15] offset:2
	s_waitcnt vmcnt(1)
	v_cndmask_b32_e64 v2, 0, v2, s1
	s_waitcnt vmcnt(0)
	v_and_b32_sdwa v1, v1, v3 dst_sel:WORD_1 dst_unused:UNUSED_PAD src0_sel:DWORD src1_sel:DWORD
	v_cmp_eq_u32_e64 s1, 0, v4
	v_add_nc_u16 v2, v2, v18
	v_cndmask_b32_e64 v1, 0x10000, v1, s1
	v_or_b32_sdwa v18, v1, v2 dst_sel:DWORD dst_unused:UNUSED_PAD src0_sel:DWORD src1_sel:WORD_0
.LBB973_126:
	s_or_b32 exec_lo, exec_lo, s2
	v_cmp_gt_u32_e64 s1, 0x10000, v21
	v_cmp_gt_u32_e64 s2, 0x10000, v20
	;; [unrolled: 1-line block ×5, first 2 shown]
	v_cndmask_b32_e64 v1, 0, v18, s1
	v_cmp_gt_u32_e64 s6, 0x10000, v15
	v_cmp_gt_u32_e64 s7, 0x10000, v14
	;; [unrolled: 1-line block ×4, first 2 shown]
	v_add_nc_u16 v3, v1, v21
	v_and_b32_e32 v11, 4, v11
	s_mov_b32 s11, exec_lo
	v_cndmask_b32_e64 v1, 0, v3, s2
	v_lshl_add_u32 v11, v0, 2, v11
	v_add_nc_u16 v4, v1, v20
	v_cndmask_b32_e64 v1, 0, v4, s3
	v_add_nc_u16 v5, v1, v19
	v_cndmask_b32_e64 v1, 0, v5, s4
	;; [unrolled: 2-line block ×5, first 2 shown]
	v_add_nc_u16 v22, v1, v14
	v_or3_b32 v1, v12, v19, v20
	v_cndmask_b32_e64 v2, 0, v22, s8
	v_or3_b32 v1, v1, v21, v10
	v_add_nc_u16 v23, v2, v13
	v_and_b32_e32 v1, 0xff0000, v1
	v_lshrrev_b32_e32 v2, 16, v18
	v_cndmask_b32_e64 v12, 0, v23, s9
	v_cmp_eq_u32_e64 s10, 0, v1
	v_add_nc_u16 v24, v12, v10
	v_cndmask_b32_e64 v1, 1, v2, s10
	ds_write_b8 v11, v1 offset:2
	ds_write_b16 v11, v24
	s_waitcnt lgkmcnt(0)
	s_barrier
	buffer_gl0_inv
	v_cmpx_gt_u32_e32 32, v0
	s_cbranch_execz .LBB973_138
; %bb.127:
	v_lshrrev_b32_e32 v2, 2, v0
	v_lshlrev_b32_e32 v11, 3, v0
	s_mov_b32 s14, exec_lo
	v_and_b32_e32 v2, 12, v2
	v_add_nc_u32_e32 v2, v2, v11
	ds_read_u8 v12, v2 offset:6
	ds_read_b32 v11, v2
	ds_read_u16 v25, v2 offset:4
	s_waitcnt lgkmcnt(2)
	v_cmp_eq_u16_e64 s10, 0, v12
	v_and_b32_e32 v27, 1, v12
	s_waitcnt lgkmcnt(1)
	v_and_b32_e32 v12, 0x10000, v11
	v_cndmask_b32_e64 v26, 0, v11, s10
	v_cmp_eq_u32_e64 s10, 1, v27
	v_mbcnt_lo_u32_b32 v27, -1, 0
	s_waitcnt lgkmcnt(0)
	v_add_nc_u16 v26, v26, v25
	v_and_b32_e32 v25, 0xff000000, v11
	v_cndmask_b32_e64 v28, v12, 0x10000, s10
	v_and_b32_e32 v29, 0xffff, v26
	v_or_b32_e32 v30, v28, v25
	v_or3_b32 v31, v25, v29, v28
	v_and_b32_e32 v28, 15, v27
	v_lshrrev_b32_e32 v29, 16, v30
	v_mov_b32_dpp v32, v31 row_shr:1 row_mask:0xf bank_mask:0xf
	v_cmpx_ne_u32_e32 0, v28
	s_cbranch_execz .LBB973_129
; %bb.128:
	v_mov_b32_e32 v29, 0xff
	v_mov_b32_e32 v31, 1
	v_and_b32_sdwa v29, v30, v29 dst_sel:DWORD dst_unused:UNUSED_PAD src0_sel:WORD_1 src1_sel:DWORD
	v_and_b32_e32 v30, 0x10000, v30
	v_and_b32_sdwa v31, v32, v31 dst_sel:DWORD dst_unused:UNUSED_PAD src0_sel:WORD_1 src1_sel:DWORD
	v_cmp_eq_u16_e64 s10, 0, v29
	v_cndmask_b32_e64 v32, 0, v32, s10
	v_cmp_ne_u32_e64 s10, 0, v30
	v_add_nc_u16 v26, v32, v26
	v_cndmask_b32_e64 v29, v31, 1, s10
	v_and_b32_e32 v31, 0xffff, v26
	v_lshlrev_b32_e32 v30, 16, v29
	v_or3_b32 v31, v30, v31, v25
.LBB973_129:
	s_or_b32 exec_lo, exec_lo, s14
	v_lshrrev_b32_e32 v30, 16, v31
	v_mov_b32_dpp v32, v31 row_shr:2 row_mask:0xf bank_mask:0xf
	s_mov_b32 s14, exec_lo
	v_cmpx_lt_u32_e32 1, v28
	s_cbranch_execz .LBB973_131
; %bb.130:
	v_mov_b32_e32 v33, 0
	v_mov_b32_e32 v29, 1
	v_and_b32_e32 v31, 0x10000, v31
	v_cmp_eq_u16_sdwa s10, v30, v33 src0_sel:BYTE_0 src1_sel:DWORD
	v_and_b32_sdwa v29, v32, v29 dst_sel:DWORD dst_unused:UNUSED_PAD src0_sel:WORD_1 src1_sel:DWORD
	v_cndmask_b32_e64 v30, 0, v32, s10
	v_cmp_ne_u32_e64 s10, 0, v31
	v_add_nc_u16 v26, v30, v26
	v_cndmask_b32_e64 v29, v29, 1, s10
	v_and_b32_e32 v31, 0xffff, v26
	v_lshlrev_b32_e32 v30, 16, v29
	v_or3_b32 v31, v30, v31, v25
	v_mov_b32_e32 v30, v29
.LBB973_131:
	s_or_b32 exec_lo, exec_lo, s14
	v_mov_b32_dpp v32, v31 row_shr:4 row_mask:0xf bank_mask:0xf
	s_mov_b32 s14, exec_lo
	v_cmpx_lt_u32_e32 3, v28
	s_cbranch_execz .LBB973_133
; %bb.132:
	v_mov_b32_e32 v31, 0
	v_mov_b32_e32 v29, 1
	v_and_b32_e32 v33, 1, v30
	v_cmp_eq_u16_sdwa s10, v30, v31 src0_sel:BYTE_0 src1_sel:DWORD
	v_and_b32_sdwa v29, v32, v29 dst_sel:DWORD dst_unused:UNUSED_PAD src0_sel:WORD_1 src1_sel:DWORD
	v_cndmask_b32_e64 v30, 0, v32, s10
	v_cmp_eq_u32_e64 s10, 1, v33
	v_add_nc_u16 v26, v30, v26
	v_cndmask_b32_e64 v29, v29, 1, s10
	v_and_b32_e32 v31, 0xffff, v26
	v_lshlrev_b32_e32 v30, 16, v29
	v_or3_b32 v31, v30, v31, v25
	v_mov_b32_e32 v30, v29
.LBB973_133:
	s_or_b32 exec_lo, exec_lo, s14
	v_mov_b32_dpp v32, v31 row_shr:8 row_mask:0xf bank_mask:0xf
	s_mov_b32 s14, exec_lo
	v_cmpx_lt_u32_e32 7, v28
	s_cbranch_execz .LBB973_135
; %bb.134:
	v_mov_b32_e32 v29, 0
	v_mov_b32_e32 v28, 1
	v_and_b32_e32 v31, 1, v30
	v_cmp_eq_u16_sdwa s10, v30, v29 src0_sel:BYTE_0 src1_sel:DWORD
	v_and_b32_sdwa v28, v32, v28 dst_sel:DWORD dst_unused:UNUSED_PAD src0_sel:WORD_1 src1_sel:DWORD
	v_cndmask_b32_e64 v30, 0, v32, s10
	v_cmp_eq_u32_e64 s10, 1, v31
	v_add_nc_u16 v26, v30, v26
	v_cndmask_b32_e64 v29, v28, 1, s10
	v_and_b32_e32 v30, 0xffff, v26
	v_lshlrev_b32_e32 v28, 16, v29
	v_or3_b32 v31, v28, v30, v25
	v_mov_b32_e32 v30, v29
.LBB973_135:
	s_or_b32 exec_lo, exec_lo, s14
	ds_swizzle_b32 v28, v31 offset:swizzle(BROADCAST,32,15)
	v_and_b32_e32 v31, 16, v27
	s_mov_b32 s14, exec_lo
	v_cmpx_ne_u32_e32 0, v31
	s_cbranch_execz .LBB973_137
; %bb.136:
	v_mov_b32_e32 v29, 0
	v_mov_b32_e32 v31, 1
	v_cmp_eq_u16_sdwa s10, v30, v29 src0_sel:BYTE_0 src1_sel:DWORD
	v_and_b32_e32 v30, 1, v30
	s_waitcnt lgkmcnt(0)
	v_cndmask_b32_e64 v29, 0, v28, s10
	v_and_b32_sdwa v28, v28, v31 dst_sel:DWORD dst_unused:UNUSED_PAD src0_sel:WORD_1 src1_sel:DWORD
	v_cmp_eq_u32_e64 s10, 1, v30
	v_add_nc_u16 v26, v29, v26
	v_cndmask_b32_e64 v29, v28, 1, s10
.LBB973_137:
	s_or_b32 exec_lo, exec_lo, s14
	s_waitcnt lgkmcnt(0)
	v_and_b32_e32 v28, 0xff, v29
	v_add_nc_u32_e32 v29, -1, v27
	v_and_b32_e32 v26, 0xffff, v26
	; wave barrier
	v_lshlrev_b32_e32 v28, 16, v28
	v_cmp_gt_i32_e64 s10, 0, v29
	v_or3_b32 v25, v28, v26, v25
	v_cndmask_b32_e64 v27, v29, v27, s10
	v_lshlrev_b32_e32 v26, 2, v27
	v_mov_b32_e32 v27, 1
	ds_bpermute_b32 v25, v26, v25
	v_and_b32_e32 v26, 0xff0000, v11
	v_cmp_eq_u32_e64 s10, 0, v26
	s_waitcnt lgkmcnt(0)
	v_cndmask_b32_e64 v26, 0, v25, s10
	v_and_b32_sdwa v25, v25, v27 dst_sel:DWORD dst_unused:UNUSED_PAD src0_sel:WORD_1 src1_sel:DWORD
	v_cmp_eq_u32_e64 s10, 0, v12
	v_add_nc_u16 v11, v26, v11
	v_cndmask_b32_e64 v12, 1, v25, s10
	v_cndmask_b32_e32 v11, v11, v24, vcc_lo
	v_cndmask_b32_e32 v1, v12, v1, vcc_lo
	ds_write_b16 v2, v11
	ds_write_b8 v2, v1 offset:2
	; wave barrier
	ds_read_u8 v12, v2 offset:6
	ds_read_u16 v25, v2 offset:4
	s_waitcnt lgkmcnt(1)
	v_cmp_eq_u16_e64 s10, 0, v12
	v_and_b32_e32 v12, 1, v12
	v_cndmask_b32_e64 v11, 0, v11, s10
	v_cmp_eq_u32_e64 s10, 1, v12
	s_waitcnt lgkmcnt(0)
	v_add_nc_u16 v11, v11, v25
	v_cndmask_b32_e64 v1, v1, 1, s10
	ds_write_b16 v2, v11 offset:4
	ds_write_b8 v2, v1 offset:6
.LBB973_138:
	s_or_b32 exec_lo, exec_lo, s11
	s_waitcnt lgkmcnt(0)
	s_barrier
	buffer_gl0_inv
	s_and_saveexec_b32 s10, s0
	s_cbranch_execz .LBB973_140
; %bb.139:
	v_add_nc_u32_e32 v1, -1, v0
	v_cmp_gt_u32_e64 s0, 0x10000, v18
	v_lshrrev_b32_e32 v2, 3, v1
	v_and_b32_e32 v2, 0x1ffffffc, v2
	v_lshl_add_u32 v1, v1, 2, v2
	ds_read_u16 v1, v1
	;;#ASMSTART
	;;#ASMEND
	s_waitcnt lgkmcnt(0)
	v_cndmask_b32_e64 v1, 0, v1, s0
	v_add_nc_u32_e32 v18, v1, v18
	v_cndmask_b32_e64 v1, 0, v18, s1
	v_add_nc_u16 v3, v1, v21
	v_cndmask_b32_e64 v1, 0, v3, s2
	v_add_nc_u16 v4, v1, v20
	;; [unrolled: 2-line block ×9, first 2 shown]
.LBB973_140:
	s_or_b32 exec_lo, exec_lo, s10
	s_and_saveexec_b32 s0, vcc_lo
	s_cbranch_execz .LBB973_142
; %bb.141:
	v_mov_b32_e32 v10, 0
	ds_read_u8 v1, v10 offset:258
	ds_read_u16 v2, v10 offset:256
	s_waitcnt lgkmcnt(1)
	v_lshlrev_b32_e32 v1, 16, v1
	s_waitcnt lgkmcnt(0)
	v_or_b32_e32 v1, v1, v2
	v_mov_b32_e32 v2, 2
	global_store_dwordx2 v10, v[1:2], s[20:21] offset:256
.LBB973_142:
	s_or_b32 exec_lo, exec_lo, s0
	v_mov_b32_e32 v25, v18
.LBB973_143:
	s_waitcnt lgkmcnt(0)
	s_add_u32 s0, s12, s24
	v_mov_b32_e32 v1, 0
	s_addc_u32 s1, s13, s25
	s_add_u32 s0, s0, s16
	s_addc_u32 s1, s1, s17
	s_and_b32 vcc_lo, exec_lo, s23
	s_cbranch_vccz .LBB973_183
; %bb.144:
	v_mul_u32_u24_e32 v2, 10, v0
	v_mov_b32_e32 v10, 0
	v_mov_b32_e32 v11, 0
	;; [unrolled: 1-line block ×4, first 2 shown]
	s_add_i32 s33, s33, s22
	s_mov_b32 s2, exec_lo
	v_cmpx_gt_u32_e64 s33, v2
	s_cbranch_execz .LBB973_164
; %bb.145:
	v_or_b32_e32 v13, 1, v2
	v_and_b32_e32 v1, 0xffff, v25
	v_mov_b32_e32 v10, 0
	v_mov_b32_e32 v11, 0
	;; [unrolled: 1-line block ×3, first 2 shown]
	v_cmp_gt_u32_e32 vcc_lo, s33, v13
	v_mov_b32_e32 v13, 0
	s_and_saveexec_b32 s3, vcc_lo
	s_cbranch_execz .LBB973_163
; %bb.146:
	v_perm_b32 v1, v3, v1, 0x5040100
	v_add_nc_u32_e32 v14, 2, v2
	v_mov_b32_e32 v13, 0
	v_mov_b32_e32 v12, 0
	;; [unrolled: 1-line block ×4, first 2 shown]
	s_mov_b32 s4, exec_lo
	v_cmpx_gt_u32_e64 s33, v14
	s_cbranch_execz .LBB973_162
; %bb.147:
	v_add_nc_u32_e32 v14, 3, v2
	v_bfi_b32 v10, 0xffff, v4, 0
	v_mov_b32_e32 v13, 0
	v_mov_b32_e32 v12, 0
	;; [unrolled: 1-line block ×3, first 2 shown]
	s_mov_b32 s5, exec_lo
	v_cmpx_gt_u32_e64 s33, v14
	s_cbranch_execz .LBB973_161
; %bb.148:
	v_add_nc_u32_e32 v14, 4, v2
	v_perm_b32 v10, v5, v10, 0x5040100
	v_mov_b32_e32 v13, 0
	v_mov_b32_e32 v12, 0
	;; [unrolled: 1-line block ×3, first 2 shown]
	s_mov_b32 s6, exec_lo
	v_cmpx_gt_u32_e64 s33, v14
	s_cbranch_execz .LBB973_160
; %bb.149:
	v_add_nc_u32_e32 v14, 5, v2
	v_bfi_b32 v11, 0xffff, v6, 0
	v_mov_b32_e32 v13, 0
	v_mov_b32_e32 v12, 0
	s_mov_b32 s7, exec_lo
	v_cmpx_gt_u32_e64 s33, v14
	s_cbranch_execz .LBB973_159
; %bb.150:
	v_add_nc_u32_e32 v14, 6, v2
	v_perm_b32 v11, v7, v11, 0x5040100
	v_mov_b32_e32 v13, 0
	v_mov_b32_e32 v12, 0
	s_mov_b32 s8, exec_lo
	v_cmpx_gt_u32_e64 s33, v14
	s_cbranch_execz .LBB973_158
; %bb.151:
	v_add_nc_u32_e32 v14, 7, v2
	v_bfi_b32 v12, 0xffff, v8, 0
	v_mov_b32_e32 v13, 0
	s_mov_b32 s9, exec_lo
	v_cmpx_gt_u32_e64 s33, v14
	s_cbranch_execz .LBB973_157
; %bb.152:
	v_add_nc_u32_e32 v14, 8, v2
	v_perm_b32 v12, v22, v12, 0x5040100
	v_mov_b32_e32 v13, 0
	s_mov_b32 s10, exec_lo
	v_cmpx_gt_u32_e64 s33, v14
	s_cbranch_execz .LBB973_156
; %bb.153:
	v_add_nc_u32_e32 v14, 9, v2
	v_bfi_b32 v13, 0xffff, v23, 0
	s_mov_b32 s11, exec_lo
	v_cmpx_gt_u32_e64 s33, v14
; %bb.154:
	v_perm_b32 v13, v24, v13, 0x5040100
; %bb.155:
	s_or_b32 exec_lo, exec_lo, s11
.LBB973_156:
	s_or_b32 exec_lo, exec_lo, s10
.LBB973_157:
	s_or_b32 exec_lo, exec_lo, s9
.LBB973_158:
	s_or_b32 exec_lo, exec_lo, s8
.LBB973_159:
	s_or_b32 exec_lo, exec_lo, s7
.LBB973_160:
	s_or_b32 exec_lo, exec_lo, s6
.LBB973_161:
	s_or_b32 exec_lo, exec_lo, s5
.LBB973_162:
	s_or_b32 exec_lo, exec_lo, s4
.LBB973_163:
	s_or_b32 exec_lo, exec_lo, s3
.LBB973_164:
	s_or_b32 exec_lo, exec_lo, s2
	v_lshlrev_b32_e32 v18, 1, v2
	s_waitcnt_vscnt null, 0x0
	s_barrier
	buffer_gl0_inv
	ds_write2_b32 v18, v1, v10 offset1:1
	ds_write2_b32 v18, v11, v12 offset0:2 offset1:3
	v_mad_i32_i24 v1, 0xffffffee, v0, v18
	ds_write_b32 v18, v13 offset:16
	s_waitcnt lgkmcnt(0)
	s_barrier
	buffer_gl0_inv
	ds_read_u16 v19, v1 offset:128
	ds_read_u16 v17, v1 offset:256
	;; [unrolled: 1-line block ×9, first 2 shown]
	v_add_co_u32 v1, s2, s0, v9
	v_add_co_ci_u32_e64 v2, null, s1, 0, s2
	s_mov_b32 s2, exec_lo
	v_cmpx_gt_u32_e64 s33, v0
	s_cbranch_execz .LBB973_166
; %bb.165:
	v_mul_i32_i24_e32 v20, 0xffffffee, v0
	v_add_nc_u32_e32 v18, v18, v20
	ds_read_u16 v18, v18
	s_waitcnt lgkmcnt(0)
	flat_store_short v[1:2], v18
.LBB973_166:
	s_or_b32 exec_lo, exec_lo, s2
	v_or_b32_e32 v18, 64, v0
	s_mov_b32 s2, exec_lo
	v_cmpx_gt_u32_e64 s33, v18
	s_cbranch_execz .LBB973_168
; %bb.167:
	s_waitcnt lgkmcnt(8)
	flat_store_short v[1:2], v19 offset:128
.LBB973_168:
	s_or_b32 exec_lo, exec_lo, s2
	v_or_b32_e32 v18, 0x80, v0
	s_mov_b32 s2, exec_lo
	v_cmpx_gt_u32_e64 s33, v18
	s_cbranch_execz .LBB973_170
; %bb.169:
	s_waitcnt lgkmcnt(7)
	flat_store_short v[1:2], v17 offset:256
.LBB973_170:
	s_or_b32 exec_lo, exec_lo, s2
	s_waitcnt lgkmcnt(7)
	v_or_b32_e32 v17, 0xc0, v0
	s_mov_b32 s2, exec_lo
	v_cmpx_gt_u32_e64 s33, v17
	s_cbranch_execz .LBB973_172
; %bb.171:
	s_waitcnt lgkmcnt(6)
	flat_store_short v[1:2], v16 offset:384
.LBB973_172:
	s_or_b32 exec_lo, exec_lo, s2
	s_waitcnt lgkmcnt(6)
	;; [unrolled: 10-line block ×6, first 2 shown]
	v_or_b32_e32 v12, 0x200, v0
	s_mov_b32 s2, exec_lo
	v_cmpx_gt_u32_e64 s33, v12
	s_cbranch_execz .LBB973_182
; %bb.181:
	s_waitcnt lgkmcnt(1)
	flat_store_short v[1:2], v11 offset:1024
.LBB973_182:
	s_or_b32 exec_lo, exec_lo, s2
	v_or_b32_e32 v1, 0x240, v0
	v_cmp_gt_u32_e64 s2, s33, v1
	s_branch .LBB973_185
.LBB973_183:
	s_mov_b32 s2, 0
                                        ; implicit-def: $vgpr10
	s_cbranch_execz .LBB973_185
; %bb.184:
	v_mul_u32_u24_e32 v1, 20, v0
	v_perm_b32 v2, v5, v4, 0x5040100
	v_perm_b32 v3, v3, v25, 0x5040100
	;; [unrolled: 1-line block ×3, first 2 shown]
	v_mul_i32_i24_e32 v6, 0xffffffee, v0
	v_perm_b32 v4, v22, v8, 0x5040100
	s_waitcnt lgkmcnt(0)
	s_waitcnt_vscnt null, 0x0
	s_barrier
	v_perm_b32 v7, v24, v23, 0x5040100
	buffer_gl0_inv
	ds_write2_b32 v1, v3, v2 offset1:1
	ds_write2_b32 v1, v5, v4 offset0:2 offset1:3
	v_mad_u32_u24 v2, v0, 20, v6
	s_or_b32 s2, s2, exec_lo
	ds_write_b32 v1, v7 offset:16
	s_waitcnt lgkmcnt(0)
	s_barrier
	buffer_gl0_inv
	ds_read_u16 v3, v2
	ds_read_u16 v4, v2 offset:128
	ds_read_u16 v5, v2 offset:256
	;; [unrolled: 1-line block ×9, first 2 shown]
	v_add_co_u32 v1, s3, s0, v9
	v_add_co_ci_u32_e64 v2, null, s1, 0, s3
	s_waitcnt lgkmcnt(9)
	flat_store_short v[1:2], v3
	s_waitcnt lgkmcnt(9)
	flat_store_short v[1:2], v4 offset:128
	s_waitcnt lgkmcnt(9)
	flat_store_short v[1:2], v5 offset:256
	;; [unrolled: 2-line block ×8, first 2 shown]
.LBB973_185:
	s_and_saveexec_b32 s3, s2
	s_cbranch_execnz .LBB973_187
; %bb.186:
	s_endpgm
.LBB973_187:
	v_lshlrev_b32_e32 v0, 1, v0
	v_add_co_u32 v0, s0, s0, v0
	v_add_co_ci_u32_e64 v1, null, s1, 0, s0
	s_waitcnt lgkmcnt(0)
	flat_store_short v[0:1], v10 offset:1152
	s_endpgm
.LBB973_188:
	global_load_ushort v2, v14, s[28:29]
	v_mov_b32_e32 v3, v1
	v_mov_b32_e32 v4, v1
	v_mov_b32_e32 v5, v1
	v_mov_b32_e32 v6, v1
	s_waitcnt vmcnt(0)
	v_sub_nc_u16 v2, 0, v2
	v_and_b32_e32 v2, 0xffff, v2
	v_mov_b32_e32 v1, v2
	v_mov_b32_e32 v2, v3
	;; [unrolled: 1-line block ×8, first 2 shown]
	s_or_b32 exec_lo, exec_lo, s36
	s_and_saveexec_b32 s12, s11
	s_cbranch_execz .LBB973_29
.LBB973_189:
	global_load_ushort v6, v14, s[28:29] offset:128
	s_waitcnt vmcnt(0)
	v_sub_nc_u16 v6, 0, v6
	v_perm_b32 v1, v6, v1, 0x5040100
	s_or_b32 exec_lo, exec_lo, s12
	s_and_saveexec_b32 s11, s10
	s_cbranch_execz .LBB973_30
.LBB973_190:
	global_load_ushort v6, v14, s[28:29] offset:256
	s_waitcnt vmcnt(0)
	v_sub_nc_u16 v6, 0, v6
	v_bfi_b32 v2, 0xffff, v6, v2
	s_or_b32 exec_lo, exec_lo, s11
	s_and_saveexec_b32 s10, s9
	s_cbranch_execz .LBB973_31
.LBB973_191:
	global_load_ushort v6, v14, s[28:29] offset:384
	s_waitcnt vmcnt(0)
	v_sub_nc_u16 v6, 0, v6
	v_perm_b32 v2, v6, v2, 0x5040100
	s_or_b32 exec_lo, exec_lo, s10
	s_and_saveexec_b32 s9, s8
	s_cbranch_execz .LBB973_32
.LBB973_192:
	global_load_ushort v6, v14, s[28:29] offset:512
	s_waitcnt vmcnt(0)
	v_sub_nc_u16 v6, 0, v6
	v_bfi_b32 v3, 0xffff, v6, v3
	s_or_b32 exec_lo, exec_lo, s9
	s_and_saveexec_b32 s8, s7
	s_cbranch_execz .LBB973_33
.LBB973_193:
	global_load_ushort v6, v14, s[28:29] offset:640
	s_waitcnt vmcnt(0)
	v_sub_nc_u16 v6, 0, v6
	v_perm_b32 v3, v6, v3, 0x5040100
	s_or_b32 exec_lo, exec_lo, s8
	s_and_saveexec_b32 s7, s3
	s_cbranch_execz .LBB973_34
.LBB973_194:
	global_load_ushort v6, v14, s[28:29] offset:768
	s_waitcnt vmcnt(0)
	v_sub_nc_u16 v6, 0, v6
	v_bfi_b32 v4, 0xffff, v6, v4
	s_or_b32 exec_lo, exec_lo, s7
	s_and_saveexec_b32 s3, s2
	s_cbranch_execz .LBB973_35
.LBB973_195:
	global_load_ushort v6, v14, s[28:29] offset:896
	s_waitcnt vmcnt(0)
	v_sub_nc_u16 v6, 0, v6
	v_perm_b32 v4, v6, v4, 0x5040100
	s_or_b32 exec_lo, exec_lo, s3
	s_and_saveexec_b32 s2, s1
	s_cbranch_execz .LBB973_36
.LBB973_196:
	global_load_ushort v6, v14, s[28:29] offset:1024
	s_waitcnt vmcnt(0)
	v_sub_nc_u16 v6, 0, v6
	v_bfi_b32 v5, 0xffff, v6, v5
	s_or_b32 exec_lo, exec_lo, s2
	s_and_saveexec_b32 s1, s0
	s_cbranch_execnz .LBB973_37
	s_branch .LBB973_38
.LBB973_197:
                                        ; implicit-def: $sgpr36_sgpr37
	s_branch .LBB973_24
.LBB973_198:
                                        ; implicit-def: $sgpr0_sgpr1
	s_branch .LBB973_61
	.section	.rodata,"a",@progbits
	.p2align	6, 0x0
	.amdhsa_kernel _ZN7rocprim17ROCPRIM_400000_NS6detail17trampoline_kernelINS0_14default_configENS1_27scan_by_key_config_selectorIssEEZZNS1_16scan_by_key_implILNS1_25lookback_scan_determinismE0ELb0ES3_N6thrust23THRUST_200600_302600_NS6detail15normal_iteratorINS9_10device_ptrIsEEEENS9_18transform_iteratorINS9_6negateIsEESE_NS9_11use_defaultESI_EESE_sNS9_4plusIvEENS9_8equal_toIvEEsEE10hipError_tPvRmT2_T3_T4_T5_mT6_T7_P12ihipStream_tbENKUlT_T0_E_clISt17integral_constantIbLb0EES14_EEDaSZ_S10_EUlSZ_E_NS1_11comp_targetILNS1_3genE8ELNS1_11target_archE1030ELNS1_3gpuE2ELNS1_3repE0EEENS1_30default_config_static_selectorELNS0_4arch9wavefront6targetE0EEEvT1_
		.amdhsa_group_segment_fixed_size 1536
		.amdhsa_private_segment_fixed_size 0
		.amdhsa_kernarg_size 120
		.amdhsa_user_sgpr_count 6
		.amdhsa_user_sgpr_private_segment_buffer 1
		.amdhsa_user_sgpr_dispatch_ptr 0
		.amdhsa_user_sgpr_queue_ptr 0
		.amdhsa_user_sgpr_kernarg_segment_ptr 1
		.amdhsa_user_sgpr_dispatch_id 0
		.amdhsa_user_sgpr_flat_scratch_init 0
		.amdhsa_user_sgpr_private_segment_size 0
		.amdhsa_wavefront_size32 1
		.amdhsa_uses_dynamic_stack 0
		.amdhsa_system_sgpr_private_segment_wavefront_offset 0
		.amdhsa_system_sgpr_workgroup_id_x 1
		.amdhsa_system_sgpr_workgroup_id_y 0
		.amdhsa_system_sgpr_workgroup_id_z 0
		.amdhsa_system_sgpr_workgroup_info 0
		.amdhsa_system_vgpr_workitem_id 0
		.amdhsa_next_free_vgpr 42
		.amdhsa_next_free_sgpr 39
		.amdhsa_reserve_vcc 1
		.amdhsa_reserve_flat_scratch 1
		.amdhsa_float_round_mode_32 0
		.amdhsa_float_round_mode_16_64 0
		.amdhsa_float_denorm_mode_32 3
		.amdhsa_float_denorm_mode_16_64 3
		.amdhsa_dx10_clamp 1
		.amdhsa_ieee_mode 1
		.amdhsa_fp16_overflow 0
		.amdhsa_workgroup_processor_mode 1
		.amdhsa_memory_ordered 1
		.amdhsa_forward_progress 1
		.amdhsa_shared_vgpr_count 0
		.amdhsa_exception_fp_ieee_invalid_op 0
		.amdhsa_exception_fp_denorm_src 0
		.amdhsa_exception_fp_ieee_div_zero 0
		.amdhsa_exception_fp_ieee_overflow 0
		.amdhsa_exception_fp_ieee_underflow 0
		.amdhsa_exception_fp_ieee_inexact 0
		.amdhsa_exception_int_div_zero 0
	.end_amdhsa_kernel
	.section	.text._ZN7rocprim17ROCPRIM_400000_NS6detail17trampoline_kernelINS0_14default_configENS1_27scan_by_key_config_selectorIssEEZZNS1_16scan_by_key_implILNS1_25lookback_scan_determinismE0ELb0ES3_N6thrust23THRUST_200600_302600_NS6detail15normal_iteratorINS9_10device_ptrIsEEEENS9_18transform_iteratorINS9_6negateIsEESE_NS9_11use_defaultESI_EESE_sNS9_4plusIvEENS9_8equal_toIvEEsEE10hipError_tPvRmT2_T3_T4_T5_mT6_T7_P12ihipStream_tbENKUlT_T0_E_clISt17integral_constantIbLb0EES14_EEDaSZ_S10_EUlSZ_E_NS1_11comp_targetILNS1_3genE8ELNS1_11target_archE1030ELNS1_3gpuE2ELNS1_3repE0EEENS1_30default_config_static_selectorELNS0_4arch9wavefront6targetE0EEEvT1_,"axG",@progbits,_ZN7rocprim17ROCPRIM_400000_NS6detail17trampoline_kernelINS0_14default_configENS1_27scan_by_key_config_selectorIssEEZZNS1_16scan_by_key_implILNS1_25lookback_scan_determinismE0ELb0ES3_N6thrust23THRUST_200600_302600_NS6detail15normal_iteratorINS9_10device_ptrIsEEEENS9_18transform_iteratorINS9_6negateIsEESE_NS9_11use_defaultESI_EESE_sNS9_4plusIvEENS9_8equal_toIvEEsEE10hipError_tPvRmT2_T3_T4_T5_mT6_T7_P12ihipStream_tbENKUlT_T0_E_clISt17integral_constantIbLb0EES14_EEDaSZ_S10_EUlSZ_E_NS1_11comp_targetILNS1_3genE8ELNS1_11target_archE1030ELNS1_3gpuE2ELNS1_3repE0EEENS1_30default_config_static_selectorELNS0_4arch9wavefront6targetE0EEEvT1_,comdat
.Lfunc_end973:
	.size	_ZN7rocprim17ROCPRIM_400000_NS6detail17trampoline_kernelINS0_14default_configENS1_27scan_by_key_config_selectorIssEEZZNS1_16scan_by_key_implILNS1_25lookback_scan_determinismE0ELb0ES3_N6thrust23THRUST_200600_302600_NS6detail15normal_iteratorINS9_10device_ptrIsEEEENS9_18transform_iteratorINS9_6negateIsEESE_NS9_11use_defaultESI_EESE_sNS9_4plusIvEENS9_8equal_toIvEEsEE10hipError_tPvRmT2_T3_T4_T5_mT6_T7_P12ihipStream_tbENKUlT_T0_E_clISt17integral_constantIbLb0EES14_EEDaSZ_S10_EUlSZ_E_NS1_11comp_targetILNS1_3genE8ELNS1_11target_archE1030ELNS1_3gpuE2ELNS1_3repE0EEENS1_30default_config_static_selectorELNS0_4arch9wavefront6targetE0EEEvT1_, .Lfunc_end973-_ZN7rocprim17ROCPRIM_400000_NS6detail17trampoline_kernelINS0_14default_configENS1_27scan_by_key_config_selectorIssEEZZNS1_16scan_by_key_implILNS1_25lookback_scan_determinismE0ELb0ES3_N6thrust23THRUST_200600_302600_NS6detail15normal_iteratorINS9_10device_ptrIsEEEENS9_18transform_iteratorINS9_6negateIsEESE_NS9_11use_defaultESI_EESE_sNS9_4plusIvEENS9_8equal_toIvEEsEE10hipError_tPvRmT2_T3_T4_T5_mT6_T7_P12ihipStream_tbENKUlT_T0_E_clISt17integral_constantIbLb0EES14_EEDaSZ_S10_EUlSZ_E_NS1_11comp_targetILNS1_3genE8ELNS1_11target_archE1030ELNS1_3gpuE2ELNS1_3repE0EEENS1_30default_config_static_selectorELNS0_4arch9wavefront6targetE0EEEvT1_
                                        ; -- End function
	.set _ZN7rocprim17ROCPRIM_400000_NS6detail17trampoline_kernelINS0_14default_configENS1_27scan_by_key_config_selectorIssEEZZNS1_16scan_by_key_implILNS1_25lookback_scan_determinismE0ELb0ES3_N6thrust23THRUST_200600_302600_NS6detail15normal_iteratorINS9_10device_ptrIsEEEENS9_18transform_iteratorINS9_6negateIsEESE_NS9_11use_defaultESI_EESE_sNS9_4plusIvEENS9_8equal_toIvEEsEE10hipError_tPvRmT2_T3_T4_T5_mT6_T7_P12ihipStream_tbENKUlT_T0_E_clISt17integral_constantIbLb0EES14_EEDaSZ_S10_EUlSZ_E_NS1_11comp_targetILNS1_3genE8ELNS1_11target_archE1030ELNS1_3gpuE2ELNS1_3repE0EEENS1_30default_config_static_selectorELNS0_4arch9wavefront6targetE0EEEvT1_.num_vgpr, 42
	.set _ZN7rocprim17ROCPRIM_400000_NS6detail17trampoline_kernelINS0_14default_configENS1_27scan_by_key_config_selectorIssEEZZNS1_16scan_by_key_implILNS1_25lookback_scan_determinismE0ELb0ES3_N6thrust23THRUST_200600_302600_NS6detail15normal_iteratorINS9_10device_ptrIsEEEENS9_18transform_iteratorINS9_6negateIsEESE_NS9_11use_defaultESI_EESE_sNS9_4plusIvEENS9_8equal_toIvEEsEE10hipError_tPvRmT2_T3_T4_T5_mT6_T7_P12ihipStream_tbENKUlT_T0_E_clISt17integral_constantIbLb0EES14_EEDaSZ_S10_EUlSZ_E_NS1_11comp_targetILNS1_3genE8ELNS1_11target_archE1030ELNS1_3gpuE2ELNS1_3repE0EEENS1_30default_config_static_selectorELNS0_4arch9wavefront6targetE0EEEvT1_.num_agpr, 0
	.set _ZN7rocprim17ROCPRIM_400000_NS6detail17trampoline_kernelINS0_14default_configENS1_27scan_by_key_config_selectorIssEEZZNS1_16scan_by_key_implILNS1_25lookback_scan_determinismE0ELb0ES3_N6thrust23THRUST_200600_302600_NS6detail15normal_iteratorINS9_10device_ptrIsEEEENS9_18transform_iteratorINS9_6negateIsEESE_NS9_11use_defaultESI_EESE_sNS9_4plusIvEENS9_8equal_toIvEEsEE10hipError_tPvRmT2_T3_T4_T5_mT6_T7_P12ihipStream_tbENKUlT_T0_E_clISt17integral_constantIbLb0EES14_EEDaSZ_S10_EUlSZ_E_NS1_11comp_targetILNS1_3genE8ELNS1_11target_archE1030ELNS1_3gpuE2ELNS1_3repE0EEENS1_30default_config_static_selectorELNS0_4arch9wavefront6targetE0EEEvT1_.numbered_sgpr, 39
	.set _ZN7rocprim17ROCPRIM_400000_NS6detail17trampoline_kernelINS0_14default_configENS1_27scan_by_key_config_selectorIssEEZZNS1_16scan_by_key_implILNS1_25lookback_scan_determinismE0ELb0ES3_N6thrust23THRUST_200600_302600_NS6detail15normal_iteratorINS9_10device_ptrIsEEEENS9_18transform_iteratorINS9_6negateIsEESE_NS9_11use_defaultESI_EESE_sNS9_4plusIvEENS9_8equal_toIvEEsEE10hipError_tPvRmT2_T3_T4_T5_mT6_T7_P12ihipStream_tbENKUlT_T0_E_clISt17integral_constantIbLb0EES14_EEDaSZ_S10_EUlSZ_E_NS1_11comp_targetILNS1_3genE8ELNS1_11target_archE1030ELNS1_3gpuE2ELNS1_3repE0EEENS1_30default_config_static_selectorELNS0_4arch9wavefront6targetE0EEEvT1_.num_named_barrier, 0
	.set _ZN7rocprim17ROCPRIM_400000_NS6detail17trampoline_kernelINS0_14default_configENS1_27scan_by_key_config_selectorIssEEZZNS1_16scan_by_key_implILNS1_25lookback_scan_determinismE0ELb0ES3_N6thrust23THRUST_200600_302600_NS6detail15normal_iteratorINS9_10device_ptrIsEEEENS9_18transform_iteratorINS9_6negateIsEESE_NS9_11use_defaultESI_EESE_sNS9_4plusIvEENS9_8equal_toIvEEsEE10hipError_tPvRmT2_T3_T4_T5_mT6_T7_P12ihipStream_tbENKUlT_T0_E_clISt17integral_constantIbLb0EES14_EEDaSZ_S10_EUlSZ_E_NS1_11comp_targetILNS1_3genE8ELNS1_11target_archE1030ELNS1_3gpuE2ELNS1_3repE0EEENS1_30default_config_static_selectorELNS0_4arch9wavefront6targetE0EEEvT1_.private_seg_size, 0
	.set _ZN7rocprim17ROCPRIM_400000_NS6detail17trampoline_kernelINS0_14default_configENS1_27scan_by_key_config_selectorIssEEZZNS1_16scan_by_key_implILNS1_25lookback_scan_determinismE0ELb0ES3_N6thrust23THRUST_200600_302600_NS6detail15normal_iteratorINS9_10device_ptrIsEEEENS9_18transform_iteratorINS9_6negateIsEESE_NS9_11use_defaultESI_EESE_sNS9_4plusIvEENS9_8equal_toIvEEsEE10hipError_tPvRmT2_T3_T4_T5_mT6_T7_P12ihipStream_tbENKUlT_T0_E_clISt17integral_constantIbLb0EES14_EEDaSZ_S10_EUlSZ_E_NS1_11comp_targetILNS1_3genE8ELNS1_11target_archE1030ELNS1_3gpuE2ELNS1_3repE0EEENS1_30default_config_static_selectorELNS0_4arch9wavefront6targetE0EEEvT1_.uses_vcc, 1
	.set _ZN7rocprim17ROCPRIM_400000_NS6detail17trampoline_kernelINS0_14default_configENS1_27scan_by_key_config_selectorIssEEZZNS1_16scan_by_key_implILNS1_25lookback_scan_determinismE0ELb0ES3_N6thrust23THRUST_200600_302600_NS6detail15normal_iteratorINS9_10device_ptrIsEEEENS9_18transform_iteratorINS9_6negateIsEESE_NS9_11use_defaultESI_EESE_sNS9_4plusIvEENS9_8equal_toIvEEsEE10hipError_tPvRmT2_T3_T4_T5_mT6_T7_P12ihipStream_tbENKUlT_T0_E_clISt17integral_constantIbLb0EES14_EEDaSZ_S10_EUlSZ_E_NS1_11comp_targetILNS1_3genE8ELNS1_11target_archE1030ELNS1_3gpuE2ELNS1_3repE0EEENS1_30default_config_static_selectorELNS0_4arch9wavefront6targetE0EEEvT1_.uses_flat_scratch, 1
	.set _ZN7rocprim17ROCPRIM_400000_NS6detail17trampoline_kernelINS0_14default_configENS1_27scan_by_key_config_selectorIssEEZZNS1_16scan_by_key_implILNS1_25lookback_scan_determinismE0ELb0ES3_N6thrust23THRUST_200600_302600_NS6detail15normal_iteratorINS9_10device_ptrIsEEEENS9_18transform_iteratorINS9_6negateIsEESE_NS9_11use_defaultESI_EESE_sNS9_4plusIvEENS9_8equal_toIvEEsEE10hipError_tPvRmT2_T3_T4_T5_mT6_T7_P12ihipStream_tbENKUlT_T0_E_clISt17integral_constantIbLb0EES14_EEDaSZ_S10_EUlSZ_E_NS1_11comp_targetILNS1_3genE8ELNS1_11target_archE1030ELNS1_3gpuE2ELNS1_3repE0EEENS1_30default_config_static_selectorELNS0_4arch9wavefront6targetE0EEEvT1_.has_dyn_sized_stack, 0
	.set _ZN7rocprim17ROCPRIM_400000_NS6detail17trampoline_kernelINS0_14default_configENS1_27scan_by_key_config_selectorIssEEZZNS1_16scan_by_key_implILNS1_25lookback_scan_determinismE0ELb0ES3_N6thrust23THRUST_200600_302600_NS6detail15normal_iteratorINS9_10device_ptrIsEEEENS9_18transform_iteratorINS9_6negateIsEESE_NS9_11use_defaultESI_EESE_sNS9_4plusIvEENS9_8equal_toIvEEsEE10hipError_tPvRmT2_T3_T4_T5_mT6_T7_P12ihipStream_tbENKUlT_T0_E_clISt17integral_constantIbLb0EES14_EEDaSZ_S10_EUlSZ_E_NS1_11comp_targetILNS1_3genE8ELNS1_11target_archE1030ELNS1_3gpuE2ELNS1_3repE0EEENS1_30default_config_static_selectorELNS0_4arch9wavefront6targetE0EEEvT1_.has_recursion, 0
	.set _ZN7rocprim17ROCPRIM_400000_NS6detail17trampoline_kernelINS0_14default_configENS1_27scan_by_key_config_selectorIssEEZZNS1_16scan_by_key_implILNS1_25lookback_scan_determinismE0ELb0ES3_N6thrust23THRUST_200600_302600_NS6detail15normal_iteratorINS9_10device_ptrIsEEEENS9_18transform_iteratorINS9_6negateIsEESE_NS9_11use_defaultESI_EESE_sNS9_4plusIvEENS9_8equal_toIvEEsEE10hipError_tPvRmT2_T3_T4_T5_mT6_T7_P12ihipStream_tbENKUlT_T0_E_clISt17integral_constantIbLb0EES14_EEDaSZ_S10_EUlSZ_E_NS1_11comp_targetILNS1_3genE8ELNS1_11target_archE1030ELNS1_3gpuE2ELNS1_3repE0EEENS1_30default_config_static_selectorELNS0_4arch9wavefront6targetE0EEEvT1_.has_indirect_call, 0
	.section	.AMDGPU.csdata,"",@progbits
; Kernel info:
; codeLenInByte = 10476
; TotalNumSgprs: 41
; NumVgprs: 42
; ScratchSize: 0
; MemoryBound: 0
; FloatMode: 240
; IeeeMode: 1
; LDSByteSize: 1536 bytes/workgroup (compile time only)
; SGPRBlocks: 0
; VGPRBlocks: 5
; NumSGPRsForWavesPerEU: 41
; NumVGPRsForWavesPerEU: 42
; Occupancy: 16
; WaveLimiterHint : 1
; COMPUTE_PGM_RSRC2:SCRATCH_EN: 0
; COMPUTE_PGM_RSRC2:USER_SGPR: 6
; COMPUTE_PGM_RSRC2:TRAP_HANDLER: 0
; COMPUTE_PGM_RSRC2:TGID_X_EN: 1
; COMPUTE_PGM_RSRC2:TGID_Y_EN: 0
; COMPUTE_PGM_RSRC2:TGID_Z_EN: 0
; COMPUTE_PGM_RSRC2:TIDIG_COMP_CNT: 0
	.section	.text._ZN7rocprim17ROCPRIM_400000_NS6detail17trampoline_kernelINS0_14default_configENS1_27scan_by_key_config_selectorIssEEZZNS1_16scan_by_key_implILNS1_25lookback_scan_determinismE0ELb0ES3_N6thrust23THRUST_200600_302600_NS6detail15normal_iteratorINS9_10device_ptrIsEEEENS9_18transform_iteratorINS9_6negateIsEESE_NS9_11use_defaultESI_EESE_sNS9_4plusIvEENS9_8equal_toIvEEsEE10hipError_tPvRmT2_T3_T4_T5_mT6_T7_P12ihipStream_tbENKUlT_T0_E_clISt17integral_constantIbLb1EES14_EEDaSZ_S10_EUlSZ_E_NS1_11comp_targetILNS1_3genE0ELNS1_11target_archE4294967295ELNS1_3gpuE0ELNS1_3repE0EEENS1_30default_config_static_selectorELNS0_4arch9wavefront6targetE0EEEvT1_,"axG",@progbits,_ZN7rocprim17ROCPRIM_400000_NS6detail17trampoline_kernelINS0_14default_configENS1_27scan_by_key_config_selectorIssEEZZNS1_16scan_by_key_implILNS1_25lookback_scan_determinismE0ELb0ES3_N6thrust23THRUST_200600_302600_NS6detail15normal_iteratorINS9_10device_ptrIsEEEENS9_18transform_iteratorINS9_6negateIsEESE_NS9_11use_defaultESI_EESE_sNS9_4plusIvEENS9_8equal_toIvEEsEE10hipError_tPvRmT2_T3_T4_T5_mT6_T7_P12ihipStream_tbENKUlT_T0_E_clISt17integral_constantIbLb1EES14_EEDaSZ_S10_EUlSZ_E_NS1_11comp_targetILNS1_3genE0ELNS1_11target_archE4294967295ELNS1_3gpuE0ELNS1_3repE0EEENS1_30default_config_static_selectorELNS0_4arch9wavefront6targetE0EEEvT1_,comdat
	.protected	_ZN7rocprim17ROCPRIM_400000_NS6detail17trampoline_kernelINS0_14default_configENS1_27scan_by_key_config_selectorIssEEZZNS1_16scan_by_key_implILNS1_25lookback_scan_determinismE0ELb0ES3_N6thrust23THRUST_200600_302600_NS6detail15normal_iteratorINS9_10device_ptrIsEEEENS9_18transform_iteratorINS9_6negateIsEESE_NS9_11use_defaultESI_EESE_sNS9_4plusIvEENS9_8equal_toIvEEsEE10hipError_tPvRmT2_T3_T4_T5_mT6_T7_P12ihipStream_tbENKUlT_T0_E_clISt17integral_constantIbLb1EES14_EEDaSZ_S10_EUlSZ_E_NS1_11comp_targetILNS1_3genE0ELNS1_11target_archE4294967295ELNS1_3gpuE0ELNS1_3repE0EEENS1_30default_config_static_selectorELNS0_4arch9wavefront6targetE0EEEvT1_ ; -- Begin function _ZN7rocprim17ROCPRIM_400000_NS6detail17trampoline_kernelINS0_14default_configENS1_27scan_by_key_config_selectorIssEEZZNS1_16scan_by_key_implILNS1_25lookback_scan_determinismE0ELb0ES3_N6thrust23THRUST_200600_302600_NS6detail15normal_iteratorINS9_10device_ptrIsEEEENS9_18transform_iteratorINS9_6negateIsEESE_NS9_11use_defaultESI_EESE_sNS9_4plusIvEENS9_8equal_toIvEEsEE10hipError_tPvRmT2_T3_T4_T5_mT6_T7_P12ihipStream_tbENKUlT_T0_E_clISt17integral_constantIbLb1EES14_EEDaSZ_S10_EUlSZ_E_NS1_11comp_targetILNS1_3genE0ELNS1_11target_archE4294967295ELNS1_3gpuE0ELNS1_3repE0EEENS1_30default_config_static_selectorELNS0_4arch9wavefront6targetE0EEEvT1_
	.globl	_ZN7rocprim17ROCPRIM_400000_NS6detail17trampoline_kernelINS0_14default_configENS1_27scan_by_key_config_selectorIssEEZZNS1_16scan_by_key_implILNS1_25lookback_scan_determinismE0ELb0ES3_N6thrust23THRUST_200600_302600_NS6detail15normal_iteratorINS9_10device_ptrIsEEEENS9_18transform_iteratorINS9_6negateIsEESE_NS9_11use_defaultESI_EESE_sNS9_4plusIvEENS9_8equal_toIvEEsEE10hipError_tPvRmT2_T3_T4_T5_mT6_T7_P12ihipStream_tbENKUlT_T0_E_clISt17integral_constantIbLb1EES14_EEDaSZ_S10_EUlSZ_E_NS1_11comp_targetILNS1_3genE0ELNS1_11target_archE4294967295ELNS1_3gpuE0ELNS1_3repE0EEENS1_30default_config_static_selectorELNS0_4arch9wavefront6targetE0EEEvT1_
	.p2align	8
	.type	_ZN7rocprim17ROCPRIM_400000_NS6detail17trampoline_kernelINS0_14default_configENS1_27scan_by_key_config_selectorIssEEZZNS1_16scan_by_key_implILNS1_25lookback_scan_determinismE0ELb0ES3_N6thrust23THRUST_200600_302600_NS6detail15normal_iteratorINS9_10device_ptrIsEEEENS9_18transform_iteratorINS9_6negateIsEESE_NS9_11use_defaultESI_EESE_sNS9_4plusIvEENS9_8equal_toIvEEsEE10hipError_tPvRmT2_T3_T4_T5_mT6_T7_P12ihipStream_tbENKUlT_T0_E_clISt17integral_constantIbLb1EES14_EEDaSZ_S10_EUlSZ_E_NS1_11comp_targetILNS1_3genE0ELNS1_11target_archE4294967295ELNS1_3gpuE0ELNS1_3repE0EEENS1_30default_config_static_selectorELNS0_4arch9wavefront6targetE0EEEvT1_,@function
_ZN7rocprim17ROCPRIM_400000_NS6detail17trampoline_kernelINS0_14default_configENS1_27scan_by_key_config_selectorIssEEZZNS1_16scan_by_key_implILNS1_25lookback_scan_determinismE0ELb0ES3_N6thrust23THRUST_200600_302600_NS6detail15normal_iteratorINS9_10device_ptrIsEEEENS9_18transform_iteratorINS9_6negateIsEESE_NS9_11use_defaultESI_EESE_sNS9_4plusIvEENS9_8equal_toIvEEsEE10hipError_tPvRmT2_T3_T4_T5_mT6_T7_P12ihipStream_tbENKUlT_T0_E_clISt17integral_constantIbLb1EES14_EEDaSZ_S10_EUlSZ_E_NS1_11comp_targetILNS1_3genE0ELNS1_11target_archE4294967295ELNS1_3gpuE0ELNS1_3repE0EEENS1_30default_config_static_selectorELNS0_4arch9wavefront6targetE0EEEvT1_: ; @_ZN7rocprim17ROCPRIM_400000_NS6detail17trampoline_kernelINS0_14default_configENS1_27scan_by_key_config_selectorIssEEZZNS1_16scan_by_key_implILNS1_25lookback_scan_determinismE0ELb0ES3_N6thrust23THRUST_200600_302600_NS6detail15normal_iteratorINS9_10device_ptrIsEEEENS9_18transform_iteratorINS9_6negateIsEESE_NS9_11use_defaultESI_EESE_sNS9_4plusIvEENS9_8equal_toIvEEsEE10hipError_tPvRmT2_T3_T4_T5_mT6_T7_P12ihipStream_tbENKUlT_T0_E_clISt17integral_constantIbLb1EES14_EEDaSZ_S10_EUlSZ_E_NS1_11comp_targetILNS1_3genE0ELNS1_11target_archE4294967295ELNS1_3gpuE0ELNS1_3repE0EEENS1_30default_config_static_selectorELNS0_4arch9wavefront6targetE0EEEvT1_
; %bb.0:
	.section	.rodata,"a",@progbits
	.p2align	6, 0x0
	.amdhsa_kernel _ZN7rocprim17ROCPRIM_400000_NS6detail17trampoline_kernelINS0_14default_configENS1_27scan_by_key_config_selectorIssEEZZNS1_16scan_by_key_implILNS1_25lookback_scan_determinismE0ELb0ES3_N6thrust23THRUST_200600_302600_NS6detail15normal_iteratorINS9_10device_ptrIsEEEENS9_18transform_iteratorINS9_6negateIsEESE_NS9_11use_defaultESI_EESE_sNS9_4plusIvEENS9_8equal_toIvEEsEE10hipError_tPvRmT2_T3_T4_T5_mT6_T7_P12ihipStream_tbENKUlT_T0_E_clISt17integral_constantIbLb1EES14_EEDaSZ_S10_EUlSZ_E_NS1_11comp_targetILNS1_3genE0ELNS1_11target_archE4294967295ELNS1_3gpuE0ELNS1_3repE0EEENS1_30default_config_static_selectorELNS0_4arch9wavefront6targetE0EEEvT1_
		.amdhsa_group_segment_fixed_size 0
		.amdhsa_private_segment_fixed_size 0
		.amdhsa_kernarg_size 120
		.amdhsa_user_sgpr_count 6
		.amdhsa_user_sgpr_private_segment_buffer 1
		.amdhsa_user_sgpr_dispatch_ptr 0
		.amdhsa_user_sgpr_queue_ptr 0
		.amdhsa_user_sgpr_kernarg_segment_ptr 1
		.amdhsa_user_sgpr_dispatch_id 0
		.amdhsa_user_sgpr_flat_scratch_init 0
		.amdhsa_user_sgpr_private_segment_size 0
		.amdhsa_wavefront_size32 1
		.amdhsa_uses_dynamic_stack 0
		.amdhsa_system_sgpr_private_segment_wavefront_offset 0
		.amdhsa_system_sgpr_workgroup_id_x 1
		.amdhsa_system_sgpr_workgroup_id_y 0
		.amdhsa_system_sgpr_workgroup_id_z 0
		.amdhsa_system_sgpr_workgroup_info 0
		.amdhsa_system_vgpr_workitem_id 0
		.amdhsa_next_free_vgpr 1
		.amdhsa_next_free_sgpr 1
		.amdhsa_reserve_vcc 0
		.amdhsa_reserve_flat_scratch 0
		.amdhsa_float_round_mode_32 0
		.amdhsa_float_round_mode_16_64 0
		.amdhsa_float_denorm_mode_32 3
		.amdhsa_float_denorm_mode_16_64 3
		.amdhsa_dx10_clamp 1
		.amdhsa_ieee_mode 1
		.amdhsa_fp16_overflow 0
		.amdhsa_workgroup_processor_mode 1
		.amdhsa_memory_ordered 1
		.amdhsa_forward_progress 1
		.amdhsa_shared_vgpr_count 0
		.amdhsa_exception_fp_ieee_invalid_op 0
		.amdhsa_exception_fp_denorm_src 0
		.amdhsa_exception_fp_ieee_div_zero 0
		.amdhsa_exception_fp_ieee_overflow 0
		.amdhsa_exception_fp_ieee_underflow 0
		.amdhsa_exception_fp_ieee_inexact 0
		.amdhsa_exception_int_div_zero 0
	.end_amdhsa_kernel
	.section	.text._ZN7rocprim17ROCPRIM_400000_NS6detail17trampoline_kernelINS0_14default_configENS1_27scan_by_key_config_selectorIssEEZZNS1_16scan_by_key_implILNS1_25lookback_scan_determinismE0ELb0ES3_N6thrust23THRUST_200600_302600_NS6detail15normal_iteratorINS9_10device_ptrIsEEEENS9_18transform_iteratorINS9_6negateIsEESE_NS9_11use_defaultESI_EESE_sNS9_4plusIvEENS9_8equal_toIvEEsEE10hipError_tPvRmT2_T3_T4_T5_mT6_T7_P12ihipStream_tbENKUlT_T0_E_clISt17integral_constantIbLb1EES14_EEDaSZ_S10_EUlSZ_E_NS1_11comp_targetILNS1_3genE0ELNS1_11target_archE4294967295ELNS1_3gpuE0ELNS1_3repE0EEENS1_30default_config_static_selectorELNS0_4arch9wavefront6targetE0EEEvT1_,"axG",@progbits,_ZN7rocprim17ROCPRIM_400000_NS6detail17trampoline_kernelINS0_14default_configENS1_27scan_by_key_config_selectorIssEEZZNS1_16scan_by_key_implILNS1_25lookback_scan_determinismE0ELb0ES3_N6thrust23THRUST_200600_302600_NS6detail15normal_iteratorINS9_10device_ptrIsEEEENS9_18transform_iteratorINS9_6negateIsEESE_NS9_11use_defaultESI_EESE_sNS9_4plusIvEENS9_8equal_toIvEEsEE10hipError_tPvRmT2_T3_T4_T5_mT6_T7_P12ihipStream_tbENKUlT_T0_E_clISt17integral_constantIbLb1EES14_EEDaSZ_S10_EUlSZ_E_NS1_11comp_targetILNS1_3genE0ELNS1_11target_archE4294967295ELNS1_3gpuE0ELNS1_3repE0EEENS1_30default_config_static_selectorELNS0_4arch9wavefront6targetE0EEEvT1_,comdat
.Lfunc_end974:
	.size	_ZN7rocprim17ROCPRIM_400000_NS6detail17trampoline_kernelINS0_14default_configENS1_27scan_by_key_config_selectorIssEEZZNS1_16scan_by_key_implILNS1_25lookback_scan_determinismE0ELb0ES3_N6thrust23THRUST_200600_302600_NS6detail15normal_iteratorINS9_10device_ptrIsEEEENS9_18transform_iteratorINS9_6negateIsEESE_NS9_11use_defaultESI_EESE_sNS9_4plusIvEENS9_8equal_toIvEEsEE10hipError_tPvRmT2_T3_T4_T5_mT6_T7_P12ihipStream_tbENKUlT_T0_E_clISt17integral_constantIbLb1EES14_EEDaSZ_S10_EUlSZ_E_NS1_11comp_targetILNS1_3genE0ELNS1_11target_archE4294967295ELNS1_3gpuE0ELNS1_3repE0EEENS1_30default_config_static_selectorELNS0_4arch9wavefront6targetE0EEEvT1_, .Lfunc_end974-_ZN7rocprim17ROCPRIM_400000_NS6detail17trampoline_kernelINS0_14default_configENS1_27scan_by_key_config_selectorIssEEZZNS1_16scan_by_key_implILNS1_25lookback_scan_determinismE0ELb0ES3_N6thrust23THRUST_200600_302600_NS6detail15normal_iteratorINS9_10device_ptrIsEEEENS9_18transform_iteratorINS9_6negateIsEESE_NS9_11use_defaultESI_EESE_sNS9_4plusIvEENS9_8equal_toIvEEsEE10hipError_tPvRmT2_T3_T4_T5_mT6_T7_P12ihipStream_tbENKUlT_T0_E_clISt17integral_constantIbLb1EES14_EEDaSZ_S10_EUlSZ_E_NS1_11comp_targetILNS1_3genE0ELNS1_11target_archE4294967295ELNS1_3gpuE0ELNS1_3repE0EEENS1_30default_config_static_selectorELNS0_4arch9wavefront6targetE0EEEvT1_
                                        ; -- End function
	.set _ZN7rocprim17ROCPRIM_400000_NS6detail17trampoline_kernelINS0_14default_configENS1_27scan_by_key_config_selectorIssEEZZNS1_16scan_by_key_implILNS1_25lookback_scan_determinismE0ELb0ES3_N6thrust23THRUST_200600_302600_NS6detail15normal_iteratorINS9_10device_ptrIsEEEENS9_18transform_iteratorINS9_6negateIsEESE_NS9_11use_defaultESI_EESE_sNS9_4plusIvEENS9_8equal_toIvEEsEE10hipError_tPvRmT2_T3_T4_T5_mT6_T7_P12ihipStream_tbENKUlT_T0_E_clISt17integral_constantIbLb1EES14_EEDaSZ_S10_EUlSZ_E_NS1_11comp_targetILNS1_3genE0ELNS1_11target_archE4294967295ELNS1_3gpuE0ELNS1_3repE0EEENS1_30default_config_static_selectorELNS0_4arch9wavefront6targetE0EEEvT1_.num_vgpr, 0
	.set _ZN7rocprim17ROCPRIM_400000_NS6detail17trampoline_kernelINS0_14default_configENS1_27scan_by_key_config_selectorIssEEZZNS1_16scan_by_key_implILNS1_25lookback_scan_determinismE0ELb0ES3_N6thrust23THRUST_200600_302600_NS6detail15normal_iteratorINS9_10device_ptrIsEEEENS9_18transform_iteratorINS9_6negateIsEESE_NS9_11use_defaultESI_EESE_sNS9_4plusIvEENS9_8equal_toIvEEsEE10hipError_tPvRmT2_T3_T4_T5_mT6_T7_P12ihipStream_tbENKUlT_T0_E_clISt17integral_constantIbLb1EES14_EEDaSZ_S10_EUlSZ_E_NS1_11comp_targetILNS1_3genE0ELNS1_11target_archE4294967295ELNS1_3gpuE0ELNS1_3repE0EEENS1_30default_config_static_selectorELNS0_4arch9wavefront6targetE0EEEvT1_.num_agpr, 0
	.set _ZN7rocprim17ROCPRIM_400000_NS6detail17trampoline_kernelINS0_14default_configENS1_27scan_by_key_config_selectorIssEEZZNS1_16scan_by_key_implILNS1_25lookback_scan_determinismE0ELb0ES3_N6thrust23THRUST_200600_302600_NS6detail15normal_iteratorINS9_10device_ptrIsEEEENS9_18transform_iteratorINS9_6negateIsEESE_NS9_11use_defaultESI_EESE_sNS9_4plusIvEENS9_8equal_toIvEEsEE10hipError_tPvRmT2_T3_T4_T5_mT6_T7_P12ihipStream_tbENKUlT_T0_E_clISt17integral_constantIbLb1EES14_EEDaSZ_S10_EUlSZ_E_NS1_11comp_targetILNS1_3genE0ELNS1_11target_archE4294967295ELNS1_3gpuE0ELNS1_3repE0EEENS1_30default_config_static_selectorELNS0_4arch9wavefront6targetE0EEEvT1_.numbered_sgpr, 0
	.set _ZN7rocprim17ROCPRIM_400000_NS6detail17trampoline_kernelINS0_14default_configENS1_27scan_by_key_config_selectorIssEEZZNS1_16scan_by_key_implILNS1_25lookback_scan_determinismE0ELb0ES3_N6thrust23THRUST_200600_302600_NS6detail15normal_iteratorINS9_10device_ptrIsEEEENS9_18transform_iteratorINS9_6negateIsEESE_NS9_11use_defaultESI_EESE_sNS9_4plusIvEENS9_8equal_toIvEEsEE10hipError_tPvRmT2_T3_T4_T5_mT6_T7_P12ihipStream_tbENKUlT_T0_E_clISt17integral_constantIbLb1EES14_EEDaSZ_S10_EUlSZ_E_NS1_11comp_targetILNS1_3genE0ELNS1_11target_archE4294967295ELNS1_3gpuE0ELNS1_3repE0EEENS1_30default_config_static_selectorELNS0_4arch9wavefront6targetE0EEEvT1_.num_named_barrier, 0
	.set _ZN7rocprim17ROCPRIM_400000_NS6detail17trampoline_kernelINS0_14default_configENS1_27scan_by_key_config_selectorIssEEZZNS1_16scan_by_key_implILNS1_25lookback_scan_determinismE0ELb0ES3_N6thrust23THRUST_200600_302600_NS6detail15normal_iteratorINS9_10device_ptrIsEEEENS9_18transform_iteratorINS9_6negateIsEESE_NS9_11use_defaultESI_EESE_sNS9_4plusIvEENS9_8equal_toIvEEsEE10hipError_tPvRmT2_T3_T4_T5_mT6_T7_P12ihipStream_tbENKUlT_T0_E_clISt17integral_constantIbLb1EES14_EEDaSZ_S10_EUlSZ_E_NS1_11comp_targetILNS1_3genE0ELNS1_11target_archE4294967295ELNS1_3gpuE0ELNS1_3repE0EEENS1_30default_config_static_selectorELNS0_4arch9wavefront6targetE0EEEvT1_.private_seg_size, 0
	.set _ZN7rocprim17ROCPRIM_400000_NS6detail17trampoline_kernelINS0_14default_configENS1_27scan_by_key_config_selectorIssEEZZNS1_16scan_by_key_implILNS1_25lookback_scan_determinismE0ELb0ES3_N6thrust23THRUST_200600_302600_NS6detail15normal_iteratorINS9_10device_ptrIsEEEENS9_18transform_iteratorINS9_6negateIsEESE_NS9_11use_defaultESI_EESE_sNS9_4plusIvEENS9_8equal_toIvEEsEE10hipError_tPvRmT2_T3_T4_T5_mT6_T7_P12ihipStream_tbENKUlT_T0_E_clISt17integral_constantIbLb1EES14_EEDaSZ_S10_EUlSZ_E_NS1_11comp_targetILNS1_3genE0ELNS1_11target_archE4294967295ELNS1_3gpuE0ELNS1_3repE0EEENS1_30default_config_static_selectorELNS0_4arch9wavefront6targetE0EEEvT1_.uses_vcc, 0
	.set _ZN7rocprim17ROCPRIM_400000_NS6detail17trampoline_kernelINS0_14default_configENS1_27scan_by_key_config_selectorIssEEZZNS1_16scan_by_key_implILNS1_25lookback_scan_determinismE0ELb0ES3_N6thrust23THRUST_200600_302600_NS6detail15normal_iteratorINS9_10device_ptrIsEEEENS9_18transform_iteratorINS9_6negateIsEESE_NS9_11use_defaultESI_EESE_sNS9_4plusIvEENS9_8equal_toIvEEsEE10hipError_tPvRmT2_T3_T4_T5_mT6_T7_P12ihipStream_tbENKUlT_T0_E_clISt17integral_constantIbLb1EES14_EEDaSZ_S10_EUlSZ_E_NS1_11comp_targetILNS1_3genE0ELNS1_11target_archE4294967295ELNS1_3gpuE0ELNS1_3repE0EEENS1_30default_config_static_selectorELNS0_4arch9wavefront6targetE0EEEvT1_.uses_flat_scratch, 0
	.set _ZN7rocprim17ROCPRIM_400000_NS6detail17trampoline_kernelINS0_14default_configENS1_27scan_by_key_config_selectorIssEEZZNS1_16scan_by_key_implILNS1_25lookback_scan_determinismE0ELb0ES3_N6thrust23THRUST_200600_302600_NS6detail15normal_iteratorINS9_10device_ptrIsEEEENS9_18transform_iteratorINS9_6negateIsEESE_NS9_11use_defaultESI_EESE_sNS9_4plusIvEENS9_8equal_toIvEEsEE10hipError_tPvRmT2_T3_T4_T5_mT6_T7_P12ihipStream_tbENKUlT_T0_E_clISt17integral_constantIbLb1EES14_EEDaSZ_S10_EUlSZ_E_NS1_11comp_targetILNS1_3genE0ELNS1_11target_archE4294967295ELNS1_3gpuE0ELNS1_3repE0EEENS1_30default_config_static_selectorELNS0_4arch9wavefront6targetE0EEEvT1_.has_dyn_sized_stack, 0
	.set _ZN7rocprim17ROCPRIM_400000_NS6detail17trampoline_kernelINS0_14default_configENS1_27scan_by_key_config_selectorIssEEZZNS1_16scan_by_key_implILNS1_25lookback_scan_determinismE0ELb0ES3_N6thrust23THRUST_200600_302600_NS6detail15normal_iteratorINS9_10device_ptrIsEEEENS9_18transform_iteratorINS9_6negateIsEESE_NS9_11use_defaultESI_EESE_sNS9_4plusIvEENS9_8equal_toIvEEsEE10hipError_tPvRmT2_T3_T4_T5_mT6_T7_P12ihipStream_tbENKUlT_T0_E_clISt17integral_constantIbLb1EES14_EEDaSZ_S10_EUlSZ_E_NS1_11comp_targetILNS1_3genE0ELNS1_11target_archE4294967295ELNS1_3gpuE0ELNS1_3repE0EEENS1_30default_config_static_selectorELNS0_4arch9wavefront6targetE0EEEvT1_.has_recursion, 0
	.set _ZN7rocprim17ROCPRIM_400000_NS6detail17trampoline_kernelINS0_14default_configENS1_27scan_by_key_config_selectorIssEEZZNS1_16scan_by_key_implILNS1_25lookback_scan_determinismE0ELb0ES3_N6thrust23THRUST_200600_302600_NS6detail15normal_iteratorINS9_10device_ptrIsEEEENS9_18transform_iteratorINS9_6negateIsEESE_NS9_11use_defaultESI_EESE_sNS9_4plusIvEENS9_8equal_toIvEEsEE10hipError_tPvRmT2_T3_T4_T5_mT6_T7_P12ihipStream_tbENKUlT_T0_E_clISt17integral_constantIbLb1EES14_EEDaSZ_S10_EUlSZ_E_NS1_11comp_targetILNS1_3genE0ELNS1_11target_archE4294967295ELNS1_3gpuE0ELNS1_3repE0EEENS1_30default_config_static_selectorELNS0_4arch9wavefront6targetE0EEEvT1_.has_indirect_call, 0
	.section	.AMDGPU.csdata,"",@progbits
; Kernel info:
; codeLenInByte = 0
; TotalNumSgprs: 0
; NumVgprs: 0
; ScratchSize: 0
; MemoryBound: 0
; FloatMode: 240
; IeeeMode: 1
; LDSByteSize: 0 bytes/workgroup (compile time only)
; SGPRBlocks: 0
; VGPRBlocks: 0
; NumSGPRsForWavesPerEU: 1
; NumVGPRsForWavesPerEU: 1
; Occupancy: 16
; WaveLimiterHint : 0
; COMPUTE_PGM_RSRC2:SCRATCH_EN: 0
; COMPUTE_PGM_RSRC2:USER_SGPR: 6
; COMPUTE_PGM_RSRC2:TRAP_HANDLER: 0
; COMPUTE_PGM_RSRC2:TGID_X_EN: 1
; COMPUTE_PGM_RSRC2:TGID_Y_EN: 0
; COMPUTE_PGM_RSRC2:TGID_Z_EN: 0
; COMPUTE_PGM_RSRC2:TIDIG_COMP_CNT: 0
	.section	.text._ZN7rocprim17ROCPRIM_400000_NS6detail17trampoline_kernelINS0_14default_configENS1_27scan_by_key_config_selectorIssEEZZNS1_16scan_by_key_implILNS1_25lookback_scan_determinismE0ELb0ES3_N6thrust23THRUST_200600_302600_NS6detail15normal_iteratorINS9_10device_ptrIsEEEENS9_18transform_iteratorINS9_6negateIsEESE_NS9_11use_defaultESI_EESE_sNS9_4plusIvEENS9_8equal_toIvEEsEE10hipError_tPvRmT2_T3_T4_T5_mT6_T7_P12ihipStream_tbENKUlT_T0_E_clISt17integral_constantIbLb1EES14_EEDaSZ_S10_EUlSZ_E_NS1_11comp_targetILNS1_3genE10ELNS1_11target_archE1201ELNS1_3gpuE5ELNS1_3repE0EEENS1_30default_config_static_selectorELNS0_4arch9wavefront6targetE0EEEvT1_,"axG",@progbits,_ZN7rocprim17ROCPRIM_400000_NS6detail17trampoline_kernelINS0_14default_configENS1_27scan_by_key_config_selectorIssEEZZNS1_16scan_by_key_implILNS1_25lookback_scan_determinismE0ELb0ES3_N6thrust23THRUST_200600_302600_NS6detail15normal_iteratorINS9_10device_ptrIsEEEENS9_18transform_iteratorINS9_6negateIsEESE_NS9_11use_defaultESI_EESE_sNS9_4plusIvEENS9_8equal_toIvEEsEE10hipError_tPvRmT2_T3_T4_T5_mT6_T7_P12ihipStream_tbENKUlT_T0_E_clISt17integral_constantIbLb1EES14_EEDaSZ_S10_EUlSZ_E_NS1_11comp_targetILNS1_3genE10ELNS1_11target_archE1201ELNS1_3gpuE5ELNS1_3repE0EEENS1_30default_config_static_selectorELNS0_4arch9wavefront6targetE0EEEvT1_,comdat
	.protected	_ZN7rocprim17ROCPRIM_400000_NS6detail17trampoline_kernelINS0_14default_configENS1_27scan_by_key_config_selectorIssEEZZNS1_16scan_by_key_implILNS1_25lookback_scan_determinismE0ELb0ES3_N6thrust23THRUST_200600_302600_NS6detail15normal_iteratorINS9_10device_ptrIsEEEENS9_18transform_iteratorINS9_6negateIsEESE_NS9_11use_defaultESI_EESE_sNS9_4plusIvEENS9_8equal_toIvEEsEE10hipError_tPvRmT2_T3_T4_T5_mT6_T7_P12ihipStream_tbENKUlT_T0_E_clISt17integral_constantIbLb1EES14_EEDaSZ_S10_EUlSZ_E_NS1_11comp_targetILNS1_3genE10ELNS1_11target_archE1201ELNS1_3gpuE5ELNS1_3repE0EEENS1_30default_config_static_selectorELNS0_4arch9wavefront6targetE0EEEvT1_ ; -- Begin function _ZN7rocprim17ROCPRIM_400000_NS6detail17trampoline_kernelINS0_14default_configENS1_27scan_by_key_config_selectorIssEEZZNS1_16scan_by_key_implILNS1_25lookback_scan_determinismE0ELb0ES3_N6thrust23THRUST_200600_302600_NS6detail15normal_iteratorINS9_10device_ptrIsEEEENS9_18transform_iteratorINS9_6negateIsEESE_NS9_11use_defaultESI_EESE_sNS9_4plusIvEENS9_8equal_toIvEEsEE10hipError_tPvRmT2_T3_T4_T5_mT6_T7_P12ihipStream_tbENKUlT_T0_E_clISt17integral_constantIbLb1EES14_EEDaSZ_S10_EUlSZ_E_NS1_11comp_targetILNS1_3genE10ELNS1_11target_archE1201ELNS1_3gpuE5ELNS1_3repE0EEENS1_30default_config_static_selectorELNS0_4arch9wavefront6targetE0EEEvT1_
	.globl	_ZN7rocprim17ROCPRIM_400000_NS6detail17trampoline_kernelINS0_14default_configENS1_27scan_by_key_config_selectorIssEEZZNS1_16scan_by_key_implILNS1_25lookback_scan_determinismE0ELb0ES3_N6thrust23THRUST_200600_302600_NS6detail15normal_iteratorINS9_10device_ptrIsEEEENS9_18transform_iteratorINS9_6negateIsEESE_NS9_11use_defaultESI_EESE_sNS9_4plusIvEENS9_8equal_toIvEEsEE10hipError_tPvRmT2_T3_T4_T5_mT6_T7_P12ihipStream_tbENKUlT_T0_E_clISt17integral_constantIbLb1EES14_EEDaSZ_S10_EUlSZ_E_NS1_11comp_targetILNS1_3genE10ELNS1_11target_archE1201ELNS1_3gpuE5ELNS1_3repE0EEENS1_30default_config_static_selectorELNS0_4arch9wavefront6targetE0EEEvT1_
	.p2align	8
	.type	_ZN7rocprim17ROCPRIM_400000_NS6detail17trampoline_kernelINS0_14default_configENS1_27scan_by_key_config_selectorIssEEZZNS1_16scan_by_key_implILNS1_25lookback_scan_determinismE0ELb0ES3_N6thrust23THRUST_200600_302600_NS6detail15normal_iteratorINS9_10device_ptrIsEEEENS9_18transform_iteratorINS9_6negateIsEESE_NS9_11use_defaultESI_EESE_sNS9_4plusIvEENS9_8equal_toIvEEsEE10hipError_tPvRmT2_T3_T4_T5_mT6_T7_P12ihipStream_tbENKUlT_T0_E_clISt17integral_constantIbLb1EES14_EEDaSZ_S10_EUlSZ_E_NS1_11comp_targetILNS1_3genE10ELNS1_11target_archE1201ELNS1_3gpuE5ELNS1_3repE0EEENS1_30default_config_static_selectorELNS0_4arch9wavefront6targetE0EEEvT1_,@function
_ZN7rocprim17ROCPRIM_400000_NS6detail17trampoline_kernelINS0_14default_configENS1_27scan_by_key_config_selectorIssEEZZNS1_16scan_by_key_implILNS1_25lookback_scan_determinismE0ELb0ES3_N6thrust23THRUST_200600_302600_NS6detail15normal_iteratorINS9_10device_ptrIsEEEENS9_18transform_iteratorINS9_6negateIsEESE_NS9_11use_defaultESI_EESE_sNS9_4plusIvEENS9_8equal_toIvEEsEE10hipError_tPvRmT2_T3_T4_T5_mT6_T7_P12ihipStream_tbENKUlT_T0_E_clISt17integral_constantIbLb1EES14_EEDaSZ_S10_EUlSZ_E_NS1_11comp_targetILNS1_3genE10ELNS1_11target_archE1201ELNS1_3gpuE5ELNS1_3repE0EEENS1_30default_config_static_selectorELNS0_4arch9wavefront6targetE0EEEvT1_: ; @_ZN7rocprim17ROCPRIM_400000_NS6detail17trampoline_kernelINS0_14default_configENS1_27scan_by_key_config_selectorIssEEZZNS1_16scan_by_key_implILNS1_25lookback_scan_determinismE0ELb0ES3_N6thrust23THRUST_200600_302600_NS6detail15normal_iteratorINS9_10device_ptrIsEEEENS9_18transform_iteratorINS9_6negateIsEESE_NS9_11use_defaultESI_EESE_sNS9_4plusIvEENS9_8equal_toIvEEsEE10hipError_tPvRmT2_T3_T4_T5_mT6_T7_P12ihipStream_tbENKUlT_T0_E_clISt17integral_constantIbLb1EES14_EEDaSZ_S10_EUlSZ_E_NS1_11comp_targetILNS1_3genE10ELNS1_11target_archE1201ELNS1_3gpuE5ELNS1_3repE0EEENS1_30default_config_static_selectorELNS0_4arch9wavefront6targetE0EEEvT1_
; %bb.0:
	.section	.rodata,"a",@progbits
	.p2align	6, 0x0
	.amdhsa_kernel _ZN7rocprim17ROCPRIM_400000_NS6detail17trampoline_kernelINS0_14default_configENS1_27scan_by_key_config_selectorIssEEZZNS1_16scan_by_key_implILNS1_25lookback_scan_determinismE0ELb0ES3_N6thrust23THRUST_200600_302600_NS6detail15normal_iteratorINS9_10device_ptrIsEEEENS9_18transform_iteratorINS9_6negateIsEESE_NS9_11use_defaultESI_EESE_sNS9_4plusIvEENS9_8equal_toIvEEsEE10hipError_tPvRmT2_T3_T4_T5_mT6_T7_P12ihipStream_tbENKUlT_T0_E_clISt17integral_constantIbLb1EES14_EEDaSZ_S10_EUlSZ_E_NS1_11comp_targetILNS1_3genE10ELNS1_11target_archE1201ELNS1_3gpuE5ELNS1_3repE0EEENS1_30default_config_static_selectorELNS0_4arch9wavefront6targetE0EEEvT1_
		.amdhsa_group_segment_fixed_size 0
		.amdhsa_private_segment_fixed_size 0
		.amdhsa_kernarg_size 120
		.amdhsa_user_sgpr_count 6
		.amdhsa_user_sgpr_private_segment_buffer 1
		.amdhsa_user_sgpr_dispatch_ptr 0
		.amdhsa_user_sgpr_queue_ptr 0
		.amdhsa_user_sgpr_kernarg_segment_ptr 1
		.amdhsa_user_sgpr_dispatch_id 0
		.amdhsa_user_sgpr_flat_scratch_init 0
		.amdhsa_user_sgpr_private_segment_size 0
		.amdhsa_wavefront_size32 1
		.amdhsa_uses_dynamic_stack 0
		.amdhsa_system_sgpr_private_segment_wavefront_offset 0
		.amdhsa_system_sgpr_workgroup_id_x 1
		.amdhsa_system_sgpr_workgroup_id_y 0
		.amdhsa_system_sgpr_workgroup_id_z 0
		.amdhsa_system_sgpr_workgroup_info 0
		.amdhsa_system_vgpr_workitem_id 0
		.amdhsa_next_free_vgpr 1
		.amdhsa_next_free_sgpr 1
		.amdhsa_reserve_vcc 0
		.amdhsa_reserve_flat_scratch 0
		.amdhsa_float_round_mode_32 0
		.amdhsa_float_round_mode_16_64 0
		.amdhsa_float_denorm_mode_32 3
		.amdhsa_float_denorm_mode_16_64 3
		.amdhsa_dx10_clamp 1
		.amdhsa_ieee_mode 1
		.amdhsa_fp16_overflow 0
		.amdhsa_workgroup_processor_mode 1
		.amdhsa_memory_ordered 1
		.amdhsa_forward_progress 1
		.amdhsa_shared_vgpr_count 0
		.amdhsa_exception_fp_ieee_invalid_op 0
		.amdhsa_exception_fp_denorm_src 0
		.amdhsa_exception_fp_ieee_div_zero 0
		.amdhsa_exception_fp_ieee_overflow 0
		.amdhsa_exception_fp_ieee_underflow 0
		.amdhsa_exception_fp_ieee_inexact 0
		.amdhsa_exception_int_div_zero 0
	.end_amdhsa_kernel
	.section	.text._ZN7rocprim17ROCPRIM_400000_NS6detail17trampoline_kernelINS0_14default_configENS1_27scan_by_key_config_selectorIssEEZZNS1_16scan_by_key_implILNS1_25lookback_scan_determinismE0ELb0ES3_N6thrust23THRUST_200600_302600_NS6detail15normal_iteratorINS9_10device_ptrIsEEEENS9_18transform_iteratorINS9_6negateIsEESE_NS9_11use_defaultESI_EESE_sNS9_4plusIvEENS9_8equal_toIvEEsEE10hipError_tPvRmT2_T3_T4_T5_mT6_T7_P12ihipStream_tbENKUlT_T0_E_clISt17integral_constantIbLb1EES14_EEDaSZ_S10_EUlSZ_E_NS1_11comp_targetILNS1_3genE10ELNS1_11target_archE1201ELNS1_3gpuE5ELNS1_3repE0EEENS1_30default_config_static_selectorELNS0_4arch9wavefront6targetE0EEEvT1_,"axG",@progbits,_ZN7rocprim17ROCPRIM_400000_NS6detail17trampoline_kernelINS0_14default_configENS1_27scan_by_key_config_selectorIssEEZZNS1_16scan_by_key_implILNS1_25lookback_scan_determinismE0ELb0ES3_N6thrust23THRUST_200600_302600_NS6detail15normal_iteratorINS9_10device_ptrIsEEEENS9_18transform_iteratorINS9_6negateIsEESE_NS9_11use_defaultESI_EESE_sNS9_4plusIvEENS9_8equal_toIvEEsEE10hipError_tPvRmT2_T3_T4_T5_mT6_T7_P12ihipStream_tbENKUlT_T0_E_clISt17integral_constantIbLb1EES14_EEDaSZ_S10_EUlSZ_E_NS1_11comp_targetILNS1_3genE10ELNS1_11target_archE1201ELNS1_3gpuE5ELNS1_3repE0EEENS1_30default_config_static_selectorELNS0_4arch9wavefront6targetE0EEEvT1_,comdat
.Lfunc_end975:
	.size	_ZN7rocprim17ROCPRIM_400000_NS6detail17trampoline_kernelINS0_14default_configENS1_27scan_by_key_config_selectorIssEEZZNS1_16scan_by_key_implILNS1_25lookback_scan_determinismE0ELb0ES3_N6thrust23THRUST_200600_302600_NS6detail15normal_iteratorINS9_10device_ptrIsEEEENS9_18transform_iteratorINS9_6negateIsEESE_NS9_11use_defaultESI_EESE_sNS9_4plusIvEENS9_8equal_toIvEEsEE10hipError_tPvRmT2_T3_T4_T5_mT6_T7_P12ihipStream_tbENKUlT_T0_E_clISt17integral_constantIbLb1EES14_EEDaSZ_S10_EUlSZ_E_NS1_11comp_targetILNS1_3genE10ELNS1_11target_archE1201ELNS1_3gpuE5ELNS1_3repE0EEENS1_30default_config_static_selectorELNS0_4arch9wavefront6targetE0EEEvT1_, .Lfunc_end975-_ZN7rocprim17ROCPRIM_400000_NS6detail17trampoline_kernelINS0_14default_configENS1_27scan_by_key_config_selectorIssEEZZNS1_16scan_by_key_implILNS1_25lookback_scan_determinismE0ELb0ES3_N6thrust23THRUST_200600_302600_NS6detail15normal_iteratorINS9_10device_ptrIsEEEENS9_18transform_iteratorINS9_6negateIsEESE_NS9_11use_defaultESI_EESE_sNS9_4plusIvEENS9_8equal_toIvEEsEE10hipError_tPvRmT2_T3_T4_T5_mT6_T7_P12ihipStream_tbENKUlT_T0_E_clISt17integral_constantIbLb1EES14_EEDaSZ_S10_EUlSZ_E_NS1_11comp_targetILNS1_3genE10ELNS1_11target_archE1201ELNS1_3gpuE5ELNS1_3repE0EEENS1_30default_config_static_selectorELNS0_4arch9wavefront6targetE0EEEvT1_
                                        ; -- End function
	.set _ZN7rocprim17ROCPRIM_400000_NS6detail17trampoline_kernelINS0_14default_configENS1_27scan_by_key_config_selectorIssEEZZNS1_16scan_by_key_implILNS1_25lookback_scan_determinismE0ELb0ES3_N6thrust23THRUST_200600_302600_NS6detail15normal_iteratorINS9_10device_ptrIsEEEENS9_18transform_iteratorINS9_6negateIsEESE_NS9_11use_defaultESI_EESE_sNS9_4plusIvEENS9_8equal_toIvEEsEE10hipError_tPvRmT2_T3_T4_T5_mT6_T7_P12ihipStream_tbENKUlT_T0_E_clISt17integral_constantIbLb1EES14_EEDaSZ_S10_EUlSZ_E_NS1_11comp_targetILNS1_3genE10ELNS1_11target_archE1201ELNS1_3gpuE5ELNS1_3repE0EEENS1_30default_config_static_selectorELNS0_4arch9wavefront6targetE0EEEvT1_.num_vgpr, 0
	.set _ZN7rocprim17ROCPRIM_400000_NS6detail17trampoline_kernelINS0_14default_configENS1_27scan_by_key_config_selectorIssEEZZNS1_16scan_by_key_implILNS1_25lookback_scan_determinismE0ELb0ES3_N6thrust23THRUST_200600_302600_NS6detail15normal_iteratorINS9_10device_ptrIsEEEENS9_18transform_iteratorINS9_6negateIsEESE_NS9_11use_defaultESI_EESE_sNS9_4plusIvEENS9_8equal_toIvEEsEE10hipError_tPvRmT2_T3_T4_T5_mT6_T7_P12ihipStream_tbENKUlT_T0_E_clISt17integral_constantIbLb1EES14_EEDaSZ_S10_EUlSZ_E_NS1_11comp_targetILNS1_3genE10ELNS1_11target_archE1201ELNS1_3gpuE5ELNS1_3repE0EEENS1_30default_config_static_selectorELNS0_4arch9wavefront6targetE0EEEvT1_.num_agpr, 0
	.set _ZN7rocprim17ROCPRIM_400000_NS6detail17trampoline_kernelINS0_14default_configENS1_27scan_by_key_config_selectorIssEEZZNS1_16scan_by_key_implILNS1_25lookback_scan_determinismE0ELb0ES3_N6thrust23THRUST_200600_302600_NS6detail15normal_iteratorINS9_10device_ptrIsEEEENS9_18transform_iteratorINS9_6negateIsEESE_NS9_11use_defaultESI_EESE_sNS9_4plusIvEENS9_8equal_toIvEEsEE10hipError_tPvRmT2_T3_T4_T5_mT6_T7_P12ihipStream_tbENKUlT_T0_E_clISt17integral_constantIbLb1EES14_EEDaSZ_S10_EUlSZ_E_NS1_11comp_targetILNS1_3genE10ELNS1_11target_archE1201ELNS1_3gpuE5ELNS1_3repE0EEENS1_30default_config_static_selectorELNS0_4arch9wavefront6targetE0EEEvT1_.numbered_sgpr, 0
	.set _ZN7rocprim17ROCPRIM_400000_NS6detail17trampoline_kernelINS0_14default_configENS1_27scan_by_key_config_selectorIssEEZZNS1_16scan_by_key_implILNS1_25lookback_scan_determinismE0ELb0ES3_N6thrust23THRUST_200600_302600_NS6detail15normal_iteratorINS9_10device_ptrIsEEEENS9_18transform_iteratorINS9_6negateIsEESE_NS9_11use_defaultESI_EESE_sNS9_4plusIvEENS9_8equal_toIvEEsEE10hipError_tPvRmT2_T3_T4_T5_mT6_T7_P12ihipStream_tbENKUlT_T0_E_clISt17integral_constantIbLb1EES14_EEDaSZ_S10_EUlSZ_E_NS1_11comp_targetILNS1_3genE10ELNS1_11target_archE1201ELNS1_3gpuE5ELNS1_3repE0EEENS1_30default_config_static_selectorELNS0_4arch9wavefront6targetE0EEEvT1_.num_named_barrier, 0
	.set _ZN7rocprim17ROCPRIM_400000_NS6detail17trampoline_kernelINS0_14default_configENS1_27scan_by_key_config_selectorIssEEZZNS1_16scan_by_key_implILNS1_25lookback_scan_determinismE0ELb0ES3_N6thrust23THRUST_200600_302600_NS6detail15normal_iteratorINS9_10device_ptrIsEEEENS9_18transform_iteratorINS9_6negateIsEESE_NS9_11use_defaultESI_EESE_sNS9_4plusIvEENS9_8equal_toIvEEsEE10hipError_tPvRmT2_T3_T4_T5_mT6_T7_P12ihipStream_tbENKUlT_T0_E_clISt17integral_constantIbLb1EES14_EEDaSZ_S10_EUlSZ_E_NS1_11comp_targetILNS1_3genE10ELNS1_11target_archE1201ELNS1_3gpuE5ELNS1_3repE0EEENS1_30default_config_static_selectorELNS0_4arch9wavefront6targetE0EEEvT1_.private_seg_size, 0
	.set _ZN7rocprim17ROCPRIM_400000_NS6detail17trampoline_kernelINS0_14default_configENS1_27scan_by_key_config_selectorIssEEZZNS1_16scan_by_key_implILNS1_25lookback_scan_determinismE0ELb0ES3_N6thrust23THRUST_200600_302600_NS6detail15normal_iteratorINS9_10device_ptrIsEEEENS9_18transform_iteratorINS9_6negateIsEESE_NS9_11use_defaultESI_EESE_sNS9_4plusIvEENS9_8equal_toIvEEsEE10hipError_tPvRmT2_T3_T4_T5_mT6_T7_P12ihipStream_tbENKUlT_T0_E_clISt17integral_constantIbLb1EES14_EEDaSZ_S10_EUlSZ_E_NS1_11comp_targetILNS1_3genE10ELNS1_11target_archE1201ELNS1_3gpuE5ELNS1_3repE0EEENS1_30default_config_static_selectorELNS0_4arch9wavefront6targetE0EEEvT1_.uses_vcc, 0
	.set _ZN7rocprim17ROCPRIM_400000_NS6detail17trampoline_kernelINS0_14default_configENS1_27scan_by_key_config_selectorIssEEZZNS1_16scan_by_key_implILNS1_25lookback_scan_determinismE0ELb0ES3_N6thrust23THRUST_200600_302600_NS6detail15normal_iteratorINS9_10device_ptrIsEEEENS9_18transform_iteratorINS9_6negateIsEESE_NS9_11use_defaultESI_EESE_sNS9_4plusIvEENS9_8equal_toIvEEsEE10hipError_tPvRmT2_T3_T4_T5_mT6_T7_P12ihipStream_tbENKUlT_T0_E_clISt17integral_constantIbLb1EES14_EEDaSZ_S10_EUlSZ_E_NS1_11comp_targetILNS1_3genE10ELNS1_11target_archE1201ELNS1_3gpuE5ELNS1_3repE0EEENS1_30default_config_static_selectorELNS0_4arch9wavefront6targetE0EEEvT1_.uses_flat_scratch, 0
	.set _ZN7rocprim17ROCPRIM_400000_NS6detail17trampoline_kernelINS0_14default_configENS1_27scan_by_key_config_selectorIssEEZZNS1_16scan_by_key_implILNS1_25lookback_scan_determinismE0ELb0ES3_N6thrust23THRUST_200600_302600_NS6detail15normal_iteratorINS9_10device_ptrIsEEEENS9_18transform_iteratorINS9_6negateIsEESE_NS9_11use_defaultESI_EESE_sNS9_4plusIvEENS9_8equal_toIvEEsEE10hipError_tPvRmT2_T3_T4_T5_mT6_T7_P12ihipStream_tbENKUlT_T0_E_clISt17integral_constantIbLb1EES14_EEDaSZ_S10_EUlSZ_E_NS1_11comp_targetILNS1_3genE10ELNS1_11target_archE1201ELNS1_3gpuE5ELNS1_3repE0EEENS1_30default_config_static_selectorELNS0_4arch9wavefront6targetE0EEEvT1_.has_dyn_sized_stack, 0
	.set _ZN7rocprim17ROCPRIM_400000_NS6detail17trampoline_kernelINS0_14default_configENS1_27scan_by_key_config_selectorIssEEZZNS1_16scan_by_key_implILNS1_25lookback_scan_determinismE0ELb0ES3_N6thrust23THRUST_200600_302600_NS6detail15normal_iteratorINS9_10device_ptrIsEEEENS9_18transform_iteratorINS9_6negateIsEESE_NS9_11use_defaultESI_EESE_sNS9_4plusIvEENS9_8equal_toIvEEsEE10hipError_tPvRmT2_T3_T4_T5_mT6_T7_P12ihipStream_tbENKUlT_T0_E_clISt17integral_constantIbLb1EES14_EEDaSZ_S10_EUlSZ_E_NS1_11comp_targetILNS1_3genE10ELNS1_11target_archE1201ELNS1_3gpuE5ELNS1_3repE0EEENS1_30default_config_static_selectorELNS0_4arch9wavefront6targetE0EEEvT1_.has_recursion, 0
	.set _ZN7rocprim17ROCPRIM_400000_NS6detail17trampoline_kernelINS0_14default_configENS1_27scan_by_key_config_selectorIssEEZZNS1_16scan_by_key_implILNS1_25lookback_scan_determinismE0ELb0ES3_N6thrust23THRUST_200600_302600_NS6detail15normal_iteratorINS9_10device_ptrIsEEEENS9_18transform_iteratorINS9_6negateIsEESE_NS9_11use_defaultESI_EESE_sNS9_4plusIvEENS9_8equal_toIvEEsEE10hipError_tPvRmT2_T3_T4_T5_mT6_T7_P12ihipStream_tbENKUlT_T0_E_clISt17integral_constantIbLb1EES14_EEDaSZ_S10_EUlSZ_E_NS1_11comp_targetILNS1_3genE10ELNS1_11target_archE1201ELNS1_3gpuE5ELNS1_3repE0EEENS1_30default_config_static_selectorELNS0_4arch9wavefront6targetE0EEEvT1_.has_indirect_call, 0
	.section	.AMDGPU.csdata,"",@progbits
; Kernel info:
; codeLenInByte = 0
; TotalNumSgprs: 0
; NumVgprs: 0
; ScratchSize: 0
; MemoryBound: 0
; FloatMode: 240
; IeeeMode: 1
; LDSByteSize: 0 bytes/workgroup (compile time only)
; SGPRBlocks: 0
; VGPRBlocks: 0
; NumSGPRsForWavesPerEU: 1
; NumVGPRsForWavesPerEU: 1
; Occupancy: 16
; WaveLimiterHint : 0
; COMPUTE_PGM_RSRC2:SCRATCH_EN: 0
; COMPUTE_PGM_RSRC2:USER_SGPR: 6
; COMPUTE_PGM_RSRC2:TRAP_HANDLER: 0
; COMPUTE_PGM_RSRC2:TGID_X_EN: 1
; COMPUTE_PGM_RSRC2:TGID_Y_EN: 0
; COMPUTE_PGM_RSRC2:TGID_Z_EN: 0
; COMPUTE_PGM_RSRC2:TIDIG_COMP_CNT: 0
	.section	.text._ZN7rocprim17ROCPRIM_400000_NS6detail17trampoline_kernelINS0_14default_configENS1_27scan_by_key_config_selectorIssEEZZNS1_16scan_by_key_implILNS1_25lookback_scan_determinismE0ELb0ES3_N6thrust23THRUST_200600_302600_NS6detail15normal_iteratorINS9_10device_ptrIsEEEENS9_18transform_iteratorINS9_6negateIsEESE_NS9_11use_defaultESI_EESE_sNS9_4plusIvEENS9_8equal_toIvEEsEE10hipError_tPvRmT2_T3_T4_T5_mT6_T7_P12ihipStream_tbENKUlT_T0_E_clISt17integral_constantIbLb1EES14_EEDaSZ_S10_EUlSZ_E_NS1_11comp_targetILNS1_3genE5ELNS1_11target_archE942ELNS1_3gpuE9ELNS1_3repE0EEENS1_30default_config_static_selectorELNS0_4arch9wavefront6targetE0EEEvT1_,"axG",@progbits,_ZN7rocprim17ROCPRIM_400000_NS6detail17trampoline_kernelINS0_14default_configENS1_27scan_by_key_config_selectorIssEEZZNS1_16scan_by_key_implILNS1_25lookback_scan_determinismE0ELb0ES3_N6thrust23THRUST_200600_302600_NS6detail15normal_iteratorINS9_10device_ptrIsEEEENS9_18transform_iteratorINS9_6negateIsEESE_NS9_11use_defaultESI_EESE_sNS9_4plusIvEENS9_8equal_toIvEEsEE10hipError_tPvRmT2_T3_T4_T5_mT6_T7_P12ihipStream_tbENKUlT_T0_E_clISt17integral_constantIbLb1EES14_EEDaSZ_S10_EUlSZ_E_NS1_11comp_targetILNS1_3genE5ELNS1_11target_archE942ELNS1_3gpuE9ELNS1_3repE0EEENS1_30default_config_static_selectorELNS0_4arch9wavefront6targetE0EEEvT1_,comdat
	.protected	_ZN7rocprim17ROCPRIM_400000_NS6detail17trampoline_kernelINS0_14default_configENS1_27scan_by_key_config_selectorIssEEZZNS1_16scan_by_key_implILNS1_25lookback_scan_determinismE0ELb0ES3_N6thrust23THRUST_200600_302600_NS6detail15normal_iteratorINS9_10device_ptrIsEEEENS9_18transform_iteratorINS9_6negateIsEESE_NS9_11use_defaultESI_EESE_sNS9_4plusIvEENS9_8equal_toIvEEsEE10hipError_tPvRmT2_T3_T4_T5_mT6_T7_P12ihipStream_tbENKUlT_T0_E_clISt17integral_constantIbLb1EES14_EEDaSZ_S10_EUlSZ_E_NS1_11comp_targetILNS1_3genE5ELNS1_11target_archE942ELNS1_3gpuE9ELNS1_3repE0EEENS1_30default_config_static_selectorELNS0_4arch9wavefront6targetE0EEEvT1_ ; -- Begin function _ZN7rocprim17ROCPRIM_400000_NS6detail17trampoline_kernelINS0_14default_configENS1_27scan_by_key_config_selectorIssEEZZNS1_16scan_by_key_implILNS1_25lookback_scan_determinismE0ELb0ES3_N6thrust23THRUST_200600_302600_NS6detail15normal_iteratorINS9_10device_ptrIsEEEENS9_18transform_iteratorINS9_6negateIsEESE_NS9_11use_defaultESI_EESE_sNS9_4plusIvEENS9_8equal_toIvEEsEE10hipError_tPvRmT2_T3_T4_T5_mT6_T7_P12ihipStream_tbENKUlT_T0_E_clISt17integral_constantIbLb1EES14_EEDaSZ_S10_EUlSZ_E_NS1_11comp_targetILNS1_3genE5ELNS1_11target_archE942ELNS1_3gpuE9ELNS1_3repE0EEENS1_30default_config_static_selectorELNS0_4arch9wavefront6targetE0EEEvT1_
	.globl	_ZN7rocprim17ROCPRIM_400000_NS6detail17trampoline_kernelINS0_14default_configENS1_27scan_by_key_config_selectorIssEEZZNS1_16scan_by_key_implILNS1_25lookback_scan_determinismE0ELb0ES3_N6thrust23THRUST_200600_302600_NS6detail15normal_iteratorINS9_10device_ptrIsEEEENS9_18transform_iteratorINS9_6negateIsEESE_NS9_11use_defaultESI_EESE_sNS9_4plusIvEENS9_8equal_toIvEEsEE10hipError_tPvRmT2_T3_T4_T5_mT6_T7_P12ihipStream_tbENKUlT_T0_E_clISt17integral_constantIbLb1EES14_EEDaSZ_S10_EUlSZ_E_NS1_11comp_targetILNS1_3genE5ELNS1_11target_archE942ELNS1_3gpuE9ELNS1_3repE0EEENS1_30default_config_static_selectorELNS0_4arch9wavefront6targetE0EEEvT1_
	.p2align	8
	.type	_ZN7rocprim17ROCPRIM_400000_NS6detail17trampoline_kernelINS0_14default_configENS1_27scan_by_key_config_selectorIssEEZZNS1_16scan_by_key_implILNS1_25lookback_scan_determinismE0ELb0ES3_N6thrust23THRUST_200600_302600_NS6detail15normal_iteratorINS9_10device_ptrIsEEEENS9_18transform_iteratorINS9_6negateIsEESE_NS9_11use_defaultESI_EESE_sNS9_4plusIvEENS9_8equal_toIvEEsEE10hipError_tPvRmT2_T3_T4_T5_mT6_T7_P12ihipStream_tbENKUlT_T0_E_clISt17integral_constantIbLb1EES14_EEDaSZ_S10_EUlSZ_E_NS1_11comp_targetILNS1_3genE5ELNS1_11target_archE942ELNS1_3gpuE9ELNS1_3repE0EEENS1_30default_config_static_selectorELNS0_4arch9wavefront6targetE0EEEvT1_,@function
_ZN7rocprim17ROCPRIM_400000_NS6detail17trampoline_kernelINS0_14default_configENS1_27scan_by_key_config_selectorIssEEZZNS1_16scan_by_key_implILNS1_25lookback_scan_determinismE0ELb0ES3_N6thrust23THRUST_200600_302600_NS6detail15normal_iteratorINS9_10device_ptrIsEEEENS9_18transform_iteratorINS9_6negateIsEESE_NS9_11use_defaultESI_EESE_sNS9_4plusIvEENS9_8equal_toIvEEsEE10hipError_tPvRmT2_T3_T4_T5_mT6_T7_P12ihipStream_tbENKUlT_T0_E_clISt17integral_constantIbLb1EES14_EEDaSZ_S10_EUlSZ_E_NS1_11comp_targetILNS1_3genE5ELNS1_11target_archE942ELNS1_3gpuE9ELNS1_3repE0EEENS1_30default_config_static_selectorELNS0_4arch9wavefront6targetE0EEEvT1_: ; @_ZN7rocprim17ROCPRIM_400000_NS6detail17trampoline_kernelINS0_14default_configENS1_27scan_by_key_config_selectorIssEEZZNS1_16scan_by_key_implILNS1_25lookback_scan_determinismE0ELb0ES3_N6thrust23THRUST_200600_302600_NS6detail15normal_iteratorINS9_10device_ptrIsEEEENS9_18transform_iteratorINS9_6negateIsEESE_NS9_11use_defaultESI_EESE_sNS9_4plusIvEENS9_8equal_toIvEEsEE10hipError_tPvRmT2_T3_T4_T5_mT6_T7_P12ihipStream_tbENKUlT_T0_E_clISt17integral_constantIbLb1EES14_EEDaSZ_S10_EUlSZ_E_NS1_11comp_targetILNS1_3genE5ELNS1_11target_archE942ELNS1_3gpuE9ELNS1_3repE0EEENS1_30default_config_static_selectorELNS0_4arch9wavefront6targetE0EEEvT1_
; %bb.0:
	.section	.rodata,"a",@progbits
	.p2align	6, 0x0
	.amdhsa_kernel _ZN7rocprim17ROCPRIM_400000_NS6detail17trampoline_kernelINS0_14default_configENS1_27scan_by_key_config_selectorIssEEZZNS1_16scan_by_key_implILNS1_25lookback_scan_determinismE0ELb0ES3_N6thrust23THRUST_200600_302600_NS6detail15normal_iteratorINS9_10device_ptrIsEEEENS9_18transform_iteratorINS9_6negateIsEESE_NS9_11use_defaultESI_EESE_sNS9_4plusIvEENS9_8equal_toIvEEsEE10hipError_tPvRmT2_T3_T4_T5_mT6_T7_P12ihipStream_tbENKUlT_T0_E_clISt17integral_constantIbLb1EES14_EEDaSZ_S10_EUlSZ_E_NS1_11comp_targetILNS1_3genE5ELNS1_11target_archE942ELNS1_3gpuE9ELNS1_3repE0EEENS1_30default_config_static_selectorELNS0_4arch9wavefront6targetE0EEEvT1_
		.amdhsa_group_segment_fixed_size 0
		.amdhsa_private_segment_fixed_size 0
		.amdhsa_kernarg_size 120
		.amdhsa_user_sgpr_count 6
		.amdhsa_user_sgpr_private_segment_buffer 1
		.amdhsa_user_sgpr_dispatch_ptr 0
		.amdhsa_user_sgpr_queue_ptr 0
		.amdhsa_user_sgpr_kernarg_segment_ptr 1
		.amdhsa_user_sgpr_dispatch_id 0
		.amdhsa_user_sgpr_flat_scratch_init 0
		.amdhsa_user_sgpr_private_segment_size 0
		.amdhsa_wavefront_size32 1
		.amdhsa_uses_dynamic_stack 0
		.amdhsa_system_sgpr_private_segment_wavefront_offset 0
		.amdhsa_system_sgpr_workgroup_id_x 1
		.amdhsa_system_sgpr_workgroup_id_y 0
		.amdhsa_system_sgpr_workgroup_id_z 0
		.amdhsa_system_sgpr_workgroup_info 0
		.amdhsa_system_vgpr_workitem_id 0
		.amdhsa_next_free_vgpr 1
		.amdhsa_next_free_sgpr 1
		.amdhsa_reserve_vcc 0
		.amdhsa_reserve_flat_scratch 0
		.amdhsa_float_round_mode_32 0
		.amdhsa_float_round_mode_16_64 0
		.amdhsa_float_denorm_mode_32 3
		.amdhsa_float_denorm_mode_16_64 3
		.amdhsa_dx10_clamp 1
		.amdhsa_ieee_mode 1
		.amdhsa_fp16_overflow 0
		.amdhsa_workgroup_processor_mode 1
		.amdhsa_memory_ordered 1
		.amdhsa_forward_progress 1
		.amdhsa_shared_vgpr_count 0
		.amdhsa_exception_fp_ieee_invalid_op 0
		.amdhsa_exception_fp_denorm_src 0
		.amdhsa_exception_fp_ieee_div_zero 0
		.amdhsa_exception_fp_ieee_overflow 0
		.amdhsa_exception_fp_ieee_underflow 0
		.amdhsa_exception_fp_ieee_inexact 0
		.amdhsa_exception_int_div_zero 0
	.end_amdhsa_kernel
	.section	.text._ZN7rocprim17ROCPRIM_400000_NS6detail17trampoline_kernelINS0_14default_configENS1_27scan_by_key_config_selectorIssEEZZNS1_16scan_by_key_implILNS1_25lookback_scan_determinismE0ELb0ES3_N6thrust23THRUST_200600_302600_NS6detail15normal_iteratorINS9_10device_ptrIsEEEENS9_18transform_iteratorINS9_6negateIsEESE_NS9_11use_defaultESI_EESE_sNS9_4plusIvEENS9_8equal_toIvEEsEE10hipError_tPvRmT2_T3_T4_T5_mT6_T7_P12ihipStream_tbENKUlT_T0_E_clISt17integral_constantIbLb1EES14_EEDaSZ_S10_EUlSZ_E_NS1_11comp_targetILNS1_3genE5ELNS1_11target_archE942ELNS1_3gpuE9ELNS1_3repE0EEENS1_30default_config_static_selectorELNS0_4arch9wavefront6targetE0EEEvT1_,"axG",@progbits,_ZN7rocprim17ROCPRIM_400000_NS6detail17trampoline_kernelINS0_14default_configENS1_27scan_by_key_config_selectorIssEEZZNS1_16scan_by_key_implILNS1_25lookback_scan_determinismE0ELb0ES3_N6thrust23THRUST_200600_302600_NS6detail15normal_iteratorINS9_10device_ptrIsEEEENS9_18transform_iteratorINS9_6negateIsEESE_NS9_11use_defaultESI_EESE_sNS9_4plusIvEENS9_8equal_toIvEEsEE10hipError_tPvRmT2_T3_T4_T5_mT6_T7_P12ihipStream_tbENKUlT_T0_E_clISt17integral_constantIbLb1EES14_EEDaSZ_S10_EUlSZ_E_NS1_11comp_targetILNS1_3genE5ELNS1_11target_archE942ELNS1_3gpuE9ELNS1_3repE0EEENS1_30default_config_static_selectorELNS0_4arch9wavefront6targetE0EEEvT1_,comdat
.Lfunc_end976:
	.size	_ZN7rocprim17ROCPRIM_400000_NS6detail17trampoline_kernelINS0_14default_configENS1_27scan_by_key_config_selectorIssEEZZNS1_16scan_by_key_implILNS1_25lookback_scan_determinismE0ELb0ES3_N6thrust23THRUST_200600_302600_NS6detail15normal_iteratorINS9_10device_ptrIsEEEENS9_18transform_iteratorINS9_6negateIsEESE_NS9_11use_defaultESI_EESE_sNS9_4plusIvEENS9_8equal_toIvEEsEE10hipError_tPvRmT2_T3_T4_T5_mT6_T7_P12ihipStream_tbENKUlT_T0_E_clISt17integral_constantIbLb1EES14_EEDaSZ_S10_EUlSZ_E_NS1_11comp_targetILNS1_3genE5ELNS1_11target_archE942ELNS1_3gpuE9ELNS1_3repE0EEENS1_30default_config_static_selectorELNS0_4arch9wavefront6targetE0EEEvT1_, .Lfunc_end976-_ZN7rocprim17ROCPRIM_400000_NS6detail17trampoline_kernelINS0_14default_configENS1_27scan_by_key_config_selectorIssEEZZNS1_16scan_by_key_implILNS1_25lookback_scan_determinismE0ELb0ES3_N6thrust23THRUST_200600_302600_NS6detail15normal_iteratorINS9_10device_ptrIsEEEENS9_18transform_iteratorINS9_6negateIsEESE_NS9_11use_defaultESI_EESE_sNS9_4plusIvEENS9_8equal_toIvEEsEE10hipError_tPvRmT2_T3_T4_T5_mT6_T7_P12ihipStream_tbENKUlT_T0_E_clISt17integral_constantIbLb1EES14_EEDaSZ_S10_EUlSZ_E_NS1_11comp_targetILNS1_3genE5ELNS1_11target_archE942ELNS1_3gpuE9ELNS1_3repE0EEENS1_30default_config_static_selectorELNS0_4arch9wavefront6targetE0EEEvT1_
                                        ; -- End function
	.set _ZN7rocprim17ROCPRIM_400000_NS6detail17trampoline_kernelINS0_14default_configENS1_27scan_by_key_config_selectorIssEEZZNS1_16scan_by_key_implILNS1_25lookback_scan_determinismE0ELb0ES3_N6thrust23THRUST_200600_302600_NS6detail15normal_iteratorINS9_10device_ptrIsEEEENS9_18transform_iteratorINS9_6negateIsEESE_NS9_11use_defaultESI_EESE_sNS9_4plusIvEENS9_8equal_toIvEEsEE10hipError_tPvRmT2_T3_T4_T5_mT6_T7_P12ihipStream_tbENKUlT_T0_E_clISt17integral_constantIbLb1EES14_EEDaSZ_S10_EUlSZ_E_NS1_11comp_targetILNS1_3genE5ELNS1_11target_archE942ELNS1_3gpuE9ELNS1_3repE0EEENS1_30default_config_static_selectorELNS0_4arch9wavefront6targetE0EEEvT1_.num_vgpr, 0
	.set _ZN7rocprim17ROCPRIM_400000_NS6detail17trampoline_kernelINS0_14default_configENS1_27scan_by_key_config_selectorIssEEZZNS1_16scan_by_key_implILNS1_25lookback_scan_determinismE0ELb0ES3_N6thrust23THRUST_200600_302600_NS6detail15normal_iteratorINS9_10device_ptrIsEEEENS9_18transform_iteratorINS9_6negateIsEESE_NS9_11use_defaultESI_EESE_sNS9_4plusIvEENS9_8equal_toIvEEsEE10hipError_tPvRmT2_T3_T4_T5_mT6_T7_P12ihipStream_tbENKUlT_T0_E_clISt17integral_constantIbLb1EES14_EEDaSZ_S10_EUlSZ_E_NS1_11comp_targetILNS1_3genE5ELNS1_11target_archE942ELNS1_3gpuE9ELNS1_3repE0EEENS1_30default_config_static_selectorELNS0_4arch9wavefront6targetE0EEEvT1_.num_agpr, 0
	.set _ZN7rocprim17ROCPRIM_400000_NS6detail17trampoline_kernelINS0_14default_configENS1_27scan_by_key_config_selectorIssEEZZNS1_16scan_by_key_implILNS1_25lookback_scan_determinismE0ELb0ES3_N6thrust23THRUST_200600_302600_NS6detail15normal_iteratorINS9_10device_ptrIsEEEENS9_18transform_iteratorINS9_6negateIsEESE_NS9_11use_defaultESI_EESE_sNS9_4plusIvEENS9_8equal_toIvEEsEE10hipError_tPvRmT2_T3_T4_T5_mT6_T7_P12ihipStream_tbENKUlT_T0_E_clISt17integral_constantIbLb1EES14_EEDaSZ_S10_EUlSZ_E_NS1_11comp_targetILNS1_3genE5ELNS1_11target_archE942ELNS1_3gpuE9ELNS1_3repE0EEENS1_30default_config_static_selectorELNS0_4arch9wavefront6targetE0EEEvT1_.numbered_sgpr, 0
	.set _ZN7rocprim17ROCPRIM_400000_NS6detail17trampoline_kernelINS0_14default_configENS1_27scan_by_key_config_selectorIssEEZZNS1_16scan_by_key_implILNS1_25lookback_scan_determinismE0ELb0ES3_N6thrust23THRUST_200600_302600_NS6detail15normal_iteratorINS9_10device_ptrIsEEEENS9_18transform_iteratorINS9_6negateIsEESE_NS9_11use_defaultESI_EESE_sNS9_4plusIvEENS9_8equal_toIvEEsEE10hipError_tPvRmT2_T3_T4_T5_mT6_T7_P12ihipStream_tbENKUlT_T0_E_clISt17integral_constantIbLb1EES14_EEDaSZ_S10_EUlSZ_E_NS1_11comp_targetILNS1_3genE5ELNS1_11target_archE942ELNS1_3gpuE9ELNS1_3repE0EEENS1_30default_config_static_selectorELNS0_4arch9wavefront6targetE0EEEvT1_.num_named_barrier, 0
	.set _ZN7rocprim17ROCPRIM_400000_NS6detail17trampoline_kernelINS0_14default_configENS1_27scan_by_key_config_selectorIssEEZZNS1_16scan_by_key_implILNS1_25lookback_scan_determinismE0ELb0ES3_N6thrust23THRUST_200600_302600_NS6detail15normal_iteratorINS9_10device_ptrIsEEEENS9_18transform_iteratorINS9_6negateIsEESE_NS9_11use_defaultESI_EESE_sNS9_4plusIvEENS9_8equal_toIvEEsEE10hipError_tPvRmT2_T3_T4_T5_mT6_T7_P12ihipStream_tbENKUlT_T0_E_clISt17integral_constantIbLb1EES14_EEDaSZ_S10_EUlSZ_E_NS1_11comp_targetILNS1_3genE5ELNS1_11target_archE942ELNS1_3gpuE9ELNS1_3repE0EEENS1_30default_config_static_selectorELNS0_4arch9wavefront6targetE0EEEvT1_.private_seg_size, 0
	.set _ZN7rocprim17ROCPRIM_400000_NS6detail17trampoline_kernelINS0_14default_configENS1_27scan_by_key_config_selectorIssEEZZNS1_16scan_by_key_implILNS1_25lookback_scan_determinismE0ELb0ES3_N6thrust23THRUST_200600_302600_NS6detail15normal_iteratorINS9_10device_ptrIsEEEENS9_18transform_iteratorINS9_6negateIsEESE_NS9_11use_defaultESI_EESE_sNS9_4plusIvEENS9_8equal_toIvEEsEE10hipError_tPvRmT2_T3_T4_T5_mT6_T7_P12ihipStream_tbENKUlT_T0_E_clISt17integral_constantIbLb1EES14_EEDaSZ_S10_EUlSZ_E_NS1_11comp_targetILNS1_3genE5ELNS1_11target_archE942ELNS1_3gpuE9ELNS1_3repE0EEENS1_30default_config_static_selectorELNS0_4arch9wavefront6targetE0EEEvT1_.uses_vcc, 0
	.set _ZN7rocprim17ROCPRIM_400000_NS6detail17trampoline_kernelINS0_14default_configENS1_27scan_by_key_config_selectorIssEEZZNS1_16scan_by_key_implILNS1_25lookback_scan_determinismE0ELb0ES3_N6thrust23THRUST_200600_302600_NS6detail15normal_iteratorINS9_10device_ptrIsEEEENS9_18transform_iteratorINS9_6negateIsEESE_NS9_11use_defaultESI_EESE_sNS9_4plusIvEENS9_8equal_toIvEEsEE10hipError_tPvRmT2_T3_T4_T5_mT6_T7_P12ihipStream_tbENKUlT_T0_E_clISt17integral_constantIbLb1EES14_EEDaSZ_S10_EUlSZ_E_NS1_11comp_targetILNS1_3genE5ELNS1_11target_archE942ELNS1_3gpuE9ELNS1_3repE0EEENS1_30default_config_static_selectorELNS0_4arch9wavefront6targetE0EEEvT1_.uses_flat_scratch, 0
	.set _ZN7rocprim17ROCPRIM_400000_NS6detail17trampoline_kernelINS0_14default_configENS1_27scan_by_key_config_selectorIssEEZZNS1_16scan_by_key_implILNS1_25lookback_scan_determinismE0ELb0ES3_N6thrust23THRUST_200600_302600_NS6detail15normal_iteratorINS9_10device_ptrIsEEEENS9_18transform_iteratorINS9_6negateIsEESE_NS9_11use_defaultESI_EESE_sNS9_4plusIvEENS9_8equal_toIvEEsEE10hipError_tPvRmT2_T3_T4_T5_mT6_T7_P12ihipStream_tbENKUlT_T0_E_clISt17integral_constantIbLb1EES14_EEDaSZ_S10_EUlSZ_E_NS1_11comp_targetILNS1_3genE5ELNS1_11target_archE942ELNS1_3gpuE9ELNS1_3repE0EEENS1_30default_config_static_selectorELNS0_4arch9wavefront6targetE0EEEvT1_.has_dyn_sized_stack, 0
	.set _ZN7rocprim17ROCPRIM_400000_NS6detail17trampoline_kernelINS0_14default_configENS1_27scan_by_key_config_selectorIssEEZZNS1_16scan_by_key_implILNS1_25lookback_scan_determinismE0ELb0ES3_N6thrust23THRUST_200600_302600_NS6detail15normal_iteratorINS9_10device_ptrIsEEEENS9_18transform_iteratorINS9_6negateIsEESE_NS9_11use_defaultESI_EESE_sNS9_4plusIvEENS9_8equal_toIvEEsEE10hipError_tPvRmT2_T3_T4_T5_mT6_T7_P12ihipStream_tbENKUlT_T0_E_clISt17integral_constantIbLb1EES14_EEDaSZ_S10_EUlSZ_E_NS1_11comp_targetILNS1_3genE5ELNS1_11target_archE942ELNS1_3gpuE9ELNS1_3repE0EEENS1_30default_config_static_selectorELNS0_4arch9wavefront6targetE0EEEvT1_.has_recursion, 0
	.set _ZN7rocprim17ROCPRIM_400000_NS6detail17trampoline_kernelINS0_14default_configENS1_27scan_by_key_config_selectorIssEEZZNS1_16scan_by_key_implILNS1_25lookback_scan_determinismE0ELb0ES3_N6thrust23THRUST_200600_302600_NS6detail15normal_iteratorINS9_10device_ptrIsEEEENS9_18transform_iteratorINS9_6negateIsEESE_NS9_11use_defaultESI_EESE_sNS9_4plusIvEENS9_8equal_toIvEEsEE10hipError_tPvRmT2_T3_T4_T5_mT6_T7_P12ihipStream_tbENKUlT_T0_E_clISt17integral_constantIbLb1EES14_EEDaSZ_S10_EUlSZ_E_NS1_11comp_targetILNS1_3genE5ELNS1_11target_archE942ELNS1_3gpuE9ELNS1_3repE0EEENS1_30default_config_static_selectorELNS0_4arch9wavefront6targetE0EEEvT1_.has_indirect_call, 0
	.section	.AMDGPU.csdata,"",@progbits
; Kernel info:
; codeLenInByte = 0
; TotalNumSgprs: 0
; NumVgprs: 0
; ScratchSize: 0
; MemoryBound: 0
; FloatMode: 240
; IeeeMode: 1
; LDSByteSize: 0 bytes/workgroup (compile time only)
; SGPRBlocks: 0
; VGPRBlocks: 0
; NumSGPRsForWavesPerEU: 1
; NumVGPRsForWavesPerEU: 1
; Occupancy: 16
; WaveLimiterHint : 0
; COMPUTE_PGM_RSRC2:SCRATCH_EN: 0
; COMPUTE_PGM_RSRC2:USER_SGPR: 6
; COMPUTE_PGM_RSRC2:TRAP_HANDLER: 0
; COMPUTE_PGM_RSRC2:TGID_X_EN: 1
; COMPUTE_PGM_RSRC2:TGID_Y_EN: 0
; COMPUTE_PGM_RSRC2:TGID_Z_EN: 0
; COMPUTE_PGM_RSRC2:TIDIG_COMP_CNT: 0
	.section	.text._ZN7rocprim17ROCPRIM_400000_NS6detail17trampoline_kernelINS0_14default_configENS1_27scan_by_key_config_selectorIssEEZZNS1_16scan_by_key_implILNS1_25lookback_scan_determinismE0ELb0ES3_N6thrust23THRUST_200600_302600_NS6detail15normal_iteratorINS9_10device_ptrIsEEEENS9_18transform_iteratorINS9_6negateIsEESE_NS9_11use_defaultESI_EESE_sNS9_4plusIvEENS9_8equal_toIvEEsEE10hipError_tPvRmT2_T3_T4_T5_mT6_T7_P12ihipStream_tbENKUlT_T0_E_clISt17integral_constantIbLb1EES14_EEDaSZ_S10_EUlSZ_E_NS1_11comp_targetILNS1_3genE4ELNS1_11target_archE910ELNS1_3gpuE8ELNS1_3repE0EEENS1_30default_config_static_selectorELNS0_4arch9wavefront6targetE0EEEvT1_,"axG",@progbits,_ZN7rocprim17ROCPRIM_400000_NS6detail17trampoline_kernelINS0_14default_configENS1_27scan_by_key_config_selectorIssEEZZNS1_16scan_by_key_implILNS1_25lookback_scan_determinismE0ELb0ES3_N6thrust23THRUST_200600_302600_NS6detail15normal_iteratorINS9_10device_ptrIsEEEENS9_18transform_iteratorINS9_6negateIsEESE_NS9_11use_defaultESI_EESE_sNS9_4plusIvEENS9_8equal_toIvEEsEE10hipError_tPvRmT2_T3_T4_T5_mT6_T7_P12ihipStream_tbENKUlT_T0_E_clISt17integral_constantIbLb1EES14_EEDaSZ_S10_EUlSZ_E_NS1_11comp_targetILNS1_3genE4ELNS1_11target_archE910ELNS1_3gpuE8ELNS1_3repE0EEENS1_30default_config_static_selectorELNS0_4arch9wavefront6targetE0EEEvT1_,comdat
	.protected	_ZN7rocprim17ROCPRIM_400000_NS6detail17trampoline_kernelINS0_14default_configENS1_27scan_by_key_config_selectorIssEEZZNS1_16scan_by_key_implILNS1_25lookback_scan_determinismE0ELb0ES3_N6thrust23THRUST_200600_302600_NS6detail15normal_iteratorINS9_10device_ptrIsEEEENS9_18transform_iteratorINS9_6negateIsEESE_NS9_11use_defaultESI_EESE_sNS9_4plusIvEENS9_8equal_toIvEEsEE10hipError_tPvRmT2_T3_T4_T5_mT6_T7_P12ihipStream_tbENKUlT_T0_E_clISt17integral_constantIbLb1EES14_EEDaSZ_S10_EUlSZ_E_NS1_11comp_targetILNS1_3genE4ELNS1_11target_archE910ELNS1_3gpuE8ELNS1_3repE0EEENS1_30default_config_static_selectorELNS0_4arch9wavefront6targetE0EEEvT1_ ; -- Begin function _ZN7rocprim17ROCPRIM_400000_NS6detail17trampoline_kernelINS0_14default_configENS1_27scan_by_key_config_selectorIssEEZZNS1_16scan_by_key_implILNS1_25lookback_scan_determinismE0ELb0ES3_N6thrust23THRUST_200600_302600_NS6detail15normal_iteratorINS9_10device_ptrIsEEEENS9_18transform_iteratorINS9_6negateIsEESE_NS9_11use_defaultESI_EESE_sNS9_4plusIvEENS9_8equal_toIvEEsEE10hipError_tPvRmT2_T3_T4_T5_mT6_T7_P12ihipStream_tbENKUlT_T0_E_clISt17integral_constantIbLb1EES14_EEDaSZ_S10_EUlSZ_E_NS1_11comp_targetILNS1_3genE4ELNS1_11target_archE910ELNS1_3gpuE8ELNS1_3repE0EEENS1_30default_config_static_selectorELNS0_4arch9wavefront6targetE0EEEvT1_
	.globl	_ZN7rocprim17ROCPRIM_400000_NS6detail17trampoline_kernelINS0_14default_configENS1_27scan_by_key_config_selectorIssEEZZNS1_16scan_by_key_implILNS1_25lookback_scan_determinismE0ELb0ES3_N6thrust23THRUST_200600_302600_NS6detail15normal_iteratorINS9_10device_ptrIsEEEENS9_18transform_iteratorINS9_6negateIsEESE_NS9_11use_defaultESI_EESE_sNS9_4plusIvEENS9_8equal_toIvEEsEE10hipError_tPvRmT2_T3_T4_T5_mT6_T7_P12ihipStream_tbENKUlT_T0_E_clISt17integral_constantIbLb1EES14_EEDaSZ_S10_EUlSZ_E_NS1_11comp_targetILNS1_3genE4ELNS1_11target_archE910ELNS1_3gpuE8ELNS1_3repE0EEENS1_30default_config_static_selectorELNS0_4arch9wavefront6targetE0EEEvT1_
	.p2align	8
	.type	_ZN7rocprim17ROCPRIM_400000_NS6detail17trampoline_kernelINS0_14default_configENS1_27scan_by_key_config_selectorIssEEZZNS1_16scan_by_key_implILNS1_25lookback_scan_determinismE0ELb0ES3_N6thrust23THRUST_200600_302600_NS6detail15normal_iteratorINS9_10device_ptrIsEEEENS9_18transform_iteratorINS9_6negateIsEESE_NS9_11use_defaultESI_EESE_sNS9_4plusIvEENS9_8equal_toIvEEsEE10hipError_tPvRmT2_T3_T4_T5_mT6_T7_P12ihipStream_tbENKUlT_T0_E_clISt17integral_constantIbLb1EES14_EEDaSZ_S10_EUlSZ_E_NS1_11comp_targetILNS1_3genE4ELNS1_11target_archE910ELNS1_3gpuE8ELNS1_3repE0EEENS1_30default_config_static_selectorELNS0_4arch9wavefront6targetE0EEEvT1_,@function
_ZN7rocprim17ROCPRIM_400000_NS6detail17trampoline_kernelINS0_14default_configENS1_27scan_by_key_config_selectorIssEEZZNS1_16scan_by_key_implILNS1_25lookback_scan_determinismE0ELb0ES3_N6thrust23THRUST_200600_302600_NS6detail15normal_iteratorINS9_10device_ptrIsEEEENS9_18transform_iteratorINS9_6negateIsEESE_NS9_11use_defaultESI_EESE_sNS9_4plusIvEENS9_8equal_toIvEEsEE10hipError_tPvRmT2_T3_T4_T5_mT6_T7_P12ihipStream_tbENKUlT_T0_E_clISt17integral_constantIbLb1EES14_EEDaSZ_S10_EUlSZ_E_NS1_11comp_targetILNS1_3genE4ELNS1_11target_archE910ELNS1_3gpuE8ELNS1_3repE0EEENS1_30default_config_static_selectorELNS0_4arch9wavefront6targetE0EEEvT1_: ; @_ZN7rocprim17ROCPRIM_400000_NS6detail17trampoline_kernelINS0_14default_configENS1_27scan_by_key_config_selectorIssEEZZNS1_16scan_by_key_implILNS1_25lookback_scan_determinismE0ELb0ES3_N6thrust23THRUST_200600_302600_NS6detail15normal_iteratorINS9_10device_ptrIsEEEENS9_18transform_iteratorINS9_6negateIsEESE_NS9_11use_defaultESI_EESE_sNS9_4plusIvEENS9_8equal_toIvEEsEE10hipError_tPvRmT2_T3_T4_T5_mT6_T7_P12ihipStream_tbENKUlT_T0_E_clISt17integral_constantIbLb1EES14_EEDaSZ_S10_EUlSZ_E_NS1_11comp_targetILNS1_3genE4ELNS1_11target_archE910ELNS1_3gpuE8ELNS1_3repE0EEENS1_30default_config_static_selectorELNS0_4arch9wavefront6targetE0EEEvT1_
; %bb.0:
	.section	.rodata,"a",@progbits
	.p2align	6, 0x0
	.amdhsa_kernel _ZN7rocprim17ROCPRIM_400000_NS6detail17trampoline_kernelINS0_14default_configENS1_27scan_by_key_config_selectorIssEEZZNS1_16scan_by_key_implILNS1_25lookback_scan_determinismE0ELb0ES3_N6thrust23THRUST_200600_302600_NS6detail15normal_iteratorINS9_10device_ptrIsEEEENS9_18transform_iteratorINS9_6negateIsEESE_NS9_11use_defaultESI_EESE_sNS9_4plusIvEENS9_8equal_toIvEEsEE10hipError_tPvRmT2_T3_T4_T5_mT6_T7_P12ihipStream_tbENKUlT_T0_E_clISt17integral_constantIbLb1EES14_EEDaSZ_S10_EUlSZ_E_NS1_11comp_targetILNS1_3genE4ELNS1_11target_archE910ELNS1_3gpuE8ELNS1_3repE0EEENS1_30default_config_static_selectorELNS0_4arch9wavefront6targetE0EEEvT1_
		.amdhsa_group_segment_fixed_size 0
		.amdhsa_private_segment_fixed_size 0
		.amdhsa_kernarg_size 120
		.amdhsa_user_sgpr_count 6
		.amdhsa_user_sgpr_private_segment_buffer 1
		.amdhsa_user_sgpr_dispatch_ptr 0
		.amdhsa_user_sgpr_queue_ptr 0
		.amdhsa_user_sgpr_kernarg_segment_ptr 1
		.amdhsa_user_sgpr_dispatch_id 0
		.amdhsa_user_sgpr_flat_scratch_init 0
		.amdhsa_user_sgpr_private_segment_size 0
		.amdhsa_wavefront_size32 1
		.amdhsa_uses_dynamic_stack 0
		.amdhsa_system_sgpr_private_segment_wavefront_offset 0
		.amdhsa_system_sgpr_workgroup_id_x 1
		.amdhsa_system_sgpr_workgroup_id_y 0
		.amdhsa_system_sgpr_workgroup_id_z 0
		.amdhsa_system_sgpr_workgroup_info 0
		.amdhsa_system_vgpr_workitem_id 0
		.amdhsa_next_free_vgpr 1
		.amdhsa_next_free_sgpr 1
		.amdhsa_reserve_vcc 0
		.amdhsa_reserve_flat_scratch 0
		.amdhsa_float_round_mode_32 0
		.amdhsa_float_round_mode_16_64 0
		.amdhsa_float_denorm_mode_32 3
		.amdhsa_float_denorm_mode_16_64 3
		.amdhsa_dx10_clamp 1
		.amdhsa_ieee_mode 1
		.amdhsa_fp16_overflow 0
		.amdhsa_workgroup_processor_mode 1
		.amdhsa_memory_ordered 1
		.amdhsa_forward_progress 1
		.amdhsa_shared_vgpr_count 0
		.amdhsa_exception_fp_ieee_invalid_op 0
		.amdhsa_exception_fp_denorm_src 0
		.amdhsa_exception_fp_ieee_div_zero 0
		.amdhsa_exception_fp_ieee_overflow 0
		.amdhsa_exception_fp_ieee_underflow 0
		.amdhsa_exception_fp_ieee_inexact 0
		.amdhsa_exception_int_div_zero 0
	.end_amdhsa_kernel
	.section	.text._ZN7rocprim17ROCPRIM_400000_NS6detail17trampoline_kernelINS0_14default_configENS1_27scan_by_key_config_selectorIssEEZZNS1_16scan_by_key_implILNS1_25lookback_scan_determinismE0ELb0ES3_N6thrust23THRUST_200600_302600_NS6detail15normal_iteratorINS9_10device_ptrIsEEEENS9_18transform_iteratorINS9_6negateIsEESE_NS9_11use_defaultESI_EESE_sNS9_4plusIvEENS9_8equal_toIvEEsEE10hipError_tPvRmT2_T3_T4_T5_mT6_T7_P12ihipStream_tbENKUlT_T0_E_clISt17integral_constantIbLb1EES14_EEDaSZ_S10_EUlSZ_E_NS1_11comp_targetILNS1_3genE4ELNS1_11target_archE910ELNS1_3gpuE8ELNS1_3repE0EEENS1_30default_config_static_selectorELNS0_4arch9wavefront6targetE0EEEvT1_,"axG",@progbits,_ZN7rocprim17ROCPRIM_400000_NS6detail17trampoline_kernelINS0_14default_configENS1_27scan_by_key_config_selectorIssEEZZNS1_16scan_by_key_implILNS1_25lookback_scan_determinismE0ELb0ES3_N6thrust23THRUST_200600_302600_NS6detail15normal_iteratorINS9_10device_ptrIsEEEENS9_18transform_iteratorINS9_6negateIsEESE_NS9_11use_defaultESI_EESE_sNS9_4plusIvEENS9_8equal_toIvEEsEE10hipError_tPvRmT2_T3_T4_T5_mT6_T7_P12ihipStream_tbENKUlT_T0_E_clISt17integral_constantIbLb1EES14_EEDaSZ_S10_EUlSZ_E_NS1_11comp_targetILNS1_3genE4ELNS1_11target_archE910ELNS1_3gpuE8ELNS1_3repE0EEENS1_30default_config_static_selectorELNS0_4arch9wavefront6targetE0EEEvT1_,comdat
.Lfunc_end977:
	.size	_ZN7rocprim17ROCPRIM_400000_NS6detail17trampoline_kernelINS0_14default_configENS1_27scan_by_key_config_selectorIssEEZZNS1_16scan_by_key_implILNS1_25lookback_scan_determinismE0ELb0ES3_N6thrust23THRUST_200600_302600_NS6detail15normal_iteratorINS9_10device_ptrIsEEEENS9_18transform_iteratorINS9_6negateIsEESE_NS9_11use_defaultESI_EESE_sNS9_4plusIvEENS9_8equal_toIvEEsEE10hipError_tPvRmT2_T3_T4_T5_mT6_T7_P12ihipStream_tbENKUlT_T0_E_clISt17integral_constantIbLb1EES14_EEDaSZ_S10_EUlSZ_E_NS1_11comp_targetILNS1_3genE4ELNS1_11target_archE910ELNS1_3gpuE8ELNS1_3repE0EEENS1_30default_config_static_selectorELNS0_4arch9wavefront6targetE0EEEvT1_, .Lfunc_end977-_ZN7rocprim17ROCPRIM_400000_NS6detail17trampoline_kernelINS0_14default_configENS1_27scan_by_key_config_selectorIssEEZZNS1_16scan_by_key_implILNS1_25lookback_scan_determinismE0ELb0ES3_N6thrust23THRUST_200600_302600_NS6detail15normal_iteratorINS9_10device_ptrIsEEEENS9_18transform_iteratorINS9_6negateIsEESE_NS9_11use_defaultESI_EESE_sNS9_4plusIvEENS9_8equal_toIvEEsEE10hipError_tPvRmT2_T3_T4_T5_mT6_T7_P12ihipStream_tbENKUlT_T0_E_clISt17integral_constantIbLb1EES14_EEDaSZ_S10_EUlSZ_E_NS1_11comp_targetILNS1_3genE4ELNS1_11target_archE910ELNS1_3gpuE8ELNS1_3repE0EEENS1_30default_config_static_selectorELNS0_4arch9wavefront6targetE0EEEvT1_
                                        ; -- End function
	.set _ZN7rocprim17ROCPRIM_400000_NS6detail17trampoline_kernelINS0_14default_configENS1_27scan_by_key_config_selectorIssEEZZNS1_16scan_by_key_implILNS1_25lookback_scan_determinismE0ELb0ES3_N6thrust23THRUST_200600_302600_NS6detail15normal_iteratorINS9_10device_ptrIsEEEENS9_18transform_iteratorINS9_6negateIsEESE_NS9_11use_defaultESI_EESE_sNS9_4plusIvEENS9_8equal_toIvEEsEE10hipError_tPvRmT2_T3_T4_T5_mT6_T7_P12ihipStream_tbENKUlT_T0_E_clISt17integral_constantIbLb1EES14_EEDaSZ_S10_EUlSZ_E_NS1_11comp_targetILNS1_3genE4ELNS1_11target_archE910ELNS1_3gpuE8ELNS1_3repE0EEENS1_30default_config_static_selectorELNS0_4arch9wavefront6targetE0EEEvT1_.num_vgpr, 0
	.set _ZN7rocprim17ROCPRIM_400000_NS6detail17trampoline_kernelINS0_14default_configENS1_27scan_by_key_config_selectorIssEEZZNS1_16scan_by_key_implILNS1_25lookback_scan_determinismE0ELb0ES3_N6thrust23THRUST_200600_302600_NS6detail15normal_iteratorINS9_10device_ptrIsEEEENS9_18transform_iteratorINS9_6negateIsEESE_NS9_11use_defaultESI_EESE_sNS9_4plusIvEENS9_8equal_toIvEEsEE10hipError_tPvRmT2_T3_T4_T5_mT6_T7_P12ihipStream_tbENKUlT_T0_E_clISt17integral_constantIbLb1EES14_EEDaSZ_S10_EUlSZ_E_NS1_11comp_targetILNS1_3genE4ELNS1_11target_archE910ELNS1_3gpuE8ELNS1_3repE0EEENS1_30default_config_static_selectorELNS0_4arch9wavefront6targetE0EEEvT1_.num_agpr, 0
	.set _ZN7rocprim17ROCPRIM_400000_NS6detail17trampoline_kernelINS0_14default_configENS1_27scan_by_key_config_selectorIssEEZZNS1_16scan_by_key_implILNS1_25lookback_scan_determinismE0ELb0ES3_N6thrust23THRUST_200600_302600_NS6detail15normal_iteratorINS9_10device_ptrIsEEEENS9_18transform_iteratorINS9_6negateIsEESE_NS9_11use_defaultESI_EESE_sNS9_4plusIvEENS9_8equal_toIvEEsEE10hipError_tPvRmT2_T3_T4_T5_mT6_T7_P12ihipStream_tbENKUlT_T0_E_clISt17integral_constantIbLb1EES14_EEDaSZ_S10_EUlSZ_E_NS1_11comp_targetILNS1_3genE4ELNS1_11target_archE910ELNS1_3gpuE8ELNS1_3repE0EEENS1_30default_config_static_selectorELNS0_4arch9wavefront6targetE0EEEvT1_.numbered_sgpr, 0
	.set _ZN7rocprim17ROCPRIM_400000_NS6detail17trampoline_kernelINS0_14default_configENS1_27scan_by_key_config_selectorIssEEZZNS1_16scan_by_key_implILNS1_25lookback_scan_determinismE0ELb0ES3_N6thrust23THRUST_200600_302600_NS6detail15normal_iteratorINS9_10device_ptrIsEEEENS9_18transform_iteratorINS9_6negateIsEESE_NS9_11use_defaultESI_EESE_sNS9_4plusIvEENS9_8equal_toIvEEsEE10hipError_tPvRmT2_T3_T4_T5_mT6_T7_P12ihipStream_tbENKUlT_T0_E_clISt17integral_constantIbLb1EES14_EEDaSZ_S10_EUlSZ_E_NS1_11comp_targetILNS1_3genE4ELNS1_11target_archE910ELNS1_3gpuE8ELNS1_3repE0EEENS1_30default_config_static_selectorELNS0_4arch9wavefront6targetE0EEEvT1_.num_named_barrier, 0
	.set _ZN7rocprim17ROCPRIM_400000_NS6detail17trampoline_kernelINS0_14default_configENS1_27scan_by_key_config_selectorIssEEZZNS1_16scan_by_key_implILNS1_25lookback_scan_determinismE0ELb0ES3_N6thrust23THRUST_200600_302600_NS6detail15normal_iteratorINS9_10device_ptrIsEEEENS9_18transform_iteratorINS9_6negateIsEESE_NS9_11use_defaultESI_EESE_sNS9_4plusIvEENS9_8equal_toIvEEsEE10hipError_tPvRmT2_T3_T4_T5_mT6_T7_P12ihipStream_tbENKUlT_T0_E_clISt17integral_constantIbLb1EES14_EEDaSZ_S10_EUlSZ_E_NS1_11comp_targetILNS1_3genE4ELNS1_11target_archE910ELNS1_3gpuE8ELNS1_3repE0EEENS1_30default_config_static_selectorELNS0_4arch9wavefront6targetE0EEEvT1_.private_seg_size, 0
	.set _ZN7rocprim17ROCPRIM_400000_NS6detail17trampoline_kernelINS0_14default_configENS1_27scan_by_key_config_selectorIssEEZZNS1_16scan_by_key_implILNS1_25lookback_scan_determinismE0ELb0ES3_N6thrust23THRUST_200600_302600_NS6detail15normal_iteratorINS9_10device_ptrIsEEEENS9_18transform_iteratorINS9_6negateIsEESE_NS9_11use_defaultESI_EESE_sNS9_4plusIvEENS9_8equal_toIvEEsEE10hipError_tPvRmT2_T3_T4_T5_mT6_T7_P12ihipStream_tbENKUlT_T0_E_clISt17integral_constantIbLb1EES14_EEDaSZ_S10_EUlSZ_E_NS1_11comp_targetILNS1_3genE4ELNS1_11target_archE910ELNS1_3gpuE8ELNS1_3repE0EEENS1_30default_config_static_selectorELNS0_4arch9wavefront6targetE0EEEvT1_.uses_vcc, 0
	.set _ZN7rocprim17ROCPRIM_400000_NS6detail17trampoline_kernelINS0_14default_configENS1_27scan_by_key_config_selectorIssEEZZNS1_16scan_by_key_implILNS1_25lookback_scan_determinismE0ELb0ES3_N6thrust23THRUST_200600_302600_NS6detail15normal_iteratorINS9_10device_ptrIsEEEENS9_18transform_iteratorINS9_6negateIsEESE_NS9_11use_defaultESI_EESE_sNS9_4plusIvEENS9_8equal_toIvEEsEE10hipError_tPvRmT2_T3_T4_T5_mT6_T7_P12ihipStream_tbENKUlT_T0_E_clISt17integral_constantIbLb1EES14_EEDaSZ_S10_EUlSZ_E_NS1_11comp_targetILNS1_3genE4ELNS1_11target_archE910ELNS1_3gpuE8ELNS1_3repE0EEENS1_30default_config_static_selectorELNS0_4arch9wavefront6targetE0EEEvT1_.uses_flat_scratch, 0
	.set _ZN7rocprim17ROCPRIM_400000_NS6detail17trampoline_kernelINS0_14default_configENS1_27scan_by_key_config_selectorIssEEZZNS1_16scan_by_key_implILNS1_25lookback_scan_determinismE0ELb0ES3_N6thrust23THRUST_200600_302600_NS6detail15normal_iteratorINS9_10device_ptrIsEEEENS9_18transform_iteratorINS9_6negateIsEESE_NS9_11use_defaultESI_EESE_sNS9_4plusIvEENS9_8equal_toIvEEsEE10hipError_tPvRmT2_T3_T4_T5_mT6_T7_P12ihipStream_tbENKUlT_T0_E_clISt17integral_constantIbLb1EES14_EEDaSZ_S10_EUlSZ_E_NS1_11comp_targetILNS1_3genE4ELNS1_11target_archE910ELNS1_3gpuE8ELNS1_3repE0EEENS1_30default_config_static_selectorELNS0_4arch9wavefront6targetE0EEEvT1_.has_dyn_sized_stack, 0
	.set _ZN7rocprim17ROCPRIM_400000_NS6detail17trampoline_kernelINS0_14default_configENS1_27scan_by_key_config_selectorIssEEZZNS1_16scan_by_key_implILNS1_25lookback_scan_determinismE0ELb0ES3_N6thrust23THRUST_200600_302600_NS6detail15normal_iteratorINS9_10device_ptrIsEEEENS9_18transform_iteratorINS9_6negateIsEESE_NS9_11use_defaultESI_EESE_sNS9_4plusIvEENS9_8equal_toIvEEsEE10hipError_tPvRmT2_T3_T4_T5_mT6_T7_P12ihipStream_tbENKUlT_T0_E_clISt17integral_constantIbLb1EES14_EEDaSZ_S10_EUlSZ_E_NS1_11comp_targetILNS1_3genE4ELNS1_11target_archE910ELNS1_3gpuE8ELNS1_3repE0EEENS1_30default_config_static_selectorELNS0_4arch9wavefront6targetE0EEEvT1_.has_recursion, 0
	.set _ZN7rocprim17ROCPRIM_400000_NS6detail17trampoline_kernelINS0_14default_configENS1_27scan_by_key_config_selectorIssEEZZNS1_16scan_by_key_implILNS1_25lookback_scan_determinismE0ELb0ES3_N6thrust23THRUST_200600_302600_NS6detail15normal_iteratorINS9_10device_ptrIsEEEENS9_18transform_iteratorINS9_6negateIsEESE_NS9_11use_defaultESI_EESE_sNS9_4plusIvEENS9_8equal_toIvEEsEE10hipError_tPvRmT2_T3_T4_T5_mT6_T7_P12ihipStream_tbENKUlT_T0_E_clISt17integral_constantIbLb1EES14_EEDaSZ_S10_EUlSZ_E_NS1_11comp_targetILNS1_3genE4ELNS1_11target_archE910ELNS1_3gpuE8ELNS1_3repE0EEENS1_30default_config_static_selectorELNS0_4arch9wavefront6targetE0EEEvT1_.has_indirect_call, 0
	.section	.AMDGPU.csdata,"",@progbits
; Kernel info:
; codeLenInByte = 0
; TotalNumSgprs: 0
; NumVgprs: 0
; ScratchSize: 0
; MemoryBound: 0
; FloatMode: 240
; IeeeMode: 1
; LDSByteSize: 0 bytes/workgroup (compile time only)
; SGPRBlocks: 0
; VGPRBlocks: 0
; NumSGPRsForWavesPerEU: 1
; NumVGPRsForWavesPerEU: 1
; Occupancy: 16
; WaveLimiterHint : 0
; COMPUTE_PGM_RSRC2:SCRATCH_EN: 0
; COMPUTE_PGM_RSRC2:USER_SGPR: 6
; COMPUTE_PGM_RSRC2:TRAP_HANDLER: 0
; COMPUTE_PGM_RSRC2:TGID_X_EN: 1
; COMPUTE_PGM_RSRC2:TGID_Y_EN: 0
; COMPUTE_PGM_RSRC2:TGID_Z_EN: 0
; COMPUTE_PGM_RSRC2:TIDIG_COMP_CNT: 0
	.section	.text._ZN7rocprim17ROCPRIM_400000_NS6detail17trampoline_kernelINS0_14default_configENS1_27scan_by_key_config_selectorIssEEZZNS1_16scan_by_key_implILNS1_25lookback_scan_determinismE0ELb0ES3_N6thrust23THRUST_200600_302600_NS6detail15normal_iteratorINS9_10device_ptrIsEEEENS9_18transform_iteratorINS9_6negateIsEESE_NS9_11use_defaultESI_EESE_sNS9_4plusIvEENS9_8equal_toIvEEsEE10hipError_tPvRmT2_T3_T4_T5_mT6_T7_P12ihipStream_tbENKUlT_T0_E_clISt17integral_constantIbLb1EES14_EEDaSZ_S10_EUlSZ_E_NS1_11comp_targetILNS1_3genE3ELNS1_11target_archE908ELNS1_3gpuE7ELNS1_3repE0EEENS1_30default_config_static_selectorELNS0_4arch9wavefront6targetE0EEEvT1_,"axG",@progbits,_ZN7rocprim17ROCPRIM_400000_NS6detail17trampoline_kernelINS0_14default_configENS1_27scan_by_key_config_selectorIssEEZZNS1_16scan_by_key_implILNS1_25lookback_scan_determinismE0ELb0ES3_N6thrust23THRUST_200600_302600_NS6detail15normal_iteratorINS9_10device_ptrIsEEEENS9_18transform_iteratorINS9_6negateIsEESE_NS9_11use_defaultESI_EESE_sNS9_4plusIvEENS9_8equal_toIvEEsEE10hipError_tPvRmT2_T3_T4_T5_mT6_T7_P12ihipStream_tbENKUlT_T0_E_clISt17integral_constantIbLb1EES14_EEDaSZ_S10_EUlSZ_E_NS1_11comp_targetILNS1_3genE3ELNS1_11target_archE908ELNS1_3gpuE7ELNS1_3repE0EEENS1_30default_config_static_selectorELNS0_4arch9wavefront6targetE0EEEvT1_,comdat
	.protected	_ZN7rocprim17ROCPRIM_400000_NS6detail17trampoline_kernelINS0_14default_configENS1_27scan_by_key_config_selectorIssEEZZNS1_16scan_by_key_implILNS1_25lookback_scan_determinismE0ELb0ES3_N6thrust23THRUST_200600_302600_NS6detail15normal_iteratorINS9_10device_ptrIsEEEENS9_18transform_iteratorINS9_6negateIsEESE_NS9_11use_defaultESI_EESE_sNS9_4plusIvEENS9_8equal_toIvEEsEE10hipError_tPvRmT2_T3_T4_T5_mT6_T7_P12ihipStream_tbENKUlT_T0_E_clISt17integral_constantIbLb1EES14_EEDaSZ_S10_EUlSZ_E_NS1_11comp_targetILNS1_3genE3ELNS1_11target_archE908ELNS1_3gpuE7ELNS1_3repE0EEENS1_30default_config_static_selectorELNS0_4arch9wavefront6targetE0EEEvT1_ ; -- Begin function _ZN7rocprim17ROCPRIM_400000_NS6detail17trampoline_kernelINS0_14default_configENS1_27scan_by_key_config_selectorIssEEZZNS1_16scan_by_key_implILNS1_25lookback_scan_determinismE0ELb0ES3_N6thrust23THRUST_200600_302600_NS6detail15normal_iteratorINS9_10device_ptrIsEEEENS9_18transform_iteratorINS9_6negateIsEESE_NS9_11use_defaultESI_EESE_sNS9_4plusIvEENS9_8equal_toIvEEsEE10hipError_tPvRmT2_T3_T4_T5_mT6_T7_P12ihipStream_tbENKUlT_T0_E_clISt17integral_constantIbLb1EES14_EEDaSZ_S10_EUlSZ_E_NS1_11comp_targetILNS1_3genE3ELNS1_11target_archE908ELNS1_3gpuE7ELNS1_3repE0EEENS1_30default_config_static_selectorELNS0_4arch9wavefront6targetE0EEEvT1_
	.globl	_ZN7rocprim17ROCPRIM_400000_NS6detail17trampoline_kernelINS0_14default_configENS1_27scan_by_key_config_selectorIssEEZZNS1_16scan_by_key_implILNS1_25lookback_scan_determinismE0ELb0ES3_N6thrust23THRUST_200600_302600_NS6detail15normal_iteratorINS9_10device_ptrIsEEEENS9_18transform_iteratorINS9_6negateIsEESE_NS9_11use_defaultESI_EESE_sNS9_4plusIvEENS9_8equal_toIvEEsEE10hipError_tPvRmT2_T3_T4_T5_mT6_T7_P12ihipStream_tbENKUlT_T0_E_clISt17integral_constantIbLb1EES14_EEDaSZ_S10_EUlSZ_E_NS1_11comp_targetILNS1_3genE3ELNS1_11target_archE908ELNS1_3gpuE7ELNS1_3repE0EEENS1_30default_config_static_selectorELNS0_4arch9wavefront6targetE0EEEvT1_
	.p2align	8
	.type	_ZN7rocprim17ROCPRIM_400000_NS6detail17trampoline_kernelINS0_14default_configENS1_27scan_by_key_config_selectorIssEEZZNS1_16scan_by_key_implILNS1_25lookback_scan_determinismE0ELb0ES3_N6thrust23THRUST_200600_302600_NS6detail15normal_iteratorINS9_10device_ptrIsEEEENS9_18transform_iteratorINS9_6negateIsEESE_NS9_11use_defaultESI_EESE_sNS9_4plusIvEENS9_8equal_toIvEEsEE10hipError_tPvRmT2_T3_T4_T5_mT6_T7_P12ihipStream_tbENKUlT_T0_E_clISt17integral_constantIbLb1EES14_EEDaSZ_S10_EUlSZ_E_NS1_11comp_targetILNS1_3genE3ELNS1_11target_archE908ELNS1_3gpuE7ELNS1_3repE0EEENS1_30default_config_static_selectorELNS0_4arch9wavefront6targetE0EEEvT1_,@function
_ZN7rocprim17ROCPRIM_400000_NS6detail17trampoline_kernelINS0_14default_configENS1_27scan_by_key_config_selectorIssEEZZNS1_16scan_by_key_implILNS1_25lookback_scan_determinismE0ELb0ES3_N6thrust23THRUST_200600_302600_NS6detail15normal_iteratorINS9_10device_ptrIsEEEENS9_18transform_iteratorINS9_6negateIsEESE_NS9_11use_defaultESI_EESE_sNS9_4plusIvEENS9_8equal_toIvEEsEE10hipError_tPvRmT2_T3_T4_T5_mT6_T7_P12ihipStream_tbENKUlT_T0_E_clISt17integral_constantIbLb1EES14_EEDaSZ_S10_EUlSZ_E_NS1_11comp_targetILNS1_3genE3ELNS1_11target_archE908ELNS1_3gpuE7ELNS1_3repE0EEENS1_30default_config_static_selectorELNS0_4arch9wavefront6targetE0EEEvT1_: ; @_ZN7rocprim17ROCPRIM_400000_NS6detail17trampoline_kernelINS0_14default_configENS1_27scan_by_key_config_selectorIssEEZZNS1_16scan_by_key_implILNS1_25lookback_scan_determinismE0ELb0ES3_N6thrust23THRUST_200600_302600_NS6detail15normal_iteratorINS9_10device_ptrIsEEEENS9_18transform_iteratorINS9_6negateIsEESE_NS9_11use_defaultESI_EESE_sNS9_4plusIvEENS9_8equal_toIvEEsEE10hipError_tPvRmT2_T3_T4_T5_mT6_T7_P12ihipStream_tbENKUlT_T0_E_clISt17integral_constantIbLb1EES14_EEDaSZ_S10_EUlSZ_E_NS1_11comp_targetILNS1_3genE3ELNS1_11target_archE908ELNS1_3gpuE7ELNS1_3repE0EEENS1_30default_config_static_selectorELNS0_4arch9wavefront6targetE0EEEvT1_
; %bb.0:
	.section	.rodata,"a",@progbits
	.p2align	6, 0x0
	.amdhsa_kernel _ZN7rocprim17ROCPRIM_400000_NS6detail17trampoline_kernelINS0_14default_configENS1_27scan_by_key_config_selectorIssEEZZNS1_16scan_by_key_implILNS1_25lookback_scan_determinismE0ELb0ES3_N6thrust23THRUST_200600_302600_NS6detail15normal_iteratorINS9_10device_ptrIsEEEENS9_18transform_iteratorINS9_6negateIsEESE_NS9_11use_defaultESI_EESE_sNS9_4plusIvEENS9_8equal_toIvEEsEE10hipError_tPvRmT2_T3_T4_T5_mT6_T7_P12ihipStream_tbENKUlT_T0_E_clISt17integral_constantIbLb1EES14_EEDaSZ_S10_EUlSZ_E_NS1_11comp_targetILNS1_3genE3ELNS1_11target_archE908ELNS1_3gpuE7ELNS1_3repE0EEENS1_30default_config_static_selectorELNS0_4arch9wavefront6targetE0EEEvT1_
		.amdhsa_group_segment_fixed_size 0
		.amdhsa_private_segment_fixed_size 0
		.amdhsa_kernarg_size 120
		.amdhsa_user_sgpr_count 6
		.amdhsa_user_sgpr_private_segment_buffer 1
		.amdhsa_user_sgpr_dispatch_ptr 0
		.amdhsa_user_sgpr_queue_ptr 0
		.amdhsa_user_sgpr_kernarg_segment_ptr 1
		.amdhsa_user_sgpr_dispatch_id 0
		.amdhsa_user_sgpr_flat_scratch_init 0
		.amdhsa_user_sgpr_private_segment_size 0
		.amdhsa_wavefront_size32 1
		.amdhsa_uses_dynamic_stack 0
		.amdhsa_system_sgpr_private_segment_wavefront_offset 0
		.amdhsa_system_sgpr_workgroup_id_x 1
		.amdhsa_system_sgpr_workgroup_id_y 0
		.amdhsa_system_sgpr_workgroup_id_z 0
		.amdhsa_system_sgpr_workgroup_info 0
		.amdhsa_system_vgpr_workitem_id 0
		.amdhsa_next_free_vgpr 1
		.amdhsa_next_free_sgpr 1
		.amdhsa_reserve_vcc 0
		.amdhsa_reserve_flat_scratch 0
		.amdhsa_float_round_mode_32 0
		.amdhsa_float_round_mode_16_64 0
		.amdhsa_float_denorm_mode_32 3
		.amdhsa_float_denorm_mode_16_64 3
		.amdhsa_dx10_clamp 1
		.amdhsa_ieee_mode 1
		.amdhsa_fp16_overflow 0
		.amdhsa_workgroup_processor_mode 1
		.amdhsa_memory_ordered 1
		.amdhsa_forward_progress 1
		.amdhsa_shared_vgpr_count 0
		.amdhsa_exception_fp_ieee_invalid_op 0
		.amdhsa_exception_fp_denorm_src 0
		.amdhsa_exception_fp_ieee_div_zero 0
		.amdhsa_exception_fp_ieee_overflow 0
		.amdhsa_exception_fp_ieee_underflow 0
		.amdhsa_exception_fp_ieee_inexact 0
		.amdhsa_exception_int_div_zero 0
	.end_amdhsa_kernel
	.section	.text._ZN7rocprim17ROCPRIM_400000_NS6detail17trampoline_kernelINS0_14default_configENS1_27scan_by_key_config_selectorIssEEZZNS1_16scan_by_key_implILNS1_25lookback_scan_determinismE0ELb0ES3_N6thrust23THRUST_200600_302600_NS6detail15normal_iteratorINS9_10device_ptrIsEEEENS9_18transform_iteratorINS9_6negateIsEESE_NS9_11use_defaultESI_EESE_sNS9_4plusIvEENS9_8equal_toIvEEsEE10hipError_tPvRmT2_T3_T4_T5_mT6_T7_P12ihipStream_tbENKUlT_T0_E_clISt17integral_constantIbLb1EES14_EEDaSZ_S10_EUlSZ_E_NS1_11comp_targetILNS1_3genE3ELNS1_11target_archE908ELNS1_3gpuE7ELNS1_3repE0EEENS1_30default_config_static_selectorELNS0_4arch9wavefront6targetE0EEEvT1_,"axG",@progbits,_ZN7rocprim17ROCPRIM_400000_NS6detail17trampoline_kernelINS0_14default_configENS1_27scan_by_key_config_selectorIssEEZZNS1_16scan_by_key_implILNS1_25lookback_scan_determinismE0ELb0ES3_N6thrust23THRUST_200600_302600_NS6detail15normal_iteratorINS9_10device_ptrIsEEEENS9_18transform_iteratorINS9_6negateIsEESE_NS9_11use_defaultESI_EESE_sNS9_4plusIvEENS9_8equal_toIvEEsEE10hipError_tPvRmT2_T3_T4_T5_mT6_T7_P12ihipStream_tbENKUlT_T0_E_clISt17integral_constantIbLb1EES14_EEDaSZ_S10_EUlSZ_E_NS1_11comp_targetILNS1_3genE3ELNS1_11target_archE908ELNS1_3gpuE7ELNS1_3repE0EEENS1_30default_config_static_selectorELNS0_4arch9wavefront6targetE0EEEvT1_,comdat
.Lfunc_end978:
	.size	_ZN7rocprim17ROCPRIM_400000_NS6detail17trampoline_kernelINS0_14default_configENS1_27scan_by_key_config_selectorIssEEZZNS1_16scan_by_key_implILNS1_25lookback_scan_determinismE0ELb0ES3_N6thrust23THRUST_200600_302600_NS6detail15normal_iteratorINS9_10device_ptrIsEEEENS9_18transform_iteratorINS9_6negateIsEESE_NS9_11use_defaultESI_EESE_sNS9_4plusIvEENS9_8equal_toIvEEsEE10hipError_tPvRmT2_T3_T4_T5_mT6_T7_P12ihipStream_tbENKUlT_T0_E_clISt17integral_constantIbLb1EES14_EEDaSZ_S10_EUlSZ_E_NS1_11comp_targetILNS1_3genE3ELNS1_11target_archE908ELNS1_3gpuE7ELNS1_3repE0EEENS1_30default_config_static_selectorELNS0_4arch9wavefront6targetE0EEEvT1_, .Lfunc_end978-_ZN7rocprim17ROCPRIM_400000_NS6detail17trampoline_kernelINS0_14default_configENS1_27scan_by_key_config_selectorIssEEZZNS1_16scan_by_key_implILNS1_25lookback_scan_determinismE0ELb0ES3_N6thrust23THRUST_200600_302600_NS6detail15normal_iteratorINS9_10device_ptrIsEEEENS9_18transform_iteratorINS9_6negateIsEESE_NS9_11use_defaultESI_EESE_sNS9_4plusIvEENS9_8equal_toIvEEsEE10hipError_tPvRmT2_T3_T4_T5_mT6_T7_P12ihipStream_tbENKUlT_T0_E_clISt17integral_constantIbLb1EES14_EEDaSZ_S10_EUlSZ_E_NS1_11comp_targetILNS1_3genE3ELNS1_11target_archE908ELNS1_3gpuE7ELNS1_3repE0EEENS1_30default_config_static_selectorELNS0_4arch9wavefront6targetE0EEEvT1_
                                        ; -- End function
	.set _ZN7rocprim17ROCPRIM_400000_NS6detail17trampoline_kernelINS0_14default_configENS1_27scan_by_key_config_selectorIssEEZZNS1_16scan_by_key_implILNS1_25lookback_scan_determinismE0ELb0ES3_N6thrust23THRUST_200600_302600_NS6detail15normal_iteratorINS9_10device_ptrIsEEEENS9_18transform_iteratorINS9_6negateIsEESE_NS9_11use_defaultESI_EESE_sNS9_4plusIvEENS9_8equal_toIvEEsEE10hipError_tPvRmT2_T3_T4_T5_mT6_T7_P12ihipStream_tbENKUlT_T0_E_clISt17integral_constantIbLb1EES14_EEDaSZ_S10_EUlSZ_E_NS1_11comp_targetILNS1_3genE3ELNS1_11target_archE908ELNS1_3gpuE7ELNS1_3repE0EEENS1_30default_config_static_selectorELNS0_4arch9wavefront6targetE0EEEvT1_.num_vgpr, 0
	.set _ZN7rocprim17ROCPRIM_400000_NS6detail17trampoline_kernelINS0_14default_configENS1_27scan_by_key_config_selectorIssEEZZNS1_16scan_by_key_implILNS1_25lookback_scan_determinismE0ELb0ES3_N6thrust23THRUST_200600_302600_NS6detail15normal_iteratorINS9_10device_ptrIsEEEENS9_18transform_iteratorINS9_6negateIsEESE_NS9_11use_defaultESI_EESE_sNS9_4plusIvEENS9_8equal_toIvEEsEE10hipError_tPvRmT2_T3_T4_T5_mT6_T7_P12ihipStream_tbENKUlT_T0_E_clISt17integral_constantIbLb1EES14_EEDaSZ_S10_EUlSZ_E_NS1_11comp_targetILNS1_3genE3ELNS1_11target_archE908ELNS1_3gpuE7ELNS1_3repE0EEENS1_30default_config_static_selectorELNS0_4arch9wavefront6targetE0EEEvT1_.num_agpr, 0
	.set _ZN7rocprim17ROCPRIM_400000_NS6detail17trampoline_kernelINS0_14default_configENS1_27scan_by_key_config_selectorIssEEZZNS1_16scan_by_key_implILNS1_25lookback_scan_determinismE0ELb0ES3_N6thrust23THRUST_200600_302600_NS6detail15normal_iteratorINS9_10device_ptrIsEEEENS9_18transform_iteratorINS9_6negateIsEESE_NS9_11use_defaultESI_EESE_sNS9_4plusIvEENS9_8equal_toIvEEsEE10hipError_tPvRmT2_T3_T4_T5_mT6_T7_P12ihipStream_tbENKUlT_T0_E_clISt17integral_constantIbLb1EES14_EEDaSZ_S10_EUlSZ_E_NS1_11comp_targetILNS1_3genE3ELNS1_11target_archE908ELNS1_3gpuE7ELNS1_3repE0EEENS1_30default_config_static_selectorELNS0_4arch9wavefront6targetE0EEEvT1_.numbered_sgpr, 0
	.set _ZN7rocprim17ROCPRIM_400000_NS6detail17trampoline_kernelINS0_14default_configENS1_27scan_by_key_config_selectorIssEEZZNS1_16scan_by_key_implILNS1_25lookback_scan_determinismE0ELb0ES3_N6thrust23THRUST_200600_302600_NS6detail15normal_iteratorINS9_10device_ptrIsEEEENS9_18transform_iteratorINS9_6negateIsEESE_NS9_11use_defaultESI_EESE_sNS9_4plusIvEENS9_8equal_toIvEEsEE10hipError_tPvRmT2_T3_T4_T5_mT6_T7_P12ihipStream_tbENKUlT_T0_E_clISt17integral_constantIbLb1EES14_EEDaSZ_S10_EUlSZ_E_NS1_11comp_targetILNS1_3genE3ELNS1_11target_archE908ELNS1_3gpuE7ELNS1_3repE0EEENS1_30default_config_static_selectorELNS0_4arch9wavefront6targetE0EEEvT1_.num_named_barrier, 0
	.set _ZN7rocprim17ROCPRIM_400000_NS6detail17trampoline_kernelINS0_14default_configENS1_27scan_by_key_config_selectorIssEEZZNS1_16scan_by_key_implILNS1_25lookback_scan_determinismE0ELb0ES3_N6thrust23THRUST_200600_302600_NS6detail15normal_iteratorINS9_10device_ptrIsEEEENS9_18transform_iteratorINS9_6negateIsEESE_NS9_11use_defaultESI_EESE_sNS9_4plusIvEENS9_8equal_toIvEEsEE10hipError_tPvRmT2_T3_T4_T5_mT6_T7_P12ihipStream_tbENKUlT_T0_E_clISt17integral_constantIbLb1EES14_EEDaSZ_S10_EUlSZ_E_NS1_11comp_targetILNS1_3genE3ELNS1_11target_archE908ELNS1_3gpuE7ELNS1_3repE0EEENS1_30default_config_static_selectorELNS0_4arch9wavefront6targetE0EEEvT1_.private_seg_size, 0
	.set _ZN7rocprim17ROCPRIM_400000_NS6detail17trampoline_kernelINS0_14default_configENS1_27scan_by_key_config_selectorIssEEZZNS1_16scan_by_key_implILNS1_25lookback_scan_determinismE0ELb0ES3_N6thrust23THRUST_200600_302600_NS6detail15normal_iteratorINS9_10device_ptrIsEEEENS9_18transform_iteratorINS9_6negateIsEESE_NS9_11use_defaultESI_EESE_sNS9_4plusIvEENS9_8equal_toIvEEsEE10hipError_tPvRmT2_T3_T4_T5_mT6_T7_P12ihipStream_tbENKUlT_T0_E_clISt17integral_constantIbLb1EES14_EEDaSZ_S10_EUlSZ_E_NS1_11comp_targetILNS1_3genE3ELNS1_11target_archE908ELNS1_3gpuE7ELNS1_3repE0EEENS1_30default_config_static_selectorELNS0_4arch9wavefront6targetE0EEEvT1_.uses_vcc, 0
	.set _ZN7rocprim17ROCPRIM_400000_NS6detail17trampoline_kernelINS0_14default_configENS1_27scan_by_key_config_selectorIssEEZZNS1_16scan_by_key_implILNS1_25lookback_scan_determinismE0ELb0ES3_N6thrust23THRUST_200600_302600_NS6detail15normal_iteratorINS9_10device_ptrIsEEEENS9_18transform_iteratorINS9_6negateIsEESE_NS9_11use_defaultESI_EESE_sNS9_4plusIvEENS9_8equal_toIvEEsEE10hipError_tPvRmT2_T3_T4_T5_mT6_T7_P12ihipStream_tbENKUlT_T0_E_clISt17integral_constantIbLb1EES14_EEDaSZ_S10_EUlSZ_E_NS1_11comp_targetILNS1_3genE3ELNS1_11target_archE908ELNS1_3gpuE7ELNS1_3repE0EEENS1_30default_config_static_selectorELNS0_4arch9wavefront6targetE0EEEvT1_.uses_flat_scratch, 0
	.set _ZN7rocprim17ROCPRIM_400000_NS6detail17trampoline_kernelINS0_14default_configENS1_27scan_by_key_config_selectorIssEEZZNS1_16scan_by_key_implILNS1_25lookback_scan_determinismE0ELb0ES3_N6thrust23THRUST_200600_302600_NS6detail15normal_iteratorINS9_10device_ptrIsEEEENS9_18transform_iteratorINS9_6negateIsEESE_NS9_11use_defaultESI_EESE_sNS9_4plusIvEENS9_8equal_toIvEEsEE10hipError_tPvRmT2_T3_T4_T5_mT6_T7_P12ihipStream_tbENKUlT_T0_E_clISt17integral_constantIbLb1EES14_EEDaSZ_S10_EUlSZ_E_NS1_11comp_targetILNS1_3genE3ELNS1_11target_archE908ELNS1_3gpuE7ELNS1_3repE0EEENS1_30default_config_static_selectorELNS0_4arch9wavefront6targetE0EEEvT1_.has_dyn_sized_stack, 0
	.set _ZN7rocprim17ROCPRIM_400000_NS6detail17trampoline_kernelINS0_14default_configENS1_27scan_by_key_config_selectorIssEEZZNS1_16scan_by_key_implILNS1_25lookback_scan_determinismE0ELb0ES3_N6thrust23THRUST_200600_302600_NS6detail15normal_iteratorINS9_10device_ptrIsEEEENS9_18transform_iteratorINS9_6negateIsEESE_NS9_11use_defaultESI_EESE_sNS9_4plusIvEENS9_8equal_toIvEEsEE10hipError_tPvRmT2_T3_T4_T5_mT6_T7_P12ihipStream_tbENKUlT_T0_E_clISt17integral_constantIbLb1EES14_EEDaSZ_S10_EUlSZ_E_NS1_11comp_targetILNS1_3genE3ELNS1_11target_archE908ELNS1_3gpuE7ELNS1_3repE0EEENS1_30default_config_static_selectorELNS0_4arch9wavefront6targetE0EEEvT1_.has_recursion, 0
	.set _ZN7rocprim17ROCPRIM_400000_NS6detail17trampoline_kernelINS0_14default_configENS1_27scan_by_key_config_selectorIssEEZZNS1_16scan_by_key_implILNS1_25lookback_scan_determinismE0ELb0ES3_N6thrust23THRUST_200600_302600_NS6detail15normal_iteratorINS9_10device_ptrIsEEEENS9_18transform_iteratorINS9_6negateIsEESE_NS9_11use_defaultESI_EESE_sNS9_4plusIvEENS9_8equal_toIvEEsEE10hipError_tPvRmT2_T3_T4_T5_mT6_T7_P12ihipStream_tbENKUlT_T0_E_clISt17integral_constantIbLb1EES14_EEDaSZ_S10_EUlSZ_E_NS1_11comp_targetILNS1_3genE3ELNS1_11target_archE908ELNS1_3gpuE7ELNS1_3repE0EEENS1_30default_config_static_selectorELNS0_4arch9wavefront6targetE0EEEvT1_.has_indirect_call, 0
	.section	.AMDGPU.csdata,"",@progbits
; Kernel info:
; codeLenInByte = 0
; TotalNumSgprs: 0
; NumVgprs: 0
; ScratchSize: 0
; MemoryBound: 0
; FloatMode: 240
; IeeeMode: 1
; LDSByteSize: 0 bytes/workgroup (compile time only)
; SGPRBlocks: 0
; VGPRBlocks: 0
; NumSGPRsForWavesPerEU: 1
; NumVGPRsForWavesPerEU: 1
; Occupancy: 16
; WaveLimiterHint : 0
; COMPUTE_PGM_RSRC2:SCRATCH_EN: 0
; COMPUTE_PGM_RSRC2:USER_SGPR: 6
; COMPUTE_PGM_RSRC2:TRAP_HANDLER: 0
; COMPUTE_PGM_RSRC2:TGID_X_EN: 1
; COMPUTE_PGM_RSRC2:TGID_Y_EN: 0
; COMPUTE_PGM_RSRC2:TGID_Z_EN: 0
; COMPUTE_PGM_RSRC2:TIDIG_COMP_CNT: 0
	.section	.text._ZN7rocprim17ROCPRIM_400000_NS6detail17trampoline_kernelINS0_14default_configENS1_27scan_by_key_config_selectorIssEEZZNS1_16scan_by_key_implILNS1_25lookback_scan_determinismE0ELb0ES3_N6thrust23THRUST_200600_302600_NS6detail15normal_iteratorINS9_10device_ptrIsEEEENS9_18transform_iteratorINS9_6negateIsEESE_NS9_11use_defaultESI_EESE_sNS9_4plusIvEENS9_8equal_toIvEEsEE10hipError_tPvRmT2_T3_T4_T5_mT6_T7_P12ihipStream_tbENKUlT_T0_E_clISt17integral_constantIbLb1EES14_EEDaSZ_S10_EUlSZ_E_NS1_11comp_targetILNS1_3genE2ELNS1_11target_archE906ELNS1_3gpuE6ELNS1_3repE0EEENS1_30default_config_static_selectorELNS0_4arch9wavefront6targetE0EEEvT1_,"axG",@progbits,_ZN7rocprim17ROCPRIM_400000_NS6detail17trampoline_kernelINS0_14default_configENS1_27scan_by_key_config_selectorIssEEZZNS1_16scan_by_key_implILNS1_25lookback_scan_determinismE0ELb0ES3_N6thrust23THRUST_200600_302600_NS6detail15normal_iteratorINS9_10device_ptrIsEEEENS9_18transform_iteratorINS9_6negateIsEESE_NS9_11use_defaultESI_EESE_sNS9_4plusIvEENS9_8equal_toIvEEsEE10hipError_tPvRmT2_T3_T4_T5_mT6_T7_P12ihipStream_tbENKUlT_T0_E_clISt17integral_constantIbLb1EES14_EEDaSZ_S10_EUlSZ_E_NS1_11comp_targetILNS1_3genE2ELNS1_11target_archE906ELNS1_3gpuE6ELNS1_3repE0EEENS1_30default_config_static_selectorELNS0_4arch9wavefront6targetE0EEEvT1_,comdat
	.protected	_ZN7rocprim17ROCPRIM_400000_NS6detail17trampoline_kernelINS0_14default_configENS1_27scan_by_key_config_selectorIssEEZZNS1_16scan_by_key_implILNS1_25lookback_scan_determinismE0ELb0ES3_N6thrust23THRUST_200600_302600_NS6detail15normal_iteratorINS9_10device_ptrIsEEEENS9_18transform_iteratorINS9_6negateIsEESE_NS9_11use_defaultESI_EESE_sNS9_4plusIvEENS9_8equal_toIvEEsEE10hipError_tPvRmT2_T3_T4_T5_mT6_T7_P12ihipStream_tbENKUlT_T0_E_clISt17integral_constantIbLb1EES14_EEDaSZ_S10_EUlSZ_E_NS1_11comp_targetILNS1_3genE2ELNS1_11target_archE906ELNS1_3gpuE6ELNS1_3repE0EEENS1_30default_config_static_selectorELNS0_4arch9wavefront6targetE0EEEvT1_ ; -- Begin function _ZN7rocprim17ROCPRIM_400000_NS6detail17trampoline_kernelINS0_14default_configENS1_27scan_by_key_config_selectorIssEEZZNS1_16scan_by_key_implILNS1_25lookback_scan_determinismE0ELb0ES3_N6thrust23THRUST_200600_302600_NS6detail15normal_iteratorINS9_10device_ptrIsEEEENS9_18transform_iteratorINS9_6negateIsEESE_NS9_11use_defaultESI_EESE_sNS9_4plusIvEENS9_8equal_toIvEEsEE10hipError_tPvRmT2_T3_T4_T5_mT6_T7_P12ihipStream_tbENKUlT_T0_E_clISt17integral_constantIbLb1EES14_EEDaSZ_S10_EUlSZ_E_NS1_11comp_targetILNS1_3genE2ELNS1_11target_archE906ELNS1_3gpuE6ELNS1_3repE0EEENS1_30default_config_static_selectorELNS0_4arch9wavefront6targetE0EEEvT1_
	.globl	_ZN7rocprim17ROCPRIM_400000_NS6detail17trampoline_kernelINS0_14default_configENS1_27scan_by_key_config_selectorIssEEZZNS1_16scan_by_key_implILNS1_25lookback_scan_determinismE0ELb0ES3_N6thrust23THRUST_200600_302600_NS6detail15normal_iteratorINS9_10device_ptrIsEEEENS9_18transform_iteratorINS9_6negateIsEESE_NS9_11use_defaultESI_EESE_sNS9_4plusIvEENS9_8equal_toIvEEsEE10hipError_tPvRmT2_T3_T4_T5_mT6_T7_P12ihipStream_tbENKUlT_T0_E_clISt17integral_constantIbLb1EES14_EEDaSZ_S10_EUlSZ_E_NS1_11comp_targetILNS1_3genE2ELNS1_11target_archE906ELNS1_3gpuE6ELNS1_3repE0EEENS1_30default_config_static_selectorELNS0_4arch9wavefront6targetE0EEEvT1_
	.p2align	8
	.type	_ZN7rocprim17ROCPRIM_400000_NS6detail17trampoline_kernelINS0_14default_configENS1_27scan_by_key_config_selectorIssEEZZNS1_16scan_by_key_implILNS1_25lookback_scan_determinismE0ELb0ES3_N6thrust23THRUST_200600_302600_NS6detail15normal_iteratorINS9_10device_ptrIsEEEENS9_18transform_iteratorINS9_6negateIsEESE_NS9_11use_defaultESI_EESE_sNS9_4plusIvEENS9_8equal_toIvEEsEE10hipError_tPvRmT2_T3_T4_T5_mT6_T7_P12ihipStream_tbENKUlT_T0_E_clISt17integral_constantIbLb1EES14_EEDaSZ_S10_EUlSZ_E_NS1_11comp_targetILNS1_3genE2ELNS1_11target_archE906ELNS1_3gpuE6ELNS1_3repE0EEENS1_30default_config_static_selectorELNS0_4arch9wavefront6targetE0EEEvT1_,@function
_ZN7rocprim17ROCPRIM_400000_NS6detail17trampoline_kernelINS0_14default_configENS1_27scan_by_key_config_selectorIssEEZZNS1_16scan_by_key_implILNS1_25lookback_scan_determinismE0ELb0ES3_N6thrust23THRUST_200600_302600_NS6detail15normal_iteratorINS9_10device_ptrIsEEEENS9_18transform_iteratorINS9_6negateIsEESE_NS9_11use_defaultESI_EESE_sNS9_4plusIvEENS9_8equal_toIvEEsEE10hipError_tPvRmT2_T3_T4_T5_mT6_T7_P12ihipStream_tbENKUlT_T0_E_clISt17integral_constantIbLb1EES14_EEDaSZ_S10_EUlSZ_E_NS1_11comp_targetILNS1_3genE2ELNS1_11target_archE906ELNS1_3gpuE6ELNS1_3repE0EEENS1_30default_config_static_selectorELNS0_4arch9wavefront6targetE0EEEvT1_: ; @_ZN7rocprim17ROCPRIM_400000_NS6detail17trampoline_kernelINS0_14default_configENS1_27scan_by_key_config_selectorIssEEZZNS1_16scan_by_key_implILNS1_25lookback_scan_determinismE0ELb0ES3_N6thrust23THRUST_200600_302600_NS6detail15normal_iteratorINS9_10device_ptrIsEEEENS9_18transform_iteratorINS9_6negateIsEESE_NS9_11use_defaultESI_EESE_sNS9_4plusIvEENS9_8equal_toIvEEsEE10hipError_tPvRmT2_T3_T4_T5_mT6_T7_P12ihipStream_tbENKUlT_T0_E_clISt17integral_constantIbLb1EES14_EEDaSZ_S10_EUlSZ_E_NS1_11comp_targetILNS1_3genE2ELNS1_11target_archE906ELNS1_3gpuE6ELNS1_3repE0EEENS1_30default_config_static_selectorELNS0_4arch9wavefront6targetE0EEEvT1_
; %bb.0:
	.section	.rodata,"a",@progbits
	.p2align	6, 0x0
	.amdhsa_kernel _ZN7rocprim17ROCPRIM_400000_NS6detail17trampoline_kernelINS0_14default_configENS1_27scan_by_key_config_selectorIssEEZZNS1_16scan_by_key_implILNS1_25lookback_scan_determinismE0ELb0ES3_N6thrust23THRUST_200600_302600_NS6detail15normal_iteratorINS9_10device_ptrIsEEEENS9_18transform_iteratorINS9_6negateIsEESE_NS9_11use_defaultESI_EESE_sNS9_4plusIvEENS9_8equal_toIvEEsEE10hipError_tPvRmT2_T3_T4_T5_mT6_T7_P12ihipStream_tbENKUlT_T0_E_clISt17integral_constantIbLb1EES14_EEDaSZ_S10_EUlSZ_E_NS1_11comp_targetILNS1_3genE2ELNS1_11target_archE906ELNS1_3gpuE6ELNS1_3repE0EEENS1_30default_config_static_selectorELNS0_4arch9wavefront6targetE0EEEvT1_
		.amdhsa_group_segment_fixed_size 0
		.amdhsa_private_segment_fixed_size 0
		.amdhsa_kernarg_size 120
		.amdhsa_user_sgpr_count 6
		.amdhsa_user_sgpr_private_segment_buffer 1
		.amdhsa_user_sgpr_dispatch_ptr 0
		.amdhsa_user_sgpr_queue_ptr 0
		.amdhsa_user_sgpr_kernarg_segment_ptr 1
		.amdhsa_user_sgpr_dispatch_id 0
		.amdhsa_user_sgpr_flat_scratch_init 0
		.amdhsa_user_sgpr_private_segment_size 0
		.amdhsa_wavefront_size32 1
		.amdhsa_uses_dynamic_stack 0
		.amdhsa_system_sgpr_private_segment_wavefront_offset 0
		.amdhsa_system_sgpr_workgroup_id_x 1
		.amdhsa_system_sgpr_workgroup_id_y 0
		.amdhsa_system_sgpr_workgroup_id_z 0
		.amdhsa_system_sgpr_workgroup_info 0
		.amdhsa_system_vgpr_workitem_id 0
		.amdhsa_next_free_vgpr 1
		.amdhsa_next_free_sgpr 1
		.amdhsa_reserve_vcc 0
		.amdhsa_reserve_flat_scratch 0
		.amdhsa_float_round_mode_32 0
		.amdhsa_float_round_mode_16_64 0
		.amdhsa_float_denorm_mode_32 3
		.amdhsa_float_denorm_mode_16_64 3
		.amdhsa_dx10_clamp 1
		.amdhsa_ieee_mode 1
		.amdhsa_fp16_overflow 0
		.amdhsa_workgroup_processor_mode 1
		.amdhsa_memory_ordered 1
		.amdhsa_forward_progress 1
		.amdhsa_shared_vgpr_count 0
		.amdhsa_exception_fp_ieee_invalid_op 0
		.amdhsa_exception_fp_denorm_src 0
		.amdhsa_exception_fp_ieee_div_zero 0
		.amdhsa_exception_fp_ieee_overflow 0
		.amdhsa_exception_fp_ieee_underflow 0
		.amdhsa_exception_fp_ieee_inexact 0
		.amdhsa_exception_int_div_zero 0
	.end_amdhsa_kernel
	.section	.text._ZN7rocprim17ROCPRIM_400000_NS6detail17trampoline_kernelINS0_14default_configENS1_27scan_by_key_config_selectorIssEEZZNS1_16scan_by_key_implILNS1_25lookback_scan_determinismE0ELb0ES3_N6thrust23THRUST_200600_302600_NS6detail15normal_iteratorINS9_10device_ptrIsEEEENS9_18transform_iteratorINS9_6negateIsEESE_NS9_11use_defaultESI_EESE_sNS9_4plusIvEENS9_8equal_toIvEEsEE10hipError_tPvRmT2_T3_T4_T5_mT6_T7_P12ihipStream_tbENKUlT_T0_E_clISt17integral_constantIbLb1EES14_EEDaSZ_S10_EUlSZ_E_NS1_11comp_targetILNS1_3genE2ELNS1_11target_archE906ELNS1_3gpuE6ELNS1_3repE0EEENS1_30default_config_static_selectorELNS0_4arch9wavefront6targetE0EEEvT1_,"axG",@progbits,_ZN7rocprim17ROCPRIM_400000_NS6detail17trampoline_kernelINS0_14default_configENS1_27scan_by_key_config_selectorIssEEZZNS1_16scan_by_key_implILNS1_25lookback_scan_determinismE0ELb0ES3_N6thrust23THRUST_200600_302600_NS6detail15normal_iteratorINS9_10device_ptrIsEEEENS9_18transform_iteratorINS9_6negateIsEESE_NS9_11use_defaultESI_EESE_sNS9_4plusIvEENS9_8equal_toIvEEsEE10hipError_tPvRmT2_T3_T4_T5_mT6_T7_P12ihipStream_tbENKUlT_T0_E_clISt17integral_constantIbLb1EES14_EEDaSZ_S10_EUlSZ_E_NS1_11comp_targetILNS1_3genE2ELNS1_11target_archE906ELNS1_3gpuE6ELNS1_3repE0EEENS1_30default_config_static_selectorELNS0_4arch9wavefront6targetE0EEEvT1_,comdat
.Lfunc_end979:
	.size	_ZN7rocprim17ROCPRIM_400000_NS6detail17trampoline_kernelINS0_14default_configENS1_27scan_by_key_config_selectorIssEEZZNS1_16scan_by_key_implILNS1_25lookback_scan_determinismE0ELb0ES3_N6thrust23THRUST_200600_302600_NS6detail15normal_iteratorINS9_10device_ptrIsEEEENS9_18transform_iteratorINS9_6negateIsEESE_NS9_11use_defaultESI_EESE_sNS9_4plusIvEENS9_8equal_toIvEEsEE10hipError_tPvRmT2_T3_T4_T5_mT6_T7_P12ihipStream_tbENKUlT_T0_E_clISt17integral_constantIbLb1EES14_EEDaSZ_S10_EUlSZ_E_NS1_11comp_targetILNS1_3genE2ELNS1_11target_archE906ELNS1_3gpuE6ELNS1_3repE0EEENS1_30default_config_static_selectorELNS0_4arch9wavefront6targetE0EEEvT1_, .Lfunc_end979-_ZN7rocprim17ROCPRIM_400000_NS6detail17trampoline_kernelINS0_14default_configENS1_27scan_by_key_config_selectorIssEEZZNS1_16scan_by_key_implILNS1_25lookback_scan_determinismE0ELb0ES3_N6thrust23THRUST_200600_302600_NS6detail15normal_iteratorINS9_10device_ptrIsEEEENS9_18transform_iteratorINS9_6negateIsEESE_NS9_11use_defaultESI_EESE_sNS9_4plusIvEENS9_8equal_toIvEEsEE10hipError_tPvRmT2_T3_T4_T5_mT6_T7_P12ihipStream_tbENKUlT_T0_E_clISt17integral_constantIbLb1EES14_EEDaSZ_S10_EUlSZ_E_NS1_11comp_targetILNS1_3genE2ELNS1_11target_archE906ELNS1_3gpuE6ELNS1_3repE0EEENS1_30default_config_static_selectorELNS0_4arch9wavefront6targetE0EEEvT1_
                                        ; -- End function
	.set _ZN7rocprim17ROCPRIM_400000_NS6detail17trampoline_kernelINS0_14default_configENS1_27scan_by_key_config_selectorIssEEZZNS1_16scan_by_key_implILNS1_25lookback_scan_determinismE0ELb0ES3_N6thrust23THRUST_200600_302600_NS6detail15normal_iteratorINS9_10device_ptrIsEEEENS9_18transform_iteratorINS9_6negateIsEESE_NS9_11use_defaultESI_EESE_sNS9_4plusIvEENS9_8equal_toIvEEsEE10hipError_tPvRmT2_T3_T4_T5_mT6_T7_P12ihipStream_tbENKUlT_T0_E_clISt17integral_constantIbLb1EES14_EEDaSZ_S10_EUlSZ_E_NS1_11comp_targetILNS1_3genE2ELNS1_11target_archE906ELNS1_3gpuE6ELNS1_3repE0EEENS1_30default_config_static_selectorELNS0_4arch9wavefront6targetE0EEEvT1_.num_vgpr, 0
	.set _ZN7rocprim17ROCPRIM_400000_NS6detail17trampoline_kernelINS0_14default_configENS1_27scan_by_key_config_selectorIssEEZZNS1_16scan_by_key_implILNS1_25lookback_scan_determinismE0ELb0ES3_N6thrust23THRUST_200600_302600_NS6detail15normal_iteratorINS9_10device_ptrIsEEEENS9_18transform_iteratorINS9_6negateIsEESE_NS9_11use_defaultESI_EESE_sNS9_4plusIvEENS9_8equal_toIvEEsEE10hipError_tPvRmT2_T3_T4_T5_mT6_T7_P12ihipStream_tbENKUlT_T0_E_clISt17integral_constantIbLb1EES14_EEDaSZ_S10_EUlSZ_E_NS1_11comp_targetILNS1_3genE2ELNS1_11target_archE906ELNS1_3gpuE6ELNS1_3repE0EEENS1_30default_config_static_selectorELNS0_4arch9wavefront6targetE0EEEvT1_.num_agpr, 0
	.set _ZN7rocprim17ROCPRIM_400000_NS6detail17trampoline_kernelINS0_14default_configENS1_27scan_by_key_config_selectorIssEEZZNS1_16scan_by_key_implILNS1_25lookback_scan_determinismE0ELb0ES3_N6thrust23THRUST_200600_302600_NS6detail15normal_iteratorINS9_10device_ptrIsEEEENS9_18transform_iteratorINS9_6negateIsEESE_NS9_11use_defaultESI_EESE_sNS9_4plusIvEENS9_8equal_toIvEEsEE10hipError_tPvRmT2_T3_T4_T5_mT6_T7_P12ihipStream_tbENKUlT_T0_E_clISt17integral_constantIbLb1EES14_EEDaSZ_S10_EUlSZ_E_NS1_11comp_targetILNS1_3genE2ELNS1_11target_archE906ELNS1_3gpuE6ELNS1_3repE0EEENS1_30default_config_static_selectorELNS0_4arch9wavefront6targetE0EEEvT1_.numbered_sgpr, 0
	.set _ZN7rocprim17ROCPRIM_400000_NS6detail17trampoline_kernelINS0_14default_configENS1_27scan_by_key_config_selectorIssEEZZNS1_16scan_by_key_implILNS1_25lookback_scan_determinismE0ELb0ES3_N6thrust23THRUST_200600_302600_NS6detail15normal_iteratorINS9_10device_ptrIsEEEENS9_18transform_iteratorINS9_6negateIsEESE_NS9_11use_defaultESI_EESE_sNS9_4plusIvEENS9_8equal_toIvEEsEE10hipError_tPvRmT2_T3_T4_T5_mT6_T7_P12ihipStream_tbENKUlT_T0_E_clISt17integral_constantIbLb1EES14_EEDaSZ_S10_EUlSZ_E_NS1_11comp_targetILNS1_3genE2ELNS1_11target_archE906ELNS1_3gpuE6ELNS1_3repE0EEENS1_30default_config_static_selectorELNS0_4arch9wavefront6targetE0EEEvT1_.num_named_barrier, 0
	.set _ZN7rocprim17ROCPRIM_400000_NS6detail17trampoline_kernelINS0_14default_configENS1_27scan_by_key_config_selectorIssEEZZNS1_16scan_by_key_implILNS1_25lookback_scan_determinismE0ELb0ES3_N6thrust23THRUST_200600_302600_NS6detail15normal_iteratorINS9_10device_ptrIsEEEENS9_18transform_iteratorINS9_6negateIsEESE_NS9_11use_defaultESI_EESE_sNS9_4plusIvEENS9_8equal_toIvEEsEE10hipError_tPvRmT2_T3_T4_T5_mT6_T7_P12ihipStream_tbENKUlT_T0_E_clISt17integral_constantIbLb1EES14_EEDaSZ_S10_EUlSZ_E_NS1_11comp_targetILNS1_3genE2ELNS1_11target_archE906ELNS1_3gpuE6ELNS1_3repE0EEENS1_30default_config_static_selectorELNS0_4arch9wavefront6targetE0EEEvT1_.private_seg_size, 0
	.set _ZN7rocprim17ROCPRIM_400000_NS6detail17trampoline_kernelINS0_14default_configENS1_27scan_by_key_config_selectorIssEEZZNS1_16scan_by_key_implILNS1_25lookback_scan_determinismE0ELb0ES3_N6thrust23THRUST_200600_302600_NS6detail15normal_iteratorINS9_10device_ptrIsEEEENS9_18transform_iteratorINS9_6negateIsEESE_NS9_11use_defaultESI_EESE_sNS9_4plusIvEENS9_8equal_toIvEEsEE10hipError_tPvRmT2_T3_T4_T5_mT6_T7_P12ihipStream_tbENKUlT_T0_E_clISt17integral_constantIbLb1EES14_EEDaSZ_S10_EUlSZ_E_NS1_11comp_targetILNS1_3genE2ELNS1_11target_archE906ELNS1_3gpuE6ELNS1_3repE0EEENS1_30default_config_static_selectorELNS0_4arch9wavefront6targetE0EEEvT1_.uses_vcc, 0
	.set _ZN7rocprim17ROCPRIM_400000_NS6detail17trampoline_kernelINS0_14default_configENS1_27scan_by_key_config_selectorIssEEZZNS1_16scan_by_key_implILNS1_25lookback_scan_determinismE0ELb0ES3_N6thrust23THRUST_200600_302600_NS6detail15normal_iteratorINS9_10device_ptrIsEEEENS9_18transform_iteratorINS9_6negateIsEESE_NS9_11use_defaultESI_EESE_sNS9_4plusIvEENS9_8equal_toIvEEsEE10hipError_tPvRmT2_T3_T4_T5_mT6_T7_P12ihipStream_tbENKUlT_T0_E_clISt17integral_constantIbLb1EES14_EEDaSZ_S10_EUlSZ_E_NS1_11comp_targetILNS1_3genE2ELNS1_11target_archE906ELNS1_3gpuE6ELNS1_3repE0EEENS1_30default_config_static_selectorELNS0_4arch9wavefront6targetE0EEEvT1_.uses_flat_scratch, 0
	.set _ZN7rocprim17ROCPRIM_400000_NS6detail17trampoline_kernelINS0_14default_configENS1_27scan_by_key_config_selectorIssEEZZNS1_16scan_by_key_implILNS1_25lookback_scan_determinismE0ELb0ES3_N6thrust23THRUST_200600_302600_NS6detail15normal_iteratorINS9_10device_ptrIsEEEENS9_18transform_iteratorINS9_6negateIsEESE_NS9_11use_defaultESI_EESE_sNS9_4plusIvEENS9_8equal_toIvEEsEE10hipError_tPvRmT2_T3_T4_T5_mT6_T7_P12ihipStream_tbENKUlT_T0_E_clISt17integral_constantIbLb1EES14_EEDaSZ_S10_EUlSZ_E_NS1_11comp_targetILNS1_3genE2ELNS1_11target_archE906ELNS1_3gpuE6ELNS1_3repE0EEENS1_30default_config_static_selectorELNS0_4arch9wavefront6targetE0EEEvT1_.has_dyn_sized_stack, 0
	.set _ZN7rocprim17ROCPRIM_400000_NS6detail17trampoline_kernelINS0_14default_configENS1_27scan_by_key_config_selectorIssEEZZNS1_16scan_by_key_implILNS1_25lookback_scan_determinismE0ELb0ES3_N6thrust23THRUST_200600_302600_NS6detail15normal_iteratorINS9_10device_ptrIsEEEENS9_18transform_iteratorINS9_6negateIsEESE_NS9_11use_defaultESI_EESE_sNS9_4plusIvEENS9_8equal_toIvEEsEE10hipError_tPvRmT2_T3_T4_T5_mT6_T7_P12ihipStream_tbENKUlT_T0_E_clISt17integral_constantIbLb1EES14_EEDaSZ_S10_EUlSZ_E_NS1_11comp_targetILNS1_3genE2ELNS1_11target_archE906ELNS1_3gpuE6ELNS1_3repE0EEENS1_30default_config_static_selectorELNS0_4arch9wavefront6targetE0EEEvT1_.has_recursion, 0
	.set _ZN7rocprim17ROCPRIM_400000_NS6detail17trampoline_kernelINS0_14default_configENS1_27scan_by_key_config_selectorIssEEZZNS1_16scan_by_key_implILNS1_25lookback_scan_determinismE0ELb0ES3_N6thrust23THRUST_200600_302600_NS6detail15normal_iteratorINS9_10device_ptrIsEEEENS9_18transform_iteratorINS9_6negateIsEESE_NS9_11use_defaultESI_EESE_sNS9_4plusIvEENS9_8equal_toIvEEsEE10hipError_tPvRmT2_T3_T4_T5_mT6_T7_P12ihipStream_tbENKUlT_T0_E_clISt17integral_constantIbLb1EES14_EEDaSZ_S10_EUlSZ_E_NS1_11comp_targetILNS1_3genE2ELNS1_11target_archE906ELNS1_3gpuE6ELNS1_3repE0EEENS1_30default_config_static_selectorELNS0_4arch9wavefront6targetE0EEEvT1_.has_indirect_call, 0
	.section	.AMDGPU.csdata,"",@progbits
; Kernel info:
; codeLenInByte = 0
; TotalNumSgprs: 0
; NumVgprs: 0
; ScratchSize: 0
; MemoryBound: 0
; FloatMode: 240
; IeeeMode: 1
; LDSByteSize: 0 bytes/workgroup (compile time only)
; SGPRBlocks: 0
; VGPRBlocks: 0
; NumSGPRsForWavesPerEU: 1
; NumVGPRsForWavesPerEU: 1
; Occupancy: 16
; WaveLimiterHint : 0
; COMPUTE_PGM_RSRC2:SCRATCH_EN: 0
; COMPUTE_PGM_RSRC2:USER_SGPR: 6
; COMPUTE_PGM_RSRC2:TRAP_HANDLER: 0
; COMPUTE_PGM_RSRC2:TGID_X_EN: 1
; COMPUTE_PGM_RSRC2:TGID_Y_EN: 0
; COMPUTE_PGM_RSRC2:TGID_Z_EN: 0
; COMPUTE_PGM_RSRC2:TIDIG_COMP_CNT: 0
	.section	.text._ZN7rocprim17ROCPRIM_400000_NS6detail17trampoline_kernelINS0_14default_configENS1_27scan_by_key_config_selectorIssEEZZNS1_16scan_by_key_implILNS1_25lookback_scan_determinismE0ELb0ES3_N6thrust23THRUST_200600_302600_NS6detail15normal_iteratorINS9_10device_ptrIsEEEENS9_18transform_iteratorINS9_6negateIsEESE_NS9_11use_defaultESI_EESE_sNS9_4plusIvEENS9_8equal_toIvEEsEE10hipError_tPvRmT2_T3_T4_T5_mT6_T7_P12ihipStream_tbENKUlT_T0_E_clISt17integral_constantIbLb1EES14_EEDaSZ_S10_EUlSZ_E_NS1_11comp_targetILNS1_3genE10ELNS1_11target_archE1200ELNS1_3gpuE4ELNS1_3repE0EEENS1_30default_config_static_selectorELNS0_4arch9wavefront6targetE0EEEvT1_,"axG",@progbits,_ZN7rocprim17ROCPRIM_400000_NS6detail17trampoline_kernelINS0_14default_configENS1_27scan_by_key_config_selectorIssEEZZNS1_16scan_by_key_implILNS1_25lookback_scan_determinismE0ELb0ES3_N6thrust23THRUST_200600_302600_NS6detail15normal_iteratorINS9_10device_ptrIsEEEENS9_18transform_iteratorINS9_6negateIsEESE_NS9_11use_defaultESI_EESE_sNS9_4plusIvEENS9_8equal_toIvEEsEE10hipError_tPvRmT2_T3_T4_T5_mT6_T7_P12ihipStream_tbENKUlT_T0_E_clISt17integral_constantIbLb1EES14_EEDaSZ_S10_EUlSZ_E_NS1_11comp_targetILNS1_3genE10ELNS1_11target_archE1200ELNS1_3gpuE4ELNS1_3repE0EEENS1_30default_config_static_selectorELNS0_4arch9wavefront6targetE0EEEvT1_,comdat
	.protected	_ZN7rocprim17ROCPRIM_400000_NS6detail17trampoline_kernelINS0_14default_configENS1_27scan_by_key_config_selectorIssEEZZNS1_16scan_by_key_implILNS1_25lookback_scan_determinismE0ELb0ES3_N6thrust23THRUST_200600_302600_NS6detail15normal_iteratorINS9_10device_ptrIsEEEENS9_18transform_iteratorINS9_6negateIsEESE_NS9_11use_defaultESI_EESE_sNS9_4plusIvEENS9_8equal_toIvEEsEE10hipError_tPvRmT2_T3_T4_T5_mT6_T7_P12ihipStream_tbENKUlT_T0_E_clISt17integral_constantIbLb1EES14_EEDaSZ_S10_EUlSZ_E_NS1_11comp_targetILNS1_3genE10ELNS1_11target_archE1200ELNS1_3gpuE4ELNS1_3repE0EEENS1_30default_config_static_selectorELNS0_4arch9wavefront6targetE0EEEvT1_ ; -- Begin function _ZN7rocprim17ROCPRIM_400000_NS6detail17trampoline_kernelINS0_14default_configENS1_27scan_by_key_config_selectorIssEEZZNS1_16scan_by_key_implILNS1_25lookback_scan_determinismE0ELb0ES3_N6thrust23THRUST_200600_302600_NS6detail15normal_iteratorINS9_10device_ptrIsEEEENS9_18transform_iteratorINS9_6negateIsEESE_NS9_11use_defaultESI_EESE_sNS9_4plusIvEENS9_8equal_toIvEEsEE10hipError_tPvRmT2_T3_T4_T5_mT6_T7_P12ihipStream_tbENKUlT_T0_E_clISt17integral_constantIbLb1EES14_EEDaSZ_S10_EUlSZ_E_NS1_11comp_targetILNS1_3genE10ELNS1_11target_archE1200ELNS1_3gpuE4ELNS1_3repE0EEENS1_30default_config_static_selectorELNS0_4arch9wavefront6targetE0EEEvT1_
	.globl	_ZN7rocprim17ROCPRIM_400000_NS6detail17trampoline_kernelINS0_14default_configENS1_27scan_by_key_config_selectorIssEEZZNS1_16scan_by_key_implILNS1_25lookback_scan_determinismE0ELb0ES3_N6thrust23THRUST_200600_302600_NS6detail15normal_iteratorINS9_10device_ptrIsEEEENS9_18transform_iteratorINS9_6negateIsEESE_NS9_11use_defaultESI_EESE_sNS9_4plusIvEENS9_8equal_toIvEEsEE10hipError_tPvRmT2_T3_T4_T5_mT6_T7_P12ihipStream_tbENKUlT_T0_E_clISt17integral_constantIbLb1EES14_EEDaSZ_S10_EUlSZ_E_NS1_11comp_targetILNS1_3genE10ELNS1_11target_archE1200ELNS1_3gpuE4ELNS1_3repE0EEENS1_30default_config_static_selectorELNS0_4arch9wavefront6targetE0EEEvT1_
	.p2align	8
	.type	_ZN7rocprim17ROCPRIM_400000_NS6detail17trampoline_kernelINS0_14default_configENS1_27scan_by_key_config_selectorIssEEZZNS1_16scan_by_key_implILNS1_25lookback_scan_determinismE0ELb0ES3_N6thrust23THRUST_200600_302600_NS6detail15normal_iteratorINS9_10device_ptrIsEEEENS9_18transform_iteratorINS9_6negateIsEESE_NS9_11use_defaultESI_EESE_sNS9_4plusIvEENS9_8equal_toIvEEsEE10hipError_tPvRmT2_T3_T4_T5_mT6_T7_P12ihipStream_tbENKUlT_T0_E_clISt17integral_constantIbLb1EES14_EEDaSZ_S10_EUlSZ_E_NS1_11comp_targetILNS1_3genE10ELNS1_11target_archE1200ELNS1_3gpuE4ELNS1_3repE0EEENS1_30default_config_static_selectorELNS0_4arch9wavefront6targetE0EEEvT1_,@function
_ZN7rocprim17ROCPRIM_400000_NS6detail17trampoline_kernelINS0_14default_configENS1_27scan_by_key_config_selectorIssEEZZNS1_16scan_by_key_implILNS1_25lookback_scan_determinismE0ELb0ES3_N6thrust23THRUST_200600_302600_NS6detail15normal_iteratorINS9_10device_ptrIsEEEENS9_18transform_iteratorINS9_6negateIsEESE_NS9_11use_defaultESI_EESE_sNS9_4plusIvEENS9_8equal_toIvEEsEE10hipError_tPvRmT2_T3_T4_T5_mT6_T7_P12ihipStream_tbENKUlT_T0_E_clISt17integral_constantIbLb1EES14_EEDaSZ_S10_EUlSZ_E_NS1_11comp_targetILNS1_3genE10ELNS1_11target_archE1200ELNS1_3gpuE4ELNS1_3repE0EEENS1_30default_config_static_selectorELNS0_4arch9wavefront6targetE0EEEvT1_: ; @_ZN7rocprim17ROCPRIM_400000_NS6detail17trampoline_kernelINS0_14default_configENS1_27scan_by_key_config_selectorIssEEZZNS1_16scan_by_key_implILNS1_25lookback_scan_determinismE0ELb0ES3_N6thrust23THRUST_200600_302600_NS6detail15normal_iteratorINS9_10device_ptrIsEEEENS9_18transform_iteratorINS9_6negateIsEESE_NS9_11use_defaultESI_EESE_sNS9_4plusIvEENS9_8equal_toIvEEsEE10hipError_tPvRmT2_T3_T4_T5_mT6_T7_P12ihipStream_tbENKUlT_T0_E_clISt17integral_constantIbLb1EES14_EEDaSZ_S10_EUlSZ_E_NS1_11comp_targetILNS1_3genE10ELNS1_11target_archE1200ELNS1_3gpuE4ELNS1_3repE0EEENS1_30default_config_static_selectorELNS0_4arch9wavefront6targetE0EEEvT1_
; %bb.0:
	.section	.rodata,"a",@progbits
	.p2align	6, 0x0
	.amdhsa_kernel _ZN7rocprim17ROCPRIM_400000_NS6detail17trampoline_kernelINS0_14default_configENS1_27scan_by_key_config_selectorIssEEZZNS1_16scan_by_key_implILNS1_25lookback_scan_determinismE0ELb0ES3_N6thrust23THRUST_200600_302600_NS6detail15normal_iteratorINS9_10device_ptrIsEEEENS9_18transform_iteratorINS9_6negateIsEESE_NS9_11use_defaultESI_EESE_sNS9_4plusIvEENS9_8equal_toIvEEsEE10hipError_tPvRmT2_T3_T4_T5_mT6_T7_P12ihipStream_tbENKUlT_T0_E_clISt17integral_constantIbLb1EES14_EEDaSZ_S10_EUlSZ_E_NS1_11comp_targetILNS1_3genE10ELNS1_11target_archE1200ELNS1_3gpuE4ELNS1_3repE0EEENS1_30default_config_static_selectorELNS0_4arch9wavefront6targetE0EEEvT1_
		.amdhsa_group_segment_fixed_size 0
		.amdhsa_private_segment_fixed_size 0
		.amdhsa_kernarg_size 120
		.amdhsa_user_sgpr_count 6
		.amdhsa_user_sgpr_private_segment_buffer 1
		.amdhsa_user_sgpr_dispatch_ptr 0
		.amdhsa_user_sgpr_queue_ptr 0
		.amdhsa_user_sgpr_kernarg_segment_ptr 1
		.amdhsa_user_sgpr_dispatch_id 0
		.amdhsa_user_sgpr_flat_scratch_init 0
		.amdhsa_user_sgpr_private_segment_size 0
		.amdhsa_wavefront_size32 1
		.amdhsa_uses_dynamic_stack 0
		.amdhsa_system_sgpr_private_segment_wavefront_offset 0
		.amdhsa_system_sgpr_workgroup_id_x 1
		.amdhsa_system_sgpr_workgroup_id_y 0
		.amdhsa_system_sgpr_workgroup_id_z 0
		.amdhsa_system_sgpr_workgroup_info 0
		.amdhsa_system_vgpr_workitem_id 0
		.amdhsa_next_free_vgpr 1
		.amdhsa_next_free_sgpr 1
		.amdhsa_reserve_vcc 0
		.amdhsa_reserve_flat_scratch 0
		.amdhsa_float_round_mode_32 0
		.amdhsa_float_round_mode_16_64 0
		.amdhsa_float_denorm_mode_32 3
		.amdhsa_float_denorm_mode_16_64 3
		.amdhsa_dx10_clamp 1
		.amdhsa_ieee_mode 1
		.amdhsa_fp16_overflow 0
		.amdhsa_workgroup_processor_mode 1
		.amdhsa_memory_ordered 1
		.amdhsa_forward_progress 1
		.amdhsa_shared_vgpr_count 0
		.amdhsa_exception_fp_ieee_invalid_op 0
		.amdhsa_exception_fp_denorm_src 0
		.amdhsa_exception_fp_ieee_div_zero 0
		.amdhsa_exception_fp_ieee_overflow 0
		.amdhsa_exception_fp_ieee_underflow 0
		.amdhsa_exception_fp_ieee_inexact 0
		.amdhsa_exception_int_div_zero 0
	.end_amdhsa_kernel
	.section	.text._ZN7rocprim17ROCPRIM_400000_NS6detail17trampoline_kernelINS0_14default_configENS1_27scan_by_key_config_selectorIssEEZZNS1_16scan_by_key_implILNS1_25lookback_scan_determinismE0ELb0ES3_N6thrust23THRUST_200600_302600_NS6detail15normal_iteratorINS9_10device_ptrIsEEEENS9_18transform_iteratorINS9_6negateIsEESE_NS9_11use_defaultESI_EESE_sNS9_4plusIvEENS9_8equal_toIvEEsEE10hipError_tPvRmT2_T3_T4_T5_mT6_T7_P12ihipStream_tbENKUlT_T0_E_clISt17integral_constantIbLb1EES14_EEDaSZ_S10_EUlSZ_E_NS1_11comp_targetILNS1_3genE10ELNS1_11target_archE1200ELNS1_3gpuE4ELNS1_3repE0EEENS1_30default_config_static_selectorELNS0_4arch9wavefront6targetE0EEEvT1_,"axG",@progbits,_ZN7rocprim17ROCPRIM_400000_NS6detail17trampoline_kernelINS0_14default_configENS1_27scan_by_key_config_selectorIssEEZZNS1_16scan_by_key_implILNS1_25lookback_scan_determinismE0ELb0ES3_N6thrust23THRUST_200600_302600_NS6detail15normal_iteratorINS9_10device_ptrIsEEEENS9_18transform_iteratorINS9_6negateIsEESE_NS9_11use_defaultESI_EESE_sNS9_4plusIvEENS9_8equal_toIvEEsEE10hipError_tPvRmT2_T3_T4_T5_mT6_T7_P12ihipStream_tbENKUlT_T0_E_clISt17integral_constantIbLb1EES14_EEDaSZ_S10_EUlSZ_E_NS1_11comp_targetILNS1_3genE10ELNS1_11target_archE1200ELNS1_3gpuE4ELNS1_3repE0EEENS1_30default_config_static_selectorELNS0_4arch9wavefront6targetE0EEEvT1_,comdat
.Lfunc_end980:
	.size	_ZN7rocprim17ROCPRIM_400000_NS6detail17trampoline_kernelINS0_14default_configENS1_27scan_by_key_config_selectorIssEEZZNS1_16scan_by_key_implILNS1_25lookback_scan_determinismE0ELb0ES3_N6thrust23THRUST_200600_302600_NS6detail15normal_iteratorINS9_10device_ptrIsEEEENS9_18transform_iteratorINS9_6negateIsEESE_NS9_11use_defaultESI_EESE_sNS9_4plusIvEENS9_8equal_toIvEEsEE10hipError_tPvRmT2_T3_T4_T5_mT6_T7_P12ihipStream_tbENKUlT_T0_E_clISt17integral_constantIbLb1EES14_EEDaSZ_S10_EUlSZ_E_NS1_11comp_targetILNS1_3genE10ELNS1_11target_archE1200ELNS1_3gpuE4ELNS1_3repE0EEENS1_30default_config_static_selectorELNS0_4arch9wavefront6targetE0EEEvT1_, .Lfunc_end980-_ZN7rocprim17ROCPRIM_400000_NS6detail17trampoline_kernelINS0_14default_configENS1_27scan_by_key_config_selectorIssEEZZNS1_16scan_by_key_implILNS1_25lookback_scan_determinismE0ELb0ES3_N6thrust23THRUST_200600_302600_NS6detail15normal_iteratorINS9_10device_ptrIsEEEENS9_18transform_iteratorINS9_6negateIsEESE_NS9_11use_defaultESI_EESE_sNS9_4plusIvEENS9_8equal_toIvEEsEE10hipError_tPvRmT2_T3_T4_T5_mT6_T7_P12ihipStream_tbENKUlT_T0_E_clISt17integral_constantIbLb1EES14_EEDaSZ_S10_EUlSZ_E_NS1_11comp_targetILNS1_3genE10ELNS1_11target_archE1200ELNS1_3gpuE4ELNS1_3repE0EEENS1_30default_config_static_selectorELNS0_4arch9wavefront6targetE0EEEvT1_
                                        ; -- End function
	.set _ZN7rocprim17ROCPRIM_400000_NS6detail17trampoline_kernelINS0_14default_configENS1_27scan_by_key_config_selectorIssEEZZNS1_16scan_by_key_implILNS1_25lookback_scan_determinismE0ELb0ES3_N6thrust23THRUST_200600_302600_NS6detail15normal_iteratorINS9_10device_ptrIsEEEENS9_18transform_iteratorINS9_6negateIsEESE_NS9_11use_defaultESI_EESE_sNS9_4plusIvEENS9_8equal_toIvEEsEE10hipError_tPvRmT2_T3_T4_T5_mT6_T7_P12ihipStream_tbENKUlT_T0_E_clISt17integral_constantIbLb1EES14_EEDaSZ_S10_EUlSZ_E_NS1_11comp_targetILNS1_3genE10ELNS1_11target_archE1200ELNS1_3gpuE4ELNS1_3repE0EEENS1_30default_config_static_selectorELNS0_4arch9wavefront6targetE0EEEvT1_.num_vgpr, 0
	.set _ZN7rocprim17ROCPRIM_400000_NS6detail17trampoline_kernelINS0_14default_configENS1_27scan_by_key_config_selectorIssEEZZNS1_16scan_by_key_implILNS1_25lookback_scan_determinismE0ELb0ES3_N6thrust23THRUST_200600_302600_NS6detail15normal_iteratorINS9_10device_ptrIsEEEENS9_18transform_iteratorINS9_6negateIsEESE_NS9_11use_defaultESI_EESE_sNS9_4plusIvEENS9_8equal_toIvEEsEE10hipError_tPvRmT2_T3_T4_T5_mT6_T7_P12ihipStream_tbENKUlT_T0_E_clISt17integral_constantIbLb1EES14_EEDaSZ_S10_EUlSZ_E_NS1_11comp_targetILNS1_3genE10ELNS1_11target_archE1200ELNS1_3gpuE4ELNS1_3repE0EEENS1_30default_config_static_selectorELNS0_4arch9wavefront6targetE0EEEvT1_.num_agpr, 0
	.set _ZN7rocprim17ROCPRIM_400000_NS6detail17trampoline_kernelINS0_14default_configENS1_27scan_by_key_config_selectorIssEEZZNS1_16scan_by_key_implILNS1_25lookback_scan_determinismE0ELb0ES3_N6thrust23THRUST_200600_302600_NS6detail15normal_iteratorINS9_10device_ptrIsEEEENS9_18transform_iteratorINS9_6negateIsEESE_NS9_11use_defaultESI_EESE_sNS9_4plusIvEENS9_8equal_toIvEEsEE10hipError_tPvRmT2_T3_T4_T5_mT6_T7_P12ihipStream_tbENKUlT_T0_E_clISt17integral_constantIbLb1EES14_EEDaSZ_S10_EUlSZ_E_NS1_11comp_targetILNS1_3genE10ELNS1_11target_archE1200ELNS1_3gpuE4ELNS1_3repE0EEENS1_30default_config_static_selectorELNS0_4arch9wavefront6targetE0EEEvT1_.numbered_sgpr, 0
	.set _ZN7rocprim17ROCPRIM_400000_NS6detail17trampoline_kernelINS0_14default_configENS1_27scan_by_key_config_selectorIssEEZZNS1_16scan_by_key_implILNS1_25lookback_scan_determinismE0ELb0ES3_N6thrust23THRUST_200600_302600_NS6detail15normal_iteratorINS9_10device_ptrIsEEEENS9_18transform_iteratorINS9_6negateIsEESE_NS9_11use_defaultESI_EESE_sNS9_4plusIvEENS9_8equal_toIvEEsEE10hipError_tPvRmT2_T3_T4_T5_mT6_T7_P12ihipStream_tbENKUlT_T0_E_clISt17integral_constantIbLb1EES14_EEDaSZ_S10_EUlSZ_E_NS1_11comp_targetILNS1_3genE10ELNS1_11target_archE1200ELNS1_3gpuE4ELNS1_3repE0EEENS1_30default_config_static_selectorELNS0_4arch9wavefront6targetE0EEEvT1_.num_named_barrier, 0
	.set _ZN7rocprim17ROCPRIM_400000_NS6detail17trampoline_kernelINS0_14default_configENS1_27scan_by_key_config_selectorIssEEZZNS1_16scan_by_key_implILNS1_25lookback_scan_determinismE0ELb0ES3_N6thrust23THRUST_200600_302600_NS6detail15normal_iteratorINS9_10device_ptrIsEEEENS9_18transform_iteratorINS9_6negateIsEESE_NS9_11use_defaultESI_EESE_sNS9_4plusIvEENS9_8equal_toIvEEsEE10hipError_tPvRmT2_T3_T4_T5_mT6_T7_P12ihipStream_tbENKUlT_T0_E_clISt17integral_constantIbLb1EES14_EEDaSZ_S10_EUlSZ_E_NS1_11comp_targetILNS1_3genE10ELNS1_11target_archE1200ELNS1_3gpuE4ELNS1_3repE0EEENS1_30default_config_static_selectorELNS0_4arch9wavefront6targetE0EEEvT1_.private_seg_size, 0
	.set _ZN7rocprim17ROCPRIM_400000_NS6detail17trampoline_kernelINS0_14default_configENS1_27scan_by_key_config_selectorIssEEZZNS1_16scan_by_key_implILNS1_25lookback_scan_determinismE0ELb0ES3_N6thrust23THRUST_200600_302600_NS6detail15normal_iteratorINS9_10device_ptrIsEEEENS9_18transform_iteratorINS9_6negateIsEESE_NS9_11use_defaultESI_EESE_sNS9_4plusIvEENS9_8equal_toIvEEsEE10hipError_tPvRmT2_T3_T4_T5_mT6_T7_P12ihipStream_tbENKUlT_T0_E_clISt17integral_constantIbLb1EES14_EEDaSZ_S10_EUlSZ_E_NS1_11comp_targetILNS1_3genE10ELNS1_11target_archE1200ELNS1_3gpuE4ELNS1_3repE0EEENS1_30default_config_static_selectorELNS0_4arch9wavefront6targetE0EEEvT1_.uses_vcc, 0
	.set _ZN7rocprim17ROCPRIM_400000_NS6detail17trampoline_kernelINS0_14default_configENS1_27scan_by_key_config_selectorIssEEZZNS1_16scan_by_key_implILNS1_25lookback_scan_determinismE0ELb0ES3_N6thrust23THRUST_200600_302600_NS6detail15normal_iteratorINS9_10device_ptrIsEEEENS9_18transform_iteratorINS9_6negateIsEESE_NS9_11use_defaultESI_EESE_sNS9_4plusIvEENS9_8equal_toIvEEsEE10hipError_tPvRmT2_T3_T4_T5_mT6_T7_P12ihipStream_tbENKUlT_T0_E_clISt17integral_constantIbLb1EES14_EEDaSZ_S10_EUlSZ_E_NS1_11comp_targetILNS1_3genE10ELNS1_11target_archE1200ELNS1_3gpuE4ELNS1_3repE0EEENS1_30default_config_static_selectorELNS0_4arch9wavefront6targetE0EEEvT1_.uses_flat_scratch, 0
	.set _ZN7rocprim17ROCPRIM_400000_NS6detail17trampoline_kernelINS0_14default_configENS1_27scan_by_key_config_selectorIssEEZZNS1_16scan_by_key_implILNS1_25lookback_scan_determinismE0ELb0ES3_N6thrust23THRUST_200600_302600_NS6detail15normal_iteratorINS9_10device_ptrIsEEEENS9_18transform_iteratorINS9_6negateIsEESE_NS9_11use_defaultESI_EESE_sNS9_4plusIvEENS9_8equal_toIvEEsEE10hipError_tPvRmT2_T3_T4_T5_mT6_T7_P12ihipStream_tbENKUlT_T0_E_clISt17integral_constantIbLb1EES14_EEDaSZ_S10_EUlSZ_E_NS1_11comp_targetILNS1_3genE10ELNS1_11target_archE1200ELNS1_3gpuE4ELNS1_3repE0EEENS1_30default_config_static_selectorELNS0_4arch9wavefront6targetE0EEEvT1_.has_dyn_sized_stack, 0
	.set _ZN7rocprim17ROCPRIM_400000_NS6detail17trampoline_kernelINS0_14default_configENS1_27scan_by_key_config_selectorIssEEZZNS1_16scan_by_key_implILNS1_25lookback_scan_determinismE0ELb0ES3_N6thrust23THRUST_200600_302600_NS6detail15normal_iteratorINS9_10device_ptrIsEEEENS9_18transform_iteratorINS9_6negateIsEESE_NS9_11use_defaultESI_EESE_sNS9_4plusIvEENS9_8equal_toIvEEsEE10hipError_tPvRmT2_T3_T4_T5_mT6_T7_P12ihipStream_tbENKUlT_T0_E_clISt17integral_constantIbLb1EES14_EEDaSZ_S10_EUlSZ_E_NS1_11comp_targetILNS1_3genE10ELNS1_11target_archE1200ELNS1_3gpuE4ELNS1_3repE0EEENS1_30default_config_static_selectorELNS0_4arch9wavefront6targetE0EEEvT1_.has_recursion, 0
	.set _ZN7rocprim17ROCPRIM_400000_NS6detail17trampoline_kernelINS0_14default_configENS1_27scan_by_key_config_selectorIssEEZZNS1_16scan_by_key_implILNS1_25lookback_scan_determinismE0ELb0ES3_N6thrust23THRUST_200600_302600_NS6detail15normal_iteratorINS9_10device_ptrIsEEEENS9_18transform_iteratorINS9_6negateIsEESE_NS9_11use_defaultESI_EESE_sNS9_4plusIvEENS9_8equal_toIvEEsEE10hipError_tPvRmT2_T3_T4_T5_mT6_T7_P12ihipStream_tbENKUlT_T0_E_clISt17integral_constantIbLb1EES14_EEDaSZ_S10_EUlSZ_E_NS1_11comp_targetILNS1_3genE10ELNS1_11target_archE1200ELNS1_3gpuE4ELNS1_3repE0EEENS1_30default_config_static_selectorELNS0_4arch9wavefront6targetE0EEEvT1_.has_indirect_call, 0
	.section	.AMDGPU.csdata,"",@progbits
; Kernel info:
; codeLenInByte = 0
; TotalNumSgprs: 0
; NumVgprs: 0
; ScratchSize: 0
; MemoryBound: 0
; FloatMode: 240
; IeeeMode: 1
; LDSByteSize: 0 bytes/workgroup (compile time only)
; SGPRBlocks: 0
; VGPRBlocks: 0
; NumSGPRsForWavesPerEU: 1
; NumVGPRsForWavesPerEU: 1
; Occupancy: 16
; WaveLimiterHint : 0
; COMPUTE_PGM_RSRC2:SCRATCH_EN: 0
; COMPUTE_PGM_RSRC2:USER_SGPR: 6
; COMPUTE_PGM_RSRC2:TRAP_HANDLER: 0
; COMPUTE_PGM_RSRC2:TGID_X_EN: 1
; COMPUTE_PGM_RSRC2:TGID_Y_EN: 0
; COMPUTE_PGM_RSRC2:TGID_Z_EN: 0
; COMPUTE_PGM_RSRC2:TIDIG_COMP_CNT: 0
	.section	.text._ZN7rocprim17ROCPRIM_400000_NS6detail17trampoline_kernelINS0_14default_configENS1_27scan_by_key_config_selectorIssEEZZNS1_16scan_by_key_implILNS1_25lookback_scan_determinismE0ELb0ES3_N6thrust23THRUST_200600_302600_NS6detail15normal_iteratorINS9_10device_ptrIsEEEENS9_18transform_iteratorINS9_6negateIsEESE_NS9_11use_defaultESI_EESE_sNS9_4plusIvEENS9_8equal_toIvEEsEE10hipError_tPvRmT2_T3_T4_T5_mT6_T7_P12ihipStream_tbENKUlT_T0_E_clISt17integral_constantIbLb1EES14_EEDaSZ_S10_EUlSZ_E_NS1_11comp_targetILNS1_3genE9ELNS1_11target_archE1100ELNS1_3gpuE3ELNS1_3repE0EEENS1_30default_config_static_selectorELNS0_4arch9wavefront6targetE0EEEvT1_,"axG",@progbits,_ZN7rocprim17ROCPRIM_400000_NS6detail17trampoline_kernelINS0_14default_configENS1_27scan_by_key_config_selectorIssEEZZNS1_16scan_by_key_implILNS1_25lookback_scan_determinismE0ELb0ES3_N6thrust23THRUST_200600_302600_NS6detail15normal_iteratorINS9_10device_ptrIsEEEENS9_18transform_iteratorINS9_6negateIsEESE_NS9_11use_defaultESI_EESE_sNS9_4plusIvEENS9_8equal_toIvEEsEE10hipError_tPvRmT2_T3_T4_T5_mT6_T7_P12ihipStream_tbENKUlT_T0_E_clISt17integral_constantIbLb1EES14_EEDaSZ_S10_EUlSZ_E_NS1_11comp_targetILNS1_3genE9ELNS1_11target_archE1100ELNS1_3gpuE3ELNS1_3repE0EEENS1_30default_config_static_selectorELNS0_4arch9wavefront6targetE0EEEvT1_,comdat
	.protected	_ZN7rocprim17ROCPRIM_400000_NS6detail17trampoline_kernelINS0_14default_configENS1_27scan_by_key_config_selectorIssEEZZNS1_16scan_by_key_implILNS1_25lookback_scan_determinismE0ELb0ES3_N6thrust23THRUST_200600_302600_NS6detail15normal_iteratorINS9_10device_ptrIsEEEENS9_18transform_iteratorINS9_6negateIsEESE_NS9_11use_defaultESI_EESE_sNS9_4plusIvEENS9_8equal_toIvEEsEE10hipError_tPvRmT2_T3_T4_T5_mT6_T7_P12ihipStream_tbENKUlT_T0_E_clISt17integral_constantIbLb1EES14_EEDaSZ_S10_EUlSZ_E_NS1_11comp_targetILNS1_3genE9ELNS1_11target_archE1100ELNS1_3gpuE3ELNS1_3repE0EEENS1_30default_config_static_selectorELNS0_4arch9wavefront6targetE0EEEvT1_ ; -- Begin function _ZN7rocprim17ROCPRIM_400000_NS6detail17trampoline_kernelINS0_14default_configENS1_27scan_by_key_config_selectorIssEEZZNS1_16scan_by_key_implILNS1_25lookback_scan_determinismE0ELb0ES3_N6thrust23THRUST_200600_302600_NS6detail15normal_iteratorINS9_10device_ptrIsEEEENS9_18transform_iteratorINS9_6negateIsEESE_NS9_11use_defaultESI_EESE_sNS9_4plusIvEENS9_8equal_toIvEEsEE10hipError_tPvRmT2_T3_T4_T5_mT6_T7_P12ihipStream_tbENKUlT_T0_E_clISt17integral_constantIbLb1EES14_EEDaSZ_S10_EUlSZ_E_NS1_11comp_targetILNS1_3genE9ELNS1_11target_archE1100ELNS1_3gpuE3ELNS1_3repE0EEENS1_30default_config_static_selectorELNS0_4arch9wavefront6targetE0EEEvT1_
	.globl	_ZN7rocprim17ROCPRIM_400000_NS6detail17trampoline_kernelINS0_14default_configENS1_27scan_by_key_config_selectorIssEEZZNS1_16scan_by_key_implILNS1_25lookback_scan_determinismE0ELb0ES3_N6thrust23THRUST_200600_302600_NS6detail15normal_iteratorINS9_10device_ptrIsEEEENS9_18transform_iteratorINS9_6negateIsEESE_NS9_11use_defaultESI_EESE_sNS9_4plusIvEENS9_8equal_toIvEEsEE10hipError_tPvRmT2_T3_T4_T5_mT6_T7_P12ihipStream_tbENKUlT_T0_E_clISt17integral_constantIbLb1EES14_EEDaSZ_S10_EUlSZ_E_NS1_11comp_targetILNS1_3genE9ELNS1_11target_archE1100ELNS1_3gpuE3ELNS1_3repE0EEENS1_30default_config_static_selectorELNS0_4arch9wavefront6targetE0EEEvT1_
	.p2align	8
	.type	_ZN7rocprim17ROCPRIM_400000_NS6detail17trampoline_kernelINS0_14default_configENS1_27scan_by_key_config_selectorIssEEZZNS1_16scan_by_key_implILNS1_25lookback_scan_determinismE0ELb0ES3_N6thrust23THRUST_200600_302600_NS6detail15normal_iteratorINS9_10device_ptrIsEEEENS9_18transform_iteratorINS9_6negateIsEESE_NS9_11use_defaultESI_EESE_sNS9_4plusIvEENS9_8equal_toIvEEsEE10hipError_tPvRmT2_T3_T4_T5_mT6_T7_P12ihipStream_tbENKUlT_T0_E_clISt17integral_constantIbLb1EES14_EEDaSZ_S10_EUlSZ_E_NS1_11comp_targetILNS1_3genE9ELNS1_11target_archE1100ELNS1_3gpuE3ELNS1_3repE0EEENS1_30default_config_static_selectorELNS0_4arch9wavefront6targetE0EEEvT1_,@function
_ZN7rocprim17ROCPRIM_400000_NS6detail17trampoline_kernelINS0_14default_configENS1_27scan_by_key_config_selectorIssEEZZNS1_16scan_by_key_implILNS1_25lookback_scan_determinismE0ELb0ES3_N6thrust23THRUST_200600_302600_NS6detail15normal_iteratorINS9_10device_ptrIsEEEENS9_18transform_iteratorINS9_6negateIsEESE_NS9_11use_defaultESI_EESE_sNS9_4plusIvEENS9_8equal_toIvEEsEE10hipError_tPvRmT2_T3_T4_T5_mT6_T7_P12ihipStream_tbENKUlT_T0_E_clISt17integral_constantIbLb1EES14_EEDaSZ_S10_EUlSZ_E_NS1_11comp_targetILNS1_3genE9ELNS1_11target_archE1100ELNS1_3gpuE3ELNS1_3repE0EEENS1_30default_config_static_selectorELNS0_4arch9wavefront6targetE0EEEvT1_: ; @_ZN7rocprim17ROCPRIM_400000_NS6detail17trampoline_kernelINS0_14default_configENS1_27scan_by_key_config_selectorIssEEZZNS1_16scan_by_key_implILNS1_25lookback_scan_determinismE0ELb0ES3_N6thrust23THRUST_200600_302600_NS6detail15normal_iteratorINS9_10device_ptrIsEEEENS9_18transform_iteratorINS9_6negateIsEESE_NS9_11use_defaultESI_EESE_sNS9_4plusIvEENS9_8equal_toIvEEsEE10hipError_tPvRmT2_T3_T4_T5_mT6_T7_P12ihipStream_tbENKUlT_T0_E_clISt17integral_constantIbLb1EES14_EEDaSZ_S10_EUlSZ_E_NS1_11comp_targetILNS1_3genE9ELNS1_11target_archE1100ELNS1_3gpuE3ELNS1_3repE0EEENS1_30default_config_static_selectorELNS0_4arch9wavefront6targetE0EEEvT1_
; %bb.0:
	.section	.rodata,"a",@progbits
	.p2align	6, 0x0
	.amdhsa_kernel _ZN7rocprim17ROCPRIM_400000_NS6detail17trampoline_kernelINS0_14default_configENS1_27scan_by_key_config_selectorIssEEZZNS1_16scan_by_key_implILNS1_25lookback_scan_determinismE0ELb0ES3_N6thrust23THRUST_200600_302600_NS6detail15normal_iteratorINS9_10device_ptrIsEEEENS9_18transform_iteratorINS9_6negateIsEESE_NS9_11use_defaultESI_EESE_sNS9_4plusIvEENS9_8equal_toIvEEsEE10hipError_tPvRmT2_T3_T4_T5_mT6_T7_P12ihipStream_tbENKUlT_T0_E_clISt17integral_constantIbLb1EES14_EEDaSZ_S10_EUlSZ_E_NS1_11comp_targetILNS1_3genE9ELNS1_11target_archE1100ELNS1_3gpuE3ELNS1_3repE0EEENS1_30default_config_static_selectorELNS0_4arch9wavefront6targetE0EEEvT1_
		.amdhsa_group_segment_fixed_size 0
		.amdhsa_private_segment_fixed_size 0
		.amdhsa_kernarg_size 120
		.amdhsa_user_sgpr_count 6
		.amdhsa_user_sgpr_private_segment_buffer 1
		.amdhsa_user_sgpr_dispatch_ptr 0
		.amdhsa_user_sgpr_queue_ptr 0
		.amdhsa_user_sgpr_kernarg_segment_ptr 1
		.amdhsa_user_sgpr_dispatch_id 0
		.amdhsa_user_sgpr_flat_scratch_init 0
		.amdhsa_user_sgpr_private_segment_size 0
		.amdhsa_wavefront_size32 1
		.amdhsa_uses_dynamic_stack 0
		.amdhsa_system_sgpr_private_segment_wavefront_offset 0
		.amdhsa_system_sgpr_workgroup_id_x 1
		.amdhsa_system_sgpr_workgroup_id_y 0
		.amdhsa_system_sgpr_workgroup_id_z 0
		.amdhsa_system_sgpr_workgroup_info 0
		.amdhsa_system_vgpr_workitem_id 0
		.amdhsa_next_free_vgpr 1
		.amdhsa_next_free_sgpr 1
		.amdhsa_reserve_vcc 0
		.amdhsa_reserve_flat_scratch 0
		.amdhsa_float_round_mode_32 0
		.amdhsa_float_round_mode_16_64 0
		.amdhsa_float_denorm_mode_32 3
		.amdhsa_float_denorm_mode_16_64 3
		.amdhsa_dx10_clamp 1
		.amdhsa_ieee_mode 1
		.amdhsa_fp16_overflow 0
		.amdhsa_workgroup_processor_mode 1
		.amdhsa_memory_ordered 1
		.amdhsa_forward_progress 1
		.amdhsa_shared_vgpr_count 0
		.amdhsa_exception_fp_ieee_invalid_op 0
		.amdhsa_exception_fp_denorm_src 0
		.amdhsa_exception_fp_ieee_div_zero 0
		.amdhsa_exception_fp_ieee_overflow 0
		.amdhsa_exception_fp_ieee_underflow 0
		.amdhsa_exception_fp_ieee_inexact 0
		.amdhsa_exception_int_div_zero 0
	.end_amdhsa_kernel
	.section	.text._ZN7rocprim17ROCPRIM_400000_NS6detail17trampoline_kernelINS0_14default_configENS1_27scan_by_key_config_selectorIssEEZZNS1_16scan_by_key_implILNS1_25lookback_scan_determinismE0ELb0ES3_N6thrust23THRUST_200600_302600_NS6detail15normal_iteratorINS9_10device_ptrIsEEEENS9_18transform_iteratorINS9_6negateIsEESE_NS9_11use_defaultESI_EESE_sNS9_4plusIvEENS9_8equal_toIvEEsEE10hipError_tPvRmT2_T3_T4_T5_mT6_T7_P12ihipStream_tbENKUlT_T0_E_clISt17integral_constantIbLb1EES14_EEDaSZ_S10_EUlSZ_E_NS1_11comp_targetILNS1_3genE9ELNS1_11target_archE1100ELNS1_3gpuE3ELNS1_3repE0EEENS1_30default_config_static_selectorELNS0_4arch9wavefront6targetE0EEEvT1_,"axG",@progbits,_ZN7rocprim17ROCPRIM_400000_NS6detail17trampoline_kernelINS0_14default_configENS1_27scan_by_key_config_selectorIssEEZZNS1_16scan_by_key_implILNS1_25lookback_scan_determinismE0ELb0ES3_N6thrust23THRUST_200600_302600_NS6detail15normal_iteratorINS9_10device_ptrIsEEEENS9_18transform_iteratorINS9_6negateIsEESE_NS9_11use_defaultESI_EESE_sNS9_4plusIvEENS9_8equal_toIvEEsEE10hipError_tPvRmT2_T3_T4_T5_mT6_T7_P12ihipStream_tbENKUlT_T0_E_clISt17integral_constantIbLb1EES14_EEDaSZ_S10_EUlSZ_E_NS1_11comp_targetILNS1_3genE9ELNS1_11target_archE1100ELNS1_3gpuE3ELNS1_3repE0EEENS1_30default_config_static_selectorELNS0_4arch9wavefront6targetE0EEEvT1_,comdat
.Lfunc_end981:
	.size	_ZN7rocprim17ROCPRIM_400000_NS6detail17trampoline_kernelINS0_14default_configENS1_27scan_by_key_config_selectorIssEEZZNS1_16scan_by_key_implILNS1_25lookback_scan_determinismE0ELb0ES3_N6thrust23THRUST_200600_302600_NS6detail15normal_iteratorINS9_10device_ptrIsEEEENS9_18transform_iteratorINS9_6negateIsEESE_NS9_11use_defaultESI_EESE_sNS9_4plusIvEENS9_8equal_toIvEEsEE10hipError_tPvRmT2_T3_T4_T5_mT6_T7_P12ihipStream_tbENKUlT_T0_E_clISt17integral_constantIbLb1EES14_EEDaSZ_S10_EUlSZ_E_NS1_11comp_targetILNS1_3genE9ELNS1_11target_archE1100ELNS1_3gpuE3ELNS1_3repE0EEENS1_30default_config_static_selectorELNS0_4arch9wavefront6targetE0EEEvT1_, .Lfunc_end981-_ZN7rocprim17ROCPRIM_400000_NS6detail17trampoline_kernelINS0_14default_configENS1_27scan_by_key_config_selectorIssEEZZNS1_16scan_by_key_implILNS1_25lookback_scan_determinismE0ELb0ES3_N6thrust23THRUST_200600_302600_NS6detail15normal_iteratorINS9_10device_ptrIsEEEENS9_18transform_iteratorINS9_6negateIsEESE_NS9_11use_defaultESI_EESE_sNS9_4plusIvEENS9_8equal_toIvEEsEE10hipError_tPvRmT2_T3_T4_T5_mT6_T7_P12ihipStream_tbENKUlT_T0_E_clISt17integral_constantIbLb1EES14_EEDaSZ_S10_EUlSZ_E_NS1_11comp_targetILNS1_3genE9ELNS1_11target_archE1100ELNS1_3gpuE3ELNS1_3repE0EEENS1_30default_config_static_selectorELNS0_4arch9wavefront6targetE0EEEvT1_
                                        ; -- End function
	.set _ZN7rocprim17ROCPRIM_400000_NS6detail17trampoline_kernelINS0_14default_configENS1_27scan_by_key_config_selectorIssEEZZNS1_16scan_by_key_implILNS1_25lookback_scan_determinismE0ELb0ES3_N6thrust23THRUST_200600_302600_NS6detail15normal_iteratorINS9_10device_ptrIsEEEENS9_18transform_iteratorINS9_6negateIsEESE_NS9_11use_defaultESI_EESE_sNS9_4plusIvEENS9_8equal_toIvEEsEE10hipError_tPvRmT2_T3_T4_T5_mT6_T7_P12ihipStream_tbENKUlT_T0_E_clISt17integral_constantIbLb1EES14_EEDaSZ_S10_EUlSZ_E_NS1_11comp_targetILNS1_3genE9ELNS1_11target_archE1100ELNS1_3gpuE3ELNS1_3repE0EEENS1_30default_config_static_selectorELNS0_4arch9wavefront6targetE0EEEvT1_.num_vgpr, 0
	.set _ZN7rocprim17ROCPRIM_400000_NS6detail17trampoline_kernelINS0_14default_configENS1_27scan_by_key_config_selectorIssEEZZNS1_16scan_by_key_implILNS1_25lookback_scan_determinismE0ELb0ES3_N6thrust23THRUST_200600_302600_NS6detail15normal_iteratorINS9_10device_ptrIsEEEENS9_18transform_iteratorINS9_6negateIsEESE_NS9_11use_defaultESI_EESE_sNS9_4plusIvEENS9_8equal_toIvEEsEE10hipError_tPvRmT2_T3_T4_T5_mT6_T7_P12ihipStream_tbENKUlT_T0_E_clISt17integral_constantIbLb1EES14_EEDaSZ_S10_EUlSZ_E_NS1_11comp_targetILNS1_3genE9ELNS1_11target_archE1100ELNS1_3gpuE3ELNS1_3repE0EEENS1_30default_config_static_selectorELNS0_4arch9wavefront6targetE0EEEvT1_.num_agpr, 0
	.set _ZN7rocprim17ROCPRIM_400000_NS6detail17trampoline_kernelINS0_14default_configENS1_27scan_by_key_config_selectorIssEEZZNS1_16scan_by_key_implILNS1_25lookback_scan_determinismE0ELb0ES3_N6thrust23THRUST_200600_302600_NS6detail15normal_iteratorINS9_10device_ptrIsEEEENS9_18transform_iteratorINS9_6negateIsEESE_NS9_11use_defaultESI_EESE_sNS9_4plusIvEENS9_8equal_toIvEEsEE10hipError_tPvRmT2_T3_T4_T5_mT6_T7_P12ihipStream_tbENKUlT_T0_E_clISt17integral_constantIbLb1EES14_EEDaSZ_S10_EUlSZ_E_NS1_11comp_targetILNS1_3genE9ELNS1_11target_archE1100ELNS1_3gpuE3ELNS1_3repE0EEENS1_30default_config_static_selectorELNS0_4arch9wavefront6targetE0EEEvT1_.numbered_sgpr, 0
	.set _ZN7rocprim17ROCPRIM_400000_NS6detail17trampoline_kernelINS0_14default_configENS1_27scan_by_key_config_selectorIssEEZZNS1_16scan_by_key_implILNS1_25lookback_scan_determinismE0ELb0ES3_N6thrust23THRUST_200600_302600_NS6detail15normal_iteratorINS9_10device_ptrIsEEEENS9_18transform_iteratorINS9_6negateIsEESE_NS9_11use_defaultESI_EESE_sNS9_4plusIvEENS9_8equal_toIvEEsEE10hipError_tPvRmT2_T3_T4_T5_mT6_T7_P12ihipStream_tbENKUlT_T0_E_clISt17integral_constantIbLb1EES14_EEDaSZ_S10_EUlSZ_E_NS1_11comp_targetILNS1_3genE9ELNS1_11target_archE1100ELNS1_3gpuE3ELNS1_3repE0EEENS1_30default_config_static_selectorELNS0_4arch9wavefront6targetE0EEEvT1_.num_named_barrier, 0
	.set _ZN7rocprim17ROCPRIM_400000_NS6detail17trampoline_kernelINS0_14default_configENS1_27scan_by_key_config_selectorIssEEZZNS1_16scan_by_key_implILNS1_25lookback_scan_determinismE0ELb0ES3_N6thrust23THRUST_200600_302600_NS6detail15normal_iteratorINS9_10device_ptrIsEEEENS9_18transform_iteratorINS9_6negateIsEESE_NS9_11use_defaultESI_EESE_sNS9_4plusIvEENS9_8equal_toIvEEsEE10hipError_tPvRmT2_T3_T4_T5_mT6_T7_P12ihipStream_tbENKUlT_T0_E_clISt17integral_constantIbLb1EES14_EEDaSZ_S10_EUlSZ_E_NS1_11comp_targetILNS1_3genE9ELNS1_11target_archE1100ELNS1_3gpuE3ELNS1_3repE0EEENS1_30default_config_static_selectorELNS0_4arch9wavefront6targetE0EEEvT1_.private_seg_size, 0
	.set _ZN7rocprim17ROCPRIM_400000_NS6detail17trampoline_kernelINS0_14default_configENS1_27scan_by_key_config_selectorIssEEZZNS1_16scan_by_key_implILNS1_25lookback_scan_determinismE0ELb0ES3_N6thrust23THRUST_200600_302600_NS6detail15normal_iteratorINS9_10device_ptrIsEEEENS9_18transform_iteratorINS9_6negateIsEESE_NS9_11use_defaultESI_EESE_sNS9_4plusIvEENS9_8equal_toIvEEsEE10hipError_tPvRmT2_T3_T4_T5_mT6_T7_P12ihipStream_tbENKUlT_T0_E_clISt17integral_constantIbLb1EES14_EEDaSZ_S10_EUlSZ_E_NS1_11comp_targetILNS1_3genE9ELNS1_11target_archE1100ELNS1_3gpuE3ELNS1_3repE0EEENS1_30default_config_static_selectorELNS0_4arch9wavefront6targetE0EEEvT1_.uses_vcc, 0
	.set _ZN7rocprim17ROCPRIM_400000_NS6detail17trampoline_kernelINS0_14default_configENS1_27scan_by_key_config_selectorIssEEZZNS1_16scan_by_key_implILNS1_25lookback_scan_determinismE0ELb0ES3_N6thrust23THRUST_200600_302600_NS6detail15normal_iteratorINS9_10device_ptrIsEEEENS9_18transform_iteratorINS9_6negateIsEESE_NS9_11use_defaultESI_EESE_sNS9_4plusIvEENS9_8equal_toIvEEsEE10hipError_tPvRmT2_T3_T4_T5_mT6_T7_P12ihipStream_tbENKUlT_T0_E_clISt17integral_constantIbLb1EES14_EEDaSZ_S10_EUlSZ_E_NS1_11comp_targetILNS1_3genE9ELNS1_11target_archE1100ELNS1_3gpuE3ELNS1_3repE0EEENS1_30default_config_static_selectorELNS0_4arch9wavefront6targetE0EEEvT1_.uses_flat_scratch, 0
	.set _ZN7rocprim17ROCPRIM_400000_NS6detail17trampoline_kernelINS0_14default_configENS1_27scan_by_key_config_selectorIssEEZZNS1_16scan_by_key_implILNS1_25lookback_scan_determinismE0ELb0ES3_N6thrust23THRUST_200600_302600_NS6detail15normal_iteratorINS9_10device_ptrIsEEEENS9_18transform_iteratorINS9_6negateIsEESE_NS9_11use_defaultESI_EESE_sNS9_4plusIvEENS9_8equal_toIvEEsEE10hipError_tPvRmT2_T3_T4_T5_mT6_T7_P12ihipStream_tbENKUlT_T0_E_clISt17integral_constantIbLb1EES14_EEDaSZ_S10_EUlSZ_E_NS1_11comp_targetILNS1_3genE9ELNS1_11target_archE1100ELNS1_3gpuE3ELNS1_3repE0EEENS1_30default_config_static_selectorELNS0_4arch9wavefront6targetE0EEEvT1_.has_dyn_sized_stack, 0
	.set _ZN7rocprim17ROCPRIM_400000_NS6detail17trampoline_kernelINS0_14default_configENS1_27scan_by_key_config_selectorIssEEZZNS1_16scan_by_key_implILNS1_25lookback_scan_determinismE0ELb0ES3_N6thrust23THRUST_200600_302600_NS6detail15normal_iteratorINS9_10device_ptrIsEEEENS9_18transform_iteratorINS9_6negateIsEESE_NS9_11use_defaultESI_EESE_sNS9_4plusIvEENS9_8equal_toIvEEsEE10hipError_tPvRmT2_T3_T4_T5_mT6_T7_P12ihipStream_tbENKUlT_T0_E_clISt17integral_constantIbLb1EES14_EEDaSZ_S10_EUlSZ_E_NS1_11comp_targetILNS1_3genE9ELNS1_11target_archE1100ELNS1_3gpuE3ELNS1_3repE0EEENS1_30default_config_static_selectorELNS0_4arch9wavefront6targetE0EEEvT1_.has_recursion, 0
	.set _ZN7rocprim17ROCPRIM_400000_NS6detail17trampoline_kernelINS0_14default_configENS1_27scan_by_key_config_selectorIssEEZZNS1_16scan_by_key_implILNS1_25lookback_scan_determinismE0ELb0ES3_N6thrust23THRUST_200600_302600_NS6detail15normal_iteratorINS9_10device_ptrIsEEEENS9_18transform_iteratorINS9_6negateIsEESE_NS9_11use_defaultESI_EESE_sNS9_4plusIvEENS9_8equal_toIvEEsEE10hipError_tPvRmT2_T3_T4_T5_mT6_T7_P12ihipStream_tbENKUlT_T0_E_clISt17integral_constantIbLb1EES14_EEDaSZ_S10_EUlSZ_E_NS1_11comp_targetILNS1_3genE9ELNS1_11target_archE1100ELNS1_3gpuE3ELNS1_3repE0EEENS1_30default_config_static_selectorELNS0_4arch9wavefront6targetE0EEEvT1_.has_indirect_call, 0
	.section	.AMDGPU.csdata,"",@progbits
; Kernel info:
; codeLenInByte = 0
; TotalNumSgprs: 0
; NumVgprs: 0
; ScratchSize: 0
; MemoryBound: 0
; FloatMode: 240
; IeeeMode: 1
; LDSByteSize: 0 bytes/workgroup (compile time only)
; SGPRBlocks: 0
; VGPRBlocks: 0
; NumSGPRsForWavesPerEU: 1
; NumVGPRsForWavesPerEU: 1
; Occupancy: 16
; WaveLimiterHint : 0
; COMPUTE_PGM_RSRC2:SCRATCH_EN: 0
; COMPUTE_PGM_RSRC2:USER_SGPR: 6
; COMPUTE_PGM_RSRC2:TRAP_HANDLER: 0
; COMPUTE_PGM_RSRC2:TGID_X_EN: 1
; COMPUTE_PGM_RSRC2:TGID_Y_EN: 0
; COMPUTE_PGM_RSRC2:TGID_Z_EN: 0
; COMPUTE_PGM_RSRC2:TIDIG_COMP_CNT: 0
	.section	.text._ZN7rocprim17ROCPRIM_400000_NS6detail17trampoline_kernelINS0_14default_configENS1_27scan_by_key_config_selectorIssEEZZNS1_16scan_by_key_implILNS1_25lookback_scan_determinismE0ELb0ES3_N6thrust23THRUST_200600_302600_NS6detail15normal_iteratorINS9_10device_ptrIsEEEENS9_18transform_iteratorINS9_6negateIsEESE_NS9_11use_defaultESI_EESE_sNS9_4plusIvEENS9_8equal_toIvEEsEE10hipError_tPvRmT2_T3_T4_T5_mT6_T7_P12ihipStream_tbENKUlT_T0_E_clISt17integral_constantIbLb1EES14_EEDaSZ_S10_EUlSZ_E_NS1_11comp_targetILNS1_3genE8ELNS1_11target_archE1030ELNS1_3gpuE2ELNS1_3repE0EEENS1_30default_config_static_selectorELNS0_4arch9wavefront6targetE0EEEvT1_,"axG",@progbits,_ZN7rocprim17ROCPRIM_400000_NS6detail17trampoline_kernelINS0_14default_configENS1_27scan_by_key_config_selectorIssEEZZNS1_16scan_by_key_implILNS1_25lookback_scan_determinismE0ELb0ES3_N6thrust23THRUST_200600_302600_NS6detail15normal_iteratorINS9_10device_ptrIsEEEENS9_18transform_iteratorINS9_6negateIsEESE_NS9_11use_defaultESI_EESE_sNS9_4plusIvEENS9_8equal_toIvEEsEE10hipError_tPvRmT2_T3_T4_T5_mT6_T7_P12ihipStream_tbENKUlT_T0_E_clISt17integral_constantIbLb1EES14_EEDaSZ_S10_EUlSZ_E_NS1_11comp_targetILNS1_3genE8ELNS1_11target_archE1030ELNS1_3gpuE2ELNS1_3repE0EEENS1_30default_config_static_selectorELNS0_4arch9wavefront6targetE0EEEvT1_,comdat
	.protected	_ZN7rocprim17ROCPRIM_400000_NS6detail17trampoline_kernelINS0_14default_configENS1_27scan_by_key_config_selectorIssEEZZNS1_16scan_by_key_implILNS1_25lookback_scan_determinismE0ELb0ES3_N6thrust23THRUST_200600_302600_NS6detail15normal_iteratorINS9_10device_ptrIsEEEENS9_18transform_iteratorINS9_6negateIsEESE_NS9_11use_defaultESI_EESE_sNS9_4plusIvEENS9_8equal_toIvEEsEE10hipError_tPvRmT2_T3_T4_T5_mT6_T7_P12ihipStream_tbENKUlT_T0_E_clISt17integral_constantIbLb1EES14_EEDaSZ_S10_EUlSZ_E_NS1_11comp_targetILNS1_3genE8ELNS1_11target_archE1030ELNS1_3gpuE2ELNS1_3repE0EEENS1_30default_config_static_selectorELNS0_4arch9wavefront6targetE0EEEvT1_ ; -- Begin function _ZN7rocprim17ROCPRIM_400000_NS6detail17trampoline_kernelINS0_14default_configENS1_27scan_by_key_config_selectorIssEEZZNS1_16scan_by_key_implILNS1_25lookback_scan_determinismE0ELb0ES3_N6thrust23THRUST_200600_302600_NS6detail15normal_iteratorINS9_10device_ptrIsEEEENS9_18transform_iteratorINS9_6negateIsEESE_NS9_11use_defaultESI_EESE_sNS9_4plusIvEENS9_8equal_toIvEEsEE10hipError_tPvRmT2_T3_T4_T5_mT6_T7_P12ihipStream_tbENKUlT_T0_E_clISt17integral_constantIbLb1EES14_EEDaSZ_S10_EUlSZ_E_NS1_11comp_targetILNS1_3genE8ELNS1_11target_archE1030ELNS1_3gpuE2ELNS1_3repE0EEENS1_30default_config_static_selectorELNS0_4arch9wavefront6targetE0EEEvT1_
	.globl	_ZN7rocprim17ROCPRIM_400000_NS6detail17trampoline_kernelINS0_14default_configENS1_27scan_by_key_config_selectorIssEEZZNS1_16scan_by_key_implILNS1_25lookback_scan_determinismE0ELb0ES3_N6thrust23THRUST_200600_302600_NS6detail15normal_iteratorINS9_10device_ptrIsEEEENS9_18transform_iteratorINS9_6negateIsEESE_NS9_11use_defaultESI_EESE_sNS9_4plusIvEENS9_8equal_toIvEEsEE10hipError_tPvRmT2_T3_T4_T5_mT6_T7_P12ihipStream_tbENKUlT_T0_E_clISt17integral_constantIbLb1EES14_EEDaSZ_S10_EUlSZ_E_NS1_11comp_targetILNS1_3genE8ELNS1_11target_archE1030ELNS1_3gpuE2ELNS1_3repE0EEENS1_30default_config_static_selectorELNS0_4arch9wavefront6targetE0EEEvT1_
	.p2align	8
	.type	_ZN7rocprim17ROCPRIM_400000_NS6detail17trampoline_kernelINS0_14default_configENS1_27scan_by_key_config_selectorIssEEZZNS1_16scan_by_key_implILNS1_25lookback_scan_determinismE0ELb0ES3_N6thrust23THRUST_200600_302600_NS6detail15normal_iteratorINS9_10device_ptrIsEEEENS9_18transform_iteratorINS9_6negateIsEESE_NS9_11use_defaultESI_EESE_sNS9_4plusIvEENS9_8equal_toIvEEsEE10hipError_tPvRmT2_T3_T4_T5_mT6_T7_P12ihipStream_tbENKUlT_T0_E_clISt17integral_constantIbLb1EES14_EEDaSZ_S10_EUlSZ_E_NS1_11comp_targetILNS1_3genE8ELNS1_11target_archE1030ELNS1_3gpuE2ELNS1_3repE0EEENS1_30default_config_static_selectorELNS0_4arch9wavefront6targetE0EEEvT1_,@function
_ZN7rocprim17ROCPRIM_400000_NS6detail17trampoline_kernelINS0_14default_configENS1_27scan_by_key_config_selectorIssEEZZNS1_16scan_by_key_implILNS1_25lookback_scan_determinismE0ELb0ES3_N6thrust23THRUST_200600_302600_NS6detail15normal_iteratorINS9_10device_ptrIsEEEENS9_18transform_iteratorINS9_6negateIsEESE_NS9_11use_defaultESI_EESE_sNS9_4plusIvEENS9_8equal_toIvEEsEE10hipError_tPvRmT2_T3_T4_T5_mT6_T7_P12ihipStream_tbENKUlT_T0_E_clISt17integral_constantIbLb1EES14_EEDaSZ_S10_EUlSZ_E_NS1_11comp_targetILNS1_3genE8ELNS1_11target_archE1030ELNS1_3gpuE2ELNS1_3repE0EEENS1_30default_config_static_selectorELNS0_4arch9wavefront6targetE0EEEvT1_: ; @_ZN7rocprim17ROCPRIM_400000_NS6detail17trampoline_kernelINS0_14default_configENS1_27scan_by_key_config_selectorIssEEZZNS1_16scan_by_key_implILNS1_25lookback_scan_determinismE0ELb0ES3_N6thrust23THRUST_200600_302600_NS6detail15normal_iteratorINS9_10device_ptrIsEEEENS9_18transform_iteratorINS9_6negateIsEESE_NS9_11use_defaultESI_EESE_sNS9_4plusIvEENS9_8equal_toIvEEsEE10hipError_tPvRmT2_T3_T4_T5_mT6_T7_P12ihipStream_tbENKUlT_T0_E_clISt17integral_constantIbLb1EES14_EEDaSZ_S10_EUlSZ_E_NS1_11comp_targetILNS1_3genE8ELNS1_11target_archE1030ELNS1_3gpuE2ELNS1_3repE0EEENS1_30default_config_static_selectorELNS0_4arch9wavefront6targetE0EEEvT1_
; %bb.0:
	s_endpgm
	.section	.rodata,"a",@progbits
	.p2align	6, 0x0
	.amdhsa_kernel _ZN7rocprim17ROCPRIM_400000_NS6detail17trampoline_kernelINS0_14default_configENS1_27scan_by_key_config_selectorIssEEZZNS1_16scan_by_key_implILNS1_25lookback_scan_determinismE0ELb0ES3_N6thrust23THRUST_200600_302600_NS6detail15normal_iteratorINS9_10device_ptrIsEEEENS9_18transform_iteratorINS9_6negateIsEESE_NS9_11use_defaultESI_EESE_sNS9_4plusIvEENS9_8equal_toIvEEsEE10hipError_tPvRmT2_T3_T4_T5_mT6_T7_P12ihipStream_tbENKUlT_T0_E_clISt17integral_constantIbLb1EES14_EEDaSZ_S10_EUlSZ_E_NS1_11comp_targetILNS1_3genE8ELNS1_11target_archE1030ELNS1_3gpuE2ELNS1_3repE0EEENS1_30default_config_static_selectorELNS0_4arch9wavefront6targetE0EEEvT1_
		.amdhsa_group_segment_fixed_size 0
		.amdhsa_private_segment_fixed_size 0
		.amdhsa_kernarg_size 120
		.amdhsa_user_sgpr_count 6
		.amdhsa_user_sgpr_private_segment_buffer 1
		.amdhsa_user_sgpr_dispatch_ptr 0
		.amdhsa_user_sgpr_queue_ptr 0
		.amdhsa_user_sgpr_kernarg_segment_ptr 1
		.amdhsa_user_sgpr_dispatch_id 0
		.amdhsa_user_sgpr_flat_scratch_init 0
		.amdhsa_user_sgpr_private_segment_size 0
		.amdhsa_wavefront_size32 1
		.amdhsa_uses_dynamic_stack 0
		.amdhsa_system_sgpr_private_segment_wavefront_offset 0
		.amdhsa_system_sgpr_workgroup_id_x 1
		.amdhsa_system_sgpr_workgroup_id_y 0
		.amdhsa_system_sgpr_workgroup_id_z 0
		.amdhsa_system_sgpr_workgroup_info 0
		.amdhsa_system_vgpr_workitem_id 0
		.amdhsa_next_free_vgpr 1
		.amdhsa_next_free_sgpr 1
		.amdhsa_reserve_vcc 0
		.amdhsa_reserve_flat_scratch 0
		.amdhsa_float_round_mode_32 0
		.amdhsa_float_round_mode_16_64 0
		.amdhsa_float_denorm_mode_32 3
		.amdhsa_float_denorm_mode_16_64 3
		.amdhsa_dx10_clamp 1
		.amdhsa_ieee_mode 1
		.amdhsa_fp16_overflow 0
		.amdhsa_workgroup_processor_mode 1
		.amdhsa_memory_ordered 1
		.amdhsa_forward_progress 1
		.amdhsa_shared_vgpr_count 0
		.amdhsa_exception_fp_ieee_invalid_op 0
		.amdhsa_exception_fp_denorm_src 0
		.amdhsa_exception_fp_ieee_div_zero 0
		.amdhsa_exception_fp_ieee_overflow 0
		.amdhsa_exception_fp_ieee_underflow 0
		.amdhsa_exception_fp_ieee_inexact 0
		.amdhsa_exception_int_div_zero 0
	.end_amdhsa_kernel
	.section	.text._ZN7rocprim17ROCPRIM_400000_NS6detail17trampoline_kernelINS0_14default_configENS1_27scan_by_key_config_selectorIssEEZZNS1_16scan_by_key_implILNS1_25lookback_scan_determinismE0ELb0ES3_N6thrust23THRUST_200600_302600_NS6detail15normal_iteratorINS9_10device_ptrIsEEEENS9_18transform_iteratorINS9_6negateIsEESE_NS9_11use_defaultESI_EESE_sNS9_4plusIvEENS9_8equal_toIvEEsEE10hipError_tPvRmT2_T3_T4_T5_mT6_T7_P12ihipStream_tbENKUlT_T0_E_clISt17integral_constantIbLb1EES14_EEDaSZ_S10_EUlSZ_E_NS1_11comp_targetILNS1_3genE8ELNS1_11target_archE1030ELNS1_3gpuE2ELNS1_3repE0EEENS1_30default_config_static_selectorELNS0_4arch9wavefront6targetE0EEEvT1_,"axG",@progbits,_ZN7rocprim17ROCPRIM_400000_NS6detail17trampoline_kernelINS0_14default_configENS1_27scan_by_key_config_selectorIssEEZZNS1_16scan_by_key_implILNS1_25lookback_scan_determinismE0ELb0ES3_N6thrust23THRUST_200600_302600_NS6detail15normal_iteratorINS9_10device_ptrIsEEEENS9_18transform_iteratorINS9_6negateIsEESE_NS9_11use_defaultESI_EESE_sNS9_4plusIvEENS9_8equal_toIvEEsEE10hipError_tPvRmT2_T3_T4_T5_mT6_T7_P12ihipStream_tbENKUlT_T0_E_clISt17integral_constantIbLb1EES14_EEDaSZ_S10_EUlSZ_E_NS1_11comp_targetILNS1_3genE8ELNS1_11target_archE1030ELNS1_3gpuE2ELNS1_3repE0EEENS1_30default_config_static_selectorELNS0_4arch9wavefront6targetE0EEEvT1_,comdat
.Lfunc_end982:
	.size	_ZN7rocprim17ROCPRIM_400000_NS6detail17trampoline_kernelINS0_14default_configENS1_27scan_by_key_config_selectorIssEEZZNS1_16scan_by_key_implILNS1_25lookback_scan_determinismE0ELb0ES3_N6thrust23THRUST_200600_302600_NS6detail15normal_iteratorINS9_10device_ptrIsEEEENS9_18transform_iteratorINS9_6negateIsEESE_NS9_11use_defaultESI_EESE_sNS9_4plusIvEENS9_8equal_toIvEEsEE10hipError_tPvRmT2_T3_T4_T5_mT6_T7_P12ihipStream_tbENKUlT_T0_E_clISt17integral_constantIbLb1EES14_EEDaSZ_S10_EUlSZ_E_NS1_11comp_targetILNS1_3genE8ELNS1_11target_archE1030ELNS1_3gpuE2ELNS1_3repE0EEENS1_30default_config_static_selectorELNS0_4arch9wavefront6targetE0EEEvT1_, .Lfunc_end982-_ZN7rocprim17ROCPRIM_400000_NS6detail17trampoline_kernelINS0_14default_configENS1_27scan_by_key_config_selectorIssEEZZNS1_16scan_by_key_implILNS1_25lookback_scan_determinismE0ELb0ES3_N6thrust23THRUST_200600_302600_NS6detail15normal_iteratorINS9_10device_ptrIsEEEENS9_18transform_iteratorINS9_6negateIsEESE_NS9_11use_defaultESI_EESE_sNS9_4plusIvEENS9_8equal_toIvEEsEE10hipError_tPvRmT2_T3_T4_T5_mT6_T7_P12ihipStream_tbENKUlT_T0_E_clISt17integral_constantIbLb1EES14_EEDaSZ_S10_EUlSZ_E_NS1_11comp_targetILNS1_3genE8ELNS1_11target_archE1030ELNS1_3gpuE2ELNS1_3repE0EEENS1_30default_config_static_selectorELNS0_4arch9wavefront6targetE0EEEvT1_
                                        ; -- End function
	.set _ZN7rocprim17ROCPRIM_400000_NS6detail17trampoline_kernelINS0_14default_configENS1_27scan_by_key_config_selectorIssEEZZNS1_16scan_by_key_implILNS1_25lookback_scan_determinismE0ELb0ES3_N6thrust23THRUST_200600_302600_NS6detail15normal_iteratorINS9_10device_ptrIsEEEENS9_18transform_iteratorINS9_6negateIsEESE_NS9_11use_defaultESI_EESE_sNS9_4plusIvEENS9_8equal_toIvEEsEE10hipError_tPvRmT2_T3_T4_T5_mT6_T7_P12ihipStream_tbENKUlT_T0_E_clISt17integral_constantIbLb1EES14_EEDaSZ_S10_EUlSZ_E_NS1_11comp_targetILNS1_3genE8ELNS1_11target_archE1030ELNS1_3gpuE2ELNS1_3repE0EEENS1_30default_config_static_selectorELNS0_4arch9wavefront6targetE0EEEvT1_.num_vgpr, 0
	.set _ZN7rocprim17ROCPRIM_400000_NS6detail17trampoline_kernelINS0_14default_configENS1_27scan_by_key_config_selectorIssEEZZNS1_16scan_by_key_implILNS1_25lookback_scan_determinismE0ELb0ES3_N6thrust23THRUST_200600_302600_NS6detail15normal_iteratorINS9_10device_ptrIsEEEENS9_18transform_iteratorINS9_6negateIsEESE_NS9_11use_defaultESI_EESE_sNS9_4plusIvEENS9_8equal_toIvEEsEE10hipError_tPvRmT2_T3_T4_T5_mT6_T7_P12ihipStream_tbENKUlT_T0_E_clISt17integral_constantIbLb1EES14_EEDaSZ_S10_EUlSZ_E_NS1_11comp_targetILNS1_3genE8ELNS1_11target_archE1030ELNS1_3gpuE2ELNS1_3repE0EEENS1_30default_config_static_selectorELNS0_4arch9wavefront6targetE0EEEvT1_.num_agpr, 0
	.set _ZN7rocprim17ROCPRIM_400000_NS6detail17trampoline_kernelINS0_14default_configENS1_27scan_by_key_config_selectorIssEEZZNS1_16scan_by_key_implILNS1_25lookback_scan_determinismE0ELb0ES3_N6thrust23THRUST_200600_302600_NS6detail15normal_iteratorINS9_10device_ptrIsEEEENS9_18transform_iteratorINS9_6negateIsEESE_NS9_11use_defaultESI_EESE_sNS9_4plusIvEENS9_8equal_toIvEEsEE10hipError_tPvRmT2_T3_T4_T5_mT6_T7_P12ihipStream_tbENKUlT_T0_E_clISt17integral_constantIbLb1EES14_EEDaSZ_S10_EUlSZ_E_NS1_11comp_targetILNS1_3genE8ELNS1_11target_archE1030ELNS1_3gpuE2ELNS1_3repE0EEENS1_30default_config_static_selectorELNS0_4arch9wavefront6targetE0EEEvT1_.numbered_sgpr, 0
	.set _ZN7rocprim17ROCPRIM_400000_NS6detail17trampoline_kernelINS0_14default_configENS1_27scan_by_key_config_selectorIssEEZZNS1_16scan_by_key_implILNS1_25lookback_scan_determinismE0ELb0ES3_N6thrust23THRUST_200600_302600_NS6detail15normal_iteratorINS9_10device_ptrIsEEEENS9_18transform_iteratorINS9_6negateIsEESE_NS9_11use_defaultESI_EESE_sNS9_4plusIvEENS9_8equal_toIvEEsEE10hipError_tPvRmT2_T3_T4_T5_mT6_T7_P12ihipStream_tbENKUlT_T0_E_clISt17integral_constantIbLb1EES14_EEDaSZ_S10_EUlSZ_E_NS1_11comp_targetILNS1_3genE8ELNS1_11target_archE1030ELNS1_3gpuE2ELNS1_3repE0EEENS1_30default_config_static_selectorELNS0_4arch9wavefront6targetE0EEEvT1_.num_named_barrier, 0
	.set _ZN7rocprim17ROCPRIM_400000_NS6detail17trampoline_kernelINS0_14default_configENS1_27scan_by_key_config_selectorIssEEZZNS1_16scan_by_key_implILNS1_25lookback_scan_determinismE0ELb0ES3_N6thrust23THRUST_200600_302600_NS6detail15normal_iteratorINS9_10device_ptrIsEEEENS9_18transform_iteratorINS9_6negateIsEESE_NS9_11use_defaultESI_EESE_sNS9_4plusIvEENS9_8equal_toIvEEsEE10hipError_tPvRmT2_T3_T4_T5_mT6_T7_P12ihipStream_tbENKUlT_T0_E_clISt17integral_constantIbLb1EES14_EEDaSZ_S10_EUlSZ_E_NS1_11comp_targetILNS1_3genE8ELNS1_11target_archE1030ELNS1_3gpuE2ELNS1_3repE0EEENS1_30default_config_static_selectorELNS0_4arch9wavefront6targetE0EEEvT1_.private_seg_size, 0
	.set _ZN7rocprim17ROCPRIM_400000_NS6detail17trampoline_kernelINS0_14default_configENS1_27scan_by_key_config_selectorIssEEZZNS1_16scan_by_key_implILNS1_25lookback_scan_determinismE0ELb0ES3_N6thrust23THRUST_200600_302600_NS6detail15normal_iteratorINS9_10device_ptrIsEEEENS9_18transform_iteratorINS9_6negateIsEESE_NS9_11use_defaultESI_EESE_sNS9_4plusIvEENS9_8equal_toIvEEsEE10hipError_tPvRmT2_T3_T4_T5_mT6_T7_P12ihipStream_tbENKUlT_T0_E_clISt17integral_constantIbLb1EES14_EEDaSZ_S10_EUlSZ_E_NS1_11comp_targetILNS1_3genE8ELNS1_11target_archE1030ELNS1_3gpuE2ELNS1_3repE0EEENS1_30default_config_static_selectorELNS0_4arch9wavefront6targetE0EEEvT1_.uses_vcc, 0
	.set _ZN7rocprim17ROCPRIM_400000_NS6detail17trampoline_kernelINS0_14default_configENS1_27scan_by_key_config_selectorIssEEZZNS1_16scan_by_key_implILNS1_25lookback_scan_determinismE0ELb0ES3_N6thrust23THRUST_200600_302600_NS6detail15normal_iteratorINS9_10device_ptrIsEEEENS9_18transform_iteratorINS9_6negateIsEESE_NS9_11use_defaultESI_EESE_sNS9_4plusIvEENS9_8equal_toIvEEsEE10hipError_tPvRmT2_T3_T4_T5_mT6_T7_P12ihipStream_tbENKUlT_T0_E_clISt17integral_constantIbLb1EES14_EEDaSZ_S10_EUlSZ_E_NS1_11comp_targetILNS1_3genE8ELNS1_11target_archE1030ELNS1_3gpuE2ELNS1_3repE0EEENS1_30default_config_static_selectorELNS0_4arch9wavefront6targetE0EEEvT1_.uses_flat_scratch, 0
	.set _ZN7rocprim17ROCPRIM_400000_NS6detail17trampoline_kernelINS0_14default_configENS1_27scan_by_key_config_selectorIssEEZZNS1_16scan_by_key_implILNS1_25lookback_scan_determinismE0ELb0ES3_N6thrust23THRUST_200600_302600_NS6detail15normal_iteratorINS9_10device_ptrIsEEEENS9_18transform_iteratorINS9_6negateIsEESE_NS9_11use_defaultESI_EESE_sNS9_4plusIvEENS9_8equal_toIvEEsEE10hipError_tPvRmT2_T3_T4_T5_mT6_T7_P12ihipStream_tbENKUlT_T0_E_clISt17integral_constantIbLb1EES14_EEDaSZ_S10_EUlSZ_E_NS1_11comp_targetILNS1_3genE8ELNS1_11target_archE1030ELNS1_3gpuE2ELNS1_3repE0EEENS1_30default_config_static_selectorELNS0_4arch9wavefront6targetE0EEEvT1_.has_dyn_sized_stack, 0
	.set _ZN7rocprim17ROCPRIM_400000_NS6detail17trampoline_kernelINS0_14default_configENS1_27scan_by_key_config_selectorIssEEZZNS1_16scan_by_key_implILNS1_25lookback_scan_determinismE0ELb0ES3_N6thrust23THRUST_200600_302600_NS6detail15normal_iteratorINS9_10device_ptrIsEEEENS9_18transform_iteratorINS9_6negateIsEESE_NS9_11use_defaultESI_EESE_sNS9_4plusIvEENS9_8equal_toIvEEsEE10hipError_tPvRmT2_T3_T4_T5_mT6_T7_P12ihipStream_tbENKUlT_T0_E_clISt17integral_constantIbLb1EES14_EEDaSZ_S10_EUlSZ_E_NS1_11comp_targetILNS1_3genE8ELNS1_11target_archE1030ELNS1_3gpuE2ELNS1_3repE0EEENS1_30default_config_static_selectorELNS0_4arch9wavefront6targetE0EEEvT1_.has_recursion, 0
	.set _ZN7rocprim17ROCPRIM_400000_NS6detail17trampoline_kernelINS0_14default_configENS1_27scan_by_key_config_selectorIssEEZZNS1_16scan_by_key_implILNS1_25lookback_scan_determinismE0ELb0ES3_N6thrust23THRUST_200600_302600_NS6detail15normal_iteratorINS9_10device_ptrIsEEEENS9_18transform_iteratorINS9_6negateIsEESE_NS9_11use_defaultESI_EESE_sNS9_4plusIvEENS9_8equal_toIvEEsEE10hipError_tPvRmT2_T3_T4_T5_mT6_T7_P12ihipStream_tbENKUlT_T0_E_clISt17integral_constantIbLb1EES14_EEDaSZ_S10_EUlSZ_E_NS1_11comp_targetILNS1_3genE8ELNS1_11target_archE1030ELNS1_3gpuE2ELNS1_3repE0EEENS1_30default_config_static_selectorELNS0_4arch9wavefront6targetE0EEEvT1_.has_indirect_call, 0
	.section	.AMDGPU.csdata,"",@progbits
; Kernel info:
; codeLenInByte = 4
; TotalNumSgprs: 0
; NumVgprs: 0
; ScratchSize: 0
; MemoryBound: 0
; FloatMode: 240
; IeeeMode: 1
; LDSByteSize: 0 bytes/workgroup (compile time only)
; SGPRBlocks: 0
; VGPRBlocks: 0
; NumSGPRsForWavesPerEU: 1
; NumVGPRsForWavesPerEU: 1
; Occupancy: 16
; WaveLimiterHint : 0
; COMPUTE_PGM_RSRC2:SCRATCH_EN: 0
; COMPUTE_PGM_RSRC2:USER_SGPR: 6
; COMPUTE_PGM_RSRC2:TRAP_HANDLER: 0
; COMPUTE_PGM_RSRC2:TGID_X_EN: 1
; COMPUTE_PGM_RSRC2:TGID_Y_EN: 0
; COMPUTE_PGM_RSRC2:TGID_Z_EN: 0
; COMPUTE_PGM_RSRC2:TIDIG_COMP_CNT: 0
	.section	.text._ZN7rocprim17ROCPRIM_400000_NS6detail17trampoline_kernelINS0_14default_configENS1_27scan_by_key_config_selectorIssEEZZNS1_16scan_by_key_implILNS1_25lookback_scan_determinismE0ELb0ES3_N6thrust23THRUST_200600_302600_NS6detail15normal_iteratorINS9_10device_ptrIsEEEENS9_18transform_iteratorINS9_6negateIsEESE_NS9_11use_defaultESI_EESE_sNS9_4plusIvEENS9_8equal_toIvEEsEE10hipError_tPvRmT2_T3_T4_T5_mT6_T7_P12ihipStream_tbENKUlT_T0_E_clISt17integral_constantIbLb1EES13_IbLb0EEEEDaSZ_S10_EUlSZ_E_NS1_11comp_targetILNS1_3genE0ELNS1_11target_archE4294967295ELNS1_3gpuE0ELNS1_3repE0EEENS1_30default_config_static_selectorELNS0_4arch9wavefront6targetE0EEEvT1_,"axG",@progbits,_ZN7rocprim17ROCPRIM_400000_NS6detail17trampoline_kernelINS0_14default_configENS1_27scan_by_key_config_selectorIssEEZZNS1_16scan_by_key_implILNS1_25lookback_scan_determinismE0ELb0ES3_N6thrust23THRUST_200600_302600_NS6detail15normal_iteratorINS9_10device_ptrIsEEEENS9_18transform_iteratorINS9_6negateIsEESE_NS9_11use_defaultESI_EESE_sNS9_4plusIvEENS9_8equal_toIvEEsEE10hipError_tPvRmT2_T3_T4_T5_mT6_T7_P12ihipStream_tbENKUlT_T0_E_clISt17integral_constantIbLb1EES13_IbLb0EEEEDaSZ_S10_EUlSZ_E_NS1_11comp_targetILNS1_3genE0ELNS1_11target_archE4294967295ELNS1_3gpuE0ELNS1_3repE0EEENS1_30default_config_static_selectorELNS0_4arch9wavefront6targetE0EEEvT1_,comdat
	.protected	_ZN7rocprim17ROCPRIM_400000_NS6detail17trampoline_kernelINS0_14default_configENS1_27scan_by_key_config_selectorIssEEZZNS1_16scan_by_key_implILNS1_25lookback_scan_determinismE0ELb0ES3_N6thrust23THRUST_200600_302600_NS6detail15normal_iteratorINS9_10device_ptrIsEEEENS9_18transform_iteratorINS9_6negateIsEESE_NS9_11use_defaultESI_EESE_sNS9_4plusIvEENS9_8equal_toIvEEsEE10hipError_tPvRmT2_T3_T4_T5_mT6_T7_P12ihipStream_tbENKUlT_T0_E_clISt17integral_constantIbLb1EES13_IbLb0EEEEDaSZ_S10_EUlSZ_E_NS1_11comp_targetILNS1_3genE0ELNS1_11target_archE4294967295ELNS1_3gpuE0ELNS1_3repE0EEENS1_30default_config_static_selectorELNS0_4arch9wavefront6targetE0EEEvT1_ ; -- Begin function _ZN7rocprim17ROCPRIM_400000_NS6detail17trampoline_kernelINS0_14default_configENS1_27scan_by_key_config_selectorIssEEZZNS1_16scan_by_key_implILNS1_25lookback_scan_determinismE0ELb0ES3_N6thrust23THRUST_200600_302600_NS6detail15normal_iteratorINS9_10device_ptrIsEEEENS9_18transform_iteratorINS9_6negateIsEESE_NS9_11use_defaultESI_EESE_sNS9_4plusIvEENS9_8equal_toIvEEsEE10hipError_tPvRmT2_T3_T4_T5_mT6_T7_P12ihipStream_tbENKUlT_T0_E_clISt17integral_constantIbLb1EES13_IbLb0EEEEDaSZ_S10_EUlSZ_E_NS1_11comp_targetILNS1_3genE0ELNS1_11target_archE4294967295ELNS1_3gpuE0ELNS1_3repE0EEENS1_30default_config_static_selectorELNS0_4arch9wavefront6targetE0EEEvT1_
	.globl	_ZN7rocprim17ROCPRIM_400000_NS6detail17trampoline_kernelINS0_14default_configENS1_27scan_by_key_config_selectorIssEEZZNS1_16scan_by_key_implILNS1_25lookback_scan_determinismE0ELb0ES3_N6thrust23THRUST_200600_302600_NS6detail15normal_iteratorINS9_10device_ptrIsEEEENS9_18transform_iteratorINS9_6negateIsEESE_NS9_11use_defaultESI_EESE_sNS9_4plusIvEENS9_8equal_toIvEEsEE10hipError_tPvRmT2_T3_T4_T5_mT6_T7_P12ihipStream_tbENKUlT_T0_E_clISt17integral_constantIbLb1EES13_IbLb0EEEEDaSZ_S10_EUlSZ_E_NS1_11comp_targetILNS1_3genE0ELNS1_11target_archE4294967295ELNS1_3gpuE0ELNS1_3repE0EEENS1_30default_config_static_selectorELNS0_4arch9wavefront6targetE0EEEvT1_
	.p2align	8
	.type	_ZN7rocprim17ROCPRIM_400000_NS6detail17trampoline_kernelINS0_14default_configENS1_27scan_by_key_config_selectorIssEEZZNS1_16scan_by_key_implILNS1_25lookback_scan_determinismE0ELb0ES3_N6thrust23THRUST_200600_302600_NS6detail15normal_iteratorINS9_10device_ptrIsEEEENS9_18transform_iteratorINS9_6negateIsEESE_NS9_11use_defaultESI_EESE_sNS9_4plusIvEENS9_8equal_toIvEEsEE10hipError_tPvRmT2_T3_T4_T5_mT6_T7_P12ihipStream_tbENKUlT_T0_E_clISt17integral_constantIbLb1EES13_IbLb0EEEEDaSZ_S10_EUlSZ_E_NS1_11comp_targetILNS1_3genE0ELNS1_11target_archE4294967295ELNS1_3gpuE0ELNS1_3repE0EEENS1_30default_config_static_selectorELNS0_4arch9wavefront6targetE0EEEvT1_,@function
_ZN7rocprim17ROCPRIM_400000_NS6detail17trampoline_kernelINS0_14default_configENS1_27scan_by_key_config_selectorIssEEZZNS1_16scan_by_key_implILNS1_25lookback_scan_determinismE0ELb0ES3_N6thrust23THRUST_200600_302600_NS6detail15normal_iteratorINS9_10device_ptrIsEEEENS9_18transform_iteratorINS9_6negateIsEESE_NS9_11use_defaultESI_EESE_sNS9_4plusIvEENS9_8equal_toIvEEsEE10hipError_tPvRmT2_T3_T4_T5_mT6_T7_P12ihipStream_tbENKUlT_T0_E_clISt17integral_constantIbLb1EES13_IbLb0EEEEDaSZ_S10_EUlSZ_E_NS1_11comp_targetILNS1_3genE0ELNS1_11target_archE4294967295ELNS1_3gpuE0ELNS1_3repE0EEENS1_30default_config_static_selectorELNS0_4arch9wavefront6targetE0EEEvT1_: ; @_ZN7rocprim17ROCPRIM_400000_NS6detail17trampoline_kernelINS0_14default_configENS1_27scan_by_key_config_selectorIssEEZZNS1_16scan_by_key_implILNS1_25lookback_scan_determinismE0ELb0ES3_N6thrust23THRUST_200600_302600_NS6detail15normal_iteratorINS9_10device_ptrIsEEEENS9_18transform_iteratorINS9_6negateIsEESE_NS9_11use_defaultESI_EESE_sNS9_4plusIvEENS9_8equal_toIvEEsEE10hipError_tPvRmT2_T3_T4_T5_mT6_T7_P12ihipStream_tbENKUlT_T0_E_clISt17integral_constantIbLb1EES13_IbLb0EEEEDaSZ_S10_EUlSZ_E_NS1_11comp_targetILNS1_3genE0ELNS1_11target_archE4294967295ELNS1_3gpuE0ELNS1_3repE0EEENS1_30default_config_static_selectorELNS0_4arch9wavefront6targetE0EEEvT1_
; %bb.0:
	.section	.rodata,"a",@progbits
	.p2align	6, 0x0
	.amdhsa_kernel _ZN7rocprim17ROCPRIM_400000_NS6detail17trampoline_kernelINS0_14default_configENS1_27scan_by_key_config_selectorIssEEZZNS1_16scan_by_key_implILNS1_25lookback_scan_determinismE0ELb0ES3_N6thrust23THRUST_200600_302600_NS6detail15normal_iteratorINS9_10device_ptrIsEEEENS9_18transform_iteratorINS9_6negateIsEESE_NS9_11use_defaultESI_EESE_sNS9_4plusIvEENS9_8equal_toIvEEsEE10hipError_tPvRmT2_T3_T4_T5_mT6_T7_P12ihipStream_tbENKUlT_T0_E_clISt17integral_constantIbLb1EES13_IbLb0EEEEDaSZ_S10_EUlSZ_E_NS1_11comp_targetILNS1_3genE0ELNS1_11target_archE4294967295ELNS1_3gpuE0ELNS1_3repE0EEENS1_30default_config_static_selectorELNS0_4arch9wavefront6targetE0EEEvT1_
		.amdhsa_group_segment_fixed_size 0
		.amdhsa_private_segment_fixed_size 0
		.amdhsa_kernarg_size 120
		.amdhsa_user_sgpr_count 6
		.amdhsa_user_sgpr_private_segment_buffer 1
		.amdhsa_user_sgpr_dispatch_ptr 0
		.amdhsa_user_sgpr_queue_ptr 0
		.amdhsa_user_sgpr_kernarg_segment_ptr 1
		.amdhsa_user_sgpr_dispatch_id 0
		.amdhsa_user_sgpr_flat_scratch_init 0
		.amdhsa_user_sgpr_private_segment_size 0
		.amdhsa_wavefront_size32 1
		.amdhsa_uses_dynamic_stack 0
		.amdhsa_system_sgpr_private_segment_wavefront_offset 0
		.amdhsa_system_sgpr_workgroup_id_x 1
		.amdhsa_system_sgpr_workgroup_id_y 0
		.amdhsa_system_sgpr_workgroup_id_z 0
		.amdhsa_system_sgpr_workgroup_info 0
		.amdhsa_system_vgpr_workitem_id 0
		.amdhsa_next_free_vgpr 1
		.amdhsa_next_free_sgpr 1
		.amdhsa_reserve_vcc 0
		.amdhsa_reserve_flat_scratch 0
		.amdhsa_float_round_mode_32 0
		.amdhsa_float_round_mode_16_64 0
		.amdhsa_float_denorm_mode_32 3
		.amdhsa_float_denorm_mode_16_64 3
		.amdhsa_dx10_clamp 1
		.amdhsa_ieee_mode 1
		.amdhsa_fp16_overflow 0
		.amdhsa_workgroup_processor_mode 1
		.amdhsa_memory_ordered 1
		.amdhsa_forward_progress 1
		.amdhsa_shared_vgpr_count 0
		.amdhsa_exception_fp_ieee_invalid_op 0
		.amdhsa_exception_fp_denorm_src 0
		.amdhsa_exception_fp_ieee_div_zero 0
		.amdhsa_exception_fp_ieee_overflow 0
		.amdhsa_exception_fp_ieee_underflow 0
		.amdhsa_exception_fp_ieee_inexact 0
		.amdhsa_exception_int_div_zero 0
	.end_amdhsa_kernel
	.section	.text._ZN7rocprim17ROCPRIM_400000_NS6detail17trampoline_kernelINS0_14default_configENS1_27scan_by_key_config_selectorIssEEZZNS1_16scan_by_key_implILNS1_25lookback_scan_determinismE0ELb0ES3_N6thrust23THRUST_200600_302600_NS6detail15normal_iteratorINS9_10device_ptrIsEEEENS9_18transform_iteratorINS9_6negateIsEESE_NS9_11use_defaultESI_EESE_sNS9_4plusIvEENS9_8equal_toIvEEsEE10hipError_tPvRmT2_T3_T4_T5_mT6_T7_P12ihipStream_tbENKUlT_T0_E_clISt17integral_constantIbLb1EES13_IbLb0EEEEDaSZ_S10_EUlSZ_E_NS1_11comp_targetILNS1_3genE0ELNS1_11target_archE4294967295ELNS1_3gpuE0ELNS1_3repE0EEENS1_30default_config_static_selectorELNS0_4arch9wavefront6targetE0EEEvT1_,"axG",@progbits,_ZN7rocprim17ROCPRIM_400000_NS6detail17trampoline_kernelINS0_14default_configENS1_27scan_by_key_config_selectorIssEEZZNS1_16scan_by_key_implILNS1_25lookback_scan_determinismE0ELb0ES3_N6thrust23THRUST_200600_302600_NS6detail15normal_iteratorINS9_10device_ptrIsEEEENS9_18transform_iteratorINS9_6negateIsEESE_NS9_11use_defaultESI_EESE_sNS9_4plusIvEENS9_8equal_toIvEEsEE10hipError_tPvRmT2_T3_T4_T5_mT6_T7_P12ihipStream_tbENKUlT_T0_E_clISt17integral_constantIbLb1EES13_IbLb0EEEEDaSZ_S10_EUlSZ_E_NS1_11comp_targetILNS1_3genE0ELNS1_11target_archE4294967295ELNS1_3gpuE0ELNS1_3repE0EEENS1_30default_config_static_selectorELNS0_4arch9wavefront6targetE0EEEvT1_,comdat
.Lfunc_end983:
	.size	_ZN7rocprim17ROCPRIM_400000_NS6detail17trampoline_kernelINS0_14default_configENS1_27scan_by_key_config_selectorIssEEZZNS1_16scan_by_key_implILNS1_25lookback_scan_determinismE0ELb0ES3_N6thrust23THRUST_200600_302600_NS6detail15normal_iteratorINS9_10device_ptrIsEEEENS9_18transform_iteratorINS9_6negateIsEESE_NS9_11use_defaultESI_EESE_sNS9_4plusIvEENS9_8equal_toIvEEsEE10hipError_tPvRmT2_T3_T4_T5_mT6_T7_P12ihipStream_tbENKUlT_T0_E_clISt17integral_constantIbLb1EES13_IbLb0EEEEDaSZ_S10_EUlSZ_E_NS1_11comp_targetILNS1_3genE0ELNS1_11target_archE4294967295ELNS1_3gpuE0ELNS1_3repE0EEENS1_30default_config_static_selectorELNS0_4arch9wavefront6targetE0EEEvT1_, .Lfunc_end983-_ZN7rocprim17ROCPRIM_400000_NS6detail17trampoline_kernelINS0_14default_configENS1_27scan_by_key_config_selectorIssEEZZNS1_16scan_by_key_implILNS1_25lookback_scan_determinismE0ELb0ES3_N6thrust23THRUST_200600_302600_NS6detail15normal_iteratorINS9_10device_ptrIsEEEENS9_18transform_iteratorINS9_6negateIsEESE_NS9_11use_defaultESI_EESE_sNS9_4plusIvEENS9_8equal_toIvEEsEE10hipError_tPvRmT2_T3_T4_T5_mT6_T7_P12ihipStream_tbENKUlT_T0_E_clISt17integral_constantIbLb1EES13_IbLb0EEEEDaSZ_S10_EUlSZ_E_NS1_11comp_targetILNS1_3genE0ELNS1_11target_archE4294967295ELNS1_3gpuE0ELNS1_3repE0EEENS1_30default_config_static_selectorELNS0_4arch9wavefront6targetE0EEEvT1_
                                        ; -- End function
	.set _ZN7rocprim17ROCPRIM_400000_NS6detail17trampoline_kernelINS0_14default_configENS1_27scan_by_key_config_selectorIssEEZZNS1_16scan_by_key_implILNS1_25lookback_scan_determinismE0ELb0ES3_N6thrust23THRUST_200600_302600_NS6detail15normal_iteratorINS9_10device_ptrIsEEEENS9_18transform_iteratorINS9_6negateIsEESE_NS9_11use_defaultESI_EESE_sNS9_4plusIvEENS9_8equal_toIvEEsEE10hipError_tPvRmT2_T3_T4_T5_mT6_T7_P12ihipStream_tbENKUlT_T0_E_clISt17integral_constantIbLb1EES13_IbLb0EEEEDaSZ_S10_EUlSZ_E_NS1_11comp_targetILNS1_3genE0ELNS1_11target_archE4294967295ELNS1_3gpuE0ELNS1_3repE0EEENS1_30default_config_static_selectorELNS0_4arch9wavefront6targetE0EEEvT1_.num_vgpr, 0
	.set _ZN7rocprim17ROCPRIM_400000_NS6detail17trampoline_kernelINS0_14default_configENS1_27scan_by_key_config_selectorIssEEZZNS1_16scan_by_key_implILNS1_25lookback_scan_determinismE0ELb0ES3_N6thrust23THRUST_200600_302600_NS6detail15normal_iteratorINS9_10device_ptrIsEEEENS9_18transform_iteratorINS9_6negateIsEESE_NS9_11use_defaultESI_EESE_sNS9_4plusIvEENS9_8equal_toIvEEsEE10hipError_tPvRmT2_T3_T4_T5_mT6_T7_P12ihipStream_tbENKUlT_T0_E_clISt17integral_constantIbLb1EES13_IbLb0EEEEDaSZ_S10_EUlSZ_E_NS1_11comp_targetILNS1_3genE0ELNS1_11target_archE4294967295ELNS1_3gpuE0ELNS1_3repE0EEENS1_30default_config_static_selectorELNS0_4arch9wavefront6targetE0EEEvT1_.num_agpr, 0
	.set _ZN7rocprim17ROCPRIM_400000_NS6detail17trampoline_kernelINS0_14default_configENS1_27scan_by_key_config_selectorIssEEZZNS1_16scan_by_key_implILNS1_25lookback_scan_determinismE0ELb0ES3_N6thrust23THRUST_200600_302600_NS6detail15normal_iteratorINS9_10device_ptrIsEEEENS9_18transform_iteratorINS9_6negateIsEESE_NS9_11use_defaultESI_EESE_sNS9_4plusIvEENS9_8equal_toIvEEsEE10hipError_tPvRmT2_T3_T4_T5_mT6_T7_P12ihipStream_tbENKUlT_T0_E_clISt17integral_constantIbLb1EES13_IbLb0EEEEDaSZ_S10_EUlSZ_E_NS1_11comp_targetILNS1_3genE0ELNS1_11target_archE4294967295ELNS1_3gpuE0ELNS1_3repE0EEENS1_30default_config_static_selectorELNS0_4arch9wavefront6targetE0EEEvT1_.numbered_sgpr, 0
	.set _ZN7rocprim17ROCPRIM_400000_NS6detail17trampoline_kernelINS0_14default_configENS1_27scan_by_key_config_selectorIssEEZZNS1_16scan_by_key_implILNS1_25lookback_scan_determinismE0ELb0ES3_N6thrust23THRUST_200600_302600_NS6detail15normal_iteratorINS9_10device_ptrIsEEEENS9_18transform_iteratorINS9_6negateIsEESE_NS9_11use_defaultESI_EESE_sNS9_4plusIvEENS9_8equal_toIvEEsEE10hipError_tPvRmT2_T3_T4_T5_mT6_T7_P12ihipStream_tbENKUlT_T0_E_clISt17integral_constantIbLb1EES13_IbLb0EEEEDaSZ_S10_EUlSZ_E_NS1_11comp_targetILNS1_3genE0ELNS1_11target_archE4294967295ELNS1_3gpuE0ELNS1_3repE0EEENS1_30default_config_static_selectorELNS0_4arch9wavefront6targetE0EEEvT1_.num_named_barrier, 0
	.set _ZN7rocprim17ROCPRIM_400000_NS6detail17trampoline_kernelINS0_14default_configENS1_27scan_by_key_config_selectorIssEEZZNS1_16scan_by_key_implILNS1_25lookback_scan_determinismE0ELb0ES3_N6thrust23THRUST_200600_302600_NS6detail15normal_iteratorINS9_10device_ptrIsEEEENS9_18transform_iteratorINS9_6negateIsEESE_NS9_11use_defaultESI_EESE_sNS9_4plusIvEENS9_8equal_toIvEEsEE10hipError_tPvRmT2_T3_T4_T5_mT6_T7_P12ihipStream_tbENKUlT_T0_E_clISt17integral_constantIbLb1EES13_IbLb0EEEEDaSZ_S10_EUlSZ_E_NS1_11comp_targetILNS1_3genE0ELNS1_11target_archE4294967295ELNS1_3gpuE0ELNS1_3repE0EEENS1_30default_config_static_selectorELNS0_4arch9wavefront6targetE0EEEvT1_.private_seg_size, 0
	.set _ZN7rocprim17ROCPRIM_400000_NS6detail17trampoline_kernelINS0_14default_configENS1_27scan_by_key_config_selectorIssEEZZNS1_16scan_by_key_implILNS1_25lookback_scan_determinismE0ELb0ES3_N6thrust23THRUST_200600_302600_NS6detail15normal_iteratorINS9_10device_ptrIsEEEENS9_18transform_iteratorINS9_6negateIsEESE_NS9_11use_defaultESI_EESE_sNS9_4plusIvEENS9_8equal_toIvEEsEE10hipError_tPvRmT2_T3_T4_T5_mT6_T7_P12ihipStream_tbENKUlT_T0_E_clISt17integral_constantIbLb1EES13_IbLb0EEEEDaSZ_S10_EUlSZ_E_NS1_11comp_targetILNS1_3genE0ELNS1_11target_archE4294967295ELNS1_3gpuE0ELNS1_3repE0EEENS1_30default_config_static_selectorELNS0_4arch9wavefront6targetE0EEEvT1_.uses_vcc, 0
	.set _ZN7rocprim17ROCPRIM_400000_NS6detail17trampoline_kernelINS0_14default_configENS1_27scan_by_key_config_selectorIssEEZZNS1_16scan_by_key_implILNS1_25lookback_scan_determinismE0ELb0ES3_N6thrust23THRUST_200600_302600_NS6detail15normal_iteratorINS9_10device_ptrIsEEEENS9_18transform_iteratorINS9_6negateIsEESE_NS9_11use_defaultESI_EESE_sNS9_4plusIvEENS9_8equal_toIvEEsEE10hipError_tPvRmT2_T3_T4_T5_mT6_T7_P12ihipStream_tbENKUlT_T0_E_clISt17integral_constantIbLb1EES13_IbLb0EEEEDaSZ_S10_EUlSZ_E_NS1_11comp_targetILNS1_3genE0ELNS1_11target_archE4294967295ELNS1_3gpuE0ELNS1_3repE0EEENS1_30default_config_static_selectorELNS0_4arch9wavefront6targetE0EEEvT1_.uses_flat_scratch, 0
	.set _ZN7rocprim17ROCPRIM_400000_NS6detail17trampoline_kernelINS0_14default_configENS1_27scan_by_key_config_selectorIssEEZZNS1_16scan_by_key_implILNS1_25lookback_scan_determinismE0ELb0ES3_N6thrust23THRUST_200600_302600_NS6detail15normal_iteratorINS9_10device_ptrIsEEEENS9_18transform_iteratorINS9_6negateIsEESE_NS9_11use_defaultESI_EESE_sNS9_4plusIvEENS9_8equal_toIvEEsEE10hipError_tPvRmT2_T3_T4_T5_mT6_T7_P12ihipStream_tbENKUlT_T0_E_clISt17integral_constantIbLb1EES13_IbLb0EEEEDaSZ_S10_EUlSZ_E_NS1_11comp_targetILNS1_3genE0ELNS1_11target_archE4294967295ELNS1_3gpuE0ELNS1_3repE0EEENS1_30default_config_static_selectorELNS0_4arch9wavefront6targetE0EEEvT1_.has_dyn_sized_stack, 0
	.set _ZN7rocprim17ROCPRIM_400000_NS6detail17trampoline_kernelINS0_14default_configENS1_27scan_by_key_config_selectorIssEEZZNS1_16scan_by_key_implILNS1_25lookback_scan_determinismE0ELb0ES3_N6thrust23THRUST_200600_302600_NS6detail15normal_iteratorINS9_10device_ptrIsEEEENS9_18transform_iteratorINS9_6negateIsEESE_NS9_11use_defaultESI_EESE_sNS9_4plusIvEENS9_8equal_toIvEEsEE10hipError_tPvRmT2_T3_T4_T5_mT6_T7_P12ihipStream_tbENKUlT_T0_E_clISt17integral_constantIbLb1EES13_IbLb0EEEEDaSZ_S10_EUlSZ_E_NS1_11comp_targetILNS1_3genE0ELNS1_11target_archE4294967295ELNS1_3gpuE0ELNS1_3repE0EEENS1_30default_config_static_selectorELNS0_4arch9wavefront6targetE0EEEvT1_.has_recursion, 0
	.set _ZN7rocprim17ROCPRIM_400000_NS6detail17trampoline_kernelINS0_14default_configENS1_27scan_by_key_config_selectorIssEEZZNS1_16scan_by_key_implILNS1_25lookback_scan_determinismE0ELb0ES3_N6thrust23THRUST_200600_302600_NS6detail15normal_iteratorINS9_10device_ptrIsEEEENS9_18transform_iteratorINS9_6negateIsEESE_NS9_11use_defaultESI_EESE_sNS9_4plusIvEENS9_8equal_toIvEEsEE10hipError_tPvRmT2_T3_T4_T5_mT6_T7_P12ihipStream_tbENKUlT_T0_E_clISt17integral_constantIbLb1EES13_IbLb0EEEEDaSZ_S10_EUlSZ_E_NS1_11comp_targetILNS1_3genE0ELNS1_11target_archE4294967295ELNS1_3gpuE0ELNS1_3repE0EEENS1_30default_config_static_selectorELNS0_4arch9wavefront6targetE0EEEvT1_.has_indirect_call, 0
	.section	.AMDGPU.csdata,"",@progbits
; Kernel info:
; codeLenInByte = 0
; TotalNumSgprs: 0
; NumVgprs: 0
; ScratchSize: 0
; MemoryBound: 0
; FloatMode: 240
; IeeeMode: 1
; LDSByteSize: 0 bytes/workgroup (compile time only)
; SGPRBlocks: 0
; VGPRBlocks: 0
; NumSGPRsForWavesPerEU: 1
; NumVGPRsForWavesPerEU: 1
; Occupancy: 16
; WaveLimiterHint : 0
; COMPUTE_PGM_RSRC2:SCRATCH_EN: 0
; COMPUTE_PGM_RSRC2:USER_SGPR: 6
; COMPUTE_PGM_RSRC2:TRAP_HANDLER: 0
; COMPUTE_PGM_RSRC2:TGID_X_EN: 1
; COMPUTE_PGM_RSRC2:TGID_Y_EN: 0
; COMPUTE_PGM_RSRC2:TGID_Z_EN: 0
; COMPUTE_PGM_RSRC2:TIDIG_COMP_CNT: 0
	.section	.text._ZN7rocprim17ROCPRIM_400000_NS6detail17trampoline_kernelINS0_14default_configENS1_27scan_by_key_config_selectorIssEEZZNS1_16scan_by_key_implILNS1_25lookback_scan_determinismE0ELb0ES3_N6thrust23THRUST_200600_302600_NS6detail15normal_iteratorINS9_10device_ptrIsEEEENS9_18transform_iteratorINS9_6negateIsEESE_NS9_11use_defaultESI_EESE_sNS9_4plusIvEENS9_8equal_toIvEEsEE10hipError_tPvRmT2_T3_T4_T5_mT6_T7_P12ihipStream_tbENKUlT_T0_E_clISt17integral_constantIbLb1EES13_IbLb0EEEEDaSZ_S10_EUlSZ_E_NS1_11comp_targetILNS1_3genE10ELNS1_11target_archE1201ELNS1_3gpuE5ELNS1_3repE0EEENS1_30default_config_static_selectorELNS0_4arch9wavefront6targetE0EEEvT1_,"axG",@progbits,_ZN7rocprim17ROCPRIM_400000_NS6detail17trampoline_kernelINS0_14default_configENS1_27scan_by_key_config_selectorIssEEZZNS1_16scan_by_key_implILNS1_25lookback_scan_determinismE0ELb0ES3_N6thrust23THRUST_200600_302600_NS6detail15normal_iteratorINS9_10device_ptrIsEEEENS9_18transform_iteratorINS9_6negateIsEESE_NS9_11use_defaultESI_EESE_sNS9_4plusIvEENS9_8equal_toIvEEsEE10hipError_tPvRmT2_T3_T4_T5_mT6_T7_P12ihipStream_tbENKUlT_T0_E_clISt17integral_constantIbLb1EES13_IbLb0EEEEDaSZ_S10_EUlSZ_E_NS1_11comp_targetILNS1_3genE10ELNS1_11target_archE1201ELNS1_3gpuE5ELNS1_3repE0EEENS1_30default_config_static_selectorELNS0_4arch9wavefront6targetE0EEEvT1_,comdat
	.protected	_ZN7rocprim17ROCPRIM_400000_NS6detail17trampoline_kernelINS0_14default_configENS1_27scan_by_key_config_selectorIssEEZZNS1_16scan_by_key_implILNS1_25lookback_scan_determinismE0ELb0ES3_N6thrust23THRUST_200600_302600_NS6detail15normal_iteratorINS9_10device_ptrIsEEEENS9_18transform_iteratorINS9_6negateIsEESE_NS9_11use_defaultESI_EESE_sNS9_4plusIvEENS9_8equal_toIvEEsEE10hipError_tPvRmT2_T3_T4_T5_mT6_T7_P12ihipStream_tbENKUlT_T0_E_clISt17integral_constantIbLb1EES13_IbLb0EEEEDaSZ_S10_EUlSZ_E_NS1_11comp_targetILNS1_3genE10ELNS1_11target_archE1201ELNS1_3gpuE5ELNS1_3repE0EEENS1_30default_config_static_selectorELNS0_4arch9wavefront6targetE0EEEvT1_ ; -- Begin function _ZN7rocprim17ROCPRIM_400000_NS6detail17trampoline_kernelINS0_14default_configENS1_27scan_by_key_config_selectorIssEEZZNS1_16scan_by_key_implILNS1_25lookback_scan_determinismE0ELb0ES3_N6thrust23THRUST_200600_302600_NS6detail15normal_iteratorINS9_10device_ptrIsEEEENS9_18transform_iteratorINS9_6negateIsEESE_NS9_11use_defaultESI_EESE_sNS9_4plusIvEENS9_8equal_toIvEEsEE10hipError_tPvRmT2_T3_T4_T5_mT6_T7_P12ihipStream_tbENKUlT_T0_E_clISt17integral_constantIbLb1EES13_IbLb0EEEEDaSZ_S10_EUlSZ_E_NS1_11comp_targetILNS1_3genE10ELNS1_11target_archE1201ELNS1_3gpuE5ELNS1_3repE0EEENS1_30default_config_static_selectorELNS0_4arch9wavefront6targetE0EEEvT1_
	.globl	_ZN7rocprim17ROCPRIM_400000_NS6detail17trampoline_kernelINS0_14default_configENS1_27scan_by_key_config_selectorIssEEZZNS1_16scan_by_key_implILNS1_25lookback_scan_determinismE0ELb0ES3_N6thrust23THRUST_200600_302600_NS6detail15normal_iteratorINS9_10device_ptrIsEEEENS9_18transform_iteratorINS9_6negateIsEESE_NS9_11use_defaultESI_EESE_sNS9_4plusIvEENS9_8equal_toIvEEsEE10hipError_tPvRmT2_T3_T4_T5_mT6_T7_P12ihipStream_tbENKUlT_T0_E_clISt17integral_constantIbLb1EES13_IbLb0EEEEDaSZ_S10_EUlSZ_E_NS1_11comp_targetILNS1_3genE10ELNS1_11target_archE1201ELNS1_3gpuE5ELNS1_3repE0EEENS1_30default_config_static_selectorELNS0_4arch9wavefront6targetE0EEEvT1_
	.p2align	8
	.type	_ZN7rocprim17ROCPRIM_400000_NS6detail17trampoline_kernelINS0_14default_configENS1_27scan_by_key_config_selectorIssEEZZNS1_16scan_by_key_implILNS1_25lookback_scan_determinismE0ELb0ES3_N6thrust23THRUST_200600_302600_NS6detail15normal_iteratorINS9_10device_ptrIsEEEENS9_18transform_iteratorINS9_6negateIsEESE_NS9_11use_defaultESI_EESE_sNS9_4plusIvEENS9_8equal_toIvEEsEE10hipError_tPvRmT2_T3_T4_T5_mT6_T7_P12ihipStream_tbENKUlT_T0_E_clISt17integral_constantIbLb1EES13_IbLb0EEEEDaSZ_S10_EUlSZ_E_NS1_11comp_targetILNS1_3genE10ELNS1_11target_archE1201ELNS1_3gpuE5ELNS1_3repE0EEENS1_30default_config_static_selectorELNS0_4arch9wavefront6targetE0EEEvT1_,@function
_ZN7rocprim17ROCPRIM_400000_NS6detail17trampoline_kernelINS0_14default_configENS1_27scan_by_key_config_selectorIssEEZZNS1_16scan_by_key_implILNS1_25lookback_scan_determinismE0ELb0ES3_N6thrust23THRUST_200600_302600_NS6detail15normal_iteratorINS9_10device_ptrIsEEEENS9_18transform_iteratorINS9_6negateIsEESE_NS9_11use_defaultESI_EESE_sNS9_4plusIvEENS9_8equal_toIvEEsEE10hipError_tPvRmT2_T3_T4_T5_mT6_T7_P12ihipStream_tbENKUlT_T0_E_clISt17integral_constantIbLb1EES13_IbLb0EEEEDaSZ_S10_EUlSZ_E_NS1_11comp_targetILNS1_3genE10ELNS1_11target_archE1201ELNS1_3gpuE5ELNS1_3repE0EEENS1_30default_config_static_selectorELNS0_4arch9wavefront6targetE0EEEvT1_: ; @_ZN7rocprim17ROCPRIM_400000_NS6detail17trampoline_kernelINS0_14default_configENS1_27scan_by_key_config_selectorIssEEZZNS1_16scan_by_key_implILNS1_25lookback_scan_determinismE0ELb0ES3_N6thrust23THRUST_200600_302600_NS6detail15normal_iteratorINS9_10device_ptrIsEEEENS9_18transform_iteratorINS9_6negateIsEESE_NS9_11use_defaultESI_EESE_sNS9_4plusIvEENS9_8equal_toIvEEsEE10hipError_tPvRmT2_T3_T4_T5_mT6_T7_P12ihipStream_tbENKUlT_T0_E_clISt17integral_constantIbLb1EES13_IbLb0EEEEDaSZ_S10_EUlSZ_E_NS1_11comp_targetILNS1_3genE10ELNS1_11target_archE1201ELNS1_3gpuE5ELNS1_3repE0EEENS1_30default_config_static_selectorELNS0_4arch9wavefront6targetE0EEEvT1_
; %bb.0:
	.section	.rodata,"a",@progbits
	.p2align	6, 0x0
	.amdhsa_kernel _ZN7rocprim17ROCPRIM_400000_NS6detail17trampoline_kernelINS0_14default_configENS1_27scan_by_key_config_selectorIssEEZZNS1_16scan_by_key_implILNS1_25lookback_scan_determinismE0ELb0ES3_N6thrust23THRUST_200600_302600_NS6detail15normal_iteratorINS9_10device_ptrIsEEEENS9_18transform_iteratorINS9_6negateIsEESE_NS9_11use_defaultESI_EESE_sNS9_4plusIvEENS9_8equal_toIvEEsEE10hipError_tPvRmT2_T3_T4_T5_mT6_T7_P12ihipStream_tbENKUlT_T0_E_clISt17integral_constantIbLb1EES13_IbLb0EEEEDaSZ_S10_EUlSZ_E_NS1_11comp_targetILNS1_3genE10ELNS1_11target_archE1201ELNS1_3gpuE5ELNS1_3repE0EEENS1_30default_config_static_selectorELNS0_4arch9wavefront6targetE0EEEvT1_
		.amdhsa_group_segment_fixed_size 0
		.amdhsa_private_segment_fixed_size 0
		.amdhsa_kernarg_size 120
		.amdhsa_user_sgpr_count 6
		.amdhsa_user_sgpr_private_segment_buffer 1
		.amdhsa_user_sgpr_dispatch_ptr 0
		.amdhsa_user_sgpr_queue_ptr 0
		.amdhsa_user_sgpr_kernarg_segment_ptr 1
		.amdhsa_user_sgpr_dispatch_id 0
		.amdhsa_user_sgpr_flat_scratch_init 0
		.amdhsa_user_sgpr_private_segment_size 0
		.amdhsa_wavefront_size32 1
		.amdhsa_uses_dynamic_stack 0
		.amdhsa_system_sgpr_private_segment_wavefront_offset 0
		.amdhsa_system_sgpr_workgroup_id_x 1
		.amdhsa_system_sgpr_workgroup_id_y 0
		.amdhsa_system_sgpr_workgroup_id_z 0
		.amdhsa_system_sgpr_workgroup_info 0
		.amdhsa_system_vgpr_workitem_id 0
		.amdhsa_next_free_vgpr 1
		.amdhsa_next_free_sgpr 1
		.amdhsa_reserve_vcc 0
		.amdhsa_reserve_flat_scratch 0
		.amdhsa_float_round_mode_32 0
		.amdhsa_float_round_mode_16_64 0
		.amdhsa_float_denorm_mode_32 3
		.amdhsa_float_denorm_mode_16_64 3
		.amdhsa_dx10_clamp 1
		.amdhsa_ieee_mode 1
		.amdhsa_fp16_overflow 0
		.amdhsa_workgroup_processor_mode 1
		.amdhsa_memory_ordered 1
		.amdhsa_forward_progress 1
		.amdhsa_shared_vgpr_count 0
		.amdhsa_exception_fp_ieee_invalid_op 0
		.amdhsa_exception_fp_denorm_src 0
		.amdhsa_exception_fp_ieee_div_zero 0
		.amdhsa_exception_fp_ieee_overflow 0
		.amdhsa_exception_fp_ieee_underflow 0
		.amdhsa_exception_fp_ieee_inexact 0
		.amdhsa_exception_int_div_zero 0
	.end_amdhsa_kernel
	.section	.text._ZN7rocprim17ROCPRIM_400000_NS6detail17trampoline_kernelINS0_14default_configENS1_27scan_by_key_config_selectorIssEEZZNS1_16scan_by_key_implILNS1_25lookback_scan_determinismE0ELb0ES3_N6thrust23THRUST_200600_302600_NS6detail15normal_iteratorINS9_10device_ptrIsEEEENS9_18transform_iteratorINS9_6negateIsEESE_NS9_11use_defaultESI_EESE_sNS9_4plusIvEENS9_8equal_toIvEEsEE10hipError_tPvRmT2_T3_T4_T5_mT6_T7_P12ihipStream_tbENKUlT_T0_E_clISt17integral_constantIbLb1EES13_IbLb0EEEEDaSZ_S10_EUlSZ_E_NS1_11comp_targetILNS1_3genE10ELNS1_11target_archE1201ELNS1_3gpuE5ELNS1_3repE0EEENS1_30default_config_static_selectorELNS0_4arch9wavefront6targetE0EEEvT1_,"axG",@progbits,_ZN7rocprim17ROCPRIM_400000_NS6detail17trampoline_kernelINS0_14default_configENS1_27scan_by_key_config_selectorIssEEZZNS1_16scan_by_key_implILNS1_25lookback_scan_determinismE0ELb0ES3_N6thrust23THRUST_200600_302600_NS6detail15normal_iteratorINS9_10device_ptrIsEEEENS9_18transform_iteratorINS9_6negateIsEESE_NS9_11use_defaultESI_EESE_sNS9_4plusIvEENS9_8equal_toIvEEsEE10hipError_tPvRmT2_T3_T4_T5_mT6_T7_P12ihipStream_tbENKUlT_T0_E_clISt17integral_constantIbLb1EES13_IbLb0EEEEDaSZ_S10_EUlSZ_E_NS1_11comp_targetILNS1_3genE10ELNS1_11target_archE1201ELNS1_3gpuE5ELNS1_3repE0EEENS1_30default_config_static_selectorELNS0_4arch9wavefront6targetE0EEEvT1_,comdat
.Lfunc_end984:
	.size	_ZN7rocprim17ROCPRIM_400000_NS6detail17trampoline_kernelINS0_14default_configENS1_27scan_by_key_config_selectorIssEEZZNS1_16scan_by_key_implILNS1_25lookback_scan_determinismE0ELb0ES3_N6thrust23THRUST_200600_302600_NS6detail15normal_iteratorINS9_10device_ptrIsEEEENS9_18transform_iteratorINS9_6negateIsEESE_NS9_11use_defaultESI_EESE_sNS9_4plusIvEENS9_8equal_toIvEEsEE10hipError_tPvRmT2_T3_T4_T5_mT6_T7_P12ihipStream_tbENKUlT_T0_E_clISt17integral_constantIbLb1EES13_IbLb0EEEEDaSZ_S10_EUlSZ_E_NS1_11comp_targetILNS1_3genE10ELNS1_11target_archE1201ELNS1_3gpuE5ELNS1_3repE0EEENS1_30default_config_static_selectorELNS0_4arch9wavefront6targetE0EEEvT1_, .Lfunc_end984-_ZN7rocprim17ROCPRIM_400000_NS6detail17trampoline_kernelINS0_14default_configENS1_27scan_by_key_config_selectorIssEEZZNS1_16scan_by_key_implILNS1_25lookback_scan_determinismE0ELb0ES3_N6thrust23THRUST_200600_302600_NS6detail15normal_iteratorINS9_10device_ptrIsEEEENS9_18transform_iteratorINS9_6negateIsEESE_NS9_11use_defaultESI_EESE_sNS9_4plusIvEENS9_8equal_toIvEEsEE10hipError_tPvRmT2_T3_T4_T5_mT6_T7_P12ihipStream_tbENKUlT_T0_E_clISt17integral_constantIbLb1EES13_IbLb0EEEEDaSZ_S10_EUlSZ_E_NS1_11comp_targetILNS1_3genE10ELNS1_11target_archE1201ELNS1_3gpuE5ELNS1_3repE0EEENS1_30default_config_static_selectorELNS0_4arch9wavefront6targetE0EEEvT1_
                                        ; -- End function
	.set _ZN7rocprim17ROCPRIM_400000_NS6detail17trampoline_kernelINS0_14default_configENS1_27scan_by_key_config_selectorIssEEZZNS1_16scan_by_key_implILNS1_25lookback_scan_determinismE0ELb0ES3_N6thrust23THRUST_200600_302600_NS6detail15normal_iteratorINS9_10device_ptrIsEEEENS9_18transform_iteratorINS9_6negateIsEESE_NS9_11use_defaultESI_EESE_sNS9_4plusIvEENS9_8equal_toIvEEsEE10hipError_tPvRmT2_T3_T4_T5_mT6_T7_P12ihipStream_tbENKUlT_T0_E_clISt17integral_constantIbLb1EES13_IbLb0EEEEDaSZ_S10_EUlSZ_E_NS1_11comp_targetILNS1_3genE10ELNS1_11target_archE1201ELNS1_3gpuE5ELNS1_3repE0EEENS1_30default_config_static_selectorELNS0_4arch9wavefront6targetE0EEEvT1_.num_vgpr, 0
	.set _ZN7rocprim17ROCPRIM_400000_NS6detail17trampoline_kernelINS0_14default_configENS1_27scan_by_key_config_selectorIssEEZZNS1_16scan_by_key_implILNS1_25lookback_scan_determinismE0ELb0ES3_N6thrust23THRUST_200600_302600_NS6detail15normal_iteratorINS9_10device_ptrIsEEEENS9_18transform_iteratorINS9_6negateIsEESE_NS9_11use_defaultESI_EESE_sNS9_4plusIvEENS9_8equal_toIvEEsEE10hipError_tPvRmT2_T3_T4_T5_mT6_T7_P12ihipStream_tbENKUlT_T0_E_clISt17integral_constantIbLb1EES13_IbLb0EEEEDaSZ_S10_EUlSZ_E_NS1_11comp_targetILNS1_3genE10ELNS1_11target_archE1201ELNS1_3gpuE5ELNS1_3repE0EEENS1_30default_config_static_selectorELNS0_4arch9wavefront6targetE0EEEvT1_.num_agpr, 0
	.set _ZN7rocprim17ROCPRIM_400000_NS6detail17trampoline_kernelINS0_14default_configENS1_27scan_by_key_config_selectorIssEEZZNS1_16scan_by_key_implILNS1_25lookback_scan_determinismE0ELb0ES3_N6thrust23THRUST_200600_302600_NS6detail15normal_iteratorINS9_10device_ptrIsEEEENS9_18transform_iteratorINS9_6negateIsEESE_NS9_11use_defaultESI_EESE_sNS9_4plusIvEENS9_8equal_toIvEEsEE10hipError_tPvRmT2_T3_T4_T5_mT6_T7_P12ihipStream_tbENKUlT_T0_E_clISt17integral_constantIbLb1EES13_IbLb0EEEEDaSZ_S10_EUlSZ_E_NS1_11comp_targetILNS1_3genE10ELNS1_11target_archE1201ELNS1_3gpuE5ELNS1_3repE0EEENS1_30default_config_static_selectorELNS0_4arch9wavefront6targetE0EEEvT1_.numbered_sgpr, 0
	.set _ZN7rocprim17ROCPRIM_400000_NS6detail17trampoline_kernelINS0_14default_configENS1_27scan_by_key_config_selectorIssEEZZNS1_16scan_by_key_implILNS1_25lookback_scan_determinismE0ELb0ES3_N6thrust23THRUST_200600_302600_NS6detail15normal_iteratorINS9_10device_ptrIsEEEENS9_18transform_iteratorINS9_6negateIsEESE_NS9_11use_defaultESI_EESE_sNS9_4plusIvEENS9_8equal_toIvEEsEE10hipError_tPvRmT2_T3_T4_T5_mT6_T7_P12ihipStream_tbENKUlT_T0_E_clISt17integral_constantIbLb1EES13_IbLb0EEEEDaSZ_S10_EUlSZ_E_NS1_11comp_targetILNS1_3genE10ELNS1_11target_archE1201ELNS1_3gpuE5ELNS1_3repE0EEENS1_30default_config_static_selectorELNS0_4arch9wavefront6targetE0EEEvT1_.num_named_barrier, 0
	.set _ZN7rocprim17ROCPRIM_400000_NS6detail17trampoline_kernelINS0_14default_configENS1_27scan_by_key_config_selectorIssEEZZNS1_16scan_by_key_implILNS1_25lookback_scan_determinismE0ELb0ES3_N6thrust23THRUST_200600_302600_NS6detail15normal_iteratorINS9_10device_ptrIsEEEENS9_18transform_iteratorINS9_6negateIsEESE_NS9_11use_defaultESI_EESE_sNS9_4plusIvEENS9_8equal_toIvEEsEE10hipError_tPvRmT2_T3_T4_T5_mT6_T7_P12ihipStream_tbENKUlT_T0_E_clISt17integral_constantIbLb1EES13_IbLb0EEEEDaSZ_S10_EUlSZ_E_NS1_11comp_targetILNS1_3genE10ELNS1_11target_archE1201ELNS1_3gpuE5ELNS1_3repE0EEENS1_30default_config_static_selectorELNS0_4arch9wavefront6targetE0EEEvT1_.private_seg_size, 0
	.set _ZN7rocprim17ROCPRIM_400000_NS6detail17trampoline_kernelINS0_14default_configENS1_27scan_by_key_config_selectorIssEEZZNS1_16scan_by_key_implILNS1_25lookback_scan_determinismE0ELb0ES3_N6thrust23THRUST_200600_302600_NS6detail15normal_iteratorINS9_10device_ptrIsEEEENS9_18transform_iteratorINS9_6negateIsEESE_NS9_11use_defaultESI_EESE_sNS9_4plusIvEENS9_8equal_toIvEEsEE10hipError_tPvRmT2_T3_T4_T5_mT6_T7_P12ihipStream_tbENKUlT_T0_E_clISt17integral_constantIbLb1EES13_IbLb0EEEEDaSZ_S10_EUlSZ_E_NS1_11comp_targetILNS1_3genE10ELNS1_11target_archE1201ELNS1_3gpuE5ELNS1_3repE0EEENS1_30default_config_static_selectorELNS0_4arch9wavefront6targetE0EEEvT1_.uses_vcc, 0
	.set _ZN7rocprim17ROCPRIM_400000_NS6detail17trampoline_kernelINS0_14default_configENS1_27scan_by_key_config_selectorIssEEZZNS1_16scan_by_key_implILNS1_25lookback_scan_determinismE0ELb0ES3_N6thrust23THRUST_200600_302600_NS6detail15normal_iteratorINS9_10device_ptrIsEEEENS9_18transform_iteratorINS9_6negateIsEESE_NS9_11use_defaultESI_EESE_sNS9_4plusIvEENS9_8equal_toIvEEsEE10hipError_tPvRmT2_T3_T4_T5_mT6_T7_P12ihipStream_tbENKUlT_T0_E_clISt17integral_constantIbLb1EES13_IbLb0EEEEDaSZ_S10_EUlSZ_E_NS1_11comp_targetILNS1_3genE10ELNS1_11target_archE1201ELNS1_3gpuE5ELNS1_3repE0EEENS1_30default_config_static_selectorELNS0_4arch9wavefront6targetE0EEEvT1_.uses_flat_scratch, 0
	.set _ZN7rocprim17ROCPRIM_400000_NS6detail17trampoline_kernelINS0_14default_configENS1_27scan_by_key_config_selectorIssEEZZNS1_16scan_by_key_implILNS1_25lookback_scan_determinismE0ELb0ES3_N6thrust23THRUST_200600_302600_NS6detail15normal_iteratorINS9_10device_ptrIsEEEENS9_18transform_iteratorINS9_6negateIsEESE_NS9_11use_defaultESI_EESE_sNS9_4plusIvEENS9_8equal_toIvEEsEE10hipError_tPvRmT2_T3_T4_T5_mT6_T7_P12ihipStream_tbENKUlT_T0_E_clISt17integral_constantIbLb1EES13_IbLb0EEEEDaSZ_S10_EUlSZ_E_NS1_11comp_targetILNS1_3genE10ELNS1_11target_archE1201ELNS1_3gpuE5ELNS1_3repE0EEENS1_30default_config_static_selectorELNS0_4arch9wavefront6targetE0EEEvT1_.has_dyn_sized_stack, 0
	.set _ZN7rocprim17ROCPRIM_400000_NS6detail17trampoline_kernelINS0_14default_configENS1_27scan_by_key_config_selectorIssEEZZNS1_16scan_by_key_implILNS1_25lookback_scan_determinismE0ELb0ES3_N6thrust23THRUST_200600_302600_NS6detail15normal_iteratorINS9_10device_ptrIsEEEENS9_18transform_iteratorINS9_6negateIsEESE_NS9_11use_defaultESI_EESE_sNS9_4plusIvEENS9_8equal_toIvEEsEE10hipError_tPvRmT2_T3_T4_T5_mT6_T7_P12ihipStream_tbENKUlT_T0_E_clISt17integral_constantIbLb1EES13_IbLb0EEEEDaSZ_S10_EUlSZ_E_NS1_11comp_targetILNS1_3genE10ELNS1_11target_archE1201ELNS1_3gpuE5ELNS1_3repE0EEENS1_30default_config_static_selectorELNS0_4arch9wavefront6targetE0EEEvT1_.has_recursion, 0
	.set _ZN7rocprim17ROCPRIM_400000_NS6detail17trampoline_kernelINS0_14default_configENS1_27scan_by_key_config_selectorIssEEZZNS1_16scan_by_key_implILNS1_25lookback_scan_determinismE0ELb0ES3_N6thrust23THRUST_200600_302600_NS6detail15normal_iteratorINS9_10device_ptrIsEEEENS9_18transform_iteratorINS9_6negateIsEESE_NS9_11use_defaultESI_EESE_sNS9_4plusIvEENS9_8equal_toIvEEsEE10hipError_tPvRmT2_T3_T4_T5_mT6_T7_P12ihipStream_tbENKUlT_T0_E_clISt17integral_constantIbLb1EES13_IbLb0EEEEDaSZ_S10_EUlSZ_E_NS1_11comp_targetILNS1_3genE10ELNS1_11target_archE1201ELNS1_3gpuE5ELNS1_3repE0EEENS1_30default_config_static_selectorELNS0_4arch9wavefront6targetE0EEEvT1_.has_indirect_call, 0
	.section	.AMDGPU.csdata,"",@progbits
; Kernel info:
; codeLenInByte = 0
; TotalNumSgprs: 0
; NumVgprs: 0
; ScratchSize: 0
; MemoryBound: 0
; FloatMode: 240
; IeeeMode: 1
; LDSByteSize: 0 bytes/workgroup (compile time only)
; SGPRBlocks: 0
; VGPRBlocks: 0
; NumSGPRsForWavesPerEU: 1
; NumVGPRsForWavesPerEU: 1
; Occupancy: 16
; WaveLimiterHint : 0
; COMPUTE_PGM_RSRC2:SCRATCH_EN: 0
; COMPUTE_PGM_RSRC2:USER_SGPR: 6
; COMPUTE_PGM_RSRC2:TRAP_HANDLER: 0
; COMPUTE_PGM_RSRC2:TGID_X_EN: 1
; COMPUTE_PGM_RSRC2:TGID_Y_EN: 0
; COMPUTE_PGM_RSRC2:TGID_Z_EN: 0
; COMPUTE_PGM_RSRC2:TIDIG_COMP_CNT: 0
	.section	.text._ZN7rocprim17ROCPRIM_400000_NS6detail17trampoline_kernelINS0_14default_configENS1_27scan_by_key_config_selectorIssEEZZNS1_16scan_by_key_implILNS1_25lookback_scan_determinismE0ELb0ES3_N6thrust23THRUST_200600_302600_NS6detail15normal_iteratorINS9_10device_ptrIsEEEENS9_18transform_iteratorINS9_6negateIsEESE_NS9_11use_defaultESI_EESE_sNS9_4plusIvEENS9_8equal_toIvEEsEE10hipError_tPvRmT2_T3_T4_T5_mT6_T7_P12ihipStream_tbENKUlT_T0_E_clISt17integral_constantIbLb1EES13_IbLb0EEEEDaSZ_S10_EUlSZ_E_NS1_11comp_targetILNS1_3genE5ELNS1_11target_archE942ELNS1_3gpuE9ELNS1_3repE0EEENS1_30default_config_static_selectorELNS0_4arch9wavefront6targetE0EEEvT1_,"axG",@progbits,_ZN7rocprim17ROCPRIM_400000_NS6detail17trampoline_kernelINS0_14default_configENS1_27scan_by_key_config_selectorIssEEZZNS1_16scan_by_key_implILNS1_25lookback_scan_determinismE0ELb0ES3_N6thrust23THRUST_200600_302600_NS6detail15normal_iteratorINS9_10device_ptrIsEEEENS9_18transform_iteratorINS9_6negateIsEESE_NS9_11use_defaultESI_EESE_sNS9_4plusIvEENS9_8equal_toIvEEsEE10hipError_tPvRmT2_T3_T4_T5_mT6_T7_P12ihipStream_tbENKUlT_T0_E_clISt17integral_constantIbLb1EES13_IbLb0EEEEDaSZ_S10_EUlSZ_E_NS1_11comp_targetILNS1_3genE5ELNS1_11target_archE942ELNS1_3gpuE9ELNS1_3repE0EEENS1_30default_config_static_selectorELNS0_4arch9wavefront6targetE0EEEvT1_,comdat
	.protected	_ZN7rocprim17ROCPRIM_400000_NS6detail17trampoline_kernelINS0_14default_configENS1_27scan_by_key_config_selectorIssEEZZNS1_16scan_by_key_implILNS1_25lookback_scan_determinismE0ELb0ES3_N6thrust23THRUST_200600_302600_NS6detail15normal_iteratorINS9_10device_ptrIsEEEENS9_18transform_iteratorINS9_6negateIsEESE_NS9_11use_defaultESI_EESE_sNS9_4plusIvEENS9_8equal_toIvEEsEE10hipError_tPvRmT2_T3_T4_T5_mT6_T7_P12ihipStream_tbENKUlT_T0_E_clISt17integral_constantIbLb1EES13_IbLb0EEEEDaSZ_S10_EUlSZ_E_NS1_11comp_targetILNS1_3genE5ELNS1_11target_archE942ELNS1_3gpuE9ELNS1_3repE0EEENS1_30default_config_static_selectorELNS0_4arch9wavefront6targetE0EEEvT1_ ; -- Begin function _ZN7rocprim17ROCPRIM_400000_NS6detail17trampoline_kernelINS0_14default_configENS1_27scan_by_key_config_selectorIssEEZZNS1_16scan_by_key_implILNS1_25lookback_scan_determinismE0ELb0ES3_N6thrust23THRUST_200600_302600_NS6detail15normal_iteratorINS9_10device_ptrIsEEEENS9_18transform_iteratorINS9_6negateIsEESE_NS9_11use_defaultESI_EESE_sNS9_4plusIvEENS9_8equal_toIvEEsEE10hipError_tPvRmT2_T3_T4_T5_mT6_T7_P12ihipStream_tbENKUlT_T0_E_clISt17integral_constantIbLb1EES13_IbLb0EEEEDaSZ_S10_EUlSZ_E_NS1_11comp_targetILNS1_3genE5ELNS1_11target_archE942ELNS1_3gpuE9ELNS1_3repE0EEENS1_30default_config_static_selectorELNS0_4arch9wavefront6targetE0EEEvT1_
	.globl	_ZN7rocprim17ROCPRIM_400000_NS6detail17trampoline_kernelINS0_14default_configENS1_27scan_by_key_config_selectorIssEEZZNS1_16scan_by_key_implILNS1_25lookback_scan_determinismE0ELb0ES3_N6thrust23THRUST_200600_302600_NS6detail15normal_iteratorINS9_10device_ptrIsEEEENS9_18transform_iteratorINS9_6negateIsEESE_NS9_11use_defaultESI_EESE_sNS9_4plusIvEENS9_8equal_toIvEEsEE10hipError_tPvRmT2_T3_T4_T5_mT6_T7_P12ihipStream_tbENKUlT_T0_E_clISt17integral_constantIbLb1EES13_IbLb0EEEEDaSZ_S10_EUlSZ_E_NS1_11comp_targetILNS1_3genE5ELNS1_11target_archE942ELNS1_3gpuE9ELNS1_3repE0EEENS1_30default_config_static_selectorELNS0_4arch9wavefront6targetE0EEEvT1_
	.p2align	8
	.type	_ZN7rocprim17ROCPRIM_400000_NS6detail17trampoline_kernelINS0_14default_configENS1_27scan_by_key_config_selectorIssEEZZNS1_16scan_by_key_implILNS1_25lookback_scan_determinismE0ELb0ES3_N6thrust23THRUST_200600_302600_NS6detail15normal_iteratorINS9_10device_ptrIsEEEENS9_18transform_iteratorINS9_6negateIsEESE_NS9_11use_defaultESI_EESE_sNS9_4plusIvEENS9_8equal_toIvEEsEE10hipError_tPvRmT2_T3_T4_T5_mT6_T7_P12ihipStream_tbENKUlT_T0_E_clISt17integral_constantIbLb1EES13_IbLb0EEEEDaSZ_S10_EUlSZ_E_NS1_11comp_targetILNS1_3genE5ELNS1_11target_archE942ELNS1_3gpuE9ELNS1_3repE0EEENS1_30default_config_static_selectorELNS0_4arch9wavefront6targetE0EEEvT1_,@function
_ZN7rocprim17ROCPRIM_400000_NS6detail17trampoline_kernelINS0_14default_configENS1_27scan_by_key_config_selectorIssEEZZNS1_16scan_by_key_implILNS1_25lookback_scan_determinismE0ELb0ES3_N6thrust23THRUST_200600_302600_NS6detail15normal_iteratorINS9_10device_ptrIsEEEENS9_18transform_iteratorINS9_6negateIsEESE_NS9_11use_defaultESI_EESE_sNS9_4plusIvEENS9_8equal_toIvEEsEE10hipError_tPvRmT2_T3_T4_T5_mT6_T7_P12ihipStream_tbENKUlT_T0_E_clISt17integral_constantIbLb1EES13_IbLb0EEEEDaSZ_S10_EUlSZ_E_NS1_11comp_targetILNS1_3genE5ELNS1_11target_archE942ELNS1_3gpuE9ELNS1_3repE0EEENS1_30default_config_static_selectorELNS0_4arch9wavefront6targetE0EEEvT1_: ; @_ZN7rocprim17ROCPRIM_400000_NS6detail17trampoline_kernelINS0_14default_configENS1_27scan_by_key_config_selectorIssEEZZNS1_16scan_by_key_implILNS1_25lookback_scan_determinismE0ELb0ES3_N6thrust23THRUST_200600_302600_NS6detail15normal_iteratorINS9_10device_ptrIsEEEENS9_18transform_iteratorINS9_6negateIsEESE_NS9_11use_defaultESI_EESE_sNS9_4plusIvEENS9_8equal_toIvEEsEE10hipError_tPvRmT2_T3_T4_T5_mT6_T7_P12ihipStream_tbENKUlT_T0_E_clISt17integral_constantIbLb1EES13_IbLb0EEEEDaSZ_S10_EUlSZ_E_NS1_11comp_targetILNS1_3genE5ELNS1_11target_archE942ELNS1_3gpuE9ELNS1_3repE0EEENS1_30default_config_static_selectorELNS0_4arch9wavefront6targetE0EEEvT1_
; %bb.0:
	.section	.rodata,"a",@progbits
	.p2align	6, 0x0
	.amdhsa_kernel _ZN7rocprim17ROCPRIM_400000_NS6detail17trampoline_kernelINS0_14default_configENS1_27scan_by_key_config_selectorIssEEZZNS1_16scan_by_key_implILNS1_25lookback_scan_determinismE0ELb0ES3_N6thrust23THRUST_200600_302600_NS6detail15normal_iteratorINS9_10device_ptrIsEEEENS9_18transform_iteratorINS9_6negateIsEESE_NS9_11use_defaultESI_EESE_sNS9_4plusIvEENS9_8equal_toIvEEsEE10hipError_tPvRmT2_T3_T4_T5_mT6_T7_P12ihipStream_tbENKUlT_T0_E_clISt17integral_constantIbLb1EES13_IbLb0EEEEDaSZ_S10_EUlSZ_E_NS1_11comp_targetILNS1_3genE5ELNS1_11target_archE942ELNS1_3gpuE9ELNS1_3repE0EEENS1_30default_config_static_selectorELNS0_4arch9wavefront6targetE0EEEvT1_
		.amdhsa_group_segment_fixed_size 0
		.amdhsa_private_segment_fixed_size 0
		.amdhsa_kernarg_size 120
		.amdhsa_user_sgpr_count 6
		.amdhsa_user_sgpr_private_segment_buffer 1
		.amdhsa_user_sgpr_dispatch_ptr 0
		.amdhsa_user_sgpr_queue_ptr 0
		.amdhsa_user_sgpr_kernarg_segment_ptr 1
		.amdhsa_user_sgpr_dispatch_id 0
		.amdhsa_user_sgpr_flat_scratch_init 0
		.amdhsa_user_sgpr_private_segment_size 0
		.amdhsa_wavefront_size32 1
		.amdhsa_uses_dynamic_stack 0
		.amdhsa_system_sgpr_private_segment_wavefront_offset 0
		.amdhsa_system_sgpr_workgroup_id_x 1
		.amdhsa_system_sgpr_workgroup_id_y 0
		.amdhsa_system_sgpr_workgroup_id_z 0
		.amdhsa_system_sgpr_workgroup_info 0
		.amdhsa_system_vgpr_workitem_id 0
		.amdhsa_next_free_vgpr 1
		.amdhsa_next_free_sgpr 1
		.amdhsa_reserve_vcc 0
		.amdhsa_reserve_flat_scratch 0
		.amdhsa_float_round_mode_32 0
		.amdhsa_float_round_mode_16_64 0
		.amdhsa_float_denorm_mode_32 3
		.amdhsa_float_denorm_mode_16_64 3
		.amdhsa_dx10_clamp 1
		.amdhsa_ieee_mode 1
		.amdhsa_fp16_overflow 0
		.amdhsa_workgroup_processor_mode 1
		.amdhsa_memory_ordered 1
		.amdhsa_forward_progress 1
		.amdhsa_shared_vgpr_count 0
		.amdhsa_exception_fp_ieee_invalid_op 0
		.amdhsa_exception_fp_denorm_src 0
		.amdhsa_exception_fp_ieee_div_zero 0
		.amdhsa_exception_fp_ieee_overflow 0
		.amdhsa_exception_fp_ieee_underflow 0
		.amdhsa_exception_fp_ieee_inexact 0
		.amdhsa_exception_int_div_zero 0
	.end_amdhsa_kernel
	.section	.text._ZN7rocprim17ROCPRIM_400000_NS6detail17trampoline_kernelINS0_14default_configENS1_27scan_by_key_config_selectorIssEEZZNS1_16scan_by_key_implILNS1_25lookback_scan_determinismE0ELb0ES3_N6thrust23THRUST_200600_302600_NS6detail15normal_iteratorINS9_10device_ptrIsEEEENS9_18transform_iteratorINS9_6negateIsEESE_NS9_11use_defaultESI_EESE_sNS9_4plusIvEENS9_8equal_toIvEEsEE10hipError_tPvRmT2_T3_T4_T5_mT6_T7_P12ihipStream_tbENKUlT_T0_E_clISt17integral_constantIbLb1EES13_IbLb0EEEEDaSZ_S10_EUlSZ_E_NS1_11comp_targetILNS1_3genE5ELNS1_11target_archE942ELNS1_3gpuE9ELNS1_3repE0EEENS1_30default_config_static_selectorELNS0_4arch9wavefront6targetE0EEEvT1_,"axG",@progbits,_ZN7rocprim17ROCPRIM_400000_NS6detail17trampoline_kernelINS0_14default_configENS1_27scan_by_key_config_selectorIssEEZZNS1_16scan_by_key_implILNS1_25lookback_scan_determinismE0ELb0ES3_N6thrust23THRUST_200600_302600_NS6detail15normal_iteratorINS9_10device_ptrIsEEEENS9_18transform_iteratorINS9_6negateIsEESE_NS9_11use_defaultESI_EESE_sNS9_4plusIvEENS9_8equal_toIvEEsEE10hipError_tPvRmT2_T3_T4_T5_mT6_T7_P12ihipStream_tbENKUlT_T0_E_clISt17integral_constantIbLb1EES13_IbLb0EEEEDaSZ_S10_EUlSZ_E_NS1_11comp_targetILNS1_3genE5ELNS1_11target_archE942ELNS1_3gpuE9ELNS1_3repE0EEENS1_30default_config_static_selectorELNS0_4arch9wavefront6targetE0EEEvT1_,comdat
.Lfunc_end985:
	.size	_ZN7rocprim17ROCPRIM_400000_NS6detail17trampoline_kernelINS0_14default_configENS1_27scan_by_key_config_selectorIssEEZZNS1_16scan_by_key_implILNS1_25lookback_scan_determinismE0ELb0ES3_N6thrust23THRUST_200600_302600_NS6detail15normal_iteratorINS9_10device_ptrIsEEEENS9_18transform_iteratorINS9_6negateIsEESE_NS9_11use_defaultESI_EESE_sNS9_4plusIvEENS9_8equal_toIvEEsEE10hipError_tPvRmT2_T3_T4_T5_mT6_T7_P12ihipStream_tbENKUlT_T0_E_clISt17integral_constantIbLb1EES13_IbLb0EEEEDaSZ_S10_EUlSZ_E_NS1_11comp_targetILNS1_3genE5ELNS1_11target_archE942ELNS1_3gpuE9ELNS1_3repE0EEENS1_30default_config_static_selectorELNS0_4arch9wavefront6targetE0EEEvT1_, .Lfunc_end985-_ZN7rocprim17ROCPRIM_400000_NS6detail17trampoline_kernelINS0_14default_configENS1_27scan_by_key_config_selectorIssEEZZNS1_16scan_by_key_implILNS1_25lookback_scan_determinismE0ELb0ES3_N6thrust23THRUST_200600_302600_NS6detail15normal_iteratorINS9_10device_ptrIsEEEENS9_18transform_iteratorINS9_6negateIsEESE_NS9_11use_defaultESI_EESE_sNS9_4plusIvEENS9_8equal_toIvEEsEE10hipError_tPvRmT2_T3_T4_T5_mT6_T7_P12ihipStream_tbENKUlT_T0_E_clISt17integral_constantIbLb1EES13_IbLb0EEEEDaSZ_S10_EUlSZ_E_NS1_11comp_targetILNS1_3genE5ELNS1_11target_archE942ELNS1_3gpuE9ELNS1_3repE0EEENS1_30default_config_static_selectorELNS0_4arch9wavefront6targetE0EEEvT1_
                                        ; -- End function
	.set _ZN7rocprim17ROCPRIM_400000_NS6detail17trampoline_kernelINS0_14default_configENS1_27scan_by_key_config_selectorIssEEZZNS1_16scan_by_key_implILNS1_25lookback_scan_determinismE0ELb0ES3_N6thrust23THRUST_200600_302600_NS6detail15normal_iteratorINS9_10device_ptrIsEEEENS9_18transform_iteratorINS9_6negateIsEESE_NS9_11use_defaultESI_EESE_sNS9_4plusIvEENS9_8equal_toIvEEsEE10hipError_tPvRmT2_T3_T4_T5_mT6_T7_P12ihipStream_tbENKUlT_T0_E_clISt17integral_constantIbLb1EES13_IbLb0EEEEDaSZ_S10_EUlSZ_E_NS1_11comp_targetILNS1_3genE5ELNS1_11target_archE942ELNS1_3gpuE9ELNS1_3repE0EEENS1_30default_config_static_selectorELNS0_4arch9wavefront6targetE0EEEvT1_.num_vgpr, 0
	.set _ZN7rocprim17ROCPRIM_400000_NS6detail17trampoline_kernelINS0_14default_configENS1_27scan_by_key_config_selectorIssEEZZNS1_16scan_by_key_implILNS1_25lookback_scan_determinismE0ELb0ES3_N6thrust23THRUST_200600_302600_NS6detail15normal_iteratorINS9_10device_ptrIsEEEENS9_18transform_iteratorINS9_6negateIsEESE_NS9_11use_defaultESI_EESE_sNS9_4plusIvEENS9_8equal_toIvEEsEE10hipError_tPvRmT2_T3_T4_T5_mT6_T7_P12ihipStream_tbENKUlT_T0_E_clISt17integral_constantIbLb1EES13_IbLb0EEEEDaSZ_S10_EUlSZ_E_NS1_11comp_targetILNS1_3genE5ELNS1_11target_archE942ELNS1_3gpuE9ELNS1_3repE0EEENS1_30default_config_static_selectorELNS0_4arch9wavefront6targetE0EEEvT1_.num_agpr, 0
	.set _ZN7rocprim17ROCPRIM_400000_NS6detail17trampoline_kernelINS0_14default_configENS1_27scan_by_key_config_selectorIssEEZZNS1_16scan_by_key_implILNS1_25lookback_scan_determinismE0ELb0ES3_N6thrust23THRUST_200600_302600_NS6detail15normal_iteratorINS9_10device_ptrIsEEEENS9_18transform_iteratorINS9_6negateIsEESE_NS9_11use_defaultESI_EESE_sNS9_4plusIvEENS9_8equal_toIvEEsEE10hipError_tPvRmT2_T3_T4_T5_mT6_T7_P12ihipStream_tbENKUlT_T0_E_clISt17integral_constantIbLb1EES13_IbLb0EEEEDaSZ_S10_EUlSZ_E_NS1_11comp_targetILNS1_3genE5ELNS1_11target_archE942ELNS1_3gpuE9ELNS1_3repE0EEENS1_30default_config_static_selectorELNS0_4arch9wavefront6targetE0EEEvT1_.numbered_sgpr, 0
	.set _ZN7rocprim17ROCPRIM_400000_NS6detail17trampoline_kernelINS0_14default_configENS1_27scan_by_key_config_selectorIssEEZZNS1_16scan_by_key_implILNS1_25lookback_scan_determinismE0ELb0ES3_N6thrust23THRUST_200600_302600_NS6detail15normal_iteratorINS9_10device_ptrIsEEEENS9_18transform_iteratorINS9_6negateIsEESE_NS9_11use_defaultESI_EESE_sNS9_4plusIvEENS9_8equal_toIvEEsEE10hipError_tPvRmT2_T3_T4_T5_mT6_T7_P12ihipStream_tbENKUlT_T0_E_clISt17integral_constantIbLb1EES13_IbLb0EEEEDaSZ_S10_EUlSZ_E_NS1_11comp_targetILNS1_3genE5ELNS1_11target_archE942ELNS1_3gpuE9ELNS1_3repE0EEENS1_30default_config_static_selectorELNS0_4arch9wavefront6targetE0EEEvT1_.num_named_barrier, 0
	.set _ZN7rocprim17ROCPRIM_400000_NS6detail17trampoline_kernelINS0_14default_configENS1_27scan_by_key_config_selectorIssEEZZNS1_16scan_by_key_implILNS1_25lookback_scan_determinismE0ELb0ES3_N6thrust23THRUST_200600_302600_NS6detail15normal_iteratorINS9_10device_ptrIsEEEENS9_18transform_iteratorINS9_6negateIsEESE_NS9_11use_defaultESI_EESE_sNS9_4plusIvEENS9_8equal_toIvEEsEE10hipError_tPvRmT2_T3_T4_T5_mT6_T7_P12ihipStream_tbENKUlT_T0_E_clISt17integral_constantIbLb1EES13_IbLb0EEEEDaSZ_S10_EUlSZ_E_NS1_11comp_targetILNS1_3genE5ELNS1_11target_archE942ELNS1_3gpuE9ELNS1_3repE0EEENS1_30default_config_static_selectorELNS0_4arch9wavefront6targetE0EEEvT1_.private_seg_size, 0
	.set _ZN7rocprim17ROCPRIM_400000_NS6detail17trampoline_kernelINS0_14default_configENS1_27scan_by_key_config_selectorIssEEZZNS1_16scan_by_key_implILNS1_25lookback_scan_determinismE0ELb0ES3_N6thrust23THRUST_200600_302600_NS6detail15normal_iteratorINS9_10device_ptrIsEEEENS9_18transform_iteratorINS9_6negateIsEESE_NS9_11use_defaultESI_EESE_sNS9_4plusIvEENS9_8equal_toIvEEsEE10hipError_tPvRmT2_T3_T4_T5_mT6_T7_P12ihipStream_tbENKUlT_T0_E_clISt17integral_constantIbLb1EES13_IbLb0EEEEDaSZ_S10_EUlSZ_E_NS1_11comp_targetILNS1_3genE5ELNS1_11target_archE942ELNS1_3gpuE9ELNS1_3repE0EEENS1_30default_config_static_selectorELNS0_4arch9wavefront6targetE0EEEvT1_.uses_vcc, 0
	.set _ZN7rocprim17ROCPRIM_400000_NS6detail17trampoline_kernelINS0_14default_configENS1_27scan_by_key_config_selectorIssEEZZNS1_16scan_by_key_implILNS1_25lookback_scan_determinismE0ELb0ES3_N6thrust23THRUST_200600_302600_NS6detail15normal_iteratorINS9_10device_ptrIsEEEENS9_18transform_iteratorINS9_6negateIsEESE_NS9_11use_defaultESI_EESE_sNS9_4plusIvEENS9_8equal_toIvEEsEE10hipError_tPvRmT2_T3_T4_T5_mT6_T7_P12ihipStream_tbENKUlT_T0_E_clISt17integral_constantIbLb1EES13_IbLb0EEEEDaSZ_S10_EUlSZ_E_NS1_11comp_targetILNS1_3genE5ELNS1_11target_archE942ELNS1_3gpuE9ELNS1_3repE0EEENS1_30default_config_static_selectorELNS0_4arch9wavefront6targetE0EEEvT1_.uses_flat_scratch, 0
	.set _ZN7rocprim17ROCPRIM_400000_NS6detail17trampoline_kernelINS0_14default_configENS1_27scan_by_key_config_selectorIssEEZZNS1_16scan_by_key_implILNS1_25lookback_scan_determinismE0ELb0ES3_N6thrust23THRUST_200600_302600_NS6detail15normal_iteratorINS9_10device_ptrIsEEEENS9_18transform_iteratorINS9_6negateIsEESE_NS9_11use_defaultESI_EESE_sNS9_4plusIvEENS9_8equal_toIvEEsEE10hipError_tPvRmT2_T3_T4_T5_mT6_T7_P12ihipStream_tbENKUlT_T0_E_clISt17integral_constantIbLb1EES13_IbLb0EEEEDaSZ_S10_EUlSZ_E_NS1_11comp_targetILNS1_3genE5ELNS1_11target_archE942ELNS1_3gpuE9ELNS1_3repE0EEENS1_30default_config_static_selectorELNS0_4arch9wavefront6targetE0EEEvT1_.has_dyn_sized_stack, 0
	.set _ZN7rocprim17ROCPRIM_400000_NS6detail17trampoline_kernelINS0_14default_configENS1_27scan_by_key_config_selectorIssEEZZNS1_16scan_by_key_implILNS1_25lookback_scan_determinismE0ELb0ES3_N6thrust23THRUST_200600_302600_NS6detail15normal_iteratorINS9_10device_ptrIsEEEENS9_18transform_iteratorINS9_6negateIsEESE_NS9_11use_defaultESI_EESE_sNS9_4plusIvEENS9_8equal_toIvEEsEE10hipError_tPvRmT2_T3_T4_T5_mT6_T7_P12ihipStream_tbENKUlT_T0_E_clISt17integral_constantIbLb1EES13_IbLb0EEEEDaSZ_S10_EUlSZ_E_NS1_11comp_targetILNS1_3genE5ELNS1_11target_archE942ELNS1_3gpuE9ELNS1_3repE0EEENS1_30default_config_static_selectorELNS0_4arch9wavefront6targetE0EEEvT1_.has_recursion, 0
	.set _ZN7rocprim17ROCPRIM_400000_NS6detail17trampoline_kernelINS0_14default_configENS1_27scan_by_key_config_selectorIssEEZZNS1_16scan_by_key_implILNS1_25lookback_scan_determinismE0ELb0ES3_N6thrust23THRUST_200600_302600_NS6detail15normal_iteratorINS9_10device_ptrIsEEEENS9_18transform_iteratorINS9_6negateIsEESE_NS9_11use_defaultESI_EESE_sNS9_4plusIvEENS9_8equal_toIvEEsEE10hipError_tPvRmT2_T3_T4_T5_mT6_T7_P12ihipStream_tbENKUlT_T0_E_clISt17integral_constantIbLb1EES13_IbLb0EEEEDaSZ_S10_EUlSZ_E_NS1_11comp_targetILNS1_3genE5ELNS1_11target_archE942ELNS1_3gpuE9ELNS1_3repE0EEENS1_30default_config_static_selectorELNS0_4arch9wavefront6targetE0EEEvT1_.has_indirect_call, 0
	.section	.AMDGPU.csdata,"",@progbits
; Kernel info:
; codeLenInByte = 0
; TotalNumSgprs: 0
; NumVgprs: 0
; ScratchSize: 0
; MemoryBound: 0
; FloatMode: 240
; IeeeMode: 1
; LDSByteSize: 0 bytes/workgroup (compile time only)
; SGPRBlocks: 0
; VGPRBlocks: 0
; NumSGPRsForWavesPerEU: 1
; NumVGPRsForWavesPerEU: 1
; Occupancy: 16
; WaveLimiterHint : 0
; COMPUTE_PGM_RSRC2:SCRATCH_EN: 0
; COMPUTE_PGM_RSRC2:USER_SGPR: 6
; COMPUTE_PGM_RSRC2:TRAP_HANDLER: 0
; COMPUTE_PGM_RSRC2:TGID_X_EN: 1
; COMPUTE_PGM_RSRC2:TGID_Y_EN: 0
; COMPUTE_PGM_RSRC2:TGID_Z_EN: 0
; COMPUTE_PGM_RSRC2:TIDIG_COMP_CNT: 0
	.section	.text._ZN7rocprim17ROCPRIM_400000_NS6detail17trampoline_kernelINS0_14default_configENS1_27scan_by_key_config_selectorIssEEZZNS1_16scan_by_key_implILNS1_25lookback_scan_determinismE0ELb0ES3_N6thrust23THRUST_200600_302600_NS6detail15normal_iteratorINS9_10device_ptrIsEEEENS9_18transform_iteratorINS9_6negateIsEESE_NS9_11use_defaultESI_EESE_sNS9_4plusIvEENS9_8equal_toIvEEsEE10hipError_tPvRmT2_T3_T4_T5_mT6_T7_P12ihipStream_tbENKUlT_T0_E_clISt17integral_constantIbLb1EES13_IbLb0EEEEDaSZ_S10_EUlSZ_E_NS1_11comp_targetILNS1_3genE4ELNS1_11target_archE910ELNS1_3gpuE8ELNS1_3repE0EEENS1_30default_config_static_selectorELNS0_4arch9wavefront6targetE0EEEvT1_,"axG",@progbits,_ZN7rocprim17ROCPRIM_400000_NS6detail17trampoline_kernelINS0_14default_configENS1_27scan_by_key_config_selectorIssEEZZNS1_16scan_by_key_implILNS1_25lookback_scan_determinismE0ELb0ES3_N6thrust23THRUST_200600_302600_NS6detail15normal_iteratorINS9_10device_ptrIsEEEENS9_18transform_iteratorINS9_6negateIsEESE_NS9_11use_defaultESI_EESE_sNS9_4plusIvEENS9_8equal_toIvEEsEE10hipError_tPvRmT2_T3_T4_T5_mT6_T7_P12ihipStream_tbENKUlT_T0_E_clISt17integral_constantIbLb1EES13_IbLb0EEEEDaSZ_S10_EUlSZ_E_NS1_11comp_targetILNS1_3genE4ELNS1_11target_archE910ELNS1_3gpuE8ELNS1_3repE0EEENS1_30default_config_static_selectorELNS0_4arch9wavefront6targetE0EEEvT1_,comdat
	.protected	_ZN7rocprim17ROCPRIM_400000_NS6detail17trampoline_kernelINS0_14default_configENS1_27scan_by_key_config_selectorIssEEZZNS1_16scan_by_key_implILNS1_25lookback_scan_determinismE0ELb0ES3_N6thrust23THRUST_200600_302600_NS6detail15normal_iteratorINS9_10device_ptrIsEEEENS9_18transform_iteratorINS9_6negateIsEESE_NS9_11use_defaultESI_EESE_sNS9_4plusIvEENS9_8equal_toIvEEsEE10hipError_tPvRmT2_T3_T4_T5_mT6_T7_P12ihipStream_tbENKUlT_T0_E_clISt17integral_constantIbLb1EES13_IbLb0EEEEDaSZ_S10_EUlSZ_E_NS1_11comp_targetILNS1_3genE4ELNS1_11target_archE910ELNS1_3gpuE8ELNS1_3repE0EEENS1_30default_config_static_selectorELNS0_4arch9wavefront6targetE0EEEvT1_ ; -- Begin function _ZN7rocprim17ROCPRIM_400000_NS6detail17trampoline_kernelINS0_14default_configENS1_27scan_by_key_config_selectorIssEEZZNS1_16scan_by_key_implILNS1_25lookback_scan_determinismE0ELb0ES3_N6thrust23THRUST_200600_302600_NS6detail15normal_iteratorINS9_10device_ptrIsEEEENS9_18transform_iteratorINS9_6negateIsEESE_NS9_11use_defaultESI_EESE_sNS9_4plusIvEENS9_8equal_toIvEEsEE10hipError_tPvRmT2_T3_T4_T5_mT6_T7_P12ihipStream_tbENKUlT_T0_E_clISt17integral_constantIbLb1EES13_IbLb0EEEEDaSZ_S10_EUlSZ_E_NS1_11comp_targetILNS1_3genE4ELNS1_11target_archE910ELNS1_3gpuE8ELNS1_3repE0EEENS1_30default_config_static_selectorELNS0_4arch9wavefront6targetE0EEEvT1_
	.globl	_ZN7rocprim17ROCPRIM_400000_NS6detail17trampoline_kernelINS0_14default_configENS1_27scan_by_key_config_selectorIssEEZZNS1_16scan_by_key_implILNS1_25lookback_scan_determinismE0ELb0ES3_N6thrust23THRUST_200600_302600_NS6detail15normal_iteratorINS9_10device_ptrIsEEEENS9_18transform_iteratorINS9_6negateIsEESE_NS9_11use_defaultESI_EESE_sNS9_4plusIvEENS9_8equal_toIvEEsEE10hipError_tPvRmT2_T3_T4_T5_mT6_T7_P12ihipStream_tbENKUlT_T0_E_clISt17integral_constantIbLb1EES13_IbLb0EEEEDaSZ_S10_EUlSZ_E_NS1_11comp_targetILNS1_3genE4ELNS1_11target_archE910ELNS1_3gpuE8ELNS1_3repE0EEENS1_30default_config_static_selectorELNS0_4arch9wavefront6targetE0EEEvT1_
	.p2align	8
	.type	_ZN7rocprim17ROCPRIM_400000_NS6detail17trampoline_kernelINS0_14default_configENS1_27scan_by_key_config_selectorIssEEZZNS1_16scan_by_key_implILNS1_25lookback_scan_determinismE0ELb0ES3_N6thrust23THRUST_200600_302600_NS6detail15normal_iteratorINS9_10device_ptrIsEEEENS9_18transform_iteratorINS9_6negateIsEESE_NS9_11use_defaultESI_EESE_sNS9_4plusIvEENS9_8equal_toIvEEsEE10hipError_tPvRmT2_T3_T4_T5_mT6_T7_P12ihipStream_tbENKUlT_T0_E_clISt17integral_constantIbLb1EES13_IbLb0EEEEDaSZ_S10_EUlSZ_E_NS1_11comp_targetILNS1_3genE4ELNS1_11target_archE910ELNS1_3gpuE8ELNS1_3repE0EEENS1_30default_config_static_selectorELNS0_4arch9wavefront6targetE0EEEvT1_,@function
_ZN7rocprim17ROCPRIM_400000_NS6detail17trampoline_kernelINS0_14default_configENS1_27scan_by_key_config_selectorIssEEZZNS1_16scan_by_key_implILNS1_25lookback_scan_determinismE0ELb0ES3_N6thrust23THRUST_200600_302600_NS6detail15normal_iteratorINS9_10device_ptrIsEEEENS9_18transform_iteratorINS9_6negateIsEESE_NS9_11use_defaultESI_EESE_sNS9_4plusIvEENS9_8equal_toIvEEsEE10hipError_tPvRmT2_T3_T4_T5_mT6_T7_P12ihipStream_tbENKUlT_T0_E_clISt17integral_constantIbLb1EES13_IbLb0EEEEDaSZ_S10_EUlSZ_E_NS1_11comp_targetILNS1_3genE4ELNS1_11target_archE910ELNS1_3gpuE8ELNS1_3repE0EEENS1_30default_config_static_selectorELNS0_4arch9wavefront6targetE0EEEvT1_: ; @_ZN7rocprim17ROCPRIM_400000_NS6detail17trampoline_kernelINS0_14default_configENS1_27scan_by_key_config_selectorIssEEZZNS1_16scan_by_key_implILNS1_25lookback_scan_determinismE0ELb0ES3_N6thrust23THRUST_200600_302600_NS6detail15normal_iteratorINS9_10device_ptrIsEEEENS9_18transform_iteratorINS9_6negateIsEESE_NS9_11use_defaultESI_EESE_sNS9_4plusIvEENS9_8equal_toIvEEsEE10hipError_tPvRmT2_T3_T4_T5_mT6_T7_P12ihipStream_tbENKUlT_T0_E_clISt17integral_constantIbLb1EES13_IbLb0EEEEDaSZ_S10_EUlSZ_E_NS1_11comp_targetILNS1_3genE4ELNS1_11target_archE910ELNS1_3gpuE8ELNS1_3repE0EEENS1_30default_config_static_selectorELNS0_4arch9wavefront6targetE0EEEvT1_
; %bb.0:
	.section	.rodata,"a",@progbits
	.p2align	6, 0x0
	.amdhsa_kernel _ZN7rocprim17ROCPRIM_400000_NS6detail17trampoline_kernelINS0_14default_configENS1_27scan_by_key_config_selectorIssEEZZNS1_16scan_by_key_implILNS1_25lookback_scan_determinismE0ELb0ES3_N6thrust23THRUST_200600_302600_NS6detail15normal_iteratorINS9_10device_ptrIsEEEENS9_18transform_iteratorINS9_6negateIsEESE_NS9_11use_defaultESI_EESE_sNS9_4plusIvEENS9_8equal_toIvEEsEE10hipError_tPvRmT2_T3_T4_T5_mT6_T7_P12ihipStream_tbENKUlT_T0_E_clISt17integral_constantIbLb1EES13_IbLb0EEEEDaSZ_S10_EUlSZ_E_NS1_11comp_targetILNS1_3genE4ELNS1_11target_archE910ELNS1_3gpuE8ELNS1_3repE0EEENS1_30default_config_static_selectorELNS0_4arch9wavefront6targetE0EEEvT1_
		.amdhsa_group_segment_fixed_size 0
		.amdhsa_private_segment_fixed_size 0
		.amdhsa_kernarg_size 120
		.amdhsa_user_sgpr_count 6
		.amdhsa_user_sgpr_private_segment_buffer 1
		.amdhsa_user_sgpr_dispatch_ptr 0
		.amdhsa_user_sgpr_queue_ptr 0
		.amdhsa_user_sgpr_kernarg_segment_ptr 1
		.amdhsa_user_sgpr_dispatch_id 0
		.amdhsa_user_sgpr_flat_scratch_init 0
		.amdhsa_user_sgpr_private_segment_size 0
		.amdhsa_wavefront_size32 1
		.amdhsa_uses_dynamic_stack 0
		.amdhsa_system_sgpr_private_segment_wavefront_offset 0
		.amdhsa_system_sgpr_workgroup_id_x 1
		.amdhsa_system_sgpr_workgroup_id_y 0
		.amdhsa_system_sgpr_workgroup_id_z 0
		.amdhsa_system_sgpr_workgroup_info 0
		.amdhsa_system_vgpr_workitem_id 0
		.amdhsa_next_free_vgpr 1
		.amdhsa_next_free_sgpr 1
		.amdhsa_reserve_vcc 0
		.amdhsa_reserve_flat_scratch 0
		.amdhsa_float_round_mode_32 0
		.amdhsa_float_round_mode_16_64 0
		.amdhsa_float_denorm_mode_32 3
		.amdhsa_float_denorm_mode_16_64 3
		.amdhsa_dx10_clamp 1
		.amdhsa_ieee_mode 1
		.amdhsa_fp16_overflow 0
		.amdhsa_workgroup_processor_mode 1
		.amdhsa_memory_ordered 1
		.amdhsa_forward_progress 1
		.amdhsa_shared_vgpr_count 0
		.amdhsa_exception_fp_ieee_invalid_op 0
		.amdhsa_exception_fp_denorm_src 0
		.amdhsa_exception_fp_ieee_div_zero 0
		.amdhsa_exception_fp_ieee_overflow 0
		.amdhsa_exception_fp_ieee_underflow 0
		.amdhsa_exception_fp_ieee_inexact 0
		.amdhsa_exception_int_div_zero 0
	.end_amdhsa_kernel
	.section	.text._ZN7rocprim17ROCPRIM_400000_NS6detail17trampoline_kernelINS0_14default_configENS1_27scan_by_key_config_selectorIssEEZZNS1_16scan_by_key_implILNS1_25lookback_scan_determinismE0ELb0ES3_N6thrust23THRUST_200600_302600_NS6detail15normal_iteratorINS9_10device_ptrIsEEEENS9_18transform_iteratorINS9_6negateIsEESE_NS9_11use_defaultESI_EESE_sNS9_4plusIvEENS9_8equal_toIvEEsEE10hipError_tPvRmT2_T3_T4_T5_mT6_T7_P12ihipStream_tbENKUlT_T0_E_clISt17integral_constantIbLb1EES13_IbLb0EEEEDaSZ_S10_EUlSZ_E_NS1_11comp_targetILNS1_3genE4ELNS1_11target_archE910ELNS1_3gpuE8ELNS1_3repE0EEENS1_30default_config_static_selectorELNS0_4arch9wavefront6targetE0EEEvT1_,"axG",@progbits,_ZN7rocprim17ROCPRIM_400000_NS6detail17trampoline_kernelINS0_14default_configENS1_27scan_by_key_config_selectorIssEEZZNS1_16scan_by_key_implILNS1_25lookback_scan_determinismE0ELb0ES3_N6thrust23THRUST_200600_302600_NS6detail15normal_iteratorINS9_10device_ptrIsEEEENS9_18transform_iteratorINS9_6negateIsEESE_NS9_11use_defaultESI_EESE_sNS9_4plusIvEENS9_8equal_toIvEEsEE10hipError_tPvRmT2_T3_T4_T5_mT6_T7_P12ihipStream_tbENKUlT_T0_E_clISt17integral_constantIbLb1EES13_IbLb0EEEEDaSZ_S10_EUlSZ_E_NS1_11comp_targetILNS1_3genE4ELNS1_11target_archE910ELNS1_3gpuE8ELNS1_3repE0EEENS1_30default_config_static_selectorELNS0_4arch9wavefront6targetE0EEEvT1_,comdat
.Lfunc_end986:
	.size	_ZN7rocprim17ROCPRIM_400000_NS6detail17trampoline_kernelINS0_14default_configENS1_27scan_by_key_config_selectorIssEEZZNS1_16scan_by_key_implILNS1_25lookback_scan_determinismE0ELb0ES3_N6thrust23THRUST_200600_302600_NS6detail15normal_iteratorINS9_10device_ptrIsEEEENS9_18transform_iteratorINS9_6negateIsEESE_NS9_11use_defaultESI_EESE_sNS9_4plusIvEENS9_8equal_toIvEEsEE10hipError_tPvRmT2_T3_T4_T5_mT6_T7_P12ihipStream_tbENKUlT_T0_E_clISt17integral_constantIbLb1EES13_IbLb0EEEEDaSZ_S10_EUlSZ_E_NS1_11comp_targetILNS1_3genE4ELNS1_11target_archE910ELNS1_3gpuE8ELNS1_3repE0EEENS1_30default_config_static_selectorELNS0_4arch9wavefront6targetE0EEEvT1_, .Lfunc_end986-_ZN7rocprim17ROCPRIM_400000_NS6detail17trampoline_kernelINS0_14default_configENS1_27scan_by_key_config_selectorIssEEZZNS1_16scan_by_key_implILNS1_25lookback_scan_determinismE0ELb0ES3_N6thrust23THRUST_200600_302600_NS6detail15normal_iteratorINS9_10device_ptrIsEEEENS9_18transform_iteratorINS9_6negateIsEESE_NS9_11use_defaultESI_EESE_sNS9_4plusIvEENS9_8equal_toIvEEsEE10hipError_tPvRmT2_T3_T4_T5_mT6_T7_P12ihipStream_tbENKUlT_T0_E_clISt17integral_constantIbLb1EES13_IbLb0EEEEDaSZ_S10_EUlSZ_E_NS1_11comp_targetILNS1_3genE4ELNS1_11target_archE910ELNS1_3gpuE8ELNS1_3repE0EEENS1_30default_config_static_selectorELNS0_4arch9wavefront6targetE0EEEvT1_
                                        ; -- End function
	.set _ZN7rocprim17ROCPRIM_400000_NS6detail17trampoline_kernelINS0_14default_configENS1_27scan_by_key_config_selectorIssEEZZNS1_16scan_by_key_implILNS1_25lookback_scan_determinismE0ELb0ES3_N6thrust23THRUST_200600_302600_NS6detail15normal_iteratorINS9_10device_ptrIsEEEENS9_18transform_iteratorINS9_6negateIsEESE_NS9_11use_defaultESI_EESE_sNS9_4plusIvEENS9_8equal_toIvEEsEE10hipError_tPvRmT2_T3_T4_T5_mT6_T7_P12ihipStream_tbENKUlT_T0_E_clISt17integral_constantIbLb1EES13_IbLb0EEEEDaSZ_S10_EUlSZ_E_NS1_11comp_targetILNS1_3genE4ELNS1_11target_archE910ELNS1_3gpuE8ELNS1_3repE0EEENS1_30default_config_static_selectorELNS0_4arch9wavefront6targetE0EEEvT1_.num_vgpr, 0
	.set _ZN7rocprim17ROCPRIM_400000_NS6detail17trampoline_kernelINS0_14default_configENS1_27scan_by_key_config_selectorIssEEZZNS1_16scan_by_key_implILNS1_25lookback_scan_determinismE0ELb0ES3_N6thrust23THRUST_200600_302600_NS6detail15normal_iteratorINS9_10device_ptrIsEEEENS9_18transform_iteratorINS9_6negateIsEESE_NS9_11use_defaultESI_EESE_sNS9_4plusIvEENS9_8equal_toIvEEsEE10hipError_tPvRmT2_T3_T4_T5_mT6_T7_P12ihipStream_tbENKUlT_T0_E_clISt17integral_constantIbLb1EES13_IbLb0EEEEDaSZ_S10_EUlSZ_E_NS1_11comp_targetILNS1_3genE4ELNS1_11target_archE910ELNS1_3gpuE8ELNS1_3repE0EEENS1_30default_config_static_selectorELNS0_4arch9wavefront6targetE0EEEvT1_.num_agpr, 0
	.set _ZN7rocprim17ROCPRIM_400000_NS6detail17trampoline_kernelINS0_14default_configENS1_27scan_by_key_config_selectorIssEEZZNS1_16scan_by_key_implILNS1_25lookback_scan_determinismE0ELb0ES3_N6thrust23THRUST_200600_302600_NS6detail15normal_iteratorINS9_10device_ptrIsEEEENS9_18transform_iteratorINS9_6negateIsEESE_NS9_11use_defaultESI_EESE_sNS9_4plusIvEENS9_8equal_toIvEEsEE10hipError_tPvRmT2_T3_T4_T5_mT6_T7_P12ihipStream_tbENKUlT_T0_E_clISt17integral_constantIbLb1EES13_IbLb0EEEEDaSZ_S10_EUlSZ_E_NS1_11comp_targetILNS1_3genE4ELNS1_11target_archE910ELNS1_3gpuE8ELNS1_3repE0EEENS1_30default_config_static_selectorELNS0_4arch9wavefront6targetE0EEEvT1_.numbered_sgpr, 0
	.set _ZN7rocprim17ROCPRIM_400000_NS6detail17trampoline_kernelINS0_14default_configENS1_27scan_by_key_config_selectorIssEEZZNS1_16scan_by_key_implILNS1_25lookback_scan_determinismE0ELb0ES3_N6thrust23THRUST_200600_302600_NS6detail15normal_iteratorINS9_10device_ptrIsEEEENS9_18transform_iteratorINS9_6negateIsEESE_NS9_11use_defaultESI_EESE_sNS9_4plusIvEENS9_8equal_toIvEEsEE10hipError_tPvRmT2_T3_T4_T5_mT6_T7_P12ihipStream_tbENKUlT_T0_E_clISt17integral_constantIbLb1EES13_IbLb0EEEEDaSZ_S10_EUlSZ_E_NS1_11comp_targetILNS1_3genE4ELNS1_11target_archE910ELNS1_3gpuE8ELNS1_3repE0EEENS1_30default_config_static_selectorELNS0_4arch9wavefront6targetE0EEEvT1_.num_named_barrier, 0
	.set _ZN7rocprim17ROCPRIM_400000_NS6detail17trampoline_kernelINS0_14default_configENS1_27scan_by_key_config_selectorIssEEZZNS1_16scan_by_key_implILNS1_25lookback_scan_determinismE0ELb0ES3_N6thrust23THRUST_200600_302600_NS6detail15normal_iteratorINS9_10device_ptrIsEEEENS9_18transform_iteratorINS9_6negateIsEESE_NS9_11use_defaultESI_EESE_sNS9_4plusIvEENS9_8equal_toIvEEsEE10hipError_tPvRmT2_T3_T4_T5_mT6_T7_P12ihipStream_tbENKUlT_T0_E_clISt17integral_constantIbLb1EES13_IbLb0EEEEDaSZ_S10_EUlSZ_E_NS1_11comp_targetILNS1_3genE4ELNS1_11target_archE910ELNS1_3gpuE8ELNS1_3repE0EEENS1_30default_config_static_selectorELNS0_4arch9wavefront6targetE0EEEvT1_.private_seg_size, 0
	.set _ZN7rocprim17ROCPRIM_400000_NS6detail17trampoline_kernelINS0_14default_configENS1_27scan_by_key_config_selectorIssEEZZNS1_16scan_by_key_implILNS1_25lookback_scan_determinismE0ELb0ES3_N6thrust23THRUST_200600_302600_NS6detail15normal_iteratorINS9_10device_ptrIsEEEENS9_18transform_iteratorINS9_6negateIsEESE_NS9_11use_defaultESI_EESE_sNS9_4plusIvEENS9_8equal_toIvEEsEE10hipError_tPvRmT2_T3_T4_T5_mT6_T7_P12ihipStream_tbENKUlT_T0_E_clISt17integral_constantIbLb1EES13_IbLb0EEEEDaSZ_S10_EUlSZ_E_NS1_11comp_targetILNS1_3genE4ELNS1_11target_archE910ELNS1_3gpuE8ELNS1_3repE0EEENS1_30default_config_static_selectorELNS0_4arch9wavefront6targetE0EEEvT1_.uses_vcc, 0
	.set _ZN7rocprim17ROCPRIM_400000_NS6detail17trampoline_kernelINS0_14default_configENS1_27scan_by_key_config_selectorIssEEZZNS1_16scan_by_key_implILNS1_25lookback_scan_determinismE0ELb0ES3_N6thrust23THRUST_200600_302600_NS6detail15normal_iteratorINS9_10device_ptrIsEEEENS9_18transform_iteratorINS9_6negateIsEESE_NS9_11use_defaultESI_EESE_sNS9_4plusIvEENS9_8equal_toIvEEsEE10hipError_tPvRmT2_T3_T4_T5_mT6_T7_P12ihipStream_tbENKUlT_T0_E_clISt17integral_constantIbLb1EES13_IbLb0EEEEDaSZ_S10_EUlSZ_E_NS1_11comp_targetILNS1_3genE4ELNS1_11target_archE910ELNS1_3gpuE8ELNS1_3repE0EEENS1_30default_config_static_selectorELNS0_4arch9wavefront6targetE0EEEvT1_.uses_flat_scratch, 0
	.set _ZN7rocprim17ROCPRIM_400000_NS6detail17trampoline_kernelINS0_14default_configENS1_27scan_by_key_config_selectorIssEEZZNS1_16scan_by_key_implILNS1_25lookback_scan_determinismE0ELb0ES3_N6thrust23THRUST_200600_302600_NS6detail15normal_iteratorINS9_10device_ptrIsEEEENS9_18transform_iteratorINS9_6negateIsEESE_NS9_11use_defaultESI_EESE_sNS9_4plusIvEENS9_8equal_toIvEEsEE10hipError_tPvRmT2_T3_T4_T5_mT6_T7_P12ihipStream_tbENKUlT_T0_E_clISt17integral_constantIbLb1EES13_IbLb0EEEEDaSZ_S10_EUlSZ_E_NS1_11comp_targetILNS1_3genE4ELNS1_11target_archE910ELNS1_3gpuE8ELNS1_3repE0EEENS1_30default_config_static_selectorELNS0_4arch9wavefront6targetE0EEEvT1_.has_dyn_sized_stack, 0
	.set _ZN7rocprim17ROCPRIM_400000_NS6detail17trampoline_kernelINS0_14default_configENS1_27scan_by_key_config_selectorIssEEZZNS1_16scan_by_key_implILNS1_25lookback_scan_determinismE0ELb0ES3_N6thrust23THRUST_200600_302600_NS6detail15normal_iteratorINS9_10device_ptrIsEEEENS9_18transform_iteratorINS9_6negateIsEESE_NS9_11use_defaultESI_EESE_sNS9_4plusIvEENS9_8equal_toIvEEsEE10hipError_tPvRmT2_T3_T4_T5_mT6_T7_P12ihipStream_tbENKUlT_T0_E_clISt17integral_constantIbLb1EES13_IbLb0EEEEDaSZ_S10_EUlSZ_E_NS1_11comp_targetILNS1_3genE4ELNS1_11target_archE910ELNS1_3gpuE8ELNS1_3repE0EEENS1_30default_config_static_selectorELNS0_4arch9wavefront6targetE0EEEvT1_.has_recursion, 0
	.set _ZN7rocprim17ROCPRIM_400000_NS6detail17trampoline_kernelINS0_14default_configENS1_27scan_by_key_config_selectorIssEEZZNS1_16scan_by_key_implILNS1_25lookback_scan_determinismE0ELb0ES3_N6thrust23THRUST_200600_302600_NS6detail15normal_iteratorINS9_10device_ptrIsEEEENS9_18transform_iteratorINS9_6negateIsEESE_NS9_11use_defaultESI_EESE_sNS9_4plusIvEENS9_8equal_toIvEEsEE10hipError_tPvRmT2_T3_T4_T5_mT6_T7_P12ihipStream_tbENKUlT_T0_E_clISt17integral_constantIbLb1EES13_IbLb0EEEEDaSZ_S10_EUlSZ_E_NS1_11comp_targetILNS1_3genE4ELNS1_11target_archE910ELNS1_3gpuE8ELNS1_3repE0EEENS1_30default_config_static_selectorELNS0_4arch9wavefront6targetE0EEEvT1_.has_indirect_call, 0
	.section	.AMDGPU.csdata,"",@progbits
; Kernel info:
; codeLenInByte = 0
; TotalNumSgprs: 0
; NumVgprs: 0
; ScratchSize: 0
; MemoryBound: 0
; FloatMode: 240
; IeeeMode: 1
; LDSByteSize: 0 bytes/workgroup (compile time only)
; SGPRBlocks: 0
; VGPRBlocks: 0
; NumSGPRsForWavesPerEU: 1
; NumVGPRsForWavesPerEU: 1
; Occupancy: 16
; WaveLimiterHint : 0
; COMPUTE_PGM_RSRC2:SCRATCH_EN: 0
; COMPUTE_PGM_RSRC2:USER_SGPR: 6
; COMPUTE_PGM_RSRC2:TRAP_HANDLER: 0
; COMPUTE_PGM_RSRC2:TGID_X_EN: 1
; COMPUTE_PGM_RSRC2:TGID_Y_EN: 0
; COMPUTE_PGM_RSRC2:TGID_Z_EN: 0
; COMPUTE_PGM_RSRC2:TIDIG_COMP_CNT: 0
	.section	.text._ZN7rocprim17ROCPRIM_400000_NS6detail17trampoline_kernelINS0_14default_configENS1_27scan_by_key_config_selectorIssEEZZNS1_16scan_by_key_implILNS1_25lookback_scan_determinismE0ELb0ES3_N6thrust23THRUST_200600_302600_NS6detail15normal_iteratorINS9_10device_ptrIsEEEENS9_18transform_iteratorINS9_6negateIsEESE_NS9_11use_defaultESI_EESE_sNS9_4plusIvEENS9_8equal_toIvEEsEE10hipError_tPvRmT2_T3_T4_T5_mT6_T7_P12ihipStream_tbENKUlT_T0_E_clISt17integral_constantIbLb1EES13_IbLb0EEEEDaSZ_S10_EUlSZ_E_NS1_11comp_targetILNS1_3genE3ELNS1_11target_archE908ELNS1_3gpuE7ELNS1_3repE0EEENS1_30default_config_static_selectorELNS0_4arch9wavefront6targetE0EEEvT1_,"axG",@progbits,_ZN7rocprim17ROCPRIM_400000_NS6detail17trampoline_kernelINS0_14default_configENS1_27scan_by_key_config_selectorIssEEZZNS1_16scan_by_key_implILNS1_25lookback_scan_determinismE0ELb0ES3_N6thrust23THRUST_200600_302600_NS6detail15normal_iteratorINS9_10device_ptrIsEEEENS9_18transform_iteratorINS9_6negateIsEESE_NS9_11use_defaultESI_EESE_sNS9_4plusIvEENS9_8equal_toIvEEsEE10hipError_tPvRmT2_T3_T4_T5_mT6_T7_P12ihipStream_tbENKUlT_T0_E_clISt17integral_constantIbLb1EES13_IbLb0EEEEDaSZ_S10_EUlSZ_E_NS1_11comp_targetILNS1_3genE3ELNS1_11target_archE908ELNS1_3gpuE7ELNS1_3repE0EEENS1_30default_config_static_selectorELNS0_4arch9wavefront6targetE0EEEvT1_,comdat
	.protected	_ZN7rocprim17ROCPRIM_400000_NS6detail17trampoline_kernelINS0_14default_configENS1_27scan_by_key_config_selectorIssEEZZNS1_16scan_by_key_implILNS1_25lookback_scan_determinismE0ELb0ES3_N6thrust23THRUST_200600_302600_NS6detail15normal_iteratorINS9_10device_ptrIsEEEENS9_18transform_iteratorINS9_6negateIsEESE_NS9_11use_defaultESI_EESE_sNS9_4plusIvEENS9_8equal_toIvEEsEE10hipError_tPvRmT2_T3_T4_T5_mT6_T7_P12ihipStream_tbENKUlT_T0_E_clISt17integral_constantIbLb1EES13_IbLb0EEEEDaSZ_S10_EUlSZ_E_NS1_11comp_targetILNS1_3genE3ELNS1_11target_archE908ELNS1_3gpuE7ELNS1_3repE0EEENS1_30default_config_static_selectorELNS0_4arch9wavefront6targetE0EEEvT1_ ; -- Begin function _ZN7rocprim17ROCPRIM_400000_NS6detail17trampoline_kernelINS0_14default_configENS1_27scan_by_key_config_selectorIssEEZZNS1_16scan_by_key_implILNS1_25lookback_scan_determinismE0ELb0ES3_N6thrust23THRUST_200600_302600_NS6detail15normal_iteratorINS9_10device_ptrIsEEEENS9_18transform_iteratorINS9_6negateIsEESE_NS9_11use_defaultESI_EESE_sNS9_4plusIvEENS9_8equal_toIvEEsEE10hipError_tPvRmT2_T3_T4_T5_mT6_T7_P12ihipStream_tbENKUlT_T0_E_clISt17integral_constantIbLb1EES13_IbLb0EEEEDaSZ_S10_EUlSZ_E_NS1_11comp_targetILNS1_3genE3ELNS1_11target_archE908ELNS1_3gpuE7ELNS1_3repE0EEENS1_30default_config_static_selectorELNS0_4arch9wavefront6targetE0EEEvT1_
	.globl	_ZN7rocprim17ROCPRIM_400000_NS6detail17trampoline_kernelINS0_14default_configENS1_27scan_by_key_config_selectorIssEEZZNS1_16scan_by_key_implILNS1_25lookback_scan_determinismE0ELb0ES3_N6thrust23THRUST_200600_302600_NS6detail15normal_iteratorINS9_10device_ptrIsEEEENS9_18transform_iteratorINS9_6negateIsEESE_NS9_11use_defaultESI_EESE_sNS9_4plusIvEENS9_8equal_toIvEEsEE10hipError_tPvRmT2_T3_T4_T5_mT6_T7_P12ihipStream_tbENKUlT_T0_E_clISt17integral_constantIbLb1EES13_IbLb0EEEEDaSZ_S10_EUlSZ_E_NS1_11comp_targetILNS1_3genE3ELNS1_11target_archE908ELNS1_3gpuE7ELNS1_3repE0EEENS1_30default_config_static_selectorELNS0_4arch9wavefront6targetE0EEEvT1_
	.p2align	8
	.type	_ZN7rocprim17ROCPRIM_400000_NS6detail17trampoline_kernelINS0_14default_configENS1_27scan_by_key_config_selectorIssEEZZNS1_16scan_by_key_implILNS1_25lookback_scan_determinismE0ELb0ES3_N6thrust23THRUST_200600_302600_NS6detail15normal_iteratorINS9_10device_ptrIsEEEENS9_18transform_iteratorINS9_6negateIsEESE_NS9_11use_defaultESI_EESE_sNS9_4plusIvEENS9_8equal_toIvEEsEE10hipError_tPvRmT2_T3_T4_T5_mT6_T7_P12ihipStream_tbENKUlT_T0_E_clISt17integral_constantIbLb1EES13_IbLb0EEEEDaSZ_S10_EUlSZ_E_NS1_11comp_targetILNS1_3genE3ELNS1_11target_archE908ELNS1_3gpuE7ELNS1_3repE0EEENS1_30default_config_static_selectorELNS0_4arch9wavefront6targetE0EEEvT1_,@function
_ZN7rocprim17ROCPRIM_400000_NS6detail17trampoline_kernelINS0_14default_configENS1_27scan_by_key_config_selectorIssEEZZNS1_16scan_by_key_implILNS1_25lookback_scan_determinismE0ELb0ES3_N6thrust23THRUST_200600_302600_NS6detail15normal_iteratorINS9_10device_ptrIsEEEENS9_18transform_iteratorINS9_6negateIsEESE_NS9_11use_defaultESI_EESE_sNS9_4plusIvEENS9_8equal_toIvEEsEE10hipError_tPvRmT2_T3_T4_T5_mT6_T7_P12ihipStream_tbENKUlT_T0_E_clISt17integral_constantIbLb1EES13_IbLb0EEEEDaSZ_S10_EUlSZ_E_NS1_11comp_targetILNS1_3genE3ELNS1_11target_archE908ELNS1_3gpuE7ELNS1_3repE0EEENS1_30default_config_static_selectorELNS0_4arch9wavefront6targetE0EEEvT1_: ; @_ZN7rocprim17ROCPRIM_400000_NS6detail17trampoline_kernelINS0_14default_configENS1_27scan_by_key_config_selectorIssEEZZNS1_16scan_by_key_implILNS1_25lookback_scan_determinismE0ELb0ES3_N6thrust23THRUST_200600_302600_NS6detail15normal_iteratorINS9_10device_ptrIsEEEENS9_18transform_iteratorINS9_6negateIsEESE_NS9_11use_defaultESI_EESE_sNS9_4plusIvEENS9_8equal_toIvEEsEE10hipError_tPvRmT2_T3_T4_T5_mT6_T7_P12ihipStream_tbENKUlT_T0_E_clISt17integral_constantIbLb1EES13_IbLb0EEEEDaSZ_S10_EUlSZ_E_NS1_11comp_targetILNS1_3genE3ELNS1_11target_archE908ELNS1_3gpuE7ELNS1_3repE0EEENS1_30default_config_static_selectorELNS0_4arch9wavefront6targetE0EEEvT1_
; %bb.0:
	.section	.rodata,"a",@progbits
	.p2align	6, 0x0
	.amdhsa_kernel _ZN7rocprim17ROCPRIM_400000_NS6detail17trampoline_kernelINS0_14default_configENS1_27scan_by_key_config_selectorIssEEZZNS1_16scan_by_key_implILNS1_25lookback_scan_determinismE0ELb0ES3_N6thrust23THRUST_200600_302600_NS6detail15normal_iteratorINS9_10device_ptrIsEEEENS9_18transform_iteratorINS9_6negateIsEESE_NS9_11use_defaultESI_EESE_sNS9_4plusIvEENS9_8equal_toIvEEsEE10hipError_tPvRmT2_T3_T4_T5_mT6_T7_P12ihipStream_tbENKUlT_T0_E_clISt17integral_constantIbLb1EES13_IbLb0EEEEDaSZ_S10_EUlSZ_E_NS1_11comp_targetILNS1_3genE3ELNS1_11target_archE908ELNS1_3gpuE7ELNS1_3repE0EEENS1_30default_config_static_selectorELNS0_4arch9wavefront6targetE0EEEvT1_
		.amdhsa_group_segment_fixed_size 0
		.amdhsa_private_segment_fixed_size 0
		.amdhsa_kernarg_size 120
		.amdhsa_user_sgpr_count 6
		.amdhsa_user_sgpr_private_segment_buffer 1
		.amdhsa_user_sgpr_dispatch_ptr 0
		.amdhsa_user_sgpr_queue_ptr 0
		.amdhsa_user_sgpr_kernarg_segment_ptr 1
		.amdhsa_user_sgpr_dispatch_id 0
		.amdhsa_user_sgpr_flat_scratch_init 0
		.amdhsa_user_sgpr_private_segment_size 0
		.amdhsa_wavefront_size32 1
		.amdhsa_uses_dynamic_stack 0
		.amdhsa_system_sgpr_private_segment_wavefront_offset 0
		.amdhsa_system_sgpr_workgroup_id_x 1
		.amdhsa_system_sgpr_workgroup_id_y 0
		.amdhsa_system_sgpr_workgroup_id_z 0
		.amdhsa_system_sgpr_workgroup_info 0
		.amdhsa_system_vgpr_workitem_id 0
		.amdhsa_next_free_vgpr 1
		.amdhsa_next_free_sgpr 1
		.amdhsa_reserve_vcc 0
		.amdhsa_reserve_flat_scratch 0
		.amdhsa_float_round_mode_32 0
		.amdhsa_float_round_mode_16_64 0
		.amdhsa_float_denorm_mode_32 3
		.amdhsa_float_denorm_mode_16_64 3
		.amdhsa_dx10_clamp 1
		.amdhsa_ieee_mode 1
		.amdhsa_fp16_overflow 0
		.amdhsa_workgroup_processor_mode 1
		.amdhsa_memory_ordered 1
		.amdhsa_forward_progress 1
		.amdhsa_shared_vgpr_count 0
		.amdhsa_exception_fp_ieee_invalid_op 0
		.amdhsa_exception_fp_denorm_src 0
		.amdhsa_exception_fp_ieee_div_zero 0
		.amdhsa_exception_fp_ieee_overflow 0
		.amdhsa_exception_fp_ieee_underflow 0
		.amdhsa_exception_fp_ieee_inexact 0
		.amdhsa_exception_int_div_zero 0
	.end_amdhsa_kernel
	.section	.text._ZN7rocprim17ROCPRIM_400000_NS6detail17trampoline_kernelINS0_14default_configENS1_27scan_by_key_config_selectorIssEEZZNS1_16scan_by_key_implILNS1_25lookback_scan_determinismE0ELb0ES3_N6thrust23THRUST_200600_302600_NS6detail15normal_iteratorINS9_10device_ptrIsEEEENS9_18transform_iteratorINS9_6negateIsEESE_NS9_11use_defaultESI_EESE_sNS9_4plusIvEENS9_8equal_toIvEEsEE10hipError_tPvRmT2_T3_T4_T5_mT6_T7_P12ihipStream_tbENKUlT_T0_E_clISt17integral_constantIbLb1EES13_IbLb0EEEEDaSZ_S10_EUlSZ_E_NS1_11comp_targetILNS1_3genE3ELNS1_11target_archE908ELNS1_3gpuE7ELNS1_3repE0EEENS1_30default_config_static_selectorELNS0_4arch9wavefront6targetE0EEEvT1_,"axG",@progbits,_ZN7rocprim17ROCPRIM_400000_NS6detail17trampoline_kernelINS0_14default_configENS1_27scan_by_key_config_selectorIssEEZZNS1_16scan_by_key_implILNS1_25lookback_scan_determinismE0ELb0ES3_N6thrust23THRUST_200600_302600_NS6detail15normal_iteratorINS9_10device_ptrIsEEEENS9_18transform_iteratorINS9_6negateIsEESE_NS9_11use_defaultESI_EESE_sNS9_4plusIvEENS9_8equal_toIvEEsEE10hipError_tPvRmT2_T3_T4_T5_mT6_T7_P12ihipStream_tbENKUlT_T0_E_clISt17integral_constantIbLb1EES13_IbLb0EEEEDaSZ_S10_EUlSZ_E_NS1_11comp_targetILNS1_3genE3ELNS1_11target_archE908ELNS1_3gpuE7ELNS1_3repE0EEENS1_30default_config_static_selectorELNS0_4arch9wavefront6targetE0EEEvT1_,comdat
.Lfunc_end987:
	.size	_ZN7rocprim17ROCPRIM_400000_NS6detail17trampoline_kernelINS0_14default_configENS1_27scan_by_key_config_selectorIssEEZZNS1_16scan_by_key_implILNS1_25lookback_scan_determinismE0ELb0ES3_N6thrust23THRUST_200600_302600_NS6detail15normal_iteratorINS9_10device_ptrIsEEEENS9_18transform_iteratorINS9_6negateIsEESE_NS9_11use_defaultESI_EESE_sNS9_4plusIvEENS9_8equal_toIvEEsEE10hipError_tPvRmT2_T3_T4_T5_mT6_T7_P12ihipStream_tbENKUlT_T0_E_clISt17integral_constantIbLb1EES13_IbLb0EEEEDaSZ_S10_EUlSZ_E_NS1_11comp_targetILNS1_3genE3ELNS1_11target_archE908ELNS1_3gpuE7ELNS1_3repE0EEENS1_30default_config_static_selectorELNS0_4arch9wavefront6targetE0EEEvT1_, .Lfunc_end987-_ZN7rocprim17ROCPRIM_400000_NS6detail17trampoline_kernelINS0_14default_configENS1_27scan_by_key_config_selectorIssEEZZNS1_16scan_by_key_implILNS1_25lookback_scan_determinismE0ELb0ES3_N6thrust23THRUST_200600_302600_NS6detail15normal_iteratorINS9_10device_ptrIsEEEENS9_18transform_iteratorINS9_6negateIsEESE_NS9_11use_defaultESI_EESE_sNS9_4plusIvEENS9_8equal_toIvEEsEE10hipError_tPvRmT2_T3_T4_T5_mT6_T7_P12ihipStream_tbENKUlT_T0_E_clISt17integral_constantIbLb1EES13_IbLb0EEEEDaSZ_S10_EUlSZ_E_NS1_11comp_targetILNS1_3genE3ELNS1_11target_archE908ELNS1_3gpuE7ELNS1_3repE0EEENS1_30default_config_static_selectorELNS0_4arch9wavefront6targetE0EEEvT1_
                                        ; -- End function
	.set _ZN7rocprim17ROCPRIM_400000_NS6detail17trampoline_kernelINS0_14default_configENS1_27scan_by_key_config_selectorIssEEZZNS1_16scan_by_key_implILNS1_25lookback_scan_determinismE0ELb0ES3_N6thrust23THRUST_200600_302600_NS6detail15normal_iteratorINS9_10device_ptrIsEEEENS9_18transform_iteratorINS9_6negateIsEESE_NS9_11use_defaultESI_EESE_sNS9_4plusIvEENS9_8equal_toIvEEsEE10hipError_tPvRmT2_T3_T4_T5_mT6_T7_P12ihipStream_tbENKUlT_T0_E_clISt17integral_constantIbLb1EES13_IbLb0EEEEDaSZ_S10_EUlSZ_E_NS1_11comp_targetILNS1_3genE3ELNS1_11target_archE908ELNS1_3gpuE7ELNS1_3repE0EEENS1_30default_config_static_selectorELNS0_4arch9wavefront6targetE0EEEvT1_.num_vgpr, 0
	.set _ZN7rocprim17ROCPRIM_400000_NS6detail17trampoline_kernelINS0_14default_configENS1_27scan_by_key_config_selectorIssEEZZNS1_16scan_by_key_implILNS1_25lookback_scan_determinismE0ELb0ES3_N6thrust23THRUST_200600_302600_NS6detail15normal_iteratorINS9_10device_ptrIsEEEENS9_18transform_iteratorINS9_6negateIsEESE_NS9_11use_defaultESI_EESE_sNS9_4plusIvEENS9_8equal_toIvEEsEE10hipError_tPvRmT2_T3_T4_T5_mT6_T7_P12ihipStream_tbENKUlT_T0_E_clISt17integral_constantIbLb1EES13_IbLb0EEEEDaSZ_S10_EUlSZ_E_NS1_11comp_targetILNS1_3genE3ELNS1_11target_archE908ELNS1_3gpuE7ELNS1_3repE0EEENS1_30default_config_static_selectorELNS0_4arch9wavefront6targetE0EEEvT1_.num_agpr, 0
	.set _ZN7rocprim17ROCPRIM_400000_NS6detail17trampoline_kernelINS0_14default_configENS1_27scan_by_key_config_selectorIssEEZZNS1_16scan_by_key_implILNS1_25lookback_scan_determinismE0ELb0ES3_N6thrust23THRUST_200600_302600_NS6detail15normal_iteratorINS9_10device_ptrIsEEEENS9_18transform_iteratorINS9_6negateIsEESE_NS9_11use_defaultESI_EESE_sNS9_4plusIvEENS9_8equal_toIvEEsEE10hipError_tPvRmT2_T3_T4_T5_mT6_T7_P12ihipStream_tbENKUlT_T0_E_clISt17integral_constantIbLb1EES13_IbLb0EEEEDaSZ_S10_EUlSZ_E_NS1_11comp_targetILNS1_3genE3ELNS1_11target_archE908ELNS1_3gpuE7ELNS1_3repE0EEENS1_30default_config_static_selectorELNS0_4arch9wavefront6targetE0EEEvT1_.numbered_sgpr, 0
	.set _ZN7rocprim17ROCPRIM_400000_NS6detail17trampoline_kernelINS0_14default_configENS1_27scan_by_key_config_selectorIssEEZZNS1_16scan_by_key_implILNS1_25lookback_scan_determinismE0ELb0ES3_N6thrust23THRUST_200600_302600_NS6detail15normal_iteratorINS9_10device_ptrIsEEEENS9_18transform_iteratorINS9_6negateIsEESE_NS9_11use_defaultESI_EESE_sNS9_4plusIvEENS9_8equal_toIvEEsEE10hipError_tPvRmT2_T3_T4_T5_mT6_T7_P12ihipStream_tbENKUlT_T0_E_clISt17integral_constantIbLb1EES13_IbLb0EEEEDaSZ_S10_EUlSZ_E_NS1_11comp_targetILNS1_3genE3ELNS1_11target_archE908ELNS1_3gpuE7ELNS1_3repE0EEENS1_30default_config_static_selectorELNS0_4arch9wavefront6targetE0EEEvT1_.num_named_barrier, 0
	.set _ZN7rocprim17ROCPRIM_400000_NS6detail17trampoline_kernelINS0_14default_configENS1_27scan_by_key_config_selectorIssEEZZNS1_16scan_by_key_implILNS1_25lookback_scan_determinismE0ELb0ES3_N6thrust23THRUST_200600_302600_NS6detail15normal_iteratorINS9_10device_ptrIsEEEENS9_18transform_iteratorINS9_6negateIsEESE_NS9_11use_defaultESI_EESE_sNS9_4plusIvEENS9_8equal_toIvEEsEE10hipError_tPvRmT2_T3_T4_T5_mT6_T7_P12ihipStream_tbENKUlT_T0_E_clISt17integral_constantIbLb1EES13_IbLb0EEEEDaSZ_S10_EUlSZ_E_NS1_11comp_targetILNS1_3genE3ELNS1_11target_archE908ELNS1_3gpuE7ELNS1_3repE0EEENS1_30default_config_static_selectorELNS0_4arch9wavefront6targetE0EEEvT1_.private_seg_size, 0
	.set _ZN7rocprim17ROCPRIM_400000_NS6detail17trampoline_kernelINS0_14default_configENS1_27scan_by_key_config_selectorIssEEZZNS1_16scan_by_key_implILNS1_25lookback_scan_determinismE0ELb0ES3_N6thrust23THRUST_200600_302600_NS6detail15normal_iteratorINS9_10device_ptrIsEEEENS9_18transform_iteratorINS9_6negateIsEESE_NS9_11use_defaultESI_EESE_sNS9_4plusIvEENS9_8equal_toIvEEsEE10hipError_tPvRmT2_T3_T4_T5_mT6_T7_P12ihipStream_tbENKUlT_T0_E_clISt17integral_constantIbLb1EES13_IbLb0EEEEDaSZ_S10_EUlSZ_E_NS1_11comp_targetILNS1_3genE3ELNS1_11target_archE908ELNS1_3gpuE7ELNS1_3repE0EEENS1_30default_config_static_selectorELNS0_4arch9wavefront6targetE0EEEvT1_.uses_vcc, 0
	.set _ZN7rocprim17ROCPRIM_400000_NS6detail17trampoline_kernelINS0_14default_configENS1_27scan_by_key_config_selectorIssEEZZNS1_16scan_by_key_implILNS1_25lookback_scan_determinismE0ELb0ES3_N6thrust23THRUST_200600_302600_NS6detail15normal_iteratorINS9_10device_ptrIsEEEENS9_18transform_iteratorINS9_6negateIsEESE_NS9_11use_defaultESI_EESE_sNS9_4plusIvEENS9_8equal_toIvEEsEE10hipError_tPvRmT2_T3_T4_T5_mT6_T7_P12ihipStream_tbENKUlT_T0_E_clISt17integral_constantIbLb1EES13_IbLb0EEEEDaSZ_S10_EUlSZ_E_NS1_11comp_targetILNS1_3genE3ELNS1_11target_archE908ELNS1_3gpuE7ELNS1_3repE0EEENS1_30default_config_static_selectorELNS0_4arch9wavefront6targetE0EEEvT1_.uses_flat_scratch, 0
	.set _ZN7rocprim17ROCPRIM_400000_NS6detail17trampoline_kernelINS0_14default_configENS1_27scan_by_key_config_selectorIssEEZZNS1_16scan_by_key_implILNS1_25lookback_scan_determinismE0ELb0ES3_N6thrust23THRUST_200600_302600_NS6detail15normal_iteratorINS9_10device_ptrIsEEEENS9_18transform_iteratorINS9_6negateIsEESE_NS9_11use_defaultESI_EESE_sNS9_4plusIvEENS9_8equal_toIvEEsEE10hipError_tPvRmT2_T3_T4_T5_mT6_T7_P12ihipStream_tbENKUlT_T0_E_clISt17integral_constantIbLb1EES13_IbLb0EEEEDaSZ_S10_EUlSZ_E_NS1_11comp_targetILNS1_3genE3ELNS1_11target_archE908ELNS1_3gpuE7ELNS1_3repE0EEENS1_30default_config_static_selectorELNS0_4arch9wavefront6targetE0EEEvT1_.has_dyn_sized_stack, 0
	.set _ZN7rocprim17ROCPRIM_400000_NS6detail17trampoline_kernelINS0_14default_configENS1_27scan_by_key_config_selectorIssEEZZNS1_16scan_by_key_implILNS1_25lookback_scan_determinismE0ELb0ES3_N6thrust23THRUST_200600_302600_NS6detail15normal_iteratorINS9_10device_ptrIsEEEENS9_18transform_iteratorINS9_6negateIsEESE_NS9_11use_defaultESI_EESE_sNS9_4plusIvEENS9_8equal_toIvEEsEE10hipError_tPvRmT2_T3_T4_T5_mT6_T7_P12ihipStream_tbENKUlT_T0_E_clISt17integral_constantIbLb1EES13_IbLb0EEEEDaSZ_S10_EUlSZ_E_NS1_11comp_targetILNS1_3genE3ELNS1_11target_archE908ELNS1_3gpuE7ELNS1_3repE0EEENS1_30default_config_static_selectorELNS0_4arch9wavefront6targetE0EEEvT1_.has_recursion, 0
	.set _ZN7rocprim17ROCPRIM_400000_NS6detail17trampoline_kernelINS0_14default_configENS1_27scan_by_key_config_selectorIssEEZZNS1_16scan_by_key_implILNS1_25lookback_scan_determinismE0ELb0ES3_N6thrust23THRUST_200600_302600_NS6detail15normal_iteratorINS9_10device_ptrIsEEEENS9_18transform_iteratorINS9_6negateIsEESE_NS9_11use_defaultESI_EESE_sNS9_4plusIvEENS9_8equal_toIvEEsEE10hipError_tPvRmT2_T3_T4_T5_mT6_T7_P12ihipStream_tbENKUlT_T0_E_clISt17integral_constantIbLb1EES13_IbLb0EEEEDaSZ_S10_EUlSZ_E_NS1_11comp_targetILNS1_3genE3ELNS1_11target_archE908ELNS1_3gpuE7ELNS1_3repE0EEENS1_30default_config_static_selectorELNS0_4arch9wavefront6targetE0EEEvT1_.has_indirect_call, 0
	.section	.AMDGPU.csdata,"",@progbits
; Kernel info:
; codeLenInByte = 0
; TotalNumSgprs: 0
; NumVgprs: 0
; ScratchSize: 0
; MemoryBound: 0
; FloatMode: 240
; IeeeMode: 1
; LDSByteSize: 0 bytes/workgroup (compile time only)
; SGPRBlocks: 0
; VGPRBlocks: 0
; NumSGPRsForWavesPerEU: 1
; NumVGPRsForWavesPerEU: 1
; Occupancy: 16
; WaveLimiterHint : 0
; COMPUTE_PGM_RSRC2:SCRATCH_EN: 0
; COMPUTE_PGM_RSRC2:USER_SGPR: 6
; COMPUTE_PGM_RSRC2:TRAP_HANDLER: 0
; COMPUTE_PGM_RSRC2:TGID_X_EN: 1
; COMPUTE_PGM_RSRC2:TGID_Y_EN: 0
; COMPUTE_PGM_RSRC2:TGID_Z_EN: 0
; COMPUTE_PGM_RSRC2:TIDIG_COMP_CNT: 0
	.section	.text._ZN7rocprim17ROCPRIM_400000_NS6detail17trampoline_kernelINS0_14default_configENS1_27scan_by_key_config_selectorIssEEZZNS1_16scan_by_key_implILNS1_25lookback_scan_determinismE0ELb0ES3_N6thrust23THRUST_200600_302600_NS6detail15normal_iteratorINS9_10device_ptrIsEEEENS9_18transform_iteratorINS9_6negateIsEESE_NS9_11use_defaultESI_EESE_sNS9_4plusIvEENS9_8equal_toIvEEsEE10hipError_tPvRmT2_T3_T4_T5_mT6_T7_P12ihipStream_tbENKUlT_T0_E_clISt17integral_constantIbLb1EES13_IbLb0EEEEDaSZ_S10_EUlSZ_E_NS1_11comp_targetILNS1_3genE2ELNS1_11target_archE906ELNS1_3gpuE6ELNS1_3repE0EEENS1_30default_config_static_selectorELNS0_4arch9wavefront6targetE0EEEvT1_,"axG",@progbits,_ZN7rocprim17ROCPRIM_400000_NS6detail17trampoline_kernelINS0_14default_configENS1_27scan_by_key_config_selectorIssEEZZNS1_16scan_by_key_implILNS1_25lookback_scan_determinismE0ELb0ES3_N6thrust23THRUST_200600_302600_NS6detail15normal_iteratorINS9_10device_ptrIsEEEENS9_18transform_iteratorINS9_6negateIsEESE_NS9_11use_defaultESI_EESE_sNS9_4plusIvEENS9_8equal_toIvEEsEE10hipError_tPvRmT2_T3_T4_T5_mT6_T7_P12ihipStream_tbENKUlT_T0_E_clISt17integral_constantIbLb1EES13_IbLb0EEEEDaSZ_S10_EUlSZ_E_NS1_11comp_targetILNS1_3genE2ELNS1_11target_archE906ELNS1_3gpuE6ELNS1_3repE0EEENS1_30default_config_static_selectorELNS0_4arch9wavefront6targetE0EEEvT1_,comdat
	.protected	_ZN7rocprim17ROCPRIM_400000_NS6detail17trampoline_kernelINS0_14default_configENS1_27scan_by_key_config_selectorIssEEZZNS1_16scan_by_key_implILNS1_25lookback_scan_determinismE0ELb0ES3_N6thrust23THRUST_200600_302600_NS6detail15normal_iteratorINS9_10device_ptrIsEEEENS9_18transform_iteratorINS9_6negateIsEESE_NS9_11use_defaultESI_EESE_sNS9_4plusIvEENS9_8equal_toIvEEsEE10hipError_tPvRmT2_T3_T4_T5_mT6_T7_P12ihipStream_tbENKUlT_T0_E_clISt17integral_constantIbLb1EES13_IbLb0EEEEDaSZ_S10_EUlSZ_E_NS1_11comp_targetILNS1_3genE2ELNS1_11target_archE906ELNS1_3gpuE6ELNS1_3repE0EEENS1_30default_config_static_selectorELNS0_4arch9wavefront6targetE0EEEvT1_ ; -- Begin function _ZN7rocprim17ROCPRIM_400000_NS6detail17trampoline_kernelINS0_14default_configENS1_27scan_by_key_config_selectorIssEEZZNS1_16scan_by_key_implILNS1_25lookback_scan_determinismE0ELb0ES3_N6thrust23THRUST_200600_302600_NS6detail15normal_iteratorINS9_10device_ptrIsEEEENS9_18transform_iteratorINS9_6negateIsEESE_NS9_11use_defaultESI_EESE_sNS9_4plusIvEENS9_8equal_toIvEEsEE10hipError_tPvRmT2_T3_T4_T5_mT6_T7_P12ihipStream_tbENKUlT_T0_E_clISt17integral_constantIbLb1EES13_IbLb0EEEEDaSZ_S10_EUlSZ_E_NS1_11comp_targetILNS1_3genE2ELNS1_11target_archE906ELNS1_3gpuE6ELNS1_3repE0EEENS1_30default_config_static_selectorELNS0_4arch9wavefront6targetE0EEEvT1_
	.globl	_ZN7rocprim17ROCPRIM_400000_NS6detail17trampoline_kernelINS0_14default_configENS1_27scan_by_key_config_selectorIssEEZZNS1_16scan_by_key_implILNS1_25lookback_scan_determinismE0ELb0ES3_N6thrust23THRUST_200600_302600_NS6detail15normal_iteratorINS9_10device_ptrIsEEEENS9_18transform_iteratorINS9_6negateIsEESE_NS9_11use_defaultESI_EESE_sNS9_4plusIvEENS9_8equal_toIvEEsEE10hipError_tPvRmT2_T3_T4_T5_mT6_T7_P12ihipStream_tbENKUlT_T0_E_clISt17integral_constantIbLb1EES13_IbLb0EEEEDaSZ_S10_EUlSZ_E_NS1_11comp_targetILNS1_3genE2ELNS1_11target_archE906ELNS1_3gpuE6ELNS1_3repE0EEENS1_30default_config_static_selectorELNS0_4arch9wavefront6targetE0EEEvT1_
	.p2align	8
	.type	_ZN7rocprim17ROCPRIM_400000_NS6detail17trampoline_kernelINS0_14default_configENS1_27scan_by_key_config_selectorIssEEZZNS1_16scan_by_key_implILNS1_25lookback_scan_determinismE0ELb0ES3_N6thrust23THRUST_200600_302600_NS6detail15normal_iteratorINS9_10device_ptrIsEEEENS9_18transform_iteratorINS9_6negateIsEESE_NS9_11use_defaultESI_EESE_sNS9_4plusIvEENS9_8equal_toIvEEsEE10hipError_tPvRmT2_T3_T4_T5_mT6_T7_P12ihipStream_tbENKUlT_T0_E_clISt17integral_constantIbLb1EES13_IbLb0EEEEDaSZ_S10_EUlSZ_E_NS1_11comp_targetILNS1_3genE2ELNS1_11target_archE906ELNS1_3gpuE6ELNS1_3repE0EEENS1_30default_config_static_selectorELNS0_4arch9wavefront6targetE0EEEvT1_,@function
_ZN7rocprim17ROCPRIM_400000_NS6detail17trampoline_kernelINS0_14default_configENS1_27scan_by_key_config_selectorIssEEZZNS1_16scan_by_key_implILNS1_25lookback_scan_determinismE0ELb0ES3_N6thrust23THRUST_200600_302600_NS6detail15normal_iteratorINS9_10device_ptrIsEEEENS9_18transform_iteratorINS9_6negateIsEESE_NS9_11use_defaultESI_EESE_sNS9_4plusIvEENS9_8equal_toIvEEsEE10hipError_tPvRmT2_T3_T4_T5_mT6_T7_P12ihipStream_tbENKUlT_T0_E_clISt17integral_constantIbLb1EES13_IbLb0EEEEDaSZ_S10_EUlSZ_E_NS1_11comp_targetILNS1_3genE2ELNS1_11target_archE906ELNS1_3gpuE6ELNS1_3repE0EEENS1_30default_config_static_selectorELNS0_4arch9wavefront6targetE0EEEvT1_: ; @_ZN7rocprim17ROCPRIM_400000_NS6detail17trampoline_kernelINS0_14default_configENS1_27scan_by_key_config_selectorIssEEZZNS1_16scan_by_key_implILNS1_25lookback_scan_determinismE0ELb0ES3_N6thrust23THRUST_200600_302600_NS6detail15normal_iteratorINS9_10device_ptrIsEEEENS9_18transform_iteratorINS9_6negateIsEESE_NS9_11use_defaultESI_EESE_sNS9_4plusIvEENS9_8equal_toIvEEsEE10hipError_tPvRmT2_T3_T4_T5_mT6_T7_P12ihipStream_tbENKUlT_T0_E_clISt17integral_constantIbLb1EES13_IbLb0EEEEDaSZ_S10_EUlSZ_E_NS1_11comp_targetILNS1_3genE2ELNS1_11target_archE906ELNS1_3gpuE6ELNS1_3repE0EEENS1_30default_config_static_selectorELNS0_4arch9wavefront6targetE0EEEvT1_
; %bb.0:
	.section	.rodata,"a",@progbits
	.p2align	6, 0x0
	.amdhsa_kernel _ZN7rocprim17ROCPRIM_400000_NS6detail17trampoline_kernelINS0_14default_configENS1_27scan_by_key_config_selectorIssEEZZNS1_16scan_by_key_implILNS1_25lookback_scan_determinismE0ELb0ES3_N6thrust23THRUST_200600_302600_NS6detail15normal_iteratorINS9_10device_ptrIsEEEENS9_18transform_iteratorINS9_6negateIsEESE_NS9_11use_defaultESI_EESE_sNS9_4plusIvEENS9_8equal_toIvEEsEE10hipError_tPvRmT2_T3_T4_T5_mT6_T7_P12ihipStream_tbENKUlT_T0_E_clISt17integral_constantIbLb1EES13_IbLb0EEEEDaSZ_S10_EUlSZ_E_NS1_11comp_targetILNS1_3genE2ELNS1_11target_archE906ELNS1_3gpuE6ELNS1_3repE0EEENS1_30default_config_static_selectorELNS0_4arch9wavefront6targetE0EEEvT1_
		.amdhsa_group_segment_fixed_size 0
		.amdhsa_private_segment_fixed_size 0
		.amdhsa_kernarg_size 120
		.amdhsa_user_sgpr_count 6
		.amdhsa_user_sgpr_private_segment_buffer 1
		.amdhsa_user_sgpr_dispatch_ptr 0
		.amdhsa_user_sgpr_queue_ptr 0
		.amdhsa_user_sgpr_kernarg_segment_ptr 1
		.amdhsa_user_sgpr_dispatch_id 0
		.amdhsa_user_sgpr_flat_scratch_init 0
		.amdhsa_user_sgpr_private_segment_size 0
		.amdhsa_wavefront_size32 1
		.amdhsa_uses_dynamic_stack 0
		.amdhsa_system_sgpr_private_segment_wavefront_offset 0
		.amdhsa_system_sgpr_workgroup_id_x 1
		.amdhsa_system_sgpr_workgroup_id_y 0
		.amdhsa_system_sgpr_workgroup_id_z 0
		.amdhsa_system_sgpr_workgroup_info 0
		.amdhsa_system_vgpr_workitem_id 0
		.amdhsa_next_free_vgpr 1
		.amdhsa_next_free_sgpr 1
		.amdhsa_reserve_vcc 0
		.amdhsa_reserve_flat_scratch 0
		.amdhsa_float_round_mode_32 0
		.amdhsa_float_round_mode_16_64 0
		.amdhsa_float_denorm_mode_32 3
		.amdhsa_float_denorm_mode_16_64 3
		.amdhsa_dx10_clamp 1
		.amdhsa_ieee_mode 1
		.amdhsa_fp16_overflow 0
		.amdhsa_workgroup_processor_mode 1
		.amdhsa_memory_ordered 1
		.amdhsa_forward_progress 1
		.amdhsa_shared_vgpr_count 0
		.amdhsa_exception_fp_ieee_invalid_op 0
		.amdhsa_exception_fp_denorm_src 0
		.amdhsa_exception_fp_ieee_div_zero 0
		.amdhsa_exception_fp_ieee_overflow 0
		.amdhsa_exception_fp_ieee_underflow 0
		.amdhsa_exception_fp_ieee_inexact 0
		.amdhsa_exception_int_div_zero 0
	.end_amdhsa_kernel
	.section	.text._ZN7rocprim17ROCPRIM_400000_NS6detail17trampoline_kernelINS0_14default_configENS1_27scan_by_key_config_selectorIssEEZZNS1_16scan_by_key_implILNS1_25lookback_scan_determinismE0ELb0ES3_N6thrust23THRUST_200600_302600_NS6detail15normal_iteratorINS9_10device_ptrIsEEEENS9_18transform_iteratorINS9_6negateIsEESE_NS9_11use_defaultESI_EESE_sNS9_4plusIvEENS9_8equal_toIvEEsEE10hipError_tPvRmT2_T3_T4_T5_mT6_T7_P12ihipStream_tbENKUlT_T0_E_clISt17integral_constantIbLb1EES13_IbLb0EEEEDaSZ_S10_EUlSZ_E_NS1_11comp_targetILNS1_3genE2ELNS1_11target_archE906ELNS1_3gpuE6ELNS1_3repE0EEENS1_30default_config_static_selectorELNS0_4arch9wavefront6targetE0EEEvT1_,"axG",@progbits,_ZN7rocprim17ROCPRIM_400000_NS6detail17trampoline_kernelINS0_14default_configENS1_27scan_by_key_config_selectorIssEEZZNS1_16scan_by_key_implILNS1_25lookback_scan_determinismE0ELb0ES3_N6thrust23THRUST_200600_302600_NS6detail15normal_iteratorINS9_10device_ptrIsEEEENS9_18transform_iteratorINS9_6negateIsEESE_NS9_11use_defaultESI_EESE_sNS9_4plusIvEENS9_8equal_toIvEEsEE10hipError_tPvRmT2_T3_T4_T5_mT6_T7_P12ihipStream_tbENKUlT_T0_E_clISt17integral_constantIbLb1EES13_IbLb0EEEEDaSZ_S10_EUlSZ_E_NS1_11comp_targetILNS1_3genE2ELNS1_11target_archE906ELNS1_3gpuE6ELNS1_3repE0EEENS1_30default_config_static_selectorELNS0_4arch9wavefront6targetE0EEEvT1_,comdat
.Lfunc_end988:
	.size	_ZN7rocprim17ROCPRIM_400000_NS6detail17trampoline_kernelINS0_14default_configENS1_27scan_by_key_config_selectorIssEEZZNS1_16scan_by_key_implILNS1_25lookback_scan_determinismE0ELb0ES3_N6thrust23THRUST_200600_302600_NS6detail15normal_iteratorINS9_10device_ptrIsEEEENS9_18transform_iteratorINS9_6negateIsEESE_NS9_11use_defaultESI_EESE_sNS9_4plusIvEENS9_8equal_toIvEEsEE10hipError_tPvRmT2_T3_T4_T5_mT6_T7_P12ihipStream_tbENKUlT_T0_E_clISt17integral_constantIbLb1EES13_IbLb0EEEEDaSZ_S10_EUlSZ_E_NS1_11comp_targetILNS1_3genE2ELNS1_11target_archE906ELNS1_3gpuE6ELNS1_3repE0EEENS1_30default_config_static_selectorELNS0_4arch9wavefront6targetE0EEEvT1_, .Lfunc_end988-_ZN7rocprim17ROCPRIM_400000_NS6detail17trampoline_kernelINS0_14default_configENS1_27scan_by_key_config_selectorIssEEZZNS1_16scan_by_key_implILNS1_25lookback_scan_determinismE0ELb0ES3_N6thrust23THRUST_200600_302600_NS6detail15normal_iteratorINS9_10device_ptrIsEEEENS9_18transform_iteratorINS9_6negateIsEESE_NS9_11use_defaultESI_EESE_sNS9_4plusIvEENS9_8equal_toIvEEsEE10hipError_tPvRmT2_T3_T4_T5_mT6_T7_P12ihipStream_tbENKUlT_T0_E_clISt17integral_constantIbLb1EES13_IbLb0EEEEDaSZ_S10_EUlSZ_E_NS1_11comp_targetILNS1_3genE2ELNS1_11target_archE906ELNS1_3gpuE6ELNS1_3repE0EEENS1_30default_config_static_selectorELNS0_4arch9wavefront6targetE0EEEvT1_
                                        ; -- End function
	.set _ZN7rocprim17ROCPRIM_400000_NS6detail17trampoline_kernelINS0_14default_configENS1_27scan_by_key_config_selectorIssEEZZNS1_16scan_by_key_implILNS1_25lookback_scan_determinismE0ELb0ES3_N6thrust23THRUST_200600_302600_NS6detail15normal_iteratorINS9_10device_ptrIsEEEENS9_18transform_iteratorINS9_6negateIsEESE_NS9_11use_defaultESI_EESE_sNS9_4plusIvEENS9_8equal_toIvEEsEE10hipError_tPvRmT2_T3_T4_T5_mT6_T7_P12ihipStream_tbENKUlT_T0_E_clISt17integral_constantIbLb1EES13_IbLb0EEEEDaSZ_S10_EUlSZ_E_NS1_11comp_targetILNS1_3genE2ELNS1_11target_archE906ELNS1_3gpuE6ELNS1_3repE0EEENS1_30default_config_static_selectorELNS0_4arch9wavefront6targetE0EEEvT1_.num_vgpr, 0
	.set _ZN7rocprim17ROCPRIM_400000_NS6detail17trampoline_kernelINS0_14default_configENS1_27scan_by_key_config_selectorIssEEZZNS1_16scan_by_key_implILNS1_25lookback_scan_determinismE0ELb0ES3_N6thrust23THRUST_200600_302600_NS6detail15normal_iteratorINS9_10device_ptrIsEEEENS9_18transform_iteratorINS9_6negateIsEESE_NS9_11use_defaultESI_EESE_sNS9_4plusIvEENS9_8equal_toIvEEsEE10hipError_tPvRmT2_T3_T4_T5_mT6_T7_P12ihipStream_tbENKUlT_T0_E_clISt17integral_constantIbLb1EES13_IbLb0EEEEDaSZ_S10_EUlSZ_E_NS1_11comp_targetILNS1_3genE2ELNS1_11target_archE906ELNS1_3gpuE6ELNS1_3repE0EEENS1_30default_config_static_selectorELNS0_4arch9wavefront6targetE0EEEvT1_.num_agpr, 0
	.set _ZN7rocprim17ROCPRIM_400000_NS6detail17trampoline_kernelINS0_14default_configENS1_27scan_by_key_config_selectorIssEEZZNS1_16scan_by_key_implILNS1_25lookback_scan_determinismE0ELb0ES3_N6thrust23THRUST_200600_302600_NS6detail15normal_iteratorINS9_10device_ptrIsEEEENS9_18transform_iteratorINS9_6negateIsEESE_NS9_11use_defaultESI_EESE_sNS9_4plusIvEENS9_8equal_toIvEEsEE10hipError_tPvRmT2_T3_T4_T5_mT6_T7_P12ihipStream_tbENKUlT_T0_E_clISt17integral_constantIbLb1EES13_IbLb0EEEEDaSZ_S10_EUlSZ_E_NS1_11comp_targetILNS1_3genE2ELNS1_11target_archE906ELNS1_3gpuE6ELNS1_3repE0EEENS1_30default_config_static_selectorELNS0_4arch9wavefront6targetE0EEEvT1_.numbered_sgpr, 0
	.set _ZN7rocprim17ROCPRIM_400000_NS6detail17trampoline_kernelINS0_14default_configENS1_27scan_by_key_config_selectorIssEEZZNS1_16scan_by_key_implILNS1_25lookback_scan_determinismE0ELb0ES3_N6thrust23THRUST_200600_302600_NS6detail15normal_iteratorINS9_10device_ptrIsEEEENS9_18transform_iteratorINS9_6negateIsEESE_NS9_11use_defaultESI_EESE_sNS9_4plusIvEENS9_8equal_toIvEEsEE10hipError_tPvRmT2_T3_T4_T5_mT6_T7_P12ihipStream_tbENKUlT_T0_E_clISt17integral_constantIbLb1EES13_IbLb0EEEEDaSZ_S10_EUlSZ_E_NS1_11comp_targetILNS1_3genE2ELNS1_11target_archE906ELNS1_3gpuE6ELNS1_3repE0EEENS1_30default_config_static_selectorELNS0_4arch9wavefront6targetE0EEEvT1_.num_named_barrier, 0
	.set _ZN7rocprim17ROCPRIM_400000_NS6detail17trampoline_kernelINS0_14default_configENS1_27scan_by_key_config_selectorIssEEZZNS1_16scan_by_key_implILNS1_25lookback_scan_determinismE0ELb0ES3_N6thrust23THRUST_200600_302600_NS6detail15normal_iteratorINS9_10device_ptrIsEEEENS9_18transform_iteratorINS9_6negateIsEESE_NS9_11use_defaultESI_EESE_sNS9_4plusIvEENS9_8equal_toIvEEsEE10hipError_tPvRmT2_T3_T4_T5_mT6_T7_P12ihipStream_tbENKUlT_T0_E_clISt17integral_constantIbLb1EES13_IbLb0EEEEDaSZ_S10_EUlSZ_E_NS1_11comp_targetILNS1_3genE2ELNS1_11target_archE906ELNS1_3gpuE6ELNS1_3repE0EEENS1_30default_config_static_selectorELNS0_4arch9wavefront6targetE0EEEvT1_.private_seg_size, 0
	.set _ZN7rocprim17ROCPRIM_400000_NS6detail17trampoline_kernelINS0_14default_configENS1_27scan_by_key_config_selectorIssEEZZNS1_16scan_by_key_implILNS1_25lookback_scan_determinismE0ELb0ES3_N6thrust23THRUST_200600_302600_NS6detail15normal_iteratorINS9_10device_ptrIsEEEENS9_18transform_iteratorINS9_6negateIsEESE_NS9_11use_defaultESI_EESE_sNS9_4plusIvEENS9_8equal_toIvEEsEE10hipError_tPvRmT2_T3_T4_T5_mT6_T7_P12ihipStream_tbENKUlT_T0_E_clISt17integral_constantIbLb1EES13_IbLb0EEEEDaSZ_S10_EUlSZ_E_NS1_11comp_targetILNS1_3genE2ELNS1_11target_archE906ELNS1_3gpuE6ELNS1_3repE0EEENS1_30default_config_static_selectorELNS0_4arch9wavefront6targetE0EEEvT1_.uses_vcc, 0
	.set _ZN7rocprim17ROCPRIM_400000_NS6detail17trampoline_kernelINS0_14default_configENS1_27scan_by_key_config_selectorIssEEZZNS1_16scan_by_key_implILNS1_25lookback_scan_determinismE0ELb0ES3_N6thrust23THRUST_200600_302600_NS6detail15normal_iteratorINS9_10device_ptrIsEEEENS9_18transform_iteratorINS9_6negateIsEESE_NS9_11use_defaultESI_EESE_sNS9_4plusIvEENS9_8equal_toIvEEsEE10hipError_tPvRmT2_T3_T4_T5_mT6_T7_P12ihipStream_tbENKUlT_T0_E_clISt17integral_constantIbLb1EES13_IbLb0EEEEDaSZ_S10_EUlSZ_E_NS1_11comp_targetILNS1_3genE2ELNS1_11target_archE906ELNS1_3gpuE6ELNS1_3repE0EEENS1_30default_config_static_selectorELNS0_4arch9wavefront6targetE0EEEvT1_.uses_flat_scratch, 0
	.set _ZN7rocprim17ROCPRIM_400000_NS6detail17trampoline_kernelINS0_14default_configENS1_27scan_by_key_config_selectorIssEEZZNS1_16scan_by_key_implILNS1_25lookback_scan_determinismE0ELb0ES3_N6thrust23THRUST_200600_302600_NS6detail15normal_iteratorINS9_10device_ptrIsEEEENS9_18transform_iteratorINS9_6negateIsEESE_NS9_11use_defaultESI_EESE_sNS9_4plusIvEENS9_8equal_toIvEEsEE10hipError_tPvRmT2_T3_T4_T5_mT6_T7_P12ihipStream_tbENKUlT_T0_E_clISt17integral_constantIbLb1EES13_IbLb0EEEEDaSZ_S10_EUlSZ_E_NS1_11comp_targetILNS1_3genE2ELNS1_11target_archE906ELNS1_3gpuE6ELNS1_3repE0EEENS1_30default_config_static_selectorELNS0_4arch9wavefront6targetE0EEEvT1_.has_dyn_sized_stack, 0
	.set _ZN7rocprim17ROCPRIM_400000_NS6detail17trampoline_kernelINS0_14default_configENS1_27scan_by_key_config_selectorIssEEZZNS1_16scan_by_key_implILNS1_25lookback_scan_determinismE0ELb0ES3_N6thrust23THRUST_200600_302600_NS6detail15normal_iteratorINS9_10device_ptrIsEEEENS9_18transform_iteratorINS9_6negateIsEESE_NS9_11use_defaultESI_EESE_sNS9_4plusIvEENS9_8equal_toIvEEsEE10hipError_tPvRmT2_T3_T4_T5_mT6_T7_P12ihipStream_tbENKUlT_T0_E_clISt17integral_constantIbLb1EES13_IbLb0EEEEDaSZ_S10_EUlSZ_E_NS1_11comp_targetILNS1_3genE2ELNS1_11target_archE906ELNS1_3gpuE6ELNS1_3repE0EEENS1_30default_config_static_selectorELNS0_4arch9wavefront6targetE0EEEvT1_.has_recursion, 0
	.set _ZN7rocprim17ROCPRIM_400000_NS6detail17trampoline_kernelINS0_14default_configENS1_27scan_by_key_config_selectorIssEEZZNS1_16scan_by_key_implILNS1_25lookback_scan_determinismE0ELb0ES3_N6thrust23THRUST_200600_302600_NS6detail15normal_iteratorINS9_10device_ptrIsEEEENS9_18transform_iteratorINS9_6negateIsEESE_NS9_11use_defaultESI_EESE_sNS9_4plusIvEENS9_8equal_toIvEEsEE10hipError_tPvRmT2_T3_T4_T5_mT6_T7_P12ihipStream_tbENKUlT_T0_E_clISt17integral_constantIbLb1EES13_IbLb0EEEEDaSZ_S10_EUlSZ_E_NS1_11comp_targetILNS1_3genE2ELNS1_11target_archE906ELNS1_3gpuE6ELNS1_3repE0EEENS1_30default_config_static_selectorELNS0_4arch9wavefront6targetE0EEEvT1_.has_indirect_call, 0
	.section	.AMDGPU.csdata,"",@progbits
; Kernel info:
; codeLenInByte = 0
; TotalNumSgprs: 0
; NumVgprs: 0
; ScratchSize: 0
; MemoryBound: 0
; FloatMode: 240
; IeeeMode: 1
; LDSByteSize: 0 bytes/workgroup (compile time only)
; SGPRBlocks: 0
; VGPRBlocks: 0
; NumSGPRsForWavesPerEU: 1
; NumVGPRsForWavesPerEU: 1
; Occupancy: 16
; WaveLimiterHint : 0
; COMPUTE_PGM_RSRC2:SCRATCH_EN: 0
; COMPUTE_PGM_RSRC2:USER_SGPR: 6
; COMPUTE_PGM_RSRC2:TRAP_HANDLER: 0
; COMPUTE_PGM_RSRC2:TGID_X_EN: 1
; COMPUTE_PGM_RSRC2:TGID_Y_EN: 0
; COMPUTE_PGM_RSRC2:TGID_Z_EN: 0
; COMPUTE_PGM_RSRC2:TIDIG_COMP_CNT: 0
	.section	.text._ZN7rocprim17ROCPRIM_400000_NS6detail17trampoline_kernelINS0_14default_configENS1_27scan_by_key_config_selectorIssEEZZNS1_16scan_by_key_implILNS1_25lookback_scan_determinismE0ELb0ES3_N6thrust23THRUST_200600_302600_NS6detail15normal_iteratorINS9_10device_ptrIsEEEENS9_18transform_iteratorINS9_6negateIsEESE_NS9_11use_defaultESI_EESE_sNS9_4plusIvEENS9_8equal_toIvEEsEE10hipError_tPvRmT2_T3_T4_T5_mT6_T7_P12ihipStream_tbENKUlT_T0_E_clISt17integral_constantIbLb1EES13_IbLb0EEEEDaSZ_S10_EUlSZ_E_NS1_11comp_targetILNS1_3genE10ELNS1_11target_archE1200ELNS1_3gpuE4ELNS1_3repE0EEENS1_30default_config_static_selectorELNS0_4arch9wavefront6targetE0EEEvT1_,"axG",@progbits,_ZN7rocprim17ROCPRIM_400000_NS6detail17trampoline_kernelINS0_14default_configENS1_27scan_by_key_config_selectorIssEEZZNS1_16scan_by_key_implILNS1_25lookback_scan_determinismE0ELb0ES3_N6thrust23THRUST_200600_302600_NS6detail15normal_iteratorINS9_10device_ptrIsEEEENS9_18transform_iteratorINS9_6negateIsEESE_NS9_11use_defaultESI_EESE_sNS9_4plusIvEENS9_8equal_toIvEEsEE10hipError_tPvRmT2_T3_T4_T5_mT6_T7_P12ihipStream_tbENKUlT_T0_E_clISt17integral_constantIbLb1EES13_IbLb0EEEEDaSZ_S10_EUlSZ_E_NS1_11comp_targetILNS1_3genE10ELNS1_11target_archE1200ELNS1_3gpuE4ELNS1_3repE0EEENS1_30default_config_static_selectorELNS0_4arch9wavefront6targetE0EEEvT1_,comdat
	.protected	_ZN7rocprim17ROCPRIM_400000_NS6detail17trampoline_kernelINS0_14default_configENS1_27scan_by_key_config_selectorIssEEZZNS1_16scan_by_key_implILNS1_25lookback_scan_determinismE0ELb0ES3_N6thrust23THRUST_200600_302600_NS6detail15normal_iteratorINS9_10device_ptrIsEEEENS9_18transform_iteratorINS9_6negateIsEESE_NS9_11use_defaultESI_EESE_sNS9_4plusIvEENS9_8equal_toIvEEsEE10hipError_tPvRmT2_T3_T4_T5_mT6_T7_P12ihipStream_tbENKUlT_T0_E_clISt17integral_constantIbLb1EES13_IbLb0EEEEDaSZ_S10_EUlSZ_E_NS1_11comp_targetILNS1_3genE10ELNS1_11target_archE1200ELNS1_3gpuE4ELNS1_3repE0EEENS1_30default_config_static_selectorELNS0_4arch9wavefront6targetE0EEEvT1_ ; -- Begin function _ZN7rocprim17ROCPRIM_400000_NS6detail17trampoline_kernelINS0_14default_configENS1_27scan_by_key_config_selectorIssEEZZNS1_16scan_by_key_implILNS1_25lookback_scan_determinismE0ELb0ES3_N6thrust23THRUST_200600_302600_NS6detail15normal_iteratorINS9_10device_ptrIsEEEENS9_18transform_iteratorINS9_6negateIsEESE_NS9_11use_defaultESI_EESE_sNS9_4plusIvEENS9_8equal_toIvEEsEE10hipError_tPvRmT2_T3_T4_T5_mT6_T7_P12ihipStream_tbENKUlT_T0_E_clISt17integral_constantIbLb1EES13_IbLb0EEEEDaSZ_S10_EUlSZ_E_NS1_11comp_targetILNS1_3genE10ELNS1_11target_archE1200ELNS1_3gpuE4ELNS1_3repE0EEENS1_30default_config_static_selectorELNS0_4arch9wavefront6targetE0EEEvT1_
	.globl	_ZN7rocprim17ROCPRIM_400000_NS6detail17trampoline_kernelINS0_14default_configENS1_27scan_by_key_config_selectorIssEEZZNS1_16scan_by_key_implILNS1_25lookback_scan_determinismE0ELb0ES3_N6thrust23THRUST_200600_302600_NS6detail15normal_iteratorINS9_10device_ptrIsEEEENS9_18transform_iteratorINS9_6negateIsEESE_NS9_11use_defaultESI_EESE_sNS9_4plusIvEENS9_8equal_toIvEEsEE10hipError_tPvRmT2_T3_T4_T5_mT6_T7_P12ihipStream_tbENKUlT_T0_E_clISt17integral_constantIbLb1EES13_IbLb0EEEEDaSZ_S10_EUlSZ_E_NS1_11comp_targetILNS1_3genE10ELNS1_11target_archE1200ELNS1_3gpuE4ELNS1_3repE0EEENS1_30default_config_static_selectorELNS0_4arch9wavefront6targetE0EEEvT1_
	.p2align	8
	.type	_ZN7rocprim17ROCPRIM_400000_NS6detail17trampoline_kernelINS0_14default_configENS1_27scan_by_key_config_selectorIssEEZZNS1_16scan_by_key_implILNS1_25lookback_scan_determinismE0ELb0ES3_N6thrust23THRUST_200600_302600_NS6detail15normal_iteratorINS9_10device_ptrIsEEEENS9_18transform_iteratorINS9_6negateIsEESE_NS9_11use_defaultESI_EESE_sNS9_4plusIvEENS9_8equal_toIvEEsEE10hipError_tPvRmT2_T3_T4_T5_mT6_T7_P12ihipStream_tbENKUlT_T0_E_clISt17integral_constantIbLb1EES13_IbLb0EEEEDaSZ_S10_EUlSZ_E_NS1_11comp_targetILNS1_3genE10ELNS1_11target_archE1200ELNS1_3gpuE4ELNS1_3repE0EEENS1_30default_config_static_selectorELNS0_4arch9wavefront6targetE0EEEvT1_,@function
_ZN7rocprim17ROCPRIM_400000_NS6detail17trampoline_kernelINS0_14default_configENS1_27scan_by_key_config_selectorIssEEZZNS1_16scan_by_key_implILNS1_25lookback_scan_determinismE0ELb0ES3_N6thrust23THRUST_200600_302600_NS6detail15normal_iteratorINS9_10device_ptrIsEEEENS9_18transform_iteratorINS9_6negateIsEESE_NS9_11use_defaultESI_EESE_sNS9_4plusIvEENS9_8equal_toIvEEsEE10hipError_tPvRmT2_T3_T4_T5_mT6_T7_P12ihipStream_tbENKUlT_T0_E_clISt17integral_constantIbLb1EES13_IbLb0EEEEDaSZ_S10_EUlSZ_E_NS1_11comp_targetILNS1_3genE10ELNS1_11target_archE1200ELNS1_3gpuE4ELNS1_3repE0EEENS1_30default_config_static_selectorELNS0_4arch9wavefront6targetE0EEEvT1_: ; @_ZN7rocprim17ROCPRIM_400000_NS6detail17trampoline_kernelINS0_14default_configENS1_27scan_by_key_config_selectorIssEEZZNS1_16scan_by_key_implILNS1_25lookback_scan_determinismE0ELb0ES3_N6thrust23THRUST_200600_302600_NS6detail15normal_iteratorINS9_10device_ptrIsEEEENS9_18transform_iteratorINS9_6negateIsEESE_NS9_11use_defaultESI_EESE_sNS9_4plusIvEENS9_8equal_toIvEEsEE10hipError_tPvRmT2_T3_T4_T5_mT6_T7_P12ihipStream_tbENKUlT_T0_E_clISt17integral_constantIbLb1EES13_IbLb0EEEEDaSZ_S10_EUlSZ_E_NS1_11comp_targetILNS1_3genE10ELNS1_11target_archE1200ELNS1_3gpuE4ELNS1_3repE0EEENS1_30default_config_static_selectorELNS0_4arch9wavefront6targetE0EEEvT1_
; %bb.0:
	.section	.rodata,"a",@progbits
	.p2align	6, 0x0
	.amdhsa_kernel _ZN7rocprim17ROCPRIM_400000_NS6detail17trampoline_kernelINS0_14default_configENS1_27scan_by_key_config_selectorIssEEZZNS1_16scan_by_key_implILNS1_25lookback_scan_determinismE0ELb0ES3_N6thrust23THRUST_200600_302600_NS6detail15normal_iteratorINS9_10device_ptrIsEEEENS9_18transform_iteratorINS9_6negateIsEESE_NS9_11use_defaultESI_EESE_sNS9_4plusIvEENS9_8equal_toIvEEsEE10hipError_tPvRmT2_T3_T4_T5_mT6_T7_P12ihipStream_tbENKUlT_T0_E_clISt17integral_constantIbLb1EES13_IbLb0EEEEDaSZ_S10_EUlSZ_E_NS1_11comp_targetILNS1_3genE10ELNS1_11target_archE1200ELNS1_3gpuE4ELNS1_3repE0EEENS1_30default_config_static_selectorELNS0_4arch9wavefront6targetE0EEEvT1_
		.amdhsa_group_segment_fixed_size 0
		.amdhsa_private_segment_fixed_size 0
		.amdhsa_kernarg_size 120
		.amdhsa_user_sgpr_count 6
		.amdhsa_user_sgpr_private_segment_buffer 1
		.amdhsa_user_sgpr_dispatch_ptr 0
		.amdhsa_user_sgpr_queue_ptr 0
		.amdhsa_user_sgpr_kernarg_segment_ptr 1
		.amdhsa_user_sgpr_dispatch_id 0
		.amdhsa_user_sgpr_flat_scratch_init 0
		.amdhsa_user_sgpr_private_segment_size 0
		.amdhsa_wavefront_size32 1
		.amdhsa_uses_dynamic_stack 0
		.amdhsa_system_sgpr_private_segment_wavefront_offset 0
		.amdhsa_system_sgpr_workgroup_id_x 1
		.amdhsa_system_sgpr_workgroup_id_y 0
		.amdhsa_system_sgpr_workgroup_id_z 0
		.amdhsa_system_sgpr_workgroup_info 0
		.amdhsa_system_vgpr_workitem_id 0
		.amdhsa_next_free_vgpr 1
		.amdhsa_next_free_sgpr 1
		.amdhsa_reserve_vcc 0
		.amdhsa_reserve_flat_scratch 0
		.amdhsa_float_round_mode_32 0
		.amdhsa_float_round_mode_16_64 0
		.amdhsa_float_denorm_mode_32 3
		.amdhsa_float_denorm_mode_16_64 3
		.amdhsa_dx10_clamp 1
		.amdhsa_ieee_mode 1
		.amdhsa_fp16_overflow 0
		.amdhsa_workgroup_processor_mode 1
		.amdhsa_memory_ordered 1
		.amdhsa_forward_progress 1
		.amdhsa_shared_vgpr_count 0
		.amdhsa_exception_fp_ieee_invalid_op 0
		.amdhsa_exception_fp_denorm_src 0
		.amdhsa_exception_fp_ieee_div_zero 0
		.amdhsa_exception_fp_ieee_overflow 0
		.amdhsa_exception_fp_ieee_underflow 0
		.amdhsa_exception_fp_ieee_inexact 0
		.amdhsa_exception_int_div_zero 0
	.end_amdhsa_kernel
	.section	.text._ZN7rocprim17ROCPRIM_400000_NS6detail17trampoline_kernelINS0_14default_configENS1_27scan_by_key_config_selectorIssEEZZNS1_16scan_by_key_implILNS1_25lookback_scan_determinismE0ELb0ES3_N6thrust23THRUST_200600_302600_NS6detail15normal_iteratorINS9_10device_ptrIsEEEENS9_18transform_iteratorINS9_6negateIsEESE_NS9_11use_defaultESI_EESE_sNS9_4plusIvEENS9_8equal_toIvEEsEE10hipError_tPvRmT2_T3_T4_T5_mT6_T7_P12ihipStream_tbENKUlT_T0_E_clISt17integral_constantIbLb1EES13_IbLb0EEEEDaSZ_S10_EUlSZ_E_NS1_11comp_targetILNS1_3genE10ELNS1_11target_archE1200ELNS1_3gpuE4ELNS1_3repE0EEENS1_30default_config_static_selectorELNS0_4arch9wavefront6targetE0EEEvT1_,"axG",@progbits,_ZN7rocprim17ROCPRIM_400000_NS6detail17trampoline_kernelINS0_14default_configENS1_27scan_by_key_config_selectorIssEEZZNS1_16scan_by_key_implILNS1_25lookback_scan_determinismE0ELb0ES3_N6thrust23THRUST_200600_302600_NS6detail15normal_iteratorINS9_10device_ptrIsEEEENS9_18transform_iteratorINS9_6negateIsEESE_NS9_11use_defaultESI_EESE_sNS9_4plusIvEENS9_8equal_toIvEEsEE10hipError_tPvRmT2_T3_T4_T5_mT6_T7_P12ihipStream_tbENKUlT_T0_E_clISt17integral_constantIbLb1EES13_IbLb0EEEEDaSZ_S10_EUlSZ_E_NS1_11comp_targetILNS1_3genE10ELNS1_11target_archE1200ELNS1_3gpuE4ELNS1_3repE0EEENS1_30default_config_static_selectorELNS0_4arch9wavefront6targetE0EEEvT1_,comdat
.Lfunc_end989:
	.size	_ZN7rocprim17ROCPRIM_400000_NS6detail17trampoline_kernelINS0_14default_configENS1_27scan_by_key_config_selectorIssEEZZNS1_16scan_by_key_implILNS1_25lookback_scan_determinismE0ELb0ES3_N6thrust23THRUST_200600_302600_NS6detail15normal_iteratorINS9_10device_ptrIsEEEENS9_18transform_iteratorINS9_6negateIsEESE_NS9_11use_defaultESI_EESE_sNS9_4plusIvEENS9_8equal_toIvEEsEE10hipError_tPvRmT2_T3_T4_T5_mT6_T7_P12ihipStream_tbENKUlT_T0_E_clISt17integral_constantIbLb1EES13_IbLb0EEEEDaSZ_S10_EUlSZ_E_NS1_11comp_targetILNS1_3genE10ELNS1_11target_archE1200ELNS1_3gpuE4ELNS1_3repE0EEENS1_30default_config_static_selectorELNS0_4arch9wavefront6targetE0EEEvT1_, .Lfunc_end989-_ZN7rocprim17ROCPRIM_400000_NS6detail17trampoline_kernelINS0_14default_configENS1_27scan_by_key_config_selectorIssEEZZNS1_16scan_by_key_implILNS1_25lookback_scan_determinismE0ELb0ES3_N6thrust23THRUST_200600_302600_NS6detail15normal_iteratorINS9_10device_ptrIsEEEENS9_18transform_iteratorINS9_6negateIsEESE_NS9_11use_defaultESI_EESE_sNS9_4plusIvEENS9_8equal_toIvEEsEE10hipError_tPvRmT2_T3_T4_T5_mT6_T7_P12ihipStream_tbENKUlT_T0_E_clISt17integral_constantIbLb1EES13_IbLb0EEEEDaSZ_S10_EUlSZ_E_NS1_11comp_targetILNS1_3genE10ELNS1_11target_archE1200ELNS1_3gpuE4ELNS1_3repE0EEENS1_30default_config_static_selectorELNS0_4arch9wavefront6targetE0EEEvT1_
                                        ; -- End function
	.set _ZN7rocprim17ROCPRIM_400000_NS6detail17trampoline_kernelINS0_14default_configENS1_27scan_by_key_config_selectorIssEEZZNS1_16scan_by_key_implILNS1_25lookback_scan_determinismE0ELb0ES3_N6thrust23THRUST_200600_302600_NS6detail15normal_iteratorINS9_10device_ptrIsEEEENS9_18transform_iteratorINS9_6negateIsEESE_NS9_11use_defaultESI_EESE_sNS9_4plusIvEENS9_8equal_toIvEEsEE10hipError_tPvRmT2_T3_T4_T5_mT6_T7_P12ihipStream_tbENKUlT_T0_E_clISt17integral_constantIbLb1EES13_IbLb0EEEEDaSZ_S10_EUlSZ_E_NS1_11comp_targetILNS1_3genE10ELNS1_11target_archE1200ELNS1_3gpuE4ELNS1_3repE0EEENS1_30default_config_static_selectorELNS0_4arch9wavefront6targetE0EEEvT1_.num_vgpr, 0
	.set _ZN7rocprim17ROCPRIM_400000_NS6detail17trampoline_kernelINS0_14default_configENS1_27scan_by_key_config_selectorIssEEZZNS1_16scan_by_key_implILNS1_25lookback_scan_determinismE0ELb0ES3_N6thrust23THRUST_200600_302600_NS6detail15normal_iteratorINS9_10device_ptrIsEEEENS9_18transform_iteratorINS9_6negateIsEESE_NS9_11use_defaultESI_EESE_sNS9_4plusIvEENS9_8equal_toIvEEsEE10hipError_tPvRmT2_T3_T4_T5_mT6_T7_P12ihipStream_tbENKUlT_T0_E_clISt17integral_constantIbLb1EES13_IbLb0EEEEDaSZ_S10_EUlSZ_E_NS1_11comp_targetILNS1_3genE10ELNS1_11target_archE1200ELNS1_3gpuE4ELNS1_3repE0EEENS1_30default_config_static_selectorELNS0_4arch9wavefront6targetE0EEEvT1_.num_agpr, 0
	.set _ZN7rocprim17ROCPRIM_400000_NS6detail17trampoline_kernelINS0_14default_configENS1_27scan_by_key_config_selectorIssEEZZNS1_16scan_by_key_implILNS1_25lookback_scan_determinismE0ELb0ES3_N6thrust23THRUST_200600_302600_NS6detail15normal_iteratorINS9_10device_ptrIsEEEENS9_18transform_iteratorINS9_6negateIsEESE_NS9_11use_defaultESI_EESE_sNS9_4plusIvEENS9_8equal_toIvEEsEE10hipError_tPvRmT2_T3_T4_T5_mT6_T7_P12ihipStream_tbENKUlT_T0_E_clISt17integral_constantIbLb1EES13_IbLb0EEEEDaSZ_S10_EUlSZ_E_NS1_11comp_targetILNS1_3genE10ELNS1_11target_archE1200ELNS1_3gpuE4ELNS1_3repE0EEENS1_30default_config_static_selectorELNS0_4arch9wavefront6targetE0EEEvT1_.numbered_sgpr, 0
	.set _ZN7rocprim17ROCPRIM_400000_NS6detail17trampoline_kernelINS0_14default_configENS1_27scan_by_key_config_selectorIssEEZZNS1_16scan_by_key_implILNS1_25lookback_scan_determinismE0ELb0ES3_N6thrust23THRUST_200600_302600_NS6detail15normal_iteratorINS9_10device_ptrIsEEEENS9_18transform_iteratorINS9_6negateIsEESE_NS9_11use_defaultESI_EESE_sNS9_4plusIvEENS9_8equal_toIvEEsEE10hipError_tPvRmT2_T3_T4_T5_mT6_T7_P12ihipStream_tbENKUlT_T0_E_clISt17integral_constantIbLb1EES13_IbLb0EEEEDaSZ_S10_EUlSZ_E_NS1_11comp_targetILNS1_3genE10ELNS1_11target_archE1200ELNS1_3gpuE4ELNS1_3repE0EEENS1_30default_config_static_selectorELNS0_4arch9wavefront6targetE0EEEvT1_.num_named_barrier, 0
	.set _ZN7rocprim17ROCPRIM_400000_NS6detail17trampoline_kernelINS0_14default_configENS1_27scan_by_key_config_selectorIssEEZZNS1_16scan_by_key_implILNS1_25lookback_scan_determinismE0ELb0ES3_N6thrust23THRUST_200600_302600_NS6detail15normal_iteratorINS9_10device_ptrIsEEEENS9_18transform_iteratorINS9_6negateIsEESE_NS9_11use_defaultESI_EESE_sNS9_4plusIvEENS9_8equal_toIvEEsEE10hipError_tPvRmT2_T3_T4_T5_mT6_T7_P12ihipStream_tbENKUlT_T0_E_clISt17integral_constantIbLb1EES13_IbLb0EEEEDaSZ_S10_EUlSZ_E_NS1_11comp_targetILNS1_3genE10ELNS1_11target_archE1200ELNS1_3gpuE4ELNS1_3repE0EEENS1_30default_config_static_selectorELNS0_4arch9wavefront6targetE0EEEvT1_.private_seg_size, 0
	.set _ZN7rocprim17ROCPRIM_400000_NS6detail17trampoline_kernelINS0_14default_configENS1_27scan_by_key_config_selectorIssEEZZNS1_16scan_by_key_implILNS1_25lookback_scan_determinismE0ELb0ES3_N6thrust23THRUST_200600_302600_NS6detail15normal_iteratorINS9_10device_ptrIsEEEENS9_18transform_iteratorINS9_6negateIsEESE_NS9_11use_defaultESI_EESE_sNS9_4plusIvEENS9_8equal_toIvEEsEE10hipError_tPvRmT2_T3_T4_T5_mT6_T7_P12ihipStream_tbENKUlT_T0_E_clISt17integral_constantIbLb1EES13_IbLb0EEEEDaSZ_S10_EUlSZ_E_NS1_11comp_targetILNS1_3genE10ELNS1_11target_archE1200ELNS1_3gpuE4ELNS1_3repE0EEENS1_30default_config_static_selectorELNS0_4arch9wavefront6targetE0EEEvT1_.uses_vcc, 0
	.set _ZN7rocprim17ROCPRIM_400000_NS6detail17trampoline_kernelINS0_14default_configENS1_27scan_by_key_config_selectorIssEEZZNS1_16scan_by_key_implILNS1_25lookback_scan_determinismE0ELb0ES3_N6thrust23THRUST_200600_302600_NS6detail15normal_iteratorINS9_10device_ptrIsEEEENS9_18transform_iteratorINS9_6negateIsEESE_NS9_11use_defaultESI_EESE_sNS9_4plusIvEENS9_8equal_toIvEEsEE10hipError_tPvRmT2_T3_T4_T5_mT6_T7_P12ihipStream_tbENKUlT_T0_E_clISt17integral_constantIbLb1EES13_IbLb0EEEEDaSZ_S10_EUlSZ_E_NS1_11comp_targetILNS1_3genE10ELNS1_11target_archE1200ELNS1_3gpuE4ELNS1_3repE0EEENS1_30default_config_static_selectorELNS0_4arch9wavefront6targetE0EEEvT1_.uses_flat_scratch, 0
	.set _ZN7rocprim17ROCPRIM_400000_NS6detail17trampoline_kernelINS0_14default_configENS1_27scan_by_key_config_selectorIssEEZZNS1_16scan_by_key_implILNS1_25lookback_scan_determinismE0ELb0ES3_N6thrust23THRUST_200600_302600_NS6detail15normal_iteratorINS9_10device_ptrIsEEEENS9_18transform_iteratorINS9_6negateIsEESE_NS9_11use_defaultESI_EESE_sNS9_4plusIvEENS9_8equal_toIvEEsEE10hipError_tPvRmT2_T3_T4_T5_mT6_T7_P12ihipStream_tbENKUlT_T0_E_clISt17integral_constantIbLb1EES13_IbLb0EEEEDaSZ_S10_EUlSZ_E_NS1_11comp_targetILNS1_3genE10ELNS1_11target_archE1200ELNS1_3gpuE4ELNS1_3repE0EEENS1_30default_config_static_selectorELNS0_4arch9wavefront6targetE0EEEvT1_.has_dyn_sized_stack, 0
	.set _ZN7rocprim17ROCPRIM_400000_NS6detail17trampoline_kernelINS0_14default_configENS1_27scan_by_key_config_selectorIssEEZZNS1_16scan_by_key_implILNS1_25lookback_scan_determinismE0ELb0ES3_N6thrust23THRUST_200600_302600_NS6detail15normal_iteratorINS9_10device_ptrIsEEEENS9_18transform_iteratorINS9_6negateIsEESE_NS9_11use_defaultESI_EESE_sNS9_4plusIvEENS9_8equal_toIvEEsEE10hipError_tPvRmT2_T3_T4_T5_mT6_T7_P12ihipStream_tbENKUlT_T0_E_clISt17integral_constantIbLb1EES13_IbLb0EEEEDaSZ_S10_EUlSZ_E_NS1_11comp_targetILNS1_3genE10ELNS1_11target_archE1200ELNS1_3gpuE4ELNS1_3repE0EEENS1_30default_config_static_selectorELNS0_4arch9wavefront6targetE0EEEvT1_.has_recursion, 0
	.set _ZN7rocprim17ROCPRIM_400000_NS6detail17trampoline_kernelINS0_14default_configENS1_27scan_by_key_config_selectorIssEEZZNS1_16scan_by_key_implILNS1_25lookback_scan_determinismE0ELb0ES3_N6thrust23THRUST_200600_302600_NS6detail15normal_iteratorINS9_10device_ptrIsEEEENS9_18transform_iteratorINS9_6negateIsEESE_NS9_11use_defaultESI_EESE_sNS9_4plusIvEENS9_8equal_toIvEEsEE10hipError_tPvRmT2_T3_T4_T5_mT6_T7_P12ihipStream_tbENKUlT_T0_E_clISt17integral_constantIbLb1EES13_IbLb0EEEEDaSZ_S10_EUlSZ_E_NS1_11comp_targetILNS1_3genE10ELNS1_11target_archE1200ELNS1_3gpuE4ELNS1_3repE0EEENS1_30default_config_static_selectorELNS0_4arch9wavefront6targetE0EEEvT1_.has_indirect_call, 0
	.section	.AMDGPU.csdata,"",@progbits
; Kernel info:
; codeLenInByte = 0
; TotalNumSgprs: 0
; NumVgprs: 0
; ScratchSize: 0
; MemoryBound: 0
; FloatMode: 240
; IeeeMode: 1
; LDSByteSize: 0 bytes/workgroup (compile time only)
; SGPRBlocks: 0
; VGPRBlocks: 0
; NumSGPRsForWavesPerEU: 1
; NumVGPRsForWavesPerEU: 1
; Occupancy: 16
; WaveLimiterHint : 0
; COMPUTE_PGM_RSRC2:SCRATCH_EN: 0
; COMPUTE_PGM_RSRC2:USER_SGPR: 6
; COMPUTE_PGM_RSRC2:TRAP_HANDLER: 0
; COMPUTE_PGM_RSRC2:TGID_X_EN: 1
; COMPUTE_PGM_RSRC2:TGID_Y_EN: 0
; COMPUTE_PGM_RSRC2:TGID_Z_EN: 0
; COMPUTE_PGM_RSRC2:TIDIG_COMP_CNT: 0
	.section	.text._ZN7rocprim17ROCPRIM_400000_NS6detail17trampoline_kernelINS0_14default_configENS1_27scan_by_key_config_selectorIssEEZZNS1_16scan_by_key_implILNS1_25lookback_scan_determinismE0ELb0ES3_N6thrust23THRUST_200600_302600_NS6detail15normal_iteratorINS9_10device_ptrIsEEEENS9_18transform_iteratorINS9_6negateIsEESE_NS9_11use_defaultESI_EESE_sNS9_4plusIvEENS9_8equal_toIvEEsEE10hipError_tPvRmT2_T3_T4_T5_mT6_T7_P12ihipStream_tbENKUlT_T0_E_clISt17integral_constantIbLb1EES13_IbLb0EEEEDaSZ_S10_EUlSZ_E_NS1_11comp_targetILNS1_3genE9ELNS1_11target_archE1100ELNS1_3gpuE3ELNS1_3repE0EEENS1_30default_config_static_selectorELNS0_4arch9wavefront6targetE0EEEvT1_,"axG",@progbits,_ZN7rocprim17ROCPRIM_400000_NS6detail17trampoline_kernelINS0_14default_configENS1_27scan_by_key_config_selectorIssEEZZNS1_16scan_by_key_implILNS1_25lookback_scan_determinismE0ELb0ES3_N6thrust23THRUST_200600_302600_NS6detail15normal_iteratorINS9_10device_ptrIsEEEENS9_18transform_iteratorINS9_6negateIsEESE_NS9_11use_defaultESI_EESE_sNS9_4plusIvEENS9_8equal_toIvEEsEE10hipError_tPvRmT2_T3_T4_T5_mT6_T7_P12ihipStream_tbENKUlT_T0_E_clISt17integral_constantIbLb1EES13_IbLb0EEEEDaSZ_S10_EUlSZ_E_NS1_11comp_targetILNS1_3genE9ELNS1_11target_archE1100ELNS1_3gpuE3ELNS1_3repE0EEENS1_30default_config_static_selectorELNS0_4arch9wavefront6targetE0EEEvT1_,comdat
	.protected	_ZN7rocprim17ROCPRIM_400000_NS6detail17trampoline_kernelINS0_14default_configENS1_27scan_by_key_config_selectorIssEEZZNS1_16scan_by_key_implILNS1_25lookback_scan_determinismE0ELb0ES3_N6thrust23THRUST_200600_302600_NS6detail15normal_iteratorINS9_10device_ptrIsEEEENS9_18transform_iteratorINS9_6negateIsEESE_NS9_11use_defaultESI_EESE_sNS9_4plusIvEENS9_8equal_toIvEEsEE10hipError_tPvRmT2_T3_T4_T5_mT6_T7_P12ihipStream_tbENKUlT_T0_E_clISt17integral_constantIbLb1EES13_IbLb0EEEEDaSZ_S10_EUlSZ_E_NS1_11comp_targetILNS1_3genE9ELNS1_11target_archE1100ELNS1_3gpuE3ELNS1_3repE0EEENS1_30default_config_static_selectorELNS0_4arch9wavefront6targetE0EEEvT1_ ; -- Begin function _ZN7rocprim17ROCPRIM_400000_NS6detail17trampoline_kernelINS0_14default_configENS1_27scan_by_key_config_selectorIssEEZZNS1_16scan_by_key_implILNS1_25lookback_scan_determinismE0ELb0ES3_N6thrust23THRUST_200600_302600_NS6detail15normal_iteratorINS9_10device_ptrIsEEEENS9_18transform_iteratorINS9_6negateIsEESE_NS9_11use_defaultESI_EESE_sNS9_4plusIvEENS9_8equal_toIvEEsEE10hipError_tPvRmT2_T3_T4_T5_mT6_T7_P12ihipStream_tbENKUlT_T0_E_clISt17integral_constantIbLb1EES13_IbLb0EEEEDaSZ_S10_EUlSZ_E_NS1_11comp_targetILNS1_3genE9ELNS1_11target_archE1100ELNS1_3gpuE3ELNS1_3repE0EEENS1_30default_config_static_selectorELNS0_4arch9wavefront6targetE0EEEvT1_
	.globl	_ZN7rocprim17ROCPRIM_400000_NS6detail17trampoline_kernelINS0_14default_configENS1_27scan_by_key_config_selectorIssEEZZNS1_16scan_by_key_implILNS1_25lookback_scan_determinismE0ELb0ES3_N6thrust23THRUST_200600_302600_NS6detail15normal_iteratorINS9_10device_ptrIsEEEENS9_18transform_iteratorINS9_6negateIsEESE_NS9_11use_defaultESI_EESE_sNS9_4plusIvEENS9_8equal_toIvEEsEE10hipError_tPvRmT2_T3_T4_T5_mT6_T7_P12ihipStream_tbENKUlT_T0_E_clISt17integral_constantIbLb1EES13_IbLb0EEEEDaSZ_S10_EUlSZ_E_NS1_11comp_targetILNS1_3genE9ELNS1_11target_archE1100ELNS1_3gpuE3ELNS1_3repE0EEENS1_30default_config_static_selectorELNS0_4arch9wavefront6targetE0EEEvT1_
	.p2align	8
	.type	_ZN7rocprim17ROCPRIM_400000_NS6detail17trampoline_kernelINS0_14default_configENS1_27scan_by_key_config_selectorIssEEZZNS1_16scan_by_key_implILNS1_25lookback_scan_determinismE0ELb0ES3_N6thrust23THRUST_200600_302600_NS6detail15normal_iteratorINS9_10device_ptrIsEEEENS9_18transform_iteratorINS9_6negateIsEESE_NS9_11use_defaultESI_EESE_sNS9_4plusIvEENS9_8equal_toIvEEsEE10hipError_tPvRmT2_T3_T4_T5_mT6_T7_P12ihipStream_tbENKUlT_T0_E_clISt17integral_constantIbLb1EES13_IbLb0EEEEDaSZ_S10_EUlSZ_E_NS1_11comp_targetILNS1_3genE9ELNS1_11target_archE1100ELNS1_3gpuE3ELNS1_3repE0EEENS1_30default_config_static_selectorELNS0_4arch9wavefront6targetE0EEEvT1_,@function
_ZN7rocprim17ROCPRIM_400000_NS6detail17trampoline_kernelINS0_14default_configENS1_27scan_by_key_config_selectorIssEEZZNS1_16scan_by_key_implILNS1_25lookback_scan_determinismE0ELb0ES3_N6thrust23THRUST_200600_302600_NS6detail15normal_iteratorINS9_10device_ptrIsEEEENS9_18transform_iteratorINS9_6negateIsEESE_NS9_11use_defaultESI_EESE_sNS9_4plusIvEENS9_8equal_toIvEEsEE10hipError_tPvRmT2_T3_T4_T5_mT6_T7_P12ihipStream_tbENKUlT_T0_E_clISt17integral_constantIbLb1EES13_IbLb0EEEEDaSZ_S10_EUlSZ_E_NS1_11comp_targetILNS1_3genE9ELNS1_11target_archE1100ELNS1_3gpuE3ELNS1_3repE0EEENS1_30default_config_static_selectorELNS0_4arch9wavefront6targetE0EEEvT1_: ; @_ZN7rocprim17ROCPRIM_400000_NS6detail17trampoline_kernelINS0_14default_configENS1_27scan_by_key_config_selectorIssEEZZNS1_16scan_by_key_implILNS1_25lookback_scan_determinismE0ELb0ES3_N6thrust23THRUST_200600_302600_NS6detail15normal_iteratorINS9_10device_ptrIsEEEENS9_18transform_iteratorINS9_6negateIsEESE_NS9_11use_defaultESI_EESE_sNS9_4plusIvEENS9_8equal_toIvEEsEE10hipError_tPvRmT2_T3_T4_T5_mT6_T7_P12ihipStream_tbENKUlT_T0_E_clISt17integral_constantIbLb1EES13_IbLb0EEEEDaSZ_S10_EUlSZ_E_NS1_11comp_targetILNS1_3genE9ELNS1_11target_archE1100ELNS1_3gpuE3ELNS1_3repE0EEENS1_30default_config_static_selectorELNS0_4arch9wavefront6targetE0EEEvT1_
; %bb.0:
	.section	.rodata,"a",@progbits
	.p2align	6, 0x0
	.amdhsa_kernel _ZN7rocprim17ROCPRIM_400000_NS6detail17trampoline_kernelINS0_14default_configENS1_27scan_by_key_config_selectorIssEEZZNS1_16scan_by_key_implILNS1_25lookback_scan_determinismE0ELb0ES3_N6thrust23THRUST_200600_302600_NS6detail15normal_iteratorINS9_10device_ptrIsEEEENS9_18transform_iteratorINS9_6negateIsEESE_NS9_11use_defaultESI_EESE_sNS9_4plusIvEENS9_8equal_toIvEEsEE10hipError_tPvRmT2_T3_T4_T5_mT6_T7_P12ihipStream_tbENKUlT_T0_E_clISt17integral_constantIbLb1EES13_IbLb0EEEEDaSZ_S10_EUlSZ_E_NS1_11comp_targetILNS1_3genE9ELNS1_11target_archE1100ELNS1_3gpuE3ELNS1_3repE0EEENS1_30default_config_static_selectorELNS0_4arch9wavefront6targetE0EEEvT1_
		.amdhsa_group_segment_fixed_size 0
		.amdhsa_private_segment_fixed_size 0
		.amdhsa_kernarg_size 120
		.amdhsa_user_sgpr_count 6
		.amdhsa_user_sgpr_private_segment_buffer 1
		.amdhsa_user_sgpr_dispatch_ptr 0
		.amdhsa_user_sgpr_queue_ptr 0
		.amdhsa_user_sgpr_kernarg_segment_ptr 1
		.amdhsa_user_sgpr_dispatch_id 0
		.amdhsa_user_sgpr_flat_scratch_init 0
		.amdhsa_user_sgpr_private_segment_size 0
		.amdhsa_wavefront_size32 1
		.amdhsa_uses_dynamic_stack 0
		.amdhsa_system_sgpr_private_segment_wavefront_offset 0
		.amdhsa_system_sgpr_workgroup_id_x 1
		.amdhsa_system_sgpr_workgroup_id_y 0
		.amdhsa_system_sgpr_workgroup_id_z 0
		.amdhsa_system_sgpr_workgroup_info 0
		.amdhsa_system_vgpr_workitem_id 0
		.amdhsa_next_free_vgpr 1
		.amdhsa_next_free_sgpr 1
		.amdhsa_reserve_vcc 0
		.amdhsa_reserve_flat_scratch 0
		.amdhsa_float_round_mode_32 0
		.amdhsa_float_round_mode_16_64 0
		.amdhsa_float_denorm_mode_32 3
		.amdhsa_float_denorm_mode_16_64 3
		.amdhsa_dx10_clamp 1
		.amdhsa_ieee_mode 1
		.amdhsa_fp16_overflow 0
		.amdhsa_workgroup_processor_mode 1
		.amdhsa_memory_ordered 1
		.amdhsa_forward_progress 1
		.amdhsa_shared_vgpr_count 0
		.amdhsa_exception_fp_ieee_invalid_op 0
		.amdhsa_exception_fp_denorm_src 0
		.amdhsa_exception_fp_ieee_div_zero 0
		.amdhsa_exception_fp_ieee_overflow 0
		.amdhsa_exception_fp_ieee_underflow 0
		.amdhsa_exception_fp_ieee_inexact 0
		.amdhsa_exception_int_div_zero 0
	.end_amdhsa_kernel
	.section	.text._ZN7rocprim17ROCPRIM_400000_NS6detail17trampoline_kernelINS0_14default_configENS1_27scan_by_key_config_selectorIssEEZZNS1_16scan_by_key_implILNS1_25lookback_scan_determinismE0ELb0ES3_N6thrust23THRUST_200600_302600_NS6detail15normal_iteratorINS9_10device_ptrIsEEEENS9_18transform_iteratorINS9_6negateIsEESE_NS9_11use_defaultESI_EESE_sNS9_4plusIvEENS9_8equal_toIvEEsEE10hipError_tPvRmT2_T3_T4_T5_mT6_T7_P12ihipStream_tbENKUlT_T0_E_clISt17integral_constantIbLb1EES13_IbLb0EEEEDaSZ_S10_EUlSZ_E_NS1_11comp_targetILNS1_3genE9ELNS1_11target_archE1100ELNS1_3gpuE3ELNS1_3repE0EEENS1_30default_config_static_selectorELNS0_4arch9wavefront6targetE0EEEvT1_,"axG",@progbits,_ZN7rocprim17ROCPRIM_400000_NS6detail17trampoline_kernelINS0_14default_configENS1_27scan_by_key_config_selectorIssEEZZNS1_16scan_by_key_implILNS1_25lookback_scan_determinismE0ELb0ES3_N6thrust23THRUST_200600_302600_NS6detail15normal_iteratorINS9_10device_ptrIsEEEENS9_18transform_iteratorINS9_6negateIsEESE_NS9_11use_defaultESI_EESE_sNS9_4plusIvEENS9_8equal_toIvEEsEE10hipError_tPvRmT2_T3_T4_T5_mT6_T7_P12ihipStream_tbENKUlT_T0_E_clISt17integral_constantIbLb1EES13_IbLb0EEEEDaSZ_S10_EUlSZ_E_NS1_11comp_targetILNS1_3genE9ELNS1_11target_archE1100ELNS1_3gpuE3ELNS1_3repE0EEENS1_30default_config_static_selectorELNS0_4arch9wavefront6targetE0EEEvT1_,comdat
.Lfunc_end990:
	.size	_ZN7rocprim17ROCPRIM_400000_NS6detail17trampoline_kernelINS0_14default_configENS1_27scan_by_key_config_selectorIssEEZZNS1_16scan_by_key_implILNS1_25lookback_scan_determinismE0ELb0ES3_N6thrust23THRUST_200600_302600_NS6detail15normal_iteratorINS9_10device_ptrIsEEEENS9_18transform_iteratorINS9_6negateIsEESE_NS9_11use_defaultESI_EESE_sNS9_4plusIvEENS9_8equal_toIvEEsEE10hipError_tPvRmT2_T3_T4_T5_mT6_T7_P12ihipStream_tbENKUlT_T0_E_clISt17integral_constantIbLb1EES13_IbLb0EEEEDaSZ_S10_EUlSZ_E_NS1_11comp_targetILNS1_3genE9ELNS1_11target_archE1100ELNS1_3gpuE3ELNS1_3repE0EEENS1_30default_config_static_selectorELNS0_4arch9wavefront6targetE0EEEvT1_, .Lfunc_end990-_ZN7rocprim17ROCPRIM_400000_NS6detail17trampoline_kernelINS0_14default_configENS1_27scan_by_key_config_selectorIssEEZZNS1_16scan_by_key_implILNS1_25lookback_scan_determinismE0ELb0ES3_N6thrust23THRUST_200600_302600_NS6detail15normal_iteratorINS9_10device_ptrIsEEEENS9_18transform_iteratorINS9_6negateIsEESE_NS9_11use_defaultESI_EESE_sNS9_4plusIvEENS9_8equal_toIvEEsEE10hipError_tPvRmT2_T3_T4_T5_mT6_T7_P12ihipStream_tbENKUlT_T0_E_clISt17integral_constantIbLb1EES13_IbLb0EEEEDaSZ_S10_EUlSZ_E_NS1_11comp_targetILNS1_3genE9ELNS1_11target_archE1100ELNS1_3gpuE3ELNS1_3repE0EEENS1_30default_config_static_selectorELNS0_4arch9wavefront6targetE0EEEvT1_
                                        ; -- End function
	.set _ZN7rocprim17ROCPRIM_400000_NS6detail17trampoline_kernelINS0_14default_configENS1_27scan_by_key_config_selectorIssEEZZNS1_16scan_by_key_implILNS1_25lookback_scan_determinismE0ELb0ES3_N6thrust23THRUST_200600_302600_NS6detail15normal_iteratorINS9_10device_ptrIsEEEENS9_18transform_iteratorINS9_6negateIsEESE_NS9_11use_defaultESI_EESE_sNS9_4plusIvEENS9_8equal_toIvEEsEE10hipError_tPvRmT2_T3_T4_T5_mT6_T7_P12ihipStream_tbENKUlT_T0_E_clISt17integral_constantIbLb1EES13_IbLb0EEEEDaSZ_S10_EUlSZ_E_NS1_11comp_targetILNS1_3genE9ELNS1_11target_archE1100ELNS1_3gpuE3ELNS1_3repE0EEENS1_30default_config_static_selectorELNS0_4arch9wavefront6targetE0EEEvT1_.num_vgpr, 0
	.set _ZN7rocprim17ROCPRIM_400000_NS6detail17trampoline_kernelINS0_14default_configENS1_27scan_by_key_config_selectorIssEEZZNS1_16scan_by_key_implILNS1_25lookback_scan_determinismE0ELb0ES3_N6thrust23THRUST_200600_302600_NS6detail15normal_iteratorINS9_10device_ptrIsEEEENS9_18transform_iteratorINS9_6negateIsEESE_NS9_11use_defaultESI_EESE_sNS9_4plusIvEENS9_8equal_toIvEEsEE10hipError_tPvRmT2_T3_T4_T5_mT6_T7_P12ihipStream_tbENKUlT_T0_E_clISt17integral_constantIbLb1EES13_IbLb0EEEEDaSZ_S10_EUlSZ_E_NS1_11comp_targetILNS1_3genE9ELNS1_11target_archE1100ELNS1_3gpuE3ELNS1_3repE0EEENS1_30default_config_static_selectorELNS0_4arch9wavefront6targetE0EEEvT1_.num_agpr, 0
	.set _ZN7rocprim17ROCPRIM_400000_NS6detail17trampoline_kernelINS0_14default_configENS1_27scan_by_key_config_selectorIssEEZZNS1_16scan_by_key_implILNS1_25lookback_scan_determinismE0ELb0ES3_N6thrust23THRUST_200600_302600_NS6detail15normal_iteratorINS9_10device_ptrIsEEEENS9_18transform_iteratorINS9_6negateIsEESE_NS9_11use_defaultESI_EESE_sNS9_4plusIvEENS9_8equal_toIvEEsEE10hipError_tPvRmT2_T3_T4_T5_mT6_T7_P12ihipStream_tbENKUlT_T0_E_clISt17integral_constantIbLb1EES13_IbLb0EEEEDaSZ_S10_EUlSZ_E_NS1_11comp_targetILNS1_3genE9ELNS1_11target_archE1100ELNS1_3gpuE3ELNS1_3repE0EEENS1_30default_config_static_selectorELNS0_4arch9wavefront6targetE0EEEvT1_.numbered_sgpr, 0
	.set _ZN7rocprim17ROCPRIM_400000_NS6detail17trampoline_kernelINS0_14default_configENS1_27scan_by_key_config_selectorIssEEZZNS1_16scan_by_key_implILNS1_25lookback_scan_determinismE0ELb0ES3_N6thrust23THRUST_200600_302600_NS6detail15normal_iteratorINS9_10device_ptrIsEEEENS9_18transform_iteratorINS9_6negateIsEESE_NS9_11use_defaultESI_EESE_sNS9_4plusIvEENS9_8equal_toIvEEsEE10hipError_tPvRmT2_T3_T4_T5_mT6_T7_P12ihipStream_tbENKUlT_T0_E_clISt17integral_constantIbLb1EES13_IbLb0EEEEDaSZ_S10_EUlSZ_E_NS1_11comp_targetILNS1_3genE9ELNS1_11target_archE1100ELNS1_3gpuE3ELNS1_3repE0EEENS1_30default_config_static_selectorELNS0_4arch9wavefront6targetE0EEEvT1_.num_named_barrier, 0
	.set _ZN7rocprim17ROCPRIM_400000_NS6detail17trampoline_kernelINS0_14default_configENS1_27scan_by_key_config_selectorIssEEZZNS1_16scan_by_key_implILNS1_25lookback_scan_determinismE0ELb0ES3_N6thrust23THRUST_200600_302600_NS6detail15normal_iteratorINS9_10device_ptrIsEEEENS9_18transform_iteratorINS9_6negateIsEESE_NS9_11use_defaultESI_EESE_sNS9_4plusIvEENS9_8equal_toIvEEsEE10hipError_tPvRmT2_T3_T4_T5_mT6_T7_P12ihipStream_tbENKUlT_T0_E_clISt17integral_constantIbLb1EES13_IbLb0EEEEDaSZ_S10_EUlSZ_E_NS1_11comp_targetILNS1_3genE9ELNS1_11target_archE1100ELNS1_3gpuE3ELNS1_3repE0EEENS1_30default_config_static_selectorELNS0_4arch9wavefront6targetE0EEEvT1_.private_seg_size, 0
	.set _ZN7rocprim17ROCPRIM_400000_NS6detail17trampoline_kernelINS0_14default_configENS1_27scan_by_key_config_selectorIssEEZZNS1_16scan_by_key_implILNS1_25lookback_scan_determinismE0ELb0ES3_N6thrust23THRUST_200600_302600_NS6detail15normal_iteratorINS9_10device_ptrIsEEEENS9_18transform_iteratorINS9_6negateIsEESE_NS9_11use_defaultESI_EESE_sNS9_4plusIvEENS9_8equal_toIvEEsEE10hipError_tPvRmT2_T3_T4_T5_mT6_T7_P12ihipStream_tbENKUlT_T0_E_clISt17integral_constantIbLb1EES13_IbLb0EEEEDaSZ_S10_EUlSZ_E_NS1_11comp_targetILNS1_3genE9ELNS1_11target_archE1100ELNS1_3gpuE3ELNS1_3repE0EEENS1_30default_config_static_selectorELNS0_4arch9wavefront6targetE0EEEvT1_.uses_vcc, 0
	.set _ZN7rocprim17ROCPRIM_400000_NS6detail17trampoline_kernelINS0_14default_configENS1_27scan_by_key_config_selectorIssEEZZNS1_16scan_by_key_implILNS1_25lookback_scan_determinismE0ELb0ES3_N6thrust23THRUST_200600_302600_NS6detail15normal_iteratorINS9_10device_ptrIsEEEENS9_18transform_iteratorINS9_6negateIsEESE_NS9_11use_defaultESI_EESE_sNS9_4plusIvEENS9_8equal_toIvEEsEE10hipError_tPvRmT2_T3_T4_T5_mT6_T7_P12ihipStream_tbENKUlT_T0_E_clISt17integral_constantIbLb1EES13_IbLb0EEEEDaSZ_S10_EUlSZ_E_NS1_11comp_targetILNS1_3genE9ELNS1_11target_archE1100ELNS1_3gpuE3ELNS1_3repE0EEENS1_30default_config_static_selectorELNS0_4arch9wavefront6targetE0EEEvT1_.uses_flat_scratch, 0
	.set _ZN7rocprim17ROCPRIM_400000_NS6detail17trampoline_kernelINS0_14default_configENS1_27scan_by_key_config_selectorIssEEZZNS1_16scan_by_key_implILNS1_25lookback_scan_determinismE0ELb0ES3_N6thrust23THRUST_200600_302600_NS6detail15normal_iteratorINS9_10device_ptrIsEEEENS9_18transform_iteratorINS9_6negateIsEESE_NS9_11use_defaultESI_EESE_sNS9_4plusIvEENS9_8equal_toIvEEsEE10hipError_tPvRmT2_T3_T4_T5_mT6_T7_P12ihipStream_tbENKUlT_T0_E_clISt17integral_constantIbLb1EES13_IbLb0EEEEDaSZ_S10_EUlSZ_E_NS1_11comp_targetILNS1_3genE9ELNS1_11target_archE1100ELNS1_3gpuE3ELNS1_3repE0EEENS1_30default_config_static_selectorELNS0_4arch9wavefront6targetE0EEEvT1_.has_dyn_sized_stack, 0
	.set _ZN7rocprim17ROCPRIM_400000_NS6detail17trampoline_kernelINS0_14default_configENS1_27scan_by_key_config_selectorIssEEZZNS1_16scan_by_key_implILNS1_25lookback_scan_determinismE0ELb0ES3_N6thrust23THRUST_200600_302600_NS6detail15normal_iteratorINS9_10device_ptrIsEEEENS9_18transform_iteratorINS9_6negateIsEESE_NS9_11use_defaultESI_EESE_sNS9_4plusIvEENS9_8equal_toIvEEsEE10hipError_tPvRmT2_T3_T4_T5_mT6_T7_P12ihipStream_tbENKUlT_T0_E_clISt17integral_constantIbLb1EES13_IbLb0EEEEDaSZ_S10_EUlSZ_E_NS1_11comp_targetILNS1_3genE9ELNS1_11target_archE1100ELNS1_3gpuE3ELNS1_3repE0EEENS1_30default_config_static_selectorELNS0_4arch9wavefront6targetE0EEEvT1_.has_recursion, 0
	.set _ZN7rocprim17ROCPRIM_400000_NS6detail17trampoline_kernelINS0_14default_configENS1_27scan_by_key_config_selectorIssEEZZNS1_16scan_by_key_implILNS1_25lookback_scan_determinismE0ELb0ES3_N6thrust23THRUST_200600_302600_NS6detail15normal_iteratorINS9_10device_ptrIsEEEENS9_18transform_iteratorINS9_6negateIsEESE_NS9_11use_defaultESI_EESE_sNS9_4plusIvEENS9_8equal_toIvEEsEE10hipError_tPvRmT2_T3_T4_T5_mT6_T7_P12ihipStream_tbENKUlT_T0_E_clISt17integral_constantIbLb1EES13_IbLb0EEEEDaSZ_S10_EUlSZ_E_NS1_11comp_targetILNS1_3genE9ELNS1_11target_archE1100ELNS1_3gpuE3ELNS1_3repE0EEENS1_30default_config_static_selectorELNS0_4arch9wavefront6targetE0EEEvT1_.has_indirect_call, 0
	.section	.AMDGPU.csdata,"",@progbits
; Kernel info:
; codeLenInByte = 0
; TotalNumSgprs: 0
; NumVgprs: 0
; ScratchSize: 0
; MemoryBound: 0
; FloatMode: 240
; IeeeMode: 1
; LDSByteSize: 0 bytes/workgroup (compile time only)
; SGPRBlocks: 0
; VGPRBlocks: 0
; NumSGPRsForWavesPerEU: 1
; NumVGPRsForWavesPerEU: 1
; Occupancy: 16
; WaveLimiterHint : 0
; COMPUTE_PGM_RSRC2:SCRATCH_EN: 0
; COMPUTE_PGM_RSRC2:USER_SGPR: 6
; COMPUTE_PGM_RSRC2:TRAP_HANDLER: 0
; COMPUTE_PGM_RSRC2:TGID_X_EN: 1
; COMPUTE_PGM_RSRC2:TGID_Y_EN: 0
; COMPUTE_PGM_RSRC2:TGID_Z_EN: 0
; COMPUTE_PGM_RSRC2:TIDIG_COMP_CNT: 0
	.section	.text._ZN7rocprim17ROCPRIM_400000_NS6detail17trampoline_kernelINS0_14default_configENS1_27scan_by_key_config_selectorIssEEZZNS1_16scan_by_key_implILNS1_25lookback_scan_determinismE0ELb0ES3_N6thrust23THRUST_200600_302600_NS6detail15normal_iteratorINS9_10device_ptrIsEEEENS9_18transform_iteratorINS9_6negateIsEESE_NS9_11use_defaultESI_EESE_sNS9_4plusIvEENS9_8equal_toIvEEsEE10hipError_tPvRmT2_T3_T4_T5_mT6_T7_P12ihipStream_tbENKUlT_T0_E_clISt17integral_constantIbLb1EES13_IbLb0EEEEDaSZ_S10_EUlSZ_E_NS1_11comp_targetILNS1_3genE8ELNS1_11target_archE1030ELNS1_3gpuE2ELNS1_3repE0EEENS1_30default_config_static_selectorELNS0_4arch9wavefront6targetE0EEEvT1_,"axG",@progbits,_ZN7rocprim17ROCPRIM_400000_NS6detail17trampoline_kernelINS0_14default_configENS1_27scan_by_key_config_selectorIssEEZZNS1_16scan_by_key_implILNS1_25lookback_scan_determinismE0ELb0ES3_N6thrust23THRUST_200600_302600_NS6detail15normal_iteratorINS9_10device_ptrIsEEEENS9_18transform_iteratorINS9_6negateIsEESE_NS9_11use_defaultESI_EESE_sNS9_4plusIvEENS9_8equal_toIvEEsEE10hipError_tPvRmT2_T3_T4_T5_mT6_T7_P12ihipStream_tbENKUlT_T0_E_clISt17integral_constantIbLb1EES13_IbLb0EEEEDaSZ_S10_EUlSZ_E_NS1_11comp_targetILNS1_3genE8ELNS1_11target_archE1030ELNS1_3gpuE2ELNS1_3repE0EEENS1_30default_config_static_selectorELNS0_4arch9wavefront6targetE0EEEvT1_,comdat
	.protected	_ZN7rocprim17ROCPRIM_400000_NS6detail17trampoline_kernelINS0_14default_configENS1_27scan_by_key_config_selectorIssEEZZNS1_16scan_by_key_implILNS1_25lookback_scan_determinismE0ELb0ES3_N6thrust23THRUST_200600_302600_NS6detail15normal_iteratorINS9_10device_ptrIsEEEENS9_18transform_iteratorINS9_6negateIsEESE_NS9_11use_defaultESI_EESE_sNS9_4plusIvEENS9_8equal_toIvEEsEE10hipError_tPvRmT2_T3_T4_T5_mT6_T7_P12ihipStream_tbENKUlT_T0_E_clISt17integral_constantIbLb1EES13_IbLb0EEEEDaSZ_S10_EUlSZ_E_NS1_11comp_targetILNS1_3genE8ELNS1_11target_archE1030ELNS1_3gpuE2ELNS1_3repE0EEENS1_30default_config_static_selectorELNS0_4arch9wavefront6targetE0EEEvT1_ ; -- Begin function _ZN7rocprim17ROCPRIM_400000_NS6detail17trampoline_kernelINS0_14default_configENS1_27scan_by_key_config_selectorIssEEZZNS1_16scan_by_key_implILNS1_25lookback_scan_determinismE0ELb0ES3_N6thrust23THRUST_200600_302600_NS6detail15normal_iteratorINS9_10device_ptrIsEEEENS9_18transform_iteratorINS9_6negateIsEESE_NS9_11use_defaultESI_EESE_sNS9_4plusIvEENS9_8equal_toIvEEsEE10hipError_tPvRmT2_T3_T4_T5_mT6_T7_P12ihipStream_tbENKUlT_T0_E_clISt17integral_constantIbLb1EES13_IbLb0EEEEDaSZ_S10_EUlSZ_E_NS1_11comp_targetILNS1_3genE8ELNS1_11target_archE1030ELNS1_3gpuE2ELNS1_3repE0EEENS1_30default_config_static_selectorELNS0_4arch9wavefront6targetE0EEEvT1_
	.globl	_ZN7rocprim17ROCPRIM_400000_NS6detail17trampoline_kernelINS0_14default_configENS1_27scan_by_key_config_selectorIssEEZZNS1_16scan_by_key_implILNS1_25lookback_scan_determinismE0ELb0ES3_N6thrust23THRUST_200600_302600_NS6detail15normal_iteratorINS9_10device_ptrIsEEEENS9_18transform_iteratorINS9_6negateIsEESE_NS9_11use_defaultESI_EESE_sNS9_4plusIvEENS9_8equal_toIvEEsEE10hipError_tPvRmT2_T3_T4_T5_mT6_T7_P12ihipStream_tbENKUlT_T0_E_clISt17integral_constantIbLb1EES13_IbLb0EEEEDaSZ_S10_EUlSZ_E_NS1_11comp_targetILNS1_3genE8ELNS1_11target_archE1030ELNS1_3gpuE2ELNS1_3repE0EEENS1_30default_config_static_selectorELNS0_4arch9wavefront6targetE0EEEvT1_
	.p2align	8
	.type	_ZN7rocprim17ROCPRIM_400000_NS6detail17trampoline_kernelINS0_14default_configENS1_27scan_by_key_config_selectorIssEEZZNS1_16scan_by_key_implILNS1_25lookback_scan_determinismE0ELb0ES3_N6thrust23THRUST_200600_302600_NS6detail15normal_iteratorINS9_10device_ptrIsEEEENS9_18transform_iteratorINS9_6negateIsEESE_NS9_11use_defaultESI_EESE_sNS9_4plusIvEENS9_8equal_toIvEEsEE10hipError_tPvRmT2_T3_T4_T5_mT6_T7_P12ihipStream_tbENKUlT_T0_E_clISt17integral_constantIbLb1EES13_IbLb0EEEEDaSZ_S10_EUlSZ_E_NS1_11comp_targetILNS1_3genE8ELNS1_11target_archE1030ELNS1_3gpuE2ELNS1_3repE0EEENS1_30default_config_static_selectorELNS0_4arch9wavefront6targetE0EEEvT1_,@function
_ZN7rocprim17ROCPRIM_400000_NS6detail17trampoline_kernelINS0_14default_configENS1_27scan_by_key_config_selectorIssEEZZNS1_16scan_by_key_implILNS1_25lookback_scan_determinismE0ELb0ES3_N6thrust23THRUST_200600_302600_NS6detail15normal_iteratorINS9_10device_ptrIsEEEENS9_18transform_iteratorINS9_6negateIsEESE_NS9_11use_defaultESI_EESE_sNS9_4plusIvEENS9_8equal_toIvEEsEE10hipError_tPvRmT2_T3_T4_T5_mT6_T7_P12ihipStream_tbENKUlT_T0_E_clISt17integral_constantIbLb1EES13_IbLb0EEEEDaSZ_S10_EUlSZ_E_NS1_11comp_targetILNS1_3genE8ELNS1_11target_archE1030ELNS1_3gpuE2ELNS1_3repE0EEENS1_30default_config_static_selectorELNS0_4arch9wavefront6targetE0EEEvT1_: ; @_ZN7rocprim17ROCPRIM_400000_NS6detail17trampoline_kernelINS0_14default_configENS1_27scan_by_key_config_selectorIssEEZZNS1_16scan_by_key_implILNS1_25lookback_scan_determinismE0ELb0ES3_N6thrust23THRUST_200600_302600_NS6detail15normal_iteratorINS9_10device_ptrIsEEEENS9_18transform_iteratorINS9_6negateIsEESE_NS9_11use_defaultESI_EESE_sNS9_4plusIvEENS9_8equal_toIvEEsEE10hipError_tPvRmT2_T3_T4_T5_mT6_T7_P12ihipStream_tbENKUlT_T0_E_clISt17integral_constantIbLb1EES13_IbLb0EEEEDaSZ_S10_EUlSZ_E_NS1_11comp_targetILNS1_3genE8ELNS1_11target_archE1030ELNS1_3gpuE2ELNS1_3repE0EEENS1_30default_config_static_selectorELNS0_4arch9wavefront6targetE0EEEvT1_
; %bb.0:
	s_endpgm
	.section	.rodata,"a",@progbits
	.p2align	6, 0x0
	.amdhsa_kernel _ZN7rocprim17ROCPRIM_400000_NS6detail17trampoline_kernelINS0_14default_configENS1_27scan_by_key_config_selectorIssEEZZNS1_16scan_by_key_implILNS1_25lookback_scan_determinismE0ELb0ES3_N6thrust23THRUST_200600_302600_NS6detail15normal_iteratorINS9_10device_ptrIsEEEENS9_18transform_iteratorINS9_6negateIsEESE_NS9_11use_defaultESI_EESE_sNS9_4plusIvEENS9_8equal_toIvEEsEE10hipError_tPvRmT2_T3_T4_T5_mT6_T7_P12ihipStream_tbENKUlT_T0_E_clISt17integral_constantIbLb1EES13_IbLb0EEEEDaSZ_S10_EUlSZ_E_NS1_11comp_targetILNS1_3genE8ELNS1_11target_archE1030ELNS1_3gpuE2ELNS1_3repE0EEENS1_30default_config_static_selectorELNS0_4arch9wavefront6targetE0EEEvT1_
		.amdhsa_group_segment_fixed_size 0
		.amdhsa_private_segment_fixed_size 0
		.amdhsa_kernarg_size 120
		.amdhsa_user_sgpr_count 6
		.amdhsa_user_sgpr_private_segment_buffer 1
		.amdhsa_user_sgpr_dispatch_ptr 0
		.amdhsa_user_sgpr_queue_ptr 0
		.amdhsa_user_sgpr_kernarg_segment_ptr 1
		.amdhsa_user_sgpr_dispatch_id 0
		.amdhsa_user_sgpr_flat_scratch_init 0
		.amdhsa_user_sgpr_private_segment_size 0
		.amdhsa_wavefront_size32 1
		.amdhsa_uses_dynamic_stack 0
		.amdhsa_system_sgpr_private_segment_wavefront_offset 0
		.amdhsa_system_sgpr_workgroup_id_x 1
		.amdhsa_system_sgpr_workgroup_id_y 0
		.amdhsa_system_sgpr_workgroup_id_z 0
		.amdhsa_system_sgpr_workgroup_info 0
		.amdhsa_system_vgpr_workitem_id 0
		.amdhsa_next_free_vgpr 1
		.amdhsa_next_free_sgpr 1
		.amdhsa_reserve_vcc 0
		.amdhsa_reserve_flat_scratch 0
		.amdhsa_float_round_mode_32 0
		.amdhsa_float_round_mode_16_64 0
		.amdhsa_float_denorm_mode_32 3
		.amdhsa_float_denorm_mode_16_64 3
		.amdhsa_dx10_clamp 1
		.amdhsa_ieee_mode 1
		.amdhsa_fp16_overflow 0
		.amdhsa_workgroup_processor_mode 1
		.amdhsa_memory_ordered 1
		.amdhsa_forward_progress 1
		.amdhsa_shared_vgpr_count 0
		.amdhsa_exception_fp_ieee_invalid_op 0
		.amdhsa_exception_fp_denorm_src 0
		.amdhsa_exception_fp_ieee_div_zero 0
		.amdhsa_exception_fp_ieee_overflow 0
		.amdhsa_exception_fp_ieee_underflow 0
		.amdhsa_exception_fp_ieee_inexact 0
		.amdhsa_exception_int_div_zero 0
	.end_amdhsa_kernel
	.section	.text._ZN7rocprim17ROCPRIM_400000_NS6detail17trampoline_kernelINS0_14default_configENS1_27scan_by_key_config_selectorIssEEZZNS1_16scan_by_key_implILNS1_25lookback_scan_determinismE0ELb0ES3_N6thrust23THRUST_200600_302600_NS6detail15normal_iteratorINS9_10device_ptrIsEEEENS9_18transform_iteratorINS9_6negateIsEESE_NS9_11use_defaultESI_EESE_sNS9_4plusIvEENS9_8equal_toIvEEsEE10hipError_tPvRmT2_T3_T4_T5_mT6_T7_P12ihipStream_tbENKUlT_T0_E_clISt17integral_constantIbLb1EES13_IbLb0EEEEDaSZ_S10_EUlSZ_E_NS1_11comp_targetILNS1_3genE8ELNS1_11target_archE1030ELNS1_3gpuE2ELNS1_3repE0EEENS1_30default_config_static_selectorELNS0_4arch9wavefront6targetE0EEEvT1_,"axG",@progbits,_ZN7rocprim17ROCPRIM_400000_NS6detail17trampoline_kernelINS0_14default_configENS1_27scan_by_key_config_selectorIssEEZZNS1_16scan_by_key_implILNS1_25lookback_scan_determinismE0ELb0ES3_N6thrust23THRUST_200600_302600_NS6detail15normal_iteratorINS9_10device_ptrIsEEEENS9_18transform_iteratorINS9_6negateIsEESE_NS9_11use_defaultESI_EESE_sNS9_4plusIvEENS9_8equal_toIvEEsEE10hipError_tPvRmT2_T3_T4_T5_mT6_T7_P12ihipStream_tbENKUlT_T0_E_clISt17integral_constantIbLb1EES13_IbLb0EEEEDaSZ_S10_EUlSZ_E_NS1_11comp_targetILNS1_3genE8ELNS1_11target_archE1030ELNS1_3gpuE2ELNS1_3repE0EEENS1_30default_config_static_selectorELNS0_4arch9wavefront6targetE0EEEvT1_,comdat
.Lfunc_end991:
	.size	_ZN7rocprim17ROCPRIM_400000_NS6detail17trampoline_kernelINS0_14default_configENS1_27scan_by_key_config_selectorIssEEZZNS1_16scan_by_key_implILNS1_25lookback_scan_determinismE0ELb0ES3_N6thrust23THRUST_200600_302600_NS6detail15normal_iteratorINS9_10device_ptrIsEEEENS9_18transform_iteratorINS9_6negateIsEESE_NS9_11use_defaultESI_EESE_sNS9_4plusIvEENS9_8equal_toIvEEsEE10hipError_tPvRmT2_T3_T4_T5_mT6_T7_P12ihipStream_tbENKUlT_T0_E_clISt17integral_constantIbLb1EES13_IbLb0EEEEDaSZ_S10_EUlSZ_E_NS1_11comp_targetILNS1_3genE8ELNS1_11target_archE1030ELNS1_3gpuE2ELNS1_3repE0EEENS1_30default_config_static_selectorELNS0_4arch9wavefront6targetE0EEEvT1_, .Lfunc_end991-_ZN7rocprim17ROCPRIM_400000_NS6detail17trampoline_kernelINS0_14default_configENS1_27scan_by_key_config_selectorIssEEZZNS1_16scan_by_key_implILNS1_25lookback_scan_determinismE0ELb0ES3_N6thrust23THRUST_200600_302600_NS6detail15normal_iteratorINS9_10device_ptrIsEEEENS9_18transform_iteratorINS9_6negateIsEESE_NS9_11use_defaultESI_EESE_sNS9_4plusIvEENS9_8equal_toIvEEsEE10hipError_tPvRmT2_T3_T4_T5_mT6_T7_P12ihipStream_tbENKUlT_T0_E_clISt17integral_constantIbLb1EES13_IbLb0EEEEDaSZ_S10_EUlSZ_E_NS1_11comp_targetILNS1_3genE8ELNS1_11target_archE1030ELNS1_3gpuE2ELNS1_3repE0EEENS1_30default_config_static_selectorELNS0_4arch9wavefront6targetE0EEEvT1_
                                        ; -- End function
	.set _ZN7rocprim17ROCPRIM_400000_NS6detail17trampoline_kernelINS0_14default_configENS1_27scan_by_key_config_selectorIssEEZZNS1_16scan_by_key_implILNS1_25lookback_scan_determinismE0ELb0ES3_N6thrust23THRUST_200600_302600_NS6detail15normal_iteratorINS9_10device_ptrIsEEEENS9_18transform_iteratorINS9_6negateIsEESE_NS9_11use_defaultESI_EESE_sNS9_4plusIvEENS9_8equal_toIvEEsEE10hipError_tPvRmT2_T3_T4_T5_mT6_T7_P12ihipStream_tbENKUlT_T0_E_clISt17integral_constantIbLb1EES13_IbLb0EEEEDaSZ_S10_EUlSZ_E_NS1_11comp_targetILNS1_3genE8ELNS1_11target_archE1030ELNS1_3gpuE2ELNS1_3repE0EEENS1_30default_config_static_selectorELNS0_4arch9wavefront6targetE0EEEvT1_.num_vgpr, 0
	.set _ZN7rocprim17ROCPRIM_400000_NS6detail17trampoline_kernelINS0_14default_configENS1_27scan_by_key_config_selectorIssEEZZNS1_16scan_by_key_implILNS1_25lookback_scan_determinismE0ELb0ES3_N6thrust23THRUST_200600_302600_NS6detail15normal_iteratorINS9_10device_ptrIsEEEENS9_18transform_iteratorINS9_6negateIsEESE_NS9_11use_defaultESI_EESE_sNS9_4plusIvEENS9_8equal_toIvEEsEE10hipError_tPvRmT2_T3_T4_T5_mT6_T7_P12ihipStream_tbENKUlT_T0_E_clISt17integral_constantIbLb1EES13_IbLb0EEEEDaSZ_S10_EUlSZ_E_NS1_11comp_targetILNS1_3genE8ELNS1_11target_archE1030ELNS1_3gpuE2ELNS1_3repE0EEENS1_30default_config_static_selectorELNS0_4arch9wavefront6targetE0EEEvT1_.num_agpr, 0
	.set _ZN7rocprim17ROCPRIM_400000_NS6detail17trampoline_kernelINS0_14default_configENS1_27scan_by_key_config_selectorIssEEZZNS1_16scan_by_key_implILNS1_25lookback_scan_determinismE0ELb0ES3_N6thrust23THRUST_200600_302600_NS6detail15normal_iteratorINS9_10device_ptrIsEEEENS9_18transform_iteratorINS9_6negateIsEESE_NS9_11use_defaultESI_EESE_sNS9_4plusIvEENS9_8equal_toIvEEsEE10hipError_tPvRmT2_T3_T4_T5_mT6_T7_P12ihipStream_tbENKUlT_T0_E_clISt17integral_constantIbLb1EES13_IbLb0EEEEDaSZ_S10_EUlSZ_E_NS1_11comp_targetILNS1_3genE8ELNS1_11target_archE1030ELNS1_3gpuE2ELNS1_3repE0EEENS1_30default_config_static_selectorELNS0_4arch9wavefront6targetE0EEEvT1_.numbered_sgpr, 0
	.set _ZN7rocprim17ROCPRIM_400000_NS6detail17trampoline_kernelINS0_14default_configENS1_27scan_by_key_config_selectorIssEEZZNS1_16scan_by_key_implILNS1_25lookback_scan_determinismE0ELb0ES3_N6thrust23THRUST_200600_302600_NS6detail15normal_iteratorINS9_10device_ptrIsEEEENS9_18transform_iteratorINS9_6negateIsEESE_NS9_11use_defaultESI_EESE_sNS9_4plusIvEENS9_8equal_toIvEEsEE10hipError_tPvRmT2_T3_T4_T5_mT6_T7_P12ihipStream_tbENKUlT_T0_E_clISt17integral_constantIbLb1EES13_IbLb0EEEEDaSZ_S10_EUlSZ_E_NS1_11comp_targetILNS1_3genE8ELNS1_11target_archE1030ELNS1_3gpuE2ELNS1_3repE0EEENS1_30default_config_static_selectorELNS0_4arch9wavefront6targetE0EEEvT1_.num_named_barrier, 0
	.set _ZN7rocprim17ROCPRIM_400000_NS6detail17trampoline_kernelINS0_14default_configENS1_27scan_by_key_config_selectorIssEEZZNS1_16scan_by_key_implILNS1_25lookback_scan_determinismE0ELb0ES3_N6thrust23THRUST_200600_302600_NS6detail15normal_iteratorINS9_10device_ptrIsEEEENS9_18transform_iteratorINS9_6negateIsEESE_NS9_11use_defaultESI_EESE_sNS9_4plusIvEENS9_8equal_toIvEEsEE10hipError_tPvRmT2_T3_T4_T5_mT6_T7_P12ihipStream_tbENKUlT_T0_E_clISt17integral_constantIbLb1EES13_IbLb0EEEEDaSZ_S10_EUlSZ_E_NS1_11comp_targetILNS1_3genE8ELNS1_11target_archE1030ELNS1_3gpuE2ELNS1_3repE0EEENS1_30default_config_static_selectorELNS0_4arch9wavefront6targetE0EEEvT1_.private_seg_size, 0
	.set _ZN7rocprim17ROCPRIM_400000_NS6detail17trampoline_kernelINS0_14default_configENS1_27scan_by_key_config_selectorIssEEZZNS1_16scan_by_key_implILNS1_25lookback_scan_determinismE0ELb0ES3_N6thrust23THRUST_200600_302600_NS6detail15normal_iteratorINS9_10device_ptrIsEEEENS9_18transform_iteratorINS9_6negateIsEESE_NS9_11use_defaultESI_EESE_sNS9_4plusIvEENS9_8equal_toIvEEsEE10hipError_tPvRmT2_T3_T4_T5_mT6_T7_P12ihipStream_tbENKUlT_T0_E_clISt17integral_constantIbLb1EES13_IbLb0EEEEDaSZ_S10_EUlSZ_E_NS1_11comp_targetILNS1_3genE8ELNS1_11target_archE1030ELNS1_3gpuE2ELNS1_3repE0EEENS1_30default_config_static_selectorELNS0_4arch9wavefront6targetE0EEEvT1_.uses_vcc, 0
	.set _ZN7rocprim17ROCPRIM_400000_NS6detail17trampoline_kernelINS0_14default_configENS1_27scan_by_key_config_selectorIssEEZZNS1_16scan_by_key_implILNS1_25lookback_scan_determinismE0ELb0ES3_N6thrust23THRUST_200600_302600_NS6detail15normal_iteratorINS9_10device_ptrIsEEEENS9_18transform_iteratorINS9_6negateIsEESE_NS9_11use_defaultESI_EESE_sNS9_4plusIvEENS9_8equal_toIvEEsEE10hipError_tPvRmT2_T3_T4_T5_mT6_T7_P12ihipStream_tbENKUlT_T0_E_clISt17integral_constantIbLb1EES13_IbLb0EEEEDaSZ_S10_EUlSZ_E_NS1_11comp_targetILNS1_3genE8ELNS1_11target_archE1030ELNS1_3gpuE2ELNS1_3repE0EEENS1_30default_config_static_selectorELNS0_4arch9wavefront6targetE0EEEvT1_.uses_flat_scratch, 0
	.set _ZN7rocprim17ROCPRIM_400000_NS6detail17trampoline_kernelINS0_14default_configENS1_27scan_by_key_config_selectorIssEEZZNS1_16scan_by_key_implILNS1_25lookback_scan_determinismE0ELb0ES3_N6thrust23THRUST_200600_302600_NS6detail15normal_iteratorINS9_10device_ptrIsEEEENS9_18transform_iteratorINS9_6negateIsEESE_NS9_11use_defaultESI_EESE_sNS9_4plusIvEENS9_8equal_toIvEEsEE10hipError_tPvRmT2_T3_T4_T5_mT6_T7_P12ihipStream_tbENKUlT_T0_E_clISt17integral_constantIbLb1EES13_IbLb0EEEEDaSZ_S10_EUlSZ_E_NS1_11comp_targetILNS1_3genE8ELNS1_11target_archE1030ELNS1_3gpuE2ELNS1_3repE0EEENS1_30default_config_static_selectorELNS0_4arch9wavefront6targetE0EEEvT1_.has_dyn_sized_stack, 0
	.set _ZN7rocprim17ROCPRIM_400000_NS6detail17trampoline_kernelINS0_14default_configENS1_27scan_by_key_config_selectorIssEEZZNS1_16scan_by_key_implILNS1_25lookback_scan_determinismE0ELb0ES3_N6thrust23THRUST_200600_302600_NS6detail15normal_iteratorINS9_10device_ptrIsEEEENS9_18transform_iteratorINS9_6negateIsEESE_NS9_11use_defaultESI_EESE_sNS9_4plusIvEENS9_8equal_toIvEEsEE10hipError_tPvRmT2_T3_T4_T5_mT6_T7_P12ihipStream_tbENKUlT_T0_E_clISt17integral_constantIbLb1EES13_IbLb0EEEEDaSZ_S10_EUlSZ_E_NS1_11comp_targetILNS1_3genE8ELNS1_11target_archE1030ELNS1_3gpuE2ELNS1_3repE0EEENS1_30default_config_static_selectorELNS0_4arch9wavefront6targetE0EEEvT1_.has_recursion, 0
	.set _ZN7rocprim17ROCPRIM_400000_NS6detail17trampoline_kernelINS0_14default_configENS1_27scan_by_key_config_selectorIssEEZZNS1_16scan_by_key_implILNS1_25lookback_scan_determinismE0ELb0ES3_N6thrust23THRUST_200600_302600_NS6detail15normal_iteratorINS9_10device_ptrIsEEEENS9_18transform_iteratorINS9_6negateIsEESE_NS9_11use_defaultESI_EESE_sNS9_4plusIvEENS9_8equal_toIvEEsEE10hipError_tPvRmT2_T3_T4_T5_mT6_T7_P12ihipStream_tbENKUlT_T0_E_clISt17integral_constantIbLb1EES13_IbLb0EEEEDaSZ_S10_EUlSZ_E_NS1_11comp_targetILNS1_3genE8ELNS1_11target_archE1030ELNS1_3gpuE2ELNS1_3repE0EEENS1_30default_config_static_selectorELNS0_4arch9wavefront6targetE0EEEvT1_.has_indirect_call, 0
	.section	.AMDGPU.csdata,"",@progbits
; Kernel info:
; codeLenInByte = 4
; TotalNumSgprs: 0
; NumVgprs: 0
; ScratchSize: 0
; MemoryBound: 0
; FloatMode: 240
; IeeeMode: 1
; LDSByteSize: 0 bytes/workgroup (compile time only)
; SGPRBlocks: 0
; VGPRBlocks: 0
; NumSGPRsForWavesPerEU: 1
; NumVGPRsForWavesPerEU: 1
; Occupancy: 16
; WaveLimiterHint : 0
; COMPUTE_PGM_RSRC2:SCRATCH_EN: 0
; COMPUTE_PGM_RSRC2:USER_SGPR: 6
; COMPUTE_PGM_RSRC2:TRAP_HANDLER: 0
; COMPUTE_PGM_RSRC2:TGID_X_EN: 1
; COMPUTE_PGM_RSRC2:TGID_Y_EN: 0
; COMPUTE_PGM_RSRC2:TGID_Z_EN: 0
; COMPUTE_PGM_RSRC2:TIDIG_COMP_CNT: 0
	.section	.text._ZN7rocprim17ROCPRIM_400000_NS6detail17trampoline_kernelINS0_14default_configENS1_27scan_by_key_config_selectorIssEEZZNS1_16scan_by_key_implILNS1_25lookback_scan_determinismE0ELb0ES3_N6thrust23THRUST_200600_302600_NS6detail15normal_iteratorINS9_10device_ptrIsEEEENS9_18transform_iteratorINS9_6negateIsEESE_NS9_11use_defaultESI_EESE_sNS9_4plusIvEENS9_8equal_toIvEEsEE10hipError_tPvRmT2_T3_T4_T5_mT6_T7_P12ihipStream_tbENKUlT_T0_E_clISt17integral_constantIbLb0EES13_IbLb1EEEEDaSZ_S10_EUlSZ_E_NS1_11comp_targetILNS1_3genE0ELNS1_11target_archE4294967295ELNS1_3gpuE0ELNS1_3repE0EEENS1_30default_config_static_selectorELNS0_4arch9wavefront6targetE0EEEvT1_,"axG",@progbits,_ZN7rocprim17ROCPRIM_400000_NS6detail17trampoline_kernelINS0_14default_configENS1_27scan_by_key_config_selectorIssEEZZNS1_16scan_by_key_implILNS1_25lookback_scan_determinismE0ELb0ES3_N6thrust23THRUST_200600_302600_NS6detail15normal_iteratorINS9_10device_ptrIsEEEENS9_18transform_iteratorINS9_6negateIsEESE_NS9_11use_defaultESI_EESE_sNS9_4plusIvEENS9_8equal_toIvEEsEE10hipError_tPvRmT2_T3_T4_T5_mT6_T7_P12ihipStream_tbENKUlT_T0_E_clISt17integral_constantIbLb0EES13_IbLb1EEEEDaSZ_S10_EUlSZ_E_NS1_11comp_targetILNS1_3genE0ELNS1_11target_archE4294967295ELNS1_3gpuE0ELNS1_3repE0EEENS1_30default_config_static_selectorELNS0_4arch9wavefront6targetE0EEEvT1_,comdat
	.protected	_ZN7rocprim17ROCPRIM_400000_NS6detail17trampoline_kernelINS0_14default_configENS1_27scan_by_key_config_selectorIssEEZZNS1_16scan_by_key_implILNS1_25lookback_scan_determinismE0ELb0ES3_N6thrust23THRUST_200600_302600_NS6detail15normal_iteratorINS9_10device_ptrIsEEEENS9_18transform_iteratorINS9_6negateIsEESE_NS9_11use_defaultESI_EESE_sNS9_4plusIvEENS9_8equal_toIvEEsEE10hipError_tPvRmT2_T3_T4_T5_mT6_T7_P12ihipStream_tbENKUlT_T0_E_clISt17integral_constantIbLb0EES13_IbLb1EEEEDaSZ_S10_EUlSZ_E_NS1_11comp_targetILNS1_3genE0ELNS1_11target_archE4294967295ELNS1_3gpuE0ELNS1_3repE0EEENS1_30default_config_static_selectorELNS0_4arch9wavefront6targetE0EEEvT1_ ; -- Begin function _ZN7rocprim17ROCPRIM_400000_NS6detail17trampoline_kernelINS0_14default_configENS1_27scan_by_key_config_selectorIssEEZZNS1_16scan_by_key_implILNS1_25lookback_scan_determinismE0ELb0ES3_N6thrust23THRUST_200600_302600_NS6detail15normal_iteratorINS9_10device_ptrIsEEEENS9_18transform_iteratorINS9_6negateIsEESE_NS9_11use_defaultESI_EESE_sNS9_4plusIvEENS9_8equal_toIvEEsEE10hipError_tPvRmT2_T3_T4_T5_mT6_T7_P12ihipStream_tbENKUlT_T0_E_clISt17integral_constantIbLb0EES13_IbLb1EEEEDaSZ_S10_EUlSZ_E_NS1_11comp_targetILNS1_3genE0ELNS1_11target_archE4294967295ELNS1_3gpuE0ELNS1_3repE0EEENS1_30default_config_static_selectorELNS0_4arch9wavefront6targetE0EEEvT1_
	.globl	_ZN7rocprim17ROCPRIM_400000_NS6detail17trampoline_kernelINS0_14default_configENS1_27scan_by_key_config_selectorIssEEZZNS1_16scan_by_key_implILNS1_25lookback_scan_determinismE0ELb0ES3_N6thrust23THRUST_200600_302600_NS6detail15normal_iteratorINS9_10device_ptrIsEEEENS9_18transform_iteratorINS9_6negateIsEESE_NS9_11use_defaultESI_EESE_sNS9_4plusIvEENS9_8equal_toIvEEsEE10hipError_tPvRmT2_T3_T4_T5_mT6_T7_P12ihipStream_tbENKUlT_T0_E_clISt17integral_constantIbLb0EES13_IbLb1EEEEDaSZ_S10_EUlSZ_E_NS1_11comp_targetILNS1_3genE0ELNS1_11target_archE4294967295ELNS1_3gpuE0ELNS1_3repE0EEENS1_30default_config_static_selectorELNS0_4arch9wavefront6targetE0EEEvT1_
	.p2align	8
	.type	_ZN7rocprim17ROCPRIM_400000_NS6detail17trampoline_kernelINS0_14default_configENS1_27scan_by_key_config_selectorIssEEZZNS1_16scan_by_key_implILNS1_25lookback_scan_determinismE0ELb0ES3_N6thrust23THRUST_200600_302600_NS6detail15normal_iteratorINS9_10device_ptrIsEEEENS9_18transform_iteratorINS9_6negateIsEESE_NS9_11use_defaultESI_EESE_sNS9_4plusIvEENS9_8equal_toIvEEsEE10hipError_tPvRmT2_T3_T4_T5_mT6_T7_P12ihipStream_tbENKUlT_T0_E_clISt17integral_constantIbLb0EES13_IbLb1EEEEDaSZ_S10_EUlSZ_E_NS1_11comp_targetILNS1_3genE0ELNS1_11target_archE4294967295ELNS1_3gpuE0ELNS1_3repE0EEENS1_30default_config_static_selectorELNS0_4arch9wavefront6targetE0EEEvT1_,@function
_ZN7rocprim17ROCPRIM_400000_NS6detail17trampoline_kernelINS0_14default_configENS1_27scan_by_key_config_selectorIssEEZZNS1_16scan_by_key_implILNS1_25lookback_scan_determinismE0ELb0ES3_N6thrust23THRUST_200600_302600_NS6detail15normal_iteratorINS9_10device_ptrIsEEEENS9_18transform_iteratorINS9_6negateIsEESE_NS9_11use_defaultESI_EESE_sNS9_4plusIvEENS9_8equal_toIvEEsEE10hipError_tPvRmT2_T3_T4_T5_mT6_T7_P12ihipStream_tbENKUlT_T0_E_clISt17integral_constantIbLb0EES13_IbLb1EEEEDaSZ_S10_EUlSZ_E_NS1_11comp_targetILNS1_3genE0ELNS1_11target_archE4294967295ELNS1_3gpuE0ELNS1_3repE0EEENS1_30default_config_static_selectorELNS0_4arch9wavefront6targetE0EEEvT1_: ; @_ZN7rocprim17ROCPRIM_400000_NS6detail17trampoline_kernelINS0_14default_configENS1_27scan_by_key_config_selectorIssEEZZNS1_16scan_by_key_implILNS1_25lookback_scan_determinismE0ELb0ES3_N6thrust23THRUST_200600_302600_NS6detail15normal_iteratorINS9_10device_ptrIsEEEENS9_18transform_iteratorINS9_6negateIsEESE_NS9_11use_defaultESI_EESE_sNS9_4plusIvEENS9_8equal_toIvEEsEE10hipError_tPvRmT2_T3_T4_T5_mT6_T7_P12ihipStream_tbENKUlT_T0_E_clISt17integral_constantIbLb0EES13_IbLb1EEEEDaSZ_S10_EUlSZ_E_NS1_11comp_targetILNS1_3genE0ELNS1_11target_archE4294967295ELNS1_3gpuE0ELNS1_3repE0EEENS1_30default_config_static_selectorELNS0_4arch9wavefront6targetE0EEEvT1_
; %bb.0:
	.section	.rodata,"a",@progbits
	.p2align	6, 0x0
	.amdhsa_kernel _ZN7rocprim17ROCPRIM_400000_NS6detail17trampoline_kernelINS0_14default_configENS1_27scan_by_key_config_selectorIssEEZZNS1_16scan_by_key_implILNS1_25lookback_scan_determinismE0ELb0ES3_N6thrust23THRUST_200600_302600_NS6detail15normal_iteratorINS9_10device_ptrIsEEEENS9_18transform_iteratorINS9_6negateIsEESE_NS9_11use_defaultESI_EESE_sNS9_4plusIvEENS9_8equal_toIvEEsEE10hipError_tPvRmT2_T3_T4_T5_mT6_T7_P12ihipStream_tbENKUlT_T0_E_clISt17integral_constantIbLb0EES13_IbLb1EEEEDaSZ_S10_EUlSZ_E_NS1_11comp_targetILNS1_3genE0ELNS1_11target_archE4294967295ELNS1_3gpuE0ELNS1_3repE0EEENS1_30default_config_static_selectorELNS0_4arch9wavefront6targetE0EEEvT1_
		.amdhsa_group_segment_fixed_size 0
		.amdhsa_private_segment_fixed_size 0
		.amdhsa_kernarg_size 120
		.amdhsa_user_sgpr_count 6
		.amdhsa_user_sgpr_private_segment_buffer 1
		.amdhsa_user_sgpr_dispatch_ptr 0
		.amdhsa_user_sgpr_queue_ptr 0
		.amdhsa_user_sgpr_kernarg_segment_ptr 1
		.amdhsa_user_sgpr_dispatch_id 0
		.amdhsa_user_sgpr_flat_scratch_init 0
		.amdhsa_user_sgpr_private_segment_size 0
		.amdhsa_wavefront_size32 1
		.amdhsa_uses_dynamic_stack 0
		.amdhsa_system_sgpr_private_segment_wavefront_offset 0
		.amdhsa_system_sgpr_workgroup_id_x 1
		.amdhsa_system_sgpr_workgroup_id_y 0
		.amdhsa_system_sgpr_workgroup_id_z 0
		.amdhsa_system_sgpr_workgroup_info 0
		.amdhsa_system_vgpr_workitem_id 0
		.amdhsa_next_free_vgpr 1
		.amdhsa_next_free_sgpr 1
		.amdhsa_reserve_vcc 0
		.amdhsa_reserve_flat_scratch 0
		.amdhsa_float_round_mode_32 0
		.amdhsa_float_round_mode_16_64 0
		.amdhsa_float_denorm_mode_32 3
		.amdhsa_float_denorm_mode_16_64 3
		.amdhsa_dx10_clamp 1
		.amdhsa_ieee_mode 1
		.amdhsa_fp16_overflow 0
		.amdhsa_workgroup_processor_mode 1
		.amdhsa_memory_ordered 1
		.amdhsa_forward_progress 1
		.amdhsa_shared_vgpr_count 0
		.amdhsa_exception_fp_ieee_invalid_op 0
		.amdhsa_exception_fp_denorm_src 0
		.amdhsa_exception_fp_ieee_div_zero 0
		.amdhsa_exception_fp_ieee_overflow 0
		.amdhsa_exception_fp_ieee_underflow 0
		.amdhsa_exception_fp_ieee_inexact 0
		.amdhsa_exception_int_div_zero 0
	.end_amdhsa_kernel
	.section	.text._ZN7rocprim17ROCPRIM_400000_NS6detail17trampoline_kernelINS0_14default_configENS1_27scan_by_key_config_selectorIssEEZZNS1_16scan_by_key_implILNS1_25lookback_scan_determinismE0ELb0ES3_N6thrust23THRUST_200600_302600_NS6detail15normal_iteratorINS9_10device_ptrIsEEEENS9_18transform_iteratorINS9_6negateIsEESE_NS9_11use_defaultESI_EESE_sNS9_4plusIvEENS9_8equal_toIvEEsEE10hipError_tPvRmT2_T3_T4_T5_mT6_T7_P12ihipStream_tbENKUlT_T0_E_clISt17integral_constantIbLb0EES13_IbLb1EEEEDaSZ_S10_EUlSZ_E_NS1_11comp_targetILNS1_3genE0ELNS1_11target_archE4294967295ELNS1_3gpuE0ELNS1_3repE0EEENS1_30default_config_static_selectorELNS0_4arch9wavefront6targetE0EEEvT1_,"axG",@progbits,_ZN7rocprim17ROCPRIM_400000_NS6detail17trampoline_kernelINS0_14default_configENS1_27scan_by_key_config_selectorIssEEZZNS1_16scan_by_key_implILNS1_25lookback_scan_determinismE0ELb0ES3_N6thrust23THRUST_200600_302600_NS6detail15normal_iteratorINS9_10device_ptrIsEEEENS9_18transform_iteratorINS9_6negateIsEESE_NS9_11use_defaultESI_EESE_sNS9_4plusIvEENS9_8equal_toIvEEsEE10hipError_tPvRmT2_T3_T4_T5_mT6_T7_P12ihipStream_tbENKUlT_T0_E_clISt17integral_constantIbLb0EES13_IbLb1EEEEDaSZ_S10_EUlSZ_E_NS1_11comp_targetILNS1_3genE0ELNS1_11target_archE4294967295ELNS1_3gpuE0ELNS1_3repE0EEENS1_30default_config_static_selectorELNS0_4arch9wavefront6targetE0EEEvT1_,comdat
.Lfunc_end992:
	.size	_ZN7rocprim17ROCPRIM_400000_NS6detail17trampoline_kernelINS0_14default_configENS1_27scan_by_key_config_selectorIssEEZZNS1_16scan_by_key_implILNS1_25lookback_scan_determinismE0ELb0ES3_N6thrust23THRUST_200600_302600_NS6detail15normal_iteratorINS9_10device_ptrIsEEEENS9_18transform_iteratorINS9_6negateIsEESE_NS9_11use_defaultESI_EESE_sNS9_4plusIvEENS9_8equal_toIvEEsEE10hipError_tPvRmT2_T3_T4_T5_mT6_T7_P12ihipStream_tbENKUlT_T0_E_clISt17integral_constantIbLb0EES13_IbLb1EEEEDaSZ_S10_EUlSZ_E_NS1_11comp_targetILNS1_3genE0ELNS1_11target_archE4294967295ELNS1_3gpuE0ELNS1_3repE0EEENS1_30default_config_static_selectorELNS0_4arch9wavefront6targetE0EEEvT1_, .Lfunc_end992-_ZN7rocprim17ROCPRIM_400000_NS6detail17trampoline_kernelINS0_14default_configENS1_27scan_by_key_config_selectorIssEEZZNS1_16scan_by_key_implILNS1_25lookback_scan_determinismE0ELb0ES3_N6thrust23THRUST_200600_302600_NS6detail15normal_iteratorINS9_10device_ptrIsEEEENS9_18transform_iteratorINS9_6negateIsEESE_NS9_11use_defaultESI_EESE_sNS9_4plusIvEENS9_8equal_toIvEEsEE10hipError_tPvRmT2_T3_T4_T5_mT6_T7_P12ihipStream_tbENKUlT_T0_E_clISt17integral_constantIbLb0EES13_IbLb1EEEEDaSZ_S10_EUlSZ_E_NS1_11comp_targetILNS1_3genE0ELNS1_11target_archE4294967295ELNS1_3gpuE0ELNS1_3repE0EEENS1_30default_config_static_selectorELNS0_4arch9wavefront6targetE0EEEvT1_
                                        ; -- End function
	.set _ZN7rocprim17ROCPRIM_400000_NS6detail17trampoline_kernelINS0_14default_configENS1_27scan_by_key_config_selectorIssEEZZNS1_16scan_by_key_implILNS1_25lookback_scan_determinismE0ELb0ES3_N6thrust23THRUST_200600_302600_NS6detail15normal_iteratorINS9_10device_ptrIsEEEENS9_18transform_iteratorINS9_6negateIsEESE_NS9_11use_defaultESI_EESE_sNS9_4plusIvEENS9_8equal_toIvEEsEE10hipError_tPvRmT2_T3_T4_T5_mT6_T7_P12ihipStream_tbENKUlT_T0_E_clISt17integral_constantIbLb0EES13_IbLb1EEEEDaSZ_S10_EUlSZ_E_NS1_11comp_targetILNS1_3genE0ELNS1_11target_archE4294967295ELNS1_3gpuE0ELNS1_3repE0EEENS1_30default_config_static_selectorELNS0_4arch9wavefront6targetE0EEEvT1_.num_vgpr, 0
	.set _ZN7rocprim17ROCPRIM_400000_NS6detail17trampoline_kernelINS0_14default_configENS1_27scan_by_key_config_selectorIssEEZZNS1_16scan_by_key_implILNS1_25lookback_scan_determinismE0ELb0ES3_N6thrust23THRUST_200600_302600_NS6detail15normal_iteratorINS9_10device_ptrIsEEEENS9_18transform_iteratorINS9_6negateIsEESE_NS9_11use_defaultESI_EESE_sNS9_4plusIvEENS9_8equal_toIvEEsEE10hipError_tPvRmT2_T3_T4_T5_mT6_T7_P12ihipStream_tbENKUlT_T0_E_clISt17integral_constantIbLb0EES13_IbLb1EEEEDaSZ_S10_EUlSZ_E_NS1_11comp_targetILNS1_3genE0ELNS1_11target_archE4294967295ELNS1_3gpuE0ELNS1_3repE0EEENS1_30default_config_static_selectorELNS0_4arch9wavefront6targetE0EEEvT1_.num_agpr, 0
	.set _ZN7rocprim17ROCPRIM_400000_NS6detail17trampoline_kernelINS0_14default_configENS1_27scan_by_key_config_selectorIssEEZZNS1_16scan_by_key_implILNS1_25lookback_scan_determinismE0ELb0ES3_N6thrust23THRUST_200600_302600_NS6detail15normal_iteratorINS9_10device_ptrIsEEEENS9_18transform_iteratorINS9_6negateIsEESE_NS9_11use_defaultESI_EESE_sNS9_4plusIvEENS9_8equal_toIvEEsEE10hipError_tPvRmT2_T3_T4_T5_mT6_T7_P12ihipStream_tbENKUlT_T0_E_clISt17integral_constantIbLb0EES13_IbLb1EEEEDaSZ_S10_EUlSZ_E_NS1_11comp_targetILNS1_3genE0ELNS1_11target_archE4294967295ELNS1_3gpuE0ELNS1_3repE0EEENS1_30default_config_static_selectorELNS0_4arch9wavefront6targetE0EEEvT1_.numbered_sgpr, 0
	.set _ZN7rocprim17ROCPRIM_400000_NS6detail17trampoline_kernelINS0_14default_configENS1_27scan_by_key_config_selectorIssEEZZNS1_16scan_by_key_implILNS1_25lookback_scan_determinismE0ELb0ES3_N6thrust23THRUST_200600_302600_NS6detail15normal_iteratorINS9_10device_ptrIsEEEENS9_18transform_iteratorINS9_6negateIsEESE_NS9_11use_defaultESI_EESE_sNS9_4plusIvEENS9_8equal_toIvEEsEE10hipError_tPvRmT2_T3_T4_T5_mT6_T7_P12ihipStream_tbENKUlT_T0_E_clISt17integral_constantIbLb0EES13_IbLb1EEEEDaSZ_S10_EUlSZ_E_NS1_11comp_targetILNS1_3genE0ELNS1_11target_archE4294967295ELNS1_3gpuE0ELNS1_3repE0EEENS1_30default_config_static_selectorELNS0_4arch9wavefront6targetE0EEEvT1_.num_named_barrier, 0
	.set _ZN7rocprim17ROCPRIM_400000_NS6detail17trampoline_kernelINS0_14default_configENS1_27scan_by_key_config_selectorIssEEZZNS1_16scan_by_key_implILNS1_25lookback_scan_determinismE0ELb0ES3_N6thrust23THRUST_200600_302600_NS6detail15normal_iteratorINS9_10device_ptrIsEEEENS9_18transform_iteratorINS9_6negateIsEESE_NS9_11use_defaultESI_EESE_sNS9_4plusIvEENS9_8equal_toIvEEsEE10hipError_tPvRmT2_T3_T4_T5_mT6_T7_P12ihipStream_tbENKUlT_T0_E_clISt17integral_constantIbLb0EES13_IbLb1EEEEDaSZ_S10_EUlSZ_E_NS1_11comp_targetILNS1_3genE0ELNS1_11target_archE4294967295ELNS1_3gpuE0ELNS1_3repE0EEENS1_30default_config_static_selectorELNS0_4arch9wavefront6targetE0EEEvT1_.private_seg_size, 0
	.set _ZN7rocprim17ROCPRIM_400000_NS6detail17trampoline_kernelINS0_14default_configENS1_27scan_by_key_config_selectorIssEEZZNS1_16scan_by_key_implILNS1_25lookback_scan_determinismE0ELb0ES3_N6thrust23THRUST_200600_302600_NS6detail15normal_iteratorINS9_10device_ptrIsEEEENS9_18transform_iteratorINS9_6negateIsEESE_NS9_11use_defaultESI_EESE_sNS9_4plusIvEENS9_8equal_toIvEEsEE10hipError_tPvRmT2_T3_T4_T5_mT6_T7_P12ihipStream_tbENKUlT_T0_E_clISt17integral_constantIbLb0EES13_IbLb1EEEEDaSZ_S10_EUlSZ_E_NS1_11comp_targetILNS1_3genE0ELNS1_11target_archE4294967295ELNS1_3gpuE0ELNS1_3repE0EEENS1_30default_config_static_selectorELNS0_4arch9wavefront6targetE0EEEvT1_.uses_vcc, 0
	.set _ZN7rocprim17ROCPRIM_400000_NS6detail17trampoline_kernelINS0_14default_configENS1_27scan_by_key_config_selectorIssEEZZNS1_16scan_by_key_implILNS1_25lookback_scan_determinismE0ELb0ES3_N6thrust23THRUST_200600_302600_NS6detail15normal_iteratorINS9_10device_ptrIsEEEENS9_18transform_iteratorINS9_6negateIsEESE_NS9_11use_defaultESI_EESE_sNS9_4plusIvEENS9_8equal_toIvEEsEE10hipError_tPvRmT2_T3_T4_T5_mT6_T7_P12ihipStream_tbENKUlT_T0_E_clISt17integral_constantIbLb0EES13_IbLb1EEEEDaSZ_S10_EUlSZ_E_NS1_11comp_targetILNS1_3genE0ELNS1_11target_archE4294967295ELNS1_3gpuE0ELNS1_3repE0EEENS1_30default_config_static_selectorELNS0_4arch9wavefront6targetE0EEEvT1_.uses_flat_scratch, 0
	.set _ZN7rocprim17ROCPRIM_400000_NS6detail17trampoline_kernelINS0_14default_configENS1_27scan_by_key_config_selectorIssEEZZNS1_16scan_by_key_implILNS1_25lookback_scan_determinismE0ELb0ES3_N6thrust23THRUST_200600_302600_NS6detail15normal_iteratorINS9_10device_ptrIsEEEENS9_18transform_iteratorINS9_6negateIsEESE_NS9_11use_defaultESI_EESE_sNS9_4plusIvEENS9_8equal_toIvEEsEE10hipError_tPvRmT2_T3_T4_T5_mT6_T7_P12ihipStream_tbENKUlT_T0_E_clISt17integral_constantIbLb0EES13_IbLb1EEEEDaSZ_S10_EUlSZ_E_NS1_11comp_targetILNS1_3genE0ELNS1_11target_archE4294967295ELNS1_3gpuE0ELNS1_3repE0EEENS1_30default_config_static_selectorELNS0_4arch9wavefront6targetE0EEEvT1_.has_dyn_sized_stack, 0
	.set _ZN7rocprim17ROCPRIM_400000_NS6detail17trampoline_kernelINS0_14default_configENS1_27scan_by_key_config_selectorIssEEZZNS1_16scan_by_key_implILNS1_25lookback_scan_determinismE0ELb0ES3_N6thrust23THRUST_200600_302600_NS6detail15normal_iteratorINS9_10device_ptrIsEEEENS9_18transform_iteratorINS9_6negateIsEESE_NS9_11use_defaultESI_EESE_sNS9_4plusIvEENS9_8equal_toIvEEsEE10hipError_tPvRmT2_T3_T4_T5_mT6_T7_P12ihipStream_tbENKUlT_T0_E_clISt17integral_constantIbLb0EES13_IbLb1EEEEDaSZ_S10_EUlSZ_E_NS1_11comp_targetILNS1_3genE0ELNS1_11target_archE4294967295ELNS1_3gpuE0ELNS1_3repE0EEENS1_30default_config_static_selectorELNS0_4arch9wavefront6targetE0EEEvT1_.has_recursion, 0
	.set _ZN7rocprim17ROCPRIM_400000_NS6detail17trampoline_kernelINS0_14default_configENS1_27scan_by_key_config_selectorIssEEZZNS1_16scan_by_key_implILNS1_25lookback_scan_determinismE0ELb0ES3_N6thrust23THRUST_200600_302600_NS6detail15normal_iteratorINS9_10device_ptrIsEEEENS9_18transform_iteratorINS9_6negateIsEESE_NS9_11use_defaultESI_EESE_sNS9_4plusIvEENS9_8equal_toIvEEsEE10hipError_tPvRmT2_T3_T4_T5_mT6_T7_P12ihipStream_tbENKUlT_T0_E_clISt17integral_constantIbLb0EES13_IbLb1EEEEDaSZ_S10_EUlSZ_E_NS1_11comp_targetILNS1_3genE0ELNS1_11target_archE4294967295ELNS1_3gpuE0ELNS1_3repE0EEENS1_30default_config_static_selectorELNS0_4arch9wavefront6targetE0EEEvT1_.has_indirect_call, 0
	.section	.AMDGPU.csdata,"",@progbits
; Kernel info:
; codeLenInByte = 0
; TotalNumSgprs: 0
; NumVgprs: 0
; ScratchSize: 0
; MemoryBound: 0
; FloatMode: 240
; IeeeMode: 1
; LDSByteSize: 0 bytes/workgroup (compile time only)
; SGPRBlocks: 0
; VGPRBlocks: 0
; NumSGPRsForWavesPerEU: 1
; NumVGPRsForWavesPerEU: 1
; Occupancy: 16
; WaveLimiterHint : 0
; COMPUTE_PGM_RSRC2:SCRATCH_EN: 0
; COMPUTE_PGM_RSRC2:USER_SGPR: 6
; COMPUTE_PGM_RSRC2:TRAP_HANDLER: 0
; COMPUTE_PGM_RSRC2:TGID_X_EN: 1
; COMPUTE_PGM_RSRC2:TGID_Y_EN: 0
; COMPUTE_PGM_RSRC2:TGID_Z_EN: 0
; COMPUTE_PGM_RSRC2:TIDIG_COMP_CNT: 0
	.section	.text._ZN7rocprim17ROCPRIM_400000_NS6detail17trampoline_kernelINS0_14default_configENS1_27scan_by_key_config_selectorIssEEZZNS1_16scan_by_key_implILNS1_25lookback_scan_determinismE0ELb0ES3_N6thrust23THRUST_200600_302600_NS6detail15normal_iteratorINS9_10device_ptrIsEEEENS9_18transform_iteratorINS9_6negateIsEESE_NS9_11use_defaultESI_EESE_sNS9_4plusIvEENS9_8equal_toIvEEsEE10hipError_tPvRmT2_T3_T4_T5_mT6_T7_P12ihipStream_tbENKUlT_T0_E_clISt17integral_constantIbLb0EES13_IbLb1EEEEDaSZ_S10_EUlSZ_E_NS1_11comp_targetILNS1_3genE10ELNS1_11target_archE1201ELNS1_3gpuE5ELNS1_3repE0EEENS1_30default_config_static_selectorELNS0_4arch9wavefront6targetE0EEEvT1_,"axG",@progbits,_ZN7rocprim17ROCPRIM_400000_NS6detail17trampoline_kernelINS0_14default_configENS1_27scan_by_key_config_selectorIssEEZZNS1_16scan_by_key_implILNS1_25lookback_scan_determinismE0ELb0ES3_N6thrust23THRUST_200600_302600_NS6detail15normal_iteratorINS9_10device_ptrIsEEEENS9_18transform_iteratorINS9_6negateIsEESE_NS9_11use_defaultESI_EESE_sNS9_4plusIvEENS9_8equal_toIvEEsEE10hipError_tPvRmT2_T3_T4_T5_mT6_T7_P12ihipStream_tbENKUlT_T0_E_clISt17integral_constantIbLb0EES13_IbLb1EEEEDaSZ_S10_EUlSZ_E_NS1_11comp_targetILNS1_3genE10ELNS1_11target_archE1201ELNS1_3gpuE5ELNS1_3repE0EEENS1_30default_config_static_selectorELNS0_4arch9wavefront6targetE0EEEvT1_,comdat
	.protected	_ZN7rocprim17ROCPRIM_400000_NS6detail17trampoline_kernelINS0_14default_configENS1_27scan_by_key_config_selectorIssEEZZNS1_16scan_by_key_implILNS1_25lookback_scan_determinismE0ELb0ES3_N6thrust23THRUST_200600_302600_NS6detail15normal_iteratorINS9_10device_ptrIsEEEENS9_18transform_iteratorINS9_6negateIsEESE_NS9_11use_defaultESI_EESE_sNS9_4plusIvEENS9_8equal_toIvEEsEE10hipError_tPvRmT2_T3_T4_T5_mT6_T7_P12ihipStream_tbENKUlT_T0_E_clISt17integral_constantIbLb0EES13_IbLb1EEEEDaSZ_S10_EUlSZ_E_NS1_11comp_targetILNS1_3genE10ELNS1_11target_archE1201ELNS1_3gpuE5ELNS1_3repE0EEENS1_30default_config_static_selectorELNS0_4arch9wavefront6targetE0EEEvT1_ ; -- Begin function _ZN7rocprim17ROCPRIM_400000_NS6detail17trampoline_kernelINS0_14default_configENS1_27scan_by_key_config_selectorIssEEZZNS1_16scan_by_key_implILNS1_25lookback_scan_determinismE0ELb0ES3_N6thrust23THRUST_200600_302600_NS6detail15normal_iteratorINS9_10device_ptrIsEEEENS9_18transform_iteratorINS9_6negateIsEESE_NS9_11use_defaultESI_EESE_sNS9_4plusIvEENS9_8equal_toIvEEsEE10hipError_tPvRmT2_T3_T4_T5_mT6_T7_P12ihipStream_tbENKUlT_T0_E_clISt17integral_constantIbLb0EES13_IbLb1EEEEDaSZ_S10_EUlSZ_E_NS1_11comp_targetILNS1_3genE10ELNS1_11target_archE1201ELNS1_3gpuE5ELNS1_3repE0EEENS1_30default_config_static_selectorELNS0_4arch9wavefront6targetE0EEEvT1_
	.globl	_ZN7rocprim17ROCPRIM_400000_NS6detail17trampoline_kernelINS0_14default_configENS1_27scan_by_key_config_selectorIssEEZZNS1_16scan_by_key_implILNS1_25lookback_scan_determinismE0ELb0ES3_N6thrust23THRUST_200600_302600_NS6detail15normal_iteratorINS9_10device_ptrIsEEEENS9_18transform_iteratorINS9_6negateIsEESE_NS9_11use_defaultESI_EESE_sNS9_4plusIvEENS9_8equal_toIvEEsEE10hipError_tPvRmT2_T3_T4_T5_mT6_T7_P12ihipStream_tbENKUlT_T0_E_clISt17integral_constantIbLb0EES13_IbLb1EEEEDaSZ_S10_EUlSZ_E_NS1_11comp_targetILNS1_3genE10ELNS1_11target_archE1201ELNS1_3gpuE5ELNS1_3repE0EEENS1_30default_config_static_selectorELNS0_4arch9wavefront6targetE0EEEvT1_
	.p2align	8
	.type	_ZN7rocprim17ROCPRIM_400000_NS6detail17trampoline_kernelINS0_14default_configENS1_27scan_by_key_config_selectorIssEEZZNS1_16scan_by_key_implILNS1_25lookback_scan_determinismE0ELb0ES3_N6thrust23THRUST_200600_302600_NS6detail15normal_iteratorINS9_10device_ptrIsEEEENS9_18transform_iteratorINS9_6negateIsEESE_NS9_11use_defaultESI_EESE_sNS9_4plusIvEENS9_8equal_toIvEEsEE10hipError_tPvRmT2_T3_T4_T5_mT6_T7_P12ihipStream_tbENKUlT_T0_E_clISt17integral_constantIbLb0EES13_IbLb1EEEEDaSZ_S10_EUlSZ_E_NS1_11comp_targetILNS1_3genE10ELNS1_11target_archE1201ELNS1_3gpuE5ELNS1_3repE0EEENS1_30default_config_static_selectorELNS0_4arch9wavefront6targetE0EEEvT1_,@function
_ZN7rocprim17ROCPRIM_400000_NS6detail17trampoline_kernelINS0_14default_configENS1_27scan_by_key_config_selectorIssEEZZNS1_16scan_by_key_implILNS1_25lookback_scan_determinismE0ELb0ES3_N6thrust23THRUST_200600_302600_NS6detail15normal_iteratorINS9_10device_ptrIsEEEENS9_18transform_iteratorINS9_6negateIsEESE_NS9_11use_defaultESI_EESE_sNS9_4plusIvEENS9_8equal_toIvEEsEE10hipError_tPvRmT2_T3_T4_T5_mT6_T7_P12ihipStream_tbENKUlT_T0_E_clISt17integral_constantIbLb0EES13_IbLb1EEEEDaSZ_S10_EUlSZ_E_NS1_11comp_targetILNS1_3genE10ELNS1_11target_archE1201ELNS1_3gpuE5ELNS1_3repE0EEENS1_30default_config_static_selectorELNS0_4arch9wavefront6targetE0EEEvT1_: ; @_ZN7rocprim17ROCPRIM_400000_NS6detail17trampoline_kernelINS0_14default_configENS1_27scan_by_key_config_selectorIssEEZZNS1_16scan_by_key_implILNS1_25lookback_scan_determinismE0ELb0ES3_N6thrust23THRUST_200600_302600_NS6detail15normal_iteratorINS9_10device_ptrIsEEEENS9_18transform_iteratorINS9_6negateIsEESE_NS9_11use_defaultESI_EESE_sNS9_4plusIvEENS9_8equal_toIvEEsEE10hipError_tPvRmT2_T3_T4_T5_mT6_T7_P12ihipStream_tbENKUlT_T0_E_clISt17integral_constantIbLb0EES13_IbLb1EEEEDaSZ_S10_EUlSZ_E_NS1_11comp_targetILNS1_3genE10ELNS1_11target_archE1201ELNS1_3gpuE5ELNS1_3repE0EEENS1_30default_config_static_selectorELNS0_4arch9wavefront6targetE0EEEvT1_
; %bb.0:
	.section	.rodata,"a",@progbits
	.p2align	6, 0x0
	.amdhsa_kernel _ZN7rocprim17ROCPRIM_400000_NS6detail17trampoline_kernelINS0_14default_configENS1_27scan_by_key_config_selectorIssEEZZNS1_16scan_by_key_implILNS1_25lookback_scan_determinismE0ELb0ES3_N6thrust23THRUST_200600_302600_NS6detail15normal_iteratorINS9_10device_ptrIsEEEENS9_18transform_iteratorINS9_6negateIsEESE_NS9_11use_defaultESI_EESE_sNS9_4plusIvEENS9_8equal_toIvEEsEE10hipError_tPvRmT2_T3_T4_T5_mT6_T7_P12ihipStream_tbENKUlT_T0_E_clISt17integral_constantIbLb0EES13_IbLb1EEEEDaSZ_S10_EUlSZ_E_NS1_11comp_targetILNS1_3genE10ELNS1_11target_archE1201ELNS1_3gpuE5ELNS1_3repE0EEENS1_30default_config_static_selectorELNS0_4arch9wavefront6targetE0EEEvT1_
		.amdhsa_group_segment_fixed_size 0
		.amdhsa_private_segment_fixed_size 0
		.amdhsa_kernarg_size 120
		.amdhsa_user_sgpr_count 6
		.amdhsa_user_sgpr_private_segment_buffer 1
		.amdhsa_user_sgpr_dispatch_ptr 0
		.amdhsa_user_sgpr_queue_ptr 0
		.amdhsa_user_sgpr_kernarg_segment_ptr 1
		.amdhsa_user_sgpr_dispatch_id 0
		.amdhsa_user_sgpr_flat_scratch_init 0
		.amdhsa_user_sgpr_private_segment_size 0
		.amdhsa_wavefront_size32 1
		.amdhsa_uses_dynamic_stack 0
		.amdhsa_system_sgpr_private_segment_wavefront_offset 0
		.amdhsa_system_sgpr_workgroup_id_x 1
		.amdhsa_system_sgpr_workgroup_id_y 0
		.amdhsa_system_sgpr_workgroup_id_z 0
		.amdhsa_system_sgpr_workgroup_info 0
		.amdhsa_system_vgpr_workitem_id 0
		.amdhsa_next_free_vgpr 1
		.amdhsa_next_free_sgpr 1
		.amdhsa_reserve_vcc 0
		.amdhsa_reserve_flat_scratch 0
		.amdhsa_float_round_mode_32 0
		.amdhsa_float_round_mode_16_64 0
		.amdhsa_float_denorm_mode_32 3
		.amdhsa_float_denorm_mode_16_64 3
		.amdhsa_dx10_clamp 1
		.amdhsa_ieee_mode 1
		.amdhsa_fp16_overflow 0
		.amdhsa_workgroup_processor_mode 1
		.amdhsa_memory_ordered 1
		.amdhsa_forward_progress 1
		.amdhsa_shared_vgpr_count 0
		.amdhsa_exception_fp_ieee_invalid_op 0
		.amdhsa_exception_fp_denorm_src 0
		.amdhsa_exception_fp_ieee_div_zero 0
		.amdhsa_exception_fp_ieee_overflow 0
		.amdhsa_exception_fp_ieee_underflow 0
		.amdhsa_exception_fp_ieee_inexact 0
		.amdhsa_exception_int_div_zero 0
	.end_amdhsa_kernel
	.section	.text._ZN7rocprim17ROCPRIM_400000_NS6detail17trampoline_kernelINS0_14default_configENS1_27scan_by_key_config_selectorIssEEZZNS1_16scan_by_key_implILNS1_25lookback_scan_determinismE0ELb0ES3_N6thrust23THRUST_200600_302600_NS6detail15normal_iteratorINS9_10device_ptrIsEEEENS9_18transform_iteratorINS9_6negateIsEESE_NS9_11use_defaultESI_EESE_sNS9_4plusIvEENS9_8equal_toIvEEsEE10hipError_tPvRmT2_T3_T4_T5_mT6_T7_P12ihipStream_tbENKUlT_T0_E_clISt17integral_constantIbLb0EES13_IbLb1EEEEDaSZ_S10_EUlSZ_E_NS1_11comp_targetILNS1_3genE10ELNS1_11target_archE1201ELNS1_3gpuE5ELNS1_3repE0EEENS1_30default_config_static_selectorELNS0_4arch9wavefront6targetE0EEEvT1_,"axG",@progbits,_ZN7rocprim17ROCPRIM_400000_NS6detail17trampoline_kernelINS0_14default_configENS1_27scan_by_key_config_selectorIssEEZZNS1_16scan_by_key_implILNS1_25lookback_scan_determinismE0ELb0ES3_N6thrust23THRUST_200600_302600_NS6detail15normal_iteratorINS9_10device_ptrIsEEEENS9_18transform_iteratorINS9_6negateIsEESE_NS9_11use_defaultESI_EESE_sNS9_4plusIvEENS9_8equal_toIvEEsEE10hipError_tPvRmT2_T3_T4_T5_mT6_T7_P12ihipStream_tbENKUlT_T0_E_clISt17integral_constantIbLb0EES13_IbLb1EEEEDaSZ_S10_EUlSZ_E_NS1_11comp_targetILNS1_3genE10ELNS1_11target_archE1201ELNS1_3gpuE5ELNS1_3repE0EEENS1_30default_config_static_selectorELNS0_4arch9wavefront6targetE0EEEvT1_,comdat
.Lfunc_end993:
	.size	_ZN7rocprim17ROCPRIM_400000_NS6detail17trampoline_kernelINS0_14default_configENS1_27scan_by_key_config_selectorIssEEZZNS1_16scan_by_key_implILNS1_25lookback_scan_determinismE0ELb0ES3_N6thrust23THRUST_200600_302600_NS6detail15normal_iteratorINS9_10device_ptrIsEEEENS9_18transform_iteratorINS9_6negateIsEESE_NS9_11use_defaultESI_EESE_sNS9_4plusIvEENS9_8equal_toIvEEsEE10hipError_tPvRmT2_T3_T4_T5_mT6_T7_P12ihipStream_tbENKUlT_T0_E_clISt17integral_constantIbLb0EES13_IbLb1EEEEDaSZ_S10_EUlSZ_E_NS1_11comp_targetILNS1_3genE10ELNS1_11target_archE1201ELNS1_3gpuE5ELNS1_3repE0EEENS1_30default_config_static_selectorELNS0_4arch9wavefront6targetE0EEEvT1_, .Lfunc_end993-_ZN7rocprim17ROCPRIM_400000_NS6detail17trampoline_kernelINS0_14default_configENS1_27scan_by_key_config_selectorIssEEZZNS1_16scan_by_key_implILNS1_25lookback_scan_determinismE0ELb0ES3_N6thrust23THRUST_200600_302600_NS6detail15normal_iteratorINS9_10device_ptrIsEEEENS9_18transform_iteratorINS9_6negateIsEESE_NS9_11use_defaultESI_EESE_sNS9_4plusIvEENS9_8equal_toIvEEsEE10hipError_tPvRmT2_T3_T4_T5_mT6_T7_P12ihipStream_tbENKUlT_T0_E_clISt17integral_constantIbLb0EES13_IbLb1EEEEDaSZ_S10_EUlSZ_E_NS1_11comp_targetILNS1_3genE10ELNS1_11target_archE1201ELNS1_3gpuE5ELNS1_3repE0EEENS1_30default_config_static_selectorELNS0_4arch9wavefront6targetE0EEEvT1_
                                        ; -- End function
	.set _ZN7rocprim17ROCPRIM_400000_NS6detail17trampoline_kernelINS0_14default_configENS1_27scan_by_key_config_selectorIssEEZZNS1_16scan_by_key_implILNS1_25lookback_scan_determinismE0ELb0ES3_N6thrust23THRUST_200600_302600_NS6detail15normal_iteratorINS9_10device_ptrIsEEEENS9_18transform_iteratorINS9_6negateIsEESE_NS9_11use_defaultESI_EESE_sNS9_4plusIvEENS9_8equal_toIvEEsEE10hipError_tPvRmT2_T3_T4_T5_mT6_T7_P12ihipStream_tbENKUlT_T0_E_clISt17integral_constantIbLb0EES13_IbLb1EEEEDaSZ_S10_EUlSZ_E_NS1_11comp_targetILNS1_3genE10ELNS1_11target_archE1201ELNS1_3gpuE5ELNS1_3repE0EEENS1_30default_config_static_selectorELNS0_4arch9wavefront6targetE0EEEvT1_.num_vgpr, 0
	.set _ZN7rocprim17ROCPRIM_400000_NS6detail17trampoline_kernelINS0_14default_configENS1_27scan_by_key_config_selectorIssEEZZNS1_16scan_by_key_implILNS1_25lookback_scan_determinismE0ELb0ES3_N6thrust23THRUST_200600_302600_NS6detail15normal_iteratorINS9_10device_ptrIsEEEENS9_18transform_iteratorINS9_6negateIsEESE_NS9_11use_defaultESI_EESE_sNS9_4plusIvEENS9_8equal_toIvEEsEE10hipError_tPvRmT2_T3_T4_T5_mT6_T7_P12ihipStream_tbENKUlT_T0_E_clISt17integral_constantIbLb0EES13_IbLb1EEEEDaSZ_S10_EUlSZ_E_NS1_11comp_targetILNS1_3genE10ELNS1_11target_archE1201ELNS1_3gpuE5ELNS1_3repE0EEENS1_30default_config_static_selectorELNS0_4arch9wavefront6targetE0EEEvT1_.num_agpr, 0
	.set _ZN7rocprim17ROCPRIM_400000_NS6detail17trampoline_kernelINS0_14default_configENS1_27scan_by_key_config_selectorIssEEZZNS1_16scan_by_key_implILNS1_25lookback_scan_determinismE0ELb0ES3_N6thrust23THRUST_200600_302600_NS6detail15normal_iteratorINS9_10device_ptrIsEEEENS9_18transform_iteratorINS9_6negateIsEESE_NS9_11use_defaultESI_EESE_sNS9_4plusIvEENS9_8equal_toIvEEsEE10hipError_tPvRmT2_T3_T4_T5_mT6_T7_P12ihipStream_tbENKUlT_T0_E_clISt17integral_constantIbLb0EES13_IbLb1EEEEDaSZ_S10_EUlSZ_E_NS1_11comp_targetILNS1_3genE10ELNS1_11target_archE1201ELNS1_3gpuE5ELNS1_3repE0EEENS1_30default_config_static_selectorELNS0_4arch9wavefront6targetE0EEEvT1_.numbered_sgpr, 0
	.set _ZN7rocprim17ROCPRIM_400000_NS6detail17trampoline_kernelINS0_14default_configENS1_27scan_by_key_config_selectorIssEEZZNS1_16scan_by_key_implILNS1_25lookback_scan_determinismE0ELb0ES3_N6thrust23THRUST_200600_302600_NS6detail15normal_iteratorINS9_10device_ptrIsEEEENS9_18transform_iteratorINS9_6negateIsEESE_NS9_11use_defaultESI_EESE_sNS9_4plusIvEENS9_8equal_toIvEEsEE10hipError_tPvRmT2_T3_T4_T5_mT6_T7_P12ihipStream_tbENKUlT_T0_E_clISt17integral_constantIbLb0EES13_IbLb1EEEEDaSZ_S10_EUlSZ_E_NS1_11comp_targetILNS1_3genE10ELNS1_11target_archE1201ELNS1_3gpuE5ELNS1_3repE0EEENS1_30default_config_static_selectorELNS0_4arch9wavefront6targetE0EEEvT1_.num_named_barrier, 0
	.set _ZN7rocprim17ROCPRIM_400000_NS6detail17trampoline_kernelINS0_14default_configENS1_27scan_by_key_config_selectorIssEEZZNS1_16scan_by_key_implILNS1_25lookback_scan_determinismE0ELb0ES3_N6thrust23THRUST_200600_302600_NS6detail15normal_iteratorINS9_10device_ptrIsEEEENS9_18transform_iteratorINS9_6negateIsEESE_NS9_11use_defaultESI_EESE_sNS9_4plusIvEENS9_8equal_toIvEEsEE10hipError_tPvRmT2_T3_T4_T5_mT6_T7_P12ihipStream_tbENKUlT_T0_E_clISt17integral_constantIbLb0EES13_IbLb1EEEEDaSZ_S10_EUlSZ_E_NS1_11comp_targetILNS1_3genE10ELNS1_11target_archE1201ELNS1_3gpuE5ELNS1_3repE0EEENS1_30default_config_static_selectorELNS0_4arch9wavefront6targetE0EEEvT1_.private_seg_size, 0
	.set _ZN7rocprim17ROCPRIM_400000_NS6detail17trampoline_kernelINS0_14default_configENS1_27scan_by_key_config_selectorIssEEZZNS1_16scan_by_key_implILNS1_25lookback_scan_determinismE0ELb0ES3_N6thrust23THRUST_200600_302600_NS6detail15normal_iteratorINS9_10device_ptrIsEEEENS9_18transform_iteratorINS9_6negateIsEESE_NS9_11use_defaultESI_EESE_sNS9_4plusIvEENS9_8equal_toIvEEsEE10hipError_tPvRmT2_T3_T4_T5_mT6_T7_P12ihipStream_tbENKUlT_T0_E_clISt17integral_constantIbLb0EES13_IbLb1EEEEDaSZ_S10_EUlSZ_E_NS1_11comp_targetILNS1_3genE10ELNS1_11target_archE1201ELNS1_3gpuE5ELNS1_3repE0EEENS1_30default_config_static_selectorELNS0_4arch9wavefront6targetE0EEEvT1_.uses_vcc, 0
	.set _ZN7rocprim17ROCPRIM_400000_NS6detail17trampoline_kernelINS0_14default_configENS1_27scan_by_key_config_selectorIssEEZZNS1_16scan_by_key_implILNS1_25lookback_scan_determinismE0ELb0ES3_N6thrust23THRUST_200600_302600_NS6detail15normal_iteratorINS9_10device_ptrIsEEEENS9_18transform_iteratorINS9_6negateIsEESE_NS9_11use_defaultESI_EESE_sNS9_4plusIvEENS9_8equal_toIvEEsEE10hipError_tPvRmT2_T3_T4_T5_mT6_T7_P12ihipStream_tbENKUlT_T0_E_clISt17integral_constantIbLb0EES13_IbLb1EEEEDaSZ_S10_EUlSZ_E_NS1_11comp_targetILNS1_3genE10ELNS1_11target_archE1201ELNS1_3gpuE5ELNS1_3repE0EEENS1_30default_config_static_selectorELNS0_4arch9wavefront6targetE0EEEvT1_.uses_flat_scratch, 0
	.set _ZN7rocprim17ROCPRIM_400000_NS6detail17trampoline_kernelINS0_14default_configENS1_27scan_by_key_config_selectorIssEEZZNS1_16scan_by_key_implILNS1_25lookback_scan_determinismE0ELb0ES3_N6thrust23THRUST_200600_302600_NS6detail15normal_iteratorINS9_10device_ptrIsEEEENS9_18transform_iteratorINS9_6negateIsEESE_NS9_11use_defaultESI_EESE_sNS9_4plusIvEENS9_8equal_toIvEEsEE10hipError_tPvRmT2_T3_T4_T5_mT6_T7_P12ihipStream_tbENKUlT_T0_E_clISt17integral_constantIbLb0EES13_IbLb1EEEEDaSZ_S10_EUlSZ_E_NS1_11comp_targetILNS1_3genE10ELNS1_11target_archE1201ELNS1_3gpuE5ELNS1_3repE0EEENS1_30default_config_static_selectorELNS0_4arch9wavefront6targetE0EEEvT1_.has_dyn_sized_stack, 0
	.set _ZN7rocprim17ROCPRIM_400000_NS6detail17trampoline_kernelINS0_14default_configENS1_27scan_by_key_config_selectorIssEEZZNS1_16scan_by_key_implILNS1_25lookback_scan_determinismE0ELb0ES3_N6thrust23THRUST_200600_302600_NS6detail15normal_iteratorINS9_10device_ptrIsEEEENS9_18transform_iteratorINS9_6negateIsEESE_NS9_11use_defaultESI_EESE_sNS9_4plusIvEENS9_8equal_toIvEEsEE10hipError_tPvRmT2_T3_T4_T5_mT6_T7_P12ihipStream_tbENKUlT_T0_E_clISt17integral_constantIbLb0EES13_IbLb1EEEEDaSZ_S10_EUlSZ_E_NS1_11comp_targetILNS1_3genE10ELNS1_11target_archE1201ELNS1_3gpuE5ELNS1_3repE0EEENS1_30default_config_static_selectorELNS0_4arch9wavefront6targetE0EEEvT1_.has_recursion, 0
	.set _ZN7rocprim17ROCPRIM_400000_NS6detail17trampoline_kernelINS0_14default_configENS1_27scan_by_key_config_selectorIssEEZZNS1_16scan_by_key_implILNS1_25lookback_scan_determinismE0ELb0ES3_N6thrust23THRUST_200600_302600_NS6detail15normal_iteratorINS9_10device_ptrIsEEEENS9_18transform_iteratorINS9_6negateIsEESE_NS9_11use_defaultESI_EESE_sNS9_4plusIvEENS9_8equal_toIvEEsEE10hipError_tPvRmT2_T3_T4_T5_mT6_T7_P12ihipStream_tbENKUlT_T0_E_clISt17integral_constantIbLb0EES13_IbLb1EEEEDaSZ_S10_EUlSZ_E_NS1_11comp_targetILNS1_3genE10ELNS1_11target_archE1201ELNS1_3gpuE5ELNS1_3repE0EEENS1_30default_config_static_selectorELNS0_4arch9wavefront6targetE0EEEvT1_.has_indirect_call, 0
	.section	.AMDGPU.csdata,"",@progbits
; Kernel info:
; codeLenInByte = 0
; TotalNumSgprs: 0
; NumVgprs: 0
; ScratchSize: 0
; MemoryBound: 0
; FloatMode: 240
; IeeeMode: 1
; LDSByteSize: 0 bytes/workgroup (compile time only)
; SGPRBlocks: 0
; VGPRBlocks: 0
; NumSGPRsForWavesPerEU: 1
; NumVGPRsForWavesPerEU: 1
; Occupancy: 16
; WaveLimiterHint : 0
; COMPUTE_PGM_RSRC2:SCRATCH_EN: 0
; COMPUTE_PGM_RSRC2:USER_SGPR: 6
; COMPUTE_PGM_RSRC2:TRAP_HANDLER: 0
; COMPUTE_PGM_RSRC2:TGID_X_EN: 1
; COMPUTE_PGM_RSRC2:TGID_Y_EN: 0
; COMPUTE_PGM_RSRC2:TGID_Z_EN: 0
; COMPUTE_PGM_RSRC2:TIDIG_COMP_CNT: 0
	.section	.text._ZN7rocprim17ROCPRIM_400000_NS6detail17trampoline_kernelINS0_14default_configENS1_27scan_by_key_config_selectorIssEEZZNS1_16scan_by_key_implILNS1_25lookback_scan_determinismE0ELb0ES3_N6thrust23THRUST_200600_302600_NS6detail15normal_iteratorINS9_10device_ptrIsEEEENS9_18transform_iteratorINS9_6negateIsEESE_NS9_11use_defaultESI_EESE_sNS9_4plusIvEENS9_8equal_toIvEEsEE10hipError_tPvRmT2_T3_T4_T5_mT6_T7_P12ihipStream_tbENKUlT_T0_E_clISt17integral_constantIbLb0EES13_IbLb1EEEEDaSZ_S10_EUlSZ_E_NS1_11comp_targetILNS1_3genE5ELNS1_11target_archE942ELNS1_3gpuE9ELNS1_3repE0EEENS1_30default_config_static_selectorELNS0_4arch9wavefront6targetE0EEEvT1_,"axG",@progbits,_ZN7rocprim17ROCPRIM_400000_NS6detail17trampoline_kernelINS0_14default_configENS1_27scan_by_key_config_selectorIssEEZZNS1_16scan_by_key_implILNS1_25lookback_scan_determinismE0ELb0ES3_N6thrust23THRUST_200600_302600_NS6detail15normal_iteratorINS9_10device_ptrIsEEEENS9_18transform_iteratorINS9_6negateIsEESE_NS9_11use_defaultESI_EESE_sNS9_4plusIvEENS9_8equal_toIvEEsEE10hipError_tPvRmT2_T3_T4_T5_mT6_T7_P12ihipStream_tbENKUlT_T0_E_clISt17integral_constantIbLb0EES13_IbLb1EEEEDaSZ_S10_EUlSZ_E_NS1_11comp_targetILNS1_3genE5ELNS1_11target_archE942ELNS1_3gpuE9ELNS1_3repE0EEENS1_30default_config_static_selectorELNS0_4arch9wavefront6targetE0EEEvT1_,comdat
	.protected	_ZN7rocprim17ROCPRIM_400000_NS6detail17trampoline_kernelINS0_14default_configENS1_27scan_by_key_config_selectorIssEEZZNS1_16scan_by_key_implILNS1_25lookback_scan_determinismE0ELb0ES3_N6thrust23THRUST_200600_302600_NS6detail15normal_iteratorINS9_10device_ptrIsEEEENS9_18transform_iteratorINS9_6negateIsEESE_NS9_11use_defaultESI_EESE_sNS9_4plusIvEENS9_8equal_toIvEEsEE10hipError_tPvRmT2_T3_T4_T5_mT6_T7_P12ihipStream_tbENKUlT_T0_E_clISt17integral_constantIbLb0EES13_IbLb1EEEEDaSZ_S10_EUlSZ_E_NS1_11comp_targetILNS1_3genE5ELNS1_11target_archE942ELNS1_3gpuE9ELNS1_3repE0EEENS1_30default_config_static_selectorELNS0_4arch9wavefront6targetE0EEEvT1_ ; -- Begin function _ZN7rocprim17ROCPRIM_400000_NS6detail17trampoline_kernelINS0_14default_configENS1_27scan_by_key_config_selectorIssEEZZNS1_16scan_by_key_implILNS1_25lookback_scan_determinismE0ELb0ES3_N6thrust23THRUST_200600_302600_NS6detail15normal_iteratorINS9_10device_ptrIsEEEENS9_18transform_iteratorINS9_6negateIsEESE_NS9_11use_defaultESI_EESE_sNS9_4plusIvEENS9_8equal_toIvEEsEE10hipError_tPvRmT2_T3_T4_T5_mT6_T7_P12ihipStream_tbENKUlT_T0_E_clISt17integral_constantIbLb0EES13_IbLb1EEEEDaSZ_S10_EUlSZ_E_NS1_11comp_targetILNS1_3genE5ELNS1_11target_archE942ELNS1_3gpuE9ELNS1_3repE0EEENS1_30default_config_static_selectorELNS0_4arch9wavefront6targetE0EEEvT1_
	.globl	_ZN7rocprim17ROCPRIM_400000_NS6detail17trampoline_kernelINS0_14default_configENS1_27scan_by_key_config_selectorIssEEZZNS1_16scan_by_key_implILNS1_25lookback_scan_determinismE0ELb0ES3_N6thrust23THRUST_200600_302600_NS6detail15normal_iteratorINS9_10device_ptrIsEEEENS9_18transform_iteratorINS9_6negateIsEESE_NS9_11use_defaultESI_EESE_sNS9_4plusIvEENS9_8equal_toIvEEsEE10hipError_tPvRmT2_T3_T4_T5_mT6_T7_P12ihipStream_tbENKUlT_T0_E_clISt17integral_constantIbLb0EES13_IbLb1EEEEDaSZ_S10_EUlSZ_E_NS1_11comp_targetILNS1_3genE5ELNS1_11target_archE942ELNS1_3gpuE9ELNS1_3repE0EEENS1_30default_config_static_selectorELNS0_4arch9wavefront6targetE0EEEvT1_
	.p2align	8
	.type	_ZN7rocprim17ROCPRIM_400000_NS6detail17trampoline_kernelINS0_14default_configENS1_27scan_by_key_config_selectorIssEEZZNS1_16scan_by_key_implILNS1_25lookback_scan_determinismE0ELb0ES3_N6thrust23THRUST_200600_302600_NS6detail15normal_iteratorINS9_10device_ptrIsEEEENS9_18transform_iteratorINS9_6negateIsEESE_NS9_11use_defaultESI_EESE_sNS9_4plusIvEENS9_8equal_toIvEEsEE10hipError_tPvRmT2_T3_T4_T5_mT6_T7_P12ihipStream_tbENKUlT_T0_E_clISt17integral_constantIbLb0EES13_IbLb1EEEEDaSZ_S10_EUlSZ_E_NS1_11comp_targetILNS1_3genE5ELNS1_11target_archE942ELNS1_3gpuE9ELNS1_3repE0EEENS1_30default_config_static_selectorELNS0_4arch9wavefront6targetE0EEEvT1_,@function
_ZN7rocprim17ROCPRIM_400000_NS6detail17trampoline_kernelINS0_14default_configENS1_27scan_by_key_config_selectorIssEEZZNS1_16scan_by_key_implILNS1_25lookback_scan_determinismE0ELb0ES3_N6thrust23THRUST_200600_302600_NS6detail15normal_iteratorINS9_10device_ptrIsEEEENS9_18transform_iteratorINS9_6negateIsEESE_NS9_11use_defaultESI_EESE_sNS9_4plusIvEENS9_8equal_toIvEEsEE10hipError_tPvRmT2_T3_T4_T5_mT6_T7_P12ihipStream_tbENKUlT_T0_E_clISt17integral_constantIbLb0EES13_IbLb1EEEEDaSZ_S10_EUlSZ_E_NS1_11comp_targetILNS1_3genE5ELNS1_11target_archE942ELNS1_3gpuE9ELNS1_3repE0EEENS1_30default_config_static_selectorELNS0_4arch9wavefront6targetE0EEEvT1_: ; @_ZN7rocprim17ROCPRIM_400000_NS6detail17trampoline_kernelINS0_14default_configENS1_27scan_by_key_config_selectorIssEEZZNS1_16scan_by_key_implILNS1_25lookback_scan_determinismE0ELb0ES3_N6thrust23THRUST_200600_302600_NS6detail15normal_iteratorINS9_10device_ptrIsEEEENS9_18transform_iteratorINS9_6negateIsEESE_NS9_11use_defaultESI_EESE_sNS9_4plusIvEENS9_8equal_toIvEEsEE10hipError_tPvRmT2_T3_T4_T5_mT6_T7_P12ihipStream_tbENKUlT_T0_E_clISt17integral_constantIbLb0EES13_IbLb1EEEEDaSZ_S10_EUlSZ_E_NS1_11comp_targetILNS1_3genE5ELNS1_11target_archE942ELNS1_3gpuE9ELNS1_3repE0EEENS1_30default_config_static_selectorELNS0_4arch9wavefront6targetE0EEEvT1_
; %bb.0:
	.section	.rodata,"a",@progbits
	.p2align	6, 0x0
	.amdhsa_kernel _ZN7rocprim17ROCPRIM_400000_NS6detail17trampoline_kernelINS0_14default_configENS1_27scan_by_key_config_selectorIssEEZZNS1_16scan_by_key_implILNS1_25lookback_scan_determinismE0ELb0ES3_N6thrust23THRUST_200600_302600_NS6detail15normal_iteratorINS9_10device_ptrIsEEEENS9_18transform_iteratorINS9_6negateIsEESE_NS9_11use_defaultESI_EESE_sNS9_4plusIvEENS9_8equal_toIvEEsEE10hipError_tPvRmT2_T3_T4_T5_mT6_T7_P12ihipStream_tbENKUlT_T0_E_clISt17integral_constantIbLb0EES13_IbLb1EEEEDaSZ_S10_EUlSZ_E_NS1_11comp_targetILNS1_3genE5ELNS1_11target_archE942ELNS1_3gpuE9ELNS1_3repE0EEENS1_30default_config_static_selectorELNS0_4arch9wavefront6targetE0EEEvT1_
		.amdhsa_group_segment_fixed_size 0
		.amdhsa_private_segment_fixed_size 0
		.amdhsa_kernarg_size 120
		.amdhsa_user_sgpr_count 6
		.amdhsa_user_sgpr_private_segment_buffer 1
		.amdhsa_user_sgpr_dispatch_ptr 0
		.amdhsa_user_sgpr_queue_ptr 0
		.amdhsa_user_sgpr_kernarg_segment_ptr 1
		.amdhsa_user_sgpr_dispatch_id 0
		.amdhsa_user_sgpr_flat_scratch_init 0
		.amdhsa_user_sgpr_private_segment_size 0
		.amdhsa_wavefront_size32 1
		.amdhsa_uses_dynamic_stack 0
		.amdhsa_system_sgpr_private_segment_wavefront_offset 0
		.amdhsa_system_sgpr_workgroup_id_x 1
		.amdhsa_system_sgpr_workgroup_id_y 0
		.amdhsa_system_sgpr_workgroup_id_z 0
		.amdhsa_system_sgpr_workgroup_info 0
		.amdhsa_system_vgpr_workitem_id 0
		.amdhsa_next_free_vgpr 1
		.amdhsa_next_free_sgpr 1
		.amdhsa_reserve_vcc 0
		.amdhsa_reserve_flat_scratch 0
		.amdhsa_float_round_mode_32 0
		.amdhsa_float_round_mode_16_64 0
		.amdhsa_float_denorm_mode_32 3
		.amdhsa_float_denorm_mode_16_64 3
		.amdhsa_dx10_clamp 1
		.amdhsa_ieee_mode 1
		.amdhsa_fp16_overflow 0
		.amdhsa_workgroup_processor_mode 1
		.amdhsa_memory_ordered 1
		.amdhsa_forward_progress 1
		.amdhsa_shared_vgpr_count 0
		.amdhsa_exception_fp_ieee_invalid_op 0
		.amdhsa_exception_fp_denorm_src 0
		.amdhsa_exception_fp_ieee_div_zero 0
		.amdhsa_exception_fp_ieee_overflow 0
		.amdhsa_exception_fp_ieee_underflow 0
		.amdhsa_exception_fp_ieee_inexact 0
		.amdhsa_exception_int_div_zero 0
	.end_amdhsa_kernel
	.section	.text._ZN7rocprim17ROCPRIM_400000_NS6detail17trampoline_kernelINS0_14default_configENS1_27scan_by_key_config_selectorIssEEZZNS1_16scan_by_key_implILNS1_25lookback_scan_determinismE0ELb0ES3_N6thrust23THRUST_200600_302600_NS6detail15normal_iteratorINS9_10device_ptrIsEEEENS9_18transform_iteratorINS9_6negateIsEESE_NS9_11use_defaultESI_EESE_sNS9_4plusIvEENS9_8equal_toIvEEsEE10hipError_tPvRmT2_T3_T4_T5_mT6_T7_P12ihipStream_tbENKUlT_T0_E_clISt17integral_constantIbLb0EES13_IbLb1EEEEDaSZ_S10_EUlSZ_E_NS1_11comp_targetILNS1_3genE5ELNS1_11target_archE942ELNS1_3gpuE9ELNS1_3repE0EEENS1_30default_config_static_selectorELNS0_4arch9wavefront6targetE0EEEvT1_,"axG",@progbits,_ZN7rocprim17ROCPRIM_400000_NS6detail17trampoline_kernelINS0_14default_configENS1_27scan_by_key_config_selectorIssEEZZNS1_16scan_by_key_implILNS1_25lookback_scan_determinismE0ELb0ES3_N6thrust23THRUST_200600_302600_NS6detail15normal_iteratorINS9_10device_ptrIsEEEENS9_18transform_iteratorINS9_6negateIsEESE_NS9_11use_defaultESI_EESE_sNS9_4plusIvEENS9_8equal_toIvEEsEE10hipError_tPvRmT2_T3_T4_T5_mT6_T7_P12ihipStream_tbENKUlT_T0_E_clISt17integral_constantIbLb0EES13_IbLb1EEEEDaSZ_S10_EUlSZ_E_NS1_11comp_targetILNS1_3genE5ELNS1_11target_archE942ELNS1_3gpuE9ELNS1_3repE0EEENS1_30default_config_static_selectorELNS0_4arch9wavefront6targetE0EEEvT1_,comdat
.Lfunc_end994:
	.size	_ZN7rocprim17ROCPRIM_400000_NS6detail17trampoline_kernelINS0_14default_configENS1_27scan_by_key_config_selectorIssEEZZNS1_16scan_by_key_implILNS1_25lookback_scan_determinismE0ELb0ES3_N6thrust23THRUST_200600_302600_NS6detail15normal_iteratorINS9_10device_ptrIsEEEENS9_18transform_iteratorINS9_6negateIsEESE_NS9_11use_defaultESI_EESE_sNS9_4plusIvEENS9_8equal_toIvEEsEE10hipError_tPvRmT2_T3_T4_T5_mT6_T7_P12ihipStream_tbENKUlT_T0_E_clISt17integral_constantIbLb0EES13_IbLb1EEEEDaSZ_S10_EUlSZ_E_NS1_11comp_targetILNS1_3genE5ELNS1_11target_archE942ELNS1_3gpuE9ELNS1_3repE0EEENS1_30default_config_static_selectorELNS0_4arch9wavefront6targetE0EEEvT1_, .Lfunc_end994-_ZN7rocprim17ROCPRIM_400000_NS6detail17trampoline_kernelINS0_14default_configENS1_27scan_by_key_config_selectorIssEEZZNS1_16scan_by_key_implILNS1_25lookback_scan_determinismE0ELb0ES3_N6thrust23THRUST_200600_302600_NS6detail15normal_iteratorINS9_10device_ptrIsEEEENS9_18transform_iteratorINS9_6negateIsEESE_NS9_11use_defaultESI_EESE_sNS9_4plusIvEENS9_8equal_toIvEEsEE10hipError_tPvRmT2_T3_T4_T5_mT6_T7_P12ihipStream_tbENKUlT_T0_E_clISt17integral_constantIbLb0EES13_IbLb1EEEEDaSZ_S10_EUlSZ_E_NS1_11comp_targetILNS1_3genE5ELNS1_11target_archE942ELNS1_3gpuE9ELNS1_3repE0EEENS1_30default_config_static_selectorELNS0_4arch9wavefront6targetE0EEEvT1_
                                        ; -- End function
	.set _ZN7rocprim17ROCPRIM_400000_NS6detail17trampoline_kernelINS0_14default_configENS1_27scan_by_key_config_selectorIssEEZZNS1_16scan_by_key_implILNS1_25lookback_scan_determinismE0ELb0ES3_N6thrust23THRUST_200600_302600_NS6detail15normal_iteratorINS9_10device_ptrIsEEEENS9_18transform_iteratorINS9_6negateIsEESE_NS9_11use_defaultESI_EESE_sNS9_4plusIvEENS9_8equal_toIvEEsEE10hipError_tPvRmT2_T3_T4_T5_mT6_T7_P12ihipStream_tbENKUlT_T0_E_clISt17integral_constantIbLb0EES13_IbLb1EEEEDaSZ_S10_EUlSZ_E_NS1_11comp_targetILNS1_3genE5ELNS1_11target_archE942ELNS1_3gpuE9ELNS1_3repE0EEENS1_30default_config_static_selectorELNS0_4arch9wavefront6targetE0EEEvT1_.num_vgpr, 0
	.set _ZN7rocprim17ROCPRIM_400000_NS6detail17trampoline_kernelINS0_14default_configENS1_27scan_by_key_config_selectorIssEEZZNS1_16scan_by_key_implILNS1_25lookback_scan_determinismE0ELb0ES3_N6thrust23THRUST_200600_302600_NS6detail15normal_iteratorINS9_10device_ptrIsEEEENS9_18transform_iteratorINS9_6negateIsEESE_NS9_11use_defaultESI_EESE_sNS9_4plusIvEENS9_8equal_toIvEEsEE10hipError_tPvRmT2_T3_T4_T5_mT6_T7_P12ihipStream_tbENKUlT_T0_E_clISt17integral_constantIbLb0EES13_IbLb1EEEEDaSZ_S10_EUlSZ_E_NS1_11comp_targetILNS1_3genE5ELNS1_11target_archE942ELNS1_3gpuE9ELNS1_3repE0EEENS1_30default_config_static_selectorELNS0_4arch9wavefront6targetE0EEEvT1_.num_agpr, 0
	.set _ZN7rocprim17ROCPRIM_400000_NS6detail17trampoline_kernelINS0_14default_configENS1_27scan_by_key_config_selectorIssEEZZNS1_16scan_by_key_implILNS1_25lookback_scan_determinismE0ELb0ES3_N6thrust23THRUST_200600_302600_NS6detail15normal_iteratorINS9_10device_ptrIsEEEENS9_18transform_iteratorINS9_6negateIsEESE_NS9_11use_defaultESI_EESE_sNS9_4plusIvEENS9_8equal_toIvEEsEE10hipError_tPvRmT2_T3_T4_T5_mT6_T7_P12ihipStream_tbENKUlT_T0_E_clISt17integral_constantIbLb0EES13_IbLb1EEEEDaSZ_S10_EUlSZ_E_NS1_11comp_targetILNS1_3genE5ELNS1_11target_archE942ELNS1_3gpuE9ELNS1_3repE0EEENS1_30default_config_static_selectorELNS0_4arch9wavefront6targetE0EEEvT1_.numbered_sgpr, 0
	.set _ZN7rocprim17ROCPRIM_400000_NS6detail17trampoline_kernelINS0_14default_configENS1_27scan_by_key_config_selectorIssEEZZNS1_16scan_by_key_implILNS1_25lookback_scan_determinismE0ELb0ES3_N6thrust23THRUST_200600_302600_NS6detail15normal_iteratorINS9_10device_ptrIsEEEENS9_18transform_iteratorINS9_6negateIsEESE_NS9_11use_defaultESI_EESE_sNS9_4plusIvEENS9_8equal_toIvEEsEE10hipError_tPvRmT2_T3_T4_T5_mT6_T7_P12ihipStream_tbENKUlT_T0_E_clISt17integral_constantIbLb0EES13_IbLb1EEEEDaSZ_S10_EUlSZ_E_NS1_11comp_targetILNS1_3genE5ELNS1_11target_archE942ELNS1_3gpuE9ELNS1_3repE0EEENS1_30default_config_static_selectorELNS0_4arch9wavefront6targetE0EEEvT1_.num_named_barrier, 0
	.set _ZN7rocprim17ROCPRIM_400000_NS6detail17trampoline_kernelINS0_14default_configENS1_27scan_by_key_config_selectorIssEEZZNS1_16scan_by_key_implILNS1_25lookback_scan_determinismE0ELb0ES3_N6thrust23THRUST_200600_302600_NS6detail15normal_iteratorINS9_10device_ptrIsEEEENS9_18transform_iteratorINS9_6negateIsEESE_NS9_11use_defaultESI_EESE_sNS9_4plusIvEENS9_8equal_toIvEEsEE10hipError_tPvRmT2_T3_T4_T5_mT6_T7_P12ihipStream_tbENKUlT_T0_E_clISt17integral_constantIbLb0EES13_IbLb1EEEEDaSZ_S10_EUlSZ_E_NS1_11comp_targetILNS1_3genE5ELNS1_11target_archE942ELNS1_3gpuE9ELNS1_3repE0EEENS1_30default_config_static_selectorELNS0_4arch9wavefront6targetE0EEEvT1_.private_seg_size, 0
	.set _ZN7rocprim17ROCPRIM_400000_NS6detail17trampoline_kernelINS0_14default_configENS1_27scan_by_key_config_selectorIssEEZZNS1_16scan_by_key_implILNS1_25lookback_scan_determinismE0ELb0ES3_N6thrust23THRUST_200600_302600_NS6detail15normal_iteratorINS9_10device_ptrIsEEEENS9_18transform_iteratorINS9_6negateIsEESE_NS9_11use_defaultESI_EESE_sNS9_4plusIvEENS9_8equal_toIvEEsEE10hipError_tPvRmT2_T3_T4_T5_mT6_T7_P12ihipStream_tbENKUlT_T0_E_clISt17integral_constantIbLb0EES13_IbLb1EEEEDaSZ_S10_EUlSZ_E_NS1_11comp_targetILNS1_3genE5ELNS1_11target_archE942ELNS1_3gpuE9ELNS1_3repE0EEENS1_30default_config_static_selectorELNS0_4arch9wavefront6targetE0EEEvT1_.uses_vcc, 0
	.set _ZN7rocprim17ROCPRIM_400000_NS6detail17trampoline_kernelINS0_14default_configENS1_27scan_by_key_config_selectorIssEEZZNS1_16scan_by_key_implILNS1_25lookback_scan_determinismE0ELb0ES3_N6thrust23THRUST_200600_302600_NS6detail15normal_iteratorINS9_10device_ptrIsEEEENS9_18transform_iteratorINS9_6negateIsEESE_NS9_11use_defaultESI_EESE_sNS9_4plusIvEENS9_8equal_toIvEEsEE10hipError_tPvRmT2_T3_T4_T5_mT6_T7_P12ihipStream_tbENKUlT_T0_E_clISt17integral_constantIbLb0EES13_IbLb1EEEEDaSZ_S10_EUlSZ_E_NS1_11comp_targetILNS1_3genE5ELNS1_11target_archE942ELNS1_3gpuE9ELNS1_3repE0EEENS1_30default_config_static_selectorELNS0_4arch9wavefront6targetE0EEEvT1_.uses_flat_scratch, 0
	.set _ZN7rocprim17ROCPRIM_400000_NS6detail17trampoline_kernelINS0_14default_configENS1_27scan_by_key_config_selectorIssEEZZNS1_16scan_by_key_implILNS1_25lookback_scan_determinismE0ELb0ES3_N6thrust23THRUST_200600_302600_NS6detail15normal_iteratorINS9_10device_ptrIsEEEENS9_18transform_iteratorINS9_6negateIsEESE_NS9_11use_defaultESI_EESE_sNS9_4plusIvEENS9_8equal_toIvEEsEE10hipError_tPvRmT2_T3_T4_T5_mT6_T7_P12ihipStream_tbENKUlT_T0_E_clISt17integral_constantIbLb0EES13_IbLb1EEEEDaSZ_S10_EUlSZ_E_NS1_11comp_targetILNS1_3genE5ELNS1_11target_archE942ELNS1_3gpuE9ELNS1_3repE0EEENS1_30default_config_static_selectorELNS0_4arch9wavefront6targetE0EEEvT1_.has_dyn_sized_stack, 0
	.set _ZN7rocprim17ROCPRIM_400000_NS6detail17trampoline_kernelINS0_14default_configENS1_27scan_by_key_config_selectorIssEEZZNS1_16scan_by_key_implILNS1_25lookback_scan_determinismE0ELb0ES3_N6thrust23THRUST_200600_302600_NS6detail15normal_iteratorINS9_10device_ptrIsEEEENS9_18transform_iteratorINS9_6negateIsEESE_NS9_11use_defaultESI_EESE_sNS9_4plusIvEENS9_8equal_toIvEEsEE10hipError_tPvRmT2_T3_T4_T5_mT6_T7_P12ihipStream_tbENKUlT_T0_E_clISt17integral_constantIbLb0EES13_IbLb1EEEEDaSZ_S10_EUlSZ_E_NS1_11comp_targetILNS1_3genE5ELNS1_11target_archE942ELNS1_3gpuE9ELNS1_3repE0EEENS1_30default_config_static_selectorELNS0_4arch9wavefront6targetE0EEEvT1_.has_recursion, 0
	.set _ZN7rocprim17ROCPRIM_400000_NS6detail17trampoline_kernelINS0_14default_configENS1_27scan_by_key_config_selectorIssEEZZNS1_16scan_by_key_implILNS1_25lookback_scan_determinismE0ELb0ES3_N6thrust23THRUST_200600_302600_NS6detail15normal_iteratorINS9_10device_ptrIsEEEENS9_18transform_iteratorINS9_6negateIsEESE_NS9_11use_defaultESI_EESE_sNS9_4plusIvEENS9_8equal_toIvEEsEE10hipError_tPvRmT2_T3_T4_T5_mT6_T7_P12ihipStream_tbENKUlT_T0_E_clISt17integral_constantIbLb0EES13_IbLb1EEEEDaSZ_S10_EUlSZ_E_NS1_11comp_targetILNS1_3genE5ELNS1_11target_archE942ELNS1_3gpuE9ELNS1_3repE0EEENS1_30default_config_static_selectorELNS0_4arch9wavefront6targetE0EEEvT1_.has_indirect_call, 0
	.section	.AMDGPU.csdata,"",@progbits
; Kernel info:
; codeLenInByte = 0
; TotalNumSgprs: 0
; NumVgprs: 0
; ScratchSize: 0
; MemoryBound: 0
; FloatMode: 240
; IeeeMode: 1
; LDSByteSize: 0 bytes/workgroup (compile time only)
; SGPRBlocks: 0
; VGPRBlocks: 0
; NumSGPRsForWavesPerEU: 1
; NumVGPRsForWavesPerEU: 1
; Occupancy: 16
; WaveLimiterHint : 0
; COMPUTE_PGM_RSRC2:SCRATCH_EN: 0
; COMPUTE_PGM_RSRC2:USER_SGPR: 6
; COMPUTE_PGM_RSRC2:TRAP_HANDLER: 0
; COMPUTE_PGM_RSRC2:TGID_X_EN: 1
; COMPUTE_PGM_RSRC2:TGID_Y_EN: 0
; COMPUTE_PGM_RSRC2:TGID_Z_EN: 0
; COMPUTE_PGM_RSRC2:TIDIG_COMP_CNT: 0
	.section	.text._ZN7rocprim17ROCPRIM_400000_NS6detail17trampoline_kernelINS0_14default_configENS1_27scan_by_key_config_selectorIssEEZZNS1_16scan_by_key_implILNS1_25lookback_scan_determinismE0ELb0ES3_N6thrust23THRUST_200600_302600_NS6detail15normal_iteratorINS9_10device_ptrIsEEEENS9_18transform_iteratorINS9_6negateIsEESE_NS9_11use_defaultESI_EESE_sNS9_4plusIvEENS9_8equal_toIvEEsEE10hipError_tPvRmT2_T3_T4_T5_mT6_T7_P12ihipStream_tbENKUlT_T0_E_clISt17integral_constantIbLb0EES13_IbLb1EEEEDaSZ_S10_EUlSZ_E_NS1_11comp_targetILNS1_3genE4ELNS1_11target_archE910ELNS1_3gpuE8ELNS1_3repE0EEENS1_30default_config_static_selectorELNS0_4arch9wavefront6targetE0EEEvT1_,"axG",@progbits,_ZN7rocprim17ROCPRIM_400000_NS6detail17trampoline_kernelINS0_14default_configENS1_27scan_by_key_config_selectorIssEEZZNS1_16scan_by_key_implILNS1_25lookback_scan_determinismE0ELb0ES3_N6thrust23THRUST_200600_302600_NS6detail15normal_iteratorINS9_10device_ptrIsEEEENS9_18transform_iteratorINS9_6negateIsEESE_NS9_11use_defaultESI_EESE_sNS9_4plusIvEENS9_8equal_toIvEEsEE10hipError_tPvRmT2_T3_T4_T5_mT6_T7_P12ihipStream_tbENKUlT_T0_E_clISt17integral_constantIbLb0EES13_IbLb1EEEEDaSZ_S10_EUlSZ_E_NS1_11comp_targetILNS1_3genE4ELNS1_11target_archE910ELNS1_3gpuE8ELNS1_3repE0EEENS1_30default_config_static_selectorELNS0_4arch9wavefront6targetE0EEEvT1_,comdat
	.protected	_ZN7rocprim17ROCPRIM_400000_NS6detail17trampoline_kernelINS0_14default_configENS1_27scan_by_key_config_selectorIssEEZZNS1_16scan_by_key_implILNS1_25lookback_scan_determinismE0ELb0ES3_N6thrust23THRUST_200600_302600_NS6detail15normal_iteratorINS9_10device_ptrIsEEEENS9_18transform_iteratorINS9_6negateIsEESE_NS9_11use_defaultESI_EESE_sNS9_4plusIvEENS9_8equal_toIvEEsEE10hipError_tPvRmT2_T3_T4_T5_mT6_T7_P12ihipStream_tbENKUlT_T0_E_clISt17integral_constantIbLb0EES13_IbLb1EEEEDaSZ_S10_EUlSZ_E_NS1_11comp_targetILNS1_3genE4ELNS1_11target_archE910ELNS1_3gpuE8ELNS1_3repE0EEENS1_30default_config_static_selectorELNS0_4arch9wavefront6targetE0EEEvT1_ ; -- Begin function _ZN7rocprim17ROCPRIM_400000_NS6detail17trampoline_kernelINS0_14default_configENS1_27scan_by_key_config_selectorIssEEZZNS1_16scan_by_key_implILNS1_25lookback_scan_determinismE0ELb0ES3_N6thrust23THRUST_200600_302600_NS6detail15normal_iteratorINS9_10device_ptrIsEEEENS9_18transform_iteratorINS9_6negateIsEESE_NS9_11use_defaultESI_EESE_sNS9_4plusIvEENS9_8equal_toIvEEsEE10hipError_tPvRmT2_T3_T4_T5_mT6_T7_P12ihipStream_tbENKUlT_T0_E_clISt17integral_constantIbLb0EES13_IbLb1EEEEDaSZ_S10_EUlSZ_E_NS1_11comp_targetILNS1_3genE4ELNS1_11target_archE910ELNS1_3gpuE8ELNS1_3repE0EEENS1_30default_config_static_selectorELNS0_4arch9wavefront6targetE0EEEvT1_
	.globl	_ZN7rocprim17ROCPRIM_400000_NS6detail17trampoline_kernelINS0_14default_configENS1_27scan_by_key_config_selectorIssEEZZNS1_16scan_by_key_implILNS1_25lookback_scan_determinismE0ELb0ES3_N6thrust23THRUST_200600_302600_NS6detail15normal_iteratorINS9_10device_ptrIsEEEENS9_18transform_iteratorINS9_6negateIsEESE_NS9_11use_defaultESI_EESE_sNS9_4plusIvEENS9_8equal_toIvEEsEE10hipError_tPvRmT2_T3_T4_T5_mT6_T7_P12ihipStream_tbENKUlT_T0_E_clISt17integral_constantIbLb0EES13_IbLb1EEEEDaSZ_S10_EUlSZ_E_NS1_11comp_targetILNS1_3genE4ELNS1_11target_archE910ELNS1_3gpuE8ELNS1_3repE0EEENS1_30default_config_static_selectorELNS0_4arch9wavefront6targetE0EEEvT1_
	.p2align	8
	.type	_ZN7rocprim17ROCPRIM_400000_NS6detail17trampoline_kernelINS0_14default_configENS1_27scan_by_key_config_selectorIssEEZZNS1_16scan_by_key_implILNS1_25lookback_scan_determinismE0ELb0ES3_N6thrust23THRUST_200600_302600_NS6detail15normal_iteratorINS9_10device_ptrIsEEEENS9_18transform_iteratorINS9_6negateIsEESE_NS9_11use_defaultESI_EESE_sNS9_4plusIvEENS9_8equal_toIvEEsEE10hipError_tPvRmT2_T3_T4_T5_mT6_T7_P12ihipStream_tbENKUlT_T0_E_clISt17integral_constantIbLb0EES13_IbLb1EEEEDaSZ_S10_EUlSZ_E_NS1_11comp_targetILNS1_3genE4ELNS1_11target_archE910ELNS1_3gpuE8ELNS1_3repE0EEENS1_30default_config_static_selectorELNS0_4arch9wavefront6targetE0EEEvT1_,@function
_ZN7rocprim17ROCPRIM_400000_NS6detail17trampoline_kernelINS0_14default_configENS1_27scan_by_key_config_selectorIssEEZZNS1_16scan_by_key_implILNS1_25lookback_scan_determinismE0ELb0ES3_N6thrust23THRUST_200600_302600_NS6detail15normal_iteratorINS9_10device_ptrIsEEEENS9_18transform_iteratorINS9_6negateIsEESE_NS9_11use_defaultESI_EESE_sNS9_4plusIvEENS9_8equal_toIvEEsEE10hipError_tPvRmT2_T3_T4_T5_mT6_T7_P12ihipStream_tbENKUlT_T0_E_clISt17integral_constantIbLb0EES13_IbLb1EEEEDaSZ_S10_EUlSZ_E_NS1_11comp_targetILNS1_3genE4ELNS1_11target_archE910ELNS1_3gpuE8ELNS1_3repE0EEENS1_30default_config_static_selectorELNS0_4arch9wavefront6targetE0EEEvT1_: ; @_ZN7rocprim17ROCPRIM_400000_NS6detail17trampoline_kernelINS0_14default_configENS1_27scan_by_key_config_selectorIssEEZZNS1_16scan_by_key_implILNS1_25lookback_scan_determinismE0ELb0ES3_N6thrust23THRUST_200600_302600_NS6detail15normal_iteratorINS9_10device_ptrIsEEEENS9_18transform_iteratorINS9_6negateIsEESE_NS9_11use_defaultESI_EESE_sNS9_4plusIvEENS9_8equal_toIvEEsEE10hipError_tPvRmT2_T3_T4_T5_mT6_T7_P12ihipStream_tbENKUlT_T0_E_clISt17integral_constantIbLb0EES13_IbLb1EEEEDaSZ_S10_EUlSZ_E_NS1_11comp_targetILNS1_3genE4ELNS1_11target_archE910ELNS1_3gpuE8ELNS1_3repE0EEENS1_30default_config_static_selectorELNS0_4arch9wavefront6targetE0EEEvT1_
; %bb.0:
	.section	.rodata,"a",@progbits
	.p2align	6, 0x0
	.amdhsa_kernel _ZN7rocprim17ROCPRIM_400000_NS6detail17trampoline_kernelINS0_14default_configENS1_27scan_by_key_config_selectorIssEEZZNS1_16scan_by_key_implILNS1_25lookback_scan_determinismE0ELb0ES3_N6thrust23THRUST_200600_302600_NS6detail15normal_iteratorINS9_10device_ptrIsEEEENS9_18transform_iteratorINS9_6negateIsEESE_NS9_11use_defaultESI_EESE_sNS9_4plusIvEENS9_8equal_toIvEEsEE10hipError_tPvRmT2_T3_T4_T5_mT6_T7_P12ihipStream_tbENKUlT_T0_E_clISt17integral_constantIbLb0EES13_IbLb1EEEEDaSZ_S10_EUlSZ_E_NS1_11comp_targetILNS1_3genE4ELNS1_11target_archE910ELNS1_3gpuE8ELNS1_3repE0EEENS1_30default_config_static_selectorELNS0_4arch9wavefront6targetE0EEEvT1_
		.amdhsa_group_segment_fixed_size 0
		.amdhsa_private_segment_fixed_size 0
		.amdhsa_kernarg_size 120
		.amdhsa_user_sgpr_count 6
		.amdhsa_user_sgpr_private_segment_buffer 1
		.amdhsa_user_sgpr_dispatch_ptr 0
		.amdhsa_user_sgpr_queue_ptr 0
		.amdhsa_user_sgpr_kernarg_segment_ptr 1
		.amdhsa_user_sgpr_dispatch_id 0
		.amdhsa_user_sgpr_flat_scratch_init 0
		.amdhsa_user_sgpr_private_segment_size 0
		.amdhsa_wavefront_size32 1
		.amdhsa_uses_dynamic_stack 0
		.amdhsa_system_sgpr_private_segment_wavefront_offset 0
		.amdhsa_system_sgpr_workgroup_id_x 1
		.amdhsa_system_sgpr_workgroup_id_y 0
		.amdhsa_system_sgpr_workgroup_id_z 0
		.amdhsa_system_sgpr_workgroup_info 0
		.amdhsa_system_vgpr_workitem_id 0
		.amdhsa_next_free_vgpr 1
		.amdhsa_next_free_sgpr 1
		.amdhsa_reserve_vcc 0
		.amdhsa_reserve_flat_scratch 0
		.amdhsa_float_round_mode_32 0
		.amdhsa_float_round_mode_16_64 0
		.amdhsa_float_denorm_mode_32 3
		.amdhsa_float_denorm_mode_16_64 3
		.amdhsa_dx10_clamp 1
		.amdhsa_ieee_mode 1
		.amdhsa_fp16_overflow 0
		.amdhsa_workgroup_processor_mode 1
		.amdhsa_memory_ordered 1
		.amdhsa_forward_progress 1
		.amdhsa_shared_vgpr_count 0
		.amdhsa_exception_fp_ieee_invalid_op 0
		.amdhsa_exception_fp_denorm_src 0
		.amdhsa_exception_fp_ieee_div_zero 0
		.amdhsa_exception_fp_ieee_overflow 0
		.amdhsa_exception_fp_ieee_underflow 0
		.amdhsa_exception_fp_ieee_inexact 0
		.amdhsa_exception_int_div_zero 0
	.end_amdhsa_kernel
	.section	.text._ZN7rocprim17ROCPRIM_400000_NS6detail17trampoline_kernelINS0_14default_configENS1_27scan_by_key_config_selectorIssEEZZNS1_16scan_by_key_implILNS1_25lookback_scan_determinismE0ELb0ES3_N6thrust23THRUST_200600_302600_NS6detail15normal_iteratorINS9_10device_ptrIsEEEENS9_18transform_iteratorINS9_6negateIsEESE_NS9_11use_defaultESI_EESE_sNS9_4plusIvEENS9_8equal_toIvEEsEE10hipError_tPvRmT2_T3_T4_T5_mT6_T7_P12ihipStream_tbENKUlT_T0_E_clISt17integral_constantIbLb0EES13_IbLb1EEEEDaSZ_S10_EUlSZ_E_NS1_11comp_targetILNS1_3genE4ELNS1_11target_archE910ELNS1_3gpuE8ELNS1_3repE0EEENS1_30default_config_static_selectorELNS0_4arch9wavefront6targetE0EEEvT1_,"axG",@progbits,_ZN7rocprim17ROCPRIM_400000_NS6detail17trampoline_kernelINS0_14default_configENS1_27scan_by_key_config_selectorIssEEZZNS1_16scan_by_key_implILNS1_25lookback_scan_determinismE0ELb0ES3_N6thrust23THRUST_200600_302600_NS6detail15normal_iteratorINS9_10device_ptrIsEEEENS9_18transform_iteratorINS9_6negateIsEESE_NS9_11use_defaultESI_EESE_sNS9_4plusIvEENS9_8equal_toIvEEsEE10hipError_tPvRmT2_T3_T4_T5_mT6_T7_P12ihipStream_tbENKUlT_T0_E_clISt17integral_constantIbLb0EES13_IbLb1EEEEDaSZ_S10_EUlSZ_E_NS1_11comp_targetILNS1_3genE4ELNS1_11target_archE910ELNS1_3gpuE8ELNS1_3repE0EEENS1_30default_config_static_selectorELNS0_4arch9wavefront6targetE0EEEvT1_,comdat
.Lfunc_end995:
	.size	_ZN7rocprim17ROCPRIM_400000_NS6detail17trampoline_kernelINS0_14default_configENS1_27scan_by_key_config_selectorIssEEZZNS1_16scan_by_key_implILNS1_25lookback_scan_determinismE0ELb0ES3_N6thrust23THRUST_200600_302600_NS6detail15normal_iteratorINS9_10device_ptrIsEEEENS9_18transform_iteratorINS9_6negateIsEESE_NS9_11use_defaultESI_EESE_sNS9_4plusIvEENS9_8equal_toIvEEsEE10hipError_tPvRmT2_T3_T4_T5_mT6_T7_P12ihipStream_tbENKUlT_T0_E_clISt17integral_constantIbLb0EES13_IbLb1EEEEDaSZ_S10_EUlSZ_E_NS1_11comp_targetILNS1_3genE4ELNS1_11target_archE910ELNS1_3gpuE8ELNS1_3repE0EEENS1_30default_config_static_selectorELNS0_4arch9wavefront6targetE0EEEvT1_, .Lfunc_end995-_ZN7rocprim17ROCPRIM_400000_NS6detail17trampoline_kernelINS0_14default_configENS1_27scan_by_key_config_selectorIssEEZZNS1_16scan_by_key_implILNS1_25lookback_scan_determinismE0ELb0ES3_N6thrust23THRUST_200600_302600_NS6detail15normal_iteratorINS9_10device_ptrIsEEEENS9_18transform_iteratorINS9_6negateIsEESE_NS9_11use_defaultESI_EESE_sNS9_4plusIvEENS9_8equal_toIvEEsEE10hipError_tPvRmT2_T3_T4_T5_mT6_T7_P12ihipStream_tbENKUlT_T0_E_clISt17integral_constantIbLb0EES13_IbLb1EEEEDaSZ_S10_EUlSZ_E_NS1_11comp_targetILNS1_3genE4ELNS1_11target_archE910ELNS1_3gpuE8ELNS1_3repE0EEENS1_30default_config_static_selectorELNS0_4arch9wavefront6targetE0EEEvT1_
                                        ; -- End function
	.set _ZN7rocprim17ROCPRIM_400000_NS6detail17trampoline_kernelINS0_14default_configENS1_27scan_by_key_config_selectorIssEEZZNS1_16scan_by_key_implILNS1_25lookback_scan_determinismE0ELb0ES3_N6thrust23THRUST_200600_302600_NS6detail15normal_iteratorINS9_10device_ptrIsEEEENS9_18transform_iteratorINS9_6negateIsEESE_NS9_11use_defaultESI_EESE_sNS9_4plusIvEENS9_8equal_toIvEEsEE10hipError_tPvRmT2_T3_T4_T5_mT6_T7_P12ihipStream_tbENKUlT_T0_E_clISt17integral_constantIbLb0EES13_IbLb1EEEEDaSZ_S10_EUlSZ_E_NS1_11comp_targetILNS1_3genE4ELNS1_11target_archE910ELNS1_3gpuE8ELNS1_3repE0EEENS1_30default_config_static_selectorELNS0_4arch9wavefront6targetE0EEEvT1_.num_vgpr, 0
	.set _ZN7rocprim17ROCPRIM_400000_NS6detail17trampoline_kernelINS0_14default_configENS1_27scan_by_key_config_selectorIssEEZZNS1_16scan_by_key_implILNS1_25lookback_scan_determinismE0ELb0ES3_N6thrust23THRUST_200600_302600_NS6detail15normal_iteratorINS9_10device_ptrIsEEEENS9_18transform_iteratorINS9_6negateIsEESE_NS9_11use_defaultESI_EESE_sNS9_4plusIvEENS9_8equal_toIvEEsEE10hipError_tPvRmT2_T3_T4_T5_mT6_T7_P12ihipStream_tbENKUlT_T0_E_clISt17integral_constantIbLb0EES13_IbLb1EEEEDaSZ_S10_EUlSZ_E_NS1_11comp_targetILNS1_3genE4ELNS1_11target_archE910ELNS1_3gpuE8ELNS1_3repE0EEENS1_30default_config_static_selectorELNS0_4arch9wavefront6targetE0EEEvT1_.num_agpr, 0
	.set _ZN7rocprim17ROCPRIM_400000_NS6detail17trampoline_kernelINS0_14default_configENS1_27scan_by_key_config_selectorIssEEZZNS1_16scan_by_key_implILNS1_25lookback_scan_determinismE0ELb0ES3_N6thrust23THRUST_200600_302600_NS6detail15normal_iteratorINS9_10device_ptrIsEEEENS9_18transform_iteratorINS9_6negateIsEESE_NS9_11use_defaultESI_EESE_sNS9_4plusIvEENS9_8equal_toIvEEsEE10hipError_tPvRmT2_T3_T4_T5_mT6_T7_P12ihipStream_tbENKUlT_T0_E_clISt17integral_constantIbLb0EES13_IbLb1EEEEDaSZ_S10_EUlSZ_E_NS1_11comp_targetILNS1_3genE4ELNS1_11target_archE910ELNS1_3gpuE8ELNS1_3repE0EEENS1_30default_config_static_selectorELNS0_4arch9wavefront6targetE0EEEvT1_.numbered_sgpr, 0
	.set _ZN7rocprim17ROCPRIM_400000_NS6detail17trampoline_kernelINS0_14default_configENS1_27scan_by_key_config_selectorIssEEZZNS1_16scan_by_key_implILNS1_25lookback_scan_determinismE0ELb0ES3_N6thrust23THRUST_200600_302600_NS6detail15normal_iteratorINS9_10device_ptrIsEEEENS9_18transform_iteratorINS9_6negateIsEESE_NS9_11use_defaultESI_EESE_sNS9_4plusIvEENS9_8equal_toIvEEsEE10hipError_tPvRmT2_T3_T4_T5_mT6_T7_P12ihipStream_tbENKUlT_T0_E_clISt17integral_constantIbLb0EES13_IbLb1EEEEDaSZ_S10_EUlSZ_E_NS1_11comp_targetILNS1_3genE4ELNS1_11target_archE910ELNS1_3gpuE8ELNS1_3repE0EEENS1_30default_config_static_selectorELNS0_4arch9wavefront6targetE0EEEvT1_.num_named_barrier, 0
	.set _ZN7rocprim17ROCPRIM_400000_NS6detail17trampoline_kernelINS0_14default_configENS1_27scan_by_key_config_selectorIssEEZZNS1_16scan_by_key_implILNS1_25lookback_scan_determinismE0ELb0ES3_N6thrust23THRUST_200600_302600_NS6detail15normal_iteratorINS9_10device_ptrIsEEEENS9_18transform_iteratorINS9_6negateIsEESE_NS9_11use_defaultESI_EESE_sNS9_4plusIvEENS9_8equal_toIvEEsEE10hipError_tPvRmT2_T3_T4_T5_mT6_T7_P12ihipStream_tbENKUlT_T0_E_clISt17integral_constantIbLb0EES13_IbLb1EEEEDaSZ_S10_EUlSZ_E_NS1_11comp_targetILNS1_3genE4ELNS1_11target_archE910ELNS1_3gpuE8ELNS1_3repE0EEENS1_30default_config_static_selectorELNS0_4arch9wavefront6targetE0EEEvT1_.private_seg_size, 0
	.set _ZN7rocprim17ROCPRIM_400000_NS6detail17trampoline_kernelINS0_14default_configENS1_27scan_by_key_config_selectorIssEEZZNS1_16scan_by_key_implILNS1_25lookback_scan_determinismE0ELb0ES3_N6thrust23THRUST_200600_302600_NS6detail15normal_iteratorINS9_10device_ptrIsEEEENS9_18transform_iteratorINS9_6negateIsEESE_NS9_11use_defaultESI_EESE_sNS9_4plusIvEENS9_8equal_toIvEEsEE10hipError_tPvRmT2_T3_T4_T5_mT6_T7_P12ihipStream_tbENKUlT_T0_E_clISt17integral_constantIbLb0EES13_IbLb1EEEEDaSZ_S10_EUlSZ_E_NS1_11comp_targetILNS1_3genE4ELNS1_11target_archE910ELNS1_3gpuE8ELNS1_3repE0EEENS1_30default_config_static_selectorELNS0_4arch9wavefront6targetE0EEEvT1_.uses_vcc, 0
	.set _ZN7rocprim17ROCPRIM_400000_NS6detail17trampoline_kernelINS0_14default_configENS1_27scan_by_key_config_selectorIssEEZZNS1_16scan_by_key_implILNS1_25lookback_scan_determinismE0ELb0ES3_N6thrust23THRUST_200600_302600_NS6detail15normal_iteratorINS9_10device_ptrIsEEEENS9_18transform_iteratorINS9_6negateIsEESE_NS9_11use_defaultESI_EESE_sNS9_4plusIvEENS9_8equal_toIvEEsEE10hipError_tPvRmT2_T3_T4_T5_mT6_T7_P12ihipStream_tbENKUlT_T0_E_clISt17integral_constantIbLb0EES13_IbLb1EEEEDaSZ_S10_EUlSZ_E_NS1_11comp_targetILNS1_3genE4ELNS1_11target_archE910ELNS1_3gpuE8ELNS1_3repE0EEENS1_30default_config_static_selectorELNS0_4arch9wavefront6targetE0EEEvT1_.uses_flat_scratch, 0
	.set _ZN7rocprim17ROCPRIM_400000_NS6detail17trampoline_kernelINS0_14default_configENS1_27scan_by_key_config_selectorIssEEZZNS1_16scan_by_key_implILNS1_25lookback_scan_determinismE0ELb0ES3_N6thrust23THRUST_200600_302600_NS6detail15normal_iteratorINS9_10device_ptrIsEEEENS9_18transform_iteratorINS9_6negateIsEESE_NS9_11use_defaultESI_EESE_sNS9_4plusIvEENS9_8equal_toIvEEsEE10hipError_tPvRmT2_T3_T4_T5_mT6_T7_P12ihipStream_tbENKUlT_T0_E_clISt17integral_constantIbLb0EES13_IbLb1EEEEDaSZ_S10_EUlSZ_E_NS1_11comp_targetILNS1_3genE4ELNS1_11target_archE910ELNS1_3gpuE8ELNS1_3repE0EEENS1_30default_config_static_selectorELNS0_4arch9wavefront6targetE0EEEvT1_.has_dyn_sized_stack, 0
	.set _ZN7rocprim17ROCPRIM_400000_NS6detail17trampoline_kernelINS0_14default_configENS1_27scan_by_key_config_selectorIssEEZZNS1_16scan_by_key_implILNS1_25lookback_scan_determinismE0ELb0ES3_N6thrust23THRUST_200600_302600_NS6detail15normal_iteratorINS9_10device_ptrIsEEEENS9_18transform_iteratorINS9_6negateIsEESE_NS9_11use_defaultESI_EESE_sNS9_4plusIvEENS9_8equal_toIvEEsEE10hipError_tPvRmT2_T3_T4_T5_mT6_T7_P12ihipStream_tbENKUlT_T0_E_clISt17integral_constantIbLb0EES13_IbLb1EEEEDaSZ_S10_EUlSZ_E_NS1_11comp_targetILNS1_3genE4ELNS1_11target_archE910ELNS1_3gpuE8ELNS1_3repE0EEENS1_30default_config_static_selectorELNS0_4arch9wavefront6targetE0EEEvT1_.has_recursion, 0
	.set _ZN7rocprim17ROCPRIM_400000_NS6detail17trampoline_kernelINS0_14default_configENS1_27scan_by_key_config_selectorIssEEZZNS1_16scan_by_key_implILNS1_25lookback_scan_determinismE0ELb0ES3_N6thrust23THRUST_200600_302600_NS6detail15normal_iteratorINS9_10device_ptrIsEEEENS9_18transform_iteratorINS9_6negateIsEESE_NS9_11use_defaultESI_EESE_sNS9_4plusIvEENS9_8equal_toIvEEsEE10hipError_tPvRmT2_T3_T4_T5_mT6_T7_P12ihipStream_tbENKUlT_T0_E_clISt17integral_constantIbLb0EES13_IbLb1EEEEDaSZ_S10_EUlSZ_E_NS1_11comp_targetILNS1_3genE4ELNS1_11target_archE910ELNS1_3gpuE8ELNS1_3repE0EEENS1_30default_config_static_selectorELNS0_4arch9wavefront6targetE0EEEvT1_.has_indirect_call, 0
	.section	.AMDGPU.csdata,"",@progbits
; Kernel info:
; codeLenInByte = 0
; TotalNumSgprs: 0
; NumVgprs: 0
; ScratchSize: 0
; MemoryBound: 0
; FloatMode: 240
; IeeeMode: 1
; LDSByteSize: 0 bytes/workgroup (compile time only)
; SGPRBlocks: 0
; VGPRBlocks: 0
; NumSGPRsForWavesPerEU: 1
; NumVGPRsForWavesPerEU: 1
; Occupancy: 16
; WaveLimiterHint : 0
; COMPUTE_PGM_RSRC2:SCRATCH_EN: 0
; COMPUTE_PGM_RSRC2:USER_SGPR: 6
; COMPUTE_PGM_RSRC2:TRAP_HANDLER: 0
; COMPUTE_PGM_RSRC2:TGID_X_EN: 1
; COMPUTE_PGM_RSRC2:TGID_Y_EN: 0
; COMPUTE_PGM_RSRC2:TGID_Z_EN: 0
; COMPUTE_PGM_RSRC2:TIDIG_COMP_CNT: 0
	.section	.text._ZN7rocprim17ROCPRIM_400000_NS6detail17trampoline_kernelINS0_14default_configENS1_27scan_by_key_config_selectorIssEEZZNS1_16scan_by_key_implILNS1_25lookback_scan_determinismE0ELb0ES3_N6thrust23THRUST_200600_302600_NS6detail15normal_iteratorINS9_10device_ptrIsEEEENS9_18transform_iteratorINS9_6negateIsEESE_NS9_11use_defaultESI_EESE_sNS9_4plusIvEENS9_8equal_toIvEEsEE10hipError_tPvRmT2_T3_T4_T5_mT6_T7_P12ihipStream_tbENKUlT_T0_E_clISt17integral_constantIbLb0EES13_IbLb1EEEEDaSZ_S10_EUlSZ_E_NS1_11comp_targetILNS1_3genE3ELNS1_11target_archE908ELNS1_3gpuE7ELNS1_3repE0EEENS1_30default_config_static_selectorELNS0_4arch9wavefront6targetE0EEEvT1_,"axG",@progbits,_ZN7rocprim17ROCPRIM_400000_NS6detail17trampoline_kernelINS0_14default_configENS1_27scan_by_key_config_selectorIssEEZZNS1_16scan_by_key_implILNS1_25lookback_scan_determinismE0ELb0ES3_N6thrust23THRUST_200600_302600_NS6detail15normal_iteratorINS9_10device_ptrIsEEEENS9_18transform_iteratorINS9_6negateIsEESE_NS9_11use_defaultESI_EESE_sNS9_4plusIvEENS9_8equal_toIvEEsEE10hipError_tPvRmT2_T3_T4_T5_mT6_T7_P12ihipStream_tbENKUlT_T0_E_clISt17integral_constantIbLb0EES13_IbLb1EEEEDaSZ_S10_EUlSZ_E_NS1_11comp_targetILNS1_3genE3ELNS1_11target_archE908ELNS1_3gpuE7ELNS1_3repE0EEENS1_30default_config_static_selectorELNS0_4arch9wavefront6targetE0EEEvT1_,comdat
	.protected	_ZN7rocprim17ROCPRIM_400000_NS6detail17trampoline_kernelINS0_14default_configENS1_27scan_by_key_config_selectorIssEEZZNS1_16scan_by_key_implILNS1_25lookback_scan_determinismE0ELb0ES3_N6thrust23THRUST_200600_302600_NS6detail15normal_iteratorINS9_10device_ptrIsEEEENS9_18transform_iteratorINS9_6negateIsEESE_NS9_11use_defaultESI_EESE_sNS9_4plusIvEENS9_8equal_toIvEEsEE10hipError_tPvRmT2_T3_T4_T5_mT6_T7_P12ihipStream_tbENKUlT_T0_E_clISt17integral_constantIbLb0EES13_IbLb1EEEEDaSZ_S10_EUlSZ_E_NS1_11comp_targetILNS1_3genE3ELNS1_11target_archE908ELNS1_3gpuE7ELNS1_3repE0EEENS1_30default_config_static_selectorELNS0_4arch9wavefront6targetE0EEEvT1_ ; -- Begin function _ZN7rocprim17ROCPRIM_400000_NS6detail17trampoline_kernelINS0_14default_configENS1_27scan_by_key_config_selectorIssEEZZNS1_16scan_by_key_implILNS1_25lookback_scan_determinismE0ELb0ES3_N6thrust23THRUST_200600_302600_NS6detail15normal_iteratorINS9_10device_ptrIsEEEENS9_18transform_iteratorINS9_6negateIsEESE_NS9_11use_defaultESI_EESE_sNS9_4plusIvEENS9_8equal_toIvEEsEE10hipError_tPvRmT2_T3_T4_T5_mT6_T7_P12ihipStream_tbENKUlT_T0_E_clISt17integral_constantIbLb0EES13_IbLb1EEEEDaSZ_S10_EUlSZ_E_NS1_11comp_targetILNS1_3genE3ELNS1_11target_archE908ELNS1_3gpuE7ELNS1_3repE0EEENS1_30default_config_static_selectorELNS0_4arch9wavefront6targetE0EEEvT1_
	.globl	_ZN7rocprim17ROCPRIM_400000_NS6detail17trampoline_kernelINS0_14default_configENS1_27scan_by_key_config_selectorIssEEZZNS1_16scan_by_key_implILNS1_25lookback_scan_determinismE0ELb0ES3_N6thrust23THRUST_200600_302600_NS6detail15normal_iteratorINS9_10device_ptrIsEEEENS9_18transform_iteratorINS9_6negateIsEESE_NS9_11use_defaultESI_EESE_sNS9_4plusIvEENS9_8equal_toIvEEsEE10hipError_tPvRmT2_T3_T4_T5_mT6_T7_P12ihipStream_tbENKUlT_T0_E_clISt17integral_constantIbLb0EES13_IbLb1EEEEDaSZ_S10_EUlSZ_E_NS1_11comp_targetILNS1_3genE3ELNS1_11target_archE908ELNS1_3gpuE7ELNS1_3repE0EEENS1_30default_config_static_selectorELNS0_4arch9wavefront6targetE0EEEvT1_
	.p2align	8
	.type	_ZN7rocprim17ROCPRIM_400000_NS6detail17trampoline_kernelINS0_14default_configENS1_27scan_by_key_config_selectorIssEEZZNS1_16scan_by_key_implILNS1_25lookback_scan_determinismE0ELb0ES3_N6thrust23THRUST_200600_302600_NS6detail15normal_iteratorINS9_10device_ptrIsEEEENS9_18transform_iteratorINS9_6negateIsEESE_NS9_11use_defaultESI_EESE_sNS9_4plusIvEENS9_8equal_toIvEEsEE10hipError_tPvRmT2_T3_T4_T5_mT6_T7_P12ihipStream_tbENKUlT_T0_E_clISt17integral_constantIbLb0EES13_IbLb1EEEEDaSZ_S10_EUlSZ_E_NS1_11comp_targetILNS1_3genE3ELNS1_11target_archE908ELNS1_3gpuE7ELNS1_3repE0EEENS1_30default_config_static_selectorELNS0_4arch9wavefront6targetE0EEEvT1_,@function
_ZN7rocprim17ROCPRIM_400000_NS6detail17trampoline_kernelINS0_14default_configENS1_27scan_by_key_config_selectorIssEEZZNS1_16scan_by_key_implILNS1_25lookback_scan_determinismE0ELb0ES3_N6thrust23THRUST_200600_302600_NS6detail15normal_iteratorINS9_10device_ptrIsEEEENS9_18transform_iteratorINS9_6negateIsEESE_NS9_11use_defaultESI_EESE_sNS9_4plusIvEENS9_8equal_toIvEEsEE10hipError_tPvRmT2_T3_T4_T5_mT6_T7_P12ihipStream_tbENKUlT_T0_E_clISt17integral_constantIbLb0EES13_IbLb1EEEEDaSZ_S10_EUlSZ_E_NS1_11comp_targetILNS1_3genE3ELNS1_11target_archE908ELNS1_3gpuE7ELNS1_3repE0EEENS1_30default_config_static_selectorELNS0_4arch9wavefront6targetE0EEEvT1_: ; @_ZN7rocprim17ROCPRIM_400000_NS6detail17trampoline_kernelINS0_14default_configENS1_27scan_by_key_config_selectorIssEEZZNS1_16scan_by_key_implILNS1_25lookback_scan_determinismE0ELb0ES3_N6thrust23THRUST_200600_302600_NS6detail15normal_iteratorINS9_10device_ptrIsEEEENS9_18transform_iteratorINS9_6negateIsEESE_NS9_11use_defaultESI_EESE_sNS9_4plusIvEENS9_8equal_toIvEEsEE10hipError_tPvRmT2_T3_T4_T5_mT6_T7_P12ihipStream_tbENKUlT_T0_E_clISt17integral_constantIbLb0EES13_IbLb1EEEEDaSZ_S10_EUlSZ_E_NS1_11comp_targetILNS1_3genE3ELNS1_11target_archE908ELNS1_3gpuE7ELNS1_3repE0EEENS1_30default_config_static_selectorELNS0_4arch9wavefront6targetE0EEEvT1_
; %bb.0:
	.section	.rodata,"a",@progbits
	.p2align	6, 0x0
	.amdhsa_kernel _ZN7rocprim17ROCPRIM_400000_NS6detail17trampoline_kernelINS0_14default_configENS1_27scan_by_key_config_selectorIssEEZZNS1_16scan_by_key_implILNS1_25lookback_scan_determinismE0ELb0ES3_N6thrust23THRUST_200600_302600_NS6detail15normal_iteratorINS9_10device_ptrIsEEEENS9_18transform_iteratorINS9_6negateIsEESE_NS9_11use_defaultESI_EESE_sNS9_4plusIvEENS9_8equal_toIvEEsEE10hipError_tPvRmT2_T3_T4_T5_mT6_T7_P12ihipStream_tbENKUlT_T0_E_clISt17integral_constantIbLb0EES13_IbLb1EEEEDaSZ_S10_EUlSZ_E_NS1_11comp_targetILNS1_3genE3ELNS1_11target_archE908ELNS1_3gpuE7ELNS1_3repE0EEENS1_30default_config_static_selectorELNS0_4arch9wavefront6targetE0EEEvT1_
		.amdhsa_group_segment_fixed_size 0
		.amdhsa_private_segment_fixed_size 0
		.amdhsa_kernarg_size 120
		.amdhsa_user_sgpr_count 6
		.amdhsa_user_sgpr_private_segment_buffer 1
		.amdhsa_user_sgpr_dispatch_ptr 0
		.amdhsa_user_sgpr_queue_ptr 0
		.amdhsa_user_sgpr_kernarg_segment_ptr 1
		.amdhsa_user_sgpr_dispatch_id 0
		.amdhsa_user_sgpr_flat_scratch_init 0
		.amdhsa_user_sgpr_private_segment_size 0
		.amdhsa_wavefront_size32 1
		.amdhsa_uses_dynamic_stack 0
		.amdhsa_system_sgpr_private_segment_wavefront_offset 0
		.amdhsa_system_sgpr_workgroup_id_x 1
		.amdhsa_system_sgpr_workgroup_id_y 0
		.amdhsa_system_sgpr_workgroup_id_z 0
		.amdhsa_system_sgpr_workgroup_info 0
		.amdhsa_system_vgpr_workitem_id 0
		.amdhsa_next_free_vgpr 1
		.amdhsa_next_free_sgpr 1
		.amdhsa_reserve_vcc 0
		.amdhsa_reserve_flat_scratch 0
		.amdhsa_float_round_mode_32 0
		.amdhsa_float_round_mode_16_64 0
		.amdhsa_float_denorm_mode_32 3
		.amdhsa_float_denorm_mode_16_64 3
		.amdhsa_dx10_clamp 1
		.amdhsa_ieee_mode 1
		.amdhsa_fp16_overflow 0
		.amdhsa_workgroup_processor_mode 1
		.amdhsa_memory_ordered 1
		.amdhsa_forward_progress 1
		.amdhsa_shared_vgpr_count 0
		.amdhsa_exception_fp_ieee_invalid_op 0
		.amdhsa_exception_fp_denorm_src 0
		.amdhsa_exception_fp_ieee_div_zero 0
		.amdhsa_exception_fp_ieee_overflow 0
		.amdhsa_exception_fp_ieee_underflow 0
		.amdhsa_exception_fp_ieee_inexact 0
		.amdhsa_exception_int_div_zero 0
	.end_amdhsa_kernel
	.section	.text._ZN7rocprim17ROCPRIM_400000_NS6detail17trampoline_kernelINS0_14default_configENS1_27scan_by_key_config_selectorIssEEZZNS1_16scan_by_key_implILNS1_25lookback_scan_determinismE0ELb0ES3_N6thrust23THRUST_200600_302600_NS6detail15normal_iteratorINS9_10device_ptrIsEEEENS9_18transform_iteratorINS9_6negateIsEESE_NS9_11use_defaultESI_EESE_sNS9_4plusIvEENS9_8equal_toIvEEsEE10hipError_tPvRmT2_T3_T4_T5_mT6_T7_P12ihipStream_tbENKUlT_T0_E_clISt17integral_constantIbLb0EES13_IbLb1EEEEDaSZ_S10_EUlSZ_E_NS1_11comp_targetILNS1_3genE3ELNS1_11target_archE908ELNS1_3gpuE7ELNS1_3repE0EEENS1_30default_config_static_selectorELNS0_4arch9wavefront6targetE0EEEvT1_,"axG",@progbits,_ZN7rocprim17ROCPRIM_400000_NS6detail17trampoline_kernelINS0_14default_configENS1_27scan_by_key_config_selectorIssEEZZNS1_16scan_by_key_implILNS1_25lookback_scan_determinismE0ELb0ES3_N6thrust23THRUST_200600_302600_NS6detail15normal_iteratorINS9_10device_ptrIsEEEENS9_18transform_iteratorINS9_6negateIsEESE_NS9_11use_defaultESI_EESE_sNS9_4plusIvEENS9_8equal_toIvEEsEE10hipError_tPvRmT2_T3_T4_T5_mT6_T7_P12ihipStream_tbENKUlT_T0_E_clISt17integral_constantIbLb0EES13_IbLb1EEEEDaSZ_S10_EUlSZ_E_NS1_11comp_targetILNS1_3genE3ELNS1_11target_archE908ELNS1_3gpuE7ELNS1_3repE0EEENS1_30default_config_static_selectorELNS0_4arch9wavefront6targetE0EEEvT1_,comdat
.Lfunc_end996:
	.size	_ZN7rocprim17ROCPRIM_400000_NS6detail17trampoline_kernelINS0_14default_configENS1_27scan_by_key_config_selectorIssEEZZNS1_16scan_by_key_implILNS1_25lookback_scan_determinismE0ELb0ES3_N6thrust23THRUST_200600_302600_NS6detail15normal_iteratorINS9_10device_ptrIsEEEENS9_18transform_iteratorINS9_6negateIsEESE_NS9_11use_defaultESI_EESE_sNS9_4plusIvEENS9_8equal_toIvEEsEE10hipError_tPvRmT2_T3_T4_T5_mT6_T7_P12ihipStream_tbENKUlT_T0_E_clISt17integral_constantIbLb0EES13_IbLb1EEEEDaSZ_S10_EUlSZ_E_NS1_11comp_targetILNS1_3genE3ELNS1_11target_archE908ELNS1_3gpuE7ELNS1_3repE0EEENS1_30default_config_static_selectorELNS0_4arch9wavefront6targetE0EEEvT1_, .Lfunc_end996-_ZN7rocprim17ROCPRIM_400000_NS6detail17trampoline_kernelINS0_14default_configENS1_27scan_by_key_config_selectorIssEEZZNS1_16scan_by_key_implILNS1_25lookback_scan_determinismE0ELb0ES3_N6thrust23THRUST_200600_302600_NS6detail15normal_iteratorINS9_10device_ptrIsEEEENS9_18transform_iteratorINS9_6negateIsEESE_NS9_11use_defaultESI_EESE_sNS9_4plusIvEENS9_8equal_toIvEEsEE10hipError_tPvRmT2_T3_T4_T5_mT6_T7_P12ihipStream_tbENKUlT_T0_E_clISt17integral_constantIbLb0EES13_IbLb1EEEEDaSZ_S10_EUlSZ_E_NS1_11comp_targetILNS1_3genE3ELNS1_11target_archE908ELNS1_3gpuE7ELNS1_3repE0EEENS1_30default_config_static_selectorELNS0_4arch9wavefront6targetE0EEEvT1_
                                        ; -- End function
	.set _ZN7rocprim17ROCPRIM_400000_NS6detail17trampoline_kernelINS0_14default_configENS1_27scan_by_key_config_selectorIssEEZZNS1_16scan_by_key_implILNS1_25lookback_scan_determinismE0ELb0ES3_N6thrust23THRUST_200600_302600_NS6detail15normal_iteratorINS9_10device_ptrIsEEEENS9_18transform_iteratorINS9_6negateIsEESE_NS9_11use_defaultESI_EESE_sNS9_4plusIvEENS9_8equal_toIvEEsEE10hipError_tPvRmT2_T3_T4_T5_mT6_T7_P12ihipStream_tbENKUlT_T0_E_clISt17integral_constantIbLb0EES13_IbLb1EEEEDaSZ_S10_EUlSZ_E_NS1_11comp_targetILNS1_3genE3ELNS1_11target_archE908ELNS1_3gpuE7ELNS1_3repE0EEENS1_30default_config_static_selectorELNS0_4arch9wavefront6targetE0EEEvT1_.num_vgpr, 0
	.set _ZN7rocprim17ROCPRIM_400000_NS6detail17trampoline_kernelINS0_14default_configENS1_27scan_by_key_config_selectorIssEEZZNS1_16scan_by_key_implILNS1_25lookback_scan_determinismE0ELb0ES3_N6thrust23THRUST_200600_302600_NS6detail15normal_iteratorINS9_10device_ptrIsEEEENS9_18transform_iteratorINS9_6negateIsEESE_NS9_11use_defaultESI_EESE_sNS9_4plusIvEENS9_8equal_toIvEEsEE10hipError_tPvRmT2_T3_T4_T5_mT6_T7_P12ihipStream_tbENKUlT_T0_E_clISt17integral_constantIbLb0EES13_IbLb1EEEEDaSZ_S10_EUlSZ_E_NS1_11comp_targetILNS1_3genE3ELNS1_11target_archE908ELNS1_3gpuE7ELNS1_3repE0EEENS1_30default_config_static_selectorELNS0_4arch9wavefront6targetE0EEEvT1_.num_agpr, 0
	.set _ZN7rocprim17ROCPRIM_400000_NS6detail17trampoline_kernelINS0_14default_configENS1_27scan_by_key_config_selectorIssEEZZNS1_16scan_by_key_implILNS1_25lookback_scan_determinismE0ELb0ES3_N6thrust23THRUST_200600_302600_NS6detail15normal_iteratorINS9_10device_ptrIsEEEENS9_18transform_iteratorINS9_6negateIsEESE_NS9_11use_defaultESI_EESE_sNS9_4plusIvEENS9_8equal_toIvEEsEE10hipError_tPvRmT2_T3_T4_T5_mT6_T7_P12ihipStream_tbENKUlT_T0_E_clISt17integral_constantIbLb0EES13_IbLb1EEEEDaSZ_S10_EUlSZ_E_NS1_11comp_targetILNS1_3genE3ELNS1_11target_archE908ELNS1_3gpuE7ELNS1_3repE0EEENS1_30default_config_static_selectorELNS0_4arch9wavefront6targetE0EEEvT1_.numbered_sgpr, 0
	.set _ZN7rocprim17ROCPRIM_400000_NS6detail17trampoline_kernelINS0_14default_configENS1_27scan_by_key_config_selectorIssEEZZNS1_16scan_by_key_implILNS1_25lookback_scan_determinismE0ELb0ES3_N6thrust23THRUST_200600_302600_NS6detail15normal_iteratorINS9_10device_ptrIsEEEENS9_18transform_iteratorINS9_6negateIsEESE_NS9_11use_defaultESI_EESE_sNS9_4plusIvEENS9_8equal_toIvEEsEE10hipError_tPvRmT2_T3_T4_T5_mT6_T7_P12ihipStream_tbENKUlT_T0_E_clISt17integral_constantIbLb0EES13_IbLb1EEEEDaSZ_S10_EUlSZ_E_NS1_11comp_targetILNS1_3genE3ELNS1_11target_archE908ELNS1_3gpuE7ELNS1_3repE0EEENS1_30default_config_static_selectorELNS0_4arch9wavefront6targetE0EEEvT1_.num_named_barrier, 0
	.set _ZN7rocprim17ROCPRIM_400000_NS6detail17trampoline_kernelINS0_14default_configENS1_27scan_by_key_config_selectorIssEEZZNS1_16scan_by_key_implILNS1_25lookback_scan_determinismE0ELb0ES3_N6thrust23THRUST_200600_302600_NS6detail15normal_iteratorINS9_10device_ptrIsEEEENS9_18transform_iteratorINS9_6negateIsEESE_NS9_11use_defaultESI_EESE_sNS9_4plusIvEENS9_8equal_toIvEEsEE10hipError_tPvRmT2_T3_T4_T5_mT6_T7_P12ihipStream_tbENKUlT_T0_E_clISt17integral_constantIbLb0EES13_IbLb1EEEEDaSZ_S10_EUlSZ_E_NS1_11comp_targetILNS1_3genE3ELNS1_11target_archE908ELNS1_3gpuE7ELNS1_3repE0EEENS1_30default_config_static_selectorELNS0_4arch9wavefront6targetE0EEEvT1_.private_seg_size, 0
	.set _ZN7rocprim17ROCPRIM_400000_NS6detail17trampoline_kernelINS0_14default_configENS1_27scan_by_key_config_selectorIssEEZZNS1_16scan_by_key_implILNS1_25lookback_scan_determinismE0ELb0ES3_N6thrust23THRUST_200600_302600_NS6detail15normal_iteratorINS9_10device_ptrIsEEEENS9_18transform_iteratorINS9_6negateIsEESE_NS9_11use_defaultESI_EESE_sNS9_4plusIvEENS9_8equal_toIvEEsEE10hipError_tPvRmT2_T3_T4_T5_mT6_T7_P12ihipStream_tbENKUlT_T0_E_clISt17integral_constantIbLb0EES13_IbLb1EEEEDaSZ_S10_EUlSZ_E_NS1_11comp_targetILNS1_3genE3ELNS1_11target_archE908ELNS1_3gpuE7ELNS1_3repE0EEENS1_30default_config_static_selectorELNS0_4arch9wavefront6targetE0EEEvT1_.uses_vcc, 0
	.set _ZN7rocprim17ROCPRIM_400000_NS6detail17trampoline_kernelINS0_14default_configENS1_27scan_by_key_config_selectorIssEEZZNS1_16scan_by_key_implILNS1_25lookback_scan_determinismE0ELb0ES3_N6thrust23THRUST_200600_302600_NS6detail15normal_iteratorINS9_10device_ptrIsEEEENS9_18transform_iteratorINS9_6negateIsEESE_NS9_11use_defaultESI_EESE_sNS9_4plusIvEENS9_8equal_toIvEEsEE10hipError_tPvRmT2_T3_T4_T5_mT6_T7_P12ihipStream_tbENKUlT_T0_E_clISt17integral_constantIbLb0EES13_IbLb1EEEEDaSZ_S10_EUlSZ_E_NS1_11comp_targetILNS1_3genE3ELNS1_11target_archE908ELNS1_3gpuE7ELNS1_3repE0EEENS1_30default_config_static_selectorELNS0_4arch9wavefront6targetE0EEEvT1_.uses_flat_scratch, 0
	.set _ZN7rocprim17ROCPRIM_400000_NS6detail17trampoline_kernelINS0_14default_configENS1_27scan_by_key_config_selectorIssEEZZNS1_16scan_by_key_implILNS1_25lookback_scan_determinismE0ELb0ES3_N6thrust23THRUST_200600_302600_NS6detail15normal_iteratorINS9_10device_ptrIsEEEENS9_18transform_iteratorINS9_6negateIsEESE_NS9_11use_defaultESI_EESE_sNS9_4plusIvEENS9_8equal_toIvEEsEE10hipError_tPvRmT2_T3_T4_T5_mT6_T7_P12ihipStream_tbENKUlT_T0_E_clISt17integral_constantIbLb0EES13_IbLb1EEEEDaSZ_S10_EUlSZ_E_NS1_11comp_targetILNS1_3genE3ELNS1_11target_archE908ELNS1_3gpuE7ELNS1_3repE0EEENS1_30default_config_static_selectorELNS0_4arch9wavefront6targetE0EEEvT1_.has_dyn_sized_stack, 0
	.set _ZN7rocprim17ROCPRIM_400000_NS6detail17trampoline_kernelINS0_14default_configENS1_27scan_by_key_config_selectorIssEEZZNS1_16scan_by_key_implILNS1_25lookback_scan_determinismE0ELb0ES3_N6thrust23THRUST_200600_302600_NS6detail15normal_iteratorINS9_10device_ptrIsEEEENS9_18transform_iteratorINS9_6negateIsEESE_NS9_11use_defaultESI_EESE_sNS9_4plusIvEENS9_8equal_toIvEEsEE10hipError_tPvRmT2_T3_T4_T5_mT6_T7_P12ihipStream_tbENKUlT_T0_E_clISt17integral_constantIbLb0EES13_IbLb1EEEEDaSZ_S10_EUlSZ_E_NS1_11comp_targetILNS1_3genE3ELNS1_11target_archE908ELNS1_3gpuE7ELNS1_3repE0EEENS1_30default_config_static_selectorELNS0_4arch9wavefront6targetE0EEEvT1_.has_recursion, 0
	.set _ZN7rocprim17ROCPRIM_400000_NS6detail17trampoline_kernelINS0_14default_configENS1_27scan_by_key_config_selectorIssEEZZNS1_16scan_by_key_implILNS1_25lookback_scan_determinismE0ELb0ES3_N6thrust23THRUST_200600_302600_NS6detail15normal_iteratorINS9_10device_ptrIsEEEENS9_18transform_iteratorINS9_6negateIsEESE_NS9_11use_defaultESI_EESE_sNS9_4plusIvEENS9_8equal_toIvEEsEE10hipError_tPvRmT2_T3_T4_T5_mT6_T7_P12ihipStream_tbENKUlT_T0_E_clISt17integral_constantIbLb0EES13_IbLb1EEEEDaSZ_S10_EUlSZ_E_NS1_11comp_targetILNS1_3genE3ELNS1_11target_archE908ELNS1_3gpuE7ELNS1_3repE0EEENS1_30default_config_static_selectorELNS0_4arch9wavefront6targetE0EEEvT1_.has_indirect_call, 0
	.section	.AMDGPU.csdata,"",@progbits
; Kernel info:
; codeLenInByte = 0
; TotalNumSgprs: 0
; NumVgprs: 0
; ScratchSize: 0
; MemoryBound: 0
; FloatMode: 240
; IeeeMode: 1
; LDSByteSize: 0 bytes/workgroup (compile time only)
; SGPRBlocks: 0
; VGPRBlocks: 0
; NumSGPRsForWavesPerEU: 1
; NumVGPRsForWavesPerEU: 1
; Occupancy: 16
; WaveLimiterHint : 0
; COMPUTE_PGM_RSRC2:SCRATCH_EN: 0
; COMPUTE_PGM_RSRC2:USER_SGPR: 6
; COMPUTE_PGM_RSRC2:TRAP_HANDLER: 0
; COMPUTE_PGM_RSRC2:TGID_X_EN: 1
; COMPUTE_PGM_RSRC2:TGID_Y_EN: 0
; COMPUTE_PGM_RSRC2:TGID_Z_EN: 0
; COMPUTE_PGM_RSRC2:TIDIG_COMP_CNT: 0
	.section	.text._ZN7rocprim17ROCPRIM_400000_NS6detail17trampoline_kernelINS0_14default_configENS1_27scan_by_key_config_selectorIssEEZZNS1_16scan_by_key_implILNS1_25lookback_scan_determinismE0ELb0ES3_N6thrust23THRUST_200600_302600_NS6detail15normal_iteratorINS9_10device_ptrIsEEEENS9_18transform_iteratorINS9_6negateIsEESE_NS9_11use_defaultESI_EESE_sNS9_4plusIvEENS9_8equal_toIvEEsEE10hipError_tPvRmT2_T3_T4_T5_mT6_T7_P12ihipStream_tbENKUlT_T0_E_clISt17integral_constantIbLb0EES13_IbLb1EEEEDaSZ_S10_EUlSZ_E_NS1_11comp_targetILNS1_3genE2ELNS1_11target_archE906ELNS1_3gpuE6ELNS1_3repE0EEENS1_30default_config_static_selectorELNS0_4arch9wavefront6targetE0EEEvT1_,"axG",@progbits,_ZN7rocprim17ROCPRIM_400000_NS6detail17trampoline_kernelINS0_14default_configENS1_27scan_by_key_config_selectorIssEEZZNS1_16scan_by_key_implILNS1_25lookback_scan_determinismE0ELb0ES3_N6thrust23THRUST_200600_302600_NS6detail15normal_iteratorINS9_10device_ptrIsEEEENS9_18transform_iteratorINS9_6negateIsEESE_NS9_11use_defaultESI_EESE_sNS9_4plusIvEENS9_8equal_toIvEEsEE10hipError_tPvRmT2_T3_T4_T5_mT6_T7_P12ihipStream_tbENKUlT_T0_E_clISt17integral_constantIbLb0EES13_IbLb1EEEEDaSZ_S10_EUlSZ_E_NS1_11comp_targetILNS1_3genE2ELNS1_11target_archE906ELNS1_3gpuE6ELNS1_3repE0EEENS1_30default_config_static_selectorELNS0_4arch9wavefront6targetE0EEEvT1_,comdat
	.protected	_ZN7rocprim17ROCPRIM_400000_NS6detail17trampoline_kernelINS0_14default_configENS1_27scan_by_key_config_selectorIssEEZZNS1_16scan_by_key_implILNS1_25lookback_scan_determinismE0ELb0ES3_N6thrust23THRUST_200600_302600_NS6detail15normal_iteratorINS9_10device_ptrIsEEEENS9_18transform_iteratorINS9_6negateIsEESE_NS9_11use_defaultESI_EESE_sNS9_4plusIvEENS9_8equal_toIvEEsEE10hipError_tPvRmT2_T3_T4_T5_mT6_T7_P12ihipStream_tbENKUlT_T0_E_clISt17integral_constantIbLb0EES13_IbLb1EEEEDaSZ_S10_EUlSZ_E_NS1_11comp_targetILNS1_3genE2ELNS1_11target_archE906ELNS1_3gpuE6ELNS1_3repE0EEENS1_30default_config_static_selectorELNS0_4arch9wavefront6targetE0EEEvT1_ ; -- Begin function _ZN7rocprim17ROCPRIM_400000_NS6detail17trampoline_kernelINS0_14default_configENS1_27scan_by_key_config_selectorIssEEZZNS1_16scan_by_key_implILNS1_25lookback_scan_determinismE0ELb0ES3_N6thrust23THRUST_200600_302600_NS6detail15normal_iteratorINS9_10device_ptrIsEEEENS9_18transform_iteratorINS9_6negateIsEESE_NS9_11use_defaultESI_EESE_sNS9_4plusIvEENS9_8equal_toIvEEsEE10hipError_tPvRmT2_T3_T4_T5_mT6_T7_P12ihipStream_tbENKUlT_T0_E_clISt17integral_constantIbLb0EES13_IbLb1EEEEDaSZ_S10_EUlSZ_E_NS1_11comp_targetILNS1_3genE2ELNS1_11target_archE906ELNS1_3gpuE6ELNS1_3repE0EEENS1_30default_config_static_selectorELNS0_4arch9wavefront6targetE0EEEvT1_
	.globl	_ZN7rocprim17ROCPRIM_400000_NS6detail17trampoline_kernelINS0_14default_configENS1_27scan_by_key_config_selectorIssEEZZNS1_16scan_by_key_implILNS1_25lookback_scan_determinismE0ELb0ES3_N6thrust23THRUST_200600_302600_NS6detail15normal_iteratorINS9_10device_ptrIsEEEENS9_18transform_iteratorINS9_6negateIsEESE_NS9_11use_defaultESI_EESE_sNS9_4plusIvEENS9_8equal_toIvEEsEE10hipError_tPvRmT2_T3_T4_T5_mT6_T7_P12ihipStream_tbENKUlT_T0_E_clISt17integral_constantIbLb0EES13_IbLb1EEEEDaSZ_S10_EUlSZ_E_NS1_11comp_targetILNS1_3genE2ELNS1_11target_archE906ELNS1_3gpuE6ELNS1_3repE0EEENS1_30default_config_static_selectorELNS0_4arch9wavefront6targetE0EEEvT1_
	.p2align	8
	.type	_ZN7rocprim17ROCPRIM_400000_NS6detail17trampoline_kernelINS0_14default_configENS1_27scan_by_key_config_selectorIssEEZZNS1_16scan_by_key_implILNS1_25lookback_scan_determinismE0ELb0ES3_N6thrust23THRUST_200600_302600_NS6detail15normal_iteratorINS9_10device_ptrIsEEEENS9_18transform_iteratorINS9_6negateIsEESE_NS9_11use_defaultESI_EESE_sNS9_4plusIvEENS9_8equal_toIvEEsEE10hipError_tPvRmT2_T3_T4_T5_mT6_T7_P12ihipStream_tbENKUlT_T0_E_clISt17integral_constantIbLb0EES13_IbLb1EEEEDaSZ_S10_EUlSZ_E_NS1_11comp_targetILNS1_3genE2ELNS1_11target_archE906ELNS1_3gpuE6ELNS1_3repE0EEENS1_30default_config_static_selectorELNS0_4arch9wavefront6targetE0EEEvT1_,@function
_ZN7rocprim17ROCPRIM_400000_NS6detail17trampoline_kernelINS0_14default_configENS1_27scan_by_key_config_selectorIssEEZZNS1_16scan_by_key_implILNS1_25lookback_scan_determinismE0ELb0ES3_N6thrust23THRUST_200600_302600_NS6detail15normal_iteratorINS9_10device_ptrIsEEEENS9_18transform_iteratorINS9_6negateIsEESE_NS9_11use_defaultESI_EESE_sNS9_4plusIvEENS9_8equal_toIvEEsEE10hipError_tPvRmT2_T3_T4_T5_mT6_T7_P12ihipStream_tbENKUlT_T0_E_clISt17integral_constantIbLb0EES13_IbLb1EEEEDaSZ_S10_EUlSZ_E_NS1_11comp_targetILNS1_3genE2ELNS1_11target_archE906ELNS1_3gpuE6ELNS1_3repE0EEENS1_30default_config_static_selectorELNS0_4arch9wavefront6targetE0EEEvT1_: ; @_ZN7rocprim17ROCPRIM_400000_NS6detail17trampoline_kernelINS0_14default_configENS1_27scan_by_key_config_selectorIssEEZZNS1_16scan_by_key_implILNS1_25lookback_scan_determinismE0ELb0ES3_N6thrust23THRUST_200600_302600_NS6detail15normal_iteratorINS9_10device_ptrIsEEEENS9_18transform_iteratorINS9_6negateIsEESE_NS9_11use_defaultESI_EESE_sNS9_4plusIvEENS9_8equal_toIvEEsEE10hipError_tPvRmT2_T3_T4_T5_mT6_T7_P12ihipStream_tbENKUlT_T0_E_clISt17integral_constantIbLb0EES13_IbLb1EEEEDaSZ_S10_EUlSZ_E_NS1_11comp_targetILNS1_3genE2ELNS1_11target_archE906ELNS1_3gpuE6ELNS1_3repE0EEENS1_30default_config_static_selectorELNS0_4arch9wavefront6targetE0EEEvT1_
; %bb.0:
	.section	.rodata,"a",@progbits
	.p2align	6, 0x0
	.amdhsa_kernel _ZN7rocprim17ROCPRIM_400000_NS6detail17trampoline_kernelINS0_14default_configENS1_27scan_by_key_config_selectorIssEEZZNS1_16scan_by_key_implILNS1_25lookback_scan_determinismE0ELb0ES3_N6thrust23THRUST_200600_302600_NS6detail15normal_iteratorINS9_10device_ptrIsEEEENS9_18transform_iteratorINS9_6negateIsEESE_NS9_11use_defaultESI_EESE_sNS9_4plusIvEENS9_8equal_toIvEEsEE10hipError_tPvRmT2_T3_T4_T5_mT6_T7_P12ihipStream_tbENKUlT_T0_E_clISt17integral_constantIbLb0EES13_IbLb1EEEEDaSZ_S10_EUlSZ_E_NS1_11comp_targetILNS1_3genE2ELNS1_11target_archE906ELNS1_3gpuE6ELNS1_3repE0EEENS1_30default_config_static_selectorELNS0_4arch9wavefront6targetE0EEEvT1_
		.amdhsa_group_segment_fixed_size 0
		.amdhsa_private_segment_fixed_size 0
		.amdhsa_kernarg_size 120
		.amdhsa_user_sgpr_count 6
		.amdhsa_user_sgpr_private_segment_buffer 1
		.amdhsa_user_sgpr_dispatch_ptr 0
		.amdhsa_user_sgpr_queue_ptr 0
		.amdhsa_user_sgpr_kernarg_segment_ptr 1
		.amdhsa_user_sgpr_dispatch_id 0
		.amdhsa_user_sgpr_flat_scratch_init 0
		.amdhsa_user_sgpr_private_segment_size 0
		.amdhsa_wavefront_size32 1
		.amdhsa_uses_dynamic_stack 0
		.amdhsa_system_sgpr_private_segment_wavefront_offset 0
		.amdhsa_system_sgpr_workgroup_id_x 1
		.amdhsa_system_sgpr_workgroup_id_y 0
		.amdhsa_system_sgpr_workgroup_id_z 0
		.amdhsa_system_sgpr_workgroup_info 0
		.amdhsa_system_vgpr_workitem_id 0
		.amdhsa_next_free_vgpr 1
		.amdhsa_next_free_sgpr 1
		.amdhsa_reserve_vcc 0
		.amdhsa_reserve_flat_scratch 0
		.amdhsa_float_round_mode_32 0
		.amdhsa_float_round_mode_16_64 0
		.amdhsa_float_denorm_mode_32 3
		.amdhsa_float_denorm_mode_16_64 3
		.amdhsa_dx10_clamp 1
		.amdhsa_ieee_mode 1
		.amdhsa_fp16_overflow 0
		.amdhsa_workgroup_processor_mode 1
		.amdhsa_memory_ordered 1
		.amdhsa_forward_progress 1
		.amdhsa_shared_vgpr_count 0
		.amdhsa_exception_fp_ieee_invalid_op 0
		.amdhsa_exception_fp_denorm_src 0
		.amdhsa_exception_fp_ieee_div_zero 0
		.amdhsa_exception_fp_ieee_overflow 0
		.amdhsa_exception_fp_ieee_underflow 0
		.amdhsa_exception_fp_ieee_inexact 0
		.amdhsa_exception_int_div_zero 0
	.end_amdhsa_kernel
	.section	.text._ZN7rocprim17ROCPRIM_400000_NS6detail17trampoline_kernelINS0_14default_configENS1_27scan_by_key_config_selectorIssEEZZNS1_16scan_by_key_implILNS1_25lookback_scan_determinismE0ELb0ES3_N6thrust23THRUST_200600_302600_NS6detail15normal_iteratorINS9_10device_ptrIsEEEENS9_18transform_iteratorINS9_6negateIsEESE_NS9_11use_defaultESI_EESE_sNS9_4plusIvEENS9_8equal_toIvEEsEE10hipError_tPvRmT2_T3_T4_T5_mT6_T7_P12ihipStream_tbENKUlT_T0_E_clISt17integral_constantIbLb0EES13_IbLb1EEEEDaSZ_S10_EUlSZ_E_NS1_11comp_targetILNS1_3genE2ELNS1_11target_archE906ELNS1_3gpuE6ELNS1_3repE0EEENS1_30default_config_static_selectorELNS0_4arch9wavefront6targetE0EEEvT1_,"axG",@progbits,_ZN7rocprim17ROCPRIM_400000_NS6detail17trampoline_kernelINS0_14default_configENS1_27scan_by_key_config_selectorIssEEZZNS1_16scan_by_key_implILNS1_25lookback_scan_determinismE0ELb0ES3_N6thrust23THRUST_200600_302600_NS6detail15normal_iteratorINS9_10device_ptrIsEEEENS9_18transform_iteratorINS9_6negateIsEESE_NS9_11use_defaultESI_EESE_sNS9_4plusIvEENS9_8equal_toIvEEsEE10hipError_tPvRmT2_T3_T4_T5_mT6_T7_P12ihipStream_tbENKUlT_T0_E_clISt17integral_constantIbLb0EES13_IbLb1EEEEDaSZ_S10_EUlSZ_E_NS1_11comp_targetILNS1_3genE2ELNS1_11target_archE906ELNS1_3gpuE6ELNS1_3repE0EEENS1_30default_config_static_selectorELNS0_4arch9wavefront6targetE0EEEvT1_,comdat
.Lfunc_end997:
	.size	_ZN7rocprim17ROCPRIM_400000_NS6detail17trampoline_kernelINS0_14default_configENS1_27scan_by_key_config_selectorIssEEZZNS1_16scan_by_key_implILNS1_25lookback_scan_determinismE0ELb0ES3_N6thrust23THRUST_200600_302600_NS6detail15normal_iteratorINS9_10device_ptrIsEEEENS9_18transform_iteratorINS9_6negateIsEESE_NS9_11use_defaultESI_EESE_sNS9_4plusIvEENS9_8equal_toIvEEsEE10hipError_tPvRmT2_T3_T4_T5_mT6_T7_P12ihipStream_tbENKUlT_T0_E_clISt17integral_constantIbLb0EES13_IbLb1EEEEDaSZ_S10_EUlSZ_E_NS1_11comp_targetILNS1_3genE2ELNS1_11target_archE906ELNS1_3gpuE6ELNS1_3repE0EEENS1_30default_config_static_selectorELNS0_4arch9wavefront6targetE0EEEvT1_, .Lfunc_end997-_ZN7rocprim17ROCPRIM_400000_NS6detail17trampoline_kernelINS0_14default_configENS1_27scan_by_key_config_selectorIssEEZZNS1_16scan_by_key_implILNS1_25lookback_scan_determinismE0ELb0ES3_N6thrust23THRUST_200600_302600_NS6detail15normal_iteratorINS9_10device_ptrIsEEEENS9_18transform_iteratorINS9_6negateIsEESE_NS9_11use_defaultESI_EESE_sNS9_4plusIvEENS9_8equal_toIvEEsEE10hipError_tPvRmT2_T3_T4_T5_mT6_T7_P12ihipStream_tbENKUlT_T0_E_clISt17integral_constantIbLb0EES13_IbLb1EEEEDaSZ_S10_EUlSZ_E_NS1_11comp_targetILNS1_3genE2ELNS1_11target_archE906ELNS1_3gpuE6ELNS1_3repE0EEENS1_30default_config_static_selectorELNS0_4arch9wavefront6targetE0EEEvT1_
                                        ; -- End function
	.set _ZN7rocprim17ROCPRIM_400000_NS6detail17trampoline_kernelINS0_14default_configENS1_27scan_by_key_config_selectorIssEEZZNS1_16scan_by_key_implILNS1_25lookback_scan_determinismE0ELb0ES3_N6thrust23THRUST_200600_302600_NS6detail15normal_iteratorINS9_10device_ptrIsEEEENS9_18transform_iteratorINS9_6negateIsEESE_NS9_11use_defaultESI_EESE_sNS9_4plusIvEENS9_8equal_toIvEEsEE10hipError_tPvRmT2_T3_T4_T5_mT6_T7_P12ihipStream_tbENKUlT_T0_E_clISt17integral_constantIbLb0EES13_IbLb1EEEEDaSZ_S10_EUlSZ_E_NS1_11comp_targetILNS1_3genE2ELNS1_11target_archE906ELNS1_3gpuE6ELNS1_3repE0EEENS1_30default_config_static_selectorELNS0_4arch9wavefront6targetE0EEEvT1_.num_vgpr, 0
	.set _ZN7rocprim17ROCPRIM_400000_NS6detail17trampoline_kernelINS0_14default_configENS1_27scan_by_key_config_selectorIssEEZZNS1_16scan_by_key_implILNS1_25lookback_scan_determinismE0ELb0ES3_N6thrust23THRUST_200600_302600_NS6detail15normal_iteratorINS9_10device_ptrIsEEEENS9_18transform_iteratorINS9_6negateIsEESE_NS9_11use_defaultESI_EESE_sNS9_4plusIvEENS9_8equal_toIvEEsEE10hipError_tPvRmT2_T3_T4_T5_mT6_T7_P12ihipStream_tbENKUlT_T0_E_clISt17integral_constantIbLb0EES13_IbLb1EEEEDaSZ_S10_EUlSZ_E_NS1_11comp_targetILNS1_3genE2ELNS1_11target_archE906ELNS1_3gpuE6ELNS1_3repE0EEENS1_30default_config_static_selectorELNS0_4arch9wavefront6targetE0EEEvT1_.num_agpr, 0
	.set _ZN7rocprim17ROCPRIM_400000_NS6detail17trampoline_kernelINS0_14default_configENS1_27scan_by_key_config_selectorIssEEZZNS1_16scan_by_key_implILNS1_25lookback_scan_determinismE0ELb0ES3_N6thrust23THRUST_200600_302600_NS6detail15normal_iteratorINS9_10device_ptrIsEEEENS9_18transform_iteratorINS9_6negateIsEESE_NS9_11use_defaultESI_EESE_sNS9_4plusIvEENS9_8equal_toIvEEsEE10hipError_tPvRmT2_T3_T4_T5_mT6_T7_P12ihipStream_tbENKUlT_T0_E_clISt17integral_constantIbLb0EES13_IbLb1EEEEDaSZ_S10_EUlSZ_E_NS1_11comp_targetILNS1_3genE2ELNS1_11target_archE906ELNS1_3gpuE6ELNS1_3repE0EEENS1_30default_config_static_selectorELNS0_4arch9wavefront6targetE0EEEvT1_.numbered_sgpr, 0
	.set _ZN7rocprim17ROCPRIM_400000_NS6detail17trampoline_kernelINS0_14default_configENS1_27scan_by_key_config_selectorIssEEZZNS1_16scan_by_key_implILNS1_25lookback_scan_determinismE0ELb0ES3_N6thrust23THRUST_200600_302600_NS6detail15normal_iteratorINS9_10device_ptrIsEEEENS9_18transform_iteratorINS9_6negateIsEESE_NS9_11use_defaultESI_EESE_sNS9_4plusIvEENS9_8equal_toIvEEsEE10hipError_tPvRmT2_T3_T4_T5_mT6_T7_P12ihipStream_tbENKUlT_T0_E_clISt17integral_constantIbLb0EES13_IbLb1EEEEDaSZ_S10_EUlSZ_E_NS1_11comp_targetILNS1_3genE2ELNS1_11target_archE906ELNS1_3gpuE6ELNS1_3repE0EEENS1_30default_config_static_selectorELNS0_4arch9wavefront6targetE0EEEvT1_.num_named_barrier, 0
	.set _ZN7rocprim17ROCPRIM_400000_NS6detail17trampoline_kernelINS0_14default_configENS1_27scan_by_key_config_selectorIssEEZZNS1_16scan_by_key_implILNS1_25lookback_scan_determinismE0ELb0ES3_N6thrust23THRUST_200600_302600_NS6detail15normal_iteratorINS9_10device_ptrIsEEEENS9_18transform_iteratorINS9_6negateIsEESE_NS9_11use_defaultESI_EESE_sNS9_4plusIvEENS9_8equal_toIvEEsEE10hipError_tPvRmT2_T3_T4_T5_mT6_T7_P12ihipStream_tbENKUlT_T0_E_clISt17integral_constantIbLb0EES13_IbLb1EEEEDaSZ_S10_EUlSZ_E_NS1_11comp_targetILNS1_3genE2ELNS1_11target_archE906ELNS1_3gpuE6ELNS1_3repE0EEENS1_30default_config_static_selectorELNS0_4arch9wavefront6targetE0EEEvT1_.private_seg_size, 0
	.set _ZN7rocprim17ROCPRIM_400000_NS6detail17trampoline_kernelINS0_14default_configENS1_27scan_by_key_config_selectorIssEEZZNS1_16scan_by_key_implILNS1_25lookback_scan_determinismE0ELb0ES3_N6thrust23THRUST_200600_302600_NS6detail15normal_iteratorINS9_10device_ptrIsEEEENS9_18transform_iteratorINS9_6negateIsEESE_NS9_11use_defaultESI_EESE_sNS9_4plusIvEENS9_8equal_toIvEEsEE10hipError_tPvRmT2_T3_T4_T5_mT6_T7_P12ihipStream_tbENKUlT_T0_E_clISt17integral_constantIbLb0EES13_IbLb1EEEEDaSZ_S10_EUlSZ_E_NS1_11comp_targetILNS1_3genE2ELNS1_11target_archE906ELNS1_3gpuE6ELNS1_3repE0EEENS1_30default_config_static_selectorELNS0_4arch9wavefront6targetE0EEEvT1_.uses_vcc, 0
	.set _ZN7rocprim17ROCPRIM_400000_NS6detail17trampoline_kernelINS0_14default_configENS1_27scan_by_key_config_selectorIssEEZZNS1_16scan_by_key_implILNS1_25lookback_scan_determinismE0ELb0ES3_N6thrust23THRUST_200600_302600_NS6detail15normal_iteratorINS9_10device_ptrIsEEEENS9_18transform_iteratorINS9_6negateIsEESE_NS9_11use_defaultESI_EESE_sNS9_4plusIvEENS9_8equal_toIvEEsEE10hipError_tPvRmT2_T3_T4_T5_mT6_T7_P12ihipStream_tbENKUlT_T0_E_clISt17integral_constantIbLb0EES13_IbLb1EEEEDaSZ_S10_EUlSZ_E_NS1_11comp_targetILNS1_3genE2ELNS1_11target_archE906ELNS1_3gpuE6ELNS1_3repE0EEENS1_30default_config_static_selectorELNS0_4arch9wavefront6targetE0EEEvT1_.uses_flat_scratch, 0
	.set _ZN7rocprim17ROCPRIM_400000_NS6detail17trampoline_kernelINS0_14default_configENS1_27scan_by_key_config_selectorIssEEZZNS1_16scan_by_key_implILNS1_25lookback_scan_determinismE0ELb0ES3_N6thrust23THRUST_200600_302600_NS6detail15normal_iteratorINS9_10device_ptrIsEEEENS9_18transform_iteratorINS9_6negateIsEESE_NS9_11use_defaultESI_EESE_sNS9_4plusIvEENS9_8equal_toIvEEsEE10hipError_tPvRmT2_T3_T4_T5_mT6_T7_P12ihipStream_tbENKUlT_T0_E_clISt17integral_constantIbLb0EES13_IbLb1EEEEDaSZ_S10_EUlSZ_E_NS1_11comp_targetILNS1_3genE2ELNS1_11target_archE906ELNS1_3gpuE6ELNS1_3repE0EEENS1_30default_config_static_selectorELNS0_4arch9wavefront6targetE0EEEvT1_.has_dyn_sized_stack, 0
	.set _ZN7rocprim17ROCPRIM_400000_NS6detail17trampoline_kernelINS0_14default_configENS1_27scan_by_key_config_selectorIssEEZZNS1_16scan_by_key_implILNS1_25lookback_scan_determinismE0ELb0ES3_N6thrust23THRUST_200600_302600_NS6detail15normal_iteratorINS9_10device_ptrIsEEEENS9_18transform_iteratorINS9_6negateIsEESE_NS9_11use_defaultESI_EESE_sNS9_4plusIvEENS9_8equal_toIvEEsEE10hipError_tPvRmT2_T3_T4_T5_mT6_T7_P12ihipStream_tbENKUlT_T0_E_clISt17integral_constantIbLb0EES13_IbLb1EEEEDaSZ_S10_EUlSZ_E_NS1_11comp_targetILNS1_3genE2ELNS1_11target_archE906ELNS1_3gpuE6ELNS1_3repE0EEENS1_30default_config_static_selectorELNS0_4arch9wavefront6targetE0EEEvT1_.has_recursion, 0
	.set _ZN7rocprim17ROCPRIM_400000_NS6detail17trampoline_kernelINS0_14default_configENS1_27scan_by_key_config_selectorIssEEZZNS1_16scan_by_key_implILNS1_25lookback_scan_determinismE0ELb0ES3_N6thrust23THRUST_200600_302600_NS6detail15normal_iteratorINS9_10device_ptrIsEEEENS9_18transform_iteratorINS9_6negateIsEESE_NS9_11use_defaultESI_EESE_sNS9_4plusIvEENS9_8equal_toIvEEsEE10hipError_tPvRmT2_T3_T4_T5_mT6_T7_P12ihipStream_tbENKUlT_T0_E_clISt17integral_constantIbLb0EES13_IbLb1EEEEDaSZ_S10_EUlSZ_E_NS1_11comp_targetILNS1_3genE2ELNS1_11target_archE906ELNS1_3gpuE6ELNS1_3repE0EEENS1_30default_config_static_selectorELNS0_4arch9wavefront6targetE0EEEvT1_.has_indirect_call, 0
	.section	.AMDGPU.csdata,"",@progbits
; Kernel info:
; codeLenInByte = 0
; TotalNumSgprs: 0
; NumVgprs: 0
; ScratchSize: 0
; MemoryBound: 0
; FloatMode: 240
; IeeeMode: 1
; LDSByteSize: 0 bytes/workgroup (compile time only)
; SGPRBlocks: 0
; VGPRBlocks: 0
; NumSGPRsForWavesPerEU: 1
; NumVGPRsForWavesPerEU: 1
; Occupancy: 16
; WaveLimiterHint : 0
; COMPUTE_PGM_RSRC2:SCRATCH_EN: 0
; COMPUTE_PGM_RSRC2:USER_SGPR: 6
; COMPUTE_PGM_RSRC2:TRAP_HANDLER: 0
; COMPUTE_PGM_RSRC2:TGID_X_EN: 1
; COMPUTE_PGM_RSRC2:TGID_Y_EN: 0
; COMPUTE_PGM_RSRC2:TGID_Z_EN: 0
; COMPUTE_PGM_RSRC2:TIDIG_COMP_CNT: 0
	.section	.text._ZN7rocprim17ROCPRIM_400000_NS6detail17trampoline_kernelINS0_14default_configENS1_27scan_by_key_config_selectorIssEEZZNS1_16scan_by_key_implILNS1_25lookback_scan_determinismE0ELb0ES3_N6thrust23THRUST_200600_302600_NS6detail15normal_iteratorINS9_10device_ptrIsEEEENS9_18transform_iteratorINS9_6negateIsEESE_NS9_11use_defaultESI_EESE_sNS9_4plusIvEENS9_8equal_toIvEEsEE10hipError_tPvRmT2_T3_T4_T5_mT6_T7_P12ihipStream_tbENKUlT_T0_E_clISt17integral_constantIbLb0EES13_IbLb1EEEEDaSZ_S10_EUlSZ_E_NS1_11comp_targetILNS1_3genE10ELNS1_11target_archE1200ELNS1_3gpuE4ELNS1_3repE0EEENS1_30default_config_static_selectorELNS0_4arch9wavefront6targetE0EEEvT1_,"axG",@progbits,_ZN7rocprim17ROCPRIM_400000_NS6detail17trampoline_kernelINS0_14default_configENS1_27scan_by_key_config_selectorIssEEZZNS1_16scan_by_key_implILNS1_25lookback_scan_determinismE0ELb0ES3_N6thrust23THRUST_200600_302600_NS6detail15normal_iteratorINS9_10device_ptrIsEEEENS9_18transform_iteratorINS9_6negateIsEESE_NS9_11use_defaultESI_EESE_sNS9_4plusIvEENS9_8equal_toIvEEsEE10hipError_tPvRmT2_T3_T4_T5_mT6_T7_P12ihipStream_tbENKUlT_T0_E_clISt17integral_constantIbLb0EES13_IbLb1EEEEDaSZ_S10_EUlSZ_E_NS1_11comp_targetILNS1_3genE10ELNS1_11target_archE1200ELNS1_3gpuE4ELNS1_3repE0EEENS1_30default_config_static_selectorELNS0_4arch9wavefront6targetE0EEEvT1_,comdat
	.protected	_ZN7rocprim17ROCPRIM_400000_NS6detail17trampoline_kernelINS0_14default_configENS1_27scan_by_key_config_selectorIssEEZZNS1_16scan_by_key_implILNS1_25lookback_scan_determinismE0ELb0ES3_N6thrust23THRUST_200600_302600_NS6detail15normal_iteratorINS9_10device_ptrIsEEEENS9_18transform_iteratorINS9_6negateIsEESE_NS9_11use_defaultESI_EESE_sNS9_4plusIvEENS9_8equal_toIvEEsEE10hipError_tPvRmT2_T3_T4_T5_mT6_T7_P12ihipStream_tbENKUlT_T0_E_clISt17integral_constantIbLb0EES13_IbLb1EEEEDaSZ_S10_EUlSZ_E_NS1_11comp_targetILNS1_3genE10ELNS1_11target_archE1200ELNS1_3gpuE4ELNS1_3repE0EEENS1_30default_config_static_selectorELNS0_4arch9wavefront6targetE0EEEvT1_ ; -- Begin function _ZN7rocprim17ROCPRIM_400000_NS6detail17trampoline_kernelINS0_14default_configENS1_27scan_by_key_config_selectorIssEEZZNS1_16scan_by_key_implILNS1_25lookback_scan_determinismE0ELb0ES3_N6thrust23THRUST_200600_302600_NS6detail15normal_iteratorINS9_10device_ptrIsEEEENS9_18transform_iteratorINS9_6negateIsEESE_NS9_11use_defaultESI_EESE_sNS9_4plusIvEENS9_8equal_toIvEEsEE10hipError_tPvRmT2_T3_T4_T5_mT6_T7_P12ihipStream_tbENKUlT_T0_E_clISt17integral_constantIbLb0EES13_IbLb1EEEEDaSZ_S10_EUlSZ_E_NS1_11comp_targetILNS1_3genE10ELNS1_11target_archE1200ELNS1_3gpuE4ELNS1_3repE0EEENS1_30default_config_static_selectorELNS0_4arch9wavefront6targetE0EEEvT1_
	.globl	_ZN7rocprim17ROCPRIM_400000_NS6detail17trampoline_kernelINS0_14default_configENS1_27scan_by_key_config_selectorIssEEZZNS1_16scan_by_key_implILNS1_25lookback_scan_determinismE0ELb0ES3_N6thrust23THRUST_200600_302600_NS6detail15normal_iteratorINS9_10device_ptrIsEEEENS9_18transform_iteratorINS9_6negateIsEESE_NS9_11use_defaultESI_EESE_sNS9_4plusIvEENS9_8equal_toIvEEsEE10hipError_tPvRmT2_T3_T4_T5_mT6_T7_P12ihipStream_tbENKUlT_T0_E_clISt17integral_constantIbLb0EES13_IbLb1EEEEDaSZ_S10_EUlSZ_E_NS1_11comp_targetILNS1_3genE10ELNS1_11target_archE1200ELNS1_3gpuE4ELNS1_3repE0EEENS1_30default_config_static_selectorELNS0_4arch9wavefront6targetE0EEEvT1_
	.p2align	8
	.type	_ZN7rocprim17ROCPRIM_400000_NS6detail17trampoline_kernelINS0_14default_configENS1_27scan_by_key_config_selectorIssEEZZNS1_16scan_by_key_implILNS1_25lookback_scan_determinismE0ELb0ES3_N6thrust23THRUST_200600_302600_NS6detail15normal_iteratorINS9_10device_ptrIsEEEENS9_18transform_iteratorINS9_6negateIsEESE_NS9_11use_defaultESI_EESE_sNS9_4plusIvEENS9_8equal_toIvEEsEE10hipError_tPvRmT2_T3_T4_T5_mT6_T7_P12ihipStream_tbENKUlT_T0_E_clISt17integral_constantIbLb0EES13_IbLb1EEEEDaSZ_S10_EUlSZ_E_NS1_11comp_targetILNS1_3genE10ELNS1_11target_archE1200ELNS1_3gpuE4ELNS1_3repE0EEENS1_30default_config_static_selectorELNS0_4arch9wavefront6targetE0EEEvT1_,@function
_ZN7rocprim17ROCPRIM_400000_NS6detail17trampoline_kernelINS0_14default_configENS1_27scan_by_key_config_selectorIssEEZZNS1_16scan_by_key_implILNS1_25lookback_scan_determinismE0ELb0ES3_N6thrust23THRUST_200600_302600_NS6detail15normal_iteratorINS9_10device_ptrIsEEEENS9_18transform_iteratorINS9_6negateIsEESE_NS9_11use_defaultESI_EESE_sNS9_4plusIvEENS9_8equal_toIvEEsEE10hipError_tPvRmT2_T3_T4_T5_mT6_T7_P12ihipStream_tbENKUlT_T0_E_clISt17integral_constantIbLb0EES13_IbLb1EEEEDaSZ_S10_EUlSZ_E_NS1_11comp_targetILNS1_3genE10ELNS1_11target_archE1200ELNS1_3gpuE4ELNS1_3repE0EEENS1_30default_config_static_selectorELNS0_4arch9wavefront6targetE0EEEvT1_: ; @_ZN7rocprim17ROCPRIM_400000_NS6detail17trampoline_kernelINS0_14default_configENS1_27scan_by_key_config_selectorIssEEZZNS1_16scan_by_key_implILNS1_25lookback_scan_determinismE0ELb0ES3_N6thrust23THRUST_200600_302600_NS6detail15normal_iteratorINS9_10device_ptrIsEEEENS9_18transform_iteratorINS9_6negateIsEESE_NS9_11use_defaultESI_EESE_sNS9_4plusIvEENS9_8equal_toIvEEsEE10hipError_tPvRmT2_T3_T4_T5_mT6_T7_P12ihipStream_tbENKUlT_T0_E_clISt17integral_constantIbLb0EES13_IbLb1EEEEDaSZ_S10_EUlSZ_E_NS1_11comp_targetILNS1_3genE10ELNS1_11target_archE1200ELNS1_3gpuE4ELNS1_3repE0EEENS1_30default_config_static_selectorELNS0_4arch9wavefront6targetE0EEEvT1_
; %bb.0:
	.section	.rodata,"a",@progbits
	.p2align	6, 0x0
	.amdhsa_kernel _ZN7rocprim17ROCPRIM_400000_NS6detail17trampoline_kernelINS0_14default_configENS1_27scan_by_key_config_selectorIssEEZZNS1_16scan_by_key_implILNS1_25lookback_scan_determinismE0ELb0ES3_N6thrust23THRUST_200600_302600_NS6detail15normal_iteratorINS9_10device_ptrIsEEEENS9_18transform_iteratorINS9_6negateIsEESE_NS9_11use_defaultESI_EESE_sNS9_4plusIvEENS9_8equal_toIvEEsEE10hipError_tPvRmT2_T3_T4_T5_mT6_T7_P12ihipStream_tbENKUlT_T0_E_clISt17integral_constantIbLb0EES13_IbLb1EEEEDaSZ_S10_EUlSZ_E_NS1_11comp_targetILNS1_3genE10ELNS1_11target_archE1200ELNS1_3gpuE4ELNS1_3repE0EEENS1_30default_config_static_selectorELNS0_4arch9wavefront6targetE0EEEvT1_
		.amdhsa_group_segment_fixed_size 0
		.amdhsa_private_segment_fixed_size 0
		.amdhsa_kernarg_size 120
		.amdhsa_user_sgpr_count 6
		.amdhsa_user_sgpr_private_segment_buffer 1
		.amdhsa_user_sgpr_dispatch_ptr 0
		.amdhsa_user_sgpr_queue_ptr 0
		.amdhsa_user_sgpr_kernarg_segment_ptr 1
		.amdhsa_user_sgpr_dispatch_id 0
		.amdhsa_user_sgpr_flat_scratch_init 0
		.amdhsa_user_sgpr_private_segment_size 0
		.amdhsa_wavefront_size32 1
		.amdhsa_uses_dynamic_stack 0
		.amdhsa_system_sgpr_private_segment_wavefront_offset 0
		.amdhsa_system_sgpr_workgroup_id_x 1
		.amdhsa_system_sgpr_workgroup_id_y 0
		.amdhsa_system_sgpr_workgroup_id_z 0
		.amdhsa_system_sgpr_workgroup_info 0
		.amdhsa_system_vgpr_workitem_id 0
		.amdhsa_next_free_vgpr 1
		.amdhsa_next_free_sgpr 1
		.amdhsa_reserve_vcc 0
		.amdhsa_reserve_flat_scratch 0
		.amdhsa_float_round_mode_32 0
		.amdhsa_float_round_mode_16_64 0
		.amdhsa_float_denorm_mode_32 3
		.amdhsa_float_denorm_mode_16_64 3
		.amdhsa_dx10_clamp 1
		.amdhsa_ieee_mode 1
		.amdhsa_fp16_overflow 0
		.amdhsa_workgroup_processor_mode 1
		.amdhsa_memory_ordered 1
		.amdhsa_forward_progress 1
		.amdhsa_shared_vgpr_count 0
		.amdhsa_exception_fp_ieee_invalid_op 0
		.amdhsa_exception_fp_denorm_src 0
		.amdhsa_exception_fp_ieee_div_zero 0
		.amdhsa_exception_fp_ieee_overflow 0
		.amdhsa_exception_fp_ieee_underflow 0
		.amdhsa_exception_fp_ieee_inexact 0
		.amdhsa_exception_int_div_zero 0
	.end_amdhsa_kernel
	.section	.text._ZN7rocprim17ROCPRIM_400000_NS6detail17trampoline_kernelINS0_14default_configENS1_27scan_by_key_config_selectorIssEEZZNS1_16scan_by_key_implILNS1_25lookback_scan_determinismE0ELb0ES3_N6thrust23THRUST_200600_302600_NS6detail15normal_iteratorINS9_10device_ptrIsEEEENS9_18transform_iteratorINS9_6negateIsEESE_NS9_11use_defaultESI_EESE_sNS9_4plusIvEENS9_8equal_toIvEEsEE10hipError_tPvRmT2_T3_T4_T5_mT6_T7_P12ihipStream_tbENKUlT_T0_E_clISt17integral_constantIbLb0EES13_IbLb1EEEEDaSZ_S10_EUlSZ_E_NS1_11comp_targetILNS1_3genE10ELNS1_11target_archE1200ELNS1_3gpuE4ELNS1_3repE0EEENS1_30default_config_static_selectorELNS0_4arch9wavefront6targetE0EEEvT1_,"axG",@progbits,_ZN7rocprim17ROCPRIM_400000_NS6detail17trampoline_kernelINS0_14default_configENS1_27scan_by_key_config_selectorIssEEZZNS1_16scan_by_key_implILNS1_25lookback_scan_determinismE0ELb0ES3_N6thrust23THRUST_200600_302600_NS6detail15normal_iteratorINS9_10device_ptrIsEEEENS9_18transform_iteratorINS9_6negateIsEESE_NS9_11use_defaultESI_EESE_sNS9_4plusIvEENS9_8equal_toIvEEsEE10hipError_tPvRmT2_T3_T4_T5_mT6_T7_P12ihipStream_tbENKUlT_T0_E_clISt17integral_constantIbLb0EES13_IbLb1EEEEDaSZ_S10_EUlSZ_E_NS1_11comp_targetILNS1_3genE10ELNS1_11target_archE1200ELNS1_3gpuE4ELNS1_3repE0EEENS1_30default_config_static_selectorELNS0_4arch9wavefront6targetE0EEEvT1_,comdat
.Lfunc_end998:
	.size	_ZN7rocprim17ROCPRIM_400000_NS6detail17trampoline_kernelINS0_14default_configENS1_27scan_by_key_config_selectorIssEEZZNS1_16scan_by_key_implILNS1_25lookback_scan_determinismE0ELb0ES3_N6thrust23THRUST_200600_302600_NS6detail15normal_iteratorINS9_10device_ptrIsEEEENS9_18transform_iteratorINS9_6negateIsEESE_NS9_11use_defaultESI_EESE_sNS9_4plusIvEENS9_8equal_toIvEEsEE10hipError_tPvRmT2_T3_T4_T5_mT6_T7_P12ihipStream_tbENKUlT_T0_E_clISt17integral_constantIbLb0EES13_IbLb1EEEEDaSZ_S10_EUlSZ_E_NS1_11comp_targetILNS1_3genE10ELNS1_11target_archE1200ELNS1_3gpuE4ELNS1_3repE0EEENS1_30default_config_static_selectorELNS0_4arch9wavefront6targetE0EEEvT1_, .Lfunc_end998-_ZN7rocprim17ROCPRIM_400000_NS6detail17trampoline_kernelINS0_14default_configENS1_27scan_by_key_config_selectorIssEEZZNS1_16scan_by_key_implILNS1_25lookback_scan_determinismE0ELb0ES3_N6thrust23THRUST_200600_302600_NS6detail15normal_iteratorINS9_10device_ptrIsEEEENS9_18transform_iteratorINS9_6negateIsEESE_NS9_11use_defaultESI_EESE_sNS9_4plusIvEENS9_8equal_toIvEEsEE10hipError_tPvRmT2_T3_T4_T5_mT6_T7_P12ihipStream_tbENKUlT_T0_E_clISt17integral_constantIbLb0EES13_IbLb1EEEEDaSZ_S10_EUlSZ_E_NS1_11comp_targetILNS1_3genE10ELNS1_11target_archE1200ELNS1_3gpuE4ELNS1_3repE0EEENS1_30default_config_static_selectorELNS0_4arch9wavefront6targetE0EEEvT1_
                                        ; -- End function
	.set _ZN7rocprim17ROCPRIM_400000_NS6detail17trampoline_kernelINS0_14default_configENS1_27scan_by_key_config_selectorIssEEZZNS1_16scan_by_key_implILNS1_25lookback_scan_determinismE0ELb0ES3_N6thrust23THRUST_200600_302600_NS6detail15normal_iteratorINS9_10device_ptrIsEEEENS9_18transform_iteratorINS9_6negateIsEESE_NS9_11use_defaultESI_EESE_sNS9_4plusIvEENS9_8equal_toIvEEsEE10hipError_tPvRmT2_T3_T4_T5_mT6_T7_P12ihipStream_tbENKUlT_T0_E_clISt17integral_constantIbLb0EES13_IbLb1EEEEDaSZ_S10_EUlSZ_E_NS1_11comp_targetILNS1_3genE10ELNS1_11target_archE1200ELNS1_3gpuE4ELNS1_3repE0EEENS1_30default_config_static_selectorELNS0_4arch9wavefront6targetE0EEEvT1_.num_vgpr, 0
	.set _ZN7rocprim17ROCPRIM_400000_NS6detail17trampoline_kernelINS0_14default_configENS1_27scan_by_key_config_selectorIssEEZZNS1_16scan_by_key_implILNS1_25lookback_scan_determinismE0ELb0ES3_N6thrust23THRUST_200600_302600_NS6detail15normal_iteratorINS9_10device_ptrIsEEEENS9_18transform_iteratorINS9_6negateIsEESE_NS9_11use_defaultESI_EESE_sNS9_4plusIvEENS9_8equal_toIvEEsEE10hipError_tPvRmT2_T3_T4_T5_mT6_T7_P12ihipStream_tbENKUlT_T0_E_clISt17integral_constantIbLb0EES13_IbLb1EEEEDaSZ_S10_EUlSZ_E_NS1_11comp_targetILNS1_3genE10ELNS1_11target_archE1200ELNS1_3gpuE4ELNS1_3repE0EEENS1_30default_config_static_selectorELNS0_4arch9wavefront6targetE0EEEvT1_.num_agpr, 0
	.set _ZN7rocprim17ROCPRIM_400000_NS6detail17trampoline_kernelINS0_14default_configENS1_27scan_by_key_config_selectorIssEEZZNS1_16scan_by_key_implILNS1_25lookback_scan_determinismE0ELb0ES3_N6thrust23THRUST_200600_302600_NS6detail15normal_iteratorINS9_10device_ptrIsEEEENS9_18transform_iteratorINS9_6negateIsEESE_NS9_11use_defaultESI_EESE_sNS9_4plusIvEENS9_8equal_toIvEEsEE10hipError_tPvRmT2_T3_T4_T5_mT6_T7_P12ihipStream_tbENKUlT_T0_E_clISt17integral_constantIbLb0EES13_IbLb1EEEEDaSZ_S10_EUlSZ_E_NS1_11comp_targetILNS1_3genE10ELNS1_11target_archE1200ELNS1_3gpuE4ELNS1_3repE0EEENS1_30default_config_static_selectorELNS0_4arch9wavefront6targetE0EEEvT1_.numbered_sgpr, 0
	.set _ZN7rocprim17ROCPRIM_400000_NS6detail17trampoline_kernelINS0_14default_configENS1_27scan_by_key_config_selectorIssEEZZNS1_16scan_by_key_implILNS1_25lookback_scan_determinismE0ELb0ES3_N6thrust23THRUST_200600_302600_NS6detail15normal_iteratorINS9_10device_ptrIsEEEENS9_18transform_iteratorINS9_6negateIsEESE_NS9_11use_defaultESI_EESE_sNS9_4plusIvEENS9_8equal_toIvEEsEE10hipError_tPvRmT2_T3_T4_T5_mT6_T7_P12ihipStream_tbENKUlT_T0_E_clISt17integral_constantIbLb0EES13_IbLb1EEEEDaSZ_S10_EUlSZ_E_NS1_11comp_targetILNS1_3genE10ELNS1_11target_archE1200ELNS1_3gpuE4ELNS1_3repE0EEENS1_30default_config_static_selectorELNS0_4arch9wavefront6targetE0EEEvT1_.num_named_barrier, 0
	.set _ZN7rocprim17ROCPRIM_400000_NS6detail17trampoline_kernelINS0_14default_configENS1_27scan_by_key_config_selectorIssEEZZNS1_16scan_by_key_implILNS1_25lookback_scan_determinismE0ELb0ES3_N6thrust23THRUST_200600_302600_NS6detail15normal_iteratorINS9_10device_ptrIsEEEENS9_18transform_iteratorINS9_6negateIsEESE_NS9_11use_defaultESI_EESE_sNS9_4plusIvEENS9_8equal_toIvEEsEE10hipError_tPvRmT2_T3_T4_T5_mT6_T7_P12ihipStream_tbENKUlT_T0_E_clISt17integral_constantIbLb0EES13_IbLb1EEEEDaSZ_S10_EUlSZ_E_NS1_11comp_targetILNS1_3genE10ELNS1_11target_archE1200ELNS1_3gpuE4ELNS1_3repE0EEENS1_30default_config_static_selectorELNS0_4arch9wavefront6targetE0EEEvT1_.private_seg_size, 0
	.set _ZN7rocprim17ROCPRIM_400000_NS6detail17trampoline_kernelINS0_14default_configENS1_27scan_by_key_config_selectorIssEEZZNS1_16scan_by_key_implILNS1_25lookback_scan_determinismE0ELb0ES3_N6thrust23THRUST_200600_302600_NS6detail15normal_iteratorINS9_10device_ptrIsEEEENS9_18transform_iteratorINS9_6negateIsEESE_NS9_11use_defaultESI_EESE_sNS9_4plusIvEENS9_8equal_toIvEEsEE10hipError_tPvRmT2_T3_T4_T5_mT6_T7_P12ihipStream_tbENKUlT_T0_E_clISt17integral_constantIbLb0EES13_IbLb1EEEEDaSZ_S10_EUlSZ_E_NS1_11comp_targetILNS1_3genE10ELNS1_11target_archE1200ELNS1_3gpuE4ELNS1_3repE0EEENS1_30default_config_static_selectorELNS0_4arch9wavefront6targetE0EEEvT1_.uses_vcc, 0
	.set _ZN7rocprim17ROCPRIM_400000_NS6detail17trampoline_kernelINS0_14default_configENS1_27scan_by_key_config_selectorIssEEZZNS1_16scan_by_key_implILNS1_25lookback_scan_determinismE0ELb0ES3_N6thrust23THRUST_200600_302600_NS6detail15normal_iteratorINS9_10device_ptrIsEEEENS9_18transform_iteratorINS9_6negateIsEESE_NS9_11use_defaultESI_EESE_sNS9_4plusIvEENS9_8equal_toIvEEsEE10hipError_tPvRmT2_T3_T4_T5_mT6_T7_P12ihipStream_tbENKUlT_T0_E_clISt17integral_constantIbLb0EES13_IbLb1EEEEDaSZ_S10_EUlSZ_E_NS1_11comp_targetILNS1_3genE10ELNS1_11target_archE1200ELNS1_3gpuE4ELNS1_3repE0EEENS1_30default_config_static_selectorELNS0_4arch9wavefront6targetE0EEEvT1_.uses_flat_scratch, 0
	.set _ZN7rocprim17ROCPRIM_400000_NS6detail17trampoline_kernelINS0_14default_configENS1_27scan_by_key_config_selectorIssEEZZNS1_16scan_by_key_implILNS1_25lookback_scan_determinismE0ELb0ES3_N6thrust23THRUST_200600_302600_NS6detail15normal_iteratorINS9_10device_ptrIsEEEENS9_18transform_iteratorINS9_6negateIsEESE_NS9_11use_defaultESI_EESE_sNS9_4plusIvEENS9_8equal_toIvEEsEE10hipError_tPvRmT2_T3_T4_T5_mT6_T7_P12ihipStream_tbENKUlT_T0_E_clISt17integral_constantIbLb0EES13_IbLb1EEEEDaSZ_S10_EUlSZ_E_NS1_11comp_targetILNS1_3genE10ELNS1_11target_archE1200ELNS1_3gpuE4ELNS1_3repE0EEENS1_30default_config_static_selectorELNS0_4arch9wavefront6targetE0EEEvT1_.has_dyn_sized_stack, 0
	.set _ZN7rocprim17ROCPRIM_400000_NS6detail17trampoline_kernelINS0_14default_configENS1_27scan_by_key_config_selectorIssEEZZNS1_16scan_by_key_implILNS1_25lookback_scan_determinismE0ELb0ES3_N6thrust23THRUST_200600_302600_NS6detail15normal_iteratorINS9_10device_ptrIsEEEENS9_18transform_iteratorINS9_6negateIsEESE_NS9_11use_defaultESI_EESE_sNS9_4plusIvEENS9_8equal_toIvEEsEE10hipError_tPvRmT2_T3_T4_T5_mT6_T7_P12ihipStream_tbENKUlT_T0_E_clISt17integral_constantIbLb0EES13_IbLb1EEEEDaSZ_S10_EUlSZ_E_NS1_11comp_targetILNS1_3genE10ELNS1_11target_archE1200ELNS1_3gpuE4ELNS1_3repE0EEENS1_30default_config_static_selectorELNS0_4arch9wavefront6targetE0EEEvT1_.has_recursion, 0
	.set _ZN7rocprim17ROCPRIM_400000_NS6detail17trampoline_kernelINS0_14default_configENS1_27scan_by_key_config_selectorIssEEZZNS1_16scan_by_key_implILNS1_25lookback_scan_determinismE0ELb0ES3_N6thrust23THRUST_200600_302600_NS6detail15normal_iteratorINS9_10device_ptrIsEEEENS9_18transform_iteratorINS9_6negateIsEESE_NS9_11use_defaultESI_EESE_sNS9_4plusIvEENS9_8equal_toIvEEsEE10hipError_tPvRmT2_T3_T4_T5_mT6_T7_P12ihipStream_tbENKUlT_T0_E_clISt17integral_constantIbLb0EES13_IbLb1EEEEDaSZ_S10_EUlSZ_E_NS1_11comp_targetILNS1_3genE10ELNS1_11target_archE1200ELNS1_3gpuE4ELNS1_3repE0EEENS1_30default_config_static_selectorELNS0_4arch9wavefront6targetE0EEEvT1_.has_indirect_call, 0
	.section	.AMDGPU.csdata,"",@progbits
; Kernel info:
; codeLenInByte = 0
; TotalNumSgprs: 0
; NumVgprs: 0
; ScratchSize: 0
; MemoryBound: 0
; FloatMode: 240
; IeeeMode: 1
; LDSByteSize: 0 bytes/workgroup (compile time only)
; SGPRBlocks: 0
; VGPRBlocks: 0
; NumSGPRsForWavesPerEU: 1
; NumVGPRsForWavesPerEU: 1
; Occupancy: 16
; WaveLimiterHint : 0
; COMPUTE_PGM_RSRC2:SCRATCH_EN: 0
; COMPUTE_PGM_RSRC2:USER_SGPR: 6
; COMPUTE_PGM_RSRC2:TRAP_HANDLER: 0
; COMPUTE_PGM_RSRC2:TGID_X_EN: 1
; COMPUTE_PGM_RSRC2:TGID_Y_EN: 0
; COMPUTE_PGM_RSRC2:TGID_Z_EN: 0
; COMPUTE_PGM_RSRC2:TIDIG_COMP_CNT: 0
	.section	.text._ZN7rocprim17ROCPRIM_400000_NS6detail17trampoline_kernelINS0_14default_configENS1_27scan_by_key_config_selectorIssEEZZNS1_16scan_by_key_implILNS1_25lookback_scan_determinismE0ELb0ES3_N6thrust23THRUST_200600_302600_NS6detail15normal_iteratorINS9_10device_ptrIsEEEENS9_18transform_iteratorINS9_6negateIsEESE_NS9_11use_defaultESI_EESE_sNS9_4plusIvEENS9_8equal_toIvEEsEE10hipError_tPvRmT2_T3_T4_T5_mT6_T7_P12ihipStream_tbENKUlT_T0_E_clISt17integral_constantIbLb0EES13_IbLb1EEEEDaSZ_S10_EUlSZ_E_NS1_11comp_targetILNS1_3genE9ELNS1_11target_archE1100ELNS1_3gpuE3ELNS1_3repE0EEENS1_30default_config_static_selectorELNS0_4arch9wavefront6targetE0EEEvT1_,"axG",@progbits,_ZN7rocprim17ROCPRIM_400000_NS6detail17trampoline_kernelINS0_14default_configENS1_27scan_by_key_config_selectorIssEEZZNS1_16scan_by_key_implILNS1_25lookback_scan_determinismE0ELb0ES3_N6thrust23THRUST_200600_302600_NS6detail15normal_iteratorINS9_10device_ptrIsEEEENS9_18transform_iteratorINS9_6negateIsEESE_NS9_11use_defaultESI_EESE_sNS9_4plusIvEENS9_8equal_toIvEEsEE10hipError_tPvRmT2_T3_T4_T5_mT6_T7_P12ihipStream_tbENKUlT_T0_E_clISt17integral_constantIbLb0EES13_IbLb1EEEEDaSZ_S10_EUlSZ_E_NS1_11comp_targetILNS1_3genE9ELNS1_11target_archE1100ELNS1_3gpuE3ELNS1_3repE0EEENS1_30default_config_static_selectorELNS0_4arch9wavefront6targetE0EEEvT1_,comdat
	.protected	_ZN7rocprim17ROCPRIM_400000_NS6detail17trampoline_kernelINS0_14default_configENS1_27scan_by_key_config_selectorIssEEZZNS1_16scan_by_key_implILNS1_25lookback_scan_determinismE0ELb0ES3_N6thrust23THRUST_200600_302600_NS6detail15normal_iteratorINS9_10device_ptrIsEEEENS9_18transform_iteratorINS9_6negateIsEESE_NS9_11use_defaultESI_EESE_sNS9_4plusIvEENS9_8equal_toIvEEsEE10hipError_tPvRmT2_T3_T4_T5_mT6_T7_P12ihipStream_tbENKUlT_T0_E_clISt17integral_constantIbLb0EES13_IbLb1EEEEDaSZ_S10_EUlSZ_E_NS1_11comp_targetILNS1_3genE9ELNS1_11target_archE1100ELNS1_3gpuE3ELNS1_3repE0EEENS1_30default_config_static_selectorELNS0_4arch9wavefront6targetE0EEEvT1_ ; -- Begin function _ZN7rocprim17ROCPRIM_400000_NS6detail17trampoline_kernelINS0_14default_configENS1_27scan_by_key_config_selectorIssEEZZNS1_16scan_by_key_implILNS1_25lookback_scan_determinismE0ELb0ES3_N6thrust23THRUST_200600_302600_NS6detail15normal_iteratorINS9_10device_ptrIsEEEENS9_18transform_iteratorINS9_6negateIsEESE_NS9_11use_defaultESI_EESE_sNS9_4plusIvEENS9_8equal_toIvEEsEE10hipError_tPvRmT2_T3_T4_T5_mT6_T7_P12ihipStream_tbENKUlT_T0_E_clISt17integral_constantIbLb0EES13_IbLb1EEEEDaSZ_S10_EUlSZ_E_NS1_11comp_targetILNS1_3genE9ELNS1_11target_archE1100ELNS1_3gpuE3ELNS1_3repE0EEENS1_30default_config_static_selectorELNS0_4arch9wavefront6targetE0EEEvT1_
	.globl	_ZN7rocprim17ROCPRIM_400000_NS6detail17trampoline_kernelINS0_14default_configENS1_27scan_by_key_config_selectorIssEEZZNS1_16scan_by_key_implILNS1_25lookback_scan_determinismE0ELb0ES3_N6thrust23THRUST_200600_302600_NS6detail15normal_iteratorINS9_10device_ptrIsEEEENS9_18transform_iteratorINS9_6negateIsEESE_NS9_11use_defaultESI_EESE_sNS9_4plusIvEENS9_8equal_toIvEEsEE10hipError_tPvRmT2_T3_T4_T5_mT6_T7_P12ihipStream_tbENKUlT_T0_E_clISt17integral_constantIbLb0EES13_IbLb1EEEEDaSZ_S10_EUlSZ_E_NS1_11comp_targetILNS1_3genE9ELNS1_11target_archE1100ELNS1_3gpuE3ELNS1_3repE0EEENS1_30default_config_static_selectorELNS0_4arch9wavefront6targetE0EEEvT1_
	.p2align	8
	.type	_ZN7rocprim17ROCPRIM_400000_NS6detail17trampoline_kernelINS0_14default_configENS1_27scan_by_key_config_selectorIssEEZZNS1_16scan_by_key_implILNS1_25lookback_scan_determinismE0ELb0ES3_N6thrust23THRUST_200600_302600_NS6detail15normal_iteratorINS9_10device_ptrIsEEEENS9_18transform_iteratorINS9_6negateIsEESE_NS9_11use_defaultESI_EESE_sNS9_4plusIvEENS9_8equal_toIvEEsEE10hipError_tPvRmT2_T3_T4_T5_mT6_T7_P12ihipStream_tbENKUlT_T0_E_clISt17integral_constantIbLb0EES13_IbLb1EEEEDaSZ_S10_EUlSZ_E_NS1_11comp_targetILNS1_3genE9ELNS1_11target_archE1100ELNS1_3gpuE3ELNS1_3repE0EEENS1_30default_config_static_selectorELNS0_4arch9wavefront6targetE0EEEvT1_,@function
_ZN7rocprim17ROCPRIM_400000_NS6detail17trampoline_kernelINS0_14default_configENS1_27scan_by_key_config_selectorIssEEZZNS1_16scan_by_key_implILNS1_25lookback_scan_determinismE0ELb0ES3_N6thrust23THRUST_200600_302600_NS6detail15normal_iteratorINS9_10device_ptrIsEEEENS9_18transform_iteratorINS9_6negateIsEESE_NS9_11use_defaultESI_EESE_sNS9_4plusIvEENS9_8equal_toIvEEsEE10hipError_tPvRmT2_T3_T4_T5_mT6_T7_P12ihipStream_tbENKUlT_T0_E_clISt17integral_constantIbLb0EES13_IbLb1EEEEDaSZ_S10_EUlSZ_E_NS1_11comp_targetILNS1_3genE9ELNS1_11target_archE1100ELNS1_3gpuE3ELNS1_3repE0EEENS1_30default_config_static_selectorELNS0_4arch9wavefront6targetE0EEEvT1_: ; @_ZN7rocprim17ROCPRIM_400000_NS6detail17trampoline_kernelINS0_14default_configENS1_27scan_by_key_config_selectorIssEEZZNS1_16scan_by_key_implILNS1_25lookback_scan_determinismE0ELb0ES3_N6thrust23THRUST_200600_302600_NS6detail15normal_iteratorINS9_10device_ptrIsEEEENS9_18transform_iteratorINS9_6negateIsEESE_NS9_11use_defaultESI_EESE_sNS9_4plusIvEENS9_8equal_toIvEEsEE10hipError_tPvRmT2_T3_T4_T5_mT6_T7_P12ihipStream_tbENKUlT_T0_E_clISt17integral_constantIbLb0EES13_IbLb1EEEEDaSZ_S10_EUlSZ_E_NS1_11comp_targetILNS1_3genE9ELNS1_11target_archE1100ELNS1_3gpuE3ELNS1_3repE0EEENS1_30default_config_static_selectorELNS0_4arch9wavefront6targetE0EEEvT1_
; %bb.0:
	.section	.rodata,"a",@progbits
	.p2align	6, 0x0
	.amdhsa_kernel _ZN7rocprim17ROCPRIM_400000_NS6detail17trampoline_kernelINS0_14default_configENS1_27scan_by_key_config_selectorIssEEZZNS1_16scan_by_key_implILNS1_25lookback_scan_determinismE0ELb0ES3_N6thrust23THRUST_200600_302600_NS6detail15normal_iteratorINS9_10device_ptrIsEEEENS9_18transform_iteratorINS9_6negateIsEESE_NS9_11use_defaultESI_EESE_sNS9_4plusIvEENS9_8equal_toIvEEsEE10hipError_tPvRmT2_T3_T4_T5_mT6_T7_P12ihipStream_tbENKUlT_T0_E_clISt17integral_constantIbLb0EES13_IbLb1EEEEDaSZ_S10_EUlSZ_E_NS1_11comp_targetILNS1_3genE9ELNS1_11target_archE1100ELNS1_3gpuE3ELNS1_3repE0EEENS1_30default_config_static_selectorELNS0_4arch9wavefront6targetE0EEEvT1_
		.amdhsa_group_segment_fixed_size 0
		.amdhsa_private_segment_fixed_size 0
		.amdhsa_kernarg_size 120
		.amdhsa_user_sgpr_count 6
		.amdhsa_user_sgpr_private_segment_buffer 1
		.amdhsa_user_sgpr_dispatch_ptr 0
		.amdhsa_user_sgpr_queue_ptr 0
		.amdhsa_user_sgpr_kernarg_segment_ptr 1
		.amdhsa_user_sgpr_dispatch_id 0
		.amdhsa_user_sgpr_flat_scratch_init 0
		.amdhsa_user_sgpr_private_segment_size 0
		.amdhsa_wavefront_size32 1
		.amdhsa_uses_dynamic_stack 0
		.amdhsa_system_sgpr_private_segment_wavefront_offset 0
		.amdhsa_system_sgpr_workgroup_id_x 1
		.amdhsa_system_sgpr_workgroup_id_y 0
		.amdhsa_system_sgpr_workgroup_id_z 0
		.amdhsa_system_sgpr_workgroup_info 0
		.amdhsa_system_vgpr_workitem_id 0
		.amdhsa_next_free_vgpr 1
		.amdhsa_next_free_sgpr 1
		.amdhsa_reserve_vcc 0
		.amdhsa_reserve_flat_scratch 0
		.amdhsa_float_round_mode_32 0
		.amdhsa_float_round_mode_16_64 0
		.amdhsa_float_denorm_mode_32 3
		.amdhsa_float_denorm_mode_16_64 3
		.amdhsa_dx10_clamp 1
		.amdhsa_ieee_mode 1
		.amdhsa_fp16_overflow 0
		.amdhsa_workgroup_processor_mode 1
		.amdhsa_memory_ordered 1
		.amdhsa_forward_progress 1
		.amdhsa_shared_vgpr_count 0
		.amdhsa_exception_fp_ieee_invalid_op 0
		.amdhsa_exception_fp_denorm_src 0
		.amdhsa_exception_fp_ieee_div_zero 0
		.amdhsa_exception_fp_ieee_overflow 0
		.amdhsa_exception_fp_ieee_underflow 0
		.amdhsa_exception_fp_ieee_inexact 0
		.amdhsa_exception_int_div_zero 0
	.end_amdhsa_kernel
	.section	.text._ZN7rocprim17ROCPRIM_400000_NS6detail17trampoline_kernelINS0_14default_configENS1_27scan_by_key_config_selectorIssEEZZNS1_16scan_by_key_implILNS1_25lookback_scan_determinismE0ELb0ES3_N6thrust23THRUST_200600_302600_NS6detail15normal_iteratorINS9_10device_ptrIsEEEENS9_18transform_iteratorINS9_6negateIsEESE_NS9_11use_defaultESI_EESE_sNS9_4plusIvEENS9_8equal_toIvEEsEE10hipError_tPvRmT2_T3_T4_T5_mT6_T7_P12ihipStream_tbENKUlT_T0_E_clISt17integral_constantIbLb0EES13_IbLb1EEEEDaSZ_S10_EUlSZ_E_NS1_11comp_targetILNS1_3genE9ELNS1_11target_archE1100ELNS1_3gpuE3ELNS1_3repE0EEENS1_30default_config_static_selectorELNS0_4arch9wavefront6targetE0EEEvT1_,"axG",@progbits,_ZN7rocprim17ROCPRIM_400000_NS6detail17trampoline_kernelINS0_14default_configENS1_27scan_by_key_config_selectorIssEEZZNS1_16scan_by_key_implILNS1_25lookback_scan_determinismE0ELb0ES3_N6thrust23THRUST_200600_302600_NS6detail15normal_iteratorINS9_10device_ptrIsEEEENS9_18transform_iteratorINS9_6negateIsEESE_NS9_11use_defaultESI_EESE_sNS9_4plusIvEENS9_8equal_toIvEEsEE10hipError_tPvRmT2_T3_T4_T5_mT6_T7_P12ihipStream_tbENKUlT_T0_E_clISt17integral_constantIbLb0EES13_IbLb1EEEEDaSZ_S10_EUlSZ_E_NS1_11comp_targetILNS1_3genE9ELNS1_11target_archE1100ELNS1_3gpuE3ELNS1_3repE0EEENS1_30default_config_static_selectorELNS0_4arch9wavefront6targetE0EEEvT1_,comdat
.Lfunc_end999:
	.size	_ZN7rocprim17ROCPRIM_400000_NS6detail17trampoline_kernelINS0_14default_configENS1_27scan_by_key_config_selectorIssEEZZNS1_16scan_by_key_implILNS1_25lookback_scan_determinismE0ELb0ES3_N6thrust23THRUST_200600_302600_NS6detail15normal_iteratorINS9_10device_ptrIsEEEENS9_18transform_iteratorINS9_6negateIsEESE_NS9_11use_defaultESI_EESE_sNS9_4plusIvEENS9_8equal_toIvEEsEE10hipError_tPvRmT2_T3_T4_T5_mT6_T7_P12ihipStream_tbENKUlT_T0_E_clISt17integral_constantIbLb0EES13_IbLb1EEEEDaSZ_S10_EUlSZ_E_NS1_11comp_targetILNS1_3genE9ELNS1_11target_archE1100ELNS1_3gpuE3ELNS1_3repE0EEENS1_30default_config_static_selectorELNS0_4arch9wavefront6targetE0EEEvT1_, .Lfunc_end999-_ZN7rocprim17ROCPRIM_400000_NS6detail17trampoline_kernelINS0_14default_configENS1_27scan_by_key_config_selectorIssEEZZNS1_16scan_by_key_implILNS1_25lookback_scan_determinismE0ELb0ES3_N6thrust23THRUST_200600_302600_NS6detail15normal_iteratorINS9_10device_ptrIsEEEENS9_18transform_iteratorINS9_6negateIsEESE_NS9_11use_defaultESI_EESE_sNS9_4plusIvEENS9_8equal_toIvEEsEE10hipError_tPvRmT2_T3_T4_T5_mT6_T7_P12ihipStream_tbENKUlT_T0_E_clISt17integral_constantIbLb0EES13_IbLb1EEEEDaSZ_S10_EUlSZ_E_NS1_11comp_targetILNS1_3genE9ELNS1_11target_archE1100ELNS1_3gpuE3ELNS1_3repE0EEENS1_30default_config_static_selectorELNS0_4arch9wavefront6targetE0EEEvT1_
                                        ; -- End function
	.set _ZN7rocprim17ROCPRIM_400000_NS6detail17trampoline_kernelINS0_14default_configENS1_27scan_by_key_config_selectorIssEEZZNS1_16scan_by_key_implILNS1_25lookback_scan_determinismE0ELb0ES3_N6thrust23THRUST_200600_302600_NS6detail15normal_iteratorINS9_10device_ptrIsEEEENS9_18transform_iteratorINS9_6negateIsEESE_NS9_11use_defaultESI_EESE_sNS9_4plusIvEENS9_8equal_toIvEEsEE10hipError_tPvRmT2_T3_T4_T5_mT6_T7_P12ihipStream_tbENKUlT_T0_E_clISt17integral_constantIbLb0EES13_IbLb1EEEEDaSZ_S10_EUlSZ_E_NS1_11comp_targetILNS1_3genE9ELNS1_11target_archE1100ELNS1_3gpuE3ELNS1_3repE0EEENS1_30default_config_static_selectorELNS0_4arch9wavefront6targetE0EEEvT1_.num_vgpr, 0
	.set _ZN7rocprim17ROCPRIM_400000_NS6detail17trampoline_kernelINS0_14default_configENS1_27scan_by_key_config_selectorIssEEZZNS1_16scan_by_key_implILNS1_25lookback_scan_determinismE0ELb0ES3_N6thrust23THRUST_200600_302600_NS6detail15normal_iteratorINS9_10device_ptrIsEEEENS9_18transform_iteratorINS9_6negateIsEESE_NS9_11use_defaultESI_EESE_sNS9_4plusIvEENS9_8equal_toIvEEsEE10hipError_tPvRmT2_T3_T4_T5_mT6_T7_P12ihipStream_tbENKUlT_T0_E_clISt17integral_constantIbLb0EES13_IbLb1EEEEDaSZ_S10_EUlSZ_E_NS1_11comp_targetILNS1_3genE9ELNS1_11target_archE1100ELNS1_3gpuE3ELNS1_3repE0EEENS1_30default_config_static_selectorELNS0_4arch9wavefront6targetE0EEEvT1_.num_agpr, 0
	.set _ZN7rocprim17ROCPRIM_400000_NS6detail17trampoline_kernelINS0_14default_configENS1_27scan_by_key_config_selectorIssEEZZNS1_16scan_by_key_implILNS1_25lookback_scan_determinismE0ELb0ES3_N6thrust23THRUST_200600_302600_NS6detail15normal_iteratorINS9_10device_ptrIsEEEENS9_18transform_iteratorINS9_6negateIsEESE_NS9_11use_defaultESI_EESE_sNS9_4plusIvEENS9_8equal_toIvEEsEE10hipError_tPvRmT2_T3_T4_T5_mT6_T7_P12ihipStream_tbENKUlT_T0_E_clISt17integral_constantIbLb0EES13_IbLb1EEEEDaSZ_S10_EUlSZ_E_NS1_11comp_targetILNS1_3genE9ELNS1_11target_archE1100ELNS1_3gpuE3ELNS1_3repE0EEENS1_30default_config_static_selectorELNS0_4arch9wavefront6targetE0EEEvT1_.numbered_sgpr, 0
	.set _ZN7rocprim17ROCPRIM_400000_NS6detail17trampoline_kernelINS0_14default_configENS1_27scan_by_key_config_selectorIssEEZZNS1_16scan_by_key_implILNS1_25lookback_scan_determinismE0ELb0ES3_N6thrust23THRUST_200600_302600_NS6detail15normal_iteratorINS9_10device_ptrIsEEEENS9_18transform_iteratorINS9_6negateIsEESE_NS9_11use_defaultESI_EESE_sNS9_4plusIvEENS9_8equal_toIvEEsEE10hipError_tPvRmT2_T3_T4_T5_mT6_T7_P12ihipStream_tbENKUlT_T0_E_clISt17integral_constantIbLb0EES13_IbLb1EEEEDaSZ_S10_EUlSZ_E_NS1_11comp_targetILNS1_3genE9ELNS1_11target_archE1100ELNS1_3gpuE3ELNS1_3repE0EEENS1_30default_config_static_selectorELNS0_4arch9wavefront6targetE0EEEvT1_.num_named_barrier, 0
	.set _ZN7rocprim17ROCPRIM_400000_NS6detail17trampoline_kernelINS0_14default_configENS1_27scan_by_key_config_selectorIssEEZZNS1_16scan_by_key_implILNS1_25lookback_scan_determinismE0ELb0ES3_N6thrust23THRUST_200600_302600_NS6detail15normal_iteratorINS9_10device_ptrIsEEEENS9_18transform_iteratorINS9_6negateIsEESE_NS9_11use_defaultESI_EESE_sNS9_4plusIvEENS9_8equal_toIvEEsEE10hipError_tPvRmT2_T3_T4_T5_mT6_T7_P12ihipStream_tbENKUlT_T0_E_clISt17integral_constantIbLb0EES13_IbLb1EEEEDaSZ_S10_EUlSZ_E_NS1_11comp_targetILNS1_3genE9ELNS1_11target_archE1100ELNS1_3gpuE3ELNS1_3repE0EEENS1_30default_config_static_selectorELNS0_4arch9wavefront6targetE0EEEvT1_.private_seg_size, 0
	.set _ZN7rocprim17ROCPRIM_400000_NS6detail17trampoline_kernelINS0_14default_configENS1_27scan_by_key_config_selectorIssEEZZNS1_16scan_by_key_implILNS1_25lookback_scan_determinismE0ELb0ES3_N6thrust23THRUST_200600_302600_NS6detail15normal_iteratorINS9_10device_ptrIsEEEENS9_18transform_iteratorINS9_6negateIsEESE_NS9_11use_defaultESI_EESE_sNS9_4plusIvEENS9_8equal_toIvEEsEE10hipError_tPvRmT2_T3_T4_T5_mT6_T7_P12ihipStream_tbENKUlT_T0_E_clISt17integral_constantIbLb0EES13_IbLb1EEEEDaSZ_S10_EUlSZ_E_NS1_11comp_targetILNS1_3genE9ELNS1_11target_archE1100ELNS1_3gpuE3ELNS1_3repE0EEENS1_30default_config_static_selectorELNS0_4arch9wavefront6targetE0EEEvT1_.uses_vcc, 0
	.set _ZN7rocprim17ROCPRIM_400000_NS6detail17trampoline_kernelINS0_14default_configENS1_27scan_by_key_config_selectorIssEEZZNS1_16scan_by_key_implILNS1_25lookback_scan_determinismE0ELb0ES3_N6thrust23THRUST_200600_302600_NS6detail15normal_iteratorINS9_10device_ptrIsEEEENS9_18transform_iteratorINS9_6negateIsEESE_NS9_11use_defaultESI_EESE_sNS9_4plusIvEENS9_8equal_toIvEEsEE10hipError_tPvRmT2_T3_T4_T5_mT6_T7_P12ihipStream_tbENKUlT_T0_E_clISt17integral_constantIbLb0EES13_IbLb1EEEEDaSZ_S10_EUlSZ_E_NS1_11comp_targetILNS1_3genE9ELNS1_11target_archE1100ELNS1_3gpuE3ELNS1_3repE0EEENS1_30default_config_static_selectorELNS0_4arch9wavefront6targetE0EEEvT1_.uses_flat_scratch, 0
	.set _ZN7rocprim17ROCPRIM_400000_NS6detail17trampoline_kernelINS0_14default_configENS1_27scan_by_key_config_selectorIssEEZZNS1_16scan_by_key_implILNS1_25lookback_scan_determinismE0ELb0ES3_N6thrust23THRUST_200600_302600_NS6detail15normal_iteratorINS9_10device_ptrIsEEEENS9_18transform_iteratorINS9_6negateIsEESE_NS9_11use_defaultESI_EESE_sNS9_4plusIvEENS9_8equal_toIvEEsEE10hipError_tPvRmT2_T3_T4_T5_mT6_T7_P12ihipStream_tbENKUlT_T0_E_clISt17integral_constantIbLb0EES13_IbLb1EEEEDaSZ_S10_EUlSZ_E_NS1_11comp_targetILNS1_3genE9ELNS1_11target_archE1100ELNS1_3gpuE3ELNS1_3repE0EEENS1_30default_config_static_selectorELNS0_4arch9wavefront6targetE0EEEvT1_.has_dyn_sized_stack, 0
	.set _ZN7rocprim17ROCPRIM_400000_NS6detail17trampoline_kernelINS0_14default_configENS1_27scan_by_key_config_selectorIssEEZZNS1_16scan_by_key_implILNS1_25lookback_scan_determinismE0ELb0ES3_N6thrust23THRUST_200600_302600_NS6detail15normal_iteratorINS9_10device_ptrIsEEEENS9_18transform_iteratorINS9_6negateIsEESE_NS9_11use_defaultESI_EESE_sNS9_4plusIvEENS9_8equal_toIvEEsEE10hipError_tPvRmT2_T3_T4_T5_mT6_T7_P12ihipStream_tbENKUlT_T0_E_clISt17integral_constantIbLb0EES13_IbLb1EEEEDaSZ_S10_EUlSZ_E_NS1_11comp_targetILNS1_3genE9ELNS1_11target_archE1100ELNS1_3gpuE3ELNS1_3repE0EEENS1_30default_config_static_selectorELNS0_4arch9wavefront6targetE0EEEvT1_.has_recursion, 0
	.set _ZN7rocprim17ROCPRIM_400000_NS6detail17trampoline_kernelINS0_14default_configENS1_27scan_by_key_config_selectorIssEEZZNS1_16scan_by_key_implILNS1_25lookback_scan_determinismE0ELb0ES3_N6thrust23THRUST_200600_302600_NS6detail15normal_iteratorINS9_10device_ptrIsEEEENS9_18transform_iteratorINS9_6negateIsEESE_NS9_11use_defaultESI_EESE_sNS9_4plusIvEENS9_8equal_toIvEEsEE10hipError_tPvRmT2_T3_T4_T5_mT6_T7_P12ihipStream_tbENKUlT_T0_E_clISt17integral_constantIbLb0EES13_IbLb1EEEEDaSZ_S10_EUlSZ_E_NS1_11comp_targetILNS1_3genE9ELNS1_11target_archE1100ELNS1_3gpuE3ELNS1_3repE0EEENS1_30default_config_static_selectorELNS0_4arch9wavefront6targetE0EEEvT1_.has_indirect_call, 0
	.section	.AMDGPU.csdata,"",@progbits
; Kernel info:
; codeLenInByte = 0
; TotalNumSgprs: 0
; NumVgprs: 0
; ScratchSize: 0
; MemoryBound: 0
; FloatMode: 240
; IeeeMode: 1
; LDSByteSize: 0 bytes/workgroup (compile time only)
; SGPRBlocks: 0
; VGPRBlocks: 0
; NumSGPRsForWavesPerEU: 1
; NumVGPRsForWavesPerEU: 1
; Occupancy: 16
; WaveLimiterHint : 0
; COMPUTE_PGM_RSRC2:SCRATCH_EN: 0
; COMPUTE_PGM_RSRC2:USER_SGPR: 6
; COMPUTE_PGM_RSRC2:TRAP_HANDLER: 0
; COMPUTE_PGM_RSRC2:TGID_X_EN: 1
; COMPUTE_PGM_RSRC2:TGID_Y_EN: 0
; COMPUTE_PGM_RSRC2:TGID_Z_EN: 0
; COMPUTE_PGM_RSRC2:TIDIG_COMP_CNT: 0
	.section	.text._ZN7rocprim17ROCPRIM_400000_NS6detail17trampoline_kernelINS0_14default_configENS1_27scan_by_key_config_selectorIssEEZZNS1_16scan_by_key_implILNS1_25lookback_scan_determinismE0ELb0ES3_N6thrust23THRUST_200600_302600_NS6detail15normal_iteratorINS9_10device_ptrIsEEEENS9_18transform_iteratorINS9_6negateIsEESE_NS9_11use_defaultESI_EESE_sNS9_4plusIvEENS9_8equal_toIvEEsEE10hipError_tPvRmT2_T3_T4_T5_mT6_T7_P12ihipStream_tbENKUlT_T0_E_clISt17integral_constantIbLb0EES13_IbLb1EEEEDaSZ_S10_EUlSZ_E_NS1_11comp_targetILNS1_3genE8ELNS1_11target_archE1030ELNS1_3gpuE2ELNS1_3repE0EEENS1_30default_config_static_selectorELNS0_4arch9wavefront6targetE0EEEvT1_,"axG",@progbits,_ZN7rocprim17ROCPRIM_400000_NS6detail17trampoline_kernelINS0_14default_configENS1_27scan_by_key_config_selectorIssEEZZNS1_16scan_by_key_implILNS1_25lookback_scan_determinismE0ELb0ES3_N6thrust23THRUST_200600_302600_NS6detail15normal_iteratorINS9_10device_ptrIsEEEENS9_18transform_iteratorINS9_6negateIsEESE_NS9_11use_defaultESI_EESE_sNS9_4plusIvEENS9_8equal_toIvEEsEE10hipError_tPvRmT2_T3_T4_T5_mT6_T7_P12ihipStream_tbENKUlT_T0_E_clISt17integral_constantIbLb0EES13_IbLb1EEEEDaSZ_S10_EUlSZ_E_NS1_11comp_targetILNS1_3genE8ELNS1_11target_archE1030ELNS1_3gpuE2ELNS1_3repE0EEENS1_30default_config_static_selectorELNS0_4arch9wavefront6targetE0EEEvT1_,comdat
	.protected	_ZN7rocprim17ROCPRIM_400000_NS6detail17trampoline_kernelINS0_14default_configENS1_27scan_by_key_config_selectorIssEEZZNS1_16scan_by_key_implILNS1_25lookback_scan_determinismE0ELb0ES3_N6thrust23THRUST_200600_302600_NS6detail15normal_iteratorINS9_10device_ptrIsEEEENS9_18transform_iteratorINS9_6negateIsEESE_NS9_11use_defaultESI_EESE_sNS9_4plusIvEENS9_8equal_toIvEEsEE10hipError_tPvRmT2_T3_T4_T5_mT6_T7_P12ihipStream_tbENKUlT_T0_E_clISt17integral_constantIbLb0EES13_IbLb1EEEEDaSZ_S10_EUlSZ_E_NS1_11comp_targetILNS1_3genE8ELNS1_11target_archE1030ELNS1_3gpuE2ELNS1_3repE0EEENS1_30default_config_static_selectorELNS0_4arch9wavefront6targetE0EEEvT1_ ; -- Begin function _ZN7rocprim17ROCPRIM_400000_NS6detail17trampoline_kernelINS0_14default_configENS1_27scan_by_key_config_selectorIssEEZZNS1_16scan_by_key_implILNS1_25lookback_scan_determinismE0ELb0ES3_N6thrust23THRUST_200600_302600_NS6detail15normal_iteratorINS9_10device_ptrIsEEEENS9_18transform_iteratorINS9_6negateIsEESE_NS9_11use_defaultESI_EESE_sNS9_4plusIvEENS9_8equal_toIvEEsEE10hipError_tPvRmT2_T3_T4_T5_mT6_T7_P12ihipStream_tbENKUlT_T0_E_clISt17integral_constantIbLb0EES13_IbLb1EEEEDaSZ_S10_EUlSZ_E_NS1_11comp_targetILNS1_3genE8ELNS1_11target_archE1030ELNS1_3gpuE2ELNS1_3repE0EEENS1_30default_config_static_selectorELNS0_4arch9wavefront6targetE0EEEvT1_
	.globl	_ZN7rocprim17ROCPRIM_400000_NS6detail17trampoline_kernelINS0_14default_configENS1_27scan_by_key_config_selectorIssEEZZNS1_16scan_by_key_implILNS1_25lookback_scan_determinismE0ELb0ES3_N6thrust23THRUST_200600_302600_NS6detail15normal_iteratorINS9_10device_ptrIsEEEENS9_18transform_iteratorINS9_6negateIsEESE_NS9_11use_defaultESI_EESE_sNS9_4plusIvEENS9_8equal_toIvEEsEE10hipError_tPvRmT2_T3_T4_T5_mT6_T7_P12ihipStream_tbENKUlT_T0_E_clISt17integral_constantIbLb0EES13_IbLb1EEEEDaSZ_S10_EUlSZ_E_NS1_11comp_targetILNS1_3genE8ELNS1_11target_archE1030ELNS1_3gpuE2ELNS1_3repE0EEENS1_30default_config_static_selectorELNS0_4arch9wavefront6targetE0EEEvT1_
	.p2align	8
	.type	_ZN7rocprim17ROCPRIM_400000_NS6detail17trampoline_kernelINS0_14default_configENS1_27scan_by_key_config_selectorIssEEZZNS1_16scan_by_key_implILNS1_25lookback_scan_determinismE0ELb0ES3_N6thrust23THRUST_200600_302600_NS6detail15normal_iteratorINS9_10device_ptrIsEEEENS9_18transform_iteratorINS9_6negateIsEESE_NS9_11use_defaultESI_EESE_sNS9_4plusIvEENS9_8equal_toIvEEsEE10hipError_tPvRmT2_T3_T4_T5_mT6_T7_P12ihipStream_tbENKUlT_T0_E_clISt17integral_constantIbLb0EES13_IbLb1EEEEDaSZ_S10_EUlSZ_E_NS1_11comp_targetILNS1_3genE8ELNS1_11target_archE1030ELNS1_3gpuE2ELNS1_3repE0EEENS1_30default_config_static_selectorELNS0_4arch9wavefront6targetE0EEEvT1_,@function
_ZN7rocprim17ROCPRIM_400000_NS6detail17trampoline_kernelINS0_14default_configENS1_27scan_by_key_config_selectorIssEEZZNS1_16scan_by_key_implILNS1_25lookback_scan_determinismE0ELb0ES3_N6thrust23THRUST_200600_302600_NS6detail15normal_iteratorINS9_10device_ptrIsEEEENS9_18transform_iteratorINS9_6negateIsEESE_NS9_11use_defaultESI_EESE_sNS9_4plusIvEENS9_8equal_toIvEEsEE10hipError_tPvRmT2_T3_T4_T5_mT6_T7_P12ihipStream_tbENKUlT_T0_E_clISt17integral_constantIbLb0EES13_IbLb1EEEEDaSZ_S10_EUlSZ_E_NS1_11comp_targetILNS1_3genE8ELNS1_11target_archE1030ELNS1_3gpuE2ELNS1_3repE0EEENS1_30default_config_static_selectorELNS0_4arch9wavefront6targetE0EEEvT1_: ; @_ZN7rocprim17ROCPRIM_400000_NS6detail17trampoline_kernelINS0_14default_configENS1_27scan_by_key_config_selectorIssEEZZNS1_16scan_by_key_implILNS1_25lookback_scan_determinismE0ELb0ES3_N6thrust23THRUST_200600_302600_NS6detail15normal_iteratorINS9_10device_ptrIsEEEENS9_18transform_iteratorINS9_6negateIsEESE_NS9_11use_defaultESI_EESE_sNS9_4plusIvEENS9_8equal_toIvEEsEE10hipError_tPvRmT2_T3_T4_T5_mT6_T7_P12ihipStream_tbENKUlT_T0_E_clISt17integral_constantIbLb0EES13_IbLb1EEEEDaSZ_S10_EUlSZ_E_NS1_11comp_targetILNS1_3genE8ELNS1_11target_archE1030ELNS1_3gpuE2ELNS1_3repE0EEENS1_30default_config_static_selectorELNS0_4arch9wavefront6targetE0EEEvT1_
; %bb.0:
	s_clause 0x4
	s_load_dwordx4 s[8:11], s[4:5], 0x0
	s_load_dwordx2 s[2:3], s[4:5], 0x10
	s_load_dwordx2 s[24:25], s[4:5], 0x20
	s_load_dwordx4 s[20:23], s[4:5], 0x30
	s_load_dwordx2 s[28:29], s[4:5], 0x40
	v_cmp_ne_u32_e64 s1, 0, v0
	v_cmp_eq_u32_e64 s0, 0, v0
	s_and_saveexec_b32 s6, s0
	s_cbranch_execz .LBB1000_4
; %bb.1:
	s_mov_b32 s12, exec_lo
	s_mov_b32 s7, exec_lo
	v_mbcnt_lo_u32_b32 v1, s12, 0
                                        ; implicit-def: $vgpr2
	v_cmpx_eq_u32_e32 0, v1
	s_cbranch_execz .LBB1000_3
; %bb.2:
	s_load_dwordx2 s[14:15], s[4:5], 0x70
	s_bcnt1_i32_b32 s12, s12
	v_mov_b32_e32 v2, 0
	v_mov_b32_e32 v3, s12
	s_waitcnt lgkmcnt(0)
	global_atomic_add v2, v2, v3, s[14:15] glc
.LBB1000_3:
	s_or_b32 exec_lo, exec_lo, s7
	s_waitcnt vmcnt(0)
	v_readfirstlane_b32 s7, v2
	v_mov_b32_e32 v2, 0
	v_add_nc_u32_e32 v1, s7, v1
	ds_write_b32 v2, v1
.LBB1000_4:
	s_or_b32 exec_lo, exec_lo, s6
	v_mov_b32_e32 v1, 0
	s_clause 0x1
	s_load_dword s6, s[4:5], 0x48
	s_load_dwordx8 s[12:19], s[4:5], 0x50
	s_waitcnt lgkmcnt(0)
	s_barrier
	buffer_gl0_inv
	ds_read_b32 v1, v1
	s_lshl_b64 s[26:27], s[10:11], 1
	s_waitcnt lgkmcnt(0)
	s_add_u32 s4, s8, s26
	s_addc_u32 s5, s9, s27
	s_add_u32 s7, s2, s26
	s_addc_u32 s9, s3, s27
	s_mov_b32 s3, 0
	s_barrier
	buffer_gl0_inv
	s_barrier
	buffer_gl0_inv
	s_mul_i32 s2, s29, s6
	s_mul_hi_u32 s8, s28, s6
	s_add_i32 s8, s8, s2
	s_cmp_lg_u64 s[16:17], 0
	v_readfirstlane_b32 s38, v1
	s_cselect_b32 s39, -1, 0
	s_mul_i32 s2, s38, 0x280
	s_lshl_b64 s[16:17], s[2:3], 1
	s_mul_i32 s2, s28, s6
	s_add_u32 s34, s4, s16
	s_addc_u32 s35, s5, s17
	s_add_u32 s30, s7, s16
	s_addc_u32 s31, s9, s17
	;; [unrolled: 2-line block ×3, first 2 shown]
	s_add_u32 s4, s12, -1
	s_addc_u32 s5, s13, -1
	s_mul_i32 s33, s4, 0xfffffd80
	v_cmp_ge_u64_e64 s23, s[36:37], s[4:5]
	s_and_b32 vcc_lo, exec_lo, s23
	s_cbranch_vccz .LBB1000_61
; %bb.5:
	v_mov_b32_e32 v1, s34
	v_mov_b32_e32 v2, s35
	s_add_i32 s40, s33, s22
	v_cmp_gt_u32_e64 s11, s40, v0
	flat_load_ushort v1, v[1:2]
	s_waitcnt vmcnt(0) lgkmcnt(0)
	v_mov_b32_e32 v2, v1
	s_and_saveexec_b32 s2, s11
	s_cbranch_execz .LBB1000_7
; %bb.6:
	v_lshlrev_b32_e32 v2, 1, v0
	v_add_co_u32 v2, s3, s34, v2
	v_add_co_ci_u32_e64 v3, null, s35, 0, s3
	flat_load_ushort v2, v[2:3]
.LBB1000_7:
	s_or_b32 exec_lo, exec_lo, s2
	v_or_b32_e32 v3, 64, v0
	v_cmp_gt_u32_e64 s10, s40, v3
	v_mov_b32_e32 v3, v1
	s_and_saveexec_b32 s2, s10
	s_cbranch_execz .LBB1000_9
; %bb.8:
	v_lshlrev_b32_e32 v3, 1, v0
	v_add_co_u32 v3, s3, s34, v3
	v_add_co_ci_u32_e64 v4, null, s35, 0, s3
	flat_load_ushort v3, v[3:4] offset:128
.LBB1000_9:
	s_or_b32 exec_lo, exec_lo, s2
	v_or_b32_e32 v4, 0x80, v0
	v_cmp_gt_u32_e64 s9, s40, v4
	v_mov_b32_e32 v4, v1
	s_and_saveexec_b32 s2, s9
	s_cbranch_execz .LBB1000_11
; %bb.10:
	v_lshlrev_b32_e32 v4, 1, v0
	v_add_co_u32 v4, s3, s34, v4
	v_add_co_ci_u32_e64 v5, null, s35, 0, s3
	flat_load_ushort v4, v[4:5] offset:256
.LBB1000_11:
	;; [unrolled: 12-line block ×8, first 2 shown]
	s_or_b32 exec_lo, exec_lo, s2
	v_or_b32_e32 v11, 0x240, v0
	s_mov_b32 s12, exec_lo
	v_cmp_gt_u32_e64 s2, s40, v11
	v_cmpx_le_u32_e64 s40, v11
	s_xor_b32 s12, exec_lo, s12
	s_andn2_saveexec_b32 s12, s12
	s_cbranch_execz .LBB1000_25
; %bb.24:
	v_lshlrev_b32_e32 v1, 1, v0
	v_add_co_u32 v11, s13, s34, v1
	v_add_co_ci_u32_e64 v12, null, s35, 0, s13
	flat_load_ushort v1, v[11:12] offset:1152
.LBB1000_25:
	s_or_b32 exec_lo, exec_lo, s12
	v_lshlrev_b32_e32 v13, 1, v0
	s_cmp_eq_u64 s[36:37], 0
	s_mov_b64 s[12:13], s[34:35]
	s_waitcnt vmcnt(0) lgkmcnt(0)
	ds_write_b16 v13, v2
	ds_write_b16 v13, v3 offset:128
	ds_write_b16 v13, v4 offset:256
	;; [unrolled: 1-line block ×8, first 2 shown]
	v_mad_u32_u24 v23, v0, 18, v13
	ds_write_b16 v13, v1 offset:1152
	s_waitcnt lgkmcnt(0)
	s_barrier
	buffer_gl0_inv
	ds_read2_b32 v[11:12], v23 offset1:1
	ds_read2_b32 v[9:10], v23 offset0:2 offset1:3
	ds_read_b32 v22, v23 offset:16
	s_cbranch_scc1 .LBB1000_29
; %bb.26:
	s_andn2_b32 vcc_lo, exec_lo, s39
	s_cbranch_vccnz .LBB1000_201
; %bb.27:
	s_lshl_b64 s[12:13], s[36:37], 1
	s_add_u32 s12, s18, s12
	s_addc_u32 s13, s19, s13
	s_add_u32 s12, s12, -2
	s_addc_u32 s13, s13, -1
	s_cbranch_execnz .LBB1000_29
.LBB1000_28:
	s_add_u32 s12, s34, -2
	s_addc_u32 s13, s35, -1
.LBB1000_29:
	v_mov_b32_e32 v1, s12
	v_mov_b32_e32 v2, s13
	s_waitcnt lgkmcnt(0)
	v_lshrrev_b32_e32 v24, 16, v22
	flat_load_ushort v29, v[1:2]
	v_mad_i32_i24 v1, 0xffffffee, v0, v23
	ds_write_b16 v1, v24 offset:1280
	s_waitcnt vmcnt(0) lgkmcnt(0)
	s_barrier
	buffer_gl0_inv
	s_and_saveexec_b32 s12, s1
; %bb.30:
	v_mul_i32_i24_e32 v1, 0xffffffee, v0
	v_add_nc_u32_e32 v1, v23, v1
	ds_read_u16 v29, v1 offset:1278
; %bb.31:
	s_or_b32 exec_lo, exec_lo, s12
	v_mov_b32_e32 v1, 0
	v_lshlrev_b32_e32 v14, 1, v0
	s_waitcnt lgkmcnt(0)
	s_barrier
	buffer_gl0_inv
	v_mov_b32_e32 v2, v1
	v_mov_b32_e32 v3, v1
	v_mov_b32_e32 v4, v1
	v_mov_b32_e32 v5, v1
	s_and_saveexec_b32 s12, s11
	s_cbranch_execnz .LBB1000_192
; %bb.32:
	s_or_b32 exec_lo, exec_lo, s12
	s_and_saveexec_b32 s11, s10
	s_cbranch_execnz .LBB1000_193
.LBB1000_33:
	s_or_b32 exec_lo, exec_lo, s11
	s_and_saveexec_b32 s10, s9
	s_cbranch_execnz .LBB1000_194
.LBB1000_34:
	s_or_b32 exec_lo, exec_lo, s10
	s_and_saveexec_b32 s9, s8
	s_cbranch_execnz .LBB1000_195
.LBB1000_35:
	s_or_b32 exec_lo, exec_lo, s9
	s_and_saveexec_b32 s8, s7
	s_cbranch_execnz .LBB1000_196
.LBB1000_36:
	s_or_b32 exec_lo, exec_lo, s8
	s_and_saveexec_b32 s7, s6
	s_cbranch_execnz .LBB1000_197
.LBB1000_37:
	s_or_b32 exec_lo, exec_lo, s7
	s_and_saveexec_b32 s6, s5
	s_cbranch_execnz .LBB1000_198
.LBB1000_38:
	s_or_b32 exec_lo, exec_lo, s6
	s_and_saveexec_b32 s5, s4
	s_cbranch_execnz .LBB1000_199
.LBB1000_39:
	s_or_b32 exec_lo, exec_lo, s5
	s_and_saveexec_b32 s4, s3
	s_cbranch_execnz .LBB1000_200
.LBB1000_40:
	s_or_b32 exec_lo, exec_lo, s4
	s_and_saveexec_b32 s3, s2
	s_cbranch_execz .LBB1000_42
.LBB1000_41:
	global_load_ushort v6, v14, s[30:31] offset:1152
	s_waitcnt vmcnt(0)
	v_sub_nc_u16 v6, 0, v6
	v_perm_b32 v5, v6, v5, 0x5040100
.LBB1000_42:
	s_or_b32 exec_lo, exec_lo, s3
	v_mul_u32_u24_e32 v28, 10, v0
	ds_write_b16 v13, v1
	ds_write_b16_d16_hi v13, v1 offset:128
	ds_write_b16 v13, v2 offset:256
	ds_write_b16_d16_hi v13, v2 offset:384
	ds_write_b16 v13, v3 offset:512
	;; [unrolled: 2-line block ×4, first 2 shown]
	ds_write_b16_d16_hi v13, v5 offset:1152
	v_mov_b32_e32 v18, 0
	v_mov_b32_e32 v1, 0
	v_mov_b32_e32 v27, 0
	v_cmp_gt_u32_e32 vcc_lo, s40, v28
	v_mov_b32_e32 v26, 0
	v_mov_b32_e32 v25, 0
	v_mov_b32_e32 v8, 0
	v_mov_b32_e32 v6, 0
	v_mov_b32_e32 v5, 0
	v_mov_b32_e32 v21, 0
	v_mov_b32_e32 v20, 0
	v_mov_b32_e32 v19, 0
	v_mov_b32_e32 v17, 0
	v_mov_b32_e32 v16, 0
	v_mov_b32_e32 v15, 0
	v_mov_b32_e32 v14, 0
	v_mov_b32_e32 v13, 0
	s_mov_b32 s2, 0
	s_mov_b32 s3, 0
	s_waitcnt lgkmcnt(0)
	s_barrier
	buffer_gl0_inv
                                        ; implicit-def: $sgpr4
                                        ; implicit-def: $vgpr7
	s_and_saveexec_b32 s5, vcc_lo
	s_cbranch_execz .LBB1000_60
; %bb.43:
	ds_read_u16 v18, v23
	v_cmp_eq_u16_e32 vcc_lo, v29, v11
	v_or_b32_e32 v2, 1, v28
	v_mov_b32_e32 v1, 0
	v_mov_b32_e32 v27, 0
	;; [unrolled: 1-line block ×3, first 2 shown]
	v_cndmask_b32_e64 v21, 0x10000, 0, vcc_lo
	v_mov_b32_e32 v25, 0
	v_mov_b32_e32 v8, 0
	;; [unrolled: 1-line block ×11, first 2 shown]
	s_mov_b32 s6, 0
	s_mov_b32 s3, exec_lo
                                        ; implicit-def: $sgpr4
                                        ; implicit-def: $vgpr7
	v_cmpx_gt_u32_e64 s40, v2
	s_cbranch_execz .LBB1000_59
; %bb.44:
	ds_read_b128 v[1:4], v23 offset:2
	v_add_nc_u32_e32 v5, 2, v28
	v_cmp_eq_u16_sdwa s4, v11, v11 src0_sel:DWORD src1_sel:WORD_1
	v_mov_b32_e32 v27, 0
	v_mov_b32_e32 v26, 0
	;; [unrolled: 1-line block ×3, first 2 shown]
	v_cmp_gt_u32_e32 vcc_lo, s40, v5
	v_cndmask_b32_e64 v20, 0x10000, 0, s4
	v_mov_b32_e32 v8, 0
	v_mov_b32_e32 v6, 0
	;; [unrolled: 1-line block ×9, first 2 shown]
	s_mov_b32 s7, 0
                                        ; implicit-def: $sgpr4
                                        ; implicit-def: $vgpr7
	s_and_saveexec_b32 s6, vcc_lo
	s_cbranch_execz .LBB1000_58
; %bb.45:
	v_add_nc_u32_e32 v5, 3, v28
	v_cmp_eq_u16_sdwa s4, v11, v12 src0_sel:WORD_1 src1_sel:DWORD
	v_mov_b32_e32 v26, 0
	v_mov_b32_e32 v25, 0
	;; [unrolled: 1-line block ×3, first 2 shown]
	v_cmp_gt_u32_e32 vcc_lo, s40, v5
	v_cndmask_b32_e64 v11, 0x10000, 0, s4
	v_mov_b32_e32 v6, 0
	v_mov_b32_e32 v5, 0
	;; [unrolled: 1-line block ×7, first 2 shown]
	s_mov_b32 s8, 0
                                        ; implicit-def: $sgpr4
                                        ; implicit-def: $vgpr7
	s_and_saveexec_b32 s7, vcc_lo
	s_cbranch_execz .LBB1000_57
; %bb.46:
	v_add_nc_u32_e32 v5, 4, v28
	v_cmp_eq_u16_sdwa s4, v12, v12 src0_sel:DWORD src1_sel:WORD_1
	v_mov_b32_e32 v25, 0
	v_mov_b32_e32 v8, 0
	;; [unrolled: 1-line block ×3, first 2 shown]
	v_cmp_gt_u32_e32 vcc_lo, s40, v5
	v_cndmask_b32_e64 v17, 0x10000, 0, s4
	v_mov_b32_e32 v5, 0
	v_mov_b32_e32 v16, 0
	;; [unrolled: 1-line block ×5, first 2 shown]
	s_mov_b32 s9, 0
                                        ; implicit-def: $sgpr4
                                        ; implicit-def: $vgpr7
	s_and_saveexec_b32 s8, vcc_lo
	s_cbranch_execz .LBB1000_56
; %bb.47:
	v_add_nc_u32_e32 v5, 5, v28
	v_cmp_eq_u16_sdwa s4, v12, v9 src0_sel:WORD_1 src1_sel:DWORD
	v_mov_b32_e32 v8, 0
	v_mov_b32_e32 v6, 0
	;; [unrolled: 1-line block ×3, first 2 shown]
	v_cmp_gt_u32_e32 vcc_lo, s40, v5
	v_cndmask_b32_e64 v12, 0x10000, 0, s4
	v_mov_b32_e32 v5, 0
	v_mov_b32_e32 v14, 0
	;; [unrolled: 1-line block ×3, first 2 shown]
	s_mov_b32 s10, 0
                                        ; implicit-def: $sgpr4
                                        ; implicit-def: $vgpr7
	s_and_saveexec_b32 s9, vcc_lo
	s_cbranch_execz .LBB1000_55
; %bb.48:
	v_add_nc_u32_e32 v7, 6, v28
	v_cmp_eq_u16_sdwa s4, v9, v9 src0_sel:DWORD src1_sel:WORD_1
	v_mov_b32_e32 v6, 0
	v_mov_b32_e32 v5, 0
	;; [unrolled: 1-line block ×3, first 2 shown]
	v_cmp_gt_u32_e32 vcc_lo, s40, v7
	v_cndmask_b32_e64 v8, 0x10000, 0, s4
	v_mov_b32_e32 v13, 0
	s_mov_b32 s11, 0
                                        ; implicit-def: $sgpr4
                                        ; implicit-def: $vgpr7
	s_and_saveexec_b32 s10, vcc_lo
	s_cbranch_execz .LBB1000_54
; %bb.49:
	v_add_nc_u32_e32 v7, 7, v28
	v_cmp_eq_u16_sdwa s4, v9, v10 src0_sel:WORD_1 src1_sel:DWORD
	v_mov_b32_e32 v5, 0
	v_mov_b32_e32 v13, 0
	s_mov_b32 s12, 0
	v_cmp_gt_u32_e32 vcc_lo, s40, v7
	v_cndmask_b32_e64 v6, 0x10000, 0, s4
                                        ; implicit-def: $sgpr4
                                        ; implicit-def: $vgpr7
	s_and_saveexec_b32 s11, vcc_lo
	s_cbranch_execz .LBB1000_53
; %bb.50:
	v_add_nc_u32_e32 v7, 8, v28
	v_cmp_eq_u16_sdwa s4, v10, v10 src0_sel:DWORD src1_sel:WORD_1
	v_mov_b32_e32 v13, 0
	v_cmp_gt_u32_e32 vcc_lo, s40, v7
	v_cndmask_b32_e64 v5, 0x10000, 0, s4
                                        ; implicit-def: $sgpr4
                                        ; implicit-def: $vgpr7
	s_and_saveexec_b32 s13, vcc_lo
	s_xor_b32 s13, exec_lo, s13
	s_cbranch_execz .LBB1000_52
; %bb.51:
	ds_read_u16 v7, v23 offset:18
	v_cmp_eq_u16_sdwa s4, v10, v22 src0_sel:WORD_1 src1_sel:DWORD
	v_add_nc_u32_e32 v9, 9, v28
	v_cndmask_b32_e64 v10, 0x10000, 0, s4
	v_cmp_gt_u32_e32 vcc_lo, s40, v9
	v_cmp_ne_u16_e64 s4, v22, v24
	s_waitcnt lgkmcnt(1)
	v_or_b32_sdwa v13, v10, v4 dst_sel:DWORD dst_unused:UNUSED_PAD src0_sel:DWORD src1_sel:WORD_1
	s_and_b32 s12, vcc_lo, exec_lo
.LBB1000_52:
	s_or_b32 exec_lo, exec_lo, s13
	s_waitcnt lgkmcnt(0)
	v_and_or_b32 v5, 0xffff, v4, v5
	s_and_b32 s12, s12, exec_lo
.LBB1000_53:
	s_or_b32 exec_lo, exec_lo, s11
	s_waitcnt lgkmcnt(0)
	v_or_b32_sdwa v6, v6, v3 dst_sel:DWORD dst_unused:UNUSED_PAD src0_sel:DWORD src1_sel:WORD_1
	v_mov_b32_e32 v14, v5
	s_and_b32 s11, s12, exec_lo
.LBB1000_54:
	s_or_b32 exec_lo, exec_lo, s10
	s_waitcnt lgkmcnt(0)
	v_and_or_b32 v8, 0xffff, v3, v8
	v_mov_b32_e32 v15, v6
	s_and_b32 s10, s11, exec_lo
.LBB1000_55:
	s_or_b32 exec_lo, exec_lo, s9
	s_waitcnt lgkmcnt(0)
	v_or_b32_sdwa v25, v12, v2 dst_sel:DWORD dst_unused:UNUSED_PAD src0_sel:DWORD src1_sel:WORD_1
	v_mov_b32_e32 v16, v8
	s_and_b32 s9, s10, exec_lo
.LBB1000_56:
	s_or_b32 exec_lo, exec_lo, s8
	s_waitcnt lgkmcnt(0)
	v_and_or_b32 v26, 0xffff, v2, v17
	v_mov_b32_e32 v17, v25
	s_and_b32 s8, s9, exec_lo
.LBB1000_57:
	s_or_b32 exec_lo, exec_lo, s7
	s_waitcnt lgkmcnt(0)
	v_or_b32_sdwa v27, v11, v1 dst_sel:DWORD dst_unused:UNUSED_PAD src0_sel:DWORD src1_sel:WORD_1
	v_mov_b32_e32 v19, v26
	s_and_b32 s7, s8, exec_lo
.LBB1000_58:
	s_or_b32 exec_lo, exec_lo, s6
	s_waitcnt lgkmcnt(0)
	v_and_or_b32 v1, 0xffff, v1, v20
	v_mov_b32_e32 v20, v27
	s_and_b32 s6, s7, exec_lo
.LBB1000_59:
	s_or_b32 exec_lo, exec_lo, s3
	s_waitcnt lgkmcnt(0)
	v_or_b32_e32 v18, v21, v18
	v_mov_b32_e32 v21, v1
	s_and_b32 s3, s6, exec_lo
.LBB1000_60:
	s_or_b32 exec_lo, exec_lo, s5
	v_lshlrev_b32_e32 v9, 1, v0
	s_and_b32 vcc_lo, exec_lo, s2
	s_cbranch_vccnz .LBB1000_62
	s_branch .LBB1000_70
.LBB1000_61:
                                        ; implicit-def: $sgpr4
                                        ; implicit-def: $vgpr7
                                        ; implicit-def: $vgpr18
                                        ; implicit-def: $vgpr1
                                        ; implicit-def: $vgpr27
                                        ; implicit-def: $vgpr26
                                        ; implicit-def: $vgpr25
                                        ; implicit-def: $vgpr8
                                        ; implicit-def: $vgpr6
                                        ; implicit-def: $vgpr5
                                        ; implicit-def: $vgpr21
                                        ; implicit-def: $vgpr20
                                        ; implicit-def: $vgpr19
                                        ; implicit-def: $vgpr17
                                        ; implicit-def: $vgpr16
                                        ; implicit-def: $vgpr15
                                        ; implicit-def: $vgpr14
                                        ; implicit-def: $vgpr13
	v_lshlrev_b32_e32 v9, 1, v0
	s_cbranch_execz .LBB1000_70
.LBB1000_62:
	v_add_co_u32 v1, s2, s34, v9
	v_add_co_ci_u32_e64 v2, null, s35, 0, s2
	v_mad_u32_u24 v6, v0, 18, v9
	s_cmp_eq_u64 s[36:37], 0
	s_clause 0x9
	flat_load_ushort v3, v[1:2]
	flat_load_ushort v4, v[1:2] offset:128
	flat_load_ushort v5, v[1:2] offset:256
	;; [unrolled: 1-line block ×9, first 2 shown]
	s_waitcnt vmcnt(9) lgkmcnt(9)
	ds_write_b16 v9, v3
	s_waitcnt vmcnt(8) lgkmcnt(9)
	ds_write_b16 v9, v4 offset:128
	s_waitcnt vmcnt(7) lgkmcnt(9)
	ds_write_b16 v9, v5 offset:256
	;; [unrolled: 2-line block ×9, first 2 shown]
	s_waitcnt lgkmcnt(0)
	s_barrier
	buffer_gl0_inv
	ds_read2_b32 v[3:4], v6 offset1:1
	ds_read2_b32 v[1:2], v6 offset0:2 offset1:3
	ds_read_b32 v5, v6 offset:16
	s_cbranch_scc1 .LBB1000_67
; %bb.63:
	s_andn2_b32 vcc_lo, exec_lo, s39
	s_cbranch_vccnz .LBB1000_202
; %bb.64:
	s_lshl_b64 s[2:3], s[36:37], 1
	s_add_u32 s2, s18, s2
	s_addc_u32 s3, s19, s3
	s_add_u32 s2, s2, -2
	s_addc_u32 s3, s3, -1
	s_cbranch_execnz .LBB1000_66
.LBB1000_65:
	s_add_u32 s2, s34, -2
	s_addc_u32 s3, s35, -1
.LBB1000_66:
	s_mov_b64 s[34:35], s[2:3]
.LBB1000_67:
	v_mov_b32_e32 v7, s34
	v_mov_b32_e32 v8, s35
	v_mad_i32_i24 v10, 0xffffffee, v0, v6
	flat_load_ushort v8, v[7:8]
	s_waitcnt lgkmcnt(1)
	v_lshrrev_b32_e32 v7, 16, v5
	ds_write_b16 v10, v7 offset:1280
	s_waitcnt vmcnt(0) lgkmcnt(0)
	s_barrier
	buffer_gl0_inv
	s_and_saveexec_b32 s2, s1
; %bb.68:
	v_mul_i32_i24_e32 v8, 0xffffffee, v0
	v_add_nc_u32_e32 v8, v6, v8
	ds_read_u16 v8, v8 offset:1278
; %bb.69:
	s_or_b32 exec_lo, exec_lo, s2
	s_waitcnt lgkmcnt(0)
	s_barrier
	buffer_gl0_inv
	s_clause 0x9
	global_load_ushort v10, v9, s[30:31]
	global_load_ushort v11, v9, s[30:31] offset:128
	global_load_ushort v12, v9, s[30:31] offset:256
	;; [unrolled: 1-line block ×9, first 2 shown]
	v_cmp_eq_u16_sdwa s2, v3, v3 src0_sel:DWORD src1_sel:WORD_1
	v_cmp_eq_u16_e32 vcc_lo, v8, v3
	v_cmp_ne_u16_e64 s4, v5, v7
	s_mov_b32 s3, -1
	v_cndmask_b32_e64 v8, 0x10000, 0, s2
	v_cmp_eq_u16_sdwa s2, v3, v4 src0_sel:WORD_1 src1_sel:DWORD
	v_cndmask_b32_e64 v3, 0x10000, 0, s2
	v_cmp_eq_u16_sdwa s2, v4, v4 src0_sel:DWORD src1_sel:WORD_1
	s_waitcnt vmcnt(9)
	v_sub_nc_u16 v10, 0, v10
	s_waitcnt vmcnt(8)
	v_sub_nc_u16 v11, 0, v11
	;; [unrolled: 2-line block ×10, first 2 shown]
	ds_write_b16 v9, v10
	ds_write_b16 v9, v11 offset:128
	ds_write_b16 v9, v12 offset:256
	;; [unrolled: 1-line block ×9, first 2 shown]
	v_cndmask_b32_e64 v15, 0x10000, 0, s2
	v_cmp_eq_u16_sdwa s2, v4, v1 src0_sel:WORD_1 src1_sel:DWORD
	s_waitcnt lgkmcnt(0)
	s_barrier
	buffer_gl0_inv
	ds_read2_b32 v[10:11], v6 offset1:1
	ds_read2_b32 v[12:13], v6 offset0:2 offset1:3
	ds_read_b32 v14, v6 offset:16
	v_cndmask_b32_e64 v4, 0x10000, 0, s2
	v_cmp_eq_u16_sdwa s2, v1, v1 src0_sel:DWORD src1_sel:WORD_1
	v_cndmask_b32_e64 v6, 0x10000, 0, vcc_lo
	v_cndmask_b32_e64 v16, 0x10000, 0, s2
	v_cmp_eq_u16_sdwa s2, v1, v2 src0_sel:WORD_1 src1_sel:DWORD
	v_cndmask_b32_e64 v17, 0x10000, 0, s2
	v_cmp_eq_u16_sdwa s2, v2, v2 src0_sel:DWORD src1_sel:WORD_1
	s_waitcnt lgkmcnt(2)
	v_and_or_b32 v18, 0xffff, v10, v6
	v_cndmask_b32_e64 v19, 0x10000, 0, s2
	v_cmp_eq_u16_sdwa s2, v2, v5 src0_sel:WORD_1 src1_sel:DWORD
	v_or_b32_sdwa v1, v8, v10 dst_sel:DWORD dst_unused:UNUSED_PAD src0_sel:DWORD src1_sel:WORD_1
	v_and_or_b32 v27, 0xffff, v11, v3
	v_or_b32_sdwa v26, v15, v11 dst_sel:DWORD dst_unused:UNUSED_PAD src0_sel:DWORD src1_sel:WORD_1
	s_waitcnt lgkmcnt(1)
	v_and_or_b32 v25, 0xffff, v12, v4
	v_cndmask_b32_e64 v2, 0x10000, 0, s2
	v_or_b32_sdwa v8, v16, v12 dst_sel:DWORD dst_unused:UNUSED_PAD src0_sel:DWORD src1_sel:WORD_1
	v_and_or_b32 v6, 0xffff, v13, v17
	v_or_b32_sdwa v5, v19, v13 dst_sel:DWORD dst_unused:UNUSED_PAD src0_sel:DWORD src1_sel:WORD_1
	s_waitcnt lgkmcnt(0)
	v_lshrrev_b32_e32 v7, 16, v14
	v_and_or_b32 v13, 0xffff, v14, v2
	v_mov_b32_e32 v21, v1
	v_mov_b32_e32 v20, v27
	;; [unrolled: 1-line block ×7, first 2 shown]
.LBB1000_70:
	v_mov_b32_e32 v10, 0
	s_and_saveexec_b32 s2, s3
	s_cbranch_execz .LBB1000_72
; %bb.71:
	v_cndmask_b32_e64 v2, 0, 0x10000, s4
	v_mov_b32_e32 v14, v5
	v_mov_b32_e32 v15, v6
	;; [unrolled: 1-line block ×4, first 2 shown]
	v_or_b32_sdwa v10, v2, v7 dst_sel:DWORD dst_unused:UNUSED_PAD src0_sel:DWORD src1_sel:WORD_0
	v_mov_b32_e32 v19, v26
	v_mov_b32_e32 v20, v27
	;; [unrolled: 1-line block ×3, first 2 shown]
.LBB1000_72:
	s_or_b32 exec_lo, exec_lo, s2
	v_or3_b32 v1, v14, v13, v15
	v_cmp_gt_u32_e64 s10, 0x10000, v21
	v_cmp_gt_u32_e64 s9, 0x10000, v20
	;; [unrolled: 1-line block ×8, first 2 shown]
	v_or3_b32 v12, v1, v16, v17
	v_cmp_gt_u32_e64 s3, 0x10000, v10
	v_lshrrev_b32_e32 v11, 3, v0
	s_cmp_lg_u32 s38, 0
	v_cmp_gt_u32_e32 vcc_lo, 32, v0
	s_barrier
	buffer_gl0_inv
	s_cbranch_scc0 .LBB1000_122
; %bb.73:
	v_cndmask_b32_e64 v1, 0, v18, s10
	v_or3_b32 v2, v12, v19, v20
	v_and_b32_e32 v3, 4, v11
	v_lshrrev_b32_e32 v22, 16, v18
	v_add_nc_u16 v1, v1, v21
	v_or3_b32 v2, v2, v21, v10
	v_lshl_add_u32 v3, v0, 2, v3
	v_cndmask_b32_e64 v1, 0, v1, s9
	v_and_b32_e32 v2, 0xff0000, v2
	v_add_nc_u16 v1, v1, v20
	v_cmp_eq_u32_e64 s11, 0, v2
	v_cndmask_b32_e64 v1, 0, v1, s8
	v_cndmask_b32_e64 v23, 1, v22, s11
	v_add_nc_u16 v1, v1, v19
	v_cndmask_b32_e64 v1, 0, v1, s7
	v_add_nc_u16 v1, v1, v17
	;; [unrolled: 2-line block ×7, first 2 shown]
	ds_write_b8 v3, v23 offset:2
	ds_write_b16 v3, v24
	s_waitcnt lgkmcnt(0)
	s_barrier
	buffer_gl0_inv
	s_and_saveexec_b32 s12, vcc_lo
	s_cbranch_execz .LBB1000_85
; %bb.74:
	v_lshrrev_b32_e32 v1, 2, v0
	v_lshlrev_b32_e32 v2, 3, v0
	s_mov_b32 s13, exec_lo
	v_and_b32_e32 v1, 12, v1
	v_add_nc_u32_e32 v1, v1, v2
	ds_read_u8 v3, v1 offset:6
	ds_read_b32 v2, v1
	ds_read_u16 v4, v1 offset:4
	s_waitcnt lgkmcnt(2)
	v_cmp_eq_u16_e64 s11, 0, v3
	v_and_b32_e32 v6, 1, v3
	s_waitcnt lgkmcnt(1)
	v_and_b32_e32 v3, 0x10000, v2
	v_cndmask_b32_e64 v5, 0, v2, s11
	v_cmp_eq_u32_e64 s11, 1, v6
	v_mbcnt_lo_u32_b32 v6, -1, 0
	s_waitcnt lgkmcnt(0)
	v_add_nc_u16 v5, v5, v4
	v_and_b32_e32 v4, 0xff000000, v2
	v_cndmask_b32_e64 v7, v3, 0x10000, s11
	v_and_b32_e32 v8, 0xffff, v5
	v_or_b32_e32 v25, v7, v4
	v_or3_b32 v26, v4, v8, v7
	v_and_b32_e32 v7, 15, v6
	v_lshrrev_b32_e32 v8, 16, v25
	v_mov_b32_dpp v27, v26 row_shr:1 row_mask:0xf bank_mask:0xf
	v_cmpx_ne_u32_e32 0, v7
	s_cbranch_execz .LBB1000_76
; %bb.75:
	v_mov_b32_e32 v8, 0xff
	v_mov_b32_e32 v26, 1
	v_and_b32_sdwa v8, v25, v8 dst_sel:DWORD dst_unused:UNUSED_PAD src0_sel:WORD_1 src1_sel:DWORD
	v_and_b32_e32 v25, 0x10000, v25
	v_and_b32_sdwa v26, v27, v26 dst_sel:DWORD dst_unused:UNUSED_PAD src0_sel:WORD_1 src1_sel:DWORD
	v_cmp_eq_u16_e64 s11, 0, v8
	v_cndmask_b32_e64 v27, 0, v27, s11
	v_cmp_ne_u32_e64 s11, 0, v25
	v_add_nc_u16 v5, v27, v5
	v_cndmask_b32_e64 v8, v26, 1, s11
	v_and_b32_e32 v26, 0xffff, v5
	v_lshlrev_b32_e32 v25, 16, v8
	v_or3_b32 v26, v25, v26, v4
.LBB1000_76:
	s_or_b32 exec_lo, exec_lo, s13
	v_lshrrev_b32_e32 v25, 16, v26
	v_mov_b32_dpp v27, v26 row_shr:2 row_mask:0xf bank_mask:0xf
	s_mov_b32 s13, exec_lo
	v_cmpx_lt_u32_e32 1, v7
	s_cbranch_execz .LBB1000_78
; %bb.77:
	v_mov_b32_e32 v28, 0
	v_mov_b32_e32 v8, 1
	v_and_b32_e32 v26, 0x10000, v26
	v_cmp_eq_u16_sdwa s11, v25, v28 src0_sel:BYTE_0 src1_sel:DWORD
	v_and_b32_sdwa v8, v27, v8 dst_sel:DWORD dst_unused:UNUSED_PAD src0_sel:WORD_1 src1_sel:DWORD
	v_cndmask_b32_e64 v25, 0, v27, s11
	v_cmp_ne_u32_e64 s11, 0, v26
	v_add_nc_u16 v5, v25, v5
	v_cndmask_b32_e64 v8, v8, 1, s11
	v_and_b32_e32 v26, 0xffff, v5
	v_lshlrev_b32_e32 v25, 16, v8
	v_or3_b32 v26, v25, v26, v4
	v_mov_b32_e32 v25, v8
.LBB1000_78:
	s_or_b32 exec_lo, exec_lo, s13
	v_mov_b32_dpp v27, v26 row_shr:4 row_mask:0xf bank_mask:0xf
	s_mov_b32 s13, exec_lo
	v_cmpx_lt_u32_e32 3, v7
	s_cbranch_execz .LBB1000_80
; %bb.79:
	v_mov_b32_e32 v26, 0
	v_mov_b32_e32 v8, 1
	v_and_b32_e32 v28, 1, v25
	v_cmp_eq_u16_sdwa s11, v25, v26 src0_sel:BYTE_0 src1_sel:DWORD
	v_and_b32_sdwa v8, v27, v8 dst_sel:DWORD dst_unused:UNUSED_PAD src0_sel:WORD_1 src1_sel:DWORD
	v_cndmask_b32_e64 v25, 0, v27, s11
	v_cmp_eq_u32_e64 s11, 1, v28
	v_add_nc_u16 v5, v25, v5
	v_cndmask_b32_e64 v8, v8, 1, s11
	v_and_b32_e32 v26, 0xffff, v5
	v_lshlrev_b32_e32 v25, 16, v8
	v_or3_b32 v26, v25, v26, v4
	v_mov_b32_e32 v25, v8
.LBB1000_80:
	s_or_b32 exec_lo, exec_lo, s13
	v_mov_b32_dpp v27, v26 row_shr:8 row_mask:0xf bank_mask:0xf
	s_mov_b32 s13, exec_lo
	v_cmpx_lt_u32_e32 7, v7
	s_cbranch_execz .LBB1000_82
; %bb.81:
	v_mov_b32_e32 v8, 0
	v_mov_b32_e32 v7, 1
	v_and_b32_e32 v26, 1, v25
	v_cmp_eq_u16_sdwa s11, v25, v8 src0_sel:BYTE_0 src1_sel:DWORD
	v_and_b32_sdwa v7, v27, v7 dst_sel:DWORD dst_unused:UNUSED_PAD src0_sel:WORD_1 src1_sel:DWORD
	v_cndmask_b32_e64 v25, 0, v27, s11
	v_cmp_eq_u32_e64 s11, 1, v26
	v_add_nc_u16 v5, v25, v5
	v_cndmask_b32_e64 v8, v7, 1, s11
	v_and_b32_e32 v25, 0xffff, v5
	v_lshlrev_b32_e32 v7, 16, v8
	v_or3_b32 v26, v7, v25, v4
	v_mov_b32_e32 v25, v8
.LBB1000_82:
	s_or_b32 exec_lo, exec_lo, s13
	ds_swizzle_b32 v7, v26 offset:swizzle(BROADCAST,32,15)
	v_and_b32_e32 v26, 16, v6
	s_mov_b32 s13, exec_lo
	v_cmpx_ne_u32_e32 0, v26
	s_cbranch_execz .LBB1000_84
; %bb.83:
	v_mov_b32_e32 v8, 0
	v_mov_b32_e32 v26, 1
	v_cmp_eq_u16_sdwa s11, v25, v8 src0_sel:BYTE_0 src1_sel:DWORD
	v_and_b32_e32 v25, 1, v25
	s_waitcnt lgkmcnt(0)
	v_cndmask_b32_e64 v8, 0, v7, s11
	v_and_b32_sdwa v7, v7, v26 dst_sel:DWORD dst_unused:UNUSED_PAD src0_sel:WORD_1 src1_sel:DWORD
	v_cmp_eq_u32_e64 s11, 1, v25
	v_add_nc_u16 v5, v8, v5
	v_cndmask_b32_e64 v8, v7, 1, s11
.LBB1000_84:
	s_or_b32 exec_lo, exec_lo, s13
	s_waitcnt lgkmcnt(0)
	v_and_b32_e32 v7, 0xff, v8
	v_add_nc_u32_e32 v8, -1, v6
	v_and_b32_e32 v5, 0xffff, v5
	; wave barrier
	v_lshlrev_b32_e32 v7, 16, v7
	v_cmp_gt_i32_e64 s11, 0, v8
	v_or3_b32 v4, v7, v5, v4
	v_cndmask_b32_e64 v6, v8, v6, s11
	v_lshlrev_b32_e32 v5, 2, v6
	v_mov_b32_e32 v6, 1
	ds_bpermute_b32 v4, v5, v4
	v_and_b32_e32 v5, 0xff0000, v2
	v_cmp_eq_u32_e64 s11, 0, v5
	s_waitcnt lgkmcnt(0)
	v_cndmask_b32_e64 v5, 0, v4, s11
	v_and_b32_sdwa v4, v4, v6 dst_sel:DWORD dst_unused:UNUSED_PAD src0_sel:WORD_1 src1_sel:DWORD
	v_cmp_eq_u32_e64 s11, 0, v3
	v_add_nc_u16 v2, v5, v2
	v_cndmask_b32_e64 v3, 1, v4, s11
	v_cndmask_b32_e64 v2, v2, v24, s0
	;; [unrolled: 1-line block ×3, first 2 shown]
	ds_write_b16 v1, v2
	ds_write_b8 v1, v3 offset:2
	; wave barrier
	ds_read_u8 v4, v1 offset:6
	ds_read_u16 v5, v1 offset:4
	s_waitcnt lgkmcnt(1)
	v_cmp_eq_u16_e64 s11, 0, v4
	v_and_b32_e32 v4, 1, v4
	v_cndmask_b32_e64 v2, 0, v2, s11
	v_cmp_eq_u32_e64 s11, 1, v4
	s_waitcnt lgkmcnt(0)
	v_add_nc_u16 v2, v2, v5
	v_cndmask_b32_e64 v3, v3, 1, s11
	ds_write_b16 v1, v2 offset:4
	ds_write_b8 v1, v3 offset:6
.LBB1000_85:
	s_or_b32 exec_lo, exec_lo, s12
	s_waitcnt lgkmcnt(0)
	s_barrier
	buffer_gl0_inv
	s_and_saveexec_b32 s11, s1
	s_cbranch_execz .LBB1000_87
; %bb.86:
	v_add_nc_u32_e32 v1, -1, v0
	v_lshrrev_b32_e32 v2, 3, v1
	v_and_b32_e32 v2, 0x1ffffffc, v2
	v_lshl_add_u32 v1, v1, 2, v2
	ds_read_u16 v24, v1
	ds_read_u8 v23, v1 offset:2
.LBB1000_87:
	s_or_b32 exec_lo, exec_lo, s11
	s_and_saveexec_b32 s18, vcc_lo
	s_cbranch_execz .LBB1000_127
; %bb.88:
	v_mov_b32_e32 v6, 0
	v_mbcnt_lo_u32_b32 v25, -1, 0
	s_mov_b32 s13, 0
	ds_read_b32 v1, v6 offset:256
	v_cmp_eq_u32_e64 s11, 0, v25
	s_and_saveexec_b32 s19, s11
	s_cbranch_execz .LBB1000_90
; %bb.89:
	s_add_i32 s12, s38, 32
	v_mov_b32_e32 v2, 1
	s_lshl_b64 s[12:13], s[12:13], 3
	s_add_u32 s12, s20, s12
	s_addc_u32 s13, s21, s13
	s_waitcnt lgkmcnt(0)
	global_store_dwordx2 v6, v[1:2], s[12:13]
.LBB1000_90:
	s_or_b32 exec_lo, exec_lo, s19
	v_xad_u32 v2, v25, -1, s38
	v_add_nc_u32_e32 v5, 32, v2
	v_lshlrev_b64 v[3:4], 3, v[5:6]
	v_add_co_u32 v7, vcc_lo, s20, v3
	v_add_co_ci_u32_e64 v8, null, s21, v4, vcc_lo
	global_load_dwordx2 v[4:5], v[7:8], off glc dlc
	s_waitcnt vmcnt(0)
	v_cmp_eq_u16_sdwa s13, v5, v6 src0_sel:BYTE_0 src1_sel:DWORD
	s_and_saveexec_b32 s12, s13
	s_cbranch_execz .LBB1000_94
; %bb.91:
	v_mov_b32_e32 v3, 0
	s_mov_b32 s13, 0
.LBB1000_92:                            ; =>This Inner Loop Header: Depth=1
	global_load_dwordx2 v[4:5], v[7:8], off glc dlc
	s_waitcnt vmcnt(0)
	v_cmp_ne_u16_sdwa s19, v5, v3 src0_sel:BYTE_0 src1_sel:DWORD
	s_or_b32 s13, s19, s13
	s_andn2_b32 exec_lo, exec_lo, s13
	s_cbranch_execnz .LBB1000_92
; %bb.93:
	s_or_b32 exec_lo, exec_lo, s13
.LBB1000_94:
	s_or_b32 exec_lo, exec_lo, s12
	v_cmp_ne_u32_e32 vcc_lo, 31, v25
	v_and_b32_e32 v33, 0xffffff, v4
	v_mov_b32_e32 v6, 2
	v_lshlrev_b32_e64 v26, v25, -1
	v_bfe_u32 v7, v4, 16, 8
	v_add_co_ci_u32_e64 v3, null, 0, v25, vcc_lo
	v_cmp_eq_u16_sdwa s12, v5, v6 src0_sel:BYTE_0 src1_sel:DWORD
	v_lshrrev_b32_e32 v6, 16, v4
	v_lshlrev_b32_e32 v8, 2, v3
	v_and_or_b32 v3, s12, v26, 0x80000000
	s_mov_b32 s12, exec_lo
	ds_bpermute_b32 v27, v8, v33
	v_ffbl_b32_e32 v3, v3
	v_cmpx_lt_u32_e64 v25, v3
	s_cbranch_execz .LBB1000_96
; %bb.95:
	v_and_b32_e32 v6, 0xff0000, v4
	v_mov_b32_e32 v7, 1
	v_and_b32_e32 v28, 0x10000, v6
	v_cmp_eq_u32_e32 vcc_lo, 0, v6
	s_waitcnt lgkmcnt(0)
	v_and_b32_sdwa v7, v27, v7 dst_sel:DWORD dst_unused:UNUSED_PAD src0_sel:WORD_1 src1_sel:DWORD
	v_cndmask_b32_e32 v27, 0, v27, vcc_lo
	v_cmp_ne_u32_e32 vcc_lo, 0, v28
	v_add_nc_u16 v4, v27, v4
	v_cndmask_b32_e64 v6, v7, 1, vcc_lo
	v_lshlrev_b32_e32 v7, 16, v6
	v_or_b32_sdwa v33, v7, v4 dst_sel:DWORD dst_unused:UNUSED_PAD src0_sel:DWORD src1_sel:WORD_0
	v_mov_b32_e32 v7, v6
.LBB1000_96:
	s_or_b32 exec_lo, exec_lo, s12
	v_cmp_gt_u32_e32 vcc_lo, 30, v25
	v_add_nc_u32_e32 v28, 2, v25
	s_mov_b32 s12, exec_lo
	s_waitcnt lgkmcnt(0)
	v_cndmask_b32_e64 v27, 0, 2, vcc_lo
	v_add_lshl_u32 v27, v27, v25, 2
	ds_bpermute_b32 v29, v27, v33
	v_cmpx_le_u32_e64 v28, v3
	s_cbranch_execz .LBB1000_98
; %bb.97:
	v_mov_b32_e32 v6, 1
	v_and_b32_e32 v30, 1, v7
	v_cmp_eq_u16_e32 vcc_lo, 0, v7
	s_waitcnt lgkmcnt(0)
	v_and_b32_sdwa v6, v29, v6 dst_sel:DWORD dst_unused:UNUSED_PAD src0_sel:WORD_1 src1_sel:DWORD
	v_cndmask_b32_e32 v7, 0, v29, vcc_lo
	v_cmp_eq_u32_e32 vcc_lo, 1, v30
	v_add_nc_u16 v4, v7, v4
	v_cndmask_b32_e64 v6, v6, 1, vcc_lo
	v_lshlrev_b32_e32 v7, 16, v6
	v_or_b32_sdwa v33, v7, v4 dst_sel:DWORD dst_unused:UNUSED_PAD src0_sel:DWORD src1_sel:WORD_0
	v_mov_b32_e32 v7, v6
.LBB1000_98:
	s_or_b32 exec_lo, exec_lo, s12
	v_cmp_gt_u32_e32 vcc_lo, 28, v25
	v_add_nc_u32_e32 v30, 4, v25
	s_mov_b32 s12, exec_lo
	s_waitcnt lgkmcnt(0)
	v_cndmask_b32_e64 v29, 0, 4, vcc_lo
	v_add_lshl_u32 v29, v29, v25, 2
	ds_bpermute_b32 v31, v29, v33
	v_cmpx_le_u32_e64 v30, v3
	s_cbranch_execz .LBB1000_100
; %bb.99:
	v_mov_b32_e32 v6, 1
	v_and_b32_e32 v32, 1, v7
	v_cmp_eq_u16_e32 vcc_lo, 0, v7
	s_waitcnt lgkmcnt(0)
	v_and_b32_sdwa v6, v31, v6 dst_sel:DWORD dst_unused:UNUSED_PAD src0_sel:WORD_1 src1_sel:DWORD
	v_cndmask_b32_e32 v7, 0, v31, vcc_lo
	v_cmp_eq_u32_e32 vcc_lo, 1, v32
	v_add_nc_u16 v4, v7, v4
	v_cndmask_b32_e64 v6, v6, 1, vcc_lo
	v_lshlrev_b32_e32 v7, 16, v6
	v_or_b32_sdwa v33, v7, v4 dst_sel:DWORD dst_unused:UNUSED_PAD src0_sel:DWORD src1_sel:WORD_0
	v_mov_b32_e32 v7, v6
.LBB1000_100:
	;; [unrolled: 24-line block ×3, first 2 shown]
	s_or_b32 exec_lo, exec_lo, s12
	v_lshl_or_b32 v35, v25, 2, 64
	v_add_nc_u32_e32 v36, 16, v25
	s_mov_b32 s12, exec_lo
	ds_bpermute_b32 v33, v35, v33
	v_cmpx_le_u32_e64 v36, v3
	s_cbranch_execz .LBB1000_104
; %bb.103:
	v_mov_b32_e32 v3, 1
	v_cmp_eq_u16_e32 vcc_lo, 0, v7
	v_and_b32_e32 v7, 1, v7
	s_waitcnt lgkmcnt(0)
	v_and_b32_sdwa v3, v33, v3 dst_sel:DWORD dst_unused:UNUSED_PAD src0_sel:WORD_1 src1_sel:DWORD
	v_cndmask_b32_e32 v6, 0, v33, vcc_lo
	v_cmp_eq_u32_e32 vcc_lo, 1, v7
	v_add_nc_u16 v4, v6, v4
	v_cndmask_b32_e64 v6, v3, 1, vcc_lo
.LBB1000_104:
	s_or_b32 exec_lo, exec_lo, s12
	v_mov_b32_e32 v3, 0
	v_mov_b32_e32 v37, 2
	;; [unrolled: 1-line block ×3, first 2 shown]
	s_branch .LBB1000_107
.LBB1000_105:                           ;   in Loop: Header=BB1000_107 Depth=1
	s_or_b32 exec_lo, exec_lo, s12
	v_cmp_eq_u16_sdwa vcc_lo, v33, v3 src0_sel:BYTE_0 src1_sel:DWORD
	v_and_b32_e32 v6, 1, v33
	v_and_b32_e32 v7, 1, v7
	v_subrev_nc_u32_e32 v2, 32, v2
	s_mov_b32 s12, 0
	v_cndmask_b32_e32 v4, 0, v4, vcc_lo
	v_cmp_eq_u32_e32 vcc_lo, 1, v6
	v_add_nc_u16 v4, v4, v34
	v_cndmask_b32_e64 v6, v7, 1, vcc_lo
.LBB1000_106:                           ;   in Loop: Header=BB1000_107 Depth=1
	s_and_b32 vcc_lo, exec_lo, s12
	s_cbranch_vccnz .LBB1000_123
.LBB1000_107:                           ; =>This Loop Header: Depth=1
                                        ;     Child Loop BB1000_110 Depth 2
	v_cmp_ne_u16_sdwa s12, v5, v37 src0_sel:BYTE_0 src1_sel:DWORD
	s_waitcnt lgkmcnt(0)
	v_mov_b32_e32 v33, v6
	v_mov_b32_e32 v34, v4
                                        ; implicit-def: $vgpr6
                                        ; implicit-def: $vgpr4
	s_cmp_lg_u32 s12, exec_lo
	s_mov_b32 s12, -1
	s_cbranch_scc1 .LBB1000_106
; %bb.108:                              ;   in Loop: Header=BB1000_107 Depth=1
	v_lshlrev_b64 v[4:5], 3, v[2:3]
	v_add_co_u32 v6, vcc_lo, s20, v4
	v_add_co_ci_u32_e64 v7, null, s21, v5, vcc_lo
	global_load_dwordx2 v[4:5], v[6:7], off glc dlc
	s_waitcnt vmcnt(0)
	v_cmp_eq_u16_sdwa s13, v5, v3 src0_sel:BYTE_0 src1_sel:DWORD
	s_and_saveexec_b32 s12, s13
	s_cbranch_execz .LBB1000_112
; %bb.109:                              ;   in Loop: Header=BB1000_107 Depth=1
	s_mov_b32 s13, 0
.LBB1000_110:                           ;   Parent Loop BB1000_107 Depth=1
                                        ; =>  This Inner Loop Header: Depth=2
	global_load_dwordx2 v[4:5], v[6:7], off glc dlc
	s_waitcnt vmcnt(0)
	v_cmp_ne_u16_sdwa s19, v5, v3 src0_sel:BYTE_0 src1_sel:DWORD
	s_or_b32 s13, s19, s13
	s_andn2_b32 exec_lo, exec_lo, s13
	s_cbranch_execnz .LBB1000_110
; %bb.111:                              ;   in Loop: Header=BB1000_107 Depth=1
	s_or_b32 exec_lo, exec_lo, s13
.LBB1000_112:                           ;   in Loop: Header=BB1000_107 Depth=1
	s_or_b32 exec_lo, exec_lo, s12
	v_and_b32_e32 v40, 0xffffff, v4
	v_cmp_eq_u16_sdwa s12, v5, v37 src0_sel:BYTE_0 src1_sel:DWORD
	v_lshrrev_b32_e32 v7, 16, v4
	v_bfe_u32 v39, v4, 16, 8
	ds_bpermute_b32 v41, v8, v40
	v_and_or_b32 v6, s12, v26, 0x80000000
	s_mov_b32 s12, exec_lo
	v_ffbl_b32_e32 v6, v6
	v_cmpx_lt_u32_e64 v25, v6
	s_cbranch_execz .LBB1000_114
; %bb.113:                              ;   in Loop: Header=BB1000_107 Depth=1
	v_and_b32_e32 v7, 0xff0000, v4
	s_waitcnt lgkmcnt(0)
	v_and_b32_sdwa v40, v41, v38 dst_sel:DWORD dst_unused:UNUSED_PAD src0_sel:WORD_1 src1_sel:DWORD
	v_and_b32_e32 v39, 0x10000, v7
	v_cmp_eq_u32_e32 vcc_lo, 0, v7
	v_cndmask_b32_e32 v41, 0, v41, vcc_lo
	v_cmp_ne_u32_e32 vcc_lo, 0, v39
	v_add_nc_u16 v4, v41, v4
	v_cndmask_b32_e64 v7, v40, 1, vcc_lo
	v_lshlrev_b32_e32 v39, 16, v7
	v_or_b32_sdwa v40, v39, v4 dst_sel:DWORD dst_unused:UNUSED_PAD src0_sel:DWORD src1_sel:WORD_0
	v_mov_b32_e32 v39, v7
.LBB1000_114:                           ;   in Loop: Header=BB1000_107 Depth=1
	s_or_b32 exec_lo, exec_lo, s12
	s_waitcnt lgkmcnt(0)
	ds_bpermute_b32 v41, v27, v40
	s_mov_b32 s12, exec_lo
	v_cmpx_le_u32_e64 v28, v6
	s_cbranch_execz .LBB1000_116
; %bb.115:                              ;   in Loop: Header=BB1000_107 Depth=1
	v_and_b32_e32 v7, 1, v39
	v_cmp_eq_u16_e32 vcc_lo, 0, v39
	s_waitcnt lgkmcnt(0)
	v_and_b32_sdwa v40, v41, v38 dst_sel:DWORD dst_unused:UNUSED_PAD src0_sel:WORD_1 src1_sel:DWORD
	v_cndmask_b32_e32 v39, 0, v41, vcc_lo
	v_cmp_eq_u32_e32 vcc_lo, 1, v7
	v_add_nc_u16 v4, v39, v4
	v_cndmask_b32_e64 v7, v40, 1, vcc_lo
	v_lshlrev_b32_e32 v39, 16, v7
	v_or_b32_sdwa v40, v39, v4 dst_sel:DWORD dst_unused:UNUSED_PAD src0_sel:DWORD src1_sel:WORD_0
	v_mov_b32_e32 v39, v7
.LBB1000_116:                           ;   in Loop: Header=BB1000_107 Depth=1
	s_or_b32 exec_lo, exec_lo, s12
	s_waitcnt lgkmcnt(0)
	ds_bpermute_b32 v41, v29, v40
	s_mov_b32 s12, exec_lo
	v_cmpx_le_u32_e64 v30, v6
	s_cbranch_execz .LBB1000_118
; %bb.117:                              ;   in Loop: Header=BB1000_107 Depth=1
	v_and_b32_e32 v7, 1, v39
	v_cmp_eq_u16_e32 vcc_lo, 0, v39
	s_waitcnt lgkmcnt(0)
	v_and_b32_sdwa v40, v41, v38 dst_sel:DWORD dst_unused:UNUSED_PAD src0_sel:WORD_1 src1_sel:DWORD
	v_cndmask_b32_e32 v39, 0, v41, vcc_lo
	v_cmp_eq_u32_e32 vcc_lo, 1, v7
	v_add_nc_u16 v4, v39, v4
	v_cndmask_b32_e64 v7, v40, 1, vcc_lo
	v_lshlrev_b32_e32 v39, 16, v7
	v_or_b32_sdwa v40, v39, v4 dst_sel:DWORD dst_unused:UNUSED_PAD src0_sel:DWORD src1_sel:WORD_0
	v_mov_b32_e32 v39, v7
.LBB1000_118:                           ;   in Loop: Header=BB1000_107 Depth=1
	;; [unrolled: 19-line block ×3, first 2 shown]
	s_or_b32 exec_lo, exec_lo, s12
	ds_bpermute_b32 v40, v35, v40
	s_mov_b32 s12, exec_lo
	v_cmpx_le_u32_e64 v36, v6
	s_cbranch_execz .LBB1000_105
; %bb.121:                              ;   in Loop: Header=BB1000_107 Depth=1
	v_cmp_eq_u16_e32 vcc_lo, 0, v39
	v_and_b32_e32 v7, 1, v39
	s_waitcnt lgkmcnt(0)
	v_lshrrev_b32_e32 v39, 16, v40
	v_cndmask_b32_e32 v6, 0, v40, vcc_lo
	v_cmp_eq_u32_e32 vcc_lo, 1, v7
	v_add_nc_u16 v4, v6, v4
	v_cndmask_b32_e64 v7, v39, 1, vcc_lo
	s_branch .LBB1000_105
.LBB1000_122:
                                        ; implicit-def: $vgpr25
                                        ; implicit-def: $vgpr3
                                        ; implicit-def: $vgpr4
                                        ; implicit-def: $vgpr5
                                        ; implicit-def: $vgpr6
                                        ; implicit-def: $vgpr7
                                        ; implicit-def: $vgpr8
                                        ; implicit-def: $vgpr22
                                        ; implicit-def: $vgpr23
                                        ; implicit-def: $vgpr24
	s_cbranch_execnz .LBB1000_128
	s_branch .LBB1000_147
.LBB1000_123:
	s_and_saveexec_b32 s12, s11
	s_cbranch_execz .LBB1000_125
; %bb.124:
	v_and_b32_e32 v2, 0xff0000, v1
	v_mov_b32_e32 v3, 1
	v_and_b32_e32 v4, 0x10000, v1
	s_mov_b32 s31, 0
	s_add_i32 s30, s38, 32
	v_cmp_eq_u32_e32 vcc_lo, 0, v2
	v_and_b32_sdwa v3, v33, v3 dst_sel:WORD_1 dst_unused:UNUSED_PAD src0_sel:DWORD src1_sel:DWORD
	s_lshl_b64 s[30:31], s[30:31], 3
	s_add_u32 s30, s20, s30
	v_cndmask_b32_e32 v2, 0, v34, vcc_lo
	v_cmp_eq_u32_e32 vcc_lo, 0, v4
	s_addc_u32 s31, s21, s31
	v_add_nc_u16 v1, v2, v1
	v_cndmask_b32_e32 v2, 0x10000, v3, vcc_lo
	v_mov_b32_e32 v3, 0
	v_or_b32_sdwa v1, v2, v1 dst_sel:DWORD dst_unused:UNUSED_PAD src0_sel:DWORD src1_sel:WORD_0
	v_mov_b32_e32 v2, 2
	global_store_dwordx2 v3, v[1:2], s[30:31]
.LBB1000_125:
	s_or_b32 exec_lo, exec_lo, s12
	s_and_b32 exec_lo, exec_lo, s0
	s_cbranch_execz .LBB1000_127
; %bb.126:
	v_mov_b32_e32 v1, 0
	ds_write_b16 v1, v34
	ds_write_b8 v1, v33 offset:2
.LBB1000_127:
	s_or_b32 exec_lo, exec_lo, s18
	v_mov_b32_e32 v1, 0
	v_and_b32_e32 v3, 0x10000, v18
	v_cmp_gt_u32_e32 vcc_lo, 0x10000, v18
	s_waitcnt lgkmcnt(0)
	s_waitcnt_vscnt null, 0x0
	s_barrier
	buffer_gl0_inv
	ds_read_b32 v2, v1
	v_cndmask_b32_e32 v4, 0, v24, vcc_lo
	v_cmp_ne_u32_e32 vcc_lo, 0, v3
	v_cndmask_b32_e64 v4, v4, 0, s0
	v_cndmask_b32_e64 v3, v23, 1, vcc_lo
	v_add_nc_u16 v4, v4, v18
	v_cndmask_b32_e64 v3, v3, v22, s0
	v_cmp_eq_u16_sdwa vcc_lo, v3, v1 src0_sel:BYTE_0 src1_sel:DWORD
	s_waitcnt lgkmcnt(0)
	v_cndmask_b32_e32 v1, 0, v2, vcc_lo
	v_add_nc_u16 v1, v4, v1
	v_cndmask_b32_e64 v2, 0, v1, s10
	v_and_b32_e32 v25, 0xffff, v1
	v_add_nc_u16 v3, v2, v21
	v_cndmask_b32_e64 v2, 0, v3, s9
	v_add_nc_u16 v4, v2, v20
	v_cndmask_b32_e64 v2, 0, v4, s8
	;; [unrolled: 2-line block ×8, first 2 shown]
	v_add_nc_u16 v24, v2, v10
	s_branch .LBB1000_147
.LBB1000_128:
	s_cmp_lg_u64 s[28:29], 0
	s_cselect_b32 s2, -1, 0
	s_cmp_lg_u64 s[14:15], 0
	s_cselect_b32 s3, -1, 0
	s_and_b32 s2, s2, s3
	s_and_b32 s3, s0, s2
	s_and_saveexec_b32 s2, s3
	s_cbranch_execz .LBB1000_130
; %bb.129:
	v_mov_b32_e32 v1, 0
	v_mov_b32_e32 v3, 1
	v_cmp_gt_u32_e32 vcc_lo, 0x10000, v18
	v_and_b32_e32 v4, 0x10000, v18
	s_clause 0x1
	global_load_ushort v2, v1, s[14:15]
	global_load_ubyte v1, v1, s[14:15] offset:2
	s_waitcnt vmcnt(1)
	v_cndmask_b32_e32 v2, 0, v2, vcc_lo
	s_waitcnt vmcnt(0)
	v_and_b32_sdwa v1, v1, v3 dst_sel:WORD_1 dst_unused:UNUSED_PAD src0_sel:DWORD src1_sel:DWORD
	v_cmp_eq_u32_e32 vcc_lo, 0, v4
	v_add_nc_u16 v2, v2, v18
	v_cndmask_b32_e32 v1, 0x10000, v1, vcc_lo
	v_or_b32_sdwa v18, v1, v2 dst_sel:DWORD dst_unused:UNUSED_PAD src0_sel:DWORD src1_sel:WORD_0
.LBB1000_130:
	s_or_b32 exec_lo, exec_lo, s2
	v_cmp_gt_u32_e32 vcc_lo, 0x10000, v21
	v_cmp_gt_u32_e64 s2, 0x10000, v20
	v_cmp_gt_u32_e64 s3, 0x10000, v19
	;; [unrolled: 1-line block ×4, first 2 shown]
	v_cndmask_b32_e32 v1, 0, v18, vcc_lo
	v_cmp_gt_u32_e64 s6, 0x10000, v15
	v_cmp_gt_u32_e64 s7, 0x10000, v14
	;; [unrolled: 1-line block ×4, first 2 shown]
	v_add_nc_u16 v3, v1, v21
	v_and_b32_e32 v11, 4, v11
	s_mov_b32 s11, exec_lo
	v_cndmask_b32_e64 v1, 0, v3, s2
	v_lshl_add_u32 v11, v0, 2, v11
	v_add_nc_u16 v4, v1, v20
	v_cndmask_b32_e64 v1, 0, v4, s3
	v_add_nc_u16 v5, v1, v19
	v_cndmask_b32_e64 v1, 0, v5, s4
	;; [unrolled: 2-line block ×5, first 2 shown]
	v_add_nc_u16 v22, v1, v14
	v_or3_b32 v1, v12, v19, v20
	v_cndmask_b32_e64 v2, 0, v22, s8
	v_or3_b32 v1, v1, v21, v10
	v_add_nc_u16 v23, v2, v13
	v_and_b32_e32 v1, 0xff0000, v1
	v_lshrrev_b32_e32 v2, 16, v18
	v_cndmask_b32_e64 v12, 0, v23, s9
	v_cmp_eq_u32_e64 s10, 0, v1
	v_add_nc_u16 v24, v12, v10
	v_cndmask_b32_e64 v1, 1, v2, s10
	ds_write_b8 v11, v1 offset:2
	ds_write_b16 v11, v24
	s_waitcnt lgkmcnt(0)
	s_barrier
	buffer_gl0_inv
	v_cmpx_gt_u32_e32 32, v0
	s_cbranch_execz .LBB1000_142
; %bb.131:
	v_lshrrev_b32_e32 v2, 2, v0
	v_lshlrev_b32_e32 v11, 3, v0
	s_mov_b32 s12, exec_lo
	v_and_b32_e32 v2, 12, v2
	v_add_nc_u32_e32 v2, v2, v11
	ds_read_u8 v12, v2 offset:6
	ds_read_b32 v11, v2
	ds_read_u16 v25, v2 offset:4
	s_waitcnt lgkmcnt(2)
	v_cmp_eq_u16_e64 s10, 0, v12
	v_and_b32_e32 v27, 1, v12
	s_waitcnt lgkmcnt(1)
	v_and_b32_e32 v12, 0x10000, v11
	v_cndmask_b32_e64 v26, 0, v11, s10
	v_cmp_eq_u32_e64 s10, 1, v27
	v_mbcnt_lo_u32_b32 v27, -1, 0
	s_waitcnt lgkmcnt(0)
	v_add_nc_u16 v26, v26, v25
	v_and_b32_e32 v25, 0xff000000, v11
	v_cndmask_b32_e64 v28, v12, 0x10000, s10
	v_and_b32_e32 v29, 0xffff, v26
	v_or_b32_e32 v30, v28, v25
	v_or3_b32 v31, v25, v29, v28
	v_and_b32_e32 v28, 15, v27
	v_lshrrev_b32_e32 v29, 16, v30
	v_mov_b32_dpp v32, v31 row_shr:1 row_mask:0xf bank_mask:0xf
	v_cmpx_ne_u32_e32 0, v28
	s_cbranch_execz .LBB1000_133
; %bb.132:
	v_mov_b32_e32 v29, 0xff
	v_mov_b32_e32 v31, 1
	v_and_b32_sdwa v29, v30, v29 dst_sel:DWORD dst_unused:UNUSED_PAD src0_sel:WORD_1 src1_sel:DWORD
	v_and_b32_e32 v30, 0x10000, v30
	v_and_b32_sdwa v31, v32, v31 dst_sel:DWORD dst_unused:UNUSED_PAD src0_sel:WORD_1 src1_sel:DWORD
	v_cmp_eq_u16_e64 s10, 0, v29
	v_cndmask_b32_e64 v32, 0, v32, s10
	v_cmp_ne_u32_e64 s10, 0, v30
	v_add_nc_u16 v26, v32, v26
	v_cndmask_b32_e64 v29, v31, 1, s10
	v_and_b32_e32 v31, 0xffff, v26
	v_lshlrev_b32_e32 v30, 16, v29
	v_or3_b32 v31, v30, v31, v25
.LBB1000_133:
	s_or_b32 exec_lo, exec_lo, s12
	v_lshrrev_b32_e32 v30, 16, v31
	v_mov_b32_dpp v32, v31 row_shr:2 row_mask:0xf bank_mask:0xf
	s_mov_b32 s12, exec_lo
	v_cmpx_lt_u32_e32 1, v28
	s_cbranch_execz .LBB1000_135
; %bb.134:
	v_mov_b32_e32 v33, 0
	v_mov_b32_e32 v29, 1
	v_and_b32_e32 v31, 0x10000, v31
	v_cmp_eq_u16_sdwa s10, v30, v33 src0_sel:BYTE_0 src1_sel:DWORD
	v_and_b32_sdwa v29, v32, v29 dst_sel:DWORD dst_unused:UNUSED_PAD src0_sel:WORD_1 src1_sel:DWORD
	v_cndmask_b32_e64 v30, 0, v32, s10
	v_cmp_ne_u32_e64 s10, 0, v31
	v_add_nc_u16 v26, v30, v26
	v_cndmask_b32_e64 v29, v29, 1, s10
	v_and_b32_e32 v31, 0xffff, v26
	v_lshlrev_b32_e32 v30, 16, v29
	v_or3_b32 v31, v30, v31, v25
	v_mov_b32_e32 v30, v29
.LBB1000_135:
	s_or_b32 exec_lo, exec_lo, s12
	v_mov_b32_dpp v32, v31 row_shr:4 row_mask:0xf bank_mask:0xf
	s_mov_b32 s12, exec_lo
	v_cmpx_lt_u32_e32 3, v28
	s_cbranch_execz .LBB1000_137
; %bb.136:
	v_mov_b32_e32 v31, 0
	v_mov_b32_e32 v29, 1
	v_and_b32_e32 v33, 1, v30
	v_cmp_eq_u16_sdwa s10, v30, v31 src0_sel:BYTE_0 src1_sel:DWORD
	v_and_b32_sdwa v29, v32, v29 dst_sel:DWORD dst_unused:UNUSED_PAD src0_sel:WORD_1 src1_sel:DWORD
	v_cndmask_b32_e64 v30, 0, v32, s10
	v_cmp_eq_u32_e64 s10, 1, v33
	v_add_nc_u16 v26, v30, v26
	v_cndmask_b32_e64 v29, v29, 1, s10
	v_and_b32_e32 v31, 0xffff, v26
	v_lshlrev_b32_e32 v30, 16, v29
	v_or3_b32 v31, v30, v31, v25
	v_mov_b32_e32 v30, v29
.LBB1000_137:
	s_or_b32 exec_lo, exec_lo, s12
	v_mov_b32_dpp v32, v31 row_shr:8 row_mask:0xf bank_mask:0xf
	s_mov_b32 s12, exec_lo
	v_cmpx_lt_u32_e32 7, v28
	s_cbranch_execz .LBB1000_139
; %bb.138:
	v_mov_b32_e32 v29, 0
	v_mov_b32_e32 v28, 1
	v_and_b32_e32 v31, 1, v30
	v_cmp_eq_u16_sdwa s10, v30, v29 src0_sel:BYTE_0 src1_sel:DWORD
	v_and_b32_sdwa v28, v32, v28 dst_sel:DWORD dst_unused:UNUSED_PAD src0_sel:WORD_1 src1_sel:DWORD
	v_cndmask_b32_e64 v30, 0, v32, s10
	v_cmp_eq_u32_e64 s10, 1, v31
	v_add_nc_u16 v26, v30, v26
	v_cndmask_b32_e64 v29, v28, 1, s10
	v_and_b32_e32 v30, 0xffff, v26
	v_lshlrev_b32_e32 v28, 16, v29
	v_or3_b32 v31, v28, v30, v25
	v_mov_b32_e32 v30, v29
.LBB1000_139:
	s_or_b32 exec_lo, exec_lo, s12
	ds_swizzle_b32 v28, v31 offset:swizzle(BROADCAST,32,15)
	v_and_b32_e32 v31, 16, v27
	s_mov_b32 s12, exec_lo
	v_cmpx_ne_u32_e32 0, v31
	s_cbranch_execz .LBB1000_141
; %bb.140:
	v_mov_b32_e32 v29, 0
	v_mov_b32_e32 v31, 1
	v_cmp_eq_u16_sdwa s10, v30, v29 src0_sel:BYTE_0 src1_sel:DWORD
	v_and_b32_e32 v30, 1, v30
	s_waitcnt lgkmcnt(0)
	v_cndmask_b32_e64 v29, 0, v28, s10
	v_and_b32_sdwa v28, v28, v31 dst_sel:DWORD dst_unused:UNUSED_PAD src0_sel:WORD_1 src1_sel:DWORD
	v_cmp_eq_u32_e64 s10, 1, v30
	v_add_nc_u16 v26, v29, v26
	v_cndmask_b32_e64 v29, v28, 1, s10
.LBB1000_141:
	s_or_b32 exec_lo, exec_lo, s12
	s_waitcnt lgkmcnt(0)
	v_and_b32_e32 v28, 0xff, v29
	v_add_nc_u32_e32 v29, -1, v27
	v_and_b32_e32 v26, 0xffff, v26
	; wave barrier
	v_lshlrev_b32_e32 v28, 16, v28
	v_cmp_gt_i32_e64 s10, 0, v29
	v_or3_b32 v25, v28, v26, v25
	v_cndmask_b32_e64 v27, v29, v27, s10
	v_lshlrev_b32_e32 v26, 2, v27
	v_mov_b32_e32 v27, 1
	ds_bpermute_b32 v25, v26, v25
	v_and_b32_e32 v26, 0xff0000, v11
	v_cmp_eq_u32_e64 s10, 0, v26
	s_waitcnt lgkmcnt(0)
	v_cndmask_b32_e64 v26, 0, v25, s10
	v_and_b32_sdwa v25, v25, v27 dst_sel:DWORD dst_unused:UNUSED_PAD src0_sel:WORD_1 src1_sel:DWORD
	v_cmp_eq_u32_e64 s10, 0, v12
	v_add_nc_u16 v11, v26, v11
	v_cndmask_b32_e64 v12, 1, v25, s10
	v_cndmask_b32_e64 v11, v11, v24, s0
	;; [unrolled: 1-line block ×3, first 2 shown]
	ds_write_b16 v2, v11
	ds_write_b8 v2, v1 offset:2
	; wave barrier
	ds_read_u8 v12, v2 offset:6
	ds_read_u16 v25, v2 offset:4
	s_waitcnt lgkmcnt(1)
	v_cmp_eq_u16_e64 s10, 0, v12
	v_and_b32_e32 v12, 1, v12
	v_cndmask_b32_e64 v11, 0, v11, s10
	v_cmp_eq_u32_e64 s10, 1, v12
	s_waitcnt lgkmcnt(0)
	v_add_nc_u16 v11, v11, v25
	v_cndmask_b32_e64 v1, v1, 1, s10
	ds_write_b16 v2, v11 offset:4
	ds_write_b8 v2, v1 offset:6
.LBB1000_142:
	s_or_b32 exec_lo, exec_lo, s11
	s_waitcnt lgkmcnt(0)
	s_barrier
	buffer_gl0_inv
	s_and_saveexec_b32 s10, s1
	s_cbranch_execz .LBB1000_144
; %bb.143:
	v_add_nc_u32_e32 v1, -1, v0
	v_cmp_gt_u32_e64 s1, 0x10000, v18
	v_lshrrev_b32_e32 v2, 3, v1
	v_and_b32_e32 v2, 0x1ffffffc, v2
	v_lshl_add_u32 v1, v1, 2, v2
	ds_read_u16 v1, v1
	;;#ASMSTART
	;;#ASMEND
	s_waitcnt lgkmcnt(0)
	v_cndmask_b32_e64 v1, 0, v1, s1
	v_add_nc_u32_e32 v18, v1, v18
	v_cndmask_b32_e32 v1, 0, v18, vcc_lo
	v_add_nc_u16 v3, v1, v21
	v_cndmask_b32_e64 v1, 0, v3, s2
	v_add_nc_u16 v4, v1, v20
	v_cndmask_b32_e64 v1, 0, v4, s3
	;; [unrolled: 2-line block ×8, first 2 shown]
	v_add_nc_u16 v24, v1, v10
.LBB1000_144:
	s_or_b32 exec_lo, exec_lo, s10
	s_and_saveexec_b32 s1, s0
	s_cbranch_execz .LBB1000_146
; %bb.145:
	v_mov_b32_e32 v10, 0
	ds_read_u8 v1, v10 offset:258
	ds_read_u16 v2, v10 offset:256
	s_waitcnt lgkmcnt(1)
	v_lshlrev_b32_e32 v1, 16, v1
	s_waitcnt lgkmcnt(0)
	v_or_b32_e32 v1, v1, v2
	v_mov_b32_e32 v2, 2
	global_store_dwordx2 v10, v[1:2], s[20:21] offset:256
.LBB1000_146:
	s_or_b32 exec_lo, exec_lo, s1
	v_mov_b32_e32 v25, v18
.LBB1000_147:
	s_add_u32 s0, s24, s26
	v_mov_b32_e32 v1, 0
	s_addc_u32 s1, s25, s27
	s_add_u32 s0, s0, s16
	s_addc_u32 s1, s1, s17
	s_and_b32 vcc_lo, exec_lo, s23
	s_cbranch_vccz .LBB1000_187
; %bb.148:
	v_mul_u32_u24_e32 v2, 10, v0
	v_mov_b32_e32 v10, 0
	v_mov_b32_e32 v11, 0
	;; [unrolled: 1-line block ×4, first 2 shown]
	s_add_i32 s33, s33, s22
	s_mov_b32 s2, exec_lo
	v_cmpx_gt_u32_e64 s33, v2
	s_cbranch_execz .LBB1000_168
; %bb.149:
	v_or_b32_e32 v13, 1, v2
	v_and_b32_e32 v1, 0xffff, v25
	v_mov_b32_e32 v10, 0
	v_mov_b32_e32 v11, 0
	;; [unrolled: 1-line block ×3, first 2 shown]
	v_cmp_gt_u32_e32 vcc_lo, s33, v13
	v_mov_b32_e32 v13, 0
	s_and_saveexec_b32 s3, vcc_lo
	s_cbranch_execz .LBB1000_167
; %bb.150:
	v_perm_b32 v1, v3, v1, 0x5040100
	v_add_nc_u32_e32 v14, 2, v2
	v_mov_b32_e32 v13, 0
	v_mov_b32_e32 v12, 0
	v_mov_b32_e32 v11, 0
	v_mov_b32_e32 v10, 0
	s_mov_b32 s4, exec_lo
	v_cmpx_gt_u32_e64 s33, v14
	s_cbranch_execz .LBB1000_166
; %bb.151:
	v_add_nc_u32_e32 v14, 3, v2
	v_bfi_b32 v10, 0xffff, v4, 0
	v_mov_b32_e32 v13, 0
	v_mov_b32_e32 v12, 0
	;; [unrolled: 1-line block ×3, first 2 shown]
	s_mov_b32 s5, exec_lo
	v_cmpx_gt_u32_e64 s33, v14
	s_cbranch_execz .LBB1000_165
; %bb.152:
	v_add_nc_u32_e32 v14, 4, v2
	v_perm_b32 v10, v5, v10, 0x5040100
	v_mov_b32_e32 v13, 0
	v_mov_b32_e32 v12, 0
	;; [unrolled: 1-line block ×3, first 2 shown]
	s_mov_b32 s6, exec_lo
	v_cmpx_gt_u32_e64 s33, v14
	s_cbranch_execz .LBB1000_164
; %bb.153:
	v_add_nc_u32_e32 v14, 5, v2
	v_bfi_b32 v11, 0xffff, v6, 0
	v_mov_b32_e32 v13, 0
	v_mov_b32_e32 v12, 0
	s_mov_b32 s7, exec_lo
	v_cmpx_gt_u32_e64 s33, v14
	s_cbranch_execz .LBB1000_163
; %bb.154:
	v_add_nc_u32_e32 v14, 6, v2
	v_perm_b32 v11, v7, v11, 0x5040100
	v_mov_b32_e32 v13, 0
	v_mov_b32_e32 v12, 0
	s_mov_b32 s8, exec_lo
	v_cmpx_gt_u32_e64 s33, v14
	s_cbranch_execz .LBB1000_162
; %bb.155:
	v_add_nc_u32_e32 v14, 7, v2
	v_bfi_b32 v12, 0xffff, v8, 0
	v_mov_b32_e32 v13, 0
	s_mov_b32 s9, exec_lo
	v_cmpx_gt_u32_e64 s33, v14
	s_cbranch_execz .LBB1000_161
; %bb.156:
	v_add_nc_u32_e32 v14, 8, v2
	v_perm_b32 v12, v22, v12, 0x5040100
	v_mov_b32_e32 v13, 0
	s_mov_b32 s10, exec_lo
	v_cmpx_gt_u32_e64 s33, v14
	s_cbranch_execz .LBB1000_160
; %bb.157:
	v_add_nc_u32_e32 v14, 9, v2
	v_bfi_b32 v13, 0xffff, v23, 0
	s_mov_b32 s11, exec_lo
	v_cmpx_gt_u32_e64 s33, v14
; %bb.158:
	v_perm_b32 v13, v24, v13, 0x5040100
; %bb.159:
	s_or_b32 exec_lo, exec_lo, s11
.LBB1000_160:
	s_or_b32 exec_lo, exec_lo, s10
.LBB1000_161:
	s_or_b32 exec_lo, exec_lo, s9
.LBB1000_162:
	s_or_b32 exec_lo, exec_lo, s8
.LBB1000_163:
	s_or_b32 exec_lo, exec_lo, s7
.LBB1000_164:
	s_or_b32 exec_lo, exec_lo, s6
.LBB1000_165:
	s_or_b32 exec_lo, exec_lo, s5
.LBB1000_166:
	s_or_b32 exec_lo, exec_lo, s4
.LBB1000_167:
	s_or_b32 exec_lo, exec_lo, s3
.LBB1000_168:
	s_or_b32 exec_lo, exec_lo, s2
	v_lshlrev_b32_e32 v18, 1, v2
	s_waitcnt_vscnt null, 0x0
	s_barrier
	buffer_gl0_inv
	ds_write2_b32 v18, v1, v10 offset1:1
	ds_write2_b32 v18, v11, v12 offset0:2 offset1:3
	v_mad_i32_i24 v1, 0xffffffee, v0, v18
	ds_write_b32 v18, v13 offset:16
	s_waitcnt lgkmcnt(0)
	s_barrier
	buffer_gl0_inv
	ds_read_u16 v19, v1 offset:128
	ds_read_u16 v17, v1 offset:256
	;; [unrolled: 1-line block ×9, first 2 shown]
	v_add_co_u32 v1, s2, s0, v9
	v_add_co_ci_u32_e64 v2, null, s1, 0, s2
	s_mov_b32 s2, exec_lo
	v_cmpx_gt_u32_e64 s33, v0
	s_cbranch_execz .LBB1000_170
; %bb.169:
	v_mul_i32_i24_e32 v20, 0xffffffee, v0
	v_add_nc_u32_e32 v18, v18, v20
	ds_read_u16 v18, v18
	s_waitcnt lgkmcnt(0)
	flat_store_short v[1:2], v18
.LBB1000_170:
	s_or_b32 exec_lo, exec_lo, s2
	v_or_b32_e32 v18, 64, v0
	s_mov_b32 s2, exec_lo
	v_cmpx_gt_u32_e64 s33, v18
	s_cbranch_execz .LBB1000_172
; %bb.171:
	s_waitcnt lgkmcnt(8)
	flat_store_short v[1:2], v19 offset:128
.LBB1000_172:
	s_or_b32 exec_lo, exec_lo, s2
	v_or_b32_e32 v18, 0x80, v0
	s_mov_b32 s2, exec_lo
	v_cmpx_gt_u32_e64 s33, v18
	s_cbranch_execz .LBB1000_174
; %bb.173:
	s_waitcnt lgkmcnt(7)
	flat_store_short v[1:2], v17 offset:256
.LBB1000_174:
	s_or_b32 exec_lo, exec_lo, s2
	s_waitcnt lgkmcnt(7)
	v_or_b32_e32 v17, 0xc0, v0
	s_mov_b32 s2, exec_lo
	v_cmpx_gt_u32_e64 s33, v17
	s_cbranch_execz .LBB1000_176
; %bb.175:
	s_waitcnt lgkmcnt(6)
	flat_store_short v[1:2], v16 offset:384
.LBB1000_176:
	s_or_b32 exec_lo, exec_lo, s2
	s_waitcnt lgkmcnt(6)
	;; [unrolled: 10-line block ×6, first 2 shown]
	v_or_b32_e32 v12, 0x200, v0
	s_mov_b32 s2, exec_lo
	v_cmpx_gt_u32_e64 s33, v12
	s_cbranch_execz .LBB1000_186
; %bb.185:
	s_waitcnt lgkmcnt(1)
	flat_store_short v[1:2], v11 offset:1024
.LBB1000_186:
	s_or_b32 exec_lo, exec_lo, s2
	v_or_b32_e32 v1, 0x240, v0
	v_cmp_gt_u32_e64 s2, s33, v1
	s_branch .LBB1000_189
.LBB1000_187:
	s_mov_b32 s2, 0
                                        ; implicit-def: $vgpr10
	s_cbranch_execz .LBB1000_189
; %bb.188:
	v_mul_u32_u24_e32 v1, 20, v0
	v_perm_b32 v2, v5, v4, 0x5040100
	v_perm_b32 v3, v3, v25, 0x5040100
	;; [unrolled: 1-line block ×3, first 2 shown]
	v_mul_i32_i24_e32 v6, 0xffffffee, v0
	v_perm_b32 v4, v22, v8, 0x5040100
	s_waitcnt lgkmcnt(0)
	s_waitcnt_vscnt null, 0x0
	s_barrier
	v_perm_b32 v7, v24, v23, 0x5040100
	buffer_gl0_inv
	ds_write2_b32 v1, v3, v2 offset1:1
	ds_write2_b32 v1, v5, v4 offset0:2 offset1:3
	v_mad_u32_u24 v2, v0, 20, v6
	s_or_b32 s2, s2, exec_lo
	ds_write_b32 v1, v7 offset:16
	s_waitcnt lgkmcnt(0)
	s_barrier
	buffer_gl0_inv
	ds_read_u16 v3, v2
	ds_read_u16 v4, v2 offset:128
	ds_read_u16 v5, v2 offset:256
	ds_read_u16 v6, v2 offset:384
	ds_read_u16 v7, v2 offset:512
	ds_read_u16 v8, v2 offset:640
	ds_read_u16 v11, v2 offset:768
	ds_read_u16 v12, v2 offset:896
	ds_read_u16 v13, v2 offset:1024
	ds_read_u16 v10, v2 offset:1152
	v_add_co_u32 v1, s3, s0, v9
	v_add_co_ci_u32_e64 v2, null, s1, 0, s3
	s_waitcnt lgkmcnt(9)
	flat_store_short v[1:2], v3
	s_waitcnt lgkmcnt(9)
	flat_store_short v[1:2], v4 offset:128
	s_waitcnt lgkmcnt(9)
	flat_store_short v[1:2], v5 offset:256
	;; [unrolled: 2-line block ×8, first 2 shown]
.LBB1000_189:
	s_and_saveexec_b32 s3, s2
	s_cbranch_execnz .LBB1000_191
; %bb.190:
	s_endpgm
.LBB1000_191:
	v_lshlrev_b32_e32 v0, 1, v0
	v_add_co_u32 v0, s0, s0, v0
	v_add_co_ci_u32_e64 v1, null, s1, 0, s0
	s_waitcnt lgkmcnt(0)
	flat_store_short v[0:1], v10 offset:1152
	s_endpgm
.LBB1000_192:
	global_load_ushort v2, v14, s[30:31]
	v_mov_b32_e32 v3, v1
	v_mov_b32_e32 v4, v1
	;; [unrolled: 1-line block ×4, first 2 shown]
	s_waitcnt vmcnt(0)
	v_sub_nc_u16 v2, 0, v2
	v_and_b32_e32 v2, 0xffff, v2
	v_mov_b32_e32 v1, v2
	v_mov_b32_e32 v2, v3
	;; [unrolled: 1-line block ×8, first 2 shown]
	s_or_b32 exec_lo, exec_lo, s12
	s_and_saveexec_b32 s11, s10
	s_cbranch_execz .LBB1000_33
.LBB1000_193:
	global_load_ushort v6, v14, s[30:31] offset:128
	s_waitcnt vmcnt(0)
	v_sub_nc_u16 v6, 0, v6
	v_perm_b32 v1, v6, v1, 0x5040100
	s_or_b32 exec_lo, exec_lo, s11
	s_and_saveexec_b32 s10, s9
	s_cbranch_execz .LBB1000_34
.LBB1000_194:
	global_load_ushort v6, v14, s[30:31] offset:256
	s_waitcnt vmcnt(0)
	v_sub_nc_u16 v6, 0, v6
	v_bfi_b32 v2, 0xffff, v6, v2
	s_or_b32 exec_lo, exec_lo, s10
	s_and_saveexec_b32 s9, s8
	s_cbranch_execz .LBB1000_35
.LBB1000_195:
	global_load_ushort v6, v14, s[30:31] offset:384
	s_waitcnt vmcnt(0)
	v_sub_nc_u16 v6, 0, v6
	v_perm_b32 v2, v6, v2, 0x5040100
	s_or_b32 exec_lo, exec_lo, s9
	s_and_saveexec_b32 s8, s7
	s_cbranch_execz .LBB1000_36
.LBB1000_196:
	global_load_ushort v6, v14, s[30:31] offset:512
	s_waitcnt vmcnt(0)
	v_sub_nc_u16 v6, 0, v6
	v_bfi_b32 v3, 0xffff, v6, v3
	s_or_b32 exec_lo, exec_lo, s8
	s_and_saveexec_b32 s7, s6
	s_cbranch_execz .LBB1000_37
.LBB1000_197:
	global_load_ushort v6, v14, s[30:31] offset:640
	s_waitcnt vmcnt(0)
	v_sub_nc_u16 v6, 0, v6
	v_perm_b32 v3, v6, v3, 0x5040100
	s_or_b32 exec_lo, exec_lo, s7
	s_and_saveexec_b32 s6, s5
	s_cbranch_execz .LBB1000_38
.LBB1000_198:
	global_load_ushort v6, v14, s[30:31] offset:768
	s_waitcnt vmcnt(0)
	v_sub_nc_u16 v6, 0, v6
	v_bfi_b32 v4, 0xffff, v6, v4
	s_or_b32 exec_lo, exec_lo, s6
	s_and_saveexec_b32 s5, s4
	s_cbranch_execz .LBB1000_39
.LBB1000_199:
	global_load_ushort v6, v14, s[30:31] offset:896
	s_waitcnt vmcnt(0)
	v_sub_nc_u16 v6, 0, v6
	v_perm_b32 v4, v6, v4, 0x5040100
	s_or_b32 exec_lo, exec_lo, s5
	s_and_saveexec_b32 s4, s3
	s_cbranch_execz .LBB1000_40
.LBB1000_200:
	global_load_ushort v6, v14, s[30:31] offset:1024
	s_waitcnt vmcnt(0)
	v_sub_nc_u16 v6, 0, v6
	v_bfi_b32 v5, 0xffff, v6, v5
	s_or_b32 exec_lo, exec_lo, s4
	s_and_saveexec_b32 s3, s2
	s_cbranch_execnz .LBB1000_41
	s_branch .LBB1000_42
.LBB1000_201:
                                        ; implicit-def: $sgpr12_sgpr13
	s_branch .LBB1000_28
.LBB1000_202:
                                        ; implicit-def: $sgpr2_sgpr3
	s_branch .LBB1000_65
	.section	.rodata,"a",@progbits
	.p2align	6, 0x0
	.amdhsa_kernel _ZN7rocprim17ROCPRIM_400000_NS6detail17trampoline_kernelINS0_14default_configENS1_27scan_by_key_config_selectorIssEEZZNS1_16scan_by_key_implILNS1_25lookback_scan_determinismE0ELb0ES3_N6thrust23THRUST_200600_302600_NS6detail15normal_iteratorINS9_10device_ptrIsEEEENS9_18transform_iteratorINS9_6negateIsEESE_NS9_11use_defaultESI_EESE_sNS9_4plusIvEENS9_8equal_toIvEEsEE10hipError_tPvRmT2_T3_T4_T5_mT6_T7_P12ihipStream_tbENKUlT_T0_E_clISt17integral_constantIbLb0EES13_IbLb1EEEEDaSZ_S10_EUlSZ_E_NS1_11comp_targetILNS1_3genE8ELNS1_11target_archE1030ELNS1_3gpuE2ELNS1_3repE0EEENS1_30default_config_static_selectorELNS0_4arch9wavefront6targetE0EEEvT1_
		.amdhsa_group_segment_fixed_size 1536
		.amdhsa_private_segment_fixed_size 0
		.amdhsa_kernarg_size 120
		.amdhsa_user_sgpr_count 6
		.amdhsa_user_sgpr_private_segment_buffer 1
		.amdhsa_user_sgpr_dispatch_ptr 0
		.amdhsa_user_sgpr_queue_ptr 0
		.amdhsa_user_sgpr_kernarg_segment_ptr 1
		.amdhsa_user_sgpr_dispatch_id 0
		.amdhsa_user_sgpr_flat_scratch_init 0
		.amdhsa_user_sgpr_private_segment_size 0
		.amdhsa_wavefront_size32 1
		.amdhsa_uses_dynamic_stack 0
		.amdhsa_system_sgpr_private_segment_wavefront_offset 0
		.amdhsa_system_sgpr_workgroup_id_x 1
		.amdhsa_system_sgpr_workgroup_id_y 0
		.amdhsa_system_sgpr_workgroup_id_z 0
		.amdhsa_system_sgpr_workgroup_info 0
		.amdhsa_system_vgpr_workitem_id 0
		.amdhsa_next_free_vgpr 42
		.amdhsa_next_free_sgpr 41
		.amdhsa_reserve_vcc 1
		.amdhsa_reserve_flat_scratch 1
		.amdhsa_float_round_mode_32 0
		.amdhsa_float_round_mode_16_64 0
		.amdhsa_float_denorm_mode_32 3
		.amdhsa_float_denorm_mode_16_64 3
		.amdhsa_dx10_clamp 1
		.amdhsa_ieee_mode 1
		.amdhsa_fp16_overflow 0
		.amdhsa_workgroup_processor_mode 1
		.amdhsa_memory_ordered 1
		.amdhsa_forward_progress 1
		.amdhsa_shared_vgpr_count 0
		.amdhsa_exception_fp_ieee_invalid_op 0
		.amdhsa_exception_fp_denorm_src 0
		.amdhsa_exception_fp_ieee_div_zero 0
		.amdhsa_exception_fp_ieee_overflow 0
		.amdhsa_exception_fp_ieee_underflow 0
		.amdhsa_exception_fp_ieee_inexact 0
		.amdhsa_exception_int_div_zero 0
	.end_amdhsa_kernel
	.section	.text._ZN7rocprim17ROCPRIM_400000_NS6detail17trampoline_kernelINS0_14default_configENS1_27scan_by_key_config_selectorIssEEZZNS1_16scan_by_key_implILNS1_25lookback_scan_determinismE0ELb0ES3_N6thrust23THRUST_200600_302600_NS6detail15normal_iteratorINS9_10device_ptrIsEEEENS9_18transform_iteratorINS9_6negateIsEESE_NS9_11use_defaultESI_EESE_sNS9_4plusIvEENS9_8equal_toIvEEsEE10hipError_tPvRmT2_T3_T4_T5_mT6_T7_P12ihipStream_tbENKUlT_T0_E_clISt17integral_constantIbLb0EES13_IbLb1EEEEDaSZ_S10_EUlSZ_E_NS1_11comp_targetILNS1_3genE8ELNS1_11target_archE1030ELNS1_3gpuE2ELNS1_3repE0EEENS1_30default_config_static_selectorELNS0_4arch9wavefront6targetE0EEEvT1_,"axG",@progbits,_ZN7rocprim17ROCPRIM_400000_NS6detail17trampoline_kernelINS0_14default_configENS1_27scan_by_key_config_selectorIssEEZZNS1_16scan_by_key_implILNS1_25lookback_scan_determinismE0ELb0ES3_N6thrust23THRUST_200600_302600_NS6detail15normal_iteratorINS9_10device_ptrIsEEEENS9_18transform_iteratorINS9_6negateIsEESE_NS9_11use_defaultESI_EESE_sNS9_4plusIvEENS9_8equal_toIvEEsEE10hipError_tPvRmT2_T3_T4_T5_mT6_T7_P12ihipStream_tbENKUlT_T0_E_clISt17integral_constantIbLb0EES13_IbLb1EEEEDaSZ_S10_EUlSZ_E_NS1_11comp_targetILNS1_3genE8ELNS1_11target_archE1030ELNS1_3gpuE2ELNS1_3repE0EEENS1_30default_config_static_selectorELNS0_4arch9wavefront6targetE0EEEvT1_,comdat
.Lfunc_end1000:
	.size	_ZN7rocprim17ROCPRIM_400000_NS6detail17trampoline_kernelINS0_14default_configENS1_27scan_by_key_config_selectorIssEEZZNS1_16scan_by_key_implILNS1_25lookback_scan_determinismE0ELb0ES3_N6thrust23THRUST_200600_302600_NS6detail15normal_iteratorINS9_10device_ptrIsEEEENS9_18transform_iteratorINS9_6negateIsEESE_NS9_11use_defaultESI_EESE_sNS9_4plusIvEENS9_8equal_toIvEEsEE10hipError_tPvRmT2_T3_T4_T5_mT6_T7_P12ihipStream_tbENKUlT_T0_E_clISt17integral_constantIbLb0EES13_IbLb1EEEEDaSZ_S10_EUlSZ_E_NS1_11comp_targetILNS1_3genE8ELNS1_11target_archE1030ELNS1_3gpuE2ELNS1_3repE0EEENS1_30default_config_static_selectorELNS0_4arch9wavefront6targetE0EEEvT1_, .Lfunc_end1000-_ZN7rocprim17ROCPRIM_400000_NS6detail17trampoline_kernelINS0_14default_configENS1_27scan_by_key_config_selectorIssEEZZNS1_16scan_by_key_implILNS1_25lookback_scan_determinismE0ELb0ES3_N6thrust23THRUST_200600_302600_NS6detail15normal_iteratorINS9_10device_ptrIsEEEENS9_18transform_iteratorINS9_6negateIsEESE_NS9_11use_defaultESI_EESE_sNS9_4plusIvEENS9_8equal_toIvEEsEE10hipError_tPvRmT2_T3_T4_T5_mT6_T7_P12ihipStream_tbENKUlT_T0_E_clISt17integral_constantIbLb0EES13_IbLb1EEEEDaSZ_S10_EUlSZ_E_NS1_11comp_targetILNS1_3genE8ELNS1_11target_archE1030ELNS1_3gpuE2ELNS1_3repE0EEENS1_30default_config_static_selectorELNS0_4arch9wavefront6targetE0EEEvT1_
                                        ; -- End function
	.set _ZN7rocprim17ROCPRIM_400000_NS6detail17trampoline_kernelINS0_14default_configENS1_27scan_by_key_config_selectorIssEEZZNS1_16scan_by_key_implILNS1_25lookback_scan_determinismE0ELb0ES3_N6thrust23THRUST_200600_302600_NS6detail15normal_iteratorINS9_10device_ptrIsEEEENS9_18transform_iteratorINS9_6negateIsEESE_NS9_11use_defaultESI_EESE_sNS9_4plusIvEENS9_8equal_toIvEEsEE10hipError_tPvRmT2_T3_T4_T5_mT6_T7_P12ihipStream_tbENKUlT_T0_E_clISt17integral_constantIbLb0EES13_IbLb1EEEEDaSZ_S10_EUlSZ_E_NS1_11comp_targetILNS1_3genE8ELNS1_11target_archE1030ELNS1_3gpuE2ELNS1_3repE0EEENS1_30default_config_static_selectorELNS0_4arch9wavefront6targetE0EEEvT1_.num_vgpr, 42
	.set _ZN7rocprim17ROCPRIM_400000_NS6detail17trampoline_kernelINS0_14default_configENS1_27scan_by_key_config_selectorIssEEZZNS1_16scan_by_key_implILNS1_25lookback_scan_determinismE0ELb0ES3_N6thrust23THRUST_200600_302600_NS6detail15normal_iteratorINS9_10device_ptrIsEEEENS9_18transform_iteratorINS9_6negateIsEESE_NS9_11use_defaultESI_EESE_sNS9_4plusIvEENS9_8equal_toIvEEsEE10hipError_tPvRmT2_T3_T4_T5_mT6_T7_P12ihipStream_tbENKUlT_T0_E_clISt17integral_constantIbLb0EES13_IbLb1EEEEDaSZ_S10_EUlSZ_E_NS1_11comp_targetILNS1_3genE8ELNS1_11target_archE1030ELNS1_3gpuE2ELNS1_3repE0EEENS1_30default_config_static_selectorELNS0_4arch9wavefront6targetE0EEEvT1_.num_agpr, 0
	.set _ZN7rocprim17ROCPRIM_400000_NS6detail17trampoline_kernelINS0_14default_configENS1_27scan_by_key_config_selectorIssEEZZNS1_16scan_by_key_implILNS1_25lookback_scan_determinismE0ELb0ES3_N6thrust23THRUST_200600_302600_NS6detail15normal_iteratorINS9_10device_ptrIsEEEENS9_18transform_iteratorINS9_6negateIsEESE_NS9_11use_defaultESI_EESE_sNS9_4plusIvEENS9_8equal_toIvEEsEE10hipError_tPvRmT2_T3_T4_T5_mT6_T7_P12ihipStream_tbENKUlT_T0_E_clISt17integral_constantIbLb0EES13_IbLb1EEEEDaSZ_S10_EUlSZ_E_NS1_11comp_targetILNS1_3genE8ELNS1_11target_archE1030ELNS1_3gpuE2ELNS1_3repE0EEENS1_30default_config_static_selectorELNS0_4arch9wavefront6targetE0EEEvT1_.numbered_sgpr, 41
	.set _ZN7rocprim17ROCPRIM_400000_NS6detail17trampoline_kernelINS0_14default_configENS1_27scan_by_key_config_selectorIssEEZZNS1_16scan_by_key_implILNS1_25lookback_scan_determinismE0ELb0ES3_N6thrust23THRUST_200600_302600_NS6detail15normal_iteratorINS9_10device_ptrIsEEEENS9_18transform_iteratorINS9_6negateIsEESE_NS9_11use_defaultESI_EESE_sNS9_4plusIvEENS9_8equal_toIvEEsEE10hipError_tPvRmT2_T3_T4_T5_mT6_T7_P12ihipStream_tbENKUlT_T0_E_clISt17integral_constantIbLb0EES13_IbLb1EEEEDaSZ_S10_EUlSZ_E_NS1_11comp_targetILNS1_3genE8ELNS1_11target_archE1030ELNS1_3gpuE2ELNS1_3repE0EEENS1_30default_config_static_selectorELNS0_4arch9wavefront6targetE0EEEvT1_.num_named_barrier, 0
	.set _ZN7rocprim17ROCPRIM_400000_NS6detail17trampoline_kernelINS0_14default_configENS1_27scan_by_key_config_selectorIssEEZZNS1_16scan_by_key_implILNS1_25lookback_scan_determinismE0ELb0ES3_N6thrust23THRUST_200600_302600_NS6detail15normal_iteratorINS9_10device_ptrIsEEEENS9_18transform_iteratorINS9_6negateIsEESE_NS9_11use_defaultESI_EESE_sNS9_4plusIvEENS9_8equal_toIvEEsEE10hipError_tPvRmT2_T3_T4_T5_mT6_T7_P12ihipStream_tbENKUlT_T0_E_clISt17integral_constantIbLb0EES13_IbLb1EEEEDaSZ_S10_EUlSZ_E_NS1_11comp_targetILNS1_3genE8ELNS1_11target_archE1030ELNS1_3gpuE2ELNS1_3repE0EEENS1_30default_config_static_selectorELNS0_4arch9wavefront6targetE0EEEvT1_.private_seg_size, 0
	.set _ZN7rocprim17ROCPRIM_400000_NS6detail17trampoline_kernelINS0_14default_configENS1_27scan_by_key_config_selectorIssEEZZNS1_16scan_by_key_implILNS1_25lookback_scan_determinismE0ELb0ES3_N6thrust23THRUST_200600_302600_NS6detail15normal_iteratorINS9_10device_ptrIsEEEENS9_18transform_iteratorINS9_6negateIsEESE_NS9_11use_defaultESI_EESE_sNS9_4plusIvEENS9_8equal_toIvEEsEE10hipError_tPvRmT2_T3_T4_T5_mT6_T7_P12ihipStream_tbENKUlT_T0_E_clISt17integral_constantIbLb0EES13_IbLb1EEEEDaSZ_S10_EUlSZ_E_NS1_11comp_targetILNS1_3genE8ELNS1_11target_archE1030ELNS1_3gpuE2ELNS1_3repE0EEENS1_30default_config_static_selectorELNS0_4arch9wavefront6targetE0EEEvT1_.uses_vcc, 1
	.set _ZN7rocprim17ROCPRIM_400000_NS6detail17trampoline_kernelINS0_14default_configENS1_27scan_by_key_config_selectorIssEEZZNS1_16scan_by_key_implILNS1_25lookback_scan_determinismE0ELb0ES3_N6thrust23THRUST_200600_302600_NS6detail15normal_iteratorINS9_10device_ptrIsEEEENS9_18transform_iteratorINS9_6negateIsEESE_NS9_11use_defaultESI_EESE_sNS9_4plusIvEENS9_8equal_toIvEEsEE10hipError_tPvRmT2_T3_T4_T5_mT6_T7_P12ihipStream_tbENKUlT_T0_E_clISt17integral_constantIbLb0EES13_IbLb1EEEEDaSZ_S10_EUlSZ_E_NS1_11comp_targetILNS1_3genE8ELNS1_11target_archE1030ELNS1_3gpuE2ELNS1_3repE0EEENS1_30default_config_static_selectorELNS0_4arch9wavefront6targetE0EEEvT1_.uses_flat_scratch, 1
	.set _ZN7rocprim17ROCPRIM_400000_NS6detail17trampoline_kernelINS0_14default_configENS1_27scan_by_key_config_selectorIssEEZZNS1_16scan_by_key_implILNS1_25lookback_scan_determinismE0ELb0ES3_N6thrust23THRUST_200600_302600_NS6detail15normal_iteratorINS9_10device_ptrIsEEEENS9_18transform_iteratorINS9_6negateIsEESE_NS9_11use_defaultESI_EESE_sNS9_4plusIvEENS9_8equal_toIvEEsEE10hipError_tPvRmT2_T3_T4_T5_mT6_T7_P12ihipStream_tbENKUlT_T0_E_clISt17integral_constantIbLb0EES13_IbLb1EEEEDaSZ_S10_EUlSZ_E_NS1_11comp_targetILNS1_3genE8ELNS1_11target_archE1030ELNS1_3gpuE2ELNS1_3repE0EEENS1_30default_config_static_selectorELNS0_4arch9wavefront6targetE0EEEvT1_.has_dyn_sized_stack, 0
	.set _ZN7rocprim17ROCPRIM_400000_NS6detail17trampoline_kernelINS0_14default_configENS1_27scan_by_key_config_selectorIssEEZZNS1_16scan_by_key_implILNS1_25lookback_scan_determinismE0ELb0ES3_N6thrust23THRUST_200600_302600_NS6detail15normal_iteratorINS9_10device_ptrIsEEEENS9_18transform_iteratorINS9_6negateIsEESE_NS9_11use_defaultESI_EESE_sNS9_4plusIvEENS9_8equal_toIvEEsEE10hipError_tPvRmT2_T3_T4_T5_mT6_T7_P12ihipStream_tbENKUlT_T0_E_clISt17integral_constantIbLb0EES13_IbLb1EEEEDaSZ_S10_EUlSZ_E_NS1_11comp_targetILNS1_3genE8ELNS1_11target_archE1030ELNS1_3gpuE2ELNS1_3repE0EEENS1_30default_config_static_selectorELNS0_4arch9wavefront6targetE0EEEvT1_.has_recursion, 0
	.set _ZN7rocprim17ROCPRIM_400000_NS6detail17trampoline_kernelINS0_14default_configENS1_27scan_by_key_config_selectorIssEEZZNS1_16scan_by_key_implILNS1_25lookback_scan_determinismE0ELb0ES3_N6thrust23THRUST_200600_302600_NS6detail15normal_iteratorINS9_10device_ptrIsEEEENS9_18transform_iteratorINS9_6negateIsEESE_NS9_11use_defaultESI_EESE_sNS9_4plusIvEENS9_8equal_toIvEEsEE10hipError_tPvRmT2_T3_T4_T5_mT6_T7_P12ihipStream_tbENKUlT_T0_E_clISt17integral_constantIbLb0EES13_IbLb1EEEEDaSZ_S10_EUlSZ_E_NS1_11comp_targetILNS1_3genE8ELNS1_11target_archE1030ELNS1_3gpuE2ELNS1_3repE0EEENS1_30default_config_static_selectorELNS0_4arch9wavefront6targetE0EEEvT1_.has_indirect_call, 0
	.section	.AMDGPU.csdata,"",@progbits
; Kernel info:
; codeLenInByte = 10564
; TotalNumSgprs: 43
; NumVgprs: 42
; ScratchSize: 0
; MemoryBound: 0
; FloatMode: 240
; IeeeMode: 1
; LDSByteSize: 1536 bytes/workgroup (compile time only)
; SGPRBlocks: 0
; VGPRBlocks: 5
; NumSGPRsForWavesPerEU: 43
; NumVGPRsForWavesPerEU: 42
; Occupancy: 16
; WaveLimiterHint : 1
; COMPUTE_PGM_RSRC2:SCRATCH_EN: 0
; COMPUTE_PGM_RSRC2:USER_SGPR: 6
; COMPUTE_PGM_RSRC2:TRAP_HANDLER: 0
; COMPUTE_PGM_RSRC2:TGID_X_EN: 1
; COMPUTE_PGM_RSRC2:TGID_Y_EN: 0
; COMPUTE_PGM_RSRC2:TGID_Z_EN: 0
; COMPUTE_PGM_RSRC2:TIDIG_COMP_CNT: 0
	.section	.text._ZN7rocprim17ROCPRIM_400000_NS6detail30init_device_scan_by_key_kernelINS1_19lookback_scan_stateINS0_5tupleIJibEEELb0ELb1EEEN6thrust23THRUST_200600_302600_NS6detail15normal_iteratorINS8_10device_ptrIxEEEEjNS1_16block_id_wrapperIjLb0EEEEEvT_jjPNSG_10value_typeET0_PNSt15iterator_traitsISJ_E10value_typeEmT1_T2_,"axG",@progbits,_ZN7rocprim17ROCPRIM_400000_NS6detail30init_device_scan_by_key_kernelINS1_19lookback_scan_stateINS0_5tupleIJibEEELb0ELb1EEEN6thrust23THRUST_200600_302600_NS6detail15normal_iteratorINS8_10device_ptrIxEEEEjNS1_16block_id_wrapperIjLb0EEEEEvT_jjPNSG_10value_typeET0_PNSt15iterator_traitsISJ_E10value_typeEmT1_T2_,comdat
	.protected	_ZN7rocprim17ROCPRIM_400000_NS6detail30init_device_scan_by_key_kernelINS1_19lookback_scan_stateINS0_5tupleIJibEEELb0ELb1EEEN6thrust23THRUST_200600_302600_NS6detail15normal_iteratorINS8_10device_ptrIxEEEEjNS1_16block_id_wrapperIjLb0EEEEEvT_jjPNSG_10value_typeET0_PNSt15iterator_traitsISJ_E10value_typeEmT1_T2_ ; -- Begin function _ZN7rocprim17ROCPRIM_400000_NS6detail30init_device_scan_by_key_kernelINS1_19lookback_scan_stateINS0_5tupleIJibEEELb0ELb1EEEN6thrust23THRUST_200600_302600_NS6detail15normal_iteratorINS8_10device_ptrIxEEEEjNS1_16block_id_wrapperIjLb0EEEEEvT_jjPNSG_10value_typeET0_PNSt15iterator_traitsISJ_E10value_typeEmT1_T2_
	.globl	_ZN7rocprim17ROCPRIM_400000_NS6detail30init_device_scan_by_key_kernelINS1_19lookback_scan_stateINS0_5tupleIJibEEELb0ELb1EEEN6thrust23THRUST_200600_302600_NS6detail15normal_iteratorINS8_10device_ptrIxEEEEjNS1_16block_id_wrapperIjLb0EEEEEvT_jjPNSG_10value_typeET0_PNSt15iterator_traitsISJ_E10value_typeEmT1_T2_
	.p2align	8
	.type	_ZN7rocprim17ROCPRIM_400000_NS6detail30init_device_scan_by_key_kernelINS1_19lookback_scan_stateINS0_5tupleIJibEEELb0ELb1EEEN6thrust23THRUST_200600_302600_NS6detail15normal_iteratorINS8_10device_ptrIxEEEEjNS1_16block_id_wrapperIjLb0EEEEEvT_jjPNSG_10value_typeET0_PNSt15iterator_traitsISJ_E10value_typeEmT1_T2_,@function
_ZN7rocprim17ROCPRIM_400000_NS6detail30init_device_scan_by_key_kernelINS1_19lookback_scan_stateINS0_5tupleIJibEEELb0ELb1EEEN6thrust23THRUST_200600_302600_NS6detail15normal_iteratorINS8_10device_ptrIxEEEEjNS1_16block_id_wrapperIjLb0EEEEEvT_jjPNSG_10value_typeET0_PNSt15iterator_traitsISJ_E10value_typeEmT1_T2_: ; @_ZN7rocprim17ROCPRIM_400000_NS6detail30init_device_scan_by_key_kernelINS1_19lookback_scan_stateINS0_5tupleIJibEEELb0ELb1EEEN6thrust23THRUST_200600_302600_NS6detail15normal_iteratorINS8_10device_ptrIxEEEEjNS1_16block_id_wrapperIjLb0EEEEEvT_jjPNSG_10value_typeET0_PNSt15iterator_traitsISJ_E10value_typeEmT1_T2_
; %bb.0:
	s_clause 0x2
	s_load_dword s0, s[4:5], 0x44
	s_load_dwordx8 s[8:15], s[4:5], 0x0
	s_load_dword s7, s[4:5], 0x38
	s_waitcnt lgkmcnt(0)
	s_and_b32 s16, s0, 0xffff
	s_cmp_eq_u64 s[12:13], 0
	v_mad_u64_u32 v[4:5], null, s6, s16, v[0:1]
	s_cbranch_scc1 .LBB1001_8
; %bb.1:
	s_cmp_lt_u32 s11, s10
	s_mov_b32 s1, 0
	s_cselect_b32 s0, s11, 0
	s_mov_b32 s2, exec_lo
	v_cmpx_eq_u32_e64 s0, v4
	s_cbranch_execz .LBB1001_7
; %bb.2:
	s_add_i32 s0, s11, 32
	v_mov_b32_e32 v6, 0
	s_lshl_b64 s[0:1], s[0:1], 4
	s_mov_b32 s3, exec_lo
	s_add_u32 s0, s8, s0
	s_addc_u32 s1, s9, s1
	v_mov_b32_e32 v0, s0
	v_mov_b32_e32 v1, s1
	;;#ASMSTART
	global_load_dwordx4 v[0:3], v[0:1] off glc dlc	
s_waitcnt vmcnt(0)
	;;#ASMEND
	v_and_b32_e32 v5, 0xff, v2
	v_cmpx_eq_u64_e32 0, v[5:6]
	s_cbranch_execz .LBB1001_6
; %bb.3:
	v_mov_b32_e32 v8, s1
	v_mov_b32_e32 v7, s0
	s_mov_b32 s0, 0
.LBB1001_4:                             ; =>This Inner Loop Header: Depth=1
	;;#ASMSTART
	global_load_dwordx4 v[0:3], v[7:8] off glc dlc	
s_waitcnt vmcnt(0)
	;;#ASMEND
	v_and_b32_e32 v5, 0xff, v2
	v_cmp_ne_u64_e32 vcc_lo, 0, v[5:6]
	s_or_b32 s0, vcc_lo, s0
	s_andn2_b32 exec_lo, exec_lo, s0
	s_cbranch_execnz .LBB1001_4
; %bb.5:
	s_or_b32 exec_lo, exec_lo, s0
.LBB1001_6:
	s_or_b32 exec_lo, exec_lo, s3
	v_mov_b32_e32 v2, 0
	global_store_dword v2, v0, s[12:13]
	global_store_byte v2, v1, s[12:13] offset:4
.LBB1001_7:
	s_or_b32 exec_lo, exec_lo, s2
.LBB1001_8:
	s_mov_b32 s0, exec_lo
	v_cmpx_gt_u32_e64 s10, v4
	s_cbranch_execz .LBB1001_10
; %bb.9:
	v_add_nc_u32_e32 v0, 32, v4
	v_mov_b32_e32 v1, 0
	v_lshlrev_b64 v[5:6], 4, v[0:1]
	v_mov_b32_e32 v0, v1
	v_mov_b32_e32 v2, v1
	;; [unrolled: 1-line block ×3, first 2 shown]
	v_add_co_u32 v5, vcc_lo, s8, v5
	v_add_co_ci_u32_e64 v6, null, s9, v6, vcc_lo
	global_store_dwordx4 v[5:6], v[0:3], off
.LBB1001_10:
	s_or_b32 exec_lo, exec_lo, s0
	v_mov_b32_e32 v5, 0
	s_mov_b32 s0, exec_lo
	v_cmpx_gt_u32_e32 32, v4
	s_cbranch_execz .LBB1001_12
; %bb.11:
	v_lshlrev_b64 v[6:7], 4, v[4:5]
	v_mov_b32_e32 v2, 0xff
	v_mov_b32_e32 v0, v5
	;; [unrolled: 1-line block ×4, first 2 shown]
	v_add_co_u32 v6, vcc_lo, s8, v6
	v_add_co_ci_u32_e64 v7, null, s9, v7, vcc_lo
	global_store_dwordx4 v[6:7], v[0:3], off
.LBB1001_12:
	s_or_b32 exec_lo, exec_lo, s0
	s_load_dwordx2 s[2:3], s[4:5], 0x28
	s_mov_b32 s0, exec_lo
	s_waitcnt lgkmcnt(0)
	v_cmpx_gt_u64_e64 s[2:3], v[4:5]
	s_cbranch_execz .LBB1001_15
; %bb.13:
	s_clause 0x1
	s_load_dword s6, s[4:5], 0x30
	s_load_dwordx2 s[8:9], s[4:5], 0x20
	s_mov_b32 s1, 0
	v_lshlrev_b64 v[2:3], 3, v[4:5]
	s_mul_i32 s4, s7, s16
	s_waitcnt lgkmcnt(0)
	v_mad_u64_u32 v[0:1], null, s6, v4, 0
	s_add_i32 s0, s6, -1
	s_mul_hi_u32 s7, s6, s4
	s_lshl_b64 s[10:11], s[0:1], 3
	s_mul_i32 s6, s6, s4
	s_add_u32 s0, s14, s10
	s_addc_u32 s5, s15, s11
	v_lshlrev_b64 v[0:1], 3, v[0:1]
	s_lshl_b64 s[6:7], s[6:7], 3
	v_add_co_u32 v0, vcc_lo, s0, v0
	v_add_co_ci_u32_e64 v1, null, s5, v1, vcc_lo
	v_add_co_u32 v2, vcc_lo, s8, v2
	v_add_co_ci_u32_e64 v3, null, s9, v3, vcc_lo
	s_mov_b32 s5, s1
	s_lshl_b64 s[8:9], s[4:5], 3
	.p2align	6
.LBB1001_14:                            ; =>This Inner Loop Header: Depth=1
	global_load_dwordx2 v[6:7], v[0:1], off
	v_add_co_u32 v4, vcc_lo, v4, s4
	v_add_co_ci_u32_e64 v5, null, 0, v5, vcc_lo
	v_add_co_u32 v0, vcc_lo, v0, s6
	v_add_co_ci_u32_e64 v1, null, s7, v1, vcc_lo
	v_cmp_le_u64_e32 vcc_lo, s[2:3], v[4:5]
	s_or_b32 s1, vcc_lo, s1
	s_waitcnt vmcnt(0)
	global_store_dwordx2 v[2:3], v[6:7], off
	v_add_co_u32 v2, s0, v2, s8
	v_add_co_ci_u32_e64 v3, null, s9, v3, s0
	s_andn2_b32 exec_lo, exec_lo, s1
	s_cbranch_execnz .LBB1001_14
.LBB1001_15:
	s_endpgm
	.section	.rodata,"a",@progbits
	.p2align	6, 0x0
	.amdhsa_kernel _ZN7rocprim17ROCPRIM_400000_NS6detail30init_device_scan_by_key_kernelINS1_19lookback_scan_stateINS0_5tupleIJibEEELb0ELb1EEEN6thrust23THRUST_200600_302600_NS6detail15normal_iteratorINS8_10device_ptrIxEEEEjNS1_16block_id_wrapperIjLb0EEEEEvT_jjPNSG_10value_typeET0_PNSt15iterator_traitsISJ_E10value_typeEmT1_T2_
		.amdhsa_group_segment_fixed_size 0
		.amdhsa_private_segment_fixed_size 0
		.amdhsa_kernarg_size 312
		.amdhsa_user_sgpr_count 6
		.amdhsa_user_sgpr_private_segment_buffer 1
		.amdhsa_user_sgpr_dispatch_ptr 0
		.amdhsa_user_sgpr_queue_ptr 0
		.amdhsa_user_sgpr_kernarg_segment_ptr 1
		.amdhsa_user_sgpr_dispatch_id 0
		.amdhsa_user_sgpr_flat_scratch_init 0
		.amdhsa_user_sgpr_private_segment_size 0
		.amdhsa_wavefront_size32 1
		.amdhsa_uses_dynamic_stack 0
		.amdhsa_system_sgpr_private_segment_wavefront_offset 0
		.amdhsa_system_sgpr_workgroup_id_x 1
		.amdhsa_system_sgpr_workgroup_id_y 0
		.amdhsa_system_sgpr_workgroup_id_z 0
		.amdhsa_system_sgpr_workgroup_info 0
		.amdhsa_system_vgpr_workitem_id 0
		.amdhsa_next_free_vgpr 9
		.amdhsa_next_free_sgpr 17
		.amdhsa_reserve_vcc 1
		.amdhsa_reserve_flat_scratch 0
		.amdhsa_float_round_mode_32 0
		.amdhsa_float_round_mode_16_64 0
		.amdhsa_float_denorm_mode_32 3
		.amdhsa_float_denorm_mode_16_64 3
		.amdhsa_dx10_clamp 1
		.amdhsa_ieee_mode 1
		.amdhsa_fp16_overflow 0
		.amdhsa_workgroup_processor_mode 1
		.amdhsa_memory_ordered 1
		.amdhsa_forward_progress 1
		.amdhsa_shared_vgpr_count 0
		.amdhsa_exception_fp_ieee_invalid_op 0
		.amdhsa_exception_fp_denorm_src 0
		.amdhsa_exception_fp_ieee_div_zero 0
		.amdhsa_exception_fp_ieee_overflow 0
		.amdhsa_exception_fp_ieee_underflow 0
		.amdhsa_exception_fp_ieee_inexact 0
		.amdhsa_exception_int_div_zero 0
	.end_amdhsa_kernel
	.section	.text._ZN7rocprim17ROCPRIM_400000_NS6detail30init_device_scan_by_key_kernelINS1_19lookback_scan_stateINS0_5tupleIJibEEELb0ELb1EEEN6thrust23THRUST_200600_302600_NS6detail15normal_iteratorINS8_10device_ptrIxEEEEjNS1_16block_id_wrapperIjLb0EEEEEvT_jjPNSG_10value_typeET0_PNSt15iterator_traitsISJ_E10value_typeEmT1_T2_,"axG",@progbits,_ZN7rocprim17ROCPRIM_400000_NS6detail30init_device_scan_by_key_kernelINS1_19lookback_scan_stateINS0_5tupleIJibEEELb0ELb1EEEN6thrust23THRUST_200600_302600_NS6detail15normal_iteratorINS8_10device_ptrIxEEEEjNS1_16block_id_wrapperIjLb0EEEEEvT_jjPNSG_10value_typeET0_PNSt15iterator_traitsISJ_E10value_typeEmT1_T2_,comdat
.Lfunc_end1001:
	.size	_ZN7rocprim17ROCPRIM_400000_NS6detail30init_device_scan_by_key_kernelINS1_19lookback_scan_stateINS0_5tupleIJibEEELb0ELb1EEEN6thrust23THRUST_200600_302600_NS6detail15normal_iteratorINS8_10device_ptrIxEEEEjNS1_16block_id_wrapperIjLb0EEEEEvT_jjPNSG_10value_typeET0_PNSt15iterator_traitsISJ_E10value_typeEmT1_T2_, .Lfunc_end1001-_ZN7rocprim17ROCPRIM_400000_NS6detail30init_device_scan_by_key_kernelINS1_19lookback_scan_stateINS0_5tupleIJibEEELb0ELb1EEEN6thrust23THRUST_200600_302600_NS6detail15normal_iteratorINS8_10device_ptrIxEEEEjNS1_16block_id_wrapperIjLb0EEEEEvT_jjPNSG_10value_typeET0_PNSt15iterator_traitsISJ_E10value_typeEmT1_T2_
                                        ; -- End function
	.set _ZN7rocprim17ROCPRIM_400000_NS6detail30init_device_scan_by_key_kernelINS1_19lookback_scan_stateINS0_5tupleIJibEEELb0ELb1EEEN6thrust23THRUST_200600_302600_NS6detail15normal_iteratorINS8_10device_ptrIxEEEEjNS1_16block_id_wrapperIjLb0EEEEEvT_jjPNSG_10value_typeET0_PNSt15iterator_traitsISJ_E10value_typeEmT1_T2_.num_vgpr, 9
	.set _ZN7rocprim17ROCPRIM_400000_NS6detail30init_device_scan_by_key_kernelINS1_19lookback_scan_stateINS0_5tupleIJibEEELb0ELb1EEEN6thrust23THRUST_200600_302600_NS6detail15normal_iteratorINS8_10device_ptrIxEEEEjNS1_16block_id_wrapperIjLb0EEEEEvT_jjPNSG_10value_typeET0_PNSt15iterator_traitsISJ_E10value_typeEmT1_T2_.num_agpr, 0
	.set _ZN7rocprim17ROCPRIM_400000_NS6detail30init_device_scan_by_key_kernelINS1_19lookback_scan_stateINS0_5tupleIJibEEELb0ELb1EEEN6thrust23THRUST_200600_302600_NS6detail15normal_iteratorINS8_10device_ptrIxEEEEjNS1_16block_id_wrapperIjLb0EEEEEvT_jjPNSG_10value_typeET0_PNSt15iterator_traitsISJ_E10value_typeEmT1_T2_.numbered_sgpr, 17
	.set _ZN7rocprim17ROCPRIM_400000_NS6detail30init_device_scan_by_key_kernelINS1_19lookback_scan_stateINS0_5tupleIJibEEELb0ELb1EEEN6thrust23THRUST_200600_302600_NS6detail15normal_iteratorINS8_10device_ptrIxEEEEjNS1_16block_id_wrapperIjLb0EEEEEvT_jjPNSG_10value_typeET0_PNSt15iterator_traitsISJ_E10value_typeEmT1_T2_.num_named_barrier, 0
	.set _ZN7rocprim17ROCPRIM_400000_NS6detail30init_device_scan_by_key_kernelINS1_19lookback_scan_stateINS0_5tupleIJibEEELb0ELb1EEEN6thrust23THRUST_200600_302600_NS6detail15normal_iteratorINS8_10device_ptrIxEEEEjNS1_16block_id_wrapperIjLb0EEEEEvT_jjPNSG_10value_typeET0_PNSt15iterator_traitsISJ_E10value_typeEmT1_T2_.private_seg_size, 0
	.set _ZN7rocprim17ROCPRIM_400000_NS6detail30init_device_scan_by_key_kernelINS1_19lookback_scan_stateINS0_5tupleIJibEEELb0ELb1EEEN6thrust23THRUST_200600_302600_NS6detail15normal_iteratorINS8_10device_ptrIxEEEEjNS1_16block_id_wrapperIjLb0EEEEEvT_jjPNSG_10value_typeET0_PNSt15iterator_traitsISJ_E10value_typeEmT1_T2_.uses_vcc, 1
	.set _ZN7rocprim17ROCPRIM_400000_NS6detail30init_device_scan_by_key_kernelINS1_19lookback_scan_stateINS0_5tupleIJibEEELb0ELb1EEEN6thrust23THRUST_200600_302600_NS6detail15normal_iteratorINS8_10device_ptrIxEEEEjNS1_16block_id_wrapperIjLb0EEEEEvT_jjPNSG_10value_typeET0_PNSt15iterator_traitsISJ_E10value_typeEmT1_T2_.uses_flat_scratch, 0
	.set _ZN7rocprim17ROCPRIM_400000_NS6detail30init_device_scan_by_key_kernelINS1_19lookback_scan_stateINS0_5tupleIJibEEELb0ELb1EEEN6thrust23THRUST_200600_302600_NS6detail15normal_iteratorINS8_10device_ptrIxEEEEjNS1_16block_id_wrapperIjLb0EEEEEvT_jjPNSG_10value_typeET0_PNSt15iterator_traitsISJ_E10value_typeEmT1_T2_.has_dyn_sized_stack, 0
	.set _ZN7rocprim17ROCPRIM_400000_NS6detail30init_device_scan_by_key_kernelINS1_19lookback_scan_stateINS0_5tupleIJibEEELb0ELb1EEEN6thrust23THRUST_200600_302600_NS6detail15normal_iteratorINS8_10device_ptrIxEEEEjNS1_16block_id_wrapperIjLb0EEEEEvT_jjPNSG_10value_typeET0_PNSt15iterator_traitsISJ_E10value_typeEmT1_T2_.has_recursion, 0
	.set _ZN7rocprim17ROCPRIM_400000_NS6detail30init_device_scan_by_key_kernelINS1_19lookback_scan_stateINS0_5tupleIJibEEELb0ELb1EEEN6thrust23THRUST_200600_302600_NS6detail15normal_iteratorINS8_10device_ptrIxEEEEjNS1_16block_id_wrapperIjLb0EEEEEvT_jjPNSG_10value_typeET0_PNSt15iterator_traitsISJ_E10value_typeEmT1_T2_.has_indirect_call, 0
	.section	.AMDGPU.csdata,"",@progbits
; Kernel info:
; codeLenInByte = 664
; TotalNumSgprs: 19
; NumVgprs: 9
; ScratchSize: 0
; MemoryBound: 0
; FloatMode: 240
; IeeeMode: 1
; LDSByteSize: 0 bytes/workgroup (compile time only)
; SGPRBlocks: 0
; VGPRBlocks: 1
; NumSGPRsForWavesPerEU: 19
; NumVGPRsForWavesPerEU: 9
; Occupancy: 16
; WaveLimiterHint : 0
; COMPUTE_PGM_RSRC2:SCRATCH_EN: 0
; COMPUTE_PGM_RSRC2:USER_SGPR: 6
; COMPUTE_PGM_RSRC2:TRAP_HANDLER: 0
; COMPUTE_PGM_RSRC2:TGID_X_EN: 1
; COMPUTE_PGM_RSRC2:TGID_Y_EN: 0
; COMPUTE_PGM_RSRC2:TGID_Z_EN: 0
; COMPUTE_PGM_RSRC2:TIDIG_COMP_CNT: 0
	.section	.text._ZN7rocprim17ROCPRIM_400000_NS6detail17trampoline_kernelINS0_14default_configENS1_27scan_by_key_config_selectorIxiEEZZNS1_16scan_by_key_implILNS1_25lookback_scan_determinismE0ELb1ES3_N6thrust23THRUST_200600_302600_NS6detail15normal_iteratorINS9_10device_ptrIxEEEESE_SE_iNS9_4plusIvEENS9_8equal_toIvEEiEE10hipError_tPvRmT2_T3_T4_T5_mT6_T7_P12ihipStream_tbENKUlT_T0_E_clISt17integral_constantIbLb0EESZ_EEDaSU_SV_EUlSU_E_NS1_11comp_targetILNS1_3genE0ELNS1_11target_archE4294967295ELNS1_3gpuE0ELNS1_3repE0EEENS1_30default_config_static_selectorELNS0_4arch9wavefront6targetE0EEEvT1_,"axG",@progbits,_ZN7rocprim17ROCPRIM_400000_NS6detail17trampoline_kernelINS0_14default_configENS1_27scan_by_key_config_selectorIxiEEZZNS1_16scan_by_key_implILNS1_25lookback_scan_determinismE0ELb1ES3_N6thrust23THRUST_200600_302600_NS6detail15normal_iteratorINS9_10device_ptrIxEEEESE_SE_iNS9_4plusIvEENS9_8equal_toIvEEiEE10hipError_tPvRmT2_T3_T4_T5_mT6_T7_P12ihipStream_tbENKUlT_T0_E_clISt17integral_constantIbLb0EESZ_EEDaSU_SV_EUlSU_E_NS1_11comp_targetILNS1_3genE0ELNS1_11target_archE4294967295ELNS1_3gpuE0ELNS1_3repE0EEENS1_30default_config_static_selectorELNS0_4arch9wavefront6targetE0EEEvT1_,comdat
	.protected	_ZN7rocprim17ROCPRIM_400000_NS6detail17trampoline_kernelINS0_14default_configENS1_27scan_by_key_config_selectorIxiEEZZNS1_16scan_by_key_implILNS1_25lookback_scan_determinismE0ELb1ES3_N6thrust23THRUST_200600_302600_NS6detail15normal_iteratorINS9_10device_ptrIxEEEESE_SE_iNS9_4plusIvEENS9_8equal_toIvEEiEE10hipError_tPvRmT2_T3_T4_T5_mT6_T7_P12ihipStream_tbENKUlT_T0_E_clISt17integral_constantIbLb0EESZ_EEDaSU_SV_EUlSU_E_NS1_11comp_targetILNS1_3genE0ELNS1_11target_archE4294967295ELNS1_3gpuE0ELNS1_3repE0EEENS1_30default_config_static_selectorELNS0_4arch9wavefront6targetE0EEEvT1_ ; -- Begin function _ZN7rocprim17ROCPRIM_400000_NS6detail17trampoline_kernelINS0_14default_configENS1_27scan_by_key_config_selectorIxiEEZZNS1_16scan_by_key_implILNS1_25lookback_scan_determinismE0ELb1ES3_N6thrust23THRUST_200600_302600_NS6detail15normal_iteratorINS9_10device_ptrIxEEEESE_SE_iNS9_4plusIvEENS9_8equal_toIvEEiEE10hipError_tPvRmT2_T3_T4_T5_mT6_T7_P12ihipStream_tbENKUlT_T0_E_clISt17integral_constantIbLb0EESZ_EEDaSU_SV_EUlSU_E_NS1_11comp_targetILNS1_3genE0ELNS1_11target_archE4294967295ELNS1_3gpuE0ELNS1_3repE0EEENS1_30default_config_static_selectorELNS0_4arch9wavefront6targetE0EEEvT1_
	.globl	_ZN7rocprim17ROCPRIM_400000_NS6detail17trampoline_kernelINS0_14default_configENS1_27scan_by_key_config_selectorIxiEEZZNS1_16scan_by_key_implILNS1_25lookback_scan_determinismE0ELb1ES3_N6thrust23THRUST_200600_302600_NS6detail15normal_iteratorINS9_10device_ptrIxEEEESE_SE_iNS9_4plusIvEENS9_8equal_toIvEEiEE10hipError_tPvRmT2_T3_T4_T5_mT6_T7_P12ihipStream_tbENKUlT_T0_E_clISt17integral_constantIbLb0EESZ_EEDaSU_SV_EUlSU_E_NS1_11comp_targetILNS1_3genE0ELNS1_11target_archE4294967295ELNS1_3gpuE0ELNS1_3repE0EEENS1_30default_config_static_selectorELNS0_4arch9wavefront6targetE0EEEvT1_
	.p2align	8
	.type	_ZN7rocprim17ROCPRIM_400000_NS6detail17trampoline_kernelINS0_14default_configENS1_27scan_by_key_config_selectorIxiEEZZNS1_16scan_by_key_implILNS1_25lookback_scan_determinismE0ELb1ES3_N6thrust23THRUST_200600_302600_NS6detail15normal_iteratorINS9_10device_ptrIxEEEESE_SE_iNS9_4plusIvEENS9_8equal_toIvEEiEE10hipError_tPvRmT2_T3_T4_T5_mT6_T7_P12ihipStream_tbENKUlT_T0_E_clISt17integral_constantIbLb0EESZ_EEDaSU_SV_EUlSU_E_NS1_11comp_targetILNS1_3genE0ELNS1_11target_archE4294967295ELNS1_3gpuE0ELNS1_3repE0EEENS1_30default_config_static_selectorELNS0_4arch9wavefront6targetE0EEEvT1_,@function
_ZN7rocprim17ROCPRIM_400000_NS6detail17trampoline_kernelINS0_14default_configENS1_27scan_by_key_config_selectorIxiEEZZNS1_16scan_by_key_implILNS1_25lookback_scan_determinismE0ELb1ES3_N6thrust23THRUST_200600_302600_NS6detail15normal_iteratorINS9_10device_ptrIxEEEESE_SE_iNS9_4plusIvEENS9_8equal_toIvEEiEE10hipError_tPvRmT2_T3_T4_T5_mT6_T7_P12ihipStream_tbENKUlT_T0_E_clISt17integral_constantIbLb0EESZ_EEDaSU_SV_EUlSU_E_NS1_11comp_targetILNS1_3genE0ELNS1_11target_archE4294967295ELNS1_3gpuE0ELNS1_3repE0EEENS1_30default_config_static_selectorELNS0_4arch9wavefront6targetE0EEEvT1_: ; @_ZN7rocprim17ROCPRIM_400000_NS6detail17trampoline_kernelINS0_14default_configENS1_27scan_by_key_config_selectorIxiEEZZNS1_16scan_by_key_implILNS1_25lookback_scan_determinismE0ELb1ES3_N6thrust23THRUST_200600_302600_NS6detail15normal_iteratorINS9_10device_ptrIxEEEESE_SE_iNS9_4plusIvEENS9_8equal_toIvEEiEE10hipError_tPvRmT2_T3_T4_T5_mT6_T7_P12ihipStream_tbENKUlT_T0_E_clISt17integral_constantIbLb0EESZ_EEDaSU_SV_EUlSU_E_NS1_11comp_targetILNS1_3genE0ELNS1_11target_archE4294967295ELNS1_3gpuE0ELNS1_3repE0EEENS1_30default_config_static_selectorELNS0_4arch9wavefront6targetE0EEEvT1_
; %bb.0:
	.section	.rodata,"a",@progbits
	.p2align	6, 0x0
	.amdhsa_kernel _ZN7rocprim17ROCPRIM_400000_NS6detail17trampoline_kernelINS0_14default_configENS1_27scan_by_key_config_selectorIxiEEZZNS1_16scan_by_key_implILNS1_25lookback_scan_determinismE0ELb1ES3_N6thrust23THRUST_200600_302600_NS6detail15normal_iteratorINS9_10device_ptrIxEEEESE_SE_iNS9_4plusIvEENS9_8equal_toIvEEiEE10hipError_tPvRmT2_T3_T4_T5_mT6_T7_P12ihipStream_tbENKUlT_T0_E_clISt17integral_constantIbLb0EESZ_EEDaSU_SV_EUlSU_E_NS1_11comp_targetILNS1_3genE0ELNS1_11target_archE4294967295ELNS1_3gpuE0ELNS1_3repE0EEENS1_30default_config_static_selectorELNS0_4arch9wavefront6targetE0EEEvT1_
		.amdhsa_group_segment_fixed_size 0
		.amdhsa_private_segment_fixed_size 0
		.amdhsa_kernarg_size 112
		.amdhsa_user_sgpr_count 6
		.amdhsa_user_sgpr_private_segment_buffer 1
		.amdhsa_user_sgpr_dispatch_ptr 0
		.amdhsa_user_sgpr_queue_ptr 0
		.amdhsa_user_sgpr_kernarg_segment_ptr 1
		.amdhsa_user_sgpr_dispatch_id 0
		.amdhsa_user_sgpr_flat_scratch_init 0
		.amdhsa_user_sgpr_private_segment_size 0
		.amdhsa_wavefront_size32 1
		.amdhsa_uses_dynamic_stack 0
		.amdhsa_system_sgpr_private_segment_wavefront_offset 0
		.amdhsa_system_sgpr_workgroup_id_x 1
		.amdhsa_system_sgpr_workgroup_id_y 0
		.amdhsa_system_sgpr_workgroup_id_z 0
		.amdhsa_system_sgpr_workgroup_info 0
		.amdhsa_system_vgpr_workitem_id 0
		.amdhsa_next_free_vgpr 1
		.amdhsa_next_free_sgpr 1
		.amdhsa_reserve_vcc 0
		.amdhsa_reserve_flat_scratch 0
		.amdhsa_float_round_mode_32 0
		.amdhsa_float_round_mode_16_64 0
		.amdhsa_float_denorm_mode_32 3
		.amdhsa_float_denorm_mode_16_64 3
		.amdhsa_dx10_clamp 1
		.amdhsa_ieee_mode 1
		.amdhsa_fp16_overflow 0
		.amdhsa_workgroup_processor_mode 1
		.amdhsa_memory_ordered 1
		.amdhsa_forward_progress 1
		.amdhsa_shared_vgpr_count 0
		.amdhsa_exception_fp_ieee_invalid_op 0
		.amdhsa_exception_fp_denorm_src 0
		.amdhsa_exception_fp_ieee_div_zero 0
		.amdhsa_exception_fp_ieee_overflow 0
		.amdhsa_exception_fp_ieee_underflow 0
		.amdhsa_exception_fp_ieee_inexact 0
		.amdhsa_exception_int_div_zero 0
	.end_amdhsa_kernel
	.section	.text._ZN7rocprim17ROCPRIM_400000_NS6detail17trampoline_kernelINS0_14default_configENS1_27scan_by_key_config_selectorIxiEEZZNS1_16scan_by_key_implILNS1_25lookback_scan_determinismE0ELb1ES3_N6thrust23THRUST_200600_302600_NS6detail15normal_iteratorINS9_10device_ptrIxEEEESE_SE_iNS9_4plusIvEENS9_8equal_toIvEEiEE10hipError_tPvRmT2_T3_T4_T5_mT6_T7_P12ihipStream_tbENKUlT_T0_E_clISt17integral_constantIbLb0EESZ_EEDaSU_SV_EUlSU_E_NS1_11comp_targetILNS1_3genE0ELNS1_11target_archE4294967295ELNS1_3gpuE0ELNS1_3repE0EEENS1_30default_config_static_selectorELNS0_4arch9wavefront6targetE0EEEvT1_,"axG",@progbits,_ZN7rocprim17ROCPRIM_400000_NS6detail17trampoline_kernelINS0_14default_configENS1_27scan_by_key_config_selectorIxiEEZZNS1_16scan_by_key_implILNS1_25lookback_scan_determinismE0ELb1ES3_N6thrust23THRUST_200600_302600_NS6detail15normal_iteratorINS9_10device_ptrIxEEEESE_SE_iNS9_4plusIvEENS9_8equal_toIvEEiEE10hipError_tPvRmT2_T3_T4_T5_mT6_T7_P12ihipStream_tbENKUlT_T0_E_clISt17integral_constantIbLb0EESZ_EEDaSU_SV_EUlSU_E_NS1_11comp_targetILNS1_3genE0ELNS1_11target_archE4294967295ELNS1_3gpuE0ELNS1_3repE0EEENS1_30default_config_static_selectorELNS0_4arch9wavefront6targetE0EEEvT1_,comdat
.Lfunc_end1002:
	.size	_ZN7rocprim17ROCPRIM_400000_NS6detail17trampoline_kernelINS0_14default_configENS1_27scan_by_key_config_selectorIxiEEZZNS1_16scan_by_key_implILNS1_25lookback_scan_determinismE0ELb1ES3_N6thrust23THRUST_200600_302600_NS6detail15normal_iteratorINS9_10device_ptrIxEEEESE_SE_iNS9_4plusIvEENS9_8equal_toIvEEiEE10hipError_tPvRmT2_T3_T4_T5_mT6_T7_P12ihipStream_tbENKUlT_T0_E_clISt17integral_constantIbLb0EESZ_EEDaSU_SV_EUlSU_E_NS1_11comp_targetILNS1_3genE0ELNS1_11target_archE4294967295ELNS1_3gpuE0ELNS1_3repE0EEENS1_30default_config_static_selectorELNS0_4arch9wavefront6targetE0EEEvT1_, .Lfunc_end1002-_ZN7rocprim17ROCPRIM_400000_NS6detail17trampoline_kernelINS0_14default_configENS1_27scan_by_key_config_selectorIxiEEZZNS1_16scan_by_key_implILNS1_25lookback_scan_determinismE0ELb1ES3_N6thrust23THRUST_200600_302600_NS6detail15normal_iteratorINS9_10device_ptrIxEEEESE_SE_iNS9_4plusIvEENS9_8equal_toIvEEiEE10hipError_tPvRmT2_T3_T4_T5_mT6_T7_P12ihipStream_tbENKUlT_T0_E_clISt17integral_constantIbLb0EESZ_EEDaSU_SV_EUlSU_E_NS1_11comp_targetILNS1_3genE0ELNS1_11target_archE4294967295ELNS1_3gpuE0ELNS1_3repE0EEENS1_30default_config_static_selectorELNS0_4arch9wavefront6targetE0EEEvT1_
                                        ; -- End function
	.set _ZN7rocprim17ROCPRIM_400000_NS6detail17trampoline_kernelINS0_14default_configENS1_27scan_by_key_config_selectorIxiEEZZNS1_16scan_by_key_implILNS1_25lookback_scan_determinismE0ELb1ES3_N6thrust23THRUST_200600_302600_NS6detail15normal_iteratorINS9_10device_ptrIxEEEESE_SE_iNS9_4plusIvEENS9_8equal_toIvEEiEE10hipError_tPvRmT2_T3_T4_T5_mT6_T7_P12ihipStream_tbENKUlT_T0_E_clISt17integral_constantIbLb0EESZ_EEDaSU_SV_EUlSU_E_NS1_11comp_targetILNS1_3genE0ELNS1_11target_archE4294967295ELNS1_3gpuE0ELNS1_3repE0EEENS1_30default_config_static_selectorELNS0_4arch9wavefront6targetE0EEEvT1_.num_vgpr, 0
	.set _ZN7rocprim17ROCPRIM_400000_NS6detail17trampoline_kernelINS0_14default_configENS1_27scan_by_key_config_selectorIxiEEZZNS1_16scan_by_key_implILNS1_25lookback_scan_determinismE0ELb1ES3_N6thrust23THRUST_200600_302600_NS6detail15normal_iteratorINS9_10device_ptrIxEEEESE_SE_iNS9_4plusIvEENS9_8equal_toIvEEiEE10hipError_tPvRmT2_T3_T4_T5_mT6_T7_P12ihipStream_tbENKUlT_T0_E_clISt17integral_constantIbLb0EESZ_EEDaSU_SV_EUlSU_E_NS1_11comp_targetILNS1_3genE0ELNS1_11target_archE4294967295ELNS1_3gpuE0ELNS1_3repE0EEENS1_30default_config_static_selectorELNS0_4arch9wavefront6targetE0EEEvT1_.num_agpr, 0
	.set _ZN7rocprim17ROCPRIM_400000_NS6detail17trampoline_kernelINS0_14default_configENS1_27scan_by_key_config_selectorIxiEEZZNS1_16scan_by_key_implILNS1_25lookback_scan_determinismE0ELb1ES3_N6thrust23THRUST_200600_302600_NS6detail15normal_iteratorINS9_10device_ptrIxEEEESE_SE_iNS9_4plusIvEENS9_8equal_toIvEEiEE10hipError_tPvRmT2_T3_T4_T5_mT6_T7_P12ihipStream_tbENKUlT_T0_E_clISt17integral_constantIbLb0EESZ_EEDaSU_SV_EUlSU_E_NS1_11comp_targetILNS1_3genE0ELNS1_11target_archE4294967295ELNS1_3gpuE0ELNS1_3repE0EEENS1_30default_config_static_selectorELNS0_4arch9wavefront6targetE0EEEvT1_.numbered_sgpr, 0
	.set _ZN7rocprim17ROCPRIM_400000_NS6detail17trampoline_kernelINS0_14default_configENS1_27scan_by_key_config_selectorIxiEEZZNS1_16scan_by_key_implILNS1_25lookback_scan_determinismE0ELb1ES3_N6thrust23THRUST_200600_302600_NS6detail15normal_iteratorINS9_10device_ptrIxEEEESE_SE_iNS9_4plusIvEENS9_8equal_toIvEEiEE10hipError_tPvRmT2_T3_T4_T5_mT6_T7_P12ihipStream_tbENKUlT_T0_E_clISt17integral_constantIbLb0EESZ_EEDaSU_SV_EUlSU_E_NS1_11comp_targetILNS1_3genE0ELNS1_11target_archE4294967295ELNS1_3gpuE0ELNS1_3repE0EEENS1_30default_config_static_selectorELNS0_4arch9wavefront6targetE0EEEvT1_.num_named_barrier, 0
	.set _ZN7rocprim17ROCPRIM_400000_NS6detail17trampoline_kernelINS0_14default_configENS1_27scan_by_key_config_selectorIxiEEZZNS1_16scan_by_key_implILNS1_25lookback_scan_determinismE0ELb1ES3_N6thrust23THRUST_200600_302600_NS6detail15normal_iteratorINS9_10device_ptrIxEEEESE_SE_iNS9_4plusIvEENS9_8equal_toIvEEiEE10hipError_tPvRmT2_T3_T4_T5_mT6_T7_P12ihipStream_tbENKUlT_T0_E_clISt17integral_constantIbLb0EESZ_EEDaSU_SV_EUlSU_E_NS1_11comp_targetILNS1_3genE0ELNS1_11target_archE4294967295ELNS1_3gpuE0ELNS1_3repE0EEENS1_30default_config_static_selectorELNS0_4arch9wavefront6targetE0EEEvT1_.private_seg_size, 0
	.set _ZN7rocprim17ROCPRIM_400000_NS6detail17trampoline_kernelINS0_14default_configENS1_27scan_by_key_config_selectorIxiEEZZNS1_16scan_by_key_implILNS1_25lookback_scan_determinismE0ELb1ES3_N6thrust23THRUST_200600_302600_NS6detail15normal_iteratorINS9_10device_ptrIxEEEESE_SE_iNS9_4plusIvEENS9_8equal_toIvEEiEE10hipError_tPvRmT2_T3_T4_T5_mT6_T7_P12ihipStream_tbENKUlT_T0_E_clISt17integral_constantIbLb0EESZ_EEDaSU_SV_EUlSU_E_NS1_11comp_targetILNS1_3genE0ELNS1_11target_archE4294967295ELNS1_3gpuE0ELNS1_3repE0EEENS1_30default_config_static_selectorELNS0_4arch9wavefront6targetE0EEEvT1_.uses_vcc, 0
	.set _ZN7rocprim17ROCPRIM_400000_NS6detail17trampoline_kernelINS0_14default_configENS1_27scan_by_key_config_selectorIxiEEZZNS1_16scan_by_key_implILNS1_25lookback_scan_determinismE0ELb1ES3_N6thrust23THRUST_200600_302600_NS6detail15normal_iteratorINS9_10device_ptrIxEEEESE_SE_iNS9_4plusIvEENS9_8equal_toIvEEiEE10hipError_tPvRmT2_T3_T4_T5_mT6_T7_P12ihipStream_tbENKUlT_T0_E_clISt17integral_constantIbLb0EESZ_EEDaSU_SV_EUlSU_E_NS1_11comp_targetILNS1_3genE0ELNS1_11target_archE4294967295ELNS1_3gpuE0ELNS1_3repE0EEENS1_30default_config_static_selectorELNS0_4arch9wavefront6targetE0EEEvT1_.uses_flat_scratch, 0
	.set _ZN7rocprim17ROCPRIM_400000_NS6detail17trampoline_kernelINS0_14default_configENS1_27scan_by_key_config_selectorIxiEEZZNS1_16scan_by_key_implILNS1_25lookback_scan_determinismE0ELb1ES3_N6thrust23THRUST_200600_302600_NS6detail15normal_iteratorINS9_10device_ptrIxEEEESE_SE_iNS9_4plusIvEENS9_8equal_toIvEEiEE10hipError_tPvRmT2_T3_T4_T5_mT6_T7_P12ihipStream_tbENKUlT_T0_E_clISt17integral_constantIbLb0EESZ_EEDaSU_SV_EUlSU_E_NS1_11comp_targetILNS1_3genE0ELNS1_11target_archE4294967295ELNS1_3gpuE0ELNS1_3repE0EEENS1_30default_config_static_selectorELNS0_4arch9wavefront6targetE0EEEvT1_.has_dyn_sized_stack, 0
	.set _ZN7rocprim17ROCPRIM_400000_NS6detail17trampoline_kernelINS0_14default_configENS1_27scan_by_key_config_selectorIxiEEZZNS1_16scan_by_key_implILNS1_25lookback_scan_determinismE0ELb1ES3_N6thrust23THRUST_200600_302600_NS6detail15normal_iteratorINS9_10device_ptrIxEEEESE_SE_iNS9_4plusIvEENS9_8equal_toIvEEiEE10hipError_tPvRmT2_T3_T4_T5_mT6_T7_P12ihipStream_tbENKUlT_T0_E_clISt17integral_constantIbLb0EESZ_EEDaSU_SV_EUlSU_E_NS1_11comp_targetILNS1_3genE0ELNS1_11target_archE4294967295ELNS1_3gpuE0ELNS1_3repE0EEENS1_30default_config_static_selectorELNS0_4arch9wavefront6targetE0EEEvT1_.has_recursion, 0
	.set _ZN7rocprim17ROCPRIM_400000_NS6detail17trampoline_kernelINS0_14default_configENS1_27scan_by_key_config_selectorIxiEEZZNS1_16scan_by_key_implILNS1_25lookback_scan_determinismE0ELb1ES3_N6thrust23THRUST_200600_302600_NS6detail15normal_iteratorINS9_10device_ptrIxEEEESE_SE_iNS9_4plusIvEENS9_8equal_toIvEEiEE10hipError_tPvRmT2_T3_T4_T5_mT6_T7_P12ihipStream_tbENKUlT_T0_E_clISt17integral_constantIbLb0EESZ_EEDaSU_SV_EUlSU_E_NS1_11comp_targetILNS1_3genE0ELNS1_11target_archE4294967295ELNS1_3gpuE0ELNS1_3repE0EEENS1_30default_config_static_selectorELNS0_4arch9wavefront6targetE0EEEvT1_.has_indirect_call, 0
	.section	.AMDGPU.csdata,"",@progbits
; Kernel info:
; codeLenInByte = 0
; TotalNumSgprs: 0
; NumVgprs: 0
; ScratchSize: 0
; MemoryBound: 0
; FloatMode: 240
; IeeeMode: 1
; LDSByteSize: 0 bytes/workgroup (compile time only)
; SGPRBlocks: 0
; VGPRBlocks: 0
; NumSGPRsForWavesPerEU: 1
; NumVGPRsForWavesPerEU: 1
; Occupancy: 16
; WaveLimiterHint : 0
; COMPUTE_PGM_RSRC2:SCRATCH_EN: 0
; COMPUTE_PGM_RSRC2:USER_SGPR: 6
; COMPUTE_PGM_RSRC2:TRAP_HANDLER: 0
; COMPUTE_PGM_RSRC2:TGID_X_EN: 1
; COMPUTE_PGM_RSRC2:TGID_Y_EN: 0
; COMPUTE_PGM_RSRC2:TGID_Z_EN: 0
; COMPUTE_PGM_RSRC2:TIDIG_COMP_CNT: 0
	.section	.text._ZN7rocprim17ROCPRIM_400000_NS6detail17trampoline_kernelINS0_14default_configENS1_27scan_by_key_config_selectorIxiEEZZNS1_16scan_by_key_implILNS1_25lookback_scan_determinismE0ELb1ES3_N6thrust23THRUST_200600_302600_NS6detail15normal_iteratorINS9_10device_ptrIxEEEESE_SE_iNS9_4plusIvEENS9_8equal_toIvEEiEE10hipError_tPvRmT2_T3_T4_T5_mT6_T7_P12ihipStream_tbENKUlT_T0_E_clISt17integral_constantIbLb0EESZ_EEDaSU_SV_EUlSU_E_NS1_11comp_targetILNS1_3genE10ELNS1_11target_archE1201ELNS1_3gpuE5ELNS1_3repE0EEENS1_30default_config_static_selectorELNS0_4arch9wavefront6targetE0EEEvT1_,"axG",@progbits,_ZN7rocprim17ROCPRIM_400000_NS6detail17trampoline_kernelINS0_14default_configENS1_27scan_by_key_config_selectorIxiEEZZNS1_16scan_by_key_implILNS1_25lookback_scan_determinismE0ELb1ES3_N6thrust23THRUST_200600_302600_NS6detail15normal_iteratorINS9_10device_ptrIxEEEESE_SE_iNS9_4plusIvEENS9_8equal_toIvEEiEE10hipError_tPvRmT2_T3_T4_T5_mT6_T7_P12ihipStream_tbENKUlT_T0_E_clISt17integral_constantIbLb0EESZ_EEDaSU_SV_EUlSU_E_NS1_11comp_targetILNS1_3genE10ELNS1_11target_archE1201ELNS1_3gpuE5ELNS1_3repE0EEENS1_30default_config_static_selectorELNS0_4arch9wavefront6targetE0EEEvT1_,comdat
	.protected	_ZN7rocprim17ROCPRIM_400000_NS6detail17trampoline_kernelINS0_14default_configENS1_27scan_by_key_config_selectorIxiEEZZNS1_16scan_by_key_implILNS1_25lookback_scan_determinismE0ELb1ES3_N6thrust23THRUST_200600_302600_NS6detail15normal_iteratorINS9_10device_ptrIxEEEESE_SE_iNS9_4plusIvEENS9_8equal_toIvEEiEE10hipError_tPvRmT2_T3_T4_T5_mT6_T7_P12ihipStream_tbENKUlT_T0_E_clISt17integral_constantIbLb0EESZ_EEDaSU_SV_EUlSU_E_NS1_11comp_targetILNS1_3genE10ELNS1_11target_archE1201ELNS1_3gpuE5ELNS1_3repE0EEENS1_30default_config_static_selectorELNS0_4arch9wavefront6targetE0EEEvT1_ ; -- Begin function _ZN7rocprim17ROCPRIM_400000_NS6detail17trampoline_kernelINS0_14default_configENS1_27scan_by_key_config_selectorIxiEEZZNS1_16scan_by_key_implILNS1_25lookback_scan_determinismE0ELb1ES3_N6thrust23THRUST_200600_302600_NS6detail15normal_iteratorINS9_10device_ptrIxEEEESE_SE_iNS9_4plusIvEENS9_8equal_toIvEEiEE10hipError_tPvRmT2_T3_T4_T5_mT6_T7_P12ihipStream_tbENKUlT_T0_E_clISt17integral_constantIbLb0EESZ_EEDaSU_SV_EUlSU_E_NS1_11comp_targetILNS1_3genE10ELNS1_11target_archE1201ELNS1_3gpuE5ELNS1_3repE0EEENS1_30default_config_static_selectorELNS0_4arch9wavefront6targetE0EEEvT1_
	.globl	_ZN7rocprim17ROCPRIM_400000_NS6detail17trampoline_kernelINS0_14default_configENS1_27scan_by_key_config_selectorIxiEEZZNS1_16scan_by_key_implILNS1_25lookback_scan_determinismE0ELb1ES3_N6thrust23THRUST_200600_302600_NS6detail15normal_iteratorINS9_10device_ptrIxEEEESE_SE_iNS9_4plusIvEENS9_8equal_toIvEEiEE10hipError_tPvRmT2_T3_T4_T5_mT6_T7_P12ihipStream_tbENKUlT_T0_E_clISt17integral_constantIbLb0EESZ_EEDaSU_SV_EUlSU_E_NS1_11comp_targetILNS1_3genE10ELNS1_11target_archE1201ELNS1_3gpuE5ELNS1_3repE0EEENS1_30default_config_static_selectorELNS0_4arch9wavefront6targetE0EEEvT1_
	.p2align	8
	.type	_ZN7rocprim17ROCPRIM_400000_NS6detail17trampoline_kernelINS0_14default_configENS1_27scan_by_key_config_selectorIxiEEZZNS1_16scan_by_key_implILNS1_25lookback_scan_determinismE0ELb1ES3_N6thrust23THRUST_200600_302600_NS6detail15normal_iteratorINS9_10device_ptrIxEEEESE_SE_iNS9_4plusIvEENS9_8equal_toIvEEiEE10hipError_tPvRmT2_T3_T4_T5_mT6_T7_P12ihipStream_tbENKUlT_T0_E_clISt17integral_constantIbLb0EESZ_EEDaSU_SV_EUlSU_E_NS1_11comp_targetILNS1_3genE10ELNS1_11target_archE1201ELNS1_3gpuE5ELNS1_3repE0EEENS1_30default_config_static_selectorELNS0_4arch9wavefront6targetE0EEEvT1_,@function
_ZN7rocprim17ROCPRIM_400000_NS6detail17trampoline_kernelINS0_14default_configENS1_27scan_by_key_config_selectorIxiEEZZNS1_16scan_by_key_implILNS1_25lookback_scan_determinismE0ELb1ES3_N6thrust23THRUST_200600_302600_NS6detail15normal_iteratorINS9_10device_ptrIxEEEESE_SE_iNS9_4plusIvEENS9_8equal_toIvEEiEE10hipError_tPvRmT2_T3_T4_T5_mT6_T7_P12ihipStream_tbENKUlT_T0_E_clISt17integral_constantIbLb0EESZ_EEDaSU_SV_EUlSU_E_NS1_11comp_targetILNS1_3genE10ELNS1_11target_archE1201ELNS1_3gpuE5ELNS1_3repE0EEENS1_30default_config_static_selectorELNS0_4arch9wavefront6targetE0EEEvT1_: ; @_ZN7rocprim17ROCPRIM_400000_NS6detail17trampoline_kernelINS0_14default_configENS1_27scan_by_key_config_selectorIxiEEZZNS1_16scan_by_key_implILNS1_25lookback_scan_determinismE0ELb1ES3_N6thrust23THRUST_200600_302600_NS6detail15normal_iteratorINS9_10device_ptrIxEEEESE_SE_iNS9_4plusIvEENS9_8equal_toIvEEiEE10hipError_tPvRmT2_T3_T4_T5_mT6_T7_P12ihipStream_tbENKUlT_T0_E_clISt17integral_constantIbLb0EESZ_EEDaSU_SV_EUlSU_E_NS1_11comp_targetILNS1_3genE10ELNS1_11target_archE1201ELNS1_3gpuE5ELNS1_3repE0EEENS1_30default_config_static_selectorELNS0_4arch9wavefront6targetE0EEEvT1_
; %bb.0:
	.section	.rodata,"a",@progbits
	.p2align	6, 0x0
	.amdhsa_kernel _ZN7rocprim17ROCPRIM_400000_NS6detail17trampoline_kernelINS0_14default_configENS1_27scan_by_key_config_selectorIxiEEZZNS1_16scan_by_key_implILNS1_25lookback_scan_determinismE0ELb1ES3_N6thrust23THRUST_200600_302600_NS6detail15normal_iteratorINS9_10device_ptrIxEEEESE_SE_iNS9_4plusIvEENS9_8equal_toIvEEiEE10hipError_tPvRmT2_T3_T4_T5_mT6_T7_P12ihipStream_tbENKUlT_T0_E_clISt17integral_constantIbLb0EESZ_EEDaSU_SV_EUlSU_E_NS1_11comp_targetILNS1_3genE10ELNS1_11target_archE1201ELNS1_3gpuE5ELNS1_3repE0EEENS1_30default_config_static_selectorELNS0_4arch9wavefront6targetE0EEEvT1_
		.amdhsa_group_segment_fixed_size 0
		.amdhsa_private_segment_fixed_size 0
		.amdhsa_kernarg_size 112
		.amdhsa_user_sgpr_count 6
		.amdhsa_user_sgpr_private_segment_buffer 1
		.amdhsa_user_sgpr_dispatch_ptr 0
		.amdhsa_user_sgpr_queue_ptr 0
		.amdhsa_user_sgpr_kernarg_segment_ptr 1
		.amdhsa_user_sgpr_dispatch_id 0
		.amdhsa_user_sgpr_flat_scratch_init 0
		.amdhsa_user_sgpr_private_segment_size 0
		.amdhsa_wavefront_size32 1
		.amdhsa_uses_dynamic_stack 0
		.amdhsa_system_sgpr_private_segment_wavefront_offset 0
		.amdhsa_system_sgpr_workgroup_id_x 1
		.amdhsa_system_sgpr_workgroup_id_y 0
		.amdhsa_system_sgpr_workgroup_id_z 0
		.amdhsa_system_sgpr_workgroup_info 0
		.amdhsa_system_vgpr_workitem_id 0
		.amdhsa_next_free_vgpr 1
		.amdhsa_next_free_sgpr 1
		.amdhsa_reserve_vcc 0
		.amdhsa_reserve_flat_scratch 0
		.amdhsa_float_round_mode_32 0
		.amdhsa_float_round_mode_16_64 0
		.amdhsa_float_denorm_mode_32 3
		.amdhsa_float_denorm_mode_16_64 3
		.amdhsa_dx10_clamp 1
		.amdhsa_ieee_mode 1
		.amdhsa_fp16_overflow 0
		.amdhsa_workgroup_processor_mode 1
		.amdhsa_memory_ordered 1
		.amdhsa_forward_progress 1
		.amdhsa_shared_vgpr_count 0
		.amdhsa_exception_fp_ieee_invalid_op 0
		.amdhsa_exception_fp_denorm_src 0
		.amdhsa_exception_fp_ieee_div_zero 0
		.amdhsa_exception_fp_ieee_overflow 0
		.amdhsa_exception_fp_ieee_underflow 0
		.amdhsa_exception_fp_ieee_inexact 0
		.amdhsa_exception_int_div_zero 0
	.end_amdhsa_kernel
	.section	.text._ZN7rocprim17ROCPRIM_400000_NS6detail17trampoline_kernelINS0_14default_configENS1_27scan_by_key_config_selectorIxiEEZZNS1_16scan_by_key_implILNS1_25lookback_scan_determinismE0ELb1ES3_N6thrust23THRUST_200600_302600_NS6detail15normal_iteratorINS9_10device_ptrIxEEEESE_SE_iNS9_4plusIvEENS9_8equal_toIvEEiEE10hipError_tPvRmT2_T3_T4_T5_mT6_T7_P12ihipStream_tbENKUlT_T0_E_clISt17integral_constantIbLb0EESZ_EEDaSU_SV_EUlSU_E_NS1_11comp_targetILNS1_3genE10ELNS1_11target_archE1201ELNS1_3gpuE5ELNS1_3repE0EEENS1_30default_config_static_selectorELNS0_4arch9wavefront6targetE0EEEvT1_,"axG",@progbits,_ZN7rocprim17ROCPRIM_400000_NS6detail17trampoline_kernelINS0_14default_configENS1_27scan_by_key_config_selectorIxiEEZZNS1_16scan_by_key_implILNS1_25lookback_scan_determinismE0ELb1ES3_N6thrust23THRUST_200600_302600_NS6detail15normal_iteratorINS9_10device_ptrIxEEEESE_SE_iNS9_4plusIvEENS9_8equal_toIvEEiEE10hipError_tPvRmT2_T3_T4_T5_mT6_T7_P12ihipStream_tbENKUlT_T0_E_clISt17integral_constantIbLb0EESZ_EEDaSU_SV_EUlSU_E_NS1_11comp_targetILNS1_3genE10ELNS1_11target_archE1201ELNS1_3gpuE5ELNS1_3repE0EEENS1_30default_config_static_selectorELNS0_4arch9wavefront6targetE0EEEvT1_,comdat
.Lfunc_end1003:
	.size	_ZN7rocprim17ROCPRIM_400000_NS6detail17trampoline_kernelINS0_14default_configENS1_27scan_by_key_config_selectorIxiEEZZNS1_16scan_by_key_implILNS1_25lookback_scan_determinismE0ELb1ES3_N6thrust23THRUST_200600_302600_NS6detail15normal_iteratorINS9_10device_ptrIxEEEESE_SE_iNS9_4plusIvEENS9_8equal_toIvEEiEE10hipError_tPvRmT2_T3_T4_T5_mT6_T7_P12ihipStream_tbENKUlT_T0_E_clISt17integral_constantIbLb0EESZ_EEDaSU_SV_EUlSU_E_NS1_11comp_targetILNS1_3genE10ELNS1_11target_archE1201ELNS1_3gpuE5ELNS1_3repE0EEENS1_30default_config_static_selectorELNS0_4arch9wavefront6targetE0EEEvT1_, .Lfunc_end1003-_ZN7rocprim17ROCPRIM_400000_NS6detail17trampoline_kernelINS0_14default_configENS1_27scan_by_key_config_selectorIxiEEZZNS1_16scan_by_key_implILNS1_25lookback_scan_determinismE0ELb1ES3_N6thrust23THRUST_200600_302600_NS6detail15normal_iteratorINS9_10device_ptrIxEEEESE_SE_iNS9_4plusIvEENS9_8equal_toIvEEiEE10hipError_tPvRmT2_T3_T4_T5_mT6_T7_P12ihipStream_tbENKUlT_T0_E_clISt17integral_constantIbLb0EESZ_EEDaSU_SV_EUlSU_E_NS1_11comp_targetILNS1_3genE10ELNS1_11target_archE1201ELNS1_3gpuE5ELNS1_3repE0EEENS1_30default_config_static_selectorELNS0_4arch9wavefront6targetE0EEEvT1_
                                        ; -- End function
	.set _ZN7rocprim17ROCPRIM_400000_NS6detail17trampoline_kernelINS0_14default_configENS1_27scan_by_key_config_selectorIxiEEZZNS1_16scan_by_key_implILNS1_25lookback_scan_determinismE0ELb1ES3_N6thrust23THRUST_200600_302600_NS6detail15normal_iteratorINS9_10device_ptrIxEEEESE_SE_iNS9_4plusIvEENS9_8equal_toIvEEiEE10hipError_tPvRmT2_T3_T4_T5_mT6_T7_P12ihipStream_tbENKUlT_T0_E_clISt17integral_constantIbLb0EESZ_EEDaSU_SV_EUlSU_E_NS1_11comp_targetILNS1_3genE10ELNS1_11target_archE1201ELNS1_3gpuE5ELNS1_3repE0EEENS1_30default_config_static_selectorELNS0_4arch9wavefront6targetE0EEEvT1_.num_vgpr, 0
	.set _ZN7rocprim17ROCPRIM_400000_NS6detail17trampoline_kernelINS0_14default_configENS1_27scan_by_key_config_selectorIxiEEZZNS1_16scan_by_key_implILNS1_25lookback_scan_determinismE0ELb1ES3_N6thrust23THRUST_200600_302600_NS6detail15normal_iteratorINS9_10device_ptrIxEEEESE_SE_iNS9_4plusIvEENS9_8equal_toIvEEiEE10hipError_tPvRmT2_T3_T4_T5_mT6_T7_P12ihipStream_tbENKUlT_T0_E_clISt17integral_constantIbLb0EESZ_EEDaSU_SV_EUlSU_E_NS1_11comp_targetILNS1_3genE10ELNS1_11target_archE1201ELNS1_3gpuE5ELNS1_3repE0EEENS1_30default_config_static_selectorELNS0_4arch9wavefront6targetE0EEEvT1_.num_agpr, 0
	.set _ZN7rocprim17ROCPRIM_400000_NS6detail17trampoline_kernelINS0_14default_configENS1_27scan_by_key_config_selectorIxiEEZZNS1_16scan_by_key_implILNS1_25lookback_scan_determinismE0ELb1ES3_N6thrust23THRUST_200600_302600_NS6detail15normal_iteratorINS9_10device_ptrIxEEEESE_SE_iNS9_4plusIvEENS9_8equal_toIvEEiEE10hipError_tPvRmT2_T3_T4_T5_mT6_T7_P12ihipStream_tbENKUlT_T0_E_clISt17integral_constantIbLb0EESZ_EEDaSU_SV_EUlSU_E_NS1_11comp_targetILNS1_3genE10ELNS1_11target_archE1201ELNS1_3gpuE5ELNS1_3repE0EEENS1_30default_config_static_selectorELNS0_4arch9wavefront6targetE0EEEvT1_.numbered_sgpr, 0
	.set _ZN7rocprim17ROCPRIM_400000_NS6detail17trampoline_kernelINS0_14default_configENS1_27scan_by_key_config_selectorIxiEEZZNS1_16scan_by_key_implILNS1_25lookback_scan_determinismE0ELb1ES3_N6thrust23THRUST_200600_302600_NS6detail15normal_iteratorINS9_10device_ptrIxEEEESE_SE_iNS9_4plusIvEENS9_8equal_toIvEEiEE10hipError_tPvRmT2_T3_T4_T5_mT6_T7_P12ihipStream_tbENKUlT_T0_E_clISt17integral_constantIbLb0EESZ_EEDaSU_SV_EUlSU_E_NS1_11comp_targetILNS1_3genE10ELNS1_11target_archE1201ELNS1_3gpuE5ELNS1_3repE0EEENS1_30default_config_static_selectorELNS0_4arch9wavefront6targetE0EEEvT1_.num_named_barrier, 0
	.set _ZN7rocprim17ROCPRIM_400000_NS6detail17trampoline_kernelINS0_14default_configENS1_27scan_by_key_config_selectorIxiEEZZNS1_16scan_by_key_implILNS1_25lookback_scan_determinismE0ELb1ES3_N6thrust23THRUST_200600_302600_NS6detail15normal_iteratorINS9_10device_ptrIxEEEESE_SE_iNS9_4plusIvEENS9_8equal_toIvEEiEE10hipError_tPvRmT2_T3_T4_T5_mT6_T7_P12ihipStream_tbENKUlT_T0_E_clISt17integral_constantIbLb0EESZ_EEDaSU_SV_EUlSU_E_NS1_11comp_targetILNS1_3genE10ELNS1_11target_archE1201ELNS1_3gpuE5ELNS1_3repE0EEENS1_30default_config_static_selectorELNS0_4arch9wavefront6targetE0EEEvT1_.private_seg_size, 0
	.set _ZN7rocprim17ROCPRIM_400000_NS6detail17trampoline_kernelINS0_14default_configENS1_27scan_by_key_config_selectorIxiEEZZNS1_16scan_by_key_implILNS1_25lookback_scan_determinismE0ELb1ES3_N6thrust23THRUST_200600_302600_NS6detail15normal_iteratorINS9_10device_ptrIxEEEESE_SE_iNS9_4plusIvEENS9_8equal_toIvEEiEE10hipError_tPvRmT2_T3_T4_T5_mT6_T7_P12ihipStream_tbENKUlT_T0_E_clISt17integral_constantIbLb0EESZ_EEDaSU_SV_EUlSU_E_NS1_11comp_targetILNS1_3genE10ELNS1_11target_archE1201ELNS1_3gpuE5ELNS1_3repE0EEENS1_30default_config_static_selectorELNS0_4arch9wavefront6targetE0EEEvT1_.uses_vcc, 0
	.set _ZN7rocprim17ROCPRIM_400000_NS6detail17trampoline_kernelINS0_14default_configENS1_27scan_by_key_config_selectorIxiEEZZNS1_16scan_by_key_implILNS1_25lookback_scan_determinismE0ELb1ES3_N6thrust23THRUST_200600_302600_NS6detail15normal_iteratorINS9_10device_ptrIxEEEESE_SE_iNS9_4plusIvEENS9_8equal_toIvEEiEE10hipError_tPvRmT2_T3_T4_T5_mT6_T7_P12ihipStream_tbENKUlT_T0_E_clISt17integral_constantIbLb0EESZ_EEDaSU_SV_EUlSU_E_NS1_11comp_targetILNS1_3genE10ELNS1_11target_archE1201ELNS1_3gpuE5ELNS1_3repE0EEENS1_30default_config_static_selectorELNS0_4arch9wavefront6targetE0EEEvT1_.uses_flat_scratch, 0
	.set _ZN7rocprim17ROCPRIM_400000_NS6detail17trampoline_kernelINS0_14default_configENS1_27scan_by_key_config_selectorIxiEEZZNS1_16scan_by_key_implILNS1_25lookback_scan_determinismE0ELb1ES3_N6thrust23THRUST_200600_302600_NS6detail15normal_iteratorINS9_10device_ptrIxEEEESE_SE_iNS9_4plusIvEENS9_8equal_toIvEEiEE10hipError_tPvRmT2_T3_T4_T5_mT6_T7_P12ihipStream_tbENKUlT_T0_E_clISt17integral_constantIbLb0EESZ_EEDaSU_SV_EUlSU_E_NS1_11comp_targetILNS1_3genE10ELNS1_11target_archE1201ELNS1_3gpuE5ELNS1_3repE0EEENS1_30default_config_static_selectorELNS0_4arch9wavefront6targetE0EEEvT1_.has_dyn_sized_stack, 0
	.set _ZN7rocprim17ROCPRIM_400000_NS6detail17trampoline_kernelINS0_14default_configENS1_27scan_by_key_config_selectorIxiEEZZNS1_16scan_by_key_implILNS1_25lookback_scan_determinismE0ELb1ES3_N6thrust23THRUST_200600_302600_NS6detail15normal_iteratorINS9_10device_ptrIxEEEESE_SE_iNS9_4plusIvEENS9_8equal_toIvEEiEE10hipError_tPvRmT2_T3_T4_T5_mT6_T7_P12ihipStream_tbENKUlT_T0_E_clISt17integral_constantIbLb0EESZ_EEDaSU_SV_EUlSU_E_NS1_11comp_targetILNS1_3genE10ELNS1_11target_archE1201ELNS1_3gpuE5ELNS1_3repE0EEENS1_30default_config_static_selectorELNS0_4arch9wavefront6targetE0EEEvT1_.has_recursion, 0
	.set _ZN7rocprim17ROCPRIM_400000_NS6detail17trampoline_kernelINS0_14default_configENS1_27scan_by_key_config_selectorIxiEEZZNS1_16scan_by_key_implILNS1_25lookback_scan_determinismE0ELb1ES3_N6thrust23THRUST_200600_302600_NS6detail15normal_iteratorINS9_10device_ptrIxEEEESE_SE_iNS9_4plusIvEENS9_8equal_toIvEEiEE10hipError_tPvRmT2_T3_T4_T5_mT6_T7_P12ihipStream_tbENKUlT_T0_E_clISt17integral_constantIbLb0EESZ_EEDaSU_SV_EUlSU_E_NS1_11comp_targetILNS1_3genE10ELNS1_11target_archE1201ELNS1_3gpuE5ELNS1_3repE0EEENS1_30default_config_static_selectorELNS0_4arch9wavefront6targetE0EEEvT1_.has_indirect_call, 0
	.section	.AMDGPU.csdata,"",@progbits
; Kernel info:
; codeLenInByte = 0
; TotalNumSgprs: 0
; NumVgprs: 0
; ScratchSize: 0
; MemoryBound: 0
; FloatMode: 240
; IeeeMode: 1
; LDSByteSize: 0 bytes/workgroup (compile time only)
; SGPRBlocks: 0
; VGPRBlocks: 0
; NumSGPRsForWavesPerEU: 1
; NumVGPRsForWavesPerEU: 1
; Occupancy: 16
; WaveLimiterHint : 0
; COMPUTE_PGM_RSRC2:SCRATCH_EN: 0
; COMPUTE_PGM_RSRC2:USER_SGPR: 6
; COMPUTE_PGM_RSRC2:TRAP_HANDLER: 0
; COMPUTE_PGM_RSRC2:TGID_X_EN: 1
; COMPUTE_PGM_RSRC2:TGID_Y_EN: 0
; COMPUTE_PGM_RSRC2:TGID_Z_EN: 0
; COMPUTE_PGM_RSRC2:TIDIG_COMP_CNT: 0
	.section	.text._ZN7rocprim17ROCPRIM_400000_NS6detail17trampoline_kernelINS0_14default_configENS1_27scan_by_key_config_selectorIxiEEZZNS1_16scan_by_key_implILNS1_25lookback_scan_determinismE0ELb1ES3_N6thrust23THRUST_200600_302600_NS6detail15normal_iteratorINS9_10device_ptrIxEEEESE_SE_iNS9_4plusIvEENS9_8equal_toIvEEiEE10hipError_tPvRmT2_T3_T4_T5_mT6_T7_P12ihipStream_tbENKUlT_T0_E_clISt17integral_constantIbLb0EESZ_EEDaSU_SV_EUlSU_E_NS1_11comp_targetILNS1_3genE5ELNS1_11target_archE942ELNS1_3gpuE9ELNS1_3repE0EEENS1_30default_config_static_selectorELNS0_4arch9wavefront6targetE0EEEvT1_,"axG",@progbits,_ZN7rocprim17ROCPRIM_400000_NS6detail17trampoline_kernelINS0_14default_configENS1_27scan_by_key_config_selectorIxiEEZZNS1_16scan_by_key_implILNS1_25lookback_scan_determinismE0ELb1ES3_N6thrust23THRUST_200600_302600_NS6detail15normal_iteratorINS9_10device_ptrIxEEEESE_SE_iNS9_4plusIvEENS9_8equal_toIvEEiEE10hipError_tPvRmT2_T3_T4_T5_mT6_T7_P12ihipStream_tbENKUlT_T0_E_clISt17integral_constantIbLb0EESZ_EEDaSU_SV_EUlSU_E_NS1_11comp_targetILNS1_3genE5ELNS1_11target_archE942ELNS1_3gpuE9ELNS1_3repE0EEENS1_30default_config_static_selectorELNS0_4arch9wavefront6targetE0EEEvT1_,comdat
	.protected	_ZN7rocprim17ROCPRIM_400000_NS6detail17trampoline_kernelINS0_14default_configENS1_27scan_by_key_config_selectorIxiEEZZNS1_16scan_by_key_implILNS1_25lookback_scan_determinismE0ELb1ES3_N6thrust23THRUST_200600_302600_NS6detail15normal_iteratorINS9_10device_ptrIxEEEESE_SE_iNS9_4plusIvEENS9_8equal_toIvEEiEE10hipError_tPvRmT2_T3_T4_T5_mT6_T7_P12ihipStream_tbENKUlT_T0_E_clISt17integral_constantIbLb0EESZ_EEDaSU_SV_EUlSU_E_NS1_11comp_targetILNS1_3genE5ELNS1_11target_archE942ELNS1_3gpuE9ELNS1_3repE0EEENS1_30default_config_static_selectorELNS0_4arch9wavefront6targetE0EEEvT1_ ; -- Begin function _ZN7rocprim17ROCPRIM_400000_NS6detail17trampoline_kernelINS0_14default_configENS1_27scan_by_key_config_selectorIxiEEZZNS1_16scan_by_key_implILNS1_25lookback_scan_determinismE0ELb1ES3_N6thrust23THRUST_200600_302600_NS6detail15normal_iteratorINS9_10device_ptrIxEEEESE_SE_iNS9_4plusIvEENS9_8equal_toIvEEiEE10hipError_tPvRmT2_T3_T4_T5_mT6_T7_P12ihipStream_tbENKUlT_T0_E_clISt17integral_constantIbLb0EESZ_EEDaSU_SV_EUlSU_E_NS1_11comp_targetILNS1_3genE5ELNS1_11target_archE942ELNS1_3gpuE9ELNS1_3repE0EEENS1_30default_config_static_selectorELNS0_4arch9wavefront6targetE0EEEvT1_
	.globl	_ZN7rocprim17ROCPRIM_400000_NS6detail17trampoline_kernelINS0_14default_configENS1_27scan_by_key_config_selectorIxiEEZZNS1_16scan_by_key_implILNS1_25lookback_scan_determinismE0ELb1ES3_N6thrust23THRUST_200600_302600_NS6detail15normal_iteratorINS9_10device_ptrIxEEEESE_SE_iNS9_4plusIvEENS9_8equal_toIvEEiEE10hipError_tPvRmT2_T3_T4_T5_mT6_T7_P12ihipStream_tbENKUlT_T0_E_clISt17integral_constantIbLb0EESZ_EEDaSU_SV_EUlSU_E_NS1_11comp_targetILNS1_3genE5ELNS1_11target_archE942ELNS1_3gpuE9ELNS1_3repE0EEENS1_30default_config_static_selectorELNS0_4arch9wavefront6targetE0EEEvT1_
	.p2align	8
	.type	_ZN7rocprim17ROCPRIM_400000_NS6detail17trampoline_kernelINS0_14default_configENS1_27scan_by_key_config_selectorIxiEEZZNS1_16scan_by_key_implILNS1_25lookback_scan_determinismE0ELb1ES3_N6thrust23THRUST_200600_302600_NS6detail15normal_iteratorINS9_10device_ptrIxEEEESE_SE_iNS9_4plusIvEENS9_8equal_toIvEEiEE10hipError_tPvRmT2_T3_T4_T5_mT6_T7_P12ihipStream_tbENKUlT_T0_E_clISt17integral_constantIbLb0EESZ_EEDaSU_SV_EUlSU_E_NS1_11comp_targetILNS1_3genE5ELNS1_11target_archE942ELNS1_3gpuE9ELNS1_3repE0EEENS1_30default_config_static_selectorELNS0_4arch9wavefront6targetE0EEEvT1_,@function
_ZN7rocprim17ROCPRIM_400000_NS6detail17trampoline_kernelINS0_14default_configENS1_27scan_by_key_config_selectorIxiEEZZNS1_16scan_by_key_implILNS1_25lookback_scan_determinismE0ELb1ES3_N6thrust23THRUST_200600_302600_NS6detail15normal_iteratorINS9_10device_ptrIxEEEESE_SE_iNS9_4plusIvEENS9_8equal_toIvEEiEE10hipError_tPvRmT2_T3_T4_T5_mT6_T7_P12ihipStream_tbENKUlT_T0_E_clISt17integral_constantIbLb0EESZ_EEDaSU_SV_EUlSU_E_NS1_11comp_targetILNS1_3genE5ELNS1_11target_archE942ELNS1_3gpuE9ELNS1_3repE0EEENS1_30default_config_static_selectorELNS0_4arch9wavefront6targetE0EEEvT1_: ; @_ZN7rocprim17ROCPRIM_400000_NS6detail17trampoline_kernelINS0_14default_configENS1_27scan_by_key_config_selectorIxiEEZZNS1_16scan_by_key_implILNS1_25lookback_scan_determinismE0ELb1ES3_N6thrust23THRUST_200600_302600_NS6detail15normal_iteratorINS9_10device_ptrIxEEEESE_SE_iNS9_4plusIvEENS9_8equal_toIvEEiEE10hipError_tPvRmT2_T3_T4_T5_mT6_T7_P12ihipStream_tbENKUlT_T0_E_clISt17integral_constantIbLb0EESZ_EEDaSU_SV_EUlSU_E_NS1_11comp_targetILNS1_3genE5ELNS1_11target_archE942ELNS1_3gpuE9ELNS1_3repE0EEENS1_30default_config_static_selectorELNS0_4arch9wavefront6targetE0EEEvT1_
; %bb.0:
	.section	.rodata,"a",@progbits
	.p2align	6, 0x0
	.amdhsa_kernel _ZN7rocprim17ROCPRIM_400000_NS6detail17trampoline_kernelINS0_14default_configENS1_27scan_by_key_config_selectorIxiEEZZNS1_16scan_by_key_implILNS1_25lookback_scan_determinismE0ELb1ES3_N6thrust23THRUST_200600_302600_NS6detail15normal_iteratorINS9_10device_ptrIxEEEESE_SE_iNS9_4plusIvEENS9_8equal_toIvEEiEE10hipError_tPvRmT2_T3_T4_T5_mT6_T7_P12ihipStream_tbENKUlT_T0_E_clISt17integral_constantIbLb0EESZ_EEDaSU_SV_EUlSU_E_NS1_11comp_targetILNS1_3genE5ELNS1_11target_archE942ELNS1_3gpuE9ELNS1_3repE0EEENS1_30default_config_static_selectorELNS0_4arch9wavefront6targetE0EEEvT1_
		.amdhsa_group_segment_fixed_size 0
		.amdhsa_private_segment_fixed_size 0
		.amdhsa_kernarg_size 112
		.amdhsa_user_sgpr_count 6
		.amdhsa_user_sgpr_private_segment_buffer 1
		.amdhsa_user_sgpr_dispatch_ptr 0
		.amdhsa_user_sgpr_queue_ptr 0
		.amdhsa_user_sgpr_kernarg_segment_ptr 1
		.amdhsa_user_sgpr_dispatch_id 0
		.amdhsa_user_sgpr_flat_scratch_init 0
		.amdhsa_user_sgpr_private_segment_size 0
		.amdhsa_wavefront_size32 1
		.amdhsa_uses_dynamic_stack 0
		.amdhsa_system_sgpr_private_segment_wavefront_offset 0
		.amdhsa_system_sgpr_workgroup_id_x 1
		.amdhsa_system_sgpr_workgroup_id_y 0
		.amdhsa_system_sgpr_workgroup_id_z 0
		.amdhsa_system_sgpr_workgroup_info 0
		.amdhsa_system_vgpr_workitem_id 0
		.amdhsa_next_free_vgpr 1
		.amdhsa_next_free_sgpr 1
		.amdhsa_reserve_vcc 0
		.amdhsa_reserve_flat_scratch 0
		.amdhsa_float_round_mode_32 0
		.amdhsa_float_round_mode_16_64 0
		.amdhsa_float_denorm_mode_32 3
		.amdhsa_float_denorm_mode_16_64 3
		.amdhsa_dx10_clamp 1
		.amdhsa_ieee_mode 1
		.amdhsa_fp16_overflow 0
		.amdhsa_workgroup_processor_mode 1
		.amdhsa_memory_ordered 1
		.amdhsa_forward_progress 1
		.amdhsa_shared_vgpr_count 0
		.amdhsa_exception_fp_ieee_invalid_op 0
		.amdhsa_exception_fp_denorm_src 0
		.amdhsa_exception_fp_ieee_div_zero 0
		.amdhsa_exception_fp_ieee_overflow 0
		.amdhsa_exception_fp_ieee_underflow 0
		.amdhsa_exception_fp_ieee_inexact 0
		.amdhsa_exception_int_div_zero 0
	.end_amdhsa_kernel
	.section	.text._ZN7rocprim17ROCPRIM_400000_NS6detail17trampoline_kernelINS0_14default_configENS1_27scan_by_key_config_selectorIxiEEZZNS1_16scan_by_key_implILNS1_25lookback_scan_determinismE0ELb1ES3_N6thrust23THRUST_200600_302600_NS6detail15normal_iteratorINS9_10device_ptrIxEEEESE_SE_iNS9_4plusIvEENS9_8equal_toIvEEiEE10hipError_tPvRmT2_T3_T4_T5_mT6_T7_P12ihipStream_tbENKUlT_T0_E_clISt17integral_constantIbLb0EESZ_EEDaSU_SV_EUlSU_E_NS1_11comp_targetILNS1_3genE5ELNS1_11target_archE942ELNS1_3gpuE9ELNS1_3repE0EEENS1_30default_config_static_selectorELNS0_4arch9wavefront6targetE0EEEvT1_,"axG",@progbits,_ZN7rocprim17ROCPRIM_400000_NS6detail17trampoline_kernelINS0_14default_configENS1_27scan_by_key_config_selectorIxiEEZZNS1_16scan_by_key_implILNS1_25lookback_scan_determinismE0ELb1ES3_N6thrust23THRUST_200600_302600_NS6detail15normal_iteratorINS9_10device_ptrIxEEEESE_SE_iNS9_4plusIvEENS9_8equal_toIvEEiEE10hipError_tPvRmT2_T3_T4_T5_mT6_T7_P12ihipStream_tbENKUlT_T0_E_clISt17integral_constantIbLb0EESZ_EEDaSU_SV_EUlSU_E_NS1_11comp_targetILNS1_3genE5ELNS1_11target_archE942ELNS1_3gpuE9ELNS1_3repE0EEENS1_30default_config_static_selectorELNS0_4arch9wavefront6targetE0EEEvT1_,comdat
.Lfunc_end1004:
	.size	_ZN7rocprim17ROCPRIM_400000_NS6detail17trampoline_kernelINS0_14default_configENS1_27scan_by_key_config_selectorIxiEEZZNS1_16scan_by_key_implILNS1_25lookback_scan_determinismE0ELb1ES3_N6thrust23THRUST_200600_302600_NS6detail15normal_iteratorINS9_10device_ptrIxEEEESE_SE_iNS9_4plusIvEENS9_8equal_toIvEEiEE10hipError_tPvRmT2_T3_T4_T5_mT6_T7_P12ihipStream_tbENKUlT_T0_E_clISt17integral_constantIbLb0EESZ_EEDaSU_SV_EUlSU_E_NS1_11comp_targetILNS1_3genE5ELNS1_11target_archE942ELNS1_3gpuE9ELNS1_3repE0EEENS1_30default_config_static_selectorELNS0_4arch9wavefront6targetE0EEEvT1_, .Lfunc_end1004-_ZN7rocprim17ROCPRIM_400000_NS6detail17trampoline_kernelINS0_14default_configENS1_27scan_by_key_config_selectorIxiEEZZNS1_16scan_by_key_implILNS1_25lookback_scan_determinismE0ELb1ES3_N6thrust23THRUST_200600_302600_NS6detail15normal_iteratorINS9_10device_ptrIxEEEESE_SE_iNS9_4plusIvEENS9_8equal_toIvEEiEE10hipError_tPvRmT2_T3_T4_T5_mT6_T7_P12ihipStream_tbENKUlT_T0_E_clISt17integral_constantIbLb0EESZ_EEDaSU_SV_EUlSU_E_NS1_11comp_targetILNS1_3genE5ELNS1_11target_archE942ELNS1_3gpuE9ELNS1_3repE0EEENS1_30default_config_static_selectorELNS0_4arch9wavefront6targetE0EEEvT1_
                                        ; -- End function
	.set _ZN7rocprim17ROCPRIM_400000_NS6detail17trampoline_kernelINS0_14default_configENS1_27scan_by_key_config_selectorIxiEEZZNS1_16scan_by_key_implILNS1_25lookback_scan_determinismE0ELb1ES3_N6thrust23THRUST_200600_302600_NS6detail15normal_iteratorINS9_10device_ptrIxEEEESE_SE_iNS9_4plusIvEENS9_8equal_toIvEEiEE10hipError_tPvRmT2_T3_T4_T5_mT6_T7_P12ihipStream_tbENKUlT_T0_E_clISt17integral_constantIbLb0EESZ_EEDaSU_SV_EUlSU_E_NS1_11comp_targetILNS1_3genE5ELNS1_11target_archE942ELNS1_3gpuE9ELNS1_3repE0EEENS1_30default_config_static_selectorELNS0_4arch9wavefront6targetE0EEEvT1_.num_vgpr, 0
	.set _ZN7rocprim17ROCPRIM_400000_NS6detail17trampoline_kernelINS0_14default_configENS1_27scan_by_key_config_selectorIxiEEZZNS1_16scan_by_key_implILNS1_25lookback_scan_determinismE0ELb1ES3_N6thrust23THRUST_200600_302600_NS6detail15normal_iteratorINS9_10device_ptrIxEEEESE_SE_iNS9_4plusIvEENS9_8equal_toIvEEiEE10hipError_tPvRmT2_T3_T4_T5_mT6_T7_P12ihipStream_tbENKUlT_T0_E_clISt17integral_constantIbLb0EESZ_EEDaSU_SV_EUlSU_E_NS1_11comp_targetILNS1_3genE5ELNS1_11target_archE942ELNS1_3gpuE9ELNS1_3repE0EEENS1_30default_config_static_selectorELNS0_4arch9wavefront6targetE0EEEvT1_.num_agpr, 0
	.set _ZN7rocprim17ROCPRIM_400000_NS6detail17trampoline_kernelINS0_14default_configENS1_27scan_by_key_config_selectorIxiEEZZNS1_16scan_by_key_implILNS1_25lookback_scan_determinismE0ELb1ES3_N6thrust23THRUST_200600_302600_NS6detail15normal_iteratorINS9_10device_ptrIxEEEESE_SE_iNS9_4plusIvEENS9_8equal_toIvEEiEE10hipError_tPvRmT2_T3_T4_T5_mT6_T7_P12ihipStream_tbENKUlT_T0_E_clISt17integral_constantIbLb0EESZ_EEDaSU_SV_EUlSU_E_NS1_11comp_targetILNS1_3genE5ELNS1_11target_archE942ELNS1_3gpuE9ELNS1_3repE0EEENS1_30default_config_static_selectorELNS0_4arch9wavefront6targetE0EEEvT1_.numbered_sgpr, 0
	.set _ZN7rocprim17ROCPRIM_400000_NS6detail17trampoline_kernelINS0_14default_configENS1_27scan_by_key_config_selectorIxiEEZZNS1_16scan_by_key_implILNS1_25lookback_scan_determinismE0ELb1ES3_N6thrust23THRUST_200600_302600_NS6detail15normal_iteratorINS9_10device_ptrIxEEEESE_SE_iNS9_4plusIvEENS9_8equal_toIvEEiEE10hipError_tPvRmT2_T3_T4_T5_mT6_T7_P12ihipStream_tbENKUlT_T0_E_clISt17integral_constantIbLb0EESZ_EEDaSU_SV_EUlSU_E_NS1_11comp_targetILNS1_3genE5ELNS1_11target_archE942ELNS1_3gpuE9ELNS1_3repE0EEENS1_30default_config_static_selectorELNS0_4arch9wavefront6targetE0EEEvT1_.num_named_barrier, 0
	.set _ZN7rocprim17ROCPRIM_400000_NS6detail17trampoline_kernelINS0_14default_configENS1_27scan_by_key_config_selectorIxiEEZZNS1_16scan_by_key_implILNS1_25lookback_scan_determinismE0ELb1ES3_N6thrust23THRUST_200600_302600_NS6detail15normal_iteratorINS9_10device_ptrIxEEEESE_SE_iNS9_4plusIvEENS9_8equal_toIvEEiEE10hipError_tPvRmT2_T3_T4_T5_mT6_T7_P12ihipStream_tbENKUlT_T0_E_clISt17integral_constantIbLb0EESZ_EEDaSU_SV_EUlSU_E_NS1_11comp_targetILNS1_3genE5ELNS1_11target_archE942ELNS1_3gpuE9ELNS1_3repE0EEENS1_30default_config_static_selectorELNS0_4arch9wavefront6targetE0EEEvT1_.private_seg_size, 0
	.set _ZN7rocprim17ROCPRIM_400000_NS6detail17trampoline_kernelINS0_14default_configENS1_27scan_by_key_config_selectorIxiEEZZNS1_16scan_by_key_implILNS1_25lookback_scan_determinismE0ELb1ES3_N6thrust23THRUST_200600_302600_NS6detail15normal_iteratorINS9_10device_ptrIxEEEESE_SE_iNS9_4plusIvEENS9_8equal_toIvEEiEE10hipError_tPvRmT2_T3_T4_T5_mT6_T7_P12ihipStream_tbENKUlT_T0_E_clISt17integral_constantIbLb0EESZ_EEDaSU_SV_EUlSU_E_NS1_11comp_targetILNS1_3genE5ELNS1_11target_archE942ELNS1_3gpuE9ELNS1_3repE0EEENS1_30default_config_static_selectorELNS0_4arch9wavefront6targetE0EEEvT1_.uses_vcc, 0
	.set _ZN7rocprim17ROCPRIM_400000_NS6detail17trampoline_kernelINS0_14default_configENS1_27scan_by_key_config_selectorIxiEEZZNS1_16scan_by_key_implILNS1_25lookback_scan_determinismE0ELb1ES3_N6thrust23THRUST_200600_302600_NS6detail15normal_iteratorINS9_10device_ptrIxEEEESE_SE_iNS9_4plusIvEENS9_8equal_toIvEEiEE10hipError_tPvRmT2_T3_T4_T5_mT6_T7_P12ihipStream_tbENKUlT_T0_E_clISt17integral_constantIbLb0EESZ_EEDaSU_SV_EUlSU_E_NS1_11comp_targetILNS1_3genE5ELNS1_11target_archE942ELNS1_3gpuE9ELNS1_3repE0EEENS1_30default_config_static_selectorELNS0_4arch9wavefront6targetE0EEEvT1_.uses_flat_scratch, 0
	.set _ZN7rocprim17ROCPRIM_400000_NS6detail17trampoline_kernelINS0_14default_configENS1_27scan_by_key_config_selectorIxiEEZZNS1_16scan_by_key_implILNS1_25lookback_scan_determinismE0ELb1ES3_N6thrust23THRUST_200600_302600_NS6detail15normal_iteratorINS9_10device_ptrIxEEEESE_SE_iNS9_4plusIvEENS9_8equal_toIvEEiEE10hipError_tPvRmT2_T3_T4_T5_mT6_T7_P12ihipStream_tbENKUlT_T0_E_clISt17integral_constantIbLb0EESZ_EEDaSU_SV_EUlSU_E_NS1_11comp_targetILNS1_3genE5ELNS1_11target_archE942ELNS1_3gpuE9ELNS1_3repE0EEENS1_30default_config_static_selectorELNS0_4arch9wavefront6targetE0EEEvT1_.has_dyn_sized_stack, 0
	.set _ZN7rocprim17ROCPRIM_400000_NS6detail17trampoline_kernelINS0_14default_configENS1_27scan_by_key_config_selectorIxiEEZZNS1_16scan_by_key_implILNS1_25lookback_scan_determinismE0ELb1ES3_N6thrust23THRUST_200600_302600_NS6detail15normal_iteratorINS9_10device_ptrIxEEEESE_SE_iNS9_4plusIvEENS9_8equal_toIvEEiEE10hipError_tPvRmT2_T3_T4_T5_mT6_T7_P12ihipStream_tbENKUlT_T0_E_clISt17integral_constantIbLb0EESZ_EEDaSU_SV_EUlSU_E_NS1_11comp_targetILNS1_3genE5ELNS1_11target_archE942ELNS1_3gpuE9ELNS1_3repE0EEENS1_30default_config_static_selectorELNS0_4arch9wavefront6targetE0EEEvT1_.has_recursion, 0
	.set _ZN7rocprim17ROCPRIM_400000_NS6detail17trampoline_kernelINS0_14default_configENS1_27scan_by_key_config_selectorIxiEEZZNS1_16scan_by_key_implILNS1_25lookback_scan_determinismE0ELb1ES3_N6thrust23THRUST_200600_302600_NS6detail15normal_iteratorINS9_10device_ptrIxEEEESE_SE_iNS9_4plusIvEENS9_8equal_toIvEEiEE10hipError_tPvRmT2_T3_T4_T5_mT6_T7_P12ihipStream_tbENKUlT_T0_E_clISt17integral_constantIbLb0EESZ_EEDaSU_SV_EUlSU_E_NS1_11comp_targetILNS1_3genE5ELNS1_11target_archE942ELNS1_3gpuE9ELNS1_3repE0EEENS1_30default_config_static_selectorELNS0_4arch9wavefront6targetE0EEEvT1_.has_indirect_call, 0
	.section	.AMDGPU.csdata,"",@progbits
; Kernel info:
; codeLenInByte = 0
; TotalNumSgprs: 0
; NumVgprs: 0
; ScratchSize: 0
; MemoryBound: 0
; FloatMode: 240
; IeeeMode: 1
; LDSByteSize: 0 bytes/workgroup (compile time only)
; SGPRBlocks: 0
; VGPRBlocks: 0
; NumSGPRsForWavesPerEU: 1
; NumVGPRsForWavesPerEU: 1
; Occupancy: 16
; WaveLimiterHint : 0
; COMPUTE_PGM_RSRC2:SCRATCH_EN: 0
; COMPUTE_PGM_RSRC2:USER_SGPR: 6
; COMPUTE_PGM_RSRC2:TRAP_HANDLER: 0
; COMPUTE_PGM_RSRC2:TGID_X_EN: 1
; COMPUTE_PGM_RSRC2:TGID_Y_EN: 0
; COMPUTE_PGM_RSRC2:TGID_Z_EN: 0
; COMPUTE_PGM_RSRC2:TIDIG_COMP_CNT: 0
	.section	.text._ZN7rocprim17ROCPRIM_400000_NS6detail17trampoline_kernelINS0_14default_configENS1_27scan_by_key_config_selectorIxiEEZZNS1_16scan_by_key_implILNS1_25lookback_scan_determinismE0ELb1ES3_N6thrust23THRUST_200600_302600_NS6detail15normal_iteratorINS9_10device_ptrIxEEEESE_SE_iNS9_4plusIvEENS9_8equal_toIvEEiEE10hipError_tPvRmT2_T3_T4_T5_mT6_T7_P12ihipStream_tbENKUlT_T0_E_clISt17integral_constantIbLb0EESZ_EEDaSU_SV_EUlSU_E_NS1_11comp_targetILNS1_3genE4ELNS1_11target_archE910ELNS1_3gpuE8ELNS1_3repE0EEENS1_30default_config_static_selectorELNS0_4arch9wavefront6targetE0EEEvT1_,"axG",@progbits,_ZN7rocprim17ROCPRIM_400000_NS6detail17trampoline_kernelINS0_14default_configENS1_27scan_by_key_config_selectorIxiEEZZNS1_16scan_by_key_implILNS1_25lookback_scan_determinismE0ELb1ES3_N6thrust23THRUST_200600_302600_NS6detail15normal_iteratorINS9_10device_ptrIxEEEESE_SE_iNS9_4plusIvEENS9_8equal_toIvEEiEE10hipError_tPvRmT2_T3_T4_T5_mT6_T7_P12ihipStream_tbENKUlT_T0_E_clISt17integral_constantIbLb0EESZ_EEDaSU_SV_EUlSU_E_NS1_11comp_targetILNS1_3genE4ELNS1_11target_archE910ELNS1_3gpuE8ELNS1_3repE0EEENS1_30default_config_static_selectorELNS0_4arch9wavefront6targetE0EEEvT1_,comdat
	.protected	_ZN7rocprim17ROCPRIM_400000_NS6detail17trampoline_kernelINS0_14default_configENS1_27scan_by_key_config_selectorIxiEEZZNS1_16scan_by_key_implILNS1_25lookback_scan_determinismE0ELb1ES3_N6thrust23THRUST_200600_302600_NS6detail15normal_iteratorINS9_10device_ptrIxEEEESE_SE_iNS9_4plusIvEENS9_8equal_toIvEEiEE10hipError_tPvRmT2_T3_T4_T5_mT6_T7_P12ihipStream_tbENKUlT_T0_E_clISt17integral_constantIbLb0EESZ_EEDaSU_SV_EUlSU_E_NS1_11comp_targetILNS1_3genE4ELNS1_11target_archE910ELNS1_3gpuE8ELNS1_3repE0EEENS1_30default_config_static_selectorELNS0_4arch9wavefront6targetE0EEEvT1_ ; -- Begin function _ZN7rocprim17ROCPRIM_400000_NS6detail17trampoline_kernelINS0_14default_configENS1_27scan_by_key_config_selectorIxiEEZZNS1_16scan_by_key_implILNS1_25lookback_scan_determinismE0ELb1ES3_N6thrust23THRUST_200600_302600_NS6detail15normal_iteratorINS9_10device_ptrIxEEEESE_SE_iNS9_4plusIvEENS9_8equal_toIvEEiEE10hipError_tPvRmT2_T3_T4_T5_mT6_T7_P12ihipStream_tbENKUlT_T0_E_clISt17integral_constantIbLb0EESZ_EEDaSU_SV_EUlSU_E_NS1_11comp_targetILNS1_3genE4ELNS1_11target_archE910ELNS1_3gpuE8ELNS1_3repE0EEENS1_30default_config_static_selectorELNS0_4arch9wavefront6targetE0EEEvT1_
	.globl	_ZN7rocprim17ROCPRIM_400000_NS6detail17trampoline_kernelINS0_14default_configENS1_27scan_by_key_config_selectorIxiEEZZNS1_16scan_by_key_implILNS1_25lookback_scan_determinismE0ELb1ES3_N6thrust23THRUST_200600_302600_NS6detail15normal_iteratorINS9_10device_ptrIxEEEESE_SE_iNS9_4plusIvEENS9_8equal_toIvEEiEE10hipError_tPvRmT2_T3_T4_T5_mT6_T7_P12ihipStream_tbENKUlT_T0_E_clISt17integral_constantIbLb0EESZ_EEDaSU_SV_EUlSU_E_NS1_11comp_targetILNS1_3genE4ELNS1_11target_archE910ELNS1_3gpuE8ELNS1_3repE0EEENS1_30default_config_static_selectorELNS0_4arch9wavefront6targetE0EEEvT1_
	.p2align	8
	.type	_ZN7rocprim17ROCPRIM_400000_NS6detail17trampoline_kernelINS0_14default_configENS1_27scan_by_key_config_selectorIxiEEZZNS1_16scan_by_key_implILNS1_25lookback_scan_determinismE0ELb1ES3_N6thrust23THRUST_200600_302600_NS6detail15normal_iteratorINS9_10device_ptrIxEEEESE_SE_iNS9_4plusIvEENS9_8equal_toIvEEiEE10hipError_tPvRmT2_T3_T4_T5_mT6_T7_P12ihipStream_tbENKUlT_T0_E_clISt17integral_constantIbLb0EESZ_EEDaSU_SV_EUlSU_E_NS1_11comp_targetILNS1_3genE4ELNS1_11target_archE910ELNS1_3gpuE8ELNS1_3repE0EEENS1_30default_config_static_selectorELNS0_4arch9wavefront6targetE0EEEvT1_,@function
_ZN7rocprim17ROCPRIM_400000_NS6detail17trampoline_kernelINS0_14default_configENS1_27scan_by_key_config_selectorIxiEEZZNS1_16scan_by_key_implILNS1_25lookback_scan_determinismE0ELb1ES3_N6thrust23THRUST_200600_302600_NS6detail15normal_iteratorINS9_10device_ptrIxEEEESE_SE_iNS9_4plusIvEENS9_8equal_toIvEEiEE10hipError_tPvRmT2_T3_T4_T5_mT6_T7_P12ihipStream_tbENKUlT_T0_E_clISt17integral_constantIbLb0EESZ_EEDaSU_SV_EUlSU_E_NS1_11comp_targetILNS1_3genE4ELNS1_11target_archE910ELNS1_3gpuE8ELNS1_3repE0EEENS1_30default_config_static_selectorELNS0_4arch9wavefront6targetE0EEEvT1_: ; @_ZN7rocprim17ROCPRIM_400000_NS6detail17trampoline_kernelINS0_14default_configENS1_27scan_by_key_config_selectorIxiEEZZNS1_16scan_by_key_implILNS1_25lookback_scan_determinismE0ELb1ES3_N6thrust23THRUST_200600_302600_NS6detail15normal_iteratorINS9_10device_ptrIxEEEESE_SE_iNS9_4plusIvEENS9_8equal_toIvEEiEE10hipError_tPvRmT2_T3_T4_T5_mT6_T7_P12ihipStream_tbENKUlT_T0_E_clISt17integral_constantIbLb0EESZ_EEDaSU_SV_EUlSU_E_NS1_11comp_targetILNS1_3genE4ELNS1_11target_archE910ELNS1_3gpuE8ELNS1_3repE0EEENS1_30default_config_static_selectorELNS0_4arch9wavefront6targetE0EEEvT1_
; %bb.0:
	.section	.rodata,"a",@progbits
	.p2align	6, 0x0
	.amdhsa_kernel _ZN7rocprim17ROCPRIM_400000_NS6detail17trampoline_kernelINS0_14default_configENS1_27scan_by_key_config_selectorIxiEEZZNS1_16scan_by_key_implILNS1_25lookback_scan_determinismE0ELb1ES3_N6thrust23THRUST_200600_302600_NS6detail15normal_iteratorINS9_10device_ptrIxEEEESE_SE_iNS9_4plusIvEENS9_8equal_toIvEEiEE10hipError_tPvRmT2_T3_T4_T5_mT6_T7_P12ihipStream_tbENKUlT_T0_E_clISt17integral_constantIbLb0EESZ_EEDaSU_SV_EUlSU_E_NS1_11comp_targetILNS1_3genE4ELNS1_11target_archE910ELNS1_3gpuE8ELNS1_3repE0EEENS1_30default_config_static_selectorELNS0_4arch9wavefront6targetE0EEEvT1_
		.amdhsa_group_segment_fixed_size 0
		.amdhsa_private_segment_fixed_size 0
		.amdhsa_kernarg_size 112
		.amdhsa_user_sgpr_count 6
		.amdhsa_user_sgpr_private_segment_buffer 1
		.amdhsa_user_sgpr_dispatch_ptr 0
		.amdhsa_user_sgpr_queue_ptr 0
		.amdhsa_user_sgpr_kernarg_segment_ptr 1
		.amdhsa_user_sgpr_dispatch_id 0
		.amdhsa_user_sgpr_flat_scratch_init 0
		.amdhsa_user_sgpr_private_segment_size 0
		.amdhsa_wavefront_size32 1
		.amdhsa_uses_dynamic_stack 0
		.amdhsa_system_sgpr_private_segment_wavefront_offset 0
		.amdhsa_system_sgpr_workgroup_id_x 1
		.amdhsa_system_sgpr_workgroup_id_y 0
		.amdhsa_system_sgpr_workgroup_id_z 0
		.amdhsa_system_sgpr_workgroup_info 0
		.amdhsa_system_vgpr_workitem_id 0
		.amdhsa_next_free_vgpr 1
		.amdhsa_next_free_sgpr 1
		.amdhsa_reserve_vcc 0
		.amdhsa_reserve_flat_scratch 0
		.amdhsa_float_round_mode_32 0
		.amdhsa_float_round_mode_16_64 0
		.amdhsa_float_denorm_mode_32 3
		.amdhsa_float_denorm_mode_16_64 3
		.amdhsa_dx10_clamp 1
		.amdhsa_ieee_mode 1
		.amdhsa_fp16_overflow 0
		.amdhsa_workgroup_processor_mode 1
		.amdhsa_memory_ordered 1
		.amdhsa_forward_progress 1
		.amdhsa_shared_vgpr_count 0
		.amdhsa_exception_fp_ieee_invalid_op 0
		.amdhsa_exception_fp_denorm_src 0
		.amdhsa_exception_fp_ieee_div_zero 0
		.amdhsa_exception_fp_ieee_overflow 0
		.amdhsa_exception_fp_ieee_underflow 0
		.amdhsa_exception_fp_ieee_inexact 0
		.amdhsa_exception_int_div_zero 0
	.end_amdhsa_kernel
	.section	.text._ZN7rocprim17ROCPRIM_400000_NS6detail17trampoline_kernelINS0_14default_configENS1_27scan_by_key_config_selectorIxiEEZZNS1_16scan_by_key_implILNS1_25lookback_scan_determinismE0ELb1ES3_N6thrust23THRUST_200600_302600_NS6detail15normal_iteratorINS9_10device_ptrIxEEEESE_SE_iNS9_4plusIvEENS9_8equal_toIvEEiEE10hipError_tPvRmT2_T3_T4_T5_mT6_T7_P12ihipStream_tbENKUlT_T0_E_clISt17integral_constantIbLb0EESZ_EEDaSU_SV_EUlSU_E_NS1_11comp_targetILNS1_3genE4ELNS1_11target_archE910ELNS1_3gpuE8ELNS1_3repE0EEENS1_30default_config_static_selectorELNS0_4arch9wavefront6targetE0EEEvT1_,"axG",@progbits,_ZN7rocprim17ROCPRIM_400000_NS6detail17trampoline_kernelINS0_14default_configENS1_27scan_by_key_config_selectorIxiEEZZNS1_16scan_by_key_implILNS1_25lookback_scan_determinismE0ELb1ES3_N6thrust23THRUST_200600_302600_NS6detail15normal_iteratorINS9_10device_ptrIxEEEESE_SE_iNS9_4plusIvEENS9_8equal_toIvEEiEE10hipError_tPvRmT2_T3_T4_T5_mT6_T7_P12ihipStream_tbENKUlT_T0_E_clISt17integral_constantIbLb0EESZ_EEDaSU_SV_EUlSU_E_NS1_11comp_targetILNS1_3genE4ELNS1_11target_archE910ELNS1_3gpuE8ELNS1_3repE0EEENS1_30default_config_static_selectorELNS0_4arch9wavefront6targetE0EEEvT1_,comdat
.Lfunc_end1005:
	.size	_ZN7rocprim17ROCPRIM_400000_NS6detail17trampoline_kernelINS0_14default_configENS1_27scan_by_key_config_selectorIxiEEZZNS1_16scan_by_key_implILNS1_25lookback_scan_determinismE0ELb1ES3_N6thrust23THRUST_200600_302600_NS6detail15normal_iteratorINS9_10device_ptrIxEEEESE_SE_iNS9_4plusIvEENS9_8equal_toIvEEiEE10hipError_tPvRmT2_T3_T4_T5_mT6_T7_P12ihipStream_tbENKUlT_T0_E_clISt17integral_constantIbLb0EESZ_EEDaSU_SV_EUlSU_E_NS1_11comp_targetILNS1_3genE4ELNS1_11target_archE910ELNS1_3gpuE8ELNS1_3repE0EEENS1_30default_config_static_selectorELNS0_4arch9wavefront6targetE0EEEvT1_, .Lfunc_end1005-_ZN7rocprim17ROCPRIM_400000_NS6detail17trampoline_kernelINS0_14default_configENS1_27scan_by_key_config_selectorIxiEEZZNS1_16scan_by_key_implILNS1_25lookback_scan_determinismE0ELb1ES3_N6thrust23THRUST_200600_302600_NS6detail15normal_iteratorINS9_10device_ptrIxEEEESE_SE_iNS9_4plusIvEENS9_8equal_toIvEEiEE10hipError_tPvRmT2_T3_T4_T5_mT6_T7_P12ihipStream_tbENKUlT_T0_E_clISt17integral_constantIbLb0EESZ_EEDaSU_SV_EUlSU_E_NS1_11comp_targetILNS1_3genE4ELNS1_11target_archE910ELNS1_3gpuE8ELNS1_3repE0EEENS1_30default_config_static_selectorELNS0_4arch9wavefront6targetE0EEEvT1_
                                        ; -- End function
	.set _ZN7rocprim17ROCPRIM_400000_NS6detail17trampoline_kernelINS0_14default_configENS1_27scan_by_key_config_selectorIxiEEZZNS1_16scan_by_key_implILNS1_25lookback_scan_determinismE0ELb1ES3_N6thrust23THRUST_200600_302600_NS6detail15normal_iteratorINS9_10device_ptrIxEEEESE_SE_iNS9_4plusIvEENS9_8equal_toIvEEiEE10hipError_tPvRmT2_T3_T4_T5_mT6_T7_P12ihipStream_tbENKUlT_T0_E_clISt17integral_constantIbLb0EESZ_EEDaSU_SV_EUlSU_E_NS1_11comp_targetILNS1_3genE4ELNS1_11target_archE910ELNS1_3gpuE8ELNS1_3repE0EEENS1_30default_config_static_selectorELNS0_4arch9wavefront6targetE0EEEvT1_.num_vgpr, 0
	.set _ZN7rocprim17ROCPRIM_400000_NS6detail17trampoline_kernelINS0_14default_configENS1_27scan_by_key_config_selectorIxiEEZZNS1_16scan_by_key_implILNS1_25lookback_scan_determinismE0ELb1ES3_N6thrust23THRUST_200600_302600_NS6detail15normal_iteratorINS9_10device_ptrIxEEEESE_SE_iNS9_4plusIvEENS9_8equal_toIvEEiEE10hipError_tPvRmT2_T3_T4_T5_mT6_T7_P12ihipStream_tbENKUlT_T0_E_clISt17integral_constantIbLb0EESZ_EEDaSU_SV_EUlSU_E_NS1_11comp_targetILNS1_3genE4ELNS1_11target_archE910ELNS1_3gpuE8ELNS1_3repE0EEENS1_30default_config_static_selectorELNS0_4arch9wavefront6targetE0EEEvT1_.num_agpr, 0
	.set _ZN7rocprim17ROCPRIM_400000_NS6detail17trampoline_kernelINS0_14default_configENS1_27scan_by_key_config_selectorIxiEEZZNS1_16scan_by_key_implILNS1_25lookback_scan_determinismE0ELb1ES3_N6thrust23THRUST_200600_302600_NS6detail15normal_iteratorINS9_10device_ptrIxEEEESE_SE_iNS9_4plusIvEENS9_8equal_toIvEEiEE10hipError_tPvRmT2_T3_T4_T5_mT6_T7_P12ihipStream_tbENKUlT_T0_E_clISt17integral_constantIbLb0EESZ_EEDaSU_SV_EUlSU_E_NS1_11comp_targetILNS1_3genE4ELNS1_11target_archE910ELNS1_3gpuE8ELNS1_3repE0EEENS1_30default_config_static_selectorELNS0_4arch9wavefront6targetE0EEEvT1_.numbered_sgpr, 0
	.set _ZN7rocprim17ROCPRIM_400000_NS6detail17trampoline_kernelINS0_14default_configENS1_27scan_by_key_config_selectorIxiEEZZNS1_16scan_by_key_implILNS1_25lookback_scan_determinismE0ELb1ES3_N6thrust23THRUST_200600_302600_NS6detail15normal_iteratorINS9_10device_ptrIxEEEESE_SE_iNS9_4plusIvEENS9_8equal_toIvEEiEE10hipError_tPvRmT2_T3_T4_T5_mT6_T7_P12ihipStream_tbENKUlT_T0_E_clISt17integral_constantIbLb0EESZ_EEDaSU_SV_EUlSU_E_NS1_11comp_targetILNS1_3genE4ELNS1_11target_archE910ELNS1_3gpuE8ELNS1_3repE0EEENS1_30default_config_static_selectorELNS0_4arch9wavefront6targetE0EEEvT1_.num_named_barrier, 0
	.set _ZN7rocprim17ROCPRIM_400000_NS6detail17trampoline_kernelINS0_14default_configENS1_27scan_by_key_config_selectorIxiEEZZNS1_16scan_by_key_implILNS1_25lookback_scan_determinismE0ELb1ES3_N6thrust23THRUST_200600_302600_NS6detail15normal_iteratorINS9_10device_ptrIxEEEESE_SE_iNS9_4plusIvEENS9_8equal_toIvEEiEE10hipError_tPvRmT2_T3_T4_T5_mT6_T7_P12ihipStream_tbENKUlT_T0_E_clISt17integral_constantIbLb0EESZ_EEDaSU_SV_EUlSU_E_NS1_11comp_targetILNS1_3genE4ELNS1_11target_archE910ELNS1_3gpuE8ELNS1_3repE0EEENS1_30default_config_static_selectorELNS0_4arch9wavefront6targetE0EEEvT1_.private_seg_size, 0
	.set _ZN7rocprim17ROCPRIM_400000_NS6detail17trampoline_kernelINS0_14default_configENS1_27scan_by_key_config_selectorIxiEEZZNS1_16scan_by_key_implILNS1_25lookback_scan_determinismE0ELb1ES3_N6thrust23THRUST_200600_302600_NS6detail15normal_iteratorINS9_10device_ptrIxEEEESE_SE_iNS9_4plusIvEENS9_8equal_toIvEEiEE10hipError_tPvRmT2_T3_T4_T5_mT6_T7_P12ihipStream_tbENKUlT_T0_E_clISt17integral_constantIbLb0EESZ_EEDaSU_SV_EUlSU_E_NS1_11comp_targetILNS1_3genE4ELNS1_11target_archE910ELNS1_3gpuE8ELNS1_3repE0EEENS1_30default_config_static_selectorELNS0_4arch9wavefront6targetE0EEEvT1_.uses_vcc, 0
	.set _ZN7rocprim17ROCPRIM_400000_NS6detail17trampoline_kernelINS0_14default_configENS1_27scan_by_key_config_selectorIxiEEZZNS1_16scan_by_key_implILNS1_25lookback_scan_determinismE0ELb1ES3_N6thrust23THRUST_200600_302600_NS6detail15normal_iteratorINS9_10device_ptrIxEEEESE_SE_iNS9_4plusIvEENS9_8equal_toIvEEiEE10hipError_tPvRmT2_T3_T4_T5_mT6_T7_P12ihipStream_tbENKUlT_T0_E_clISt17integral_constantIbLb0EESZ_EEDaSU_SV_EUlSU_E_NS1_11comp_targetILNS1_3genE4ELNS1_11target_archE910ELNS1_3gpuE8ELNS1_3repE0EEENS1_30default_config_static_selectorELNS0_4arch9wavefront6targetE0EEEvT1_.uses_flat_scratch, 0
	.set _ZN7rocprim17ROCPRIM_400000_NS6detail17trampoline_kernelINS0_14default_configENS1_27scan_by_key_config_selectorIxiEEZZNS1_16scan_by_key_implILNS1_25lookback_scan_determinismE0ELb1ES3_N6thrust23THRUST_200600_302600_NS6detail15normal_iteratorINS9_10device_ptrIxEEEESE_SE_iNS9_4plusIvEENS9_8equal_toIvEEiEE10hipError_tPvRmT2_T3_T4_T5_mT6_T7_P12ihipStream_tbENKUlT_T0_E_clISt17integral_constantIbLb0EESZ_EEDaSU_SV_EUlSU_E_NS1_11comp_targetILNS1_3genE4ELNS1_11target_archE910ELNS1_3gpuE8ELNS1_3repE0EEENS1_30default_config_static_selectorELNS0_4arch9wavefront6targetE0EEEvT1_.has_dyn_sized_stack, 0
	.set _ZN7rocprim17ROCPRIM_400000_NS6detail17trampoline_kernelINS0_14default_configENS1_27scan_by_key_config_selectorIxiEEZZNS1_16scan_by_key_implILNS1_25lookback_scan_determinismE0ELb1ES3_N6thrust23THRUST_200600_302600_NS6detail15normal_iteratorINS9_10device_ptrIxEEEESE_SE_iNS9_4plusIvEENS9_8equal_toIvEEiEE10hipError_tPvRmT2_T3_T4_T5_mT6_T7_P12ihipStream_tbENKUlT_T0_E_clISt17integral_constantIbLb0EESZ_EEDaSU_SV_EUlSU_E_NS1_11comp_targetILNS1_3genE4ELNS1_11target_archE910ELNS1_3gpuE8ELNS1_3repE0EEENS1_30default_config_static_selectorELNS0_4arch9wavefront6targetE0EEEvT1_.has_recursion, 0
	.set _ZN7rocprim17ROCPRIM_400000_NS6detail17trampoline_kernelINS0_14default_configENS1_27scan_by_key_config_selectorIxiEEZZNS1_16scan_by_key_implILNS1_25lookback_scan_determinismE0ELb1ES3_N6thrust23THRUST_200600_302600_NS6detail15normal_iteratorINS9_10device_ptrIxEEEESE_SE_iNS9_4plusIvEENS9_8equal_toIvEEiEE10hipError_tPvRmT2_T3_T4_T5_mT6_T7_P12ihipStream_tbENKUlT_T0_E_clISt17integral_constantIbLb0EESZ_EEDaSU_SV_EUlSU_E_NS1_11comp_targetILNS1_3genE4ELNS1_11target_archE910ELNS1_3gpuE8ELNS1_3repE0EEENS1_30default_config_static_selectorELNS0_4arch9wavefront6targetE0EEEvT1_.has_indirect_call, 0
	.section	.AMDGPU.csdata,"",@progbits
; Kernel info:
; codeLenInByte = 0
; TotalNumSgprs: 0
; NumVgprs: 0
; ScratchSize: 0
; MemoryBound: 0
; FloatMode: 240
; IeeeMode: 1
; LDSByteSize: 0 bytes/workgroup (compile time only)
; SGPRBlocks: 0
; VGPRBlocks: 0
; NumSGPRsForWavesPerEU: 1
; NumVGPRsForWavesPerEU: 1
; Occupancy: 16
; WaveLimiterHint : 0
; COMPUTE_PGM_RSRC2:SCRATCH_EN: 0
; COMPUTE_PGM_RSRC2:USER_SGPR: 6
; COMPUTE_PGM_RSRC2:TRAP_HANDLER: 0
; COMPUTE_PGM_RSRC2:TGID_X_EN: 1
; COMPUTE_PGM_RSRC2:TGID_Y_EN: 0
; COMPUTE_PGM_RSRC2:TGID_Z_EN: 0
; COMPUTE_PGM_RSRC2:TIDIG_COMP_CNT: 0
	.section	.text._ZN7rocprim17ROCPRIM_400000_NS6detail17trampoline_kernelINS0_14default_configENS1_27scan_by_key_config_selectorIxiEEZZNS1_16scan_by_key_implILNS1_25lookback_scan_determinismE0ELb1ES3_N6thrust23THRUST_200600_302600_NS6detail15normal_iteratorINS9_10device_ptrIxEEEESE_SE_iNS9_4plusIvEENS9_8equal_toIvEEiEE10hipError_tPvRmT2_T3_T4_T5_mT6_T7_P12ihipStream_tbENKUlT_T0_E_clISt17integral_constantIbLb0EESZ_EEDaSU_SV_EUlSU_E_NS1_11comp_targetILNS1_3genE3ELNS1_11target_archE908ELNS1_3gpuE7ELNS1_3repE0EEENS1_30default_config_static_selectorELNS0_4arch9wavefront6targetE0EEEvT1_,"axG",@progbits,_ZN7rocprim17ROCPRIM_400000_NS6detail17trampoline_kernelINS0_14default_configENS1_27scan_by_key_config_selectorIxiEEZZNS1_16scan_by_key_implILNS1_25lookback_scan_determinismE0ELb1ES3_N6thrust23THRUST_200600_302600_NS6detail15normal_iteratorINS9_10device_ptrIxEEEESE_SE_iNS9_4plusIvEENS9_8equal_toIvEEiEE10hipError_tPvRmT2_T3_T4_T5_mT6_T7_P12ihipStream_tbENKUlT_T0_E_clISt17integral_constantIbLb0EESZ_EEDaSU_SV_EUlSU_E_NS1_11comp_targetILNS1_3genE3ELNS1_11target_archE908ELNS1_3gpuE7ELNS1_3repE0EEENS1_30default_config_static_selectorELNS0_4arch9wavefront6targetE0EEEvT1_,comdat
	.protected	_ZN7rocprim17ROCPRIM_400000_NS6detail17trampoline_kernelINS0_14default_configENS1_27scan_by_key_config_selectorIxiEEZZNS1_16scan_by_key_implILNS1_25lookback_scan_determinismE0ELb1ES3_N6thrust23THRUST_200600_302600_NS6detail15normal_iteratorINS9_10device_ptrIxEEEESE_SE_iNS9_4plusIvEENS9_8equal_toIvEEiEE10hipError_tPvRmT2_T3_T4_T5_mT6_T7_P12ihipStream_tbENKUlT_T0_E_clISt17integral_constantIbLb0EESZ_EEDaSU_SV_EUlSU_E_NS1_11comp_targetILNS1_3genE3ELNS1_11target_archE908ELNS1_3gpuE7ELNS1_3repE0EEENS1_30default_config_static_selectorELNS0_4arch9wavefront6targetE0EEEvT1_ ; -- Begin function _ZN7rocprim17ROCPRIM_400000_NS6detail17trampoline_kernelINS0_14default_configENS1_27scan_by_key_config_selectorIxiEEZZNS1_16scan_by_key_implILNS1_25lookback_scan_determinismE0ELb1ES3_N6thrust23THRUST_200600_302600_NS6detail15normal_iteratorINS9_10device_ptrIxEEEESE_SE_iNS9_4plusIvEENS9_8equal_toIvEEiEE10hipError_tPvRmT2_T3_T4_T5_mT6_T7_P12ihipStream_tbENKUlT_T0_E_clISt17integral_constantIbLb0EESZ_EEDaSU_SV_EUlSU_E_NS1_11comp_targetILNS1_3genE3ELNS1_11target_archE908ELNS1_3gpuE7ELNS1_3repE0EEENS1_30default_config_static_selectorELNS0_4arch9wavefront6targetE0EEEvT1_
	.globl	_ZN7rocprim17ROCPRIM_400000_NS6detail17trampoline_kernelINS0_14default_configENS1_27scan_by_key_config_selectorIxiEEZZNS1_16scan_by_key_implILNS1_25lookback_scan_determinismE0ELb1ES3_N6thrust23THRUST_200600_302600_NS6detail15normal_iteratorINS9_10device_ptrIxEEEESE_SE_iNS9_4plusIvEENS9_8equal_toIvEEiEE10hipError_tPvRmT2_T3_T4_T5_mT6_T7_P12ihipStream_tbENKUlT_T0_E_clISt17integral_constantIbLb0EESZ_EEDaSU_SV_EUlSU_E_NS1_11comp_targetILNS1_3genE3ELNS1_11target_archE908ELNS1_3gpuE7ELNS1_3repE0EEENS1_30default_config_static_selectorELNS0_4arch9wavefront6targetE0EEEvT1_
	.p2align	8
	.type	_ZN7rocprim17ROCPRIM_400000_NS6detail17trampoline_kernelINS0_14default_configENS1_27scan_by_key_config_selectorIxiEEZZNS1_16scan_by_key_implILNS1_25lookback_scan_determinismE0ELb1ES3_N6thrust23THRUST_200600_302600_NS6detail15normal_iteratorINS9_10device_ptrIxEEEESE_SE_iNS9_4plusIvEENS9_8equal_toIvEEiEE10hipError_tPvRmT2_T3_T4_T5_mT6_T7_P12ihipStream_tbENKUlT_T0_E_clISt17integral_constantIbLb0EESZ_EEDaSU_SV_EUlSU_E_NS1_11comp_targetILNS1_3genE3ELNS1_11target_archE908ELNS1_3gpuE7ELNS1_3repE0EEENS1_30default_config_static_selectorELNS0_4arch9wavefront6targetE0EEEvT1_,@function
_ZN7rocprim17ROCPRIM_400000_NS6detail17trampoline_kernelINS0_14default_configENS1_27scan_by_key_config_selectorIxiEEZZNS1_16scan_by_key_implILNS1_25lookback_scan_determinismE0ELb1ES3_N6thrust23THRUST_200600_302600_NS6detail15normal_iteratorINS9_10device_ptrIxEEEESE_SE_iNS9_4plusIvEENS9_8equal_toIvEEiEE10hipError_tPvRmT2_T3_T4_T5_mT6_T7_P12ihipStream_tbENKUlT_T0_E_clISt17integral_constantIbLb0EESZ_EEDaSU_SV_EUlSU_E_NS1_11comp_targetILNS1_3genE3ELNS1_11target_archE908ELNS1_3gpuE7ELNS1_3repE0EEENS1_30default_config_static_selectorELNS0_4arch9wavefront6targetE0EEEvT1_: ; @_ZN7rocprim17ROCPRIM_400000_NS6detail17trampoline_kernelINS0_14default_configENS1_27scan_by_key_config_selectorIxiEEZZNS1_16scan_by_key_implILNS1_25lookback_scan_determinismE0ELb1ES3_N6thrust23THRUST_200600_302600_NS6detail15normal_iteratorINS9_10device_ptrIxEEEESE_SE_iNS9_4plusIvEENS9_8equal_toIvEEiEE10hipError_tPvRmT2_T3_T4_T5_mT6_T7_P12ihipStream_tbENKUlT_T0_E_clISt17integral_constantIbLb0EESZ_EEDaSU_SV_EUlSU_E_NS1_11comp_targetILNS1_3genE3ELNS1_11target_archE908ELNS1_3gpuE7ELNS1_3repE0EEENS1_30default_config_static_selectorELNS0_4arch9wavefront6targetE0EEEvT1_
; %bb.0:
	.section	.rodata,"a",@progbits
	.p2align	6, 0x0
	.amdhsa_kernel _ZN7rocprim17ROCPRIM_400000_NS6detail17trampoline_kernelINS0_14default_configENS1_27scan_by_key_config_selectorIxiEEZZNS1_16scan_by_key_implILNS1_25lookback_scan_determinismE0ELb1ES3_N6thrust23THRUST_200600_302600_NS6detail15normal_iteratorINS9_10device_ptrIxEEEESE_SE_iNS9_4plusIvEENS9_8equal_toIvEEiEE10hipError_tPvRmT2_T3_T4_T5_mT6_T7_P12ihipStream_tbENKUlT_T0_E_clISt17integral_constantIbLb0EESZ_EEDaSU_SV_EUlSU_E_NS1_11comp_targetILNS1_3genE3ELNS1_11target_archE908ELNS1_3gpuE7ELNS1_3repE0EEENS1_30default_config_static_selectorELNS0_4arch9wavefront6targetE0EEEvT1_
		.amdhsa_group_segment_fixed_size 0
		.amdhsa_private_segment_fixed_size 0
		.amdhsa_kernarg_size 112
		.amdhsa_user_sgpr_count 6
		.amdhsa_user_sgpr_private_segment_buffer 1
		.amdhsa_user_sgpr_dispatch_ptr 0
		.amdhsa_user_sgpr_queue_ptr 0
		.amdhsa_user_sgpr_kernarg_segment_ptr 1
		.amdhsa_user_sgpr_dispatch_id 0
		.amdhsa_user_sgpr_flat_scratch_init 0
		.amdhsa_user_sgpr_private_segment_size 0
		.amdhsa_wavefront_size32 1
		.amdhsa_uses_dynamic_stack 0
		.amdhsa_system_sgpr_private_segment_wavefront_offset 0
		.amdhsa_system_sgpr_workgroup_id_x 1
		.amdhsa_system_sgpr_workgroup_id_y 0
		.amdhsa_system_sgpr_workgroup_id_z 0
		.amdhsa_system_sgpr_workgroup_info 0
		.amdhsa_system_vgpr_workitem_id 0
		.amdhsa_next_free_vgpr 1
		.amdhsa_next_free_sgpr 1
		.amdhsa_reserve_vcc 0
		.amdhsa_reserve_flat_scratch 0
		.amdhsa_float_round_mode_32 0
		.amdhsa_float_round_mode_16_64 0
		.amdhsa_float_denorm_mode_32 3
		.amdhsa_float_denorm_mode_16_64 3
		.amdhsa_dx10_clamp 1
		.amdhsa_ieee_mode 1
		.amdhsa_fp16_overflow 0
		.amdhsa_workgroup_processor_mode 1
		.amdhsa_memory_ordered 1
		.amdhsa_forward_progress 1
		.amdhsa_shared_vgpr_count 0
		.amdhsa_exception_fp_ieee_invalid_op 0
		.amdhsa_exception_fp_denorm_src 0
		.amdhsa_exception_fp_ieee_div_zero 0
		.amdhsa_exception_fp_ieee_overflow 0
		.amdhsa_exception_fp_ieee_underflow 0
		.amdhsa_exception_fp_ieee_inexact 0
		.amdhsa_exception_int_div_zero 0
	.end_amdhsa_kernel
	.section	.text._ZN7rocprim17ROCPRIM_400000_NS6detail17trampoline_kernelINS0_14default_configENS1_27scan_by_key_config_selectorIxiEEZZNS1_16scan_by_key_implILNS1_25lookback_scan_determinismE0ELb1ES3_N6thrust23THRUST_200600_302600_NS6detail15normal_iteratorINS9_10device_ptrIxEEEESE_SE_iNS9_4plusIvEENS9_8equal_toIvEEiEE10hipError_tPvRmT2_T3_T4_T5_mT6_T7_P12ihipStream_tbENKUlT_T0_E_clISt17integral_constantIbLb0EESZ_EEDaSU_SV_EUlSU_E_NS1_11comp_targetILNS1_3genE3ELNS1_11target_archE908ELNS1_3gpuE7ELNS1_3repE0EEENS1_30default_config_static_selectorELNS0_4arch9wavefront6targetE0EEEvT1_,"axG",@progbits,_ZN7rocprim17ROCPRIM_400000_NS6detail17trampoline_kernelINS0_14default_configENS1_27scan_by_key_config_selectorIxiEEZZNS1_16scan_by_key_implILNS1_25lookback_scan_determinismE0ELb1ES3_N6thrust23THRUST_200600_302600_NS6detail15normal_iteratorINS9_10device_ptrIxEEEESE_SE_iNS9_4plusIvEENS9_8equal_toIvEEiEE10hipError_tPvRmT2_T3_T4_T5_mT6_T7_P12ihipStream_tbENKUlT_T0_E_clISt17integral_constantIbLb0EESZ_EEDaSU_SV_EUlSU_E_NS1_11comp_targetILNS1_3genE3ELNS1_11target_archE908ELNS1_3gpuE7ELNS1_3repE0EEENS1_30default_config_static_selectorELNS0_4arch9wavefront6targetE0EEEvT1_,comdat
.Lfunc_end1006:
	.size	_ZN7rocprim17ROCPRIM_400000_NS6detail17trampoline_kernelINS0_14default_configENS1_27scan_by_key_config_selectorIxiEEZZNS1_16scan_by_key_implILNS1_25lookback_scan_determinismE0ELb1ES3_N6thrust23THRUST_200600_302600_NS6detail15normal_iteratorINS9_10device_ptrIxEEEESE_SE_iNS9_4plusIvEENS9_8equal_toIvEEiEE10hipError_tPvRmT2_T3_T4_T5_mT6_T7_P12ihipStream_tbENKUlT_T0_E_clISt17integral_constantIbLb0EESZ_EEDaSU_SV_EUlSU_E_NS1_11comp_targetILNS1_3genE3ELNS1_11target_archE908ELNS1_3gpuE7ELNS1_3repE0EEENS1_30default_config_static_selectorELNS0_4arch9wavefront6targetE0EEEvT1_, .Lfunc_end1006-_ZN7rocprim17ROCPRIM_400000_NS6detail17trampoline_kernelINS0_14default_configENS1_27scan_by_key_config_selectorIxiEEZZNS1_16scan_by_key_implILNS1_25lookback_scan_determinismE0ELb1ES3_N6thrust23THRUST_200600_302600_NS6detail15normal_iteratorINS9_10device_ptrIxEEEESE_SE_iNS9_4plusIvEENS9_8equal_toIvEEiEE10hipError_tPvRmT2_T3_T4_T5_mT6_T7_P12ihipStream_tbENKUlT_T0_E_clISt17integral_constantIbLb0EESZ_EEDaSU_SV_EUlSU_E_NS1_11comp_targetILNS1_3genE3ELNS1_11target_archE908ELNS1_3gpuE7ELNS1_3repE0EEENS1_30default_config_static_selectorELNS0_4arch9wavefront6targetE0EEEvT1_
                                        ; -- End function
	.set _ZN7rocprim17ROCPRIM_400000_NS6detail17trampoline_kernelINS0_14default_configENS1_27scan_by_key_config_selectorIxiEEZZNS1_16scan_by_key_implILNS1_25lookback_scan_determinismE0ELb1ES3_N6thrust23THRUST_200600_302600_NS6detail15normal_iteratorINS9_10device_ptrIxEEEESE_SE_iNS9_4plusIvEENS9_8equal_toIvEEiEE10hipError_tPvRmT2_T3_T4_T5_mT6_T7_P12ihipStream_tbENKUlT_T0_E_clISt17integral_constantIbLb0EESZ_EEDaSU_SV_EUlSU_E_NS1_11comp_targetILNS1_3genE3ELNS1_11target_archE908ELNS1_3gpuE7ELNS1_3repE0EEENS1_30default_config_static_selectorELNS0_4arch9wavefront6targetE0EEEvT1_.num_vgpr, 0
	.set _ZN7rocprim17ROCPRIM_400000_NS6detail17trampoline_kernelINS0_14default_configENS1_27scan_by_key_config_selectorIxiEEZZNS1_16scan_by_key_implILNS1_25lookback_scan_determinismE0ELb1ES3_N6thrust23THRUST_200600_302600_NS6detail15normal_iteratorINS9_10device_ptrIxEEEESE_SE_iNS9_4plusIvEENS9_8equal_toIvEEiEE10hipError_tPvRmT2_T3_T4_T5_mT6_T7_P12ihipStream_tbENKUlT_T0_E_clISt17integral_constantIbLb0EESZ_EEDaSU_SV_EUlSU_E_NS1_11comp_targetILNS1_3genE3ELNS1_11target_archE908ELNS1_3gpuE7ELNS1_3repE0EEENS1_30default_config_static_selectorELNS0_4arch9wavefront6targetE0EEEvT1_.num_agpr, 0
	.set _ZN7rocprim17ROCPRIM_400000_NS6detail17trampoline_kernelINS0_14default_configENS1_27scan_by_key_config_selectorIxiEEZZNS1_16scan_by_key_implILNS1_25lookback_scan_determinismE0ELb1ES3_N6thrust23THRUST_200600_302600_NS6detail15normal_iteratorINS9_10device_ptrIxEEEESE_SE_iNS9_4plusIvEENS9_8equal_toIvEEiEE10hipError_tPvRmT2_T3_T4_T5_mT6_T7_P12ihipStream_tbENKUlT_T0_E_clISt17integral_constantIbLb0EESZ_EEDaSU_SV_EUlSU_E_NS1_11comp_targetILNS1_3genE3ELNS1_11target_archE908ELNS1_3gpuE7ELNS1_3repE0EEENS1_30default_config_static_selectorELNS0_4arch9wavefront6targetE0EEEvT1_.numbered_sgpr, 0
	.set _ZN7rocprim17ROCPRIM_400000_NS6detail17trampoline_kernelINS0_14default_configENS1_27scan_by_key_config_selectorIxiEEZZNS1_16scan_by_key_implILNS1_25lookback_scan_determinismE0ELb1ES3_N6thrust23THRUST_200600_302600_NS6detail15normal_iteratorINS9_10device_ptrIxEEEESE_SE_iNS9_4plusIvEENS9_8equal_toIvEEiEE10hipError_tPvRmT2_T3_T4_T5_mT6_T7_P12ihipStream_tbENKUlT_T0_E_clISt17integral_constantIbLb0EESZ_EEDaSU_SV_EUlSU_E_NS1_11comp_targetILNS1_3genE3ELNS1_11target_archE908ELNS1_3gpuE7ELNS1_3repE0EEENS1_30default_config_static_selectorELNS0_4arch9wavefront6targetE0EEEvT1_.num_named_barrier, 0
	.set _ZN7rocprim17ROCPRIM_400000_NS6detail17trampoline_kernelINS0_14default_configENS1_27scan_by_key_config_selectorIxiEEZZNS1_16scan_by_key_implILNS1_25lookback_scan_determinismE0ELb1ES3_N6thrust23THRUST_200600_302600_NS6detail15normal_iteratorINS9_10device_ptrIxEEEESE_SE_iNS9_4plusIvEENS9_8equal_toIvEEiEE10hipError_tPvRmT2_T3_T4_T5_mT6_T7_P12ihipStream_tbENKUlT_T0_E_clISt17integral_constantIbLb0EESZ_EEDaSU_SV_EUlSU_E_NS1_11comp_targetILNS1_3genE3ELNS1_11target_archE908ELNS1_3gpuE7ELNS1_3repE0EEENS1_30default_config_static_selectorELNS0_4arch9wavefront6targetE0EEEvT1_.private_seg_size, 0
	.set _ZN7rocprim17ROCPRIM_400000_NS6detail17trampoline_kernelINS0_14default_configENS1_27scan_by_key_config_selectorIxiEEZZNS1_16scan_by_key_implILNS1_25lookback_scan_determinismE0ELb1ES3_N6thrust23THRUST_200600_302600_NS6detail15normal_iteratorINS9_10device_ptrIxEEEESE_SE_iNS9_4plusIvEENS9_8equal_toIvEEiEE10hipError_tPvRmT2_T3_T4_T5_mT6_T7_P12ihipStream_tbENKUlT_T0_E_clISt17integral_constantIbLb0EESZ_EEDaSU_SV_EUlSU_E_NS1_11comp_targetILNS1_3genE3ELNS1_11target_archE908ELNS1_3gpuE7ELNS1_3repE0EEENS1_30default_config_static_selectorELNS0_4arch9wavefront6targetE0EEEvT1_.uses_vcc, 0
	.set _ZN7rocprim17ROCPRIM_400000_NS6detail17trampoline_kernelINS0_14default_configENS1_27scan_by_key_config_selectorIxiEEZZNS1_16scan_by_key_implILNS1_25lookback_scan_determinismE0ELb1ES3_N6thrust23THRUST_200600_302600_NS6detail15normal_iteratorINS9_10device_ptrIxEEEESE_SE_iNS9_4plusIvEENS9_8equal_toIvEEiEE10hipError_tPvRmT2_T3_T4_T5_mT6_T7_P12ihipStream_tbENKUlT_T0_E_clISt17integral_constantIbLb0EESZ_EEDaSU_SV_EUlSU_E_NS1_11comp_targetILNS1_3genE3ELNS1_11target_archE908ELNS1_3gpuE7ELNS1_3repE0EEENS1_30default_config_static_selectorELNS0_4arch9wavefront6targetE0EEEvT1_.uses_flat_scratch, 0
	.set _ZN7rocprim17ROCPRIM_400000_NS6detail17trampoline_kernelINS0_14default_configENS1_27scan_by_key_config_selectorIxiEEZZNS1_16scan_by_key_implILNS1_25lookback_scan_determinismE0ELb1ES3_N6thrust23THRUST_200600_302600_NS6detail15normal_iteratorINS9_10device_ptrIxEEEESE_SE_iNS9_4plusIvEENS9_8equal_toIvEEiEE10hipError_tPvRmT2_T3_T4_T5_mT6_T7_P12ihipStream_tbENKUlT_T0_E_clISt17integral_constantIbLb0EESZ_EEDaSU_SV_EUlSU_E_NS1_11comp_targetILNS1_3genE3ELNS1_11target_archE908ELNS1_3gpuE7ELNS1_3repE0EEENS1_30default_config_static_selectorELNS0_4arch9wavefront6targetE0EEEvT1_.has_dyn_sized_stack, 0
	.set _ZN7rocprim17ROCPRIM_400000_NS6detail17trampoline_kernelINS0_14default_configENS1_27scan_by_key_config_selectorIxiEEZZNS1_16scan_by_key_implILNS1_25lookback_scan_determinismE0ELb1ES3_N6thrust23THRUST_200600_302600_NS6detail15normal_iteratorINS9_10device_ptrIxEEEESE_SE_iNS9_4plusIvEENS9_8equal_toIvEEiEE10hipError_tPvRmT2_T3_T4_T5_mT6_T7_P12ihipStream_tbENKUlT_T0_E_clISt17integral_constantIbLb0EESZ_EEDaSU_SV_EUlSU_E_NS1_11comp_targetILNS1_3genE3ELNS1_11target_archE908ELNS1_3gpuE7ELNS1_3repE0EEENS1_30default_config_static_selectorELNS0_4arch9wavefront6targetE0EEEvT1_.has_recursion, 0
	.set _ZN7rocprim17ROCPRIM_400000_NS6detail17trampoline_kernelINS0_14default_configENS1_27scan_by_key_config_selectorIxiEEZZNS1_16scan_by_key_implILNS1_25lookback_scan_determinismE0ELb1ES3_N6thrust23THRUST_200600_302600_NS6detail15normal_iteratorINS9_10device_ptrIxEEEESE_SE_iNS9_4plusIvEENS9_8equal_toIvEEiEE10hipError_tPvRmT2_T3_T4_T5_mT6_T7_P12ihipStream_tbENKUlT_T0_E_clISt17integral_constantIbLb0EESZ_EEDaSU_SV_EUlSU_E_NS1_11comp_targetILNS1_3genE3ELNS1_11target_archE908ELNS1_3gpuE7ELNS1_3repE0EEENS1_30default_config_static_selectorELNS0_4arch9wavefront6targetE0EEEvT1_.has_indirect_call, 0
	.section	.AMDGPU.csdata,"",@progbits
; Kernel info:
; codeLenInByte = 0
; TotalNumSgprs: 0
; NumVgprs: 0
; ScratchSize: 0
; MemoryBound: 0
; FloatMode: 240
; IeeeMode: 1
; LDSByteSize: 0 bytes/workgroup (compile time only)
; SGPRBlocks: 0
; VGPRBlocks: 0
; NumSGPRsForWavesPerEU: 1
; NumVGPRsForWavesPerEU: 1
; Occupancy: 16
; WaveLimiterHint : 0
; COMPUTE_PGM_RSRC2:SCRATCH_EN: 0
; COMPUTE_PGM_RSRC2:USER_SGPR: 6
; COMPUTE_PGM_RSRC2:TRAP_HANDLER: 0
; COMPUTE_PGM_RSRC2:TGID_X_EN: 1
; COMPUTE_PGM_RSRC2:TGID_Y_EN: 0
; COMPUTE_PGM_RSRC2:TGID_Z_EN: 0
; COMPUTE_PGM_RSRC2:TIDIG_COMP_CNT: 0
	.section	.text._ZN7rocprim17ROCPRIM_400000_NS6detail17trampoline_kernelINS0_14default_configENS1_27scan_by_key_config_selectorIxiEEZZNS1_16scan_by_key_implILNS1_25lookback_scan_determinismE0ELb1ES3_N6thrust23THRUST_200600_302600_NS6detail15normal_iteratorINS9_10device_ptrIxEEEESE_SE_iNS9_4plusIvEENS9_8equal_toIvEEiEE10hipError_tPvRmT2_T3_T4_T5_mT6_T7_P12ihipStream_tbENKUlT_T0_E_clISt17integral_constantIbLb0EESZ_EEDaSU_SV_EUlSU_E_NS1_11comp_targetILNS1_3genE2ELNS1_11target_archE906ELNS1_3gpuE6ELNS1_3repE0EEENS1_30default_config_static_selectorELNS0_4arch9wavefront6targetE0EEEvT1_,"axG",@progbits,_ZN7rocprim17ROCPRIM_400000_NS6detail17trampoline_kernelINS0_14default_configENS1_27scan_by_key_config_selectorIxiEEZZNS1_16scan_by_key_implILNS1_25lookback_scan_determinismE0ELb1ES3_N6thrust23THRUST_200600_302600_NS6detail15normal_iteratorINS9_10device_ptrIxEEEESE_SE_iNS9_4plusIvEENS9_8equal_toIvEEiEE10hipError_tPvRmT2_T3_T4_T5_mT6_T7_P12ihipStream_tbENKUlT_T0_E_clISt17integral_constantIbLb0EESZ_EEDaSU_SV_EUlSU_E_NS1_11comp_targetILNS1_3genE2ELNS1_11target_archE906ELNS1_3gpuE6ELNS1_3repE0EEENS1_30default_config_static_selectorELNS0_4arch9wavefront6targetE0EEEvT1_,comdat
	.protected	_ZN7rocprim17ROCPRIM_400000_NS6detail17trampoline_kernelINS0_14default_configENS1_27scan_by_key_config_selectorIxiEEZZNS1_16scan_by_key_implILNS1_25lookback_scan_determinismE0ELb1ES3_N6thrust23THRUST_200600_302600_NS6detail15normal_iteratorINS9_10device_ptrIxEEEESE_SE_iNS9_4plusIvEENS9_8equal_toIvEEiEE10hipError_tPvRmT2_T3_T4_T5_mT6_T7_P12ihipStream_tbENKUlT_T0_E_clISt17integral_constantIbLb0EESZ_EEDaSU_SV_EUlSU_E_NS1_11comp_targetILNS1_3genE2ELNS1_11target_archE906ELNS1_3gpuE6ELNS1_3repE0EEENS1_30default_config_static_selectorELNS0_4arch9wavefront6targetE0EEEvT1_ ; -- Begin function _ZN7rocprim17ROCPRIM_400000_NS6detail17trampoline_kernelINS0_14default_configENS1_27scan_by_key_config_selectorIxiEEZZNS1_16scan_by_key_implILNS1_25lookback_scan_determinismE0ELb1ES3_N6thrust23THRUST_200600_302600_NS6detail15normal_iteratorINS9_10device_ptrIxEEEESE_SE_iNS9_4plusIvEENS9_8equal_toIvEEiEE10hipError_tPvRmT2_T3_T4_T5_mT6_T7_P12ihipStream_tbENKUlT_T0_E_clISt17integral_constantIbLb0EESZ_EEDaSU_SV_EUlSU_E_NS1_11comp_targetILNS1_3genE2ELNS1_11target_archE906ELNS1_3gpuE6ELNS1_3repE0EEENS1_30default_config_static_selectorELNS0_4arch9wavefront6targetE0EEEvT1_
	.globl	_ZN7rocprim17ROCPRIM_400000_NS6detail17trampoline_kernelINS0_14default_configENS1_27scan_by_key_config_selectorIxiEEZZNS1_16scan_by_key_implILNS1_25lookback_scan_determinismE0ELb1ES3_N6thrust23THRUST_200600_302600_NS6detail15normal_iteratorINS9_10device_ptrIxEEEESE_SE_iNS9_4plusIvEENS9_8equal_toIvEEiEE10hipError_tPvRmT2_T3_T4_T5_mT6_T7_P12ihipStream_tbENKUlT_T0_E_clISt17integral_constantIbLb0EESZ_EEDaSU_SV_EUlSU_E_NS1_11comp_targetILNS1_3genE2ELNS1_11target_archE906ELNS1_3gpuE6ELNS1_3repE0EEENS1_30default_config_static_selectorELNS0_4arch9wavefront6targetE0EEEvT1_
	.p2align	8
	.type	_ZN7rocprim17ROCPRIM_400000_NS6detail17trampoline_kernelINS0_14default_configENS1_27scan_by_key_config_selectorIxiEEZZNS1_16scan_by_key_implILNS1_25lookback_scan_determinismE0ELb1ES3_N6thrust23THRUST_200600_302600_NS6detail15normal_iteratorINS9_10device_ptrIxEEEESE_SE_iNS9_4plusIvEENS9_8equal_toIvEEiEE10hipError_tPvRmT2_T3_T4_T5_mT6_T7_P12ihipStream_tbENKUlT_T0_E_clISt17integral_constantIbLb0EESZ_EEDaSU_SV_EUlSU_E_NS1_11comp_targetILNS1_3genE2ELNS1_11target_archE906ELNS1_3gpuE6ELNS1_3repE0EEENS1_30default_config_static_selectorELNS0_4arch9wavefront6targetE0EEEvT1_,@function
_ZN7rocprim17ROCPRIM_400000_NS6detail17trampoline_kernelINS0_14default_configENS1_27scan_by_key_config_selectorIxiEEZZNS1_16scan_by_key_implILNS1_25lookback_scan_determinismE0ELb1ES3_N6thrust23THRUST_200600_302600_NS6detail15normal_iteratorINS9_10device_ptrIxEEEESE_SE_iNS9_4plusIvEENS9_8equal_toIvEEiEE10hipError_tPvRmT2_T3_T4_T5_mT6_T7_P12ihipStream_tbENKUlT_T0_E_clISt17integral_constantIbLb0EESZ_EEDaSU_SV_EUlSU_E_NS1_11comp_targetILNS1_3genE2ELNS1_11target_archE906ELNS1_3gpuE6ELNS1_3repE0EEENS1_30default_config_static_selectorELNS0_4arch9wavefront6targetE0EEEvT1_: ; @_ZN7rocprim17ROCPRIM_400000_NS6detail17trampoline_kernelINS0_14default_configENS1_27scan_by_key_config_selectorIxiEEZZNS1_16scan_by_key_implILNS1_25lookback_scan_determinismE0ELb1ES3_N6thrust23THRUST_200600_302600_NS6detail15normal_iteratorINS9_10device_ptrIxEEEESE_SE_iNS9_4plusIvEENS9_8equal_toIvEEiEE10hipError_tPvRmT2_T3_T4_T5_mT6_T7_P12ihipStream_tbENKUlT_T0_E_clISt17integral_constantIbLb0EESZ_EEDaSU_SV_EUlSU_E_NS1_11comp_targetILNS1_3genE2ELNS1_11target_archE906ELNS1_3gpuE6ELNS1_3repE0EEENS1_30default_config_static_selectorELNS0_4arch9wavefront6targetE0EEEvT1_
; %bb.0:
	.section	.rodata,"a",@progbits
	.p2align	6, 0x0
	.amdhsa_kernel _ZN7rocprim17ROCPRIM_400000_NS6detail17trampoline_kernelINS0_14default_configENS1_27scan_by_key_config_selectorIxiEEZZNS1_16scan_by_key_implILNS1_25lookback_scan_determinismE0ELb1ES3_N6thrust23THRUST_200600_302600_NS6detail15normal_iteratorINS9_10device_ptrIxEEEESE_SE_iNS9_4plusIvEENS9_8equal_toIvEEiEE10hipError_tPvRmT2_T3_T4_T5_mT6_T7_P12ihipStream_tbENKUlT_T0_E_clISt17integral_constantIbLb0EESZ_EEDaSU_SV_EUlSU_E_NS1_11comp_targetILNS1_3genE2ELNS1_11target_archE906ELNS1_3gpuE6ELNS1_3repE0EEENS1_30default_config_static_selectorELNS0_4arch9wavefront6targetE0EEEvT1_
		.amdhsa_group_segment_fixed_size 0
		.amdhsa_private_segment_fixed_size 0
		.amdhsa_kernarg_size 112
		.amdhsa_user_sgpr_count 6
		.amdhsa_user_sgpr_private_segment_buffer 1
		.amdhsa_user_sgpr_dispatch_ptr 0
		.amdhsa_user_sgpr_queue_ptr 0
		.amdhsa_user_sgpr_kernarg_segment_ptr 1
		.amdhsa_user_sgpr_dispatch_id 0
		.amdhsa_user_sgpr_flat_scratch_init 0
		.amdhsa_user_sgpr_private_segment_size 0
		.amdhsa_wavefront_size32 1
		.amdhsa_uses_dynamic_stack 0
		.amdhsa_system_sgpr_private_segment_wavefront_offset 0
		.amdhsa_system_sgpr_workgroup_id_x 1
		.amdhsa_system_sgpr_workgroup_id_y 0
		.amdhsa_system_sgpr_workgroup_id_z 0
		.amdhsa_system_sgpr_workgroup_info 0
		.amdhsa_system_vgpr_workitem_id 0
		.amdhsa_next_free_vgpr 1
		.amdhsa_next_free_sgpr 1
		.amdhsa_reserve_vcc 0
		.amdhsa_reserve_flat_scratch 0
		.amdhsa_float_round_mode_32 0
		.amdhsa_float_round_mode_16_64 0
		.amdhsa_float_denorm_mode_32 3
		.amdhsa_float_denorm_mode_16_64 3
		.amdhsa_dx10_clamp 1
		.amdhsa_ieee_mode 1
		.amdhsa_fp16_overflow 0
		.amdhsa_workgroup_processor_mode 1
		.amdhsa_memory_ordered 1
		.amdhsa_forward_progress 1
		.amdhsa_shared_vgpr_count 0
		.amdhsa_exception_fp_ieee_invalid_op 0
		.amdhsa_exception_fp_denorm_src 0
		.amdhsa_exception_fp_ieee_div_zero 0
		.amdhsa_exception_fp_ieee_overflow 0
		.amdhsa_exception_fp_ieee_underflow 0
		.amdhsa_exception_fp_ieee_inexact 0
		.amdhsa_exception_int_div_zero 0
	.end_amdhsa_kernel
	.section	.text._ZN7rocprim17ROCPRIM_400000_NS6detail17trampoline_kernelINS0_14default_configENS1_27scan_by_key_config_selectorIxiEEZZNS1_16scan_by_key_implILNS1_25lookback_scan_determinismE0ELb1ES3_N6thrust23THRUST_200600_302600_NS6detail15normal_iteratorINS9_10device_ptrIxEEEESE_SE_iNS9_4plusIvEENS9_8equal_toIvEEiEE10hipError_tPvRmT2_T3_T4_T5_mT6_T7_P12ihipStream_tbENKUlT_T0_E_clISt17integral_constantIbLb0EESZ_EEDaSU_SV_EUlSU_E_NS1_11comp_targetILNS1_3genE2ELNS1_11target_archE906ELNS1_3gpuE6ELNS1_3repE0EEENS1_30default_config_static_selectorELNS0_4arch9wavefront6targetE0EEEvT1_,"axG",@progbits,_ZN7rocprim17ROCPRIM_400000_NS6detail17trampoline_kernelINS0_14default_configENS1_27scan_by_key_config_selectorIxiEEZZNS1_16scan_by_key_implILNS1_25lookback_scan_determinismE0ELb1ES3_N6thrust23THRUST_200600_302600_NS6detail15normal_iteratorINS9_10device_ptrIxEEEESE_SE_iNS9_4plusIvEENS9_8equal_toIvEEiEE10hipError_tPvRmT2_T3_T4_T5_mT6_T7_P12ihipStream_tbENKUlT_T0_E_clISt17integral_constantIbLb0EESZ_EEDaSU_SV_EUlSU_E_NS1_11comp_targetILNS1_3genE2ELNS1_11target_archE906ELNS1_3gpuE6ELNS1_3repE0EEENS1_30default_config_static_selectorELNS0_4arch9wavefront6targetE0EEEvT1_,comdat
.Lfunc_end1007:
	.size	_ZN7rocprim17ROCPRIM_400000_NS6detail17trampoline_kernelINS0_14default_configENS1_27scan_by_key_config_selectorIxiEEZZNS1_16scan_by_key_implILNS1_25lookback_scan_determinismE0ELb1ES3_N6thrust23THRUST_200600_302600_NS6detail15normal_iteratorINS9_10device_ptrIxEEEESE_SE_iNS9_4plusIvEENS9_8equal_toIvEEiEE10hipError_tPvRmT2_T3_T4_T5_mT6_T7_P12ihipStream_tbENKUlT_T0_E_clISt17integral_constantIbLb0EESZ_EEDaSU_SV_EUlSU_E_NS1_11comp_targetILNS1_3genE2ELNS1_11target_archE906ELNS1_3gpuE6ELNS1_3repE0EEENS1_30default_config_static_selectorELNS0_4arch9wavefront6targetE0EEEvT1_, .Lfunc_end1007-_ZN7rocprim17ROCPRIM_400000_NS6detail17trampoline_kernelINS0_14default_configENS1_27scan_by_key_config_selectorIxiEEZZNS1_16scan_by_key_implILNS1_25lookback_scan_determinismE0ELb1ES3_N6thrust23THRUST_200600_302600_NS6detail15normal_iteratorINS9_10device_ptrIxEEEESE_SE_iNS9_4plusIvEENS9_8equal_toIvEEiEE10hipError_tPvRmT2_T3_T4_T5_mT6_T7_P12ihipStream_tbENKUlT_T0_E_clISt17integral_constantIbLb0EESZ_EEDaSU_SV_EUlSU_E_NS1_11comp_targetILNS1_3genE2ELNS1_11target_archE906ELNS1_3gpuE6ELNS1_3repE0EEENS1_30default_config_static_selectorELNS0_4arch9wavefront6targetE0EEEvT1_
                                        ; -- End function
	.set _ZN7rocprim17ROCPRIM_400000_NS6detail17trampoline_kernelINS0_14default_configENS1_27scan_by_key_config_selectorIxiEEZZNS1_16scan_by_key_implILNS1_25lookback_scan_determinismE0ELb1ES3_N6thrust23THRUST_200600_302600_NS6detail15normal_iteratorINS9_10device_ptrIxEEEESE_SE_iNS9_4plusIvEENS9_8equal_toIvEEiEE10hipError_tPvRmT2_T3_T4_T5_mT6_T7_P12ihipStream_tbENKUlT_T0_E_clISt17integral_constantIbLb0EESZ_EEDaSU_SV_EUlSU_E_NS1_11comp_targetILNS1_3genE2ELNS1_11target_archE906ELNS1_3gpuE6ELNS1_3repE0EEENS1_30default_config_static_selectorELNS0_4arch9wavefront6targetE0EEEvT1_.num_vgpr, 0
	.set _ZN7rocprim17ROCPRIM_400000_NS6detail17trampoline_kernelINS0_14default_configENS1_27scan_by_key_config_selectorIxiEEZZNS1_16scan_by_key_implILNS1_25lookback_scan_determinismE0ELb1ES3_N6thrust23THRUST_200600_302600_NS6detail15normal_iteratorINS9_10device_ptrIxEEEESE_SE_iNS9_4plusIvEENS9_8equal_toIvEEiEE10hipError_tPvRmT2_T3_T4_T5_mT6_T7_P12ihipStream_tbENKUlT_T0_E_clISt17integral_constantIbLb0EESZ_EEDaSU_SV_EUlSU_E_NS1_11comp_targetILNS1_3genE2ELNS1_11target_archE906ELNS1_3gpuE6ELNS1_3repE0EEENS1_30default_config_static_selectorELNS0_4arch9wavefront6targetE0EEEvT1_.num_agpr, 0
	.set _ZN7rocprim17ROCPRIM_400000_NS6detail17trampoline_kernelINS0_14default_configENS1_27scan_by_key_config_selectorIxiEEZZNS1_16scan_by_key_implILNS1_25lookback_scan_determinismE0ELb1ES3_N6thrust23THRUST_200600_302600_NS6detail15normal_iteratorINS9_10device_ptrIxEEEESE_SE_iNS9_4plusIvEENS9_8equal_toIvEEiEE10hipError_tPvRmT2_T3_T4_T5_mT6_T7_P12ihipStream_tbENKUlT_T0_E_clISt17integral_constantIbLb0EESZ_EEDaSU_SV_EUlSU_E_NS1_11comp_targetILNS1_3genE2ELNS1_11target_archE906ELNS1_3gpuE6ELNS1_3repE0EEENS1_30default_config_static_selectorELNS0_4arch9wavefront6targetE0EEEvT1_.numbered_sgpr, 0
	.set _ZN7rocprim17ROCPRIM_400000_NS6detail17trampoline_kernelINS0_14default_configENS1_27scan_by_key_config_selectorIxiEEZZNS1_16scan_by_key_implILNS1_25lookback_scan_determinismE0ELb1ES3_N6thrust23THRUST_200600_302600_NS6detail15normal_iteratorINS9_10device_ptrIxEEEESE_SE_iNS9_4plusIvEENS9_8equal_toIvEEiEE10hipError_tPvRmT2_T3_T4_T5_mT6_T7_P12ihipStream_tbENKUlT_T0_E_clISt17integral_constantIbLb0EESZ_EEDaSU_SV_EUlSU_E_NS1_11comp_targetILNS1_3genE2ELNS1_11target_archE906ELNS1_3gpuE6ELNS1_3repE0EEENS1_30default_config_static_selectorELNS0_4arch9wavefront6targetE0EEEvT1_.num_named_barrier, 0
	.set _ZN7rocprim17ROCPRIM_400000_NS6detail17trampoline_kernelINS0_14default_configENS1_27scan_by_key_config_selectorIxiEEZZNS1_16scan_by_key_implILNS1_25lookback_scan_determinismE0ELb1ES3_N6thrust23THRUST_200600_302600_NS6detail15normal_iteratorINS9_10device_ptrIxEEEESE_SE_iNS9_4plusIvEENS9_8equal_toIvEEiEE10hipError_tPvRmT2_T3_T4_T5_mT6_T7_P12ihipStream_tbENKUlT_T0_E_clISt17integral_constantIbLb0EESZ_EEDaSU_SV_EUlSU_E_NS1_11comp_targetILNS1_3genE2ELNS1_11target_archE906ELNS1_3gpuE6ELNS1_3repE0EEENS1_30default_config_static_selectorELNS0_4arch9wavefront6targetE0EEEvT1_.private_seg_size, 0
	.set _ZN7rocprim17ROCPRIM_400000_NS6detail17trampoline_kernelINS0_14default_configENS1_27scan_by_key_config_selectorIxiEEZZNS1_16scan_by_key_implILNS1_25lookback_scan_determinismE0ELb1ES3_N6thrust23THRUST_200600_302600_NS6detail15normal_iteratorINS9_10device_ptrIxEEEESE_SE_iNS9_4plusIvEENS9_8equal_toIvEEiEE10hipError_tPvRmT2_T3_T4_T5_mT6_T7_P12ihipStream_tbENKUlT_T0_E_clISt17integral_constantIbLb0EESZ_EEDaSU_SV_EUlSU_E_NS1_11comp_targetILNS1_3genE2ELNS1_11target_archE906ELNS1_3gpuE6ELNS1_3repE0EEENS1_30default_config_static_selectorELNS0_4arch9wavefront6targetE0EEEvT1_.uses_vcc, 0
	.set _ZN7rocprim17ROCPRIM_400000_NS6detail17trampoline_kernelINS0_14default_configENS1_27scan_by_key_config_selectorIxiEEZZNS1_16scan_by_key_implILNS1_25lookback_scan_determinismE0ELb1ES3_N6thrust23THRUST_200600_302600_NS6detail15normal_iteratorINS9_10device_ptrIxEEEESE_SE_iNS9_4plusIvEENS9_8equal_toIvEEiEE10hipError_tPvRmT2_T3_T4_T5_mT6_T7_P12ihipStream_tbENKUlT_T0_E_clISt17integral_constantIbLb0EESZ_EEDaSU_SV_EUlSU_E_NS1_11comp_targetILNS1_3genE2ELNS1_11target_archE906ELNS1_3gpuE6ELNS1_3repE0EEENS1_30default_config_static_selectorELNS0_4arch9wavefront6targetE0EEEvT1_.uses_flat_scratch, 0
	.set _ZN7rocprim17ROCPRIM_400000_NS6detail17trampoline_kernelINS0_14default_configENS1_27scan_by_key_config_selectorIxiEEZZNS1_16scan_by_key_implILNS1_25lookback_scan_determinismE0ELb1ES3_N6thrust23THRUST_200600_302600_NS6detail15normal_iteratorINS9_10device_ptrIxEEEESE_SE_iNS9_4plusIvEENS9_8equal_toIvEEiEE10hipError_tPvRmT2_T3_T4_T5_mT6_T7_P12ihipStream_tbENKUlT_T0_E_clISt17integral_constantIbLb0EESZ_EEDaSU_SV_EUlSU_E_NS1_11comp_targetILNS1_3genE2ELNS1_11target_archE906ELNS1_3gpuE6ELNS1_3repE0EEENS1_30default_config_static_selectorELNS0_4arch9wavefront6targetE0EEEvT1_.has_dyn_sized_stack, 0
	.set _ZN7rocprim17ROCPRIM_400000_NS6detail17trampoline_kernelINS0_14default_configENS1_27scan_by_key_config_selectorIxiEEZZNS1_16scan_by_key_implILNS1_25lookback_scan_determinismE0ELb1ES3_N6thrust23THRUST_200600_302600_NS6detail15normal_iteratorINS9_10device_ptrIxEEEESE_SE_iNS9_4plusIvEENS9_8equal_toIvEEiEE10hipError_tPvRmT2_T3_T4_T5_mT6_T7_P12ihipStream_tbENKUlT_T0_E_clISt17integral_constantIbLb0EESZ_EEDaSU_SV_EUlSU_E_NS1_11comp_targetILNS1_3genE2ELNS1_11target_archE906ELNS1_3gpuE6ELNS1_3repE0EEENS1_30default_config_static_selectorELNS0_4arch9wavefront6targetE0EEEvT1_.has_recursion, 0
	.set _ZN7rocprim17ROCPRIM_400000_NS6detail17trampoline_kernelINS0_14default_configENS1_27scan_by_key_config_selectorIxiEEZZNS1_16scan_by_key_implILNS1_25lookback_scan_determinismE0ELb1ES3_N6thrust23THRUST_200600_302600_NS6detail15normal_iteratorINS9_10device_ptrIxEEEESE_SE_iNS9_4plusIvEENS9_8equal_toIvEEiEE10hipError_tPvRmT2_T3_T4_T5_mT6_T7_P12ihipStream_tbENKUlT_T0_E_clISt17integral_constantIbLb0EESZ_EEDaSU_SV_EUlSU_E_NS1_11comp_targetILNS1_3genE2ELNS1_11target_archE906ELNS1_3gpuE6ELNS1_3repE0EEENS1_30default_config_static_selectorELNS0_4arch9wavefront6targetE0EEEvT1_.has_indirect_call, 0
	.section	.AMDGPU.csdata,"",@progbits
; Kernel info:
; codeLenInByte = 0
; TotalNumSgprs: 0
; NumVgprs: 0
; ScratchSize: 0
; MemoryBound: 0
; FloatMode: 240
; IeeeMode: 1
; LDSByteSize: 0 bytes/workgroup (compile time only)
; SGPRBlocks: 0
; VGPRBlocks: 0
; NumSGPRsForWavesPerEU: 1
; NumVGPRsForWavesPerEU: 1
; Occupancy: 16
; WaveLimiterHint : 0
; COMPUTE_PGM_RSRC2:SCRATCH_EN: 0
; COMPUTE_PGM_RSRC2:USER_SGPR: 6
; COMPUTE_PGM_RSRC2:TRAP_HANDLER: 0
; COMPUTE_PGM_RSRC2:TGID_X_EN: 1
; COMPUTE_PGM_RSRC2:TGID_Y_EN: 0
; COMPUTE_PGM_RSRC2:TGID_Z_EN: 0
; COMPUTE_PGM_RSRC2:TIDIG_COMP_CNT: 0
	.section	.text._ZN7rocprim17ROCPRIM_400000_NS6detail17trampoline_kernelINS0_14default_configENS1_27scan_by_key_config_selectorIxiEEZZNS1_16scan_by_key_implILNS1_25lookback_scan_determinismE0ELb1ES3_N6thrust23THRUST_200600_302600_NS6detail15normal_iteratorINS9_10device_ptrIxEEEESE_SE_iNS9_4plusIvEENS9_8equal_toIvEEiEE10hipError_tPvRmT2_T3_T4_T5_mT6_T7_P12ihipStream_tbENKUlT_T0_E_clISt17integral_constantIbLb0EESZ_EEDaSU_SV_EUlSU_E_NS1_11comp_targetILNS1_3genE10ELNS1_11target_archE1200ELNS1_3gpuE4ELNS1_3repE0EEENS1_30default_config_static_selectorELNS0_4arch9wavefront6targetE0EEEvT1_,"axG",@progbits,_ZN7rocprim17ROCPRIM_400000_NS6detail17trampoline_kernelINS0_14default_configENS1_27scan_by_key_config_selectorIxiEEZZNS1_16scan_by_key_implILNS1_25lookback_scan_determinismE0ELb1ES3_N6thrust23THRUST_200600_302600_NS6detail15normal_iteratorINS9_10device_ptrIxEEEESE_SE_iNS9_4plusIvEENS9_8equal_toIvEEiEE10hipError_tPvRmT2_T3_T4_T5_mT6_T7_P12ihipStream_tbENKUlT_T0_E_clISt17integral_constantIbLb0EESZ_EEDaSU_SV_EUlSU_E_NS1_11comp_targetILNS1_3genE10ELNS1_11target_archE1200ELNS1_3gpuE4ELNS1_3repE0EEENS1_30default_config_static_selectorELNS0_4arch9wavefront6targetE0EEEvT1_,comdat
	.protected	_ZN7rocprim17ROCPRIM_400000_NS6detail17trampoline_kernelINS0_14default_configENS1_27scan_by_key_config_selectorIxiEEZZNS1_16scan_by_key_implILNS1_25lookback_scan_determinismE0ELb1ES3_N6thrust23THRUST_200600_302600_NS6detail15normal_iteratorINS9_10device_ptrIxEEEESE_SE_iNS9_4plusIvEENS9_8equal_toIvEEiEE10hipError_tPvRmT2_T3_T4_T5_mT6_T7_P12ihipStream_tbENKUlT_T0_E_clISt17integral_constantIbLb0EESZ_EEDaSU_SV_EUlSU_E_NS1_11comp_targetILNS1_3genE10ELNS1_11target_archE1200ELNS1_3gpuE4ELNS1_3repE0EEENS1_30default_config_static_selectorELNS0_4arch9wavefront6targetE0EEEvT1_ ; -- Begin function _ZN7rocprim17ROCPRIM_400000_NS6detail17trampoline_kernelINS0_14default_configENS1_27scan_by_key_config_selectorIxiEEZZNS1_16scan_by_key_implILNS1_25lookback_scan_determinismE0ELb1ES3_N6thrust23THRUST_200600_302600_NS6detail15normal_iteratorINS9_10device_ptrIxEEEESE_SE_iNS9_4plusIvEENS9_8equal_toIvEEiEE10hipError_tPvRmT2_T3_T4_T5_mT6_T7_P12ihipStream_tbENKUlT_T0_E_clISt17integral_constantIbLb0EESZ_EEDaSU_SV_EUlSU_E_NS1_11comp_targetILNS1_3genE10ELNS1_11target_archE1200ELNS1_3gpuE4ELNS1_3repE0EEENS1_30default_config_static_selectorELNS0_4arch9wavefront6targetE0EEEvT1_
	.globl	_ZN7rocprim17ROCPRIM_400000_NS6detail17trampoline_kernelINS0_14default_configENS1_27scan_by_key_config_selectorIxiEEZZNS1_16scan_by_key_implILNS1_25lookback_scan_determinismE0ELb1ES3_N6thrust23THRUST_200600_302600_NS6detail15normal_iteratorINS9_10device_ptrIxEEEESE_SE_iNS9_4plusIvEENS9_8equal_toIvEEiEE10hipError_tPvRmT2_T3_T4_T5_mT6_T7_P12ihipStream_tbENKUlT_T0_E_clISt17integral_constantIbLb0EESZ_EEDaSU_SV_EUlSU_E_NS1_11comp_targetILNS1_3genE10ELNS1_11target_archE1200ELNS1_3gpuE4ELNS1_3repE0EEENS1_30default_config_static_selectorELNS0_4arch9wavefront6targetE0EEEvT1_
	.p2align	8
	.type	_ZN7rocprim17ROCPRIM_400000_NS6detail17trampoline_kernelINS0_14default_configENS1_27scan_by_key_config_selectorIxiEEZZNS1_16scan_by_key_implILNS1_25lookback_scan_determinismE0ELb1ES3_N6thrust23THRUST_200600_302600_NS6detail15normal_iteratorINS9_10device_ptrIxEEEESE_SE_iNS9_4plusIvEENS9_8equal_toIvEEiEE10hipError_tPvRmT2_T3_T4_T5_mT6_T7_P12ihipStream_tbENKUlT_T0_E_clISt17integral_constantIbLb0EESZ_EEDaSU_SV_EUlSU_E_NS1_11comp_targetILNS1_3genE10ELNS1_11target_archE1200ELNS1_3gpuE4ELNS1_3repE0EEENS1_30default_config_static_selectorELNS0_4arch9wavefront6targetE0EEEvT1_,@function
_ZN7rocprim17ROCPRIM_400000_NS6detail17trampoline_kernelINS0_14default_configENS1_27scan_by_key_config_selectorIxiEEZZNS1_16scan_by_key_implILNS1_25lookback_scan_determinismE0ELb1ES3_N6thrust23THRUST_200600_302600_NS6detail15normal_iteratorINS9_10device_ptrIxEEEESE_SE_iNS9_4plusIvEENS9_8equal_toIvEEiEE10hipError_tPvRmT2_T3_T4_T5_mT6_T7_P12ihipStream_tbENKUlT_T0_E_clISt17integral_constantIbLb0EESZ_EEDaSU_SV_EUlSU_E_NS1_11comp_targetILNS1_3genE10ELNS1_11target_archE1200ELNS1_3gpuE4ELNS1_3repE0EEENS1_30default_config_static_selectorELNS0_4arch9wavefront6targetE0EEEvT1_: ; @_ZN7rocprim17ROCPRIM_400000_NS6detail17trampoline_kernelINS0_14default_configENS1_27scan_by_key_config_selectorIxiEEZZNS1_16scan_by_key_implILNS1_25lookback_scan_determinismE0ELb1ES3_N6thrust23THRUST_200600_302600_NS6detail15normal_iteratorINS9_10device_ptrIxEEEESE_SE_iNS9_4plusIvEENS9_8equal_toIvEEiEE10hipError_tPvRmT2_T3_T4_T5_mT6_T7_P12ihipStream_tbENKUlT_T0_E_clISt17integral_constantIbLb0EESZ_EEDaSU_SV_EUlSU_E_NS1_11comp_targetILNS1_3genE10ELNS1_11target_archE1200ELNS1_3gpuE4ELNS1_3repE0EEENS1_30default_config_static_selectorELNS0_4arch9wavefront6targetE0EEEvT1_
; %bb.0:
	.section	.rodata,"a",@progbits
	.p2align	6, 0x0
	.amdhsa_kernel _ZN7rocprim17ROCPRIM_400000_NS6detail17trampoline_kernelINS0_14default_configENS1_27scan_by_key_config_selectorIxiEEZZNS1_16scan_by_key_implILNS1_25lookback_scan_determinismE0ELb1ES3_N6thrust23THRUST_200600_302600_NS6detail15normal_iteratorINS9_10device_ptrIxEEEESE_SE_iNS9_4plusIvEENS9_8equal_toIvEEiEE10hipError_tPvRmT2_T3_T4_T5_mT6_T7_P12ihipStream_tbENKUlT_T0_E_clISt17integral_constantIbLb0EESZ_EEDaSU_SV_EUlSU_E_NS1_11comp_targetILNS1_3genE10ELNS1_11target_archE1200ELNS1_3gpuE4ELNS1_3repE0EEENS1_30default_config_static_selectorELNS0_4arch9wavefront6targetE0EEEvT1_
		.amdhsa_group_segment_fixed_size 0
		.amdhsa_private_segment_fixed_size 0
		.amdhsa_kernarg_size 112
		.amdhsa_user_sgpr_count 6
		.amdhsa_user_sgpr_private_segment_buffer 1
		.amdhsa_user_sgpr_dispatch_ptr 0
		.amdhsa_user_sgpr_queue_ptr 0
		.amdhsa_user_sgpr_kernarg_segment_ptr 1
		.amdhsa_user_sgpr_dispatch_id 0
		.amdhsa_user_sgpr_flat_scratch_init 0
		.amdhsa_user_sgpr_private_segment_size 0
		.amdhsa_wavefront_size32 1
		.amdhsa_uses_dynamic_stack 0
		.amdhsa_system_sgpr_private_segment_wavefront_offset 0
		.amdhsa_system_sgpr_workgroup_id_x 1
		.amdhsa_system_sgpr_workgroup_id_y 0
		.amdhsa_system_sgpr_workgroup_id_z 0
		.amdhsa_system_sgpr_workgroup_info 0
		.amdhsa_system_vgpr_workitem_id 0
		.amdhsa_next_free_vgpr 1
		.amdhsa_next_free_sgpr 1
		.amdhsa_reserve_vcc 0
		.amdhsa_reserve_flat_scratch 0
		.amdhsa_float_round_mode_32 0
		.amdhsa_float_round_mode_16_64 0
		.amdhsa_float_denorm_mode_32 3
		.amdhsa_float_denorm_mode_16_64 3
		.amdhsa_dx10_clamp 1
		.amdhsa_ieee_mode 1
		.amdhsa_fp16_overflow 0
		.amdhsa_workgroup_processor_mode 1
		.amdhsa_memory_ordered 1
		.amdhsa_forward_progress 1
		.amdhsa_shared_vgpr_count 0
		.amdhsa_exception_fp_ieee_invalid_op 0
		.amdhsa_exception_fp_denorm_src 0
		.amdhsa_exception_fp_ieee_div_zero 0
		.amdhsa_exception_fp_ieee_overflow 0
		.amdhsa_exception_fp_ieee_underflow 0
		.amdhsa_exception_fp_ieee_inexact 0
		.amdhsa_exception_int_div_zero 0
	.end_amdhsa_kernel
	.section	.text._ZN7rocprim17ROCPRIM_400000_NS6detail17trampoline_kernelINS0_14default_configENS1_27scan_by_key_config_selectorIxiEEZZNS1_16scan_by_key_implILNS1_25lookback_scan_determinismE0ELb1ES3_N6thrust23THRUST_200600_302600_NS6detail15normal_iteratorINS9_10device_ptrIxEEEESE_SE_iNS9_4plusIvEENS9_8equal_toIvEEiEE10hipError_tPvRmT2_T3_T4_T5_mT6_T7_P12ihipStream_tbENKUlT_T0_E_clISt17integral_constantIbLb0EESZ_EEDaSU_SV_EUlSU_E_NS1_11comp_targetILNS1_3genE10ELNS1_11target_archE1200ELNS1_3gpuE4ELNS1_3repE0EEENS1_30default_config_static_selectorELNS0_4arch9wavefront6targetE0EEEvT1_,"axG",@progbits,_ZN7rocprim17ROCPRIM_400000_NS6detail17trampoline_kernelINS0_14default_configENS1_27scan_by_key_config_selectorIxiEEZZNS1_16scan_by_key_implILNS1_25lookback_scan_determinismE0ELb1ES3_N6thrust23THRUST_200600_302600_NS6detail15normal_iteratorINS9_10device_ptrIxEEEESE_SE_iNS9_4plusIvEENS9_8equal_toIvEEiEE10hipError_tPvRmT2_T3_T4_T5_mT6_T7_P12ihipStream_tbENKUlT_T0_E_clISt17integral_constantIbLb0EESZ_EEDaSU_SV_EUlSU_E_NS1_11comp_targetILNS1_3genE10ELNS1_11target_archE1200ELNS1_3gpuE4ELNS1_3repE0EEENS1_30default_config_static_selectorELNS0_4arch9wavefront6targetE0EEEvT1_,comdat
.Lfunc_end1008:
	.size	_ZN7rocprim17ROCPRIM_400000_NS6detail17trampoline_kernelINS0_14default_configENS1_27scan_by_key_config_selectorIxiEEZZNS1_16scan_by_key_implILNS1_25lookback_scan_determinismE0ELb1ES3_N6thrust23THRUST_200600_302600_NS6detail15normal_iteratorINS9_10device_ptrIxEEEESE_SE_iNS9_4plusIvEENS9_8equal_toIvEEiEE10hipError_tPvRmT2_T3_T4_T5_mT6_T7_P12ihipStream_tbENKUlT_T0_E_clISt17integral_constantIbLb0EESZ_EEDaSU_SV_EUlSU_E_NS1_11comp_targetILNS1_3genE10ELNS1_11target_archE1200ELNS1_3gpuE4ELNS1_3repE0EEENS1_30default_config_static_selectorELNS0_4arch9wavefront6targetE0EEEvT1_, .Lfunc_end1008-_ZN7rocprim17ROCPRIM_400000_NS6detail17trampoline_kernelINS0_14default_configENS1_27scan_by_key_config_selectorIxiEEZZNS1_16scan_by_key_implILNS1_25lookback_scan_determinismE0ELb1ES3_N6thrust23THRUST_200600_302600_NS6detail15normal_iteratorINS9_10device_ptrIxEEEESE_SE_iNS9_4plusIvEENS9_8equal_toIvEEiEE10hipError_tPvRmT2_T3_T4_T5_mT6_T7_P12ihipStream_tbENKUlT_T0_E_clISt17integral_constantIbLb0EESZ_EEDaSU_SV_EUlSU_E_NS1_11comp_targetILNS1_3genE10ELNS1_11target_archE1200ELNS1_3gpuE4ELNS1_3repE0EEENS1_30default_config_static_selectorELNS0_4arch9wavefront6targetE0EEEvT1_
                                        ; -- End function
	.set _ZN7rocprim17ROCPRIM_400000_NS6detail17trampoline_kernelINS0_14default_configENS1_27scan_by_key_config_selectorIxiEEZZNS1_16scan_by_key_implILNS1_25lookback_scan_determinismE0ELb1ES3_N6thrust23THRUST_200600_302600_NS6detail15normal_iteratorINS9_10device_ptrIxEEEESE_SE_iNS9_4plusIvEENS9_8equal_toIvEEiEE10hipError_tPvRmT2_T3_T4_T5_mT6_T7_P12ihipStream_tbENKUlT_T0_E_clISt17integral_constantIbLb0EESZ_EEDaSU_SV_EUlSU_E_NS1_11comp_targetILNS1_3genE10ELNS1_11target_archE1200ELNS1_3gpuE4ELNS1_3repE0EEENS1_30default_config_static_selectorELNS0_4arch9wavefront6targetE0EEEvT1_.num_vgpr, 0
	.set _ZN7rocprim17ROCPRIM_400000_NS6detail17trampoline_kernelINS0_14default_configENS1_27scan_by_key_config_selectorIxiEEZZNS1_16scan_by_key_implILNS1_25lookback_scan_determinismE0ELb1ES3_N6thrust23THRUST_200600_302600_NS6detail15normal_iteratorINS9_10device_ptrIxEEEESE_SE_iNS9_4plusIvEENS9_8equal_toIvEEiEE10hipError_tPvRmT2_T3_T4_T5_mT6_T7_P12ihipStream_tbENKUlT_T0_E_clISt17integral_constantIbLb0EESZ_EEDaSU_SV_EUlSU_E_NS1_11comp_targetILNS1_3genE10ELNS1_11target_archE1200ELNS1_3gpuE4ELNS1_3repE0EEENS1_30default_config_static_selectorELNS0_4arch9wavefront6targetE0EEEvT1_.num_agpr, 0
	.set _ZN7rocprim17ROCPRIM_400000_NS6detail17trampoline_kernelINS0_14default_configENS1_27scan_by_key_config_selectorIxiEEZZNS1_16scan_by_key_implILNS1_25lookback_scan_determinismE0ELb1ES3_N6thrust23THRUST_200600_302600_NS6detail15normal_iteratorINS9_10device_ptrIxEEEESE_SE_iNS9_4plusIvEENS9_8equal_toIvEEiEE10hipError_tPvRmT2_T3_T4_T5_mT6_T7_P12ihipStream_tbENKUlT_T0_E_clISt17integral_constantIbLb0EESZ_EEDaSU_SV_EUlSU_E_NS1_11comp_targetILNS1_3genE10ELNS1_11target_archE1200ELNS1_3gpuE4ELNS1_3repE0EEENS1_30default_config_static_selectorELNS0_4arch9wavefront6targetE0EEEvT1_.numbered_sgpr, 0
	.set _ZN7rocprim17ROCPRIM_400000_NS6detail17trampoline_kernelINS0_14default_configENS1_27scan_by_key_config_selectorIxiEEZZNS1_16scan_by_key_implILNS1_25lookback_scan_determinismE0ELb1ES3_N6thrust23THRUST_200600_302600_NS6detail15normal_iteratorINS9_10device_ptrIxEEEESE_SE_iNS9_4plusIvEENS9_8equal_toIvEEiEE10hipError_tPvRmT2_T3_T4_T5_mT6_T7_P12ihipStream_tbENKUlT_T0_E_clISt17integral_constantIbLb0EESZ_EEDaSU_SV_EUlSU_E_NS1_11comp_targetILNS1_3genE10ELNS1_11target_archE1200ELNS1_3gpuE4ELNS1_3repE0EEENS1_30default_config_static_selectorELNS0_4arch9wavefront6targetE0EEEvT1_.num_named_barrier, 0
	.set _ZN7rocprim17ROCPRIM_400000_NS6detail17trampoline_kernelINS0_14default_configENS1_27scan_by_key_config_selectorIxiEEZZNS1_16scan_by_key_implILNS1_25lookback_scan_determinismE0ELb1ES3_N6thrust23THRUST_200600_302600_NS6detail15normal_iteratorINS9_10device_ptrIxEEEESE_SE_iNS9_4plusIvEENS9_8equal_toIvEEiEE10hipError_tPvRmT2_T3_T4_T5_mT6_T7_P12ihipStream_tbENKUlT_T0_E_clISt17integral_constantIbLb0EESZ_EEDaSU_SV_EUlSU_E_NS1_11comp_targetILNS1_3genE10ELNS1_11target_archE1200ELNS1_3gpuE4ELNS1_3repE0EEENS1_30default_config_static_selectorELNS0_4arch9wavefront6targetE0EEEvT1_.private_seg_size, 0
	.set _ZN7rocprim17ROCPRIM_400000_NS6detail17trampoline_kernelINS0_14default_configENS1_27scan_by_key_config_selectorIxiEEZZNS1_16scan_by_key_implILNS1_25lookback_scan_determinismE0ELb1ES3_N6thrust23THRUST_200600_302600_NS6detail15normal_iteratorINS9_10device_ptrIxEEEESE_SE_iNS9_4plusIvEENS9_8equal_toIvEEiEE10hipError_tPvRmT2_T3_T4_T5_mT6_T7_P12ihipStream_tbENKUlT_T0_E_clISt17integral_constantIbLb0EESZ_EEDaSU_SV_EUlSU_E_NS1_11comp_targetILNS1_3genE10ELNS1_11target_archE1200ELNS1_3gpuE4ELNS1_3repE0EEENS1_30default_config_static_selectorELNS0_4arch9wavefront6targetE0EEEvT1_.uses_vcc, 0
	.set _ZN7rocprim17ROCPRIM_400000_NS6detail17trampoline_kernelINS0_14default_configENS1_27scan_by_key_config_selectorIxiEEZZNS1_16scan_by_key_implILNS1_25lookback_scan_determinismE0ELb1ES3_N6thrust23THRUST_200600_302600_NS6detail15normal_iteratorINS9_10device_ptrIxEEEESE_SE_iNS9_4plusIvEENS9_8equal_toIvEEiEE10hipError_tPvRmT2_T3_T4_T5_mT6_T7_P12ihipStream_tbENKUlT_T0_E_clISt17integral_constantIbLb0EESZ_EEDaSU_SV_EUlSU_E_NS1_11comp_targetILNS1_3genE10ELNS1_11target_archE1200ELNS1_3gpuE4ELNS1_3repE0EEENS1_30default_config_static_selectorELNS0_4arch9wavefront6targetE0EEEvT1_.uses_flat_scratch, 0
	.set _ZN7rocprim17ROCPRIM_400000_NS6detail17trampoline_kernelINS0_14default_configENS1_27scan_by_key_config_selectorIxiEEZZNS1_16scan_by_key_implILNS1_25lookback_scan_determinismE0ELb1ES3_N6thrust23THRUST_200600_302600_NS6detail15normal_iteratorINS9_10device_ptrIxEEEESE_SE_iNS9_4plusIvEENS9_8equal_toIvEEiEE10hipError_tPvRmT2_T3_T4_T5_mT6_T7_P12ihipStream_tbENKUlT_T0_E_clISt17integral_constantIbLb0EESZ_EEDaSU_SV_EUlSU_E_NS1_11comp_targetILNS1_3genE10ELNS1_11target_archE1200ELNS1_3gpuE4ELNS1_3repE0EEENS1_30default_config_static_selectorELNS0_4arch9wavefront6targetE0EEEvT1_.has_dyn_sized_stack, 0
	.set _ZN7rocprim17ROCPRIM_400000_NS6detail17trampoline_kernelINS0_14default_configENS1_27scan_by_key_config_selectorIxiEEZZNS1_16scan_by_key_implILNS1_25lookback_scan_determinismE0ELb1ES3_N6thrust23THRUST_200600_302600_NS6detail15normal_iteratorINS9_10device_ptrIxEEEESE_SE_iNS9_4plusIvEENS9_8equal_toIvEEiEE10hipError_tPvRmT2_T3_T4_T5_mT6_T7_P12ihipStream_tbENKUlT_T0_E_clISt17integral_constantIbLb0EESZ_EEDaSU_SV_EUlSU_E_NS1_11comp_targetILNS1_3genE10ELNS1_11target_archE1200ELNS1_3gpuE4ELNS1_3repE0EEENS1_30default_config_static_selectorELNS0_4arch9wavefront6targetE0EEEvT1_.has_recursion, 0
	.set _ZN7rocprim17ROCPRIM_400000_NS6detail17trampoline_kernelINS0_14default_configENS1_27scan_by_key_config_selectorIxiEEZZNS1_16scan_by_key_implILNS1_25lookback_scan_determinismE0ELb1ES3_N6thrust23THRUST_200600_302600_NS6detail15normal_iteratorINS9_10device_ptrIxEEEESE_SE_iNS9_4plusIvEENS9_8equal_toIvEEiEE10hipError_tPvRmT2_T3_T4_T5_mT6_T7_P12ihipStream_tbENKUlT_T0_E_clISt17integral_constantIbLb0EESZ_EEDaSU_SV_EUlSU_E_NS1_11comp_targetILNS1_3genE10ELNS1_11target_archE1200ELNS1_3gpuE4ELNS1_3repE0EEENS1_30default_config_static_selectorELNS0_4arch9wavefront6targetE0EEEvT1_.has_indirect_call, 0
	.section	.AMDGPU.csdata,"",@progbits
; Kernel info:
; codeLenInByte = 0
; TotalNumSgprs: 0
; NumVgprs: 0
; ScratchSize: 0
; MemoryBound: 0
; FloatMode: 240
; IeeeMode: 1
; LDSByteSize: 0 bytes/workgroup (compile time only)
; SGPRBlocks: 0
; VGPRBlocks: 0
; NumSGPRsForWavesPerEU: 1
; NumVGPRsForWavesPerEU: 1
; Occupancy: 16
; WaveLimiterHint : 0
; COMPUTE_PGM_RSRC2:SCRATCH_EN: 0
; COMPUTE_PGM_RSRC2:USER_SGPR: 6
; COMPUTE_PGM_RSRC2:TRAP_HANDLER: 0
; COMPUTE_PGM_RSRC2:TGID_X_EN: 1
; COMPUTE_PGM_RSRC2:TGID_Y_EN: 0
; COMPUTE_PGM_RSRC2:TGID_Z_EN: 0
; COMPUTE_PGM_RSRC2:TIDIG_COMP_CNT: 0
	.section	.text._ZN7rocprim17ROCPRIM_400000_NS6detail17trampoline_kernelINS0_14default_configENS1_27scan_by_key_config_selectorIxiEEZZNS1_16scan_by_key_implILNS1_25lookback_scan_determinismE0ELb1ES3_N6thrust23THRUST_200600_302600_NS6detail15normal_iteratorINS9_10device_ptrIxEEEESE_SE_iNS9_4plusIvEENS9_8equal_toIvEEiEE10hipError_tPvRmT2_T3_T4_T5_mT6_T7_P12ihipStream_tbENKUlT_T0_E_clISt17integral_constantIbLb0EESZ_EEDaSU_SV_EUlSU_E_NS1_11comp_targetILNS1_3genE9ELNS1_11target_archE1100ELNS1_3gpuE3ELNS1_3repE0EEENS1_30default_config_static_selectorELNS0_4arch9wavefront6targetE0EEEvT1_,"axG",@progbits,_ZN7rocprim17ROCPRIM_400000_NS6detail17trampoline_kernelINS0_14default_configENS1_27scan_by_key_config_selectorIxiEEZZNS1_16scan_by_key_implILNS1_25lookback_scan_determinismE0ELb1ES3_N6thrust23THRUST_200600_302600_NS6detail15normal_iteratorINS9_10device_ptrIxEEEESE_SE_iNS9_4plusIvEENS9_8equal_toIvEEiEE10hipError_tPvRmT2_T3_T4_T5_mT6_T7_P12ihipStream_tbENKUlT_T0_E_clISt17integral_constantIbLb0EESZ_EEDaSU_SV_EUlSU_E_NS1_11comp_targetILNS1_3genE9ELNS1_11target_archE1100ELNS1_3gpuE3ELNS1_3repE0EEENS1_30default_config_static_selectorELNS0_4arch9wavefront6targetE0EEEvT1_,comdat
	.protected	_ZN7rocprim17ROCPRIM_400000_NS6detail17trampoline_kernelINS0_14default_configENS1_27scan_by_key_config_selectorIxiEEZZNS1_16scan_by_key_implILNS1_25lookback_scan_determinismE0ELb1ES3_N6thrust23THRUST_200600_302600_NS6detail15normal_iteratorINS9_10device_ptrIxEEEESE_SE_iNS9_4plusIvEENS9_8equal_toIvEEiEE10hipError_tPvRmT2_T3_T4_T5_mT6_T7_P12ihipStream_tbENKUlT_T0_E_clISt17integral_constantIbLb0EESZ_EEDaSU_SV_EUlSU_E_NS1_11comp_targetILNS1_3genE9ELNS1_11target_archE1100ELNS1_3gpuE3ELNS1_3repE0EEENS1_30default_config_static_selectorELNS0_4arch9wavefront6targetE0EEEvT1_ ; -- Begin function _ZN7rocprim17ROCPRIM_400000_NS6detail17trampoline_kernelINS0_14default_configENS1_27scan_by_key_config_selectorIxiEEZZNS1_16scan_by_key_implILNS1_25lookback_scan_determinismE0ELb1ES3_N6thrust23THRUST_200600_302600_NS6detail15normal_iteratorINS9_10device_ptrIxEEEESE_SE_iNS9_4plusIvEENS9_8equal_toIvEEiEE10hipError_tPvRmT2_T3_T4_T5_mT6_T7_P12ihipStream_tbENKUlT_T0_E_clISt17integral_constantIbLb0EESZ_EEDaSU_SV_EUlSU_E_NS1_11comp_targetILNS1_3genE9ELNS1_11target_archE1100ELNS1_3gpuE3ELNS1_3repE0EEENS1_30default_config_static_selectorELNS0_4arch9wavefront6targetE0EEEvT1_
	.globl	_ZN7rocprim17ROCPRIM_400000_NS6detail17trampoline_kernelINS0_14default_configENS1_27scan_by_key_config_selectorIxiEEZZNS1_16scan_by_key_implILNS1_25lookback_scan_determinismE0ELb1ES3_N6thrust23THRUST_200600_302600_NS6detail15normal_iteratorINS9_10device_ptrIxEEEESE_SE_iNS9_4plusIvEENS9_8equal_toIvEEiEE10hipError_tPvRmT2_T3_T4_T5_mT6_T7_P12ihipStream_tbENKUlT_T0_E_clISt17integral_constantIbLb0EESZ_EEDaSU_SV_EUlSU_E_NS1_11comp_targetILNS1_3genE9ELNS1_11target_archE1100ELNS1_3gpuE3ELNS1_3repE0EEENS1_30default_config_static_selectorELNS0_4arch9wavefront6targetE0EEEvT1_
	.p2align	8
	.type	_ZN7rocprim17ROCPRIM_400000_NS6detail17trampoline_kernelINS0_14default_configENS1_27scan_by_key_config_selectorIxiEEZZNS1_16scan_by_key_implILNS1_25lookback_scan_determinismE0ELb1ES3_N6thrust23THRUST_200600_302600_NS6detail15normal_iteratorINS9_10device_ptrIxEEEESE_SE_iNS9_4plusIvEENS9_8equal_toIvEEiEE10hipError_tPvRmT2_T3_T4_T5_mT6_T7_P12ihipStream_tbENKUlT_T0_E_clISt17integral_constantIbLb0EESZ_EEDaSU_SV_EUlSU_E_NS1_11comp_targetILNS1_3genE9ELNS1_11target_archE1100ELNS1_3gpuE3ELNS1_3repE0EEENS1_30default_config_static_selectorELNS0_4arch9wavefront6targetE0EEEvT1_,@function
_ZN7rocprim17ROCPRIM_400000_NS6detail17trampoline_kernelINS0_14default_configENS1_27scan_by_key_config_selectorIxiEEZZNS1_16scan_by_key_implILNS1_25lookback_scan_determinismE0ELb1ES3_N6thrust23THRUST_200600_302600_NS6detail15normal_iteratorINS9_10device_ptrIxEEEESE_SE_iNS9_4plusIvEENS9_8equal_toIvEEiEE10hipError_tPvRmT2_T3_T4_T5_mT6_T7_P12ihipStream_tbENKUlT_T0_E_clISt17integral_constantIbLb0EESZ_EEDaSU_SV_EUlSU_E_NS1_11comp_targetILNS1_3genE9ELNS1_11target_archE1100ELNS1_3gpuE3ELNS1_3repE0EEENS1_30default_config_static_selectorELNS0_4arch9wavefront6targetE0EEEvT1_: ; @_ZN7rocprim17ROCPRIM_400000_NS6detail17trampoline_kernelINS0_14default_configENS1_27scan_by_key_config_selectorIxiEEZZNS1_16scan_by_key_implILNS1_25lookback_scan_determinismE0ELb1ES3_N6thrust23THRUST_200600_302600_NS6detail15normal_iteratorINS9_10device_ptrIxEEEESE_SE_iNS9_4plusIvEENS9_8equal_toIvEEiEE10hipError_tPvRmT2_T3_T4_T5_mT6_T7_P12ihipStream_tbENKUlT_T0_E_clISt17integral_constantIbLb0EESZ_EEDaSU_SV_EUlSU_E_NS1_11comp_targetILNS1_3genE9ELNS1_11target_archE1100ELNS1_3gpuE3ELNS1_3repE0EEENS1_30default_config_static_selectorELNS0_4arch9wavefront6targetE0EEEvT1_
; %bb.0:
	.section	.rodata,"a",@progbits
	.p2align	6, 0x0
	.amdhsa_kernel _ZN7rocprim17ROCPRIM_400000_NS6detail17trampoline_kernelINS0_14default_configENS1_27scan_by_key_config_selectorIxiEEZZNS1_16scan_by_key_implILNS1_25lookback_scan_determinismE0ELb1ES3_N6thrust23THRUST_200600_302600_NS6detail15normal_iteratorINS9_10device_ptrIxEEEESE_SE_iNS9_4plusIvEENS9_8equal_toIvEEiEE10hipError_tPvRmT2_T3_T4_T5_mT6_T7_P12ihipStream_tbENKUlT_T0_E_clISt17integral_constantIbLb0EESZ_EEDaSU_SV_EUlSU_E_NS1_11comp_targetILNS1_3genE9ELNS1_11target_archE1100ELNS1_3gpuE3ELNS1_3repE0EEENS1_30default_config_static_selectorELNS0_4arch9wavefront6targetE0EEEvT1_
		.amdhsa_group_segment_fixed_size 0
		.amdhsa_private_segment_fixed_size 0
		.amdhsa_kernarg_size 112
		.amdhsa_user_sgpr_count 6
		.amdhsa_user_sgpr_private_segment_buffer 1
		.amdhsa_user_sgpr_dispatch_ptr 0
		.amdhsa_user_sgpr_queue_ptr 0
		.amdhsa_user_sgpr_kernarg_segment_ptr 1
		.amdhsa_user_sgpr_dispatch_id 0
		.amdhsa_user_sgpr_flat_scratch_init 0
		.amdhsa_user_sgpr_private_segment_size 0
		.amdhsa_wavefront_size32 1
		.amdhsa_uses_dynamic_stack 0
		.amdhsa_system_sgpr_private_segment_wavefront_offset 0
		.amdhsa_system_sgpr_workgroup_id_x 1
		.amdhsa_system_sgpr_workgroup_id_y 0
		.amdhsa_system_sgpr_workgroup_id_z 0
		.amdhsa_system_sgpr_workgroup_info 0
		.amdhsa_system_vgpr_workitem_id 0
		.amdhsa_next_free_vgpr 1
		.amdhsa_next_free_sgpr 1
		.amdhsa_reserve_vcc 0
		.amdhsa_reserve_flat_scratch 0
		.amdhsa_float_round_mode_32 0
		.amdhsa_float_round_mode_16_64 0
		.amdhsa_float_denorm_mode_32 3
		.amdhsa_float_denorm_mode_16_64 3
		.amdhsa_dx10_clamp 1
		.amdhsa_ieee_mode 1
		.amdhsa_fp16_overflow 0
		.amdhsa_workgroup_processor_mode 1
		.amdhsa_memory_ordered 1
		.amdhsa_forward_progress 1
		.amdhsa_shared_vgpr_count 0
		.amdhsa_exception_fp_ieee_invalid_op 0
		.amdhsa_exception_fp_denorm_src 0
		.amdhsa_exception_fp_ieee_div_zero 0
		.amdhsa_exception_fp_ieee_overflow 0
		.amdhsa_exception_fp_ieee_underflow 0
		.amdhsa_exception_fp_ieee_inexact 0
		.amdhsa_exception_int_div_zero 0
	.end_amdhsa_kernel
	.section	.text._ZN7rocprim17ROCPRIM_400000_NS6detail17trampoline_kernelINS0_14default_configENS1_27scan_by_key_config_selectorIxiEEZZNS1_16scan_by_key_implILNS1_25lookback_scan_determinismE0ELb1ES3_N6thrust23THRUST_200600_302600_NS6detail15normal_iteratorINS9_10device_ptrIxEEEESE_SE_iNS9_4plusIvEENS9_8equal_toIvEEiEE10hipError_tPvRmT2_T3_T4_T5_mT6_T7_P12ihipStream_tbENKUlT_T0_E_clISt17integral_constantIbLb0EESZ_EEDaSU_SV_EUlSU_E_NS1_11comp_targetILNS1_3genE9ELNS1_11target_archE1100ELNS1_3gpuE3ELNS1_3repE0EEENS1_30default_config_static_selectorELNS0_4arch9wavefront6targetE0EEEvT1_,"axG",@progbits,_ZN7rocprim17ROCPRIM_400000_NS6detail17trampoline_kernelINS0_14default_configENS1_27scan_by_key_config_selectorIxiEEZZNS1_16scan_by_key_implILNS1_25lookback_scan_determinismE0ELb1ES3_N6thrust23THRUST_200600_302600_NS6detail15normal_iteratorINS9_10device_ptrIxEEEESE_SE_iNS9_4plusIvEENS9_8equal_toIvEEiEE10hipError_tPvRmT2_T3_T4_T5_mT6_T7_P12ihipStream_tbENKUlT_T0_E_clISt17integral_constantIbLb0EESZ_EEDaSU_SV_EUlSU_E_NS1_11comp_targetILNS1_3genE9ELNS1_11target_archE1100ELNS1_3gpuE3ELNS1_3repE0EEENS1_30default_config_static_selectorELNS0_4arch9wavefront6targetE0EEEvT1_,comdat
.Lfunc_end1009:
	.size	_ZN7rocprim17ROCPRIM_400000_NS6detail17trampoline_kernelINS0_14default_configENS1_27scan_by_key_config_selectorIxiEEZZNS1_16scan_by_key_implILNS1_25lookback_scan_determinismE0ELb1ES3_N6thrust23THRUST_200600_302600_NS6detail15normal_iteratorINS9_10device_ptrIxEEEESE_SE_iNS9_4plusIvEENS9_8equal_toIvEEiEE10hipError_tPvRmT2_T3_T4_T5_mT6_T7_P12ihipStream_tbENKUlT_T0_E_clISt17integral_constantIbLb0EESZ_EEDaSU_SV_EUlSU_E_NS1_11comp_targetILNS1_3genE9ELNS1_11target_archE1100ELNS1_3gpuE3ELNS1_3repE0EEENS1_30default_config_static_selectorELNS0_4arch9wavefront6targetE0EEEvT1_, .Lfunc_end1009-_ZN7rocprim17ROCPRIM_400000_NS6detail17trampoline_kernelINS0_14default_configENS1_27scan_by_key_config_selectorIxiEEZZNS1_16scan_by_key_implILNS1_25lookback_scan_determinismE0ELb1ES3_N6thrust23THRUST_200600_302600_NS6detail15normal_iteratorINS9_10device_ptrIxEEEESE_SE_iNS9_4plusIvEENS9_8equal_toIvEEiEE10hipError_tPvRmT2_T3_T4_T5_mT6_T7_P12ihipStream_tbENKUlT_T0_E_clISt17integral_constantIbLb0EESZ_EEDaSU_SV_EUlSU_E_NS1_11comp_targetILNS1_3genE9ELNS1_11target_archE1100ELNS1_3gpuE3ELNS1_3repE0EEENS1_30default_config_static_selectorELNS0_4arch9wavefront6targetE0EEEvT1_
                                        ; -- End function
	.set _ZN7rocprim17ROCPRIM_400000_NS6detail17trampoline_kernelINS0_14default_configENS1_27scan_by_key_config_selectorIxiEEZZNS1_16scan_by_key_implILNS1_25lookback_scan_determinismE0ELb1ES3_N6thrust23THRUST_200600_302600_NS6detail15normal_iteratorINS9_10device_ptrIxEEEESE_SE_iNS9_4plusIvEENS9_8equal_toIvEEiEE10hipError_tPvRmT2_T3_T4_T5_mT6_T7_P12ihipStream_tbENKUlT_T0_E_clISt17integral_constantIbLb0EESZ_EEDaSU_SV_EUlSU_E_NS1_11comp_targetILNS1_3genE9ELNS1_11target_archE1100ELNS1_3gpuE3ELNS1_3repE0EEENS1_30default_config_static_selectorELNS0_4arch9wavefront6targetE0EEEvT1_.num_vgpr, 0
	.set _ZN7rocprim17ROCPRIM_400000_NS6detail17trampoline_kernelINS0_14default_configENS1_27scan_by_key_config_selectorIxiEEZZNS1_16scan_by_key_implILNS1_25lookback_scan_determinismE0ELb1ES3_N6thrust23THRUST_200600_302600_NS6detail15normal_iteratorINS9_10device_ptrIxEEEESE_SE_iNS9_4plusIvEENS9_8equal_toIvEEiEE10hipError_tPvRmT2_T3_T4_T5_mT6_T7_P12ihipStream_tbENKUlT_T0_E_clISt17integral_constantIbLb0EESZ_EEDaSU_SV_EUlSU_E_NS1_11comp_targetILNS1_3genE9ELNS1_11target_archE1100ELNS1_3gpuE3ELNS1_3repE0EEENS1_30default_config_static_selectorELNS0_4arch9wavefront6targetE0EEEvT1_.num_agpr, 0
	.set _ZN7rocprim17ROCPRIM_400000_NS6detail17trampoline_kernelINS0_14default_configENS1_27scan_by_key_config_selectorIxiEEZZNS1_16scan_by_key_implILNS1_25lookback_scan_determinismE0ELb1ES3_N6thrust23THRUST_200600_302600_NS6detail15normal_iteratorINS9_10device_ptrIxEEEESE_SE_iNS9_4plusIvEENS9_8equal_toIvEEiEE10hipError_tPvRmT2_T3_T4_T5_mT6_T7_P12ihipStream_tbENKUlT_T0_E_clISt17integral_constantIbLb0EESZ_EEDaSU_SV_EUlSU_E_NS1_11comp_targetILNS1_3genE9ELNS1_11target_archE1100ELNS1_3gpuE3ELNS1_3repE0EEENS1_30default_config_static_selectorELNS0_4arch9wavefront6targetE0EEEvT1_.numbered_sgpr, 0
	.set _ZN7rocprim17ROCPRIM_400000_NS6detail17trampoline_kernelINS0_14default_configENS1_27scan_by_key_config_selectorIxiEEZZNS1_16scan_by_key_implILNS1_25lookback_scan_determinismE0ELb1ES3_N6thrust23THRUST_200600_302600_NS6detail15normal_iteratorINS9_10device_ptrIxEEEESE_SE_iNS9_4plusIvEENS9_8equal_toIvEEiEE10hipError_tPvRmT2_T3_T4_T5_mT6_T7_P12ihipStream_tbENKUlT_T0_E_clISt17integral_constantIbLb0EESZ_EEDaSU_SV_EUlSU_E_NS1_11comp_targetILNS1_3genE9ELNS1_11target_archE1100ELNS1_3gpuE3ELNS1_3repE0EEENS1_30default_config_static_selectorELNS0_4arch9wavefront6targetE0EEEvT1_.num_named_barrier, 0
	.set _ZN7rocprim17ROCPRIM_400000_NS6detail17trampoline_kernelINS0_14default_configENS1_27scan_by_key_config_selectorIxiEEZZNS1_16scan_by_key_implILNS1_25lookback_scan_determinismE0ELb1ES3_N6thrust23THRUST_200600_302600_NS6detail15normal_iteratorINS9_10device_ptrIxEEEESE_SE_iNS9_4plusIvEENS9_8equal_toIvEEiEE10hipError_tPvRmT2_T3_T4_T5_mT6_T7_P12ihipStream_tbENKUlT_T0_E_clISt17integral_constantIbLb0EESZ_EEDaSU_SV_EUlSU_E_NS1_11comp_targetILNS1_3genE9ELNS1_11target_archE1100ELNS1_3gpuE3ELNS1_3repE0EEENS1_30default_config_static_selectorELNS0_4arch9wavefront6targetE0EEEvT1_.private_seg_size, 0
	.set _ZN7rocprim17ROCPRIM_400000_NS6detail17trampoline_kernelINS0_14default_configENS1_27scan_by_key_config_selectorIxiEEZZNS1_16scan_by_key_implILNS1_25lookback_scan_determinismE0ELb1ES3_N6thrust23THRUST_200600_302600_NS6detail15normal_iteratorINS9_10device_ptrIxEEEESE_SE_iNS9_4plusIvEENS9_8equal_toIvEEiEE10hipError_tPvRmT2_T3_T4_T5_mT6_T7_P12ihipStream_tbENKUlT_T0_E_clISt17integral_constantIbLb0EESZ_EEDaSU_SV_EUlSU_E_NS1_11comp_targetILNS1_3genE9ELNS1_11target_archE1100ELNS1_3gpuE3ELNS1_3repE0EEENS1_30default_config_static_selectorELNS0_4arch9wavefront6targetE0EEEvT1_.uses_vcc, 0
	.set _ZN7rocprim17ROCPRIM_400000_NS6detail17trampoline_kernelINS0_14default_configENS1_27scan_by_key_config_selectorIxiEEZZNS1_16scan_by_key_implILNS1_25lookback_scan_determinismE0ELb1ES3_N6thrust23THRUST_200600_302600_NS6detail15normal_iteratorINS9_10device_ptrIxEEEESE_SE_iNS9_4plusIvEENS9_8equal_toIvEEiEE10hipError_tPvRmT2_T3_T4_T5_mT6_T7_P12ihipStream_tbENKUlT_T0_E_clISt17integral_constantIbLb0EESZ_EEDaSU_SV_EUlSU_E_NS1_11comp_targetILNS1_3genE9ELNS1_11target_archE1100ELNS1_3gpuE3ELNS1_3repE0EEENS1_30default_config_static_selectorELNS0_4arch9wavefront6targetE0EEEvT1_.uses_flat_scratch, 0
	.set _ZN7rocprim17ROCPRIM_400000_NS6detail17trampoline_kernelINS0_14default_configENS1_27scan_by_key_config_selectorIxiEEZZNS1_16scan_by_key_implILNS1_25lookback_scan_determinismE0ELb1ES3_N6thrust23THRUST_200600_302600_NS6detail15normal_iteratorINS9_10device_ptrIxEEEESE_SE_iNS9_4plusIvEENS9_8equal_toIvEEiEE10hipError_tPvRmT2_T3_T4_T5_mT6_T7_P12ihipStream_tbENKUlT_T0_E_clISt17integral_constantIbLb0EESZ_EEDaSU_SV_EUlSU_E_NS1_11comp_targetILNS1_3genE9ELNS1_11target_archE1100ELNS1_3gpuE3ELNS1_3repE0EEENS1_30default_config_static_selectorELNS0_4arch9wavefront6targetE0EEEvT1_.has_dyn_sized_stack, 0
	.set _ZN7rocprim17ROCPRIM_400000_NS6detail17trampoline_kernelINS0_14default_configENS1_27scan_by_key_config_selectorIxiEEZZNS1_16scan_by_key_implILNS1_25lookback_scan_determinismE0ELb1ES3_N6thrust23THRUST_200600_302600_NS6detail15normal_iteratorINS9_10device_ptrIxEEEESE_SE_iNS9_4plusIvEENS9_8equal_toIvEEiEE10hipError_tPvRmT2_T3_T4_T5_mT6_T7_P12ihipStream_tbENKUlT_T0_E_clISt17integral_constantIbLb0EESZ_EEDaSU_SV_EUlSU_E_NS1_11comp_targetILNS1_3genE9ELNS1_11target_archE1100ELNS1_3gpuE3ELNS1_3repE0EEENS1_30default_config_static_selectorELNS0_4arch9wavefront6targetE0EEEvT1_.has_recursion, 0
	.set _ZN7rocprim17ROCPRIM_400000_NS6detail17trampoline_kernelINS0_14default_configENS1_27scan_by_key_config_selectorIxiEEZZNS1_16scan_by_key_implILNS1_25lookback_scan_determinismE0ELb1ES3_N6thrust23THRUST_200600_302600_NS6detail15normal_iteratorINS9_10device_ptrIxEEEESE_SE_iNS9_4plusIvEENS9_8equal_toIvEEiEE10hipError_tPvRmT2_T3_T4_T5_mT6_T7_P12ihipStream_tbENKUlT_T0_E_clISt17integral_constantIbLb0EESZ_EEDaSU_SV_EUlSU_E_NS1_11comp_targetILNS1_3genE9ELNS1_11target_archE1100ELNS1_3gpuE3ELNS1_3repE0EEENS1_30default_config_static_selectorELNS0_4arch9wavefront6targetE0EEEvT1_.has_indirect_call, 0
	.section	.AMDGPU.csdata,"",@progbits
; Kernel info:
; codeLenInByte = 0
; TotalNumSgprs: 0
; NumVgprs: 0
; ScratchSize: 0
; MemoryBound: 0
; FloatMode: 240
; IeeeMode: 1
; LDSByteSize: 0 bytes/workgroup (compile time only)
; SGPRBlocks: 0
; VGPRBlocks: 0
; NumSGPRsForWavesPerEU: 1
; NumVGPRsForWavesPerEU: 1
; Occupancy: 16
; WaveLimiterHint : 0
; COMPUTE_PGM_RSRC2:SCRATCH_EN: 0
; COMPUTE_PGM_RSRC2:USER_SGPR: 6
; COMPUTE_PGM_RSRC2:TRAP_HANDLER: 0
; COMPUTE_PGM_RSRC2:TGID_X_EN: 1
; COMPUTE_PGM_RSRC2:TGID_Y_EN: 0
; COMPUTE_PGM_RSRC2:TGID_Z_EN: 0
; COMPUTE_PGM_RSRC2:TIDIG_COMP_CNT: 0
	.section	.text._ZN7rocprim17ROCPRIM_400000_NS6detail17trampoline_kernelINS0_14default_configENS1_27scan_by_key_config_selectorIxiEEZZNS1_16scan_by_key_implILNS1_25lookback_scan_determinismE0ELb1ES3_N6thrust23THRUST_200600_302600_NS6detail15normal_iteratorINS9_10device_ptrIxEEEESE_SE_iNS9_4plusIvEENS9_8equal_toIvEEiEE10hipError_tPvRmT2_T3_T4_T5_mT6_T7_P12ihipStream_tbENKUlT_T0_E_clISt17integral_constantIbLb0EESZ_EEDaSU_SV_EUlSU_E_NS1_11comp_targetILNS1_3genE8ELNS1_11target_archE1030ELNS1_3gpuE2ELNS1_3repE0EEENS1_30default_config_static_selectorELNS0_4arch9wavefront6targetE0EEEvT1_,"axG",@progbits,_ZN7rocprim17ROCPRIM_400000_NS6detail17trampoline_kernelINS0_14default_configENS1_27scan_by_key_config_selectorIxiEEZZNS1_16scan_by_key_implILNS1_25lookback_scan_determinismE0ELb1ES3_N6thrust23THRUST_200600_302600_NS6detail15normal_iteratorINS9_10device_ptrIxEEEESE_SE_iNS9_4plusIvEENS9_8equal_toIvEEiEE10hipError_tPvRmT2_T3_T4_T5_mT6_T7_P12ihipStream_tbENKUlT_T0_E_clISt17integral_constantIbLb0EESZ_EEDaSU_SV_EUlSU_E_NS1_11comp_targetILNS1_3genE8ELNS1_11target_archE1030ELNS1_3gpuE2ELNS1_3repE0EEENS1_30default_config_static_selectorELNS0_4arch9wavefront6targetE0EEEvT1_,comdat
	.protected	_ZN7rocprim17ROCPRIM_400000_NS6detail17trampoline_kernelINS0_14default_configENS1_27scan_by_key_config_selectorIxiEEZZNS1_16scan_by_key_implILNS1_25lookback_scan_determinismE0ELb1ES3_N6thrust23THRUST_200600_302600_NS6detail15normal_iteratorINS9_10device_ptrIxEEEESE_SE_iNS9_4plusIvEENS9_8equal_toIvEEiEE10hipError_tPvRmT2_T3_T4_T5_mT6_T7_P12ihipStream_tbENKUlT_T0_E_clISt17integral_constantIbLb0EESZ_EEDaSU_SV_EUlSU_E_NS1_11comp_targetILNS1_3genE8ELNS1_11target_archE1030ELNS1_3gpuE2ELNS1_3repE0EEENS1_30default_config_static_selectorELNS0_4arch9wavefront6targetE0EEEvT1_ ; -- Begin function _ZN7rocprim17ROCPRIM_400000_NS6detail17trampoline_kernelINS0_14default_configENS1_27scan_by_key_config_selectorIxiEEZZNS1_16scan_by_key_implILNS1_25lookback_scan_determinismE0ELb1ES3_N6thrust23THRUST_200600_302600_NS6detail15normal_iteratorINS9_10device_ptrIxEEEESE_SE_iNS9_4plusIvEENS9_8equal_toIvEEiEE10hipError_tPvRmT2_T3_T4_T5_mT6_T7_P12ihipStream_tbENKUlT_T0_E_clISt17integral_constantIbLb0EESZ_EEDaSU_SV_EUlSU_E_NS1_11comp_targetILNS1_3genE8ELNS1_11target_archE1030ELNS1_3gpuE2ELNS1_3repE0EEENS1_30default_config_static_selectorELNS0_4arch9wavefront6targetE0EEEvT1_
	.globl	_ZN7rocprim17ROCPRIM_400000_NS6detail17trampoline_kernelINS0_14default_configENS1_27scan_by_key_config_selectorIxiEEZZNS1_16scan_by_key_implILNS1_25lookback_scan_determinismE0ELb1ES3_N6thrust23THRUST_200600_302600_NS6detail15normal_iteratorINS9_10device_ptrIxEEEESE_SE_iNS9_4plusIvEENS9_8equal_toIvEEiEE10hipError_tPvRmT2_T3_T4_T5_mT6_T7_P12ihipStream_tbENKUlT_T0_E_clISt17integral_constantIbLb0EESZ_EEDaSU_SV_EUlSU_E_NS1_11comp_targetILNS1_3genE8ELNS1_11target_archE1030ELNS1_3gpuE2ELNS1_3repE0EEENS1_30default_config_static_selectorELNS0_4arch9wavefront6targetE0EEEvT1_
	.p2align	8
	.type	_ZN7rocprim17ROCPRIM_400000_NS6detail17trampoline_kernelINS0_14default_configENS1_27scan_by_key_config_selectorIxiEEZZNS1_16scan_by_key_implILNS1_25lookback_scan_determinismE0ELb1ES3_N6thrust23THRUST_200600_302600_NS6detail15normal_iteratorINS9_10device_ptrIxEEEESE_SE_iNS9_4plusIvEENS9_8equal_toIvEEiEE10hipError_tPvRmT2_T3_T4_T5_mT6_T7_P12ihipStream_tbENKUlT_T0_E_clISt17integral_constantIbLb0EESZ_EEDaSU_SV_EUlSU_E_NS1_11comp_targetILNS1_3genE8ELNS1_11target_archE1030ELNS1_3gpuE2ELNS1_3repE0EEENS1_30default_config_static_selectorELNS0_4arch9wavefront6targetE0EEEvT1_,@function
_ZN7rocprim17ROCPRIM_400000_NS6detail17trampoline_kernelINS0_14default_configENS1_27scan_by_key_config_selectorIxiEEZZNS1_16scan_by_key_implILNS1_25lookback_scan_determinismE0ELb1ES3_N6thrust23THRUST_200600_302600_NS6detail15normal_iteratorINS9_10device_ptrIxEEEESE_SE_iNS9_4plusIvEENS9_8equal_toIvEEiEE10hipError_tPvRmT2_T3_T4_T5_mT6_T7_P12ihipStream_tbENKUlT_T0_E_clISt17integral_constantIbLb0EESZ_EEDaSU_SV_EUlSU_E_NS1_11comp_targetILNS1_3genE8ELNS1_11target_archE1030ELNS1_3gpuE2ELNS1_3repE0EEENS1_30default_config_static_selectorELNS0_4arch9wavefront6targetE0EEEvT1_: ; @_ZN7rocprim17ROCPRIM_400000_NS6detail17trampoline_kernelINS0_14default_configENS1_27scan_by_key_config_selectorIxiEEZZNS1_16scan_by_key_implILNS1_25lookback_scan_determinismE0ELb1ES3_N6thrust23THRUST_200600_302600_NS6detail15normal_iteratorINS9_10device_ptrIxEEEESE_SE_iNS9_4plusIvEENS9_8equal_toIvEEiEE10hipError_tPvRmT2_T3_T4_T5_mT6_T7_P12ihipStream_tbENKUlT_T0_E_clISt17integral_constantIbLb0EESZ_EEDaSU_SV_EUlSU_E_NS1_11comp_targetILNS1_3genE8ELNS1_11target_archE1030ELNS1_3gpuE2ELNS1_3repE0EEENS1_30default_config_static_selectorELNS0_4arch9wavefront6targetE0EEEvT1_
; %bb.0:
	s_clause 0x5
	s_load_dwordx8 s[8:15], s[4:5], 0x0
	s_load_dwordx2 s[24:25], s[4:5], 0x38
	s_load_dword s2, s[4:5], 0x40
	s_load_dwordx4 s[20:23], s[4:5], 0x48
	s_load_dword s26, s[4:5], 0x20
	s_load_dwordx4 s[16:19], s[4:5], 0x28
	s_mov_b32 s1, 0
	s_mul_i32 s0, s6, 0x300
	s_waitcnt lgkmcnt(0)
	s_barrier
	buffer_gl0_inv
	s_lshl_b64 s[4:5], s[10:11], 3
	s_add_u32 s10, s8, s4
	s_addc_u32 s11, s9, s5
	s_mul_i32 s3, s25, s2
	s_mul_hi_u32 s7, s24, s2
	s_add_u32 s12, s12, s4
	s_addc_u32 s13, s13, s5
	s_lshl_b64 s[8:9], s[0:1], 3
	s_add_i32 s7, s7, s3
	s_add_u32 s10, s10, s8
	s_addc_u32 s11, s11, s9
	s_mul_i32 s0, s24, s2
	s_add_u32 s3, s12, s8
	s_addc_u32 s13, s13, s9
	s_add_u32 s28, s0, s6
	s_addc_u32 s29, s7, 0
	s_add_u32 s20, s20, -1
	s_addc_u32 s21, s21, -1
	s_mul_i32 s12, s20, 0xfffffd00
	v_cmp_ge_u64_e64 s7, s[28:29], s[20:21]
	s_and_b32 vcc_lo, exec_lo, s7
	s_cbranch_vccz .LBB1010_20
; %bb.1:
	v_mov_b32_e32 v1, s10
	v_mov_b32_e32 v2, s11
	s_add_i32 s19, s12, s18
	v_cmp_gt_u32_e32 vcc_lo, s19, v0
	flat_load_dwordx2 v[1:2], v[1:2]
	s_waitcnt vmcnt(0) lgkmcnt(0)
	v_mov_b32_e32 v4, v2
	v_mov_b32_e32 v3, v1
	s_and_saveexec_b32 s0, vcc_lo
	s_cbranch_execz .LBB1010_3
; %bb.2:
	v_lshlrev_b32_e32 v3, 3, v0
	v_add_co_u32 v3, s1, s10, v3
	v_add_co_ci_u32_e64 v4, null, s11, 0, s1
	flat_load_dwordx2 v[3:4], v[3:4]
.LBB1010_3:
	s_or_b32 exec_lo, exec_lo, s0
	v_or_b32_e32 v5, 0x100, v0
	v_cmp_gt_u32_e64 s0, s19, v5
	v_lshlrev_b32_e32 v10, 3, v5
	v_mov_b32_e32 v6, v2
	v_mov_b32_e32 v5, v1
	s_and_saveexec_b32 s1, s0
	s_cbranch_execz .LBB1010_5
; %bb.4:
	v_add_co_u32 v5, s2, s10, v10
	v_add_co_ci_u32_e64 v6, null, s11, 0, s2
	flat_load_dwordx2 v[5:6], v[5:6]
.LBB1010_5:
	s_or_b32 exec_lo, exec_lo, s1
	v_or_b32_e32 v7, 0x200, v0
	v_cmp_gt_u32_e64 s1, s19, v7
	v_lshlrev_b32_e32 v9, 3, v7
	s_and_saveexec_b32 s2, s1
	s_cbranch_execz .LBB1010_7
; %bb.6:
	v_add_co_u32 v1, s20, s10, v9
	v_add_co_ci_u32_e64 v2, null, s11, 0, s20
	flat_load_dwordx2 v[1:2], v[1:2]
.LBB1010_7:
	s_or_b32 exec_lo, exec_lo, s2
	v_mov_b32_e32 v12, s11
	v_lshlrev_b32_e32 v8, 3, v0
	v_mov_b32_e32 v11, s10
	s_mov_b32 s20, exec_lo
	s_waitcnt vmcnt(0) lgkmcnt(0)
	ds_write2st64_b64 v8, v[3:4], v[5:6] offset1:4
	ds_write_b64 v8, v[1:2] offset:4096
	s_waitcnt lgkmcnt(0)
	s_barrier
	buffer_gl0_inv
	flat_load_dwordx2 v[13:14], v[11:12]
	v_lshl_add_u32 v1, v0, 4, v8
	ds_read_b64 v[17:18], v1
	ds_read2_b64 v[1:4], v1 offset0:1 offset1:2
	s_waitcnt lgkmcnt(1)
	ds_write_b64 v8, v[17:18] offset:8192
	s_waitcnt vmcnt(0) lgkmcnt(0)
	s_barrier
	buffer_gl0_inv
	v_cmpx_ne_u32_e32 0xff, v0
; %bb.8:
	ds_read_b64 v[13:14], v8 offset:8200
; %bb.9:
	s_or_b32 exec_lo, exec_lo, s20
	v_mov_b32_e32 v5, 0
	s_waitcnt lgkmcnt(0)
	s_barrier
	buffer_gl0_inv
	v_mov_b32_e32 v6, v5
	v_mov_b32_e32 v7, v5
	s_and_saveexec_b32 s2, vcc_lo
	s_cbranch_execnz .LBB1010_94
; %bb.10:
	s_or_b32 exec_lo, exec_lo, s2
	s_and_saveexec_b32 s2, s0
	s_cbranch_execnz .LBB1010_95
.LBB1010_11:
	s_or_b32 exec_lo, exec_lo, s2
	v_mul_u32_u24_e32 v19, 3, v0
	s_and_saveexec_b32 s0, s1
	s_cbranch_execz .LBB1010_13
.LBB1010_12:
	v_add_co_u32 v9, s1, s3, v9
	v_add_co_ci_u32_e64 v10, null, s13, 0, s1
	flat_load_dword v7, v[9:10]
.LBB1010_13:
	s_or_b32 exec_lo, exec_lo, s0
	v_lshlrev_b32_e32 v9, 2, v0
	v_mov_b32_e32 v15, 0
	v_mov_b32_e32 v11, 0
	;; [unrolled: 1-line block ×4, first 2 shown]
	v_sub_nc_u32_e32 v20, v8, v9
	v_mov_b32_e32 v9, 0
	v_mov_b32_e32 v10, 0
	s_mov_b32 s0, 0
	s_mov_b32 s1, 0
	s_mov_b32 s20, exec_lo
	s_waitcnt vmcnt(0) lgkmcnt(0)
	ds_write2st64_b32 v20, v5, v6 offset1:4
	ds_write_b32 v20, v7 offset:2048
	s_waitcnt lgkmcnt(0)
	s_barrier
	buffer_gl0_inv
                                        ; implicit-def: $sgpr2
                                        ; implicit-def: $vgpr5
	v_cmpx_gt_u32_e64 s19, v19
	s_cbranch_execz .LBB1010_19
; %bb.14:
	v_add_nc_u32_e32 v6, v20, v8
	v_cmp_ne_u64_e32 vcc_lo, v[17:18], v[1:2]
	v_mov_b32_e32 v15, 0
	v_add_nc_u32_e32 v7, 1, v19
	v_mov_b32_e32 v16, 0
	ds_read_b32 v5, v6
	s_mov_b32 s21, 0
	v_cndmask_b32_e64 v10, 0, 1, vcc_lo
	v_cmp_eq_u64_e32 vcc_lo, v[17:18], v[1:2]
	s_mov_b32 s1, exec_lo
                                        ; implicit-def: $sgpr2
	s_waitcnt lgkmcnt(0)
	v_cndmask_b32_e32 v9, s26, v5, vcc_lo
                                        ; implicit-def: $vgpr5
	v_cmpx_gt_u32_e64 s19, v7
	s_cbranch_execz .LBB1010_18
; %bb.15:
	ds_read2_b32 v[5:6], v6 offset0:1 offset1:2
	v_cmp_ne_u64_e32 vcc_lo, v[1:2], v[3:4]
	v_add_nc_u32_e32 v7, 2, v19
                                        ; implicit-def: $sgpr2
	v_cndmask_b32_e64 v16, 0, 1, vcc_lo
	v_cmp_eq_u64_e32 vcc_lo, v[1:2], v[3:4]
	s_waitcnt lgkmcnt(0)
	v_cndmask_b32_e32 v15, s26, v5, vcc_lo
	v_cmp_gt_u32_e32 vcc_lo, s19, v7
	s_mov_b32 s19, 0
                                        ; implicit-def: $vgpr5
	s_and_saveexec_b32 s21, vcc_lo
	s_xor_b32 s21, exec_lo, s21
; %bb.16:
	v_cmp_ne_u64_e64 s2, v[3:4], v[13:14]
	s_mov_b32 s19, exec_lo
	v_cndmask_b32_e64 v5, v6, s26, s2
; %bb.17:
	s_or_b32 exec_lo, exec_lo, s21
	s_and_b32 s21, s19, exec_lo
.LBB1010_18:
	s_or_b32 exec_lo, exec_lo, s1
	v_mov_b32_e32 v11, v15
	v_mov_b32_e32 v12, v16
	s_and_b32 s1, s21, exec_lo
.LBB1010_19:
	s_or_b32 exec_lo, exec_lo, s20
	v_lshlrev_b32_e32 v18, 3, v0
	s_and_b32 vcc_lo, exec_lo, s0
	s_cbranch_vccnz .LBB1010_21
	s_branch .LBB1010_24
.LBB1010_20:
                                        ; implicit-def: $sgpr2
                                        ; implicit-def: $vgpr5
                                        ; implicit-def: $vgpr9_vgpr10
                                        ; implicit-def: $vgpr15_vgpr16
                                        ; implicit-def: $vgpr11_vgpr12
	v_lshlrev_b32_e32 v18, 3, v0
	s_cbranch_execz .LBB1010_24
.LBB1010_21:
	v_add_co_u32 v1, s0, s10, v18
	v_add_co_ci_u32_e64 v2, null, s11, 0, s0
	v_add_co_u32 v7, s0, 0x1800, s10
	v_add_co_u32 v3, vcc_lo, 0x800, v1
	v_add_co_ci_u32_e64 v4, null, 0, v2, vcc_lo
	v_add_co_u32 v5, vcc_lo, 0x1000, v1
	v_add_co_ci_u32_e64 v6, null, 0, v2, vcc_lo
	s_clause 0x2
	flat_load_dwordx2 v[1:2], v[1:2]
	flat_load_dwordx2 v[3:4], v[3:4]
	;; [unrolled: 1-line block ×3, first 2 shown]
	v_add_co_ci_u32_e64 v8, null, 0, s11, s0
	s_mov_b32 s0, exec_lo
	s_waitcnt vmcnt(1) lgkmcnt(1)
	ds_write2st64_b64 v18, v[1:2], v[3:4] offset1:4
	s_waitcnt vmcnt(0) lgkmcnt(1)
	ds_write_b64 v18, v[5:6] offset:4096
	s_waitcnt lgkmcnt(0)
	s_barrier
	buffer_gl0_inv
	flat_load_dwordx2 v[5:6], v[7:8]
	v_lshl_add_u32 v1, v0, 4, v18
	ds_read_b64 v[7:8], v1
	ds_read2_b64 v[1:4], v1 offset0:1 offset1:2
	s_waitcnt lgkmcnt(1)
	ds_write_b64 v18, v[7:8] offset:8192
	s_waitcnt vmcnt(0) lgkmcnt(0)
	s_barrier
	buffer_gl0_inv
	v_cmpx_ne_u32_e32 0xff, v0
; %bb.22:
	ds_read_b64 v[5:6], v18 offset:8200
; %bb.23:
	s_or_b32 exec_lo, exec_lo, s0
	v_add_co_u32 v9, s0, s3, v18
	v_add_co_ci_u32_e64 v10, null, s13, 0, s0
	s_waitcnt lgkmcnt(0)
	v_add_co_u32 v11, vcc_lo, 0x800, v9
	v_add_co_ci_u32_e64 v12, null, 0, v10, vcc_lo
	v_add_co_u32 v13, vcc_lo, 0x1000, v9
	v_add_co_ci_u32_e64 v14, null, 0, v10, vcc_lo
	s_barrier
	buffer_gl0_inv
	s_clause 0x2
	flat_load_dword v9, v[9:10]
	flat_load_dword v10, v[11:12]
	;; [unrolled: 1-line block ×3, first 2 shown]
	v_lshlrev_b32_e32 v12, 2, v0
	v_cmp_eq_u64_e32 vcc_lo, v[7:8], v[1:2]
	v_cmp_ne_u64_e64 s2, v[3:4], v[5:6]
	s_mov_b32 s1, -1
	v_sub_nc_u32_e32 v12, v18, v12
	s_waitcnt vmcnt(1) lgkmcnt(1)
	ds_write2st64_b32 v12, v9, v10 offset1:4
	s_waitcnt vmcnt(0) lgkmcnt(1)
	ds_write_b32 v12, v11 offset:2048
	v_lshl_add_u32 v13, v0, 3, v12
	s_waitcnt lgkmcnt(0)
	s_barrier
	buffer_gl0_inv
	ds_read2_b32 v[9:10], v13 offset1:1
	ds_read_b32 v11, v13 offset:8
	s_waitcnt lgkmcnt(1)
	v_cndmask_b32_e32 v9, s26, v9, vcc_lo
	v_cmp_eq_u64_e32 vcc_lo, v[1:2], v[3:4]
	s_waitcnt lgkmcnt(0)
	v_cndmask_b32_e64 v5, v11, s26, s2
	v_cndmask_b32_e32 v15, s26, v10, vcc_lo
	v_cmp_ne_u64_e32 vcc_lo, v[1:2], v[3:4]
	v_cndmask_b32_e64 v16, 0, 1, vcc_lo
	v_cmp_ne_u64_e32 vcc_lo, v[7:8], v[1:2]
	v_mov_b32_e32 v11, v15
	v_mov_b32_e32 v12, v16
	v_cndmask_b32_e64 v10, 0, 1, vcc_lo
.LBB1010_24:
	v_mov_b32_e32 v13, 0
	v_mov_b32_e32 v14, 0
	s_and_saveexec_b32 s0, s1
; %bb.25:
	v_cndmask_b32_e64 v6, 0, 1, s2
	v_mov_b32_e32 v11, v15
	v_mov_b32_e32 v12, v16
	;; [unrolled: 1-line block ×4, first 2 shown]
; %bb.26:
	s_or_b32 exec_lo, exec_lo, s0
	v_or_b32_e32 v20, v12, v14
	v_lshrrev_b32_e32 v19, 2, v0
	s_cmp_lg_u32 s6, 0
	s_mov_b32 s2, 0
	v_cmp_gt_u32_e32 vcc_lo, 32, v0
	s_barrier
	buffer_gl0_inv
	s_cbranch_scc0 .LBB1010_54
; %bb.27:
	s_mov_b32 s3, 1
	v_and_b32_e32 v2, 0xff, v20
	v_cmp_gt_u64_e64 s0, s[2:3], v[11:12]
	v_cmp_gt_u64_e64 s1, s[2:3], v[13:14]
	v_and_b32_e32 v4, 56, v19
	v_cndmask_b32_e64 v1, 0, v9, s0
	v_add_nc_u32_e32 v3, v1, v11
	v_mov_b32_e32 v1, 0
	v_cndmask_b32_e64 v3, 0, v3, s1
	v_cmp_eq_u64_e64 s1, 0, v[1:2]
	v_lshl_add_u32 v1, v0, 3, v4
	v_add_nc_u32_e32 v21, v3, v13
	v_cndmask_b32_e64 v22, 1, v10, s1
	ds_write_b8 v1, v22 offset:4
	ds_write_b32 v1, v21
	s_waitcnt lgkmcnt(0)
	s_barrier
	buffer_gl0_inv
	s_and_saveexec_b32 s2, vcc_lo
	s_cbranch_execz .LBB1010_37
; %bb.28:
	v_lshlrev_b32_e32 v1, 1, v0
	v_lshlrev_b32_e32 v2, 6, v0
	s_mov_b32 s3, exec_lo
	v_and_b32_e32 v1, 0x1f8, v1
	v_add_nc_u32_e32 v3, v1, v2
	ds_read_u8 v8, v3 offset:12
	ds_read_b64 v[1:2], v3
	ds_read2_b32 v[4:5], v3 offset0:2 offset1:4
	ds_read_u8 v15, v3 offset:20
	ds_read_u8 v16, v3 offset:28
	;; [unrolled: 1-line block ×5, first 2 shown]
	ds_read_b32 v25, v3 offset:56
	ds_read2_b32 v[6:7], v3 offset0:6 offset1:8
	s_waitcnt lgkmcnt(9)
	v_cmp_eq_u16_e64 s1, 0, v8
	s_waitcnt lgkmcnt(6)
	v_or_b32_e32 v8, v15, v8
	v_cndmask_b32_e64 v26, 0, v1, s1
	v_cmp_eq_u16_e64 s1, 0, v15
	ds_read_u8 v15, v3 offset:60
	s_waitcnt lgkmcnt(6)
	v_or_b32_e32 v8, v8, v16
	v_add_nc_u32_e32 v4, v26, v4
	v_cndmask_b32_e64 v4, 0, v4, s1
	v_cmp_eq_u16_e64 s1, 0, v16
	v_add_nc_u32_e32 v4, v4, v5
	v_cndmask_b32_e64 v26, 0, v4, s1
	ds_read2_b32 v[4:5], v3 offset0:10 offset1:12
	s_waitcnt lgkmcnt(6)
	v_cmp_eq_u16_e64 s1, 0, v17
	s_waitcnt lgkmcnt(2)
	v_add_nc_u32_e32 v6, v26, v6
	v_cndmask_b32_e64 v6, 0, v6, s1
	v_cmp_eq_u16_e64 s1, 0, v23
	v_add_nc_u32_e32 v6, v6, v7
	v_or_b32_e32 v7, v8, v17
	s_waitcnt lgkmcnt(1)
	v_and_b32_e32 v8, 1, v15
	v_cndmask_b32_e64 v6, 0, v6, s1
	v_or_b32_e32 v7, v7, v23
	v_cmp_eq_u16_e64 s1, 0, v24
	s_waitcnt lgkmcnt(0)
	v_add_nc_u32_e32 v6, v6, v4
	v_or_b32_e32 v7, v7, v24
	v_and_b32_e32 v4, 1, v2
	v_cndmask_b32_e64 v6, 0, v6, s1
	v_cmp_eq_u16_e64 s1, 0, v7
	v_add_nc_u32_e32 v6, v6, v5
	v_cndmask_b32_e64 v7, 1, v4, s1
	v_cmp_eq_u32_e64 s1, 1, v8
	v_and_b32_e32 v5, 0xffffff00, v2
	v_cndmask_b32_e64 v8, v7, 1, s1
	v_cmp_eq_u16_e64 s1, 0, v15
	v_mbcnt_lo_u32_b32 v7, -1, 0
	v_or_b32_sdwa v16, v5, v8 dst_sel:DWORD dst_unused:UNUSED_PAD src0_sel:DWORD src1_sel:WORD_0
	v_cndmask_b32_e64 v6, 0, v6, s1
	v_and_b32_e32 v15, 15, v7
	v_mov_b32_dpp v23, v16 row_shr:1 row_mask:0xf bank_mask:0xf
	v_add_nc_u32_e32 v6, v6, v25
	v_mov_b32_dpp v17, v6 row_shr:1 row_mask:0xf bank_mask:0xf
	v_cmpx_ne_u32_e32 0, v15
	s_cbranch_execz .LBB1010_30
; %bb.29:
	v_and_b32_e32 v16, 1, v8
	v_cmp_eq_u16_e64 s1, 0, v8
	v_and_b32_e32 v23, 1, v23
	v_cndmask_b32_e64 v8, 0, v17, s1
	v_cmp_eq_u32_e64 s1, 1, v16
	v_add_nc_u32_e32 v6, v8, v6
	v_cndmask_b32_e64 v17, v23, 1, s1
	v_or_b32_sdwa v16, v5, v17 dst_sel:DWORD dst_unused:UNUSED_PAD src0_sel:DWORD src1_sel:WORD_0
	v_mov_b32_e32 v8, v17
.LBB1010_30:
	s_or_b32 exec_lo, exec_lo, s3
	v_mov_b32_dpp v17, v6 row_shr:2 row_mask:0xf bank_mask:0xf
	v_mov_b32_dpp v23, v16 row_shr:2 row_mask:0xf bank_mask:0xf
	s_mov_b32 s3, exec_lo
	v_cmpx_lt_u32_e32 1, v15
	s_cbranch_execz .LBB1010_32
; %bb.31:
	v_and_b32_e32 v16, 1, v8
	v_cmp_eq_u16_e64 s1, 0, v8
	v_and_b32_e32 v23, 1, v23
	v_cndmask_b32_e64 v8, 0, v17, s1
	v_cmp_eq_u32_e64 s1, 1, v16
	v_add_nc_u32_e32 v6, v8, v6
	v_cndmask_b32_e64 v17, v23, 1, s1
	v_or_b32_sdwa v16, v5, v17 dst_sel:DWORD dst_unused:UNUSED_PAD src0_sel:DWORD src1_sel:WORD_0
	v_mov_b32_e32 v8, v17
.LBB1010_32:
	s_or_b32 exec_lo, exec_lo, s3
	v_mov_b32_dpp v17, v6 row_shr:4 row_mask:0xf bank_mask:0xf
	v_mov_b32_dpp v23, v16 row_shr:4 row_mask:0xf bank_mask:0xf
	s_mov_b32 s3, exec_lo
	v_cmpx_lt_u32_e32 3, v15
	s_cbranch_execz .LBB1010_34
; %bb.33:
	v_and_b32_e32 v16, 1, v8
	v_cmp_eq_u16_e64 s1, 0, v8
	v_and_b32_e32 v23, 1, v23
	v_cndmask_b32_e64 v8, 0, v17, s1
	v_cmp_eq_u32_e64 s1, 1, v16
	v_add_nc_u32_e32 v6, v8, v6
	v_cndmask_b32_e64 v17, v23, 1, s1
	v_or_b32_sdwa v16, v5, v17 dst_sel:DWORD dst_unused:UNUSED_PAD src0_sel:DWORD src1_sel:WORD_0
	v_mov_b32_e32 v8, v17
.LBB1010_34:
	s_or_b32 exec_lo, exec_lo, s3
	v_mov_b32_dpp v17, v6 row_shr:8 row_mask:0xf bank_mask:0xf
	v_mov_b32_dpp v23, v16 row_shr:8 row_mask:0xf bank_mask:0xf
	s_mov_b32 s3, exec_lo
	v_cmpx_lt_u32_e32 7, v15
	s_cbranch_execz .LBB1010_36
; %bb.35:
	v_and_b32_e32 v15, 1, v8
	v_cmp_eq_u16_e64 s1, 0, v8
	v_and_b32_e32 v16, 1, v23
	v_cndmask_b32_e64 v8, 0, v17, s1
	v_cmp_eq_u32_e64 s1, 1, v15
	v_add_nc_u32_e32 v6, v8, v6
	v_cndmask_b32_e64 v15, v16, 1, s1
	v_or_b32_sdwa v16, v5, v15 dst_sel:DWORD dst_unused:UNUSED_PAD src0_sel:DWORD src1_sel:WORD_0
	v_mov_b32_e32 v8, v15
.LBB1010_36:
	s_or_b32 exec_lo, exec_lo, s3
	ds_swizzle_b32 v15, v16 offset:swizzle(BROADCAST,32,15)
	ds_swizzle_b32 v16, v6 offset:swizzle(BROADCAST,32,15)
	v_and_b32_e32 v24, 1, v8
	v_cmp_eq_u16_e64 s1, 0, v8
	v_add_nc_u32_e32 v25, -1, v7
	v_and_b32_e32 v17, 16, v7
	v_bfe_i32 v23, v7, 4, 1
	; wave barrier
	s_waitcnt lgkmcnt(1)
	v_and_b32_e32 v15, 1, v15
	s_waitcnt lgkmcnt(0)
	v_cndmask_b32_e64 v16, 0, v16, s1
	v_cmp_eq_u32_e64 s1, 1, v24
	v_and_b32_e32 v16, v23, v16
	v_cndmask_b32_e64 v15, v15, 1, s1
	v_cmp_gt_i32_e64 s1, 0, v25
	v_add_nc_u32_e32 v6, v16, v6
	v_cndmask_b32_e64 v7, v25, v7, s1
	v_cmp_eq_u32_e64 s1, 0, v17
	v_lshlrev_b32_e32 v7, 2, v7
	v_cndmask_b32_e64 v8, v15, v8, s1
	ds_bpermute_b32 v6, v7, v6
	v_or_b32_sdwa v5, v5, v8 dst_sel:DWORD dst_unused:UNUSED_PAD src0_sel:DWORD src1_sel:WORD_0
	ds_bpermute_b32 v5, v7, v5
	v_mov_b32_e32 v7, 0
	v_cmp_eq_u16_sdwa s1, v2, v7 src0_sel:BYTE_0 src1_sel:DWORD
	s_waitcnt lgkmcnt(1)
	v_cndmask_b32_e64 v2, 0, v6, s1
	v_cmp_eq_u32_e64 s1, 1, v4
	v_add_nc_u32_e32 v1, v2, v1
	s_waitcnt lgkmcnt(0)
	v_and_b32_e32 v5, 1, v5
	v_cndmask_b32_e64 v2, v5, 1, s1
	v_cmp_eq_u32_e64 s1, 0, v0
	v_cndmask_b32_e64 v4, v1, v21, s1
	v_cndmask_b32_e64 v6, v2, v22, s1
	ds_write_b32 v3, v4
	ds_write_b8 v3, v6 offset:4
	; wave barrier
	ds_read_u8 v7, v3 offset:12
	ds_read2_b32 v[1:2], v3 offset0:2 offset1:4
	ds_read_u8 v8, v3 offset:20
	ds_read_u8 v15, v3 offset:28
	;; [unrolled: 1-line block ×5, first 2 shown]
	ds_read_b32 v24, v3 offset:56
	ds_read_u8 v25, v3 offset:60
	s_waitcnt lgkmcnt(8)
	v_cmp_eq_u16_e64 s1, 0, v7
	v_and_b32_e32 v7, 1, v7
	v_cndmask_b32_e64 v26, 0, v4, s1
	ds_read2_b32 v[4:5], v3 offset0:6 offset1:8
	s_waitcnt lgkmcnt(7)
	v_cmp_eq_u16_e64 s1, 0, v8
	v_and_b32_e32 v8, 1, v8
	s_waitcnt lgkmcnt(1)
	v_and_b32_e32 v29, 1, v25
	v_add_nc_u32_e32 v26, v26, v1
	v_cndmask_b32_e64 v1, 0, v26, s1
	v_cmp_eq_u16_e64 s1, 0, v15
	v_and_b32_e32 v15, 1, v15
	v_add_nc_u32_e32 v27, v1, v2
	ds_read2_b32 v[1:2], v3 offset0:10 offset1:12
	v_cndmask_b32_e64 v28, 0, v27, s1
	v_cmp_eq_u16_e64 s1, 0, v16
	v_and_b32_e32 v16, 1, v16
	s_waitcnt lgkmcnt(1)
	v_add_nc_u32_e32 v4, v28, v4
	v_cndmask_b32_e64 v28, 0, v4, s1
	v_cmp_eq_u32_e64 s1, 1, v7
	v_and_b32_e32 v7, 1, v17
	v_add_nc_u32_e32 v5, v28, v5
	v_cndmask_b32_e64 v6, v6, 1, s1
	v_cmp_eq_u16_e64 s1, 0, v17
	v_and_b32_e32 v28, 1, v23
	ds_write_b8 v3, v6 offset:12
	v_cndmask_b32_e64 v17, 0, v5, s1
	v_cmp_eq_u32_e64 s1, 1, v8
	s_waitcnt lgkmcnt(1)
	v_add_nc_u32_e32 v1, v17, v1
	v_cndmask_b32_e64 v8, v6, 1, s1
	v_cmp_eq_u32_e64 s1, 1, v15
	ds_write_b8 v3, v8 offset:20
	ds_write2_b32 v3, v26, v27 offset0:2 offset1:4
	v_cndmask_b32_e64 v15, v8, 1, s1
	v_cmp_eq_u16_e64 s1, 0, v23
	ds_write_b8 v3, v15 offset:28
	v_cndmask_b32_e64 v6, 0, v1, s1
	v_cmp_eq_u32_e64 s1, 1, v16
	v_add_nc_u32_e32 v2, v6, v2
	v_cndmask_b32_e64 v16, v15, 1, s1
	v_cmp_eq_u32_e64 s1, 1, v7
	v_cndmask_b32_e64 v6, v16, 1, s1
	v_cmp_eq_u16_e64 s1, 0, v25
	ds_write_b8 v3, v16 offset:36
	ds_write_b8 v3, v6 offset:44
	v_cndmask_b32_e64 v7, 0, v2, s1
	v_cmp_eq_u32_e64 s1, 1, v28
	v_cndmask_b32_e64 v8, v6, 1, s1
	v_cmp_eq_u32_e64 s1, 1, v29
	v_add_nc_u32_e32 v6, v7, v24
	v_cndmask_b32_e64 v7, v8, 1, s1
	ds_write_b8 v3, v8 offset:52
	ds_write2_b32 v3, v4, v5 offset0:6 offset1:8
	ds_write2_b32 v3, v1, v2 offset0:10 offset1:12
	ds_write_b32 v3, v6 offset:56
	ds_write_b8 v3, v7 offset:60
.LBB1010_37:
	s_or_b32 exec_lo, exec_lo, s2
	v_cmp_eq_u32_e64 s1, 0, v0
	s_mov_b32 s3, exec_lo
	s_waitcnt lgkmcnt(0)
	s_barrier
	buffer_gl0_inv
	v_cmpx_ne_u32_e32 0, v0
	s_cbranch_execz .LBB1010_39
; %bb.38:
	v_add_nc_u32_e32 v1, -1, v0
	v_lshrrev_b32_e32 v2, 2, v1
	v_and_b32_e32 v2, 0x3ffffff8, v2
	v_lshl_add_u32 v1, v1, 3, v2
	ds_read_b32 v21, v1
	ds_read_u8 v22, v1 offset:4
.LBB1010_39:
	s_or_b32 exec_lo, exec_lo, s3
	s_and_saveexec_b32 s13, vcc_lo
	s_cbranch_execz .LBB1010_59
; %bb.40:
	v_mov_b32_e32 v4, 0
	v_mbcnt_lo_u32_b32 v23, -1, 0
	s_mov_b32 s11, 0
	ds_read_b64 v[1:2], v4 offset:2096
	v_cmp_eq_u32_e64 s2, 0, v23
	s_and_saveexec_b32 s3, s2
	s_cbranch_execz .LBB1010_42
; %bb.41:
	s_add_i32 s10, s6, 32
	v_mov_b32_e32 v3, 1
	s_lshl_b64 s[10:11], s[10:11], 4
	s_add_u32 s10, s16, s10
	s_addc_u32 s11, s17, s11
	v_mov_b32_e32 v5, s10
	v_mov_b32_e32 v6, s11
	s_waitcnt lgkmcnt(0)
	;;#ASMSTART
	global_store_dwordx4 v[5:6], v[1:4] off	
s_waitcnt vmcnt(0)
	;;#ASMEND
.LBB1010_42:
	s_or_b32 exec_lo, exec_lo, s3
	v_xad_u32 v15, v23, -1, s6
	v_add_nc_u32_e32 v3, 32, v15
	v_lshlrev_b64 v[5:6], 4, v[3:4]
	v_add_co_u32 v16, vcc_lo, s16, v5
	v_add_co_ci_u32_e64 v17, null, s17, v6, vcc_lo
	;;#ASMSTART
	global_load_dwordx4 v[5:8], v[16:17] off glc dlc	
s_waitcnt vmcnt(0)
	;;#ASMEND
	v_and_b32_e32 v6, 0xff, v6
	v_cmp_eq_u16_sdwa s10, v7, v4 src0_sel:BYTE_0 src1_sel:DWORD
	s_and_saveexec_b32 s3, s10
	s_cbranch_execz .LBB1010_46
; %bb.43:
	v_mov_b32_e32 v3, 0
	s_mov_b32 s10, 0
.LBB1010_44:                            ; =>This Inner Loop Header: Depth=1
	;;#ASMSTART
	global_load_dwordx4 v[5:8], v[16:17] off glc dlc	
s_waitcnt vmcnt(0)
	;;#ASMEND
	v_cmp_ne_u16_sdwa s11, v7, v3 src0_sel:BYTE_0 src1_sel:DWORD
	s_or_b32 s10, s11, s10
	s_andn2_b32 exec_lo, exec_lo, s10
	s_cbranch_execnz .LBB1010_44
; %bb.45:
	s_or_b32 exec_lo, exec_lo, s10
	v_and_b32_e32 v6, 0xff, v6
.LBB1010_46:
	s_or_b32 exec_lo, exec_lo, s3
	v_cmp_ne_u32_e32 vcc_lo, 31, v23
	v_mov_b32_e32 v24, 2
	v_lshlrev_b32_e64 v25, v23, -1
	v_and_b32_e32 v8, 1, v6
	s_mov_b32 s10, 0
	v_add_co_ci_u32_e64 v3, null, 0, v23, vcc_lo
	v_cmp_eq_u16_sdwa s3, v7, v24 src0_sel:BYTE_0 src1_sel:DWORD
	v_cmp_eq_u32_e32 vcc_lo, 1, v8
	s_mov_b32 s11, 1
	v_lshlrev_b32_e32 v17, 2, v3
	v_add_nc_u32_e32 v33, 8, v23
	v_and_or_b32 v4, s3, v25, 0x80000000
	v_cmp_gt_u64_e64 s3, s[10:11], v[5:6]
	v_lshl_or_b32 v34, v23, 2, 64
	ds_bpermute_b32 v3, v17, v6
	ds_bpermute_b32 v16, v17, v5
	v_ffbl_b32_e32 v4, v4
	v_add_nc_u32_e32 v35, 16, v23
	s_waitcnt lgkmcnt(1)
	v_and_b32_e32 v3, 1, v3
	v_cndmask_b32_e64 v3, v3, 1, vcc_lo
	v_cmp_gt_u32_e32 vcc_lo, 30, v23
	v_and_b32_e32 v27, 0xffff, v3
	v_cndmask_b32_e64 v8, 0, 2, vcc_lo
	v_cmp_lt_u32_e32 vcc_lo, v23, v4
	v_add_lshl_u32 v26, v8, v23, 2
	v_cndmask_b32_e32 v8, v6, v27, vcc_lo
	v_cndmask_b32_e32 v3, v6, v3, vcc_lo
	s_and_b32 vcc_lo, vcc_lo, s3
	s_waitcnt lgkmcnt(0)
	v_cndmask_b32_e32 v6, 0, v16, vcc_lo
	ds_bpermute_b32 v27, v26, v8
	v_and_b32_e32 v16, 1, v3
	v_add_nc_u32_e32 v5, v6, v5
	v_cmp_eq_u32_e32 vcc_lo, 1, v16
	v_mov_b32_e32 v16, 0
	ds_bpermute_b32 v6, v26, v5
	v_cmp_eq_u16_sdwa s3, v3, v16 src0_sel:BYTE_0 src1_sel:DWORD
	s_waitcnt lgkmcnt(1)
	v_and_b32_e32 v28, 1, v27
	v_add_nc_u32_e32 v27, 2, v23
	v_cndmask_b32_e64 v29, v28, 1, vcc_lo
	v_cmp_gt_u32_e32 vcc_lo, 28, v23
	v_and_b32_e32 v30, 0xffff, v29
	v_cndmask_b32_e64 v28, 0, 4, vcc_lo
	v_cmp_gt_u32_e32 vcc_lo, v27, v4
	v_add_lshl_u32 v28, v28, v23, 2
	v_cndmask_b32_e32 v8, v30, v8, vcc_lo
	v_cndmask_b32_e32 v31, v29, v3, vcc_lo
	s_waitcnt lgkmcnt(0)
	v_cndmask_b32_e64 v3, 0, v6, s3
	v_add_nc_u32_e32 v29, 4, v23
	ds_bpermute_b32 v6, v28, v8
	v_and_b32_e32 v30, 1, v31
	v_cndmask_b32_e64 v3, v3, 0, vcc_lo
	v_cmp_eq_u16_sdwa s3, v31, v16 src0_sel:BYTE_0 src1_sel:DWORD
	v_cmp_eq_u32_e32 vcc_lo, 1, v30
	v_add_nc_u32_e32 v3, v3, v5
	ds_bpermute_b32 v5, v28, v3
	s_waitcnt lgkmcnt(1)
	v_and_b32_e32 v6, 1, v6
	v_cndmask_b32_e64 v6, v6, 1, vcc_lo
	v_cmp_gt_u32_e32 vcc_lo, 24, v23
	v_and_b32_e32 v32, 0xffff, v6
	v_cndmask_b32_e64 v30, 0, 8, vcc_lo
	v_cmp_gt_u32_e32 vcc_lo, v29, v4
	s_waitcnt lgkmcnt(0)
	v_cndmask_b32_e64 v5, 0, v5, s3
	v_add_lshl_u32 v30, v30, v23, 2
	v_cndmask_b32_e32 v8, v32, v8, vcc_lo
	v_cndmask_b32_e32 v6, v6, v31, vcc_lo
	v_cndmask_b32_e64 v5, v5, 0, vcc_lo
	ds_bpermute_b32 v31, v30, v8
	v_and_b32_e32 v32, 1, v6
	v_add_nc_u32_e32 v3, v5, v3
	v_cmp_eq_u32_e32 vcc_lo, 1, v32
	ds_bpermute_b32 v5, v30, v3
	s_waitcnt lgkmcnt(1)
	v_and_b32_e32 v31, 1, v31
	v_cndmask_b32_e64 v31, v31, 1, vcc_lo
	v_cmp_eq_u16_sdwa vcc_lo, v6, v16 src0_sel:BYTE_0 src1_sel:DWORD
	v_and_b32_e32 v32, 0xffff, v31
	s_waitcnt lgkmcnt(0)
	v_cndmask_b32_e32 v5, 0, v5, vcc_lo
	v_cmp_gt_u32_e32 vcc_lo, v33, v4
	v_cndmask_b32_e64 v5, v5, 0, vcc_lo
	v_cndmask_b32_e32 v8, v32, v8, vcc_lo
	v_cndmask_b32_e32 v6, v31, v6, vcc_lo
	v_add_nc_u32_e32 v3, v5, v3
	ds_bpermute_b32 v5, v34, v8
	v_and_b32_e32 v31, 1, v6
	v_cmp_eq_u16_sdwa vcc_lo, v6, v16 src0_sel:BYTE_0 src1_sel:DWORD
	ds_bpermute_b32 v8, v34, v3
	s_waitcnt lgkmcnt(1)
	v_and_b32_e32 v5, 1, v5
	s_waitcnt lgkmcnt(0)
	v_cndmask_b32_e32 v8, 0, v8, vcc_lo
	v_cmp_eq_u32_e32 vcc_lo, 1, v31
	v_cndmask_b32_e64 v5, v5, 1, vcc_lo
	v_cmp_gt_u32_e32 vcc_lo, v35, v4
	v_cndmask_b32_e32 v4, v5, v6, vcc_lo
	v_cndmask_b32_e64 v5, v8, 0, vcc_lo
	v_add_nc_u32_e32 v3, v5, v3
	s_branch .LBB1010_50
.LBB1010_47:                            ;   in Loop: Header=BB1010_50 Depth=1
	s_or_b32 exec_lo, exec_lo, s19
	v_and_b32_e32 v6, 0xff, v6
.LBB1010_48:                            ;   in Loop: Header=BB1010_50 Depth=1
	s_or_b32 exec_lo, exec_lo, s3
	ds_bpermute_b32 v3, v17, v6
	v_cmp_eq_u16_sdwa s3, v7, v24 src0_sel:BYTE_0 src1_sel:DWORD
	v_and_b32_e32 v4, 1, v6
	v_subrev_nc_u32_e32 v15, 32, v15
	v_and_or_b32 v8, s3, v25, 0x80000000
	v_cmp_eq_u32_e32 vcc_lo, 1, v4
	v_cmp_gt_u64_e64 s3, s[10:11], v[5:6]
	v_ffbl_b32_e32 v4, v8
	ds_bpermute_b32 v8, v17, v5
	s_waitcnt lgkmcnt(1)
	v_and_b32_e32 v3, 1, v3
	v_cndmask_b32_e64 v3, v3, 1, vcc_lo
	v_cmp_lt_u32_e32 vcc_lo, v23, v4
	v_and_b32_e32 v36, 0xffff, v3
	v_cndmask_b32_e32 v3, v6, v3, vcc_lo
	v_cndmask_b32_e32 v36, v6, v36, vcc_lo
	s_and_b32 vcc_lo, vcc_lo, s3
	v_cmp_eq_u16_sdwa s3, v3, v16 src0_sel:BYTE_0 src1_sel:DWORD
	s_waitcnt lgkmcnt(0)
	v_cndmask_b32_e32 v6, 0, v8, vcc_lo
	v_and_b32_e32 v8, 1, v3
	ds_bpermute_b32 v37, v26, v36
	v_add_nc_u32_e32 v5, v6, v5
	v_cmp_eq_u32_e32 vcc_lo, 1, v8
	ds_bpermute_b32 v6, v26, v5
	s_waitcnt lgkmcnt(1)
	v_and_b32_e32 v37, 1, v37
	v_cndmask_b32_e64 v8, v37, 1, vcc_lo
	v_cmp_gt_u32_e32 vcc_lo, v27, v4
	v_and_b32_e32 v37, 0xffff, v8
	v_cndmask_b32_e32 v8, v8, v3, vcc_lo
	s_waitcnt lgkmcnt(0)
	v_cndmask_b32_e64 v3, 0, v6, s3
	v_cndmask_b32_e32 v36, v37, v36, vcc_lo
	v_and_b32_e32 v37, 1, v8
	v_cndmask_b32_e64 v3, v3, 0, vcc_lo
	v_cmp_eq_u16_sdwa s3, v8, v16 src0_sel:BYTE_0 src1_sel:DWORD
	ds_bpermute_b32 v6, v28, v36
	v_cmp_eq_u32_e32 vcc_lo, 1, v37
	v_add_nc_u32_e32 v3, v3, v5
	ds_bpermute_b32 v5, v28, v3
	s_waitcnt lgkmcnt(1)
	v_and_b32_e32 v6, 1, v6
	v_cndmask_b32_e64 v6, v6, 1, vcc_lo
	v_cmp_gt_u32_e32 vcc_lo, v29, v4
	s_waitcnt lgkmcnt(0)
	v_cndmask_b32_e64 v5, 0, v5, s3
	s_mov_b32 s3, 0
	v_and_b32_e32 v37, 0xffff, v6
	v_cndmask_b32_e32 v6, v6, v8, vcc_lo
	v_cndmask_b32_e64 v5, v5, 0, vcc_lo
	v_cndmask_b32_e32 v8, v37, v36, vcc_lo
	v_and_b32_e32 v37, 1, v6
	v_add_nc_u32_e32 v3, v5, v3
	ds_bpermute_b32 v36, v30, v8
	v_cmp_eq_u32_e32 vcc_lo, 1, v37
	ds_bpermute_b32 v5, v30, v3
	s_waitcnt lgkmcnt(1)
	v_and_b32_e32 v36, 1, v36
	v_cndmask_b32_e64 v36, v36, 1, vcc_lo
	v_cmp_eq_u16_sdwa vcc_lo, v6, v16 src0_sel:BYTE_0 src1_sel:DWORD
	v_and_b32_e32 v37, 0xffff, v36
	s_waitcnt lgkmcnt(0)
	v_cndmask_b32_e32 v5, 0, v5, vcc_lo
	v_cmp_gt_u32_e32 vcc_lo, v33, v4
	v_cndmask_b32_e64 v5, v5, 0, vcc_lo
	v_cndmask_b32_e32 v8, v37, v8, vcc_lo
	v_cndmask_b32_e32 v6, v36, v6, vcc_lo
	v_add_nc_u32_e32 v3, v5, v3
	ds_bpermute_b32 v5, v34, v8
	v_and_b32_e32 v36, 1, v6
	ds_bpermute_b32 v8, v34, v3
	v_cmp_eq_u32_e32 vcc_lo, 1, v36
	s_waitcnt lgkmcnt(1)
	v_cndmask_b32_e64 v5, v5, 1, vcc_lo
	v_cmp_eq_u16_sdwa vcc_lo, v6, v16 src0_sel:BYTE_0 src1_sel:DWORD
	s_waitcnt lgkmcnt(0)
	v_cndmask_b32_e32 v8, 0, v8, vcc_lo
	v_cmp_gt_u32_e32 vcc_lo, v35, v4
	v_cndmask_b32_e32 v4, v5, v6, vcc_lo
	v_cndmask_b32_e64 v5, v8, 0, vcc_lo
	v_cmp_eq_u16_sdwa vcc_lo, v31, v16 src0_sel:BYTE_0 src1_sel:DWORD
	v_and_b32_e32 v4, 1, v4
	v_add_nc_u32_e32 v3, v5, v3
	v_and_b32_e32 v5, 1, v31
	v_cndmask_b32_e32 v3, 0, v3, vcc_lo
	v_cmp_eq_u32_e32 vcc_lo, 1, v5
	v_add_nc_u32_e32 v3, v3, v32
	v_cndmask_b32_e64 v4, v4, 1, vcc_lo
.LBB1010_49:                            ;   in Loop: Header=BB1010_50 Depth=1
	s_and_b32 vcc_lo, exec_lo, s3
	s_cbranch_vccnz .LBB1010_55
.LBB1010_50:                            ; =>This Loop Header: Depth=1
                                        ;     Child Loop BB1010_53 Depth 2
	v_cmp_ne_u16_sdwa s3, v7, v24 src0_sel:BYTE_0 src1_sel:DWORD
	v_mov_b32_e32 v31, v4
	v_mov_b32_e32 v32, v3
                                        ; implicit-def: $vgpr4
                                        ; implicit-def: $vgpr3
                                        ; implicit-def: $vgpr7
	s_cmp_lg_u32 s3, exec_lo
	s_mov_b32 s3, -1
	s_cbranch_scc1 .LBB1010_49
; %bb.51:                               ;   in Loop: Header=BB1010_50 Depth=1
	v_lshlrev_b64 v[3:4], 4, v[15:16]
	v_add_co_u32 v3, vcc_lo, s16, v3
	v_add_co_ci_u32_e64 v4, null, s17, v4, vcc_lo
	;;#ASMSTART
	global_load_dwordx4 v[5:8], v[3:4] off glc dlc	
s_waitcnt vmcnt(0)
	;;#ASMEND
	v_and_b32_e32 v6, 0xff, v6
	v_cmp_eq_u16_sdwa s19, v7, v16 src0_sel:BYTE_0 src1_sel:DWORD
	s_and_saveexec_b32 s3, s19
	s_cbranch_execz .LBB1010_48
; %bb.52:                               ;   in Loop: Header=BB1010_50 Depth=1
	s_mov_b32 s19, 0
.LBB1010_53:                            ;   Parent Loop BB1010_50 Depth=1
                                        ; =>  This Inner Loop Header: Depth=2
	;;#ASMSTART
	global_load_dwordx4 v[5:8], v[3:4] off glc dlc	
s_waitcnt vmcnt(0)
	;;#ASMEND
	v_cmp_ne_u16_sdwa s20, v7, v16 src0_sel:BYTE_0 src1_sel:DWORD
	s_or_b32 s19, s20, s19
	s_andn2_b32 exec_lo, exec_lo, s19
	s_cbranch_execnz .LBB1010_53
	s_branch .LBB1010_47
.LBB1010_54:
                                        ; implicit-def: $vgpr5
                                        ; implicit-def: $vgpr6
                                        ; implicit-def: $vgpr7
	s_cbranch_execnz .LBB1010_60
	s_branch .LBB1010_77
.LBB1010_55:
	s_and_saveexec_b32 s3, s2
	s_cbranch_execz .LBB1010_57
; %bb.56:
	v_mov_b32_e32 v4, 0
	v_and_b32_e32 v3, 1, v2
	s_mov_b32 s11, 0
	s_add_i32 s10, s6, 32
	v_and_b32_e32 v5, 1, v31
	v_cmp_eq_u32_sdwa vcc_lo, v2, v4 src0_sel:BYTE_0 src1_sel:DWORD
	s_lshl_b64 s[10:11], s[10:11], 4
	s_add_u32 s10, s16, s10
	s_addc_u32 s11, s17, s11
	v_cndmask_b32_e32 v2, 0, v32, vcc_lo
	v_cmp_eq_u32_e32 vcc_lo, 1, v3
	v_mov_b32_e32 v3, 2
	v_add_nc_u32_e32 v1, v2, v1
	v_cndmask_b32_e64 v2, v5, 1, vcc_lo
	v_mov_b32_e32 v5, s10
	v_mov_b32_e32 v6, s11
	;;#ASMSTART
	global_store_dwordx4 v[5:6], v[1:4] off	
s_waitcnt vmcnt(0)
	;;#ASMEND
.LBB1010_57:
	s_or_b32 exec_lo, exec_lo, s3
	s_and_b32 exec_lo, exec_lo, s1
	s_cbranch_execz .LBB1010_59
; %bb.58:
	v_mov_b32_e32 v1, 0
	ds_write_b32 v1, v32
	ds_write_b8 v1, v31 offset:4
.LBB1010_59:
	s_or_b32 exec_lo, exec_lo, s13
	v_mov_b32_e32 v1, 0
	s_waitcnt lgkmcnt(0)
	s_barrier
	buffer_gl0_inv
	ds_read_b32 v3, v1
	v_cmp_eq_u16_sdwa vcc_lo, v22, v1 src0_sel:BYTE_0 src1_sel:DWORD
	s_waitcnt lgkmcnt(0)
	v_cndmask_b32_e32 v2, 0, v3, vcc_lo
	v_add_nc_u32_e32 v4, v2, v21
	v_and_b32_e32 v2, 0xff, v10
	v_cndmask_b32_e64 v5, v4, v3, s1
	v_cmp_eq_u64_e32 vcc_lo, 0, v[1:2]
	v_cndmask_b32_e32 v1, 0, v5, vcc_lo
	v_add_nc_u32_e32 v6, v1, v9
	v_cndmask_b32_e64 v1, 0, v6, s0
	v_add_nc_u32_e32 v7, v1, v11
	s_branch .LBB1010_77
.LBB1010_60:
	s_cmp_eq_u64 s[24:25], 0
	v_mov_b32_e32 v3, s26
	s_cselect_b32 s0, -1, 0
	s_cmp_eq_u64 s[22:23], 0
	s_cselect_b32 s1, -1, 0
	s_or_b32 s0, s0, s1
	s_and_b32 vcc_lo, exec_lo, s0
	s_cbranch_vccnz .LBB1010_62
; %bb.61:
	v_mov_b32_e32 v1, 0
	global_load_dword v3, v1, s[22:23]
.LBB1010_62:
	s_mov_b32 s0, 0
	s_mov_b32 s1, 1
	v_and_b32_e32 v2, 0xff, v20
	v_cmp_gt_u64_e32 vcc_lo, s[0:1], v[11:12]
	v_cmp_gt_u64_e64 s0, s[0:1], v[13:14]
	v_and_b32_e32 v6, 56, v19
	s_mov_b32 s1, exec_lo
	v_cndmask_b32_e32 v1, 0, v9, vcc_lo
	v_add_nc_u32_e32 v4, v1, v11
	v_mov_b32_e32 v1, 0
	v_cndmask_b32_e64 v4, 0, v4, s0
	v_cmp_eq_u64_e64 s0, 0, v[1:2]
	v_lshl_add_u32 v1, v0, 3, v6
	v_add_nc_u32_e32 v6, v4, v13
	v_cndmask_b32_e64 v5, 1, v10, s0
	ds_write_b8 v1, v5 offset:4
	ds_write_b32 v1, v6
	s_waitcnt vmcnt(0) lgkmcnt(0)
	s_barrier
	buffer_gl0_inv
	v_cmpx_gt_u32_e32 32, v0
	s_cbranch_execz .LBB1010_72
; %bb.63:
	v_lshlrev_b32_e32 v1, 1, v0
	v_lshlrev_b32_e32 v2, 6, v0
	s_mov_b32 s2, exec_lo
	v_and_b32_e32 v1, 0x1f8, v1
	v_add_nc_u32_e32 v4, v1, v2
	ds_read_u8 v14, v4 offset:12
	ds_read_b64 v[1:2], v4
	ds_read2_b32 v[7:8], v4 offset0:2 offset1:4
	ds_read_u8 v15, v4 offset:20
	ds_read_u8 v16, v4 offset:28
	;; [unrolled: 1-line block ×5, first 2 shown]
	ds_read_b32 v21, v4 offset:56
	ds_read2_b32 v[12:13], v4 offset0:6 offset1:8
	s_waitcnt lgkmcnt(9)
	v_cmp_eq_u16_e64 s0, 0, v14
	s_waitcnt lgkmcnt(6)
	v_or_b32_e32 v14, v15, v14
	v_cndmask_b32_e64 v22, 0, v1, s0
	v_cmp_eq_u16_e64 s0, 0, v15
	ds_read_u8 v15, v4 offset:60
	s_waitcnt lgkmcnt(6)
	v_or_b32_e32 v14, v14, v16
	v_add_nc_u32_e32 v7, v22, v7
	v_cndmask_b32_e64 v7, 0, v7, s0
	v_cmp_eq_u16_e64 s0, 0, v16
	v_add_nc_u32_e32 v7, v7, v8
	v_cndmask_b32_e64 v22, 0, v7, s0
	ds_read2_b32 v[7:8], v4 offset0:10 offset1:12
	s_waitcnt lgkmcnt(6)
	v_cmp_eq_u16_e64 s0, 0, v17
	s_waitcnt lgkmcnt(2)
	v_add_nc_u32_e32 v12, v22, v12
	v_cndmask_b32_e64 v12, 0, v12, s0
	v_cmp_eq_u16_e64 s0, 0, v19
	v_add_nc_u32_e32 v12, v12, v13
	v_or_b32_e32 v13, v14, v17
	s_waitcnt lgkmcnt(1)
	v_and_b32_e32 v14, 1, v15
	v_cndmask_b32_e64 v12, 0, v12, s0
	v_or_b32_e32 v13, v13, v19
	v_cmp_eq_u16_e64 s0, 0, v20
	s_waitcnt lgkmcnt(0)
	v_add_nc_u32_e32 v12, v12, v7
	v_or_b32_e32 v13, v13, v20
	v_and_b32_e32 v7, 1, v2
	v_cndmask_b32_e64 v12, 0, v12, s0
	v_cmp_eq_u16_e64 s0, 0, v13
	v_add_nc_u32_e32 v12, v12, v8
	v_cndmask_b32_e64 v13, 1, v7, s0
	v_cmp_eq_u32_e64 s0, 1, v14
	v_and_b32_e32 v8, 0xffffff00, v2
	v_cndmask_b32_e64 v14, v13, 1, s0
	v_cmp_eq_u16_e64 s0, 0, v15
	v_mbcnt_lo_u32_b32 v13, -1, 0
	v_or_b32_sdwa v16, v8, v14 dst_sel:DWORD dst_unused:UNUSED_PAD src0_sel:DWORD src1_sel:WORD_0
	v_cndmask_b32_e64 v12, 0, v12, s0
	v_and_b32_e32 v15, 15, v13
	v_mov_b32_dpp v19, v16 row_shr:1 row_mask:0xf bank_mask:0xf
	v_add_nc_u32_e32 v12, v12, v21
	v_mov_b32_dpp v17, v12 row_shr:1 row_mask:0xf bank_mask:0xf
	v_cmpx_ne_u32_e32 0, v15
	s_cbranch_execz .LBB1010_65
; %bb.64:
	v_and_b32_e32 v16, 1, v14
	v_cmp_eq_u16_e64 s0, 0, v14
	v_and_b32_e32 v19, 1, v19
	v_cndmask_b32_e64 v14, 0, v17, s0
	v_cmp_eq_u32_e64 s0, 1, v16
	v_add_nc_u32_e32 v12, v14, v12
	v_cndmask_b32_e64 v17, v19, 1, s0
	v_or_b32_sdwa v16, v8, v17 dst_sel:DWORD dst_unused:UNUSED_PAD src0_sel:DWORD src1_sel:WORD_0
	v_mov_b32_e32 v14, v17
.LBB1010_65:
	s_or_b32 exec_lo, exec_lo, s2
	v_mov_b32_dpp v17, v12 row_shr:2 row_mask:0xf bank_mask:0xf
	v_mov_b32_dpp v19, v16 row_shr:2 row_mask:0xf bank_mask:0xf
	s_mov_b32 s2, exec_lo
	v_cmpx_lt_u32_e32 1, v15
	s_cbranch_execz .LBB1010_67
; %bb.66:
	v_and_b32_e32 v16, 1, v14
	v_cmp_eq_u16_e64 s0, 0, v14
	v_and_b32_e32 v19, 1, v19
	v_cndmask_b32_e64 v14, 0, v17, s0
	v_cmp_eq_u32_e64 s0, 1, v16
	v_add_nc_u32_e32 v12, v14, v12
	v_cndmask_b32_e64 v17, v19, 1, s0
	v_or_b32_sdwa v16, v8, v17 dst_sel:DWORD dst_unused:UNUSED_PAD src0_sel:DWORD src1_sel:WORD_0
	v_mov_b32_e32 v14, v17
.LBB1010_67:
	s_or_b32 exec_lo, exec_lo, s2
	v_mov_b32_dpp v17, v12 row_shr:4 row_mask:0xf bank_mask:0xf
	v_mov_b32_dpp v19, v16 row_shr:4 row_mask:0xf bank_mask:0xf
	s_mov_b32 s2, exec_lo
	v_cmpx_lt_u32_e32 3, v15
	;; [unrolled: 17-line block ×3, first 2 shown]
	s_cbranch_execz .LBB1010_71
; %bb.70:
	v_and_b32_e32 v15, 1, v14
	v_cmp_eq_u16_e64 s0, 0, v14
	v_and_b32_e32 v16, 1, v19
	v_cndmask_b32_e64 v14, 0, v17, s0
	v_cmp_eq_u32_e64 s0, 1, v15
	v_add_nc_u32_e32 v12, v14, v12
	v_cndmask_b32_e64 v15, v16, 1, s0
	v_or_b32_sdwa v16, v8, v15 dst_sel:DWORD dst_unused:UNUSED_PAD src0_sel:DWORD src1_sel:WORD_0
	v_mov_b32_e32 v14, v15
.LBB1010_71:
	s_or_b32 exec_lo, exec_lo, s2
	ds_swizzle_b32 v15, v16 offset:swizzle(BROADCAST,32,15)
	ds_swizzle_b32 v16, v12 offset:swizzle(BROADCAST,32,15)
	v_and_b32_e32 v20, 1, v14
	v_cmp_eq_u16_e64 s0, 0, v14
	v_add_nc_u32_e32 v21, -1, v13
	v_and_b32_e32 v17, 16, v13
	v_bfe_i32 v19, v13, 4, 1
	; wave barrier
	s_waitcnt lgkmcnt(1)
	v_and_b32_e32 v15, 1, v15
	s_waitcnt lgkmcnt(0)
	v_cndmask_b32_e64 v16, 0, v16, s0
	v_cmp_eq_u32_e64 s0, 1, v20
	v_and_b32_e32 v16, v19, v16
	v_cndmask_b32_e64 v15, v15, 1, s0
	v_cmp_gt_i32_e64 s0, 0, v21
	v_add_nc_u32_e32 v12, v16, v12
	v_cndmask_b32_e64 v13, v21, v13, s0
	v_cmp_eq_u32_e64 s0, 0, v17
	v_lshlrev_b32_e32 v13, 2, v13
	v_cndmask_b32_e64 v14, v15, v14, s0
	ds_bpermute_b32 v12, v13, v12
	v_or_b32_sdwa v8, v8, v14 dst_sel:DWORD dst_unused:UNUSED_PAD src0_sel:DWORD src1_sel:WORD_0
	ds_bpermute_b32 v8, v13, v8
	v_mov_b32_e32 v13, 0
	v_cmp_eq_u16_sdwa s0, v2, v13 src0_sel:BYTE_0 src1_sel:DWORD
	s_waitcnt lgkmcnt(1)
	v_cndmask_b32_e64 v2, 0, v12, s0
	v_cmp_eq_u32_e64 s0, 1, v7
	v_add_nc_u32_e32 v1, v2, v1
	s_waitcnt lgkmcnt(0)
	v_and_b32_e32 v8, 1, v8
	v_cndmask_b32_e64 v2, v8, 1, s0
	v_cmp_eq_u32_e64 s0, 0, v0
	v_cndmask_b32_e64 v6, v1, v6, s0
	v_cndmask_b32_e64 v7, v2, v5, s0
	ds_write_b32 v4, v6
	ds_write_b8 v4, v7 offset:4
	; wave barrier
	ds_read_u8 v8, v4 offset:12
	ds_read2_b32 v[1:2], v4 offset0:2 offset1:4
	ds_read_u8 v12, v4 offset:20
	ds_read_u8 v13, v4 offset:28
	ds_read_u8 v14, v4 offset:36
	ds_read_u8 v15, v4 offset:44
	ds_read_u8 v16, v4 offset:52
	ds_read_b32 v17, v4 offset:56
	ds_read_u8 v19, v4 offset:60
	s_waitcnt lgkmcnt(8)
	v_cmp_eq_u16_e64 s0, 0, v8
	v_and_b32_e32 v8, 1, v8
	v_cndmask_b32_e64 v20, 0, v6, s0
	ds_read2_b32 v[5:6], v4 offset0:6 offset1:8
	s_waitcnt lgkmcnt(7)
	v_cmp_eq_u16_e64 s0, 0, v12
	v_and_b32_e32 v12, 1, v12
	s_waitcnt lgkmcnt(1)
	v_and_b32_e32 v23, 1, v19
	v_add_nc_u32_e32 v20, v20, v1
	v_cndmask_b32_e64 v1, 0, v20, s0
	v_cmp_eq_u16_e64 s0, 0, v13
	v_and_b32_e32 v13, 1, v13
	v_add_nc_u32_e32 v21, v1, v2
	ds_read2_b32 v[1:2], v4 offset0:10 offset1:12
	v_cndmask_b32_e64 v22, 0, v21, s0
	v_cmp_eq_u16_e64 s0, 0, v14
	v_and_b32_e32 v14, 1, v14
	s_waitcnt lgkmcnt(1)
	v_add_nc_u32_e32 v5, v22, v5
	v_cndmask_b32_e64 v22, 0, v5, s0
	v_cmp_eq_u32_e64 s0, 1, v8
	v_and_b32_e32 v8, 1, v15
	v_add_nc_u32_e32 v6, v22, v6
	v_cndmask_b32_e64 v7, v7, 1, s0
	v_cmp_eq_u16_e64 s0, 0, v15
	v_and_b32_e32 v22, 1, v16
	ds_write_b8 v4, v7 offset:12
	v_cndmask_b32_e64 v15, 0, v6, s0
	v_cmp_eq_u32_e64 s0, 1, v12
	s_waitcnt lgkmcnt(1)
	v_add_nc_u32_e32 v1, v15, v1
	v_cndmask_b32_e64 v12, v7, 1, s0
	v_cmp_eq_u32_e64 s0, 1, v13
	ds_write_b8 v4, v12 offset:20
	ds_write2_b32 v4, v20, v21 offset0:2 offset1:4
	v_cndmask_b32_e64 v13, v12, 1, s0
	v_cmp_eq_u16_e64 s0, 0, v16
	ds_write_b8 v4, v13 offset:28
	v_cndmask_b32_e64 v7, 0, v1, s0
	v_cmp_eq_u32_e64 s0, 1, v14
	v_add_nc_u32_e32 v2, v7, v2
	v_cndmask_b32_e64 v14, v13, 1, s0
	v_cmp_eq_u32_e64 s0, 1, v8
	v_cndmask_b32_e64 v7, v14, 1, s0
	v_cmp_eq_u16_e64 s0, 0, v19
	ds_write_b8 v4, v14 offset:36
	ds_write_b8 v4, v7 offset:44
	v_cndmask_b32_e64 v8, 0, v2, s0
	v_cmp_eq_u32_e64 s0, 1, v22
	v_cndmask_b32_e64 v12, v7, 1, s0
	v_cmp_eq_u32_e64 s0, 1, v23
	v_add_nc_u32_e32 v7, v8, v17
	v_cndmask_b32_e64 v8, v12, 1, s0
	ds_write_b8 v4, v12 offset:52
	ds_write2_b32 v4, v5, v6 offset0:6 offset1:8
	ds_write2_b32 v4, v1, v2 offset0:10 offset1:12
	ds_write_b32 v4, v7 offset:56
	ds_write_b8 v4, v8 offset:60
.LBB1010_72:
	s_or_b32 exec_lo, exec_lo, s1
	v_cmp_eq_u32_e64 s0, 0, v0
	v_mov_b32_e32 v5, v3
	s_mov_b32 s2, exec_lo
	s_waitcnt lgkmcnt(0)
	s_barrier
	buffer_gl0_inv
	v_cmpx_ne_u32_e32 0, v0
	s_cbranch_execz .LBB1010_74
; %bb.73:
	v_add_nc_u32_e32 v1, -1, v0
	v_lshrrev_b32_e32 v2, 2, v1
	v_and_b32_e32 v2, 0x3ffffff8, v2
	v_lshl_add_u32 v1, v1, 3, v2
	ds_read_u8 v2, v1 offset:4
	ds_read_b32 v1, v1
	s_waitcnt lgkmcnt(1)
	v_cmp_eq_u16_e64 s1, 0, v2
	v_cndmask_b32_e64 v2, 0, v3, s1
	s_waitcnt lgkmcnt(0)
	v_add_nc_u32_e32 v5, v2, v1
.LBB1010_74:
	s_or_b32 exec_lo, exec_lo, s2
	v_and_b32_e32 v2, 0xff, v10
	v_mov_b32_e32 v1, 0
	v_cmp_eq_u64_e64 s1, 0, v[1:2]
	v_cndmask_b32_e64 v2, 0, v5, s1
	v_add_nc_u32_e32 v6, v2, v9
	v_cndmask_b32_e32 v2, 0, v6, vcc_lo
	s_and_saveexec_b32 s1, s0
	s_cbranch_execz .LBB1010_76
; %bb.75:
	ds_read_u8 v4, v1 offset:2100
	ds_read_b32 v7, v1 offset:2096
	v_mov_b32_e32 v9, v1
	s_add_u32 s2, s16, 0x200
	s_addc_u32 s3, s17, 0
	v_mov_b32_e32 v10, v1
	s_waitcnt lgkmcnt(1)
	v_and_b32_e32 v8, 0xffff, v4
	v_cmp_eq_u64_e32 vcc_lo, 0, v[8:9]
	v_mov_b32_e32 v9, 2
	v_cndmask_b32_e32 v3, 0, v3, vcc_lo
	s_waitcnt lgkmcnt(0)
	v_add_nc_u32_e32 v7, v3, v7
	v_mov_b32_e32 v4, s3
	v_mov_b32_e32 v3, s2
	;;#ASMSTART
	global_store_dwordx4 v[3:4], v[7:10] off	
s_waitcnt vmcnt(0)
	;;#ASMEND
.LBB1010_76:
	s_or_b32 exec_lo, exec_lo, s1
	v_add_nc_u32_e32 v7, v2, v11
.LBB1010_77:
	s_add_u32 s0, s14, s4
	v_mov_b32_e32 v3, 0
	s_addc_u32 s1, s15, s5
	s_add_u32 s0, s0, s8
	s_addc_u32 s1, s1, s9
	s_and_b32 vcc_lo, exec_lo, s7
	s_cbranch_vccz .LBB1010_89
; %bb.78:
	v_mul_u32_u24_e32 v1, 3, v0
	v_mov_b32_e32 v4, 0
	v_mov_b32_e32 v2, 0
	s_add_i32 s12, s12, s18
	s_mov_b32 s2, exec_lo
	v_cmpx_gt_u32_e64 s12, v1
	s_cbranch_execz .LBB1010_84
; %bb.79:
	v_add_nc_u32_e32 v3, 1, v1
	v_mov_b32_e32 v2, 0
	v_mov_b32_e32 v4, 0
	s_mov_b32 s3, exec_lo
	v_cmpx_gt_u32_e64 s12, v3
	s_cbranch_execz .LBB1010_83
; %bb.80:
	v_add_nc_u32_e32 v2, 2, v1
	v_cmp_gt_u32_e32 vcc_lo, s12, v2
	v_mov_b32_e32 v2, 0
	s_and_saveexec_b32 s4, vcc_lo
; %bb.81:
	v_mov_b32_e32 v2, v7
; %bb.82:
	s_or_b32 exec_lo, exec_lo, s4
	v_mov_b32_e32 v4, v6
.LBB1010_83:
	s_or_b32 exec_lo, exec_lo, s3
	v_mov_b32_e32 v3, v5
.LBB1010_84:
	s_or_b32 exec_lo, exec_lo, s2
	v_lshlrev_b32_e32 v8, 2, v1
	s_barrier
	buffer_gl0_inv
	v_sub_nc_u32_e32 v1, v8, v18
	ds_write2_b32 v8, v3, v4 offset1:1
	ds_write_b32 v8, v2 offset:8
	s_waitcnt lgkmcnt(0)
	s_barrier
	buffer_gl0_inv
	ds_read2st64_b32 v[1:2], v1 offset0:4 offset1:8
	v_add_co_u32 v3, s2, s0, v18
	v_add_co_ci_u32_e64 v4, null, s1, 0, s2
	s_mov_b32 s2, exec_lo
	v_cmpx_gt_u32_e64 s12, v0
	s_cbranch_execz .LBB1010_86
; %bb.85:
	v_sub_nc_u32_e32 v9, 0, v18
	v_add_nc_u32_e32 v8, v8, v9
	ds_read_b32 v8, v8
	s_waitcnt lgkmcnt(0)
	v_ashrrev_i32_e32 v9, 31, v8
	flat_store_dwordx2 v[3:4], v[8:9]
.LBB1010_86:
	s_or_b32 exec_lo, exec_lo, s2
	v_or_b32_e32 v8, 0x100, v0
	s_mov_b32 s2, exec_lo
	v_cmpx_gt_u32_e64 s12, v8
	s_cbranch_execz .LBB1010_88
; %bb.87:
	v_add_co_u32 v3, vcc_lo, 0x800, v3
	s_waitcnt lgkmcnt(0)
	v_ashrrev_i32_e32 v9, 31, v1
	v_mov_b32_e32 v8, v1
	v_add_co_ci_u32_e64 v4, null, 0, v4, vcc_lo
	flat_store_dwordx2 v[3:4], v[8:9]
.LBB1010_88:
	s_or_b32 exec_lo, exec_lo, s2
	s_waitcnt lgkmcnt(0)
	v_or_b32_e32 v1, 0x200, v0
	v_cmp_gt_u32_e64 s2, s12, v1
	s_branch .LBB1010_91
.LBB1010_89:
	s_mov_b32 s2, 0
                                        ; implicit-def: $vgpr2
	s_cbranch_execz .LBB1010_91
; %bb.90:
	v_mul_u32_u24_e32 v1, 12, v0
	s_waitcnt_vscnt null, 0x0
	s_barrier
	buffer_gl0_inv
	s_or_b32 s2, s2, exec_lo
	v_sub_nc_u32_e32 v2, v1, v18
	ds_write2_b32 v1, v5, v6 offset1:1
	ds_write_b32 v1, v7 offset:8
	s_waitcnt lgkmcnt(0)
	s_barrier
	buffer_gl0_inv
	ds_read2st64_b32 v[3:4], v2 offset1:4
	ds_read_b32 v2, v2 offset:2048
	v_add_co_u32 v5, s3, s0, v18
	v_add_co_ci_u32_e64 v6, null, s1, 0, s3
	v_add_co_u32 v7, vcc_lo, 0x800, v5
	v_add_co_ci_u32_e64 v8, null, 0, v6, vcc_lo
	s_waitcnt lgkmcnt(1)
	v_ashrrev_i32_e32 v10, 31, v3
	v_mov_b32_e32 v9, v3
	v_ashrrev_i32_e32 v12, 31, v4
	v_mov_b32_e32 v11, v4
	flat_store_dwordx2 v[5:6], v[9:10]
	flat_store_dwordx2 v[7:8], v[11:12]
.LBB1010_91:
	s_and_saveexec_b32 s3, s2
	s_cbranch_execnz .LBB1010_93
; %bb.92:
	s_endpgm
.LBB1010_93:
	v_lshlrev_b32_e32 v0, 3, v0
	s_waitcnt lgkmcnt(2)
	v_ashrrev_i32_e32 v1, 31, v2
	v_add_co_u32 v3, s0, s0, v0
	v_add_co_ci_u32_e64 v4, null, s1, 0, s0
	v_mov_b32_e32 v0, v2
	v_add_co_u32 v2, vcc_lo, 0x1000, v3
	v_add_co_ci_u32_e64 v3, null, 0, v4, vcc_lo
	flat_store_dwordx2 v[2:3], v[0:1]
	s_endpgm
.LBB1010_94:
	v_add_co_u32 v6, s20, s3, v8
	v_add_co_ci_u32_e64 v7, null, s13, 0, s20
	v_mov_b32_e32 v20, v5
	v_mov_b32_e32 v21, v5
	flat_load_dword v19, v[6:7]
	s_waitcnt vmcnt(0) lgkmcnt(0)
	v_mov_b32_e32 v5, v19
	v_mov_b32_e32 v6, v20
	v_mov_b32_e32 v7, v21
	s_or_b32 exec_lo, exec_lo, s2
	s_and_saveexec_b32 s2, s0
	s_cbranch_execz .LBB1010_11
.LBB1010_95:
	v_add_co_u32 v10, s0, s3, v10
	v_add_co_ci_u32_e64 v11, null, s13, 0, s0
	flat_load_dword v6, v[10:11]
	s_or_b32 exec_lo, exec_lo, s2
	v_mul_u32_u24_e32 v19, 3, v0
	s_and_saveexec_b32 s0, s1
	s_cbranch_execnz .LBB1010_12
	s_branch .LBB1010_13
	.section	.rodata,"a",@progbits
	.p2align	6, 0x0
	.amdhsa_kernel _ZN7rocprim17ROCPRIM_400000_NS6detail17trampoline_kernelINS0_14default_configENS1_27scan_by_key_config_selectorIxiEEZZNS1_16scan_by_key_implILNS1_25lookback_scan_determinismE0ELb1ES3_N6thrust23THRUST_200600_302600_NS6detail15normal_iteratorINS9_10device_ptrIxEEEESE_SE_iNS9_4plusIvEENS9_8equal_toIvEEiEE10hipError_tPvRmT2_T3_T4_T5_mT6_T7_P12ihipStream_tbENKUlT_T0_E_clISt17integral_constantIbLb0EESZ_EEDaSU_SV_EUlSU_E_NS1_11comp_targetILNS1_3genE8ELNS1_11target_archE1030ELNS1_3gpuE2ELNS1_3repE0EEENS1_30default_config_static_selectorELNS0_4arch9wavefront6targetE0EEEvT1_
		.amdhsa_group_segment_fixed_size 10240
		.amdhsa_private_segment_fixed_size 0
		.amdhsa_kernarg_size 112
		.amdhsa_user_sgpr_count 6
		.amdhsa_user_sgpr_private_segment_buffer 1
		.amdhsa_user_sgpr_dispatch_ptr 0
		.amdhsa_user_sgpr_queue_ptr 0
		.amdhsa_user_sgpr_kernarg_segment_ptr 1
		.amdhsa_user_sgpr_dispatch_id 0
		.amdhsa_user_sgpr_flat_scratch_init 0
		.amdhsa_user_sgpr_private_segment_size 0
		.amdhsa_wavefront_size32 1
		.amdhsa_uses_dynamic_stack 0
		.amdhsa_system_sgpr_private_segment_wavefront_offset 0
		.amdhsa_system_sgpr_workgroup_id_x 1
		.amdhsa_system_sgpr_workgroup_id_y 0
		.amdhsa_system_sgpr_workgroup_id_z 0
		.amdhsa_system_sgpr_workgroup_info 0
		.amdhsa_system_vgpr_workitem_id 0
		.amdhsa_next_free_vgpr 38
		.amdhsa_next_free_sgpr 30
		.amdhsa_reserve_vcc 1
		.amdhsa_reserve_flat_scratch 1
		.amdhsa_float_round_mode_32 0
		.amdhsa_float_round_mode_16_64 0
		.amdhsa_float_denorm_mode_32 3
		.amdhsa_float_denorm_mode_16_64 3
		.amdhsa_dx10_clamp 1
		.amdhsa_ieee_mode 1
		.amdhsa_fp16_overflow 0
		.amdhsa_workgroup_processor_mode 1
		.amdhsa_memory_ordered 1
		.amdhsa_forward_progress 1
		.amdhsa_shared_vgpr_count 0
		.amdhsa_exception_fp_ieee_invalid_op 0
		.amdhsa_exception_fp_denorm_src 0
		.amdhsa_exception_fp_ieee_div_zero 0
		.amdhsa_exception_fp_ieee_overflow 0
		.amdhsa_exception_fp_ieee_underflow 0
		.amdhsa_exception_fp_ieee_inexact 0
		.amdhsa_exception_int_div_zero 0
	.end_amdhsa_kernel
	.section	.text._ZN7rocprim17ROCPRIM_400000_NS6detail17trampoline_kernelINS0_14default_configENS1_27scan_by_key_config_selectorIxiEEZZNS1_16scan_by_key_implILNS1_25lookback_scan_determinismE0ELb1ES3_N6thrust23THRUST_200600_302600_NS6detail15normal_iteratorINS9_10device_ptrIxEEEESE_SE_iNS9_4plusIvEENS9_8equal_toIvEEiEE10hipError_tPvRmT2_T3_T4_T5_mT6_T7_P12ihipStream_tbENKUlT_T0_E_clISt17integral_constantIbLb0EESZ_EEDaSU_SV_EUlSU_E_NS1_11comp_targetILNS1_3genE8ELNS1_11target_archE1030ELNS1_3gpuE2ELNS1_3repE0EEENS1_30default_config_static_selectorELNS0_4arch9wavefront6targetE0EEEvT1_,"axG",@progbits,_ZN7rocprim17ROCPRIM_400000_NS6detail17trampoline_kernelINS0_14default_configENS1_27scan_by_key_config_selectorIxiEEZZNS1_16scan_by_key_implILNS1_25lookback_scan_determinismE0ELb1ES3_N6thrust23THRUST_200600_302600_NS6detail15normal_iteratorINS9_10device_ptrIxEEEESE_SE_iNS9_4plusIvEENS9_8equal_toIvEEiEE10hipError_tPvRmT2_T3_T4_T5_mT6_T7_P12ihipStream_tbENKUlT_T0_E_clISt17integral_constantIbLb0EESZ_EEDaSU_SV_EUlSU_E_NS1_11comp_targetILNS1_3genE8ELNS1_11target_archE1030ELNS1_3gpuE2ELNS1_3repE0EEENS1_30default_config_static_selectorELNS0_4arch9wavefront6targetE0EEEvT1_,comdat
.Lfunc_end1010:
	.size	_ZN7rocprim17ROCPRIM_400000_NS6detail17trampoline_kernelINS0_14default_configENS1_27scan_by_key_config_selectorIxiEEZZNS1_16scan_by_key_implILNS1_25lookback_scan_determinismE0ELb1ES3_N6thrust23THRUST_200600_302600_NS6detail15normal_iteratorINS9_10device_ptrIxEEEESE_SE_iNS9_4plusIvEENS9_8equal_toIvEEiEE10hipError_tPvRmT2_T3_T4_T5_mT6_T7_P12ihipStream_tbENKUlT_T0_E_clISt17integral_constantIbLb0EESZ_EEDaSU_SV_EUlSU_E_NS1_11comp_targetILNS1_3genE8ELNS1_11target_archE1030ELNS1_3gpuE2ELNS1_3repE0EEENS1_30default_config_static_selectorELNS0_4arch9wavefront6targetE0EEEvT1_, .Lfunc_end1010-_ZN7rocprim17ROCPRIM_400000_NS6detail17trampoline_kernelINS0_14default_configENS1_27scan_by_key_config_selectorIxiEEZZNS1_16scan_by_key_implILNS1_25lookback_scan_determinismE0ELb1ES3_N6thrust23THRUST_200600_302600_NS6detail15normal_iteratorINS9_10device_ptrIxEEEESE_SE_iNS9_4plusIvEENS9_8equal_toIvEEiEE10hipError_tPvRmT2_T3_T4_T5_mT6_T7_P12ihipStream_tbENKUlT_T0_E_clISt17integral_constantIbLb0EESZ_EEDaSU_SV_EUlSU_E_NS1_11comp_targetILNS1_3genE8ELNS1_11target_archE1030ELNS1_3gpuE2ELNS1_3repE0EEENS1_30default_config_static_selectorELNS0_4arch9wavefront6targetE0EEEvT1_
                                        ; -- End function
	.set _ZN7rocprim17ROCPRIM_400000_NS6detail17trampoline_kernelINS0_14default_configENS1_27scan_by_key_config_selectorIxiEEZZNS1_16scan_by_key_implILNS1_25lookback_scan_determinismE0ELb1ES3_N6thrust23THRUST_200600_302600_NS6detail15normal_iteratorINS9_10device_ptrIxEEEESE_SE_iNS9_4plusIvEENS9_8equal_toIvEEiEE10hipError_tPvRmT2_T3_T4_T5_mT6_T7_P12ihipStream_tbENKUlT_T0_E_clISt17integral_constantIbLb0EESZ_EEDaSU_SV_EUlSU_E_NS1_11comp_targetILNS1_3genE8ELNS1_11target_archE1030ELNS1_3gpuE2ELNS1_3repE0EEENS1_30default_config_static_selectorELNS0_4arch9wavefront6targetE0EEEvT1_.num_vgpr, 38
	.set _ZN7rocprim17ROCPRIM_400000_NS6detail17trampoline_kernelINS0_14default_configENS1_27scan_by_key_config_selectorIxiEEZZNS1_16scan_by_key_implILNS1_25lookback_scan_determinismE0ELb1ES3_N6thrust23THRUST_200600_302600_NS6detail15normal_iteratorINS9_10device_ptrIxEEEESE_SE_iNS9_4plusIvEENS9_8equal_toIvEEiEE10hipError_tPvRmT2_T3_T4_T5_mT6_T7_P12ihipStream_tbENKUlT_T0_E_clISt17integral_constantIbLb0EESZ_EEDaSU_SV_EUlSU_E_NS1_11comp_targetILNS1_3genE8ELNS1_11target_archE1030ELNS1_3gpuE2ELNS1_3repE0EEENS1_30default_config_static_selectorELNS0_4arch9wavefront6targetE0EEEvT1_.num_agpr, 0
	.set _ZN7rocprim17ROCPRIM_400000_NS6detail17trampoline_kernelINS0_14default_configENS1_27scan_by_key_config_selectorIxiEEZZNS1_16scan_by_key_implILNS1_25lookback_scan_determinismE0ELb1ES3_N6thrust23THRUST_200600_302600_NS6detail15normal_iteratorINS9_10device_ptrIxEEEESE_SE_iNS9_4plusIvEENS9_8equal_toIvEEiEE10hipError_tPvRmT2_T3_T4_T5_mT6_T7_P12ihipStream_tbENKUlT_T0_E_clISt17integral_constantIbLb0EESZ_EEDaSU_SV_EUlSU_E_NS1_11comp_targetILNS1_3genE8ELNS1_11target_archE1030ELNS1_3gpuE2ELNS1_3repE0EEENS1_30default_config_static_selectorELNS0_4arch9wavefront6targetE0EEEvT1_.numbered_sgpr, 30
	.set _ZN7rocprim17ROCPRIM_400000_NS6detail17trampoline_kernelINS0_14default_configENS1_27scan_by_key_config_selectorIxiEEZZNS1_16scan_by_key_implILNS1_25lookback_scan_determinismE0ELb1ES3_N6thrust23THRUST_200600_302600_NS6detail15normal_iteratorINS9_10device_ptrIxEEEESE_SE_iNS9_4plusIvEENS9_8equal_toIvEEiEE10hipError_tPvRmT2_T3_T4_T5_mT6_T7_P12ihipStream_tbENKUlT_T0_E_clISt17integral_constantIbLb0EESZ_EEDaSU_SV_EUlSU_E_NS1_11comp_targetILNS1_3genE8ELNS1_11target_archE1030ELNS1_3gpuE2ELNS1_3repE0EEENS1_30default_config_static_selectorELNS0_4arch9wavefront6targetE0EEEvT1_.num_named_barrier, 0
	.set _ZN7rocprim17ROCPRIM_400000_NS6detail17trampoline_kernelINS0_14default_configENS1_27scan_by_key_config_selectorIxiEEZZNS1_16scan_by_key_implILNS1_25lookback_scan_determinismE0ELb1ES3_N6thrust23THRUST_200600_302600_NS6detail15normal_iteratorINS9_10device_ptrIxEEEESE_SE_iNS9_4plusIvEENS9_8equal_toIvEEiEE10hipError_tPvRmT2_T3_T4_T5_mT6_T7_P12ihipStream_tbENKUlT_T0_E_clISt17integral_constantIbLb0EESZ_EEDaSU_SV_EUlSU_E_NS1_11comp_targetILNS1_3genE8ELNS1_11target_archE1030ELNS1_3gpuE2ELNS1_3repE0EEENS1_30default_config_static_selectorELNS0_4arch9wavefront6targetE0EEEvT1_.private_seg_size, 0
	.set _ZN7rocprim17ROCPRIM_400000_NS6detail17trampoline_kernelINS0_14default_configENS1_27scan_by_key_config_selectorIxiEEZZNS1_16scan_by_key_implILNS1_25lookback_scan_determinismE0ELb1ES3_N6thrust23THRUST_200600_302600_NS6detail15normal_iteratorINS9_10device_ptrIxEEEESE_SE_iNS9_4plusIvEENS9_8equal_toIvEEiEE10hipError_tPvRmT2_T3_T4_T5_mT6_T7_P12ihipStream_tbENKUlT_T0_E_clISt17integral_constantIbLb0EESZ_EEDaSU_SV_EUlSU_E_NS1_11comp_targetILNS1_3genE8ELNS1_11target_archE1030ELNS1_3gpuE2ELNS1_3repE0EEENS1_30default_config_static_selectorELNS0_4arch9wavefront6targetE0EEEvT1_.uses_vcc, 1
	.set _ZN7rocprim17ROCPRIM_400000_NS6detail17trampoline_kernelINS0_14default_configENS1_27scan_by_key_config_selectorIxiEEZZNS1_16scan_by_key_implILNS1_25lookback_scan_determinismE0ELb1ES3_N6thrust23THRUST_200600_302600_NS6detail15normal_iteratorINS9_10device_ptrIxEEEESE_SE_iNS9_4plusIvEENS9_8equal_toIvEEiEE10hipError_tPvRmT2_T3_T4_T5_mT6_T7_P12ihipStream_tbENKUlT_T0_E_clISt17integral_constantIbLb0EESZ_EEDaSU_SV_EUlSU_E_NS1_11comp_targetILNS1_3genE8ELNS1_11target_archE1030ELNS1_3gpuE2ELNS1_3repE0EEENS1_30default_config_static_selectorELNS0_4arch9wavefront6targetE0EEEvT1_.uses_flat_scratch, 1
	.set _ZN7rocprim17ROCPRIM_400000_NS6detail17trampoline_kernelINS0_14default_configENS1_27scan_by_key_config_selectorIxiEEZZNS1_16scan_by_key_implILNS1_25lookback_scan_determinismE0ELb1ES3_N6thrust23THRUST_200600_302600_NS6detail15normal_iteratorINS9_10device_ptrIxEEEESE_SE_iNS9_4plusIvEENS9_8equal_toIvEEiEE10hipError_tPvRmT2_T3_T4_T5_mT6_T7_P12ihipStream_tbENKUlT_T0_E_clISt17integral_constantIbLb0EESZ_EEDaSU_SV_EUlSU_E_NS1_11comp_targetILNS1_3genE8ELNS1_11target_archE1030ELNS1_3gpuE2ELNS1_3repE0EEENS1_30default_config_static_selectorELNS0_4arch9wavefront6targetE0EEEvT1_.has_dyn_sized_stack, 0
	.set _ZN7rocprim17ROCPRIM_400000_NS6detail17trampoline_kernelINS0_14default_configENS1_27scan_by_key_config_selectorIxiEEZZNS1_16scan_by_key_implILNS1_25lookback_scan_determinismE0ELb1ES3_N6thrust23THRUST_200600_302600_NS6detail15normal_iteratorINS9_10device_ptrIxEEEESE_SE_iNS9_4plusIvEENS9_8equal_toIvEEiEE10hipError_tPvRmT2_T3_T4_T5_mT6_T7_P12ihipStream_tbENKUlT_T0_E_clISt17integral_constantIbLb0EESZ_EEDaSU_SV_EUlSU_E_NS1_11comp_targetILNS1_3genE8ELNS1_11target_archE1030ELNS1_3gpuE2ELNS1_3repE0EEENS1_30default_config_static_selectorELNS0_4arch9wavefront6targetE0EEEvT1_.has_recursion, 0
	.set _ZN7rocprim17ROCPRIM_400000_NS6detail17trampoline_kernelINS0_14default_configENS1_27scan_by_key_config_selectorIxiEEZZNS1_16scan_by_key_implILNS1_25lookback_scan_determinismE0ELb1ES3_N6thrust23THRUST_200600_302600_NS6detail15normal_iteratorINS9_10device_ptrIxEEEESE_SE_iNS9_4plusIvEENS9_8equal_toIvEEiEE10hipError_tPvRmT2_T3_T4_T5_mT6_T7_P12ihipStream_tbENKUlT_T0_E_clISt17integral_constantIbLb0EESZ_EEDaSU_SV_EUlSU_E_NS1_11comp_targetILNS1_3genE8ELNS1_11target_archE1030ELNS1_3gpuE2ELNS1_3repE0EEENS1_30default_config_static_selectorELNS0_4arch9wavefront6targetE0EEEvT1_.has_indirect_call, 0
	.section	.AMDGPU.csdata,"",@progbits
; Kernel info:
; codeLenInByte = 7508
; TotalNumSgprs: 32
; NumVgprs: 38
; ScratchSize: 0
; MemoryBound: 0
; FloatMode: 240
; IeeeMode: 1
; LDSByteSize: 10240 bytes/workgroup (compile time only)
; SGPRBlocks: 0
; VGPRBlocks: 4
; NumSGPRsForWavesPerEU: 32
; NumVGPRsForWavesPerEU: 38
; Occupancy: 16
; WaveLimiterHint : 1
; COMPUTE_PGM_RSRC2:SCRATCH_EN: 0
; COMPUTE_PGM_RSRC2:USER_SGPR: 6
; COMPUTE_PGM_RSRC2:TRAP_HANDLER: 0
; COMPUTE_PGM_RSRC2:TGID_X_EN: 1
; COMPUTE_PGM_RSRC2:TGID_Y_EN: 0
; COMPUTE_PGM_RSRC2:TGID_Z_EN: 0
; COMPUTE_PGM_RSRC2:TIDIG_COMP_CNT: 0
	.section	.text._ZN7rocprim17ROCPRIM_400000_NS6detail30init_device_scan_by_key_kernelINS1_19lookback_scan_stateINS0_5tupleIJibEEELb1ELb1EEEN6thrust23THRUST_200600_302600_NS6detail15normal_iteratorINS8_10device_ptrIxEEEEjNS1_16block_id_wrapperIjLb1EEEEEvT_jjPNSG_10value_typeET0_PNSt15iterator_traitsISJ_E10value_typeEmT1_T2_,"axG",@progbits,_ZN7rocprim17ROCPRIM_400000_NS6detail30init_device_scan_by_key_kernelINS1_19lookback_scan_stateINS0_5tupleIJibEEELb1ELb1EEEN6thrust23THRUST_200600_302600_NS6detail15normal_iteratorINS8_10device_ptrIxEEEEjNS1_16block_id_wrapperIjLb1EEEEEvT_jjPNSG_10value_typeET0_PNSt15iterator_traitsISJ_E10value_typeEmT1_T2_,comdat
	.protected	_ZN7rocprim17ROCPRIM_400000_NS6detail30init_device_scan_by_key_kernelINS1_19lookback_scan_stateINS0_5tupleIJibEEELb1ELb1EEEN6thrust23THRUST_200600_302600_NS6detail15normal_iteratorINS8_10device_ptrIxEEEEjNS1_16block_id_wrapperIjLb1EEEEEvT_jjPNSG_10value_typeET0_PNSt15iterator_traitsISJ_E10value_typeEmT1_T2_ ; -- Begin function _ZN7rocprim17ROCPRIM_400000_NS6detail30init_device_scan_by_key_kernelINS1_19lookback_scan_stateINS0_5tupleIJibEEELb1ELb1EEEN6thrust23THRUST_200600_302600_NS6detail15normal_iteratorINS8_10device_ptrIxEEEEjNS1_16block_id_wrapperIjLb1EEEEEvT_jjPNSG_10value_typeET0_PNSt15iterator_traitsISJ_E10value_typeEmT1_T2_
	.globl	_ZN7rocprim17ROCPRIM_400000_NS6detail30init_device_scan_by_key_kernelINS1_19lookback_scan_stateINS0_5tupleIJibEEELb1ELb1EEEN6thrust23THRUST_200600_302600_NS6detail15normal_iteratorINS8_10device_ptrIxEEEEjNS1_16block_id_wrapperIjLb1EEEEEvT_jjPNSG_10value_typeET0_PNSt15iterator_traitsISJ_E10value_typeEmT1_T2_
	.p2align	8
	.type	_ZN7rocprim17ROCPRIM_400000_NS6detail30init_device_scan_by_key_kernelINS1_19lookback_scan_stateINS0_5tupleIJibEEELb1ELb1EEEN6thrust23THRUST_200600_302600_NS6detail15normal_iteratorINS8_10device_ptrIxEEEEjNS1_16block_id_wrapperIjLb1EEEEEvT_jjPNSG_10value_typeET0_PNSt15iterator_traitsISJ_E10value_typeEmT1_T2_,@function
_ZN7rocprim17ROCPRIM_400000_NS6detail30init_device_scan_by_key_kernelINS1_19lookback_scan_stateINS0_5tupleIJibEEELb1ELb1EEEN6thrust23THRUST_200600_302600_NS6detail15normal_iteratorINS8_10device_ptrIxEEEEjNS1_16block_id_wrapperIjLb1EEEEEvT_jjPNSG_10value_typeET0_PNSt15iterator_traitsISJ_E10value_typeEmT1_T2_: ; @_ZN7rocprim17ROCPRIM_400000_NS6detail30init_device_scan_by_key_kernelINS1_19lookback_scan_stateINS0_5tupleIJibEEELb1ELb1EEEN6thrust23THRUST_200600_302600_NS6detail15normal_iteratorINS8_10device_ptrIxEEEEjNS1_16block_id_wrapperIjLb1EEEEEvT_jjPNSG_10value_typeET0_PNSt15iterator_traitsISJ_E10value_typeEmT1_T2_
; %bb.0:
	s_clause 0x2
	s_load_dword s0, s[4:5], 0x4c
	s_load_dwordx8 s[8:15], s[4:5], 0x0
	s_load_dword s7, s[4:5], 0x40
	s_waitcnt lgkmcnt(0)
	s_and_b32 s16, s0, 0xffff
	s_cmp_eq_u64 s[12:13], 0
	v_mad_u64_u32 v[4:5], null, s6, s16, v[0:1]
	s_cbranch_scc1 .LBB1011_10
; %bb.1:
	s_cmp_lt_u32 s11, s10
	s_mov_b32 s1, 0
	s_cselect_b32 s0, s11, 0
	s_mov_b32 s2, exec_lo
	v_cmpx_eq_u32_e64 s0, v4
	s_cbranch_execz .LBB1011_9
; %bb.2:
	s_add_i32 s0, s11, 32
	v_mov_b32_e32 v6, 0
	s_lshl_b64 s[0:1], s[0:1], 4
	s_mov_b32 s3, exec_lo
	s_add_u32 s0, s8, s0
	s_addc_u32 s1, s9, s1
	v_mov_b32_e32 v0, s0
	v_mov_b32_e32 v1, s1
	;;#ASMSTART
	global_load_dwordx4 v[0:3], v[0:1] off glc dlc	
s_waitcnt vmcnt(0)
	;;#ASMEND
	v_and_b32_e32 v5, 0xff, v2
	v_cmpx_eq_u64_e32 0, v[5:6]
	s_cbranch_execz .LBB1011_8
; %bb.3:
	v_mov_b32_e32 v8, s1
	v_mov_b32_e32 v7, s0
	s_mov_b32 s1, 1
	s_mov_b32 s0, 0
	.p2align	6
.LBB1011_4:                             ; =>This Loop Header: Depth=1
                                        ;     Child Loop BB1011_5 Depth 2
	s_mov_b32 s6, s1
.LBB1011_5:                             ;   Parent Loop BB1011_4 Depth=1
                                        ; =>  This Inner Loop Header: Depth=2
	s_add_i32 s6, s6, -1
	s_sleep 1
	s_cmp_eq_u32 s6, 0
	s_cbranch_scc0 .LBB1011_5
; %bb.6:                                ;   in Loop: Header=BB1011_4 Depth=1
	;;#ASMSTART
	global_load_dwordx4 v[0:3], v[7:8] off glc dlc	
s_waitcnt vmcnt(0)
	;;#ASMEND
	v_and_b32_e32 v5, 0xff, v2
	s_cmp_lt_u32 s1, 32
	s_cselect_b32 s6, -1, 0
	v_cmp_ne_u64_e32 vcc_lo, 0, v[5:6]
	s_cmp_lg_u32 s6, 0
	s_addc_u32 s1, s1, 0
	s_or_b32 s0, vcc_lo, s0
	s_andn2_b32 exec_lo, exec_lo, s0
	s_cbranch_execnz .LBB1011_4
; %bb.7:
	s_or_b32 exec_lo, exec_lo, s0
.LBB1011_8:
	s_or_b32 exec_lo, exec_lo, s3
	v_mov_b32_e32 v2, 0
	global_store_dword v2, v0, s[12:13]
	global_store_byte v2, v1, s[12:13] offset:4
.LBB1011_9:
	s_or_b32 exec_lo, exec_lo, s2
.LBB1011_10:
	s_mov_b32 s0, exec_lo
	v_cmpx_eq_u32_e32 0, v4
	s_cbranch_execz .LBB1011_12
; %bb.11:
	s_load_dwordx2 s[2:3], s[4:5], 0x38
	v_mov_b32_e32 v0, 0
	s_waitcnt lgkmcnt(0)
	global_store_dword v0, v0, s[2:3]
.LBB1011_12:
	s_or_b32 exec_lo, exec_lo, s0
	s_mov_b32 s0, exec_lo
	v_cmpx_gt_u32_e64 s10, v4
	s_cbranch_execz .LBB1011_14
; %bb.13:
	v_add_nc_u32_e32 v0, 32, v4
	v_mov_b32_e32 v1, 0
	v_lshlrev_b64 v[5:6], 4, v[0:1]
	v_mov_b32_e32 v0, v1
	v_mov_b32_e32 v2, v1
	;; [unrolled: 1-line block ×3, first 2 shown]
	v_add_co_u32 v5, vcc_lo, s8, v5
	v_add_co_ci_u32_e64 v6, null, s9, v6, vcc_lo
	global_store_dwordx4 v[5:6], v[0:3], off
.LBB1011_14:
	s_or_b32 exec_lo, exec_lo, s0
	v_mov_b32_e32 v5, 0
	s_mov_b32 s0, exec_lo
	v_cmpx_gt_u32_e32 32, v4
	s_cbranch_execz .LBB1011_16
; %bb.15:
	v_lshlrev_b64 v[6:7], 4, v[4:5]
	v_mov_b32_e32 v2, 0xff
	v_mov_b32_e32 v0, v5
	;; [unrolled: 1-line block ×4, first 2 shown]
	v_add_co_u32 v6, vcc_lo, s8, v6
	v_add_co_ci_u32_e64 v7, null, s9, v7, vcc_lo
	global_store_dwordx4 v[6:7], v[0:3], off
.LBB1011_16:
	s_or_b32 exec_lo, exec_lo, s0
	s_load_dwordx2 s[2:3], s[4:5], 0x28
	s_mov_b32 s0, exec_lo
	s_waitcnt lgkmcnt(0)
	v_cmpx_gt_u64_e64 s[2:3], v[4:5]
	s_cbranch_execz .LBB1011_19
; %bb.17:
	s_clause 0x1
	s_load_dword s6, s[4:5], 0x30
	s_load_dwordx2 s[8:9], s[4:5], 0x20
	s_mov_b32 s1, 0
	v_lshlrev_b64 v[2:3], 3, v[4:5]
	s_mul_i32 s4, s7, s16
	s_waitcnt lgkmcnt(0)
	v_mad_u64_u32 v[0:1], null, s6, v4, 0
	s_add_i32 s0, s6, -1
	s_mul_hi_u32 s7, s6, s4
	s_lshl_b64 s[10:11], s[0:1], 3
	s_mul_i32 s6, s6, s4
	s_add_u32 s0, s14, s10
	s_addc_u32 s5, s15, s11
	v_lshlrev_b64 v[0:1], 3, v[0:1]
	s_lshl_b64 s[6:7], s[6:7], 3
	v_add_co_u32 v0, vcc_lo, s0, v0
	v_add_co_ci_u32_e64 v1, null, s5, v1, vcc_lo
	v_add_co_u32 v2, vcc_lo, s8, v2
	v_add_co_ci_u32_e64 v3, null, s9, v3, vcc_lo
	s_mov_b32 s5, s1
	s_lshl_b64 s[8:9], s[4:5], 3
	.p2align	6
.LBB1011_18:                            ; =>This Inner Loop Header: Depth=1
	global_load_dwordx2 v[6:7], v[0:1], off
	v_add_co_u32 v4, vcc_lo, v4, s4
	v_add_co_ci_u32_e64 v5, null, 0, v5, vcc_lo
	v_add_co_u32 v0, vcc_lo, v0, s6
	v_add_co_ci_u32_e64 v1, null, s7, v1, vcc_lo
	v_cmp_le_u64_e32 vcc_lo, s[2:3], v[4:5]
	s_or_b32 s1, vcc_lo, s1
	s_waitcnt vmcnt(0)
	global_store_dwordx2 v[2:3], v[6:7], off
	v_add_co_u32 v2, s0, v2, s8
	v_add_co_ci_u32_e64 v3, null, s9, v3, s0
	s_andn2_b32 exec_lo, exec_lo, s1
	s_cbranch_execnz .LBB1011_18
.LBB1011_19:
	s_endpgm
	.section	.rodata,"a",@progbits
	.p2align	6, 0x0
	.amdhsa_kernel _ZN7rocprim17ROCPRIM_400000_NS6detail30init_device_scan_by_key_kernelINS1_19lookback_scan_stateINS0_5tupleIJibEEELb1ELb1EEEN6thrust23THRUST_200600_302600_NS6detail15normal_iteratorINS8_10device_ptrIxEEEEjNS1_16block_id_wrapperIjLb1EEEEEvT_jjPNSG_10value_typeET0_PNSt15iterator_traitsISJ_E10value_typeEmT1_T2_
		.amdhsa_group_segment_fixed_size 0
		.amdhsa_private_segment_fixed_size 0
		.amdhsa_kernarg_size 320
		.amdhsa_user_sgpr_count 6
		.amdhsa_user_sgpr_private_segment_buffer 1
		.amdhsa_user_sgpr_dispatch_ptr 0
		.amdhsa_user_sgpr_queue_ptr 0
		.amdhsa_user_sgpr_kernarg_segment_ptr 1
		.amdhsa_user_sgpr_dispatch_id 0
		.amdhsa_user_sgpr_flat_scratch_init 0
		.amdhsa_user_sgpr_private_segment_size 0
		.amdhsa_wavefront_size32 1
		.amdhsa_uses_dynamic_stack 0
		.amdhsa_system_sgpr_private_segment_wavefront_offset 0
		.amdhsa_system_sgpr_workgroup_id_x 1
		.amdhsa_system_sgpr_workgroup_id_y 0
		.amdhsa_system_sgpr_workgroup_id_z 0
		.amdhsa_system_sgpr_workgroup_info 0
		.amdhsa_system_vgpr_workitem_id 0
		.amdhsa_next_free_vgpr 9
		.amdhsa_next_free_sgpr 17
		.amdhsa_reserve_vcc 1
		.amdhsa_reserve_flat_scratch 0
		.amdhsa_float_round_mode_32 0
		.amdhsa_float_round_mode_16_64 0
		.amdhsa_float_denorm_mode_32 3
		.amdhsa_float_denorm_mode_16_64 3
		.amdhsa_dx10_clamp 1
		.amdhsa_ieee_mode 1
		.amdhsa_fp16_overflow 0
		.amdhsa_workgroup_processor_mode 1
		.amdhsa_memory_ordered 1
		.amdhsa_forward_progress 1
		.amdhsa_shared_vgpr_count 0
		.amdhsa_exception_fp_ieee_invalid_op 0
		.amdhsa_exception_fp_denorm_src 0
		.amdhsa_exception_fp_ieee_div_zero 0
		.amdhsa_exception_fp_ieee_overflow 0
		.amdhsa_exception_fp_ieee_underflow 0
		.amdhsa_exception_fp_ieee_inexact 0
		.amdhsa_exception_int_div_zero 0
	.end_amdhsa_kernel
	.section	.text._ZN7rocprim17ROCPRIM_400000_NS6detail30init_device_scan_by_key_kernelINS1_19lookback_scan_stateINS0_5tupleIJibEEELb1ELb1EEEN6thrust23THRUST_200600_302600_NS6detail15normal_iteratorINS8_10device_ptrIxEEEEjNS1_16block_id_wrapperIjLb1EEEEEvT_jjPNSG_10value_typeET0_PNSt15iterator_traitsISJ_E10value_typeEmT1_T2_,"axG",@progbits,_ZN7rocprim17ROCPRIM_400000_NS6detail30init_device_scan_by_key_kernelINS1_19lookback_scan_stateINS0_5tupleIJibEEELb1ELb1EEEN6thrust23THRUST_200600_302600_NS6detail15normal_iteratorINS8_10device_ptrIxEEEEjNS1_16block_id_wrapperIjLb1EEEEEvT_jjPNSG_10value_typeET0_PNSt15iterator_traitsISJ_E10value_typeEmT1_T2_,comdat
.Lfunc_end1011:
	.size	_ZN7rocprim17ROCPRIM_400000_NS6detail30init_device_scan_by_key_kernelINS1_19lookback_scan_stateINS0_5tupleIJibEEELb1ELb1EEEN6thrust23THRUST_200600_302600_NS6detail15normal_iteratorINS8_10device_ptrIxEEEEjNS1_16block_id_wrapperIjLb1EEEEEvT_jjPNSG_10value_typeET0_PNSt15iterator_traitsISJ_E10value_typeEmT1_T2_, .Lfunc_end1011-_ZN7rocprim17ROCPRIM_400000_NS6detail30init_device_scan_by_key_kernelINS1_19lookback_scan_stateINS0_5tupleIJibEEELb1ELb1EEEN6thrust23THRUST_200600_302600_NS6detail15normal_iteratorINS8_10device_ptrIxEEEEjNS1_16block_id_wrapperIjLb1EEEEEvT_jjPNSG_10value_typeET0_PNSt15iterator_traitsISJ_E10value_typeEmT1_T2_
                                        ; -- End function
	.set _ZN7rocprim17ROCPRIM_400000_NS6detail30init_device_scan_by_key_kernelINS1_19lookback_scan_stateINS0_5tupleIJibEEELb1ELb1EEEN6thrust23THRUST_200600_302600_NS6detail15normal_iteratorINS8_10device_ptrIxEEEEjNS1_16block_id_wrapperIjLb1EEEEEvT_jjPNSG_10value_typeET0_PNSt15iterator_traitsISJ_E10value_typeEmT1_T2_.num_vgpr, 9
	.set _ZN7rocprim17ROCPRIM_400000_NS6detail30init_device_scan_by_key_kernelINS1_19lookback_scan_stateINS0_5tupleIJibEEELb1ELb1EEEN6thrust23THRUST_200600_302600_NS6detail15normal_iteratorINS8_10device_ptrIxEEEEjNS1_16block_id_wrapperIjLb1EEEEEvT_jjPNSG_10value_typeET0_PNSt15iterator_traitsISJ_E10value_typeEmT1_T2_.num_agpr, 0
	.set _ZN7rocprim17ROCPRIM_400000_NS6detail30init_device_scan_by_key_kernelINS1_19lookback_scan_stateINS0_5tupleIJibEEELb1ELb1EEEN6thrust23THRUST_200600_302600_NS6detail15normal_iteratorINS8_10device_ptrIxEEEEjNS1_16block_id_wrapperIjLb1EEEEEvT_jjPNSG_10value_typeET0_PNSt15iterator_traitsISJ_E10value_typeEmT1_T2_.numbered_sgpr, 17
	.set _ZN7rocprim17ROCPRIM_400000_NS6detail30init_device_scan_by_key_kernelINS1_19lookback_scan_stateINS0_5tupleIJibEEELb1ELb1EEEN6thrust23THRUST_200600_302600_NS6detail15normal_iteratorINS8_10device_ptrIxEEEEjNS1_16block_id_wrapperIjLb1EEEEEvT_jjPNSG_10value_typeET0_PNSt15iterator_traitsISJ_E10value_typeEmT1_T2_.num_named_barrier, 0
	.set _ZN7rocprim17ROCPRIM_400000_NS6detail30init_device_scan_by_key_kernelINS1_19lookback_scan_stateINS0_5tupleIJibEEELb1ELb1EEEN6thrust23THRUST_200600_302600_NS6detail15normal_iteratorINS8_10device_ptrIxEEEEjNS1_16block_id_wrapperIjLb1EEEEEvT_jjPNSG_10value_typeET0_PNSt15iterator_traitsISJ_E10value_typeEmT1_T2_.private_seg_size, 0
	.set _ZN7rocprim17ROCPRIM_400000_NS6detail30init_device_scan_by_key_kernelINS1_19lookback_scan_stateINS0_5tupleIJibEEELb1ELb1EEEN6thrust23THRUST_200600_302600_NS6detail15normal_iteratorINS8_10device_ptrIxEEEEjNS1_16block_id_wrapperIjLb1EEEEEvT_jjPNSG_10value_typeET0_PNSt15iterator_traitsISJ_E10value_typeEmT1_T2_.uses_vcc, 1
	.set _ZN7rocprim17ROCPRIM_400000_NS6detail30init_device_scan_by_key_kernelINS1_19lookback_scan_stateINS0_5tupleIJibEEELb1ELb1EEEN6thrust23THRUST_200600_302600_NS6detail15normal_iteratorINS8_10device_ptrIxEEEEjNS1_16block_id_wrapperIjLb1EEEEEvT_jjPNSG_10value_typeET0_PNSt15iterator_traitsISJ_E10value_typeEmT1_T2_.uses_flat_scratch, 0
	.set _ZN7rocprim17ROCPRIM_400000_NS6detail30init_device_scan_by_key_kernelINS1_19lookback_scan_stateINS0_5tupleIJibEEELb1ELb1EEEN6thrust23THRUST_200600_302600_NS6detail15normal_iteratorINS8_10device_ptrIxEEEEjNS1_16block_id_wrapperIjLb1EEEEEvT_jjPNSG_10value_typeET0_PNSt15iterator_traitsISJ_E10value_typeEmT1_T2_.has_dyn_sized_stack, 0
	.set _ZN7rocprim17ROCPRIM_400000_NS6detail30init_device_scan_by_key_kernelINS1_19lookback_scan_stateINS0_5tupleIJibEEELb1ELb1EEEN6thrust23THRUST_200600_302600_NS6detail15normal_iteratorINS8_10device_ptrIxEEEEjNS1_16block_id_wrapperIjLb1EEEEEvT_jjPNSG_10value_typeET0_PNSt15iterator_traitsISJ_E10value_typeEmT1_T2_.has_recursion, 0
	.set _ZN7rocprim17ROCPRIM_400000_NS6detail30init_device_scan_by_key_kernelINS1_19lookback_scan_stateINS0_5tupleIJibEEELb1ELb1EEEN6thrust23THRUST_200600_302600_NS6detail15normal_iteratorINS8_10device_ptrIxEEEEjNS1_16block_id_wrapperIjLb1EEEEEvT_jjPNSG_10value_typeET0_PNSt15iterator_traitsISJ_E10value_typeEmT1_T2_.has_indirect_call, 0
	.section	.AMDGPU.csdata,"",@progbits
; Kernel info:
; codeLenInByte = 792
; TotalNumSgprs: 19
; NumVgprs: 9
; ScratchSize: 0
; MemoryBound: 0
; FloatMode: 240
; IeeeMode: 1
; LDSByteSize: 0 bytes/workgroup (compile time only)
; SGPRBlocks: 0
; VGPRBlocks: 1
; NumSGPRsForWavesPerEU: 19
; NumVGPRsForWavesPerEU: 9
; Occupancy: 16
; WaveLimiterHint : 0
; COMPUTE_PGM_RSRC2:SCRATCH_EN: 0
; COMPUTE_PGM_RSRC2:USER_SGPR: 6
; COMPUTE_PGM_RSRC2:TRAP_HANDLER: 0
; COMPUTE_PGM_RSRC2:TGID_X_EN: 1
; COMPUTE_PGM_RSRC2:TGID_Y_EN: 0
; COMPUTE_PGM_RSRC2:TGID_Z_EN: 0
; COMPUTE_PGM_RSRC2:TIDIG_COMP_CNT: 0
	.section	.text._ZN7rocprim17ROCPRIM_400000_NS6detail17trampoline_kernelINS0_14default_configENS1_27scan_by_key_config_selectorIxiEEZZNS1_16scan_by_key_implILNS1_25lookback_scan_determinismE0ELb1ES3_N6thrust23THRUST_200600_302600_NS6detail15normal_iteratorINS9_10device_ptrIxEEEESE_SE_iNS9_4plusIvEENS9_8equal_toIvEEiEE10hipError_tPvRmT2_T3_T4_T5_mT6_T7_P12ihipStream_tbENKUlT_T0_E_clISt17integral_constantIbLb1EESZ_EEDaSU_SV_EUlSU_E_NS1_11comp_targetILNS1_3genE0ELNS1_11target_archE4294967295ELNS1_3gpuE0ELNS1_3repE0EEENS1_30default_config_static_selectorELNS0_4arch9wavefront6targetE0EEEvT1_,"axG",@progbits,_ZN7rocprim17ROCPRIM_400000_NS6detail17trampoline_kernelINS0_14default_configENS1_27scan_by_key_config_selectorIxiEEZZNS1_16scan_by_key_implILNS1_25lookback_scan_determinismE0ELb1ES3_N6thrust23THRUST_200600_302600_NS6detail15normal_iteratorINS9_10device_ptrIxEEEESE_SE_iNS9_4plusIvEENS9_8equal_toIvEEiEE10hipError_tPvRmT2_T3_T4_T5_mT6_T7_P12ihipStream_tbENKUlT_T0_E_clISt17integral_constantIbLb1EESZ_EEDaSU_SV_EUlSU_E_NS1_11comp_targetILNS1_3genE0ELNS1_11target_archE4294967295ELNS1_3gpuE0ELNS1_3repE0EEENS1_30default_config_static_selectorELNS0_4arch9wavefront6targetE0EEEvT1_,comdat
	.protected	_ZN7rocprim17ROCPRIM_400000_NS6detail17trampoline_kernelINS0_14default_configENS1_27scan_by_key_config_selectorIxiEEZZNS1_16scan_by_key_implILNS1_25lookback_scan_determinismE0ELb1ES3_N6thrust23THRUST_200600_302600_NS6detail15normal_iteratorINS9_10device_ptrIxEEEESE_SE_iNS9_4plusIvEENS9_8equal_toIvEEiEE10hipError_tPvRmT2_T3_T4_T5_mT6_T7_P12ihipStream_tbENKUlT_T0_E_clISt17integral_constantIbLb1EESZ_EEDaSU_SV_EUlSU_E_NS1_11comp_targetILNS1_3genE0ELNS1_11target_archE4294967295ELNS1_3gpuE0ELNS1_3repE0EEENS1_30default_config_static_selectorELNS0_4arch9wavefront6targetE0EEEvT1_ ; -- Begin function _ZN7rocprim17ROCPRIM_400000_NS6detail17trampoline_kernelINS0_14default_configENS1_27scan_by_key_config_selectorIxiEEZZNS1_16scan_by_key_implILNS1_25lookback_scan_determinismE0ELb1ES3_N6thrust23THRUST_200600_302600_NS6detail15normal_iteratorINS9_10device_ptrIxEEEESE_SE_iNS9_4plusIvEENS9_8equal_toIvEEiEE10hipError_tPvRmT2_T3_T4_T5_mT6_T7_P12ihipStream_tbENKUlT_T0_E_clISt17integral_constantIbLb1EESZ_EEDaSU_SV_EUlSU_E_NS1_11comp_targetILNS1_3genE0ELNS1_11target_archE4294967295ELNS1_3gpuE0ELNS1_3repE0EEENS1_30default_config_static_selectorELNS0_4arch9wavefront6targetE0EEEvT1_
	.globl	_ZN7rocprim17ROCPRIM_400000_NS6detail17trampoline_kernelINS0_14default_configENS1_27scan_by_key_config_selectorIxiEEZZNS1_16scan_by_key_implILNS1_25lookback_scan_determinismE0ELb1ES3_N6thrust23THRUST_200600_302600_NS6detail15normal_iteratorINS9_10device_ptrIxEEEESE_SE_iNS9_4plusIvEENS9_8equal_toIvEEiEE10hipError_tPvRmT2_T3_T4_T5_mT6_T7_P12ihipStream_tbENKUlT_T0_E_clISt17integral_constantIbLb1EESZ_EEDaSU_SV_EUlSU_E_NS1_11comp_targetILNS1_3genE0ELNS1_11target_archE4294967295ELNS1_3gpuE0ELNS1_3repE0EEENS1_30default_config_static_selectorELNS0_4arch9wavefront6targetE0EEEvT1_
	.p2align	8
	.type	_ZN7rocprim17ROCPRIM_400000_NS6detail17trampoline_kernelINS0_14default_configENS1_27scan_by_key_config_selectorIxiEEZZNS1_16scan_by_key_implILNS1_25lookback_scan_determinismE0ELb1ES3_N6thrust23THRUST_200600_302600_NS6detail15normal_iteratorINS9_10device_ptrIxEEEESE_SE_iNS9_4plusIvEENS9_8equal_toIvEEiEE10hipError_tPvRmT2_T3_T4_T5_mT6_T7_P12ihipStream_tbENKUlT_T0_E_clISt17integral_constantIbLb1EESZ_EEDaSU_SV_EUlSU_E_NS1_11comp_targetILNS1_3genE0ELNS1_11target_archE4294967295ELNS1_3gpuE0ELNS1_3repE0EEENS1_30default_config_static_selectorELNS0_4arch9wavefront6targetE0EEEvT1_,@function
_ZN7rocprim17ROCPRIM_400000_NS6detail17trampoline_kernelINS0_14default_configENS1_27scan_by_key_config_selectorIxiEEZZNS1_16scan_by_key_implILNS1_25lookback_scan_determinismE0ELb1ES3_N6thrust23THRUST_200600_302600_NS6detail15normal_iteratorINS9_10device_ptrIxEEEESE_SE_iNS9_4plusIvEENS9_8equal_toIvEEiEE10hipError_tPvRmT2_T3_T4_T5_mT6_T7_P12ihipStream_tbENKUlT_T0_E_clISt17integral_constantIbLb1EESZ_EEDaSU_SV_EUlSU_E_NS1_11comp_targetILNS1_3genE0ELNS1_11target_archE4294967295ELNS1_3gpuE0ELNS1_3repE0EEENS1_30default_config_static_selectorELNS0_4arch9wavefront6targetE0EEEvT1_: ; @_ZN7rocprim17ROCPRIM_400000_NS6detail17trampoline_kernelINS0_14default_configENS1_27scan_by_key_config_selectorIxiEEZZNS1_16scan_by_key_implILNS1_25lookback_scan_determinismE0ELb1ES3_N6thrust23THRUST_200600_302600_NS6detail15normal_iteratorINS9_10device_ptrIxEEEESE_SE_iNS9_4plusIvEENS9_8equal_toIvEEiEE10hipError_tPvRmT2_T3_T4_T5_mT6_T7_P12ihipStream_tbENKUlT_T0_E_clISt17integral_constantIbLb1EESZ_EEDaSU_SV_EUlSU_E_NS1_11comp_targetILNS1_3genE0ELNS1_11target_archE4294967295ELNS1_3gpuE0ELNS1_3repE0EEENS1_30default_config_static_selectorELNS0_4arch9wavefront6targetE0EEEvT1_
; %bb.0:
	.section	.rodata,"a",@progbits
	.p2align	6, 0x0
	.amdhsa_kernel _ZN7rocprim17ROCPRIM_400000_NS6detail17trampoline_kernelINS0_14default_configENS1_27scan_by_key_config_selectorIxiEEZZNS1_16scan_by_key_implILNS1_25lookback_scan_determinismE0ELb1ES3_N6thrust23THRUST_200600_302600_NS6detail15normal_iteratorINS9_10device_ptrIxEEEESE_SE_iNS9_4plusIvEENS9_8equal_toIvEEiEE10hipError_tPvRmT2_T3_T4_T5_mT6_T7_P12ihipStream_tbENKUlT_T0_E_clISt17integral_constantIbLb1EESZ_EEDaSU_SV_EUlSU_E_NS1_11comp_targetILNS1_3genE0ELNS1_11target_archE4294967295ELNS1_3gpuE0ELNS1_3repE0EEENS1_30default_config_static_selectorELNS0_4arch9wavefront6targetE0EEEvT1_
		.amdhsa_group_segment_fixed_size 0
		.amdhsa_private_segment_fixed_size 0
		.amdhsa_kernarg_size 112
		.amdhsa_user_sgpr_count 6
		.amdhsa_user_sgpr_private_segment_buffer 1
		.amdhsa_user_sgpr_dispatch_ptr 0
		.amdhsa_user_sgpr_queue_ptr 0
		.amdhsa_user_sgpr_kernarg_segment_ptr 1
		.amdhsa_user_sgpr_dispatch_id 0
		.amdhsa_user_sgpr_flat_scratch_init 0
		.amdhsa_user_sgpr_private_segment_size 0
		.amdhsa_wavefront_size32 1
		.amdhsa_uses_dynamic_stack 0
		.amdhsa_system_sgpr_private_segment_wavefront_offset 0
		.amdhsa_system_sgpr_workgroup_id_x 1
		.amdhsa_system_sgpr_workgroup_id_y 0
		.amdhsa_system_sgpr_workgroup_id_z 0
		.amdhsa_system_sgpr_workgroup_info 0
		.amdhsa_system_vgpr_workitem_id 0
		.amdhsa_next_free_vgpr 1
		.amdhsa_next_free_sgpr 1
		.amdhsa_reserve_vcc 0
		.amdhsa_reserve_flat_scratch 0
		.amdhsa_float_round_mode_32 0
		.amdhsa_float_round_mode_16_64 0
		.amdhsa_float_denorm_mode_32 3
		.amdhsa_float_denorm_mode_16_64 3
		.amdhsa_dx10_clamp 1
		.amdhsa_ieee_mode 1
		.amdhsa_fp16_overflow 0
		.amdhsa_workgroup_processor_mode 1
		.amdhsa_memory_ordered 1
		.amdhsa_forward_progress 1
		.amdhsa_shared_vgpr_count 0
		.amdhsa_exception_fp_ieee_invalid_op 0
		.amdhsa_exception_fp_denorm_src 0
		.amdhsa_exception_fp_ieee_div_zero 0
		.amdhsa_exception_fp_ieee_overflow 0
		.amdhsa_exception_fp_ieee_underflow 0
		.amdhsa_exception_fp_ieee_inexact 0
		.amdhsa_exception_int_div_zero 0
	.end_amdhsa_kernel
	.section	.text._ZN7rocprim17ROCPRIM_400000_NS6detail17trampoline_kernelINS0_14default_configENS1_27scan_by_key_config_selectorIxiEEZZNS1_16scan_by_key_implILNS1_25lookback_scan_determinismE0ELb1ES3_N6thrust23THRUST_200600_302600_NS6detail15normal_iteratorINS9_10device_ptrIxEEEESE_SE_iNS9_4plusIvEENS9_8equal_toIvEEiEE10hipError_tPvRmT2_T3_T4_T5_mT6_T7_P12ihipStream_tbENKUlT_T0_E_clISt17integral_constantIbLb1EESZ_EEDaSU_SV_EUlSU_E_NS1_11comp_targetILNS1_3genE0ELNS1_11target_archE4294967295ELNS1_3gpuE0ELNS1_3repE0EEENS1_30default_config_static_selectorELNS0_4arch9wavefront6targetE0EEEvT1_,"axG",@progbits,_ZN7rocprim17ROCPRIM_400000_NS6detail17trampoline_kernelINS0_14default_configENS1_27scan_by_key_config_selectorIxiEEZZNS1_16scan_by_key_implILNS1_25lookback_scan_determinismE0ELb1ES3_N6thrust23THRUST_200600_302600_NS6detail15normal_iteratorINS9_10device_ptrIxEEEESE_SE_iNS9_4plusIvEENS9_8equal_toIvEEiEE10hipError_tPvRmT2_T3_T4_T5_mT6_T7_P12ihipStream_tbENKUlT_T0_E_clISt17integral_constantIbLb1EESZ_EEDaSU_SV_EUlSU_E_NS1_11comp_targetILNS1_3genE0ELNS1_11target_archE4294967295ELNS1_3gpuE0ELNS1_3repE0EEENS1_30default_config_static_selectorELNS0_4arch9wavefront6targetE0EEEvT1_,comdat
.Lfunc_end1012:
	.size	_ZN7rocprim17ROCPRIM_400000_NS6detail17trampoline_kernelINS0_14default_configENS1_27scan_by_key_config_selectorIxiEEZZNS1_16scan_by_key_implILNS1_25lookback_scan_determinismE0ELb1ES3_N6thrust23THRUST_200600_302600_NS6detail15normal_iteratorINS9_10device_ptrIxEEEESE_SE_iNS9_4plusIvEENS9_8equal_toIvEEiEE10hipError_tPvRmT2_T3_T4_T5_mT6_T7_P12ihipStream_tbENKUlT_T0_E_clISt17integral_constantIbLb1EESZ_EEDaSU_SV_EUlSU_E_NS1_11comp_targetILNS1_3genE0ELNS1_11target_archE4294967295ELNS1_3gpuE0ELNS1_3repE0EEENS1_30default_config_static_selectorELNS0_4arch9wavefront6targetE0EEEvT1_, .Lfunc_end1012-_ZN7rocprim17ROCPRIM_400000_NS6detail17trampoline_kernelINS0_14default_configENS1_27scan_by_key_config_selectorIxiEEZZNS1_16scan_by_key_implILNS1_25lookback_scan_determinismE0ELb1ES3_N6thrust23THRUST_200600_302600_NS6detail15normal_iteratorINS9_10device_ptrIxEEEESE_SE_iNS9_4plusIvEENS9_8equal_toIvEEiEE10hipError_tPvRmT2_T3_T4_T5_mT6_T7_P12ihipStream_tbENKUlT_T0_E_clISt17integral_constantIbLb1EESZ_EEDaSU_SV_EUlSU_E_NS1_11comp_targetILNS1_3genE0ELNS1_11target_archE4294967295ELNS1_3gpuE0ELNS1_3repE0EEENS1_30default_config_static_selectorELNS0_4arch9wavefront6targetE0EEEvT1_
                                        ; -- End function
	.set _ZN7rocprim17ROCPRIM_400000_NS6detail17trampoline_kernelINS0_14default_configENS1_27scan_by_key_config_selectorIxiEEZZNS1_16scan_by_key_implILNS1_25lookback_scan_determinismE0ELb1ES3_N6thrust23THRUST_200600_302600_NS6detail15normal_iteratorINS9_10device_ptrIxEEEESE_SE_iNS9_4plusIvEENS9_8equal_toIvEEiEE10hipError_tPvRmT2_T3_T4_T5_mT6_T7_P12ihipStream_tbENKUlT_T0_E_clISt17integral_constantIbLb1EESZ_EEDaSU_SV_EUlSU_E_NS1_11comp_targetILNS1_3genE0ELNS1_11target_archE4294967295ELNS1_3gpuE0ELNS1_3repE0EEENS1_30default_config_static_selectorELNS0_4arch9wavefront6targetE0EEEvT1_.num_vgpr, 0
	.set _ZN7rocprim17ROCPRIM_400000_NS6detail17trampoline_kernelINS0_14default_configENS1_27scan_by_key_config_selectorIxiEEZZNS1_16scan_by_key_implILNS1_25lookback_scan_determinismE0ELb1ES3_N6thrust23THRUST_200600_302600_NS6detail15normal_iteratorINS9_10device_ptrIxEEEESE_SE_iNS9_4plusIvEENS9_8equal_toIvEEiEE10hipError_tPvRmT2_T3_T4_T5_mT6_T7_P12ihipStream_tbENKUlT_T0_E_clISt17integral_constantIbLb1EESZ_EEDaSU_SV_EUlSU_E_NS1_11comp_targetILNS1_3genE0ELNS1_11target_archE4294967295ELNS1_3gpuE0ELNS1_3repE0EEENS1_30default_config_static_selectorELNS0_4arch9wavefront6targetE0EEEvT1_.num_agpr, 0
	.set _ZN7rocprim17ROCPRIM_400000_NS6detail17trampoline_kernelINS0_14default_configENS1_27scan_by_key_config_selectorIxiEEZZNS1_16scan_by_key_implILNS1_25lookback_scan_determinismE0ELb1ES3_N6thrust23THRUST_200600_302600_NS6detail15normal_iteratorINS9_10device_ptrIxEEEESE_SE_iNS9_4plusIvEENS9_8equal_toIvEEiEE10hipError_tPvRmT2_T3_T4_T5_mT6_T7_P12ihipStream_tbENKUlT_T0_E_clISt17integral_constantIbLb1EESZ_EEDaSU_SV_EUlSU_E_NS1_11comp_targetILNS1_3genE0ELNS1_11target_archE4294967295ELNS1_3gpuE0ELNS1_3repE0EEENS1_30default_config_static_selectorELNS0_4arch9wavefront6targetE0EEEvT1_.numbered_sgpr, 0
	.set _ZN7rocprim17ROCPRIM_400000_NS6detail17trampoline_kernelINS0_14default_configENS1_27scan_by_key_config_selectorIxiEEZZNS1_16scan_by_key_implILNS1_25lookback_scan_determinismE0ELb1ES3_N6thrust23THRUST_200600_302600_NS6detail15normal_iteratorINS9_10device_ptrIxEEEESE_SE_iNS9_4plusIvEENS9_8equal_toIvEEiEE10hipError_tPvRmT2_T3_T4_T5_mT6_T7_P12ihipStream_tbENKUlT_T0_E_clISt17integral_constantIbLb1EESZ_EEDaSU_SV_EUlSU_E_NS1_11comp_targetILNS1_3genE0ELNS1_11target_archE4294967295ELNS1_3gpuE0ELNS1_3repE0EEENS1_30default_config_static_selectorELNS0_4arch9wavefront6targetE0EEEvT1_.num_named_barrier, 0
	.set _ZN7rocprim17ROCPRIM_400000_NS6detail17trampoline_kernelINS0_14default_configENS1_27scan_by_key_config_selectorIxiEEZZNS1_16scan_by_key_implILNS1_25lookback_scan_determinismE0ELb1ES3_N6thrust23THRUST_200600_302600_NS6detail15normal_iteratorINS9_10device_ptrIxEEEESE_SE_iNS9_4plusIvEENS9_8equal_toIvEEiEE10hipError_tPvRmT2_T3_T4_T5_mT6_T7_P12ihipStream_tbENKUlT_T0_E_clISt17integral_constantIbLb1EESZ_EEDaSU_SV_EUlSU_E_NS1_11comp_targetILNS1_3genE0ELNS1_11target_archE4294967295ELNS1_3gpuE0ELNS1_3repE0EEENS1_30default_config_static_selectorELNS0_4arch9wavefront6targetE0EEEvT1_.private_seg_size, 0
	.set _ZN7rocprim17ROCPRIM_400000_NS6detail17trampoline_kernelINS0_14default_configENS1_27scan_by_key_config_selectorIxiEEZZNS1_16scan_by_key_implILNS1_25lookback_scan_determinismE0ELb1ES3_N6thrust23THRUST_200600_302600_NS6detail15normal_iteratorINS9_10device_ptrIxEEEESE_SE_iNS9_4plusIvEENS9_8equal_toIvEEiEE10hipError_tPvRmT2_T3_T4_T5_mT6_T7_P12ihipStream_tbENKUlT_T0_E_clISt17integral_constantIbLb1EESZ_EEDaSU_SV_EUlSU_E_NS1_11comp_targetILNS1_3genE0ELNS1_11target_archE4294967295ELNS1_3gpuE0ELNS1_3repE0EEENS1_30default_config_static_selectorELNS0_4arch9wavefront6targetE0EEEvT1_.uses_vcc, 0
	.set _ZN7rocprim17ROCPRIM_400000_NS6detail17trampoline_kernelINS0_14default_configENS1_27scan_by_key_config_selectorIxiEEZZNS1_16scan_by_key_implILNS1_25lookback_scan_determinismE0ELb1ES3_N6thrust23THRUST_200600_302600_NS6detail15normal_iteratorINS9_10device_ptrIxEEEESE_SE_iNS9_4plusIvEENS9_8equal_toIvEEiEE10hipError_tPvRmT2_T3_T4_T5_mT6_T7_P12ihipStream_tbENKUlT_T0_E_clISt17integral_constantIbLb1EESZ_EEDaSU_SV_EUlSU_E_NS1_11comp_targetILNS1_3genE0ELNS1_11target_archE4294967295ELNS1_3gpuE0ELNS1_3repE0EEENS1_30default_config_static_selectorELNS0_4arch9wavefront6targetE0EEEvT1_.uses_flat_scratch, 0
	.set _ZN7rocprim17ROCPRIM_400000_NS6detail17trampoline_kernelINS0_14default_configENS1_27scan_by_key_config_selectorIxiEEZZNS1_16scan_by_key_implILNS1_25lookback_scan_determinismE0ELb1ES3_N6thrust23THRUST_200600_302600_NS6detail15normal_iteratorINS9_10device_ptrIxEEEESE_SE_iNS9_4plusIvEENS9_8equal_toIvEEiEE10hipError_tPvRmT2_T3_T4_T5_mT6_T7_P12ihipStream_tbENKUlT_T0_E_clISt17integral_constantIbLb1EESZ_EEDaSU_SV_EUlSU_E_NS1_11comp_targetILNS1_3genE0ELNS1_11target_archE4294967295ELNS1_3gpuE0ELNS1_3repE0EEENS1_30default_config_static_selectorELNS0_4arch9wavefront6targetE0EEEvT1_.has_dyn_sized_stack, 0
	.set _ZN7rocprim17ROCPRIM_400000_NS6detail17trampoline_kernelINS0_14default_configENS1_27scan_by_key_config_selectorIxiEEZZNS1_16scan_by_key_implILNS1_25lookback_scan_determinismE0ELb1ES3_N6thrust23THRUST_200600_302600_NS6detail15normal_iteratorINS9_10device_ptrIxEEEESE_SE_iNS9_4plusIvEENS9_8equal_toIvEEiEE10hipError_tPvRmT2_T3_T4_T5_mT6_T7_P12ihipStream_tbENKUlT_T0_E_clISt17integral_constantIbLb1EESZ_EEDaSU_SV_EUlSU_E_NS1_11comp_targetILNS1_3genE0ELNS1_11target_archE4294967295ELNS1_3gpuE0ELNS1_3repE0EEENS1_30default_config_static_selectorELNS0_4arch9wavefront6targetE0EEEvT1_.has_recursion, 0
	.set _ZN7rocprim17ROCPRIM_400000_NS6detail17trampoline_kernelINS0_14default_configENS1_27scan_by_key_config_selectorIxiEEZZNS1_16scan_by_key_implILNS1_25lookback_scan_determinismE0ELb1ES3_N6thrust23THRUST_200600_302600_NS6detail15normal_iteratorINS9_10device_ptrIxEEEESE_SE_iNS9_4plusIvEENS9_8equal_toIvEEiEE10hipError_tPvRmT2_T3_T4_T5_mT6_T7_P12ihipStream_tbENKUlT_T0_E_clISt17integral_constantIbLb1EESZ_EEDaSU_SV_EUlSU_E_NS1_11comp_targetILNS1_3genE0ELNS1_11target_archE4294967295ELNS1_3gpuE0ELNS1_3repE0EEENS1_30default_config_static_selectorELNS0_4arch9wavefront6targetE0EEEvT1_.has_indirect_call, 0
	.section	.AMDGPU.csdata,"",@progbits
; Kernel info:
; codeLenInByte = 0
; TotalNumSgprs: 0
; NumVgprs: 0
; ScratchSize: 0
; MemoryBound: 0
; FloatMode: 240
; IeeeMode: 1
; LDSByteSize: 0 bytes/workgroup (compile time only)
; SGPRBlocks: 0
; VGPRBlocks: 0
; NumSGPRsForWavesPerEU: 1
; NumVGPRsForWavesPerEU: 1
; Occupancy: 16
; WaveLimiterHint : 0
; COMPUTE_PGM_RSRC2:SCRATCH_EN: 0
; COMPUTE_PGM_RSRC2:USER_SGPR: 6
; COMPUTE_PGM_RSRC2:TRAP_HANDLER: 0
; COMPUTE_PGM_RSRC2:TGID_X_EN: 1
; COMPUTE_PGM_RSRC2:TGID_Y_EN: 0
; COMPUTE_PGM_RSRC2:TGID_Z_EN: 0
; COMPUTE_PGM_RSRC2:TIDIG_COMP_CNT: 0
	.section	.text._ZN7rocprim17ROCPRIM_400000_NS6detail17trampoline_kernelINS0_14default_configENS1_27scan_by_key_config_selectorIxiEEZZNS1_16scan_by_key_implILNS1_25lookback_scan_determinismE0ELb1ES3_N6thrust23THRUST_200600_302600_NS6detail15normal_iteratorINS9_10device_ptrIxEEEESE_SE_iNS9_4plusIvEENS9_8equal_toIvEEiEE10hipError_tPvRmT2_T3_T4_T5_mT6_T7_P12ihipStream_tbENKUlT_T0_E_clISt17integral_constantIbLb1EESZ_EEDaSU_SV_EUlSU_E_NS1_11comp_targetILNS1_3genE10ELNS1_11target_archE1201ELNS1_3gpuE5ELNS1_3repE0EEENS1_30default_config_static_selectorELNS0_4arch9wavefront6targetE0EEEvT1_,"axG",@progbits,_ZN7rocprim17ROCPRIM_400000_NS6detail17trampoline_kernelINS0_14default_configENS1_27scan_by_key_config_selectorIxiEEZZNS1_16scan_by_key_implILNS1_25lookback_scan_determinismE0ELb1ES3_N6thrust23THRUST_200600_302600_NS6detail15normal_iteratorINS9_10device_ptrIxEEEESE_SE_iNS9_4plusIvEENS9_8equal_toIvEEiEE10hipError_tPvRmT2_T3_T4_T5_mT6_T7_P12ihipStream_tbENKUlT_T0_E_clISt17integral_constantIbLb1EESZ_EEDaSU_SV_EUlSU_E_NS1_11comp_targetILNS1_3genE10ELNS1_11target_archE1201ELNS1_3gpuE5ELNS1_3repE0EEENS1_30default_config_static_selectorELNS0_4arch9wavefront6targetE0EEEvT1_,comdat
	.protected	_ZN7rocprim17ROCPRIM_400000_NS6detail17trampoline_kernelINS0_14default_configENS1_27scan_by_key_config_selectorIxiEEZZNS1_16scan_by_key_implILNS1_25lookback_scan_determinismE0ELb1ES3_N6thrust23THRUST_200600_302600_NS6detail15normal_iteratorINS9_10device_ptrIxEEEESE_SE_iNS9_4plusIvEENS9_8equal_toIvEEiEE10hipError_tPvRmT2_T3_T4_T5_mT6_T7_P12ihipStream_tbENKUlT_T0_E_clISt17integral_constantIbLb1EESZ_EEDaSU_SV_EUlSU_E_NS1_11comp_targetILNS1_3genE10ELNS1_11target_archE1201ELNS1_3gpuE5ELNS1_3repE0EEENS1_30default_config_static_selectorELNS0_4arch9wavefront6targetE0EEEvT1_ ; -- Begin function _ZN7rocprim17ROCPRIM_400000_NS6detail17trampoline_kernelINS0_14default_configENS1_27scan_by_key_config_selectorIxiEEZZNS1_16scan_by_key_implILNS1_25lookback_scan_determinismE0ELb1ES3_N6thrust23THRUST_200600_302600_NS6detail15normal_iteratorINS9_10device_ptrIxEEEESE_SE_iNS9_4plusIvEENS9_8equal_toIvEEiEE10hipError_tPvRmT2_T3_T4_T5_mT6_T7_P12ihipStream_tbENKUlT_T0_E_clISt17integral_constantIbLb1EESZ_EEDaSU_SV_EUlSU_E_NS1_11comp_targetILNS1_3genE10ELNS1_11target_archE1201ELNS1_3gpuE5ELNS1_3repE0EEENS1_30default_config_static_selectorELNS0_4arch9wavefront6targetE0EEEvT1_
	.globl	_ZN7rocprim17ROCPRIM_400000_NS6detail17trampoline_kernelINS0_14default_configENS1_27scan_by_key_config_selectorIxiEEZZNS1_16scan_by_key_implILNS1_25lookback_scan_determinismE0ELb1ES3_N6thrust23THRUST_200600_302600_NS6detail15normal_iteratorINS9_10device_ptrIxEEEESE_SE_iNS9_4plusIvEENS9_8equal_toIvEEiEE10hipError_tPvRmT2_T3_T4_T5_mT6_T7_P12ihipStream_tbENKUlT_T0_E_clISt17integral_constantIbLb1EESZ_EEDaSU_SV_EUlSU_E_NS1_11comp_targetILNS1_3genE10ELNS1_11target_archE1201ELNS1_3gpuE5ELNS1_3repE0EEENS1_30default_config_static_selectorELNS0_4arch9wavefront6targetE0EEEvT1_
	.p2align	8
	.type	_ZN7rocprim17ROCPRIM_400000_NS6detail17trampoline_kernelINS0_14default_configENS1_27scan_by_key_config_selectorIxiEEZZNS1_16scan_by_key_implILNS1_25lookback_scan_determinismE0ELb1ES3_N6thrust23THRUST_200600_302600_NS6detail15normal_iteratorINS9_10device_ptrIxEEEESE_SE_iNS9_4plusIvEENS9_8equal_toIvEEiEE10hipError_tPvRmT2_T3_T4_T5_mT6_T7_P12ihipStream_tbENKUlT_T0_E_clISt17integral_constantIbLb1EESZ_EEDaSU_SV_EUlSU_E_NS1_11comp_targetILNS1_3genE10ELNS1_11target_archE1201ELNS1_3gpuE5ELNS1_3repE0EEENS1_30default_config_static_selectorELNS0_4arch9wavefront6targetE0EEEvT1_,@function
_ZN7rocprim17ROCPRIM_400000_NS6detail17trampoline_kernelINS0_14default_configENS1_27scan_by_key_config_selectorIxiEEZZNS1_16scan_by_key_implILNS1_25lookback_scan_determinismE0ELb1ES3_N6thrust23THRUST_200600_302600_NS6detail15normal_iteratorINS9_10device_ptrIxEEEESE_SE_iNS9_4plusIvEENS9_8equal_toIvEEiEE10hipError_tPvRmT2_T3_T4_T5_mT6_T7_P12ihipStream_tbENKUlT_T0_E_clISt17integral_constantIbLb1EESZ_EEDaSU_SV_EUlSU_E_NS1_11comp_targetILNS1_3genE10ELNS1_11target_archE1201ELNS1_3gpuE5ELNS1_3repE0EEENS1_30default_config_static_selectorELNS0_4arch9wavefront6targetE0EEEvT1_: ; @_ZN7rocprim17ROCPRIM_400000_NS6detail17trampoline_kernelINS0_14default_configENS1_27scan_by_key_config_selectorIxiEEZZNS1_16scan_by_key_implILNS1_25lookback_scan_determinismE0ELb1ES3_N6thrust23THRUST_200600_302600_NS6detail15normal_iteratorINS9_10device_ptrIxEEEESE_SE_iNS9_4plusIvEENS9_8equal_toIvEEiEE10hipError_tPvRmT2_T3_T4_T5_mT6_T7_P12ihipStream_tbENKUlT_T0_E_clISt17integral_constantIbLb1EESZ_EEDaSU_SV_EUlSU_E_NS1_11comp_targetILNS1_3genE10ELNS1_11target_archE1201ELNS1_3gpuE5ELNS1_3repE0EEENS1_30default_config_static_selectorELNS0_4arch9wavefront6targetE0EEEvT1_
; %bb.0:
	.section	.rodata,"a",@progbits
	.p2align	6, 0x0
	.amdhsa_kernel _ZN7rocprim17ROCPRIM_400000_NS6detail17trampoline_kernelINS0_14default_configENS1_27scan_by_key_config_selectorIxiEEZZNS1_16scan_by_key_implILNS1_25lookback_scan_determinismE0ELb1ES3_N6thrust23THRUST_200600_302600_NS6detail15normal_iteratorINS9_10device_ptrIxEEEESE_SE_iNS9_4plusIvEENS9_8equal_toIvEEiEE10hipError_tPvRmT2_T3_T4_T5_mT6_T7_P12ihipStream_tbENKUlT_T0_E_clISt17integral_constantIbLb1EESZ_EEDaSU_SV_EUlSU_E_NS1_11comp_targetILNS1_3genE10ELNS1_11target_archE1201ELNS1_3gpuE5ELNS1_3repE0EEENS1_30default_config_static_selectorELNS0_4arch9wavefront6targetE0EEEvT1_
		.amdhsa_group_segment_fixed_size 0
		.amdhsa_private_segment_fixed_size 0
		.amdhsa_kernarg_size 112
		.amdhsa_user_sgpr_count 6
		.amdhsa_user_sgpr_private_segment_buffer 1
		.amdhsa_user_sgpr_dispatch_ptr 0
		.amdhsa_user_sgpr_queue_ptr 0
		.amdhsa_user_sgpr_kernarg_segment_ptr 1
		.amdhsa_user_sgpr_dispatch_id 0
		.amdhsa_user_sgpr_flat_scratch_init 0
		.amdhsa_user_sgpr_private_segment_size 0
		.amdhsa_wavefront_size32 1
		.amdhsa_uses_dynamic_stack 0
		.amdhsa_system_sgpr_private_segment_wavefront_offset 0
		.amdhsa_system_sgpr_workgroup_id_x 1
		.amdhsa_system_sgpr_workgroup_id_y 0
		.amdhsa_system_sgpr_workgroup_id_z 0
		.amdhsa_system_sgpr_workgroup_info 0
		.amdhsa_system_vgpr_workitem_id 0
		.amdhsa_next_free_vgpr 1
		.amdhsa_next_free_sgpr 1
		.amdhsa_reserve_vcc 0
		.amdhsa_reserve_flat_scratch 0
		.amdhsa_float_round_mode_32 0
		.amdhsa_float_round_mode_16_64 0
		.amdhsa_float_denorm_mode_32 3
		.amdhsa_float_denorm_mode_16_64 3
		.amdhsa_dx10_clamp 1
		.amdhsa_ieee_mode 1
		.amdhsa_fp16_overflow 0
		.amdhsa_workgroup_processor_mode 1
		.amdhsa_memory_ordered 1
		.amdhsa_forward_progress 1
		.amdhsa_shared_vgpr_count 0
		.amdhsa_exception_fp_ieee_invalid_op 0
		.amdhsa_exception_fp_denorm_src 0
		.amdhsa_exception_fp_ieee_div_zero 0
		.amdhsa_exception_fp_ieee_overflow 0
		.amdhsa_exception_fp_ieee_underflow 0
		.amdhsa_exception_fp_ieee_inexact 0
		.amdhsa_exception_int_div_zero 0
	.end_amdhsa_kernel
	.section	.text._ZN7rocprim17ROCPRIM_400000_NS6detail17trampoline_kernelINS0_14default_configENS1_27scan_by_key_config_selectorIxiEEZZNS1_16scan_by_key_implILNS1_25lookback_scan_determinismE0ELb1ES3_N6thrust23THRUST_200600_302600_NS6detail15normal_iteratorINS9_10device_ptrIxEEEESE_SE_iNS9_4plusIvEENS9_8equal_toIvEEiEE10hipError_tPvRmT2_T3_T4_T5_mT6_T7_P12ihipStream_tbENKUlT_T0_E_clISt17integral_constantIbLb1EESZ_EEDaSU_SV_EUlSU_E_NS1_11comp_targetILNS1_3genE10ELNS1_11target_archE1201ELNS1_3gpuE5ELNS1_3repE0EEENS1_30default_config_static_selectorELNS0_4arch9wavefront6targetE0EEEvT1_,"axG",@progbits,_ZN7rocprim17ROCPRIM_400000_NS6detail17trampoline_kernelINS0_14default_configENS1_27scan_by_key_config_selectorIxiEEZZNS1_16scan_by_key_implILNS1_25lookback_scan_determinismE0ELb1ES3_N6thrust23THRUST_200600_302600_NS6detail15normal_iteratorINS9_10device_ptrIxEEEESE_SE_iNS9_4plusIvEENS9_8equal_toIvEEiEE10hipError_tPvRmT2_T3_T4_T5_mT6_T7_P12ihipStream_tbENKUlT_T0_E_clISt17integral_constantIbLb1EESZ_EEDaSU_SV_EUlSU_E_NS1_11comp_targetILNS1_3genE10ELNS1_11target_archE1201ELNS1_3gpuE5ELNS1_3repE0EEENS1_30default_config_static_selectorELNS0_4arch9wavefront6targetE0EEEvT1_,comdat
.Lfunc_end1013:
	.size	_ZN7rocprim17ROCPRIM_400000_NS6detail17trampoline_kernelINS0_14default_configENS1_27scan_by_key_config_selectorIxiEEZZNS1_16scan_by_key_implILNS1_25lookback_scan_determinismE0ELb1ES3_N6thrust23THRUST_200600_302600_NS6detail15normal_iteratorINS9_10device_ptrIxEEEESE_SE_iNS9_4plusIvEENS9_8equal_toIvEEiEE10hipError_tPvRmT2_T3_T4_T5_mT6_T7_P12ihipStream_tbENKUlT_T0_E_clISt17integral_constantIbLb1EESZ_EEDaSU_SV_EUlSU_E_NS1_11comp_targetILNS1_3genE10ELNS1_11target_archE1201ELNS1_3gpuE5ELNS1_3repE0EEENS1_30default_config_static_selectorELNS0_4arch9wavefront6targetE0EEEvT1_, .Lfunc_end1013-_ZN7rocprim17ROCPRIM_400000_NS6detail17trampoline_kernelINS0_14default_configENS1_27scan_by_key_config_selectorIxiEEZZNS1_16scan_by_key_implILNS1_25lookback_scan_determinismE0ELb1ES3_N6thrust23THRUST_200600_302600_NS6detail15normal_iteratorINS9_10device_ptrIxEEEESE_SE_iNS9_4plusIvEENS9_8equal_toIvEEiEE10hipError_tPvRmT2_T3_T4_T5_mT6_T7_P12ihipStream_tbENKUlT_T0_E_clISt17integral_constantIbLb1EESZ_EEDaSU_SV_EUlSU_E_NS1_11comp_targetILNS1_3genE10ELNS1_11target_archE1201ELNS1_3gpuE5ELNS1_3repE0EEENS1_30default_config_static_selectorELNS0_4arch9wavefront6targetE0EEEvT1_
                                        ; -- End function
	.set _ZN7rocprim17ROCPRIM_400000_NS6detail17trampoline_kernelINS0_14default_configENS1_27scan_by_key_config_selectorIxiEEZZNS1_16scan_by_key_implILNS1_25lookback_scan_determinismE0ELb1ES3_N6thrust23THRUST_200600_302600_NS6detail15normal_iteratorINS9_10device_ptrIxEEEESE_SE_iNS9_4plusIvEENS9_8equal_toIvEEiEE10hipError_tPvRmT2_T3_T4_T5_mT6_T7_P12ihipStream_tbENKUlT_T0_E_clISt17integral_constantIbLb1EESZ_EEDaSU_SV_EUlSU_E_NS1_11comp_targetILNS1_3genE10ELNS1_11target_archE1201ELNS1_3gpuE5ELNS1_3repE0EEENS1_30default_config_static_selectorELNS0_4arch9wavefront6targetE0EEEvT1_.num_vgpr, 0
	.set _ZN7rocprim17ROCPRIM_400000_NS6detail17trampoline_kernelINS0_14default_configENS1_27scan_by_key_config_selectorIxiEEZZNS1_16scan_by_key_implILNS1_25lookback_scan_determinismE0ELb1ES3_N6thrust23THRUST_200600_302600_NS6detail15normal_iteratorINS9_10device_ptrIxEEEESE_SE_iNS9_4plusIvEENS9_8equal_toIvEEiEE10hipError_tPvRmT2_T3_T4_T5_mT6_T7_P12ihipStream_tbENKUlT_T0_E_clISt17integral_constantIbLb1EESZ_EEDaSU_SV_EUlSU_E_NS1_11comp_targetILNS1_3genE10ELNS1_11target_archE1201ELNS1_3gpuE5ELNS1_3repE0EEENS1_30default_config_static_selectorELNS0_4arch9wavefront6targetE0EEEvT1_.num_agpr, 0
	.set _ZN7rocprim17ROCPRIM_400000_NS6detail17trampoline_kernelINS0_14default_configENS1_27scan_by_key_config_selectorIxiEEZZNS1_16scan_by_key_implILNS1_25lookback_scan_determinismE0ELb1ES3_N6thrust23THRUST_200600_302600_NS6detail15normal_iteratorINS9_10device_ptrIxEEEESE_SE_iNS9_4plusIvEENS9_8equal_toIvEEiEE10hipError_tPvRmT2_T3_T4_T5_mT6_T7_P12ihipStream_tbENKUlT_T0_E_clISt17integral_constantIbLb1EESZ_EEDaSU_SV_EUlSU_E_NS1_11comp_targetILNS1_3genE10ELNS1_11target_archE1201ELNS1_3gpuE5ELNS1_3repE0EEENS1_30default_config_static_selectorELNS0_4arch9wavefront6targetE0EEEvT1_.numbered_sgpr, 0
	.set _ZN7rocprim17ROCPRIM_400000_NS6detail17trampoline_kernelINS0_14default_configENS1_27scan_by_key_config_selectorIxiEEZZNS1_16scan_by_key_implILNS1_25lookback_scan_determinismE0ELb1ES3_N6thrust23THRUST_200600_302600_NS6detail15normal_iteratorINS9_10device_ptrIxEEEESE_SE_iNS9_4plusIvEENS9_8equal_toIvEEiEE10hipError_tPvRmT2_T3_T4_T5_mT6_T7_P12ihipStream_tbENKUlT_T0_E_clISt17integral_constantIbLb1EESZ_EEDaSU_SV_EUlSU_E_NS1_11comp_targetILNS1_3genE10ELNS1_11target_archE1201ELNS1_3gpuE5ELNS1_3repE0EEENS1_30default_config_static_selectorELNS0_4arch9wavefront6targetE0EEEvT1_.num_named_barrier, 0
	.set _ZN7rocprim17ROCPRIM_400000_NS6detail17trampoline_kernelINS0_14default_configENS1_27scan_by_key_config_selectorIxiEEZZNS1_16scan_by_key_implILNS1_25lookback_scan_determinismE0ELb1ES3_N6thrust23THRUST_200600_302600_NS6detail15normal_iteratorINS9_10device_ptrIxEEEESE_SE_iNS9_4plusIvEENS9_8equal_toIvEEiEE10hipError_tPvRmT2_T3_T4_T5_mT6_T7_P12ihipStream_tbENKUlT_T0_E_clISt17integral_constantIbLb1EESZ_EEDaSU_SV_EUlSU_E_NS1_11comp_targetILNS1_3genE10ELNS1_11target_archE1201ELNS1_3gpuE5ELNS1_3repE0EEENS1_30default_config_static_selectorELNS0_4arch9wavefront6targetE0EEEvT1_.private_seg_size, 0
	.set _ZN7rocprim17ROCPRIM_400000_NS6detail17trampoline_kernelINS0_14default_configENS1_27scan_by_key_config_selectorIxiEEZZNS1_16scan_by_key_implILNS1_25lookback_scan_determinismE0ELb1ES3_N6thrust23THRUST_200600_302600_NS6detail15normal_iteratorINS9_10device_ptrIxEEEESE_SE_iNS9_4plusIvEENS9_8equal_toIvEEiEE10hipError_tPvRmT2_T3_T4_T5_mT6_T7_P12ihipStream_tbENKUlT_T0_E_clISt17integral_constantIbLb1EESZ_EEDaSU_SV_EUlSU_E_NS1_11comp_targetILNS1_3genE10ELNS1_11target_archE1201ELNS1_3gpuE5ELNS1_3repE0EEENS1_30default_config_static_selectorELNS0_4arch9wavefront6targetE0EEEvT1_.uses_vcc, 0
	.set _ZN7rocprim17ROCPRIM_400000_NS6detail17trampoline_kernelINS0_14default_configENS1_27scan_by_key_config_selectorIxiEEZZNS1_16scan_by_key_implILNS1_25lookback_scan_determinismE0ELb1ES3_N6thrust23THRUST_200600_302600_NS6detail15normal_iteratorINS9_10device_ptrIxEEEESE_SE_iNS9_4plusIvEENS9_8equal_toIvEEiEE10hipError_tPvRmT2_T3_T4_T5_mT6_T7_P12ihipStream_tbENKUlT_T0_E_clISt17integral_constantIbLb1EESZ_EEDaSU_SV_EUlSU_E_NS1_11comp_targetILNS1_3genE10ELNS1_11target_archE1201ELNS1_3gpuE5ELNS1_3repE0EEENS1_30default_config_static_selectorELNS0_4arch9wavefront6targetE0EEEvT1_.uses_flat_scratch, 0
	.set _ZN7rocprim17ROCPRIM_400000_NS6detail17trampoline_kernelINS0_14default_configENS1_27scan_by_key_config_selectorIxiEEZZNS1_16scan_by_key_implILNS1_25lookback_scan_determinismE0ELb1ES3_N6thrust23THRUST_200600_302600_NS6detail15normal_iteratorINS9_10device_ptrIxEEEESE_SE_iNS9_4plusIvEENS9_8equal_toIvEEiEE10hipError_tPvRmT2_T3_T4_T5_mT6_T7_P12ihipStream_tbENKUlT_T0_E_clISt17integral_constantIbLb1EESZ_EEDaSU_SV_EUlSU_E_NS1_11comp_targetILNS1_3genE10ELNS1_11target_archE1201ELNS1_3gpuE5ELNS1_3repE0EEENS1_30default_config_static_selectorELNS0_4arch9wavefront6targetE0EEEvT1_.has_dyn_sized_stack, 0
	.set _ZN7rocprim17ROCPRIM_400000_NS6detail17trampoline_kernelINS0_14default_configENS1_27scan_by_key_config_selectorIxiEEZZNS1_16scan_by_key_implILNS1_25lookback_scan_determinismE0ELb1ES3_N6thrust23THRUST_200600_302600_NS6detail15normal_iteratorINS9_10device_ptrIxEEEESE_SE_iNS9_4plusIvEENS9_8equal_toIvEEiEE10hipError_tPvRmT2_T3_T4_T5_mT6_T7_P12ihipStream_tbENKUlT_T0_E_clISt17integral_constantIbLb1EESZ_EEDaSU_SV_EUlSU_E_NS1_11comp_targetILNS1_3genE10ELNS1_11target_archE1201ELNS1_3gpuE5ELNS1_3repE0EEENS1_30default_config_static_selectorELNS0_4arch9wavefront6targetE0EEEvT1_.has_recursion, 0
	.set _ZN7rocprim17ROCPRIM_400000_NS6detail17trampoline_kernelINS0_14default_configENS1_27scan_by_key_config_selectorIxiEEZZNS1_16scan_by_key_implILNS1_25lookback_scan_determinismE0ELb1ES3_N6thrust23THRUST_200600_302600_NS6detail15normal_iteratorINS9_10device_ptrIxEEEESE_SE_iNS9_4plusIvEENS9_8equal_toIvEEiEE10hipError_tPvRmT2_T3_T4_T5_mT6_T7_P12ihipStream_tbENKUlT_T0_E_clISt17integral_constantIbLb1EESZ_EEDaSU_SV_EUlSU_E_NS1_11comp_targetILNS1_3genE10ELNS1_11target_archE1201ELNS1_3gpuE5ELNS1_3repE0EEENS1_30default_config_static_selectorELNS0_4arch9wavefront6targetE0EEEvT1_.has_indirect_call, 0
	.section	.AMDGPU.csdata,"",@progbits
; Kernel info:
; codeLenInByte = 0
; TotalNumSgprs: 0
; NumVgprs: 0
; ScratchSize: 0
; MemoryBound: 0
; FloatMode: 240
; IeeeMode: 1
; LDSByteSize: 0 bytes/workgroup (compile time only)
; SGPRBlocks: 0
; VGPRBlocks: 0
; NumSGPRsForWavesPerEU: 1
; NumVGPRsForWavesPerEU: 1
; Occupancy: 16
; WaveLimiterHint : 0
; COMPUTE_PGM_RSRC2:SCRATCH_EN: 0
; COMPUTE_PGM_RSRC2:USER_SGPR: 6
; COMPUTE_PGM_RSRC2:TRAP_HANDLER: 0
; COMPUTE_PGM_RSRC2:TGID_X_EN: 1
; COMPUTE_PGM_RSRC2:TGID_Y_EN: 0
; COMPUTE_PGM_RSRC2:TGID_Z_EN: 0
; COMPUTE_PGM_RSRC2:TIDIG_COMP_CNT: 0
	.section	.text._ZN7rocprim17ROCPRIM_400000_NS6detail17trampoline_kernelINS0_14default_configENS1_27scan_by_key_config_selectorIxiEEZZNS1_16scan_by_key_implILNS1_25lookback_scan_determinismE0ELb1ES3_N6thrust23THRUST_200600_302600_NS6detail15normal_iteratorINS9_10device_ptrIxEEEESE_SE_iNS9_4plusIvEENS9_8equal_toIvEEiEE10hipError_tPvRmT2_T3_T4_T5_mT6_T7_P12ihipStream_tbENKUlT_T0_E_clISt17integral_constantIbLb1EESZ_EEDaSU_SV_EUlSU_E_NS1_11comp_targetILNS1_3genE5ELNS1_11target_archE942ELNS1_3gpuE9ELNS1_3repE0EEENS1_30default_config_static_selectorELNS0_4arch9wavefront6targetE0EEEvT1_,"axG",@progbits,_ZN7rocprim17ROCPRIM_400000_NS6detail17trampoline_kernelINS0_14default_configENS1_27scan_by_key_config_selectorIxiEEZZNS1_16scan_by_key_implILNS1_25lookback_scan_determinismE0ELb1ES3_N6thrust23THRUST_200600_302600_NS6detail15normal_iteratorINS9_10device_ptrIxEEEESE_SE_iNS9_4plusIvEENS9_8equal_toIvEEiEE10hipError_tPvRmT2_T3_T4_T5_mT6_T7_P12ihipStream_tbENKUlT_T0_E_clISt17integral_constantIbLb1EESZ_EEDaSU_SV_EUlSU_E_NS1_11comp_targetILNS1_3genE5ELNS1_11target_archE942ELNS1_3gpuE9ELNS1_3repE0EEENS1_30default_config_static_selectorELNS0_4arch9wavefront6targetE0EEEvT1_,comdat
	.protected	_ZN7rocprim17ROCPRIM_400000_NS6detail17trampoline_kernelINS0_14default_configENS1_27scan_by_key_config_selectorIxiEEZZNS1_16scan_by_key_implILNS1_25lookback_scan_determinismE0ELb1ES3_N6thrust23THRUST_200600_302600_NS6detail15normal_iteratorINS9_10device_ptrIxEEEESE_SE_iNS9_4plusIvEENS9_8equal_toIvEEiEE10hipError_tPvRmT2_T3_T4_T5_mT6_T7_P12ihipStream_tbENKUlT_T0_E_clISt17integral_constantIbLb1EESZ_EEDaSU_SV_EUlSU_E_NS1_11comp_targetILNS1_3genE5ELNS1_11target_archE942ELNS1_3gpuE9ELNS1_3repE0EEENS1_30default_config_static_selectorELNS0_4arch9wavefront6targetE0EEEvT1_ ; -- Begin function _ZN7rocprim17ROCPRIM_400000_NS6detail17trampoline_kernelINS0_14default_configENS1_27scan_by_key_config_selectorIxiEEZZNS1_16scan_by_key_implILNS1_25lookback_scan_determinismE0ELb1ES3_N6thrust23THRUST_200600_302600_NS6detail15normal_iteratorINS9_10device_ptrIxEEEESE_SE_iNS9_4plusIvEENS9_8equal_toIvEEiEE10hipError_tPvRmT2_T3_T4_T5_mT6_T7_P12ihipStream_tbENKUlT_T0_E_clISt17integral_constantIbLb1EESZ_EEDaSU_SV_EUlSU_E_NS1_11comp_targetILNS1_3genE5ELNS1_11target_archE942ELNS1_3gpuE9ELNS1_3repE0EEENS1_30default_config_static_selectorELNS0_4arch9wavefront6targetE0EEEvT1_
	.globl	_ZN7rocprim17ROCPRIM_400000_NS6detail17trampoline_kernelINS0_14default_configENS1_27scan_by_key_config_selectorIxiEEZZNS1_16scan_by_key_implILNS1_25lookback_scan_determinismE0ELb1ES3_N6thrust23THRUST_200600_302600_NS6detail15normal_iteratorINS9_10device_ptrIxEEEESE_SE_iNS9_4plusIvEENS9_8equal_toIvEEiEE10hipError_tPvRmT2_T3_T4_T5_mT6_T7_P12ihipStream_tbENKUlT_T0_E_clISt17integral_constantIbLb1EESZ_EEDaSU_SV_EUlSU_E_NS1_11comp_targetILNS1_3genE5ELNS1_11target_archE942ELNS1_3gpuE9ELNS1_3repE0EEENS1_30default_config_static_selectorELNS0_4arch9wavefront6targetE0EEEvT1_
	.p2align	8
	.type	_ZN7rocprim17ROCPRIM_400000_NS6detail17trampoline_kernelINS0_14default_configENS1_27scan_by_key_config_selectorIxiEEZZNS1_16scan_by_key_implILNS1_25lookback_scan_determinismE0ELb1ES3_N6thrust23THRUST_200600_302600_NS6detail15normal_iteratorINS9_10device_ptrIxEEEESE_SE_iNS9_4plusIvEENS9_8equal_toIvEEiEE10hipError_tPvRmT2_T3_T4_T5_mT6_T7_P12ihipStream_tbENKUlT_T0_E_clISt17integral_constantIbLb1EESZ_EEDaSU_SV_EUlSU_E_NS1_11comp_targetILNS1_3genE5ELNS1_11target_archE942ELNS1_3gpuE9ELNS1_3repE0EEENS1_30default_config_static_selectorELNS0_4arch9wavefront6targetE0EEEvT1_,@function
_ZN7rocprim17ROCPRIM_400000_NS6detail17trampoline_kernelINS0_14default_configENS1_27scan_by_key_config_selectorIxiEEZZNS1_16scan_by_key_implILNS1_25lookback_scan_determinismE0ELb1ES3_N6thrust23THRUST_200600_302600_NS6detail15normal_iteratorINS9_10device_ptrIxEEEESE_SE_iNS9_4plusIvEENS9_8equal_toIvEEiEE10hipError_tPvRmT2_T3_T4_T5_mT6_T7_P12ihipStream_tbENKUlT_T0_E_clISt17integral_constantIbLb1EESZ_EEDaSU_SV_EUlSU_E_NS1_11comp_targetILNS1_3genE5ELNS1_11target_archE942ELNS1_3gpuE9ELNS1_3repE0EEENS1_30default_config_static_selectorELNS0_4arch9wavefront6targetE0EEEvT1_: ; @_ZN7rocprim17ROCPRIM_400000_NS6detail17trampoline_kernelINS0_14default_configENS1_27scan_by_key_config_selectorIxiEEZZNS1_16scan_by_key_implILNS1_25lookback_scan_determinismE0ELb1ES3_N6thrust23THRUST_200600_302600_NS6detail15normal_iteratorINS9_10device_ptrIxEEEESE_SE_iNS9_4plusIvEENS9_8equal_toIvEEiEE10hipError_tPvRmT2_T3_T4_T5_mT6_T7_P12ihipStream_tbENKUlT_T0_E_clISt17integral_constantIbLb1EESZ_EEDaSU_SV_EUlSU_E_NS1_11comp_targetILNS1_3genE5ELNS1_11target_archE942ELNS1_3gpuE9ELNS1_3repE0EEENS1_30default_config_static_selectorELNS0_4arch9wavefront6targetE0EEEvT1_
; %bb.0:
	.section	.rodata,"a",@progbits
	.p2align	6, 0x0
	.amdhsa_kernel _ZN7rocprim17ROCPRIM_400000_NS6detail17trampoline_kernelINS0_14default_configENS1_27scan_by_key_config_selectorIxiEEZZNS1_16scan_by_key_implILNS1_25lookback_scan_determinismE0ELb1ES3_N6thrust23THRUST_200600_302600_NS6detail15normal_iteratorINS9_10device_ptrIxEEEESE_SE_iNS9_4plusIvEENS9_8equal_toIvEEiEE10hipError_tPvRmT2_T3_T4_T5_mT6_T7_P12ihipStream_tbENKUlT_T0_E_clISt17integral_constantIbLb1EESZ_EEDaSU_SV_EUlSU_E_NS1_11comp_targetILNS1_3genE5ELNS1_11target_archE942ELNS1_3gpuE9ELNS1_3repE0EEENS1_30default_config_static_selectorELNS0_4arch9wavefront6targetE0EEEvT1_
		.amdhsa_group_segment_fixed_size 0
		.amdhsa_private_segment_fixed_size 0
		.amdhsa_kernarg_size 112
		.amdhsa_user_sgpr_count 6
		.amdhsa_user_sgpr_private_segment_buffer 1
		.amdhsa_user_sgpr_dispatch_ptr 0
		.amdhsa_user_sgpr_queue_ptr 0
		.amdhsa_user_sgpr_kernarg_segment_ptr 1
		.amdhsa_user_sgpr_dispatch_id 0
		.amdhsa_user_sgpr_flat_scratch_init 0
		.amdhsa_user_sgpr_private_segment_size 0
		.amdhsa_wavefront_size32 1
		.amdhsa_uses_dynamic_stack 0
		.amdhsa_system_sgpr_private_segment_wavefront_offset 0
		.amdhsa_system_sgpr_workgroup_id_x 1
		.amdhsa_system_sgpr_workgroup_id_y 0
		.amdhsa_system_sgpr_workgroup_id_z 0
		.amdhsa_system_sgpr_workgroup_info 0
		.amdhsa_system_vgpr_workitem_id 0
		.amdhsa_next_free_vgpr 1
		.amdhsa_next_free_sgpr 1
		.amdhsa_reserve_vcc 0
		.amdhsa_reserve_flat_scratch 0
		.amdhsa_float_round_mode_32 0
		.amdhsa_float_round_mode_16_64 0
		.amdhsa_float_denorm_mode_32 3
		.amdhsa_float_denorm_mode_16_64 3
		.amdhsa_dx10_clamp 1
		.amdhsa_ieee_mode 1
		.amdhsa_fp16_overflow 0
		.amdhsa_workgroup_processor_mode 1
		.amdhsa_memory_ordered 1
		.amdhsa_forward_progress 1
		.amdhsa_shared_vgpr_count 0
		.amdhsa_exception_fp_ieee_invalid_op 0
		.amdhsa_exception_fp_denorm_src 0
		.amdhsa_exception_fp_ieee_div_zero 0
		.amdhsa_exception_fp_ieee_overflow 0
		.amdhsa_exception_fp_ieee_underflow 0
		.amdhsa_exception_fp_ieee_inexact 0
		.amdhsa_exception_int_div_zero 0
	.end_amdhsa_kernel
	.section	.text._ZN7rocprim17ROCPRIM_400000_NS6detail17trampoline_kernelINS0_14default_configENS1_27scan_by_key_config_selectorIxiEEZZNS1_16scan_by_key_implILNS1_25lookback_scan_determinismE0ELb1ES3_N6thrust23THRUST_200600_302600_NS6detail15normal_iteratorINS9_10device_ptrIxEEEESE_SE_iNS9_4plusIvEENS9_8equal_toIvEEiEE10hipError_tPvRmT2_T3_T4_T5_mT6_T7_P12ihipStream_tbENKUlT_T0_E_clISt17integral_constantIbLb1EESZ_EEDaSU_SV_EUlSU_E_NS1_11comp_targetILNS1_3genE5ELNS1_11target_archE942ELNS1_3gpuE9ELNS1_3repE0EEENS1_30default_config_static_selectorELNS0_4arch9wavefront6targetE0EEEvT1_,"axG",@progbits,_ZN7rocprim17ROCPRIM_400000_NS6detail17trampoline_kernelINS0_14default_configENS1_27scan_by_key_config_selectorIxiEEZZNS1_16scan_by_key_implILNS1_25lookback_scan_determinismE0ELb1ES3_N6thrust23THRUST_200600_302600_NS6detail15normal_iteratorINS9_10device_ptrIxEEEESE_SE_iNS9_4plusIvEENS9_8equal_toIvEEiEE10hipError_tPvRmT2_T3_T4_T5_mT6_T7_P12ihipStream_tbENKUlT_T0_E_clISt17integral_constantIbLb1EESZ_EEDaSU_SV_EUlSU_E_NS1_11comp_targetILNS1_3genE5ELNS1_11target_archE942ELNS1_3gpuE9ELNS1_3repE0EEENS1_30default_config_static_selectorELNS0_4arch9wavefront6targetE0EEEvT1_,comdat
.Lfunc_end1014:
	.size	_ZN7rocprim17ROCPRIM_400000_NS6detail17trampoline_kernelINS0_14default_configENS1_27scan_by_key_config_selectorIxiEEZZNS1_16scan_by_key_implILNS1_25lookback_scan_determinismE0ELb1ES3_N6thrust23THRUST_200600_302600_NS6detail15normal_iteratorINS9_10device_ptrIxEEEESE_SE_iNS9_4plusIvEENS9_8equal_toIvEEiEE10hipError_tPvRmT2_T3_T4_T5_mT6_T7_P12ihipStream_tbENKUlT_T0_E_clISt17integral_constantIbLb1EESZ_EEDaSU_SV_EUlSU_E_NS1_11comp_targetILNS1_3genE5ELNS1_11target_archE942ELNS1_3gpuE9ELNS1_3repE0EEENS1_30default_config_static_selectorELNS0_4arch9wavefront6targetE0EEEvT1_, .Lfunc_end1014-_ZN7rocprim17ROCPRIM_400000_NS6detail17trampoline_kernelINS0_14default_configENS1_27scan_by_key_config_selectorIxiEEZZNS1_16scan_by_key_implILNS1_25lookback_scan_determinismE0ELb1ES3_N6thrust23THRUST_200600_302600_NS6detail15normal_iteratorINS9_10device_ptrIxEEEESE_SE_iNS9_4plusIvEENS9_8equal_toIvEEiEE10hipError_tPvRmT2_T3_T4_T5_mT6_T7_P12ihipStream_tbENKUlT_T0_E_clISt17integral_constantIbLb1EESZ_EEDaSU_SV_EUlSU_E_NS1_11comp_targetILNS1_3genE5ELNS1_11target_archE942ELNS1_3gpuE9ELNS1_3repE0EEENS1_30default_config_static_selectorELNS0_4arch9wavefront6targetE0EEEvT1_
                                        ; -- End function
	.set _ZN7rocprim17ROCPRIM_400000_NS6detail17trampoline_kernelINS0_14default_configENS1_27scan_by_key_config_selectorIxiEEZZNS1_16scan_by_key_implILNS1_25lookback_scan_determinismE0ELb1ES3_N6thrust23THRUST_200600_302600_NS6detail15normal_iteratorINS9_10device_ptrIxEEEESE_SE_iNS9_4plusIvEENS9_8equal_toIvEEiEE10hipError_tPvRmT2_T3_T4_T5_mT6_T7_P12ihipStream_tbENKUlT_T0_E_clISt17integral_constantIbLb1EESZ_EEDaSU_SV_EUlSU_E_NS1_11comp_targetILNS1_3genE5ELNS1_11target_archE942ELNS1_3gpuE9ELNS1_3repE0EEENS1_30default_config_static_selectorELNS0_4arch9wavefront6targetE0EEEvT1_.num_vgpr, 0
	.set _ZN7rocprim17ROCPRIM_400000_NS6detail17trampoline_kernelINS0_14default_configENS1_27scan_by_key_config_selectorIxiEEZZNS1_16scan_by_key_implILNS1_25lookback_scan_determinismE0ELb1ES3_N6thrust23THRUST_200600_302600_NS6detail15normal_iteratorINS9_10device_ptrIxEEEESE_SE_iNS9_4plusIvEENS9_8equal_toIvEEiEE10hipError_tPvRmT2_T3_T4_T5_mT6_T7_P12ihipStream_tbENKUlT_T0_E_clISt17integral_constantIbLb1EESZ_EEDaSU_SV_EUlSU_E_NS1_11comp_targetILNS1_3genE5ELNS1_11target_archE942ELNS1_3gpuE9ELNS1_3repE0EEENS1_30default_config_static_selectorELNS0_4arch9wavefront6targetE0EEEvT1_.num_agpr, 0
	.set _ZN7rocprim17ROCPRIM_400000_NS6detail17trampoline_kernelINS0_14default_configENS1_27scan_by_key_config_selectorIxiEEZZNS1_16scan_by_key_implILNS1_25lookback_scan_determinismE0ELb1ES3_N6thrust23THRUST_200600_302600_NS6detail15normal_iteratorINS9_10device_ptrIxEEEESE_SE_iNS9_4plusIvEENS9_8equal_toIvEEiEE10hipError_tPvRmT2_T3_T4_T5_mT6_T7_P12ihipStream_tbENKUlT_T0_E_clISt17integral_constantIbLb1EESZ_EEDaSU_SV_EUlSU_E_NS1_11comp_targetILNS1_3genE5ELNS1_11target_archE942ELNS1_3gpuE9ELNS1_3repE0EEENS1_30default_config_static_selectorELNS0_4arch9wavefront6targetE0EEEvT1_.numbered_sgpr, 0
	.set _ZN7rocprim17ROCPRIM_400000_NS6detail17trampoline_kernelINS0_14default_configENS1_27scan_by_key_config_selectorIxiEEZZNS1_16scan_by_key_implILNS1_25lookback_scan_determinismE0ELb1ES3_N6thrust23THRUST_200600_302600_NS6detail15normal_iteratorINS9_10device_ptrIxEEEESE_SE_iNS9_4plusIvEENS9_8equal_toIvEEiEE10hipError_tPvRmT2_T3_T4_T5_mT6_T7_P12ihipStream_tbENKUlT_T0_E_clISt17integral_constantIbLb1EESZ_EEDaSU_SV_EUlSU_E_NS1_11comp_targetILNS1_3genE5ELNS1_11target_archE942ELNS1_3gpuE9ELNS1_3repE0EEENS1_30default_config_static_selectorELNS0_4arch9wavefront6targetE0EEEvT1_.num_named_barrier, 0
	.set _ZN7rocprim17ROCPRIM_400000_NS6detail17trampoline_kernelINS0_14default_configENS1_27scan_by_key_config_selectorIxiEEZZNS1_16scan_by_key_implILNS1_25lookback_scan_determinismE0ELb1ES3_N6thrust23THRUST_200600_302600_NS6detail15normal_iteratorINS9_10device_ptrIxEEEESE_SE_iNS9_4plusIvEENS9_8equal_toIvEEiEE10hipError_tPvRmT2_T3_T4_T5_mT6_T7_P12ihipStream_tbENKUlT_T0_E_clISt17integral_constantIbLb1EESZ_EEDaSU_SV_EUlSU_E_NS1_11comp_targetILNS1_3genE5ELNS1_11target_archE942ELNS1_3gpuE9ELNS1_3repE0EEENS1_30default_config_static_selectorELNS0_4arch9wavefront6targetE0EEEvT1_.private_seg_size, 0
	.set _ZN7rocprim17ROCPRIM_400000_NS6detail17trampoline_kernelINS0_14default_configENS1_27scan_by_key_config_selectorIxiEEZZNS1_16scan_by_key_implILNS1_25lookback_scan_determinismE0ELb1ES3_N6thrust23THRUST_200600_302600_NS6detail15normal_iteratorINS9_10device_ptrIxEEEESE_SE_iNS9_4plusIvEENS9_8equal_toIvEEiEE10hipError_tPvRmT2_T3_T4_T5_mT6_T7_P12ihipStream_tbENKUlT_T0_E_clISt17integral_constantIbLb1EESZ_EEDaSU_SV_EUlSU_E_NS1_11comp_targetILNS1_3genE5ELNS1_11target_archE942ELNS1_3gpuE9ELNS1_3repE0EEENS1_30default_config_static_selectorELNS0_4arch9wavefront6targetE0EEEvT1_.uses_vcc, 0
	.set _ZN7rocprim17ROCPRIM_400000_NS6detail17trampoline_kernelINS0_14default_configENS1_27scan_by_key_config_selectorIxiEEZZNS1_16scan_by_key_implILNS1_25lookback_scan_determinismE0ELb1ES3_N6thrust23THRUST_200600_302600_NS6detail15normal_iteratorINS9_10device_ptrIxEEEESE_SE_iNS9_4plusIvEENS9_8equal_toIvEEiEE10hipError_tPvRmT2_T3_T4_T5_mT6_T7_P12ihipStream_tbENKUlT_T0_E_clISt17integral_constantIbLb1EESZ_EEDaSU_SV_EUlSU_E_NS1_11comp_targetILNS1_3genE5ELNS1_11target_archE942ELNS1_3gpuE9ELNS1_3repE0EEENS1_30default_config_static_selectorELNS0_4arch9wavefront6targetE0EEEvT1_.uses_flat_scratch, 0
	.set _ZN7rocprim17ROCPRIM_400000_NS6detail17trampoline_kernelINS0_14default_configENS1_27scan_by_key_config_selectorIxiEEZZNS1_16scan_by_key_implILNS1_25lookback_scan_determinismE0ELb1ES3_N6thrust23THRUST_200600_302600_NS6detail15normal_iteratorINS9_10device_ptrIxEEEESE_SE_iNS9_4plusIvEENS9_8equal_toIvEEiEE10hipError_tPvRmT2_T3_T4_T5_mT6_T7_P12ihipStream_tbENKUlT_T0_E_clISt17integral_constantIbLb1EESZ_EEDaSU_SV_EUlSU_E_NS1_11comp_targetILNS1_3genE5ELNS1_11target_archE942ELNS1_3gpuE9ELNS1_3repE0EEENS1_30default_config_static_selectorELNS0_4arch9wavefront6targetE0EEEvT1_.has_dyn_sized_stack, 0
	.set _ZN7rocprim17ROCPRIM_400000_NS6detail17trampoline_kernelINS0_14default_configENS1_27scan_by_key_config_selectorIxiEEZZNS1_16scan_by_key_implILNS1_25lookback_scan_determinismE0ELb1ES3_N6thrust23THRUST_200600_302600_NS6detail15normal_iteratorINS9_10device_ptrIxEEEESE_SE_iNS9_4plusIvEENS9_8equal_toIvEEiEE10hipError_tPvRmT2_T3_T4_T5_mT6_T7_P12ihipStream_tbENKUlT_T0_E_clISt17integral_constantIbLb1EESZ_EEDaSU_SV_EUlSU_E_NS1_11comp_targetILNS1_3genE5ELNS1_11target_archE942ELNS1_3gpuE9ELNS1_3repE0EEENS1_30default_config_static_selectorELNS0_4arch9wavefront6targetE0EEEvT1_.has_recursion, 0
	.set _ZN7rocprim17ROCPRIM_400000_NS6detail17trampoline_kernelINS0_14default_configENS1_27scan_by_key_config_selectorIxiEEZZNS1_16scan_by_key_implILNS1_25lookback_scan_determinismE0ELb1ES3_N6thrust23THRUST_200600_302600_NS6detail15normal_iteratorINS9_10device_ptrIxEEEESE_SE_iNS9_4plusIvEENS9_8equal_toIvEEiEE10hipError_tPvRmT2_T3_T4_T5_mT6_T7_P12ihipStream_tbENKUlT_T0_E_clISt17integral_constantIbLb1EESZ_EEDaSU_SV_EUlSU_E_NS1_11comp_targetILNS1_3genE5ELNS1_11target_archE942ELNS1_3gpuE9ELNS1_3repE0EEENS1_30default_config_static_selectorELNS0_4arch9wavefront6targetE0EEEvT1_.has_indirect_call, 0
	.section	.AMDGPU.csdata,"",@progbits
; Kernel info:
; codeLenInByte = 0
; TotalNumSgprs: 0
; NumVgprs: 0
; ScratchSize: 0
; MemoryBound: 0
; FloatMode: 240
; IeeeMode: 1
; LDSByteSize: 0 bytes/workgroup (compile time only)
; SGPRBlocks: 0
; VGPRBlocks: 0
; NumSGPRsForWavesPerEU: 1
; NumVGPRsForWavesPerEU: 1
; Occupancy: 16
; WaveLimiterHint : 0
; COMPUTE_PGM_RSRC2:SCRATCH_EN: 0
; COMPUTE_PGM_RSRC2:USER_SGPR: 6
; COMPUTE_PGM_RSRC2:TRAP_HANDLER: 0
; COMPUTE_PGM_RSRC2:TGID_X_EN: 1
; COMPUTE_PGM_RSRC2:TGID_Y_EN: 0
; COMPUTE_PGM_RSRC2:TGID_Z_EN: 0
; COMPUTE_PGM_RSRC2:TIDIG_COMP_CNT: 0
	.section	.text._ZN7rocprim17ROCPRIM_400000_NS6detail17trampoline_kernelINS0_14default_configENS1_27scan_by_key_config_selectorIxiEEZZNS1_16scan_by_key_implILNS1_25lookback_scan_determinismE0ELb1ES3_N6thrust23THRUST_200600_302600_NS6detail15normal_iteratorINS9_10device_ptrIxEEEESE_SE_iNS9_4plusIvEENS9_8equal_toIvEEiEE10hipError_tPvRmT2_T3_T4_T5_mT6_T7_P12ihipStream_tbENKUlT_T0_E_clISt17integral_constantIbLb1EESZ_EEDaSU_SV_EUlSU_E_NS1_11comp_targetILNS1_3genE4ELNS1_11target_archE910ELNS1_3gpuE8ELNS1_3repE0EEENS1_30default_config_static_selectorELNS0_4arch9wavefront6targetE0EEEvT1_,"axG",@progbits,_ZN7rocprim17ROCPRIM_400000_NS6detail17trampoline_kernelINS0_14default_configENS1_27scan_by_key_config_selectorIxiEEZZNS1_16scan_by_key_implILNS1_25lookback_scan_determinismE0ELb1ES3_N6thrust23THRUST_200600_302600_NS6detail15normal_iteratorINS9_10device_ptrIxEEEESE_SE_iNS9_4plusIvEENS9_8equal_toIvEEiEE10hipError_tPvRmT2_T3_T4_T5_mT6_T7_P12ihipStream_tbENKUlT_T0_E_clISt17integral_constantIbLb1EESZ_EEDaSU_SV_EUlSU_E_NS1_11comp_targetILNS1_3genE4ELNS1_11target_archE910ELNS1_3gpuE8ELNS1_3repE0EEENS1_30default_config_static_selectorELNS0_4arch9wavefront6targetE0EEEvT1_,comdat
	.protected	_ZN7rocprim17ROCPRIM_400000_NS6detail17trampoline_kernelINS0_14default_configENS1_27scan_by_key_config_selectorIxiEEZZNS1_16scan_by_key_implILNS1_25lookback_scan_determinismE0ELb1ES3_N6thrust23THRUST_200600_302600_NS6detail15normal_iteratorINS9_10device_ptrIxEEEESE_SE_iNS9_4plusIvEENS9_8equal_toIvEEiEE10hipError_tPvRmT2_T3_T4_T5_mT6_T7_P12ihipStream_tbENKUlT_T0_E_clISt17integral_constantIbLb1EESZ_EEDaSU_SV_EUlSU_E_NS1_11comp_targetILNS1_3genE4ELNS1_11target_archE910ELNS1_3gpuE8ELNS1_3repE0EEENS1_30default_config_static_selectorELNS0_4arch9wavefront6targetE0EEEvT1_ ; -- Begin function _ZN7rocprim17ROCPRIM_400000_NS6detail17trampoline_kernelINS0_14default_configENS1_27scan_by_key_config_selectorIxiEEZZNS1_16scan_by_key_implILNS1_25lookback_scan_determinismE0ELb1ES3_N6thrust23THRUST_200600_302600_NS6detail15normal_iteratorINS9_10device_ptrIxEEEESE_SE_iNS9_4plusIvEENS9_8equal_toIvEEiEE10hipError_tPvRmT2_T3_T4_T5_mT6_T7_P12ihipStream_tbENKUlT_T0_E_clISt17integral_constantIbLb1EESZ_EEDaSU_SV_EUlSU_E_NS1_11comp_targetILNS1_3genE4ELNS1_11target_archE910ELNS1_3gpuE8ELNS1_3repE0EEENS1_30default_config_static_selectorELNS0_4arch9wavefront6targetE0EEEvT1_
	.globl	_ZN7rocprim17ROCPRIM_400000_NS6detail17trampoline_kernelINS0_14default_configENS1_27scan_by_key_config_selectorIxiEEZZNS1_16scan_by_key_implILNS1_25lookback_scan_determinismE0ELb1ES3_N6thrust23THRUST_200600_302600_NS6detail15normal_iteratorINS9_10device_ptrIxEEEESE_SE_iNS9_4plusIvEENS9_8equal_toIvEEiEE10hipError_tPvRmT2_T3_T4_T5_mT6_T7_P12ihipStream_tbENKUlT_T0_E_clISt17integral_constantIbLb1EESZ_EEDaSU_SV_EUlSU_E_NS1_11comp_targetILNS1_3genE4ELNS1_11target_archE910ELNS1_3gpuE8ELNS1_3repE0EEENS1_30default_config_static_selectorELNS0_4arch9wavefront6targetE0EEEvT1_
	.p2align	8
	.type	_ZN7rocprim17ROCPRIM_400000_NS6detail17trampoline_kernelINS0_14default_configENS1_27scan_by_key_config_selectorIxiEEZZNS1_16scan_by_key_implILNS1_25lookback_scan_determinismE0ELb1ES3_N6thrust23THRUST_200600_302600_NS6detail15normal_iteratorINS9_10device_ptrIxEEEESE_SE_iNS9_4plusIvEENS9_8equal_toIvEEiEE10hipError_tPvRmT2_T3_T4_T5_mT6_T7_P12ihipStream_tbENKUlT_T0_E_clISt17integral_constantIbLb1EESZ_EEDaSU_SV_EUlSU_E_NS1_11comp_targetILNS1_3genE4ELNS1_11target_archE910ELNS1_3gpuE8ELNS1_3repE0EEENS1_30default_config_static_selectorELNS0_4arch9wavefront6targetE0EEEvT1_,@function
_ZN7rocprim17ROCPRIM_400000_NS6detail17trampoline_kernelINS0_14default_configENS1_27scan_by_key_config_selectorIxiEEZZNS1_16scan_by_key_implILNS1_25lookback_scan_determinismE0ELb1ES3_N6thrust23THRUST_200600_302600_NS6detail15normal_iteratorINS9_10device_ptrIxEEEESE_SE_iNS9_4plusIvEENS9_8equal_toIvEEiEE10hipError_tPvRmT2_T3_T4_T5_mT6_T7_P12ihipStream_tbENKUlT_T0_E_clISt17integral_constantIbLb1EESZ_EEDaSU_SV_EUlSU_E_NS1_11comp_targetILNS1_3genE4ELNS1_11target_archE910ELNS1_3gpuE8ELNS1_3repE0EEENS1_30default_config_static_selectorELNS0_4arch9wavefront6targetE0EEEvT1_: ; @_ZN7rocprim17ROCPRIM_400000_NS6detail17trampoline_kernelINS0_14default_configENS1_27scan_by_key_config_selectorIxiEEZZNS1_16scan_by_key_implILNS1_25lookback_scan_determinismE0ELb1ES3_N6thrust23THRUST_200600_302600_NS6detail15normal_iteratorINS9_10device_ptrIxEEEESE_SE_iNS9_4plusIvEENS9_8equal_toIvEEiEE10hipError_tPvRmT2_T3_T4_T5_mT6_T7_P12ihipStream_tbENKUlT_T0_E_clISt17integral_constantIbLb1EESZ_EEDaSU_SV_EUlSU_E_NS1_11comp_targetILNS1_3genE4ELNS1_11target_archE910ELNS1_3gpuE8ELNS1_3repE0EEENS1_30default_config_static_selectorELNS0_4arch9wavefront6targetE0EEEvT1_
; %bb.0:
	.section	.rodata,"a",@progbits
	.p2align	6, 0x0
	.amdhsa_kernel _ZN7rocprim17ROCPRIM_400000_NS6detail17trampoline_kernelINS0_14default_configENS1_27scan_by_key_config_selectorIxiEEZZNS1_16scan_by_key_implILNS1_25lookback_scan_determinismE0ELb1ES3_N6thrust23THRUST_200600_302600_NS6detail15normal_iteratorINS9_10device_ptrIxEEEESE_SE_iNS9_4plusIvEENS9_8equal_toIvEEiEE10hipError_tPvRmT2_T3_T4_T5_mT6_T7_P12ihipStream_tbENKUlT_T0_E_clISt17integral_constantIbLb1EESZ_EEDaSU_SV_EUlSU_E_NS1_11comp_targetILNS1_3genE4ELNS1_11target_archE910ELNS1_3gpuE8ELNS1_3repE0EEENS1_30default_config_static_selectorELNS0_4arch9wavefront6targetE0EEEvT1_
		.amdhsa_group_segment_fixed_size 0
		.amdhsa_private_segment_fixed_size 0
		.amdhsa_kernarg_size 112
		.amdhsa_user_sgpr_count 6
		.amdhsa_user_sgpr_private_segment_buffer 1
		.amdhsa_user_sgpr_dispatch_ptr 0
		.amdhsa_user_sgpr_queue_ptr 0
		.amdhsa_user_sgpr_kernarg_segment_ptr 1
		.amdhsa_user_sgpr_dispatch_id 0
		.amdhsa_user_sgpr_flat_scratch_init 0
		.amdhsa_user_sgpr_private_segment_size 0
		.amdhsa_wavefront_size32 1
		.amdhsa_uses_dynamic_stack 0
		.amdhsa_system_sgpr_private_segment_wavefront_offset 0
		.amdhsa_system_sgpr_workgroup_id_x 1
		.amdhsa_system_sgpr_workgroup_id_y 0
		.amdhsa_system_sgpr_workgroup_id_z 0
		.amdhsa_system_sgpr_workgroup_info 0
		.amdhsa_system_vgpr_workitem_id 0
		.amdhsa_next_free_vgpr 1
		.amdhsa_next_free_sgpr 1
		.amdhsa_reserve_vcc 0
		.amdhsa_reserve_flat_scratch 0
		.amdhsa_float_round_mode_32 0
		.amdhsa_float_round_mode_16_64 0
		.amdhsa_float_denorm_mode_32 3
		.amdhsa_float_denorm_mode_16_64 3
		.amdhsa_dx10_clamp 1
		.amdhsa_ieee_mode 1
		.amdhsa_fp16_overflow 0
		.amdhsa_workgroup_processor_mode 1
		.amdhsa_memory_ordered 1
		.amdhsa_forward_progress 1
		.amdhsa_shared_vgpr_count 0
		.amdhsa_exception_fp_ieee_invalid_op 0
		.amdhsa_exception_fp_denorm_src 0
		.amdhsa_exception_fp_ieee_div_zero 0
		.amdhsa_exception_fp_ieee_overflow 0
		.amdhsa_exception_fp_ieee_underflow 0
		.amdhsa_exception_fp_ieee_inexact 0
		.amdhsa_exception_int_div_zero 0
	.end_amdhsa_kernel
	.section	.text._ZN7rocprim17ROCPRIM_400000_NS6detail17trampoline_kernelINS0_14default_configENS1_27scan_by_key_config_selectorIxiEEZZNS1_16scan_by_key_implILNS1_25lookback_scan_determinismE0ELb1ES3_N6thrust23THRUST_200600_302600_NS6detail15normal_iteratorINS9_10device_ptrIxEEEESE_SE_iNS9_4plusIvEENS9_8equal_toIvEEiEE10hipError_tPvRmT2_T3_T4_T5_mT6_T7_P12ihipStream_tbENKUlT_T0_E_clISt17integral_constantIbLb1EESZ_EEDaSU_SV_EUlSU_E_NS1_11comp_targetILNS1_3genE4ELNS1_11target_archE910ELNS1_3gpuE8ELNS1_3repE0EEENS1_30default_config_static_selectorELNS0_4arch9wavefront6targetE0EEEvT1_,"axG",@progbits,_ZN7rocprim17ROCPRIM_400000_NS6detail17trampoline_kernelINS0_14default_configENS1_27scan_by_key_config_selectorIxiEEZZNS1_16scan_by_key_implILNS1_25lookback_scan_determinismE0ELb1ES3_N6thrust23THRUST_200600_302600_NS6detail15normal_iteratorINS9_10device_ptrIxEEEESE_SE_iNS9_4plusIvEENS9_8equal_toIvEEiEE10hipError_tPvRmT2_T3_T4_T5_mT6_T7_P12ihipStream_tbENKUlT_T0_E_clISt17integral_constantIbLb1EESZ_EEDaSU_SV_EUlSU_E_NS1_11comp_targetILNS1_3genE4ELNS1_11target_archE910ELNS1_3gpuE8ELNS1_3repE0EEENS1_30default_config_static_selectorELNS0_4arch9wavefront6targetE0EEEvT1_,comdat
.Lfunc_end1015:
	.size	_ZN7rocprim17ROCPRIM_400000_NS6detail17trampoline_kernelINS0_14default_configENS1_27scan_by_key_config_selectorIxiEEZZNS1_16scan_by_key_implILNS1_25lookback_scan_determinismE0ELb1ES3_N6thrust23THRUST_200600_302600_NS6detail15normal_iteratorINS9_10device_ptrIxEEEESE_SE_iNS9_4plusIvEENS9_8equal_toIvEEiEE10hipError_tPvRmT2_T3_T4_T5_mT6_T7_P12ihipStream_tbENKUlT_T0_E_clISt17integral_constantIbLb1EESZ_EEDaSU_SV_EUlSU_E_NS1_11comp_targetILNS1_3genE4ELNS1_11target_archE910ELNS1_3gpuE8ELNS1_3repE0EEENS1_30default_config_static_selectorELNS0_4arch9wavefront6targetE0EEEvT1_, .Lfunc_end1015-_ZN7rocprim17ROCPRIM_400000_NS6detail17trampoline_kernelINS0_14default_configENS1_27scan_by_key_config_selectorIxiEEZZNS1_16scan_by_key_implILNS1_25lookback_scan_determinismE0ELb1ES3_N6thrust23THRUST_200600_302600_NS6detail15normal_iteratorINS9_10device_ptrIxEEEESE_SE_iNS9_4plusIvEENS9_8equal_toIvEEiEE10hipError_tPvRmT2_T3_T4_T5_mT6_T7_P12ihipStream_tbENKUlT_T0_E_clISt17integral_constantIbLb1EESZ_EEDaSU_SV_EUlSU_E_NS1_11comp_targetILNS1_3genE4ELNS1_11target_archE910ELNS1_3gpuE8ELNS1_3repE0EEENS1_30default_config_static_selectorELNS0_4arch9wavefront6targetE0EEEvT1_
                                        ; -- End function
	.set _ZN7rocprim17ROCPRIM_400000_NS6detail17trampoline_kernelINS0_14default_configENS1_27scan_by_key_config_selectorIxiEEZZNS1_16scan_by_key_implILNS1_25lookback_scan_determinismE0ELb1ES3_N6thrust23THRUST_200600_302600_NS6detail15normal_iteratorINS9_10device_ptrIxEEEESE_SE_iNS9_4plusIvEENS9_8equal_toIvEEiEE10hipError_tPvRmT2_T3_T4_T5_mT6_T7_P12ihipStream_tbENKUlT_T0_E_clISt17integral_constantIbLb1EESZ_EEDaSU_SV_EUlSU_E_NS1_11comp_targetILNS1_3genE4ELNS1_11target_archE910ELNS1_3gpuE8ELNS1_3repE0EEENS1_30default_config_static_selectorELNS0_4arch9wavefront6targetE0EEEvT1_.num_vgpr, 0
	.set _ZN7rocprim17ROCPRIM_400000_NS6detail17trampoline_kernelINS0_14default_configENS1_27scan_by_key_config_selectorIxiEEZZNS1_16scan_by_key_implILNS1_25lookback_scan_determinismE0ELb1ES3_N6thrust23THRUST_200600_302600_NS6detail15normal_iteratorINS9_10device_ptrIxEEEESE_SE_iNS9_4plusIvEENS9_8equal_toIvEEiEE10hipError_tPvRmT2_T3_T4_T5_mT6_T7_P12ihipStream_tbENKUlT_T0_E_clISt17integral_constantIbLb1EESZ_EEDaSU_SV_EUlSU_E_NS1_11comp_targetILNS1_3genE4ELNS1_11target_archE910ELNS1_3gpuE8ELNS1_3repE0EEENS1_30default_config_static_selectorELNS0_4arch9wavefront6targetE0EEEvT1_.num_agpr, 0
	.set _ZN7rocprim17ROCPRIM_400000_NS6detail17trampoline_kernelINS0_14default_configENS1_27scan_by_key_config_selectorIxiEEZZNS1_16scan_by_key_implILNS1_25lookback_scan_determinismE0ELb1ES3_N6thrust23THRUST_200600_302600_NS6detail15normal_iteratorINS9_10device_ptrIxEEEESE_SE_iNS9_4plusIvEENS9_8equal_toIvEEiEE10hipError_tPvRmT2_T3_T4_T5_mT6_T7_P12ihipStream_tbENKUlT_T0_E_clISt17integral_constantIbLb1EESZ_EEDaSU_SV_EUlSU_E_NS1_11comp_targetILNS1_3genE4ELNS1_11target_archE910ELNS1_3gpuE8ELNS1_3repE0EEENS1_30default_config_static_selectorELNS0_4arch9wavefront6targetE0EEEvT1_.numbered_sgpr, 0
	.set _ZN7rocprim17ROCPRIM_400000_NS6detail17trampoline_kernelINS0_14default_configENS1_27scan_by_key_config_selectorIxiEEZZNS1_16scan_by_key_implILNS1_25lookback_scan_determinismE0ELb1ES3_N6thrust23THRUST_200600_302600_NS6detail15normal_iteratorINS9_10device_ptrIxEEEESE_SE_iNS9_4plusIvEENS9_8equal_toIvEEiEE10hipError_tPvRmT2_T3_T4_T5_mT6_T7_P12ihipStream_tbENKUlT_T0_E_clISt17integral_constantIbLb1EESZ_EEDaSU_SV_EUlSU_E_NS1_11comp_targetILNS1_3genE4ELNS1_11target_archE910ELNS1_3gpuE8ELNS1_3repE0EEENS1_30default_config_static_selectorELNS0_4arch9wavefront6targetE0EEEvT1_.num_named_barrier, 0
	.set _ZN7rocprim17ROCPRIM_400000_NS6detail17trampoline_kernelINS0_14default_configENS1_27scan_by_key_config_selectorIxiEEZZNS1_16scan_by_key_implILNS1_25lookback_scan_determinismE0ELb1ES3_N6thrust23THRUST_200600_302600_NS6detail15normal_iteratorINS9_10device_ptrIxEEEESE_SE_iNS9_4plusIvEENS9_8equal_toIvEEiEE10hipError_tPvRmT2_T3_T4_T5_mT6_T7_P12ihipStream_tbENKUlT_T0_E_clISt17integral_constantIbLb1EESZ_EEDaSU_SV_EUlSU_E_NS1_11comp_targetILNS1_3genE4ELNS1_11target_archE910ELNS1_3gpuE8ELNS1_3repE0EEENS1_30default_config_static_selectorELNS0_4arch9wavefront6targetE0EEEvT1_.private_seg_size, 0
	.set _ZN7rocprim17ROCPRIM_400000_NS6detail17trampoline_kernelINS0_14default_configENS1_27scan_by_key_config_selectorIxiEEZZNS1_16scan_by_key_implILNS1_25lookback_scan_determinismE0ELb1ES3_N6thrust23THRUST_200600_302600_NS6detail15normal_iteratorINS9_10device_ptrIxEEEESE_SE_iNS9_4plusIvEENS9_8equal_toIvEEiEE10hipError_tPvRmT2_T3_T4_T5_mT6_T7_P12ihipStream_tbENKUlT_T0_E_clISt17integral_constantIbLb1EESZ_EEDaSU_SV_EUlSU_E_NS1_11comp_targetILNS1_3genE4ELNS1_11target_archE910ELNS1_3gpuE8ELNS1_3repE0EEENS1_30default_config_static_selectorELNS0_4arch9wavefront6targetE0EEEvT1_.uses_vcc, 0
	.set _ZN7rocprim17ROCPRIM_400000_NS6detail17trampoline_kernelINS0_14default_configENS1_27scan_by_key_config_selectorIxiEEZZNS1_16scan_by_key_implILNS1_25lookback_scan_determinismE0ELb1ES3_N6thrust23THRUST_200600_302600_NS6detail15normal_iteratorINS9_10device_ptrIxEEEESE_SE_iNS9_4plusIvEENS9_8equal_toIvEEiEE10hipError_tPvRmT2_T3_T4_T5_mT6_T7_P12ihipStream_tbENKUlT_T0_E_clISt17integral_constantIbLb1EESZ_EEDaSU_SV_EUlSU_E_NS1_11comp_targetILNS1_3genE4ELNS1_11target_archE910ELNS1_3gpuE8ELNS1_3repE0EEENS1_30default_config_static_selectorELNS0_4arch9wavefront6targetE0EEEvT1_.uses_flat_scratch, 0
	.set _ZN7rocprim17ROCPRIM_400000_NS6detail17trampoline_kernelINS0_14default_configENS1_27scan_by_key_config_selectorIxiEEZZNS1_16scan_by_key_implILNS1_25lookback_scan_determinismE0ELb1ES3_N6thrust23THRUST_200600_302600_NS6detail15normal_iteratorINS9_10device_ptrIxEEEESE_SE_iNS9_4plusIvEENS9_8equal_toIvEEiEE10hipError_tPvRmT2_T3_T4_T5_mT6_T7_P12ihipStream_tbENKUlT_T0_E_clISt17integral_constantIbLb1EESZ_EEDaSU_SV_EUlSU_E_NS1_11comp_targetILNS1_3genE4ELNS1_11target_archE910ELNS1_3gpuE8ELNS1_3repE0EEENS1_30default_config_static_selectorELNS0_4arch9wavefront6targetE0EEEvT1_.has_dyn_sized_stack, 0
	.set _ZN7rocprim17ROCPRIM_400000_NS6detail17trampoline_kernelINS0_14default_configENS1_27scan_by_key_config_selectorIxiEEZZNS1_16scan_by_key_implILNS1_25lookback_scan_determinismE0ELb1ES3_N6thrust23THRUST_200600_302600_NS6detail15normal_iteratorINS9_10device_ptrIxEEEESE_SE_iNS9_4plusIvEENS9_8equal_toIvEEiEE10hipError_tPvRmT2_T3_T4_T5_mT6_T7_P12ihipStream_tbENKUlT_T0_E_clISt17integral_constantIbLb1EESZ_EEDaSU_SV_EUlSU_E_NS1_11comp_targetILNS1_3genE4ELNS1_11target_archE910ELNS1_3gpuE8ELNS1_3repE0EEENS1_30default_config_static_selectorELNS0_4arch9wavefront6targetE0EEEvT1_.has_recursion, 0
	.set _ZN7rocprim17ROCPRIM_400000_NS6detail17trampoline_kernelINS0_14default_configENS1_27scan_by_key_config_selectorIxiEEZZNS1_16scan_by_key_implILNS1_25lookback_scan_determinismE0ELb1ES3_N6thrust23THRUST_200600_302600_NS6detail15normal_iteratorINS9_10device_ptrIxEEEESE_SE_iNS9_4plusIvEENS9_8equal_toIvEEiEE10hipError_tPvRmT2_T3_T4_T5_mT6_T7_P12ihipStream_tbENKUlT_T0_E_clISt17integral_constantIbLb1EESZ_EEDaSU_SV_EUlSU_E_NS1_11comp_targetILNS1_3genE4ELNS1_11target_archE910ELNS1_3gpuE8ELNS1_3repE0EEENS1_30default_config_static_selectorELNS0_4arch9wavefront6targetE0EEEvT1_.has_indirect_call, 0
	.section	.AMDGPU.csdata,"",@progbits
; Kernel info:
; codeLenInByte = 0
; TotalNumSgprs: 0
; NumVgprs: 0
; ScratchSize: 0
; MemoryBound: 0
; FloatMode: 240
; IeeeMode: 1
; LDSByteSize: 0 bytes/workgroup (compile time only)
; SGPRBlocks: 0
; VGPRBlocks: 0
; NumSGPRsForWavesPerEU: 1
; NumVGPRsForWavesPerEU: 1
; Occupancy: 16
; WaveLimiterHint : 0
; COMPUTE_PGM_RSRC2:SCRATCH_EN: 0
; COMPUTE_PGM_RSRC2:USER_SGPR: 6
; COMPUTE_PGM_RSRC2:TRAP_HANDLER: 0
; COMPUTE_PGM_RSRC2:TGID_X_EN: 1
; COMPUTE_PGM_RSRC2:TGID_Y_EN: 0
; COMPUTE_PGM_RSRC2:TGID_Z_EN: 0
; COMPUTE_PGM_RSRC2:TIDIG_COMP_CNT: 0
	.section	.text._ZN7rocprim17ROCPRIM_400000_NS6detail17trampoline_kernelINS0_14default_configENS1_27scan_by_key_config_selectorIxiEEZZNS1_16scan_by_key_implILNS1_25lookback_scan_determinismE0ELb1ES3_N6thrust23THRUST_200600_302600_NS6detail15normal_iteratorINS9_10device_ptrIxEEEESE_SE_iNS9_4plusIvEENS9_8equal_toIvEEiEE10hipError_tPvRmT2_T3_T4_T5_mT6_T7_P12ihipStream_tbENKUlT_T0_E_clISt17integral_constantIbLb1EESZ_EEDaSU_SV_EUlSU_E_NS1_11comp_targetILNS1_3genE3ELNS1_11target_archE908ELNS1_3gpuE7ELNS1_3repE0EEENS1_30default_config_static_selectorELNS0_4arch9wavefront6targetE0EEEvT1_,"axG",@progbits,_ZN7rocprim17ROCPRIM_400000_NS6detail17trampoline_kernelINS0_14default_configENS1_27scan_by_key_config_selectorIxiEEZZNS1_16scan_by_key_implILNS1_25lookback_scan_determinismE0ELb1ES3_N6thrust23THRUST_200600_302600_NS6detail15normal_iteratorINS9_10device_ptrIxEEEESE_SE_iNS9_4plusIvEENS9_8equal_toIvEEiEE10hipError_tPvRmT2_T3_T4_T5_mT6_T7_P12ihipStream_tbENKUlT_T0_E_clISt17integral_constantIbLb1EESZ_EEDaSU_SV_EUlSU_E_NS1_11comp_targetILNS1_3genE3ELNS1_11target_archE908ELNS1_3gpuE7ELNS1_3repE0EEENS1_30default_config_static_selectorELNS0_4arch9wavefront6targetE0EEEvT1_,comdat
	.protected	_ZN7rocprim17ROCPRIM_400000_NS6detail17trampoline_kernelINS0_14default_configENS1_27scan_by_key_config_selectorIxiEEZZNS1_16scan_by_key_implILNS1_25lookback_scan_determinismE0ELb1ES3_N6thrust23THRUST_200600_302600_NS6detail15normal_iteratorINS9_10device_ptrIxEEEESE_SE_iNS9_4plusIvEENS9_8equal_toIvEEiEE10hipError_tPvRmT2_T3_T4_T5_mT6_T7_P12ihipStream_tbENKUlT_T0_E_clISt17integral_constantIbLb1EESZ_EEDaSU_SV_EUlSU_E_NS1_11comp_targetILNS1_3genE3ELNS1_11target_archE908ELNS1_3gpuE7ELNS1_3repE0EEENS1_30default_config_static_selectorELNS0_4arch9wavefront6targetE0EEEvT1_ ; -- Begin function _ZN7rocprim17ROCPRIM_400000_NS6detail17trampoline_kernelINS0_14default_configENS1_27scan_by_key_config_selectorIxiEEZZNS1_16scan_by_key_implILNS1_25lookback_scan_determinismE0ELb1ES3_N6thrust23THRUST_200600_302600_NS6detail15normal_iteratorINS9_10device_ptrIxEEEESE_SE_iNS9_4plusIvEENS9_8equal_toIvEEiEE10hipError_tPvRmT2_T3_T4_T5_mT6_T7_P12ihipStream_tbENKUlT_T0_E_clISt17integral_constantIbLb1EESZ_EEDaSU_SV_EUlSU_E_NS1_11comp_targetILNS1_3genE3ELNS1_11target_archE908ELNS1_3gpuE7ELNS1_3repE0EEENS1_30default_config_static_selectorELNS0_4arch9wavefront6targetE0EEEvT1_
	.globl	_ZN7rocprim17ROCPRIM_400000_NS6detail17trampoline_kernelINS0_14default_configENS1_27scan_by_key_config_selectorIxiEEZZNS1_16scan_by_key_implILNS1_25lookback_scan_determinismE0ELb1ES3_N6thrust23THRUST_200600_302600_NS6detail15normal_iteratorINS9_10device_ptrIxEEEESE_SE_iNS9_4plusIvEENS9_8equal_toIvEEiEE10hipError_tPvRmT2_T3_T4_T5_mT6_T7_P12ihipStream_tbENKUlT_T0_E_clISt17integral_constantIbLb1EESZ_EEDaSU_SV_EUlSU_E_NS1_11comp_targetILNS1_3genE3ELNS1_11target_archE908ELNS1_3gpuE7ELNS1_3repE0EEENS1_30default_config_static_selectorELNS0_4arch9wavefront6targetE0EEEvT1_
	.p2align	8
	.type	_ZN7rocprim17ROCPRIM_400000_NS6detail17trampoline_kernelINS0_14default_configENS1_27scan_by_key_config_selectorIxiEEZZNS1_16scan_by_key_implILNS1_25lookback_scan_determinismE0ELb1ES3_N6thrust23THRUST_200600_302600_NS6detail15normal_iteratorINS9_10device_ptrIxEEEESE_SE_iNS9_4plusIvEENS9_8equal_toIvEEiEE10hipError_tPvRmT2_T3_T4_T5_mT6_T7_P12ihipStream_tbENKUlT_T0_E_clISt17integral_constantIbLb1EESZ_EEDaSU_SV_EUlSU_E_NS1_11comp_targetILNS1_3genE3ELNS1_11target_archE908ELNS1_3gpuE7ELNS1_3repE0EEENS1_30default_config_static_selectorELNS0_4arch9wavefront6targetE0EEEvT1_,@function
_ZN7rocprim17ROCPRIM_400000_NS6detail17trampoline_kernelINS0_14default_configENS1_27scan_by_key_config_selectorIxiEEZZNS1_16scan_by_key_implILNS1_25lookback_scan_determinismE0ELb1ES3_N6thrust23THRUST_200600_302600_NS6detail15normal_iteratorINS9_10device_ptrIxEEEESE_SE_iNS9_4plusIvEENS9_8equal_toIvEEiEE10hipError_tPvRmT2_T3_T4_T5_mT6_T7_P12ihipStream_tbENKUlT_T0_E_clISt17integral_constantIbLb1EESZ_EEDaSU_SV_EUlSU_E_NS1_11comp_targetILNS1_3genE3ELNS1_11target_archE908ELNS1_3gpuE7ELNS1_3repE0EEENS1_30default_config_static_selectorELNS0_4arch9wavefront6targetE0EEEvT1_: ; @_ZN7rocprim17ROCPRIM_400000_NS6detail17trampoline_kernelINS0_14default_configENS1_27scan_by_key_config_selectorIxiEEZZNS1_16scan_by_key_implILNS1_25lookback_scan_determinismE0ELb1ES3_N6thrust23THRUST_200600_302600_NS6detail15normal_iteratorINS9_10device_ptrIxEEEESE_SE_iNS9_4plusIvEENS9_8equal_toIvEEiEE10hipError_tPvRmT2_T3_T4_T5_mT6_T7_P12ihipStream_tbENKUlT_T0_E_clISt17integral_constantIbLb1EESZ_EEDaSU_SV_EUlSU_E_NS1_11comp_targetILNS1_3genE3ELNS1_11target_archE908ELNS1_3gpuE7ELNS1_3repE0EEENS1_30default_config_static_selectorELNS0_4arch9wavefront6targetE0EEEvT1_
; %bb.0:
	.section	.rodata,"a",@progbits
	.p2align	6, 0x0
	.amdhsa_kernel _ZN7rocprim17ROCPRIM_400000_NS6detail17trampoline_kernelINS0_14default_configENS1_27scan_by_key_config_selectorIxiEEZZNS1_16scan_by_key_implILNS1_25lookback_scan_determinismE0ELb1ES3_N6thrust23THRUST_200600_302600_NS6detail15normal_iteratorINS9_10device_ptrIxEEEESE_SE_iNS9_4plusIvEENS9_8equal_toIvEEiEE10hipError_tPvRmT2_T3_T4_T5_mT6_T7_P12ihipStream_tbENKUlT_T0_E_clISt17integral_constantIbLb1EESZ_EEDaSU_SV_EUlSU_E_NS1_11comp_targetILNS1_3genE3ELNS1_11target_archE908ELNS1_3gpuE7ELNS1_3repE0EEENS1_30default_config_static_selectorELNS0_4arch9wavefront6targetE0EEEvT1_
		.amdhsa_group_segment_fixed_size 0
		.amdhsa_private_segment_fixed_size 0
		.amdhsa_kernarg_size 112
		.amdhsa_user_sgpr_count 6
		.amdhsa_user_sgpr_private_segment_buffer 1
		.amdhsa_user_sgpr_dispatch_ptr 0
		.amdhsa_user_sgpr_queue_ptr 0
		.amdhsa_user_sgpr_kernarg_segment_ptr 1
		.amdhsa_user_sgpr_dispatch_id 0
		.amdhsa_user_sgpr_flat_scratch_init 0
		.amdhsa_user_sgpr_private_segment_size 0
		.amdhsa_wavefront_size32 1
		.amdhsa_uses_dynamic_stack 0
		.amdhsa_system_sgpr_private_segment_wavefront_offset 0
		.amdhsa_system_sgpr_workgroup_id_x 1
		.amdhsa_system_sgpr_workgroup_id_y 0
		.amdhsa_system_sgpr_workgroup_id_z 0
		.amdhsa_system_sgpr_workgroup_info 0
		.amdhsa_system_vgpr_workitem_id 0
		.amdhsa_next_free_vgpr 1
		.amdhsa_next_free_sgpr 1
		.amdhsa_reserve_vcc 0
		.amdhsa_reserve_flat_scratch 0
		.amdhsa_float_round_mode_32 0
		.amdhsa_float_round_mode_16_64 0
		.amdhsa_float_denorm_mode_32 3
		.amdhsa_float_denorm_mode_16_64 3
		.amdhsa_dx10_clamp 1
		.amdhsa_ieee_mode 1
		.amdhsa_fp16_overflow 0
		.amdhsa_workgroup_processor_mode 1
		.amdhsa_memory_ordered 1
		.amdhsa_forward_progress 1
		.amdhsa_shared_vgpr_count 0
		.amdhsa_exception_fp_ieee_invalid_op 0
		.amdhsa_exception_fp_denorm_src 0
		.amdhsa_exception_fp_ieee_div_zero 0
		.amdhsa_exception_fp_ieee_overflow 0
		.amdhsa_exception_fp_ieee_underflow 0
		.amdhsa_exception_fp_ieee_inexact 0
		.amdhsa_exception_int_div_zero 0
	.end_amdhsa_kernel
	.section	.text._ZN7rocprim17ROCPRIM_400000_NS6detail17trampoline_kernelINS0_14default_configENS1_27scan_by_key_config_selectorIxiEEZZNS1_16scan_by_key_implILNS1_25lookback_scan_determinismE0ELb1ES3_N6thrust23THRUST_200600_302600_NS6detail15normal_iteratorINS9_10device_ptrIxEEEESE_SE_iNS9_4plusIvEENS9_8equal_toIvEEiEE10hipError_tPvRmT2_T3_T4_T5_mT6_T7_P12ihipStream_tbENKUlT_T0_E_clISt17integral_constantIbLb1EESZ_EEDaSU_SV_EUlSU_E_NS1_11comp_targetILNS1_3genE3ELNS1_11target_archE908ELNS1_3gpuE7ELNS1_3repE0EEENS1_30default_config_static_selectorELNS0_4arch9wavefront6targetE0EEEvT1_,"axG",@progbits,_ZN7rocprim17ROCPRIM_400000_NS6detail17trampoline_kernelINS0_14default_configENS1_27scan_by_key_config_selectorIxiEEZZNS1_16scan_by_key_implILNS1_25lookback_scan_determinismE0ELb1ES3_N6thrust23THRUST_200600_302600_NS6detail15normal_iteratorINS9_10device_ptrIxEEEESE_SE_iNS9_4plusIvEENS9_8equal_toIvEEiEE10hipError_tPvRmT2_T3_T4_T5_mT6_T7_P12ihipStream_tbENKUlT_T0_E_clISt17integral_constantIbLb1EESZ_EEDaSU_SV_EUlSU_E_NS1_11comp_targetILNS1_3genE3ELNS1_11target_archE908ELNS1_3gpuE7ELNS1_3repE0EEENS1_30default_config_static_selectorELNS0_4arch9wavefront6targetE0EEEvT1_,comdat
.Lfunc_end1016:
	.size	_ZN7rocprim17ROCPRIM_400000_NS6detail17trampoline_kernelINS0_14default_configENS1_27scan_by_key_config_selectorIxiEEZZNS1_16scan_by_key_implILNS1_25lookback_scan_determinismE0ELb1ES3_N6thrust23THRUST_200600_302600_NS6detail15normal_iteratorINS9_10device_ptrIxEEEESE_SE_iNS9_4plusIvEENS9_8equal_toIvEEiEE10hipError_tPvRmT2_T3_T4_T5_mT6_T7_P12ihipStream_tbENKUlT_T0_E_clISt17integral_constantIbLb1EESZ_EEDaSU_SV_EUlSU_E_NS1_11comp_targetILNS1_3genE3ELNS1_11target_archE908ELNS1_3gpuE7ELNS1_3repE0EEENS1_30default_config_static_selectorELNS0_4arch9wavefront6targetE0EEEvT1_, .Lfunc_end1016-_ZN7rocprim17ROCPRIM_400000_NS6detail17trampoline_kernelINS0_14default_configENS1_27scan_by_key_config_selectorIxiEEZZNS1_16scan_by_key_implILNS1_25lookback_scan_determinismE0ELb1ES3_N6thrust23THRUST_200600_302600_NS6detail15normal_iteratorINS9_10device_ptrIxEEEESE_SE_iNS9_4plusIvEENS9_8equal_toIvEEiEE10hipError_tPvRmT2_T3_T4_T5_mT6_T7_P12ihipStream_tbENKUlT_T0_E_clISt17integral_constantIbLb1EESZ_EEDaSU_SV_EUlSU_E_NS1_11comp_targetILNS1_3genE3ELNS1_11target_archE908ELNS1_3gpuE7ELNS1_3repE0EEENS1_30default_config_static_selectorELNS0_4arch9wavefront6targetE0EEEvT1_
                                        ; -- End function
	.set _ZN7rocprim17ROCPRIM_400000_NS6detail17trampoline_kernelINS0_14default_configENS1_27scan_by_key_config_selectorIxiEEZZNS1_16scan_by_key_implILNS1_25lookback_scan_determinismE0ELb1ES3_N6thrust23THRUST_200600_302600_NS6detail15normal_iteratorINS9_10device_ptrIxEEEESE_SE_iNS9_4plusIvEENS9_8equal_toIvEEiEE10hipError_tPvRmT2_T3_T4_T5_mT6_T7_P12ihipStream_tbENKUlT_T0_E_clISt17integral_constantIbLb1EESZ_EEDaSU_SV_EUlSU_E_NS1_11comp_targetILNS1_3genE3ELNS1_11target_archE908ELNS1_3gpuE7ELNS1_3repE0EEENS1_30default_config_static_selectorELNS0_4arch9wavefront6targetE0EEEvT1_.num_vgpr, 0
	.set _ZN7rocprim17ROCPRIM_400000_NS6detail17trampoline_kernelINS0_14default_configENS1_27scan_by_key_config_selectorIxiEEZZNS1_16scan_by_key_implILNS1_25lookback_scan_determinismE0ELb1ES3_N6thrust23THRUST_200600_302600_NS6detail15normal_iteratorINS9_10device_ptrIxEEEESE_SE_iNS9_4plusIvEENS9_8equal_toIvEEiEE10hipError_tPvRmT2_T3_T4_T5_mT6_T7_P12ihipStream_tbENKUlT_T0_E_clISt17integral_constantIbLb1EESZ_EEDaSU_SV_EUlSU_E_NS1_11comp_targetILNS1_3genE3ELNS1_11target_archE908ELNS1_3gpuE7ELNS1_3repE0EEENS1_30default_config_static_selectorELNS0_4arch9wavefront6targetE0EEEvT1_.num_agpr, 0
	.set _ZN7rocprim17ROCPRIM_400000_NS6detail17trampoline_kernelINS0_14default_configENS1_27scan_by_key_config_selectorIxiEEZZNS1_16scan_by_key_implILNS1_25lookback_scan_determinismE0ELb1ES3_N6thrust23THRUST_200600_302600_NS6detail15normal_iteratorINS9_10device_ptrIxEEEESE_SE_iNS9_4plusIvEENS9_8equal_toIvEEiEE10hipError_tPvRmT2_T3_T4_T5_mT6_T7_P12ihipStream_tbENKUlT_T0_E_clISt17integral_constantIbLb1EESZ_EEDaSU_SV_EUlSU_E_NS1_11comp_targetILNS1_3genE3ELNS1_11target_archE908ELNS1_3gpuE7ELNS1_3repE0EEENS1_30default_config_static_selectorELNS0_4arch9wavefront6targetE0EEEvT1_.numbered_sgpr, 0
	.set _ZN7rocprim17ROCPRIM_400000_NS6detail17trampoline_kernelINS0_14default_configENS1_27scan_by_key_config_selectorIxiEEZZNS1_16scan_by_key_implILNS1_25lookback_scan_determinismE0ELb1ES3_N6thrust23THRUST_200600_302600_NS6detail15normal_iteratorINS9_10device_ptrIxEEEESE_SE_iNS9_4plusIvEENS9_8equal_toIvEEiEE10hipError_tPvRmT2_T3_T4_T5_mT6_T7_P12ihipStream_tbENKUlT_T0_E_clISt17integral_constantIbLb1EESZ_EEDaSU_SV_EUlSU_E_NS1_11comp_targetILNS1_3genE3ELNS1_11target_archE908ELNS1_3gpuE7ELNS1_3repE0EEENS1_30default_config_static_selectorELNS0_4arch9wavefront6targetE0EEEvT1_.num_named_barrier, 0
	.set _ZN7rocprim17ROCPRIM_400000_NS6detail17trampoline_kernelINS0_14default_configENS1_27scan_by_key_config_selectorIxiEEZZNS1_16scan_by_key_implILNS1_25lookback_scan_determinismE0ELb1ES3_N6thrust23THRUST_200600_302600_NS6detail15normal_iteratorINS9_10device_ptrIxEEEESE_SE_iNS9_4plusIvEENS9_8equal_toIvEEiEE10hipError_tPvRmT2_T3_T4_T5_mT6_T7_P12ihipStream_tbENKUlT_T0_E_clISt17integral_constantIbLb1EESZ_EEDaSU_SV_EUlSU_E_NS1_11comp_targetILNS1_3genE3ELNS1_11target_archE908ELNS1_3gpuE7ELNS1_3repE0EEENS1_30default_config_static_selectorELNS0_4arch9wavefront6targetE0EEEvT1_.private_seg_size, 0
	.set _ZN7rocprim17ROCPRIM_400000_NS6detail17trampoline_kernelINS0_14default_configENS1_27scan_by_key_config_selectorIxiEEZZNS1_16scan_by_key_implILNS1_25lookback_scan_determinismE0ELb1ES3_N6thrust23THRUST_200600_302600_NS6detail15normal_iteratorINS9_10device_ptrIxEEEESE_SE_iNS9_4plusIvEENS9_8equal_toIvEEiEE10hipError_tPvRmT2_T3_T4_T5_mT6_T7_P12ihipStream_tbENKUlT_T0_E_clISt17integral_constantIbLb1EESZ_EEDaSU_SV_EUlSU_E_NS1_11comp_targetILNS1_3genE3ELNS1_11target_archE908ELNS1_3gpuE7ELNS1_3repE0EEENS1_30default_config_static_selectorELNS0_4arch9wavefront6targetE0EEEvT1_.uses_vcc, 0
	.set _ZN7rocprim17ROCPRIM_400000_NS6detail17trampoline_kernelINS0_14default_configENS1_27scan_by_key_config_selectorIxiEEZZNS1_16scan_by_key_implILNS1_25lookback_scan_determinismE0ELb1ES3_N6thrust23THRUST_200600_302600_NS6detail15normal_iteratorINS9_10device_ptrIxEEEESE_SE_iNS9_4plusIvEENS9_8equal_toIvEEiEE10hipError_tPvRmT2_T3_T4_T5_mT6_T7_P12ihipStream_tbENKUlT_T0_E_clISt17integral_constantIbLb1EESZ_EEDaSU_SV_EUlSU_E_NS1_11comp_targetILNS1_3genE3ELNS1_11target_archE908ELNS1_3gpuE7ELNS1_3repE0EEENS1_30default_config_static_selectorELNS0_4arch9wavefront6targetE0EEEvT1_.uses_flat_scratch, 0
	.set _ZN7rocprim17ROCPRIM_400000_NS6detail17trampoline_kernelINS0_14default_configENS1_27scan_by_key_config_selectorIxiEEZZNS1_16scan_by_key_implILNS1_25lookback_scan_determinismE0ELb1ES3_N6thrust23THRUST_200600_302600_NS6detail15normal_iteratorINS9_10device_ptrIxEEEESE_SE_iNS9_4plusIvEENS9_8equal_toIvEEiEE10hipError_tPvRmT2_T3_T4_T5_mT6_T7_P12ihipStream_tbENKUlT_T0_E_clISt17integral_constantIbLb1EESZ_EEDaSU_SV_EUlSU_E_NS1_11comp_targetILNS1_3genE3ELNS1_11target_archE908ELNS1_3gpuE7ELNS1_3repE0EEENS1_30default_config_static_selectorELNS0_4arch9wavefront6targetE0EEEvT1_.has_dyn_sized_stack, 0
	.set _ZN7rocprim17ROCPRIM_400000_NS6detail17trampoline_kernelINS0_14default_configENS1_27scan_by_key_config_selectorIxiEEZZNS1_16scan_by_key_implILNS1_25lookback_scan_determinismE0ELb1ES3_N6thrust23THRUST_200600_302600_NS6detail15normal_iteratorINS9_10device_ptrIxEEEESE_SE_iNS9_4plusIvEENS9_8equal_toIvEEiEE10hipError_tPvRmT2_T3_T4_T5_mT6_T7_P12ihipStream_tbENKUlT_T0_E_clISt17integral_constantIbLb1EESZ_EEDaSU_SV_EUlSU_E_NS1_11comp_targetILNS1_3genE3ELNS1_11target_archE908ELNS1_3gpuE7ELNS1_3repE0EEENS1_30default_config_static_selectorELNS0_4arch9wavefront6targetE0EEEvT1_.has_recursion, 0
	.set _ZN7rocprim17ROCPRIM_400000_NS6detail17trampoline_kernelINS0_14default_configENS1_27scan_by_key_config_selectorIxiEEZZNS1_16scan_by_key_implILNS1_25lookback_scan_determinismE0ELb1ES3_N6thrust23THRUST_200600_302600_NS6detail15normal_iteratorINS9_10device_ptrIxEEEESE_SE_iNS9_4plusIvEENS9_8equal_toIvEEiEE10hipError_tPvRmT2_T3_T4_T5_mT6_T7_P12ihipStream_tbENKUlT_T0_E_clISt17integral_constantIbLb1EESZ_EEDaSU_SV_EUlSU_E_NS1_11comp_targetILNS1_3genE3ELNS1_11target_archE908ELNS1_3gpuE7ELNS1_3repE0EEENS1_30default_config_static_selectorELNS0_4arch9wavefront6targetE0EEEvT1_.has_indirect_call, 0
	.section	.AMDGPU.csdata,"",@progbits
; Kernel info:
; codeLenInByte = 0
; TotalNumSgprs: 0
; NumVgprs: 0
; ScratchSize: 0
; MemoryBound: 0
; FloatMode: 240
; IeeeMode: 1
; LDSByteSize: 0 bytes/workgroup (compile time only)
; SGPRBlocks: 0
; VGPRBlocks: 0
; NumSGPRsForWavesPerEU: 1
; NumVGPRsForWavesPerEU: 1
; Occupancy: 16
; WaveLimiterHint : 0
; COMPUTE_PGM_RSRC2:SCRATCH_EN: 0
; COMPUTE_PGM_RSRC2:USER_SGPR: 6
; COMPUTE_PGM_RSRC2:TRAP_HANDLER: 0
; COMPUTE_PGM_RSRC2:TGID_X_EN: 1
; COMPUTE_PGM_RSRC2:TGID_Y_EN: 0
; COMPUTE_PGM_RSRC2:TGID_Z_EN: 0
; COMPUTE_PGM_RSRC2:TIDIG_COMP_CNT: 0
	.section	.text._ZN7rocprim17ROCPRIM_400000_NS6detail17trampoline_kernelINS0_14default_configENS1_27scan_by_key_config_selectorIxiEEZZNS1_16scan_by_key_implILNS1_25lookback_scan_determinismE0ELb1ES3_N6thrust23THRUST_200600_302600_NS6detail15normal_iteratorINS9_10device_ptrIxEEEESE_SE_iNS9_4plusIvEENS9_8equal_toIvEEiEE10hipError_tPvRmT2_T3_T4_T5_mT6_T7_P12ihipStream_tbENKUlT_T0_E_clISt17integral_constantIbLb1EESZ_EEDaSU_SV_EUlSU_E_NS1_11comp_targetILNS1_3genE2ELNS1_11target_archE906ELNS1_3gpuE6ELNS1_3repE0EEENS1_30default_config_static_selectorELNS0_4arch9wavefront6targetE0EEEvT1_,"axG",@progbits,_ZN7rocprim17ROCPRIM_400000_NS6detail17trampoline_kernelINS0_14default_configENS1_27scan_by_key_config_selectorIxiEEZZNS1_16scan_by_key_implILNS1_25lookback_scan_determinismE0ELb1ES3_N6thrust23THRUST_200600_302600_NS6detail15normal_iteratorINS9_10device_ptrIxEEEESE_SE_iNS9_4plusIvEENS9_8equal_toIvEEiEE10hipError_tPvRmT2_T3_T4_T5_mT6_T7_P12ihipStream_tbENKUlT_T0_E_clISt17integral_constantIbLb1EESZ_EEDaSU_SV_EUlSU_E_NS1_11comp_targetILNS1_3genE2ELNS1_11target_archE906ELNS1_3gpuE6ELNS1_3repE0EEENS1_30default_config_static_selectorELNS0_4arch9wavefront6targetE0EEEvT1_,comdat
	.protected	_ZN7rocprim17ROCPRIM_400000_NS6detail17trampoline_kernelINS0_14default_configENS1_27scan_by_key_config_selectorIxiEEZZNS1_16scan_by_key_implILNS1_25lookback_scan_determinismE0ELb1ES3_N6thrust23THRUST_200600_302600_NS6detail15normal_iteratorINS9_10device_ptrIxEEEESE_SE_iNS9_4plusIvEENS9_8equal_toIvEEiEE10hipError_tPvRmT2_T3_T4_T5_mT6_T7_P12ihipStream_tbENKUlT_T0_E_clISt17integral_constantIbLb1EESZ_EEDaSU_SV_EUlSU_E_NS1_11comp_targetILNS1_3genE2ELNS1_11target_archE906ELNS1_3gpuE6ELNS1_3repE0EEENS1_30default_config_static_selectorELNS0_4arch9wavefront6targetE0EEEvT1_ ; -- Begin function _ZN7rocprim17ROCPRIM_400000_NS6detail17trampoline_kernelINS0_14default_configENS1_27scan_by_key_config_selectorIxiEEZZNS1_16scan_by_key_implILNS1_25lookback_scan_determinismE0ELb1ES3_N6thrust23THRUST_200600_302600_NS6detail15normal_iteratorINS9_10device_ptrIxEEEESE_SE_iNS9_4plusIvEENS9_8equal_toIvEEiEE10hipError_tPvRmT2_T3_T4_T5_mT6_T7_P12ihipStream_tbENKUlT_T0_E_clISt17integral_constantIbLb1EESZ_EEDaSU_SV_EUlSU_E_NS1_11comp_targetILNS1_3genE2ELNS1_11target_archE906ELNS1_3gpuE6ELNS1_3repE0EEENS1_30default_config_static_selectorELNS0_4arch9wavefront6targetE0EEEvT1_
	.globl	_ZN7rocprim17ROCPRIM_400000_NS6detail17trampoline_kernelINS0_14default_configENS1_27scan_by_key_config_selectorIxiEEZZNS1_16scan_by_key_implILNS1_25lookback_scan_determinismE0ELb1ES3_N6thrust23THRUST_200600_302600_NS6detail15normal_iteratorINS9_10device_ptrIxEEEESE_SE_iNS9_4plusIvEENS9_8equal_toIvEEiEE10hipError_tPvRmT2_T3_T4_T5_mT6_T7_P12ihipStream_tbENKUlT_T0_E_clISt17integral_constantIbLb1EESZ_EEDaSU_SV_EUlSU_E_NS1_11comp_targetILNS1_3genE2ELNS1_11target_archE906ELNS1_3gpuE6ELNS1_3repE0EEENS1_30default_config_static_selectorELNS0_4arch9wavefront6targetE0EEEvT1_
	.p2align	8
	.type	_ZN7rocprim17ROCPRIM_400000_NS6detail17trampoline_kernelINS0_14default_configENS1_27scan_by_key_config_selectorIxiEEZZNS1_16scan_by_key_implILNS1_25lookback_scan_determinismE0ELb1ES3_N6thrust23THRUST_200600_302600_NS6detail15normal_iteratorINS9_10device_ptrIxEEEESE_SE_iNS9_4plusIvEENS9_8equal_toIvEEiEE10hipError_tPvRmT2_T3_T4_T5_mT6_T7_P12ihipStream_tbENKUlT_T0_E_clISt17integral_constantIbLb1EESZ_EEDaSU_SV_EUlSU_E_NS1_11comp_targetILNS1_3genE2ELNS1_11target_archE906ELNS1_3gpuE6ELNS1_3repE0EEENS1_30default_config_static_selectorELNS0_4arch9wavefront6targetE0EEEvT1_,@function
_ZN7rocprim17ROCPRIM_400000_NS6detail17trampoline_kernelINS0_14default_configENS1_27scan_by_key_config_selectorIxiEEZZNS1_16scan_by_key_implILNS1_25lookback_scan_determinismE0ELb1ES3_N6thrust23THRUST_200600_302600_NS6detail15normal_iteratorINS9_10device_ptrIxEEEESE_SE_iNS9_4plusIvEENS9_8equal_toIvEEiEE10hipError_tPvRmT2_T3_T4_T5_mT6_T7_P12ihipStream_tbENKUlT_T0_E_clISt17integral_constantIbLb1EESZ_EEDaSU_SV_EUlSU_E_NS1_11comp_targetILNS1_3genE2ELNS1_11target_archE906ELNS1_3gpuE6ELNS1_3repE0EEENS1_30default_config_static_selectorELNS0_4arch9wavefront6targetE0EEEvT1_: ; @_ZN7rocprim17ROCPRIM_400000_NS6detail17trampoline_kernelINS0_14default_configENS1_27scan_by_key_config_selectorIxiEEZZNS1_16scan_by_key_implILNS1_25lookback_scan_determinismE0ELb1ES3_N6thrust23THRUST_200600_302600_NS6detail15normal_iteratorINS9_10device_ptrIxEEEESE_SE_iNS9_4plusIvEENS9_8equal_toIvEEiEE10hipError_tPvRmT2_T3_T4_T5_mT6_T7_P12ihipStream_tbENKUlT_T0_E_clISt17integral_constantIbLb1EESZ_EEDaSU_SV_EUlSU_E_NS1_11comp_targetILNS1_3genE2ELNS1_11target_archE906ELNS1_3gpuE6ELNS1_3repE0EEENS1_30default_config_static_selectorELNS0_4arch9wavefront6targetE0EEEvT1_
; %bb.0:
	.section	.rodata,"a",@progbits
	.p2align	6, 0x0
	.amdhsa_kernel _ZN7rocprim17ROCPRIM_400000_NS6detail17trampoline_kernelINS0_14default_configENS1_27scan_by_key_config_selectorIxiEEZZNS1_16scan_by_key_implILNS1_25lookback_scan_determinismE0ELb1ES3_N6thrust23THRUST_200600_302600_NS6detail15normal_iteratorINS9_10device_ptrIxEEEESE_SE_iNS9_4plusIvEENS9_8equal_toIvEEiEE10hipError_tPvRmT2_T3_T4_T5_mT6_T7_P12ihipStream_tbENKUlT_T0_E_clISt17integral_constantIbLb1EESZ_EEDaSU_SV_EUlSU_E_NS1_11comp_targetILNS1_3genE2ELNS1_11target_archE906ELNS1_3gpuE6ELNS1_3repE0EEENS1_30default_config_static_selectorELNS0_4arch9wavefront6targetE0EEEvT1_
		.amdhsa_group_segment_fixed_size 0
		.amdhsa_private_segment_fixed_size 0
		.amdhsa_kernarg_size 112
		.amdhsa_user_sgpr_count 6
		.amdhsa_user_sgpr_private_segment_buffer 1
		.amdhsa_user_sgpr_dispatch_ptr 0
		.amdhsa_user_sgpr_queue_ptr 0
		.amdhsa_user_sgpr_kernarg_segment_ptr 1
		.amdhsa_user_sgpr_dispatch_id 0
		.amdhsa_user_sgpr_flat_scratch_init 0
		.amdhsa_user_sgpr_private_segment_size 0
		.amdhsa_wavefront_size32 1
		.amdhsa_uses_dynamic_stack 0
		.amdhsa_system_sgpr_private_segment_wavefront_offset 0
		.amdhsa_system_sgpr_workgroup_id_x 1
		.amdhsa_system_sgpr_workgroup_id_y 0
		.amdhsa_system_sgpr_workgroup_id_z 0
		.amdhsa_system_sgpr_workgroup_info 0
		.amdhsa_system_vgpr_workitem_id 0
		.amdhsa_next_free_vgpr 1
		.amdhsa_next_free_sgpr 1
		.amdhsa_reserve_vcc 0
		.amdhsa_reserve_flat_scratch 0
		.amdhsa_float_round_mode_32 0
		.amdhsa_float_round_mode_16_64 0
		.amdhsa_float_denorm_mode_32 3
		.amdhsa_float_denorm_mode_16_64 3
		.amdhsa_dx10_clamp 1
		.amdhsa_ieee_mode 1
		.amdhsa_fp16_overflow 0
		.amdhsa_workgroup_processor_mode 1
		.amdhsa_memory_ordered 1
		.amdhsa_forward_progress 1
		.amdhsa_shared_vgpr_count 0
		.amdhsa_exception_fp_ieee_invalid_op 0
		.amdhsa_exception_fp_denorm_src 0
		.amdhsa_exception_fp_ieee_div_zero 0
		.amdhsa_exception_fp_ieee_overflow 0
		.amdhsa_exception_fp_ieee_underflow 0
		.amdhsa_exception_fp_ieee_inexact 0
		.amdhsa_exception_int_div_zero 0
	.end_amdhsa_kernel
	.section	.text._ZN7rocprim17ROCPRIM_400000_NS6detail17trampoline_kernelINS0_14default_configENS1_27scan_by_key_config_selectorIxiEEZZNS1_16scan_by_key_implILNS1_25lookback_scan_determinismE0ELb1ES3_N6thrust23THRUST_200600_302600_NS6detail15normal_iteratorINS9_10device_ptrIxEEEESE_SE_iNS9_4plusIvEENS9_8equal_toIvEEiEE10hipError_tPvRmT2_T3_T4_T5_mT6_T7_P12ihipStream_tbENKUlT_T0_E_clISt17integral_constantIbLb1EESZ_EEDaSU_SV_EUlSU_E_NS1_11comp_targetILNS1_3genE2ELNS1_11target_archE906ELNS1_3gpuE6ELNS1_3repE0EEENS1_30default_config_static_selectorELNS0_4arch9wavefront6targetE0EEEvT1_,"axG",@progbits,_ZN7rocprim17ROCPRIM_400000_NS6detail17trampoline_kernelINS0_14default_configENS1_27scan_by_key_config_selectorIxiEEZZNS1_16scan_by_key_implILNS1_25lookback_scan_determinismE0ELb1ES3_N6thrust23THRUST_200600_302600_NS6detail15normal_iteratorINS9_10device_ptrIxEEEESE_SE_iNS9_4plusIvEENS9_8equal_toIvEEiEE10hipError_tPvRmT2_T3_T4_T5_mT6_T7_P12ihipStream_tbENKUlT_T0_E_clISt17integral_constantIbLb1EESZ_EEDaSU_SV_EUlSU_E_NS1_11comp_targetILNS1_3genE2ELNS1_11target_archE906ELNS1_3gpuE6ELNS1_3repE0EEENS1_30default_config_static_selectorELNS0_4arch9wavefront6targetE0EEEvT1_,comdat
.Lfunc_end1017:
	.size	_ZN7rocprim17ROCPRIM_400000_NS6detail17trampoline_kernelINS0_14default_configENS1_27scan_by_key_config_selectorIxiEEZZNS1_16scan_by_key_implILNS1_25lookback_scan_determinismE0ELb1ES3_N6thrust23THRUST_200600_302600_NS6detail15normal_iteratorINS9_10device_ptrIxEEEESE_SE_iNS9_4plusIvEENS9_8equal_toIvEEiEE10hipError_tPvRmT2_T3_T4_T5_mT6_T7_P12ihipStream_tbENKUlT_T0_E_clISt17integral_constantIbLb1EESZ_EEDaSU_SV_EUlSU_E_NS1_11comp_targetILNS1_3genE2ELNS1_11target_archE906ELNS1_3gpuE6ELNS1_3repE0EEENS1_30default_config_static_selectorELNS0_4arch9wavefront6targetE0EEEvT1_, .Lfunc_end1017-_ZN7rocprim17ROCPRIM_400000_NS6detail17trampoline_kernelINS0_14default_configENS1_27scan_by_key_config_selectorIxiEEZZNS1_16scan_by_key_implILNS1_25lookback_scan_determinismE0ELb1ES3_N6thrust23THRUST_200600_302600_NS6detail15normal_iteratorINS9_10device_ptrIxEEEESE_SE_iNS9_4plusIvEENS9_8equal_toIvEEiEE10hipError_tPvRmT2_T3_T4_T5_mT6_T7_P12ihipStream_tbENKUlT_T0_E_clISt17integral_constantIbLb1EESZ_EEDaSU_SV_EUlSU_E_NS1_11comp_targetILNS1_3genE2ELNS1_11target_archE906ELNS1_3gpuE6ELNS1_3repE0EEENS1_30default_config_static_selectorELNS0_4arch9wavefront6targetE0EEEvT1_
                                        ; -- End function
	.set _ZN7rocprim17ROCPRIM_400000_NS6detail17trampoline_kernelINS0_14default_configENS1_27scan_by_key_config_selectorIxiEEZZNS1_16scan_by_key_implILNS1_25lookback_scan_determinismE0ELb1ES3_N6thrust23THRUST_200600_302600_NS6detail15normal_iteratorINS9_10device_ptrIxEEEESE_SE_iNS9_4plusIvEENS9_8equal_toIvEEiEE10hipError_tPvRmT2_T3_T4_T5_mT6_T7_P12ihipStream_tbENKUlT_T0_E_clISt17integral_constantIbLb1EESZ_EEDaSU_SV_EUlSU_E_NS1_11comp_targetILNS1_3genE2ELNS1_11target_archE906ELNS1_3gpuE6ELNS1_3repE0EEENS1_30default_config_static_selectorELNS0_4arch9wavefront6targetE0EEEvT1_.num_vgpr, 0
	.set _ZN7rocprim17ROCPRIM_400000_NS6detail17trampoline_kernelINS0_14default_configENS1_27scan_by_key_config_selectorIxiEEZZNS1_16scan_by_key_implILNS1_25lookback_scan_determinismE0ELb1ES3_N6thrust23THRUST_200600_302600_NS6detail15normal_iteratorINS9_10device_ptrIxEEEESE_SE_iNS9_4plusIvEENS9_8equal_toIvEEiEE10hipError_tPvRmT2_T3_T4_T5_mT6_T7_P12ihipStream_tbENKUlT_T0_E_clISt17integral_constantIbLb1EESZ_EEDaSU_SV_EUlSU_E_NS1_11comp_targetILNS1_3genE2ELNS1_11target_archE906ELNS1_3gpuE6ELNS1_3repE0EEENS1_30default_config_static_selectorELNS0_4arch9wavefront6targetE0EEEvT1_.num_agpr, 0
	.set _ZN7rocprim17ROCPRIM_400000_NS6detail17trampoline_kernelINS0_14default_configENS1_27scan_by_key_config_selectorIxiEEZZNS1_16scan_by_key_implILNS1_25lookback_scan_determinismE0ELb1ES3_N6thrust23THRUST_200600_302600_NS6detail15normal_iteratorINS9_10device_ptrIxEEEESE_SE_iNS9_4plusIvEENS9_8equal_toIvEEiEE10hipError_tPvRmT2_T3_T4_T5_mT6_T7_P12ihipStream_tbENKUlT_T0_E_clISt17integral_constantIbLb1EESZ_EEDaSU_SV_EUlSU_E_NS1_11comp_targetILNS1_3genE2ELNS1_11target_archE906ELNS1_3gpuE6ELNS1_3repE0EEENS1_30default_config_static_selectorELNS0_4arch9wavefront6targetE0EEEvT1_.numbered_sgpr, 0
	.set _ZN7rocprim17ROCPRIM_400000_NS6detail17trampoline_kernelINS0_14default_configENS1_27scan_by_key_config_selectorIxiEEZZNS1_16scan_by_key_implILNS1_25lookback_scan_determinismE0ELb1ES3_N6thrust23THRUST_200600_302600_NS6detail15normal_iteratorINS9_10device_ptrIxEEEESE_SE_iNS9_4plusIvEENS9_8equal_toIvEEiEE10hipError_tPvRmT2_T3_T4_T5_mT6_T7_P12ihipStream_tbENKUlT_T0_E_clISt17integral_constantIbLb1EESZ_EEDaSU_SV_EUlSU_E_NS1_11comp_targetILNS1_3genE2ELNS1_11target_archE906ELNS1_3gpuE6ELNS1_3repE0EEENS1_30default_config_static_selectorELNS0_4arch9wavefront6targetE0EEEvT1_.num_named_barrier, 0
	.set _ZN7rocprim17ROCPRIM_400000_NS6detail17trampoline_kernelINS0_14default_configENS1_27scan_by_key_config_selectorIxiEEZZNS1_16scan_by_key_implILNS1_25lookback_scan_determinismE0ELb1ES3_N6thrust23THRUST_200600_302600_NS6detail15normal_iteratorINS9_10device_ptrIxEEEESE_SE_iNS9_4plusIvEENS9_8equal_toIvEEiEE10hipError_tPvRmT2_T3_T4_T5_mT6_T7_P12ihipStream_tbENKUlT_T0_E_clISt17integral_constantIbLb1EESZ_EEDaSU_SV_EUlSU_E_NS1_11comp_targetILNS1_3genE2ELNS1_11target_archE906ELNS1_3gpuE6ELNS1_3repE0EEENS1_30default_config_static_selectorELNS0_4arch9wavefront6targetE0EEEvT1_.private_seg_size, 0
	.set _ZN7rocprim17ROCPRIM_400000_NS6detail17trampoline_kernelINS0_14default_configENS1_27scan_by_key_config_selectorIxiEEZZNS1_16scan_by_key_implILNS1_25lookback_scan_determinismE0ELb1ES3_N6thrust23THRUST_200600_302600_NS6detail15normal_iteratorINS9_10device_ptrIxEEEESE_SE_iNS9_4plusIvEENS9_8equal_toIvEEiEE10hipError_tPvRmT2_T3_T4_T5_mT6_T7_P12ihipStream_tbENKUlT_T0_E_clISt17integral_constantIbLb1EESZ_EEDaSU_SV_EUlSU_E_NS1_11comp_targetILNS1_3genE2ELNS1_11target_archE906ELNS1_3gpuE6ELNS1_3repE0EEENS1_30default_config_static_selectorELNS0_4arch9wavefront6targetE0EEEvT1_.uses_vcc, 0
	.set _ZN7rocprim17ROCPRIM_400000_NS6detail17trampoline_kernelINS0_14default_configENS1_27scan_by_key_config_selectorIxiEEZZNS1_16scan_by_key_implILNS1_25lookback_scan_determinismE0ELb1ES3_N6thrust23THRUST_200600_302600_NS6detail15normal_iteratorINS9_10device_ptrIxEEEESE_SE_iNS9_4plusIvEENS9_8equal_toIvEEiEE10hipError_tPvRmT2_T3_T4_T5_mT6_T7_P12ihipStream_tbENKUlT_T0_E_clISt17integral_constantIbLb1EESZ_EEDaSU_SV_EUlSU_E_NS1_11comp_targetILNS1_3genE2ELNS1_11target_archE906ELNS1_3gpuE6ELNS1_3repE0EEENS1_30default_config_static_selectorELNS0_4arch9wavefront6targetE0EEEvT1_.uses_flat_scratch, 0
	.set _ZN7rocprim17ROCPRIM_400000_NS6detail17trampoline_kernelINS0_14default_configENS1_27scan_by_key_config_selectorIxiEEZZNS1_16scan_by_key_implILNS1_25lookback_scan_determinismE0ELb1ES3_N6thrust23THRUST_200600_302600_NS6detail15normal_iteratorINS9_10device_ptrIxEEEESE_SE_iNS9_4plusIvEENS9_8equal_toIvEEiEE10hipError_tPvRmT2_T3_T4_T5_mT6_T7_P12ihipStream_tbENKUlT_T0_E_clISt17integral_constantIbLb1EESZ_EEDaSU_SV_EUlSU_E_NS1_11comp_targetILNS1_3genE2ELNS1_11target_archE906ELNS1_3gpuE6ELNS1_3repE0EEENS1_30default_config_static_selectorELNS0_4arch9wavefront6targetE0EEEvT1_.has_dyn_sized_stack, 0
	.set _ZN7rocprim17ROCPRIM_400000_NS6detail17trampoline_kernelINS0_14default_configENS1_27scan_by_key_config_selectorIxiEEZZNS1_16scan_by_key_implILNS1_25lookback_scan_determinismE0ELb1ES3_N6thrust23THRUST_200600_302600_NS6detail15normal_iteratorINS9_10device_ptrIxEEEESE_SE_iNS9_4plusIvEENS9_8equal_toIvEEiEE10hipError_tPvRmT2_T3_T4_T5_mT6_T7_P12ihipStream_tbENKUlT_T0_E_clISt17integral_constantIbLb1EESZ_EEDaSU_SV_EUlSU_E_NS1_11comp_targetILNS1_3genE2ELNS1_11target_archE906ELNS1_3gpuE6ELNS1_3repE0EEENS1_30default_config_static_selectorELNS0_4arch9wavefront6targetE0EEEvT1_.has_recursion, 0
	.set _ZN7rocprim17ROCPRIM_400000_NS6detail17trampoline_kernelINS0_14default_configENS1_27scan_by_key_config_selectorIxiEEZZNS1_16scan_by_key_implILNS1_25lookback_scan_determinismE0ELb1ES3_N6thrust23THRUST_200600_302600_NS6detail15normal_iteratorINS9_10device_ptrIxEEEESE_SE_iNS9_4plusIvEENS9_8equal_toIvEEiEE10hipError_tPvRmT2_T3_T4_T5_mT6_T7_P12ihipStream_tbENKUlT_T0_E_clISt17integral_constantIbLb1EESZ_EEDaSU_SV_EUlSU_E_NS1_11comp_targetILNS1_3genE2ELNS1_11target_archE906ELNS1_3gpuE6ELNS1_3repE0EEENS1_30default_config_static_selectorELNS0_4arch9wavefront6targetE0EEEvT1_.has_indirect_call, 0
	.section	.AMDGPU.csdata,"",@progbits
; Kernel info:
; codeLenInByte = 0
; TotalNumSgprs: 0
; NumVgprs: 0
; ScratchSize: 0
; MemoryBound: 0
; FloatMode: 240
; IeeeMode: 1
; LDSByteSize: 0 bytes/workgroup (compile time only)
; SGPRBlocks: 0
; VGPRBlocks: 0
; NumSGPRsForWavesPerEU: 1
; NumVGPRsForWavesPerEU: 1
; Occupancy: 16
; WaveLimiterHint : 0
; COMPUTE_PGM_RSRC2:SCRATCH_EN: 0
; COMPUTE_PGM_RSRC2:USER_SGPR: 6
; COMPUTE_PGM_RSRC2:TRAP_HANDLER: 0
; COMPUTE_PGM_RSRC2:TGID_X_EN: 1
; COMPUTE_PGM_RSRC2:TGID_Y_EN: 0
; COMPUTE_PGM_RSRC2:TGID_Z_EN: 0
; COMPUTE_PGM_RSRC2:TIDIG_COMP_CNT: 0
	.section	.text._ZN7rocprim17ROCPRIM_400000_NS6detail17trampoline_kernelINS0_14default_configENS1_27scan_by_key_config_selectorIxiEEZZNS1_16scan_by_key_implILNS1_25lookback_scan_determinismE0ELb1ES3_N6thrust23THRUST_200600_302600_NS6detail15normal_iteratorINS9_10device_ptrIxEEEESE_SE_iNS9_4plusIvEENS9_8equal_toIvEEiEE10hipError_tPvRmT2_T3_T4_T5_mT6_T7_P12ihipStream_tbENKUlT_T0_E_clISt17integral_constantIbLb1EESZ_EEDaSU_SV_EUlSU_E_NS1_11comp_targetILNS1_3genE10ELNS1_11target_archE1200ELNS1_3gpuE4ELNS1_3repE0EEENS1_30default_config_static_selectorELNS0_4arch9wavefront6targetE0EEEvT1_,"axG",@progbits,_ZN7rocprim17ROCPRIM_400000_NS6detail17trampoline_kernelINS0_14default_configENS1_27scan_by_key_config_selectorIxiEEZZNS1_16scan_by_key_implILNS1_25lookback_scan_determinismE0ELb1ES3_N6thrust23THRUST_200600_302600_NS6detail15normal_iteratorINS9_10device_ptrIxEEEESE_SE_iNS9_4plusIvEENS9_8equal_toIvEEiEE10hipError_tPvRmT2_T3_T4_T5_mT6_T7_P12ihipStream_tbENKUlT_T0_E_clISt17integral_constantIbLb1EESZ_EEDaSU_SV_EUlSU_E_NS1_11comp_targetILNS1_3genE10ELNS1_11target_archE1200ELNS1_3gpuE4ELNS1_3repE0EEENS1_30default_config_static_selectorELNS0_4arch9wavefront6targetE0EEEvT1_,comdat
	.protected	_ZN7rocprim17ROCPRIM_400000_NS6detail17trampoline_kernelINS0_14default_configENS1_27scan_by_key_config_selectorIxiEEZZNS1_16scan_by_key_implILNS1_25lookback_scan_determinismE0ELb1ES3_N6thrust23THRUST_200600_302600_NS6detail15normal_iteratorINS9_10device_ptrIxEEEESE_SE_iNS9_4plusIvEENS9_8equal_toIvEEiEE10hipError_tPvRmT2_T3_T4_T5_mT6_T7_P12ihipStream_tbENKUlT_T0_E_clISt17integral_constantIbLb1EESZ_EEDaSU_SV_EUlSU_E_NS1_11comp_targetILNS1_3genE10ELNS1_11target_archE1200ELNS1_3gpuE4ELNS1_3repE0EEENS1_30default_config_static_selectorELNS0_4arch9wavefront6targetE0EEEvT1_ ; -- Begin function _ZN7rocprim17ROCPRIM_400000_NS6detail17trampoline_kernelINS0_14default_configENS1_27scan_by_key_config_selectorIxiEEZZNS1_16scan_by_key_implILNS1_25lookback_scan_determinismE0ELb1ES3_N6thrust23THRUST_200600_302600_NS6detail15normal_iteratorINS9_10device_ptrIxEEEESE_SE_iNS9_4plusIvEENS9_8equal_toIvEEiEE10hipError_tPvRmT2_T3_T4_T5_mT6_T7_P12ihipStream_tbENKUlT_T0_E_clISt17integral_constantIbLb1EESZ_EEDaSU_SV_EUlSU_E_NS1_11comp_targetILNS1_3genE10ELNS1_11target_archE1200ELNS1_3gpuE4ELNS1_3repE0EEENS1_30default_config_static_selectorELNS0_4arch9wavefront6targetE0EEEvT1_
	.globl	_ZN7rocprim17ROCPRIM_400000_NS6detail17trampoline_kernelINS0_14default_configENS1_27scan_by_key_config_selectorIxiEEZZNS1_16scan_by_key_implILNS1_25lookback_scan_determinismE0ELb1ES3_N6thrust23THRUST_200600_302600_NS6detail15normal_iteratorINS9_10device_ptrIxEEEESE_SE_iNS9_4plusIvEENS9_8equal_toIvEEiEE10hipError_tPvRmT2_T3_T4_T5_mT6_T7_P12ihipStream_tbENKUlT_T0_E_clISt17integral_constantIbLb1EESZ_EEDaSU_SV_EUlSU_E_NS1_11comp_targetILNS1_3genE10ELNS1_11target_archE1200ELNS1_3gpuE4ELNS1_3repE0EEENS1_30default_config_static_selectorELNS0_4arch9wavefront6targetE0EEEvT1_
	.p2align	8
	.type	_ZN7rocprim17ROCPRIM_400000_NS6detail17trampoline_kernelINS0_14default_configENS1_27scan_by_key_config_selectorIxiEEZZNS1_16scan_by_key_implILNS1_25lookback_scan_determinismE0ELb1ES3_N6thrust23THRUST_200600_302600_NS6detail15normal_iteratorINS9_10device_ptrIxEEEESE_SE_iNS9_4plusIvEENS9_8equal_toIvEEiEE10hipError_tPvRmT2_T3_T4_T5_mT6_T7_P12ihipStream_tbENKUlT_T0_E_clISt17integral_constantIbLb1EESZ_EEDaSU_SV_EUlSU_E_NS1_11comp_targetILNS1_3genE10ELNS1_11target_archE1200ELNS1_3gpuE4ELNS1_3repE0EEENS1_30default_config_static_selectorELNS0_4arch9wavefront6targetE0EEEvT1_,@function
_ZN7rocprim17ROCPRIM_400000_NS6detail17trampoline_kernelINS0_14default_configENS1_27scan_by_key_config_selectorIxiEEZZNS1_16scan_by_key_implILNS1_25lookback_scan_determinismE0ELb1ES3_N6thrust23THRUST_200600_302600_NS6detail15normal_iteratorINS9_10device_ptrIxEEEESE_SE_iNS9_4plusIvEENS9_8equal_toIvEEiEE10hipError_tPvRmT2_T3_T4_T5_mT6_T7_P12ihipStream_tbENKUlT_T0_E_clISt17integral_constantIbLb1EESZ_EEDaSU_SV_EUlSU_E_NS1_11comp_targetILNS1_3genE10ELNS1_11target_archE1200ELNS1_3gpuE4ELNS1_3repE0EEENS1_30default_config_static_selectorELNS0_4arch9wavefront6targetE0EEEvT1_: ; @_ZN7rocprim17ROCPRIM_400000_NS6detail17trampoline_kernelINS0_14default_configENS1_27scan_by_key_config_selectorIxiEEZZNS1_16scan_by_key_implILNS1_25lookback_scan_determinismE0ELb1ES3_N6thrust23THRUST_200600_302600_NS6detail15normal_iteratorINS9_10device_ptrIxEEEESE_SE_iNS9_4plusIvEENS9_8equal_toIvEEiEE10hipError_tPvRmT2_T3_T4_T5_mT6_T7_P12ihipStream_tbENKUlT_T0_E_clISt17integral_constantIbLb1EESZ_EEDaSU_SV_EUlSU_E_NS1_11comp_targetILNS1_3genE10ELNS1_11target_archE1200ELNS1_3gpuE4ELNS1_3repE0EEENS1_30default_config_static_selectorELNS0_4arch9wavefront6targetE0EEEvT1_
; %bb.0:
	.section	.rodata,"a",@progbits
	.p2align	6, 0x0
	.amdhsa_kernel _ZN7rocprim17ROCPRIM_400000_NS6detail17trampoline_kernelINS0_14default_configENS1_27scan_by_key_config_selectorIxiEEZZNS1_16scan_by_key_implILNS1_25lookback_scan_determinismE0ELb1ES3_N6thrust23THRUST_200600_302600_NS6detail15normal_iteratorINS9_10device_ptrIxEEEESE_SE_iNS9_4plusIvEENS9_8equal_toIvEEiEE10hipError_tPvRmT2_T3_T4_T5_mT6_T7_P12ihipStream_tbENKUlT_T0_E_clISt17integral_constantIbLb1EESZ_EEDaSU_SV_EUlSU_E_NS1_11comp_targetILNS1_3genE10ELNS1_11target_archE1200ELNS1_3gpuE4ELNS1_3repE0EEENS1_30default_config_static_selectorELNS0_4arch9wavefront6targetE0EEEvT1_
		.amdhsa_group_segment_fixed_size 0
		.amdhsa_private_segment_fixed_size 0
		.amdhsa_kernarg_size 112
		.amdhsa_user_sgpr_count 6
		.amdhsa_user_sgpr_private_segment_buffer 1
		.amdhsa_user_sgpr_dispatch_ptr 0
		.amdhsa_user_sgpr_queue_ptr 0
		.amdhsa_user_sgpr_kernarg_segment_ptr 1
		.amdhsa_user_sgpr_dispatch_id 0
		.amdhsa_user_sgpr_flat_scratch_init 0
		.amdhsa_user_sgpr_private_segment_size 0
		.amdhsa_wavefront_size32 1
		.amdhsa_uses_dynamic_stack 0
		.amdhsa_system_sgpr_private_segment_wavefront_offset 0
		.amdhsa_system_sgpr_workgroup_id_x 1
		.amdhsa_system_sgpr_workgroup_id_y 0
		.amdhsa_system_sgpr_workgroup_id_z 0
		.amdhsa_system_sgpr_workgroup_info 0
		.amdhsa_system_vgpr_workitem_id 0
		.amdhsa_next_free_vgpr 1
		.amdhsa_next_free_sgpr 1
		.amdhsa_reserve_vcc 0
		.amdhsa_reserve_flat_scratch 0
		.amdhsa_float_round_mode_32 0
		.amdhsa_float_round_mode_16_64 0
		.amdhsa_float_denorm_mode_32 3
		.amdhsa_float_denorm_mode_16_64 3
		.amdhsa_dx10_clamp 1
		.amdhsa_ieee_mode 1
		.amdhsa_fp16_overflow 0
		.amdhsa_workgroup_processor_mode 1
		.amdhsa_memory_ordered 1
		.amdhsa_forward_progress 1
		.amdhsa_shared_vgpr_count 0
		.amdhsa_exception_fp_ieee_invalid_op 0
		.amdhsa_exception_fp_denorm_src 0
		.amdhsa_exception_fp_ieee_div_zero 0
		.amdhsa_exception_fp_ieee_overflow 0
		.amdhsa_exception_fp_ieee_underflow 0
		.amdhsa_exception_fp_ieee_inexact 0
		.amdhsa_exception_int_div_zero 0
	.end_amdhsa_kernel
	.section	.text._ZN7rocprim17ROCPRIM_400000_NS6detail17trampoline_kernelINS0_14default_configENS1_27scan_by_key_config_selectorIxiEEZZNS1_16scan_by_key_implILNS1_25lookback_scan_determinismE0ELb1ES3_N6thrust23THRUST_200600_302600_NS6detail15normal_iteratorINS9_10device_ptrIxEEEESE_SE_iNS9_4plusIvEENS9_8equal_toIvEEiEE10hipError_tPvRmT2_T3_T4_T5_mT6_T7_P12ihipStream_tbENKUlT_T0_E_clISt17integral_constantIbLb1EESZ_EEDaSU_SV_EUlSU_E_NS1_11comp_targetILNS1_3genE10ELNS1_11target_archE1200ELNS1_3gpuE4ELNS1_3repE0EEENS1_30default_config_static_selectorELNS0_4arch9wavefront6targetE0EEEvT1_,"axG",@progbits,_ZN7rocprim17ROCPRIM_400000_NS6detail17trampoline_kernelINS0_14default_configENS1_27scan_by_key_config_selectorIxiEEZZNS1_16scan_by_key_implILNS1_25lookback_scan_determinismE0ELb1ES3_N6thrust23THRUST_200600_302600_NS6detail15normal_iteratorINS9_10device_ptrIxEEEESE_SE_iNS9_4plusIvEENS9_8equal_toIvEEiEE10hipError_tPvRmT2_T3_T4_T5_mT6_T7_P12ihipStream_tbENKUlT_T0_E_clISt17integral_constantIbLb1EESZ_EEDaSU_SV_EUlSU_E_NS1_11comp_targetILNS1_3genE10ELNS1_11target_archE1200ELNS1_3gpuE4ELNS1_3repE0EEENS1_30default_config_static_selectorELNS0_4arch9wavefront6targetE0EEEvT1_,comdat
.Lfunc_end1018:
	.size	_ZN7rocprim17ROCPRIM_400000_NS6detail17trampoline_kernelINS0_14default_configENS1_27scan_by_key_config_selectorIxiEEZZNS1_16scan_by_key_implILNS1_25lookback_scan_determinismE0ELb1ES3_N6thrust23THRUST_200600_302600_NS6detail15normal_iteratorINS9_10device_ptrIxEEEESE_SE_iNS9_4plusIvEENS9_8equal_toIvEEiEE10hipError_tPvRmT2_T3_T4_T5_mT6_T7_P12ihipStream_tbENKUlT_T0_E_clISt17integral_constantIbLb1EESZ_EEDaSU_SV_EUlSU_E_NS1_11comp_targetILNS1_3genE10ELNS1_11target_archE1200ELNS1_3gpuE4ELNS1_3repE0EEENS1_30default_config_static_selectorELNS0_4arch9wavefront6targetE0EEEvT1_, .Lfunc_end1018-_ZN7rocprim17ROCPRIM_400000_NS6detail17trampoline_kernelINS0_14default_configENS1_27scan_by_key_config_selectorIxiEEZZNS1_16scan_by_key_implILNS1_25lookback_scan_determinismE0ELb1ES3_N6thrust23THRUST_200600_302600_NS6detail15normal_iteratorINS9_10device_ptrIxEEEESE_SE_iNS9_4plusIvEENS9_8equal_toIvEEiEE10hipError_tPvRmT2_T3_T4_T5_mT6_T7_P12ihipStream_tbENKUlT_T0_E_clISt17integral_constantIbLb1EESZ_EEDaSU_SV_EUlSU_E_NS1_11comp_targetILNS1_3genE10ELNS1_11target_archE1200ELNS1_3gpuE4ELNS1_3repE0EEENS1_30default_config_static_selectorELNS0_4arch9wavefront6targetE0EEEvT1_
                                        ; -- End function
	.set _ZN7rocprim17ROCPRIM_400000_NS6detail17trampoline_kernelINS0_14default_configENS1_27scan_by_key_config_selectorIxiEEZZNS1_16scan_by_key_implILNS1_25lookback_scan_determinismE0ELb1ES3_N6thrust23THRUST_200600_302600_NS6detail15normal_iteratorINS9_10device_ptrIxEEEESE_SE_iNS9_4plusIvEENS9_8equal_toIvEEiEE10hipError_tPvRmT2_T3_T4_T5_mT6_T7_P12ihipStream_tbENKUlT_T0_E_clISt17integral_constantIbLb1EESZ_EEDaSU_SV_EUlSU_E_NS1_11comp_targetILNS1_3genE10ELNS1_11target_archE1200ELNS1_3gpuE4ELNS1_3repE0EEENS1_30default_config_static_selectorELNS0_4arch9wavefront6targetE0EEEvT1_.num_vgpr, 0
	.set _ZN7rocprim17ROCPRIM_400000_NS6detail17trampoline_kernelINS0_14default_configENS1_27scan_by_key_config_selectorIxiEEZZNS1_16scan_by_key_implILNS1_25lookback_scan_determinismE0ELb1ES3_N6thrust23THRUST_200600_302600_NS6detail15normal_iteratorINS9_10device_ptrIxEEEESE_SE_iNS9_4plusIvEENS9_8equal_toIvEEiEE10hipError_tPvRmT2_T3_T4_T5_mT6_T7_P12ihipStream_tbENKUlT_T0_E_clISt17integral_constantIbLb1EESZ_EEDaSU_SV_EUlSU_E_NS1_11comp_targetILNS1_3genE10ELNS1_11target_archE1200ELNS1_3gpuE4ELNS1_3repE0EEENS1_30default_config_static_selectorELNS0_4arch9wavefront6targetE0EEEvT1_.num_agpr, 0
	.set _ZN7rocprim17ROCPRIM_400000_NS6detail17trampoline_kernelINS0_14default_configENS1_27scan_by_key_config_selectorIxiEEZZNS1_16scan_by_key_implILNS1_25lookback_scan_determinismE0ELb1ES3_N6thrust23THRUST_200600_302600_NS6detail15normal_iteratorINS9_10device_ptrIxEEEESE_SE_iNS9_4plusIvEENS9_8equal_toIvEEiEE10hipError_tPvRmT2_T3_T4_T5_mT6_T7_P12ihipStream_tbENKUlT_T0_E_clISt17integral_constantIbLb1EESZ_EEDaSU_SV_EUlSU_E_NS1_11comp_targetILNS1_3genE10ELNS1_11target_archE1200ELNS1_3gpuE4ELNS1_3repE0EEENS1_30default_config_static_selectorELNS0_4arch9wavefront6targetE0EEEvT1_.numbered_sgpr, 0
	.set _ZN7rocprim17ROCPRIM_400000_NS6detail17trampoline_kernelINS0_14default_configENS1_27scan_by_key_config_selectorIxiEEZZNS1_16scan_by_key_implILNS1_25lookback_scan_determinismE0ELb1ES3_N6thrust23THRUST_200600_302600_NS6detail15normal_iteratorINS9_10device_ptrIxEEEESE_SE_iNS9_4plusIvEENS9_8equal_toIvEEiEE10hipError_tPvRmT2_T3_T4_T5_mT6_T7_P12ihipStream_tbENKUlT_T0_E_clISt17integral_constantIbLb1EESZ_EEDaSU_SV_EUlSU_E_NS1_11comp_targetILNS1_3genE10ELNS1_11target_archE1200ELNS1_3gpuE4ELNS1_3repE0EEENS1_30default_config_static_selectorELNS0_4arch9wavefront6targetE0EEEvT1_.num_named_barrier, 0
	.set _ZN7rocprim17ROCPRIM_400000_NS6detail17trampoline_kernelINS0_14default_configENS1_27scan_by_key_config_selectorIxiEEZZNS1_16scan_by_key_implILNS1_25lookback_scan_determinismE0ELb1ES3_N6thrust23THRUST_200600_302600_NS6detail15normal_iteratorINS9_10device_ptrIxEEEESE_SE_iNS9_4plusIvEENS9_8equal_toIvEEiEE10hipError_tPvRmT2_T3_T4_T5_mT6_T7_P12ihipStream_tbENKUlT_T0_E_clISt17integral_constantIbLb1EESZ_EEDaSU_SV_EUlSU_E_NS1_11comp_targetILNS1_3genE10ELNS1_11target_archE1200ELNS1_3gpuE4ELNS1_3repE0EEENS1_30default_config_static_selectorELNS0_4arch9wavefront6targetE0EEEvT1_.private_seg_size, 0
	.set _ZN7rocprim17ROCPRIM_400000_NS6detail17trampoline_kernelINS0_14default_configENS1_27scan_by_key_config_selectorIxiEEZZNS1_16scan_by_key_implILNS1_25lookback_scan_determinismE0ELb1ES3_N6thrust23THRUST_200600_302600_NS6detail15normal_iteratorINS9_10device_ptrIxEEEESE_SE_iNS9_4plusIvEENS9_8equal_toIvEEiEE10hipError_tPvRmT2_T3_T4_T5_mT6_T7_P12ihipStream_tbENKUlT_T0_E_clISt17integral_constantIbLb1EESZ_EEDaSU_SV_EUlSU_E_NS1_11comp_targetILNS1_3genE10ELNS1_11target_archE1200ELNS1_3gpuE4ELNS1_3repE0EEENS1_30default_config_static_selectorELNS0_4arch9wavefront6targetE0EEEvT1_.uses_vcc, 0
	.set _ZN7rocprim17ROCPRIM_400000_NS6detail17trampoline_kernelINS0_14default_configENS1_27scan_by_key_config_selectorIxiEEZZNS1_16scan_by_key_implILNS1_25lookback_scan_determinismE0ELb1ES3_N6thrust23THRUST_200600_302600_NS6detail15normal_iteratorINS9_10device_ptrIxEEEESE_SE_iNS9_4plusIvEENS9_8equal_toIvEEiEE10hipError_tPvRmT2_T3_T4_T5_mT6_T7_P12ihipStream_tbENKUlT_T0_E_clISt17integral_constantIbLb1EESZ_EEDaSU_SV_EUlSU_E_NS1_11comp_targetILNS1_3genE10ELNS1_11target_archE1200ELNS1_3gpuE4ELNS1_3repE0EEENS1_30default_config_static_selectorELNS0_4arch9wavefront6targetE0EEEvT1_.uses_flat_scratch, 0
	.set _ZN7rocprim17ROCPRIM_400000_NS6detail17trampoline_kernelINS0_14default_configENS1_27scan_by_key_config_selectorIxiEEZZNS1_16scan_by_key_implILNS1_25lookback_scan_determinismE0ELb1ES3_N6thrust23THRUST_200600_302600_NS6detail15normal_iteratorINS9_10device_ptrIxEEEESE_SE_iNS9_4plusIvEENS9_8equal_toIvEEiEE10hipError_tPvRmT2_T3_T4_T5_mT6_T7_P12ihipStream_tbENKUlT_T0_E_clISt17integral_constantIbLb1EESZ_EEDaSU_SV_EUlSU_E_NS1_11comp_targetILNS1_3genE10ELNS1_11target_archE1200ELNS1_3gpuE4ELNS1_3repE0EEENS1_30default_config_static_selectorELNS0_4arch9wavefront6targetE0EEEvT1_.has_dyn_sized_stack, 0
	.set _ZN7rocprim17ROCPRIM_400000_NS6detail17trampoline_kernelINS0_14default_configENS1_27scan_by_key_config_selectorIxiEEZZNS1_16scan_by_key_implILNS1_25lookback_scan_determinismE0ELb1ES3_N6thrust23THRUST_200600_302600_NS6detail15normal_iteratorINS9_10device_ptrIxEEEESE_SE_iNS9_4plusIvEENS9_8equal_toIvEEiEE10hipError_tPvRmT2_T3_T4_T5_mT6_T7_P12ihipStream_tbENKUlT_T0_E_clISt17integral_constantIbLb1EESZ_EEDaSU_SV_EUlSU_E_NS1_11comp_targetILNS1_3genE10ELNS1_11target_archE1200ELNS1_3gpuE4ELNS1_3repE0EEENS1_30default_config_static_selectorELNS0_4arch9wavefront6targetE0EEEvT1_.has_recursion, 0
	.set _ZN7rocprim17ROCPRIM_400000_NS6detail17trampoline_kernelINS0_14default_configENS1_27scan_by_key_config_selectorIxiEEZZNS1_16scan_by_key_implILNS1_25lookback_scan_determinismE0ELb1ES3_N6thrust23THRUST_200600_302600_NS6detail15normal_iteratorINS9_10device_ptrIxEEEESE_SE_iNS9_4plusIvEENS9_8equal_toIvEEiEE10hipError_tPvRmT2_T3_T4_T5_mT6_T7_P12ihipStream_tbENKUlT_T0_E_clISt17integral_constantIbLb1EESZ_EEDaSU_SV_EUlSU_E_NS1_11comp_targetILNS1_3genE10ELNS1_11target_archE1200ELNS1_3gpuE4ELNS1_3repE0EEENS1_30default_config_static_selectorELNS0_4arch9wavefront6targetE0EEEvT1_.has_indirect_call, 0
	.section	.AMDGPU.csdata,"",@progbits
; Kernel info:
; codeLenInByte = 0
; TotalNumSgprs: 0
; NumVgprs: 0
; ScratchSize: 0
; MemoryBound: 0
; FloatMode: 240
; IeeeMode: 1
; LDSByteSize: 0 bytes/workgroup (compile time only)
; SGPRBlocks: 0
; VGPRBlocks: 0
; NumSGPRsForWavesPerEU: 1
; NumVGPRsForWavesPerEU: 1
; Occupancy: 16
; WaveLimiterHint : 0
; COMPUTE_PGM_RSRC2:SCRATCH_EN: 0
; COMPUTE_PGM_RSRC2:USER_SGPR: 6
; COMPUTE_PGM_RSRC2:TRAP_HANDLER: 0
; COMPUTE_PGM_RSRC2:TGID_X_EN: 1
; COMPUTE_PGM_RSRC2:TGID_Y_EN: 0
; COMPUTE_PGM_RSRC2:TGID_Z_EN: 0
; COMPUTE_PGM_RSRC2:TIDIG_COMP_CNT: 0
	.section	.text._ZN7rocprim17ROCPRIM_400000_NS6detail17trampoline_kernelINS0_14default_configENS1_27scan_by_key_config_selectorIxiEEZZNS1_16scan_by_key_implILNS1_25lookback_scan_determinismE0ELb1ES3_N6thrust23THRUST_200600_302600_NS6detail15normal_iteratorINS9_10device_ptrIxEEEESE_SE_iNS9_4plusIvEENS9_8equal_toIvEEiEE10hipError_tPvRmT2_T3_T4_T5_mT6_T7_P12ihipStream_tbENKUlT_T0_E_clISt17integral_constantIbLb1EESZ_EEDaSU_SV_EUlSU_E_NS1_11comp_targetILNS1_3genE9ELNS1_11target_archE1100ELNS1_3gpuE3ELNS1_3repE0EEENS1_30default_config_static_selectorELNS0_4arch9wavefront6targetE0EEEvT1_,"axG",@progbits,_ZN7rocprim17ROCPRIM_400000_NS6detail17trampoline_kernelINS0_14default_configENS1_27scan_by_key_config_selectorIxiEEZZNS1_16scan_by_key_implILNS1_25lookback_scan_determinismE0ELb1ES3_N6thrust23THRUST_200600_302600_NS6detail15normal_iteratorINS9_10device_ptrIxEEEESE_SE_iNS9_4plusIvEENS9_8equal_toIvEEiEE10hipError_tPvRmT2_T3_T4_T5_mT6_T7_P12ihipStream_tbENKUlT_T0_E_clISt17integral_constantIbLb1EESZ_EEDaSU_SV_EUlSU_E_NS1_11comp_targetILNS1_3genE9ELNS1_11target_archE1100ELNS1_3gpuE3ELNS1_3repE0EEENS1_30default_config_static_selectorELNS0_4arch9wavefront6targetE0EEEvT1_,comdat
	.protected	_ZN7rocprim17ROCPRIM_400000_NS6detail17trampoline_kernelINS0_14default_configENS1_27scan_by_key_config_selectorIxiEEZZNS1_16scan_by_key_implILNS1_25lookback_scan_determinismE0ELb1ES3_N6thrust23THRUST_200600_302600_NS6detail15normal_iteratorINS9_10device_ptrIxEEEESE_SE_iNS9_4plusIvEENS9_8equal_toIvEEiEE10hipError_tPvRmT2_T3_T4_T5_mT6_T7_P12ihipStream_tbENKUlT_T0_E_clISt17integral_constantIbLb1EESZ_EEDaSU_SV_EUlSU_E_NS1_11comp_targetILNS1_3genE9ELNS1_11target_archE1100ELNS1_3gpuE3ELNS1_3repE0EEENS1_30default_config_static_selectorELNS0_4arch9wavefront6targetE0EEEvT1_ ; -- Begin function _ZN7rocprim17ROCPRIM_400000_NS6detail17trampoline_kernelINS0_14default_configENS1_27scan_by_key_config_selectorIxiEEZZNS1_16scan_by_key_implILNS1_25lookback_scan_determinismE0ELb1ES3_N6thrust23THRUST_200600_302600_NS6detail15normal_iteratorINS9_10device_ptrIxEEEESE_SE_iNS9_4plusIvEENS9_8equal_toIvEEiEE10hipError_tPvRmT2_T3_T4_T5_mT6_T7_P12ihipStream_tbENKUlT_T0_E_clISt17integral_constantIbLb1EESZ_EEDaSU_SV_EUlSU_E_NS1_11comp_targetILNS1_3genE9ELNS1_11target_archE1100ELNS1_3gpuE3ELNS1_3repE0EEENS1_30default_config_static_selectorELNS0_4arch9wavefront6targetE0EEEvT1_
	.globl	_ZN7rocprim17ROCPRIM_400000_NS6detail17trampoline_kernelINS0_14default_configENS1_27scan_by_key_config_selectorIxiEEZZNS1_16scan_by_key_implILNS1_25lookback_scan_determinismE0ELb1ES3_N6thrust23THRUST_200600_302600_NS6detail15normal_iteratorINS9_10device_ptrIxEEEESE_SE_iNS9_4plusIvEENS9_8equal_toIvEEiEE10hipError_tPvRmT2_T3_T4_T5_mT6_T7_P12ihipStream_tbENKUlT_T0_E_clISt17integral_constantIbLb1EESZ_EEDaSU_SV_EUlSU_E_NS1_11comp_targetILNS1_3genE9ELNS1_11target_archE1100ELNS1_3gpuE3ELNS1_3repE0EEENS1_30default_config_static_selectorELNS0_4arch9wavefront6targetE0EEEvT1_
	.p2align	8
	.type	_ZN7rocprim17ROCPRIM_400000_NS6detail17trampoline_kernelINS0_14default_configENS1_27scan_by_key_config_selectorIxiEEZZNS1_16scan_by_key_implILNS1_25lookback_scan_determinismE0ELb1ES3_N6thrust23THRUST_200600_302600_NS6detail15normal_iteratorINS9_10device_ptrIxEEEESE_SE_iNS9_4plusIvEENS9_8equal_toIvEEiEE10hipError_tPvRmT2_T3_T4_T5_mT6_T7_P12ihipStream_tbENKUlT_T0_E_clISt17integral_constantIbLb1EESZ_EEDaSU_SV_EUlSU_E_NS1_11comp_targetILNS1_3genE9ELNS1_11target_archE1100ELNS1_3gpuE3ELNS1_3repE0EEENS1_30default_config_static_selectorELNS0_4arch9wavefront6targetE0EEEvT1_,@function
_ZN7rocprim17ROCPRIM_400000_NS6detail17trampoline_kernelINS0_14default_configENS1_27scan_by_key_config_selectorIxiEEZZNS1_16scan_by_key_implILNS1_25lookback_scan_determinismE0ELb1ES3_N6thrust23THRUST_200600_302600_NS6detail15normal_iteratorINS9_10device_ptrIxEEEESE_SE_iNS9_4plusIvEENS9_8equal_toIvEEiEE10hipError_tPvRmT2_T3_T4_T5_mT6_T7_P12ihipStream_tbENKUlT_T0_E_clISt17integral_constantIbLb1EESZ_EEDaSU_SV_EUlSU_E_NS1_11comp_targetILNS1_3genE9ELNS1_11target_archE1100ELNS1_3gpuE3ELNS1_3repE0EEENS1_30default_config_static_selectorELNS0_4arch9wavefront6targetE0EEEvT1_: ; @_ZN7rocprim17ROCPRIM_400000_NS6detail17trampoline_kernelINS0_14default_configENS1_27scan_by_key_config_selectorIxiEEZZNS1_16scan_by_key_implILNS1_25lookback_scan_determinismE0ELb1ES3_N6thrust23THRUST_200600_302600_NS6detail15normal_iteratorINS9_10device_ptrIxEEEESE_SE_iNS9_4plusIvEENS9_8equal_toIvEEiEE10hipError_tPvRmT2_T3_T4_T5_mT6_T7_P12ihipStream_tbENKUlT_T0_E_clISt17integral_constantIbLb1EESZ_EEDaSU_SV_EUlSU_E_NS1_11comp_targetILNS1_3genE9ELNS1_11target_archE1100ELNS1_3gpuE3ELNS1_3repE0EEENS1_30default_config_static_selectorELNS0_4arch9wavefront6targetE0EEEvT1_
; %bb.0:
	.section	.rodata,"a",@progbits
	.p2align	6, 0x0
	.amdhsa_kernel _ZN7rocprim17ROCPRIM_400000_NS6detail17trampoline_kernelINS0_14default_configENS1_27scan_by_key_config_selectorIxiEEZZNS1_16scan_by_key_implILNS1_25lookback_scan_determinismE0ELb1ES3_N6thrust23THRUST_200600_302600_NS6detail15normal_iteratorINS9_10device_ptrIxEEEESE_SE_iNS9_4plusIvEENS9_8equal_toIvEEiEE10hipError_tPvRmT2_T3_T4_T5_mT6_T7_P12ihipStream_tbENKUlT_T0_E_clISt17integral_constantIbLb1EESZ_EEDaSU_SV_EUlSU_E_NS1_11comp_targetILNS1_3genE9ELNS1_11target_archE1100ELNS1_3gpuE3ELNS1_3repE0EEENS1_30default_config_static_selectorELNS0_4arch9wavefront6targetE0EEEvT1_
		.amdhsa_group_segment_fixed_size 0
		.amdhsa_private_segment_fixed_size 0
		.amdhsa_kernarg_size 112
		.amdhsa_user_sgpr_count 6
		.amdhsa_user_sgpr_private_segment_buffer 1
		.amdhsa_user_sgpr_dispatch_ptr 0
		.amdhsa_user_sgpr_queue_ptr 0
		.amdhsa_user_sgpr_kernarg_segment_ptr 1
		.amdhsa_user_sgpr_dispatch_id 0
		.amdhsa_user_sgpr_flat_scratch_init 0
		.amdhsa_user_sgpr_private_segment_size 0
		.amdhsa_wavefront_size32 1
		.amdhsa_uses_dynamic_stack 0
		.amdhsa_system_sgpr_private_segment_wavefront_offset 0
		.amdhsa_system_sgpr_workgroup_id_x 1
		.amdhsa_system_sgpr_workgroup_id_y 0
		.amdhsa_system_sgpr_workgroup_id_z 0
		.amdhsa_system_sgpr_workgroup_info 0
		.amdhsa_system_vgpr_workitem_id 0
		.amdhsa_next_free_vgpr 1
		.amdhsa_next_free_sgpr 1
		.amdhsa_reserve_vcc 0
		.amdhsa_reserve_flat_scratch 0
		.amdhsa_float_round_mode_32 0
		.amdhsa_float_round_mode_16_64 0
		.amdhsa_float_denorm_mode_32 3
		.amdhsa_float_denorm_mode_16_64 3
		.amdhsa_dx10_clamp 1
		.amdhsa_ieee_mode 1
		.amdhsa_fp16_overflow 0
		.amdhsa_workgroup_processor_mode 1
		.amdhsa_memory_ordered 1
		.amdhsa_forward_progress 1
		.amdhsa_shared_vgpr_count 0
		.amdhsa_exception_fp_ieee_invalid_op 0
		.amdhsa_exception_fp_denorm_src 0
		.amdhsa_exception_fp_ieee_div_zero 0
		.amdhsa_exception_fp_ieee_overflow 0
		.amdhsa_exception_fp_ieee_underflow 0
		.amdhsa_exception_fp_ieee_inexact 0
		.amdhsa_exception_int_div_zero 0
	.end_amdhsa_kernel
	.section	.text._ZN7rocprim17ROCPRIM_400000_NS6detail17trampoline_kernelINS0_14default_configENS1_27scan_by_key_config_selectorIxiEEZZNS1_16scan_by_key_implILNS1_25lookback_scan_determinismE0ELb1ES3_N6thrust23THRUST_200600_302600_NS6detail15normal_iteratorINS9_10device_ptrIxEEEESE_SE_iNS9_4plusIvEENS9_8equal_toIvEEiEE10hipError_tPvRmT2_T3_T4_T5_mT6_T7_P12ihipStream_tbENKUlT_T0_E_clISt17integral_constantIbLb1EESZ_EEDaSU_SV_EUlSU_E_NS1_11comp_targetILNS1_3genE9ELNS1_11target_archE1100ELNS1_3gpuE3ELNS1_3repE0EEENS1_30default_config_static_selectorELNS0_4arch9wavefront6targetE0EEEvT1_,"axG",@progbits,_ZN7rocprim17ROCPRIM_400000_NS6detail17trampoline_kernelINS0_14default_configENS1_27scan_by_key_config_selectorIxiEEZZNS1_16scan_by_key_implILNS1_25lookback_scan_determinismE0ELb1ES3_N6thrust23THRUST_200600_302600_NS6detail15normal_iteratorINS9_10device_ptrIxEEEESE_SE_iNS9_4plusIvEENS9_8equal_toIvEEiEE10hipError_tPvRmT2_T3_T4_T5_mT6_T7_P12ihipStream_tbENKUlT_T0_E_clISt17integral_constantIbLb1EESZ_EEDaSU_SV_EUlSU_E_NS1_11comp_targetILNS1_3genE9ELNS1_11target_archE1100ELNS1_3gpuE3ELNS1_3repE0EEENS1_30default_config_static_selectorELNS0_4arch9wavefront6targetE0EEEvT1_,comdat
.Lfunc_end1019:
	.size	_ZN7rocprim17ROCPRIM_400000_NS6detail17trampoline_kernelINS0_14default_configENS1_27scan_by_key_config_selectorIxiEEZZNS1_16scan_by_key_implILNS1_25lookback_scan_determinismE0ELb1ES3_N6thrust23THRUST_200600_302600_NS6detail15normal_iteratorINS9_10device_ptrIxEEEESE_SE_iNS9_4plusIvEENS9_8equal_toIvEEiEE10hipError_tPvRmT2_T3_T4_T5_mT6_T7_P12ihipStream_tbENKUlT_T0_E_clISt17integral_constantIbLb1EESZ_EEDaSU_SV_EUlSU_E_NS1_11comp_targetILNS1_3genE9ELNS1_11target_archE1100ELNS1_3gpuE3ELNS1_3repE0EEENS1_30default_config_static_selectorELNS0_4arch9wavefront6targetE0EEEvT1_, .Lfunc_end1019-_ZN7rocprim17ROCPRIM_400000_NS6detail17trampoline_kernelINS0_14default_configENS1_27scan_by_key_config_selectorIxiEEZZNS1_16scan_by_key_implILNS1_25lookback_scan_determinismE0ELb1ES3_N6thrust23THRUST_200600_302600_NS6detail15normal_iteratorINS9_10device_ptrIxEEEESE_SE_iNS9_4plusIvEENS9_8equal_toIvEEiEE10hipError_tPvRmT2_T3_T4_T5_mT6_T7_P12ihipStream_tbENKUlT_T0_E_clISt17integral_constantIbLb1EESZ_EEDaSU_SV_EUlSU_E_NS1_11comp_targetILNS1_3genE9ELNS1_11target_archE1100ELNS1_3gpuE3ELNS1_3repE0EEENS1_30default_config_static_selectorELNS0_4arch9wavefront6targetE0EEEvT1_
                                        ; -- End function
	.set _ZN7rocprim17ROCPRIM_400000_NS6detail17trampoline_kernelINS0_14default_configENS1_27scan_by_key_config_selectorIxiEEZZNS1_16scan_by_key_implILNS1_25lookback_scan_determinismE0ELb1ES3_N6thrust23THRUST_200600_302600_NS6detail15normal_iteratorINS9_10device_ptrIxEEEESE_SE_iNS9_4plusIvEENS9_8equal_toIvEEiEE10hipError_tPvRmT2_T3_T4_T5_mT6_T7_P12ihipStream_tbENKUlT_T0_E_clISt17integral_constantIbLb1EESZ_EEDaSU_SV_EUlSU_E_NS1_11comp_targetILNS1_3genE9ELNS1_11target_archE1100ELNS1_3gpuE3ELNS1_3repE0EEENS1_30default_config_static_selectorELNS0_4arch9wavefront6targetE0EEEvT1_.num_vgpr, 0
	.set _ZN7rocprim17ROCPRIM_400000_NS6detail17trampoline_kernelINS0_14default_configENS1_27scan_by_key_config_selectorIxiEEZZNS1_16scan_by_key_implILNS1_25lookback_scan_determinismE0ELb1ES3_N6thrust23THRUST_200600_302600_NS6detail15normal_iteratorINS9_10device_ptrIxEEEESE_SE_iNS9_4plusIvEENS9_8equal_toIvEEiEE10hipError_tPvRmT2_T3_T4_T5_mT6_T7_P12ihipStream_tbENKUlT_T0_E_clISt17integral_constantIbLb1EESZ_EEDaSU_SV_EUlSU_E_NS1_11comp_targetILNS1_3genE9ELNS1_11target_archE1100ELNS1_3gpuE3ELNS1_3repE0EEENS1_30default_config_static_selectorELNS0_4arch9wavefront6targetE0EEEvT1_.num_agpr, 0
	.set _ZN7rocprim17ROCPRIM_400000_NS6detail17trampoline_kernelINS0_14default_configENS1_27scan_by_key_config_selectorIxiEEZZNS1_16scan_by_key_implILNS1_25lookback_scan_determinismE0ELb1ES3_N6thrust23THRUST_200600_302600_NS6detail15normal_iteratorINS9_10device_ptrIxEEEESE_SE_iNS9_4plusIvEENS9_8equal_toIvEEiEE10hipError_tPvRmT2_T3_T4_T5_mT6_T7_P12ihipStream_tbENKUlT_T0_E_clISt17integral_constantIbLb1EESZ_EEDaSU_SV_EUlSU_E_NS1_11comp_targetILNS1_3genE9ELNS1_11target_archE1100ELNS1_3gpuE3ELNS1_3repE0EEENS1_30default_config_static_selectorELNS0_4arch9wavefront6targetE0EEEvT1_.numbered_sgpr, 0
	.set _ZN7rocprim17ROCPRIM_400000_NS6detail17trampoline_kernelINS0_14default_configENS1_27scan_by_key_config_selectorIxiEEZZNS1_16scan_by_key_implILNS1_25lookback_scan_determinismE0ELb1ES3_N6thrust23THRUST_200600_302600_NS6detail15normal_iteratorINS9_10device_ptrIxEEEESE_SE_iNS9_4plusIvEENS9_8equal_toIvEEiEE10hipError_tPvRmT2_T3_T4_T5_mT6_T7_P12ihipStream_tbENKUlT_T0_E_clISt17integral_constantIbLb1EESZ_EEDaSU_SV_EUlSU_E_NS1_11comp_targetILNS1_3genE9ELNS1_11target_archE1100ELNS1_3gpuE3ELNS1_3repE0EEENS1_30default_config_static_selectorELNS0_4arch9wavefront6targetE0EEEvT1_.num_named_barrier, 0
	.set _ZN7rocprim17ROCPRIM_400000_NS6detail17trampoline_kernelINS0_14default_configENS1_27scan_by_key_config_selectorIxiEEZZNS1_16scan_by_key_implILNS1_25lookback_scan_determinismE0ELb1ES3_N6thrust23THRUST_200600_302600_NS6detail15normal_iteratorINS9_10device_ptrIxEEEESE_SE_iNS9_4plusIvEENS9_8equal_toIvEEiEE10hipError_tPvRmT2_T3_T4_T5_mT6_T7_P12ihipStream_tbENKUlT_T0_E_clISt17integral_constantIbLb1EESZ_EEDaSU_SV_EUlSU_E_NS1_11comp_targetILNS1_3genE9ELNS1_11target_archE1100ELNS1_3gpuE3ELNS1_3repE0EEENS1_30default_config_static_selectorELNS0_4arch9wavefront6targetE0EEEvT1_.private_seg_size, 0
	.set _ZN7rocprim17ROCPRIM_400000_NS6detail17trampoline_kernelINS0_14default_configENS1_27scan_by_key_config_selectorIxiEEZZNS1_16scan_by_key_implILNS1_25lookback_scan_determinismE0ELb1ES3_N6thrust23THRUST_200600_302600_NS6detail15normal_iteratorINS9_10device_ptrIxEEEESE_SE_iNS9_4plusIvEENS9_8equal_toIvEEiEE10hipError_tPvRmT2_T3_T4_T5_mT6_T7_P12ihipStream_tbENKUlT_T0_E_clISt17integral_constantIbLb1EESZ_EEDaSU_SV_EUlSU_E_NS1_11comp_targetILNS1_3genE9ELNS1_11target_archE1100ELNS1_3gpuE3ELNS1_3repE0EEENS1_30default_config_static_selectorELNS0_4arch9wavefront6targetE0EEEvT1_.uses_vcc, 0
	.set _ZN7rocprim17ROCPRIM_400000_NS6detail17trampoline_kernelINS0_14default_configENS1_27scan_by_key_config_selectorIxiEEZZNS1_16scan_by_key_implILNS1_25lookback_scan_determinismE0ELb1ES3_N6thrust23THRUST_200600_302600_NS6detail15normal_iteratorINS9_10device_ptrIxEEEESE_SE_iNS9_4plusIvEENS9_8equal_toIvEEiEE10hipError_tPvRmT2_T3_T4_T5_mT6_T7_P12ihipStream_tbENKUlT_T0_E_clISt17integral_constantIbLb1EESZ_EEDaSU_SV_EUlSU_E_NS1_11comp_targetILNS1_3genE9ELNS1_11target_archE1100ELNS1_3gpuE3ELNS1_3repE0EEENS1_30default_config_static_selectorELNS0_4arch9wavefront6targetE0EEEvT1_.uses_flat_scratch, 0
	.set _ZN7rocprim17ROCPRIM_400000_NS6detail17trampoline_kernelINS0_14default_configENS1_27scan_by_key_config_selectorIxiEEZZNS1_16scan_by_key_implILNS1_25lookback_scan_determinismE0ELb1ES3_N6thrust23THRUST_200600_302600_NS6detail15normal_iteratorINS9_10device_ptrIxEEEESE_SE_iNS9_4plusIvEENS9_8equal_toIvEEiEE10hipError_tPvRmT2_T3_T4_T5_mT6_T7_P12ihipStream_tbENKUlT_T0_E_clISt17integral_constantIbLb1EESZ_EEDaSU_SV_EUlSU_E_NS1_11comp_targetILNS1_3genE9ELNS1_11target_archE1100ELNS1_3gpuE3ELNS1_3repE0EEENS1_30default_config_static_selectorELNS0_4arch9wavefront6targetE0EEEvT1_.has_dyn_sized_stack, 0
	.set _ZN7rocprim17ROCPRIM_400000_NS6detail17trampoline_kernelINS0_14default_configENS1_27scan_by_key_config_selectorIxiEEZZNS1_16scan_by_key_implILNS1_25lookback_scan_determinismE0ELb1ES3_N6thrust23THRUST_200600_302600_NS6detail15normal_iteratorINS9_10device_ptrIxEEEESE_SE_iNS9_4plusIvEENS9_8equal_toIvEEiEE10hipError_tPvRmT2_T3_T4_T5_mT6_T7_P12ihipStream_tbENKUlT_T0_E_clISt17integral_constantIbLb1EESZ_EEDaSU_SV_EUlSU_E_NS1_11comp_targetILNS1_3genE9ELNS1_11target_archE1100ELNS1_3gpuE3ELNS1_3repE0EEENS1_30default_config_static_selectorELNS0_4arch9wavefront6targetE0EEEvT1_.has_recursion, 0
	.set _ZN7rocprim17ROCPRIM_400000_NS6detail17trampoline_kernelINS0_14default_configENS1_27scan_by_key_config_selectorIxiEEZZNS1_16scan_by_key_implILNS1_25lookback_scan_determinismE0ELb1ES3_N6thrust23THRUST_200600_302600_NS6detail15normal_iteratorINS9_10device_ptrIxEEEESE_SE_iNS9_4plusIvEENS9_8equal_toIvEEiEE10hipError_tPvRmT2_T3_T4_T5_mT6_T7_P12ihipStream_tbENKUlT_T0_E_clISt17integral_constantIbLb1EESZ_EEDaSU_SV_EUlSU_E_NS1_11comp_targetILNS1_3genE9ELNS1_11target_archE1100ELNS1_3gpuE3ELNS1_3repE0EEENS1_30default_config_static_selectorELNS0_4arch9wavefront6targetE0EEEvT1_.has_indirect_call, 0
	.section	.AMDGPU.csdata,"",@progbits
; Kernel info:
; codeLenInByte = 0
; TotalNumSgprs: 0
; NumVgprs: 0
; ScratchSize: 0
; MemoryBound: 0
; FloatMode: 240
; IeeeMode: 1
; LDSByteSize: 0 bytes/workgroup (compile time only)
; SGPRBlocks: 0
; VGPRBlocks: 0
; NumSGPRsForWavesPerEU: 1
; NumVGPRsForWavesPerEU: 1
; Occupancy: 16
; WaveLimiterHint : 0
; COMPUTE_PGM_RSRC2:SCRATCH_EN: 0
; COMPUTE_PGM_RSRC2:USER_SGPR: 6
; COMPUTE_PGM_RSRC2:TRAP_HANDLER: 0
; COMPUTE_PGM_RSRC2:TGID_X_EN: 1
; COMPUTE_PGM_RSRC2:TGID_Y_EN: 0
; COMPUTE_PGM_RSRC2:TGID_Z_EN: 0
; COMPUTE_PGM_RSRC2:TIDIG_COMP_CNT: 0
	.section	.text._ZN7rocprim17ROCPRIM_400000_NS6detail17trampoline_kernelINS0_14default_configENS1_27scan_by_key_config_selectorIxiEEZZNS1_16scan_by_key_implILNS1_25lookback_scan_determinismE0ELb1ES3_N6thrust23THRUST_200600_302600_NS6detail15normal_iteratorINS9_10device_ptrIxEEEESE_SE_iNS9_4plusIvEENS9_8equal_toIvEEiEE10hipError_tPvRmT2_T3_T4_T5_mT6_T7_P12ihipStream_tbENKUlT_T0_E_clISt17integral_constantIbLb1EESZ_EEDaSU_SV_EUlSU_E_NS1_11comp_targetILNS1_3genE8ELNS1_11target_archE1030ELNS1_3gpuE2ELNS1_3repE0EEENS1_30default_config_static_selectorELNS0_4arch9wavefront6targetE0EEEvT1_,"axG",@progbits,_ZN7rocprim17ROCPRIM_400000_NS6detail17trampoline_kernelINS0_14default_configENS1_27scan_by_key_config_selectorIxiEEZZNS1_16scan_by_key_implILNS1_25lookback_scan_determinismE0ELb1ES3_N6thrust23THRUST_200600_302600_NS6detail15normal_iteratorINS9_10device_ptrIxEEEESE_SE_iNS9_4plusIvEENS9_8equal_toIvEEiEE10hipError_tPvRmT2_T3_T4_T5_mT6_T7_P12ihipStream_tbENKUlT_T0_E_clISt17integral_constantIbLb1EESZ_EEDaSU_SV_EUlSU_E_NS1_11comp_targetILNS1_3genE8ELNS1_11target_archE1030ELNS1_3gpuE2ELNS1_3repE0EEENS1_30default_config_static_selectorELNS0_4arch9wavefront6targetE0EEEvT1_,comdat
	.protected	_ZN7rocprim17ROCPRIM_400000_NS6detail17trampoline_kernelINS0_14default_configENS1_27scan_by_key_config_selectorIxiEEZZNS1_16scan_by_key_implILNS1_25lookback_scan_determinismE0ELb1ES3_N6thrust23THRUST_200600_302600_NS6detail15normal_iteratorINS9_10device_ptrIxEEEESE_SE_iNS9_4plusIvEENS9_8equal_toIvEEiEE10hipError_tPvRmT2_T3_T4_T5_mT6_T7_P12ihipStream_tbENKUlT_T0_E_clISt17integral_constantIbLb1EESZ_EEDaSU_SV_EUlSU_E_NS1_11comp_targetILNS1_3genE8ELNS1_11target_archE1030ELNS1_3gpuE2ELNS1_3repE0EEENS1_30default_config_static_selectorELNS0_4arch9wavefront6targetE0EEEvT1_ ; -- Begin function _ZN7rocprim17ROCPRIM_400000_NS6detail17trampoline_kernelINS0_14default_configENS1_27scan_by_key_config_selectorIxiEEZZNS1_16scan_by_key_implILNS1_25lookback_scan_determinismE0ELb1ES3_N6thrust23THRUST_200600_302600_NS6detail15normal_iteratorINS9_10device_ptrIxEEEESE_SE_iNS9_4plusIvEENS9_8equal_toIvEEiEE10hipError_tPvRmT2_T3_T4_T5_mT6_T7_P12ihipStream_tbENKUlT_T0_E_clISt17integral_constantIbLb1EESZ_EEDaSU_SV_EUlSU_E_NS1_11comp_targetILNS1_3genE8ELNS1_11target_archE1030ELNS1_3gpuE2ELNS1_3repE0EEENS1_30default_config_static_selectorELNS0_4arch9wavefront6targetE0EEEvT1_
	.globl	_ZN7rocprim17ROCPRIM_400000_NS6detail17trampoline_kernelINS0_14default_configENS1_27scan_by_key_config_selectorIxiEEZZNS1_16scan_by_key_implILNS1_25lookback_scan_determinismE0ELb1ES3_N6thrust23THRUST_200600_302600_NS6detail15normal_iteratorINS9_10device_ptrIxEEEESE_SE_iNS9_4plusIvEENS9_8equal_toIvEEiEE10hipError_tPvRmT2_T3_T4_T5_mT6_T7_P12ihipStream_tbENKUlT_T0_E_clISt17integral_constantIbLb1EESZ_EEDaSU_SV_EUlSU_E_NS1_11comp_targetILNS1_3genE8ELNS1_11target_archE1030ELNS1_3gpuE2ELNS1_3repE0EEENS1_30default_config_static_selectorELNS0_4arch9wavefront6targetE0EEEvT1_
	.p2align	8
	.type	_ZN7rocprim17ROCPRIM_400000_NS6detail17trampoline_kernelINS0_14default_configENS1_27scan_by_key_config_selectorIxiEEZZNS1_16scan_by_key_implILNS1_25lookback_scan_determinismE0ELb1ES3_N6thrust23THRUST_200600_302600_NS6detail15normal_iteratorINS9_10device_ptrIxEEEESE_SE_iNS9_4plusIvEENS9_8equal_toIvEEiEE10hipError_tPvRmT2_T3_T4_T5_mT6_T7_P12ihipStream_tbENKUlT_T0_E_clISt17integral_constantIbLb1EESZ_EEDaSU_SV_EUlSU_E_NS1_11comp_targetILNS1_3genE8ELNS1_11target_archE1030ELNS1_3gpuE2ELNS1_3repE0EEENS1_30default_config_static_selectorELNS0_4arch9wavefront6targetE0EEEvT1_,@function
_ZN7rocprim17ROCPRIM_400000_NS6detail17trampoline_kernelINS0_14default_configENS1_27scan_by_key_config_selectorIxiEEZZNS1_16scan_by_key_implILNS1_25lookback_scan_determinismE0ELb1ES3_N6thrust23THRUST_200600_302600_NS6detail15normal_iteratorINS9_10device_ptrIxEEEESE_SE_iNS9_4plusIvEENS9_8equal_toIvEEiEE10hipError_tPvRmT2_T3_T4_T5_mT6_T7_P12ihipStream_tbENKUlT_T0_E_clISt17integral_constantIbLb1EESZ_EEDaSU_SV_EUlSU_E_NS1_11comp_targetILNS1_3genE8ELNS1_11target_archE1030ELNS1_3gpuE2ELNS1_3repE0EEENS1_30default_config_static_selectorELNS0_4arch9wavefront6targetE0EEEvT1_: ; @_ZN7rocprim17ROCPRIM_400000_NS6detail17trampoline_kernelINS0_14default_configENS1_27scan_by_key_config_selectorIxiEEZZNS1_16scan_by_key_implILNS1_25lookback_scan_determinismE0ELb1ES3_N6thrust23THRUST_200600_302600_NS6detail15normal_iteratorINS9_10device_ptrIxEEEESE_SE_iNS9_4plusIvEENS9_8equal_toIvEEiEE10hipError_tPvRmT2_T3_T4_T5_mT6_T7_P12ihipStream_tbENKUlT_T0_E_clISt17integral_constantIbLb1EESZ_EEDaSU_SV_EUlSU_E_NS1_11comp_targetILNS1_3genE8ELNS1_11target_archE1030ELNS1_3gpuE2ELNS1_3repE0EEENS1_30default_config_static_selectorELNS0_4arch9wavefront6targetE0EEEvT1_
; %bb.0:
	s_endpgm
	.section	.rodata,"a",@progbits
	.p2align	6, 0x0
	.amdhsa_kernel _ZN7rocprim17ROCPRIM_400000_NS6detail17trampoline_kernelINS0_14default_configENS1_27scan_by_key_config_selectorIxiEEZZNS1_16scan_by_key_implILNS1_25lookback_scan_determinismE0ELb1ES3_N6thrust23THRUST_200600_302600_NS6detail15normal_iteratorINS9_10device_ptrIxEEEESE_SE_iNS9_4plusIvEENS9_8equal_toIvEEiEE10hipError_tPvRmT2_T3_T4_T5_mT6_T7_P12ihipStream_tbENKUlT_T0_E_clISt17integral_constantIbLb1EESZ_EEDaSU_SV_EUlSU_E_NS1_11comp_targetILNS1_3genE8ELNS1_11target_archE1030ELNS1_3gpuE2ELNS1_3repE0EEENS1_30default_config_static_selectorELNS0_4arch9wavefront6targetE0EEEvT1_
		.amdhsa_group_segment_fixed_size 0
		.amdhsa_private_segment_fixed_size 0
		.amdhsa_kernarg_size 112
		.amdhsa_user_sgpr_count 6
		.amdhsa_user_sgpr_private_segment_buffer 1
		.amdhsa_user_sgpr_dispatch_ptr 0
		.amdhsa_user_sgpr_queue_ptr 0
		.amdhsa_user_sgpr_kernarg_segment_ptr 1
		.amdhsa_user_sgpr_dispatch_id 0
		.amdhsa_user_sgpr_flat_scratch_init 0
		.amdhsa_user_sgpr_private_segment_size 0
		.amdhsa_wavefront_size32 1
		.amdhsa_uses_dynamic_stack 0
		.amdhsa_system_sgpr_private_segment_wavefront_offset 0
		.amdhsa_system_sgpr_workgroup_id_x 1
		.amdhsa_system_sgpr_workgroup_id_y 0
		.amdhsa_system_sgpr_workgroup_id_z 0
		.amdhsa_system_sgpr_workgroup_info 0
		.amdhsa_system_vgpr_workitem_id 0
		.amdhsa_next_free_vgpr 1
		.amdhsa_next_free_sgpr 1
		.amdhsa_reserve_vcc 0
		.amdhsa_reserve_flat_scratch 0
		.amdhsa_float_round_mode_32 0
		.amdhsa_float_round_mode_16_64 0
		.amdhsa_float_denorm_mode_32 3
		.amdhsa_float_denorm_mode_16_64 3
		.amdhsa_dx10_clamp 1
		.amdhsa_ieee_mode 1
		.amdhsa_fp16_overflow 0
		.amdhsa_workgroup_processor_mode 1
		.amdhsa_memory_ordered 1
		.amdhsa_forward_progress 1
		.amdhsa_shared_vgpr_count 0
		.amdhsa_exception_fp_ieee_invalid_op 0
		.amdhsa_exception_fp_denorm_src 0
		.amdhsa_exception_fp_ieee_div_zero 0
		.amdhsa_exception_fp_ieee_overflow 0
		.amdhsa_exception_fp_ieee_underflow 0
		.amdhsa_exception_fp_ieee_inexact 0
		.amdhsa_exception_int_div_zero 0
	.end_amdhsa_kernel
	.section	.text._ZN7rocprim17ROCPRIM_400000_NS6detail17trampoline_kernelINS0_14default_configENS1_27scan_by_key_config_selectorIxiEEZZNS1_16scan_by_key_implILNS1_25lookback_scan_determinismE0ELb1ES3_N6thrust23THRUST_200600_302600_NS6detail15normal_iteratorINS9_10device_ptrIxEEEESE_SE_iNS9_4plusIvEENS9_8equal_toIvEEiEE10hipError_tPvRmT2_T3_T4_T5_mT6_T7_P12ihipStream_tbENKUlT_T0_E_clISt17integral_constantIbLb1EESZ_EEDaSU_SV_EUlSU_E_NS1_11comp_targetILNS1_3genE8ELNS1_11target_archE1030ELNS1_3gpuE2ELNS1_3repE0EEENS1_30default_config_static_selectorELNS0_4arch9wavefront6targetE0EEEvT1_,"axG",@progbits,_ZN7rocprim17ROCPRIM_400000_NS6detail17trampoline_kernelINS0_14default_configENS1_27scan_by_key_config_selectorIxiEEZZNS1_16scan_by_key_implILNS1_25lookback_scan_determinismE0ELb1ES3_N6thrust23THRUST_200600_302600_NS6detail15normal_iteratorINS9_10device_ptrIxEEEESE_SE_iNS9_4plusIvEENS9_8equal_toIvEEiEE10hipError_tPvRmT2_T3_T4_T5_mT6_T7_P12ihipStream_tbENKUlT_T0_E_clISt17integral_constantIbLb1EESZ_EEDaSU_SV_EUlSU_E_NS1_11comp_targetILNS1_3genE8ELNS1_11target_archE1030ELNS1_3gpuE2ELNS1_3repE0EEENS1_30default_config_static_selectorELNS0_4arch9wavefront6targetE0EEEvT1_,comdat
.Lfunc_end1020:
	.size	_ZN7rocprim17ROCPRIM_400000_NS6detail17trampoline_kernelINS0_14default_configENS1_27scan_by_key_config_selectorIxiEEZZNS1_16scan_by_key_implILNS1_25lookback_scan_determinismE0ELb1ES3_N6thrust23THRUST_200600_302600_NS6detail15normal_iteratorINS9_10device_ptrIxEEEESE_SE_iNS9_4plusIvEENS9_8equal_toIvEEiEE10hipError_tPvRmT2_T3_T4_T5_mT6_T7_P12ihipStream_tbENKUlT_T0_E_clISt17integral_constantIbLb1EESZ_EEDaSU_SV_EUlSU_E_NS1_11comp_targetILNS1_3genE8ELNS1_11target_archE1030ELNS1_3gpuE2ELNS1_3repE0EEENS1_30default_config_static_selectorELNS0_4arch9wavefront6targetE0EEEvT1_, .Lfunc_end1020-_ZN7rocprim17ROCPRIM_400000_NS6detail17trampoline_kernelINS0_14default_configENS1_27scan_by_key_config_selectorIxiEEZZNS1_16scan_by_key_implILNS1_25lookback_scan_determinismE0ELb1ES3_N6thrust23THRUST_200600_302600_NS6detail15normal_iteratorINS9_10device_ptrIxEEEESE_SE_iNS9_4plusIvEENS9_8equal_toIvEEiEE10hipError_tPvRmT2_T3_T4_T5_mT6_T7_P12ihipStream_tbENKUlT_T0_E_clISt17integral_constantIbLb1EESZ_EEDaSU_SV_EUlSU_E_NS1_11comp_targetILNS1_3genE8ELNS1_11target_archE1030ELNS1_3gpuE2ELNS1_3repE0EEENS1_30default_config_static_selectorELNS0_4arch9wavefront6targetE0EEEvT1_
                                        ; -- End function
	.set _ZN7rocprim17ROCPRIM_400000_NS6detail17trampoline_kernelINS0_14default_configENS1_27scan_by_key_config_selectorIxiEEZZNS1_16scan_by_key_implILNS1_25lookback_scan_determinismE0ELb1ES3_N6thrust23THRUST_200600_302600_NS6detail15normal_iteratorINS9_10device_ptrIxEEEESE_SE_iNS9_4plusIvEENS9_8equal_toIvEEiEE10hipError_tPvRmT2_T3_T4_T5_mT6_T7_P12ihipStream_tbENKUlT_T0_E_clISt17integral_constantIbLb1EESZ_EEDaSU_SV_EUlSU_E_NS1_11comp_targetILNS1_3genE8ELNS1_11target_archE1030ELNS1_3gpuE2ELNS1_3repE0EEENS1_30default_config_static_selectorELNS0_4arch9wavefront6targetE0EEEvT1_.num_vgpr, 0
	.set _ZN7rocprim17ROCPRIM_400000_NS6detail17trampoline_kernelINS0_14default_configENS1_27scan_by_key_config_selectorIxiEEZZNS1_16scan_by_key_implILNS1_25lookback_scan_determinismE0ELb1ES3_N6thrust23THRUST_200600_302600_NS6detail15normal_iteratorINS9_10device_ptrIxEEEESE_SE_iNS9_4plusIvEENS9_8equal_toIvEEiEE10hipError_tPvRmT2_T3_T4_T5_mT6_T7_P12ihipStream_tbENKUlT_T0_E_clISt17integral_constantIbLb1EESZ_EEDaSU_SV_EUlSU_E_NS1_11comp_targetILNS1_3genE8ELNS1_11target_archE1030ELNS1_3gpuE2ELNS1_3repE0EEENS1_30default_config_static_selectorELNS0_4arch9wavefront6targetE0EEEvT1_.num_agpr, 0
	.set _ZN7rocprim17ROCPRIM_400000_NS6detail17trampoline_kernelINS0_14default_configENS1_27scan_by_key_config_selectorIxiEEZZNS1_16scan_by_key_implILNS1_25lookback_scan_determinismE0ELb1ES3_N6thrust23THRUST_200600_302600_NS6detail15normal_iteratorINS9_10device_ptrIxEEEESE_SE_iNS9_4plusIvEENS9_8equal_toIvEEiEE10hipError_tPvRmT2_T3_T4_T5_mT6_T7_P12ihipStream_tbENKUlT_T0_E_clISt17integral_constantIbLb1EESZ_EEDaSU_SV_EUlSU_E_NS1_11comp_targetILNS1_3genE8ELNS1_11target_archE1030ELNS1_3gpuE2ELNS1_3repE0EEENS1_30default_config_static_selectorELNS0_4arch9wavefront6targetE0EEEvT1_.numbered_sgpr, 0
	.set _ZN7rocprim17ROCPRIM_400000_NS6detail17trampoline_kernelINS0_14default_configENS1_27scan_by_key_config_selectorIxiEEZZNS1_16scan_by_key_implILNS1_25lookback_scan_determinismE0ELb1ES3_N6thrust23THRUST_200600_302600_NS6detail15normal_iteratorINS9_10device_ptrIxEEEESE_SE_iNS9_4plusIvEENS9_8equal_toIvEEiEE10hipError_tPvRmT2_T3_T4_T5_mT6_T7_P12ihipStream_tbENKUlT_T0_E_clISt17integral_constantIbLb1EESZ_EEDaSU_SV_EUlSU_E_NS1_11comp_targetILNS1_3genE8ELNS1_11target_archE1030ELNS1_3gpuE2ELNS1_3repE0EEENS1_30default_config_static_selectorELNS0_4arch9wavefront6targetE0EEEvT1_.num_named_barrier, 0
	.set _ZN7rocprim17ROCPRIM_400000_NS6detail17trampoline_kernelINS0_14default_configENS1_27scan_by_key_config_selectorIxiEEZZNS1_16scan_by_key_implILNS1_25lookback_scan_determinismE0ELb1ES3_N6thrust23THRUST_200600_302600_NS6detail15normal_iteratorINS9_10device_ptrIxEEEESE_SE_iNS9_4plusIvEENS9_8equal_toIvEEiEE10hipError_tPvRmT2_T3_T4_T5_mT6_T7_P12ihipStream_tbENKUlT_T0_E_clISt17integral_constantIbLb1EESZ_EEDaSU_SV_EUlSU_E_NS1_11comp_targetILNS1_3genE8ELNS1_11target_archE1030ELNS1_3gpuE2ELNS1_3repE0EEENS1_30default_config_static_selectorELNS0_4arch9wavefront6targetE0EEEvT1_.private_seg_size, 0
	.set _ZN7rocprim17ROCPRIM_400000_NS6detail17trampoline_kernelINS0_14default_configENS1_27scan_by_key_config_selectorIxiEEZZNS1_16scan_by_key_implILNS1_25lookback_scan_determinismE0ELb1ES3_N6thrust23THRUST_200600_302600_NS6detail15normal_iteratorINS9_10device_ptrIxEEEESE_SE_iNS9_4plusIvEENS9_8equal_toIvEEiEE10hipError_tPvRmT2_T3_T4_T5_mT6_T7_P12ihipStream_tbENKUlT_T0_E_clISt17integral_constantIbLb1EESZ_EEDaSU_SV_EUlSU_E_NS1_11comp_targetILNS1_3genE8ELNS1_11target_archE1030ELNS1_3gpuE2ELNS1_3repE0EEENS1_30default_config_static_selectorELNS0_4arch9wavefront6targetE0EEEvT1_.uses_vcc, 0
	.set _ZN7rocprim17ROCPRIM_400000_NS6detail17trampoline_kernelINS0_14default_configENS1_27scan_by_key_config_selectorIxiEEZZNS1_16scan_by_key_implILNS1_25lookback_scan_determinismE0ELb1ES3_N6thrust23THRUST_200600_302600_NS6detail15normal_iteratorINS9_10device_ptrIxEEEESE_SE_iNS9_4plusIvEENS9_8equal_toIvEEiEE10hipError_tPvRmT2_T3_T4_T5_mT6_T7_P12ihipStream_tbENKUlT_T0_E_clISt17integral_constantIbLb1EESZ_EEDaSU_SV_EUlSU_E_NS1_11comp_targetILNS1_3genE8ELNS1_11target_archE1030ELNS1_3gpuE2ELNS1_3repE0EEENS1_30default_config_static_selectorELNS0_4arch9wavefront6targetE0EEEvT1_.uses_flat_scratch, 0
	.set _ZN7rocprim17ROCPRIM_400000_NS6detail17trampoline_kernelINS0_14default_configENS1_27scan_by_key_config_selectorIxiEEZZNS1_16scan_by_key_implILNS1_25lookback_scan_determinismE0ELb1ES3_N6thrust23THRUST_200600_302600_NS6detail15normal_iteratorINS9_10device_ptrIxEEEESE_SE_iNS9_4plusIvEENS9_8equal_toIvEEiEE10hipError_tPvRmT2_T3_T4_T5_mT6_T7_P12ihipStream_tbENKUlT_T0_E_clISt17integral_constantIbLb1EESZ_EEDaSU_SV_EUlSU_E_NS1_11comp_targetILNS1_3genE8ELNS1_11target_archE1030ELNS1_3gpuE2ELNS1_3repE0EEENS1_30default_config_static_selectorELNS0_4arch9wavefront6targetE0EEEvT1_.has_dyn_sized_stack, 0
	.set _ZN7rocprim17ROCPRIM_400000_NS6detail17trampoline_kernelINS0_14default_configENS1_27scan_by_key_config_selectorIxiEEZZNS1_16scan_by_key_implILNS1_25lookback_scan_determinismE0ELb1ES3_N6thrust23THRUST_200600_302600_NS6detail15normal_iteratorINS9_10device_ptrIxEEEESE_SE_iNS9_4plusIvEENS9_8equal_toIvEEiEE10hipError_tPvRmT2_T3_T4_T5_mT6_T7_P12ihipStream_tbENKUlT_T0_E_clISt17integral_constantIbLb1EESZ_EEDaSU_SV_EUlSU_E_NS1_11comp_targetILNS1_3genE8ELNS1_11target_archE1030ELNS1_3gpuE2ELNS1_3repE0EEENS1_30default_config_static_selectorELNS0_4arch9wavefront6targetE0EEEvT1_.has_recursion, 0
	.set _ZN7rocprim17ROCPRIM_400000_NS6detail17trampoline_kernelINS0_14default_configENS1_27scan_by_key_config_selectorIxiEEZZNS1_16scan_by_key_implILNS1_25lookback_scan_determinismE0ELb1ES3_N6thrust23THRUST_200600_302600_NS6detail15normal_iteratorINS9_10device_ptrIxEEEESE_SE_iNS9_4plusIvEENS9_8equal_toIvEEiEE10hipError_tPvRmT2_T3_T4_T5_mT6_T7_P12ihipStream_tbENKUlT_T0_E_clISt17integral_constantIbLb1EESZ_EEDaSU_SV_EUlSU_E_NS1_11comp_targetILNS1_3genE8ELNS1_11target_archE1030ELNS1_3gpuE2ELNS1_3repE0EEENS1_30default_config_static_selectorELNS0_4arch9wavefront6targetE0EEEvT1_.has_indirect_call, 0
	.section	.AMDGPU.csdata,"",@progbits
; Kernel info:
; codeLenInByte = 4
; TotalNumSgprs: 0
; NumVgprs: 0
; ScratchSize: 0
; MemoryBound: 0
; FloatMode: 240
; IeeeMode: 1
; LDSByteSize: 0 bytes/workgroup (compile time only)
; SGPRBlocks: 0
; VGPRBlocks: 0
; NumSGPRsForWavesPerEU: 1
; NumVGPRsForWavesPerEU: 1
; Occupancy: 16
; WaveLimiterHint : 0
; COMPUTE_PGM_RSRC2:SCRATCH_EN: 0
; COMPUTE_PGM_RSRC2:USER_SGPR: 6
; COMPUTE_PGM_RSRC2:TRAP_HANDLER: 0
; COMPUTE_PGM_RSRC2:TGID_X_EN: 1
; COMPUTE_PGM_RSRC2:TGID_Y_EN: 0
; COMPUTE_PGM_RSRC2:TGID_Z_EN: 0
; COMPUTE_PGM_RSRC2:TIDIG_COMP_CNT: 0
	.section	.text._ZN7rocprim17ROCPRIM_400000_NS6detail30init_device_scan_by_key_kernelINS1_19lookback_scan_stateINS0_5tupleIJibEEELb1ELb1EEEN6thrust23THRUST_200600_302600_NS6detail15normal_iteratorINS8_10device_ptrIxEEEEjNS1_16block_id_wrapperIjLb0EEEEEvT_jjPNSG_10value_typeET0_PNSt15iterator_traitsISJ_E10value_typeEmT1_T2_,"axG",@progbits,_ZN7rocprim17ROCPRIM_400000_NS6detail30init_device_scan_by_key_kernelINS1_19lookback_scan_stateINS0_5tupleIJibEEELb1ELb1EEEN6thrust23THRUST_200600_302600_NS6detail15normal_iteratorINS8_10device_ptrIxEEEEjNS1_16block_id_wrapperIjLb0EEEEEvT_jjPNSG_10value_typeET0_PNSt15iterator_traitsISJ_E10value_typeEmT1_T2_,comdat
	.protected	_ZN7rocprim17ROCPRIM_400000_NS6detail30init_device_scan_by_key_kernelINS1_19lookback_scan_stateINS0_5tupleIJibEEELb1ELb1EEEN6thrust23THRUST_200600_302600_NS6detail15normal_iteratorINS8_10device_ptrIxEEEEjNS1_16block_id_wrapperIjLb0EEEEEvT_jjPNSG_10value_typeET0_PNSt15iterator_traitsISJ_E10value_typeEmT1_T2_ ; -- Begin function _ZN7rocprim17ROCPRIM_400000_NS6detail30init_device_scan_by_key_kernelINS1_19lookback_scan_stateINS0_5tupleIJibEEELb1ELb1EEEN6thrust23THRUST_200600_302600_NS6detail15normal_iteratorINS8_10device_ptrIxEEEEjNS1_16block_id_wrapperIjLb0EEEEEvT_jjPNSG_10value_typeET0_PNSt15iterator_traitsISJ_E10value_typeEmT1_T2_
	.globl	_ZN7rocprim17ROCPRIM_400000_NS6detail30init_device_scan_by_key_kernelINS1_19lookback_scan_stateINS0_5tupleIJibEEELb1ELb1EEEN6thrust23THRUST_200600_302600_NS6detail15normal_iteratorINS8_10device_ptrIxEEEEjNS1_16block_id_wrapperIjLb0EEEEEvT_jjPNSG_10value_typeET0_PNSt15iterator_traitsISJ_E10value_typeEmT1_T2_
	.p2align	8
	.type	_ZN7rocprim17ROCPRIM_400000_NS6detail30init_device_scan_by_key_kernelINS1_19lookback_scan_stateINS0_5tupleIJibEEELb1ELb1EEEN6thrust23THRUST_200600_302600_NS6detail15normal_iteratorINS8_10device_ptrIxEEEEjNS1_16block_id_wrapperIjLb0EEEEEvT_jjPNSG_10value_typeET0_PNSt15iterator_traitsISJ_E10value_typeEmT1_T2_,@function
_ZN7rocprim17ROCPRIM_400000_NS6detail30init_device_scan_by_key_kernelINS1_19lookback_scan_stateINS0_5tupleIJibEEELb1ELb1EEEN6thrust23THRUST_200600_302600_NS6detail15normal_iteratorINS8_10device_ptrIxEEEEjNS1_16block_id_wrapperIjLb0EEEEEvT_jjPNSG_10value_typeET0_PNSt15iterator_traitsISJ_E10value_typeEmT1_T2_: ; @_ZN7rocprim17ROCPRIM_400000_NS6detail30init_device_scan_by_key_kernelINS1_19lookback_scan_stateINS0_5tupleIJibEEELb1ELb1EEEN6thrust23THRUST_200600_302600_NS6detail15normal_iteratorINS8_10device_ptrIxEEEEjNS1_16block_id_wrapperIjLb0EEEEEvT_jjPNSG_10value_typeET0_PNSt15iterator_traitsISJ_E10value_typeEmT1_T2_
; %bb.0:
	s_clause 0x2
	s_load_dword s0, s[4:5], 0x44
	s_load_dwordx8 s[8:15], s[4:5], 0x0
	s_load_dword s7, s[4:5], 0x38
	s_waitcnt lgkmcnt(0)
	s_and_b32 s16, s0, 0xffff
	s_cmp_eq_u64 s[12:13], 0
	v_mad_u64_u32 v[4:5], null, s6, s16, v[0:1]
	s_cbranch_scc1 .LBB1021_10
; %bb.1:
	s_cmp_lt_u32 s11, s10
	s_mov_b32 s1, 0
	s_cselect_b32 s0, s11, 0
	s_mov_b32 s2, exec_lo
	v_cmpx_eq_u32_e64 s0, v4
	s_cbranch_execz .LBB1021_9
; %bb.2:
	s_add_i32 s0, s11, 32
	v_mov_b32_e32 v6, 0
	s_lshl_b64 s[0:1], s[0:1], 4
	s_mov_b32 s3, exec_lo
	s_add_u32 s0, s8, s0
	s_addc_u32 s1, s9, s1
	v_mov_b32_e32 v0, s0
	v_mov_b32_e32 v1, s1
	;;#ASMSTART
	global_load_dwordx4 v[0:3], v[0:1] off glc dlc	
s_waitcnt vmcnt(0)
	;;#ASMEND
	v_and_b32_e32 v5, 0xff, v2
	v_cmpx_eq_u64_e32 0, v[5:6]
	s_cbranch_execz .LBB1021_8
; %bb.3:
	v_mov_b32_e32 v8, s1
	v_mov_b32_e32 v7, s0
	s_mov_b32 s1, 1
	s_mov_b32 s0, 0
	.p2align	6
.LBB1021_4:                             ; =>This Loop Header: Depth=1
                                        ;     Child Loop BB1021_5 Depth 2
	s_mov_b32 s6, s1
.LBB1021_5:                             ;   Parent Loop BB1021_4 Depth=1
                                        ; =>  This Inner Loop Header: Depth=2
	s_add_i32 s6, s6, -1
	s_sleep 1
	s_cmp_eq_u32 s6, 0
	s_cbranch_scc0 .LBB1021_5
; %bb.6:                                ;   in Loop: Header=BB1021_4 Depth=1
	;;#ASMSTART
	global_load_dwordx4 v[0:3], v[7:8] off glc dlc	
s_waitcnt vmcnt(0)
	;;#ASMEND
	v_and_b32_e32 v5, 0xff, v2
	s_cmp_lt_u32 s1, 32
	s_cselect_b32 s6, -1, 0
	v_cmp_ne_u64_e32 vcc_lo, 0, v[5:6]
	s_cmp_lg_u32 s6, 0
	s_addc_u32 s1, s1, 0
	s_or_b32 s0, vcc_lo, s0
	s_andn2_b32 exec_lo, exec_lo, s0
	s_cbranch_execnz .LBB1021_4
; %bb.7:
	s_or_b32 exec_lo, exec_lo, s0
.LBB1021_8:
	s_or_b32 exec_lo, exec_lo, s3
	v_mov_b32_e32 v2, 0
	global_store_dword v2, v0, s[12:13]
	global_store_byte v2, v1, s[12:13] offset:4
.LBB1021_9:
	s_or_b32 exec_lo, exec_lo, s2
.LBB1021_10:
	s_mov_b32 s0, exec_lo
	v_cmpx_gt_u32_e64 s10, v4
	s_cbranch_execz .LBB1021_12
; %bb.11:
	v_add_nc_u32_e32 v0, 32, v4
	v_mov_b32_e32 v1, 0
	v_lshlrev_b64 v[5:6], 4, v[0:1]
	v_mov_b32_e32 v0, v1
	v_mov_b32_e32 v2, v1
	;; [unrolled: 1-line block ×3, first 2 shown]
	v_add_co_u32 v5, vcc_lo, s8, v5
	v_add_co_ci_u32_e64 v6, null, s9, v6, vcc_lo
	global_store_dwordx4 v[5:6], v[0:3], off
.LBB1021_12:
	s_or_b32 exec_lo, exec_lo, s0
	v_mov_b32_e32 v5, 0
	s_mov_b32 s0, exec_lo
	v_cmpx_gt_u32_e32 32, v4
	s_cbranch_execz .LBB1021_14
; %bb.13:
	v_lshlrev_b64 v[6:7], 4, v[4:5]
	v_mov_b32_e32 v2, 0xff
	v_mov_b32_e32 v0, v5
	;; [unrolled: 1-line block ×4, first 2 shown]
	v_add_co_u32 v6, vcc_lo, s8, v6
	v_add_co_ci_u32_e64 v7, null, s9, v7, vcc_lo
	global_store_dwordx4 v[6:7], v[0:3], off
.LBB1021_14:
	s_or_b32 exec_lo, exec_lo, s0
	s_load_dwordx2 s[2:3], s[4:5], 0x28
	s_mov_b32 s0, exec_lo
	s_waitcnt lgkmcnt(0)
	v_cmpx_gt_u64_e64 s[2:3], v[4:5]
	s_cbranch_execz .LBB1021_17
; %bb.15:
	s_clause 0x1
	s_load_dword s6, s[4:5], 0x30
	s_load_dwordx2 s[8:9], s[4:5], 0x20
	s_mov_b32 s1, 0
	v_lshlrev_b64 v[2:3], 3, v[4:5]
	s_mul_i32 s4, s7, s16
	s_waitcnt lgkmcnt(0)
	v_mad_u64_u32 v[0:1], null, s6, v4, 0
	s_add_i32 s0, s6, -1
	s_mul_hi_u32 s7, s6, s4
	s_lshl_b64 s[10:11], s[0:1], 3
	s_mul_i32 s6, s6, s4
	s_add_u32 s0, s14, s10
	s_addc_u32 s5, s15, s11
	v_lshlrev_b64 v[0:1], 3, v[0:1]
	s_lshl_b64 s[6:7], s[6:7], 3
	v_add_co_u32 v0, vcc_lo, s0, v0
	v_add_co_ci_u32_e64 v1, null, s5, v1, vcc_lo
	v_add_co_u32 v2, vcc_lo, s8, v2
	v_add_co_ci_u32_e64 v3, null, s9, v3, vcc_lo
	s_mov_b32 s5, s1
	s_lshl_b64 s[8:9], s[4:5], 3
	.p2align	6
.LBB1021_16:                            ; =>This Inner Loop Header: Depth=1
	global_load_dwordx2 v[6:7], v[0:1], off
	v_add_co_u32 v4, vcc_lo, v4, s4
	v_add_co_ci_u32_e64 v5, null, 0, v5, vcc_lo
	v_add_co_u32 v0, vcc_lo, v0, s6
	v_add_co_ci_u32_e64 v1, null, s7, v1, vcc_lo
	v_cmp_le_u64_e32 vcc_lo, s[2:3], v[4:5]
	s_or_b32 s1, vcc_lo, s1
	s_waitcnt vmcnt(0)
	global_store_dwordx2 v[2:3], v[6:7], off
	v_add_co_u32 v2, s0, v2, s8
	v_add_co_ci_u32_e64 v3, null, s9, v3, s0
	s_andn2_b32 exec_lo, exec_lo, s1
	s_cbranch_execnz .LBB1021_16
.LBB1021_17:
	s_endpgm
	.section	.rodata,"a",@progbits
	.p2align	6, 0x0
	.amdhsa_kernel _ZN7rocprim17ROCPRIM_400000_NS6detail30init_device_scan_by_key_kernelINS1_19lookback_scan_stateINS0_5tupleIJibEEELb1ELb1EEEN6thrust23THRUST_200600_302600_NS6detail15normal_iteratorINS8_10device_ptrIxEEEEjNS1_16block_id_wrapperIjLb0EEEEEvT_jjPNSG_10value_typeET0_PNSt15iterator_traitsISJ_E10value_typeEmT1_T2_
		.amdhsa_group_segment_fixed_size 0
		.amdhsa_private_segment_fixed_size 0
		.amdhsa_kernarg_size 312
		.amdhsa_user_sgpr_count 6
		.amdhsa_user_sgpr_private_segment_buffer 1
		.amdhsa_user_sgpr_dispatch_ptr 0
		.amdhsa_user_sgpr_queue_ptr 0
		.amdhsa_user_sgpr_kernarg_segment_ptr 1
		.amdhsa_user_sgpr_dispatch_id 0
		.amdhsa_user_sgpr_flat_scratch_init 0
		.amdhsa_user_sgpr_private_segment_size 0
		.amdhsa_wavefront_size32 1
		.amdhsa_uses_dynamic_stack 0
		.amdhsa_system_sgpr_private_segment_wavefront_offset 0
		.amdhsa_system_sgpr_workgroup_id_x 1
		.amdhsa_system_sgpr_workgroup_id_y 0
		.amdhsa_system_sgpr_workgroup_id_z 0
		.amdhsa_system_sgpr_workgroup_info 0
		.amdhsa_system_vgpr_workitem_id 0
		.amdhsa_next_free_vgpr 9
		.amdhsa_next_free_sgpr 17
		.amdhsa_reserve_vcc 1
		.amdhsa_reserve_flat_scratch 0
		.amdhsa_float_round_mode_32 0
		.amdhsa_float_round_mode_16_64 0
		.amdhsa_float_denorm_mode_32 3
		.amdhsa_float_denorm_mode_16_64 3
		.amdhsa_dx10_clamp 1
		.amdhsa_ieee_mode 1
		.amdhsa_fp16_overflow 0
		.amdhsa_workgroup_processor_mode 1
		.amdhsa_memory_ordered 1
		.amdhsa_forward_progress 1
		.amdhsa_shared_vgpr_count 0
		.amdhsa_exception_fp_ieee_invalid_op 0
		.amdhsa_exception_fp_denorm_src 0
		.amdhsa_exception_fp_ieee_div_zero 0
		.amdhsa_exception_fp_ieee_overflow 0
		.amdhsa_exception_fp_ieee_underflow 0
		.amdhsa_exception_fp_ieee_inexact 0
		.amdhsa_exception_int_div_zero 0
	.end_amdhsa_kernel
	.section	.text._ZN7rocprim17ROCPRIM_400000_NS6detail30init_device_scan_by_key_kernelINS1_19lookback_scan_stateINS0_5tupleIJibEEELb1ELb1EEEN6thrust23THRUST_200600_302600_NS6detail15normal_iteratorINS8_10device_ptrIxEEEEjNS1_16block_id_wrapperIjLb0EEEEEvT_jjPNSG_10value_typeET0_PNSt15iterator_traitsISJ_E10value_typeEmT1_T2_,"axG",@progbits,_ZN7rocprim17ROCPRIM_400000_NS6detail30init_device_scan_by_key_kernelINS1_19lookback_scan_stateINS0_5tupleIJibEEELb1ELb1EEEN6thrust23THRUST_200600_302600_NS6detail15normal_iteratorINS8_10device_ptrIxEEEEjNS1_16block_id_wrapperIjLb0EEEEEvT_jjPNSG_10value_typeET0_PNSt15iterator_traitsISJ_E10value_typeEmT1_T2_,comdat
.Lfunc_end1021:
	.size	_ZN7rocprim17ROCPRIM_400000_NS6detail30init_device_scan_by_key_kernelINS1_19lookback_scan_stateINS0_5tupleIJibEEELb1ELb1EEEN6thrust23THRUST_200600_302600_NS6detail15normal_iteratorINS8_10device_ptrIxEEEEjNS1_16block_id_wrapperIjLb0EEEEEvT_jjPNSG_10value_typeET0_PNSt15iterator_traitsISJ_E10value_typeEmT1_T2_, .Lfunc_end1021-_ZN7rocprim17ROCPRIM_400000_NS6detail30init_device_scan_by_key_kernelINS1_19lookback_scan_stateINS0_5tupleIJibEEELb1ELb1EEEN6thrust23THRUST_200600_302600_NS6detail15normal_iteratorINS8_10device_ptrIxEEEEjNS1_16block_id_wrapperIjLb0EEEEEvT_jjPNSG_10value_typeET0_PNSt15iterator_traitsISJ_E10value_typeEmT1_T2_
                                        ; -- End function
	.set _ZN7rocprim17ROCPRIM_400000_NS6detail30init_device_scan_by_key_kernelINS1_19lookback_scan_stateINS0_5tupleIJibEEELb1ELb1EEEN6thrust23THRUST_200600_302600_NS6detail15normal_iteratorINS8_10device_ptrIxEEEEjNS1_16block_id_wrapperIjLb0EEEEEvT_jjPNSG_10value_typeET0_PNSt15iterator_traitsISJ_E10value_typeEmT1_T2_.num_vgpr, 9
	.set _ZN7rocprim17ROCPRIM_400000_NS6detail30init_device_scan_by_key_kernelINS1_19lookback_scan_stateINS0_5tupleIJibEEELb1ELb1EEEN6thrust23THRUST_200600_302600_NS6detail15normal_iteratorINS8_10device_ptrIxEEEEjNS1_16block_id_wrapperIjLb0EEEEEvT_jjPNSG_10value_typeET0_PNSt15iterator_traitsISJ_E10value_typeEmT1_T2_.num_agpr, 0
	.set _ZN7rocprim17ROCPRIM_400000_NS6detail30init_device_scan_by_key_kernelINS1_19lookback_scan_stateINS0_5tupleIJibEEELb1ELb1EEEN6thrust23THRUST_200600_302600_NS6detail15normal_iteratorINS8_10device_ptrIxEEEEjNS1_16block_id_wrapperIjLb0EEEEEvT_jjPNSG_10value_typeET0_PNSt15iterator_traitsISJ_E10value_typeEmT1_T2_.numbered_sgpr, 17
	.set _ZN7rocprim17ROCPRIM_400000_NS6detail30init_device_scan_by_key_kernelINS1_19lookback_scan_stateINS0_5tupleIJibEEELb1ELb1EEEN6thrust23THRUST_200600_302600_NS6detail15normal_iteratorINS8_10device_ptrIxEEEEjNS1_16block_id_wrapperIjLb0EEEEEvT_jjPNSG_10value_typeET0_PNSt15iterator_traitsISJ_E10value_typeEmT1_T2_.num_named_barrier, 0
	.set _ZN7rocprim17ROCPRIM_400000_NS6detail30init_device_scan_by_key_kernelINS1_19lookback_scan_stateINS0_5tupleIJibEEELb1ELb1EEEN6thrust23THRUST_200600_302600_NS6detail15normal_iteratorINS8_10device_ptrIxEEEEjNS1_16block_id_wrapperIjLb0EEEEEvT_jjPNSG_10value_typeET0_PNSt15iterator_traitsISJ_E10value_typeEmT1_T2_.private_seg_size, 0
	.set _ZN7rocprim17ROCPRIM_400000_NS6detail30init_device_scan_by_key_kernelINS1_19lookback_scan_stateINS0_5tupleIJibEEELb1ELb1EEEN6thrust23THRUST_200600_302600_NS6detail15normal_iteratorINS8_10device_ptrIxEEEEjNS1_16block_id_wrapperIjLb0EEEEEvT_jjPNSG_10value_typeET0_PNSt15iterator_traitsISJ_E10value_typeEmT1_T2_.uses_vcc, 1
	.set _ZN7rocprim17ROCPRIM_400000_NS6detail30init_device_scan_by_key_kernelINS1_19lookback_scan_stateINS0_5tupleIJibEEELb1ELb1EEEN6thrust23THRUST_200600_302600_NS6detail15normal_iteratorINS8_10device_ptrIxEEEEjNS1_16block_id_wrapperIjLb0EEEEEvT_jjPNSG_10value_typeET0_PNSt15iterator_traitsISJ_E10value_typeEmT1_T2_.uses_flat_scratch, 0
	.set _ZN7rocprim17ROCPRIM_400000_NS6detail30init_device_scan_by_key_kernelINS1_19lookback_scan_stateINS0_5tupleIJibEEELb1ELb1EEEN6thrust23THRUST_200600_302600_NS6detail15normal_iteratorINS8_10device_ptrIxEEEEjNS1_16block_id_wrapperIjLb0EEEEEvT_jjPNSG_10value_typeET0_PNSt15iterator_traitsISJ_E10value_typeEmT1_T2_.has_dyn_sized_stack, 0
	.set _ZN7rocprim17ROCPRIM_400000_NS6detail30init_device_scan_by_key_kernelINS1_19lookback_scan_stateINS0_5tupleIJibEEELb1ELb1EEEN6thrust23THRUST_200600_302600_NS6detail15normal_iteratorINS8_10device_ptrIxEEEEjNS1_16block_id_wrapperIjLb0EEEEEvT_jjPNSG_10value_typeET0_PNSt15iterator_traitsISJ_E10value_typeEmT1_T2_.has_recursion, 0
	.set _ZN7rocprim17ROCPRIM_400000_NS6detail30init_device_scan_by_key_kernelINS1_19lookback_scan_stateINS0_5tupleIJibEEELb1ELb1EEEN6thrust23THRUST_200600_302600_NS6detail15normal_iteratorINS8_10device_ptrIxEEEEjNS1_16block_id_wrapperIjLb0EEEEEvT_jjPNSG_10value_typeET0_PNSt15iterator_traitsISJ_E10value_typeEmT1_T2_.has_indirect_call, 0
	.section	.AMDGPU.csdata,"",@progbits
; Kernel info:
; codeLenInByte = 728
; TotalNumSgprs: 19
; NumVgprs: 9
; ScratchSize: 0
; MemoryBound: 0
; FloatMode: 240
; IeeeMode: 1
; LDSByteSize: 0 bytes/workgroup (compile time only)
; SGPRBlocks: 0
; VGPRBlocks: 1
; NumSGPRsForWavesPerEU: 19
; NumVGPRsForWavesPerEU: 9
; Occupancy: 16
; WaveLimiterHint : 0
; COMPUTE_PGM_RSRC2:SCRATCH_EN: 0
; COMPUTE_PGM_RSRC2:USER_SGPR: 6
; COMPUTE_PGM_RSRC2:TRAP_HANDLER: 0
; COMPUTE_PGM_RSRC2:TGID_X_EN: 1
; COMPUTE_PGM_RSRC2:TGID_Y_EN: 0
; COMPUTE_PGM_RSRC2:TGID_Z_EN: 0
; COMPUTE_PGM_RSRC2:TIDIG_COMP_CNT: 0
	.section	.text._ZN7rocprim17ROCPRIM_400000_NS6detail17trampoline_kernelINS0_14default_configENS1_27scan_by_key_config_selectorIxiEEZZNS1_16scan_by_key_implILNS1_25lookback_scan_determinismE0ELb1ES3_N6thrust23THRUST_200600_302600_NS6detail15normal_iteratorINS9_10device_ptrIxEEEESE_SE_iNS9_4plusIvEENS9_8equal_toIvEEiEE10hipError_tPvRmT2_T3_T4_T5_mT6_T7_P12ihipStream_tbENKUlT_T0_E_clISt17integral_constantIbLb1EESY_IbLb0EEEEDaSU_SV_EUlSU_E_NS1_11comp_targetILNS1_3genE0ELNS1_11target_archE4294967295ELNS1_3gpuE0ELNS1_3repE0EEENS1_30default_config_static_selectorELNS0_4arch9wavefront6targetE0EEEvT1_,"axG",@progbits,_ZN7rocprim17ROCPRIM_400000_NS6detail17trampoline_kernelINS0_14default_configENS1_27scan_by_key_config_selectorIxiEEZZNS1_16scan_by_key_implILNS1_25lookback_scan_determinismE0ELb1ES3_N6thrust23THRUST_200600_302600_NS6detail15normal_iteratorINS9_10device_ptrIxEEEESE_SE_iNS9_4plusIvEENS9_8equal_toIvEEiEE10hipError_tPvRmT2_T3_T4_T5_mT6_T7_P12ihipStream_tbENKUlT_T0_E_clISt17integral_constantIbLb1EESY_IbLb0EEEEDaSU_SV_EUlSU_E_NS1_11comp_targetILNS1_3genE0ELNS1_11target_archE4294967295ELNS1_3gpuE0ELNS1_3repE0EEENS1_30default_config_static_selectorELNS0_4arch9wavefront6targetE0EEEvT1_,comdat
	.protected	_ZN7rocprim17ROCPRIM_400000_NS6detail17trampoline_kernelINS0_14default_configENS1_27scan_by_key_config_selectorIxiEEZZNS1_16scan_by_key_implILNS1_25lookback_scan_determinismE0ELb1ES3_N6thrust23THRUST_200600_302600_NS6detail15normal_iteratorINS9_10device_ptrIxEEEESE_SE_iNS9_4plusIvEENS9_8equal_toIvEEiEE10hipError_tPvRmT2_T3_T4_T5_mT6_T7_P12ihipStream_tbENKUlT_T0_E_clISt17integral_constantIbLb1EESY_IbLb0EEEEDaSU_SV_EUlSU_E_NS1_11comp_targetILNS1_3genE0ELNS1_11target_archE4294967295ELNS1_3gpuE0ELNS1_3repE0EEENS1_30default_config_static_selectorELNS0_4arch9wavefront6targetE0EEEvT1_ ; -- Begin function _ZN7rocprim17ROCPRIM_400000_NS6detail17trampoline_kernelINS0_14default_configENS1_27scan_by_key_config_selectorIxiEEZZNS1_16scan_by_key_implILNS1_25lookback_scan_determinismE0ELb1ES3_N6thrust23THRUST_200600_302600_NS6detail15normal_iteratorINS9_10device_ptrIxEEEESE_SE_iNS9_4plusIvEENS9_8equal_toIvEEiEE10hipError_tPvRmT2_T3_T4_T5_mT6_T7_P12ihipStream_tbENKUlT_T0_E_clISt17integral_constantIbLb1EESY_IbLb0EEEEDaSU_SV_EUlSU_E_NS1_11comp_targetILNS1_3genE0ELNS1_11target_archE4294967295ELNS1_3gpuE0ELNS1_3repE0EEENS1_30default_config_static_selectorELNS0_4arch9wavefront6targetE0EEEvT1_
	.globl	_ZN7rocprim17ROCPRIM_400000_NS6detail17trampoline_kernelINS0_14default_configENS1_27scan_by_key_config_selectorIxiEEZZNS1_16scan_by_key_implILNS1_25lookback_scan_determinismE0ELb1ES3_N6thrust23THRUST_200600_302600_NS6detail15normal_iteratorINS9_10device_ptrIxEEEESE_SE_iNS9_4plusIvEENS9_8equal_toIvEEiEE10hipError_tPvRmT2_T3_T4_T5_mT6_T7_P12ihipStream_tbENKUlT_T0_E_clISt17integral_constantIbLb1EESY_IbLb0EEEEDaSU_SV_EUlSU_E_NS1_11comp_targetILNS1_3genE0ELNS1_11target_archE4294967295ELNS1_3gpuE0ELNS1_3repE0EEENS1_30default_config_static_selectorELNS0_4arch9wavefront6targetE0EEEvT1_
	.p2align	8
	.type	_ZN7rocprim17ROCPRIM_400000_NS6detail17trampoline_kernelINS0_14default_configENS1_27scan_by_key_config_selectorIxiEEZZNS1_16scan_by_key_implILNS1_25lookback_scan_determinismE0ELb1ES3_N6thrust23THRUST_200600_302600_NS6detail15normal_iteratorINS9_10device_ptrIxEEEESE_SE_iNS9_4plusIvEENS9_8equal_toIvEEiEE10hipError_tPvRmT2_T3_T4_T5_mT6_T7_P12ihipStream_tbENKUlT_T0_E_clISt17integral_constantIbLb1EESY_IbLb0EEEEDaSU_SV_EUlSU_E_NS1_11comp_targetILNS1_3genE0ELNS1_11target_archE4294967295ELNS1_3gpuE0ELNS1_3repE0EEENS1_30default_config_static_selectorELNS0_4arch9wavefront6targetE0EEEvT1_,@function
_ZN7rocprim17ROCPRIM_400000_NS6detail17trampoline_kernelINS0_14default_configENS1_27scan_by_key_config_selectorIxiEEZZNS1_16scan_by_key_implILNS1_25lookback_scan_determinismE0ELb1ES3_N6thrust23THRUST_200600_302600_NS6detail15normal_iteratorINS9_10device_ptrIxEEEESE_SE_iNS9_4plusIvEENS9_8equal_toIvEEiEE10hipError_tPvRmT2_T3_T4_T5_mT6_T7_P12ihipStream_tbENKUlT_T0_E_clISt17integral_constantIbLb1EESY_IbLb0EEEEDaSU_SV_EUlSU_E_NS1_11comp_targetILNS1_3genE0ELNS1_11target_archE4294967295ELNS1_3gpuE0ELNS1_3repE0EEENS1_30default_config_static_selectorELNS0_4arch9wavefront6targetE0EEEvT1_: ; @_ZN7rocprim17ROCPRIM_400000_NS6detail17trampoline_kernelINS0_14default_configENS1_27scan_by_key_config_selectorIxiEEZZNS1_16scan_by_key_implILNS1_25lookback_scan_determinismE0ELb1ES3_N6thrust23THRUST_200600_302600_NS6detail15normal_iteratorINS9_10device_ptrIxEEEESE_SE_iNS9_4plusIvEENS9_8equal_toIvEEiEE10hipError_tPvRmT2_T3_T4_T5_mT6_T7_P12ihipStream_tbENKUlT_T0_E_clISt17integral_constantIbLb1EESY_IbLb0EEEEDaSU_SV_EUlSU_E_NS1_11comp_targetILNS1_3genE0ELNS1_11target_archE4294967295ELNS1_3gpuE0ELNS1_3repE0EEENS1_30default_config_static_selectorELNS0_4arch9wavefront6targetE0EEEvT1_
; %bb.0:
	.section	.rodata,"a",@progbits
	.p2align	6, 0x0
	.amdhsa_kernel _ZN7rocprim17ROCPRIM_400000_NS6detail17trampoline_kernelINS0_14default_configENS1_27scan_by_key_config_selectorIxiEEZZNS1_16scan_by_key_implILNS1_25lookback_scan_determinismE0ELb1ES3_N6thrust23THRUST_200600_302600_NS6detail15normal_iteratorINS9_10device_ptrIxEEEESE_SE_iNS9_4plusIvEENS9_8equal_toIvEEiEE10hipError_tPvRmT2_T3_T4_T5_mT6_T7_P12ihipStream_tbENKUlT_T0_E_clISt17integral_constantIbLb1EESY_IbLb0EEEEDaSU_SV_EUlSU_E_NS1_11comp_targetILNS1_3genE0ELNS1_11target_archE4294967295ELNS1_3gpuE0ELNS1_3repE0EEENS1_30default_config_static_selectorELNS0_4arch9wavefront6targetE0EEEvT1_
		.amdhsa_group_segment_fixed_size 0
		.amdhsa_private_segment_fixed_size 0
		.amdhsa_kernarg_size 112
		.amdhsa_user_sgpr_count 6
		.amdhsa_user_sgpr_private_segment_buffer 1
		.amdhsa_user_sgpr_dispatch_ptr 0
		.amdhsa_user_sgpr_queue_ptr 0
		.amdhsa_user_sgpr_kernarg_segment_ptr 1
		.amdhsa_user_sgpr_dispatch_id 0
		.amdhsa_user_sgpr_flat_scratch_init 0
		.amdhsa_user_sgpr_private_segment_size 0
		.amdhsa_wavefront_size32 1
		.amdhsa_uses_dynamic_stack 0
		.amdhsa_system_sgpr_private_segment_wavefront_offset 0
		.amdhsa_system_sgpr_workgroup_id_x 1
		.amdhsa_system_sgpr_workgroup_id_y 0
		.amdhsa_system_sgpr_workgroup_id_z 0
		.amdhsa_system_sgpr_workgroup_info 0
		.amdhsa_system_vgpr_workitem_id 0
		.amdhsa_next_free_vgpr 1
		.amdhsa_next_free_sgpr 1
		.amdhsa_reserve_vcc 0
		.amdhsa_reserve_flat_scratch 0
		.amdhsa_float_round_mode_32 0
		.amdhsa_float_round_mode_16_64 0
		.amdhsa_float_denorm_mode_32 3
		.amdhsa_float_denorm_mode_16_64 3
		.amdhsa_dx10_clamp 1
		.amdhsa_ieee_mode 1
		.amdhsa_fp16_overflow 0
		.amdhsa_workgroup_processor_mode 1
		.amdhsa_memory_ordered 1
		.amdhsa_forward_progress 1
		.amdhsa_shared_vgpr_count 0
		.amdhsa_exception_fp_ieee_invalid_op 0
		.amdhsa_exception_fp_denorm_src 0
		.amdhsa_exception_fp_ieee_div_zero 0
		.amdhsa_exception_fp_ieee_overflow 0
		.amdhsa_exception_fp_ieee_underflow 0
		.amdhsa_exception_fp_ieee_inexact 0
		.amdhsa_exception_int_div_zero 0
	.end_amdhsa_kernel
	.section	.text._ZN7rocprim17ROCPRIM_400000_NS6detail17trampoline_kernelINS0_14default_configENS1_27scan_by_key_config_selectorIxiEEZZNS1_16scan_by_key_implILNS1_25lookback_scan_determinismE0ELb1ES3_N6thrust23THRUST_200600_302600_NS6detail15normal_iteratorINS9_10device_ptrIxEEEESE_SE_iNS9_4plusIvEENS9_8equal_toIvEEiEE10hipError_tPvRmT2_T3_T4_T5_mT6_T7_P12ihipStream_tbENKUlT_T0_E_clISt17integral_constantIbLb1EESY_IbLb0EEEEDaSU_SV_EUlSU_E_NS1_11comp_targetILNS1_3genE0ELNS1_11target_archE4294967295ELNS1_3gpuE0ELNS1_3repE0EEENS1_30default_config_static_selectorELNS0_4arch9wavefront6targetE0EEEvT1_,"axG",@progbits,_ZN7rocprim17ROCPRIM_400000_NS6detail17trampoline_kernelINS0_14default_configENS1_27scan_by_key_config_selectorIxiEEZZNS1_16scan_by_key_implILNS1_25lookback_scan_determinismE0ELb1ES3_N6thrust23THRUST_200600_302600_NS6detail15normal_iteratorINS9_10device_ptrIxEEEESE_SE_iNS9_4plusIvEENS9_8equal_toIvEEiEE10hipError_tPvRmT2_T3_T4_T5_mT6_T7_P12ihipStream_tbENKUlT_T0_E_clISt17integral_constantIbLb1EESY_IbLb0EEEEDaSU_SV_EUlSU_E_NS1_11comp_targetILNS1_3genE0ELNS1_11target_archE4294967295ELNS1_3gpuE0ELNS1_3repE0EEENS1_30default_config_static_selectorELNS0_4arch9wavefront6targetE0EEEvT1_,comdat
.Lfunc_end1022:
	.size	_ZN7rocprim17ROCPRIM_400000_NS6detail17trampoline_kernelINS0_14default_configENS1_27scan_by_key_config_selectorIxiEEZZNS1_16scan_by_key_implILNS1_25lookback_scan_determinismE0ELb1ES3_N6thrust23THRUST_200600_302600_NS6detail15normal_iteratorINS9_10device_ptrIxEEEESE_SE_iNS9_4plusIvEENS9_8equal_toIvEEiEE10hipError_tPvRmT2_T3_T4_T5_mT6_T7_P12ihipStream_tbENKUlT_T0_E_clISt17integral_constantIbLb1EESY_IbLb0EEEEDaSU_SV_EUlSU_E_NS1_11comp_targetILNS1_3genE0ELNS1_11target_archE4294967295ELNS1_3gpuE0ELNS1_3repE0EEENS1_30default_config_static_selectorELNS0_4arch9wavefront6targetE0EEEvT1_, .Lfunc_end1022-_ZN7rocprim17ROCPRIM_400000_NS6detail17trampoline_kernelINS0_14default_configENS1_27scan_by_key_config_selectorIxiEEZZNS1_16scan_by_key_implILNS1_25lookback_scan_determinismE0ELb1ES3_N6thrust23THRUST_200600_302600_NS6detail15normal_iteratorINS9_10device_ptrIxEEEESE_SE_iNS9_4plusIvEENS9_8equal_toIvEEiEE10hipError_tPvRmT2_T3_T4_T5_mT6_T7_P12ihipStream_tbENKUlT_T0_E_clISt17integral_constantIbLb1EESY_IbLb0EEEEDaSU_SV_EUlSU_E_NS1_11comp_targetILNS1_3genE0ELNS1_11target_archE4294967295ELNS1_3gpuE0ELNS1_3repE0EEENS1_30default_config_static_selectorELNS0_4arch9wavefront6targetE0EEEvT1_
                                        ; -- End function
	.set _ZN7rocprim17ROCPRIM_400000_NS6detail17trampoline_kernelINS0_14default_configENS1_27scan_by_key_config_selectorIxiEEZZNS1_16scan_by_key_implILNS1_25lookback_scan_determinismE0ELb1ES3_N6thrust23THRUST_200600_302600_NS6detail15normal_iteratorINS9_10device_ptrIxEEEESE_SE_iNS9_4plusIvEENS9_8equal_toIvEEiEE10hipError_tPvRmT2_T3_T4_T5_mT6_T7_P12ihipStream_tbENKUlT_T0_E_clISt17integral_constantIbLb1EESY_IbLb0EEEEDaSU_SV_EUlSU_E_NS1_11comp_targetILNS1_3genE0ELNS1_11target_archE4294967295ELNS1_3gpuE0ELNS1_3repE0EEENS1_30default_config_static_selectorELNS0_4arch9wavefront6targetE0EEEvT1_.num_vgpr, 0
	.set _ZN7rocprim17ROCPRIM_400000_NS6detail17trampoline_kernelINS0_14default_configENS1_27scan_by_key_config_selectorIxiEEZZNS1_16scan_by_key_implILNS1_25lookback_scan_determinismE0ELb1ES3_N6thrust23THRUST_200600_302600_NS6detail15normal_iteratorINS9_10device_ptrIxEEEESE_SE_iNS9_4plusIvEENS9_8equal_toIvEEiEE10hipError_tPvRmT2_T3_T4_T5_mT6_T7_P12ihipStream_tbENKUlT_T0_E_clISt17integral_constantIbLb1EESY_IbLb0EEEEDaSU_SV_EUlSU_E_NS1_11comp_targetILNS1_3genE0ELNS1_11target_archE4294967295ELNS1_3gpuE0ELNS1_3repE0EEENS1_30default_config_static_selectorELNS0_4arch9wavefront6targetE0EEEvT1_.num_agpr, 0
	.set _ZN7rocprim17ROCPRIM_400000_NS6detail17trampoline_kernelINS0_14default_configENS1_27scan_by_key_config_selectorIxiEEZZNS1_16scan_by_key_implILNS1_25lookback_scan_determinismE0ELb1ES3_N6thrust23THRUST_200600_302600_NS6detail15normal_iteratorINS9_10device_ptrIxEEEESE_SE_iNS9_4plusIvEENS9_8equal_toIvEEiEE10hipError_tPvRmT2_T3_T4_T5_mT6_T7_P12ihipStream_tbENKUlT_T0_E_clISt17integral_constantIbLb1EESY_IbLb0EEEEDaSU_SV_EUlSU_E_NS1_11comp_targetILNS1_3genE0ELNS1_11target_archE4294967295ELNS1_3gpuE0ELNS1_3repE0EEENS1_30default_config_static_selectorELNS0_4arch9wavefront6targetE0EEEvT1_.numbered_sgpr, 0
	.set _ZN7rocprim17ROCPRIM_400000_NS6detail17trampoline_kernelINS0_14default_configENS1_27scan_by_key_config_selectorIxiEEZZNS1_16scan_by_key_implILNS1_25lookback_scan_determinismE0ELb1ES3_N6thrust23THRUST_200600_302600_NS6detail15normal_iteratorINS9_10device_ptrIxEEEESE_SE_iNS9_4plusIvEENS9_8equal_toIvEEiEE10hipError_tPvRmT2_T3_T4_T5_mT6_T7_P12ihipStream_tbENKUlT_T0_E_clISt17integral_constantIbLb1EESY_IbLb0EEEEDaSU_SV_EUlSU_E_NS1_11comp_targetILNS1_3genE0ELNS1_11target_archE4294967295ELNS1_3gpuE0ELNS1_3repE0EEENS1_30default_config_static_selectorELNS0_4arch9wavefront6targetE0EEEvT1_.num_named_barrier, 0
	.set _ZN7rocprim17ROCPRIM_400000_NS6detail17trampoline_kernelINS0_14default_configENS1_27scan_by_key_config_selectorIxiEEZZNS1_16scan_by_key_implILNS1_25lookback_scan_determinismE0ELb1ES3_N6thrust23THRUST_200600_302600_NS6detail15normal_iteratorINS9_10device_ptrIxEEEESE_SE_iNS9_4plusIvEENS9_8equal_toIvEEiEE10hipError_tPvRmT2_T3_T4_T5_mT6_T7_P12ihipStream_tbENKUlT_T0_E_clISt17integral_constantIbLb1EESY_IbLb0EEEEDaSU_SV_EUlSU_E_NS1_11comp_targetILNS1_3genE0ELNS1_11target_archE4294967295ELNS1_3gpuE0ELNS1_3repE0EEENS1_30default_config_static_selectorELNS0_4arch9wavefront6targetE0EEEvT1_.private_seg_size, 0
	.set _ZN7rocprim17ROCPRIM_400000_NS6detail17trampoline_kernelINS0_14default_configENS1_27scan_by_key_config_selectorIxiEEZZNS1_16scan_by_key_implILNS1_25lookback_scan_determinismE0ELb1ES3_N6thrust23THRUST_200600_302600_NS6detail15normal_iteratorINS9_10device_ptrIxEEEESE_SE_iNS9_4plusIvEENS9_8equal_toIvEEiEE10hipError_tPvRmT2_T3_T4_T5_mT6_T7_P12ihipStream_tbENKUlT_T0_E_clISt17integral_constantIbLb1EESY_IbLb0EEEEDaSU_SV_EUlSU_E_NS1_11comp_targetILNS1_3genE0ELNS1_11target_archE4294967295ELNS1_3gpuE0ELNS1_3repE0EEENS1_30default_config_static_selectorELNS0_4arch9wavefront6targetE0EEEvT1_.uses_vcc, 0
	.set _ZN7rocprim17ROCPRIM_400000_NS6detail17trampoline_kernelINS0_14default_configENS1_27scan_by_key_config_selectorIxiEEZZNS1_16scan_by_key_implILNS1_25lookback_scan_determinismE0ELb1ES3_N6thrust23THRUST_200600_302600_NS6detail15normal_iteratorINS9_10device_ptrIxEEEESE_SE_iNS9_4plusIvEENS9_8equal_toIvEEiEE10hipError_tPvRmT2_T3_T4_T5_mT6_T7_P12ihipStream_tbENKUlT_T0_E_clISt17integral_constantIbLb1EESY_IbLb0EEEEDaSU_SV_EUlSU_E_NS1_11comp_targetILNS1_3genE0ELNS1_11target_archE4294967295ELNS1_3gpuE0ELNS1_3repE0EEENS1_30default_config_static_selectorELNS0_4arch9wavefront6targetE0EEEvT1_.uses_flat_scratch, 0
	.set _ZN7rocprim17ROCPRIM_400000_NS6detail17trampoline_kernelINS0_14default_configENS1_27scan_by_key_config_selectorIxiEEZZNS1_16scan_by_key_implILNS1_25lookback_scan_determinismE0ELb1ES3_N6thrust23THRUST_200600_302600_NS6detail15normal_iteratorINS9_10device_ptrIxEEEESE_SE_iNS9_4plusIvEENS9_8equal_toIvEEiEE10hipError_tPvRmT2_T3_T4_T5_mT6_T7_P12ihipStream_tbENKUlT_T0_E_clISt17integral_constantIbLb1EESY_IbLb0EEEEDaSU_SV_EUlSU_E_NS1_11comp_targetILNS1_3genE0ELNS1_11target_archE4294967295ELNS1_3gpuE0ELNS1_3repE0EEENS1_30default_config_static_selectorELNS0_4arch9wavefront6targetE0EEEvT1_.has_dyn_sized_stack, 0
	.set _ZN7rocprim17ROCPRIM_400000_NS6detail17trampoline_kernelINS0_14default_configENS1_27scan_by_key_config_selectorIxiEEZZNS1_16scan_by_key_implILNS1_25lookback_scan_determinismE0ELb1ES3_N6thrust23THRUST_200600_302600_NS6detail15normal_iteratorINS9_10device_ptrIxEEEESE_SE_iNS9_4plusIvEENS9_8equal_toIvEEiEE10hipError_tPvRmT2_T3_T4_T5_mT6_T7_P12ihipStream_tbENKUlT_T0_E_clISt17integral_constantIbLb1EESY_IbLb0EEEEDaSU_SV_EUlSU_E_NS1_11comp_targetILNS1_3genE0ELNS1_11target_archE4294967295ELNS1_3gpuE0ELNS1_3repE0EEENS1_30default_config_static_selectorELNS0_4arch9wavefront6targetE0EEEvT1_.has_recursion, 0
	.set _ZN7rocprim17ROCPRIM_400000_NS6detail17trampoline_kernelINS0_14default_configENS1_27scan_by_key_config_selectorIxiEEZZNS1_16scan_by_key_implILNS1_25lookback_scan_determinismE0ELb1ES3_N6thrust23THRUST_200600_302600_NS6detail15normal_iteratorINS9_10device_ptrIxEEEESE_SE_iNS9_4plusIvEENS9_8equal_toIvEEiEE10hipError_tPvRmT2_T3_T4_T5_mT6_T7_P12ihipStream_tbENKUlT_T0_E_clISt17integral_constantIbLb1EESY_IbLb0EEEEDaSU_SV_EUlSU_E_NS1_11comp_targetILNS1_3genE0ELNS1_11target_archE4294967295ELNS1_3gpuE0ELNS1_3repE0EEENS1_30default_config_static_selectorELNS0_4arch9wavefront6targetE0EEEvT1_.has_indirect_call, 0
	.section	.AMDGPU.csdata,"",@progbits
; Kernel info:
; codeLenInByte = 0
; TotalNumSgprs: 0
; NumVgprs: 0
; ScratchSize: 0
; MemoryBound: 0
; FloatMode: 240
; IeeeMode: 1
; LDSByteSize: 0 bytes/workgroup (compile time only)
; SGPRBlocks: 0
; VGPRBlocks: 0
; NumSGPRsForWavesPerEU: 1
; NumVGPRsForWavesPerEU: 1
; Occupancy: 16
; WaveLimiterHint : 0
; COMPUTE_PGM_RSRC2:SCRATCH_EN: 0
; COMPUTE_PGM_RSRC2:USER_SGPR: 6
; COMPUTE_PGM_RSRC2:TRAP_HANDLER: 0
; COMPUTE_PGM_RSRC2:TGID_X_EN: 1
; COMPUTE_PGM_RSRC2:TGID_Y_EN: 0
; COMPUTE_PGM_RSRC2:TGID_Z_EN: 0
; COMPUTE_PGM_RSRC2:TIDIG_COMP_CNT: 0
	.section	.text._ZN7rocprim17ROCPRIM_400000_NS6detail17trampoline_kernelINS0_14default_configENS1_27scan_by_key_config_selectorIxiEEZZNS1_16scan_by_key_implILNS1_25lookback_scan_determinismE0ELb1ES3_N6thrust23THRUST_200600_302600_NS6detail15normal_iteratorINS9_10device_ptrIxEEEESE_SE_iNS9_4plusIvEENS9_8equal_toIvEEiEE10hipError_tPvRmT2_T3_T4_T5_mT6_T7_P12ihipStream_tbENKUlT_T0_E_clISt17integral_constantIbLb1EESY_IbLb0EEEEDaSU_SV_EUlSU_E_NS1_11comp_targetILNS1_3genE10ELNS1_11target_archE1201ELNS1_3gpuE5ELNS1_3repE0EEENS1_30default_config_static_selectorELNS0_4arch9wavefront6targetE0EEEvT1_,"axG",@progbits,_ZN7rocprim17ROCPRIM_400000_NS6detail17trampoline_kernelINS0_14default_configENS1_27scan_by_key_config_selectorIxiEEZZNS1_16scan_by_key_implILNS1_25lookback_scan_determinismE0ELb1ES3_N6thrust23THRUST_200600_302600_NS6detail15normal_iteratorINS9_10device_ptrIxEEEESE_SE_iNS9_4plusIvEENS9_8equal_toIvEEiEE10hipError_tPvRmT2_T3_T4_T5_mT6_T7_P12ihipStream_tbENKUlT_T0_E_clISt17integral_constantIbLb1EESY_IbLb0EEEEDaSU_SV_EUlSU_E_NS1_11comp_targetILNS1_3genE10ELNS1_11target_archE1201ELNS1_3gpuE5ELNS1_3repE0EEENS1_30default_config_static_selectorELNS0_4arch9wavefront6targetE0EEEvT1_,comdat
	.protected	_ZN7rocprim17ROCPRIM_400000_NS6detail17trampoline_kernelINS0_14default_configENS1_27scan_by_key_config_selectorIxiEEZZNS1_16scan_by_key_implILNS1_25lookback_scan_determinismE0ELb1ES3_N6thrust23THRUST_200600_302600_NS6detail15normal_iteratorINS9_10device_ptrIxEEEESE_SE_iNS9_4plusIvEENS9_8equal_toIvEEiEE10hipError_tPvRmT2_T3_T4_T5_mT6_T7_P12ihipStream_tbENKUlT_T0_E_clISt17integral_constantIbLb1EESY_IbLb0EEEEDaSU_SV_EUlSU_E_NS1_11comp_targetILNS1_3genE10ELNS1_11target_archE1201ELNS1_3gpuE5ELNS1_3repE0EEENS1_30default_config_static_selectorELNS0_4arch9wavefront6targetE0EEEvT1_ ; -- Begin function _ZN7rocprim17ROCPRIM_400000_NS6detail17trampoline_kernelINS0_14default_configENS1_27scan_by_key_config_selectorIxiEEZZNS1_16scan_by_key_implILNS1_25lookback_scan_determinismE0ELb1ES3_N6thrust23THRUST_200600_302600_NS6detail15normal_iteratorINS9_10device_ptrIxEEEESE_SE_iNS9_4plusIvEENS9_8equal_toIvEEiEE10hipError_tPvRmT2_T3_T4_T5_mT6_T7_P12ihipStream_tbENKUlT_T0_E_clISt17integral_constantIbLb1EESY_IbLb0EEEEDaSU_SV_EUlSU_E_NS1_11comp_targetILNS1_3genE10ELNS1_11target_archE1201ELNS1_3gpuE5ELNS1_3repE0EEENS1_30default_config_static_selectorELNS0_4arch9wavefront6targetE0EEEvT1_
	.globl	_ZN7rocprim17ROCPRIM_400000_NS6detail17trampoline_kernelINS0_14default_configENS1_27scan_by_key_config_selectorIxiEEZZNS1_16scan_by_key_implILNS1_25lookback_scan_determinismE0ELb1ES3_N6thrust23THRUST_200600_302600_NS6detail15normal_iteratorINS9_10device_ptrIxEEEESE_SE_iNS9_4plusIvEENS9_8equal_toIvEEiEE10hipError_tPvRmT2_T3_T4_T5_mT6_T7_P12ihipStream_tbENKUlT_T0_E_clISt17integral_constantIbLb1EESY_IbLb0EEEEDaSU_SV_EUlSU_E_NS1_11comp_targetILNS1_3genE10ELNS1_11target_archE1201ELNS1_3gpuE5ELNS1_3repE0EEENS1_30default_config_static_selectorELNS0_4arch9wavefront6targetE0EEEvT1_
	.p2align	8
	.type	_ZN7rocprim17ROCPRIM_400000_NS6detail17trampoline_kernelINS0_14default_configENS1_27scan_by_key_config_selectorIxiEEZZNS1_16scan_by_key_implILNS1_25lookback_scan_determinismE0ELb1ES3_N6thrust23THRUST_200600_302600_NS6detail15normal_iteratorINS9_10device_ptrIxEEEESE_SE_iNS9_4plusIvEENS9_8equal_toIvEEiEE10hipError_tPvRmT2_T3_T4_T5_mT6_T7_P12ihipStream_tbENKUlT_T0_E_clISt17integral_constantIbLb1EESY_IbLb0EEEEDaSU_SV_EUlSU_E_NS1_11comp_targetILNS1_3genE10ELNS1_11target_archE1201ELNS1_3gpuE5ELNS1_3repE0EEENS1_30default_config_static_selectorELNS0_4arch9wavefront6targetE0EEEvT1_,@function
_ZN7rocprim17ROCPRIM_400000_NS6detail17trampoline_kernelINS0_14default_configENS1_27scan_by_key_config_selectorIxiEEZZNS1_16scan_by_key_implILNS1_25lookback_scan_determinismE0ELb1ES3_N6thrust23THRUST_200600_302600_NS6detail15normal_iteratorINS9_10device_ptrIxEEEESE_SE_iNS9_4plusIvEENS9_8equal_toIvEEiEE10hipError_tPvRmT2_T3_T4_T5_mT6_T7_P12ihipStream_tbENKUlT_T0_E_clISt17integral_constantIbLb1EESY_IbLb0EEEEDaSU_SV_EUlSU_E_NS1_11comp_targetILNS1_3genE10ELNS1_11target_archE1201ELNS1_3gpuE5ELNS1_3repE0EEENS1_30default_config_static_selectorELNS0_4arch9wavefront6targetE0EEEvT1_: ; @_ZN7rocprim17ROCPRIM_400000_NS6detail17trampoline_kernelINS0_14default_configENS1_27scan_by_key_config_selectorIxiEEZZNS1_16scan_by_key_implILNS1_25lookback_scan_determinismE0ELb1ES3_N6thrust23THRUST_200600_302600_NS6detail15normal_iteratorINS9_10device_ptrIxEEEESE_SE_iNS9_4plusIvEENS9_8equal_toIvEEiEE10hipError_tPvRmT2_T3_T4_T5_mT6_T7_P12ihipStream_tbENKUlT_T0_E_clISt17integral_constantIbLb1EESY_IbLb0EEEEDaSU_SV_EUlSU_E_NS1_11comp_targetILNS1_3genE10ELNS1_11target_archE1201ELNS1_3gpuE5ELNS1_3repE0EEENS1_30default_config_static_selectorELNS0_4arch9wavefront6targetE0EEEvT1_
; %bb.0:
	.section	.rodata,"a",@progbits
	.p2align	6, 0x0
	.amdhsa_kernel _ZN7rocprim17ROCPRIM_400000_NS6detail17trampoline_kernelINS0_14default_configENS1_27scan_by_key_config_selectorIxiEEZZNS1_16scan_by_key_implILNS1_25lookback_scan_determinismE0ELb1ES3_N6thrust23THRUST_200600_302600_NS6detail15normal_iteratorINS9_10device_ptrIxEEEESE_SE_iNS9_4plusIvEENS9_8equal_toIvEEiEE10hipError_tPvRmT2_T3_T4_T5_mT6_T7_P12ihipStream_tbENKUlT_T0_E_clISt17integral_constantIbLb1EESY_IbLb0EEEEDaSU_SV_EUlSU_E_NS1_11comp_targetILNS1_3genE10ELNS1_11target_archE1201ELNS1_3gpuE5ELNS1_3repE0EEENS1_30default_config_static_selectorELNS0_4arch9wavefront6targetE0EEEvT1_
		.amdhsa_group_segment_fixed_size 0
		.amdhsa_private_segment_fixed_size 0
		.amdhsa_kernarg_size 112
		.amdhsa_user_sgpr_count 6
		.amdhsa_user_sgpr_private_segment_buffer 1
		.amdhsa_user_sgpr_dispatch_ptr 0
		.amdhsa_user_sgpr_queue_ptr 0
		.amdhsa_user_sgpr_kernarg_segment_ptr 1
		.amdhsa_user_sgpr_dispatch_id 0
		.amdhsa_user_sgpr_flat_scratch_init 0
		.amdhsa_user_sgpr_private_segment_size 0
		.amdhsa_wavefront_size32 1
		.amdhsa_uses_dynamic_stack 0
		.amdhsa_system_sgpr_private_segment_wavefront_offset 0
		.amdhsa_system_sgpr_workgroup_id_x 1
		.amdhsa_system_sgpr_workgroup_id_y 0
		.amdhsa_system_sgpr_workgroup_id_z 0
		.amdhsa_system_sgpr_workgroup_info 0
		.amdhsa_system_vgpr_workitem_id 0
		.amdhsa_next_free_vgpr 1
		.amdhsa_next_free_sgpr 1
		.amdhsa_reserve_vcc 0
		.amdhsa_reserve_flat_scratch 0
		.amdhsa_float_round_mode_32 0
		.amdhsa_float_round_mode_16_64 0
		.amdhsa_float_denorm_mode_32 3
		.amdhsa_float_denorm_mode_16_64 3
		.amdhsa_dx10_clamp 1
		.amdhsa_ieee_mode 1
		.amdhsa_fp16_overflow 0
		.amdhsa_workgroup_processor_mode 1
		.amdhsa_memory_ordered 1
		.amdhsa_forward_progress 1
		.amdhsa_shared_vgpr_count 0
		.amdhsa_exception_fp_ieee_invalid_op 0
		.amdhsa_exception_fp_denorm_src 0
		.amdhsa_exception_fp_ieee_div_zero 0
		.amdhsa_exception_fp_ieee_overflow 0
		.amdhsa_exception_fp_ieee_underflow 0
		.amdhsa_exception_fp_ieee_inexact 0
		.amdhsa_exception_int_div_zero 0
	.end_amdhsa_kernel
	.section	.text._ZN7rocprim17ROCPRIM_400000_NS6detail17trampoline_kernelINS0_14default_configENS1_27scan_by_key_config_selectorIxiEEZZNS1_16scan_by_key_implILNS1_25lookback_scan_determinismE0ELb1ES3_N6thrust23THRUST_200600_302600_NS6detail15normal_iteratorINS9_10device_ptrIxEEEESE_SE_iNS9_4plusIvEENS9_8equal_toIvEEiEE10hipError_tPvRmT2_T3_T4_T5_mT6_T7_P12ihipStream_tbENKUlT_T0_E_clISt17integral_constantIbLb1EESY_IbLb0EEEEDaSU_SV_EUlSU_E_NS1_11comp_targetILNS1_3genE10ELNS1_11target_archE1201ELNS1_3gpuE5ELNS1_3repE0EEENS1_30default_config_static_selectorELNS0_4arch9wavefront6targetE0EEEvT1_,"axG",@progbits,_ZN7rocprim17ROCPRIM_400000_NS6detail17trampoline_kernelINS0_14default_configENS1_27scan_by_key_config_selectorIxiEEZZNS1_16scan_by_key_implILNS1_25lookback_scan_determinismE0ELb1ES3_N6thrust23THRUST_200600_302600_NS6detail15normal_iteratorINS9_10device_ptrIxEEEESE_SE_iNS9_4plusIvEENS9_8equal_toIvEEiEE10hipError_tPvRmT2_T3_T4_T5_mT6_T7_P12ihipStream_tbENKUlT_T0_E_clISt17integral_constantIbLb1EESY_IbLb0EEEEDaSU_SV_EUlSU_E_NS1_11comp_targetILNS1_3genE10ELNS1_11target_archE1201ELNS1_3gpuE5ELNS1_3repE0EEENS1_30default_config_static_selectorELNS0_4arch9wavefront6targetE0EEEvT1_,comdat
.Lfunc_end1023:
	.size	_ZN7rocprim17ROCPRIM_400000_NS6detail17trampoline_kernelINS0_14default_configENS1_27scan_by_key_config_selectorIxiEEZZNS1_16scan_by_key_implILNS1_25lookback_scan_determinismE0ELb1ES3_N6thrust23THRUST_200600_302600_NS6detail15normal_iteratorINS9_10device_ptrIxEEEESE_SE_iNS9_4plusIvEENS9_8equal_toIvEEiEE10hipError_tPvRmT2_T3_T4_T5_mT6_T7_P12ihipStream_tbENKUlT_T0_E_clISt17integral_constantIbLb1EESY_IbLb0EEEEDaSU_SV_EUlSU_E_NS1_11comp_targetILNS1_3genE10ELNS1_11target_archE1201ELNS1_3gpuE5ELNS1_3repE0EEENS1_30default_config_static_selectorELNS0_4arch9wavefront6targetE0EEEvT1_, .Lfunc_end1023-_ZN7rocprim17ROCPRIM_400000_NS6detail17trampoline_kernelINS0_14default_configENS1_27scan_by_key_config_selectorIxiEEZZNS1_16scan_by_key_implILNS1_25lookback_scan_determinismE0ELb1ES3_N6thrust23THRUST_200600_302600_NS6detail15normal_iteratorINS9_10device_ptrIxEEEESE_SE_iNS9_4plusIvEENS9_8equal_toIvEEiEE10hipError_tPvRmT2_T3_T4_T5_mT6_T7_P12ihipStream_tbENKUlT_T0_E_clISt17integral_constantIbLb1EESY_IbLb0EEEEDaSU_SV_EUlSU_E_NS1_11comp_targetILNS1_3genE10ELNS1_11target_archE1201ELNS1_3gpuE5ELNS1_3repE0EEENS1_30default_config_static_selectorELNS0_4arch9wavefront6targetE0EEEvT1_
                                        ; -- End function
	.set _ZN7rocprim17ROCPRIM_400000_NS6detail17trampoline_kernelINS0_14default_configENS1_27scan_by_key_config_selectorIxiEEZZNS1_16scan_by_key_implILNS1_25lookback_scan_determinismE0ELb1ES3_N6thrust23THRUST_200600_302600_NS6detail15normal_iteratorINS9_10device_ptrIxEEEESE_SE_iNS9_4plusIvEENS9_8equal_toIvEEiEE10hipError_tPvRmT2_T3_T4_T5_mT6_T7_P12ihipStream_tbENKUlT_T0_E_clISt17integral_constantIbLb1EESY_IbLb0EEEEDaSU_SV_EUlSU_E_NS1_11comp_targetILNS1_3genE10ELNS1_11target_archE1201ELNS1_3gpuE5ELNS1_3repE0EEENS1_30default_config_static_selectorELNS0_4arch9wavefront6targetE0EEEvT1_.num_vgpr, 0
	.set _ZN7rocprim17ROCPRIM_400000_NS6detail17trampoline_kernelINS0_14default_configENS1_27scan_by_key_config_selectorIxiEEZZNS1_16scan_by_key_implILNS1_25lookback_scan_determinismE0ELb1ES3_N6thrust23THRUST_200600_302600_NS6detail15normal_iteratorINS9_10device_ptrIxEEEESE_SE_iNS9_4plusIvEENS9_8equal_toIvEEiEE10hipError_tPvRmT2_T3_T4_T5_mT6_T7_P12ihipStream_tbENKUlT_T0_E_clISt17integral_constantIbLb1EESY_IbLb0EEEEDaSU_SV_EUlSU_E_NS1_11comp_targetILNS1_3genE10ELNS1_11target_archE1201ELNS1_3gpuE5ELNS1_3repE0EEENS1_30default_config_static_selectorELNS0_4arch9wavefront6targetE0EEEvT1_.num_agpr, 0
	.set _ZN7rocprim17ROCPRIM_400000_NS6detail17trampoline_kernelINS0_14default_configENS1_27scan_by_key_config_selectorIxiEEZZNS1_16scan_by_key_implILNS1_25lookback_scan_determinismE0ELb1ES3_N6thrust23THRUST_200600_302600_NS6detail15normal_iteratorINS9_10device_ptrIxEEEESE_SE_iNS9_4plusIvEENS9_8equal_toIvEEiEE10hipError_tPvRmT2_T3_T4_T5_mT6_T7_P12ihipStream_tbENKUlT_T0_E_clISt17integral_constantIbLb1EESY_IbLb0EEEEDaSU_SV_EUlSU_E_NS1_11comp_targetILNS1_3genE10ELNS1_11target_archE1201ELNS1_3gpuE5ELNS1_3repE0EEENS1_30default_config_static_selectorELNS0_4arch9wavefront6targetE0EEEvT1_.numbered_sgpr, 0
	.set _ZN7rocprim17ROCPRIM_400000_NS6detail17trampoline_kernelINS0_14default_configENS1_27scan_by_key_config_selectorIxiEEZZNS1_16scan_by_key_implILNS1_25lookback_scan_determinismE0ELb1ES3_N6thrust23THRUST_200600_302600_NS6detail15normal_iteratorINS9_10device_ptrIxEEEESE_SE_iNS9_4plusIvEENS9_8equal_toIvEEiEE10hipError_tPvRmT2_T3_T4_T5_mT6_T7_P12ihipStream_tbENKUlT_T0_E_clISt17integral_constantIbLb1EESY_IbLb0EEEEDaSU_SV_EUlSU_E_NS1_11comp_targetILNS1_3genE10ELNS1_11target_archE1201ELNS1_3gpuE5ELNS1_3repE0EEENS1_30default_config_static_selectorELNS0_4arch9wavefront6targetE0EEEvT1_.num_named_barrier, 0
	.set _ZN7rocprim17ROCPRIM_400000_NS6detail17trampoline_kernelINS0_14default_configENS1_27scan_by_key_config_selectorIxiEEZZNS1_16scan_by_key_implILNS1_25lookback_scan_determinismE0ELb1ES3_N6thrust23THRUST_200600_302600_NS6detail15normal_iteratorINS9_10device_ptrIxEEEESE_SE_iNS9_4plusIvEENS9_8equal_toIvEEiEE10hipError_tPvRmT2_T3_T4_T5_mT6_T7_P12ihipStream_tbENKUlT_T0_E_clISt17integral_constantIbLb1EESY_IbLb0EEEEDaSU_SV_EUlSU_E_NS1_11comp_targetILNS1_3genE10ELNS1_11target_archE1201ELNS1_3gpuE5ELNS1_3repE0EEENS1_30default_config_static_selectorELNS0_4arch9wavefront6targetE0EEEvT1_.private_seg_size, 0
	.set _ZN7rocprim17ROCPRIM_400000_NS6detail17trampoline_kernelINS0_14default_configENS1_27scan_by_key_config_selectorIxiEEZZNS1_16scan_by_key_implILNS1_25lookback_scan_determinismE0ELb1ES3_N6thrust23THRUST_200600_302600_NS6detail15normal_iteratorINS9_10device_ptrIxEEEESE_SE_iNS9_4plusIvEENS9_8equal_toIvEEiEE10hipError_tPvRmT2_T3_T4_T5_mT6_T7_P12ihipStream_tbENKUlT_T0_E_clISt17integral_constantIbLb1EESY_IbLb0EEEEDaSU_SV_EUlSU_E_NS1_11comp_targetILNS1_3genE10ELNS1_11target_archE1201ELNS1_3gpuE5ELNS1_3repE0EEENS1_30default_config_static_selectorELNS0_4arch9wavefront6targetE0EEEvT1_.uses_vcc, 0
	.set _ZN7rocprim17ROCPRIM_400000_NS6detail17trampoline_kernelINS0_14default_configENS1_27scan_by_key_config_selectorIxiEEZZNS1_16scan_by_key_implILNS1_25lookback_scan_determinismE0ELb1ES3_N6thrust23THRUST_200600_302600_NS6detail15normal_iteratorINS9_10device_ptrIxEEEESE_SE_iNS9_4plusIvEENS9_8equal_toIvEEiEE10hipError_tPvRmT2_T3_T4_T5_mT6_T7_P12ihipStream_tbENKUlT_T0_E_clISt17integral_constantIbLb1EESY_IbLb0EEEEDaSU_SV_EUlSU_E_NS1_11comp_targetILNS1_3genE10ELNS1_11target_archE1201ELNS1_3gpuE5ELNS1_3repE0EEENS1_30default_config_static_selectorELNS0_4arch9wavefront6targetE0EEEvT1_.uses_flat_scratch, 0
	.set _ZN7rocprim17ROCPRIM_400000_NS6detail17trampoline_kernelINS0_14default_configENS1_27scan_by_key_config_selectorIxiEEZZNS1_16scan_by_key_implILNS1_25lookback_scan_determinismE0ELb1ES3_N6thrust23THRUST_200600_302600_NS6detail15normal_iteratorINS9_10device_ptrIxEEEESE_SE_iNS9_4plusIvEENS9_8equal_toIvEEiEE10hipError_tPvRmT2_T3_T4_T5_mT6_T7_P12ihipStream_tbENKUlT_T0_E_clISt17integral_constantIbLb1EESY_IbLb0EEEEDaSU_SV_EUlSU_E_NS1_11comp_targetILNS1_3genE10ELNS1_11target_archE1201ELNS1_3gpuE5ELNS1_3repE0EEENS1_30default_config_static_selectorELNS0_4arch9wavefront6targetE0EEEvT1_.has_dyn_sized_stack, 0
	.set _ZN7rocprim17ROCPRIM_400000_NS6detail17trampoline_kernelINS0_14default_configENS1_27scan_by_key_config_selectorIxiEEZZNS1_16scan_by_key_implILNS1_25lookback_scan_determinismE0ELb1ES3_N6thrust23THRUST_200600_302600_NS6detail15normal_iteratorINS9_10device_ptrIxEEEESE_SE_iNS9_4plusIvEENS9_8equal_toIvEEiEE10hipError_tPvRmT2_T3_T4_T5_mT6_T7_P12ihipStream_tbENKUlT_T0_E_clISt17integral_constantIbLb1EESY_IbLb0EEEEDaSU_SV_EUlSU_E_NS1_11comp_targetILNS1_3genE10ELNS1_11target_archE1201ELNS1_3gpuE5ELNS1_3repE0EEENS1_30default_config_static_selectorELNS0_4arch9wavefront6targetE0EEEvT1_.has_recursion, 0
	.set _ZN7rocprim17ROCPRIM_400000_NS6detail17trampoline_kernelINS0_14default_configENS1_27scan_by_key_config_selectorIxiEEZZNS1_16scan_by_key_implILNS1_25lookback_scan_determinismE0ELb1ES3_N6thrust23THRUST_200600_302600_NS6detail15normal_iteratorINS9_10device_ptrIxEEEESE_SE_iNS9_4plusIvEENS9_8equal_toIvEEiEE10hipError_tPvRmT2_T3_T4_T5_mT6_T7_P12ihipStream_tbENKUlT_T0_E_clISt17integral_constantIbLb1EESY_IbLb0EEEEDaSU_SV_EUlSU_E_NS1_11comp_targetILNS1_3genE10ELNS1_11target_archE1201ELNS1_3gpuE5ELNS1_3repE0EEENS1_30default_config_static_selectorELNS0_4arch9wavefront6targetE0EEEvT1_.has_indirect_call, 0
	.section	.AMDGPU.csdata,"",@progbits
; Kernel info:
; codeLenInByte = 0
; TotalNumSgprs: 0
; NumVgprs: 0
; ScratchSize: 0
; MemoryBound: 0
; FloatMode: 240
; IeeeMode: 1
; LDSByteSize: 0 bytes/workgroup (compile time only)
; SGPRBlocks: 0
; VGPRBlocks: 0
; NumSGPRsForWavesPerEU: 1
; NumVGPRsForWavesPerEU: 1
; Occupancy: 16
; WaveLimiterHint : 0
; COMPUTE_PGM_RSRC2:SCRATCH_EN: 0
; COMPUTE_PGM_RSRC2:USER_SGPR: 6
; COMPUTE_PGM_RSRC2:TRAP_HANDLER: 0
; COMPUTE_PGM_RSRC2:TGID_X_EN: 1
; COMPUTE_PGM_RSRC2:TGID_Y_EN: 0
; COMPUTE_PGM_RSRC2:TGID_Z_EN: 0
; COMPUTE_PGM_RSRC2:TIDIG_COMP_CNT: 0
	.section	.text._ZN7rocprim17ROCPRIM_400000_NS6detail17trampoline_kernelINS0_14default_configENS1_27scan_by_key_config_selectorIxiEEZZNS1_16scan_by_key_implILNS1_25lookback_scan_determinismE0ELb1ES3_N6thrust23THRUST_200600_302600_NS6detail15normal_iteratorINS9_10device_ptrIxEEEESE_SE_iNS9_4plusIvEENS9_8equal_toIvEEiEE10hipError_tPvRmT2_T3_T4_T5_mT6_T7_P12ihipStream_tbENKUlT_T0_E_clISt17integral_constantIbLb1EESY_IbLb0EEEEDaSU_SV_EUlSU_E_NS1_11comp_targetILNS1_3genE5ELNS1_11target_archE942ELNS1_3gpuE9ELNS1_3repE0EEENS1_30default_config_static_selectorELNS0_4arch9wavefront6targetE0EEEvT1_,"axG",@progbits,_ZN7rocprim17ROCPRIM_400000_NS6detail17trampoline_kernelINS0_14default_configENS1_27scan_by_key_config_selectorIxiEEZZNS1_16scan_by_key_implILNS1_25lookback_scan_determinismE0ELb1ES3_N6thrust23THRUST_200600_302600_NS6detail15normal_iteratorINS9_10device_ptrIxEEEESE_SE_iNS9_4plusIvEENS9_8equal_toIvEEiEE10hipError_tPvRmT2_T3_T4_T5_mT6_T7_P12ihipStream_tbENKUlT_T0_E_clISt17integral_constantIbLb1EESY_IbLb0EEEEDaSU_SV_EUlSU_E_NS1_11comp_targetILNS1_3genE5ELNS1_11target_archE942ELNS1_3gpuE9ELNS1_3repE0EEENS1_30default_config_static_selectorELNS0_4arch9wavefront6targetE0EEEvT1_,comdat
	.protected	_ZN7rocprim17ROCPRIM_400000_NS6detail17trampoline_kernelINS0_14default_configENS1_27scan_by_key_config_selectorIxiEEZZNS1_16scan_by_key_implILNS1_25lookback_scan_determinismE0ELb1ES3_N6thrust23THRUST_200600_302600_NS6detail15normal_iteratorINS9_10device_ptrIxEEEESE_SE_iNS9_4plusIvEENS9_8equal_toIvEEiEE10hipError_tPvRmT2_T3_T4_T5_mT6_T7_P12ihipStream_tbENKUlT_T0_E_clISt17integral_constantIbLb1EESY_IbLb0EEEEDaSU_SV_EUlSU_E_NS1_11comp_targetILNS1_3genE5ELNS1_11target_archE942ELNS1_3gpuE9ELNS1_3repE0EEENS1_30default_config_static_selectorELNS0_4arch9wavefront6targetE0EEEvT1_ ; -- Begin function _ZN7rocprim17ROCPRIM_400000_NS6detail17trampoline_kernelINS0_14default_configENS1_27scan_by_key_config_selectorIxiEEZZNS1_16scan_by_key_implILNS1_25lookback_scan_determinismE0ELb1ES3_N6thrust23THRUST_200600_302600_NS6detail15normal_iteratorINS9_10device_ptrIxEEEESE_SE_iNS9_4plusIvEENS9_8equal_toIvEEiEE10hipError_tPvRmT2_T3_T4_T5_mT6_T7_P12ihipStream_tbENKUlT_T0_E_clISt17integral_constantIbLb1EESY_IbLb0EEEEDaSU_SV_EUlSU_E_NS1_11comp_targetILNS1_3genE5ELNS1_11target_archE942ELNS1_3gpuE9ELNS1_3repE0EEENS1_30default_config_static_selectorELNS0_4arch9wavefront6targetE0EEEvT1_
	.globl	_ZN7rocprim17ROCPRIM_400000_NS6detail17trampoline_kernelINS0_14default_configENS1_27scan_by_key_config_selectorIxiEEZZNS1_16scan_by_key_implILNS1_25lookback_scan_determinismE0ELb1ES3_N6thrust23THRUST_200600_302600_NS6detail15normal_iteratorINS9_10device_ptrIxEEEESE_SE_iNS9_4plusIvEENS9_8equal_toIvEEiEE10hipError_tPvRmT2_T3_T4_T5_mT6_T7_P12ihipStream_tbENKUlT_T0_E_clISt17integral_constantIbLb1EESY_IbLb0EEEEDaSU_SV_EUlSU_E_NS1_11comp_targetILNS1_3genE5ELNS1_11target_archE942ELNS1_3gpuE9ELNS1_3repE0EEENS1_30default_config_static_selectorELNS0_4arch9wavefront6targetE0EEEvT1_
	.p2align	8
	.type	_ZN7rocprim17ROCPRIM_400000_NS6detail17trampoline_kernelINS0_14default_configENS1_27scan_by_key_config_selectorIxiEEZZNS1_16scan_by_key_implILNS1_25lookback_scan_determinismE0ELb1ES3_N6thrust23THRUST_200600_302600_NS6detail15normal_iteratorINS9_10device_ptrIxEEEESE_SE_iNS9_4plusIvEENS9_8equal_toIvEEiEE10hipError_tPvRmT2_T3_T4_T5_mT6_T7_P12ihipStream_tbENKUlT_T0_E_clISt17integral_constantIbLb1EESY_IbLb0EEEEDaSU_SV_EUlSU_E_NS1_11comp_targetILNS1_3genE5ELNS1_11target_archE942ELNS1_3gpuE9ELNS1_3repE0EEENS1_30default_config_static_selectorELNS0_4arch9wavefront6targetE0EEEvT1_,@function
_ZN7rocprim17ROCPRIM_400000_NS6detail17trampoline_kernelINS0_14default_configENS1_27scan_by_key_config_selectorIxiEEZZNS1_16scan_by_key_implILNS1_25lookback_scan_determinismE0ELb1ES3_N6thrust23THRUST_200600_302600_NS6detail15normal_iteratorINS9_10device_ptrIxEEEESE_SE_iNS9_4plusIvEENS9_8equal_toIvEEiEE10hipError_tPvRmT2_T3_T4_T5_mT6_T7_P12ihipStream_tbENKUlT_T0_E_clISt17integral_constantIbLb1EESY_IbLb0EEEEDaSU_SV_EUlSU_E_NS1_11comp_targetILNS1_3genE5ELNS1_11target_archE942ELNS1_3gpuE9ELNS1_3repE0EEENS1_30default_config_static_selectorELNS0_4arch9wavefront6targetE0EEEvT1_: ; @_ZN7rocprim17ROCPRIM_400000_NS6detail17trampoline_kernelINS0_14default_configENS1_27scan_by_key_config_selectorIxiEEZZNS1_16scan_by_key_implILNS1_25lookback_scan_determinismE0ELb1ES3_N6thrust23THRUST_200600_302600_NS6detail15normal_iteratorINS9_10device_ptrIxEEEESE_SE_iNS9_4plusIvEENS9_8equal_toIvEEiEE10hipError_tPvRmT2_T3_T4_T5_mT6_T7_P12ihipStream_tbENKUlT_T0_E_clISt17integral_constantIbLb1EESY_IbLb0EEEEDaSU_SV_EUlSU_E_NS1_11comp_targetILNS1_3genE5ELNS1_11target_archE942ELNS1_3gpuE9ELNS1_3repE0EEENS1_30default_config_static_selectorELNS0_4arch9wavefront6targetE0EEEvT1_
; %bb.0:
	.section	.rodata,"a",@progbits
	.p2align	6, 0x0
	.amdhsa_kernel _ZN7rocprim17ROCPRIM_400000_NS6detail17trampoline_kernelINS0_14default_configENS1_27scan_by_key_config_selectorIxiEEZZNS1_16scan_by_key_implILNS1_25lookback_scan_determinismE0ELb1ES3_N6thrust23THRUST_200600_302600_NS6detail15normal_iteratorINS9_10device_ptrIxEEEESE_SE_iNS9_4plusIvEENS9_8equal_toIvEEiEE10hipError_tPvRmT2_T3_T4_T5_mT6_T7_P12ihipStream_tbENKUlT_T0_E_clISt17integral_constantIbLb1EESY_IbLb0EEEEDaSU_SV_EUlSU_E_NS1_11comp_targetILNS1_3genE5ELNS1_11target_archE942ELNS1_3gpuE9ELNS1_3repE0EEENS1_30default_config_static_selectorELNS0_4arch9wavefront6targetE0EEEvT1_
		.amdhsa_group_segment_fixed_size 0
		.amdhsa_private_segment_fixed_size 0
		.amdhsa_kernarg_size 112
		.amdhsa_user_sgpr_count 6
		.amdhsa_user_sgpr_private_segment_buffer 1
		.amdhsa_user_sgpr_dispatch_ptr 0
		.amdhsa_user_sgpr_queue_ptr 0
		.amdhsa_user_sgpr_kernarg_segment_ptr 1
		.amdhsa_user_sgpr_dispatch_id 0
		.amdhsa_user_sgpr_flat_scratch_init 0
		.amdhsa_user_sgpr_private_segment_size 0
		.amdhsa_wavefront_size32 1
		.amdhsa_uses_dynamic_stack 0
		.amdhsa_system_sgpr_private_segment_wavefront_offset 0
		.amdhsa_system_sgpr_workgroup_id_x 1
		.amdhsa_system_sgpr_workgroup_id_y 0
		.amdhsa_system_sgpr_workgroup_id_z 0
		.amdhsa_system_sgpr_workgroup_info 0
		.amdhsa_system_vgpr_workitem_id 0
		.amdhsa_next_free_vgpr 1
		.amdhsa_next_free_sgpr 1
		.amdhsa_reserve_vcc 0
		.amdhsa_reserve_flat_scratch 0
		.amdhsa_float_round_mode_32 0
		.amdhsa_float_round_mode_16_64 0
		.amdhsa_float_denorm_mode_32 3
		.amdhsa_float_denorm_mode_16_64 3
		.amdhsa_dx10_clamp 1
		.amdhsa_ieee_mode 1
		.amdhsa_fp16_overflow 0
		.amdhsa_workgroup_processor_mode 1
		.amdhsa_memory_ordered 1
		.amdhsa_forward_progress 1
		.amdhsa_shared_vgpr_count 0
		.amdhsa_exception_fp_ieee_invalid_op 0
		.amdhsa_exception_fp_denorm_src 0
		.amdhsa_exception_fp_ieee_div_zero 0
		.amdhsa_exception_fp_ieee_overflow 0
		.amdhsa_exception_fp_ieee_underflow 0
		.amdhsa_exception_fp_ieee_inexact 0
		.amdhsa_exception_int_div_zero 0
	.end_amdhsa_kernel
	.section	.text._ZN7rocprim17ROCPRIM_400000_NS6detail17trampoline_kernelINS0_14default_configENS1_27scan_by_key_config_selectorIxiEEZZNS1_16scan_by_key_implILNS1_25lookback_scan_determinismE0ELb1ES3_N6thrust23THRUST_200600_302600_NS6detail15normal_iteratorINS9_10device_ptrIxEEEESE_SE_iNS9_4plusIvEENS9_8equal_toIvEEiEE10hipError_tPvRmT2_T3_T4_T5_mT6_T7_P12ihipStream_tbENKUlT_T0_E_clISt17integral_constantIbLb1EESY_IbLb0EEEEDaSU_SV_EUlSU_E_NS1_11comp_targetILNS1_3genE5ELNS1_11target_archE942ELNS1_3gpuE9ELNS1_3repE0EEENS1_30default_config_static_selectorELNS0_4arch9wavefront6targetE0EEEvT1_,"axG",@progbits,_ZN7rocprim17ROCPRIM_400000_NS6detail17trampoline_kernelINS0_14default_configENS1_27scan_by_key_config_selectorIxiEEZZNS1_16scan_by_key_implILNS1_25lookback_scan_determinismE0ELb1ES3_N6thrust23THRUST_200600_302600_NS6detail15normal_iteratorINS9_10device_ptrIxEEEESE_SE_iNS9_4plusIvEENS9_8equal_toIvEEiEE10hipError_tPvRmT2_T3_T4_T5_mT6_T7_P12ihipStream_tbENKUlT_T0_E_clISt17integral_constantIbLb1EESY_IbLb0EEEEDaSU_SV_EUlSU_E_NS1_11comp_targetILNS1_3genE5ELNS1_11target_archE942ELNS1_3gpuE9ELNS1_3repE0EEENS1_30default_config_static_selectorELNS0_4arch9wavefront6targetE0EEEvT1_,comdat
.Lfunc_end1024:
	.size	_ZN7rocprim17ROCPRIM_400000_NS6detail17trampoline_kernelINS0_14default_configENS1_27scan_by_key_config_selectorIxiEEZZNS1_16scan_by_key_implILNS1_25lookback_scan_determinismE0ELb1ES3_N6thrust23THRUST_200600_302600_NS6detail15normal_iteratorINS9_10device_ptrIxEEEESE_SE_iNS9_4plusIvEENS9_8equal_toIvEEiEE10hipError_tPvRmT2_T3_T4_T5_mT6_T7_P12ihipStream_tbENKUlT_T0_E_clISt17integral_constantIbLb1EESY_IbLb0EEEEDaSU_SV_EUlSU_E_NS1_11comp_targetILNS1_3genE5ELNS1_11target_archE942ELNS1_3gpuE9ELNS1_3repE0EEENS1_30default_config_static_selectorELNS0_4arch9wavefront6targetE0EEEvT1_, .Lfunc_end1024-_ZN7rocprim17ROCPRIM_400000_NS6detail17trampoline_kernelINS0_14default_configENS1_27scan_by_key_config_selectorIxiEEZZNS1_16scan_by_key_implILNS1_25lookback_scan_determinismE0ELb1ES3_N6thrust23THRUST_200600_302600_NS6detail15normal_iteratorINS9_10device_ptrIxEEEESE_SE_iNS9_4plusIvEENS9_8equal_toIvEEiEE10hipError_tPvRmT2_T3_T4_T5_mT6_T7_P12ihipStream_tbENKUlT_T0_E_clISt17integral_constantIbLb1EESY_IbLb0EEEEDaSU_SV_EUlSU_E_NS1_11comp_targetILNS1_3genE5ELNS1_11target_archE942ELNS1_3gpuE9ELNS1_3repE0EEENS1_30default_config_static_selectorELNS0_4arch9wavefront6targetE0EEEvT1_
                                        ; -- End function
	.set _ZN7rocprim17ROCPRIM_400000_NS6detail17trampoline_kernelINS0_14default_configENS1_27scan_by_key_config_selectorIxiEEZZNS1_16scan_by_key_implILNS1_25lookback_scan_determinismE0ELb1ES3_N6thrust23THRUST_200600_302600_NS6detail15normal_iteratorINS9_10device_ptrIxEEEESE_SE_iNS9_4plusIvEENS9_8equal_toIvEEiEE10hipError_tPvRmT2_T3_T4_T5_mT6_T7_P12ihipStream_tbENKUlT_T0_E_clISt17integral_constantIbLb1EESY_IbLb0EEEEDaSU_SV_EUlSU_E_NS1_11comp_targetILNS1_3genE5ELNS1_11target_archE942ELNS1_3gpuE9ELNS1_3repE0EEENS1_30default_config_static_selectorELNS0_4arch9wavefront6targetE0EEEvT1_.num_vgpr, 0
	.set _ZN7rocprim17ROCPRIM_400000_NS6detail17trampoline_kernelINS0_14default_configENS1_27scan_by_key_config_selectorIxiEEZZNS1_16scan_by_key_implILNS1_25lookback_scan_determinismE0ELb1ES3_N6thrust23THRUST_200600_302600_NS6detail15normal_iteratorINS9_10device_ptrIxEEEESE_SE_iNS9_4plusIvEENS9_8equal_toIvEEiEE10hipError_tPvRmT2_T3_T4_T5_mT6_T7_P12ihipStream_tbENKUlT_T0_E_clISt17integral_constantIbLb1EESY_IbLb0EEEEDaSU_SV_EUlSU_E_NS1_11comp_targetILNS1_3genE5ELNS1_11target_archE942ELNS1_3gpuE9ELNS1_3repE0EEENS1_30default_config_static_selectorELNS0_4arch9wavefront6targetE0EEEvT1_.num_agpr, 0
	.set _ZN7rocprim17ROCPRIM_400000_NS6detail17trampoline_kernelINS0_14default_configENS1_27scan_by_key_config_selectorIxiEEZZNS1_16scan_by_key_implILNS1_25lookback_scan_determinismE0ELb1ES3_N6thrust23THRUST_200600_302600_NS6detail15normal_iteratorINS9_10device_ptrIxEEEESE_SE_iNS9_4plusIvEENS9_8equal_toIvEEiEE10hipError_tPvRmT2_T3_T4_T5_mT6_T7_P12ihipStream_tbENKUlT_T0_E_clISt17integral_constantIbLb1EESY_IbLb0EEEEDaSU_SV_EUlSU_E_NS1_11comp_targetILNS1_3genE5ELNS1_11target_archE942ELNS1_3gpuE9ELNS1_3repE0EEENS1_30default_config_static_selectorELNS0_4arch9wavefront6targetE0EEEvT1_.numbered_sgpr, 0
	.set _ZN7rocprim17ROCPRIM_400000_NS6detail17trampoline_kernelINS0_14default_configENS1_27scan_by_key_config_selectorIxiEEZZNS1_16scan_by_key_implILNS1_25lookback_scan_determinismE0ELb1ES3_N6thrust23THRUST_200600_302600_NS6detail15normal_iteratorINS9_10device_ptrIxEEEESE_SE_iNS9_4plusIvEENS9_8equal_toIvEEiEE10hipError_tPvRmT2_T3_T4_T5_mT6_T7_P12ihipStream_tbENKUlT_T0_E_clISt17integral_constantIbLb1EESY_IbLb0EEEEDaSU_SV_EUlSU_E_NS1_11comp_targetILNS1_3genE5ELNS1_11target_archE942ELNS1_3gpuE9ELNS1_3repE0EEENS1_30default_config_static_selectorELNS0_4arch9wavefront6targetE0EEEvT1_.num_named_barrier, 0
	.set _ZN7rocprim17ROCPRIM_400000_NS6detail17trampoline_kernelINS0_14default_configENS1_27scan_by_key_config_selectorIxiEEZZNS1_16scan_by_key_implILNS1_25lookback_scan_determinismE0ELb1ES3_N6thrust23THRUST_200600_302600_NS6detail15normal_iteratorINS9_10device_ptrIxEEEESE_SE_iNS9_4plusIvEENS9_8equal_toIvEEiEE10hipError_tPvRmT2_T3_T4_T5_mT6_T7_P12ihipStream_tbENKUlT_T0_E_clISt17integral_constantIbLb1EESY_IbLb0EEEEDaSU_SV_EUlSU_E_NS1_11comp_targetILNS1_3genE5ELNS1_11target_archE942ELNS1_3gpuE9ELNS1_3repE0EEENS1_30default_config_static_selectorELNS0_4arch9wavefront6targetE0EEEvT1_.private_seg_size, 0
	.set _ZN7rocprim17ROCPRIM_400000_NS6detail17trampoline_kernelINS0_14default_configENS1_27scan_by_key_config_selectorIxiEEZZNS1_16scan_by_key_implILNS1_25lookback_scan_determinismE0ELb1ES3_N6thrust23THRUST_200600_302600_NS6detail15normal_iteratorINS9_10device_ptrIxEEEESE_SE_iNS9_4plusIvEENS9_8equal_toIvEEiEE10hipError_tPvRmT2_T3_T4_T5_mT6_T7_P12ihipStream_tbENKUlT_T0_E_clISt17integral_constantIbLb1EESY_IbLb0EEEEDaSU_SV_EUlSU_E_NS1_11comp_targetILNS1_3genE5ELNS1_11target_archE942ELNS1_3gpuE9ELNS1_3repE0EEENS1_30default_config_static_selectorELNS0_4arch9wavefront6targetE0EEEvT1_.uses_vcc, 0
	.set _ZN7rocprim17ROCPRIM_400000_NS6detail17trampoline_kernelINS0_14default_configENS1_27scan_by_key_config_selectorIxiEEZZNS1_16scan_by_key_implILNS1_25lookback_scan_determinismE0ELb1ES3_N6thrust23THRUST_200600_302600_NS6detail15normal_iteratorINS9_10device_ptrIxEEEESE_SE_iNS9_4plusIvEENS9_8equal_toIvEEiEE10hipError_tPvRmT2_T3_T4_T5_mT6_T7_P12ihipStream_tbENKUlT_T0_E_clISt17integral_constantIbLb1EESY_IbLb0EEEEDaSU_SV_EUlSU_E_NS1_11comp_targetILNS1_3genE5ELNS1_11target_archE942ELNS1_3gpuE9ELNS1_3repE0EEENS1_30default_config_static_selectorELNS0_4arch9wavefront6targetE0EEEvT1_.uses_flat_scratch, 0
	.set _ZN7rocprim17ROCPRIM_400000_NS6detail17trampoline_kernelINS0_14default_configENS1_27scan_by_key_config_selectorIxiEEZZNS1_16scan_by_key_implILNS1_25lookback_scan_determinismE0ELb1ES3_N6thrust23THRUST_200600_302600_NS6detail15normal_iteratorINS9_10device_ptrIxEEEESE_SE_iNS9_4plusIvEENS9_8equal_toIvEEiEE10hipError_tPvRmT2_T3_T4_T5_mT6_T7_P12ihipStream_tbENKUlT_T0_E_clISt17integral_constantIbLb1EESY_IbLb0EEEEDaSU_SV_EUlSU_E_NS1_11comp_targetILNS1_3genE5ELNS1_11target_archE942ELNS1_3gpuE9ELNS1_3repE0EEENS1_30default_config_static_selectorELNS0_4arch9wavefront6targetE0EEEvT1_.has_dyn_sized_stack, 0
	.set _ZN7rocprim17ROCPRIM_400000_NS6detail17trampoline_kernelINS0_14default_configENS1_27scan_by_key_config_selectorIxiEEZZNS1_16scan_by_key_implILNS1_25lookback_scan_determinismE0ELb1ES3_N6thrust23THRUST_200600_302600_NS6detail15normal_iteratorINS9_10device_ptrIxEEEESE_SE_iNS9_4plusIvEENS9_8equal_toIvEEiEE10hipError_tPvRmT2_T3_T4_T5_mT6_T7_P12ihipStream_tbENKUlT_T0_E_clISt17integral_constantIbLb1EESY_IbLb0EEEEDaSU_SV_EUlSU_E_NS1_11comp_targetILNS1_3genE5ELNS1_11target_archE942ELNS1_3gpuE9ELNS1_3repE0EEENS1_30default_config_static_selectorELNS0_4arch9wavefront6targetE0EEEvT1_.has_recursion, 0
	.set _ZN7rocprim17ROCPRIM_400000_NS6detail17trampoline_kernelINS0_14default_configENS1_27scan_by_key_config_selectorIxiEEZZNS1_16scan_by_key_implILNS1_25lookback_scan_determinismE0ELb1ES3_N6thrust23THRUST_200600_302600_NS6detail15normal_iteratorINS9_10device_ptrIxEEEESE_SE_iNS9_4plusIvEENS9_8equal_toIvEEiEE10hipError_tPvRmT2_T3_T4_T5_mT6_T7_P12ihipStream_tbENKUlT_T0_E_clISt17integral_constantIbLb1EESY_IbLb0EEEEDaSU_SV_EUlSU_E_NS1_11comp_targetILNS1_3genE5ELNS1_11target_archE942ELNS1_3gpuE9ELNS1_3repE0EEENS1_30default_config_static_selectorELNS0_4arch9wavefront6targetE0EEEvT1_.has_indirect_call, 0
	.section	.AMDGPU.csdata,"",@progbits
; Kernel info:
; codeLenInByte = 0
; TotalNumSgprs: 0
; NumVgprs: 0
; ScratchSize: 0
; MemoryBound: 0
; FloatMode: 240
; IeeeMode: 1
; LDSByteSize: 0 bytes/workgroup (compile time only)
; SGPRBlocks: 0
; VGPRBlocks: 0
; NumSGPRsForWavesPerEU: 1
; NumVGPRsForWavesPerEU: 1
; Occupancy: 16
; WaveLimiterHint : 0
; COMPUTE_PGM_RSRC2:SCRATCH_EN: 0
; COMPUTE_PGM_RSRC2:USER_SGPR: 6
; COMPUTE_PGM_RSRC2:TRAP_HANDLER: 0
; COMPUTE_PGM_RSRC2:TGID_X_EN: 1
; COMPUTE_PGM_RSRC2:TGID_Y_EN: 0
; COMPUTE_PGM_RSRC2:TGID_Z_EN: 0
; COMPUTE_PGM_RSRC2:TIDIG_COMP_CNT: 0
	.section	.text._ZN7rocprim17ROCPRIM_400000_NS6detail17trampoline_kernelINS0_14default_configENS1_27scan_by_key_config_selectorIxiEEZZNS1_16scan_by_key_implILNS1_25lookback_scan_determinismE0ELb1ES3_N6thrust23THRUST_200600_302600_NS6detail15normal_iteratorINS9_10device_ptrIxEEEESE_SE_iNS9_4plusIvEENS9_8equal_toIvEEiEE10hipError_tPvRmT2_T3_T4_T5_mT6_T7_P12ihipStream_tbENKUlT_T0_E_clISt17integral_constantIbLb1EESY_IbLb0EEEEDaSU_SV_EUlSU_E_NS1_11comp_targetILNS1_3genE4ELNS1_11target_archE910ELNS1_3gpuE8ELNS1_3repE0EEENS1_30default_config_static_selectorELNS0_4arch9wavefront6targetE0EEEvT1_,"axG",@progbits,_ZN7rocprim17ROCPRIM_400000_NS6detail17trampoline_kernelINS0_14default_configENS1_27scan_by_key_config_selectorIxiEEZZNS1_16scan_by_key_implILNS1_25lookback_scan_determinismE0ELb1ES3_N6thrust23THRUST_200600_302600_NS6detail15normal_iteratorINS9_10device_ptrIxEEEESE_SE_iNS9_4plusIvEENS9_8equal_toIvEEiEE10hipError_tPvRmT2_T3_T4_T5_mT6_T7_P12ihipStream_tbENKUlT_T0_E_clISt17integral_constantIbLb1EESY_IbLb0EEEEDaSU_SV_EUlSU_E_NS1_11comp_targetILNS1_3genE4ELNS1_11target_archE910ELNS1_3gpuE8ELNS1_3repE0EEENS1_30default_config_static_selectorELNS0_4arch9wavefront6targetE0EEEvT1_,comdat
	.protected	_ZN7rocprim17ROCPRIM_400000_NS6detail17trampoline_kernelINS0_14default_configENS1_27scan_by_key_config_selectorIxiEEZZNS1_16scan_by_key_implILNS1_25lookback_scan_determinismE0ELb1ES3_N6thrust23THRUST_200600_302600_NS6detail15normal_iteratorINS9_10device_ptrIxEEEESE_SE_iNS9_4plusIvEENS9_8equal_toIvEEiEE10hipError_tPvRmT2_T3_T4_T5_mT6_T7_P12ihipStream_tbENKUlT_T0_E_clISt17integral_constantIbLb1EESY_IbLb0EEEEDaSU_SV_EUlSU_E_NS1_11comp_targetILNS1_3genE4ELNS1_11target_archE910ELNS1_3gpuE8ELNS1_3repE0EEENS1_30default_config_static_selectorELNS0_4arch9wavefront6targetE0EEEvT1_ ; -- Begin function _ZN7rocprim17ROCPRIM_400000_NS6detail17trampoline_kernelINS0_14default_configENS1_27scan_by_key_config_selectorIxiEEZZNS1_16scan_by_key_implILNS1_25lookback_scan_determinismE0ELb1ES3_N6thrust23THRUST_200600_302600_NS6detail15normal_iteratorINS9_10device_ptrIxEEEESE_SE_iNS9_4plusIvEENS9_8equal_toIvEEiEE10hipError_tPvRmT2_T3_T4_T5_mT6_T7_P12ihipStream_tbENKUlT_T0_E_clISt17integral_constantIbLb1EESY_IbLb0EEEEDaSU_SV_EUlSU_E_NS1_11comp_targetILNS1_3genE4ELNS1_11target_archE910ELNS1_3gpuE8ELNS1_3repE0EEENS1_30default_config_static_selectorELNS0_4arch9wavefront6targetE0EEEvT1_
	.globl	_ZN7rocprim17ROCPRIM_400000_NS6detail17trampoline_kernelINS0_14default_configENS1_27scan_by_key_config_selectorIxiEEZZNS1_16scan_by_key_implILNS1_25lookback_scan_determinismE0ELb1ES3_N6thrust23THRUST_200600_302600_NS6detail15normal_iteratorINS9_10device_ptrIxEEEESE_SE_iNS9_4plusIvEENS9_8equal_toIvEEiEE10hipError_tPvRmT2_T3_T4_T5_mT6_T7_P12ihipStream_tbENKUlT_T0_E_clISt17integral_constantIbLb1EESY_IbLb0EEEEDaSU_SV_EUlSU_E_NS1_11comp_targetILNS1_3genE4ELNS1_11target_archE910ELNS1_3gpuE8ELNS1_3repE0EEENS1_30default_config_static_selectorELNS0_4arch9wavefront6targetE0EEEvT1_
	.p2align	8
	.type	_ZN7rocprim17ROCPRIM_400000_NS6detail17trampoline_kernelINS0_14default_configENS1_27scan_by_key_config_selectorIxiEEZZNS1_16scan_by_key_implILNS1_25lookback_scan_determinismE0ELb1ES3_N6thrust23THRUST_200600_302600_NS6detail15normal_iteratorINS9_10device_ptrIxEEEESE_SE_iNS9_4plusIvEENS9_8equal_toIvEEiEE10hipError_tPvRmT2_T3_T4_T5_mT6_T7_P12ihipStream_tbENKUlT_T0_E_clISt17integral_constantIbLb1EESY_IbLb0EEEEDaSU_SV_EUlSU_E_NS1_11comp_targetILNS1_3genE4ELNS1_11target_archE910ELNS1_3gpuE8ELNS1_3repE0EEENS1_30default_config_static_selectorELNS0_4arch9wavefront6targetE0EEEvT1_,@function
_ZN7rocprim17ROCPRIM_400000_NS6detail17trampoline_kernelINS0_14default_configENS1_27scan_by_key_config_selectorIxiEEZZNS1_16scan_by_key_implILNS1_25lookback_scan_determinismE0ELb1ES3_N6thrust23THRUST_200600_302600_NS6detail15normal_iteratorINS9_10device_ptrIxEEEESE_SE_iNS9_4plusIvEENS9_8equal_toIvEEiEE10hipError_tPvRmT2_T3_T4_T5_mT6_T7_P12ihipStream_tbENKUlT_T0_E_clISt17integral_constantIbLb1EESY_IbLb0EEEEDaSU_SV_EUlSU_E_NS1_11comp_targetILNS1_3genE4ELNS1_11target_archE910ELNS1_3gpuE8ELNS1_3repE0EEENS1_30default_config_static_selectorELNS0_4arch9wavefront6targetE0EEEvT1_: ; @_ZN7rocprim17ROCPRIM_400000_NS6detail17trampoline_kernelINS0_14default_configENS1_27scan_by_key_config_selectorIxiEEZZNS1_16scan_by_key_implILNS1_25lookback_scan_determinismE0ELb1ES3_N6thrust23THRUST_200600_302600_NS6detail15normal_iteratorINS9_10device_ptrIxEEEESE_SE_iNS9_4plusIvEENS9_8equal_toIvEEiEE10hipError_tPvRmT2_T3_T4_T5_mT6_T7_P12ihipStream_tbENKUlT_T0_E_clISt17integral_constantIbLb1EESY_IbLb0EEEEDaSU_SV_EUlSU_E_NS1_11comp_targetILNS1_3genE4ELNS1_11target_archE910ELNS1_3gpuE8ELNS1_3repE0EEENS1_30default_config_static_selectorELNS0_4arch9wavefront6targetE0EEEvT1_
; %bb.0:
	.section	.rodata,"a",@progbits
	.p2align	6, 0x0
	.amdhsa_kernel _ZN7rocprim17ROCPRIM_400000_NS6detail17trampoline_kernelINS0_14default_configENS1_27scan_by_key_config_selectorIxiEEZZNS1_16scan_by_key_implILNS1_25lookback_scan_determinismE0ELb1ES3_N6thrust23THRUST_200600_302600_NS6detail15normal_iteratorINS9_10device_ptrIxEEEESE_SE_iNS9_4plusIvEENS9_8equal_toIvEEiEE10hipError_tPvRmT2_T3_T4_T5_mT6_T7_P12ihipStream_tbENKUlT_T0_E_clISt17integral_constantIbLb1EESY_IbLb0EEEEDaSU_SV_EUlSU_E_NS1_11comp_targetILNS1_3genE4ELNS1_11target_archE910ELNS1_3gpuE8ELNS1_3repE0EEENS1_30default_config_static_selectorELNS0_4arch9wavefront6targetE0EEEvT1_
		.amdhsa_group_segment_fixed_size 0
		.amdhsa_private_segment_fixed_size 0
		.amdhsa_kernarg_size 112
		.amdhsa_user_sgpr_count 6
		.amdhsa_user_sgpr_private_segment_buffer 1
		.amdhsa_user_sgpr_dispatch_ptr 0
		.amdhsa_user_sgpr_queue_ptr 0
		.amdhsa_user_sgpr_kernarg_segment_ptr 1
		.amdhsa_user_sgpr_dispatch_id 0
		.amdhsa_user_sgpr_flat_scratch_init 0
		.amdhsa_user_sgpr_private_segment_size 0
		.amdhsa_wavefront_size32 1
		.amdhsa_uses_dynamic_stack 0
		.amdhsa_system_sgpr_private_segment_wavefront_offset 0
		.amdhsa_system_sgpr_workgroup_id_x 1
		.amdhsa_system_sgpr_workgroup_id_y 0
		.amdhsa_system_sgpr_workgroup_id_z 0
		.amdhsa_system_sgpr_workgroup_info 0
		.amdhsa_system_vgpr_workitem_id 0
		.amdhsa_next_free_vgpr 1
		.amdhsa_next_free_sgpr 1
		.amdhsa_reserve_vcc 0
		.amdhsa_reserve_flat_scratch 0
		.amdhsa_float_round_mode_32 0
		.amdhsa_float_round_mode_16_64 0
		.amdhsa_float_denorm_mode_32 3
		.amdhsa_float_denorm_mode_16_64 3
		.amdhsa_dx10_clamp 1
		.amdhsa_ieee_mode 1
		.amdhsa_fp16_overflow 0
		.amdhsa_workgroup_processor_mode 1
		.amdhsa_memory_ordered 1
		.amdhsa_forward_progress 1
		.amdhsa_shared_vgpr_count 0
		.amdhsa_exception_fp_ieee_invalid_op 0
		.amdhsa_exception_fp_denorm_src 0
		.amdhsa_exception_fp_ieee_div_zero 0
		.amdhsa_exception_fp_ieee_overflow 0
		.amdhsa_exception_fp_ieee_underflow 0
		.amdhsa_exception_fp_ieee_inexact 0
		.amdhsa_exception_int_div_zero 0
	.end_amdhsa_kernel
	.section	.text._ZN7rocprim17ROCPRIM_400000_NS6detail17trampoline_kernelINS0_14default_configENS1_27scan_by_key_config_selectorIxiEEZZNS1_16scan_by_key_implILNS1_25lookback_scan_determinismE0ELb1ES3_N6thrust23THRUST_200600_302600_NS6detail15normal_iteratorINS9_10device_ptrIxEEEESE_SE_iNS9_4plusIvEENS9_8equal_toIvEEiEE10hipError_tPvRmT2_T3_T4_T5_mT6_T7_P12ihipStream_tbENKUlT_T0_E_clISt17integral_constantIbLb1EESY_IbLb0EEEEDaSU_SV_EUlSU_E_NS1_11comp_targetILNS1_3genE4ELNS1_11target_archE910ELNS1_3gpuE8ELNS1_3repE0EEENS1_30default_config_static_selectorELNS0_4arch9wavefront6targetE0EEEvT1_,"axG",@progbits,_ZN7rocprim17ROCPRIM_400000_NS6detail17trampoline_kernelINS0_14default_configENS1_27scan_by_key_config_selectorIxiEEZZNS1_16scan_by_key_implILNS1_25lookback_scan_determinismE0ELb1ES3_N6thrust23THRUST_200600_302600_NS6detail15normal_iteratorINS9_10device_ptrIxEEEESE_SE_iNS9_4plusIvEENS9_8equal_toIvEEiEE10hipError_tPvRmT2_T3_T4_T5_mT6_T7_P12ihipStream_tbENKUlT_T0_E_clISt17integral_constantIbLb1EESY_IbLb0EEEEDaSU_SV_EUlSU_E_NS1_11comp_targetILNS1_3genE4ELNS1_11target_archE910ELNS1_3gpuE8ELNS1_3repE0EEENS1_30default_config_static_selectorELNS0_4arch9wavefront6targetE0EEEvT1_,comdat
.Lfunc_end1025:
	.size	_ZN7rocprim17ROCPRIM_400000_NS6detail17trampoline_kernelINS0_14default_configENS1_27scan_by_key_config_selectorIxiEEZZNS1_16scan_by_key_implILNS1_25lookback_scan_determinismE0ELb1ES3_N6thrust23THRUST_200600_302600_NS6detail15normal_iteratorINS9_10device_ptrIxEEEESE_SE_iNS9_4plusIvEENS9_8equal_toIvEEiEE10hipError_tPvRmT2_T3_T4_T5_mT6_T7_P12ihipStream_tbENKUlT_T0_E_clISt17integral_constantIbLb1EESY_IbLb0EEEEDaSU_SV_EUlSU_E_NS1_11comp_targetILNS1_3genE4ELNS1_11target_archE910ELNS1_3gpuE8ELNS1_3repE0EEENS1_30default_config_static_selectorELNS0_4arch9wavefront6targetE0EEEvT1_, .Lfunc_end1025-_ZN7rocprim17ROCPRIM_400000_NS6detail17trampoline_kernelINS0_14default_configENS1_27scan_by_key_config_selectorIxiEEZZNS1_16scan_by_key_implILNS1_25lookback_scan_determinismE0ELb1ES3_N6thrust23THRUST_200600_302600_NS6detail15normal_iteratorINS9_10device_ptrIxEEEESE_SE_iNS9_4plusIvEENS9_8equal_toIvEEiEE10hipError_tPvRmT2_T3_T4_T5_mT6_T7_P12ihipStream_tbENKUlT_T0_E_clISt17integral_constantIbLb1EESY_IbLb0EEEEDaSU_SV_EUlSU_E_NS1_11comp_targetILNS1_3genE4ELNS1_11target_archE910ELNS1_3gpuE8ELNS1_3repE0EEENS1_30default_config_static_selectorELNS0_4arch9wavefront6targetE0EEEvT1_
                                        ; -- End function
	.set _ZN7rocprim17ROCPRIM_400000_NS6detail17trampoline_kernelINS0_14default_configENS1_27scan_by_key_config_selectorIxiEEZZNS1_16scan_by_key_implILNS1_25lookback_scan_determinismE0ELb1ES3_N6thrust23THRUST_200600_302600_NS6detail15normal_iteratorINS9_10device_ptrIxEEEESE_SE_iNS9_4plusIvEENS9_8equal_toIvEEiEE10hipError_tPvRmT2_T3_T4_T5_mT6_T7_P12ihipStream_tbENKUlT_T0_E_clISt17integral_constantIbLb1EESY_IbLb0EEEEDaSU_SV_EUlSU_E_NS1_11comp_targetILNS1_3genE4ELNS1_11target_archE910ELNS1_3gpuE8ELNS1_3repE0EEENS1_30default_config_static_selectorELNS0_4arch9wavefront6targetE0EEEvT1_.num_vgpr, 0
	.set _ZN7rocprim17ROCPRIM_400000_NS6detail17trampoline_kernelINS0_14default_configENS1_27scan_by_key_config_selectorIxiEEZZNS1_16scan_by_key_implILNS1_25lookback_scan_determinismE0ELb1ES3_N6thrust23THRUST_200600_302600_NS6detail15normal_iteratorINS9_10device_ptrIxEEEESE_SE_iNS9_4plusIvEENS9_8equal_toIvEEiEE10hipError_tPvRmT2_T3_T4_T5_mT6_T7_P12ihipStream_tbENKUlT_T0_E_clISt17integral_constantIbLb1EESY_IbLb0EEEEDaSU_SV_EUlSU_E_NS1_11comp_targetILNS1_3genE4ELNS1_11target_archE910ELNS1_3gpuE8ELNS1_3repE0EEENS1_30default_config_static_selectorELNS0_4arch9wavefront6targetE0EEEvT1_.num_agpr, 0
	.set _ZN7rocprim17ROCPRIM_400000_NS6detail17trampoline_kernelINS0_14default_configENS1_27scan_by_key_config_selectorIxiEEZZNS1_16scan_by_key_implILNS1_25lookback_scan_determinismE0ELb1ES3_N6thrust23THRUST_200600_302600_NS6detail15normal_iteratorINS9_10device_ptrIxEEEESE_SE_iNS9_4plusIvEENS9_8equal_toIvEEiEE10hipError_tPvRmT2_T3_T4_T5_mT6_T7_P12ihipStream_tbENKUlT_T0_E_clISt17integral_constantIbLb1EESY_IbLb0EEEEDaSU_SV_EUlSU_E_NS1_11comp_targetILNS1_3genE4ELNS1_11target_archE910ELNS1_3gpuE8ELNS1_3repE0EEENS1_30default_config_static_selectorELNS0_4arch9wavefront6targetE0EEEvT1_.numbered_sgpr, 0
	.set _ZN7rocprim17ROCPRIM_400000_NS6detail17trampoline_kernelINS0_14default_configENS1_27scan_by_key_config_selectorIxiEEZZNS1_16scan_by_key_implILNS1_25lookback_scan_determinismE0ELb1ES3_N6thrust23THRUST_200600_302600_NS6detail15normal_iteratorINS9_10device_ptrIxEEEESE_SE_iNS9_4plusIvEENS9_8equal_toIvEEiEE10hipError_tPvRmT2_T3_T4_T5_mT6_T7_P12ihipStream_tbENKUlT_T0_E_clISt17integral_constantIbLb1EESY_IbLb0EEEEDaSU_SV_EUlSU_E_NS1_11comp_targetILNS1_3genE4ELNS1_11target_archE910ELNS1_3gpuE8ELNS1_3repE0EEENS1_30default_config_static_selectorELNS0_4arch9wavefront6targetE0EEEvT1_.num_named_barrier, 0
	.set _ZN7rocprim17ROCPRIM_400000_NS6detail17trampoline_kernelINS0_14default_configENS1_27scan_by_key_config_selectorIxiEEZZNS1_16scan_by_key_implILNS1_25lookback_scan_determinismE0ELb1ES3_N6thrust23THRUST_200600_302600_NS6detail15normal_iteratorINS9_10device_ptrIxEEEESE_SE_iNS9_4plusIvEENS9_8equal_toIvEEiEE10hipError_tPvRmT2_T3_T4_T5_mT6_T7_P12ihipStream_tbENKUlT_T0_E_clISt17integral_constantIbLb1EESY_IbLb0EEEEDaSU_SV_EUlSU_E_NS1_11comp_targetILNS1_3genE4ELNS1_11target_archE910ELNS1_3gpuE8ELNS1_3repE0EEENS1_30default_config_static_selectorELNS0_4arch9wavefront6targetE0EEEvT1_.private_seg_size, 0
	.set _ZN7rocprim17ROCPRIM_400000_NS6detail17trampoline_kernelINS0_14default_configENS1_27scan_by_key_config_selectorIxiEEZZNS1_16scan_by_key_implILNS1_25lookback_scan_determinismE0ELb1ES3_N6thrust23THRUST_200600_302600_NS6detail15normal_iteratorINS9_10device_ptrIxEEEESE_SE_iNS9_4plusIvEENS9_8equal_toIvEEiEE10hipError_tPvRmT2_T3_T4_T5_mT6_T7_P12ihipStream_tbENKUlT_T0_E_clISt17integral_constantIbLb1EESY_IbLb0EEEEDaSU_SV_EUlSU_E_NS1_11comp_targetILNS1_3genE4ELNS1_11target_archE910ELNS1_3gpuE8ELNS1_3repE0EEENS1_30default_config_static_selectorELNS0_4arch9wavefront6targetE0EEEvT1_.uses_vcc, 0
	.set _ZN7rocprim17ROCPRIM_400000_NS6detail17trampoline_kernelINS0_14default_configENS1_27scan_by_key_config_selectorIxiEEZZNS1_16scan_by_key_implILNS1_25lookback_scan_determinismE0ELb1ES3_N6thrust23THRUST_200600_302600_NS6detail15normal_iteratorINS9_10device_ptrIxEEEESE_SE_iNS9_4plusIvEENS9_8equal_toIvEEiEE10hipError_tPvRmT2_T3_T4_T5_mT6_T7_P12ihipStream_tbENKUlT_T0_E_clISt17integral_constantIbLb1EESY_IbLb0EEEEDaSU_SV_EUlSU_E_NS1_11comp_targetILNS1_3genE4ELNS1_11target_archE910ELNS1_3gpuE8ELNS1_3repE0EEENS1_30default_config_static_selectorELNS0_4arch9wavefront6targetE0EEEvT1_.uses_flat_scratch, 0
	.set _ZN7rocprim17ROCPRIM_400000_NS6detail17trampoline_kernelINS0_14default_configENS1_27scan_by_key_config_selectorIxiEEZZNS1_16scan_by_key_implILNS1_25lookback_scan_determinismE0ELb1ES3_N6thrust23THRUST_200600_302600_NS6detail15normal_iteratorINS9_10device_ptrIxEEEESE_SE_iNS9_4plusIvEENS9_8equal_toIvEEiEE10hipError_tPvRmT2_T3_T4_T5_mT6_T7_P12ihipStream_tbENKUlT_T0_E_clISt17integral_constantIbLb1EESY_IbLb0EEEEDaSU_SV_EUlSU_E_NS1_11comp_targetILNS1_3genE4ELNS1_11target_archE910ELNS1_3gpuE8ELNS1_3repE0EEENS1_30default_config_static_selectorELNS0_4arch9wavefront6targetE0EEEvT1_.has_dyn_sized_stack, 0
	.set _ZN7rocprim17ROCPRIM_400000_NS6detail17trampoline_kernelINS0_14default_configENS1_27scan_by_key_config_selectorIxiEEZZNS1_16scan_by_key_implILNS1_25lookback_scan_determinismE0ELb1ES3_N6thrust23THRUST_200600_302600_NS6detail15normal_iteratorINS9_10device_ptrIxEEEESE_SE_iNS9_4plusIvEENS9_8equal_toIvEEiEE10hipError_tPvRmT2_T3_T4_T5_mT6_T7_P12ihipStream_tbENKUlT_T0_E_clISt17integral_constantIbLb1EESY_IbLb0EEEEDaSU_SV_EUlSU_E_NS1_11comp_targetILNS1_3genE4ELNS1_11target_archE910ELNS1_3gpuE8ELNS1_3repE0EEENS1_30default_config_static_selectorELNS0_4arch9wavefront6targetE0EEEvT1_.has_recursion, 0
	.set _ZN7rocprim17ROCPRIM_400000_NS6detail17trampoline_kernelINS0_14default_configENS1_27scan_by_key_config_selectorIxiEEZZNS1_16scan_by_key_implILNS1_25lookback_scan_determinismE0ELb1ES3_N6thrust23THRUST_200600_302600_NS6detail15normal_iteratorINS9_10device_ptrIxEEEESE_SE_iNS9_4plusIvEENS9_8equal_toIvEEiEE10hipError_tPvRmT2_T3_T4_T5_mT6_T7_P12ihipStream_tbENKUlT_T0_E_clISt17integral_constantIbLb1EESY_IbLb0EEEEDaSU_SV_EUlSU_E_NS1_11comp_targetILNS1_3genE4ELNS1_11target_archE910ELNS1_3gpuE8ELNS1_3repE0EEENS1_30default_config_static_selectorELNS0_4arch9wavefront6targetE0EEEvT1_.has_indirect_call, 0
	.section	.AMDGPU.csdata,"",@progbits
; Kernel info:
; codeLenInByte = 0
; TotalNumSgprs: 0
; NumVgprs: 0
; ScratchSize: 0
; MemoryBound: 0
; FloatMode: 240
; IeeeMode: 1
; LDSByteSize: 0 bytes/workgroup (compile time only)
; SGPRBlocks: 0
; VGPRBlocks: 0
; NumSGPRsForWavesPerEU: 1
; NumVGPRsForWavesPerEU: 1
; Occupancy: 16
; WaveLimiterHint : 0
; COMPUTE_PGM_RSRC2:SCRATCH_EN: 0
; COMPUTE_PGM_RSRC2:USER_SGPR: 6
; COMPUTE_PGM_RSRC2:TRAP_HANDLER: 0
; COMPUTE_PGM_RSRC2:TGID_X_EN: 1
; COMPUTE_PGM_RSRC2:TGID_Y_EN: 0
; COMPUTE_PGM_RSRC2:TGID_Z_EN: 0
; COMPUTE_PGM_RSRC2:TIDIG_COMP_CNT: 0
	.section	.text._ZN7rocprim17ROCPRIM_400000_NS6detail17trampoline_kernelINS0_14default_configENS1_27scan_by_key_config_selectorIxiEEZZNS1_16scan_by_key_implILNS1_25lookback_scan_determinismE0ELb1ES3_N6thrust23THRUST_200600_302600_NS6detail15normal_iteratorINS9_10device_ptrIxEEEESE_SE_iNS9_4plusIvEENS9_8equal_toIvEEiEE10hipError_tPvRmT2_T3_T4_T5_mT6_T7_P12ihipStream_tbENKUlT_T0_E_clISt17integral_constantIbLb1EESY_IbLb0EEEEDaSU_SV_EUlSU_E_NS1_11comp_targetILNS1_3genE3ELNS1_11target_archE908ELNS1_3gpuE7ELNS1_3repE0EEENS1_30default_config_static_selectorELNS0_4arch9wavefront6targetE0EEEvT1_,"axG",@progbits,_ZN7rocprim17ROCPRIM_400000_NS6detail17trampoline_kernelINS0_14default_configENS1_27scan_by_key_config_selectorIxiEEZZNS1_16scan_by_key_implILNS1_25lookback_scan_determinismE0ELb1ES3_N6thrust23THRUST_200600_302600_NS6detail15normal_iteratorINS9_10device_ptrIxEEEESE_SE_iNS9_4plusIvEENS9_8equal_toIvEEiEE10hipError_tPvRmT2_T3_T4_T5_mT6_T7_P12ihipStream_tbENKUlT_T0_E_clISt17integral_constantIbLb1EESY_IbLb0EEEEDaSU_SV_EUlSU_E_NS1_11comp_targetILNS1_3genE3ELNS1_11target_archE908ELNS1_3gpuE7ELNS1_3repE0EEENS1_30default_config_static_selectorELNS0_4arch9wavefront6targetE0EEEvT1_,comdat
	.protected	_ZN7rocprim17ROCPRIM_400000_NS6detail17trampoline_kernelINS0_14default_configENS1_27scan_by_key_config_selectorIxiEEZZNS1_16scan_by_key_implILNS1_25lookback_scan_determinismE0ELb1ES3_N6thrust23THRUST_200600_302600_NS6detail15normal_iteratorINS9_10device_ptrIxEEEESE_SE_iNS9_4plusIvEENS9_8equal_toIvEEiEE10hipError_tPvRmT2_T3_T4_T5_mT6_T7_P12ihipStream_tbENKUlT_T0_E_clISt17integral_constantIbLb1EESY_IbLb0EEEEDaSU_SV_EUlSU_E_NS1_11comp_targetILNS1_3genE3ELNS1_11target_archE908ELNS1_3gpuE7ELNS1_3repE0EEENS1_30default_config_static_selectorELNS0_4arch9wavefront6targetE0EEEvT1_ ; -- Begin function _ZN7rocprim17ROCPRIM_400000_NS6detail17trampoline_kernelINS0_14default_configENS1_27scan_by_key_config_selectorIxiEEZZNS1_16scan_by_key_implILNS1_25lookback_scan_determinismE0ELb1ES3_N6thrust23THRUST_200600_302600_NS6detail15normal_iteratorINS9_10device_ptrIxEEEESE_SE_iNS9_4plusIvEENS9_8equal_toIvEEiEE10hipError_tPvRmT2_T3_T4_T5_mT6_T7_P12ihipStream_tbENKUlT_T0_E_clISt17integral_constantIbLb1EESY_IbLb0EEEEDaSU_SV_EUlSU_E_NS1_11comp_targetILNS1_3genE3ELNS1_11target_archE908ELNS1_3gpuE7ELNS1_3repE0EEENS1_30default_config_static_selectorELNS0_4arch9wavefront6targetE0EEEvT1_
	.globl	_ZN7rocprim17ROCPRIM_400000_NS6detail17trampoline_kernelINS0_14default_configENS1_27scan_by_key_config_selectorIxiEEZZNS1_16scan_by_key_implILNS1_25lookback_scan_determinismE0ELb1ES3_N6thrust23THRUST_200600_302600_NS6detail15normal_iteratorINS9_10device_ptrIxEEEESE_SE_iNS9_4plusIvEENS9_8equal_toIvEEiEE10hipError_tPvRmT2_T3_T4_T5_mT6_T7_P12ihipStream_tbENKUlT_T0_E_clISt17integral_constantIbLb1EESY_IbLb0EEEEDaSU_SV_EUlSU_E_NS1_11comp_targetILNS1_3genE3ELNS1_11target_archE908ELNS1_3gpuE7ELNS1_3repE0EEENS1_30default_config_static_selectorELNS0_4arch9wavefront6targetE0EEEvT1_
	.p2align	8
	.type	_ZN7rocprim17ROCPRIM_400000_NS6detail17trampoline_kernelINS0_14default_configENS1_27scan_by_key_config_selectorIxiEEZZNS1_16scan_by_key_implILNS1_25lookback_scan_determinismE0ELb1ES3_N6thrust23THRUST_200600_302600_NS6detail15normal_iteratorINS9_10device_ptrIxEEEESE_SE_iNS9_4plusIvEENS9_8equal_toIvEEiEE10hipError_tPvRmT2_T3_T4_T5_mT6_T7_P12ihipStream_tbENKUlT_T0_E_clISt17integral_constantIbLb1EESY_IbLb0EEEEDaSU_SV_EUlSU_E_NS1_11comp_targetILNS1_3genE3ELNS1_11target_archE908ELNS1_3gpuE7ELNS1_3repE0EEENS1_30default_config_static_selectorELNS0_4arch9wavefront6targetE0EEEvT1_,@function
_ZN7rocprim17ROCPRIM_400000_NS6detail17trampoline_kernelINS0_14default_configENS1_27scan_by_key_config_selectorIxiEEZZNS1_16scan_by_key_implILNS1_25lookback_scan_determinismE0ELb1ES3_N6thrust23THRUST_200600_302600_NS6detail15normal_iteratorINS9_10device_ptrIxEEEESE_SE_iNS9_4plusIvEENS9_8equal_toIvEEiEE10hipError_tPvRmT2_T3_T4_T5_mT6_T7_P12ihipStream_tbENKUlT_T0_E_clISt17integral_constantIbLb1EESY_IbLb0EEEEDaSU_SV_EUlSU_E_NS1_11comp_targetILNS1_3genE3ELNS1_11target_archE908ELNS1_3gpuE7ELNS1_3repE0EEENS1_30default_config_static_selectorELNS0_4arch9wavefront6targetE0EEEvT1_: ; @_ZN7rocprim17ROCPRIM_400000_NS6detail17trampoline_kernelINS0_14default_configENS1_27scan_by_key_config_selectorIxiEEZZNS1_16scan_by_key_implILNS1_25lookback_scan_determinismE0ELb1ES3_N6thrust23THRUST_200600_302600_NS6detail15normal_iteratorINS9_10device_ptrIxEEEESE_SE_iNS9_4plusIvEENS9_8equal_toIvEEiEE10hipError_tPvRmT2_T3_T4_T5_mT6_T7_P12ihipStream_tbENKUlT_T0_E_clISt17integral_constantIbLb1EESY_IbLb0EEEEDaSU_SV_EUlSU_E_NS1_11comp_targetILNS1_3genE3ELNS1_11target_archE908ELNS1_3gpuE7ELNS1_3repE0EEENS1_30default_config_static_selectorELNS0_4arch9wavefront6targetE0EEEvT1_
; %bb.0:
	.section	.rodata,"a",@progbits
	.p2align	6, 0x0
	.amdhsa_kernel _ZN7rocprim17ROCPRIM_400000_NS6detail17trampoline_kernelINS0_14default_configENS1_27scan_by_key_config_selectorIxiEEZZNS1_16scan_by_key_implILNS1_25lookback_scan_determinismE0ELb1ES3_N6thrust23THRUST_200600_302600_NS6detail15normal_iteratorINS9_10device_ptrIxEEEESE_SE_iNS9_4plusIvEENS9_8equal_toIvEEiEE10hipError_tPvRmT2_T3_T4_T5_mT6_T7_P12ihipStream_tbENKUlT_T0_E_clISt17integral_constantIbLb1EESY_IbLb0EEEEDaSU_SV_EUlSU_E_NS1_11comp_targetILNS1_3genE3ELNS1_11target_archE908ELNS1_3gpuE7ELNS1_3repE0EEENS1_30default_config_static_selectorELNS0_4arch9wavefront6targetE0EEEvT1_
		.amdhsa_group_segment_fixed_size 0
		.amdhsa_private_segment_fixed_size 0
		.amdhsa_kernarg_size 112
		.amdhsa_user_sgpr_count 6
		.amdhsa_user_sgpr_private_segment_buffer 1
		.amdhsa_user_sgpr_dispatch_ptr 0
		.amdhsa_user_sgpr_queue_ptr 0
		.amdhsa_user_sgpr_kernarg_segment_ptr 1
		.amdhsa_user_sgpr_dispatch_id 0
		.amdhsa_user_sgpr_flat_scratch_init 0
		.amdhsa_user_sgpr_private_segment_size 0
		.amdhsa_wavefront_size32 1
		.amdhsa_uses_dynamic_stack 0
		.amdhsa_system_sgpr_private_segment_wavefront_offset 0
		.amdhsa_system_sgpr_workgroup_id_x 1
		.amdhsa_system_sgpr_workgroup_id_y 0
		.amdhsa_system_sgpr_workgroup_id_z 0
		.amdhsa_system_sgpr_workgroup_info 0
		.amdhsa_system_vgpr_workitem_id 0
		.amdhsa_next_free_vgpr 1
		.amdhsa_next_free_sgpr 1
		.amdhsa_reserve_vcc 0
		.amdhsa_reserve_flat_scratch 0
		.amdhsa_float_round_mode_32 0
		.amdhsa_float_round_mode_16_64 0
		.amdhsa_float_denorm_mode_32 3
		.amdhsa_float_denorm_mode_16_64 3
		.amdhsa_dx10_clamp 1
		.amdhsa_ieee_mode 1
		.amdhsa_fp16_overflow 0
		.amdhsa_workgroup_processor_mode 1
		.amdhsa_memory_ordered 1
		.amdhsa_forward_progress 1
		.amdhsa_shared_vgpr_count 0
		.amdhsa_exception_fp_ieee_invalid_op 0
		.amdhsa_exception_fp_denorm_src 0
		.amdhsa_exception_fp_ieee_div_zero 0
		.amdhsa_exception_fp_ieee_overflow 0
		.amdhsa_exception_fp_ieee_underflow 0
		.amdhsa_exception_fp_ieee_inexact 0
		.amdhsa_exception_int_div_zero 0
	.end_amdhsa_kernel
	.section	.text._ZN7rocprim17ROCPRIM_400000_NS6detail17trampoline_kernelINS0_14default_configENS1_27scan_by_key_config_selectorIxiEEZZNS1_16scan_by_key_implILNS1_25lookback_scan_determinismE0ELb1ES3_N6thrust23THRUST_200600_302600_NS6detail15normal_iteratorINS9_10device_ptrIxEEEESE_SE_iNS9_4plusIvEENS9_8equal_toIvEEiEE10hipError_tPvRmT2_T3_T4_T5_mT6_T7_P12ihipStream_tbENKUlT_T0_E_clISt17integral_constantIbLb1EESY_IbLb0EEEEDaSU_SV_EUlSU_E_NS1_11comp_targetILNS1_3genE3ELNS1_11target_archE908ELNS1_3gpuE7ELNS1_3repE0EEENS1_30default_config_static_selectorELNS0_4arch9wavefront6targetE0EEEvT1_,"axG",@progbits,_ZN7rocprim17ROCPRIM_400000_NS6detail17trampoline_kernelINS0_14default_configENS1_27scan_by_key_config_selectorIxiEEZZNS1_16scan_by_key_implILNS1_25lookback_scan_determinismE0ELb1ES3_N6thrust23THRUST_200600_302600_NS6detail15normal_iteratorINS9_10device_ptrIxEEEESE_SE_iNS9_4plusIvEENS9_8equal_toIvEEiEE10hipError_tPvRmT2_T3_T4_T5_mT6_T7_P12ihipStream_tbENKUlT_T0_E_clISt17integral_constantIbLb1EESY_IbLb0EEEEDaSU_SV_EUlSU_E_NS1_11comp_targetILNS1_3genE3ELNS1_11target_archE908ELNS1_3gpuE7ELNS1_3repE0EEENS1_30default_config_static_selectorELNS0_4arch9wavefront6targetE0EEEvT1_,comdat
.Lfunc_end1026:
	.size	_ZN7rocprim17ROCPRIM_400000_NS6detail17trampoline_kernelINS0_14default_configENS1_27scan_by_key_config_selectorIxiEEZZNS1_16scan_by_key_implILNS1_25lookback_scan_determinismE0ELb1ES3_N6thrust23THRUST_200600_302600_NS6detail15normal_iteratorINS9_10device_ptrIxEEEESE_SE_iNS9_4plusIvEENS9_8equal_toIvEEiEE10hipError_tPvRmT2_T3_T4_T5_mT6_T7_P12ihipStream_tbENKUlT_T0_E_clISt17integral_constantIbLb1EESY_IbLb0EEEEDaSU_SV_EUlSU_E_NS1_11comp_targetILNS1_3genE3ELNS1_11target_archE908ELNS1_3gpuE7ELNS1_3repE0EEENS1_30default_config_static_selectorELNS0_4arch9wavefront6targetE0EEEvT1_, .Lfunc_end1026-_ZN7rocprim17ROCPRIM_400000_NS6detail17trampoline_kernelINS0_14default_configENS1_27scan_by_key_config_selectorIxiEEZZNS1_16scan_by_key_implILNS1_25lookback_scan_determinismE0ELb1ES3_N6thrust23THRUST_200600_302600_NS6detail15normal_iteratorINS9_10device_ptrIxEEEESE_SE_iNS9_4plusIvEENS9_8equal_toIvEEiEE10hipError_tPvRmT2_T3_T4_T5_mT6_T7_P12ihipStream_tbENKUlT_T0_E_clISt17integral_constantIbLb1EESY_IbLb0EEEEDaSU_SV_EUlSU_E_NS1_11comp_targetILNS1_3genE3ELNS1_11target_archE908ELNS1_3gpuE7ELNS1_3repE0EEENS1_30default_config_static_selectorELNS0_4arch9wavefront6targetE0EEEvT1_
                                        ; -- End function
	.set _ZN7rocprim17ROCPRIM_400000_NS6detail17trampoline_kernelINS0_14default_configENS1_27scan_by_key_config_selectorIxiEEZZNS1_16scan_by_key_implILNS1_25lookback_scan_determinismE0ELb1ES3_N6thrust23THRUST_200600_302600_NS6detail15normal_iteratorINS9_10device_ptrIxEEEESE_SE_iNS9_4plusIvEENS9_8equal_toIvEEiEE10hipError_tPvRmT2_T3_T4_T5_mT6_T7_P12ihipStream_tbENKUlT_T0_E_clISt17integral_constantIbLb1EESY_IbLb0EEEEDaSU_SV_EUlSU_E_NS1_11comp_targetILNS1_3genE3ELNS1_11target_archE908ELNS1_3gpuE7ELNS1_3repE0EEENS1_30default_config_static_selectorELNS0_4arch9wavefront6targetE0EEEvT1_.num_vgpr, 0
	.set _ZN7rocprim17ROCPRIM_400000_NS6detail17trampoline_kernelINS0_14default_configENS1_27scan_by_key_config_selectorIxiEEZZNS1_16scan_by_key_implILNS1_25lookback_scan_determinismE0ELb1ES3_N6thrust23THRUST_200600_302600_NS6detail15normal_iteratorINS9_10device_ptrIxEEEESE_SE_iNS9_4plusIvEENS9_8equal_toIvEEiEE10hipError_tPvRmT2_T3_T4_T5_mT6_T7_P12ihipStream_tbENKUlT_T0_E_clISt17integral_constantIbLb1EESY_IbLb0EEEEDaSU_SV_EUlSU_E_NS1_11comp_targetILNS1_3genE3ELNS1_11target_archE908ELNS1_3gpuE7ELNS1_3repE0EEENS1_30default_config_static_selectorELNS0_4arch9wavefront6targetE0EEEvT1_.num_agpr, 0
	.set _ZN7rocprim17ROCPRIM_400000_NS6detail17trampoline_kernelINS0_14default_configENS1_27scan_by_key_config_selectorIxiEEZZNS1_16scan_by_key_implILNS1_25lookback_scan_determinismE0ELb1ES3_N6thrust23THRUST_200600_302600_NS6detail15normal_iteratorINS9_10device_ptrIxEEEESE_SE_iNS9_4plusIvEENS9_8equal_toIvEEiEE10hipError_tPvRmT2_T3_T4_T5_mT6_T7_P12ihipStream_tbENKUlT_T0_E_clISt17integral_constantIbLb1EESY_IbLb0EEEEDaSU_SV_EUlSU_E_NS1_11comp_targetILNS1_3genE3ELNS1_11target_archE908ELNS1_3gpuE7ELNS1_3repE0EEENS1_30default_config_static_selectorELNS0_4arch9wavefront6targetE0EEEvT1_.numbered_sgpr, 0
	.set _ZN7rocprim17ROCPRIM_400000_NS6detail17trampoline_kernelINS0_14default_configENS1_27scan_by_key_config_selectorIxiEEZZNS1_16scan_by_key_implILNS1_25lookback_scan_determinismE0ELb1ES3_N6thrust23THRUST_200600_302600_NS6detail15normal_iteratorINS9_10device_ptrIxEEEESE_SE_iNS9_4plusIvEENS9_8equal_toIvEEiEE10hipError_tPvRmT2_T3_T4_T5_mT6_T7_P12ihipStream_tbENKUlT_T0_E_clISt17integral_constantIbLb1EESY_IbLb0EEEEDaSU_SV_EUlSU_E_NS1_11comp_targetILNS1_3genE3ELNS1_11target_archE908ELNS1_3gpuE7ELNS1_3repE0EEENS1_30default_config_static_selectorELNS0_4arch9wavefront6targetE0EEEvT1_.num_named_barrier, 0
	.set _ZN7rocprim17ROCPRIM_400000_NS6detail17trampoline_kernelINS0_14default_configENS1_27scan_by_key_config_selectorIxiEEZZNS1_16scan_by_key_implILNS1_25lookback_scan_determinismE0ELb1ES3_N6thrust23THRUST_200600_302600_NS6detail15normal_iteratorINS9_10device_ptrIxEEEESE_SE_iNS9_4plusIvEENS9_8equal_toIvEEiEE10hipError_tPvRmT2_T3_T4_T5_mT6_T7_P12ihipStream_tbENKUlT_T0_E_clISt17integral_constantIbLb1EESY_IbLb0EEEEDaSU_SV_EUlSU_E_NS1_11comp_targetILNS1_3genE3ELNS1_11target_archE908ELNS1_3gpuE7ELNS1_3repE0EEENS1_30default_config_static_selectorELNS0_4arch9wavefront6targetE0EEEvT1_.private_seg_size, 0
	.set _ZN7rocprim17ROCPRIM_400000_NS6detail17trampoline_kernelINS0_14default_configENS1_27scan_by_key_config_selectorIxiEEZZNS1_16scan_by_key_implILNS1_25lookback_scan_determinismE0ELb1ES3_N6thrust23THRUST_200600_302600_NS6detail15normal_iteratorINS9_10device_ptrIxEEEESE_SE_iNS9_4plusIvEENS9_8equal_toIvEEiEE10hipError_tPvRmT2_T3_T4_T5_mT6_T7_P12ihipStream_tbENKUlT_T0_E_clISt17integral_constantIbLb1EESY_IbLb0EEEEDaSU_SV_EUlSU_E_NS1_11comp_targetILNS1_3genE3ELNS1_11target_archE908ELNS1_3gpuE7ELNS1_3repE0EEENS1_30default_config_static_selectorELNS0_4arch9wavefront6targetE0EEEvT1_.uses_vcc, 0
	.set _ZN7rocprim17ROCPRIM_400000_NS6detail17trampoline_kernelINS0_14default_configENS1_27scan_by_key_config_selectorIxiEEZZNS1_16scan_by_key_implILNS1_25lookback_scan_determinismE0ELb1ES3_N6thrust23THRUST_200600_302600_NS6detail15normal_iteratorINS9_10device_ptrIxEEEESE_SE_iNS9_4plusIvEENS9_8equal_toIvEEiEE10hipError_tPvRmT2_T3_T4_T5_mT6_T7_P12ihipStream_tbENKUlT_T0_E_clISt17integral_constantIbLb1EESY_IbLb0EEEEDaSU_SV_EUlSU_E_NS1_11comp_targetILNS1_3genE3ELNS1_11target_archE908ELNS1_3gpuE7ELNS1_3repE0EEENS1_30default_config_static_selectorELNS0_4arch9wavefront6targetE0EEEvT1_.uses_flat_scratch, 0
	.set _ZN7rocprim17ROCPRIM_400000_NS6detail17trampoline_kernelINS0_14default_configENS1_27scan_by_key_config_selectorIxiEEZZNS1_16scan_by_key_implILNS1_25lookback_scan_determinismE0ELb1ES3_N6thrust23THRUST_200600_302600_NS6detail15normal_iteratorINS9_10device_ptrIxEEEESE_SE_iNS9_4plusIvEENS9_8equal_toIvEEiEE10hipError_tPvRmT2_T3_T4_T5_mT6_T7_P12ihipStream_tbENKUlT_T0_E_clISt17integral_constantIbLb1EESY_IbLb0EEEEDaSU_SV_EUlSU_E_NS1_11comp_targetILNS1_3genE3ELNS1_11target_archE908ELNS1_3gpuE7ELNS1_3repE0EEENS1_30default_config_static_selectorELNS0_4arch9wavefront6targetE0EEEvT1_.has_dyn_sized_stack, 0
	.set _ZN7rocprim17ROCPRIM_400000_NS6detail17trampoline_kernelINS0_14default_configENS1_27scan_by_key_config_selectorIxiEEZZNS1_16scan_by_key_implILNS1_25lookback_scan_determinismE0ELb1ES3_N6thrust23THRUST_200600_302600_NS6detail15normal_iteratorINS9_10device_ptrIxEEEESE_SE_iNS9_4plusIvEENS9_8equal_toIvEEiEE10hipError_tPvRmT2_T3_T4_T5_mT6_T7_P12ihipStream_tbENKUlT_T0_E_clISt17integral_constantIbLb1EESY_IbLb0EEEEDaSU_SV_EUlSU_E_NS1_11comp_targetILNS1_3genE3ELNS1_11target_archE908ELNS1_3gpuE7ELNS1_3repE0EEENS1_30default_config_static_selectorELNS0_4arch9wavefront6targetE0EEEvT1_.has_recursion, 0
	.set _ZN7rocprim17ROCPRIM_400000_NS6detail17trampoline_kernelINS0_14default_configENS1_27scan_by_key_config_selectorIxiEEZZNS1_16scan_by_key_implILNS1_25lookback_scan_determinismE0ELb1ES3_N6thrust23THRUST_200600_302600_NS6detail15normal_iteratorINS9_10device_ptrIxEEEESE_SE_iNS9_4plusIvEENS9_8equal_toIvEEiEE10hipError_tPvRmT2_T3_T4_T5_mT6_T7_P12ihipStream_tbENKUlT_T0_E_clISt17integral_constantIbLb1EESY_IbLb0EEEEDaSU_SV_EUlSU_E_NS1_11comp_targetILNS1_3genE3ELNS1_11target_archE908ELNS1_3gpuE7ELNS1_3repE0EEENS1_30default_config_static_selectorELNS0_4arch9wavefront6targetE0EEEvT1_.has_indirect_call, 0
	.section	.AMDGPU.csdata,"",@progbits
; Kernel info:
; codeLenInByte = 0
; TotalNumSgprs: 0
; NumVgprs: 0
; ScratchSize: 0
; MemoryBound: 0
; FloatMode: 240
; IeeeMode: 1
; LDSByteSize: 0 bytes/workgroup (compile time only)
; SGPRBlocks: 0
; VGPRBlocks: 0
; NumSGPRsForWavesPerEU: 1
; NumVGPRsForWavesPerEU: 1
; Occupancy: 16
; WaveLimiterHint : 0
; COMPUTE_PGM_RSRC2:SCRATCH_EN: 0
; COMPUTE_PGM_RSRC2:USER_SGPR: 6
; COMPUTE_PGM_RSRC2:TRAP_HANDLER: 0
; COMPUTE_PGM_RSRC2:TGID_X_EN: 1
; COMPUTE_PGM_RSRC2:TGID_Y_EN: 0
; COMPUTE_PGM_RSRC2:TGID_Z_EN: 0
; COMPUTE_PGM_RSRC2:TIDIG_COMP_CNT: 0
	.section	.text._ZN7rocprim17ROCPRIM_400000_NS6detail17trampoline_kernelINS0_14default_configENS1_27scan_by_key_config_selectorIxiEEZZNS1_16scan_by_key_implILNS1_25lookback_scan_determinismE0ELb1ES3_N6thrust23THRUST_200600_302600_NS6detail15normal_iteratorINS9_10device_ptrIxEEEESE_SE_iNS9_4plusIvEENS9_8equal_toIvEEiEE10hipError_tPvRmT2_T3_T4_T5_mT6_T7_P12ihipStream_tbENKUlT_T0_E_clISt17integral_constantIbLb1EESY_IbLb0EEEEDaSU_SV_EUlSU_E_NS1_11comp_targetILNS1_3genE2ELNS1_11target_archE906ELNS1_3gpuE6ELNS1_3repE0EEENS1_30default_config_static_selectorELNS0_4arch9wavefront6targetE0EEEvT1_,"axG",@progbits,_ZN7rocprim17ROCPRIM_400000_NS6detail17trampoline_kernelINS0_14default_configENS1_27scan_by_key_config_selectorIxiEEZZNS1_16scan_by_key_implILNS1_25lookback_scan_determinismE0ELb1ES3_N6thrust23THRUST_200600_302600_NS6detail15normal_iteratorINS9_10device_ptrIxEEEESE_SE_iNS9_4plusIvEENS9_8equal_toIvEEiEE10hipError_tPvRmT2_T3_T4_T5_mT6_T7_P12ihipStream_tbENKUlT_T0_E_clISt17integral_constantIbLb1EESY_IbLb0EEEEDaSU_SV_EUlSU_E_NS1_11comp_targetILNS1_3genE2ELNS1_11target_archE906ELNS1_3gpuE6ELNS1_3repE0EEENS1_30default_config_static_selectorELNS0_4arch9wavefront6targetE0EEEvT1_,comdat
	.protected	_ZN7rocprim17ROCPRIM_400000_NS6detail17trampoline_kernelINS0_14default_configENS1_27scan_by_key_config_selectorIxiEEZZNS1_16scan_by_key_implILNS1_25lookback_scan_determinismE0ELb1ES3_N6thrust23THRUST_200600_302600_NS6detail15normal_iteratorINS9_10device_ptrIxEEEESE_SE_iNS9_4plusIvEENS9_8equal_toIvEEiEE10hipError_tPvRmT2_T3_T4_T5_mT6_T7_P12ihipStream_tbENKUlT_T0_E_clISt17integral_constantIbLb1EESY_IbLb0EEEEDaSU_SV_EUlSU_E_NS1_11comp_targetILNS1_3genE2ELNS1_11target_archE906ELNS1_3gpuE6ELNS1_3repE0EEENS1_30default_config_static_selectorELNS0_4arch9wavefront6targetE0EEEvT1_ ; -- Begin function _ZN7rocprim17ROCPRIM_400000_NS6detail17trampoline_kernelINS0_14default_configENS1_27scan_by_key_config_selectorIxiEEZZNS1_16scan_by_key_implILNS1_25lookback_scan_determinismE0ELb1ES3_N6thrust23THRUST_200600_302600_NS6detail15normal_iteratorINS9_10device_ptrIxEEEESE_SE_iNS9_4plusIvEENS9_8equal_toIvEEiEE10hipError_tPvRmT2_T3_T4_T5_mT6_T7_P12ihipStream_tbENKUlT_T0_E_clISt17integral_constantIbLb1EESY_IbLb0EEEEDaSU_SV_EUlSU_E_NS1_11comp_targetILNS1_3genE2ELNS1_11target_archE906ELNS1_3gpuE6ELNS1_3repE0EEENS1_30default_config_static_selectorELNS0_4arch9wavefront6targetE0EEEvT1_
	.globl	_ZN7rocprim17ROCPRIM_400000_NS6detail17trampoline_kernelINS0_14default_configENS1_27scan_by_key_config_selectorIxiEEZZNS1_16scan_by_key_implILNS1_25lookback_scan_determinismE0ELb1ES3_N6thrust23THRUST_200600_302600_NS6detail15normal_iteratorINS9_10device_ptrIxEEEESE_SE_iNS9_4plusIvEENS9_8equal_toIvEEiEE10hipError_tPvRmT2_T3_T4_T5_mT6_T7_P12ihipStream_tbENKUlT_T0_E_clISt17integral_constantIbLb1EESY_IbLb0EEEEDaSU_SV_EUlSU_E_NS1_11comp_targetILNS1_3genE2ELNS1_11target_archE906ELNS1_3gpuE6ELNS1_3repE0EEENS1_30default_config_static_selectorELNS0_4arch9wavefront6targetE0EEEvT1_
	.p2align	8
	.type	_ZN7rocprim17ROCPRIM_400000_NS6detail17trampoline_kernelINS0_14default_configENS1_27scan_by_key_config_selectorIxiEEZZNS1_16scan_by_key_implILNS1_25lookback_scan_determinismE0ELb1ES3_N6thrust23THRUST_200600_302600_NS6detail15normal_iteratorINS9_10device_ptrIxEEEESE_SE_iNS9_4plusIvEENS9_8equal_toIvEEiEE10hipError_tPvRmT2_T3_T4_T5_mT6_T7_P12ihipStream_tbENKUlT_T0_E_clISt17integral_constantIbLb1EESY_IbLb0EEEEDaSU_SV_EUlSU_E_NS1_11comp_targetILNS1_3genE2ELNS1_11target_archE906ELNS1_3gpuE6ELNS1_3repE0EEENS1_30default_config_static_selectorELNS0_4arch9wavefront6targetE0EEEvT1_,@function
_ZN7rocprim17ROCPRIM_400000_NS6detail17trampoline_kernelINS0_14default_configENS1_27scan_by_key_config_selectorIxiEEZZNS1_16scan_by_key_implILNS1_25lookback_scan_determinismE0ELb1ES3_N6thrust23THRUST_200600_302600_NS6detail15normal_iteratorINS9_10device_ptrIxEEEESE_SE_iNS9_4plusIvEENS9_8equal_toIvEEiEE10hipError_tPvRmT2_T3_T4_T5_mT6_T7_P12ihipStream_tbENKUlT_T0_E_clISt17integral_constantIbLb1EESY_IbLb0EEEEDaSU_SV_EUlSU_E_NS1_11comp_targetILNS1_3genE2ELNS1_11target_archE906ELNS1_3gpuE6ELNS1_3repE0EEENS1_30default_config_static_selectorELNS0_4arch9wavefront6targetE0EEEvT1_: ; @_ZN7rocprim17ROCPRIM_400000_NS6detail17trampoline_kernelINS0_14default_configENS1_27scan_by_key_config_selectorIxiEEZZNS1_16scan_by_key_implILNS1_25lookback_scan_determinismE0ELb1ES3_N6thrust23THRUST_200600_302600_NS6detail15normal_iteratorINS9_10device_ptrIxEEEESE_SE_iNS9_4plusIvEENS9_8equal_toIvEEiEE10hipError_tPvRmT2_T3_T4_T5_mT6_T7_P12ihipStream_tbENKUlT_T0_E_clISt17integral_constantIbLb1EESY_IbLb0EEEEDaSU_SV_EUlSU_E_NS1_11comp_targetILNS1_3genE2ELNS1_11target_archE906ELNS1_3gpuE6ELNS1_3repE0EEENS1_30default_config_static_selectorELNS0_4arch9wavefront6targetE0EEEvT1_
; %bb.0:
	.section	.rodata,"a",@progbits
	.p2align	6, 0x0
	.amdhsa_kernel _ZN7rocprim17ROCPRIM_400000_NS6detail17trampoline_kernelINS0_14default_configENS1_27scan_by_key_config_selectorIxiEEZZNS1_16scan_by_key_implILNS1_25lookback_scan_determinismE0ELb1ES3_N6thrust23THRUST_200600_302600_NS6detail15normal_iteratorINS9_10device_ptrIxEEEESE_SE_iNS9_4plusIvEENS9_8equal_toIvEEiEE10hipError_tPvRmT2_T3_T4_T5_mT6_T7_P12ihipStream_tbENKUlT_T0_E_clISt17integral_constantIbLb1EESY_IbLb0EEEEDaSU_SV_EUlSU_E_NS1_11comp_targetILNS1_3genE2ELNS1_11target_archE906ELNS1_3gpuE6ELNS1_3repE0EEENS1_30default_config_static_selectorELNS0_4arch9wavefront6targetE0EEEvT1_
		.amdhsa_group_segment_fixed_size 0
		.amdhsa_private_segment_fixed_size 0
		.amdhsa_kernarg_size 112
		.amdhsa_user_sgpr_count 6
		.amdhsa_user_sgpr_private_segment_buffer 1
		.amdhsa_user_sgpr_dispatch_ptr 0
		.amdhsa_user_sgpr_queue_ptr 0
		.amdhsa_user_sgpr_kernarg_segment_ptr 1
		.amdhsa_user_sgpr_dispatch_id 0
		.amdhsa_user_sgpr_flat_scratch_init 0
		.amdhsa_user_sgpr_private_segment_size 0
		.amdhsa_wavefront_size32 1
		.amdhsa_uses_dynamic_stack 0
		.amdhsa_system_sgpr_private_segment_wavefront_offset 0
		.amdhsa_system_sgpr_workgroup_id_x 1
		.amdhsa_system_sgpr_workgroup_id_y 0
		.amdhsa_system_sgpr_workgroup_id_z 0
		.amdhsa_system_sgpr_workgroup_info 0
		.amdhsa_system_vgpr_workitem_id 0
		.amdhsa_next_free_vgpr 1
		.amdhsa_next_free_sgpr 1
		.amdhsa_reserve_vcc 0
		.amdhsa_reserve_flat_scratch 0
		.amdhsa_float_round_mode_32 0
		.amdhsa_float_round_mode_16_64 0
		.amdhsa_float_denorm_mode_32 3
		.amdhsa_float_denorm_mode_16_64 3
		.amdhsa_dx10_clamp 1
		.amdhsa_ieee_mode 1
		.amdhsa_fp16_overflow 0
		.amdhsa_workgroup_processor_mode 1
		.amdhsa_memory_ordered 1
		.amdhsa_forward_progress 1
		.amdhsa_shared_vgpr_count 0
		.amdhsa_exception_fp_ieee_invalid_op 0
		.amdhsa_exception_fp_denorm_src 0
		.amdhsa_exception_fp_ieee_div_zero 0
		.amdhsa_exception_fp_ieee_overflow 0
		.amdhsa_exception_fp_ieee_underflow 0
		.amdhsa_exception_fp_ieee_inexact 0
		.amdhsa_exception_int_div_zero 0
	.end_amdhsa_kernel
	.section	.text._ZN7rocprim17ROCPRIM_400000_NS6detail17trampoline_kernelINS0_14default_configENS1_27scan_by_key_config_selectorIxiEEZZNS1_16scan_by_key_implILNS1_25lookback_scan_determinismE0ELb1ES3_N6thrust23THRUST_200600_302600_NS6detail15normal_iteratorINS9_10device_ptrIxEEEESE_SE_iNS9_4plusIvEENS9_8equal_toIvEEiEE10hipError_tPvRmT2_T3_T4_T5_mT6_T7_P12ihipStream_tbENKUlT_T0_E_clISt17integral_constantIbLb1EESY_IbLb0EEEEDaSU_SV_EUlSU_E_NS1_11comp_targetILNS1_3genE2ELNS1_11target_archE906ELNS1_3gpuE6ELNS1_3repE0EEENS1_30default_config_static_selectorELNS0_4arch9wavefront6targetE0EEEvT1_,"axG",@progbits,_ZN7rocprim17ROCPRIM_400000_NS6detail17trampoline_kernelINS0_14default_configENS1_27scan_by_key_config_selectorIxiEEZZNS1_16scan_by_key_implILNS1_25lookback_scan_determinismE0ELb1ES3_N6thrust23THRUST_200600_302600_NS6detail15normal_iteratorINS9_10device_ptrIxEEEESE_SE_iNS9_4plusIvEENS9_8equal_toIvEEiEE10hipError_tPvRmT2_T3_T4_T5_mT6_T7_P12ihipStream_tbENKUlT_T0_E_clISt17integral_constantIbLb1EESY_IbLb0EEEEDaSU_SV_EUlSU_E_NS1_11comp_targetILNS1_3genE2ELNS1_11target_archE906ELNS1_3gpuE6ELNS1_3repE0EEENS1_30default_config_static_selectorELNS0_4arch9wavefront6targetE0EEEvT1_,comdat
.Lfunc_end1027:
	.size	_ZN7rocprim17ROCPRIM_400000_NS6detail17trampoline_kernelINS0_14default_configENS1_27scan_by_key_config_selectorIxiEEZZNS1_16scan_by_key_implILNS1_25lookback_scan_determinismE0ELb1ES3_N6thrust23THRUST_200600_302600_NS6detail15normal_iteratorINS9_10device_ptrIxEEEESE_SE_iNS9_4plusIvEENS9_8equal_toIvEEiEE10hipError_tPvRmT2_T3_T4_T5_mT6_T7_P12ihipStream_tbENKUlT_T0_E_clISt17integral_constantIbLb1EESY_IbLb0EEEEDaSU_SV_EUlSU_E_NS1_11comp_targetILNS1_3genE2ELNS1_11target_archE906ELNS1_3gpuE6ELNS1_3repE0EEENS1_30default_config_static_selectorELNS0_4arch9wavefront6targetE0EEEvT1_, .Lfunc_end1027-_ZN7rocprim17ROCPRIM_400000_NS6detail17trampoline_kernelINS0_14default_configENS1_27scan_by_key_config_selectorIxiEEZZNS1_16scan_by_key_implILNS1_25lookback_scan_determinismE0ELb1ES3_N6thrust23THRUST_200600_302600_NS6detail15normal_iteratorINS9_10device_ptrIxEEEESE_SE_iNS9_4plusIvEENS9_8equal_toIvEEiEE10hipError_tPvRmT2_T3_T4_T5_mT6_T7_P12ihipStream_tbENKUlT_T0_E_clISt17integral_constantIbLb1EESY_IbLb0EEEEDaSU_SV_EUlSU_E_NS1_11comp_targetILNS1_3genE2ELNS1_11target_archE906ELNS1_3gpuE6ELNS1_3repE0EEENS1_30default_config_static_selectorELNS0_4arch9wavefront6targetE0EEEvT1_
                                        ; -- End function
	.set _ZN7rocprim17ROCPRIM_400000_NS6detail17trampoline_kernelINS0_14default_configENS1_27scan_by_key_config_selectorIxiEEZZNS1_16scan_by_key_implILNS1_25lookback_scan_determinismE0ELb1ES3_N6thrust23THRUST_200600_302600_NS6detail15normal_iteratorINS9_10device_ptrIxEEEESE_SE_iNS9_4plusIvEENS9_8equal_toIvEEiEE10hipError_tPvRmT2_T3_T4_T5_mT6_T7_P12ihipStream_tbENKUlT_T0_E_clISt17integral_constantIbLb1EESY_IbLb0EEEEDaSU_SV_EUlSU_E_NS1_11comp_targetILNS1_3genE2ELNS1_11target_archE906ELNS1_3gpuE6ELNS1_3repE0EEENS1_30default_config_static_selectorELNS0_4arch9wavefront6targetE0EEEvT1_.num_vgpr, 0
	.set _ZN7rocprim17ROCPRIM_400000_NS6detail17trampoline_kernelINS0_14default_configENS1_27scan_by_key_config_selectorIxiEEZZNS1_16scan_by_key_implILNS1_25lookback_scan_determinismE0ELb1ES3_N6thrust23THRUST_200600_302600_NS6detail15normal_iteratorINS9_10device_ptrIxEEEESE_SE_iNS9_4plusIvEENS9_8equal_toIvEEiEE10hipError_tPvRmT2_T3_T4_T5_mT6_T7_P12ihipStream_tbENKUlT_T0_E_clISt17integral_constantIbLb1EESY_IbLb0EEEEDaSU_SV_EUlSU_E_NS1_11comp_targetILNS1_3genE2ELNS1_11target_archE906ELNS1_3gpuE6ELNS1_3repE0EEENS1_30default_config_static_selectorELNS0_4arch9wavefront6targetE0EEEvT1_.num_agpr, 0
	.set _ZN7rocprim17ROCPRIM_400000_NS6detail17trampoline_kernelINS0_14default_configENS1_27scan_by_key_config_selectorIxiEEZZNS1_16scan_by_key_implILNS1_25lookback_scan_determinismE0ELb1ES3_N6thrust23THRUST_200600_302600_NS6detail15normal_iteratorINS9_10device_ptrIxEEEESE_SE_iNS9_4plusIvEENS9_8equal_toIvEEiEE10hipError_tPvRmT2_T3_T4_T5_mT6_T7_P12ihipStream_tbENKUlT_T0_E_clISt17integral_constantIbLb1EESY_IbLb0EEEEDaSU_SV_EUlSU_E_NS1_11comp_targetILNS1_3genE2ELNS1_11target_archE906ELNS1_3gpuE6ELNS1_3repE0EEENS1_30default_config_static_selectorELNS0_4arch9wavefront6targetE0EEEvT1_.numbered_sgpr, 0
	.set _ZN7rocprim17ROCPRIM_400000_NS6detail17trampoline_kernelINS0_14default_configENS1_27scan_by_key_config_selectorIxiEEZZNS1_16scan_by_key_implILNS1_25lookback_scan_determinismE0ELb1ES3_N6thrust23THRUST_200600_302600_NS6detail15normal_iteratorINS9_10device_ptrIxEEEESE_SE_iNS9_4plusIvEENS9_8equal_toIvEEiEE10hipError_tPvRmT2_T3_T4_T5_mT6_T7_P12ihipStream_tbENKUlT_T0_E_clISt17integral_constantIbLb1EESY_IbLb0EEEEDaSU_SV_EUlSU_E_NS1_11comp_targetILNS1_3genE2ELNS1_11target_archE906ELNS1_3gpuE6ELNS1_3repE0EEENS1_30default_config_static_selectorELNS0_4arch9wavefront6targetE0EEEvT1_.num_named_barrier, 0
	.set _ZN7rocprim17ROCPRIM_400000_NS6detail17trampoline_kernelINS0_14default_configENS1_27scan_by_key_config_selectorIxiEEZZNS1_16scan_by_key_implILNS1_25lookback_scan_determinismE0ELb1ES3_N6thrust23THRUST_200600_302600_NS6detail15normal_iteratorINS9_10device_ptrIxEEEESE_SE_iNS9_4plusIvEENS9_8equal_toIvEEiEE10hipError_tPvRmT2_T3_T4_T5_mT6_T7_P12ihipStream_tbENKUlT_T0_E_clISt17integral_constantIbLb1EESY_IbLb0EEEEDaSU_SV_EUlSU_E_NS1_11comp_targetILNS1_3genE2ELNS1_11target_archE906ELNS1_3gpuE6ELNS1_3repE0EEENS1_30default_config_static_selectorELNS0_4arch9wavefront6targetE0EEEvT1_.private_seg_size, 0
	.set _ZN7rocprim17ROCPRIM_400000_NS6detail17trampoline_kernelINS0_14default_configENS1_27scan_by_key_config_selectorIxiEEZZNS1_16scan_by_key_implILNS1_25lookback_scan_determinismE0ELb1ES3_N6thrust23THRUST_200600_302600_NS6detail15normal_iteratorINS9_10device_ptrIxEEEESE_SE_iNS9_4plusIvEENS9_8equal_toIvEEiEE10hipError_tPvRmT2_T3_T4_T5_mT6_T7_P12ihipStream_tbENKUlT_T0_E_clISt17integral_constantIbLb1EESY_IbLb0EEEEDaSU_SV_EUlSU_E_NS1_11comp_targetILNS1_3genE2ELNS1_11target_archE906ELNS1_3gpuE6ELNS1_3repE0EEENS1_30default_config_static_selectorELNS0_4arch9wavefront6targetE0EEEvT1_.uses_vcc, 0
	.set _ZN7rocprim17ROCPRIM_400000_NS6detail17trampoline_kernelINS0_14default_configENS1_27scan_by_key_config_selectorIxiEEZZNS1_16scan_by_key_implILNS1_25lookback_scan_determinismE0ELb1ES3_N6thrust23THRUST_200600_302600_NS6detail15normal_iteratorINS9_10device_ptrIxEEEESE_SE_iNS9_4plusIvEENS9_8equal_toIvEEiEE10hipError_tPvRmT2_T3_T4_T5_mT6_T7_P12ihipStream_tbENKUlT_T0_E_clISt17integral_constantIbLb1EESY_IbLb0EEEEDaSU_SV_EUlSU_E_NS1_11comp_targetILNS1_3genE2ELNS1_11target_archE906ELNS1_3gpuE6ELNS1_3repE0EEENS1_30default_config_static_selectorELNS0_4arch9wavefront6targetE0EEEvT1_.uses_flat_scratch, 0
	.set _ZN7rocprim17ROCPRIM_400000_NS6detail17trampoline_kernelINS0_14default_configENS1_27scan_by_key_config_selectorIxiEEZZNS1_16scan_by_key_implILNS1_25lookback_scan_determinismE0ELb1ES3_N6thrust23THRUST_200600_302600_NS6detail15normal_iteratorINS9_10device_ptrIxEEEESE_SE_iNS9_4plusIvEENS9_8equal_toIvEEiEE10hipError_tPvRmT2_T3_T4_T5_mT6_T7_P12ihipStream_tbENKUlT_T0_E_clISt17integral_constantIbLb1EESY_IbLb0EEEEDaSU_SV_EUlSU_E_NS1_11comp_targetILNS1_3genE2ELNS1_11target_archE906ELNS1_3gpuE6ELNS1_3repE0EEENS1_30default_config_static_selectorELNS0_4arch9wavefront6targetE0EEEvT1_.has_dyn_sized_stack, 0
	.set _ZN7rocprim17ROCPRIM_400000_NS6detail17trampoline_kernelINS0_14default_configENS1_27scan_by_key_config_selectorIxiEEZZNS1_16scan_by_key_implILNS1_25lookback_scan_determinismE0ELb1ES3_N6thrust23THRUST_200600_302600_NS6detail15normal_iteratorINS9_10device_ptrIxEEEESE_SE_iNS9_4plusIvEENS9_8equal_toIvEEiEE10hipError_tPvRmT2_T3_T4_T5_mT6_T7_P12ihipStream_tbENKUlT_T0_E_clISt17integral_constantIbLb1EESY_IbLb0EEEEDaSU_SV_EUlSU_E_NS1_11comp_targetILNS1_3genE2ELNS1_11target_archE906ELNS1_3gpuE6ELNS1_3repE0EEENS1_30default_config_static_selectorELNS0_4arch9wavefront6targetE0EEEvT1_.has_recursion, 0
	.set _ZN7rocprim17ROCPRIM_400000_NS6detail17trampoline_kernelINS0_14default_configENS1_27scan_by_key_config_selectorIxiEEZZNS1_16scan_by_key_implILNS1_25lookback_scan_determinismE0ELb1ES3_N6thrust23THRUST_200600_302600_NS6detail15normal_iteratorINS9_10device_ptrIxEEEESE_SE_iNS9_4plusIvEENS9_8equal_toIvEEiEE10hipError_tPvRmT2_T3_T4_T5_mT6_T7_P12ihipStream_tbENKUlT_T0_E_clISt17integral_constantIbLb1EESY_IbLb0EEEEDaSU_SV_EUlSU_E_NS1_11comp_targetILNS1_3genE2ELNS1_11target_archE906ELNS1_3gpuE6ELNS1_3repE0EEENS1_30default_config_static_selectorELNS0_4arch9wavefront6targetE0EEEvT1_.has_indirect_call, 0
	.section	.AMDGPU.csdata,"",@progbits
; Kernel info:
; codeLenInByte = 0
; TotalNumSgprs: 0
; NumVgprs: 0
; ScratchSize: 0
; MemoryBound: 0
; FloatMode: 240
; IeeeMode: 1
; LDSByteSize: 0 bytes/workgroup (compile time only)
; SGPRBlocks: 0
; VGPRBlocks: 0
; NumSGPRsForWavesPerEU: 1
; NumVGPRsForWavesPerEU: 1
; Occupancy: 16
; WaveLimiterHint : 0
; COMPUTE_PGM_RSRC2:SCRATCH_EN: 0
; COMPUTE_PGM_RSRC2:USER_SGPR: 6
; COMPUTE_PGM_RSRC2:TRAP_HANDLER: 0
; COMPUTE_PGM_RSRC2:TGID_X_EN: 1
; COMPUTE_PGM_RSRC2:TGID_Y_EN: 0
; COMPUTE_PGM_RSRC2:TGID_Z_EN: 0
; COMPUTE_PGM_RSRC2:TIDIG_COMP_CNT: 0
	.section	.text._ZN7rocprim17ROCPRIM_400000_NS6detail17trampoline_kernelINS0_14default_configENS1_27scan_by_key_config_selectorIxiEEZZNS1_16scan_by_key_implILNS1_25lookback_scan_determinismE0ELb1ES3_N6thrust23THRUST_200600_302600_NS6detail15normal_iteratorINS9_10device_ptrIxEEEESE_SE_iNS9_4plusIvEENS9_8equal_toIvEEiEE10hipError_tPvRmT2_T3_T4_T5_mT6_T7_P12ihipStream_tbENKUlT_T0_E_clISt17integral_constantIbLb1EESY_IbLb0EEEEDaSU_SV_EUlSU_E_NS1_11comp_targetILNS1_3genE10ELNS1_11target_archE1200ELNS1_3gpuE4ELNS1_3repE0EEENS1_30default_config_static_selectorELNS0_4arch9wavefront6targetE0EEEvT1_,"axG",@progbits,_ZN7rocprim17ROCPRIM_400000_NS6detail17trampoline_kernelINS0_14default_configENS1_27scan_by_key_config_selectorIxiEEZZNS1_16scan_by_key_implILNS1_25lookback_scan_determinismE0ELb1ES3_N6thrust23THRUST_200600_302600_NS6detail15normal_iteratorINS9_10device_ptrIxEEEESE_SE_iNS9_4plusIvEENS9_8equal_toIvEEiEE10hipError_tPvRmT2_T3_T4_T5_mT6_T7_P12ihipStream_tbENKUlT_T0_E_clISt17integral_constantIbLb1EESY_IbLb0EEEEDaSU_SV_EUlSU_E_NS1_11comp_targetILNS1_3genE10ELNS1_11target_archE1200ELNS1_3gpuE4ELNS1_3repE0EEENS1_30default_config_static_selectorELNS0_4arch9wavefront6targetE0EEEvT1_,comdat
	.protected	_ZN7rocprim17ROCPRIM_400000_NS6detail17trampoline_kernelINS0_14default_configENS1_27scan_by_key_config_selectorIxiEEZZNS1_16scan_by_key_implILNS1_25lookback_scan_determinismE0ELb1ES3_N6thrust23THRUST_200600_302600_NS6detail15normal_iteratorINS9_10device_ptrIxEEEESE_SE_iNS9_4plusIvEENS9_8equal_toIvEEiEE10hipError_tPvRmT2_T3_T4_T5_mT6_T7_P12ihipStream_tbENKUlT_T0_E_clISt17integral_constantIbLb1EESY_IbLb0EEEEDaSU_SV_EUlSU_E_NS1_11comp_targetILNS1_3genE10ELNS1_11target_archE1200ELNS1_3gpuE4ELNS1_3repE0EEENS1_30default_config_static_selectorELNS0_4arch9wavefront6targetE0EEEvT1_ ; -- Begin function _ZN7rocprim17ROCPRIM_400000_NS6detail17trampoline_kernelINS0_14default_configENS1_27scan_by_key_config_selectorIxiEEZZNS1_16scan_by_key_implILNS1_25lookback_scan_determinismE0ELb1ES3_N6thrust23THRUST_200600_302600_NS6detail15normal_iteratorINS9_10device_ptrIxEEEESE_SE_iNS9_4plusIvEENS9_8equal_toIvEEiEE10hipError_tPvRmT2_T3_T4_T5_mT6_T7_P12ihipStream_tbENKUlT_T0_E_clISt17integral_constantIbLb1EESY_IbLb0EEEEDaSU_SV_EUlSU_E_NS1_11comp_targetILNS1_3genE10ELNS1_11target_archE1200ELNS1_3gpuE4ELNS1_3repE0EEENS1_30default_config_static_selectorELNS0_4arch9wavefront6targetE0EEEvT1_
	.globl	_ZN7rocprim17ROCPRIM_400000_NS6detail17trampoline_kernelINS0_14default_configENS1_27scan_by_key_config_selectorIxiEEZZNS1_16scan_by_key_implILNS1_25lookback_scan_determinismE0ELb1ES3_N6thrust23THRUST_200600_302600_NS6detail15normal_iteratorINS9_10device_ptrIxEEEESE_SE_iNS9_4plusIvEENS9_8equal_toIvEEiEE10hipError_tPvRmT2_T3_T4_T5_mT6_T7_P12ihipStream_tbENKUlT_T0_E_clISt17integral_constantIbLb1EESY_IbLb0EEEEDaSU_SV_EUlSU_E_NS1_11comp_targetILNS1_3genE10ELNS1_11target_archE1200ELNS1_3gpuE4ELNS1_3repE0EEENS1_30default_config_static_selectorELNS0_4arch9wavefront6targetE0EEEvT1_
	.p2align	8
	.type	_ZN7rocprim17ROCPRIM_400000_NS6detail17trampoline_kernelINS0_14default_configENS1_27scan_by_key_config_selectorIxiEEZZNS1_16scan_by_key_implILNS1_25lookback_scan_determinismE0ELb1ES3_N6thrust23THRUST_200600_302600_NS6detail15normal_iteratorINS9_10device_ptrIxEEEESE_SE_iNS9_4plusIvEENS9_8equal_toIvEEiEE10hipError_tPvRmT2_T3_T4_T5_mT6_T7_P12ihipStream_tbENKUlT_T0_E_clISt17integral_constantIbLb1EESY_IbLb0EEEEDaSU_SV_EUlSU_E_NS1_11comp_targetILNS1_3genE10ELNS1_11target_archE1200ELNS1_3gpuE4ELNS1_3repE0EEENS1_30default_config_static_selectorELNS0_4arch9wavefront6targetE0EEEvT1_,@function
_ZN7rocprim17ROCPRIM_400000_NS6detail17trampoline_kernelINS0_14default_configENS1_27scan_by_key_config_selectorIxiEEZZNS1_16scan_by_key_implILNS1_25lookback_scan_determinismE0ELb1ES3_N6thrust23THRUST_200600_302600_NS6detail15normal_iteratorINS9_10device_ptrIxEEEESE_SE_iNS9_4plusIvEENS9_8equal_toIvEEiEE10hipError_tPvRmT2_T3_T4_T5_mT6_T7_P12ihipStream_tbENKUlT_T0_E_clISt17integral_constantIbLb1EESY_IbLb0EEEEDaSU_SV_EUlSU_E_NS1_11comp_targetILNS1_3genE10ELNS1_11target_archE1200ELNS1_3gpuE4ELNS1_3repE0EEENS1_30default_config_static_selectorELNS0_4arch9wavefront6targetE0EEEvT1_: ; @_ZN7rocprim17ROCPRIM_400000_NS6detail17trampoline_kernelINS0_14default_configENS1_27scan_by_key_config_selectorIxiEEZZNS1_16scan_by_key_implILNS1_25lookback_scan_determinismE0ELb1ES3_N6thrust23THRUST_200600_302600_NS6detail15normal_iteratorINS9_10device_ptrIxEEEESE_SE_iNS9_4plusIvEENS9_8equal_toIvEEiEE10hipError_tPvRmT2_T3_T4_T5_mT6_T7_P12ihipStream_tbENKUlT_T0_E_clISt17integral_constantIbLb1EESY_IbLb0EEEEDaSU_SV_EUlSU_E_NS1_11comp_targetILNS1_3genE10ELNS1_11target_archE1200ELNS1_3gpuE4ELNS1_3repE0EEENS1_30default_config_static_selectorELNS0_4arch9wavefront6targetE0EEEvT1_
; %bb.0:
	.section	.rodata,"a",@progbits
	.p2align	6, 0x0
	.amdhsa_kernel _ZN7rocprim17ROCPRIM_400000_NS6detail17trampoline_kernelINS0_14default_configENS1_27scan_by_key_config_selectorIxiEEZZNS1_16scan_by_key_implILNS1_25lookback_scan_determinismE0ELb1ES3_N6thrust23THRUST_200600_302600_NS6detail15normal_iteratorINS9_10device_ptrIxEEEESE_SE_iNS9_4plusIvEENS9_8equal_toIvEEiEE10hipError_tPvRmT2_T3_T4_T5_mT6_T7_P12ihipStream_tbENKUlT_T0_E_clISt17integral_constantIbLb1EESY_IbLb0EEEEDaSU_SV_EUlSU_E_NS1_11comp_targetILNS1_3genE10ELNS1_11target_archE1200ELNS1_3gpuE4ELNS1_3repE0EEENS1_30default_config_static_selectorELNS0_4arch9wavefront6targetE0EEEvT1_
		.amdhsa_group_segment_fixed_size 0
		.amdhsa_private_segment_fixed_size 0
		.amdhsa_kernarg_size 112
		.amdhsa_user_sgpr_count 6
		.amdhsa_user_sgpr_private_segment_buffer 1
		.amdhsa_user_sgpr_dispatch_ptr 0
		.amdhsa_user_sgpr_queue_ptr 0
		.amdhsa_user_sgpr_kernarg_segment_ptr 1
		.amdhsa_user_sgpr_dispatch_id 0
		.amdhsa_user_sgpr_flat_scratch_init 0
		.amdhsa_user_sgpr_private_segment_size 0
		.amdhsa_wavefront_size32 1
		.amdhsa_uses_dynamic_stack 0
		.amdhsa_system_sgpr_private_segment_wavefront_offset 0
		.amdhsa_system_sgpr_workgroup_id_x 1
		.amdhsa_system_sgpr_workgroup_id_y 0
		.amdhsa_system_sgpr_workgroup_id_z 0
		.amdhsa_system_sgpr_workgroup_info 0
		.amdhsa_system_vgpr_workitem_id 0
		.amdhsa_next_free_vgpr 1
		.amdhsa_next_free_sgpr 1
		.amdhsa_reserve_vcc 0
		.amdhsa_reserve_flat_scratch 0
		.amdhsa_float_round_mode_32 0
		.amdhsa_float_round_mode_16_64 0
		.amdhsa_float_denorm_mode_32 3
		.amdhsa_float_denorm_mode_16_64 3
		.amdhsa_dx10_clamp 1
		.amdhsa_ieee_mode 1
		.amdhsa_fp16_overflow 0
		.amdhsa_workgroup_processor_mode 1
		.amdhsa_memory_ordered 1
		.amdhsa_forward_progress 1
		.amdhsa_shared_vgpr_count 0
		.amdhsa_exception_fp_ieee_invalid_op 0
		.amdhsa_exception_fp_denorm_src 0
		.amdhsa_exception_fp_ieee_div_zero 0
		.amdhsa_exception_fp_ieee_overflow 0
		.amdhsa_exception_fp_ieee_underflow 0
		.amdhsa_exception_fp_ieee_inexact 0
		.amdhsa_exception_int_div_zero 0
	.end_amdhsa_kernel
	.section	.text._ZN7rocprim17ROCPRIM_400000_NS6detail17trampoline_kernelINS0_14default_configENS1_27scan_by_key_config_selectorIxiEEZZNS1_16scan_by_key_implILNS1_25lookback_scan_determinismE0ELb1ES3_N6thrust23THRUST_200600_302600_NS6detail15normal_iteratorINS9_10device_ptrIxEEEESE_SE_iNS9_4plusIvEENS9_8equal_toIvEEiEE10hipError_tPvRmT2_T3_T4_T5_mT6_T7_P12ihipStream_tbENKUlT_T0_E_clISt17integral_constantIbLb1EESY_IbLb0EEEEDaSU_SV_EUlSU_E_NS1_11comp_targetILNS1_3genE10ELNS1_11target_archE1200ELNS1_3gpuE4ELNS1_3repE0EEENS1_30default_config_static_selectorELNS0_4arch9wavefront6targetE0EEEvT1_,"axG",@progbits,_ZN7rocprim17ROCPRIM_400000_NS6detail17trampoline_kernelINS0_14default_configENS1_27scan_by_key_config_selectorIxiEEZZNS1_16scan_by_key_implILNS1_25lookback_scan_determinismE0ELb1ES3_N6thrust23THRUST_200600_302600_NS6detail15normal_iteratorINS9_10device_ptrIxEEEESE_SE_iNS9_4plusIvEENS9_8equal_toIvEEiEE10hipError_tPvRmT2_T3_T4_T5_mT6_T7_P12ihipStream_tbENKUlT_T0_E_clISt17integral_constantIbLb1EESY_IbLb0EEEEDaSU_SV_EUlSU_E_NS1_11comp_targetILNS1_3genE10ELNS1_11target_archE1200ELNS1_3gpuE4ELNS1_3repE0EEENS1_30default_config_static_selectorELNS0_4arch9wavefront6targetE0EEEvT1_,comdat
.Lfunc_end1028:
	.size	_ZN7rocprim17ROCPRIM_400000_NS6detail17trampoline_kernelINS0_14default_configENS1_27scan_by_key_config_selectorIxiEEZZNS1_16scan_by_key_implILNS1_25lookback_scan_determinismE0ELb1ES3_N6thrust23THRUST_200600_302600_NS6detail15normal_iteratorINS9_10device_ptrIxEEEESE_SE_iNS9_4plusIvEENS9_8equal_toIvEEiEE10hipError_tPvRmT2_T3_T4_T5_mT6_T7_P12ihipStream_tbENKUlT_T0_E_clISt17integral_constantIbLb1EESY_IbLb0EEEEDaSU_SV_EUlSU_E_NS1_11comp_targetILNS1_3genE10ELNS1_11target_archE1200ELNS1_3gpuE4ELNS1_3repE0EEENS1_30default_config_static_selectorELNS0_4arch9wavefront6targetE0EEEvT1_, .Lfunc_end1028-_ZN7rocprim17ROCPRIM_400000_NS6detail17trampoline_kernelINS0_14default_configENS1_27scan_by_key_config_selectorIxiEEZZNS1_16scan_by_key_implILNS1_25lookback_scan_determinismE0ELb1ES3_N6thrust23THRUST_200600_302600_NS6detail15normal_iteratorINS9_10device_ptrIxEEEESE_SE_iNS9_4plusIvEENS9_8equal_toIvEEiEE10hipError_tPvRmT2_T3_T4_T5_mT6_T7_P12ihipStream_tbENKUlT_T0_E_clISt17integral_constantIbLb1EESY_IbLb0EEEEDaSU_SV_EUlSU_E_NS1_11comp_targetILNS1_3genE10ELNS1_11target_archE1200ELNS1_3gpuE4ELNS1_3repE0EEENS1_30default_config_static_selectorELNS0_4arch9wavefront6targetE0EEEvT1_
                                        ; -- End function
	.set _ZN7rocprim17ROCPRIM_400000_NS6detail17trampoline_kernelINS0_14default_configENS1_27scan_by_key_config_selectorIxiEEZZNS1_16scan_by_key_implILNS1_25lookback_scan_determinismE0ELb1ES3_N6thrust23THRUST_200600_302600_NS6detail15normal_iteratorINS9_10device_ptrIxEEEESE_SE_iNS9_4plusIvEENS9_8equal_toIvEEiEE10hipError_tPvRmT2_T3_T4_T5_mT6_T7_P12ihipStream_tbENKUlT_T0_E_clISt17integral_constantIbLb1EESY_IbLb0EEEEDaSU_SV_EUlSU_E_NS1_11comp_targetILNS1_3genE10ELNS1_11target_archE1200ELNS1_3gpuE4ELNS1_3repE0EEENS1_30default_config_static_selectorELNS0_4arch9wavefront6targetE0EEEvT1_.num_vgpr, 0
	.set _ZN7rocprim17ROCPRIM_400000_NS6detail17trampoline_kernelINS0_14default_configENS1_27scan_by_key_config_selectorIxiEEZZNS1_16scan_by_key_implILNS1_25lookback_scan_determinismE0ELb1ES3_N6thrust23THRUST_200600_302600_NS6detail15normal_iteratorINS9_10device_ptrIxEEEESE_SE_iNS9_4plusIvEENS9_8equal_toIvEEiEE10hipError_tPvRmT2_T3_T4_T5_mT6_T7_P12ihipStream_tbENKUlT_T0_E_clISt17integral_constantIbLb1EESY_IbLb0EEEEDaSU_SV_EUlSU_E_NS1_11comp_targetILNS1_3genE10ELNS1_11target_archE1200ELNS1_3gpuE4ELNS1_3repE0EEENS1_30default_config_static_selectorELNS0_4arch9wavefront6targetE0EEEvT1_.num_agpr, 0
	.set _ZN7rocprim17ROCPRIM_400000_NS6detail17trampoline_kernelINS0_14default_configENS1_27scan_by_key_config_selectorIxiEEZZNS1_16scan_by_key_implILNS1_25lookback_scan_determinismE0ELb1ES3_N6thrust23THRUST_200600_302600_NS6detail15normal_iteratorINS9_10device_ptrIxEEEESE_SE_iNS9_4plusIvEENS9_8equal_toIvEEiEE10hipError_tPvRmT2_T3_T4_T5_mT6_T7_P12ihipStream_tbENKUlT_T0_E_clISt17integral_constantIbLb1EESY_IbLb0EEEEDaSU_SV_EUlSU_E_NS1_11comp_targetILNS1_3genE10ELNS1_11target_archE1200ELNS1_3gpuE4ELNS1_3repE0EEENS1_30default_config_static_selectorELNS0_4arch9wavefront6targetE0EEEvT1_.numbered_sgpr, 0
	.set _ZN7rocprim17ROCPRIM_400000_NS6detail17trampoline_kernelINS0_14default_configENS1_27scan_by_key_config_selectorIxiEEZZNS1_16scan_by_key_implILNS1_25lookback_scan_determinismE0ELb1ES3_N6thrust23THRUST_200600_302600_NS6detail15normal_iteratorINS9_10device_ptrIxEEEESE_SE_iNS9_4plusIvEENS9_8equal_toIvEEiEE10hipError_tPvRmT2_T3_T4_T5_mT6_T7_P12ihipStream_tbENKUlT_T0_E_clISt17integral_constantIbLb1EESY_IbLb0EEEEDaSU_SV_EUlSU_E_NS1_11comp_targetILNS1_3genE10ELNS1_11target_archE1200ELNS1_3gpuE4ELNS1_3repE0EEENS1_30default_config_static_selectorELNS0_4arch9wavefront6targetE0EEEvT1_.num_named_barrier, 0
	.set _ZN7rocprim17ROCPRIM_400000_NS6detail17trampoline_kernelINS0_14default_configENS1_27scan_by_key_config_selectorIxiEEZZNS1_16scan_by_key_implILNS1_25lookback_scan_determinismE0ELb1ES3_N6thrust23THRUST_200600_302600_NS6detail15normal_iteratorINS9_10device_ptrIxEEEESE_SE_iNS9_4plusIvEENS9_8equal_toIvEEiEE10hipError_tPvRmT2_T3_T4_T5_mT6_T7_P12ihipStream_tbENKUlT_T0_E_clISt17integral_constantIbLb1EESY_IbLb0EEEEDaSU_SV_EUlSU_E_NS1_11comp_targetILNS1_3genE10ELNS1_11target_archE1200ELNS1_3gpuE4ELNS1_3repE0EEENS1_30default_config_static_selectorELNS0_4arch9wavefront6targetE0EEEvT1_.private_seg_size, 0
	.set _ZN7rocprim17ROCPRIM_400000_NS6detail17trampoline_kernelINS0_14default_configENS1_27scan_by_key_config_selectorIxiEEZZNS1_16scan_by_key_implILNS1_25lookback_scan_determinismE0ELb1ES3_N6thrust23THRUST_200600_302600_NS6detail15normal_iteratorINS9_10device_ptrIxEEEESE_SE_iNS9_4plusIvEENS9_8equal_toIvEEiEE10hipError_tPvRmT2_T3_T4_T5_mT6_T7_P12ihipStream_tbENKUlT_T0_E_clISt17integral_constantIbLb1EESY_IbLb0EEEEDaSU_SV_EUlSU_E_NS1_11comp_targetILNS1_3genE10ELNS1_11target_archE1200ELNS1_3gpuE4ELNS1_3repE0EEENS1_30default_config_static_selectorELNS0_4arch9wavefront6targetE0EEEvT1_.uses_vcc, 0
	.set _ZN7rocprim17ROCPRIM_400000_NS6detail17trampoline_kernelINS0_14default_configENS1_27scan_by_key_config_selectorIxiEEZZNS1_16scan_by_key_implILNS1_25lookback_scan_determinismE0ELb1ES3_N6thrust23THRUST_200600_302600_NS6detail15normal_iteratorINS9_10device_ptrIxEEEESE_SE_iNS9_4plusIvEENS9_8equal_toIvEEiEE10hipError_tPvRmT2_T3_T4_T5_mT6_T7_P12ihipStream_tbENKUlT_T0_E_clISt17integral_constantIbLb1EESY_IbLb0EEEEDaSU_SV_EUlSU_E_NS1_11comp_targetILNS1_3genE10ELNS1_11target_archE1200ELNS1_3gpuE4ELNS1_3repE0EEENS1_30default_config_static_selectorELNS0_4arch9wavefront6targetE0EEEvT1_.uses_flat_scratch, 0
	.set _ZN7rocprim17ROCPRIM_400000_NS6detail17trampoline_kernelINS0_14default_configENS1_27scan_by_key_config_selectorIxiEEZZNS1_16scan_by_key_implILNS1_25lookback_scan_determinismE0ELb1ES3_N6thrust23THRUST_200600_302600_NS6detail15normal_iteratorINS9_10device_ptrIxEEEESE_SE_iNS9_4plusIvEENS9_8equal_toIvEEiEE10hipError_tPvRmT2_T3_T4_T5_mT6_T7_P12ihipStream_tbENKUlT_T0_E_clISt17integral_constantIbLb1EESY_IbLb0EEEEDaSU_SV_EUlSU_E_NS1_11comp_targetILNS1_3genE10ELNS1_11target_archE1200ELNS1_3gpuE4ELNS1_3repE0EEENS1_30default_config_static_selectorELNS0_4arch9wavefront6targetE0EEEvT1_.has_dyn_sized_stack, 0
	.set _ZN7rocprim17ROCPRIM_400000_NS6detail17trampoline_kernelINS0_14default_configENS1_27scan_by_key_config_selectorIxiEEZZNS1_16scan_by_key_implILNS1_25lookback_scan_determinismE0ELb1ES3_N6thrust23THRUST_200600_302600_NS6detail15normal_iteratorINS9_10device_ptrIxEEEESE_SE_iNS9_4plusIvEENS9_8equal_toIvEEiEE10hipError_tPvRmT2_T3_T4_T5_mT6_T7_P12ihipStream_tbENKUlT_T0_E_clISt17integral_constantIbLb1EESY_IbLb0EEEEDaSU_SV_EUlSU_E_NS1_11comp_targetILNS1_3genE10ELNS1_11target_archE1200ELNS1_3gpuE4ELNS1_3repE0EEENS1_30default_config_static_selectorELNS0_4arch9wavefront6targetE0EEEvT1_.has_recursion, 0
	.set _ZN7rocprim17ROCPRIM_400000_NS6detail17trampoline_kernelINS0_14default_configENS1_27scan_by_key_config_selectorIxiEEZZNS1_16scan_by_key_implILNS1_25lookback_scan_determinismE0ELb1ES3_N6thrust23THRUST_200600_302600_NS6detail15normal_iteratorINS9_10device_ptrIxEEEESE_SE_iNS9_4plusIvEENS9_8equal_toIvEEiEE10hipError_tPvRmT2_T3_T4_T5_mT6_T7_P12ihipStream_tbENKUlT_T0_E_clISt17integral_constantIbLb1EESY_IbLb0EEEEDaSU_SV_EUlSU_E_NS1_11comp_targetILNS1_3genE10ELNS1_11target_archE1200ELNS1_3gpuE4ELNS1_3repE0EEENS1_30default_config_static_selectorELNS0_4arch9wavefront6targetE0EEEvT1_.has_indirect_call, 0
	.section	.AMDGPU.csdata,"",@progbits
; Kernel info:
; codeLenInByte = 0
; TotalNumSgprs: 0
; NumVgprs: 0
; ScratchSize: 0
; MemoryBound: 0
; FloatMode: 240
; IeeeMode: 1
; LDSByteSize: 0 bytes/workgroup (compile time only)
; SGPRBlocks: 0
; VGPRBlocks: 0
; NumSGPRsForWavesPerEU: 1
; NumVGPRsForWavesPerEU: 1
; Occupancy: 16
; WaveLimiterHint : 0
; COMPUTE_PGM_RSRC2:SCRATCH_EN: 0
; COMPUTE_PGM_RSRC2:USER_SGPR: 6
; COMPUTE_PGM_RSRC2:TRAP_HANDLER: 0
; COMPUTE_PGM_RSRC2:TGID_X_EN: 1
; COMPUTE_PGM_RSRC2:TGID_Y_EN: 0
; COMPUTE_PGM_RSRC2:TGID_Z_EN: 0
; COMPUTE_PGM_RSRC2:TIDIG_COMP_CNT: 0
	.section	.text._ZN7rocprim17ROCPRIM_400000_NS6detail17trampoline_kernelINS0_14default_configENS1_27scan_by_key_config_selectorIxiEEZZNS1_16scan_by_key_implILNS1_25lookback_scan_determinismE0ELb1ES3_N6thrust23THRUST_200600_302600_NS6detail15normal_iteratorINS9_10device_ptrIxEEEESE_SE_iNS9_4plusIvEENS9_8equal_toIvEEiEE10hipError_tPvRmT2_T3_T4_T5_mT6_T7_P12ihipStream_tbENKUlT_T0_E_clISt17integral_constantIbLb1EESY_IbLb0EEEEDaSU_SV_EUlSU_E_NS1_11comp_targetILNS1_3genE9ELNS1_11target_archE1100ELNS1_3gpuE3ELNS1_3repE0EEENS1_30default_config_static_selectorELNS0_4arch9wavefront6targetE0EEEvT1_,"axG",@progbits,_ZN7rocprim17ROCPRIM_400000_NS6detail17trampoline_kernelINS0_14default_configENS1_27scan_by_key_config_selectorIxiEEZZNS1_16scan_by_key_implILNS1_25lookback_scan_determinismE0ELb1ES3_N6thrust23THRUST_200600_302600_NS6detail15normal_iteratorINS9_10device_ptrIxEEEESE_SE_iNS9_4plusIvEENS9_8equal_toIvEEiEE10hipError_tPvRmT2_T3_T4_T5_mT6_T7_P12ihipStream_tbENKUlT_T0_E_clISt17integral_constantIbLb1EESY_IbLb0EEEEDaSU_SV_EUlSU_E_NS1_11comp_targetILNS1_3genE9ELNS1_11target_archE1100ELNS1_3gpuE3ELNS1_3repE0EEENS1_30default_config_static_selectorELNS0_4arch9wavefront6targetE0EEEvT1_,comdat
	.protected	_ZN7rocprim17ROCPRIM_400000_NS6detail17trampoline_kernelINS0_14default_configENS1_27scan_by_key_config_selectorIxiEEZZNS1_16scan_by_key_implILNS1_25lookback_scan_determinismE0ELb1ES3_N6thrust23THRUST_200600_302600_NS6detail15normal_iteratorINS9_10device_ptrIxEEEESE_SE_iNS9_4plusIvEENS9_8equal_toIvEEiEE10hipError_tPvRmT2_T3_T4_T5_mT6_T7_P12ihipStream_tbENKUlT_T0_E_clISt17integral_constantIbLb1EESY_IbLb0EEEEDaSU_SV_EUlSU_E_NS1_11comp_targetILNS1_3genE9ELNS1_11target_archE1100ELNS1_3gpuE3ELNS1_3repE0EEENS1_30default_config_static_selectorELNS0_4arch9wavefront6targetE0EEEvT1_ ; -- Begin function _ZN7rocprim17ROCPRIM_400000_NS6detail17trampoline_kernelINS0_14default_configENS1_27scan_by_key_config_selectorIxiEEZZNS1_16scan_by_key_implILNS1_25lookback_scan_determinismE0ELb1ES3_N6thrust23THRUST_200600_302600_NS6detail15normal_iteratorINS9_10device_ptrIxEEEESE_SE_iNS9_4plusIvEENS9_8equal_toIvEEiEE10hipError_tPvRmT2_T3_T4_T5_mT6_T7_P12ihipStream_tbENKUlT_T0_E_clISt17integral_constantIbLb1EESY_IbLb0EEEEDaSU_SV_EUlSU_E_NS1_11comp_targetILNS1_3genE9ELNS1_11target_archE1100ELNS1_3gpuE3ELNS1_3repE0EEENS1_30default_config_static_selectorELNS0_4arch9wavefront6targetE0EEEvT1_
	.globl	_ZN7rocprim17ROCPRIM_400000_NS6detail17trampoline_kernelINS0_14default_configENS1_27scan_by_key_config_selectorIxiEEZZNS1_16scan_by_key_implILNS1_25lookback_scan_determinismE0ELb1ES3_N6thrust23THRUST_200600_302600_NS6detail15normal_iteratorINS9_10device_ptrIxEEEESE_SE_iNS9_4plusIvEENS9_8equal_toIvEEiEE10hipError_tPvRmT2_T3_T4_T5_mT6_T7_P12ihipStream_tbENKUlT_T0_E_clISt17integral_constantIbLb1EESY_IbLb0EEEEDaSU_SV_EUlSU_E_NS1_11comp_targetILNS1_3genE9ELNS1_11target_archE1100ELNS1_3gpuE3ELNS1_3repE0EEENS1_30default_config_static_selectorELNS0_4arch9wavefront6targetE0EEEvT1_
	.p2align	8
	.type	_ZN7rocprim17ROCPRIM_400000_NS6detail17trampoline_kernelINS0_14default_configENS1_27scan_by_key_config_selectorIxiEEZZNS1_16scan_by_key_implILNS1_25lookback_scan_determinismE0ELb1ES3_N6thrust23THRUST_200600_302600_NS6detail15normal_iteratorINS9_10device_ptrIxEEEESE_SE_iNS9_4plusIvEENS9_8equal_toIvEEiEE10hipError_tPvRmT2_T3_T4_T5_mT6_T7_P12ihipStream_tbENKUlT_T0_E_clISt17integral_constantIbLb1EESY_IbLb0EEEEDaSU_SV_EUlSU_E_NS1_11comp_targetILNS1_3genE9ELNS1_11target_archE1100ELNS1_3gpuE3ELNS1_3repE0EEENS1_30default_config_static_selectorELNS0_4arch9wavefront6targetE0EEEvT1_,@function
_ZN7rocprim17ROCPRIM_400000_NS6detail17trampoline_kernelINS0_14default_configENS1_27scan_by_key_config_selectorIxiEEZZNS1_16scan_by_key_implILNS1_25lookback_scan_determinismE0ELb1ES3_N6thrust23THRUST_200600_302600_NS6detail15normal_iteratorINS9_10device_ptrIxEEEESE_SE_iNS9_4plusIvEENS9_8equal_toIvEEiEE10hipError_tPvRmT2_T3_T4_T5_mT6_T7_P12ihipStream_tbENKUlT_T0_E_clISt17integral_constantIbLb1EESY_IbLb0EEEEDaSU_SV_EUlSU_E_NS1_11comp_targetILNS1_3genE9ELNS1_11target_archE1100ELNS1_3gpuE3ELNS1_3repE0EEENS1_30default_config_static_selectorELNS0_4arch9wavefront6targetE0EEEvT1_: ; @_ZN7rocprim17ROCPRIM_400000_NS6detail17trampoline_kernelINS0_14default_configENS1_27scan_by_key_config_selectorIxiEEZZNS1_16scan_by_key_implILNS1_25lookback_scan_determinismE0ELb1ES3_N6thrust23THRUST_200600_302600_NS6detail15normal_iteratorINS9_10device_ptrIxEEEESE_SE_iNS9_4plusIvEENS9_8equal_toIvEEiEE10hipError_tPvRmT2_T3_T4_T5_mT6_T7_P12ihipStream_tbENKUlT_T0_E_clISt17integral_constantIbLb1EESY_IbLb0EEEEDaSU_SV_EUlSU_E_NS1_11comp_targetILNS1_3genE9ELNS1_11target_archE1100ELNS1_3gpuE3ELNS1_3repE0EEENS1_30default_config_static_selectorELNS0_4arch9wavefront6targetE0EEEvT1_
; %bb.0:
	.section	.rodata,"a",@progbits
	.p2align	6, 0x0
	.amdhsa_kernel _ZN7rocprim17ROCPRIM_400000_NS6detail17trampoline_kernelINS0_14default_configENS1_27scan_by_key_config_selectorIxiEEZZNS1_16scan_by_key_implILNS1_25lookback_scan_determinismE0ELb1ES3_N6thrust23THRUST_200600_302600_NS6detail15normal_iteratorINS9_10device_ptrIxEEEESE_SE_iNS9_4plusIvEENS9_8equal_toIvEEiEE10hipError_tPvRmT2_T3_T4_T5_mT6_T7_P12ihipStream_tbENKUlT_T0_E_clISt17integral_constantIbLb1EESY_IbLb0EEEEDaSU_SV_EUlSU_E_NS1_11comp_targetILNS1_3genE9ELNS1_11target_archE1100ELNS1_3gpuE3ELNS1_3repE0EEENS1_30default_config_static_selectorELNS0_4arch9wavefront6targetE0EEEvT1_
		.amdhsa_group_segment_fixed_size 0
		.amdhsa_private_segment_fixed_size 0
		.amdhsa_kernarg_size 112
		.amdhsa_user_sgpr_count 6
		.amdhsa_user_sgpr_private_segment_buffer 1
		.amdhsa_user_sgpr_dispatch_ptr 0
		.amdhsa_user_sgpr_queue_ptr 0
		.amdhsa_user_sgpr_kernarg_segment_ptr 1
		.amdhsa_user_sgpr_dispatch_id 0
		.amdhsa_user_sgpr_flat_scratch_init 0
		.amdhsa_user_sgpr_private_segment_size 0
		.amdhsa_wavefront_size32 1
		.amdhsa_uses_dynamic_stack 0
		.amdhsa_system_sgpr_private_segment_wavefront_offset 0
		.amdhsa_system_sgpr_workgroup_id_x 1
		.amdhsa_system_sgpr_workgroup_id_y 0
		.amdhsa_system_sgpr_workgroup_id_z 0
		.amdhsa_system_sgpr_workgroup_info 0
		.amdhsa_system_vgpr_workitem_id 0
		.amdhsa_next_free_vgpr 1
		.amdhsa_next_free_sgpr 1
		.amdhsa_reserve_vcc 0
		.amdhsa_reserve_flat_scratch 0
		.amdhsa_float_round_mode_32 0
		.amdhsa_float_round_mode_16_64 0
		.amdhsa_float_denorm_mode_32 3
		.amdhsa_float_denorm_mode_16_64 3
		.amdhsa_dx10_clamp 1
		.amdhsa_ieee_mode 1
		.amdhsa_fp16_overflow 0
		.amdhsa_workgroup_processor_mode 1
		.amdhsa_memory_ordered 1
		.amdhsa_forward_progress 1
		.amdhsa_shared_vgpr_count 0
		.amdhsa_exception_fp_ieee_invalid_op 0
		.amdhsa_exception_fp_denorm_src 0
		.amdhsa_exception_fp_ieee_div_zero 0
		.amdhsa_exception_fp_ieee_overflow 0
		.amdhsa_exception_fp_ieee_underflow 0
		.amdhsa_exception_fp_ieee_inexact 0
		.amdhsa_exception_int_div_zero 0
	.end_amdhsa_kernel
	.section	.text._ZN7rocprim17ROCPRIM_400000_NS6detail17trampoline_kernelINS0_14default_configENS1_27scan_by_key_config_selectorIxiEEZZNS1_16scan_by_key_implILNS1_25lookback_scan_determinismE0ELb1ES3_N6thrust23THRUST_200600_302600_NS6detail15normal_iteratorINS9_10device_ptrIxEEEESE_SE_iNS9_4plusIvEENS9_8equal_toIvEEiEE10hipError_tPvRmT2_T3_T4_T5_mT6_T7_P12ihipStream_tbENKUlT_T0_E_clISt17integral_constantIbLb1EESY_IbLb0EEEEDaSU_SV_EUlSU_E_NS1_11comp_targetILNS1_3genE9ELNS1_11target_archE1100ELNS1_3gpuE3ELNS1_3repE0EEENS1_30default_config_static_selectorELNS0_4arch9wavefront6targetE0EEEvT1_,"axG",@progbits,_ZN7rocprim17ROCPRIM_400000_NS6detail17trampoline_kernelINS0_14default_configENS1_27scan_by_key_config_selectorIxiEEZZNS1_16scan_by_key_implILNS1_25lookback_scan_determinismE0ELb1ES3_N6thrust23THRUST_200600_302600_NS6detail15normal_iteratorINS9_10device_ptrIxEEEESE_SE_iNS9_4plusIvEENS9_8equal_toIvEEiEE10hipError_tPvRmT2_T3_T4_T5_mT6_T7_P12ihipStream_tbENKUlT_T0_E_clISt17integral_constantIbLb1EESY_IbLb0EEEEDaSU_SV_EUlSU_E_NS1_11comp_targetILNS1_3genE9ELNS1_11target_archE1100ELNS1_3gpuE3ELNS1_3repE0EEENS1_30default_config_static_selectorELNS0_4arch9wavefront6targetE0EEEvT1_,comdat
.Lfunc_end1029:
	.size	_ZN7rocprim17ROCPRIM_400000_NS6detail17trampoline_kernelINS0_14default_configENS1_27scan_by_key_config_selectorIxiEEZZNS1_16scan_by_key_implILNS1_25lookback_scan_determinismE0ELb1ES3_N6thrust23THRUST_200600_302600_NS6detail15normal_iteratorINS9_10device_ptrIxEEEESE_SE_iNS9_4plusIvEENS9_8equal_toIvEEiEE10hipError_tPvRmT2_T3_T4_T5_mT6_T7_P12ihipStream_tbENKUlT_T0_E_clISt17integral_constantIbLb1EESY_IbLb0EEEEDaSU_SV_EUlSU_E_NS1_11comp_targetILNS1_3genE9ELNS1_11target_archE1100ELNS1_3gpuE3ELNS1_3repE0EEENS1_30default_config_static_selectorELNS0_4arch9wavefront6targetE0EEEvT1_, .Lfunc_end1029-_ZN7rocprim17ROCPRIM_400000_NS6detail17trampoline_kernelINS0_14default_configENS1_27scan_by_key_config_selectorIxiEEZZNS1_16scan_by_key_implILNS1_25lookback_scan_determinismE0ELb1ES3_N6thrust23THRUST_200600_302600_NS6detail15normal_iteratorINS9_10device_ptrIxEEEESE_SE_iNS9_4plusIvEENS9_8equal_toIvEEiEE10hipError_tPvRmT2_T3_T4_T5_mT6_T7_P12ihipStream_tbENKUlT_T0_E_clISt17integral_constantIbLb1EESY_IbLb0EEEEDaSU_SV_EUlSU_E_NS1_11comp_targetILNS1_3genE9ELNS1_11target_archE1100ELNS1_3gpuE3ELNS1_3repE0EEENS1_30default_config_static_selectorELNS0_4arch9wavefront6targetE0EEEvT1_
                                        ; -- End function
	.set _ZN7rocprim17ROCPRIM_400000_NS6detail17trampoline_kernelINS0_14default_configENS1_27scan_by_key_config_selectorIxiEEZZNS1_16scan_by_key_implILNS1_25lookback_scan_determinismE0ELb1ES3_N6thrust23THRUST_200600_302600_NS6detail15normal_iteratorINS9_10device_ptrIxEEEESE_SE_iNS9_4plusIvEENS9_8equal_toIvEEiEE10hipError_tPvRmT2_T3_T4_T5_mT6_T7_P12ihipStream_tbENKUlT_T0_E_clISt17integral_constantIbLb1EESY_IbLb0EEEEDaSU_SV_EUlSU_E_NS1_11comp_targetILNS1_3genE9ELNS1_11target_archE1100ELNS1_3gpuE3ELNS1_3repE0EEENS1_30default_config_static_selectorELNS0_4arch9wavefront6targetE0EEEvT1_.num_vgpr, 0
	.set _ZN7rocprim17ROCPRIM_400000_NS6detail17trampoline_kernelINS0_14default_configENS1_27scan_by_key_config_selectorIxiEEZZNS1_16scan_by_key_implILNS1_25lookback_scan_determinismE0ELb1ES3_N6thrust23THRUST_200600_302600_NS6detail15normal_iteratorINS9_10device_ptrIxEEEESE_SE_iNS9_4plusIvEENS9_8equal_toIvEEiEE10hipError_tPvRmT2_T3_T4_T5_mT6_T7_P12ihipStream_tbENKUlT_T0_E_clISt17integral_constantIbLb1EESY_IbLb0EEEEDaSU_SV_EUlSU_E_NS1_11comp_targetILNS1_3genE9ELNS1_11target_archE1100ELNS1_3gpuE3ELNS1_3repE0EEENS1_30default_config_static_selectorELNS0_4arch9wavefront6targetE0EEEvT1_.num_agpr, 0
	.set _ZN7rocprim17ROCPRIM_400000_NS6detail17trampoline_kernelINS0_14default_configENS1_27scan_by_key_config_selectorIxiEEZZNS1_16scan_by_key_implILNS1_25lookback_scan_determinismE0ELb1ES3_N6thrust23THRUST_200600_302600_NS6detail15normal_iteratorINS9_10device_ptrIxEEEESE_SE_iNS9_4plusIvEENS9_8equal_toIvEEiEE10hipError_tPvRmT2_T3_T4_T5_mT6_T7_P12ihipStream_tbENKUlT_T0_E_clISt17integral_constantIbLb1EESY_IbLb0EEEEDaSU_SV_EUlSU_E_NS1_11comp_targetILNS1_3genE9ELNS1_11target_archE1100ELNS1_3gpuE3ELNS1_3repE0EEENS1_30default_config_static_selectorELNS0_4arch9wavefront6targetE0EEEvT1_.numbered_sgpr, 0
	.set _ZN7rocprim17ROCPRIM_400000_NS6detail17trampoline_kernelINS0_14default_configENS1_27scan_by_key_config_selectorIxiEEZZNS1_16scan_by_key_implILNS1_25lookback_scan_determinismE0ELb1ES3_N6thrust23THRUST_200600_302600_NS6detail15normal_iteratorINS9_10device_ptrIxEEEESE_SE_iNS9_4plusIvEENS9_8equal_toIvEEiEE10hipError_tPvRmT2_T3_T4_T5_mT6_T7_P12ihipStream_tbENKUlT_T0_E_clISt17integral_constantIbLb1EESY_IbLb0EEEEDaSU_SV_EUlSU_E_NS1_11comp_targetILNS1_3genE9ELNS1_11target_archE1100ELNS1_3gpuE3ELNS1_3repE0EEENS1_30default_config_static_selectorELNS0_4arch9wavefront6targetE0EEEvT1_.num_named_barrier, 0
	.set _ZN7rocprim17ROCPRIM_400000_NS6detail17trampoline_kernelINS0_14default_configENS1_27scan_by_key_config_selectorIxiEEZZNS1_16scan_by_key_implILNS1_25lookback_scan_determinismE0ELb1ES3_N6thrust23THRUST_200600_302600_NS6detail15normal_iteratorINS9_10device_ptrIxEEEESE_SE_iNS9_4plusIvEENS9_8equal_toIvEEiEE10hipError_tPvRmT2_T3_T4_T5_mT6_T7_P12ihipStream_tbENKUlT_T0_E_clISt17integral_constantIbLb1EESY_IbLb0EEEEDaSU_SV_EUlSU_E_NS1_11comp_targetILNS1_3genE9ELNS1_11target_archE1100ELNS1_3gpuE3ELNS1_3repE0EEENS1_30default_config_static_selectorELNS0_4arch9wavefront6targetE0EEEvT1_.private_seg_size, 0
	.set _ZN7rocprim17ROCPRIM_400000_NS6detail17trampoline_kernelINS0_14default_configENS1_27scan_by_key_config_selectorIxiEEZZNS1_16scan_by_key_implILNS1_25lookback_scan_determinismE0ELb1ES3_N6thrust23THRUST_200600_302600_NS6detail15normal_iteratorINS9_10device_ptrIxEEEESE_SE_iNS9_4plusIvEENS9_8equal_toIvEEiEE10hipError_tPvRmT2_T3_T4_T5_mT6_T7_P12ihipStream_tbENKUlT_T0_E_clISt17integral_constantIbLb1EESY_IbLb0EEEEDaSU_SV_EUlSU_E_NS1_11comp_targetILNS1_3genE9ELNS1_11target_archE1100ELNS1_3gpuE3ELNS1_3repE0EEENS1_30default_config_static_selectorELNS0_4arch9wavefront6targetE0EEEvT1_.uses_vcc, 0
	.set _ZN7rocprim17ROCPRIM_400000_NS6detail17trampoline_kernelINS0_14default_configENS1_27scan_by_key_config_selectorIxiEEZZNS1_16scan_by_key_implILNS1_25lookback_scan_determinismE0ELb1ES3_N6thrust23THRUST_200600_302600_NS6detail15normal_iteratorINS9_10device_ptrIxEEEESE_SE_iNS9_4plusIvEENS9_8equal_toIvEEiEE10hipError_tPvRmT2_T3_T4_T5_mT6_T7_P12ihipStream_tbENKUlT_T0_E_clISt17integral_constantIbLb1EESY_IbLb0EEEEDaSU_SV_EUlSU_E_NS1_11comp_targetILNS1_3genE9ELNS1_11target_archE1100ELNS1_3gpuE3ELNS1_3repE0EEENS1_30default_config_static_selectorELNS0_4arch9wavefront6targetE0EEEvT1_.uses_flat_scratch, 0
	.set _ZN7rocprim17ROCPRIM_400000_NS6detail17trampoline_kernelINS0_14default_configENS1_27scan_by_key_config_selectorIxiEEZZNS1_16scan_by_key_implILNS1_25lookback_scan_determinismE0ELb1ES3_N6thrust23THRUST_200600_302600_NS6detail15normal_iteratorINS9_10device_ptrIxEEEESE_SE_iNS9_4plusIvEENS9_8equal_toIvEEiEE10hipError_tPvRmT2_T3_T4_T5_mT6_T7_P12ihipStream_tbENKUlT_T0_E_clISt17integral_constantIbLb1EESY_IbLb0EEEEDaSU_SV_EUlSU_E_NS1_11comp_targetILNS1_3genE9ELNS1_11target_archE1100ELNS1_3gpuE3ELNS1_3repE0EEENS1_30default_config_static_selectorELNS0_4arch9wavefront6targetE0EEEvT1_.has_dyn_sized_stack, 0
	.set _ZN7rocprim17ROCPRIM_400000_NS6detail17trampoline_kernelINS0_14default_configENS1_27scan_by_key_config_selectorIxiEEZZNS1_16scan_by_key_implILNS1_25lookback_scan_determinismE0ELb1ES3_N6thrust23THRUST_200600_302600_NS6detail15normal_iteratorINS9_10device_ptrIxEEEESE_SE_iNS9_4plusIvEENS9_8equal_toIvEEiEE10hipError_tPvRmT2_T3_T4_T5_mT6_T7_P12ihipStream_tbENKUlT_T0_E_clISt17integral_constantIbLb1EESY_IbLb0EEEEDaSU_SV_EUlSU_E_NS1_11comp_targetILNS1_3genE9ELNS1_11target_archE1100ELNS1_3gpuE3ELNS1_3repE0EEENS1_30default_config_static_selectorELNS0_4arch9wavefront6targetE0EEEvT1_.has_recursion, 0
	.set _ZN7rocprim17ROCPRIM_400000_NS6detail17trampoline_kernelINS0_14default_configENS1_27scan_by_key_config_selectorIxiEEZZNS1_16scan_by_key_implILNS1_25lookback_scan_determinismE0ELb1ES3_N6thrust23THRUST_200600_302600_NS6detail15normal_iteratorINS9_10device_ptrIxEEEESE_SE_iNS9_4plusIvEENS9_8equal_toIvEEiEE10hipError_tPvRmT2_T3_T4_T5_mT6_T7_P12ihipStream_tbENKUlT_T0_E_clISt17integral_constantIbLb1EESY_IbLb0EEEEDaSU_SV_EUlSU_E_NS1_11comp_targetILNS1_3genE9ELNS1_11target_archE1100ELNS1_3gpuE3ELNS1_3repE0EEENS1_30default_config_static_selectorELNS0_4arch9wavefront6targetE0EEEvT1_.has_indirect_call, 0
	.section	.AMDGPU.csdata,"",@progbits
; Kernel info:
; codeLenInByte = 0
; TotalNumSgprs: 0
; NumVgprs: 0
; ScratchSize: 0
; MemoryBound: 0
; FloatMode: 240
; IeeeMode: 1
; LDSByteSize: 0 bytes/workgroup (compile time only)
; SGPRBlocks: 0
; VGPRBlocks: 0
; NumSGPRsForWavesPerEU: 1
; NumVGPRsForWavesPerEU: 1
; Occupancy: 16
; WaveLimiterHint : 0
; COMPUTE_PGM_RSRC2:SCRATCH_EN: 0
; COMPUTE_PGM_RSRC2:USER_SGPR: 6
; COMPUTE_PGM_RSRC2:TRAP_HANDLER: 0
; COMPUTE_PGM_RSRC2:TGID_X_EN: 1
; COMPUTE_PGM_RSRC2:TGID_Y_EN: 0
; COMPUTE_PGM_RSRC2:TGID_Z_EN: 0
; COMPUTE_PGM_RSRC2:TIDIG_COMP_CNT: 0
	.section	.text._ZN7rocprim17ROCPRIM_400000_NS6detail17trampoline_kernelINS0_14default_configENS1_27scan_by_key_config_selectorIxiEEZZNS1_16scan_by_key_implILNS1_25lookback_scan_determinismE0ELb1ES3_N6thrust23THRUST_200600_302600_NS6detail15normal_iteratorINS9_10device_ptrIxEEEESE_SE_iNS9_4plusIvEENS9_8equal_toIvEEiEE10hipError_tPvRmT2_T3_T4_T5_mT6_T7_P12ihipStream_tbENKUlT_T0_E_clISt17integral_constantIbLb1EESY_IbLb0EEEEDaSU_SV_EUlSU_E_NS1_11comp_targetILNS1_3genE8ELNS1_11target_archE1030ELNS1_3gpuE2ELNS1_3repE0EEENS1_30default_config_static_selectorELNS0_4arch9wavefront6targetE0EEEvT1_,"axG",@progbits,_ZN7rocprim17ROCPRIM_400000_NS6detail17trampoline_kernelINS0_14default_configENS1_27scan_by_key_config_selectorIxiEEZZNS1_16scan_by_key_implILNS1_25lookback_scan_determinismE0ELb1ES3_N6thrust23THRUST_200600_302600_NS6detail15normal_iteratorINS9_10device_ptrIxEEEESE_SE_iNS9_4plusIvEENS9_8equal_toIvEEiEE10hipError_tPvRmT2_T3_T4_T5_mT6_T7_P12ihipStream_tbENKUlT_T0_E_clISt17integral_constantIbLb1EESY_IbLb0EEEEDaSU_SV_EUlSU_E_NS1_11comp_targetILNS1_3genE8ELNS1_11target_archE1030ELNS1_3gpuE2ELNS1_3repE0EEENS1_30default_config_static_selectorELNS0_4arch9wavefront6targetE0EEEvT1_,comdat
	.protected	_ZN7rocprim17ROCPRIM_400000_NS6detail17trampoline_kernelINS0_14default_configENS1_27scan_by_key_config_selectorIxiEEZZNS1_16scan_by_key_implILNS1_25lookback_scan_determinismE0ELb1ES3_N6thrust23THRUST_200600_302600_NS6detail15normal_iteratorINS9_10device_ptrIxEEEESE_SE_iNS9_4plusIvEENS9_8equal_toIvEEiEE10hipError_tPvRmT2_T3_T4_T5_mT6_T7_P12ihipStream_tbENKUlT_T0_E_clISt17integral_constantIbLb1EESY_IbLb0EEEEDaSU_SV_EUlSU_E_NS1_11comp_targetILNS1_3genE8ELNS1_11target_archE1030ELNS1_3gpuE2ELNS1_3repE0EEENS1_30default_config_static_selectorELNS0_4arch9wavefront6targetE0EEEvT1_ ; -- Begin function _ZN7rocprim17ROCPRIM_400000_NS6detail17trampoline_kernelINS0_14default_configENS1_27scan_by_key_config_selectorIxiEEZZNS1_16scan_by_key_implILNS1_25lookback_scan_determinismE0ELb1ES3_N6thrust23THRUST_200600_302600_NS6detail15normal_iteratorINS9_10device_ptrIxEEEESE_SE_iNS9_4plusIvEENS9_8equal_toIvEEiEE10hipError_tPvRmT2_T3_T4_T5_mT6_T7_P12ihipStream_tbENKUlT_T0_E_clISt17integral_constantIbLb1EESY_IbLb0EEEEDaSU_SV_EUlSU_E_NS1_11comp_targetILNS1_3genE8ELNS1_11target_archE1030ELNS1_3gpuE2ELNS1_3repE0EEENS1_30default_config_static_selectorELNS0_4arch9wavefront6targetE0EEEvT1_
	.globl	_ZN7rocprim17ROCPRIM_400000_NS6detail17trampoline_kernelINS0_14default_configENS1_27scan_by_key_config_selectorIxiEEZZNS1_16scan_by_key_implILNS1_25lookback_scan_determinismE0ELb1ES3_N6thrust23THRUST_200600_302600_NS6detail15normal_iteratorINS9_10device_ptrIxEEEESE_SE_iNS9_4plusIvEENS9_8equal_toIvEEiEE10hipError_tPvRmT2_T3_T4_T5_mT6_T7_P12ihipStream_tbENKUlT_T0_E_clISt17integral_constantIbLb1EESY_IbLb0EEEEDaSU_SV_EUlSU_E_NS1_11comp_targetILNS1_3genE8ELNS1_11target_archE1030ELNS1_3gpuE2ELNS1_3repE0EEENS1_30default_config_static_selectorELNS0_4arch9wavefront6targetE0EEEvT1_
	.p2align	8
	.type	_ZN7rocprim17ROCPRIM_400000_NS6detail17trampoline_kernelINS0_14default_configENS1_27scan_by_key_config_selectorIxiEEZZNS1_16scan_by_key_implILNS1_25lookback_scan_determinismE0ELb1ES3_N6thrust23THRUST_200600_302600_NS6detail15normal_iteratorINS9_10device_ptrIxEEEESE_SE_iNS9_4plusIvEENS9_8equal_toIvEEiEE10hipError_tPvRmT2_T3_T4_T5_mT6_T7_P12ihipStream_tbENKUlT_T0_E_clISt17integral_constantIbLb1EESY_IbLb0EEEEDaSU_SV_EUlSU_E_NS1_11comp_targetILNS1_3genE8ELNS1_11target_archE1030ELNS1_3gpuE2ELNS1_3repE0EEENS1_30default_config_static_selectorELNS0_4arch9wavefront6targetE0EEEvT1_,@function
_ZN7rocprim17ROCPRIM_400000_NS6detail17trampoline_kernelINS0_14default_configENS1_27scan_by_key_config_selectorIxiEEZZNS1_16scan_by_key_implILNS1_25lookback_scan_determinismE0ELb1ES3_N6thrust23THRUST_200600_302600_NS6detail15normal_iteratorINS9_10device_ptrIxEEEESE_SE_iNS9_4plusIvEENS9_8equal_toIvEEiEE10hipError_tPvRmT2_T3_T4_T5_mT6_T7_P12ihipStream_tbENKUlT_T0_E_clISt17integral_constantIbLb1EESY_IbLb0EEEEDaSU_SV_EUlSU_E_NS1_11comp_targetILNS1_3genE8ELNS1_11target_archE1030ELNS1_3gpuE2ELNS1_3repE0EEENS1_30default_config_static_selectorELNS0_4arch9wavefront6targetE0EEEvT1_: ; @_ZN7rocprim17ROCPRIM_400000_NS6detail17trampoline_kernelINS0_14default_configENS1_27scan_by_key_config_selectorIxiEEZZNS1_16scan_by_key_implILNS1_25lookback_scan_determinismE0ELb1ES3_N6thrust23THRUST_200600_302600_NS6detail15normal_iteratorINS9_10device_ptrIxEEEESE_SE_iNS9_4plusIvEENS9_8equal_toIvEEiEE10hipError_tPvRmT2_T3_T4_T5_mT6_T7_P12ihipStream_tbENKUlT_T0_E_clISt17integral_constantIbLb1EESY_IbLb0EEEEDaSU_SV_EUlSU_E_NS1_11comp_targetILNS1_3genE8ELNS1_11target_archE1030ELNS1_3gpuE2ELNS1_3repE0EEENS1_30default_config_static_selectorELNS0_4arch9wavefront6targetE0EEEvT1_
; %bb.0:
	s_endpgm
	.section	.rodata,"a",@progbits
	.p2align	6, 0x0
	.amdhsa_kernel _ZN7rocprim17ROCPRIM_400000_NS6detail17trampoline_kernelINS0_14default_configENS1_27scan_by_key_config_selectorIxiEEZZNS1_16scan_by_key_implILNS1_25lookback_scan_determinismE0ELb1ES3_N6thrust23THRUST_200600_302600_NS6detail15normal_iteratorINS9_10device_ptrIxEEEESE_SE_iNS9_4plusIvEENS9_8equal_toIvEEiEE10hipError_tPvRmT2_T3_T4_T5_mT6_T7_P12ihipStream_tbENKUlT_T0_E_clISt17integral_constantIbLb1EESY_IbLb0EEEEDaSU_SV_EUlSU_E_NS1_11comp_targetILNS1_3genE8ELNS1_11target_archE1030ELNS1_3gpuE2ELNS1_3repE0EEENS1_30default_config_static_selectorELNS0_4arch9wavefront6targetE0EEEvT1_
		.amdhsa_group_segment_fixed_size 0
		.amdhsa_private_segment_fixed_size 0
		.amdhsa_kernarg_size 112
		.amdhsa_user_sgpr_count 6
		.amdhsa_user_sgpr_private_segment_buffer 1
		.amdhsa_user_sgpr_dispatch_ptr 0
		.amdhsa_user_sgpr_queue_ptr 0
		.amdhsa_user_sgpr_kernarg_segment_ptr 1
		.amdhsa_user_sgpr_dispatch_id 0
		.amdhsa_user_sgpr_flat_scratch_init 0
		.amdhsa_user_sgpr_private_segment_size 0
		.amdhsa_wavefront_size32 1
		.amdhsa_uses_dynamic_stack 0
		.amdhsa_system_sgpr_private_segment_wavefront_offset 0
		.amdhsa_system_sgpr_workgroup_id_x 1
		.amdhsa_system_sgpr_workgroup_id_y 0
		.amdhsa_system_sgpr_workgroup_id_z 0
		.amdhsa_system_sgpr_workgroup_info 0
		.amdhsa_system_vgpr_workitem_id 0
		.amdhsa_next_free_vgpr 1
		.amdhsa_next_free_sgpr 1
		.amdhsa_reserve_vcc 0
		.amdhsa_reserve_flat_scratch 0
		.amdhsa_float_round_mode_32 0
		.amdhsa_float_round_mode_16_64 0
		.amdhsa_float_denorm_mode_32 3
		.amdhsa_float_denorm_mode_16_64 3
		.amdhsa_dx10_clamp 1
		.amdhsa_ieee_mode 1
		.amdhsa_fp16_overflow 0
		.amdhsa_workgroup_processor_mode 1
		.amdhsa_memory_ordered 1
		.amdhsa_forward_progress 1
		.amdhsa_shared_vgpr_count 0
		.amdhsa_exception_fp_ieee_invalid_op 0
		.amdhsa_exception_fp_denorm_src 0
		.amdhsa_exception_fp_ieee_div_zero 0
		.amdhsa_exception_fp_ieee_overflow 0
		.amdhsa_exception_fp_ieee_underflow 0
		.amdhsa_exception_fp_ieee_inexact 0
		.amdhsa_exception_int_div_zero 0
	.end_amdhsa_kernel
	.section	.text._ZN7rocprim17ROCPRIM_400000_NS6detail17trampoline_kernelINS0_14default_configENS1_27scan_by_key_config_selectorIxiEEZZNS1_16scan_by_key_implILNS1_25lookback_scan_determinismE0ELb1ES3_N6thrust23THRUST_200600_302600_NS6detail15normal_iteratorINS9_10device_ptrIxEEEESE_SE_iNS9_4plusIvEENS9_8equal_toIvEEiEE10hipError_tPvRmT2_T3_T4_T5_mT6_T7_P12ihipStream_tbENKUlT_T0_E_clISt17integral_constantIbLb1EESY_IbLb0EEEEDaSU_SV_EUlSU_E_NS1_11comp_targetILNS1_3genE8ELNS1_11target_archE1030ELNS1_3gpuE2ELNS1_3repE0EEENS1_30default_config_static_selectorELNS0_4arch9wavefront6targetE0EEEvT1_,"axG",@progbits,_ZN7rocprim17ROCPRIM_400000_NS6detail17trampoline_kernelINS0_14default_configENS1_27scan_by_key_config_selectorIxiEEZZNS1_16scan_by_key_implILNS1_25lookback_scan_determinismE0ELb1ES3_N6thrust23THRUST_200600_302600_NS6detail15normal_iteratorINS9_10device_ptrIxEEEESE_SE_iNS9_4plusIvEENS9_8equal_toIvEEiEE10hipError_tPvRmT2_T3_T4_T5_mT6_T7_P12ihipStream_tbENKUlT_T0_E_clISt17integral_constantIbLb1EESY_IbLb0EEEEDaSU_SV_EUlSU_E_NS1_11comp_targetILNS1_3genE8ELNS1_11target_archE1030ELNS1_3gpuE2ELNS1_3repE0EEENS1_30default_config_static_selectorELNS0_4arch9wavefront6targetE0EEEvT1_,comdat
.Lfunc_end1030:
	.size	_ZN7rocprim17ROCPRIM_400000_NS6detail17trampoline_kernelINS0_14default_configENS1_27scan_by_key_config_selectorIxiEEZZNS1_16scan_by_key_implILNS1_25lookback_scan_determinismE0ELb1ES3_N6thrust23THRUST_200600_302600_NS6detail15normal_iteratorINS9_10device_ptrIxEEEESE_SE_iNS9_4plusIvEENS9_8equal_toIvEEiEE10hipError_tPvRmT2_T3_T4_T5_mT6_T7_P12ihipStream_tbENKUlT_T0_E_clISt17integral_constantIbLb1EESY_IbLb0EEEEDaSU_SV_EUlSU_E_NS1_11comp_targetILNS1_3genE8ELNS1_11target_archE1030ELNS1_3gpuE2ELNS1_3repE0EEENS1_30default_config_static_selectorELNS0_4arch9wavefront6targetE0EEEvT1_, .Lfunc_end1030-_ZN7rocprim17ROCPRIM_400000_NS6detail17trampoline_kernelINS0_14default_configENS1_27scan_by_key_config_selectorIxiEEZZNS1_16scan_by_key_implILNS1_25lookback_scan_determinismE0ELb1ES3_N6thrust23THRUST_200600_302600_NS6detail15normal_iteratorINS9_10device_ptrIxEEEESE_SE_iNS9_4plusIvEENS9_8equal_toIvEEiEE10hipError_tPvRmT2_T3_T4_T5_mT6_T7_P12ihipStream_tbENKUlT_T0_E_clISt17integral_constantIbLb1EESY_IbLb0EEEEDaSU_SV_EUlSU_E_NS1_11comp_targetILNS1_3genE8ELNS1_11target_archE1030ELNS1_3gpuE2ELNS1_3repE0EEENS1_30default_config_static_selectorELNS0_4arch9wavefront6targetE0EEEvT1_
                                        ; -- End function
	.set _ZN7rocprim17ROCPRIM_400000_NS6detail17trampoline_kernelINS0_14default_configENS1_27scan_by_key_config_selectorIxiEEZZNS1_16scan_by_key_implILNS1_25lookback_scan_determinismE0ELb1ES3_N6thrust23THRUST_200600_302600_NS6detail15normal_iteratorINS9_10device_ptrIxEEEESE_SE_iNS9_4plusIvEENS9_8equal_toIvEEiEE10hipError_tPvRmT2_T3_T4_T5_mT6_T7_P12ihipStream_tbENKUlT_T0_E_clISt17integral_constantIbLb1EESY_IbLb0EEEEDaSU_SV_EUlSU_E_NS1_11comp_targetILNS1_3genE8ELNS1_11target_archE1030ELNS1_3gpuE2ELNS1_3repE0EEENS1_30default_config_static_selectorELNS0_4arch9wavefront6targetE0EEEvT1_.num_vgpr, 0
	.set _ZN7rocprim17ROCPRIM_400000_NS6detail17trampoline_kernelINS0_14default_configENS1_27scan_by_key_config_selectorIxiEEZZNS1_16scan_by_key_implILNS1_25lookback_scan_determinismE0ELb1ES3_N6thrust23THRUST_200600_302600_NS6detail15normal_iteratorINS9_10device_ptrIxEEEESE_SE_iNS9_4plusIvEENS9_8equal_toIvEEiEE10hipError_tPvRmT2_T3_T4_T5_mT6_T7_P12ihipStream_tbENKUlT_T0_E_clISt17integral_constantIbLb1EESY_IbLb0EEEEDaSU_SV_EUlSU_E_NS1_11comp_targetILNS1_3genE8ELNS1_11target_archE1030ELNS1_3gpuE2ELNS1_3repE0EEENS1_30default_config_static_selectorELNS0_4arch9wavefront6targetE0EEEvT1_.num_agpr, 0
	.set _ZN7rocprim17ROCPRIM_400000_NS6detail17trampoline_kernelINS0_14default_configENS1_27scan_by_key_config_selectorIxiEEZZNS1_16scan_by_key_implILNS1_25lookback_scan_determinismE0ELb1ES3_N6thrust23THRUST_200600_302600_NS6detail15normal_iteratorINS9_10device_ptrIxEEEESE_SE_iNS9_4plusIvEENS9_8equal_toIvEEiEE10hipError_tPvRmT2_T3_T4_T5_mT6_T7_P12ihipStream_tbENKUlT_T0_E_clISt17integral_constantIbLb1EESY_IbLb0EEEEDaSU_SV_EUlSU_E_NS1_11comp_targetILNS1_3genE8ELNS1_11target_archE1030ELNS1_3gpuE2ELNS1_3repE0EEENS1_30default_config_static_selectorELNS0_4arch9wavefront6targetE0EEEvT1_.numbered_sgpr, 0
	.set _ZN7rocprim17ROCPRIM_400000_NS6detail17trampoline_kernelINS0_14default_configENS1_27scan_by_key_config_selectorIxiEEZZNS1_16scan_by_key_implILNS1_25lookback_scan_determinismE0ELb1ES3_N6thrust23THRUST_200600_302600_NS6detail15normal_iteratorINS9_10device_ptrIxEEEESE_SE_iNS9_4plusIvEENS9_8equal_toIvEEiEE10hipError_tPvRmT2_T3_T4_T5_mT6_T7_P12ihipStream_tbENKUlT_T0_E_clISt17integral_constantIbLb1EESY_IbLb0EEEEDaSU_SV_EUlSU_E_NS1_11comp_targetILNS1_3genE8ELNS1_11target_archE1030ELNS1_3gpuE2ELNS1_3repE0EEENS1_30default_config_static_selectorELNS0_4arch9wavefront6targetE0EEEvT1_.num_named_barrier, 0
	.set _ZN7rocprim17ROCPRIM_400000_NS6detail17trampoline_kernelINS0_14default_configENS1_27scan_by_key_config_selectorIxiEEZZNS1_16scan_by_key_implILNS1_25lookback_scan_determinismE0ELb1ES3_N6thrust23THRUST_200600_302600_NS6detail15normal_iteratorINS9_10device_ptrIxEEEESE_SE_iNS9_4plusIvEENS9_8equal_toIvEEiEE10hipError_tPvRmT2_T3_T4_T5_mT6_T7_P12ihipStream_tbENKUlT_T0_E_clISt17integral_constantIbLb1EESY_IbLb0EEEEDaSU_SV_EUlSU_E_NS1_11comp_targetILNS1_3genE8ELNS1_11target_archE1030ELNS1_3gpuE2ELNS1_3repE0EEENS1_30default_config_static_selectorELNS0_4arch9wavefront6targetE0EEEvT1_.private_seg_size, 0
	.set _ZN7rocprim17ROCPRIM_400000_NS6detail17trampoline_kernelINS0_14default_configENS1_27scan_by_key_config_selectorIxiEEZZNS1_16scan_by_key_implILNS1_25lookback_scan_determinismE0ELb1ES3_N6thrust23THRUST_200600_302600_NS6detail15normal_iteratorINS9_10device_ptrIxEEEESE_SE_iNS9_4plusIvEENS9_8equal_toIvEEiEE10hipError_tPvRmT2_T3_T4_T5_mT6_T7_P12ihipStream_tbENKUlT_T0_E_clISt17integral_constantIbLb1EESY_IbLb0EEEEDaSU_SV_EUlSU_E_NS1_11comp_targetILNS1_3genE8ELNS1_11target_archE1030ELNS1_3gpuE2ELNS1_3repE0EEENS1_30default_config_static_selectorELNS0_4arch9wavefront6targetE0EEEvT1_.uses_vcc, 0
	.set _ZN7rocprim17ROCPRIM_400000_NS6detail17trampoline_kernelINS0_14default_configENS1_27scan_by_key_config_selectorIxiEEZZNS1_16scan_by_key_implILNS1_25lookback_scan_determinismE0ELb1ES3_N6thrust23THRUST_200600_302600_NS6detail15normal_iteratorINS9_10device_ptrIxEEEESE_SE_iNS9_4plusIvEENS9_8equal_toIvEEiEE10hipError_tPvRmT2_T3_T4_T5_mT6_T7_P12ihipStream_tbENKUlT_T0_E_clISt17integral_constantIbLb1EESY_IbLb0EEEEDaSU_SV_EUlSU_E_NS1_11comp_targetILNS1_3genE8ELNS1_11target_archE1030ELNS1_3gpuE2ELNS1_3repE0EEENS1_30default_config_static_selectorELNS0_4arch9wavefront6targetE0EEEvT1_.uses_flat_scratch, 0
	.set _ZN7rocprim17ROCPRIM_400000_NS6detail17trampoline_kernelINS0_14default_configENS1_27scan_by_key_config_selectorIxiEEZZNS1_16scan_by_key_implILNS1_25lookback_scan_determinismE0ELb1ES3_N6thrust23THRUST_200600_302600_NS6detail15normal_iteratorINS9_10device_ptrIxEEEESE_SE_iNS9_4plusIvEENS9_8equal_toIvEEiEE10hipError_tPvRmT2_T3_T4_T5_mT6_T7_P12ihipStream_tbENKUlT_T0_E_clISt17integral_constantIbLb1EESY_IbLb0EEEEDaSU_SV_EUlSU_E_NS1_11comp_targetILNS1_3genE8ELNS1_11target_archE1030ELNS1_3gpuE2ELNS1_3repE0EEENS1_30default_config_static_selectorELNS0_4arch9wavefront6targetE0EEEvT1_.has_dyn_sized_stack, 0
	.set _ZN7rocprim17ROCPRIM_400000_NS6detail17trampoline_kernelINS0_14default_configENS1_27scan_by_key_config_selectorIxiEEZZNS1_16scan_by_key_implILNS1_25lookback_scan_determinismE0ELb1ES3_N6thrust23THRUST_200600_302600_NS6detail15normal_iteratorINS9_10device_ptrIxEEEESE_SE_iNS9_4plusIvEENS9_8equal_toIvEEiEE10hipError_tPvRmT2_T3_T4_T5_mT6_T7_P12ihipStream_tbENKUlT_T0_E_clISt17integral_constantIbLb1EESY_IbLb0EEEEDaSU_SV_EUlSU_E_NS1_11comp_targetILNS1_3genE8ELNS1_11target_archE1030ELNS1_3gpuE2ELNS1_3repE0EEENS1_30default_config_static_selectorELNS0_4arch9wavefront6targetE0EEEvT1_.has_recursion, 0
	.set _ZN7rocprim17ROCPRIM_400000_NS6detail17trampoline_kernelINS0_14default_configENS1_27scan_by_key_config_selectorIxiEEZZNS1_16scan_by_key_implILNS1_25lookback_scan_determinismE0ELb1ES3_N6thrust23THRUST_200600_302600_NS6detail15normal_iteratorINS9_10device_ptrIxEEEESE_SE_iNS9_4plusIvEENS9_8equal_toIvEEiEE10hipError_tPvRmT2_T3_T4_T5_mT6_T7_P12ihipStream_tbENKUlT_T0_E_clISt17integral_constantIbLb1EESY_IbLb0EEEEDaSU_SV_EUlSU_E_NS1_11comp_targetILNS1_3genE8ELNS1_11target_archE1030ELNS1_3gpuE2ELNS1_3repE0EEENS1_30default_config_static_selectorELNS0_4arch9wavefront6targetE0EEEvT1_.has_indirect_call, 0
	.section	.AMDGPU.csdata,"",@progbits
; Kernel info:
; codeLenInByte = 4
; TotalNumSgprs: 0
; NumVgprs: 0
; ScratchSize: 0
; MemoryBound: 0
; FloatMode: 240
; IeeeMode: 1
; LDSByteSize: 0 bytes/workgroup (compile time only)
; SGPRBlocks: 0
; VGPRBlocks: 0
; NumSGPRsForWavesPerEU: 1
; NumVGPRsForWavesPerEU: 1
; Occupancy: 16
; WaveLimiterHint : 0
; COMPUTE_PGM_RSRC2:SCRATCH_EN: 0
; COMPUTE_PGM_RSRC2:USER_SGPR: 6
; COMPUTE_PGM_RSRC2:TRAP_HANDLER: 0
; COMPUTE_PGM_RSRC2:TGID_X_EN: 1
; COMPUTE_PGM_RSRC2:TGID_Y_EN: 0
; COMPUTE_PGM_RSRC2:TGID_Z_EN: 0
; COMPUTE_PGM_RSRC2:TIDIG_COMP_CNT: 0
	.section	.text._ZN7rocprim17ROCPRIM_400000_NS6detail30init_device_scan_by_key_kernelINS1_19lookback_scan_stateINS0_5tupleIJibEEELb0ELb1EEEN6thrust23THRUST_200600_302600_NS6detail15normal_iteratorINS8_10device_ptrIxEEEEjNS1_16block_id_wrapperIjLb1EEEEEvT_jjPNSG_10value_typeET0_PNSt15iterator_traitsISJ_E10value_typeEmT1_T2_,"axG",@progbits,_ZN7rocprim17ROCPRIM_400000_NS6detail30init_device_scan_by_key_kernelINS1_19lookback_scan_stateINS0_5tupleIJibEEELb0ELb1EEEN6thrust23THRUST_200600_302600_NS6detail15normal_iteratorINS8_10device_ptrIxEEEEjNS1_16block_id_wrapperIjLb1EEEEEvT_jjPNSG_10value_typeET0_PNSt15iterator_traitsISJ_E10value_typeEmT1_T2_,comdat
	.protected	_ZN7rocprim17ROCPRIM_400000_NS6detail30init_device_scan_by_key_kernelINS1_19lookback_scan_stateINS0_5tupleIJibEEELb0ELb1EEEN6thrust23THRUST_200600_302600_NS6detail15normal_iteratorINS8_10device_ptrIxEEEEjNS1_16block_id_wrapperIjLb1EEEEEvT_jjPNSG_10value_typeET0_PNSt15iterator_traitsISJ_E10value_typeEmT1_T2_ ; -- Begin function _ZN7rocprim17ROCPRIM_400000_NS6detail30init_device_scan_by_key_kernelINS1_19lookback_scan_stateINS0_5tupleIJibEEELb0ELb1EEEN6thrust23THRUST_200600_302600_NS6detail15normal_iteratorINS8_10device_ptrIxEEEEjNS1_16block_id_wrapperIjLb1EEEEEvT_jjPNSG_10value_typeET0_PNSt15iterator_traitsISJ_E10value_typeEmT1_T2_
	.globl	_ZN7rocprim17ROCPRIM_400000_NS6detail30init_device_scan_by_key_kernelINS1_19lookback_scan_stateINS0_5tupleIJibEEELb0ELb1EEEN6thrust23THRUST_200600_302600_NS6detail15normal_iteratorINS8_10device_ptrIxEEEEjNS1_16block_id_wrapperIjLb1EEEEEvT_jjPNSG_10value_typeET0_PNSt15iterator_traitsISJ_E10value_typeEmT1_T2_
	.p2align	8
	.type	_ZN7rocprim17ROCPRIM_400000_NS6detail30init_device_scan_by_key_kernelINS1_19lookback_scan_stateINS0_5tupleIJibEEELb0ELb1EEEN6thrust23THRUST_200600_302600_NS6detail15normal_iteratorINS8_10device_ptrIxEEEEjNS1_16block_id_wrapperIjLb1EEEEEvT_jjPNSG_10value_typeET0_PNSt15iterator_traitsISJ_E10value_typeEmT1_T2_,@function
_ZN7rocprim17ROCPRIM_400000_NS6detail30init_device_scan_by_key_kernelINS1_19lookback_scan_stateINS0_5tupleIJibEEELb0ELb1EEEN6thrust23THRUST_200600_302600_NS6detail15normal_iteratorINS8_10device_ptrIxEEEEjNS1_16block_id_wrapperIjLb1EEEEEvT_jjPNSG_10value_typeET0_PNSt15iterator_traitsISJ_E10value_typeEmT1_T2_: ; @_ZN7rocprim17ROCPRIM_400000_NS6detail30init_device_scan_by_key_kernelINS1_19lookback_scan_stateINS0_5tupleIJibEEELb0ELb1EEEN6thrust23THRUST_200600_302600_NS6detail15normal_iteratorINS8_10device_ptrIxEEEEjNS1_16block_id_wrapperIjLb1EEEEEvT_jjPNSG_10value_typeET0_PNSt15iterator_traitsISJ_E10value_typeEmT1_T2_
; %bb.0:
	s_clause 0x2
	s_load_dword s0, s[4:5], 0x4c
	s_load_dwordx8 s[8:15], s[4:5], 0x0
	s_load_dword s7, s[4:5], 0x40
	s_waitcnt lgkmcnt(0)
	s_and_b32 s16, s0, 0xffff
	s_cmp_eq_u64 s[12:13], 0
	v_mad_u64_u32 v[4:5], null, s6, s16, v[0:1]
	s_cbranch_scc1 .LBB1031_8
; %bb.1:
	s_cmp_lt_u32 s11, s10
	s_mov_b32 s1, 0
	s_cselect_b32 s0, s11, 0
	s_mov_b32 s2, exec_lo
	v_cmpx_eq_u32_e64 s0, v4
	s_cbranch_execz .LBB1031_7
; %bb.2:
	s_add_i32 s0, s11, 32
	v_mov_b32_e32 v6, 0
	s_lshl_b64 s[0:1], s[0:1], 4
	s_mov_b32 s3, exec_lo
	s_add_u32 s0, s8, s0
	s_addc_u32 s1, s9, s1
	v_mov_b32_e32 v0, s0
	v_mov_b32_e32 v1, s1
	;;#ASMSTART
	global_load_dwordx4 v[0:3], v[0:1] off glc dlc	
s_waitcnt vmcnt(0)
	;;#ASMEND
	v_and_b32_e32 v5, 0xff, v2
	v_cmpx_eq_u64_e32 0, v[5:6]
	s_cbranch_execz .LBB1031_6
; %bb.3:
	v_mov_b32_e32 v8, s1
	v_mov_b32_e32 v7, s0
	s_mov_b32 s0, 0
.LBB1031_4:                             ; =>This Inner Loop Header: Depth=1
	;;#ASMSTART
	global_load_dwordx4 v[0:3], v[7:8] off glc dlc	
s_waitcnt vmcnt(0)
	;;#ASMEND
	v_and_b32_e32 v5, 0xff, v2
	v_cmp_ne_u64_e32 vcc_lo, 0, v[5:6]
	s_or_b32 s0, vcc_lo, s0
	s_andn2_b32 exec_lo, exec_lo, s0
	s_cbranch_execnz .LBB1031_4
; %bb.5:
	s_or_b32 exec_lo, exec_lo, s0
.LBB1031_6:
	s_or_b32 exec_lo, exec_lo, s3
	v_mov_b32_e32 v2, 0
	global_store_dword v2, v0, s[12:13]
	global_store_byte v2, v1, s[12:13] offset:4
.LBB1031_7:
	s_or_b32 exec_lo, exec_lo, s2
.LBB1031_8:
	s_mov_b32 s0, exec_lo
	v_cmpx_eq_u32_e32 0, v4
	s_cbranch_execz .LBB1031_10
; %bb.9:
	s_load_dwordx2 s[2:3], s[4:5], 0x38
	v_mov_b32_e32 v0, 0
	s_waitcnt lgkmcnt(0)
	global_store_dword v0, v0, s[2:3]
.LBB1031_10:
	s_or_b32 exec_lo, exec_lo, s0
	s_mov_b32 s0, exec_lo
	v_cmpx_gt_u32_e64 s10, v4
	s_cbranch_execz .LBB1031_12
; %bb.11:
	v_add_nc_u32_e32 v0, 32, v4
	v_mov_b32_e32 v1, 0
	v_lshlrev_b64 v[5:6], 4, v[0:1]
	v_mov_b32_e32 v0, v1
	v_mov_b32_e32 v2, v1
	;; [unrolled: 1-line block ×3, first 2 shown]
	v_add_co_u32 v5, vcc_lo, s8, v5
	v_add_co_ci_u32_e64 v6, null, s9, v6, vcc_lo
	global_store_dwordx4 v[5:6], v[0:3], off
.LBB1031_12:
	s_or_b32 exec_lo, exec_lo, s0
	v_mov_b32_e32 v5, 0
	s_mov_b32 s0, exec_lo
	v_cmpx_gt_u32_e32 32, v4
	s_cbranch_execz .LBB1031_14
; %bb.13:
	v_lshlrev_b64 v[6:7], 4, v[4:5]
	v_mov_b32_e32 v2, 0xff
	v_mov_b32_e32 v0, v5
	;; [unrolled: 1-line block ×4, first 2 shown]
	v_add_co_u32 v6, vcc_lo, s8, v6
	v_add_co_ci_u32_e64 v7, null, s9, v7, vcc_lo
	global_store_dwordx4 v[6:7], v[0:3], off
.LBB1031_14:
	s_or_b32 exec_lo, exec_lo, s0
	s_load_dwordx2 s[2:3], s[4:5], 0x28
	s_mov_b32 s0, exec_lo
	s_waitcnt lgkmcnt(0)
	v_cmpx_gt_u64_e64 s[2:3], v[4:5]
	s_cbranch_execz .LBB1031_17
; %bb.15:
	s_clause 0x1
	s_load_dword s6, s[4:5], 0x30
	s_load_dwordx2 s[8:9], s[4:5], 0x20
	s_mov_b32 s1, 0
	v_lshlrev_b64 v[2:3], 3, v[4:5]
	s_mul_i32 s4, s7, s16
	s_waitcnt lgkmcnt(0)
	v_mad_u64_u32 v[0:1], null, s6, v4, 0
	s_add_i32 s0, s6, -1
	s_mul_hi_u32 s7, s6, s4
	s_lshl_b64 s[10:11], s[0:1], 3
	s_mul_i32 s6, s6, s4
	s_add_u32 s0, s14, s10
	s_addc_u32 s5, s15, s11
	v_lshlrev_b64 v[0:1], 3, v[0:1]
	s_lshl_b64 s[6:7], s[6:7], 3
	v_add_co_u32 v0, vcc_lo, s0, v0
	v_add_co_ci_u32_e64 v1, null, s5, v1, vcc_lo
	v_add_co_u32 v2, vcc_lo, s8, v2
	v_add_co_ci_u32_e64 v3, null, s9, v3, vcc_lo
	s_mov_b32 s5, s1
	s_lshl_b64 s[8:9], s[4:5], 3
	.p2align	6
.LBB1031_16:                            ; =>This Inner Loop Header: Depth=1
	global_load_dwordx2 v[6:7], v[0:1], off
	v_add_co_u32 v4, vcc_lo, v4, s4
	v_add_co_ci_u32_e64 v5, null, 0, v5, vcc_lo
	v_add_co_u32 v0, vcc_lo, v0, s6
	v_add_co_ci_u32_e64 v1, null, s7, v1, vcc_lo
	v_cmp_le_u64_e32 vcc_lo, s[2:3], v[4:5]
	s_or_b32 s1, vcc_lo, s1
	s_waitcnt vmcnt(0)
	global_store_dwordx2 v[2:3], v[6:7], off
	v_add_co_u32 v2, s0, v2, s8
	v_add_co_ci_u32_e64 v3, null, s9, v3, s0
	s_andn2_b32 exec_lo, exec_lo, s1
	s_cbranch_execnz .LBB1031_16
.LBB1031_17:
	s_endpgm
	.section	.rodata,"a",@progbits
	.p2align	6, 0x0
	.amdhsa_kernel _ZN7rocprim17ROCPRIM_400000_NS6detail30init_device_scan_by_key_kernelINS1_19lookback_scan_stateINS0_5tupleIJibEEELb0ELb1EEEN6thrust23THRUST_200600_302600_NS6detail15normal_iteratorINS8_10device_ptrIxEEEEjNS1_16block_id_wrapperIjLb1EEEEEvT_jjPNSG_10value_typeET0_PNSt15iterator_traitsISJ_E10value_typeEmT1_T2_
		.amdhsa_group_segment_fixed_size 0
		.amdhsa_private_segment_fixed_size 0
		.amdhsa_kernarg_size 320
		.amdhsa_user_sgpr_count 6
		.amdhsa_user_sgpr_private_segment_buffer 1
		.amdhsa_user_sgpr_dispatch_ptr 0
		.amdhsa_user_sgpr_queue_ptr 0
		.amdhsa_user_sgpr_kernarg_segment_ptr 1
		.amdhsa_user_sgpr_dispatch_id 0
		.amdhsa_user_sgpr_flat_scratch_init 0
		.amdhsa_user_sgpr_private_segment_size 0
		.amdhsa_wavefront_size32 1
		.amdhsa_uses_dynamic_stack 0
		.amdhsa_system_sgpr_private_segment_wavefront_offset 0
		.amdhsa_system_sgpr_workgroup_id_x 1
		.amdhsa_system_sgpr_workgroup_id_y 0
		.amdhsa_system_sgpr_workgroup_id_z 0
		.amdhsa_system_sgpr_workgroup_info 0
		.amdhsa_system_vgpr_workitem_id 0
		.amdhsa_next_free_vgpr 9
		.amdhsa_next_free_sgpr 17
		.amdhsa_reserve_vcc 1
		.amdhsa_reserve_flat_scratch 0
		.amdhsa_float_round_mode_32 0
		.amdhsa_float_round_mode_16_64 0
		.amdhsa_float_denorm_mode_32 3
		.amdhsa_float_denorm_mode_16_64 3
		.amdhsa_dx10_clamp 1
		.amdhsa_ieee_mode 1
		.amdhsa_fp16_overflow 0
		.amdhsa_workgroup_processor_mode 1
		.amdhsa_memory_ordered 1
		.amdhsa_forward_progress 1
		.amdhsa_shared_vgpr_count 0
		.amdhsa_exception_fp_ieee_invalid_op 0
		.amdhsa_exception_fp_denorm_src 0
		.amdhsa_exception_fp_ieee_div_zero 0
		.amdhsa_exception_fp_ieee_overflow 0
		.amdhsa_exception_fp_ieee_underflow 0
		.amdhsa_exception_fp_ieee_inexact 0
		.amdhsa_exception_int_div_zero 0
	.end_amdhsa_kernel
	.section	.text._ZN7rocprim17ROCPRIM_400000_NS6detail30init_device_scan_by_key_kernelINS1_19lookback_scan_stateINS0_5tupleIJibEEELb0ELb1EEEN6thrust23THRUST_200600_302600_NS6detail15normal_iteratorINS8_10device_ptrIxEEEEjNS1_16block_id_wrapperIjLb1EEEEEvT_jjPNSG_10value_typeET0_PNSt15iterator_traitsISJ_E10value_typeEmT1_T2_,"axG",@progbits,_ZN7rocprim17ROCPRIM_400000_NS6detail30init_device_scan_by_key_kernelINS1_19lookback_scan_stateINS0_5tupleIJibEEELb0ELb1EEEN6thrust23THRUST_200600_302600_NS6detail15normal_iteratorINS8_10device_ptrIxEEEEjNS1_16block_id_wrapperIjLb1EEEEEvT_jjPNSG_10value_typeET0_PNSt15iterator_traitsISJ_E10value_typeEmT1_T2_,comdat
.Lfunc_end1031:
	.size	_ZN7rocprim17ROCPRIM_400000_NS6detail30init_device_scan_by_key_kernelINS1_19lookback_scan_stateINS0_5tupleIJibEEELb0ELb1EEEN6thrust23THRUST_200600_302600_NS6detail15normal_iteratorINS8_10device_ptrIxEEEEjNS1_16block_id_wrapperIjLb1EEEEEvT_jjPNSG_10value_typeET0_PNSt15iterator_traitsISJ_E10value_typeEmT1_T2_, .Lfunc_end1031-_ZN7rocprim17ROCPRIM_400000_NS6detail30init_device_scan_by_key_kernelINS1_19lookback_scan_stateINS0_5tupleIJibEEELb0ELb1EEEN6thrust23THRUST_200600_302600_NS6detail15normal_iteratorINS8_10device_ptrIxEEEEjNS1_16block_id_wrapperIjLb1EEEEEvT_jjPNSG_10value_typeET0_PNSt15iterator_traitsISJ_E10value_typeEmT1_T2_
                                        ; -- End function
	.set _ZN7rocprim17ROCPRIM_400000_NS6detail30init_device_scan_by_key_kernelINS1_19lookback_scan_stateINS0_5tupleIJibEEELb0ELb1EEEN6thrust23THRUST_200600_302600_NS6detail15normal_iteratorINS8_10device_ptrIxEEEEjNS1_16block_id_wrapperIjLb1EEEEEvT_jjPNSG_10value_typeET0_PNSt15iterator_traitsISJ_E10value_typeEmT1_T2_.num_vgpr, 9
	.set _ZN7rocprim17ROCPRIM_400000_NS6detail30init_device_scan_by_key_kernelINS1_19lookback_scan_stateINS0_5tupleIJibEEELb0ELb1EEEN6thrust23THRUST_200600_302600_NS6detail15normal_iteratorINS8_10device_ptrIxEEEEjNS1_16block_id_wrapperIjLb1EEEEEvT_jjPNSG_10value_typeET0_PNSt15iterator_traitsISJ_E10value_typeEmT1_T2_.num_agpr, 0
	.set _ZN7rocprim17ROCPRIM_400000_NS6detail30init_device_scan_by_key_kernelINS1_19lookback_scan_stateINS0_5tupleIJibEEELb0ELb1EEEN6thrust23THRUST_200600_302600_NS6detail15normal_iteratorINS8_10device_ptrIxEEEEjNS1_16block_id_wrapperIjLb1EEEEEvT_jjPNSG_10value_typeET0_PNSt15iterator_traitsISJ_E10value_typeEmT1_T2_.numbered_sgpr, 17
	.set _ZN7rocprim17ROCPRIM_400000_NS6detail30init_device_scan_by_key_kernelINS1_19lookback_scan_stateINS0_5tupleIJibEEELb0ELb1EEEN6thrust23THRUST_200600_302600_NS6detail15normal_iteratorINS8_10device_ptrIxEEEEjNS1_16block_id_wrapperIjLb1EEEEEvT_jjPNSG_10value_typeET0_PNSt15iterator_traitsISJ_E10value_typeEmT1_T2_.num_named_barrier, 0
	.set _ZN7rocprim17ROCPRIM_400000_NS6detail30init_device_scan_by_key_kernelINS1_19lookback_scan_stateINS0_5tupleIJibEEELb0ELb1EEEN6thrust23THRUST_200600_302600_NS6detail15normal_iteratorINS8_10device_ptrIxEEEEjNS1_16block_id_wrapperIjLb1EEEEEvT_jjPNSG_10value_typeET0_PNSt15iterator_traitsISJ_E10value_typeEmT1_T2_.private_seg_size, 0
	.set _ZN7rocprim17ROCPRIM_400000_NS6detail30init_device_scan_by_key_kernelINS1_19lookback_scan_stateINS0_5tupleIJibEEELb0ELb1EEEN6thrust23THRUST_200600_302600_NS6detail15normal_iteratorINS8_10device_ptrIxEEEEjNS1_16block_id_wrapperIjLb1EEEEEvT_jjPNSG_10value_typeET0_PNSt15iterator_traitsISJ_E10value_typeEmT1_T2_.uses_vcc, 1
	.set _ZN7rocprim17ROCPRIM_400000_NS6detail30init_device_scan_by_key_kernelINS1_19lookback_scan_stateINS0_5tupleIJibEEELb0ELb1EEEN6thrust23THRUST_200600_302600_NS6detail15normal_iteratorINS8_10device_ptrIxEEEEjNS1_16block_id_wrapperIjLb1EEEEEvT_jjPNSG_10value_typeET0_PNSt15iterator_traitsISJ_E10value_typeEmT1_T2_.uses_flat_scratch, 0
	.set _ZN7rocprim17ROCPRIM_400000_NS6detail30init_device_scan_by_key_kernelINS1_19lookback_scan_stateINS0_5tupleIJibEEELb0ELb1EEEN6thrust23THRUST_200600_302600_NS6detail15normal_iteratorINS8_10device_ptrIxEEEEjNS1_16block_id_wrapperIjLb1EEEEEvT_jjPNSG_10value_typeET0_PNSt15iterator_traitsISJ_E10value_typeEmT1_T2_.has_dyn_sized_stack, 0
	.set _ZN7rocprim17ROCPRIM_400000_NS6detail30init_device_scan_by_key_kernelINS1_19lookback_scan_stateINS0_5tupleIJibEEELb0ELb1EEEN6thrust23THRUST_200600_302600_NS6detail15normal_iteratorINS8_10device_ptrIxEEEEjNS1_16block_id_wrapperIjLb1EEEEEvT_jjPNSG_10value_typeET0_PNSt15iterator_traitsISJ_E10value_typeEmT1_T2_.has_recursion, 0
	.set _ZN7rocprim17ROCPRIM_400000_NS6detail30init_device_scan_by_key_kernelINS1_19lookback_scan_stateINS0_5tupleIJibEEELb0ELb1EEEN6thrust23THRUST_200600_302600_NS6detail15normal_iteratorINS8_10device_ptrIxEEEEjNS1_16block_id_wrapperIjLb1EEEEEvT_jjPNSG_10value_typeET0_PNSt15iterator_traitsISJ_E10value_typeEmT1_T2_.has_indirect_call, 0
	.section	.AMDGPU.csdata,"",@progbits
; Kernel info:
; codeLenInByte = 728
; TotalNumSgprs: 19
; NumVgprs: 9
; ScratchSize: 0
; MemoryBound: 0
; FloatMode: 240
; IeeeMode: 1
; LDSByteSize: 0 bytes/workgroup (compile time only)
; SGPRBlocks: 0
; VGPRBlocks: 1
; NumSGPRsForWavesPerEU: 19
; NumVGPRsForWavesPerEU: 9
; Occupancy: 16
; WaveLimiterHint : 0
; COMPUTE_PGM_RSRC2:SCRATCH_EN: 0
; COMPUTE_PGM_RSRC2:USER_SGPR: 6
; COMPUTE_PGM_RSRC2:TRAP_HANDLER: 0
; COMPUTE_PGM_RSRC2:TGID_X_EN: 1
; COMPUTE_PGM_RSRC2:TGID_Y_EN: 0
; COMPUTE_PGM_RSRC2:TGID_Z_EN: 0
; COMPUTE_PGM_RSRC2:TIDIG_COMP_CNT: 0
	.section	.text._ZN7rocprim17ROCPRIM_400000_NS6detail17trampoline_kernelINS0_14default_configENS1_27scan_by_key_config_selectorIxiEEZZNS1_16scan_by_key_implILNS1_25lookback_scan_determinismE0ELb1ES3_N6thrust23THRUST_200600_302600_NS6detail15normal_iteratorINS9_10device_ptrIxEEEESE_SE_iNS9_4plusIvEENS9_8equal_toIvEEiEE10hipError_tPvRmT2_T3_T4_T5_mT6_T7_P12ihipStream_tbENKUlT_T0_E_clISt17integral_constantIbLb0EESY_IbLb1EEEEDaSU_SV_EUlSU_E_NS1_11comp_targetILNS1_3genE0ELNS1_11target_archE4294967295ELNS1_3gpuE0ELNS1_3repE0EEENS1_30default_config_static_selectorELNS0_4arch9wavefront6targetE0EEEvT1_,"axG",@progbits,_ZN7rocprim17ROCPRIM_400000_NS6detail17trampoline_kernelINS0_14default_configENS1_27scan_by_key_config_selectorIxiEEZZNS1_16scan_by_key_implILNS1_25lookback_scan_determinismE0ELb1ES3_N6thrust23THRUST_200600_302600_NS6detail15normal_iteratorINS9_10device_ptrIxEEEESE_SE_iNS9_4plusIvEENS9_8equal_toIvEEiEE10hipError_tPvRmT2_T3_T4_T5_mT6_T7_P12ihipStream_tbENKUlT_T0_E_clISt17integral_constantIbLb0EESY_IbLb1EEEEDaSU_SV_EUlSU_E_NS1_11comp_targetILNS1_3genE0ELNS1_11target_archE4294967295ELNS1_3gpuE0ELNS1_3repE0EEENS1_30default_config_static_selectorELNS0_4arch9wavefront6targetE0EEEvT1_,comdat
	.protected	_ZN7rocprim17ROCPRIM_400000_NS6detail17trampoline_kernelINS0_14default_configENS1_27scan_by_key_config_selectorIxiEEZZNS1_16scan_by_key_implILNS1_25lookback_scan_determinismE0ELb1ES3_N6thrust23THRUST_200600_302600_NS6detail15normal_iteratorINS9_10device_ptrIxEEEESE_SE_iNS9_4plusIvEENS9_8equal_toIvEEiEE10hipError_tPvRmT2_T3_T4_T5_mT6_T7_P12ihipStream_tbENKUlT_T0_E_clISt17integral_constantIbLb0EESY_IbLb1EEEEDaSU_SV_EUlSU_E_NS1_11comp_targetILNS1_3genE0ELNS1_11target_archE4294967295ELNS1_3gpuE0ELNS1_3repE0EEENS1_30default_config_static_selectorELNS0_4arch9wavefront6targetE0EEEvT1_ ; -- Begin function _ZN7rocprim17ROCPRIM_400000_NS6detail17trampoline_kernelINS0_14default_configENS1_27scan_by_key_config_selectorIxiEEZZNS1_16scan_by_key_implILNS1_25lookback_scan_determinismE0ELb1ES3_N6thrust23THRUST_200600_302600_NS6detail15normal_iteratorINS9_10device_ptrIxEEEESE_SE_iNS9_4plusIvEENS9_8equal_toIvEEiEE10hipError_tPvRmT2_T3_T4_T5_mT6_T7_P12ihipStream_tbENKUlT_T0_E_clISt17integral_constantIbLb0EESY_IbLb1EEEEDaSU_SV_EUlSU_E_NS1_11comp_targetILNS1_3genE0ELNS1_11target_archE4294967295ELNS1_3gpuE0ELNS1_3repE0EEENS1_30default_config_static_selectorELNS0_4arch9wavefront6targetE0EEEvT1_
	.globl	_ZN7rocprim17ROCPRIM_400000_NS6detail17trampoline_kernelINS0_14default_configENS1_27scan_by_key_config_selectorIxiEEZZNS1_16scan_by_key_implILNS1_25lookback_scan_determinismE0ELb1ES3_N6thrust23THRUST_200600_302600_NS6detail15normal_iteratorINS9_10device_ptrIxEEEESE_SE_iNS9_4plusIvEENS9_8equal_toIvEEiEE10hipError_tPvRmT2_T3_T4_T5_mT6_T7_P12ihipStream_tbENKUlT_T0_E_clISt17integral_constantIbLb0EESY_IbLb1EEEEDaSU_SV_EUlSU_E_NS1_11comp_targetILNS1_3genE0ELNS1_11target_archE4294967295ELNS1_3gpuE0ELNS1_3repE0EEENS1_30default_config_static_selectorELNS0_4arch9wavefront6targetE0EEEvT1_
	.p2align	8
	.type	_ZN7rocprim17ROCPRIM_400000_NS6detail17trampoline_kernelINS0_14default_configENS1_27scan_by_key_config_selectorIxiEEZZNS1_16scan_by_key_implILNS1_25lookback_scan_determinismE0ELb1ES3_N6thrust23THRUST_200600_302600_NS6detail15normal_iteratorINS9_10device_ptrIxEEEESE_SE_iNS9_4plusIvEENS9_8equal_toIvEEiEE10hipError_tPvRmT2_T3_T4_T5_mT6_T7_P12ihipStream_tbENKUlT_T0_E_clISt17integral_constantIbLb0EESY_IbLb1EEEEDaSU_SV_EUlSU_E_NS1_11comp_targetILNS1_3genE0ELNS1_11target_archE4294967295ELNS1_3gpuE0ELNS1_3repE0EEENS1_30default_config_static_selectorELNS0_4arch9wavefront6targetE0EEEvT1_,@function
_ZN7rocprim17ROCPRIM_400000_NS6detail17trampoline_kernelINS0_14default_configENS1_27scan_by_key_config_selectorIxiEEZZNS1_16scan_by_key_implILNS1_25lookback_scan_determinismE0ELb1ES3_N6thrust23THRUST_200600_302600_NS6detail15normal_iteratorINS9_10device_ptrIxEEEESE_SE_iNS9_4plusIvEENS9_8equal_toIvEEiEE10hipError_tPvRmT2_T3_T4_T5_mT6_T7_P12ihipStream_tbENKUlT_T0_E_clISt17integral_constantIbLb0EESY_IbLb1EEEEDaSU_SV_EUlSU_E_NS1_11comp_targetILNS1_3genE0ELNS1_11target_archE4294967295ELNS1_3gpuE0ELNS1_3repE0EEENS1_30default_config_static_selectorELNS0_4arch9wavefront6targetE0EEEvT1_: ; @_ZN7rocprim17ROCPRIM_400000_NS6detail17trampoline_kernelINS0_14default_configENS1_27scan_by_key_config_selectorIxiEEZZNS1_16scan_by_key_implILNS1_25lookback_scan_determinismE0ELb1ES3_N6thrust23THRUST_200600_302600_NS6detail15normal_iteratorINS9_10device_ptrIxEEEESE_SE_iNS9_4plusIvEENS9_8equal_toIvEEiEE10hipError_tPvRmT2_T3_T4_T5_mT6_T7_P12ihipStream_tbENKUlT_T0_E_clISt17integral_constantIbLb0EESY_IbLb1EEEEDaSU_SV_EUlSU_E_NS1_11comp_targetILNS1_3genE0ELNS1_11target_archE4294967295ELNS1_3gpuE0ELNS1_3repE0EEENS1_30default_config_static_selectorELNS0_4arch9wavefront6targetE0EEEvT1_
; %bb.0:
	.section	.rodata,"a",@progbits
	.p2align	6, 0x0
	.amdhsa_kernel _ZN7rocprim17ROCPRIM_400000_NS6detail17trampoline_kernelINS0_14default_configENS1_27scan_by_key_config_selectorIxiEEZZNS1_16scan_by_key_implILNS1_25lookback_scan_determinismE0ELb1ES3_N6thrust23THRUST_200600_302600_NS6detail15normal_iteratorINS9_10device_ptrIxEEEESE_SE_iNS9_4plusIvEENS9_8equal_toIvEEiEE10hipError_tPvRmT2_T3_T4_T5_mT6_T7_P12ihipStream_tbENKUlT_T0_E_clISt17integral_constantIbLb0EESY_IbLb1EEEEDaSU_SV_EUlSU_E_NS1_11comp_targetILNS1_3genE0ELNS1_11target_archE4294967295ELNS1_3gpuE0ELNS1_3repE0EEENS1_30default_config_static_selectorELNS0_4arch9wavefront6targetE0EEEvT1_
		.amdhsa_group_segment_fixed_size 0
		.amdhsa_private_segment_fixed_size 0
		.amdhsa_kernarg_size 112
		.amdhsa_user_sgpr_count 6
		.amdhsa_user_sgpr_private_segment_buffer 1
		.amdhsa_user_sgpr_dispatch_ptr 0
		.amdhsa_user_sgpr_queue_ptr 0
		.amdhsa_user_sgpr_kernarg_segment_ptr 1
		.amdhsa_user_sgpr_dispatch_id 0
		.amdhsa_user_sgpr_flat_scratch_init 0
		.amdhsa_user_sgpr_private_segment_size 0
		.amdhsa_wavefront_size32 1
		.amdhsa_uses_dynamic_stack 0
		.amdhsa_system_sgpr_private_segment_wavefront_offset 0
		.amdhsa_system_sgpr_workgroup_id_x 1
		.amdhsa_system_sgpr_workgroup_id_y 0
		.amdhsa_system_sgpr_workgroup_id_z 0
		.amdhsa_system_sgpr_workgroup_info 0
		.amdhsa_system_vgpr_workitem_id 0
		.amdhsa_next_free_vgpr 1
		.amdhsa_next_free_sgpr 1
		.amdhsa_reserve_vcc 0
		.amdhsa_reserve_flat_scratch 0
		.amdhsa_float_round_mode_32 0
		.amdhsa_float_round_mode_16_64 0
		.amdhsa_float_denorm_mode_32 3
		.amdhsa_float_denorm_mode_16_64 3
		.amdhsa_dx10_clamp 1
		.amdhsa_ieee_mode 1
		.amdhsa_fp16_overflow 0
		.amdhsa_workgroup_processor_mode 1
		.amdhsa_memory_ordered 1
		.amdhsa_forward_progress 1
		.amdhsa_shared_vgpr_count 0
		.amdhsa_exception_fp_ieee_invalid_op 0
		.amdhsa_exception_fp_denorm_src 0
		.amdhsa_exception_fp_ieee_div_zero 0
		.amdhsa_exception_fp_ieee_overflow 0
		.amdhsa_exception_fp_ieee_underflow 0
		.amdhsa_exception_fp_ieee_inexact 0
		.amdhsa_exception_int_div_zero 0
	.end_amdhsa_kernel
	.section	.text._ZN7rocprim17ROCPRIM_400000_NS6detail17trampoline_kernelINS0_14default_configENS1_27scan_by_key_config_selectorIxiEEZZNS1_16scan_by_key_implILNS1_25lookback_scan_determinismE0ELb1ES3_N6thrust23THRUST_200600_302600_NS6detail15normal_iteratorINS9_10device_ptrIxEEEESE_SE_iNS9_4plusIvEENS9_8equal_toIvEEiEE10hipError_tPvRmT2_T3_T4_T5_mT6_T7_P12ihipStream_tbENKUlT_T0_E_clISt17integral_constantIbLb0EESY_IbLb1EEEEDaSU_SV_EUlSU_E_NS1_11comp_targetILNS1_3genE0ELNS1_11target_archE4294967295ELNS1_3gpuE0ELNS1_3repE0EEENS1_30default_config_static_selectorELNS0_4arch9wavefront6targetE0EEEvT1_,"axG",@progbits,_ZN7rocprim17ROCPRIM_400000_NS6detail17trampoline_kernelINS0_14default_configENS1_27scan_by_key_config_selectorIxiEEZZNS1_16scan_by_key_implILNS1_25lookback_scan_determinismE0ELb1ES3_N6thrust23THRUST_200600_302600_NS6detail15normal_iteratorINS9_10device_ptrIxEEEESE_SE_iNS9_4plusIvEENS9_8equal_toIvEEiEE10hipError_tPvRmT2_T3_T4_T5_mT6_T7_P12ihipStream_tbENKUlT_T0_E_clISt17integral_constantIbLb0EESY_IbLb1EEEEDaSU_SV_EUlSU_E_NS1_11comp_targetILNS1_3genE0ELNS1_11target_archE4294967295ELNS1_3gpuE0ELNS1_3repE0EEENS1_30default_config_static_selectorELNS0_4arch9wavefront6targetE0EEEvT1_,comdat
.Lfunc_end1032:
	.size	_ZN7rocprim17ROCPRIM_400000_NS6detail17trampoline_kernelINS0_14default_configENS1_27scan_by_key_config_selectorIxiEEZZNS1_16scan_by_key_implILNS1_25lookback_scan_determinismE0ELb1ES3_N6thrust23THRUST_200600_302600_NS6detail15normal_iteratorINS9_10device_ptrIxEEEESE_SE_iNS9_4plusIvEENS9_8equal_toIvEEiEE10hipError_tPvRmT2_T3_T4_T5_mT6_T7_P12ihipStream_tbENKUlT_T0_E_clISt17integral_constantIbLb0EESY_IbLb1EEEEDaSU_SV_EUlSU_E_NS1_11comp_targetILNS1_3genE0ELNS1_11target_archE4294967295ELNS1_3gpuE0ELNS1_3repE0EEENS1_30default_config_static_selectorELNS0_4arch9wavefront6targetE0EEEvT1_, .Lfunc_end1032-_ZN7rocprim17ROCPRIM_400000_NS6detail17trampoline_kernelINS0_14default_configENS1_27scan_by_key_config_selectorIxiEEZZNS1_16scan_by_key_implILNS1_25lookback_scan_determinismE0ELb1ES3_N6thrust23THRUST_200600_302600_NS6detail15normal_iteratorINS9_10device_ptrIxEEEESE_SE_iNS9_4plusIvEENS9_8equal_toIvEEiEE10hipError_tPvRmT2_T3_T4_T5_mT6_T7_P12ihipStream_tbENKUlT_T0_E_clISt17integral_constantIbLb0EESY_IbLb1EEEEDaSU_SV_EUlSU_E_NS1_11comp_targetILNS1_3genE0ELNS1_11target_archE4294967295ELNS1_3gpuE0ELNS1_3repE0EEENS1_30default_config_static_selectorELNS0_4arch9wavefront6targetE0EEEvT1_
                                        ; -- End function
	.set _ZN7rocprim17ROCPRIM_400000_NS6detail17trampoline_kernelINS0_14default_configENS1_27scan_by_key_config_selectorIxiEEZZNS1_16scan_by_key_implILNS1_25lookback_scan_determinismE0ELb1ES3_N6thrust23THRUST_200600_302600_NS6detail15normal_iteratorINS9_10device_ptrIxEEEESE_SE_iNS9_4plusIvEENS9_8equal_toIvEEiEE10hipError_tPvRmT2_T3_T4_T5_mT6_T7_P12ihipStream_tbENKUlT_T0_E_clISt17integral_constantIbLb0EESY_IbLb1EEEEDaSU_SV_EUlSU_E_NS1_11comp_targetILNS1_3genE0ELNS1_11target_archE4294967295ELNS1_3gpuE0ELNS1_3repE0EEENS1_30default_config_static_selectorELNS0_4arch9wavefront6targetE0EEEvT1_.num_vgpr, 0
	.set _ZN7rocprim17ROCPRIM_400000_NS6detail17trampoline_kernelINS0_14default_configENS1_27scan_by_key_config_selectorIxiEEZZNS1_16scan_by_key_implILNS1_25lookback_scan_determinismE0ELb1ES3_N6thrust23THRUST_200600_302600_NS6detail15normal_iteratorINS9_10device_ptrIxEEEESE_SE_iNS9_4plusIvEENS9_8equal_toIvEEiEE10hipError_tPvRmT2_T3_T4_T5_mT6_T7_P12ihipStream_tbENKUlT_T0_E_clISt17integral_constantIbLb0EESY_IbLb1EEEEDaSU_SV_EUlSU_E_NS1_11comp_targetILNS1_3genE0ELNS1_11target_archE4294967295ELNS1_3gpuE0ELNS1_3repE0EEENS1_30default_config_static_selectorELNS0_4arch9wavefront6targetE0EEEvT1_.num_agpr, 0
	.set _ZN7rocprim17ROCPRIM_400000_NS6detail17trampoline_kernelINS0_14default_configENS1_27scan_by_key_config_selectorIxiEEZZNS1_16scan_by_key_implILNS1_25lookback_scan_determinismE0ELb1ES3_N6thrust23THRUST_200600_302600_NS6detail15normal_iteratorINS9_10device_ptrIxEEEESE_SE_iNS9_4plusIvEENS9_8equal_toIvEEiEE10hipError_tPvRmT2_T3_T4_T5_mT6_T7_P12ihipStream_tbENKUlT_T0_E_clISt17integral_constantIbLb0EESY_IbLb1EEEEDaSU_SV_EUlSU_E_NS1_11comp_targetILNS1_3genE0ELNS1_11target_archE4294967295ELNS1_3gpuE0ELNS1_3repE0EEENS1_30default_config_static_selectorELNS0_4arch9wavefront6targetE0EEEvT1_.numbered_sgpr, 0
	.set _ZN7rocprim17ROCPRIM_400000_NS6detail17trampoline_kernelINS0_14default_configENS1_27scan_by_key_config_selectorIxiEEZZNS1_16scan_by_key_implILNS1_25lookback_scan_determinismE0ELb1ES3_N6thrust23THRUST_200600_302600_NS6detail15normal_iteratorINS9_10device_ptrIxEEEESE_SE_iNS9_4plusIvEENS9_8equal_toIvEEiEE10hipError_tPvRmT2_T3_T4_T5_mT6_T7_P12ihipStream_tbENKUlT_T0_E_clISt17integral_constantIbLb0EESY_IbLb1EEEEDaSU_SV_EUlSU_E_NS1_11comp_targetILNS1_3genE0ELNS1_11target_archE4294967295ELNS1_3gpuE0ELNS1_3repE0EEENS1_30default_config_static_selectorELNS0_4arch9wavefront6targetE0EEEvT1_.num_named_barrier, 0
	.set _ZN7rocprim17ROCPRIM_400000_NS6detail17trampoline_kernelINS0_14default_configENS1_27scan_by_key_config_selectorIxiEEZZNS1_16scan_by_key_implILNS1_25lookback_scan_determinismE0ELb1ES3_N6thrust23THRUST_200600_302600_NS6detail15normal_iteratorINS9_10device_ptrIxEEEESE_SE_iNS9_4plusIvEENS9_8equal_toIvEEiEE10hipError_tPvRmT2_T3_T4_T5_mT6_T7_P12ihipStream_tbENKUlT_T0_E_clISt17integral_constantIbLb0EESY_IbLb1EEEEDaSU_SV_EUlSU_E_NS1_11comp_targetILNS1_3genE0ELNS1_11target_archE4294967295ELNS1_3gpuE0ELNS1_3repE0EEENS1_30default_config_static_selectorELNS0_4arch9wavefront6targetE0EEEvT1_.private_seg_size, 0
	.set _ZN7rocprim17ROCPRIM_400000_NS6detail17trampoline_kernelINS0_14default_configENS1_27scan_by_key_config_selectorIxiEEZZNS1_16scan_by_key_implILNS1_25lookback_scan_determinismE0ELb1ES3_N6thrust23THRUST_200600_302600_NS6detail15normal_iteratorINS9_10device_ptrIxEEEESE_SE_iNS9_4plusIvEENS9_8equal_toIvEEiEE10hipError_tPvRmT2_T3_T4_T5_mT6_T7_P12ihipStream_tbENKUlT_T0_E_clISt17integral_constantIbLb0EESY_IbLb1EEEEDaSU_SV_EUlSU_E_NS1_11comp_targetILNS1_3genE0ELNS1_11target_archE4294967295ELNS1_3gpuE0ELNS1_3repE0EEENS1_30default_config_static_selectorELNS0_4arch9wavefront6targetE0EEEvT1_.uses_vcc, 0
	.set _ZN7rocprim17ROCPRIM_400000_NS6detail17trampoline_kernelINS0_14default_configENS1_27scan_by_key_config_selectorIxiEEZZNS1_16scan_by_key_implILNS1_25lookback_scan_determinismE0ELb1ES3_N6thrust23THRUST_200600_302600_NS6detail15normal_iteratorINS9_10device_ptrIxEEEESE_SE_iNS9_4plusIvEENS9_8equal_toIvEEiEE10hipError_tPvRmT2_T3_T4_T5_mT6_T7_P12ihipStream_tbENKUlT_T0_E_clISt17integral_constantIbLb0EESY_IbLb1EEEEDaSU_SV_EUlSU_E_NS1_11comp_targetILNS1_3genE0ELNS1_11target_archE4294967295ELNS1_3gpuE0ELNS1_3repE0EEENS1_30default_config_static_selectorELNS0_4arch9wavefront6targetE0EEEvT1_.uses_flat_scratch, 0
	.set _ZN7rocprim17ROCPRIM_400000_NS6detail17trampoline_kernelINS0_14default_configENS1_27scan_by_key_config_selectorIxiEEZZNS1_16scan_by_key_implILNS1_25lookback_scan_determinismE0ELb1ES3_N6thrust23THRUST_200600_302600_NS6detail15normal_iteratorINS9_10device_ptrIxEEEESE_SE_iNS9_4plusIvEENS9_8equal_toIvEEiEE10hipError_tPvRmT2_T3_T4_T5_mT6_T7_P12ihipStream_tbENKUlT_T0_E_clISt17integral_constantIbLb0EESY_IbLb1EEEEDaSU_SV_EUlSU_E_NS1_11comp_targetILNS1_3genE0ELNS1_11target_archE4294967295ELNS1_3gpuE0ELNS1_3repE0EEENS1_30default_config_static_selectorELNS0_4arch9wavefront6targetE0EEEvT1_.has_dyn_sized_stack, 0
	.set _ZN7rocprim17ROCPRIM_400000_NS6detail17trampoline_kernelINS0_14default_configENS1_27scan_by_key_config_selectorIxiEEZZNS1_16scan_by_key_implILNS1_25lookback_scan_determinismE0ELb1ES3_N6thrust23THRUST_200600_302600_NS6detail15normal_iteratorINS9_10device_ptrIxEEEESE_SE_iNS9_4plusIvEENS9_8equal_toIvEEiEE10hipError_tPvRmT2_T3_T4_T5_mT6_T7_P12ihipStream_tbENKUlT_T0_E_clISt17integral_constantIbLb0EESY_IbLb1EEEEDaSU_SV_EUlSU_E_NS1_11comp_targetILNS1_3genE0ELNS1_11target_archE4294967295ELNS1_3gpuE0ELNS1_3repE0EEENS1_30default_config_static_selectorELNS0_4arch9wavefront6targetE0EEEvT1_.has_recursion, 0
	.set _ZN7rocprim17ROCPRIM_400000_NS6detail17trampoline_kernelINS0_14default_configENS1_27scan_by_key_config_selectorIxiEEZZNS1_16scan_by_key_implILNS1_25lookback_scan_determinismE0ELb1ES3_N6thrust23THRUST_200600_302600_NS6detail15normal_iteratorINS9_10device_ptrIxEEEESE_SE_iNS9_4plusIvEENS9_8equal_toIvEEiEE10hipError_tPvRmT2_T3_T4_T5_mT6_T7_P12ihipStream_tbENKUlT_T0_E_clISt17integral_constantIbLb0EESY_IbLb1EEEEDaSU_SV_EUlSU_E_NS1_11comp_targetILNS1_3genE0ELNS1_11target_archE4294967295ELNS1_3gpuE0ELNS1_3repE0EEENS1_30default_config_static_selectorELNS0_4arch9wavefront6targetE0EEEvT1_.has_indirect_call, 0
	.section	.AMDGPU.csdata,"",@progbits
; Kernel info:
; codeLenInByte = 0
; TotalNumSgprs: 0
; NumVgprs: 0
; ScratchSize: 0
; MemoryBound: 0
; FloatMode: 240
; IeeeMode: 1
; LDSByteSize: 0 bytes/workgroup (compile time only)
; SGPRBlocks: 0
; VGPRBlocks: 0
; NumSGPRsForWavesPerEU: 1
; NumVGPRsForWavesPerEU: 1
; Occupancy: 16
; WaveLimiterHint : 0
; COMPUTE_PGM_RSRC2:SCRATCH_EN: 0
; COMPUTE_PGM_RSRC2:USER_SGPR: 6
; COMPUTE_PGM_RSRC2:TRAP_HANDLER: 0
; COMPUTE_PGM_RSRC2:TGID_X_EN: 1
; COMPUTE_PGM_RSRC2:TGID_Y_EN: 0
; COMPUTE_PGM_RSRC2:TGID_Z_EN: 0
; COMPUTE_PGM_RSRC2:TIDIG_COMP_CNT: 0
	.section	.text._ZN7rocprim17ROCPRIM_400000_NS6detail17trampoline_kernelINS0_14default_configENS1_27scan_by_key_config_selectorIxiEEZZNS1_16scan_by_key_implILNS1_25lookback_scan_determinismE0ELb1ES3_N6thrust23THRUST_200600_302600_NS6detail15normal_iteratorINS9_10device_ptrIxEEEESE_SE_iNS9_4plusIvEENS9_8equal_toIvEEiEE10hipError_tPvRmT2_T3_T4_T5_mT6_T7_P12ihipStream_tbENKUlT_T0_E_clISt17integral_constantIbLb0EESY_IbLb1EEEEDaSU_SV_EUlSU_E_NS1_11comp_targetILNS1_3genE10ELNS1_11target_archE1201ELNS1_3gpuE5ELNS1_3repE0EEENS1_30default_config_static_selectorELNS0_4arch9wavefront6targetE0EEEvT1_,"axG",@progbits,_ZN7rocprim17ROCPRIM_400000_NS6detail17trampoline_kernelINS0_14default_configENS1_27scan_by_key_config_selectorIxiEEZZNS1_16scan_by_key_implILNS1_25lookback_scan_determinismE0ELb1ES3_N6thrust23THRUST_200600_302600_NS6detail15normal_iteratorINS9_10device_ptrIxEEEESE_SE_iNS9_4plusIvEENS9_8equal_toIvEEiEE10hipError_tPvRmT2_T3_T4_T5_mT6_T7_P12ihipStream_tbENKUlT_T0_E_clISt17integral_constantIbLb0EESY_IbLb1EEEEDaSU_SV_EUlSU_E_NS1_11comp_targetILNS1_3genE10ELNS1_11target_archE1201ELNS1_3gpuE5ELNS1_3repE0EEENS1_30default_config_static_selectorELNS0_4arch9wavefront6targetE0EEEvT1_,comdat
	.protected	_ZN7rocprim17ROCPRIM_400000_NS6detail17trampoline_kernelINS0_14default_configENS1_27scan_by_key_config_selectorIxiEEZZNS1_16scan_by_key_implILNS1_25lookback_scan_determinismE0ELb1ES3_N6thrust23THRUST_200600_302600_NS6detail15normal_iteratorINS9_10device_ptrIxEEEESE_SE_iNS9_4plusIvEENS9_8equal_toIvEEiEE10hipError_tPvRmT2_T3_T4_T5_mT6_T7_P12ihipStream_tbENKUlT_T0_E_clISt17integral_constantIbLb0EESY_IbLb1EEEEDaSU_SV_EUlSU_E_NS1_11comp_targetILNS1_3genE10ELNS1_11target_archE1201ELNS1_3gpuE5ELNS1_3repE0EEENS1_30default_config_static_selectorELNS0_4arch9wavefront6targetE0EEEvT1_ ; -- Begin function _ZN7rocprim17ROCPRIM_400000_NS6detail17trampoline_kernelINS0_14default_configENS1_27scan_by_key_config_selectorIxiEEZZNS1_16scan_by_key_implILNS1_25lookback_scan_determinismE0ELb1ES3_N6thrust23THRUST_200600_302600_NS6detail15normal_iteratorINS9_10device_ptrIxEEEESE_SE_iNS9_4plusIvEENS9_8equal_toIvEEiEE10hipError_tPvRmT2_T3_T4_T5_mT6_T7_P12ihipStream_tbENKUlT_T0_E_clISt17integral_constantIbLb0EESY_IbLb1EEEEDaSU_SV_EUlSU_E_NS1_11comp_targetILNS1_3genE10ELNS1_11target_archE1201ELNS1_3gpuE5ELNS1_3repE0EEENS1_30default_config_static_selectorELNS0_4arch9wavefront6targetE0EEEvT1_
	.globl	_ZN7rocprim17ROCPRIM_400000_NS6detail17trampoline_kernelINS0_14default_configENS1_27scan_by_key_config_selectorIxiEEZZNS1_16scan_by_key_implILNS1_25lookback_scan_determinismE0ELb1ES3_N6thrust23THRUST_200600_302600_NS6detail15normal_iteratorINS9_10device_ptrIxEEEESE_SE_iNS9_4plusIvEENS9_8equal_toIvEEiEE10hipError_tPvRmT2_T3_T4_T5_mT6_T7_P12ihipStream_tbENKUlT_T0_E_clISt17integral_constantIbLb0EESY_IbLb1EEEEDaSU_SV_EUlSU_E_NS1_11comp_targetILNS1_3genE10ELNS1_11target_archE1201ELNS1_3gpuE5ELNS1_3repE0EEENS1_30default_config_static_selectorELNS0_4arch9wavefront6targetE0EEEvT1_
	.p2align	8
	.type	_ZN7rocprim17ROCPRIM_400000_NS6detail17trampoline_kernelINS0_14default_configENS1_27scan_by_key_config_selectorIxiEEZZNS1_16scan_by_key_implILNS1_25lookback_scan_determinismE0ELb1ES3_N6thrust23THRUST_200600_302600_NS6detail15normal_iteratorINS9_10device_ptrIxEEEESE_SE_iNS9_4plusIvEENS9_8equal_toIvEEiEE10hipError_tPvRmT2_T3_T4_T5_mT6_T7_P12ihipStream_tbENKUlT_T0_E_clISt17integral_constantIbLb0EESY_IbLb1EEEEDaSU_SV_EUlSU_E_NS1_11comp_targetILNS1_3genE10ELNS1_11target_archE1201ELNS1_3gpuE5ELNS1_3repE0EEENS1_30default_config_static_selectorELNS0_4arch9wavefront6targetE0EEEvT1_,@function
_ZN7rocprim17ROCPRIM_400000_NS6detail17trampoline_kernelINS0_14default_configENS1_27scan_by_key_config_selectorIxiEEZZNS1_16scan_by_key_implILNS1_25lookback_scan_determinismE0ELb1ES3_N6thrust23THRUST_200600_302600_NS6detail15normal_iteratorINS9_10device_ptrIxEEEESE_SE_iNS9_4plusIvEENS9_8equal_toIvEEiEE10hipError_tPvRmT2_T3_T4_T5_mT6_T7_P12ihipStream_tbENKUlT_T0_E_clISt17integral_constantIbLb0EESY_IbLb1EEEEDaSU_SV_EUlSU_E_NS1_11comp_targetILNS1_3genE10ELNS1_11target_archE1201ELNS1_3gpuE5ELNS1_3repE0EEENS1_30default_config_static_selectorELNS0_4arch9wavefront6targetE0EEEvT1_: ; @_ZN7rocprim17ROCPRIM_400000_NS6detail17trampoline_kernelINS0_14default_configENS1_27scan_by_key_config_selectorIxiEEZZNS1_16scan_by_key_implILNS1_25lookback_scan_determinismE0ELb1ES3_N6thrust23THRUST_200600_302600_NS6detail15normal_iteratorINS9_10device_ptrIxEEEESE_SE_iNS9_4plusIvEENS9_8equal_toIvEEiEE10hipError_tPvRmT2_T3_T4_T5_mT6_T7_P12ihipStream_tbENKUlT_T0_E_clISt17integral_constantIbLb0EESY_IbLb1EEEEDaSU_SV_EUlSU_E_NS1_11comp_targetILNS1_3genE10ELNS1_11target_archE1201ELNS1_3gpuE5ELNS1_3repE0EEENS1_30default_config_static_selectorELNS0_4arch9wavefront6targetE0EEEvT1_
; %bb.0:
	.section	.rodata,"a",@progbits
	.p2align	6, 0x0
	.amdhsa_kernel _ZN7rocprim17ROCPRIM_400000_NS6detail17trampoline_kernelINS0_14default_configENS1_27scan_by_key_config_selectorIxiEEZZNS1_16scan_by_key_implILNS1_25lookback_scan_determinismE0ELb1ES3_N6thrust23THRUST_200600_302600_NS6detail15normal_iteratorINS9_10device_ptrIxEEEESE_SE_iNS9_4plusIvEENS9_8equal_toIvEEiEE10hipError_tPvRmT2_T3_T4_T5_mT6_T7_P12ihipStream_tbENKUlT_T0_E_clISt17integral_constantIbLb0EESY_IbLb1EEEEDaSU_SV_EUlSU_E_NS1_11comp_targetILNS1_3genE10ELNS1_11target_archE1201ELNS1_3gpuE5ELNS1_3repE0EEENS1_30default_config_static_selectorELNS0_4arch9wavefront6targetE0EEEvT1_
		.amdhsa_group_segment_fixed_size 0
		.amdhsa_private_segment_fixed_size 0
		.amdhsa_kernarg_size 112
		.amdhsa_user_sgpr_count 6
		.amdhsa_user_sgpr_private_segment_buffer 1
		.amdhsa_user_sgpr_dispatch_ptr 0
		.amdhsa_user_sgpr_queue_ptr 0
		.amdhsa_user_sgpr_kernarg_segment_ptr 1
		.amdhsa_user_sgpr_dispatch_id 0
		.amdhsa_user_sgpr_flat_scratch_init 0
		.amdhsa_user_sgpr_private_segment_size 0
		.amdhsa_wavefront_size32 1
		.amdhsa_uses_dynamic_stack 0
		.amdhsa_system_sgpr_private_segment_wavefront_offset 0
		.amdhsa_system_sgpr_workgroup_id_x 1
		.amdhsa_system_sgpr_workgroup_id_y 0
		.amdhsa_system_sgpr_workgroup_id_z 0
		.amdhsa_system_sgpr_workgroup_info 0
		.amdhsa_system_vgpr_workitem_id 0
		.amdhsa_next_free_vgpr 1
		.amdhsa_next_free_sgpr 1
		.amdhsa_reserve_vcc 0
		.amdhsa_reserve_flat_scratch 0
		.amdhsa_float_round_mode_32 0
		.amdhsa_float_round_mode_16_64 0
		.amdhsa_float_denorm_mode_32 3
		.amdhsa_float_denorm_mode_16_64 3
		.amdhsa_dx10_clamp 1
		.amdhsa_ieee_mode 1
		.amdhsa_fp16_overflow 0
		.amdhsa_workgroup_processor_mode 1
		.amdhsa_memory_ordered 1
		.amdhsa_forward_progress 1
		.amdhsa_shared_vgpr_count 0
		.amdhsa_exception_fp_ieee_invalid_op 0
		.amdhsa_exception_fp_denorm_src 0
		.amdhsa_exception_fp_ieee_div_zero 0
		.amdhsa_exception_fp_ieee_overflow 0
		.amdhsa_exception_fp_ieee_underflow 0
		.amdhsa_exception_fp_ieee_inexact 0
		.amdhsa_exception_int_div_zero 0
	.end_amdhsa_kernel
	.section	.text._ZN7rocprim17ROCPRIM_400000_NS6detail17trampoline_kernelINS0_14default_configENS1_27scan_by_key_config_selectorIxiEEZZNS1_16scan_by_key_implILNS1_25lookback_scan_determinismE0ELb1ES3_N6thrust23THRUST_200600_302600_NS6detail15normal_iteratorINS9_10device_ptrIxEEEESE_SE_iNS9_4plusIvEENS9_8equal_toIvEEiEE10hipError_tPvRmT2_T3_T4_T5_mT6_T7_P12ihipStream_tbENKUlT_T0_E_clISt17integral_constantIbLb0EESY_IbLb1EEEEDaSU_SV_EUlSU_E_NS1_11comp_targetILNS1_3genE10ELNS1_11target_archE1201ELNS1_3gpuE5ELNS1_3repE0EEENS1_30default_config_static_selectorELNS0_4arch9wavefront6targetE0EEEvT1_,"axG",@progbits,_ZN7rocprim17ROCPRIM_400000_NS6detail17trampoline_kernelINS0_14default_configENS1_27scan_by_key_config_selectorIxiEEZZNS1_16scan_by_key_implILNS1_25lookback_scan_determinismE0ELb1ES3_N6thrust23THRUST_200600_302600_NS6detail15normal_iteratorINS9_10device_ptrIxEEEESE_SE_iNS9_4plusIvEENS9_8equal_toIvEEiEE10hipError_tPvRmT2_T3_T4_T5_mT6_T7_P12ihipStream_tbENKUlT_T0_E_clISt17integral_constantIbLb0EESY_IbLb1EEEEDaSU_SV_EUlSU_E_NS1_11comp_targetILNS1_3genE10ELNS1_11target_archE1201ELNS1_3gpuE5ELNS1_3repE0EEENS1_30default_config_static_selectorELNS0_4arch9wavefront6targetE0EEEvT1_,comdat
.Lfunc_end1033:
	.size	_ZN7rocprim17ROCPRIM_400000_NS6detail17trampoline_kernelINS0_14default_configENS1_27scan_by_key_config_selectorIxiEEZZNS1_16scan_by_key_implILNS1_25lookback_scan_determinismE0ELb1ES3_N6thrust23THRUST_200600_302600_NS6detail15normal_iteratorINS9_10device_ptrIxEEEESE_SE_iNS9_4plusIvEENS9_8equal_toIvEEiEE10hipError_tPvRmT2_T3_T4_T5_mT6_T7_P12ihipStream_tbENKUlT_T0_E_clISt17integral_constantIbLb0EESY_IbLb1EEEEDaSU_SV_EUlSU_E_NS1_11comp_targetILNS1_3genE10ELNS1_11target_archE1201ELNS1_3gpuE5ELNS1_3repE0EEENS1_30default_config_static_selectorELNS0_4arch9wavefront6targetE0EEEvT1_, .Lfunc_end1033-_ZN7rocprim17ROCPRIM_400000_NS6detail17trampoline_kernelINS0_14default_configENS1_27scan_by_key_config_selectorIxiEEZZNS1_16scan_by_key_implILNS1_25lookback_scan_determinismE0ELb1ES3_N6thrust23THRUST_200600_302600_NS6detail15normal_iteratorINS9_10device_ptrIxEEEESE_SE_iNS9_4plusIvEENS9_8equal_toIvEEiEE10hipError_tPvRmT2_T3_T4_T5_mT6_T7_P12ihipStream_tbENKUlT_T0_E_clISt17integral_constantIbLb0EESY_IbLb1EEEEDaSU_SV_EUlSU_E_NS1_11comp_targetILNS1_3genE10ELNS1_11target_archE1201ELNS1_3gpuE5ELNS1_3repE0EEENS1_30default_config_static_selectorELNS0_4arch9wavefront6targetE0EEEvT1_
                                        ; -- End function
	.set _ZN7rocprim17ROCPRIM_400000_NS6detail17trampoline_kernelINS0_14default_configENS1_27scan_by_key_config_selectorIxiEEZZNS1_16scan_by_key_implILNS1_25lookback_scan_determinismE0ELb1ES3_N6thrust23THRUST_200600_302600_NS6detail15normal_iteratorINS9_10device_ptrIxEEEESE_SE_iNS9_4plusIvEENS9_8equal_toIvEEiEE10hipError_tPvRmT2_T3_T4_T5_mT6_T7_P12ihipStream_tbENKUlT_T0_E_clISt17integral_constantIbLb0EESY_IbLb1EEEEDaSU_SV_EUlSU_E_NS1_11comp_targetILNS1_3genE10ELNS1_11target_archE1201ELNS1_3gpuE5ELNS1_3repE0EEENS1_30default_config_static_selectorELNS0_4arch9wavefront6targetE0EEEvT1_.num_vgpr, 0
	.set _ZN7rocprim17ROCPRIM_400000_NS6detail17trampoline_kernelINS0_14default_configENS1_27scan_by_key_config_selectorIxiEEZZNS1_16scan_by_key_implILNS1_25lookback_scan_determinismE0ELb1ES3_N6thrust23THRUST_200600_302600_NS6detail15normal_iteratorINS9_10device_ptrIxEEEESE_SE_iNS9_4plusIvEENS9_8equal_toIvEEiEE10hipError_tPvRmT2_T3_T4_T5_mT6_T7_P12ihipStream_tbENKUlT_T0_E_clISt17integral_constantIbLb0EESY_IbLb1EEEEDaSU_SV_EUlSU_E_NS1_11comp_targetILNS1_3genE10ELNS1_11target_archE1201ELNS1_3gpuE5ELNS1_3repE0EEENS1_30default_config_static_selectorELNS0_4arch9wavefront6targetE0EEEvT1_.num_agpr, 0
	.set _ZN7rocprim17ROCPRIM_400000_NS6detail17trampoline_kernelINS0_14default_configENS1_27scan_by_key_config_selectorIxiEEZZNS1_16scan_by_key_implILNS1_25lookback_scan_determinismE0ELb1ES3_N6thrust23THRUST_200600_302600_NS6detail15normal_iteratorINS9_10device_ptrIxEEEESE_SE_iNS9_4plusIvEENS9_8equal_toIvEEiEE10hipError_tPvRmT2_T3_T4_T5_mT6_T7_P12ihipStream_tbENKUlT_T0_E_clISt17integral_constantIbLb0EESY_IbLb1EEEEDaSU_SV_EUlSU_E_NS1_11comp_targetILNS1_3genE10ELNS1_11target_archE1201ELNS1_3gpuE5ELNS1_3repE0EEENS1_30default_config_static_selectorELNS0_4arch9wavefront6targetE0EEEvT1_.numbered_sgpr, 0
	.set _ZN7rocprim17ROCPRIM_400000_NS6detail17trampoline_kernelINS0_14default_configENS1_27scan_by_key_config_selectorIxiEEZZNS1_16scan_by_key_implILNS1_25lookback_scan_determinismE0ELb1ES3_N6thrust23THRUST_200600_302600_NS6detail15normal_iteratorINS9_10device_ptrIxEEEESE_SE_iNS9_4plusIvEENS9_8equal_toIvEEiEE10hipError_tPvRmT2_T3_T4_T5_mT6_T7_P12ihipStream_tbENKUlT_T0_E_clISt17integral_constantIbLb0EESY_IbLb1EEEEDaSU_SV_EUlSU_E_NS1_11comp_targetILNS1_3genE10ELNS1_11target_archE1201ELNS1_3gpuE5ELNS1_3repE0EEENS1_30default_config_static_selectorELNS0_4arch9wavefront6targetE0EEEvT1_.num_named_barrier, 0
	.set _ZN7rocprim17ROCPRIM_400000_NS6detail17trampoline_kernelINS0_14default_configENS1_27scan_by_key_config_selectorIxiEEZZNS1_16scan_by_key_implILNS1_25lookback_scan_determinismE0ELb1ES3_N6thrust23THRUST_200600_302600_NS6detail15normal_iteratorINS9_10device_ptrIxEEEESE_SE_iNS9_4plusIvEENS9_8equal_toIvEEiEE10hipError_tPvRmT2_T3_T4_T5_mT6_T7_P12ihipStream_tbENKUlT_T0_E_clISt17integral_constantIbLb0EESY_IbLb1EEEEDaSU_SV_EUlSU_E_NS1_11comp_targetILNS1_3genE10ELNS1_11target_archE1201ELNS1_3gpuE5ELNS1_3repE0EEENS1_30default_config_static_selectorELNS0_4arch9wavefront6targetE0EEEvT1_.private_seg_size, 0
	.set _ZN7rocprim17ROCPRIM_400000_NS6detail17trampoline_kernelINS0_14default_configENS1_27scan_by_key_config_selectorIxiEEZZNS1_16scan_by_key_implILNS1_25lookback_scan_determinismE0ELb1ES3_N6thrust23THRUST_200600_302600_NS6detail15normal_iteratorINS9_10device_ptrIxEEEESE_SE_iNS9_4plusIvEENS9_8equal_toIvEEiEE10hipError_tPvRmT2_T3_T4_T5_mT6_T7_P12ihipStream_tbENKUlT_T0_E_clISt17integral_constantIbLb0EESY_IbLb1EEEEDaSU_SV_EUlSU_E_NS1_11comp_targetILNS1_3genE10ELNS1_11target_archE1201ELNS1_3gpuE5ELNS1_3repE0EEENS1_30default_config_static_selectorELNS0_4arch9wavefront6targetE0EEEvT1_.uses_vcc, 0
	.set _ZN7rocprim17ROCPRIM_400000_NS6detail17trampoline_kernelINS0_14default_configENS1_27scan_by_key_config_selectorIxiEEZZNS1_16scan_by_key_implILNS1_25lookback_scan_determinismE0ELb1ES3_N6thrust23THRUST_200600_302600_NS6detail15normal_iteratorINS9_10device_ptrIxEEEESE_SE_iNS9_4plusIvEENS9_8equal_toIvEEiEE10hipError_tPvRmT2_T3_T4_T5_mT6_T7_P12ihipStream_tbENKUlT_T0_E_clISt17integral_constantIbLb0EESY_IbLb1EEEEDaSU_SV_EUlSU_E_NS1_11comp_targetILNS1_3genE10ELNS1_11target_archE1201ELNS1_3gpuE5ELNS1_3repE0EEENS1_30default_config_static_selectorELNS0_4arch9wavefront6targetE0EEEvT1_.uses_flat_scratch, 0
	.set _ZN7rocprim17ROCPRIM_400000_NS6detail17trampoline_kernelINS0_14default_configENS1_27scan_by_key_config_selectorIxiEEZZNS1_16scan_by_key_implILNS1_25lookback_scan_determinismE0ELb1ES3_N6thrust23THRUST_200600_302600_NS6detail15normal_iteratorINS9_10device_ptrIxEEEESE_SE_iNS9_4plusIvEENS9_8equal_toIvEEiEE10hipError_tPvRmT2_T3_T4_T5_mT6_T7_P12ihipStream_tbENKUlT_T0_E_clISt17integral_constantIbLb0EESY_IbLb1EEEEDaSU_SV_EUlSU_E_NS1_11comp_targetILNS1_3genE10ELNS1_11target_archE1201ELNS1_3gpuE5ELNS1_3repE0EEENS1_30default_config_static_selectorELNS0_4arch9wavefront6targetE0EEEvT1_.has_dyn_sized_stack, 0
	.set _ZN7rocprim17ROCPRIM_400000_NS6detail17trampoline_kernelINS0_14default_configENS1_27scan_by_key_config_selectorIxiEEZZNS1_16scan_by_key_implILNS1_25lookback_scan_determinismE0ELb1ES3_N6thrust23THRUST_200600_302600_NS6detail15normal_iteratorINS9_10device_ptrIxEEEESE_SE_iNS9_4plusIvEENS9_8equal_toIvEEiEE10hipError_tPvRmT2_T3_T4_T5_mT6_T7_P12ihipStream_tbENKUlT_T0_E_clISt17integral_constantIbLb0EESY_IbLb1EEEEDaSU_SV_EUlSU_E_NS1_11comp_targetILNS1_3genE10ELNS1_11target_archE1201ELNS1_3gpuE5ELNS1_3repE0EEENS1_30default_config_static_selectorELNS0_4arch9wavefront6targetE0EEEvT1_.has_recursion, 0
	.set _ZN7rocprim17ROCPRIM_400000_NS6detail17trampoline_kernelINS0_14default_configENS1_27scan_by_key_config_selectorIxiEEZZNS1_16scan_by_key_implILNS1_25lookback_scan_determinismE0ELb1ES3_N6thrust23THRUST_200600_302600_NS6detail15normal_iteratorINS9_10device_ptrIxEEEESE_SE_iNS9_4plusIvEENS9_8equal_toIvEEiEE10hipError_tPvRmT2_T3_T4_T5_mT6_T7_P12ihipStream_tbENKUlT_T0_E_clISt17integral_constantIbLb0EESY_IbLb1EEEEDaSU_SV_EUlSU_E_NS1_11comp_targetILNS1_3genE10ELNS1_11target_archE1201ELNS1_3gpuE5ELNS1_3repE0EEENS1_30default_config_static_selectorELNS0_4arch9wavefront6targetE0EEEvT1_.has_indirect_call, 0
	.section	.AMDGPU.csdata,"",@progbits
; Kernel info:
; codeLenInByte = 0
; TotalNumSgprs: 0
; NumVgprs: 0
; ScratchSize: 0
; MemoryBound: 0
; FloatMode: 240
; IeeeMode: 1
; LDSByteSize: 0 bytes/workgroup (compile time only)
; SGPRBlocks: 0
; VGPRBlocks: 0
; NumSGPRsForWavesPerEU: 1
; NumVGPRsForWavesPerEU: 1
; Occupancy: 16
; WaveLimiterHint : 0
; COMPUTE_PGM_RSRC2:SCRATCH_EN: 0
; COMPUTE_PGM_RSRC2:USER_SGPR: 6
; COMPUTE_PGM_RSRC2:TRAP_HANDLER: 0
; COMPUTE_PGM_RSRC2:TGID_X_EN: 1
; COMPUTE_PGM_RSRC2:TGID_Y_EN: 0
; COMPUTE_PGM_RSRC2:TGID_Z_EN: 0
; COMPUTE_PGM_RSRC2:TIDIG_COMP_CNT: 0
	.section	.text._ZN7rocprim17ROCPRIM_400000_NS6detail17trampoline_kernelINS0_14default_configENS1_27scan_by_key_config_selectorIxiEEZZNS1_16scan_by_key_implILNS1_25lookback_scan_determinismE0ELb1ES3_N6thrust23THRUST_200600_302600_NS6detail15normal_iteratorINS9_10device_ptrIxEEEESE_SE_iNS9_4plusIvEENS9_8equal_toIvEEiEE10hipError_tPvRmT2_T3_T4_T5_mT6_T7_P12ihipStream_tbENKUlT_T0_E_clISt17integral_constantIbLb0EESY_IbLb1EEEEDaSU_SV_EUlSU_E_NS1_11comp_targetILNS1_3genE5ELNS1_11target_archE942ELNS1_3gpuE9ELNS1_3repE0EEENS1_30default_config_static_selectorELNS0_4arch9wavefront6targetE0EEEvT1_,"axG",@progbits,_ZN7rocprim17ROCPRIM_400000_NS6detail17trampoline_kernelINS0_14default_configENS1_27scan_by_key_config_selectorIxiEEZZNS1_16scan_by_key_implILNS1_25lookback_scan_determinismE0ELb1ES3_N6thrust23THRUST_200600_302600_NS6detail15normal_iteratorINS9_10device_ptrIxEEEESE_SE_iNS9_4plusIvEENS9_8equal_toIvEEiEE10hipError_tPvRmT2_T3_T4_T5_mT6_T7_P12ihipStream_tbENKUlT_T0_E_clISt17integral_constantIbLb0EESY_IbLb1EEEEDaSU_SV_EUlSU_E_NS1_11comp_targetILNS1_3genE5ELNS1_11target_archE942ELNS1_3gpuE9ELNS1_3repE0EEENS1_30default_config_static_selectorELNS0_4arch9wavefront6targetE0EEEvT1_,comdat
	.protected	_ZN7rocprim17ROCPRIM_400000_NS6detail17trampoline_kernelINS0_14default_configENS1_27scan_by_key_config_selectorIxiEEZZNS1_16scan_by_key_implILNS1_25lookback_scan_determinismE0ELb1ES3_N6thrust23THRUST_200600_302600_NS6detail15normal_iteratorINS9_10device_ptrIxEEEESE_SE_iNS9_4plusIvEENS9_8equal_toIvEEiEE10hipError_tPvRmT2_T3_T4_T5_mT6_T7_P12ihipStream_tbENKUlT_T0_E_clISt17integral_constantIbLb0EESY_IbLb1EEEEDaSU_SV_EUlSU_E_NS1_11comp_targetILNS1_3genE5ELNS1_11target_archE942ELNS1_3gpuE9ELNS1_3repE0EEENS1_30default_config_static_selectorELNS0_4arch9wavefront6targetE0EEEvT1_ ; -- Begin function _ZN7rocprim17ROCPRIM_400000_NS6detail17trampoline_kernelINS0_14default_configENS1_27scan_by_key_config_selectorIxiEEZZNS1_16scan_by_key_implILNS1_25lookback_scan_determinismE0ELb1ES3_N6thrust23THRUST_200600_302600_NS6detail15normal_iteratorINS9_10device_ptrIxEEEESE_SE_iNS9_4plusIvEENS9_8equal_toIvEEiEE10hipError_tPvRmT2_T3_T4_T5_mT6_T7_P12ihipStream_tbENKUlT_T0_E_clISt17integral_constantIbLb0EESY_IbLb1EEEEDaSU_SV_EUlSU_E_NS1_11comp_targetILNS1_3genE5ELNS1_11target_archE942ELNS1_3gpuE9ELNS1_3repE0EEENS1_30default_config_static_selectorELNS0_4arch9wavefront6targetE0EEEvT1_
	.globl	_ZN7rocprim17ROCPRIM_400000_NS6detail17trampoline_kernelINS0_14default_configENS1_27scan_by_key_config_selectorIxiEEZZNS1_16scan_by_key_implILNS1_25lookback_scan_determinismE0ELb1ES3_N6thrust23THRUST_200600_302600_NS6detail15normal_iteratorINS9_10device_ptrIxEEEESE_SE_iNS9_4plusIvEENS9_8equal_toIvEEiEE10hipError_tPvRmT2_T3_T4_T5_mT6_T7_P12ihipStream_tbENKUlT_T0_E_clISt17integral_constantIbLb0EESY_IbLb1EEEEDaSU_SV_EUlSU_E_NS1_11comp_targetILNS1_3genE5ELNS1_11target_archE942ELNS1_3gpuE9ELNS1_3repE0EEENS1_30default_config_static_selectorELNS0_4arch9wavefront6targetE0EEEvT1_
	.p2align	8
	.type	_ZN7rocprim17ROCPRIM_400000_NS6detail17trampoline_kernelINS0_14default_configENS1_27scan_by_key_config_selectorIxiEEZZNS1_16scan_by_key_implILNS1_25lookback_scan_determinismE0ELb1ES3_N6thrust23THRUST_200600_302600_NS6detail15normal_iteratorINS9_10device_ptrIxEEEESE_SE_iNS9_4plusIvEENS9_8equal_toIvEEiEE10hipError_tPvRmT2_T3_T4_T5_mT6_T7_P12ihipStream_tbENKUlT_T0_E_clISt17integral_constantIbLb0EESY_IbLb1EEEEDaSU_SV_EUlSU_E_NS1_11comp_targetILNS1_3genE5ELNS1_11target_archE942ELNS1_3gpuE9ELNS1_3repE0EEENS1_30default_config_static_selectorELNS0_4arch9wavefront6targetE0EEEvT1_,@function
_ZN7rocprim17ROCPRIM_400000_NS6detail17trampoline_kernelINS0_14default_configENS1_27scan_by_key_config_selectorIxiEEZZNS1_16scan_by_key_implILNS1_25lookback_scan_determinismE0ELb1ES3_N6thrust23THRUST_200600_302600_NS6detail15normal_iteratorINS9_10device_ptrIxEEEESE_SE_iNS9_4plusIvEENS9_8equal_toIvEEiEE10hipError_tPvRmT2_T3_T4_T5_mT6_T7_P12ihipStream_tbENKUlT_T0_E_clISt17integral_constantIbLb0EESY_IbLb1EEEEDaSU_SV_EUlSU_E_NS1_11comp_targetILNS1_3genE5ELNS1_11target_archE942ELNS1_3gpuE9ELNS1_3repE0EEENS1_30default_config_static_selectorELNS0_4arch9wavefront6targetE0EEEvT1_: ; @_ZN7rocprim17ROCPRIM_400000_NS6detail17trampoline_kernelINS0_14default_configENS1_27scan_by_key_config_selectorIxiEEZZNS1_16scan_by_key_implILNS1_25lookback_scan_determinismE0ELb1ES3_N6thrust23THRUST_200600_302600_NS6detail15normal_iteratorINS9_10device_ptrIxEEEESE_SE_iNS9_4plusIvEENS9_8equal_toIvEEiEE10hipError_tPvRmT2_T3_T4_T5_mT6_T7_P12ihipStream_tbENKUlT_T0_E_clISt17integral_constantIbLb0EESY_IbLb1EEEEDaSU_SV_EUlSU_E_NS1_11comp_targetILNS1_3genE5ELNS1_11target_archE942ELNS1_3gpuE9ELNS1_3repE0EEENS1_30default_config_static_selectorELNS0_4arch9wavefront6targetE0EEEvT1_
; %bb.0:
	.section	.rodata,"a",@progbits
	.p2align	6, 0x0
	.amdhsa_kernel _ZN7rocprim17ROCPRIM_400000_NS6detail17trampoline_kernelINS0_14default_configENS1_27scan_by_key_config_selectorIxiEEZZNS1_16scan_by_key_implILNS1_25lookback_scan_determinismE0ELb1ES3_N6thrust23THRUST_200600_302600_NS6detail15normal_iteratorINS9_10device_ptrIxEEEESE_SE_iNS9_4plusIvEENS9_8equal_toIvEEiEE10hipError_tPvRmT2_T3_T4_T5_mT6_T7_P12ihipStream_tbENKUlT_T0_E_clISt17integral_constantIbLb0EESY_IbLb1EEEEDaSU_SV_EUlSU_E_NS1_11comp_targetILNS1_3genE5ELNS1_11target_archE942ELNS1_3gpuE9ELNS1_3repE0EEENS1_30default_config_static_selectorELNS0_4arch9wavefront6targetE0EEEvT1_
		.amdhsa_group_segment_fixed_size 0
		.amdhsa_private_segment_fixed_size 0
		.amdhsa_kernarg_size 112
		.amdhsa_user_sgpr_count 6
		.amdhsa_user_sgpr_private_segment_buffer 1
		.amdhsa_user_sgpr_dispatch_ptr 0
		.amdhsa_user_sgpr_queue_ptr 0
		.amdhsa_user_sgpr_kernarg_segment_ptr 1
		.amdhsa_user_sgpr_dispatch_id 0
		.amdhsa_user_sgpr_flat_scratch_init 0
		.amdhsa_user_sgpr_private_segment_size 0
		.amdhsa_wavefront_size32 1
		.amdhsa_uses_dynamic_stack 0
		.amdhsa_system_sgpr_private_segment_wavefront_offset 0
		.amdhsa_system_sgpr_workgroup_id_x 1
		.amdhsa_system_sgpr_workgroup_id_y 0
		.amdhsa_system_sgpr_workgroup_id_z 0
		.amdhsa_system_sgpr_workgroup_info 0
		.amdhsa_system_vgpr_workitem_id 0
		.amdhsa_next_free_vgpr 1
		.amdhsa_next_free_sgpr 1
		.amdhsa_reserve_vcc 0
		.amdhsa_reserve_flat_scratch 0
		.amdhsa_float_round_mode_32 0
		.amdhsa_float_round_mode_16_64 0
		.amdhsa_float_denorm_mode_32 3
		.amdhsa_float_denorm_mode_16_64 3
		.amdhsa_dx10_clamp 1
		.amdhsa_ieee_mode 1
		.amdhsa_fp16_overflow 0
		.amdhsa_workgroup_processor_mode 1
		.amdhsa_memory_ordered 1
		.amdhsa_forward_progress 1
		.amdhsa_shared_vgpr_count 0
		.amdhsa_exception_fp_ieee_invalid_op 0
		.amdhsa_exception_fp_denorm_src 0
		.amdhsa_exception_fp_ieee_div_zero 0
		.amdhsa_exception_fp_ieee_overflow 0
		.amdhsa_exception_fp_ieee_underflow 0
		.amdhsa_exception_fp_ieee_inexact 0
		.amdhsa_exception_int_div_zero 0
	.end_amdhsa_kernel
	.section	.text._ZN7rocprim17ROCPRIM_400000_NS6detail17trampoline_kernelINS0_14default_configENS1_27scan_by_key_config_selectorIxiEEZZNS1_16scan_by_key_implILNS1_25lookback_scan_determinismE0ELb1ES3_N6thrust23THRUST_200600_302600_NS6detail15normal_iteratorINS9_10device_ptrIxEEEESE_SE_iNS9_4plusIvEENS9_8equal_toIvEEiEE10hipError_tPvRmT2_T3_T4_T5_mT6_T7_P12ihipStream_tbENKUlT_T0_E_clISt17integral_constantIbLb0EESY_IbLb1EEEEDaSU_SV_EUlSU_E_NS1_11comp_targetILNS1_3genE5ELNS1_11target_archE942ELNS1_3gpuE9ELNS1_3repE0EEENS1_30default_config_static_selectorELNS0_4arch9wavefront6targetE0EEEvT1_,"axG",@progbits,_ZN7rocprim17ROCPRIM_400000_NS6detail17trampoline_kernelINS0_14default_configENS1_27scan_by_key_config_selectorIxiEEZZNS1_16scan_by_key_implILNS1_25lookback_scan_determinismE0ELb1ES3_N6thrust23THRUST_200600_302600_NS6detail15normal_iteratorINS9_10device_ptrIxEEEESE_SE_iNS9_4plusIvEENS9_8equal_toIvEEiEE10hipError_tPvRmT2_T3_T4_T5_mT6_T7_P12ihipStream_tbENKUlT_T0_E_clISt17integral_constantIbLb0EESY_IbLb1EEEEDaSU_SV_EUlSU_E_NS1_11comp_targetILNS1_3genE5ELNS1_11target_archE942ELNS1_3gpuE9ELNS1_3repE0EEENS1_30default_config_static_selectorELNS0_4arch9wavefront6targetE0EEEvT1_,comdat
.Lfunc_end1034:
	.size	_ZN7rocprim17ROCPRIM_400000_NS6detail17trampoline_kernelINS0_14default_configENS1_27scan_by_key_config_selectorIxiEEZZNS1_16scan_by_key_implILNS1_25lookback_scan_determinismE0ELb1ES3_N6thrust23THRUST_200600_302600_NS6detail15normal_iteratorINS9_10device_ptrIxEEEESE_SE_iNS9_4plusIvEENS9_8equal_toIvEEiEE10hipError_tPvRmT2_T3_T4_T5_mT6_T7_P12ihipStream_tbENKUlT_T0_E_clISt17integral_constantIbLb0EESY_IbLb1EEEEDaSU_SV_EUlSU_E_NS1_11comp_targetILNS1_3genE5ELNS1_11target_archE942ELNS1_3gpuE9ELNS1_3repE0EEENS1_30default_config_static_selectorELNS0_4arch9wavefront6targetE0EEEvT1_, .Lfunc_end1034-_ZN7rocprim17ROCPRIM_400000_NS6detail17trampoline_kernelINS0_14default_configENS1_27scan_by_key_config_selectorIxiEEZZNS1_16scan_by_key_implILNS1_25lookback_scan_determinismE0ELb1ES3_N6thrust23THRUST_200600_302600_NS6detail15normal_iteratorINS9_10device_ptrIxEEEESE_SE_iNS9_4plusIvEENS9_8equal_toIvEEiEE10hipError_tPvRmT2_T3_T4_T5_mT6_T7_P12ihipStream_tbENKUlT_T0_E_clISt17integral_constantIbLb0EESY_IbLb1EEEEDaSU_SV_EUlSU_E_NS1_11comp_targetILNS1_3genE5ELNS1_11target_archE942ELNS1_3gpuE9ELNS1_3repE0EEENS1_30default_config_static_selectorELNS0_4arch9wavefront6targetE0EEEvT1_
                                        ; -- End function
	.set _ZN7rocprim17ROCPRIM_400000_NS6detail17trampoline_kernelINS0_14default_configENS1_27scan_by_key_config_selectorIxiEEZZNS1_16scan_by_key_implILNS1_25lookback_scan_determinismE0ELb1ES3_N6thrust23THRUST_200600_302600_NS6detail15normal_iteratorINS9_10device_ptrIxEEEESE_SE_iNS9_4plusIvEENS9_8equal_toIvEEiEE10hipError_tPvRmT2_T3_T4_T5_mT6_T7_P12ihipStream_tbENKUlT_T0_E_clISt17integral_constantIbLb0EESY_IbLb1EEEEDaSU_SV_EUlSU_E_NS1_11comp_targetILNS1_3genE5ELNS1_11target_archE942ELNS1_3gpuE9ELNS1_3repE0EEENS1_30default_config_static_selectorELNS0_4arch9wavefront6targetE0EEEvT1_.num_vgpr, 0
	.set _ZN7rocprim17ROCPRIM_400000_NS6detail17trampoline_kernelINS0_14default_configENS1_27scan_by_key_config_selectorIxiEEZZNS1_16scan_by_key_implILNS1_25lookback_scan_determinismE0ELb1ES3_N6thrust23THRUST_200600_302600_NS6detail15normal_iteratorINS9_10device_ptrIxEEEESE_SE_iNS9_4plusIvEENS9_8equal_toIvEEiEE10hipError_tPvRmT2_T3_T4_T5_mT6_T7_P12ihipStream_tbENKUlT_T0_E_clISt17integral_constantIbLb0EESY_IbLb1EEEEDaSU_SV_EUlSU_E_NS1_11comp_targetILNS1_3genE5ELNS1_11target_archE942ELNS1_3gpuE9ELNS1_3repE0EEENS1_30default_config_static_selectorELNS0_4arch9wavefront6targetE0EEEvT1_.num_agpr, 0
	.set _ZN7rocprim17ROCPRIM_400000_NS6detail17trampoline_kernelINS0_14default_configENS1_27scan_by_key_config_selectorIxiEEZZNS1_16scan_by_key_implILNS1_25lookback_scan_determinismE0ELb1ES3_N6thrust23THRUST_200600_302600_NS6detail15normal_iteratorINS9_10device_ptrIxEEEESE_SE_iNS9_4plusIvEENS9_8equal_toIvEEiEE10hipError_tPvRmT2_T3_T4_T5_mT6_T7_P12ihipStream_tbENKUlT_T0_E_clISt17integral_constantIbLb0EESY_IbLb1EEEEDaSU_SV_EUlSU_E_NS1_11comp_targetILNS1_3genE5ELNS1_11target_archE942ELNS1_3gpuE9ELNS1_3repE0EEENS1_30default_config_static_selectorELNS0_4arch9wavefront6targetE0EEEvT1_.numbered_sgpr, 0
	.set _ZN7rocprim17ROCPRIM_400000_NS6detail17trampoline_kernelINS0_14default_configENS1_27scan_by_key_config_selectorIxiEEZZNS1_16scan_by_key_implILNS1_25lookback_scan_determinismE0ELb1ES3_N6thrust23THRUST_200600_302600_NS6detail15normal_iteratorINS9_10device_ptrIxEEEESE_SE_iNS9_4plusIvEENS9_8equal_toIvEEiEE10hipError_tPvRmT2_T3_T4_T5_mT6_T7_P12ihipStream_tbENKUlT_T0_E_clISt17integral_constantIbLb0EESY_IbLb1EEEEDaSU_SV_EUlSU_E_NS1_11comp_targetILNS1_3genE5ELNS1_11target_archE942ELNS1_3gpuE9ELNS1_3repE0EEENS1_30default_config_static_selectorELNS0_4arch9wavefront6targetE0EEEvT1_.num_named_barrier, 0
	.set _ZN7rocprim17ROCPRIM_400000_NS6detail17trampoline_kernelINS0_14default_configENS1_27scan_by_key_config_selectorIxiEEZZNS1_16scan_by_key_implILNS1_25lookback_scan_determinismE0ELb1ES3_N6thrust23THRUST_200600_302600_NS6detail15normal_iteratorINS9_10device_ptrIxEEEESE_SE_iNS9_4plusIvEENS9_8equal_toIvEEiEE10hipError_tPvRmT2_T3_T4_T5_mT6_T7_P12ihipStream_tbENKUlT_T0_E_clISt17integral_constantIbLb0EESY_IbLb1EEEEDaSU_SV_EUlSU_E_NS1_11comp_targetILNS1_3genE5ELNS1_11target_archE942ELNS1_3gpuE9ELNS1_3repE0EEENS1_30default_config_static_selectorELNS0_4arch9wavefront6targetE0EEEvT1_.private_seg_size, 0
	.set _ZN7rocprim17ROCPRIM_400000_NS6detail17trampoline_kernelINS0_14default_configENS1_27scan_by_key_config_selectorIxiEEZZNS1_16scan_by_key_implILNS1_25lookback_scan_determinismE0ELb1ES3_N6thrust23THRUST_200600_302600_NS6detail15normal_iteratorINS9_10device_ptrIxEEEESE_SE_iNS9_4plusIvEENS9_8equal_toIvEEiEE10hipError_tPvRmT2_T3_T4_T5_mT6_T7_P12ihipStream_tbENKUlT_T0_E_clISt17integral_constantIbLb0EESY_IbLb1EEEEDaSU_SV_EUlSU_E_NS1_11comp_targetILNS1_3genE5ELNS1_11target_archE942ELNS1_3gpuE9ELNS1_3repE0EEENS1_30default_config_static_selectorELNS0_4arch9wavefront6targetE0EEEvT1_.uses_vcc, 0
	.set _ZN7rocprim17ROCPRIM_400000_NS6detail17trampoline_kernelINS0_14default_configENS1_27scan_by_key_config_selectorIxiEEZZNS1_16scan_by_key_implILNS1_25lookback_scan_determinismE0ELb1ES3_N6thrust23THRUST_200600_302600_NS6detail15normal_iteratorINS9_10device_ptrIxEEEESE_SE_iNS9_4plusIvEENS9_8equal_toIvEEiEE10hipError_tPvRmT2_T3_T4_T5_mT6_T7_P12ihipStream_tbENKUlT_T0_E_clISt17integral_constantIbLb0EESY_IbLb1EEEEDaSU_SV_EUlSU_E_NS1_11comp_targetILNS1_3genE5ELNS1_11target_archE942ELNS1_3gpuE9ELNS1_3repE0EEENS1_30default_config_static_selectorELNS0_4arch9wavefront6targetE0EEEvT1_.uses_flat_scratch, 0
	.set _ZN7rocprim17ROCPRIM_400000_NS6detail17trampoline_kernelINS0_14default_configENS1_27scan_by_key_config_selectorIxiEEZZNS1_16scan_by_key_implILNS1_25lookback_scan_determinismE0ELb1ES3_N6thrust23THRUST_200600_302600_NS6detail15normal_iteratorINS9_10device_ptrIxEEEESE_SE_iNS9_4plusIvEENS9_8equal_toIvEEiEE10hipError_tPvRmT2_T3_T4_T5_mT6_T7_P12ihipStream_tbENKUlT_T0_E_clISt17integral_constantIbLb0EESY_IbLb1EEEEDaSU_SV_EUlSU_E_NS1_11comp_targetILNS1_3genE5ELNS1_11target_archE942ELNS1_3gpuE9ELNS1_3repE0EEENS1_30default_config_static_selectorELNS0_4arch9wavefront6targetE0EEEvT1_.has_dyn_sized_stack, 0
	.set _ZN7rocprim17ROCPRIM_400000_NS6detail17trampoline_kernelINS0_14default_configENS1_27scan_by_key_config_selectorIxiEEZZNS1_16scan_by_key_implILNS1_25lookback_scan_determinismE0ELb1ES3_N6thrust23THRUST_200600_302600_NS6detail15normal_iteratorINS9_10device_ptrIxEEEESE_SE_iNS9_4plusIvEENS9_8equal_toIvEEiEE10hipError_tPvRmT2_T3_T4_T5_mT6_T7_P12ihipStream_tbENKUlT_T0_E_clISt17integral_constantIbLb0EESY_IbLb1EEEEDaSU_SV_EUlSU_E_NS1_11comp_targetILNS1_3genE5ELNS1_11target_archE942ELNS1_3gpuE9ELNS1_3repE0EEENS1_30default_config_static_selectorELNS0_4arch9wavefront6targetE0EEEvT1_.has_recursion, 0
	.set _ZN7rocprim17ROCPRIM_400000_NS6detail17trampoline_kernelINS0_14default_configENS1_27scan_by_key_config_selectorIxiEEZZNS1_16scan_by_key_implILNS1_25lookback_scan_determinismE0ELb1ES3_N6thrust23THRUST_200600_302600_NS6detail15normal_iteratorINS9_10device_ptrIxEEEESE_SE_iNS9_4plusIvEENS9_8equal_toIvEEiEE10hipError_tPvRmT2_T3_T4_T5_mT6_T7_P12ihipStream_tbENKUlT_T0_E_clISt17integral_constantIbLb0EESY_IbLb1EEEEDaSU_SV_EUlSU_E_NS1_11comp_targetILNS1_3genE5ELNS1_11target_archE942ELNS1_3gpuE9ELNS1_3repE0EEENS1_30default_config_static_selectorELNS0_4arch9wavefront6targetE0EEEvT1_.has_indirect_call, 0
	.section	.AMDGPU.csdata,"",@progbits
; Kernel info:
; codeLenInByte = 0
; TotalNumSgprs: 0
; NumVgprs: 0
; ScratchSize: 0
; MemoryBound: 0
; FloatMode: 240
; IeeeMode: 1
; LDSByteSize: 0 bytes/workgroup (compile time only)
; SGPRBlocks: 0
; VGPRBlocks: 0
; NumSGPRsForWavesPerEU: 1
; NumVGPRsForWavesPerEU: 1
; Occupancy: 16
; WaveLimiterHint : 0
; COMPUTE_PGM_RSRC2:SCRATCH_EN: 0
; COMPUTE_PGM_RSRC2:USER_SGPR: 6
; COMPUTE_PGM_RSRC2:TRAP_HANDLER: 0
; COMPUTE_PGM_RSRC2:TGID_X_EN: 1
; COMPUTE_PGM_RSRC2:TGID_Y_EN: 0
; COMPUTE_PGM_RSRC2:TGID_Z_EN: 0
; COMPUTE_PGM_RSRC2:TIDIG_COMP_CNT: 0
	.section	.text._ZN7rocprim17ROCPRIM_400000_NS6detail17trampoline_kernelINS0_14default_configENS1_27scan_by_key_config_selectorIxiEEZZNS1_16scan_by_key_implILNS1_25lookback_scan_determinismE0ELb1ES3_N6thrust23THRUST_200600_302600_NS6detail15normal_iteratorINS9_10device_ptrIxEEEESE_SE_iNS9_4plusIvEENS9_8equal_toIvEEiEE10hipError_tPvRmT2_T3_T4_T5_mT6_T7_P12ihipStream_tbENKUlT_T0_E_clISt17integral_constantIbLb0EESY_IbLb1EEEEDaSU_SV_EUlSU_E_NS1_11comp_targetILNS1_3genE4ELNS1_11target_archE910ELNS1_3gpuE8ELNS1_3repE0EEENS1_30default_config_static_selectorELNS0_4arch9wavefront6targetE0EEEvT1_,"axG",@progbits,_ZN7rocprim17ROCPRIM_400000_NS6detail17trampoline_kernelINS0_14default_configENS1_27scan_by_key_config_selectorIxiEEZZNS1_16scan_by_key_implILNS1_25lookback_scan_determinismE0ELb1ES3_N6thrust23THRUST_200600_302600_NS6detail15normal_iteratorINS9_10device_ptrIxEEEESE_SE_iNS9_4plusIvEENS9_8equal_toIvEEiEE10hipError_tPvRmT2_T3_T4_T5_mT6_T7_P12ihipStream_tbENKUlT_T0_E_clISt17integral_constantIbLb0EESY_IbLb1EEEEDaSU_SV_EUlSU_E_NS1_11comp_targetILNS1_3genE4ELNS1_11target_archE910ELNS1_3gpuE8ELNS1_3repE0EEENS1_30default_config_static_selectorELNS0_4arch9wavefront6targetE0EEEvT1_,comdat
	.protected	_ZN7rocprim17ROCPRIM_400000_NS6detail17trampoline_kernelINS0_14default_configENS1_27scan_by_key_config_selectorIxiEEZZNS1_16scan_by_key_implILNS1_25lookback_scan_determinismE0ELb1ES3_N6thrust23THRUST_200600_302600_NS6detail15normal_iteratorINS9_10device_ptrIxEEEESE_SE_iNS9_4plusIvEENS9_8equal_toIvEEiEE10hipError_tPvRmT2_T3_T4_T5_mT6_T7_P12ihipStream_tbENKUlT_T0_E_clISt17integral_constantIbLb0EESY_IbLb1EEEEDaSU_SV_EUlSU_E_NS1_11comp_targetILNS1_3genE4ELNS1_11target_archE910ELNS1_3gpuE8ELNS1_3repE0EEENS1_30default_config_static_selectorELNS0_4arch9wavefront6targetE0EEEvT1_ ; -- Begin function _ZN7rocprim17ROCPRIM_400000_NS6detail17trampoline_kernelINS0_14default_configENS1_27scan_by_key_config_selectorIxiEEZZNS1_16scan_by_key_implILNS1_25lookback_scan_determinismE0ELb1ES3_N6thrust23THRUST_200600_302600_NS6detail15normal_iteratorINS9_10device_ptrIxEEEESE_SE_iNS9_4plusIvEENS9_8equal_toIvEEiEE10hipError_tPvRmT2_T3_T4_T5_mT6_T7_P12ihipStream_tbENKUlT_T0_E_clISt17integral_constantIbLb0EESY_IbLb1EEEEDaSU_SV_EUlSU_E_NS1_11comp_targetILNS1_3genE4ELNS1_11target_archE910ELNS1_3gpuE8ELNS1_3repE0EEENS1_30default_config_static_selectorELNS0_4arch9wavefront6targetE0EEEvT1_
	.globl	_ZN7rocprim17ROCPRIM_400000_NS6detail17trampoline_kernelINS0_14default_configENS1_27scan_by_key_config_selectorIxiEEZZNS1_16scan_by_key_implILNS1_25lookback_scan_determinismE0ELb1ES3_N6thrust23THRUST_200600_302600_NS6detail15normal_iteratorINS9_10device_ptrIxEEEESE_SE_iNS9_4plusIvEENS9_8equal_toIvEEiEE10hipError_tPvRmT2_T3_T4_T5_mT6_T7_P12ihipStream_tbENKUlT_T0_E_clISt17integral_constantIbLb0EESY_IbLb1EEEEDaSU_SV_EUlSU_E_NS1_11comp_targetILNS1_3genE4ELNS1_11target_archE910ELNS1_3gpuE8ELNS1_3repE0EEENS1_30default_config_static_selectorELNS0_4arch9wavefront6targetE0EEEvT1_
	.p2align	8
	.type	_ZN7rocprim17ROCPRIM_400000_NS6detail17trampoline_kernelINS0_14default_configENS1_27scan_by_key_config_selectorIxiEEZZNS1_16scan_by_key_implILNS1_25lookback_scan_determinismE0ELb1ES3_N6thrust23THRUST_200600_302600_NS6detail15normal_iteratorINS9_10device_ptrIxEEEESE_SE_iNS9_4plusIvEENS9_8equal_toIvEEiEE10hipError_tPvRmT2_T3_T4_T5_mT6_T7_P12ihipStream_tbENKUlT_T0_E_clISt17integral_constantIbLb0EESY_IbLb1EEEEDaSU_SV_EUlSU_E_NS1_11comp_targetILNS1_3genE4ELNS1_11target_archE910ELNS1_3gpuE8ELNS1_3repE0EEENS1_30default_config_static_selectorELNS0_4arch9wavefront6targetE0EEEvT1_,@function
_ZN7rocprim17ROCPRIM_400000_NS6detail17trampoline_kernelINS0_14default_configENS1_27scan_by_key_config_selectorIxiEEZZNS1_16scan_by_key_implILNS1_25lookback_scan_determinismE0ELb1ES3_N6thrust23THRUST_200600_302600_NS6detail15normal_iteratorINS9_10device_ptrIxEEEESE_SE_iNS9_4plusIvEENS9_8equal_toIvEEiEE10hipError_tPvRmT2_T3_T4_T5_mT6_T7_P12ihipStream_tbENKUlT_T0_E_clISt17integral_constantIbLb0EESY_IbLb1EEEEDaSU_SV_EUlSU_E_NS1_11comp_targetILNS1_3genE4ELNS1_11target_archE910ELNS1_3gpuE8ELNS1_3repE0EEENS1_30default_config_static_selectorELNS0_4arch9wavefront6targetE0EEEvT1_: ; @_ZN7rocprim17ROCPRIM_400000_NS6detail17trampoline_kernelINS0_14default_configENS1_27scan_by_key_config_selectorIxiEEZZNS1_16scan_by_key_implILNS1_25lookback_scan_determinismE0ELb1ES3_N6thrust23THRUST_200600_302600_NS6detail15normal_iteratorINS9_10device_ptrIxEEEESE_SE_iNS9_4plusIvEENS9_8equal_toIvEEiEE10hipError_tPvRmT2_T3_T4_T5_mT6_T7_P12ihipStream_tbENKUlT_T0_E_clISt17integral_constantIbLb0EESY_IbLb1EEEEDaSU_SV_EUlSU_E_NS1_11comp_targetILNS1_3genE4ELNS1_11target_archE910ELNS1_3gpuE8ELNS1_3repE0EEENS1_30default_config_static_selectorELNS0_4arch9wavefront6targetE0EEEvT1_
; %bb.0:
	.section	.rodata,"a",@progbits
	.p2align	6, 0x0
	.amdhsa_kernel _ZN7rocprim17ROCPRIM_400000_NS6detail17trampoline_kernelINS0_14default_configENS1_27scan_by_key_config_selectorIxiEEZZNS1_16scan_by_key_implILNS1_25lookback_scan_determinismE0ELb1ES3_N6thrust23THRUST_200600_302600_NS6detail15normal_iteratorINS9_10device_ptrIxEEEESE_SE_iNS9_4plusIvEENS9_8equal_toIvEEiEE10hipError_tPvRmT2_T3_T4_T5_mT6_T7_P12ihipStream_tbENKUlT_T0_E_clISt17integral_constantIbLb0EESY_IbLb1EEEEDaSU_SV_EUlSU_E_NS1_11comp_targetILNS1_3genE4ELNS1_11target_archE910ELNS1_3gpuE8ELNS1_3repE0EEENS1_30default_config_static_selectorELNS0_4arch9wavefront6targetE0EEEvT1_
		.amdhsa_group_segment_fixed_size 0
		.amdhsa_private_segment_fixed_size 0
		.amdhsa_kernarg_size 112
		.amdhsa_user_sgpr_count 6
		.amdhsa_user_sgpr_private_segment_buffer 1
		.amdhsa_user_sgpr_dispatch_ptr 0
		.amdhsa_user_sgpr_queue_ptr 0
		.amdhsa_user_sgpr_kernarg_segment_ptr 1
		.amdhsa_user_sgpr_dispatch_id 0
		.amdhsa_user_sgpr_flat_scratch_init 0
		.amdhsa_user_sgpr_private_segment_size 0
		.amdhsa_wavefront_size32 1
		.amdhsa_uses_dynamic_stack 0
		.amdhsa_system_sgpr_private_segment_wavefront_offset 0
		.amdhsa_system_sgpr_workgroup_id_x 1
		.amdhsa_system_sgpr_workgroup_id_y 0
		.amdhsa_system_sgpr_workgroup_id_z 0
		.amdhsa_system_sgpr_workgroup_info 0
		.amdhsa_system_vgpr_workitem_id 0
		.amdhsa_next_free_vgpr 1
		.amdhsa_next_free_sgpr 1
		.amdhsa_reserve_vcc 0
		.amdhsa_reserve_flat_scratch 0
		.amdhsa_float_round_mode_32 0
		.amdhsa_float_round_mode_16_64 0
		.amdhsa_float_denorm_mode_32 3
		.amdhsa_float_denorm_mode_16_64 3
		.amdhsa_dx10_clamp 1
		.amdhsa_ieee_mode 1
		.amdhsa_fp16_overflow 0
		.amdhsa_workgroup_processor_mode 1
		.amdhsa_memory_ordered 1
		.amdhsa_forward_progress 1
		.amdhsa_shared_vgpr_count 0
		.amdhsa_exception_fp_ieee_invalid_op 0
		.amdhsa_exception_fp_denorm_src 0
		.amdhsa_exception_fp_ieee_div_zero 0
		.amdhsa_exception_fp_ieee_overflow 0
		.amdhsa_exception_fp_ieee_underflow 0
		.amdhsa_exception_fp_ieee_inexact 0
		.amdhsa_exception_int_div_zero 0
	.end_amdhsa_kernel
	.section	.text._ZN7rocprim17ROCPRIM_400000_NS6detail17trampoline_kernelINS0_14default_configENS1_27scan_by_key_config_selectorIxiEEZZNS1_16scan_by_key_implILNS1_25lookback_scan_determinismE0ELb1ES3_N6thrust23THRUST_200600_302600_NS6detail15normal_iteratorINS9_10device_ptrIxEEEESE_SE_iNS9_4plusIvEENS9_8equal_toIvEEiEE10hipError_tPvRmT2_T3_T4_T5_mT6_T7_P12ihipStream_tbENKUlT_T0_E_clISt17integral_constantIbLb0EESY_IbLb1EEEEDaSU_SV_EUlSU_E_NS1_11comp_targetILNS1_3genE4ELNS1_11target_archE910ELNS1_3gpuE8ELNS1_3repE0EEENS1_30default_config_static_selectorELNS0_4arch9wavefront6targetE0EEEvT1_,"axG",@progbits,_ZN7rocprim17ROCPRIM_400000_NS6detail17trampoline_kernelINS0_14default_configENS1_27scan_by_key_config_selectorIxiEEZZNS1_16scan_by_key_implILNS1_25lookback_scan_determinismE0ELb1ES3_N6thrust23THRUST_200600_302600_NS6detail15normal_iteratorINS9_10device_ptrIxEEEESE_SE_iNS9_4plusIvEENS9_8equal_toIvEEiEE10hipError_tPvRmT2_T3_T4_T5_mT6_T7_P12ihipStream_tbENKUlT_T0_E_clISt17integral_constantIbLb0EESY_IbLb1EEEEDaSU_SV_EUlSU_E_NS1_11comp_targetILNS1_3genE4ELNS1_11target_archE910ELNS1_3gpuE8ELNS1_3repE0EEENS1_30default_config_static_selectorELNS0_4arch9wavefront6targetE0EEEvT1_,comdat
.Lfunc_end1035:
	.size	_ZN7rocprim17ROCPRIM_400000_NS6detail17trampoline_kernelINS0_14default_configENS1_27scan_by_key_config_selectorIxiEEZZNS1_16scan_by_key_implILNS1_25lookback_scan_determinismE0ELb1ES3_N6thrust23THRUST_200600_302600_NS6detail15normal_iteratorINS9_10device_ptrIxEEEESE_SE_iNS9_4plusIvEENS9_8equal_toIvEEiEE10hipError_tPvRmT2_T3_T4_T5_mT6_T7_P12ihipStream_tbENKUlT_T0_E_clISt17integral_constantIbLb0EESY_IbLb1EEEEDaSU_SV_EUlSU_E_NS1_11comp_targetILNS1_3genE4ELNS1_11target_archE910ELNS1_3gpuE8ELNS1_3repE0EEENS1_30default_config_static_selectorELNS0_4arch9wavefront6targetE0EEEvT1_, .Lfunc_end1035-_ZN7rocprim17ROCPRIM_400000_NS6detail17trampoline_kernelINS0_14default_configENS1_27scan_by_key_config_selectorIxiEEZZNS1_16scan_by_key_implILNS1_25lookback_scan_determinismE0ELb1ES3_N6thrust23THRUST_200600_302600_NS6detail15normal_iteratorINS9_10device_ptrIxEEEESE_SE_iNS9_4plusIvEENS9_8equal_toIvEEiEE10hipError_tPvRmT2_T3_T4_T5_mT6_T7_P12ihipStream_tbENKUlT_T0_E_clISt17integral_constantIbLb0EESY_IbLb1EEEEDaSU_SV_EUlSU_E_NS1_11comp_targetILNS1_3genE4ELNS1_11target_archE910ELNS1_3gpuE8ELNS1_3repE0EEENS1_30default_config_static_selectorELNS0_4arch9wavefront6targetE0EEEvT1_
                                        ; -- End function
	.set _ZN7rocprim17ROCPRIM_400000_NS6detail17trampoline_kernelINS0_14default_configENS1_27scan_by_key_config_selectorIxiEEZZNS1_16scan_by_key_implILNS1_25lookback_scan_determinismE0ELb1ES3_N6thrust23THRUST_200600_302600_NS6detail15normal_iteratorINS9_10device_ptrIxEEEESE_SE_iNS9_4plusIvEENS9_8equal_toIvEEiEE10hipError_tPvRmT2_T3_T4_T5_mT6_T7_P12ihipStream_tbENKUlT_T0_E_clISt17integral_constantIbLb0EESY_IbLb1EEEEDaSU_SV_EUlSU_E_NS1_11comp_targetILNS1_3genE4ELNS1_11target_archE910ELNS1_3gpuE8ELNS1_3repE0EEENS1_30default_config_static_selectorELNS0_4arch9wavefront6targetE0EEEvT1_.num_vgpr, 0
	.set _ZN7rocprim17ROCPRIM_400000_NS6detail17trampoline_kernelINS0_14default_configENS1_27scan_by_key_config_selectorIxiEEZZNS1_16scan_by_key_implILNS1_25lookback_scan_determinismE0ELb1ES3_N6thrust23THRUST_200600_302600_NS6detail15normal_iteratorINS9_10device_ptrIxEEEESE_SE_iNS9_4plusIvEENS9_8equal_toIvEEiEE10hipError_tPvRmT2_T3_T4_T5_mT6_T7_P12ihipStream_tbENKUlT_T0_E_clISt17integral_constantIbLb0EESY_IbLb1EEEEDaSU_SV_EUlSU_E_NS1_11comp_targetILNS1_3genE4ELNS1_11target_archE910ELNS1_3gpuE8ELNS1_3repE0EEENS1_30default_config_static_selectorELNS0_4arch9wavefront6targetE0EEEvT1_.num_agpr, 0
	.set _ZN7rocprim17ROCPRIM_400000_NS6detail17trampoline_kernelINS0_14default_configENS1_27scan_by_key_config_selectorIxiEEZZNS1_16scan_by_key_implILNS1_25lookback_scan_determinismE0ELb1ES3_N6thrust23THRUST_200600_302600_NS6detail15normal_iteratorINS9_10device_ptrIxEEEESE_SE_iNS9_4plusIvEENS9_8equal_toIvEEiEE10hipError_tPvRmT2_T3_T4_T5_mT6_T7_P12ihipStream_tbENKUlT_T0_E_clISt17integral_constantIbLb0EESY_IbLb1EEEEDaSU_SV_EUlSU_E_NS1_11comp_targetILNS1_3genE4ELNS1_11target_archE910ELNS1_3gpuE8ELNS1_3repE0EEENS1_30default_config_static_selectorELNS0_4arch9wavefront6targetE0EEEvT1_.numbered_sgpr, 0
	.set _ZN7rocprim17ROCPRIM_400000_NS6detail17trampoline_kernelINS0_14default_configENS1_27scan_by_key_config_selectorIxiEEZZNS1_16scan_by_key_implILNS1_25lookback_scan_determinismE0ELb1ES3_N6thrust23THRUST_200600_302600_NS6detail15normal_iteratorINS9_10device_ptrIxEEEESE_SE_iNS9_4plusIvEENS9_8equal_toIvEEiEE10hipError_tPvRmT2_T3_T4_T5_mT6_T7_P12ihipStream_tbENKUlT_T0_E_clISt17integral_constantIbLb0EESY_IbLb1EEEEDaSU_SV_EUlSU_E_NS1_11comp_targetILNS1_3genE4ELNS1_11target_archE910ELNS1_3gpuE8ELNS1_3repE0EEENS1_30default_config_static_selectorELNS0_4arch9wavefront6targetE0EEEvT1_.num_named_barrier, 0
	.set _ZN7rocprim17ROCPRIM_400000_NS6detail17trampoline_kernelINS0_14default_configENS1_27scan_by_key_config_selectorIxiEEZZNS1_16scan_by_key_implILNS1_25lookback_scan_determinismE0ELb1ES3_N6thrust23THRUST_200600_302600_NS6detail15normal_iteratorINS9_10device_ptrIxEEEESE_SE_iNS9_4plusIvEENS9_8equal_toIvEEiEE10hipError_tPvRmT2_T3_T4_T5_mT6_T7_P12ihipStream_tbENKUlT_T0_E_clISt17integral_constantIbLb0EESY_IbLb1EEEEDaSU_SV_EUlSU_E_NS1_11comp_targetILNS1_3genE4ELNS1_11target_archE910ELNS1_3gpuE8ELNS1_3repE0EEENS1_30default_config_static_selectorELNS0_4arch9wavefront6targetE0EEEvT1_.private_seg_size, 0
	.set _ZN7rocprim17ROCPRIM_400000_NS6detail17trampoline_kernelINS0_14default_configENS1_27scan_by_key_config_selectorIxiEEZZNS1_16scan_by_key_implILNS1_25lookback_scan_determinismE0ELb1ES3_N6thrust23THRUST_200600_302600_NS6detail15normal_iteratorINS9_10device_ptrIxEEEESE_SE_iNS9_4plusIvEENS9_8equal_toIvEEiEE10hipError_tPvRmT2_T3_T4_T5_mT6_T7_P12ihipStream_tbENKUlT_T0_E_clISt17integral_constantIbLb0EESY_IbLb1EEEEDaSU_SV_EUlSU_E_NS1_11comp_targetILNS1_3genE4ELNS1_11target_archE910ELNS1_3gpuE8ELNS1_3repE0EEENS1_30default_config_static_selectorELNS0_4arch9wavefront6targetE0EEEvT1_.uses_vcc, 0
	.set _ZN7rocprim17ROCPRIM_400000_NS6detail17trampoline_kernelINS0_14default_configENS1_27scan_by_key_config_selectorIxiEEZZNS1_16scan_by_key_implILNS1_25lookback_scan_determinismE0ELb1ES3_N6thrust23THRUST_200600_302600_NS6detail15normal_iteratorINS9_10device_ptrIxEEEESE_SE_iNS9_4plusIvEENS9_8equal_toIvEEiEE10hipError_tPvRmT2_T3_T4_T5_mT6_T7_P12ihipStream_tbENKUlT_T0_E_clISt17integral_constantIbLb0EESY_IbLb1EEEEDaSU_SV_EUlSU_E_NS1_11comp_targetILNS1_3genE4ELNS1_11target_archE910ELNS1_3gpuE8ELNS1_3repE0EEENS1_30default_config_static_selectorELNS0_4arch9wavefront6targetE0EEEvT1_.uses_flat_scratch, 0
	.set _ZN7rocprim17ROCPRIM_400000_NS6detail17trampoline_kernelINS0_14default_configENS1_27scan_by_key_config_selectorIxiEEZZNS1_16scan_by_key_implILNS1_25lookback_scan_determinismE0ELb1ES3_N6thrust23THRUST_200600_302600_NS6detail15normal_iteratorINS9_10device_ptrIxEEEESE_SE_iNS9_4plusIvEENS9_8equal_toIvEEiEE10hipError_tPvRmT2_T3_T4_T5_mT6_T7_P12ihipStream_tbENKUlT_T0_E_clISt17integral_constantIbLb0EESY_IbLb1EEEEDaSU_SV_EUlSU_E_NS1_11comp_targetILNS1_3genE4ELNS1_11target_archE910ELNS1_3gpuE8ELNS1_3repE0EEENS1_30default_config_static_selectorELNS0_4arch9wavefront6targetE0EEEvT1_.has_dyn_sized_stack, 0
	.set _ZN7rocprim17ROCPRIM_400000_NS6detail17trampoline_kernelINS0_14default_configENS1_27scan_by_key_config_selectorIxiEEZZNS1_16scan_by_key_implILNS1_25lookback_scan_determinismE0ELb1ES3_N6thrust23THRUST_200600_302600_NS6detail15normal_iteratorINS9_10device_ptrIxEEEESE_SE_iNS9_4plusIvEENS9_8equal_toIvEEiEE10hipError_tPvRmT2_T3_T4_T5_mT6_T7_P12ihipStream_tbENKUlT_T0_E_clISt17integral_constantIbLb0EESY_IbLb1EEEEDaSU_SV_EUlSU_E_NS1_11comp_targetILNS1_3genE4ELNS1_11target_archE910ELNS1_3gpuE8ELNS1_3repE0EEENS1_30default_config_static_selectorELNS0_4arch9wavefront6targetE0EEEvT1_.has_recursion, 0
	.set _ZN7rocprim17ROCPRIM_400000_NS6detail17trampoline_kernelINS0_14default_configENS1_27scan_by_key_config_selectorIxiEEZZNS1_16scan_by_key_implILNS1_25lookback_scan_determinismE0ELb1ES3_N6thrust23THRUST_200600_302600_NS6detail15normal_iteratorINS9_10device_ptrIxEEEESE_SE_iNS9_4plusIvEENS9_8equal_toIvEEiEE10hipError_tPvRmT2_T3_T4_T5_mT6_T7_P12ihipStream_tbENKUlT_T0_E_clISt17integral_constantIbLb0EESY_IbLb1EEEEDaSU_SV_EUlSU_E_NS1_11comp_targetILNS1_3genE4ELNS1_11target_archE910ELNS1_3gpuE8ELNS1_3repE0EEENS1_30default_config_static_selectorELNS0_4arch9wavefront6targetE0EEEvT1_.has_indirect_call, 0
	.section	.AMDGPU.csdata,"",@progbits
; Kernel info:
; codeLenInByte = 0
; TotalNumSgprs: 0
; NumVgprs: 0
; ScratchSize: 0
; MemoryBound: 0
; FloatMode: 240
; IeeeMode: 1
; LDSByteSize: 0 bytes/workgroup (compile time only)
; SGPRBlocks: 0
; VGPRBlocks: 0
; NumSGPRsForWavesPerEU: 1
; NumVGPRsForWavesPerEU: 1
; Occupancy: 16
; WaveLimiterHint : 0
; COMPUTE_PGM_RSRC2:SCRATCH_EN: 0
; COMPUTE_PGM_RSRC2:USER_SGPR: 6
; COMPUTE_PGM_RSRC2:TRAP_HANDLER: 0
; COMPUTE_PGM_RSRC2:TGID_X_EN: 1
; COMPUTE_PGM_RSRC2:TGID_Y_EN: 0
; COMPUTE_PGM_RSRC2:TGID_Z_EN: 0
; COMPUTE_PGM_RSRC2:TIDIG_COMP_CNT: 0
	.section	.text._ZN7rocprim17ROCPRIM_400000_NS6detail17trampoline_kernelINS0_14default_configENS1_27scan_by_key_config_selectorIxiEEZZNS1_16scan_by_key_implILNS1_25lookback_scan_determinismE0ELb1ES3_N6thrust23THRUST_200600_302600_NS6detail15normal_iteratorINS9_10device_ptrIxEEEESE_SE_iNS9_4plusIvEENS9_8equal_toIvEEiEE10hipError_tPvRmT2_T3_T4_T5_mT6_T7_P12ihipStream_tbENKUlT_T0_E_clISt17integral_constantIbLb0EESY_IbLb1EEEEDaSU_SV_EUlSU_E_NS1_11comp_targetILNS1_3genE3ELNS1_11target_archE908ELNS1_3gpuE7ELNS1_3repE0EEENS1_30default_config_static_selectorELNS0_4arch9wavefront6targetE0EEEvT1_,"axG",@progbits,_ZN7rocprim17ROCPRIM_400000_NS6detail17trampoline_kernelINS0_14default_configENS1_27scan_by_key_config_selectorIxiEEZZNS1_16scan_by_key_implILNS1_25lookback_scan_determinismE0ELb1ES3_N6thrust23THRUST_200600_302600_NS6detail15normal_iteratorINS9_10device_ptrIxEEEESE_SE_iNS9_4plusIvEENS9_8equal_toIvEEiEE10hipError_tPvRmT2_T3_T4_T5_mT6_T7_P12ihipStream_tbENKUlT_T0_E_clISt17integral_constantIbLb0EESY_IbLb1EEEEDaSU_SV_EUlSU_E_NS1_11comp_targetILNS1_3genE3ELNS1_11target_archE908ELNS1_3gpuE7ELNS1_3repE0EEENS1_30default_config_static_selectorELNS0_4arch9wavefront6targetE0EEEvT1_,comdat
	.protected	_ZN7rocprim17ROCPRIM_400000_NS6detail17trampoline_kernelINS0_14default_configENS1_27scan_by_key_config_selectorIxiEEZZNS1_16scan_by_key_implILNS1_25lookback_scan_determinismE0ELb1ES3_N6thrust23THRUST_200600_302600_NS6detail15normal_iteratorINS9_10device_ptrIxEEEESE_SE_iNS9_4plusIvEENS9_8equal_toIvEEiEE10hipError_tPvRmT2_T3_T4_T5_mT6_T7_P12ihipStream_tbENKUlT_T0_E_clISt17integral_constantIbLb0EESY_IbLb1EEEEDaSU_SV_EUlSU_E_NS1_11comp_targetILNS1_3genE3ELNS1_11target_archE908ELNS1_3gpuE7ELNS1_3repE0EEENS1_30default_config_static_selectorELNS0_4arch9wavefront6targetE0EEEvT1_ ; -- Begin function _ZN7rocprim17ROCPRIM_400000_NS6detail17trampoline_kernelINS0_14default_configENS1_27scan_by_key_config_selectorIxiEEZZNS1_16scan_by_key_implILNS1_25lookback_scan_determinismE0ELb1ES3_N6thrust23THRUST_200600_302600_NS6detail15normal_iteratorINS9_10device_ptrIxEEEESE_SE_iNS9_4plusIvEENS9_8equal_toIvEEiEE10hipError_tPvRmT2_T3_T4_T5_mT6_T7_P12ihipStream_tbENKUlT_T0_E_clISt17integral_constantIbLb0EESY_IbLb1EEEEDaSU_SV_EUlSU_E_NS1_11comp_targetILNS1_3genE3ELNS1_11target_archE908ELNS1_3gpuE7ELNS1_3repE0EEENS1_30default_config_static_selectorELNS0_4arch9wavefront6targetE0EEEvT1_
	.globl	_ZN7rocprim17ROCPRIM_400000_NS6detail17trampoline_kernelINS0_14default_configENS1_27scan_by_key_config_selectorIxiEEZZNS1_16scan_by_key_implILNS1_25lookback_scan_determinismE0ELb1ES3_N6thrust23THRUST_200600_302600_NS6detail15normal_iteratorINS9_10device_ptrIxEEEESE_SE_iNS9_4plusIvEENS9_8equal_toIvEEiEE10hipError_tPvRmT2_T3_T4_T5_mT6_T7_P12ihipStream_tbENKUlT_T0_E_clISt17integral_constantIbLb0EESY_IbLb1EEEEDaSU_SV_EUlSU_E_NS1_11comp_targetILNS1_3genE3ELNS1_11target_archE908ELNS1_3gpuE7ELNS1_3repE0EEENS1_30default_config_static_selectorELNS0_4arch9wavefront6targetE0EEEvT1_
	.p2align	8
	.type	_ZN7rocprim17ROCPRIM_400000_NS6detail17trampoline_kernelINS0_14default_configENS1_27scan_by_key_config_selectorIxiEEZZNS1_16scan_by_key_implILNS1_25lookback_scan_determinismE0ELb1ES3_N6thrust23THRUST_200600_302600_NS6detail15normal_iteratorINS9_10device_ptrIxEEEESE_SE_iNS9_4plusIvEENS9_8equal_toIvEEiEE10hipError_tPvRmT2_T3_T4_T5_mT6_T7_P12ihipStream_tbENKUlT_T0_E_clISt17integral_constantIbLb0EESY_IbLb1EEEEDaSU_SV_EUlSU_E_NS1_11comp_targetILNS1_3genE3ELNS1_11target_archE908ELNS1_3gpuE7ELNS1_3repE0EEENS1_30default_config_static_selectorELNS0_4arch9wavefront6targetE0EEEvT1_,@function
_ZN7rocprim17ROCPRIM_400000_NS6detail17trampoline_kernelINS0_14default_configENS1_27scan_by_key_config_selectorIxiEEZZNS1_16scan_by_key_implILNS1_25lookback_scan_determinismE0ELb1ES3_N6thrust23THRUST_200600_302600_NS6detail15normal_iteratorINS9_10device_ptrIxEEEESE_SE_iNS9_4plusIvEENS9_8equal_toIvEEiEE10hipError_tPvRmT2_T3_T4_T5_mT6_T7_P12ihipStream_tbENKUlT_T0_E_clISt17integral_constantIbLb0EESY_IbLb1EEEEDaSU_SV_EUlSU_E_NS1_11comp_targetILNS1_3genE3ELNS1_11target_archE908ELNS1_3gpuE7ELNS1_3repE0EEENS1_30default_config_static_selectorELNS0_4arch9wavefront6targetE0EEEvT1_: ; @_ZN7rocprim17ROCPRIM_400000_NS6detail17trampoline_kernelINS0_14default_configENS1_27scan_by_key_config_selectorIxiEEZZNS1_16scan_by_key_implILNS1_25lookback_scan_determinismE0ELb1ES3_N6thrust23THRUST_200600_302600_NS6detail15normal_iteratorINS9_10device_ptrIxEEEESE_SE_iNS9_4plusIvEENS9_8equal_toIvEEiEE10hipError_tPvRmT2_T3_T4_T5_mT6_T7_P12ihipStream_tbENKUlT_T0_E_clISt17integral_constantIbLb0EESY_IbLb1EEEEDaSU_SV_EUlSU_E_NS1_11comp_targetILNS1_3genE3ELNS1_11target_archE908ELNS1_3gpuE7ELNS1_3repE0EEENS1_30default_config_static_selectorELNS0_4arch9wavefront6targetE0EEEvT1_
; %bb.0:
	.section	.rodata,"a",@progbits
	.p2align	6, 0x0
	.amdhsa_kernel _ZN7rocprim17ROCPRIM_400000_NS6detail17trampoline_kernelINS0_14default_configENS1_27scan_by_key_config_selectorIxiEEZZNS1_16scan_by_key_implILNS1_25lookback_scan_determinismE0ELb1ES3_N6thrust23THRUST_200600_302600_NS6detail15normal_iteratorINS9_10device_ptrIxEEEESE_SE_iNS9_4plusIvEENS9_8equal_toIvEEiEE10hipError_tPvRmT2_T3_T4_T5_mT6_T7_P12ihipStream_tbENKUlT_T0_E_clISt17integral_constantIbLb0EESY_IbLb1EEEEDaSU_SV_EUlSU_E_NS1_11comp_targetILNS1_3genE3ELNS1_11target_archE908ELNS1_3gpuE7ELNS1_3repE0EEENS1_30default_config_static_selectorELNS0_4arch9wavefront6targetE0EEEvT1_
		.amdhsa_group_segment_fixed_size 0
		.amdhsa_private_segment_fixed_size 0
		.amdhsa_kernarg_size 112
		.amdhsa_user_sgpr_count 6
		.amdhsa_user_sgpr_private_segment_buffer 1
		.amdhsa_user_sgpr_dispatch_ptr 0
		.amdhsa_user_sgpr_queue_ptr 0
		.amdhsa_user_sgpr_kernarg_segment_ptr 1
		.amdhsa_user_sgpr_dispatch_id 0
		.amdhsa_user_sgpr_flat_scratch_init 0
		.amdhsa_user_sgpr_private_segment_size 0
		.amdhsa_wavefront_size32 1
		.amdhsa_uses_dynamic_stack 0
		.amdhsa_system_sgpr_private_segment_wavefront_offset 0
		.amdhsa_system_sgpr_workgroup_id_x 1
		.amdhsa_system_sgpr_workgroup_id_y 0
		.amdhsa_system_sgpr_workgroup_id_z 0
		.amdhsa_system_sgpr_workgroup_info 0
		.amdhsa_system_vgpr_workitem_id 0
		.amdhsa_next_free_vgpr 1
		.amdhsa_next_free_sgpr 1
		.amdhsa_reserve_vcc 0
		.amdhsa_reserve_flat_scratch 0
		.amdhsa_float_round_mode_32 0
		.amdhsa_float_round_mode_16_64 0
		.amdhsa_float_denorm_mode_32 3
		.amdhsa_float_denorm_mode_16_64 3
		.amdhsa_dx10_clamp 1
		.amdhsa_ieee_mode 1
		.amdhsa_fp16_overflow 0
		.amdhsa_workgroup_processor_mode 1
		.amdhsa_memory_ordered 1
		.amdhsa_forward_progress 1
		.amdhsa_shared_vgpr_count 0
		.amdhsa_exception_fp_ieee_invalid_op 0
		.amdhsa_exception_fp_denorm_src 0
		.amdhsa_exception_fp_ieee_div_zero 0
		.amdhsa_exception_fp_ieee_overflow 0
		.amdhsa_exception_fp_ieee_underflow 0
		.amdhsa_exception_fp_ieee_inexact 0
		.amdhsa_exception_int_div_zero 0
	.end_amdhsa_kernel
	.section	.text._ZN7rocprim17ROCPRIM_400000_NS6detail17trampoline_kernelINS0_14default_configENS1_27scan_by_key_config_selectorIxiEEZZNS1_16scan_by_key_implILNS1_25lookback_scan_determinismE0ELb1ES3_N6thrust23THRUST_200600_302600_NS6detail15normal_iteratorINS9_10device_ptrIxEEEESE_SE_iNS9_4plusIvEENS9_8equal_toIvEEiEE10hipError_tPvRmT2_T3_T4_T5_mT6_T7_P12ihipStream_tbENKUlT_T0_E_clISt17integral_constantIbLb0EESY_IbLb1EEEEDaSU_SV_EUlSU_E_NS1_11comp_targetILNS1_3genE3ELNS1_11target_archE908ELNS1_3gpuE7ELNS1_3repE0EEENS1_30default_config_static_selectorELNS0_4arch9wavefront6targetE0EEEvT1_,"axG",@progbits,_ZN7rocprim17ROCPRIM_400000_NS6detail17trampoline_kernelINS0_14default_configENS1_27scan_by_key_config_selectorIxiEEZZNS1_16scan_by_key_implILNS1_25lookback_scan_determinismE0ELb1ES3_N6thrust23THRUST_200600_302600_NS6detail15normal_iteratorINS9_10device_ptrIxEEEESE_SE_iNS9_4plusIvEENS9_8equal_toIvEEiEE10hipError_tPvRmT2_T3_T4_T5_mT6_T7_P12ihipStream_tbENKUlT_T0_E_clISt17integral_constantIbLb0EESY_IbLb1EEEEDaSU_SV_EUlSU_E_NS1_11comp_targetILNS1_3genE3ELNS1_11target_archE908ELNS1_3gpuE7ELNS1_3repE0EEENS1_30default_config_static_selectorELNS0_4arch9wavefront6targetE0EEEvT1_,comdat
.Lfunc_end1036:
	.size	_ZN7rocprim17ROCPRIM_400000_NS6detail17trampoline_kernelINS0_14default_configENS1_27scan_by_key_config_selectorIxiEEZZNS1_16scan_by_key_implILNS1_25lookback_scan_determinismE0ELb1ES3_N6thrust23THRUST_200600_302600_NS6detail15normal_iteratorINS9_10device_ptrIxEEEESE_SE_iNS9_4plusIvEENS9_8equal_toIvEEiEE10hipError_tPvRmT2_T3_T4_T5_mT6_T7_P12ihipStream_tbENKUlT_T0_E_clISt17integral_constantIbLb0EESY_IbLb1EEEEDaSU_SV_EUlSU_E_NS1_11comp_targetILNS1_3genE3ELNS1_11target_archE908ELNS1_3gpuE7ELNS1_3repE0EEENS1_30default_config_static_selectorELNS0_4arch9wavefront6targetE0EEEvT1_, .Lfunc_end1036-_ZN7rocprim17ROCPRIM_400000_NS6detail17trampoline_kernelINS0_14default_configENS1_27scan_by_key_config_selectorIxiEEZZNS1_16scan_by_key_implILNS1_25lookback_scan_determinismE0ELb1ES3_N6thrust23THRUST_200600_302600_NS6detail15normal_iteratorINS9_10device_ptrIxEEEESE_SE_iNS9_4plusIvEENS9_8equal_toIvEEiEE10hipError_tPvRmT2_T3_T4_T5_mT6_T7_P12ihipStream_tbENKUlT_T0_E_clISt17integral_constantIbLb0EESY_IbLb1EEEEDaSU_SV_EUlSU_E_NS1_11comp_targetILNS1_3genE3ELNS1_11target_archE908ELNS1_3gpuE7ELNS1_3repE0EEENS1_30default_config_static_selectorELNS0_4arch9wavefront6targetE0EEEvT1_
                                        ; -- End function
	.set _ZN7rocprim17ROCPRIM_400000_NS6detail17trampoline_kernelINS0_14default_configENS1_27scan_by_key_config_selectorIxiEEZZNS1_16scan_by_key_implILNS1_25lookback_scan_determinismE0ELb1ES3_N6thrust23THRUST_200600_302600_NS6detail15normal_iteratorINS9_10device_ptrIxEEEESE_SE_iNS9_4plusIvEENS9_8equal_toIvEEiEE10hipError_tPvRmT2_T3_T4_T5_mT6_T7_P12ihipStream_tbENKUlT_T0_E_clISt17integral_constantIbLb0EESY_IbLb1EEEEDaSU_SV_EUlSU_E_NS1_11comp_targetILNS1_3genE3ELNS1_11target_archE908ELNS1_3gpuE7ELNS1_3repE0EEENS1_30default_config_static_selectorELNS0_4arch9wavefront6targetE0EEEvT1_.num_vgpr, 0
	.set _ZN7rocprim17ROCPRIM_400000_NS6detail17trampoline_kernelINS0_14default_configENS1_27scan_by_key_config_selectorIxiEEZZNS1_16scan_by_key_implILNS1_25lookback_scan_determinismE0ELb1ES3_N6thrust23THRUST_200600_302600_NS6detail15normal_iteratorINS9_10device_ptrIxEEEESE_SE_iNS9_4plusIvEENS9_8equal_toIvEEiEE10hipError_tPvRmT2_T3_T4_T5_mT6_T7_P12ihipStream_tbENKUlT_T0_E_clISt17integral_constantIbLb0EESY_IbLb1EEEEDaSU_SV_EUlSU_E_NS1_11comp_targetILNS1_3genE3ELNS1_11target_archE908ELNS1_3gpuE7ELNS1_3repE0EEENS1_30default_config_static_selectorELNS0_4arch9wavefront6targetE0EEEvT1_.num_agpr, 0
	.set _ZN7rocprim17ROCPRIM_400000_NS6detail17trampoline_kernelINS0_14default_configENS1_27scan_by_key_config_selectorIxiEEZZNS1_16scan_by_key_implILNS1_25lookback_scan_determinismE0ELb1ES3_N6thrust23THRUST_200600_302600_NS6detail15normal_iteratorINS9_10device_ptrIxEEEESE_SE_iNS9_4plusIvEENS9_8equal_toIvEEiEE10hipError_tPvRmT2_T3_T4_T5_mT6_T7_P12ihipStream_tbENKUlT_T0_E_clISt17integral_constantIbLb0EESY_IbLb1EEEEDaSU_SV_EUlSU_E_NS1_11comp_targetILNS1_3genE3ELNS1_11target_archE908ELNS1_3gpuE7ELNS1_3repE0EEENS1_30default_config_static_selectorELNS0_4arch9wavefront6targetE0EEEvT1_.numbered_sgpr, 0
	.set _ZN7rocprim17ROCPRIM_400000_NS6detail17trampoline_kernelINS0_14default_configENS1_27scan_by_key_config_selectorIxiEEZZNS1_16scan_by_key_implILNS1_25lookback_scan_determinismE0ELb1ES3_N6thrust23THRUST_200600_302600_NS6detail15normal_iteratorINS9_10device_ptrIxEEEESE_SE_iNS9_4plusIvEENS9_8equal_toIvEEiEE10hipError_tPvRmT2_T3_T4_T5_mT6_T7_P12ihipStream_tbENKUlT_T0_E_clISt17integral_constantIbLb0EESY_IbLb1EEEEDaSU_SV_EUlSU_E_NS1_11comp_targetILNS1_3genE3ELNS1_11target_archE908ELNS1_3gpuE7ELNS1_3repE0EEENS1_30default_config_static_selectorELNS0_4arch9wavefront6targetE0EEEvT1_.num_named_barrier, 0
	.set _ZN7rocprim17ROCPRIM_400000_NS6detail17trampoline_kernelINS0_14default_configENS1_27scan_by_key_config_selectorIxiEEZZNS1_16scan_by_key_implILNS1_25lookback_scan_determinismE0ELb1ES3_N6thrust23THRUST_200600_302600_NS6detail15normal_iteratorINS9_10device_ptrIxEEEESE_SE_iNS9_4plusIvEENS9_8equal_toIvEEiEE10hipError_tPvRmT2_T3_T4_T5_mT6_T7_P12ihipStream_tbENKUlT_T0_E_clISt17integral_constantIbLb0EESY_IbLb1EEEEDaSU_SV_EUlSU_E_NS1_11comp_targetILNS1_3genE3ELNS1_11target_archE908ELNS1_3gpuE7ELNS1_3repE0EEENS1_30default_config_static_selectorELNS0_4arch9wavefront6targetE0EEEvT1_.private_seg_size, 0
	.set _ZN7rocprim17ROCPRIM_400000_NS6detail17trampoline_kernelINS0_14default_configENS1_27scan_by_key_config_selectorIxiEEZZNS1_16scan_by_key_implILNS1_25lookback_scan_determinismE0ELb1ES3_N6thrust23THRUST_200600_302600_NS6detail15normal_iteratorINS9_10device_ptrIxEEEESE_SE_iNS9_4plusIvEENS9_8equal_toIvEEiEE10hipError_tPvRmT2_T3_T4_T5_mT6_T7_P12ihipStream_tbENKUlT_T0_E_clISt17integral_constantIbLb0EESY_IbLb1EEEEDaSU_SV_EUlSU_E_NS1_11comp_targetILNS1_3genE3ELNS1_11target_archE908ELNS1_3gpuE7ELNS1_3repE0EEENS1_30default_config_static_selectorELNS0_4arch9wavefront6targetE0EEEvT1_.uses_vcc, 0
	.set _ZN7rocprim17ROCPRIM_400000_NS6detail17trampoline_kernelINS0_14default_configENS1_27scan_by_key_config_selectorIxiEEZZNS1_16scan_by_key_implILNS1_25lookback_scan_determinismE0ELb1ES3_N6thrust23THRUST_200600_302600_NS6detail15normal_iteratorINS9_10device_ptrIxEEEESE_SE_iNS9_4plusIvEENS9_8equal_toIvEEiEE10hipError_tPvRmT2_T3_T4_T5_mT6_T7_P12ihipStream_tbENKUlT_T0_E_clISt17integral_constantIbLb0EESY_IbLb1EEEEDaSU_SV_EUlSU_E_NS1_11comp_targetILNS1_3genE3ELNS1_11target_archE908ELNS1_3gpuE7ELNS1_3repE0EEENS1_30default_config_static_selectorELNS0_4arch9wavefront6targetE0EEEvT1_.uses_flat_scratch, 0
	.set _ZN7rocprim17ROCPRIM_400000_NS6detail17trampoline_kernelINS0_14default_configENS1_27scan_by_key_config_selectorIxiEEZZNS1_16scan_by_key_implILNS1_25lookback_scan_determinismE0ELb1ES3_N6thrust23THRUST_200600_302600_NS6detail15normal_iteratorINS9_10device_ptrIxEEEESE_SE_iNS9_4plusIvEENS9_8equal_toIvEEiEE10hipError_tPvRmT2_T3_T4_T5_mT6_T7_P12ihipStream_tbENKUlT_T0_E_clISt17integral_constantIbLb0EESY_IbLb1EEEEDaSU_SV_EUlSU_E_NS1_11comp_targetILNS1_3genE3ELNS1_11target_archE908ELNS1_3gpuE7ELNS1_3repE0EEENS1_30default_config_static_selectorELNS0_4arch9wavefront6targetE0EEEvT1_.has_dyn_sized_stack, 0
	.set _ZN7rocprim17ROCPRIM_400000_NS6detail17trampoline_kernelINS0_14default_configENS1_27scan_by_key_config_selectorIxiEEZZNS1_16scan_by_key_implILNS1_25lookback_scan_determinismE0ELb1ES3_N6thrust23THRUST_200600_302600_NS6detail15normal_iteratorINS9_10device_ptrIxEEEESE_SE_iNS9_4plusIvEENS9_8equal_toIvEEiEE10hipError_tPvRmT2_T3_T4_T5_mT6_T7_P12ihipStream_tbENKUlT_T0_E_clISt17integral_constantIbLb0EESY_IbLb1EEEEDaSU_SV_EUlSU_E_NS1_11comp_targetILNS1_3genE3ELNS1_11target_archE908ELNS1_3gpuE7ELNS1_3repE0EEENS1_30default_config_static_selectorELNS0_4arch9wavefront6targetE0EEEvT1_.has_recursion, 0
	.set _ZN7rocprim17ROCPRIM_400000_NS6detail17trampoline_kernelINS0_14default_configENS1_27scan_by_key_config_selectorIxiEEZZNS1_16scan_by_key_implILNS1_25lookback_scan_determinismE0ELb1ES3_N6thrust23THRUST_200600_302600_NS6detail15normal_iteratorINS9_10device_ptrIxEEEESE_SE_iNS9_4plusIvEENS9_8equal_toIvEEiEE10hipError_tPvRmT2_T3_T4_T5_mT6_T7_P12ihipStream_tbENKUlT_T0_E_clISt17integral_constantIbLb0EESY_IbLb1EEEEDaSU_SV_EUlSU_E_NS1_11comp_targetILNS1_3genE3ELNS1_11target_archE908ELNS1_3gpuE7ELNS1_3repE0EEENS1_30default_config_static_selectorELNS0_4arch9wavefront6targetE0EEEvT1_.has_indirect_call, 0
	.section	.AMDGPU.csdata,"",@progbits
; Kernel info:
; codeLenInByte = 0
; TotalNumSgprs: 0
; NumVgprs: 0
; ScratchSize: 0
; MemoryBound: 0
; FloatMode: 240
; IeeeMode: 1
; LDSByteSize: 0 bytes/workgroup (compile time only)
; SGPRBlocks: 0
; VGPRBlocks: 0
; NumSGPRsForWavesPerEU: 1
; NumVGPRsForWavesPerEU: 1
; Occupancy: 16
; WaveLimiterHint : 0
; COMPUTE_PGM_RSRC2:SCRATCH_EN: 0
; COMPUTE_PGM_RSRC2:USER_SGPR: 6
; COMPUTE_PGM_RSRC2:TRAP_HANDLER: 0
; COMPUTE_PGM_RSRC2:TGID_X_EN: 1
; COMPUTE_PGM_RSRC2:TGID_Y_EN: 0
; COMPUTE_PGM_RSRC2:TGID_Z_EN: 0
; COMPUTE_PGM_RSRC2:TIDIG_COMP_CNT: 0
	.section	.text._ZN7rocprim17ROCPRIM_400000_NS6detail17trampoline_kernelINS0_14default_configENS1_27scan_by_key_config_selectorIxiEEZZNS1_16scan_by_key_implILNS1_25lookback_scan_determinismE0ELb1ES3_N6thrust23THRUST_200600_302600_NS6detail15normal_iteratorINS9_10device_ptrIxEEEESE_SE_iNS9_4plusIvEENS9_8equal_toIvEEiEE10hipError_tPvRmT2_T3_T4_T5_mT6_T7_P12ihipStream_tbENKUlT_T0_E_clISt17integral_constantIbLb0EESY_IbLb1EEEEDaSU_SV_EUlSU_E_NS1_11comp_targetILNS1_3genE2ELNS1_11target_archE906ELNS1_3gpuE6ELNS1_3repE0EEENS1_30default_config_static_selectorELNS0_4arch9wavefront6targetE0EEEvT1_,"axG",@progbits,_ZN7rocprim17ROCPRIM_400000_NS6detail17trampoline_kernelINS0_14default_configENS1_27scan_by_key_config_selectorIxiEEZZNS1_16scan_by_key_implILNS1_25lookback_scan_determinismE0ELb1ES3_N6thrust23THRUST_200600_302600_NS6detail15normal_iteratorINS9_10device_ptrIxEEEESE_SE_iNS9_4plusIvEENS9_8equal_toIvEEiEE10hipError_tPvRmT2_T3_T4_T5_mT6_T7_P12ihipStream_tbENKUlT_T0_E_clISt17integral_constantIbLb0EESY_IbLb1EEEEDaSU_SV_EUlSU_E_NS1_11comp_targetILNS1_3genE2ELNS1_11target_archE906ELNS1_3gpuE6ELNS1_3repE0EEENS1_30default_config_static_selectorELNS0_4arch9wavefront6targetE0EEEvT1_,comdat
	.protected	_ZN7rocprim17ROCPRIM_400000_NS6detail17trampoline_kernelINS0_14default_configENS1_27scan_by_key_config_selectorIxiEEZZNS1_16scan_by_key_implILNS1_25lookback_scan_determinismE0ELb1ES3_N6thrust23THRUST_200600_302600_NS6detail15normal_iteratorINS9_10device_ptrIxEEEESE_SE_iNS9_4plusIvEENS9_8equal_toIvEEiEE10hipError_tPvRmT2_T3_T4_T5_mT6_T7_P12ihipStream_tbENKUlT_T0_E_clISt17integral_constantIbLb0EESY_IbLb1EEEEDaSU_SV_EUlSU_E_NS1_11comp_targetILNS1_3genE2ELNS1_11target_archE906ELNS1_3gpuE6ELNS1_3repE0EEENS1_30default_config_static_selectorELNS0_4arch9wavefront6targetE0EEEvT1_ ; -- Begin function _ZN7rocprim17ROCPRIM_400000_NS6detail17trampoline_kernelINS0_14default_configENS1_27scan_by_key_config_selectorIxiEEZZNS1_16scan_by_key_implILNS1_25lookback_scan_determinismE0ELb1ES3_N6thrust23THRUST_200600_302600_NS6detail15normal_iteratorINS9_10device_ptrIxEEEESE_SE_iNS9_4plusIvEENS9_8equal_toIvEEiEE10hipError_tPvRmT2_T3_T4_T5_mT6_T7_P12ihipStream_tbENKUlT_T0_E_clISt17integral_constantIbLb0EESY_IbLb1EEEEDaSU_SV_EUlSU_E_NS1_11comp_targetILNS1_3genE2ELNS1_11target_archE906ELNS1_3gpuE6ELNS1_3repE0EEENS1_30default_config_static_selectorELNS0_4arch9wavefront6targetE0EEEvT1_
	.globl	_ZN7rocprim17ROCPRIM_400000_NS6detail17trampoline_kernelINS0_14default_configENS1_27scan_by_key_config_selectorIxiEEZZNS1_16scan_by_key_implILNS1_25lookback_scan_determinismE0ELb1ES3_N6thrust23THRUST_200600_302600_NS6detail15normal_iteratorINS9_10device_ptrIxEEEESE_SE_iNS9_4plusIvEENS9_8equal_toIvEEiEE10hipError_tPvRmT2_T3_T4_T5_mT6_T7_P12ihipStream_tbENKUlT_T0_E_clISt17integral_constantIbLb0EESY_IbLb1EEEEDaSU_SV_EUlSU_E_NS1_11comp_targetILNS1_3genE2ELNS1_11target_archE906ELNS1_3gpuE6ELNS1_3repE0EEENS1_30default_config_static_selectorELNS0_4arch9wavefront6targetE0EEEvT1_
	.p2align	8
	.type	_ZN7rocprim17ROCPRIM_400000_NS6detail17trampoline_kernelINS0_14default_configENS1_27scan_by_key_config_selectorIxiEEZZNS1_16scan_by_key_implILNS1_25lookback_scan_determinismE0ELb1ES3_N6thrust23THRUST_200600_302600_NS6detail15normal_iteratorINS9_10device_ptrIxEEEESE_SE_iNS9_4plusIvEENS9_8equal_toIvEEiEE10hipError_tPvRmT2_T3_T4_T5_mT6_T7_P12ihipStream_tbENKUlT_T0_E_clISt17integral_constantIbLb0EESY_IbLb1EEEEDaSU_SV_EUlSU_E_NS1_11comp_targetILNS1_3genE2ELNS1_11target_archE906ELNS1_3gpuE6ELNS1_3repE0EEENS1_30default_config_static_selectorELNS0_4arch9wavefront6targetE0EEEvT1_,@function
_ZN7rocprim17ROCPRIM_400000_NS6detail17trampoline_kernelINS0_14default_configENS1_27scan_by_key_config_selectorIxiEEZZNS1_16scan_by_key_implILNS1_25lookback_scan_determinismE0ELb1ES3_N6thrust23THRUST_200600_302600_NS6detail15normal_iteratorINS9_10device_ptrIxEEEESE_SE_iNS9_4plusIvEENS9_8equal_toIvEEiEE10hipError_tPvRmT2_T3_T4_T5_mT6_T7_P12ihipStream_tbENKUlT_T0_E_clISt17integral_constantIbLb0EESY_IbLb1EEEEDaSU_SV_EUlSU_E_NS1_11comp_targetILNS1_3genE2ELNS1_11target_archE906ELNS1_3gpuE6ELNS1_3repE0EEENS1_30default_config_static_selectorELNS0_4arch9wavefront6targetE0EEEvT1_: ; @_ZN7rocprim17ROCPRIM_400000_NS6detail17trampoline_kernelINS0_14default_configENS1_27scan_by_key_config_selectorIxiEEZZNS1_16scan_by_key_implILNS1_25lookback_scan_determinismE0ELb1ES3_N6thrust23THRUST_200600_302600_NS6detail15normal_iteratorINS9_10device_ptrIxEEEESE_SE_iNS9_4plusIvEENS9_8equal_toIvEEiEE10hipError_tPvRmT2_T3_T4_T5_mT6_T7_P12ihipStream_tbENKUlT_T0_E_clISt17integral_constantIbLb0EESY_IbLb1EEEEDaSU_SV_EUlSU_E_NS1_11comp_targetILNS1_3genE2ELNS1_11target_archE906ELNS1_3gpuE6ELNS1_3repE0EEENS1_30default_config_static_selectorELNS0_4arch9wavefront6targetE0EEEvT1_
; %bb.0:
	.section	.rodata,"a",@progbits
	.p2align	6, 0x0
	.amdhsa_kernel _ZN7rocprim17ROCPRIM_400000_NS6detail17trampoline_kernelINS0_14default_configENS1_27scan_by_key_config_selectorIxiEEZZNS1_16scan_by_key_implILNS1_25lookback_scan_determinismE0ELb1ES3_N6thrust23THRUST_200600_302600_NS6detail15normal_iteratorINS9_10device_ptrIxEEEESE_SE_iNS9_4plusIvEENS9_8equal_toIvEEiEE10hipError_tPvRmT2_T3_T4_T5_mT6_T7_P12ihipStream_tbENKUlT_T0_E_clISt17integral_constantIbLb0EESY_IbLb1EEEEDaSU_SV_EUlSU_E_NS1_11comp_targetILNS1_3genE2ELNS1_11target_archE906ELNS1_3gpuE6ELNS1_3repE0EEENS1_30default_config_static_selectorELNS0_4arch9wavefront6targetE0EEEvT1_
		.amdhsa_group_segment_fixed_size 0
		.amdhsa_private_segment_fixed_size 0
		.amdhsa_kernarg_size 112
		.amdhsa_user_sgpr_count 6
		.amdhsa_user_sgpr_private_segment_buffer 1
		.amdhsa_user_sgpr_dispatch_ptr 0
		.amdhsa_user_sgpr_queue_ptr 0
		.amdhsa_user_sgpr_kernarg_segment_ptr 1
		.amdhsa_user_sgpr_dispatch_id 0
		.amdhsa_user_sgpr_flat_scratch_init 0
		.amdhsa_user_sgpr_private_segment_size 0
		.amdhsa_wavefront_size32 1
		.amdhsa_uses_dynamic_stack 0
		.amdhsa_system_sgpr_private_segment_wavefront_offset 0
		.amdhsa_system_sgpr_workgroup_id_x 1
		.amdhsa_system_sgpr_workgroup_id_y 0
		.amdhsa_system_sgpr_workgroup_id_z 0
		.amdhsa_system_sgpr_workgroup_info 0
		.amdhsa_system_vgpr_workitem_id 0
		.amdhsa_next_free_vgpr 1
		.amdhsa_next_free_sgpr 1
		.amdhsa_reserve_vcc 0
		.amdhsa_reserve_flat_scratch 0
		.amdhsa_float_round_mode_32 0
		.amdhsa_float_round_mode_16_64 0
		.amdhsa_float_denorm_mode_32 3
		.amdhsa_float_denorm_mode_16_64 3
		.amdhsa_dx10_clamp 1
		.amdhsa_ieee_mode 1
		.amdhsa_fp16_overflow 0
		.amdhsa_workgroup_processor_mode 1
		.amdhsa_memory_ordered 1
		.amdhsa_forward_progress 1
		.amdhsa_shared_vgpr_count 0
		.amdhsa_exception_fp_ieee_invalid_op 0
		.amdhsa_exception_fp_denorm_src 0
		.amdhsa_exception_fp_ieee_div_zero 0
		.amdhsa_exception_fp_ieee_overflow 0
		.amdhsa_exception_fp_ieee_underflow 0
		.amdhsa_exception_fp_ieee_inexact 0
		.amdhsa_exception_int_div_zero 0
	.end_amdhsa_kernel
	.section	.text._ZN7rocprim17ROCPRIM_400000_NS6detail17trampoline_kernelINS0_14default_configENS1_27scan_by_key_config_selectorIxiEEZZNS1_16scan_by_key_implILNS1_25lookback_scan_determinismE0ELb1ES3_N6thrust23THRUST_200600_302600_NS6detail15normal_iteratorINS9_10device_ptrIxEEEESE_SE_iNS9_4plusIvEENS9_8equal_toIvEEiEE10hipError_tPvRmT2_T3_T4_T5_mT6_T7_P12ihipStream_tbENKUlT_T0_E_clISt17integral_constantIbLb0EESY_IbLb1EEEEDaSU_SV_EUlSU_E_NS1_11comp_targetILNS1_3genE2ELNS1_11target_archE906ELNS1_3gpuE6ELNS1_3repE0EEENS1_30default_config_static_selectorELNS0_4arch9wavefront6targetE0EEEvT1_,"axG",@progbits,_ZN7rocprim17ROCPRIM_400000_NS6detail17trampoline_kernelINS0_14default_configENS1_27scan_by_key_config_selectorIxiEEZZNS1_16scan_by_key_implILNS1_25lookback_scan_determinismE0ELb1ES3_N6thrust23THRUST_200600_302600_NS6detail15normal_iteratorINS9_10device_ptrIxEEEESE_SE_iNS9_4plusIvEENS9_8equal_toIvEEiEE10hipError_tPvRmT2_T3_T4_T5_mT6_T7_P12ihipStream_tbENKUlT_T0_E_clISt17integral_constantIbLb0EESY_IbLb1EEEEDaSU_SV_EUlSU_E_NS1_11comp_targetILNS1_3genE2ELNS1_11target_archE906ELNS1_3gpuE6ELNS1_3repE0EEENS1_30default_config_static_selectorELNS0_4arch9wavefront6targetE0EEEvT1_,comdat
.Lfunc_end1037:
	.size	_ZN7rocprim17ROCPRIM_400000_NS6detail17trampoline_kernelINS0_14default_configENS1_27scan_by_key_config_selectorIxiEEZZNS1_16scan_by_key_implILNS1_25lookback_scan_determinismE0ELb1ES3_N6thrust23THRUST_200600_302600_NS6detail15normal_iteratorINS9_10device_ptrIxEEEESE_SE_iNS9_4plusIvEENS9_8equal_toIvEEiEE10hipError_tPvRmT2_T3_T4_T5_mT6_T7_P12ihipStream_tbENKUlT_T0_E_clISt17integral_constantIbLb0EESY_IbLb1EEEEDaSU_SV_EUlSU_E_NS1_11comp_targetILNS1_3genE2ELNS1_11target_archE906ELNS1_3gpuE6ELNS1_3repE0EEENS1_30default_config_static_selectorELNS0_4arch9wavefront6targetE0EEEvT1_, .Lfunc_end1037-_ZN7rocprim17ROCPRIM_400000_NS6detail17trampoline_kernelINS0_14default_configENS1_27scan_by_key_config_selectorIxiEEZZNS1_16scan_by_key_implILNS1_25lookback_scan_determinismE0ELb1ES3_N6thrust23THRUST_200600_302600_NS6detail15normal_iteratorINS9_10device_ptrIxEEEESE_SE_iNS9_4plusIvEENS9_8equal_toIvEEiEE10hipError_tPvRmT2_T3_T4_T5_mT6_T7_P12ihipStream_tbENKUlT_T0_E_clISt17integral_constantIbLb0EESY_IbLb1EEEEDaSU_SV_EUlSU_E_NS1_11comp_targetILNS1_3genE2ELNS1_11target_archE906ELNS1_3gpuE6ELNS1_3repE0EEENS1_30default_config_static_selectorELNS0_4arch9wavefront6targetE0EEEvT1_
                                        ; -- End function
	.set _ZN7rocprim17ROCPRIM_400000_NS6detail17trampoline_kernelINS0_14default_configENS1_27scan_by_key_config_selectorIxiEEZZNS1_16scan_by_key_implILNS1_25lookback_scan_determinismE0ELb1ES3_N6thrust23THRUST_200600_302600_NS6detail15normal_iteratorINS9_10device_ptrIxEEEESE_SE_iNS9_4plusIvEENS9_8equal_toIvEEiEE10hipError_tPvRmT2_T3_T4_T5_mT6_T7_P12ihipStream_tbENKUlT_T0_E_clISt17integral_constantIbLb0EESY_IbLb1EEEEDaSU_SV_EUlSU_E_NS1_11comp_targetILNS1_3genE2ELNS1_11target_archE906ELNS1_3gpuE6ELNS1_3repE0EEENS1_30default_config_static_selectorELNS0_4arch9wavefront6targetE0EEEvT1_.num_vgpr, 0
	.set _ZN7rocprim17ROCPRIM_400000_NS6detail17trampoline_kernelINS0_14default_configENS1_27scan_by_key_config_selectorIxiEEZZNS1_16scan_by_key_implILNS1_25lookback_scan_determinismE0ELb1ES3_N6thrust23THRUST_200600_302600_NS6detail15normal_iteratorINS9_10device_ptrIxEEEESE_SE_iNS9_4plusIvEENS9_8equal_toIvEEiEE10hipError_tPvRmT2_T3_T4_T5_mT6_T7_P12ihipStream_tbENKUlT_T0_E_clISt17integral_constantIbLb0EESY_IbLb1EEEEDaSU_SV_EUlSU_E_NS1_11comp_targetILNS1_3genE2ELNS1_11target_archE906ELNS1_3gpuE6ELNS1_3repE0EEENS1_30default_config_static_selectorELNS0_4arch9wavefront6targetE0EEEvT1_.num_agpr, 0
	.set _ZN7rocprim17ROCPRIM_400000_NS6detail17trampoline_kernelINS0_14default_configENS1_27scan_by_key_config_selectorIxiEEZZNS1_16scan_by_key_implILNS1_25lookback_scan_determinismE0ELb1ES3_N6thrust23THRUST_200600_302600_NS6detail15normal_iteratorINS9_10device_ptrIxEEEESE_SE_iNS9_4plusIvEENS9_8equal_toIvEEiEE10hipError_tPvRmT2_T3_T4_T5_mT6_T7_P12ihipStream_tbENKUlT_T0_E_clISt17integral_constantIbLb0EESY_IbLb1EEEEDaSU_SV_EUlSU_E_NS1_11comp_targetILNS1_3genE2ELNS1_11target_archE906ELNS1_3gpuE6ELNS1_3repE0EEENS1_30default_config_static_selectorELNS0_4arch9wavefront6targetE0EEEvT1_.numbered_sgpr, 0
	.set _ZN7rocprim17ROCPRIM_400000_NS6detail17trampoline_kernelINS0_14default_configENS1_27scan_by_key_config_selectorIxiEEZZNS1_16scan_by_key_implILNS1_25lookback_scan_determinismE0ELb1ES3_N6thrust23THRUST_200600_302600_NS6detail15normal_iteratorINS9_10device_ptrIxEEEESE_SE_iNS9_4plusIvEENS9_8equal_toIvEEiEE10hipError_tPvRmT2_T3_T4_T5_mT6_T7_P12ihipStream_tbENKUlT_T0_E_clISt17integral_constantIbLb0EESY_IbLb1EEEEDaSU_SV_EUlSU_E_NS1_11comp_targetILNS1_3genE2ELNS1_11target_archE906ELNS1_3gpuE6ELNS1_3repE0EEENS1_30default_config_static_selectorELNS0_4arch9wavefront6targetE0EEEvT1_.num_named_barrier, 0
	.set _ZN7rocprim17ROCPRIM_400000_NS6detail17trampoline_kernelINS0_14default_configENS1_27scan_by_key_config_selectorIxiEEZZNS1_16scan_by_key_implILNS1_25lookback_scan_determinismE0ELb1ES3_N6thrust23THRUST_200600_302600_NS6detail15normal_iteratorINS9_10device_ptrIxEEEESE_SE_iNS9_4plusIvEENS9_8equal_toIvEEiEE10hipError_tPvRmT2_T3_T4_T5_mT6_T7_P12ihipStream_tbENKUlT_T0_E_clISt17integral_constantIbLb0EESY_IbLb1EEEEDaSU_SV_EUlSU_E_NS1_11comp_targetILNS1_3genE2ELNS1_11target_archE906ELNS1_3gpuE6ELNS1_3repE0EEENS1_30default_config_static_selectorELNS0_4arch9wavefront6targetE0EEEvT1_.private_seg_size, 0
	.set _ZN7rocprim17ROCPRIM_400000_NS6detail17trampoline_kernelINS0_14default_configENS1_27scan_by_key_config_selectorIxiEEZZNS1_16scan_by_key_implILNS1_25lookback_scan_determinismE0ELb1ES3_N6thrust23THRUST_200600_302600_NS6detail15normal_iteratorINS9_10device_ptrIxEEEESE_SE_iNS9_4plusIvEENS9_8equal_toIvEEiEE10hipError_tPvRmT2_T3_T4_T5_mT6_T7_P12ihipStream_tbENKUlT_T0_E_clISt17integral_constantIbLb0EESY_IbLb1EEEEDaSU_SV_EUlSU_E_NS1_11comp_targetILNS1_3genE2ELNS1_11target_archE906ELNS1_3gpuE6ELNS1_3repE0EEENS1_30default_config_static_selectorELNS0_4arch9wavefront6targetE0EEEvT1_.uses_vcc, 0
	.set _ZN7rocprim17ROCPRIM_400000_NS6detail17trampoline_kernelINS0_14default_configENS1_27scan_by_key_config_selectorIxiEEZZNS1_16scan_by_key_implILNS1_25lookback_scan_determinismE0ELb1ES3_N6thrust23THRUST_200600_302600_NS6detail15normal_iteratorINS9_10device_ptrIxEEEESE_SE_iNS9_4plusIvEENS9_8equal_toIvEEiEE10hipError_tPvRmT2_T3_T4_T5_mT6_T7_P12ihipStream_tbENKUlT_T0_E_clISt17integral_constantIbLb0EESY_IbLb1EEEEDaSU_SV_EUlSU_E_NS1_11comp_targetILNS1_3genE2ELNS1_11target_archE906ELNS1_3gpuE6ELNS1_3repE0EEENS1_30default_config_static_selectorELNS0_4arch9wavefront6targetE0EEEvT1_.uses_flat_scratch, 0
	.set _ZN7rocprim17ROCPRIM_400000_NS6detail17trampoline_kernelINS0_14default_configENS1_27scan_by_key_config_selectorIxiEEZZNS1_16scan_by_key_implILNS1_25lookback_scan_determinismE0ELb1ES3_N6thrust23THRUST_200600_302600_NS6detail15normal_iteratorINS9_10device_ptrIxEEEESE_SE_iNS9_4plusIvEENS9_8equal_toIvEEiEE10hipError_tPvRmT2_T3_T4_T5_mT6_T7_P12ihipStream_tbENKUlT_T0_E_clISt17integral_constantIbLb0EESY_IbLb1EEEEDaSU_SV_EUlSU_E_NS1_11comp_targetILNS1_3genE2ELNS1_11target_archE906ELNS1_3gpuE6ELNS1_3repE0EEENS1_30default_config_static_selectorELNS0_4arch9wavefront6targetE0EEEvT1_.has_dyn_sized_stack, 0
	.set _ZN7rocprim17ROCPRIM_400000_NS6detail17trampoline_kernelINS0_14default_configENS1_27scan_by_key_config_selectorIxiEEZZNS1_16scan_by_key_implILNS1_25lookback_scan_determinismE0ELb1ES3_N6thrust23THRUST_200600_302600_NS6detail15normal_iteratorINS9_10device_ptrIxEEEESE_SE_iNS9_4plusIvEENS9_8equal_toIvEEiEE10hipError_tPvRmT2_T3_T4_T5_mT6_T7_P12ihipStream_tbENKUlT_T0_E_clISt17integral_constantIbLb0EESY_IbLb1EEEEDaSU_SV_EUlSU_E_NS1_11comp_targetILNS1_3genE2ELNS1_11target_archE906ELNS1_3gpuE6ELNS1_3repE0EEENS1_30default_config_static_selectorELNS0_4arch9wavefront6targetE0EEEvT1_.has_recursion, 0
	.set _ZN7rocprim17ROCPRIM_400000_NS6detail17trampoline_kernelINS0_14default_configENS1_27scan_by_key_config_selectorIxiEEZZNS1_16scan_by_key_implILNS1_25lookback_scan_determinismE0ELb1ES3_N6thrust23THRUST_200600_302600_NS6detail15normal_iteratorINS9_10device_ptrIxEEEESE_SE_iNS9_4plusIvEENS9_8equal_toIvEEiEE10hipError_tPvRmT2_T3_T4_T5_mT6_T7_P12ihipStream_tbENKUlT_T0_E_clISt17integral_constantIbLb0EESY_IbLb1EEEEDaSU_SV_EUlSU_E_NS1_11comp_targetILNS1_3genE2ELNS1_11target_archE906ELNS1_3gpuE6ELNS1_3repE0EEENS1_30default_config_static_selectorELNS0_4arch9wavefront6targetE0EEEvT1_.has_indirect_call, 0
	.section	.AMDGPU.csdata,"",@progbits
; Kernel info:
; codeLenInByte = 0
; TotalNumSgprs: 0
; NumVgprs: 0
; ScratchSize: 0
; MemoryBound: 0
; FloatMode: 240
; IeeeMode: 1
; LDSByteSize: 0 bytes/workgroup (compile time only)
; SGPRBlocks: 0
; VGPRBlocks: 0
; NumSGPRsForWavesPerEU: 1
; NumVGPRsForWavesPerEU: 1
; Occupancy: 16
; WaveLimiterHint : 0
; COMPUTE_PGM_RSRC2:SCRATCH_EN: 0
; COMPUTE_PGM_RSRC2:USER_SGPR: 6
; COMPUTE_PGM_RSRC2:TRAP_HANDLER: 0
; COMPUTE_PGM_RSRC2:TGID_X_EN: 1
; COMPUTE_PGM_RSRC2:TGID_Y_EN: 0
; COMPUTE_PGM_RSRC2:TGID_Z_EN: 0
; COMPUTE_PGM_RSRC2:TIDIG_COMP_CNT: 0
	.section	.text._ZN7rocprim17ROCPRIM_400000_NS6detail17trampoline_kernelINS0_14default_configENS1_27scan_by_key_config_selectorIxiEEZZNS1_16scan_by_key_implILNS1_25lookback_scan_determinismE0ELb1ES3_N6thrust23THRUST_200600_302600_NS6detail15normal_iteratorINS9_10device_ptrIxEEEESE_SE_iNS9_4plusIvEENS9_8equal_toIvEEiEE10hipError_tPvRmT2_T3_T4_T5_mT6_T7_P12ihipStream_tbENKUlT_T0_E_clISt17integral_constantIbLb0EESY_IbLb1EEEEDaSU_SV_EUlSU_E_NS1_11comp_targetILNS1_3genE10ELNS1_11target_archE1200ELNS1_3gpuE4ELNS1_3repE0EEENS1_30default_config_static_selectorELNS0_4arch9wavefront6targetE0EEEvT1_,"axG",@progbits,_ZN7rocprim17ROCPRIM_400000_NS6detail17trampoline_kernelINS0_14default_configENS1_27scan_by_key_config_selectorIxiEEZZNS1_16scan_by_key_implILNS1_25lookback_scan_determinismE0ELb1ES3_N6thrust23THRUST_200600_302600_NS6detail15normal_iteratorINS9_10device_ptrIxEEEESE_SE_iNS9_4plusIvEENS9_8equal_toIvEEiEE10hipError_tPvRmT2_T3_T4_T5_mT6_T7_P12ihipStream_tbENKUlT_T0_E_clISt17integral_constantIbLb0EESY_IbLb1EEEEDaSU_SV_EUlSU_E_NS1_11comp_targetILNS1_3genE10ELNS1_11target_archE1200ELNS1_3gpuE4ELNS1_3repE0EEENS1_30default_config_static_selectorELNS0_4arch9wavefront6targetE0EEEvT1_,comdat
	.protected	_ZN7rocprim17ROCPRIM_400000_NS6detail17trampoline_kernelINS0_14default_configENS1_27scan_by_key_config_selectorIxiEEZZNS1_16scan_by_key_implILNS1_25lookback_scan_determinismE0ELb1ES3_N6thrust23THRUST_200600_302600_NS6detail15normal_iteratorINS9_10device_ptrIxEEEESE_SE_iNS9_4plusIvEENS9_8equal_toIvEEiEE10hipError_tPvRmT2_T3_T4_T5_mT6_T7_P12ihipStream_tbENKUlT_T0_E_clISt17integral_constantIbLb0EESY_IbLb1EEEEDaSU_SV_EUlSU_E_NS1_11comp_targetILNS1_3genE10ELNS1_11target_archE1200ELNS1_3gpuE4ELNS1_3repE0EEENS1_30default_config_static_selectorELNS0_4arch9wavefront6targetE0EEEvT1_ ; -- Begin function _ZN7rocprim17ROCPRIM_400000_NS6detail17trampoline_kernelINS0_14default_configENS1_27scan_by_key_config_selectorIxiEEZZNS1_16scan_by_key_implILNS1_25lookback_scan_determinismE0ELb1ES3_N6thrust23THRUST_200600_302600_NS6detail15normal_iteratorINS9_10device_ptrIxEEEESE_SE_iNS9_4plusIvEENS9_8equal_toIvEEiEE10hipError_tPvRmT2_T3_T4_T5_mT6_T7_P12ihipStream_tbENKUlT_T0_E_clISt17integral_constantIbLb0EESY_IbLb1EEEEDaSU_SV_EUlSU_E_NS1_11comp_targetILNS1_3genE10ELNS1_11target_archE1200ELNS1_3gpuE4ELNS1_3repE0EEENS1_30default_config_static_selectorELNS0_4arch9wavefront6targetE0EEEvT1_
	.globl	_ZN7rocprim17ROCPRIM_400000_NS6detail17trampoline_kernelINS0_14default_configENS1_27scan_by_key_config_selectorIxiEEZZNS1_16scan_by_key_implILNS1_25lookback_scan_determinismE0ELb1ES3_N6thrust23THRUST_200600_302600_NS6detail15normal_iteratorINS9_10device_ptrIxEEEESE_SE_iNS9_4plusIvEENS9_8equal_toIvEEiEE10hipError_tPvRmT2_T3_T4_T5_mT6_T7_P12ihipStream_tbENKUlT_T0_E_clISt17integral_constantIbLb0EESY_IbLb1EEEEDaSU_SV_EUlSU_E_NS1_11comp_targetILNS1_3genE10ELNS1_11target_archE1200ELNS1_3gpuE4ELNS1_3repE0EEENS1_30default_config_static_selectorELNS0_4arch9wavefront6targetE0EEEvT1_
	.p2align	8
	.type	_ZN7rocprim17ROCPRIM_400000_NS6detail17trampoline_kernelINS0_14default_configENS1_27scan_by_key_config_selectorIxiEEZZNS1_16scan_by_key_implILNS1_25lookback_scan_determinismE0ELb1ES3_N6thrust23THRUST_200600_302600_NS6detail15normal_iteratorINS9_10device_ptrIxEEEESE_SE_iNS9_4plusIvEENS9_8equal_toIvEEiEE10hipError_tPvRmT2_T3_T4_T5_mT6_T7_P12ihipStream_tbENKUlT_T0_E_clISt17integral_constantIbLb0EESY_IbLb1EEEEDaSU_SV_EUlSU_E_NS1_11comp_targetILNS1_3genE10ELNS1_11target_archE1200ELNS1_3gpuE4ELNS1_3repE0EEENS1_30default_config_static_selectorELNS0_4arch9wavefront6targetE0EEEvT1_,@function
_ZN7rocprim17ROCPRIM_400000_NS6detail17trampoline_kernelINS0_14default_configENS1_27scan_by_key_config_selectorIxiEEZZNS1_16scan_by_key_implILNS1_25lookback_scan_determinismE0ELb1ES3_N6thrust23THRUST_200600_302600_NS6detail15normal_iteratorINS9_10device_ptrIxEEEESE_SE_iNS9_4plusIvEENS9_8equal_toIvEEiEE10hipError_tPvRmT2_T3_T4_T5_mT6_T7_P12ihipStream_tbENKUlT_T0_E_clISt17integral_constantIbLb0EESY_IbLb1EEEEDaSU_SV_EUlSU_E_NS1_11comp_targetILNS1_3genE10ELNS1_11target_archE1200ELNS1_3gpuE4ELNS1_3repE0EEENS1_30default_config_static_selectorELNS0_4arch9wavefront6targetE0EEEvT1_: ; @_ZN7rocprim17ROCPRIM_400000_NS6detail17trampoline_kernelINS0_14default_configENS1_27scan_by_key_config_selectorIxiEEZZNS1_16scan_by_key_implILNS1_25lookback_scan_determinismE0ELb1ES3_N6thrust23THRUST_200600_302600_NS6detail15normal_iteratorINS9_10device_ptrIxEEEESE_SE_iNS9_4plusIvEENS9_8equal_toIvEEiEE10hipError_tPvRmT2_T3_T4_T5_mT6_T7_P12ihipStream_tbENKUlT_T0_E_clISt17integral_constantIbLb0EESY_IbLb1EEEEDaSU_SV_EUlSU_E_NS1_11comp_targetILNS1_3genE10ELNS1_11target_archE1200ELNS1_3gpuE4ELNS1_3repE0EEENS1_30default_config_static_selectorELNS0_4arch9wavefront6targetE0EEEvT1_
; %bb.0:
	.section	.rodata,"a",@progbits
	.p2align	6, 0x0
	.amdhsa_kernel _ZN7rocprim17ROCPRIM_400000_NS6detail17trampoline_kernelINS0_14default_configENS1_27scan_by_key_config_selectorIxiEEZZNS1_16scan_by_key_implILNS1_25lookback_scan_determinismE0ELb1ES3_N6thrust23THRUST_200600_302600_NS6detail15normal_iteratorINS9_10device_ptrIxEEEESE_SE_iNS9_4plusIvEENS9_8equal_toIvEEiEE10hipError_tPvRmT2_T3_T4_T5_mT6_T7_P12ihipStream_tbENKUlT_T0_E_clISt17integral_constantIbLb0EESY_IbLb1EEEEDaSU_SV_EUlSU_E_NS1_11comp_targetILNS1_3genE10ELNS1_11target_archE1200ELNS1_3gpuE4ELNS1_3repE0EEENS1_30default_config_static_selectorELNS0_4arch9wavefront6targetE0EEEvT1_
		.amdhsa_group_segment_fixed_size 0
		.amdhsa_private_segment_fixed_size 0
		.amdhsa_kernarg_size 112
		.amdhsa_user_sgpr_count 6
		.amdhsa_user_sgpr_private_segment_buffer 1
		.amdhsa_user_sgpr_dispatch_ptr 0
		.amdhsa_user_sgpr_queue_ptr 0
		.amdhsa_user_sgpr_kernarg_segment_ptr 1
		.amdhsa_user_sgpr_dispatch_id 0
		.amdhsa_user_sgpr_flat_scratch_init 0
		.amdhsa_user_sgpr_private_segment_size 0
		.amdhsa_wavefront_size32 1
		.amdhsa_uses_dynamic_stack 0
		.amdhsa_system_sgpr_private_segment_wavefront_offset 0
		.amdhsa_system_sgpr_workgroup_id_x 1
		.amdhsa_system_sgpr_workgroup_id_y 0
		.amdhsa_system_sgpr_workgroup_id_z 0
		.amdhsa_system_sgpr_workgroup_info 0
		.amdhsa_system_vgpr_workitem_id 0
		.amdhsa_next_free_vgpr 1
		.amdhsa_next_free_sgpr 1
		.amdhsa_reserve_vcc 0
		.amdhsa_reserve_flat_scratch 0
		.amdhsa_float_round_mode_32 0
		.amdhsa_float_round_mode_16_64 0
		.amdhsa_float_denorm_mode_32 3
		.amdhsa_float_denorm_mode_16_64 3
		.amdhsa_dx10_clamp 1
		.amdhsa_ieee_mode 1
		.amdhsa_fp16_overflow 0
		.amdhsa_workgroup_processor_mode 1
		.amdhsa_memory_ordered 1
		.amdhsa_forward_progress 1
		.amdhsa_shared_vgpr_count 0
		.amdhsa_exception_fp_ieee_invalid_op 0
		.amdhsa_exception_fp_denorm_src 0
		.amdhsa_exception_fp_ieee_div_zero 0
		.amdhsa_exception_fp_ieee_overflow 0
		.amdhsa_exception_fp_ieee_underflow 0
		.amdhsa_exception_fp_ieee_inexact 0
		.amdhsa_exception_int_div_zero 0
	.end_amdhsa_kernel
	.section	.text._ZN7rocprim17ROCPRIM_400000_NS6detail17trampoline_kernelINS0_14default_configENS1_27scan_by_key_config_selectorIxiEEZZNS1_16scan_by_key_implILNS1_25lookback_scan_determinismE0ELb1ES3_N6thrust23THRUST_200600_302600_NS6detail15normal_iteratorINS9_10device_ptrIxEEEESE_SE_iNS9_4plusIvEENS9_8equal_toIvEEiEE10hipError_tPvRmT2_T3_T4_T5_mT6_T7_P12ihipStream_tbENKUlT_T0_E_clISt17integral_constantIbLb0EESY_IbLb1EEEEDaSU_SV_EUlSU_E_NS1_11comp_targetILNS1_3genE10ELNS1_11target_archE1200ELNS1_3gpuE4ELNS1_3repE0EEENS1_30default_config_static_selectorELNS0_4arch9wavefront6targetE0EEEvT1_,"axG",@progbits,_ZN7rocprim17ROCPRIM_400000_NS6detail17trampoline_kernelINS0_14default_configENS1_27scan_by_key_config_selectorIxiEEZZNS1_16scan_by_key_implILNS1_25lookback_scan_determinismE0ELb1ES3_N6thrust23THRUST_200600_302600_NS6detail15normal_iteratorINS9_10device_ptrIxEEEESE_SE_iNS9_4plusIvEENS9_8equal_toIvEEiEE10hipError_tPvRmT2_T3_T4_T5_mT6_T7_P12ihipStream_tbENKUlT_T0_E_clISt17integral_constantIbLb0EESY_IbLb1EEEEDaSU_SV_EUlSU_E_NS1_11comp_targetILNS1_3genE10ELNS1_11target_archE1200ELNS1_3gpuE4ELNS1_3repE0EEENS1_30default_config_static_selectorELNS0_4arch9wavefront6targetE0EEEvT1_,comdat
.Lfunc_end1038:
	.size	_ZN7rocprim17ROCPRIM_400000_NS6detail17trampoline_kernelINS0_14default_configENS1_27scan_by_key_config_selectorIxiEEZZNS1_16scan_by_key_implILNS1_25lookback_scan_determinismE0ELb1ES3_N6thrust23THRUST_200600_302600_NS6detail15normal_iteratorINS9_10device_ptrIxEEEESE_SE_iNS9_4plusIvEENS9_8equal_toIvEEiEE10hipError_tPvRmT2_T3_T4_T5_mT6_T7_P12ihipStream_tbENKUlT_T0_E_clISt17integral_constantIbLb0EESY_IbLb1EEEEDaSU_SV_EUlSU_E_NS1_11comp_targetILNS1_3genE10ELNS1_11target_archE1200ELNS1_3gpuE4ELNS1_3repE0EEENS1_30default_config_static_selectorELNS0_4arch9wavefront6targetE0EEEvT1_, .Lfunc_end1038-_ZN7rocprim17ROCPRIM_400000_NS6detail17trampoline_kernelINS0_14default_configENS1_27scan_by_key_config_selectorIxiEEZZNS1_16scan_by_key_implILNS1_25lookback_scan_determinismE0ELb1ES3_N6thrust23THRUST_200600_302600_NS6detail15normal_iteratorINS9_10device_ptrIxEEEESE_SE_iNS9_4plusIvEENS9_8equal_toIvEEiEE10hipError_tPvRmT2_T3_T4_T5_mT6_T7_P12ihipStream_tbENKUlT_T0_E_clISt17integral_constantIbLb0EESY_IbLb1EEEEDaSU_SV_EUlSU_E_NS1_11comp_targetILNS1_3genE10ELNS1_11target_archE1200ELNS1_3gpuE4ELNS1_3repE0EEENS1_30default_config_static_selectorELNS0_4arch9wavefront6targetE0EEEvT1_
                                        ; -- End function
	.set _ZN7rocprim17ROCPRIM_400000_NS6detail17trampoline_kernelINS0_14default_configENS1_27scan_by_key_config_selectorIxiEEZZNS1_16scan_by_key_implILNS1_25lookback_scan_determinismE0ELb1ES3_N6thrust23THRUST_200600_302600_NS6detail15normal_iteratorINS9_10device_ptrIxEEEESE_SE_iNS9_4plusIvEENS9_8equal_toIvEEiEE10hipError_tPvRmT2_T3_T4_T5_mT6_T7_P12ihipStream_tbENKUlT_T0_E_clISt17integral_constantIbLb0EESY_IbLb1EEEEDaSU_SV_EUlSU_E_NS1_11comp_targetILNS1_3genE10ELNS1_11target_archE1200ELNS1_3gpuE4ELNS1_3repE0EEENS1_30default_config_static_selectorELNS0_4arch9wavefront6targetE0EEEvT1_.num_vgpr, 0
	.set _ZN7rocprim17ROCPRIM_400000_NS6detail17trampoline_kernelINS0_14default_configENS1_27scan_by_key_config_selectorIxiEEZZNS1_16scan_by_key_implILNS1_25lookback_scan_determinismE0ELb1ES3_N6thrust23THRUST_200600_302600_NS6detail15normal_iteratorINS9_10device_ptrIxEEEESE_SE_iNS9_4plusIvEENS9_8equal_toIvEEiEE10hipError_tPvRmT2_T3_T4_T5_mT6_T7_P12ihipStream_tbENKUlT_T0_E_clISt17integral_constantIbLb0EESY_IbLb1EEEEDaSU_SV_EUlSU_E_NS1_11comp_targetILNS1_3genE10ELNS1_11target_archE1200ELNS1_3gpuE4ELNS1_3repE0EEENS1_30default_config_static_selectorELNS0_4arch9wavefront6targetE0EEEvT1_.num_agpr, 0
	.set _ZN7rocprim17ROCPRIM_400000_NS6detail17trampoline_kernelINS0_14default_configENS1_27scan_by_key_config_selectorIxiEEZZNS1_16scan_by_key_implILNS1_25lookback_scan_determinismE0ELb1ES3_N6thrust23THRUST_200600_302600_NS6detail15normal_iteratorINS9_10device_ptrIxEEEESE_SE_iNS9_4plusIvEENS9_8equal_toIvEEiEE10hipError_tPvRmT2_T3_T4_T5_mT6_T7_P12ihipStream_tbENKUlT_T0_E_clISt17integral_constantIbLb0EESY_IbLb1EEEEDaSU_SV_EUlSU_E_NS1_11comp_targetILNS1_3genE10ELNS1_11target_archE1200ELNS1_3gpuE4ELNS1_3repE0EEENS1_30default_config_static_selectorELNS0_4arch9wavefront6targetE0EEEvT1_.numbered_sgpr, 0
	.set _ZN7rocprim17ROCPRIM_400000_NS6detail17trampoline_kernelINS0_14default_configENS1_27scan_by_key_config_selectorIxiEEZZNS1_16scan_by_key_implILNS1_25lookback_scan_determinismE0ELb1ES3_N6thrust23THRUST_200600_302600_NS6detail15normal_iteratorINS9_10device_ptrIxEEEESE_SE_iNS9_4plusIvEENS9_8equal_toIvEEiEE10hipError_tPvRmT2_T3_T4_T5_mT6_T7_P12ihipStream_tbENKUlT_T0_E_clISt17integral_constantIbLb0EESY_IbLb1EEEEDaSU_SV_EUlSU_E_NS1_11comp_targetILNS1_3genE10ELNS1_11target_archE1200ELNS1_3gpuE4ELNS1_3repE0EEENS1_30default_config_static_selectorELNS0_4arch9wavefront6targetE0EEEvT1_.num_named_barrier, 0
	.set _ZN7rocprim17ROCPRIM_400000_NS6detail17trampoline_kernelINS0_14default_configENS1_27scan_by_key_config_selectorIxiEEZZNS1_16scan_by_key_implILNS1_25lookback_scan_determinismE0ELb1ES3_N6thrust23THRUST_200600_302600_NS6detail15normal_iteratorINS9_10device_ptrIxEEEESE_SE_iNS9_4plusIvEENS9_8equal_toIvEEiEE10hipError_tPvRmT2_T3_T4_T5_mT6_T7_P12ihipStream_tbENKUlT_T0_E_clISt17integral_constantIbLb0EESY_IbLb1EEEEDaSU_SV_EUlSU_E_NS1_11comp_targetILNS1_3genE10ELNS1_11target_archE1200ELNS1_3gpuE4ELNS1_3repE0EEENS1_30default_config_static_selectorELNS0_4arch9wavefront6targetE0EEEvT1_.private_seg_size, 0
	.set _ZN7rocprim17ROCPRIM_400000_NS6detail17trampoline_kernelINS0_14default_configENS1_27scan_by_key_config_selectorIxiEEZZNS1_16scan_by_key_implILNS1_25lookback_scan_determinismE0ELb1ES3_N6thrust23THRUST_200600_302600_NS6detail15normal_iteratorINS9_10device_ptrIxEEEESE_SE_iNS9_4plusIvEENS9_8equal_toIvEEiEE10hipError_tPvRmT2_T3_T4_T5_mT6_T7_P12ihipStream_tbENKUlT_T0_E_clISt17integral_constantIbLb0EESY_IbLb1EEEEDaSU_SV_EUlSU_E_NS1_11comp_targetILNS1_3genE10ELNS1_11target_archE1200ELNS1_3gpuE4ELNS1_3repE0EEENS1_30default_config_static_selectorELNS0_4arch9wavefront6targetE0EEEvT1_.uses_vcc, 0
	.set _ZN7rocprim17ROCPRIM_400000_NS6detail17trampoline_kernelINS0_14default_configENS1_27scan_by_key_config_selectorIxiEEZZNS1_16scan_by_key_implILNS1_25lookback_scan_determinismE0ELb1ES3_N6thrust23THRUST_200600_302600_NS6detail15normal_iteratorINS9_10device_ptrIxEEEESE_SE_iNS9_4plusIvEENS9_8equal_toIvEEiEE10hipError_tPvRmT2_T3_T4_T5_mT6_T7_P12ihipStream_tbENKUlT_T0_E_clISt17integral_constantIbLb0EESY_IbLb1EEEEDaSU_SV_EUlSU_E_NS1_11comp_targetILNS1_3genE10ELNS1_11target_archE1200ELNS1_3gpuE4ELNS1_3repE0EEENS1_30default_config_static_selectorELNS0_4arch9wavefront6targetE0EEEvT1_.uses_flat_scratch, 0
	.set _ZN7rocprim17ROCPRIM_400000_NS6detail17trampoline_kernelINS0_14default_configENS1_27scan_by_key_config_selectorIxiEEZZNS1_16scan_by_key_implILNS1_25lookback_scan_determinismE0ELb1ES3_N6thrust23THRUST_200600_302600_NS6detail15normal_iteratorINS9_10device_ptrIxEEEESE_SE_iNS9_4plusIvEENS9_8equal_toIvEEiEE10hipError_tPvRmT2_T3_T4_T5_mT6_T7_P12ihipStream_tbENKUlT_T0_E_clISt17integral_constantIbLb0EESY_IbLb1EEEEDaSU_SV_EUlSU_E_NS1_11comp_targetILNS1_3genE10ELNS1_11target_archE1200ELNS1_3gpuE4ELNS1_3repE0EEENS1_30default_config_static_selectorELNS0_4arch9wavefront6targetE0EEEvT1_.has_dyn_sized_stack, 0
	.set _ZN7rocprim17ROCPRIM_400000_NS6detail17trampoline_kernelINS0_14default_configENS1_27scan_by_key_config_selectorIxiEEZZNS1_16scan_by_key_implILNS1_25lookback_scan_determinismE0ELb1ES3_N6thrust23THRUST_200600_302600_NS6detail15normal_iteratorINS9_10device_ptrIxEEEESE_SE_iNS9_4plusIvEENS9_8equal_toIvEEiEE10hipError_tPvRmT2_T3_T4_T5_mT6_T7_P12ihipStream_tbENKUlT_T0_E_clISt17integral_constantIbLb0EESY_IbLb1EEEEDaSU_SV_EUlSU_E_NS1_11comp_targetILNS1_3genE10ELNS1_11target_archE1200ELNS1_3gpuE4ELNS1_3repE0EEENS1_30default_config_static_selectorELNS0_4arch9wavefront6targetE0EEEvT1_.has_recursion, 0
	.set _ZN7rocprim17ROCPRIM_400000_NS6detail17trampoline_kernelINS0_14default_configENS1_27scan_by_key_config_selectorIxiEEZZNS1_16scan_by_key_implILNS1_25lookback_scan_determinismE0ELb1ES3_N6thrust23THRUST_200600_302600_NS6detail15normal_iteratorINS9_10device_ptrIxEEEESE_SE_iNS9_4plusIvEENS9_8equal_toIvEEiEE10hipError_tPvRmT2_T3_T4_T5_mT6_T7_P12ihipStream_tbENKUlT_T0_E_clISt17integral_constantIbLb0EESY_IbLb1EEEEDaSU_SV_EUlSU_E_NS1_11comp_targetILNS1_3genE10ELNS1_11target_archE1200ELNS1_3gpuE4ELNS1_3repE0EEENS1_30default_config_static_selectorELNS0_4arch9wavefront6targetE0EEEvT1_.has_indirect_call, 0
	.section	.AMDGPU.csdata,"",@progbits
; Kernel info:
; codeLenInByte = 0
; TotalNumSgprs: 0
; NumVgprs: 0
; ScratchSize: 0
; MemoryBound: 0
; FloatMode: 240
; IeeeMode: 1
; LDSByteSize: 0 bytes/workgroup (compile time only)
; SGPRBlocks: 0
; VGPRBlocks: 0
; NumSGPRsForWavesPerEU: 1
; NumVGPRsForWavesPerEU: 1
; Occupancy: 16
; WaveLimiterHint : 0
; COMPUTE_PGM_RSRC2:SCRATCH_EN: 0
; COMPUTE_PGM_RSRC2:USER_SGPR: 6
; COMPUTE_PGM_RSRC2:TRAP_HANDLER: 0
; COMPUTE_PGM_RSRC2:TGID_X_EN: 1
; COMPUTE_PGM_RSRC2:TGID_Y_EN: 0
; COMPUTE_PGM_RSRC2:TGID_Z_EN: 0
; COMPUTE_PGM_RSRC2:TIDIG_COMP_CNT: 0
	.section	.text._ZN7rocprim17ROCPRIM_400000_NS6detail17trampoline_kernelINS0_14default_configENS1_27scan_by_key_config_selectorIxiEEZZNS1_16scan_by_key_implILNS1_25lookback_scan_determinismE0ELb1ES3_N6thrust23THRUST_200600_302600_NS6detail15normal_iteratorINS9_10device_ptrIxEEEESE_SE_iNS9_4plusIvEENS9_8equal_toIvEEiEE10hipError_tPvRmT2_T3_T4_T5_mT6_T7_P12ihipStream_tbENKUlT_T0_E_clISt17integral_constantIbLb0EESY_IbLb1EEEEDaSU_SV_EUlSU_E_NS1_11comp_targetILNS1_3genE9ELNS1_11target_archE1100ELNS1_3gpuE3ELNS1_3repE0EEENS1_30default_config_static_selectorELNS0_4arch9wavefront6targetE0EEEvT1_,"axG",@progbits,_ZN7rocprim17ROCPRIM_400000_NS6detail17trampoline_kernelINS0_14default_configENS1_27scan_by_key_config_selectorIxiEEZZNS1_16scan_by_key_implILNS1_25lookback_scan_determinismE0ELb1ES3_N6thrust23THRUST_200600_302600_NS6detail15normal_iteratorINS9_10device_ptrIxEEEESE_SE_iNS9_4plusIvEENS9_8equal_toIvEEiEE10hipError_tPvRmT2_T3_T4_T5_mT6_T7_P12ihipStream_tbENKUlT_T0_E_clISt17integral_constantIbLb0EESY_IbLb1EEEEDaSU_SV_EUlSU_E_NS1_11comp_targetILNS1_3genE9ELNS1_11target_archE1100ELNS1_3gpuE3ELNS1_3repE0EEENS1_30default_config_static_selectorELNS0_4arch9wavefront6targetE0EEEvT1_,comdat
	.protected	_ZN7rocprim17ROCPRIM_400000_NS6detail17trampoline_kernelINS0_14default_configENS1_27scan_by_key_config_selectorIxiEEZZNS1_16scan_by_key_implILNS1_25lookback_scan_determinismE0ELb1ES3_N6thrust23THRUST_200600_302600_NS6detail15normal_iteratorINS9_10device_ptrIxEEEESE_SE_iNS9_4plusIvEENS9_8equal_toIvEEiEE10hipError_tPvRmT2_T3_T4_T5_mT6_T7_P12ihipStream_tbENKUlT_T0_E_clISt17integral_constantIbLb0EESY_IbLb1EEEEDaSU_SV_EUlSU_E_NS1_11comp_targetILNS1_3genE9ELNS1_11target_archE1100ELNS1_3gpuE3ELNS1_3repE0EEENS1_30default_config_static_selectorELNS0_4arch9wavefront6targetE0EEEvT1_ ; -- Begin function _ZN7rocprim17ROCPRIM_400000_NS6detail17trampoline_kernelINS0_14default_configENS1_27scan_by_key_config_selectorIxiEEZZNS1_16scan_by_key_implILNS1_25lookback_scan_determinismE0ELb1ES3_N6thrust23THRUST_200600_302600_NS6detail15normal_iteratorINS9_10device_ptrIxEEEESE_SE_iNS9_4plusIvEENS9_8equal_toIvEEiEE10hipError_tPvRmT2_T3_T4_T5_mT6_T7_P12ihipStream_tbENKUlT_T0_E_clISt17integral_constantIbLb0EESY_IbLb1EEEEDaSU_SV_EUlSU_E_NS1_11comp_targetILNS1_3genE9ELNS1_11target_archE1100ELNS1_3gpuE3ELNS1_3repE0EEENS1_30default_config_static_selectorELNS0_4arch9wavefront6targetE0EEEvT1_
	.globl	_ZN7rocprim17ROCPRIM_400000_NS6detail17trampoline_kernelINS0_14default_configENS1_27scan_by_key_config_selectorIxiEEZZNS1_16scan_by_key_implILNS1_25lookback_scan_determinismE0ELb1ES3_N6thrust23THRUST_200600_302600_NS6detail15normal_iteratorINS9_10device_ptrIxEEEESE_SE_iNS9_4plusIvEENS9_8equal_toIvEEiEE10hipError_tPvRmT2_T3_T4_T5_mT6_T7_P12ihipStream_tbENKUlT_T0_E_clISt17integral_constantIbLb0EESY_IbLb1EEEEDaSU_SV_EUlSU_E_NS1_11comp_targetILNS1_3genE9ELNS1_11target_archE1100ELNS1_3gpuE3ELNS1_3repE0EEENS1_30default_config_static_selectorELNS0_4arch9wavefront6targetE0EEEvT1_
	.p2align	8
	.type	_ZN7rocprim17ROCPRIM_400000_NS6detail17trampoline_kernelINS0_14default_configENS1_27scan_by_key_config_selectorIxiEEZZNS1_16scan_by_key_implILNS1_25lookback_scan_determinismE0ELb1ES3_N6thrust23THRUST_200600_302600_NS6detail15normal_iteratorINS9_10device_ptrIxEEEESE_SE_iNS9_4plusIvEENS9_8equal_toIvEEiEE10hipError_tPvRmT2_T3_T4_T5_mT6_T7_P12ihipStream_tbENKUlT_T0_E_clISt17integral_constantIbLb0EESY_IbLb1EEEEDaSU_SV_EUlSU_E_NS1_11comp_targetILNS1_3genE9ELNS1_11target_archE1100ELNS1_3gpuE3ELNS1_3repE0EEENS1_30default_config_static_selectorELNS0_4arch9wavefront6targetE0EEEvT1_,@function
_ZN7rocprim17ROCPRIM_400000_NS6detail17trampoline_kernelINS0_14default_configENS1_27scan_by_key_config_selectorIxiEEZZNS1_16scan_by_key_implILNS1_25lookback_scan_determinismE0ELb1ES3_N6thrust23THRUST_200600_302600_NS6detail15normal_iteratorINS9_10device_ptrIxEEEESE_SE_iNS9_4plusIvEENS9_8equal_toIvEEiEE10hipError_tPvRmT2_T3_T4_T5_mT6_T7_P12ihipStream_tbENKUlT_T0_E_clISt17integral_constantIbLb0EESY_IbLb1EEEEDaSU_SV_EUlSU_E_NS1_11comp_targetILNS1_3genE9ELNS1_11target_archE1100ELNS1_3gpuE3ELNS1_3repE0EEENS1_30default_config_static_selectorELNS0_4arch9wavefront6targetE0EEEvT1_: ; @_ZN7rocprim17ROCPRIM_400000_NS6detail17trampoline_kernelINS0_14default_configENS1_27scan_by_key_config_selectorIxiEEZZNS1_16scan_by_key_implILNS1_25lookback_scan_determinismE0ELb1ES3_N6thrust23THRUST_200600_302600_NS6detail15normal_iteratorINS9_10device_ptrIxEEEESE_SE_iNS9_4plusIvEENS9_8equal_toIvEEiEE10hipError_tPvRmT2_T3_T4_T5_mT6_T7_P12ihipStream_tbENKUlT_T0_E_clISt17integral_constantIbLb0EESY_IbLb1EEEEDaSU_SV_EUlSU_E_NS1_11comp_targetILNS1_3genE9ELNS1_11target_archE1100ELNS1_3gpuE3ELNS1_3repE0EEENS1_30default_config_static_selectorELNS0_4arch9wavefront6targetE0EEEvT1_
; %bb.0:
	.section	.rodata,"a",@progbits
	.p2align	6, 0x0
	.amdhsa_kernel _ZN7rocprim17ROCPRIM_400000_NS6detail17trampoline_kernelINS0_14default_configENS1_27scan_by_key_config_selectorIxiEEZZNS1_16scan_by_key_implILNS1_25lookback_scan_determinismE0ELb1ES3_N6thrust23THRUST_200600_302600_NS6detail15normal_iteratorINS9_10device_ptrIxEEEESE_SE_iNS9_4plusIvEENS9_8equal_toIvEEiEE10hipError_tPvRmT2_T3_T4_T5_mT6_T7_P12ihipStream_tbENKUlT_T0_E_clISt17integral_constantIbLb0EESY_IbLb1EEEEDaSU_SV_EUlSU_E_NS1_11comp_targetILNS1_3genE9ELNS1_11target_archE1100ELNS1_3gpuE3ELNS1_3repE0EEENS1_30default_config_static_selectorELNS0_4arch9wavefront6targetE0EEEvT1_
		.amdhsa_group_segment_fixed_size 0
		.amdhsa_private_segment_fixed_size 0
		.amdhsa_kernarg_size 112
		.amdhsa_user_sgpr_count 6
		.amdhsa_user_sgpr_private_segment_buffer 1
		.amdhsa_user_sgpr_dispatch_ptr 0
		.amdhsa_user_sgpr_queue_ptr 0
		.amdhsa_user_sgpr_kernarg_segment_ptr 1
		.amdhsa_user_sgpr_dispatch_id 0
		.amdhsa_user_sgpr_flat_scratch_init 0
		.amdhsa_user_sgpr_private_segment_size 0
		.amdhsa_wavefront_size32 1
		.amdhsa_uses_dynamic_stack 0
		.amdhsa_system_sgpr_private_segment_wavefront_offset 0
		.amdhsa_system_sgpr_workgroup_id_x 1
		.amdhsa_system_sgpr_workgroup_id_y 0
		.amdhsa_system_sgpr_workgroup_id_z 0
		.amdhsa_system_sgpr_workgroup_info 0
		.amdhsa_system_vgpr_workitem_id 0
		.amdhsa_next_free_vgpr 1
		.amdhsa_next_free_sgpr 1
		.amdhsa_reserve_vcc 0
		.amdhsa_reserve_flat_scratch 0
		.amdhsa_float_round_mode_32 0
		.amdhsa_float_round_mode_16_64 0
		.amdhsa_float_denorm_mode_32 3
		.amdhsa_float_denorm_mode_16_64 3
		.amdhsa_dx10_clamp 1
		.amdhsa_ieee_mode 1
		.amdhsa_fp16_overflow 0
		.amdhsa_workgroup_processor_mode 1
		.amdhsa_memory_ordered 1
		.amdhsa_forward_progress 1
		.amdhsa_shared_vgpr_count 0
		.amdhsa_exception_fp_ieee_invalid_op 0
		.amdhsa_exception_fp_denorm_src 0
		.amdhsa_exception_fp_ieee_div_zero 0
		.amdhsa_exception_fp_ieee_overflow 0
		.amdhsa_exception_fp_ieee_underflow 0
		.amdhsa_exception_fp_ieee_inexact 0
		.amdhsa_exception_int_div_zero 0
	.end_amdhsa_kernel
	.section	.text._ZN7rocprim17ROCPRIM_400000_NS6detail17trampoline_kernelINS0_14default_configENS1_27scan_by_key_config_selectorIxiEEZZNS1_16scan_by_key_implILNS1_25lookback_scan_determinismE0ELb1ES3_N6thrust23THRUST_200600_302600_NS6detail15normal_iteratorINS9_10device_ptrIxEEEESE_SE_iNS9_4plusIvEENS9_8equal_toIvEEiEE10hipError_tPvRmT2_T3_T4_T5_mT6_T7_P12ihipStream_tbENKUlT_T0_E_clISt17integral_constantIbLb0EESY_IbLb1EEEEDaSU_SV_EUlSU_E_NS1_11comp_targetILNS1_3genE9ELNS1_11target_archE1100ELNS1_3gpuE3ELNS1_3repE0EEENS1_30default_config_static_selectorELNS0_4arch9wavefront6targetE0EEEvT1_,"axG",@progbits,_ZN7rocprim17ROCPRIM_400000_NS6detail17trampoline_kernelINS0_14default_configENS1_27scan_by_key_config_selectorIxiEEZZNS1_16scan_by_key_implILNS1_25lookback_scan_determinismE0ELb1ES3_N6thrust23THRUST_200600_302600_NS6detail15normal_iteratorINS9_10device_ptrIxEEEESE_SE_iNS9_4plusIvEENS9_8equal_toIvEEiEE10hipError_tPvRmT2_T3_T4_T5_mT6_T7_P12ihipStream_tbENKUlT_T0_E_clISt17integral_constantIbLb0EESY_IbLb1EEEEDaSU_SV_EUlSU_E_NS1_11comp_targetILNS1_3genE9ELNS1_11target_archE1100ELNS1_3gpuE3ELNS1_3repE0EEENS1_30default_config_static_selectorELNS0_4arch9wavefront6targetE0EEEvT1_,comdat
.Lfunc_end1039:
	.size	_ZN7rocprim17ROCPRIM_400000_NS6detail17trampoline_kernelINS0_14default_configENS1_27scan_by_key_config_selectorIxiEEZZNS1_16scan_by_key_implILNS1_25lookback_scan_determinismE0ELb1ES3_N6thrust23THRUST_200600_302600_NS6detail15normal_iteratorINS9_10device_ptrIxEEEESE_SE_iNS9_4plusIvEENS9_8equal_toIvEEiEE10hipError_tPvRmT2_T3_T4_T5_mT6_T7_P12ihipStream_tbENKUlT_T0_E_clISt17integral_constantIbLb0EESY_IbLb1EEEEDaSU_SV_EUlSU_E_NS1_11comp_targetILNS1_3genE9ELNS1_11target_archE1100ELNS1_3gpuE3ELNS1_3repE0EEENS1_30default_config_static_selectorELNS0_4arch9wavefront6targetE0EEEvT1_, .Lfunc_end1039-_ZN7rocprim17ROCPRIM_400000_NS6detail17trampoline_kernelINS0_14default_configENS1_27scan_by_key_config_selectorIxiEEZZNS1_16scan_by_key_implILNS1_25lookback_scan_determinismE0ELb1ES3_N6thrust23THRUST_200600_302600_NS6detail15normal_iteratorINS9_10device_ptrIxEEEESE_SE_iNS9_4plusIvEENS9_8equal_toIvEEiEE10hipError_tPvRmT2_T3_T4_T5_mT6_T7_P12ihipStream_tbENKUlT_T0_E_clISt17integral_constantIbLb0EESY_IbLb1EEEEDaSU_SV_EUlSU_E_NS1_11comp_targetILNS1_3genE9ELNS1_11target_archE1100ELNS1_3gpuE3ELNS1_3repE0EEENS1_30default_config_static_selectorELNS0_4arch9wavefront6targetE0EEEvT1_
                                        ; -- End function
	.set _ZN7rocprim17ROCPRIM_400000_NS6detail17trampoline_kernelINS0_14default_configENS1_27scan_by_key_config_selectorIxiEEZZNS1_16scan_by_key_implILNS1_25lookback_scan_determinismE0ELb1ES3_N6thrust23THRUST_200600_302600_NS6detail15normal_iteratorINS9_10device_ptrIxEEEESE_SE_iNS9_4plusIvEENS9_8equal_toIvEEiEE10hipError_tPvRmT2_T3_T4_T5_mT6_T7_P12ihipStream_tbENKUlT_T0_E_clISt17integral_constantIbLb0EESY_IbLb1EEEEDaSU_SV_EUlSU_E_NS1_11comp_targetILNS1_3genE9ELNS1_11target_archE1100ELNS1_3gpuE3ELNS1_3repE0EEENS1_30default_config_static_selectorELNS0_4arch9wavefront6targetE0EEEvT1_.num_vgpr, 0
	.set _ZN7rocprim17ROCPRIM_400000_NS6detail17trampoline_kernelINS0_14default_configENS1_27scan_by_key_config_selectorIxiEEZZNS1_16scan_by_key_implILNS1_25lookback_scan_determinismE0ELb1ES3_N6thrust23THRUST_200600_302600_NS6detail15normal_iteratorINS9_10device_ptrIxEEEESE_SE_iNS9_4plusIvEENS9_8equal_toIvEEiEE10hipError_tPvRmT2_T3_T4_T5_mT6_T7_P12ihipStream_tbENKUlT_T0_E_clISt17integral_constantIbLb0EESY_IbLb1EEEEDaSU_SV_EUlSU_E_NS1_11comp_targetILNS1_3genE9ELNS1_11target_archE1100ELNS1_3gpuE3ELNS1_3repE0EEENS1_30default_config_static_selectorELNS0_4arch9wavefront6targetE0EEEvT1_.num_agpr, 0
	.set _ZN7rocprim17ROCPRIM_400000_NS6detail17trampoline_kernelINS0_14default_configENS1_27scan_by_key_config_selectorIxiEEZZNS1_16scan_by_key_implILNS1_25lookback_scan_determinismE0ELb1ES3_N6thrust23THRUST_200600_302600_NS6detail15normal_iteratorINS9_10device_ptrIxEEEESE_SE_iNS9_4plusIvEENS9_8equal_toIvEEiEE10hipError_tPvRmT2_T3_T4_T5_mT6_T7_P12ihipStream_tbENKUlT_T0_E_clISt17integral_constantIbLb0EESY_IbLb1EEEEDaSU_SV_EUlSU_E_NS1_11comp_targetILNS1_3genE9ELNS1_11target_archE1100ELNS1_3gpuE3ELNS1_3repE0EEENS1_30default_config_static_selectorELNS0_4arch9wavefront6targetE0EEEvT1_.numbered_sgpr, 0
	.set _ZN7rocprim17ROCPRIM_400000_NS6detail17trampoline_kernelINS0_14default_configENS1_27scan_by_key_config_selectorIxiEEZZNS1_16scan_by_key_implILNS1_25lookback_scan_determinismE0ELb1ES3_N6thrust23THRUST_200600_302600_NS6detail15normal_iteratorINS9_10device_ptrIxEEEESE_SE_iNS9_4plusIvEENS9_8equal_toIvEEiEE10hipError_tPvRmT2_T3_T4_T5_mT6_T7_P12ihipStream_tbENKUlT_T0_E_clISt17integral_constantIbLb0EESY_IbLb1EEEEDaSU_SV_EUlSU_E_NS1_11comp_targetILNS1_3genE9ELNS1_11target_archE1100ELNS1_3gpuE3ELNS1_3repE0EEENS1_30default_config_static_selectorELNS0_4arch9wavefront6targetE0EEEvT1_.num_named_barrier, 0
	.set _ZN7rocprim17ROCPRIM_400000_NS6detail17trampoline_kernelINS0_14default_configENS1_27scan_by_key_config_selectorIxiEEZZNS1_16scan_by_key_implILNS1_25lookback_scan_determinismE0ELb1ES3_N6thrust23THRUST_200600_302600_NS6detail15normal_iteratorINS9_10device_ptrIxEEEESE_SE_iNS9_4plusIvEENS9_8equal_toIvEEiEE10hipError_tPvRmT2_T3_T4_T5_mT6_T7_P12ihipStream_tbENKUlT_T0_E_clISt17integral_constantIbLb0EESY_IbLb1EEEEDaSU_SV_EUlSU_E_NS1_11comp_targetILNS1_3genE9ELNS1_11target_archE1100ELNS1_3gpuE3ELNS1_3repE0EEENS1_30default_config_static_selectorELNS0_4arch9wavefront6targetE0EEEvT1_.private_seg_size, 0
	.set _ZN7rocprim17ROCPRIM_400000_NS6detail17trampoline_kernelINS0_14default_configENS1_27scan_by_key_config_selectorIxiEEZZNS1_16scan_by_key_implILNS1_25lookback_scan_determinismE0ELb1ES3_N6thrust23THRUST_200600_302600_NS6detail15normal_iteratorINS9_10device_ptrIxEEEESE_SE_iNS9_4plusIvEENS9_8equal_toIvEEiEE10hipError_tPvRmT2_T3_T4_T5_mT6_T7_P12ihipStream_tbENKUlT_T0_E_clISt17integral_constantIbLb0EESY_IbLb1EEEEDaSU_SV_EUlSU_E_NS1_11comp_targetILNS1_3genE9ELNS1_11target_archE1100ELNS1_3gpuE3ELNS1_3repE0EEENS1_30default_config_static_selectorELNS0_4arch9wavefront6targetE0EEEvT1_.uses_vcc, 0
	.set _ZN7rocprim17ROCPRIM_400000_NS6detail17trampoline_kernelINS0_14default_configENS1_27scan_by_key_config_selectorIxiEEZZNS1_16scan_by_key_implILNS1_25lookback_scan_determinismE0ELb1ES3_N6thrust23THRUST_200600_302600_NS6detail15normal_iteratorINS9_10device_ptrIxEEEESE_SE_iNS9_4plusIvEENS9_8equal_toIvEEiEE10hipError_tPvRmT2_T3_T4_T5_mT6_T7_P12ihipStream_tbENKUlT_T0_E_clISt17integral_constantIbLb0EESY_IbLb1EEEEDaSU_SV_EUlSU_E_NS1_11comp_targetILNS1_3genE9ELNS1_11target_archE1100ELNS1_3gpuE3ELNS1_3repE0EEENS1_30default_config_static_selectorELNS0_4arch9wavefront6targetE0EEEvT1_.uses_flat_scratch, 0
	.set _ZN7rocprim17ROCPRIM_400000_NS6detail17trampoline_kernelINS0_14default_configENS1_27scan_by_key_config_selectorIxiEEZZNS1_16scan_by_key_implILNS1_25lookback_scan_determinismE0ELb1ES3_N6thrust23THRUST_200600_302600_NS6detail15normal_iteratorINS9_10device_ptrIxEEEESE_SE_iNS9_4plusIvEENS9_8equal_toIvEEiEE10hipError_tPvRmT2_T3_T4_T5_mT6_T7_P12ihipStream_tbENKUlT_T0_E_clISt17integral_constantIbLb0EESY_IbLb1EEEEDaSU_SV_EUlSU_E_NS1_11comp_targetILNS1_3genE9ELNS1_11target_archE1100ELNS1_3gpuE3ELNS1_3repE0EEENS1_30default_config_static_selectorELNS0_4arch9wavefront6targetE0EEEvT1_.has_dyn_sized_stack, 0
	.set _ZN7rocprim17ROCPRIM_400000_NS6detail17trampoline_kernelINS0_14default_configENS1_27scan_by_key_config_selectorIxiEEZZNS1_16scan_by_key_implILNS1_25lookback_scan_determinismE0ELb1ES3_N6thrust23THRUST_200600_302600_NS6detail15normal_iteratorINS9_10device_ptrIxEEEESE_SE_iNS9_4plusIvEENS9_8equal_toIvEEiEE10hipError_tPvRmT2_T3_T4_T5_mT6_T7_P12ihipStream_tbENKUlT_T0_E_clISt17integral_constantIbLb0EESY_IbLb1EEEEDaSU_SV_EUlSU_E_NS1_11comp_targetILNS1_3genE9ELNS1_11target_archE1100ELNS1_3gpuE3ELNS1_3repE0EEENS1_30default_config_static_selectorELNS0_4arch9wavefront6targetE0EEEvT1_.has_recursion, 0
	.set _ZN7rocprim17ROCPRIM_400000_NS6detail17trampoline_kernelINS0_14default_configENS1_27scan_by_key_config_selectorIxiEEZZNS1_16scan_by_key_implILNS1_25lookback_scan_determinismE0ELb1ES3_N6thrust23THRUST_200600_302600_NS6detail15normal_iteratorINS9_10device_ptrIxEEEESE_SE_iNS9_4plusIvEENS9_8equal_toIvEEiEE10hipError_tPvRmT2_T3_T4_T5_mT6_T7_P12ihipStream_tbENKUlT_T0_E_clISt17integral_constantIbLb0EESY_IbLb1EEEEDaSU_SV_EUlSU_E_NS1_11comp_targetILNS1_3genE9ELNS1_11target_archE1100ELNS1_3gpuE3ELNS1_3repE0EEENS1_30default_config_static_selectorELNS0_4arch9wavefront6targetE0EEEvT1_.has_indirect_call, 0
	.section	.AMDGPU.csdata,"",@progbits
; Kernel info:
; codeLenInByte = 0
; TotalNumSgprs: 0
; NumVgprs: 0
; ScratchSize: 0
; MemoryBound: 0
; FloatMode: 240
; IeeeMode: 1
; LDSByteSize: 0 bytes/workgroup (compile time only)
; SGPRBlocks: 0
; VGPRBlocks: 0
; NumSGPRsForWavesPerEU: 1
; NumVGPRsForWavesPerEU: 1
; Occupancy: 16
; WaveLimiterHint : 0
; COMPUTE_PGM_RSRC2:SCRATCH_EN: 0
; COMPUTE_PGM_RSRC2:USER_SGPR: 6
; COMPUTE_PGM_RSRC2:TRAP_HANDLER: 0
; COMPUTE_PGM_RSRC2:TGID_X_EN: 1
; COMPUTE_PGM_RSRC2:TGID_Y_EN: 0
; COMPUTE_PGM_RSRC2:TGID_Z_EN: 0
; COMPUTE_PGM_RSRC2:TIDIG_COMP_CNT: 0
	.section	.text._ZN7rocprim17ROCPRIM_400000_NS6detail17trampoline_kernelINS0_14default_configENS1_27scan_by_key_config_selectorIxiEEZZNS1_16scan_by_key_implILNS1_25lookback_scan_determinismE0ELb1ES3_N6thrust23THRUST_200600_302600_NS6detail15normal_iteratorINS9_10device_ptrIxEEEESE_SE_iNS9_4plusIvEENS9_8equal_toIvEEiEE10hipError_tPvRmT2_T3_T4_T5_mT6_T7_P12ihipStream_tbENKUlT_T0_E_clISt17integral_constantIbLb0EESY_IbLb1EEEEDaSU_SV_EUlSU_E_NS1_11comp_targetILNS1_3genE8ELNS1_11target_archE1030ELNS1_3gpuE2ELNS1_3repE0EEENS1_30default_config_static_selectorELNS0_4arch9wavefront6targetE0EEEvT1_,"axG",@progbits,_ZN7rocprim17ROCPRIM_400000_NS6detail17trampoline_kernelINS0_14default_configENS1_27scan_by_key_config_selectorIxiEEZZNS1_16scan_by_key_implILNS1_25lookback_scan_determinismE0ELb1ES3_N6thrust23THRUST_200600_302600_NS6detail15normal_iteratorINS9_10device_ptrIxEEEESE_SE_iNS9_4plusIvEENS9_8equal_toIvEEiEE10hipError_tPvRmT2_T3_T4_T5_mT6_T7_P12ihipStream_tbENKUlT_T0_E_clISt17integral_constantIbLb0EESY_IbLb1EEEEDaSU_SV_EUlSU_E_NS1_11comp_targetILNS1_3genE8ELNS1_11target_archE1030ELNS1_3gpuE2ELNS1_3repE0EEENS1_30default_config_static_selectorELNS0_4arch9wavefront6targetE0EEEvT1_,comdat
	.protected	_ZN7rocprim17ROCPRIM_400000_NS6detail17trampoline_kernelINS0_14default_configENS1_27scan_by_key_config_selectorIxiEEZZNS1_16scan_by_key_implILNS1_25lookback_scan_determinismE0ELb1ES3_N6thrust23THRUST_200600_302600_NS6detail15normal_iteratorINS9_10device_ptrIxEEEESE_SE_iNS9_4plusIvEENS9_8equal_toIvEEiEE10hipError_tPvRmT2_T3_T4_T5_mT6_T7_P12ihipStream_tbENKUlT_T0_E_clISt17integral_constantIbLb0EESY_IbLb1EEEEDaSU_SV_EUlSU_E_NS1_11comp_targetILNS1_3genE8ELNS1_11target_archE1030ELNS1_3gpuE2ELNS1_3repE0EEENS1_30default_config_static_selectorELNS0_4arch9wavefront6targetE0EEEvT1_ ; -- Begin function _ZN7rocprim17ROCPRIM_400000_NS6detail17trampoline_kernelINS0_14default_configENS1_27scan_by_key_config_selectorIxiEEZZNS1_16scan_by_key_implILNS1_25lookback_scan_determinismE0ELb1ES3_N6thrust23THRUST_200600_302600_NS6detail15normal_iteratorINS9_10device_ptrIxEEEESE_SE_iNS9_4plusIvEENS9_8equal_toIvEEiEE10hipError_tPvRmT2_T3_T4_T5_mT6_T7_P12ihipStream_tbENKUlT_T0_E_clISt17integral_constantIbLb0EESY_IbLb1EEEEDaSU_SV_EUlSU_E_NS1_11comp_targetILNS1_3genE8ELNS1_11target_archE1030ELNS1_3gpuE2ELNS1_3repE0EEENS1_30default_config_static_selectorELNS0_4arch9wavefront6targetE0EEEvT1_
	.globl	_ZN7rocprim17ROCPRIM_400000_NS6detail17trampoline_kernelINS0_14default_configENS1_27scan_by_key_config_selectorIxiEEZZNS1_16scan_by_key_implILNS1_25lookback_scan_determinismE0ELb1ES3_N6thrust23THRUST_200600_302600_NS6detail15normal_iteratorINS9_10device_ptrIxEEEESE_SE_iNS9_4plusIvEENS9_8equal_toIvEEiEE10hipError_tPvRmT2_T3_T4_T5_mT6_T7_P12ihipStream_tbENKUlT_T0_E_clISt17integral_constantIbLb0EESY_IbLb1EEEEDaSU_SV_EUlSU_E_NS1_11comp_targetILNS1_3genE8ELNS1_11target_archE1030ELNS1_3gpuE2ELNS1_3repE0EEENS1_30default_config_static_selectorELNS0_4arch9wavefront6targetE0EEEvT1_
	.p2align	8
	.type	_ZN7rocprim17ROCPRIM_400000_NS6detail17trampoline_kernelINS0_14default_configENS1_27scan_by_key_config_selectorIxiEEZZNS1_16scan_by_key_implILNS1_25lookback_scan_determinismE0ELb1ES3_N6thrust23THRUST_200600_302600_NS6detail15normal_iteratorINS9_10device_ptrIxEEEESE_SE_iNS9_4plusIvEENS9_8equal_toIvEEiEE10hipError_tPvRmT2_T3_T4_T5_mT6_T7_P12ihipStream_tbENKUlT_T0_E_clISt17integral_constantIbLb0EESY_IbLb1EEEEDaSU_SV_EUlSU_E_NS1_11comp_targetILNS1_3genE8ELNS1_11target_archE1030ELNS1_3gpuE2ELNS1_3repE0EEENS1_30default_config_static_selectorELNS0_4arch9wavefront6targetE0EEEvT1_,@function
_ZN7rocprim17ROCPRIM_400000_NS6detail17trampoline_kernelINS0_14default_configENS1_27scan_by_key_config_selectorIxiEEZZNS1_16scan_by_key_implILNS1_25lookback_scan_determinismE0ELb1ES3_N6thrust23THRUST_200600_302600_NS6detail15normal_iteratorINS9_10device_ptrIxEEEESE_SE_iNS9_4plusIvEENS9_8equal_toIvEEiEE10hipError_tPvRmT2_T3_T4_T5_mT6_T7_P12ihipStream_tbENKUlT_T0_E_clISt17integral_constantIbLb0EESY_IbLb1EEEEDaSU_SV_EUlSU_E_NS1_11comp_targetILNS1_3genE8ELNS1_11target_archE1030ELNS1_3gpuE2ELNS1_3repE0EEENS1_30default_config_static_selectorELNS0_4arch9wavefront6targetE0EEEvT1_: ; @_ZN7rocprim17ROCPRIM_400000_NS6detail17trampoline_kernelINS0_14default_configENS1_27scan_by_key_config_selectorIxiEEZZNS1_16scan_by_key_implILNS1_25lookback_scan_determinismE0ELb1ES3_N6thrust23THRUST_200600_302600_NS6detail15normal_iteratorINS9_10device_ptrIxEEEESE_SE_iNS9_4plusIvEENS9_8equal_toIvEEiEE10hipError_tPvRmT2_T3_T4_T5_mT6_T7_P12ihipStream_tbENKUlT_T0_E_clISt17integral_constantIbLb0EESY_IbLb1EEEEDaSU_SV_EUlSU_E_NS1_11comp_targetILNS1_3genE8ELNS1_11target_archE1030ELNS1_3gpuE2ELNS1_3repE0EEENS1_30default_config_static_selectorELNS0_4arch9wavefront6targetE0EEEvT1_
; %bb.0:
	s_clause 0x2
	s_load_dword s22, s[4:5], 0x20
	s_load_dwordx4 s[16:19], s[4:5], 0x28
	s_load_dwordx2 s[20:21], s[4:5], 0x38
	v_cmp_ne_u32_e64 s1, 0, v0
	v_cmp_eq_u32_e64 s0, 0, v0
	s_and_saveexec_b32 s2, s0
	s_cbranch_execz .LBB1040_4
; %bb.1:
	s_mov_b32 s6, exec_lo
	s_mov_b32 s3, exec_lo
	v_mbcnt_lo_u32_b32 v1, s6, 0
                                        ; implicit-def: $vgpr2
	v_cmpx_eq_u32_e32 0, v1
	s_cbranch_execz .LBB1040_3
; %bb.2:
	s_load_dwordx2 s[8:9], s[4:5], 0x68
	s_bcnt1_i32_b32 s6, s6
	v_mov_b32_e32 v2, 0
	v_mov_b32_e32 v3, s6
	s_waitcnt lgkmcnt(0)
	global_atomic_add v2, v2, v3, s[8:9] glc
.LBB1040_3:
	s_or_b32 exec_lo, exec_lo, s3
	s_waitcnt vmcnt(0)
	v_readfirstlane_b32 s3, v2
	v_mov_b32_e32 v2, 0
	v_add_nc_u32_e32 v1, s3, v1
	ds_write_b32 v2, v1
.LBB1040_4:
	s_or_b32 exec_lo, exec_lo, s2
	v_mov_b32_e32 v2, 0
	s_clause 0x2
	s_load_dwordx8 s[8:15], s[4:5], 0x0
	s_load_dword s2, s[4:5], 0x40
	s_load_dwordx4 s[4:7], s[4:5], 0x48
	s_waitcnt lgkmcnt(0)
	s_barrier
	buffer_gl0_inv
	ds_read_b32 v5, v2
	s_waitcnt lgkmcnt(0)
	s_barrier
	buffer_gl0_inv
	s_barrier
	buffer_gl0_inv
	s_lshl_b64 s[10:11], s[10:11], 3
	s_mul_i32 s3, s21, s2
	s_add_u32 s8, s8, s10
	s_mul_hi_u32 s19, s20, s2
	s_mul_i32 s2, s20, s2
	s_addc_u32 s9, s9, s11
	v_mul_lo_u32 v1, 0x300, v5
	s_add_u32 s12, s12, s10
	s_addc_u32 s23, s13, s11
	s_add_i32 s19, s19, s3
	v_add_co_u32 v3, s2, s2, v5
	v_add_co_ci_u32_e64 v4, null, s19, 0, s2
	v_lshlrev_b64 v[9:10], 3, v[1:2]
	s_add_u32 s4, s4, -1
	s_addc_u32 s5, s5, -1
	v_readfirstlane_b32 s13, v5
	v_cmp_le_u64_e64 s2, s[4:5], v[3:4]
	v_add_co_u32 v15, vcc_lo, s8, v9
	v_add_co_ci_u32_e64 v16, null, s9, v10, vcc_lo
	v_add_co_u32 v23, vcc_lo, s12, v9
	v_add_co_ci_u32_e64 v24, null, s23, v10, vcc_lo
	s_and_b32 vcc_lo, exec_lo, s2
	s_mul_i32 s12, s4, 0xfffffd00
	s_cbranch_vccz .LBB1040_24
; %bb.5:
	flat_load_dwordx2 v[1:2], v[15:16]
	s_add_i32 s8, s12, s18
	v_cmp_gt_u32_e32 vcc_lo, s8, v0
	s_waitcnt vmcnt(0) lgkmcnt(0)
	v_mov_b32_e32 v4, v2
	v_mov_b32_e32 v3, v1
	s_and_saveexec_b32 s4, vcc_lo
	s_cbranch_execz .LBB1040_7
; %bb.6:
	v_lshlrev_b32_e32 v3, 3, v0
	v_add_co_u32 v3, s3, v15, v3
	v_add_co_ci_u32_e64 v4, null, 0, v16, s3
	flat_load_dwordx2 v[3:4], v[3:4]
.LBB1040_7:
	s_or_b32 exec_lo, exec_lo, s4
	v_or_b32_e32 v5, 0x100, v0
	v_cmp_gt_u32_e64 s3, s8, v5
	v_lshlrev_b32_e32 v12, 3, v5
	v_mov_b32_e32 v6, v2
	v_mov_b32_e32 v5, v1
	s_and_saveexec_b32 s5, s3
	s_cbranch_execz .LBB1040_9
; %bb.8:
	v_add_co_u32 v5, s4, v15, v12
	v_add_co_ci_u32_e64 v6, null, 0, v16, s4
	flat_load_dwordx2 v[5:6], v[5:6]
.LBB1040_9:
	s_or_b32 exec_lo, exec_lo, s5
	v_or_b32_e32 v7, 0x200, v0
	v_cmp_gt_u32_e64 s4, s8, v7
	v_lshlrev_b32_e32 v11, 3, v7
	s_and_saveexec_b32 s9, s4
	s_cbranch_execz .LBB1040_11
; %bb.10:
	v_add_co_u32 v1, s5, v15, v11
	v_add_co_ci_u32_e64 v2, null, 0, v16, s5
	flat_load_dwordx2 v[1:2], v[1:2]
.LBB1040_11:
	s_or_b32 exec_lo, exec_lo, s9
	v_lshlrev_b32_e32 v8, 3, v0
	s_mov_b32 s9, exec_lo
	s_waitcnt vmcnt(0) lgkmcnt(0)
	ds_write2st64_b64 v8, v[3:4], v[5:6] offset1:4
	ds_write_b64 v8, v[1:2] offset:4096
	s_waitcnt lgkmcnt(0)
	s_barrier
	buffer_gl0_inv
	flat_load_dwordx2 v[17:18], v[15:16]
	v_lshl_add_u32 v1, v0, 4, v8
	ds_read_b64 v[21:22], v1
	ds_read2_b64 v[1:4], v1 offset0:1 offset1:2
	s_waitcnt lgkmcnt(1)
	ds_write_b64 v8, v[21:22] offset:8192
	s_waitcnt vmcnt(0) lgkmcnt(0)
	s_barrier
	buffer_gl0_inv
	v_cmpx_ne_u32_e32 0xff, v0
; %bb.12:
	ds_read_b64 v[17:18], v8 offset:8200
; %bb.13:
	s_or_b32 exec_lo, exec_lo, s9
	v_mov_b32_e32 v5, 0
	s_waitcnt lgkmcnt(0)
	s_barrier
	buffer_gl0_inv
	v_mov_b32_e32 v6, v5
	v_mov_b32_e32 v7, v5
	s_and_saveexec_b32 s5, vcc_lo
	s_cbranch_execnz .LBB1040_98
; %bb.14:
	s_or_b32 exec_lo, exec_lo, s5
	s_and_saveexec_b32 s5, s3
	s_cbranch_execnz .LBB1040_99
.LBB1040_15:
	s_or_b32 exec_lo, exec_lo, s5
	v_mul_u32_u24_e32 v25, 3, v0
	s_and_saveexec_b32 s3, s4
	s_cbranch_execz .LBB1040_17
.LBB1040_16:
	v_add_co_u32 v11, vcc_lo, v23, v11
	v_add_co_ci_u32_e64 v12, null, 0, v24, vcc_lo
	flat_load_dword v7, v[11:12]
.LBB1040_17:
	s_or_b32 exec_lo, exec_lo, s3
	v_lshlrev_b32_e32 v11, 2, v0
	v_mov_b32_e32 v19, 0
	v_mov_b32_e32 v13, 0
	;; [unrolled: 1-line block ×4, first 2 shown]
	v_sub_nc_u32_e32 v26, v8, v11
	v_mov_b32_e32 v11, 0
	v_mov_b32_e32 v12, 0
	s_mov_b32 s3, 0
	s_mov_b32 s9, 0
	s_mov_b32 s5, exec_lo
	s_waitcnt vmcnt(0) lgkmcnt(0)
	ds_write2st64_b32 v26, v5, v6 offset1:4
	ds_write_b32 v26, v7 offset:2048
	s_waitcnt lgkmcnt(0)
	s_barrier
	buffer_gl0_inv
                                        ; implicit-def: $sgpr4
                                        ; implicit-def: $vgpr5
	v_cmpx_gt_u32_e64 s8, v25
	s_cbranch_execz .LBB1040_23
; %bb.18:
	v_add_nc_u32_e32 v6, v26, v8
	v_cmp_ne_u64_e32 vcc_lo, v[21:22], v[1:2]
	v_mov_b32_e32 v19, 0
	v_add_nc_u32_e32 v7, 1, v25
	v_mov_b32_e32 v20, 0
	ds_read_b32 v5, v6
	s_mov_b32 s19, 0
	v_cndmask_b32_e64 v12, 0, 1, vcc_lo
	v_cmp_eq_u64_e32 vcc_lo, v[21:22], v[1:2]
	s_mov_b32 s9, exec_lo
                                        ; implicit-def: $sgpr4
	s_waitcnt lgkmcnt(0)
	v_cndmask_b32_e32 v11, s22, v5, vcc_lo
                                        ; implicit-def: $vgpr5
	v_cmpx_gt_u32_e64 s8, v7
	s_cbranch_execz .LBB1040_22
; %bb.19:
	ds_read2_b32 v[5:6], v6 offset0:1 offset1:2
	v_cmp_ne_u64_e32 vcc_lo, v[1:2], v[3:4]
	v_add_nc_u32_e32 v7, 2, v25
                                        ; implicit-def: $sgpr4
	v_cndmask_b32_e64 v20, 0, 1, vcc_lo
	v_cmp_eq_u64_e32 vcc_lo, v[1:2], v[3:4]
	s_waitcnt lgkmcnt(0)
	v_cndmask_b32_e32 v19, s22, v5, vcc_lo
	v_cmp_gt_u32_e32 vcc_lo, s8, v7
	s_mov_b32 s8, 0
                                        ; implicit-def: $vgpr5
	s_and_saveexec_b32 s19, vcc_lo
	s_xor_b32 s19, exec_lo, s19
; %bb.20:
	v_cmp_ne_u64_e64 s4, v[3:4], v[17:18]
	s_mov_b32 s8, exec_lo
	v_cndmask_b32_e64 v5, v6, s22, s4
; %bb.21:
	s_or_b32 exec_lo, exec_lo, s19
	s_and_b32 s19, s8, exec_lo
.LBB1040_22:
	s_or_b32 exec_lo, exec_lo, s9
	v_mov_b32_e32 v13, v19
	v_mov_b32_e32 v14, v20
	s_and_b32 s9, s19, exec_lo
.LBB1040_23:
	s_or_b32 exec_lo, exec_lo, s5
	v_lshlrev_b32_e32 v21, 3, v0
	s_and_b32 vcc_lo, exec_lo, s3
	s_cbranch_vccnz .LBB1040_25
	s_branch .LBB1040_28
.LBB1040_24:
	s_mov_b32 s9, 0
                                        ; implicit-def: $sgpr4
                                        ; implicit-def: $vgpr5
                                        ; implicit-def: $vgpr11_vgpr12
                                        ; implicit-def: $vgpr19_vgpr20
                                        ; implicit-def: $vgpr13_vgpr14
	v_lshlrev_b32_e32 v21, 3, v0
	s_cbranch_execz .LBB1040_28
.LBB1040_25:
	v_add_co_u32 v1, vcc_lo, v15, v21
	v_add_co_ci_u32_e64 v2, null, 0, v16, vcc_lo
	s_mov_b32 s3, exec_lo
	v_add_co_u32 v3, vcc_lo, 0x800, v1
	v_add_co_ci_u32_e64 v4, null, 0, v2, vcc_lo
	v_add_co_u32 v5, vcc_lo, 0x1000, v1
	v_add_co_ci_u32_e64 v6, null, 0, v2, vcc_lo
	s_clause 0x2
	flat_load_dwordx2 v[1:2], v[1:2]
	flat_load_dwordx2 v[3:4], v[3:4]
	;; [unrolled: 1-line block ×3, first 2 shown]
	v_add_co_u32 v7, vcc_lo, 0x1800, v15
	v_add_co_ci_u32_e64 v8, null, 0, v16, vcc_lo
	s_waitcnt vmcnt(1) lgkmcnt(1)
	ds_write2st64_b64 v21, v[1:2], v[3:4] offset1:4
	s_waitcnt vmcnt(0) lgkmcnt(1)
	ds_write_b64 v21, v[5:6] offset:4096
	s_waitcnt lgkmcnt(0)
	s_barrier
	buffer_gl0_inv
	flat_load_dwordx2 v[5:6], v[7:8]
	v_lshl_add_u32 v1, v0, 4, v21
	ds_read_b64 v[7:8], v1
	ds_read2_b64 v[1:4], v1 offset0:1 offset1:2
	s_waitcnt lgkmcnt(1)
	ds_write_b64 v21, v[7:8] offset:8192
	s_waitcnt vmcnt(0) lgkmcnt(0)
	s_barrier
	buffer_gl0_inv
	v_cmpx_ne_u32_e32 0xff, v0
; %bb.26:
	ds_read_b64 v[5:6], v21 offset:8200
; %bb.27:
	s_or_b32 exec_lo, exec_lo, s3
	v_add_co_u32 v11, vcc_lo, v23, v21
	v_add_co_ci_u32_e64 v12, null, 0, v24, vcc_lo
	s_waitcnt lgkmcnt(0)
	v_add_co_u32 v13, vcc_lo, 0x800, v11
	v_add_co_ci_u32_e64 v14, null, 0, v12, vcc_lo
	v_add_co_u32 v15, vcc_lo, 0x1000, v11
	v_add_co_ci_u32_e64 v16, null, 0, v12, vcc_lo
	s_barrier
	buffer_gl0_inv
	s_clause 0x2
	flat_load_dword v11, v[11:12]
	flat_load_dword v12, v[13:14]
	;; [unrolled: 1-line block ×3, first 2 shown]
	v_lshlrev_b32_e32 v14, 2, v0
	v_cmp_eq_u64_e32 vcc_lo, v[7:8], v[1:2]
	v_cmp_ne_u64_e64 s4, v[3:4], v[5:6]
	s_mov_b32 s9, -1
	v_sub_nc_u32_e32 v14, v21, v14
	s_waitcnt vmcnt(1) lgkmcnt(1)
	ds_write2st64_b32 v14, v11, v12 offset1:4
	s_waitcnt vmcnt(0) lgkmcnt(1)
	ds_write_b32 v14, v13 offset:2048
	v_lshl_add_u32 v15, v0, 3, v14
	s_waitcnt lgkmcnt(0)
	s_barrier
	buffer_gl0_inv
	ds_read2_b32 v[11:12], v15 offset1:1
	ds_read_b32 v13, v15 offset:8
	s_waitcnt lgkmcnt(1)
	v_cndmask_b32_e32 v11, s22, v11, vcc_lo
	v_cmp_eq_u64_e32 vcc_lo, v[1:2], v[3:4]
	s_waitcnt lgkmcnt(0)
	v_cndmask_b32_e64 v5, v13, s22, s4
	v_cndmask_b32_e32 v19, s22, v12, vcc_lo
	v_cmp_ne_u64_e32 vcc_lo, v[1:2], v[3:4]
	v_cndmask_b32_e64 v20, 0, 1, vcc_lo
	v_cmp_ne_u64_e32 vcc_lo, v[7:8], v[1:2]
	v_mov_b32_e32 v13, v19
	v_mov_b32_e32 v14, v20
	v_cndmask_b32_e64 v12, 0, 1, vcc_lo
.LBB1040_28:
	v_mov_b32_e32 v15, 0
	v_mov_b32_e32 v16, 0
	s_and_saveexec_b32 s3, s9
; %bb.29:
	v_cndmask_b32_e64 v6, 0, 1, s4
	v_mov_b32_e32 v13, v19
	v_mov_b32_e32 v14, v20
	v_mov_b32_e32 v16, v6
	v_mov_b32_e32 v15, v5
; %bb.30:
	s_or_b32 exec_lo, exec_lo, s3
	v_or_b32_e32 v22, v14, v16
	v_lshrrev_b32_e32 v20, 2, v0
	s_cmp_lg_u32 s13, 0
	s_mov_b32 s4, 0
	v_cmp_gt_u32_e32 vcc_lo, 32, v0
	s_barrier
	buffer_gl0_inv
	s_cbranch_scc0 .LBB1040_58
; %bb.31:
	s_mov_b32 s5, 1
	v_and_b32_e32 v2, 0xff, v22
	v_cmp_gt_u64_e64 s3, s[4:5], v[13:14]
	v_cmp_gt_u64_e64 s4, s[4:5], v[15:16]
	v_and_b32_e32 v4, 56, v20
	v_cndmask_b32_e64 v1, 0, v11, s3
	v_add_nc_u32_e32 v3, v1, v13
	v_mov_b32_e32 v1, 0
	v_cndmask_b32_e64 v3, 0, v3, s4
	v_cmp_eq_u64_e64 s4, 0, v[1:2]
	v_lshl_add_u32 v1, v0, 3, v4
	v_add_nc_u32_e32 v23, v3, v15
	v_cndmask_b32_e64 v24, 1, v12, s4
	ds_write_b8 v1, v24 offset:4
	ds_write_b32 v1, v23
	s_waitcnt lgkmcnt(0)
	s_barrier
	buffer_gl0_inv
	s_and_saveexec_b32 s5, vcc_lo
	s_cbranch_execz .LBB1040_41
; %bb.32:
	v_lshlrev_b32_e32 v1, 1, v0
	v_lshlrev_b32_e32 v2, 6, v0
	s_mov_b32 s8, exec_lo
	v_and_b32_e32 v1, 0x1f8, v1
	v_add_nc_u32_e32 v3, v1, v2
	ds_read_u8 v8, v3 offset:12
	ds_read_b64 v[1:2], v3
	ds_read2_b32 v[4:5], v3 offset0:2 offset1:4
	ds_read_u8 v17, v3 offset:20
	ds_read_u8 v18, v3 offset:28
	;; [unrolled: 1-line block ×5, first 2 shown]
	ds_read_b32 v27, v3 offset:56
	ds_read2_b32 v[6:7], v3 offset0:6 offset1:8
	s_waitcnt lgkmcnt(9)
	v_cmp_eq_u16_e64 s4, 0, v8
	s_waitcnt lgkmcnt(6)
	v_or_b32_e32 v8, v17, v8
	v_cndmask_b32_e64 v28, 0, v1, s4
	v_cmp_eq_u16_e64 s4, 0, v17
	ds_read_u8 v17, v3 offset:60
	s_waitcnt lgkmcnt(6)
	v_or_b32_e32 v8, v8, v18
	v_add_nc_u32_e32 v4, v28, v4
	v_cndmask_b32_e64 v4, 0, v4, s4
	v_cmp_eq_u16_e64 s4, 0, v18
	v_add_nc_u32_e32 v4, v4, v5
	v_cndmask_b32_e64 v28, 0, v4, s4
	ds_read2_b32 v[4:5], v3 offset0:10 offset1:12
	s_waitcnt lgkmcnt(6)
	v_cmp_eq_u16_e64 s4, 0, v19
	s_waitcnt lgkmcnt(2)
	v_add_nc_u32_e32 v6, v28, v6
	v_cndmask_b32_e64 v6, 0, v6, s4
	v_cmp_eq_u16_e64 s4, 0, v25
	v_add_nc_u32_e32 v6, v6, v7
	v_or_b32_e32 v7, v8, v19
	s_waitcnt lgkmcnt(1)
	v_and_b32_e32 v8, 1, v17
	v_cndmask_b32_e64 v6, 0, v6, s4
	v_or_b32_e32 v7, v7, v25
	v_cmp_eq_u16_e64 s4, 0, v26
	s_waitcnt lgkmcnt(0)
	v_add_nc_u32_e32 v6, v6, v4
	v_or_b32_e32 v7, v7, v26
	v_and_b32_e32 v4, 1, v2
	v_cndmask_b32_e64 v6, 0, v6, s4
	v_cmp_eq_u16_e64 s4, 0, v7
	v_add_nc_u32_e32 v6, v6, v5
	v_cndmask_b32_e64 v7, 1, v4, s4
	v_cmp_eq_u32_e64 s4, 1, v8
	v_and_b32_e32 v5, 0xffffff00, v2
	v_cndmask_b32_e64 v8, v7, 1, s4
	v_cmp_eq_u16_e64 s4, 0, v17
	v_mbcnt_lo_u32_b32 v7, -1, 0
	v_or_b32_sdwa v18, v5, v8 dst_sel:DWORD dst_unused:UNUSED_PAD src0_sel:DWORD src1_sel:WORD_0
	v_cndmask_b32_e64 v6, 0, v6, s4
	v_and_b32_e32 v17, 15, v7
	v_mov_b32_dpp v25, v18 row_shr:1 row_mask:0xf bank_mask:0xf
	v_add_nc_u32_e32 v6, v6, v27
	v_mov_b32_dpp v19, v6 row_shr:1 row_mask:0xf bank_mask:0xf
	v_cmpx_ne_u32_e32 0, v17
	s_cbranch_execz .LBB1040_34
; %bb.33:
	v_and_b32_e32 v18, 1, v8
	v_cmp_eq_u16_e64 s4, 0, v8
	v_and_b32_e32 v25, 1, v25
	v_cndmask_b32_e64 v8, 0, v19, s4
	v_cmp_eq_u32_e64 s4, 1, v18
	v_add_nc_u32_e32 v6, v8, v6
	v_cndmask_b32_e64 v19, v25, 1, s4
	v_or_b32_sdwa v18, v5, v19 dst_sel:DWORD dst_unused:UNUSED_PAD src0_sel:DWORD src1_sel:WORD_0
	v_mov_b32_e32 v8, v19
.LBB1040_34:
	s_or_b32 exec_lo, exec_lo, s8
	v_mov_b32_dpp v19, v6 row_shr:2 row_mask:0xf bank_mask:0xf
	v_mov_b32_dpp v25, v18 row_shr:2 row_mask:0xf bank_mask:0xf
	s_mov_b32 s8, exec_lo
	v_cmpx_lt_u32_e32 1, v17
	s_cbranch_execz .LBB1040_36
; %bb.35:
	v_and_b32_e32 v18, 1, v8
	v_cmp_eq_u16_e64 s4, 0, v8
	v_and_b32_e32 v25, 1, v25
	v_cndmask_b32_e64 v8, 0, v19, s4
	v_cmp_eq_u32_e64 s4, 1, v18
	v_add_nc_u32_e32 v6, v8, v6
	v_cndmask_b32_e64 v19, v25, 1, s4
	v_or_b32_sdwa v18, v5, v19 dst_sel:DWORD dst_unused:UNUSED_PAD src0_sel:DWORD src1_sel:WORD_0
	v_mov_b32_e32 v8, v19
.LBB1040_36:
	s_or_b32 exec_lo, exec_lo, s8
	v_mov_b32_dpp v19, v6 row_shr:4 row_mask:0xf bank_mask:0xf
	v_mov_b32_dpp v25, v18 row_shr:4 row_mask:0xf bank_mask:0xf
	s_mov_b32 s8, exec_lo
	v_cmpx_lt_u32_e32 3, v17
	;; [unrolled: 17-line block ×3, first 2 shown]
	s_cbranch_execz .LBB1040_40
; %bb.39:
	v_and_b32_e32 v17, 1, v8
	v_cmp_eq_u16_e64 s4, 0, v8
	v_and_b32_e32 v18, 1, v25
	v_cndmask_b32_e64 v8, 0, v19, s4
	v_cmp_eq_u32_e64 s4, 1, v17
	v_add_nc_u32_e32 v6, v8, v6
	v_cndmask_b32_e64 v17, v18, 1, s4
	v_or_b32_sdwa v18, v5, v17 dst_sel:DWORD dst_unused:UNUSED_PAD src0_sel:DWORD src1_sel:WORD_0
	v_mov_b32_e32 v8, v17
.LBB1040_40:
	s_or_b32 exec_lo, exec_lo, s8
	ds_swizzle_b32 v17, v18 offset:swizzle(BROADCAST,32,15)
	ds_swizzle_b32 v18, v6 offset:swizzle(BROADCAST,32,15)
	v_and_b32_e32 v26, 1, v8
	v_cmp_eq_u16_e64 s4, 0, v8
	v_add_nc_u32_e32 v27, -1, v7
	v_and_b32_e32 v19, 16, v7
	v_bfe_i32 v25, v7, 4, 1
	; wave barrier
	s_waitcnt lgkmcnt(1)
	v_and_b32_e32 v17, 1, v17
	s_waitcnt lgkmcnt(0)
	v_cndmask_b32_e64 v18, 0, v18, s4
	v_cmp_eq_u32_e64 s4, 1, v26
	v_and_b32_e32 v18, v25, v18
	v_cndmask_b32_e64 v17, v17, 1, s4
	v_cmp_gt_i32_e64 s4, 0, v27
	v_add_nc_u32_e32 v6, v18, v6
	v_cndmask_b32_e64 v7, v27, v7, s4
	v_cmp_eq_u32_e64 s4, 0, v19
	v_lshlrev_b32_e32 v7, 2, v7
	v_cndmask_b32_e64 v8, v17, v8, s4
	ds_bpermute_b32 v6, v7, v6
	v_or_b32_sdwa v5, v5, v8 dst_sel:DWORD dst_unused:UNUSED_PAD src0_sel:DWORD src1_sel:WORD_0
	ds_bpermute_b32 v5, v7, v5
	v_mov_b32_e32 v7, 0
	v_cmp_eq_u16_sdwa s4, v2, v7 src0_sel:BYTE_0 src1_sel:DWORD
	s_waitcnt lgkmcnt(1)
	v_cndmask_b32_e64 v2, 0, v6, s4
	v_cmp_eq_u32_e64 s4, 1, v4
	v_add_nc_u32_e32 v1, v2, v1
	s_waitcnt lgkmcnt(0)
	v_and_b32_e32 v5, 1, v5
	v_cndmask_b32_e64 v4, v1, v23, s0
	v_cndmask_b32_e64 v2, v5, 1, s4
	;; [unrolled: 1-line block ×3, first 2 shown]
	ds_write_b32 v3, v4
	ds_write_b8 v3, v6 offset:4
	; wave barrier
	ds_read_u8 v7, v3 offset:12
	ds_read2_b32 v[1:2], v3 offset0:2 offset1:4
	ds_read_u8 v8, v3 offset:20
	ds_read_u8 v17, v3 offset:28
	;; [unrolled: 1-line block ×5, first 2 shown]
	ds_read_b32 v26, v3 offset:56
	ds_read_u8 v27, v3 offset:60
	s_waitcnt lgkmcnt(8)
	v_cmp_eq_u16_e64 s4, 0, v7
	v_and_b32_e32 v7, 1, v7
	v_cndmask_b32_e64 v28, 0, v4, s4
	ds_read2_b32 v[4:5], v3 offset0:6 offset1:8
	s_waitcnt lgkmcnt(7)
	v_cmp_eq_u16_e64 s4, 0, v8
	v_and_b32_e32 v8, 1, v8
	s_waitcnt lgkmcnt(1)
	v_and_b32_e32 v31, 1, v27
	v_add_nc_u32_e32 v28, v28, v1
	v_cndmask_b32_e64 v1, 0, v28, s4
	v_cmp_eq_u16_e64 s4, 0, v17
	v_and_b32_e32 v17, 1, v17
	v_add_nc_u32_e32 v29, v1, v2
	ds_read2_b32 v[1:2], v3 offset0:10 offset1:12
	v_cndmask_b32_e64 v30, 0, v29, s4
	v_cmp_eq_u16_e64 s4, 0, v18
	v_and_b32_e32 v18, 1, v18
	s_waitcnt lgkmcnt(1)
	v_add_nc_u32_e32 v4, v30, v4
	v_cndmask_b32_e64 v30, 0, v4, s4
	v_cmp_eq_u32_e64 s4, 1, v7
	v_and_b32_e32 v7, 1, v19
	v_add_nc_u32_e32 v5, v30, v5
	v_cndmask_b32_e64 v6, v6, 1, s4
	v_cmp_eq_u16_e64 s4, 0, v19
	v_and_b32_e32 v30, 1, v25
	ds_write_b8 v3, v6 offset:12
	v_cndmask_b32_e64 v19, 0, v5, s4
	v_cmp_eq_u32_e64 s4, 1, v8
	s_waitcnt lgkmcnt(1)
	v_add_nc_u32_e32 v1, v19, v1
	v_cndmask_b32_e64 v8, v6, 1, s4
	v_cmp_eq_u32_e64 s4, 1, v17
	ds_write_b8 v3, v8 offset:20
	ds_write2_b32 v3, v28, v29 offset0:2 offset1:4
	v_cndmask_b32_e64 v17, v8, 1, s4
	v_cmp_eq_u16_e64 s4, 0, v25
	ds_write_b8 v3, v17 offset:28
	v_cndmask_b32_e64 v6, 0, v1, s4
	v_cmp_eq_u32_e64 s4, 1, v18
	v_add_nc_u32_e32 v2, v6, v2
	v_cndmask_b32_e64 v18, v17, 1, s4
	v_cmp_eq_u32_e64 s4, 1, v7
	v_cndmask_b32_e64 v6, v18, 1, s4
	v_cmp_eq_u16_e64 s4, 0, v27
	ds_write_b8 v3, v18 offset:36
	ds_write_b8 v3, v6 offset:44
	v_cndmask_b32_e64 v7, 0, v2, s4
	v_cmp_eq_u32_e64 s4, 1, v30
	v_cndmask_b32_e64 v8, v6, 1, s4
	v_cmp_eq_u32_e64 s4, 1, v31
	v_add_nc_u32_e32 v6, v7, v26
	v_cndmask_b32_e64 v7, v8, 1, s4
	ds_write_b8 v3, v8 offset:52
	ds_write2_b32 v3, v4, v5 offset0:6 offset1:8
	ds_write2_b32 v3, v1, v2 offset0:10 offset1:12
	ds_write_b32 v3, v6 offset:56
	ds_write_b8 v3, v7 offset:60
.LBB1040_41:
	s_or_b32 exec_lo, exec_lo, s5
	s_waitcnt lgkmcnt(0)
	s_barrier
	buffer_gl0_inv
	s_and_saveexec_b32 s4, s1
	s_cbranch_execz .LBB1040_43
; %bb.42:
	v_add_nc_u32_e32 v1, -1, v0
	v_lshrrev_b32_e32 v2, 2, v1
	v_and_b32_e32 v2, 0x3ffffff8, v2
	v_lshl_add_u32 v1, v1, 3, v2
	ds_read_b32 v23, v1
	ds_read_u8 v24, v1 offset:4
.LBB1040_43:
	s_or_b32 exec_lo, exec_lo, s4
	s_and_saveexec_b32 s19, vcc_lo
	s_cbranch_execz .LBB1040_63
; %bb.44:
	v_mov_b32_e32 v4, 0
	v_mbcnt_lo_u32_b32 v25, -1, 0
	s_mov_b32 s9, 0
	ds_read_b64 v[1:2], v4 offset:2096
	v_cmp_eq_u32_e64 s4, 0, v25
	s_and_saveexec_b32 s5, s4
	s_cbranch_execz .LBB1040_46
; %bb.45:
	s_add_i32 s8, s13, 32
	v_mov_b32_e32 v3, 1
	s_lshl_b64 s[8:9], s[8:9], 4
	s_add_u32 s8, s16, s8
	s_addc_u32 s9, s17, s9
	v_mov_b32_e32 v5, s8
	v_mov_b32_e32 v6, s9
	s_waitcnt lgkmcnt(0)
	;;#ASMSTART
	global_store_dwordx4 v[5:6], v[1:4] off	
s_waitcnt vmcnt(0)
	;;#ASMEND
.LBB1040_46:
	s_or_b32 exec_lo, exec_lo, s5
	v_xad_u32 v17, v25, -1, s13
	v_add_nc_u32_e32 v3, 32, v17
	v_lshlrev_b64 v[5:6], 4, v[3:4]
	v_add_co_u32 v18, vcc_lo, s16, v5
	v_add_co_ci_u32_e64 v19, null, s17, v6, vcc_lo
	;;#ASMSTART
	global_load_dwordx4 v[5:8], v[18:19] off glc dlc	
s_waitcnt vmcnt(0)
	;;#ASMEND
	v_and_b32_e32 v6, 0xff, v6
	v_cmp_eq_u16_sdwa s8, v7, v4 src0_sel:BYTE_0 src1_sel:DWORD
	s_and_saveexec_b32 s5, s8
	s_cbranch_execz .LBB1040_50
; %bb.47:
	v_mov_b32_e32 v3, 0
	s_mov_b32 s8, 0
.LBB1040_48:                            ; =>This Inner Loop Header: Depth=1
	;;#ASMSTART
	global_load_dwordx4 v[5:8], v[18:19] off glc dlc	
s_waitcnt vmcnt(0)
	;;#ASMEND
	v_cmp_ne_u16_sdwa s9, v7, v3 src0_sel:BYTE_0 src1_sel:DWORD
	s_or_b32 s8, s9, s8
	s_andn2_b32 exec_lo, exec_lo, s8
	s_cbranch_execnz .LBB1040_48
; %bb.49:
	s_or_b32 exec_lo, exec_lo, s8
	v_and_b32_e32 v6, 0xff, v6
.LBB1040_50:
	s_or_b32 exec_lo, exec_lo, s5
	v_cmp_ne_u32_e32 vcc_lo, 31, v25
	v_mov_b32_e32 v26, 2
	v_lshlrev_b32_e64 v27, v25, -1
	v_and_b32_e32 v8, 1, v6
	s_mov_b32 s8, 0
	v_add_co_ci_u32_e64 v3, null, 0, v25, vcc_lo
	v_cmp_eq_u16_sdwa s5, v7, v26 src0_sel:BYTE_0 src1_sel:DWORD
	v_cmp_eq_u32_e32 vcc_lo, 1, v8
	s_mov_b32 s9, 1
	v_lshlrev_b32_e32 v19, 2, v3
	v_add_nc_u32_e32 v35, 8, v25
	v_and_or_b32 v4, s5, v27, 0x80000000
	v_cmp_gt_u64_e64 s5, s[8:9], v[5:6]
	v_lshl_or_b32 v36, v25, 2, 64
	ds_bpermute_b32 v3, v19, v6
	ds_bpermute_b32 v18, v19, v5
	v_ffbl_b32_e32 v4, v4
	v_add_nc_u32_e32 v37, 16, v25
	s_waitcnt lgkmcnt(1)
	v_and_b32_e32 v3, 1, v3
	v_cndmask_b32_e64 v3, v3, 1, vcc_lo
	v_cmp_gt_u32_e32 vcc_lo, 30, v25
	v_and_b32_e32 v29, 0xffff, v3
	v_cndmask_b32_e64 v8, 0, 2, vcc_lo
	v_cmp_lt_u32_e32 vcc_lo, v25, v4
	v_add_lshl_u32 v28, v8, v25, 2
	v_cndmask_b32_e32 v8, v6, v29, vcc_lo
	v_cndmask_b32_e32 v3, v6, v3, vcc_lo
	s_and_b32 vcc_lo, vcc_lo, s5
	s_waitcnt lgkmcnt(0)
	v_cndmask_b32_e32 v6, 0, v18, vcc_lo
	ds_bpermute_b32 v29, v28, v8
	v_and_b32_e32 v18, 1, v3
	v_add_nc_u32_e32 v5, v6, v5
	v_cmp_eq_u32_e32 vcc_lo, 1, v18
	v_mov_b32_e32 v18, 0
	ds_bpermute_b32 v6, v28, v5
	v_cmp_eq_u16_sdwa s5, v3, v18 src0_sel:BYTE_0 src1_sel:DWORD
	s_waitcnt lgkmcnt(1)
	v_and_b32_e32 v30, 1, v29
	v_add_nc_u32_e32 v29, 2, v25
	v_cndmask_b32_e64 v31, v30, 1, vcc_lo
	v_cmp_gt_u32_e32 vcc_lo, 28, v25
	v_and_b32_e32 v32, 0xffff, v31
	v_cndmask_b32_e64 v30, 0, 4, vcc_lo
	v_cmp_gt_u32_e32 vcc_lo, v29, v4
	v_add_lshl_u32 v30, v30, v25, 2
	v_cndmask_b32_e32 v8, v32, v8, vcc_lo
	v_cndmask_b32_e32 v33, v31, v3, vcc_lo
	s_waitcnt lgkmcnt(0)
	v_cndmask_b32_e64 v3, 0, v6, s5
	v_add_nc_u32_e32 v31, 4, v25
	ds_bpermute_b32 v6, v30, v8
	v_and_b32_e32 v32, 1, v33
	v_cndmask_b32_e64 v3, v3, 0, vcc_lo
	v_cmp_eq_u16_sdwa s5, v33, v18 src0_sel:BYTE_0 src1_sel:DWORD
	v_cmp_eq_u32_e32 vcc_lo, 1, v32
	v_add_nc_u32_e32 v3, v3, v5
	ds_bpermute_b32 v5, v30, v3
	s_waitcnt lgkmcnt(1)
	v_and_b32_e32 v6, 1, v6
	v_cndmask_b32_e64 v6, v6, 1, vcc_lo
	v_cmp_gt_u32_e32 vcc_lo, 24, v25
	v_and_b32_e32 v34, 0xffff, v6
	v_cndmask_b32_e64 v32, 0, 8, vcc_lo
	v_cmp_gt_u32_e32 vcc_lo, v31, v4
	s_waitcnt lgkmcnt(0)
	v_cndmask_b32_e64 v5, 0, v5, s5
	v_add_lshl_u32 v32, v32, v25, 2
	v_cndmask_b32_e32 v8, v34, v8, vcc_lo
	v_cndmask_b32_e32 v6, v6, v33, vcc_lo
	v_cndmask_b32_e64 v5, v5, 0, vcc_lo
	ds_bpermute_b32 v33, v32, v8
	v_and_b32_e32 v34, 1, v6
	v_add_nc_u32_e32 v3, v5, v3
	v_cmp_eq_u32_e32 vcc_lo, 1, v34
	ds_bpermute_b32 v5, v32, v3
	s_waitcnt lgkmcnt(1)
	v_and_b32_e32 v33, 1, v33
	v_cndmask_b32_e64 v33, v33, 1, vcc_lo
	v_cmp_eq_u16_sdwa vcc_lo, v6, v18 src0_sel:BYTE_0 src1_sel:DWORD
	v_and_b32_e32 v34, 0xffff, v33
	s_waitcnt lgkmcnt(0)
	v_cndmask_b32_e32 v5, 0, v5, vcc_lo
	v_cmp_gt_u32_e32 vcc_lo, v35, v4
	v_cndmask_b32_e64 v5, v5, 0, vcc_lo
	v_cndmask_b32_e32 v8, v34, v8, vcc_lo
	v_cndmask_b32_e32 v6, v33, v6, vcc_lo
	v_add_nc_u32_e32 v3, v5, v3
	ds_bpermute_b32 v5, v36, v8
	v_and_b32_e32 v33, 1, v6
	v_cmp_eq_u16_sdwa vcc_lo, v6, v18 src0_sel:BYTE_0 src1_sel:DWORD
	ds_bpermute_b32 v8, v36, v3
	s_waitcnt lgkmcnt(1)
	v_and_b32_e32 v5, 1, v5
	s_waitcnt lgkmcnt(0)
	v_cndmask_b32_e32 v8, 0, v8, vcc_lo
	v_cmp_eq_u32_e32 vcc_lo, 1, v33
	v_cndmask_b32_e64 v5, v5, 1, vcc_lo
	v_cmp_gt_u32_e32 vcc_lo, v37, v4
	v_cndmask_b32_e32 v4, v5, v6, vcc_lo
	v_cndmask_b32_e64 v5, v8, 0, vcc_lo
	v_add_nc_u32_e32 v3, v5, v3
	s_branch .LBB1040_54
.LBB1040_51:                            ;   in Loop: Header=BB1040_54 Depth=1
	s_or_b32 exec_lo, exec_lo, s23
	v_and_b32_e32 v6, 0xff, v6
.LBB1040_52:                            ;   in Loop: Header=BB1040_54 Depth=1
	s_or_b32 exec_lo, exec_lo, s5
	ds_bpermute_b32 v3, v19, v6
	v_cmp_eq_u16_sdwa s5, v7, v26 src0_sel:BYTE_0 src1_sel:DWORD
	v_and_b32_e32 v4, 1, v6
	v_subrev_nc_u32_e32 v17, 32, v17
	v_and_or_b32 v8, s5, v27, 0x80000000
	v_cmp_eq_u32_e32 vcc_lo, 1, v4
	v_cmp_gt_u64_e64 s5, s[8:9], v[5:6]
	v_ffbl_b32_e32 v4, v8
	ds_bpermute_b32 v8, v19, v5
	s_waitcnt lgkmcnt(1)
	v_and_b32_e32 v3, 1, v3
	v_cndmask_b32_e64 v3, v3, 1, vcc_lo
	v_cmp_lt_u32_e32 vcc_lo, v25, v4
	v_and_b32_e32 v38, 0xffff, v3
	v_cndmask_b32_e32 v3, v6, v3, vcc_lo
	v_cndmask_b32_e32 v38, v6, v38, vcc_lo
	s_and_b32 vcc_lo, vcc_lo, s5
	v_cmp_eq_u16_sdwa s5, v3, v18 src0_sel:BYTE_0 src1_sel:DWORD
	s_waitcnt lgkmcnt(0)
	v_cndmask_b32_e32 v6, 0, v8, vcc_lo
	v_and_b32_e32 v8, 1, v3
	ds_bpermute_b32 v39, v28, v38
	v_add_nc_u32_e32 v5, v6, v5
	v_cmp_eq_u32_e32 vcc_lo, 1, v8
	ds_bpermute_b32 v6, v28, v5
	s_waitcnt lgkmcnt(1)
	v_and_b32_e32 v39, 1, v39
	v_cndmask_b32_e64 v8, v39, 1, vcc_lo
	v_cmp_gt_u32_e32 vcc_lo, v29, v4
	v_and_b32_e32 v39, 0xffff, v8
	v_cndmask_b32_e32 v8, v8, v3, vcc_lo
	s_waitcnt lgkmcnt(0)
	v_cndmask_b32_e64 v3, 0, v6, s5
	v_cndmask_b32_e32 v38, v39, v38, vcc_lo
	v_and_b32_e32 v39, 1, v8
	v_cndmask_b32_e64 v3, v3, 0, vcc_lo
	v_cmp_eq_u16_sdwa s5, v8, v18 src0_sel:BYTE_0 src1_sel:DWORD
	ds_bpermute_b32 v6, v30, v38
	v_cmp_eq_u32_e32 vcc_lo, 1, v39
	v_add_nc_u32_e32 v3, v3, v5
	ds_bpermute_b32 v5, v30, v3
	s_waitcnt lgkmcnt(1)
	v_and_b32_e32 v6, 1, v6
	v_cndmask_b32_e64 v6, v6, 1, vcc_lo
	v_cmp_gt_u32_e32 vcc_lo, v31, v4
	s_waitcnt lgkmcnt(0)
	v_cndmask_b32_e64 v5, 0, v5, s5
	s_mov_b32 s5, 0
	v_and_b32_e32 v39, 0xffff, v6
	v_cndmask_b32_e32 v6, v6, v8, vcc_lo
	v_cndmask_b32_e64 v5, v5, 0, vcc_lo
	v_cndmask_b32_e32 v8, v39, v38, vcc_lo
	v_and_b32_e32 v39, 1, v6
	v_add_nc_u32_e32 v3, v5, v3
	ds_bpermute_b32 v38, v32, v8
	v_cmp_eq_u32_e32 vcc_lo, 1, v39
	ds_bpermute_b32 v5, v32, v3
	s_waitcnt lgkmcnt(1)
	v_and_b32_e32 v38, 1, v38
	v_cndmask_b32_e64 v38, v38, 1, vcc_lo
	v_cmp_eq_u16_sdwa vcc_lo, v6, v18 src0_sel:BYTE_0 src1_sel:DWORD
	v_and_b32_e32 v39, 0xffff, v38
	s_waitcnt lgkmcnt(0)
	v_cndmask_b32_e32 v5, 0, v5, vcc_lo
	v_cmp_gt_u32_e32 vcc_lo, v35, v4
	v_cndmask_b32_e64 v5, v5, 0, vcc_lo
	v_cndmask_b32_e32 v8, v39, v8, vcc_lo
	v_cndmask_b32_e32 v6, v38, v6, vcc_lo
	v_add_nc_u32_e32 v3, v5, v3
	ds_bpermute_b32 v5, v36, v8
	v_and_b32_e32 v38, 1, v6
	ds_bpermute_b32 v8, v36, v3
	v_cmp_eq_u32_e32 vcc_lo, 1, v38
	s_waitcnt lgkmcnt(1)
	v_cndmask_b32_e64 v5, v5, 1, vcc_lo
	v_cmp_eq_u16_sdwa vcc_lo, v6, v18 src0_sel:BYTE_0 src1_sel:DWORD
	s_waitcnt lgkmcnt(0)
	v_cndmask_b32_e32 v8, 0, v8, vcc_lo
	v_cmp_gt_u32_e32 vcc_lo, v37, v4
	v_cndmask_b32_e32 v4, v5, v6, vcc_lo
	v_cndmask_b32_e64 v5, v8, 0, vcc_lo
	v_cmp_eq_u16_sdwa vcc_lo, v33, v18 src0_sel:BYTE_0 src1_sel:DWORD
	v_and_b32_e32 v4, 1, v4
	v_add_nc_u32_e32 v3, v5, v3
	v_and_b32_e32 v5, 1, v33
	v_cndmask_b32_e32 v3, 0, v3, vcc_lo
	v_cmp_eq_u32_e32 vcc_lo, 1, v5
	v_add_nc_u32_e32 v3, v3, v34
	v_cndmask_b32_e64 v4, v4, 1, vcc_lo
.LBB1040_53:                            ;   in Loop: Header=BB1040_54 Depth=1
	s_and_b32 vcc_lo, exec_lo, s5
	s_cbranch_vccnz .LBB1040_59
.LBB1040_54:                            ; =>This Loop Header: Depth=1
                                        ;     Child Loop BB1040_57 Depth 2
	v_cmp_ne_u16_sdwa s5, v7, v26 src0_sel:BYTE_0 src1_sel:DWORD
	v_mov_b32_e32 v33, v4
	v_mov_b32_e32 v34, v3
                                        ; implicit-def: $vgpr4
                                        ; implicit-def: $vgpr3
                                        ; implicit-def: $vgpr7
	s_cmp_lg_u32 s5, exec_lo
	s_mov_b32 s5, -1
	s_cbranch_scc1 .LBB1040_53
; %bb.55:                               ;   in Loop: Header=BB1040_54 Depth=1
	v_lshlrev_b64 v[3:4], 4, v[17:18]
	v_add_co_u32 v3, vcc_lo, s16, v3
	v_add_co_ci_u32_e64 v4, null, s17, v4, vcc_lo
	;;#ASMSTART
	global_load_dwordx4 v[5:8], v[3:4] off glc dlc	
s_waitcnt vmcnt(0)
	;;#ASMEND
	v_and_b32_e32 v6, 0xff, v6
	v_cmp_eq_u16_sdwa s23, v7, v18 src0_sel:BYTE_0 src1_sel:DWORD
	s_and_saveexec_b32 s5, s23
	s_cbranch_execz .LBB1040_52
; %bb.56:                               ;   in Loop: Header=BB1040_54 Depth=1
	s_mov_b32 s23, 0
.LBB1040_57:                            ;   Parent Loop BB1040_54 Depth=1
                                        ; =>  This Inner Loop Header: Depth=2
	;;#ASMSTART
	global_load_dwordx4 v[5:8], v[3:4] off glc dlc	
s_waitcnt vmcnt(0)
	;;#ASMEND
	v_cmp_ne_u16_sdwa s24, v7, v18 src0_sel:BYTE_0 src1_sel:DWORD
	s_or_b32 s23, s24, s23
	s_andn2_b32 exec_lo, exec_lo, s23
	s_cbranch_execnz .LBB1040_57
	s_branch .LBB1040_51
.LBB1040_58:
                                        ; implicit-def: $vgpr5
                                        ; implicit-def: $vgpr6
                                        ; implicit-def: $vgpr17
	s_cbranch_execnz .LBB1040_64
	s_branch .LBB1040_81
.LBB1040_59:
	s_and_saveexec_b32 s5, s4
	s_cbranch_execz .LBB1040_61
; %bb.60:
	v_mov_b32_e32 v4, 0
	v_and_b32_e32 v3, 1, v2
	s_mov_b32 s9, 0
	s_add_i32 s8, s13, 32
	v_and_b32_e32 v5, 1, v33
	v_cmp_eq_u32_sdwa vcc_lo, v2, v4 src0_sel:BYTE_0 src1_sel:DWORD
	s_lshl_b64 s[8:9], s[8:9], 4
	s_add_u32 s8, s16, s8
	s_addc_u32 s9, s17, s9
	v_cndmask_b32_e32 v2, 0, v34, vcc_lo
	v_cmp_eq_u32_e32 vcc_lo, 1, v3
	v_mov_b32_e32 v3, 2
	v_add_nc_u32_e32 v1, v2, v1
	v_cndmask_b32_e64 v2, v5, 1, vcc_lo
	v_mov_b32_e32 v5, s8
	v_mov_b32_e32 v6, s9
	;;#ASMSTART
	global_store_dwordx4 v[5:6], v[1:4] off	
s_waitcnt vmcnt(0)
	;;#ASMEND
.LBB1040_61:
	s_or_b32 exec_lo, exec_lo, s5
	s_and_b32 exec_lo, exec_lo, s0
	s_cbranch_execz .LBB1040_63
; %bb.62:
	v_mov_b32_e32 v1, 0
	ds_write_b32 v1, v34
	ds_write_b8 v1, v33 offset:4
.LBB1040_63:
	s_or_b32 exec_lo, exec_lo, s19
	v_mov_b32_e32 v1, 0
	s_waitcnt lgkmcnt(0)
	s_barrier
	buffer_gl0_inv
	ds_read_b32 v3, v1
	v_cmp_eq_u16_sdwa vcc_lo, v24, v1 src0_sel:BYTE_0 src1_sel:DWORD
	s_waitcnt lgkmcnt(0)
	v_cndmask_b32_e32 v2, 0, v3, vcc_lo
	v_add_nc_u32_e32 v4, v2, v23
	v_and_b32_e32 v2, 0xff, v12
	v_cndmask_b32_e64 v5, v4, v3, s0
	v_cmp_eq_u64_e32 vcc_lo, 0, v[1:2]
	v_cndmask_b32_e32 v1, 0, v5, vcc_lo
	v_add_nc_u32_e32 v6, v1, v11
	v_cndmask_b32_e64 v1, 0, v6, s3
	v_add_nc_u32_e32 v17, v1, v13
	s_branch .LBB1040_81
.LBB1040_64:
	s_cmp_eq_u64 s[20:21], 0
	v_mov_b32_e32 v3, s22
	s_cselect_b32 s3, -1, 0
	s_cmp_eq_u64 s[6:7], 0
	s_cselect_b32 s4, -1, 0
	s_or_b32 s3, s3, s4
	s_and_b32 vcc_lo, exec_lo, s3
	s_cbranch_vccnz .LBB1040_66
; %bb.65:
	v_mov_b32_e32 v1, 0
	global_load_dword v3, v1, s[6:7]
.LBB1040_66:
	s_mov_b32 s4, 0
	s_mov_b32 s5, 1
	v_and_b32_e32 v2, 0xff, v22
	v_cmp_gt_u64_e32 vcc_lo, s[4:5], v[13:14]
	v_cmp_gt_u64_e64 s3, s[4:5], v[15:16]
	v_and_b32_e32 v6, 56, v20
	s_mov_b32 s4, exec_lo
	v_cndmask_b32_e32 v1, 0, v11, vcc_lo
	v_add_nc_u32_e32 v4, v1, v13
	v_mov_b32_e32 v1, 0
	v_cndmask_b32_e64 v4, 0, v4, s3
	v_cmp_eq_u64_e64 s3, 0, v[1:2]
	v_lshl_add_u32 v1, v0, 3, v6
	v_add_nc_u32_e32 v6, v4, v15
	v_cndmask_b32_e64 v5, 1, v12, s3
	ds_write_b8 v1, v5 offset:4
	ds_write_b32 v1, v6
	s_waitcnt vmcnt(0) lgkmcnt(0)
	s_barrier
	buffer_gl0_inv
	v_cmpx_gt_u32_e32 32, v0
	s_cbranch_execz .LBB1040_76
; %bb.67:
	v_lshlrev_b32_e32 v1, 1, v0
	v_lshlrev_b32_e32 v2, 6, v0
	s_mov_b32 s5, exec_lo
	v_and_b32_e32 v1, 0x1f8, v1
	v_add_nc_u32_e32 v4, v1, v2
	ds_read_u8 v16, v4 offset:12
	ds_read_b64 v[1:2], v4
	ds_read2_b32 v[7:8], v4 offset0:2 offset1:4
	ds_read_u8 v17, v4 offset:20
	ds_read_u8 v18, v4 offset:28
	;; [unrolled: 1-line block ×5, first 2 shown]
	ds_read_b32 v23, v4 offset:56
	ds_read2_b32 v[14:15], v4 offset0:6 offset1:8
	s_waitcnt lgkmcnt(9)
	v_cmp_eq_u16_e64 s3, 0, v16
	s_waitcnt lgkmcnt(6)
	v_or_b32_e32 v16, v17, v16
	v_cndmask_b32_e64 v24, 0, v1, s3
	v_cmp_eq_u16_e64 s3, 0, v17
	ds_read_u8 v17, v4 offset:60
	s_waitcnt lgkmcnt(6)
	v_or_b32_e32 v16, v16, v18
	v_add_nc_u32_e32 v7, v24, v7
	v_cndmask_b32_e64 v7, 0, v7, s3
	v_cmp_eq_u16_e64 s3, 0, v18
	v_add_nc_u32_e32 v7, v7, v8
	v_cndmask_b32_e64 v24, 0, v7, s3
	ds_read2_b32 v[7:8], v4 offset0:10 offset1:12
	s_waitcnt lgkmcnt(6)
	v_cmp_eq_u16_e64 s3, 0, v19
	s_waitcnt lgkmcnt(2)
	v_add_nc_u32_e32 v14, v24, v14
	v_cndmask_b32_e64 v14, 0, v14, s3
	v_cmp_eq_u16_e64 s3, 0, v20
	v_add_nc_u32_e32 v14, v14, v15
	v_or_b32_e32 v15, v16, v19
	s_waitcnt lgkmcnt(1)
	v_and_b32_e32 v16, 1, v17
	v_cndmask_b32_e64 v14, 0, v14, s3
	v_or_b32_e32 v15, v15, v20
	v_cmp_eq_u16_e64 s3, 0, v22
	s_waitcnt lgkmcnt(0)
	v_add_nc_u32_e32 v14, v14, v7
	v_or_b32_e32 v15, v15, v22
	v_and_b32_e32 v7, 1, v2
	v_cndmask_b32_e64 v14, 0, v14, s3
	v_cmp_eq_u16_e64 s3, 0, v15
	v_add_nc_u32_e32 v14, v14, v8
	v_cndmask_b32_e64 v15, 1, v7, s3
	v_cmp_eq_u32_e64 s3, 1, v16
	v_and_b32_e32 v8, 0xffffff00, v2
	v_cndmask_b32_e64 v16, v15, 1, s3
	v_cmp_eq_u16_e64 s3, 0, v17
	v_mbcnt_lo_u32_b32 v15, -1, 0
	v_or_b32_sdwa v18, v8, v16 dst_sel:DWORD dst_unused:UNUSED_PAD src0_sel:DWORD src1_sel:WORD_0
	v_cndmask_b32_e64 v14, 0, v14, s3
	v_and_b32_e32 v17, 15, v15
	v_mov_b32_dpp v20, v18 row_shr:1 row_mask:0xf bank_mask:0xf
	v_add_nc_u32_e32 v14, v14, v23
	v_mov_b32_dpp v19, v14 row_shr:1 row_mask:0xf bank_mask:0xf
	v_cmpx_ne_u32_e32 0, v17
	s_cbranch_execz .LBB1040_69
; %bb.68:
	v_and_b32_e32 v18, 1, v16
	v_cmp_eq_u16_e64 s3, 0, v16
	v_and_b32_e32 v20, 1, v20
	v_cndmask_b32_e64 v16, 0, v19, s3
	v_cmp_eq_u32_e64 s3, 1, v18
	v_add_nc_u32_e32 v14, v16, v14
	v_cndmask_b32_e64 v19, v20, 1, s3
	v_or_b32_sdwa v18, v8, v19 dst_sel:DWORD dst_unused:UNUSED_PAD src0_sel:DWORD src1_sel:WORD_0
	v_mov_b32_e32 v16, v19
.LBB1040_69:
	s_or_b32 exec_lo, exec_lo, s5
	v_mov_b32_dpp v19, v14 row_shr:2 row_mask:0xf bank_mask:0xf
	v_mov_b32_dpp v20, v18 row_shr:2 row_mask:0xf bank_mask:0xf
	s_mov_b32 s5, exec_lo
	v_cmpx_lt_u32_e32 1, v17
	s_cbranch_execz .LBB1040_71
; %bb.70:
	v_and_b32_e32 v18, 1, v16
	v_cmp_eq_u16_e64 s3, 0, v16
	v_and_b32_e32 v20, 1, v20
	v_cndmask_b32_e64 v16, 0, v19, s3
	v_cmp_eq_u32_e64 s3, 1, v18
	v_add_nc_u32_e32 v14, v16, v14
	v_cndmask_b32_e64 v19, v20, 1, s3
	v_or_b32_sdwa v18, v8, v19 dst_sel:DWORD dst_unused:UNUSED_PAD src0_sel:DWORD src1_sel:WORD_0
	v_mov_b32_e32 v16, v19
.LBB1040_71:
	s_or_b32 exec_lo, exec_lo, s5
	v_mov_b32_dpp v19, v14 row_shr:4 row_mask:0xf bank_mask:0xf
	v_mov_b32_dpp v20, v18 row_shr:4 row_mask:0xf bank_mask:0xf
	s_mov_b32 s5, exec_lo
	v_cmpx_lt_u32_e32 3, v17
	;; [unrolled: 17-line block ×3, first 2 shown]
	s_cbranch_execz .LBB1040_75
; %bb.74:
	v_and_b32_e32 v17, 1, v16
	v_cmp_eq_u16_e64 s3, 0, v16
	v_and_b32_e32 v18, 1, v20
	v_cndmask_b32_e64 v16, 0, v19, s3
	v_cmp_eq_u32_e64 s3, 1, v17
	v_add_nc_u32_e32 v14, v16, v14
	v_cndmask_b32_e64 v17, v18, 1, s3
	v_or_b32_sdwa v18, v8, v17 dst_sel:DWORD dst_unused:UNUSED_PAD src0_sel:DWORD src1_sel:WORD_0
	v_mov_b32_e32 v16, v17
.LBB1040_75:
	s_or_b32 exec_lo, exec_lo, s5
	ds_swizzle_b32 v17, v18 offset:swizzle(BROADCAST,32,15)
	ds_swizzle_b32 v18, v14 offset:swizzle(BROADCAST,32,15)
	v_and_b32_e32 v22, 1, v16
	v_cmp_eq_u16_e64 s3, 0, v16
	v_add_nc_u32_e32 v23, -1, v15
	v_and_b32_e32 v19, 16, v15
	v_bfe_i32 v20, v15, 4, 1
	; wave barrier
	s_waitcnt lgkmcnt(1)
	v_and_b32_e32 v17, 1, v17
	s_waitcnt lgkmcnt(0)
	v_cndmask_b32_e64 v18, 0, v18, s3
	v_cmp_eq_u32_e64 s3, 1, v22
	v_and_b32_e32 v18, v20, v18
	v_cndmask_b32_e64 v17, v17, 1, s3
	v_cmp_gt_i32_e64 s3, 0, v23
	v_add_nc_u32_e32 v14, v18, v14
	v_cndmask_b32_e64 v15, v23, v15, s3
	v_cmp_eq_u32_e64 s3, 0, v19
	v_lshlrev_b32_e32 v15, 2, v15
	v_cndmask_b32_e64 v16, v17, v16, s3
	ds_bpermute_b32 v14, v15, v14
	v_or_b32_sdwa v8, v8, v16 dst_sel:DWORD dst_unused:UNUSED_PAD src0_sel:DWORD src1_sel:WORD_0
	ds_bpermute_b32 v8, v15, v8
	v_mov_b32_e32 v15, 0
	v_cmp_eq_u16_sdwa s3, v2, v15 src0_sel:BYTE_0 src1_sel:DWORD
	s_waitcnt lgkmcnt(1)
	v_cndmask_b32_e64 v2, 0, v14, s3
	v_cmp_eq_u32_e64 s3, 1, v7
	v_add_nc_u32_e32 v1, v2, v1
	s_waitcnt lgkmcnt(0)
	v_and_b32_e32 v8, 1, v8
	v_cndmask_b32_e64 v6, v1, v6, s0
	v_cndmask_b32_e64 v2, v8, 1, s3
	;; [unrolled: 1-line block ×3, first 2 shown]
	ds_write_b32 v4, v6
	ds_write_b8 v4, v7 offset:4
	; wave barrier
	ds_read_u8 v8, v4 offset:12
	ds_read2_b32 v[1:2], v4 offset0:2 offset1:4
	ds_read_u8 v14, v4 offset:20
	ds_read_u8 v15, v4 offset:28
	;; [unrolled: 1-line block ×5, first 2 shown]
	ds_read_b32 v19, v4 offset:56
	ds_read_u8 v20, v4 offset:60
	s_waitcnt lgkmcnt(8)
	v_cmp_eq_u16_e64 s3, 0, v8
	v_and_b32_e32 v8, 1, v8
	v_cndmask_b32_e64 v22, 0, v6, s3
	ds_read2_b32 v[5:6], v4 offset0:6 offset1:8
	s_waitcnt lgkmcnt(7)
	v_cmp_eq_u16_e64 s3, 0, v14
	v_and_b32_e32 v14, 1, v14
	s_waitcnt lgkmcnt(1)
	v_and_b32_e32 v25, 1, v20
	v_add_nc_u32_e32 v22, v22, v1
	v_cndmask_b32_e64 v1, 0, v22, s3
	v_cmp_eq_u16_e64 s3, 0, v15
	v_and_b32_e32 v15, 1, v15
	v_add_nc_u32_e32 v23, v1, v2
	ds_read2_b32 v[1:2], v4 offset0:10 offset1:12
	v_cndmask_b32_e64 v24, 0, v23, s3
	v_cmp_eq_u16_e64 s3, 0, v16
	v_and_b32_e32 v16, 1, v16
	s_waitcnt lgkmcnt(1)
	v_add_nc_u32_e32 v5, v24, v5
	v_cndmask_b32_e64 v24, 0, v5, s3
	v_cmp_eq_u32_e64 s3, 1, v8
	v_and_b32_e32 v8, 1, v17
	v_add_nc_u32_e32 v6, v24, v6
	v_cndmask_b32_e64 v7, v7, 1, s3
	v_cmp_eq_u16_e64 s3, 0, v17
	v_and_b32_e32 v24, 1, v18
	ds_write_b8 v4, v7 offset:12
	v_cndmask_b32_e64 v17, 0, v6, s3
	v_cmp_eq_u32_e64 s3, 1, v14
	s_waitcnt lgkmcnt(1)
	v_add_nc_u32_e32 v1, v17, v1
	v_cndmask_b32_e64 v14, v7, 1, s3
	v_cmp_eq_u32_e64 s3, 1, v15
	ds_write_b8 v4, v14 offset:20
	ds_write2_b32 v4, v22, v23 offset0:2 offset1:4
	v_cndmask_b32_e64 v15, v14, 1, s3
	v_cmp_eq_u16_e64 s3, 0, v18
	ds_write_b8 v4, v15 offset:28
	v_cndmask_b32_e64 v7, 0, v1, s3
	v_cmp_eq_u32_e64 s3, 1, v16
	v_add_nc_u32_e32 v2, v7, v2
	v_cndmask_b32_e64 v16, v15, 1, s3
	v_cmp_eq_u32_e64 s3, 1, v8
	v_cndmask_b32_e64 v7, v16, 1, s3
	v_cmp_eq_u16_e64 s3, 0, v20
	ds_write_b8 v4, v16 offset:36
	ds_write_b8 v4, v7 offset:44
	v_cndmask_b32_e64 v8, 0, v2, s3
	v_cmp_eq_u32_e64 s3, 1, v24
	v_cndmask_b32_e64 v14, v7, 1, s3
	v_cmp_eq_u32_e64 s3, 1, v25
	v_add_nc_u32_e32 v7, v8, v19
	v_cndmask_b32_e64 v8, v14, 1, s3
	ds_write_b8 v4, v14 offset:52
	ds_write2_b32 v4, v5, v6 offset0:6 offset1:8
	ds_write2_b32 v4, v1, v2 offset0:10 offset1:12
	ds_write_b32 v4, v7 offset:56
	ds_write_b8 v4, v8 offset:60
.LBB1040_76:
	s_or_b32 exec_lo, exec_lo, s4
	v_mov_b32_e32 v5, v3
	s_waitcnt lgkmcnt(0)
	s_barrier
	buffer_gl0_inv
	s_and_saveexec_b32 s3, s1
	s_cbranch_execz .LBB1040_78
; %bb.77:
	v_add_nc_u32_e32 v1, -1, v0
	v_lshrrev_b32_e32 v2, 2, v1
	v_and_b32_e32 v2, 0x3ffffff8, v2
	v_lshl_add_u32 v1, v1, 3, v2
	ds_read_u8 v2, v1 offset:4
	ds_read_b32 v1, v1
	s_waitcnt lgkmcnt(1)
	v_cmp_eq_u16_e64 s1, 0, v2
	v_cndmask_b32_e64 v2, 0, v3, s1
	s_waitcnt lgkmcnt(0)
	v_add_nc_u32_e32 v5, v2, v1
.LBB1040_78:
	s_or_b32 exec_lo, exec_lo, s3
	v_and_b32_e32 v2, 0xff, v12
	v_mov_b32_e32 v1, 0
	v_cmp_eq_u64_e64 s1, 0, v[1:2]
	v_cndmask_b32_e64 v2, 0, v5, s1
	v_add_nc_u32_e32 v6, v2, v11
	v_cndmask_b32_e32 v2, 0, v6, vcc_lo
	s_and_saveexec_b32 s1, s0
	s_cbranch_execz .LBB1040_80
; %bb.79:
	ds_read_u8 v4, v1 offset:2100
	ds_read_b32 v7, v1 offset:2096
	v_mov_b32_e32 v16, v1
	s_add_u32 s4, s16, 0x200
	s_addc_u32 s5, s17, 0
	v_mov_b32_e32 v17, v1
	s_waitcnt lgkmcnt(1)
	v_and_b32_e32 v15, 0xffff, v4
	v_cmp_eq_u64_e32 vcc_lo, 0, v[15:16]
	v_mov_b32_e32 v16, 2
	v_cndmask_b32_e32 v3, 0, v3, vcc_lo
	s_waitcnt lgkmcnt(0)
	v_add_nc_u32_e32 v14, v3, v7
	v_mov_b32_e32 v3, s4
	v_mov_b32_e32 v4, s5
	;;#ASMSTART
	global_store_dwordx4 v[3:4], v[14:17] off	
s_waitcnt vmcnt(0)
	;;#ASMEND
.LBB1040_80:
	s_or_b32 exec_lo, exec_lo, s1
	v_add_nc_u32_e32 v17, v2, v13
.LBB1040_81:
	s_add_u32 s0, s14, s10
	s_addc_u32 s1, s15, s11
	v_add_co_u32 v7, vcc_lo, s0, v9
	v_add_co_ci_u32_e64 v8, null, s1, v10, vcc_lo
	v_mov_b32_e32 v3, 0
	s_and_b32 vcc_lo, exec_lo, s2
	s_cbranch_vccz .LBB1040_93
; %bb.82:
	v_mul_u32_u24_e32 v1, 3, v0
	v_mov_b32_e32 v4, 0
	v_mov_b32_e32 v2, 0
	s_add_i32 s12, s12, s18
	s_mov_b32 s0, exec_lo
	v_cmpx_gt_u32_e64 s12, v1
	s_cbranch_execz .LBB1040_88
; %bb.83:
	v_add_nc_u32_e32 v3, 1, v1
	v_mov_b32_e32 v2, 0
	v_mov_b32_e32 v4, 0
	s_mov_b32 s1, exec_lo
	v_cmpx_gt_u32_e64 s12, v3
	s_cbranch_execz .LBB1040_87
; %bb.84:
	v_add_nc_u32_e32 v2, 2, v1
	v_cmp_gt_u32_e32 vcc_lo, s12, v2
	v_mov_b32_e32 v2, 0
	s_and_saveexec_b32 s2, vcc_lo
; %bb.85:
	v_mov_b32_e32 v2, v17
; %bb.86:
	s_or_b32 exec_lo, exec_lo, s2
	v_mov_b32_e32 v4, v6
.LBB1040_87:
	s_or_b32 exec_lo, exec_lo, s1
	v_mov_b32_e32 v3, v5
.LBB1040_88:
	s_or_b32 exec_lo, exec_lo, s0
	v_lshlrev_b32_e32 v9, 2, v1
	s_barrier
	buffer_gl0_inv
	s_mov_b32 s0, exec_lo
	v_sub_nc_u32_e32 v1, v9, v21
	ds_write2_b32 v9, v3, v4 offset1:1
	ds_write_b32 v9, v2 offset:8
	s_waitcnt lgkmcnt(0)
	s_barrier
	buffer_gl0_inv
	ds_read2st64_b32 v[1:2], v1 offset0:4 offset1:8
	v_add_co_u32 v3, vcc_lo, v7, v21
	v_add_co_ci_u32_e64 v4, null, 0, v8, vcc_lo
	v_cmpx_gt_u32_e64 s12, v0
	s_cbranch_execz .LBB1040_90
; %bb.89:
	v_sub_nc_u32_e32 v10, 0, v21
	v_add_nc_u32_e32 v9, v9, v10
	ds_read_b32 v9, v9
	s_waitcnt lgkmcnt(0)
	v_ashrrev_i32_e32 v10, 31, v9
	flat_store_dwordx2 v[3:4], v[9:10]
.LBB1040_90:
	s_or_b32 exec_lo, exec_lo, s0
	v_or_b32_e32 v9, 0x100, v0
	s_mov_b32 s0, exec_lo
	v_cmpx_gt_u32_e64 s12, v9
	s_cbranch_execz .LBB1040_92
; %bb.91:
	v_add_co_u32 v3, vcc_lo, 0x800, v3
	s_waitcnt lgkmcnt(0)
	v_ashrrev_i32_e32 v10, 31, v1
	v_mov_b32_e32 v9, v1
	v_add_co_ci_u32_e64 v4, null, 0, v4, vcc_lo
	flat_store_dwordx2 v[3:4], v[9:10]
.LBB1040_92:
	s_or_b32 exec_lo, exec_lo, s0
	s_waitcnt lgkmcnt(0)
	v_or_b32_e32 v1, 0x200, v0
	v_cmp_gt_u32_e64 s0, s12, v1
	s_branch .LBB1040_95
.LBB1040_93:
	s_mov_b32 s0, 0
                                        ; implicit-def: $vgpr2
	s_cbranch_execz .LBB1040_95
; %bb.94:
	v_mul_u32_u24_e32 v1, 12, v0
	s_waitcnt_vscnt null, 0x0
	s_barrier
	buffer_gl0_inv
	s_or_b32 s0, s0, exec_lo
	v_sub_nc_u32_e32 v2, v1, v21
	ds_write2_b32 v1, v5, v6 offset1:1
	ds_write_b32 v1, v17 offset:8
	s_waitcnt lgkmcnt(0)
	s_barrier
	buffer_gl0_inv
	ds_read2st64_b32 v[3:4], v2 offset1:4
	ds_read_b32 v2, v2 offset:2048
	v_add_co_u32 v5, vcc_lo, v7, v21
	v_add_co_ci_u32_e64 v6, null, 0, v8, vcc_lo
	v_add_co_u32 v9, vcc_lo, 0x800, v5
	v_add_co_ci_u32_e64 v10, null, 0, v6, vcc_lo
	s_waitcnt lgkmcnt(1)
	v_ashrrev_i32_e32 v12, 31, v3
	v_mov_b32_e32 v11, v3
	v_ashrrev_i32_e32 v14, 31, v4
	v_mov_b32_e32 v13, v4
	flat_store_dwordx2 v[5:6], v[11:12]
	flat_store_dwordx2 v[9:10], v[13:14]
.LBB1040_95:
	s_and_saveexec_b32 s1, s0
	s_cbranch_execnz .LBB1040_97
; %bb.96:
	s_endpgm
.LBB1040_97:
	v_lshlrev_b32_e32 v0, 3, v0
	s_waitcnt lgkmcnt(2)
	v_ashrrev_i32_e32 v1, 31, v2
	v_add_co_u32 v3, vcc_lo, v7, v0
	v_add_co_ci_u32_e64 v4, null, 0, v8, vcc_lo
	v_mov_b32_e32 v0, v2
	v_add_co_u32 v2, vcc_lo, 0x1000, v3
	v_add_co_ci_u32_e64 v3, null, 0, v4, vcc_lo
	flat_store_dwordx2 v[2:3], v[0:1]
	s_endpgm
.LBB1040_98:
	v_add_co_u32 v6, vcc_lo, v23, v8
	v_add_co_ci_u32_e64 v7, null, 0, v24, vcc_lo
	v_mov_b32_e32 v26, v5
	v_mov_b32_e32 v27, v5
	flat_load_dword v25, v[6:7]
	s_waitcnt vmcnt(0) lgkmcnt(0)
	v_mov_b32_e32 v5, v25
	v_mov_b32_e32 v6, v26
	;; [unrolled: 1-line block ×3, first 2 shown]
	s_or_b32 exec_lo, exec_lo, s5
	s_and_saveexec_b32 s5, s3
	s_cbranch_execz .LBB1040_15
.LBB1040_99:
	v_add_co_u32 v12, vcc_lo, v23, v12
	v_add_co_ci_u32_e64 v13, null, 0, v24, vcc_lo
	flat_load_dword v6, v[12:13]
	s_or_b32 exec_lo, exec_lo, s5
	v_mul_u32_u24_e32 v25, 3, v0
	s_and_saveexec_b32 s3, s4
	s_cbranch_execnz .LBB1040_16
	s_branch .LBB1040_17
	.section	.rodata,"a",@progbits
	.p2align	6, 0x0
	.amdhsa_kernel _ZN7rocprim17ROCPRIM_400000_NS6detail17trampoline_kernelINS0_14default_configENS1_27scan_by_key_config_selectorIxiEEZZNS1_16scan_by_key_implILNS1_25lookback_scan_determinismE0ELb1ES3_N6thrust23THRUST_200600_302600_NS6detail15normal_iteratorINS9_10device_ptrIxEEEESE_SE_iNS9_4plusIvEENS9_8equal_toIvEEiEE10hipError_tPvRmT2_T3_T4_T5_mT6_T7_P12ihipStream_tbENKUlT_T0_E_clISt17integral_constantIbLb0EESY_IbLb1EEEEDaSU_SV_EUlSU_E_NS1_11comp_targetILNS1_3genE8ELNS1_11target_archE1030ELNS1_3gpuE2ELNS1_3repE0EEENS1_30default_config_static_selectorELNS0_4arch9wavefront6targetE0EEEvT1_
		.amdhsa_group_segment_fixed_size 10240
		.amdhsa_private_segment_fixed_size 0
		.amdhsa_kernarg_size 112
		.amdhsa_user_sgpr_count 6
		.amdhsa_user_sgpr_private_segment_buffer 1
		.amdhsa_user_sgpr_dispatch_ptr 0
		.amdhsa_user_sgpr_queue_ptr 0
		.amdhsa_user_sgpr_kernarg_segment_ptr 1
		.amdhsa_user_sgpr_dispatch_id 0
		.amdhsa_user_sgpr_flat_scratch_init 0
		.amdhsa_user_sgpr_private_segment_size 0
		.amdhsa_wavefront_size32 1
		.amdhsa_uses_dynamic_stack 0
		.amdhsa_system_sgpr_private_segment_wavefront_offset 0
		.amdhsa_system_sgpr_workgroup_id_x 1
		.amdhsa_system_sgpr_workgroup_id_y 0
		.amdhsa_system_sgpr_workgroup_id_z 0
		.amdhsa_system_sgpr_workgroup_info 0
		.amdhsa_system_vgpr_workitem_id 0
		.amdhsa_next_free_vgpr 40
		.amdhsa_next_free_sgpr 25
		.amdhsa_reserve_vcc 1
		.amdhsa_reserve_flat_scratch 1
		.amdhsa_float_round_mode_32 0
		.amdhsa_float_round_mode_16_64 0
		.amdhsa_float_denorm_mode_32 3
		.amdhsa_float_denorm_mode_16_64 3
		.amdhsa_dx10_clamp 1
		.amdhsa_ieee_mode 1
		.amdhsa_fp16_overflow 0
		.amdhsa_workgroup_processor_mode 1
		.amdhsa_memory_ordered 1
		.amdhsa_forward_progress 1
		.amdhsa_shared_vgpr_count 0
		.amdhsa_exception_fp_ieee_invalid_op 0
		.amdhsa_exception_fp_denorm_src 0
		.amdhsa_exception_fp_ieee_div_zero 0
		.amdhsa_exception_fp_ieee_overflow 0
		.amdhsa_exception_fp_ieee_underflow 0
		.amdhsa_exception_fp_ieee_inexact 0
		.amdhsa_exception_int_div_zero 0
	.end_amdhsa_kernel
	.section	.text._ZN7rocprim17ROCPRIM_400000_NS6detail17trampoline_kernelINS0_14default_configENS1_27scan_by_key_config_selectorIxiEEZZNS1_16scan_by_key_implILNS1_25lookback_scan_determinismE0ELb1ES3_N6thrust23THRUST_200600_302600_NS6detail15normal_iteratorINS9_10device_ptrIxEEEESE_SE_iNS9_4plusIvEENS9_8equal_toIvEEiEE10hipError_tPvRmT2_T3_T4_T5_mT6_T7_P12ihipStream_tbENKUlT_T0_E_clISt17integral_constantIbLb0EESY_IbLb1EEEEDaSU_SV_EUlSU_E_NS1_11comp_targetILNS1_3genE8ELNS1_11target_archE1030ELNS1_3gpuE2ELNS1_3repE0EEENS1_30default_config_static_selectorELNS0_4arch9wavefront6targetE0EEEvT1_,"axG",@progbits,_ZN7rocprim17ROCPRIM_400000_NS6detail17trampoline_kernelINS0_14default_configENS1_27scan_by_key_config_selectorIxiEEZZNS1_16scan_by_key_implILNS1_25lookback_scan_determinismE0ELb1ES3_N6thrust23THRUST_200600_302600_NS6detail15normal_iteratorINS9_10device_ptrIxEEEESE_SE_iNS9_4plusIvEENS9_8equal_toIvEEiEE10hipError_tPvRmT2_T3_T4_T5_mT6_T7_P12ihipStream_tbENKUlT_T0_E_clISt17integral_constantIbLb0EESY_IbLb1EEEEDaSU_SV_EUlSU_E_NS1_11comp_targetILNS1_3genE8ELNS1_11target_archE1030ELNS1_3gpuE2ELNS1_3repE0EEENS1_30default_config_static_selectorELNS0_4arch9wavefront6targetE0EEEvT1_,comdat
.Lfunc_end1040:
	.size	_ZN7rocprim17ROCPRIM_400000_NS6detail17trampoline_kernelINS0_14default_configENS1_27scan_by_key_config_selectorIxiEEZZNS1_16scan_by_key_implILNS1_25lookback_scan_determinismE0ELb1ES3_N6thrust23THRUST_200600_302600_NS6detail15normal_iteratorINS9_10device_ptrIxEEEESE_SE_iNS9_4plusIvEENS9_8equal_toIvEEiEE10hipError_tPvRmT2_T3_T4_T5_mT6_T7_P12ihipStream_tbENKUlT_T0_E_clISt17integral_constantIbLb0EESY_IbLb1EEEEDaSU_SV_EUlSU_E_NS1_11comp_targetILNS1_3genE8ELNS1_11target_archE1030ELNS1_3gpuE2ELNS1_3repE0EEENS1_30default_config_static_selectorELNS0_4arch9wavefront6targetE0EEEvT1_, .Lfunc_end1040-_ZN7rocprim17ROCPRIM_400000_NS6detail17trampoline_kernelINS0_14default_configENS1_27scan_by_key_config_selectorIxiEEZZNS1_16scan_by_key_implILNS1_25lookback_scan_determinismE0ELb1ES3_N6thrust23THRUST_200600_302600_NS6detail15normal_iteratorINS9_10device_ptrIxEEEESE_SE_iNS9_4plusIvEENS9_8equal_toIvEEiEE10hipError_tPvRmT2_T3_T4_T5_mT6_T7_P12ihipStream_tbENKUlT_T0_E_clISt17integral_constantIbLb0EESY_IbLb1EEEEDaSU_SV_EUlSU_E_NS1_11comp_targetILNS1_3genE8ELNS1_11target_archE1030ELNS1_3gpuE2ELNS1_3repE0EEENS1_30default_config_static_selectorELNS0_4arch9wavefront6targetE0EEEvT1_
                                        ; -- End function
	.set _ZN7rocprim17ROCPRIM_400000_NS6detail17trampoline_kernelINS0_14default_configENS1_27scan_by_key_config_selectorIxiEEZZNS1_16scan_by_key_implILNS1_25lookback_scan_determinismE0ELb1ES3_N6thrust23THRUST_200600_302600_NS6detail15normal_iteratorINS9_10device_ptrIxEEEESE_SE_iNS9_4plusIvEENS9_8equal_toIvEEiEE10hipError_tPvRmT2_T3_T4_T5_mT6_T7_P12ihipStream_tbENKUlT_T0_E_clISt17integral_constantIbLb0EESY_IbLb1EEEEDaSU_SV_EUlSU_E_NS1_11comp_targetILNS1_3genE8ELNS1_11target_archE1030ELNS1_3gpuE2ELNS1_3repE0EEENS1_30default_config_static_selectorELNS0_4arch9wavefront6targetE0EEEvT1_.num_vgpr, 40
	.set _ZN7rocprim17ROCPRIM_400000_NS6detail17trampoline_kernelINS0_14default_configENS1_27scan_by_key_config_selectorIxiEEZZNS1_16scan_by_key_implILNS1_25lookback_scan_determinismE0ELb1ES3_N6thrust23THRUST_200600_302600_NS6detail15normal_iteratorINS9_10device_ptrIxEEEESE_SE_iNS9_4plusIvEENS9_8equal_toIvEEiEE10hipError_tPvRmT2_T3_T4_T5_mT6_T7_P12ihipStream_tbENKUlT_T0_E_clISt17integral_constantIbLb0EESY_IbLb1EEEEDaSU_SV_EUlSU_E_NS1_11comp_targetILNS1_3genE8ELNS1_11target_archE1030ELNS1_3gpuE2ELNS1_3repE0EEENS1_30default_config_static_selectorELNS0_4arch9wavefront6targetE0EEEvT1_.num_agpr, 0
	.set _ZN7rocprim17ROCPRIM_400000_NS6detail17trampoline_kernelINS0_14default_configENS1_27scan_by_key_config_selectorIxiEEZZNS1_16scan_by_key_implILNS1_25lookback_scan_determinismE0ELb1ES3_N6thrust23THRUST_200600_302600_NS6detail15normal_iteratorINS9_10device_ptrIxEEEESE_SE_iNS9_4plusIvEENS9_8equal_toIvEEiEE10hipError_tPvRmT2_T3_T4_T5_mT6_T7_P12ihipStream_tbENKUlT_T0_E_clISt17integral_constantIbLb0EESY_IbLb1EEEEDaSU_SV_EUlSU_E_NS1_11comp_targetILNS1_3genE8ELNS1_11target_archE1030ELNS1_3gpuE2ELNS1_3repE0EEENS1_30default_config_static_selectorELNS0_4arch9wavefront6targetE0EEEvT1_.numbered_sgpr, 25
	.set _ZN7rocprim17ROCPRIM_400000_NS6detail17trampoline_kernelINS0_14default_configENS1_27scan_by_key_config_selectorIxiEEZZNS1_16scan_by_key_implILNS1_25lookback_scan_determinismE0ELb1ES3_N6thrust23THRUST_200600_302600_NS6detail15normal_iteratorINS9_10device_ptrIxEEEESE_SE_iNS9_4plusIvEENS9_8equal_toIvEEiEE10hipError_tPvRmT2_T3_T4_T5_mT6_T7_P12ihipStream_tbENKUlT_T0_E_clISt17integral_constantIbLb0EESY_IbLb1EEEEDaSU_SV_EUlSU_E_NS1_11comp_targetILNS1_3genE8ELNS1_11target_archE1030ELNS1_3gpuE2ELNS1_3repE0EEENS1_30default_config_static_selectorELNS0_4arch9wavefront6targetE0EEEvT1_.num_named_barrier, 0
	.set _ZN7rocprim17ROCPRIM_400000_NS6detail17trampoline_kernelINS0_14default_configENS1_27scan_by_key_config_selectorIxiEEZZNS1_16scan_by_key_implILNS1_25lookback_scan_determinismE0ELb1ES3_N6thrust23THRUST_200600_302600_NS6detail15normal_iteratorINS9_10device_ptrIxEEEESE_SE_iNS9_4plusIvEENS9_8equal_toIvEEiEE10hipError_tPvRmT2_T3_T4_T5_mT6_T7_P12ihipStream_tbENKUlT_T0_E_clISt17integral_constantIbLb0EESY_IbLb1EEEEDaSU_SV_EUlSU_E_NS1_11comp_targetILNS1_3genE8ELNS1_11target_archE1030ELNS1_3gpuE2ELNS1_3repE0EEENS1_30default_config_static_selectorELNS0_4arch9wavefront6targetE0EEEvT1_.private_seg_size, 0
	.set _ZN7rocprim17ROCPRIM_400000_NS6detail17trampoline_kernelINS0_14default_configENS1_27scan_by_key_config_selectorIxiEEZZNS1_16scan_by_key_implILNS1_25lookback_scan_determinismE0ELb1ES3_N6thrust23THRUST_200600_302600_NS6detail15normal_iteratorINS9_10device_ptrIxEEEESE_SE_iNS9_4plusIvEENS9_8equal_toIvEEiEE10hipError_tPvRmT2_T3_T4_T5_mT6_T7_P12ihipStream_tbENKUlT_T0_E_clISt17integral_constantIbLb0EESY_IbLb1EEEEDaSU_SV_EUlSU_E_NS1_11comp_targetILNS1_3genE8ELNS1_11target_archE1030ELNS1_3gpuE2ELNS1_3repE0EEENS1_30default_config_static_selectorELNS0_4arch9wavefront6targetE0EEEvT1_.uses_vcc, 1
	.set _ZN7rocprim17ROCPRIM_400000_NS6detail17trampoline_kernelINS0_14default_configENS1_27scan_by_key_config_selectorIxiEEZZNS1_16scan_by_key_implILNS1_25lookback_scan_determinismE0ELb1ES3_N6thrust23THRUST_200600_302600_NS6detail15normal_iteratorINS9_10device_ptrIxEEEESE_SE_iNS9_4plusIvEENS9_8equal_toIvEEiEE10hipError_tPvRmT2_T3_T4_T5_mT6_T7_P12ihipStream_tbENKUlT_T0_E_clISt17integral_constantIbLb0EESY_IbLb1EEEEDaSU_SV_EUlSU_E_NS1_11comp_targetILNS1_3genE8ELNS1_11target_archE1030ELNS1_3gpuE2ELNS1_3repE0EEENS1_30default_config_static_selectorELNS0_4arch9wavefront6targetE0EEEvT1_.uses_flat_scratch, 1
	.set _ZN7rocprim17ROCPRIM_400000_NS6detail17trampoline_kernelINS0_14default_configENS1_27scan_by_key_config_selectorIxiEEZZNS1_16scan_by_key_implILNS1_25lookback_scan_determinismE0ELb1ES3_N6thrust23THRUST_200600_302600_NS6detail15normal_iteratorINS9_10device_ptrIxEEEESE_SE_iNS9_4plusIvEENS9_8equal_toIvEEiEE10hipError_tPvRmT2_T3_T4_T5_mT6_T7_P12ihipStream_tbENKUlT_T0_E_clISt17integral_constantIbLb0EESY_IbLb1EEEEDaSU_SV_EUlSU_E_NS1_11comp_targetILNS1_3genE8ELNS1_11target_archE1030ELNS1_3gpuE2ELNS1_3repE0EEENS1_30default_config_static_selectorELNS0_4arch9wavefront6targetE0EEEvT1_.has_dyn_sized_stack, 0
	.set _ZN7rocprim17ROCPRIM_400000_NS6detail17trampoline_kernelINS0_14default_configENS1_27scan_by_key_config_selectorIxiEEZZNS1_16scan_by_key_implILNS1_25lookback_scan_determinismE0ELb1ES3_N6thrust23THRUST_200600_302600_NS6detail15normal_iteratorINS9_10device_ptrIxEEEESE_SE_iNS9_4plusIvEENS9_8equal_toIvEEiEE10hipError_tPvRmT2_T3_T4_T5_mT6_T7_P12ihipStream_tbENKUlT_T0_E_clISt17integral_constantIbLb0EESY_IbLb1EEEEDaSU_SV_EUlSU_E_NS1_11comp_targetILNS1_3genE8ELNS1_11target_archE1030ELNS1_3gpuE2ELNS1_3repE0EEENS1_30default_config_static_selectorELNS0_4arch9wavefront6targetE0EEEvT1_.has_recursion, 0
	.set _ZN7rocprim17ROCPRIM_400000_NS6detail17trampoline_kernelINS0_14default_configENS1_27scan_by_key_config_selectorIxiEEZZNS1_16scan_by_key_implILNS1_25lookback_scan_determinismE0ELb1ES3_N6thrust23THRUST_200600_302600_NS6detail15normal_iteratorINS9_10device_ptrIxEEEESE_SE_iNS9_4plusIvEENS9_8equal_toIvEEiEE10hipError_tPvRmT2_T3_T4_T5_mT6_T7_P12ihipStream_tbENKUlT_T0_E_clISt17integral_constantIbLb0EESY_IbLb1EEEEDaSU_SV_EUlSU_E_NS1_11comp_targetILNS1_3genE8ELNS1_11target_archE1030ELNS1_3gpuE2ELNS1_3repE0EEENS1_30default_config_static_selectorELNS0_4arch9wavefront6targetE0EEEvT1_.has_indirect_call, 0
	.section	.AMDGPU.csdata,"",@progbits
; Kernel info:
; codeLenInByte = 7652
; TotalNumSgprs: 27
; NumVgprs: 40
; ScratchSize: 0
; MemoryBound: 0
; FloatMode: 240
; IeeeMode: 1
; LDSByteSize: 10240 bytes/workgroup (compile time only)
; SGPRBlocks: 0
; VGPRBlocks: 4
; NumSGPRsForWavesPerEU: 27
; NumVGPRsForWavesPerEU: 40
; Occupancy: 16
; WaveLimiterHint : 1
; COMPUTE_PGM_RSRC2:SCRATCH_EN: 0
; COMPUTE_PGM_RSRC2:USER_SGPR: 6
; COMPUTE_PGM_RSRC2:TRAP_HANDLER: 0
; COMPUTE_PGM_RSRC2:TGID_X_EN: 1
; COMPUTE_PGM_RSRC2:TGID_Y_EN: 0
; COMPUTE_PGM_RSRC2:TGID_Z_EN: 0
; COMPUTE_PGM_RSRC2:TIDIG_COMP_CNT: 0
	.section	.text._ZN7rocprim17ROCPRIM_400000_NS6detail30init_device_scan_by_key_kernelINS1_19lookback_scan_stateINS0_5tupleIJibEEELb0ELb1EEEN6thrust23THRUST_200600_302600_NS6detail15normal_iteratorINS8_10device_ptrIsEEEEjNS1_16block_id_wrapperIjLb0EEEEEvT_jjPNSG_10value_typeET0_PNSt15iterator_traitsISJ_E10value_typeEmT1_T2_,"axG",@progbits,_ZN7rocprim17ROCPRIM_400000_NS6detail30init_device_scan_by_key_kernelINS1_19lookback_scan_stateINS0_5tupleIJibEEELb0ELb1EEEN6thrust23THRUST_200600_302600_NS6detail15normal_iteratorINS8_10device_ptrIsEEEEjNS1_16block_id_wrapperIjLb0EEEEEvT_jjPNSG_10value_typeET0_PNSt15iterator_traitsISJ_E10value_typeEmT1_T2_,comdat
	.protected	_ZN7rocprim17ROCPRIM_400000_NS6detail30init_device_scan_by_key_kernelINS1_19lookback_scan_stateINS0_5tupleIJibEEELb0ELb1EEEN6thrust23THRUST_200600_302600_NS6detail15normal_iteratorINS8_10device_ptrIsEEEEjNS1_16block_id_wrapperIjLb0EEEEEvT_jjPNSG_10value_typeET0_PNSt15iterator_traitsISJ_E10value_typeEmT1_T2_ ; -- Begin function _ZN7rocprim17ROCPRIM_400000_NS6detail30init_device_scan_by_key_kernelINS1_19lookback_scan_stateINS0_5tupleIJibEEELb0ELb1EEEN6thrust23THRUST_200600_302600_NS6detail15normal_iteratorINS8_10device_ptrIsEEEEjNS1_16block_id_wrapperIjLb0EEEEEvT_jjPNSG_10value_typeET0_PNSt15iterator_traitsISJ_E10value_typeEmT1_T2_
	.globl	_ZN7rocprim17ROCPRIM_400000_NS6detail30init_device_scan_by_key_kernelINS1_19lookback_scan_stateINS0_5tupleIJibEEELb0ELb1EEEN6thrust23THRUST_200600_302600_NS6detail15normal_iteratorINS8_10device_ptrIsEEEEjNS1_16block_id_wrapperIjLb0EEEEEvT_jjPNSG_10value_typeET0_PNSt15iterator_traitsISJ_E10value_typeEmT1_T2_
	.p2align	8
	.type	_ZN7rocprim17ROCPRIM_400000_NS6detail30init_device_scan_by_key_kernelINS1_19lookback_scan_stateINS0_5tupleIJibEEELb0ELb1EEEN6thrust23THRUST_200600_302600_NS6detail15normal_iteratorINS8_10device_ptrIsEEEEjNS1_16block_id_wrapperIjLb0EEEEEvT_jjPNSG_10value_typeET0_PNSt15iterator_traitsISJ_E10value_typeEmT1_T2_,@function
_ZN7rocprim17ROCPRIM_400000_NS6detail30init_device_scan_by_key_kernelINS1_19lookback_scan_stateINS0_5tupleIJibEEELb0ELb1EEEN6thrust23THRUST_200600_302600_NS6detail15normal_iteratorINS8_10device_ptrIsEEEEjNS1_16block_id_wrapperIjLb0EEEEEvT_jjPNSG_10value_typeET0_PNSt15iterator_traitsISJ_E10value_typeEmT1_T2_: ; @_ZN7rocprim17ROCPRIM_400000_NS6detail30init_device_scan_by_key_kernelINS1_19lookback_scan_stateINS0_5tupleIJibEEELb0ELb1EEEN6thrust23THRUST_200600_302600_NS6detail15normal_iteratorINS8_10device_ptrIsEEEEjNS1_16block_id_wrapperIjLb0EEEEEvT_jjPNSG_10value_typeET0_PNSt15iterator_traitsISJ_E10value_typeEmT1_T2_
; %bb.0:
	s_clause 0x2
	s_load_dword s0, s[4:5], 0x44
	s_load_dwordx8 s[8:15], s[4:5], 0x0
	s_load_dword s7, s[4:5], 0x38
	s_waitcnt lgkmcnt(0)
	s_and_b32 s16, s0, 0xffff
	s_cmp_eq_u64 s[12:13], 0
	v_mad_u64_u32 v[4:5], null, s6, s16, v[0:1]
	s_cbranch_scc1 .LBB1041_8
; %bb.1:
	s_cmp_lt_u32 s11, s10
	s_mov_b32 s1, 0
	s_cselect_b32 s0, s11, 0
	s_mov_b32 s2, exec_lo
	v_cmpx_eq_u32_e64 s0, v4
	s_cbranch_execz .LBB1041_7
; %bb.2:
	s_add_i32 s0, s11, 32
	v_mov_b32_e32 v6, 0
	s_lshl_b64 s[0:1], s[0:1], 4
	s_mov_b32 s3, exec_lo
	s_add_u32 s0, s8, s0
	s_addc_u32 s1, s9, s1
	v_mov_b32_e32 v0, s0
	v_mov_b32_e32 v1, s1
	;;#ASMSTART
	global_load_dwordx4 v[0:3], v[0:1] off glc dlc	
s_waitcnt vmcnt(0)
	;;#ASMEND
	v_and_b32_e32 v5, 0xff, v2
	v_cmpx_eq_u64_e32 0, v[5:6]
	s_cbranch_execz .LBB1041_6
; %bb.3:
	v_mov_b32_e32 v8, s1
	v_mov_b32_e32 v7, s0
	s_mov_b32 s0, 0
.LBB1041_4:                             ; =>This Inner Loop Header: Depth=1
	;;#ASMSTART
	global_load_dwordx4 v[0:3], v[7:8] off glc dlc	
s_waitcnt vmcnt(0)
	;;#ASMEND
	v_and_b32_e32 v5, 0xff, v2
	v_cmp_ne_u64_e32 vcc_lo, 0, v[5:6]
	s_or_b32 s0, vcc_lo, s0
	s_andn2_b32 exec_lo, exec_lo, s0
	s_cbranch_execnz .LBB1041_4
; %bb.5:
	s_or_b32 exec_lo, exec_lo, s0
.LBB1041_6:
	s_or_b32 exec_lo, exec_lo, s3
	v_mov_b32_e32 v2, 0
	global_store_dword v2, v0, s[12:13]
	global_store_byte v2, v1, s[12:13] offset:4
.LBB1041_7:
	s_or_b32 exec_lo, exec_lo, s2
.LBB1041_8:
	s_mov_b32 s0, exec_lo
	v_cmpx_gt_u32_e64 s10, v4
	s_cbranch_execz .LBB1041_10
; %bb.9:
	v_add_nc_u32_e32 v0, 32, v4
	v_mov_b32_e32 v1, 0
	v_lshlrev_b64 v[5:6], 4, v[0:1]
	v_mov_b32_e32 v0, v1
	v_mov_b32_e32 v2, v1
	;; [unrolled: 1-line block ×3, first 2 shown]
	v_add_co_u32 v5, vcc_lo, s8, v5
	v_add_co_ci_u32_e64 v6, null, s9, v6, vcc_lo
	global_store_dwordx4 v[5:6], v[0:3], off
.LBB1041_10:
	s_or_b32 exec_lo, exec_lo, s0
	v_mov_b32_e32 v5, 0
	s_mov_b32 s0, exec_lo
	v_cmpx_gt_u32_e32 32, v4
	s_cbranch_execz .LBB1041_12
; %bb.11:
	v_lshlrev_b64 v[6:7], 4, v[4:5]
	v_mov_b32_e32 v2, 0xff
	v_mov_b32_e32 v0, v5
	;; [unrolled: 1-line block ×4, first 2 shown]
	v_add_co_u32 v6, vcc_lo, s8, v6
	v_add_co_ci_u32_e64 v7, null, s9, v7, vcc_lo
	global_store_dwordx4 v[6:7], v[0:3], off
.LBB1041_12:
	s_or_b32 exec_lo, exec_lo, s0
	s_load_dwordx2 s[2:3], s[4:5], 0x28
	s_mov_b32 s0, exec_lo
	s_waitcnt lgkmcnt(0)
	v_cmpx_gt_u64_e64 s[2:3], v[4:5]
	s_cbranch_execz .LBB1041_15
; %bb.13:
	s_clause 0x1
	s_load_dword s6, s[4:5], 0x30
	s_load_dwordx2 s[8:9], s[4:5], 0x20
	s_mov_b32 s1, 0
	v_lshlrev_b64 v[2:3], 1, v[4:5]
	s_mul_i32 s4, s7, s16
	s_waitcnt lgkmcnt(0)
	v_mad_u64_u32 v[0:1], null, s6, v4, 0
	s_add_i32 s0, s6, -1
	s_mul_hi_u32 s7, s6, s4
	s_lshl_b64 s[10:11], s[0:1], 1
	s_mul_i32 s6, s6, s4
	s_add_u32 s0, s14, s10
	s_addc_u32 s5, s15, s11
	v_lshlrev_b64 v[0:1], 1, v[0:1]
	s_lshl_b64 s[6:7], s[6:7], 1
	v_add_co_u32 v0, vcc_lo, s0, v0
	v_add_co_ci_u32_e64 v1, null, s5, v1, vcc_lo
	v_add_co_u32 v2, vcc_lo, s8, v2
	v_add_co_ci_u32_e64 v3, null, s9, v3, vcc_lo
	s_mov_b32 s5, s1
	s_lshl_b64 s[8:9], s[4:5], 1
	.p2align	6
.LBB1041_14:                            ; =>This Inner Loop Header: Depth=1
	global_load_ushort v6, v[0:1], off
	v_add_co_u32 v4, vcc_lo, v4, s4
	v_add_co_ci_u32_e64 v5, null, 0, v5, vcc_lo
	v_add_co_u32 v0, vcc_lo, v0, s6
	v_add_co_ci_u32_e64 v1, null, s7, v1, vcc_lo
	v_cmp_le_u64_e32 vcc_lo, s[2:3], v[4:5]
	s_or_b32 s1, vcc_lo, s1
	s_waitcnt vmcnt(0)
	global_store_short v[2:3], v6, off
	v_add_co_u32 v2, s0, v2, s8
	v_add_co_ci_u32_e64 v3, null, s9, v3, s0
	s_andn2_b32 exec_lo, exec_lo, s1
	s_cbranch_execnz .LBB1041_14
.LBB1041_15:
	s_endpgm
	.section	.rodata,"a",@progbits
	.p2align	6, 0x0
	.amdhsa_kernel _ZN7rocprim17ROCPRIM_400000_NS6detail30init_device_scan_by_key_kernelINS1_19lookback_scan_stateINS0_5tupleIJibEEELb0ELb1EEEN6thrust23THRUST_200600_302600_NS6detail15normal_iteratorINS8_10device_ptrIsEEEEjNS1_16block_id_wrapperIjLb0EEEEEvT_jjPNSG_10value_typeET0_PNSt15iterator_traitsISJ_E10value_typeEmT1_T2_
		.amdhsa_group_segment_fixed_size 0
		.amdhsa_private_segment_fixed_size 0
		.amdhsa_kernarg_size 312
		.amdhsa_user_sgpr_count 6
		.amdhsa_user_sgpr_private_segment_buffer 1
		.amdhsa_user_sgpr_dispatch_ptr 0
		.amdhsa_user_sgpr_queue_ptr 0
		.amdhsa_user_sgpr_kernarg_segment_ptr 1
		.amdhsa_user_sgpr_dispatch_id 0
		.amdhsa_user_sgpr_flat_scratch_init 0
		.amdhsa_user_sgpr_private_segment_size 0
		.amdhsa_wavefront_size32 1
		.amdhsa_uses_dynamic_stack 0
		.amdhsa_system_sgpr_private_segment_wavefront_offset 0
		.amdhsa_system_sgpr_workgroup_id_x 1
		.amdhsa_system_sgpr_workgroup_id_y 0
		.amdhsa_system_sgpr_workgroup_id_z 0
		.amdhsa_system_sgpr_workgroup_info 0
		.amdhsa_system_vgpr_workitem_id 0
		.amdhsa_next_free_vgpr 9
		.amdhsa_next_free_sgpr 17
		.amdhsa_reserve_vcc 1
		.amdhsa_reserve_flat_scratch 0
		.amdhsa_float_round_mode_32 0
		.amdhsa_float_round_mode_16_64 0
		.amdhsa_float_denorm_mode_32 3
		.amdhsa_float_denorm_mode_16_64 3
		.amdhsa_dx10_clamp 1
		.amdhsa_ieee_mode 1
		.amdhsa_fp16_overflow 0
		.amdhsa_workgroup_processor_mode 1
		.amdhsa_memory_ordered 1
		.amdhsa_forward_progress 1
		.amdhsa_shared_vgpr_count 0
		.amdhsa_exception_fp_ieee_invalid_op 0
		.amdhsa_exception_fp_denorm_src 0
		.amdhsa_exception_fp_ieee_div_zero 0
		.amdhsa_exception_fp_ieee_overflow 0
		.amdhsa_exception_fp_ieee_underflow 0
		.amdhsa_exception_fp_ieee_inexact 0
		.amdhsa_exception_int_div_zero 0
	.end_amdhsa_kernel
	.section	.text._ZN7rocprim17ROCPRIM_400000_NS6detail30init_device_scan_by_key_kernelINS1_19lookback_scan_stateINS0_5tupleIJibEEELb0ELb1EEEN6thrust23THRUST_200600_302600_NS6detail15normal_iteratorINS8_10device_ptrIsEEEEjNS1_16block_id_wrapperIjLb0EEEEEvT_jjPNSG_10value_typeET0_PNSt15iterator_traitsISJ_E10value_typeEmT1_T2_,"axG",@progbits,_ZN7rocprim17ROCPRIM_400000_NS6detail30init_device_scan_by_key_kernelINS1_19lookback_scan_stateINS0_5tupleIJibEEELb0ELb1EEEN6thrust23THRUST_200600_302600_NS6detail15normal_iteratorINS8_10device_ptrIsEEEEjNS1_16block_id_wrapperIjLb0EEEEEvT_jjPNSG_10value_typeET0_PNSt15iterator_traitsISJ_E10value_typeEmT1_T2_,comdat
.Lfunc_end1041:
	.size	_ZN7rocprim17ROCPRIM_400000_NS6detail30init_device_scan_by_key_kernelINS1_19lookback_scan_stateINS0_5tupleIJibEEELb0ELb1EEEN6thrust23THRUST_200600_302600_NS6detail15normal_iteratorINS8_10device_ptrIsEEEEjNS1_16block_id_wrapperIjLb0EEEEEvT_jjPNSG_10value_typeET0_PNSt15iterator_traitsISJ_E10value_typeEmT1_T2_, .Lfunc_end1041-_ZN7rocprim17ROCPRIM_400000_NS6detail30init_device_scan_by_key_kernelINS1_19lookback_scan_stateINS0_5tupleIJibEEELb0ELb1EEEN6thrust23THRUST_200600_302600_NS6detail15normal_iteratorINS8_10device_ptrIsEEEEjNS1_16block_id_wrapperIjLb0EEEEEvT_jjPNSG_10value_typeET0_PNSt15iterator_traitsISJ_E10value_typeEmT1_T2_
                                        ; -- End function
	.set _ZN7rocprim17ROCPRIM_400000_NS6detail30init_device_scan_by_key_kernelINS1_19lookback_scan_stateINS0_5tupleIJibEEELb0ELb1EEEN6thrust23THRUST_200600_302600_NS6detail15normal_iteratorINS8_10device_ptrIsEEEEjNS1_16block_id_wrapperIjLb0EEEEEvT_jjPNSG_10value_typeET0_PNSt15iterator_traitsISJ_E10value_typeEmT1_T2_.num_vgpr, 9
	.set _ZN7rocprim17ROCPRIM_400000_NS6detail30init_device_scan_by_key_kernelINS1_19lookback_scan_stateINS0_5tupleIJibEEELb0ELb1EEEN6thrust23THRUST_200600_302600_NS6detail15normal_iteratorINS8_10device_ptrIsEEEEjNS1_16block_id_wrapperIjLb0EEEEEvT_jjPNSG_10value_typeET0_PNSt15iterator_traitsISJ_E10value_typeEmT1_T2_.num_agpr, 0
	.set _ZN7rocprim17ROCPRIM_400000_NS6detail30init_device_scan_by_key_kernelINS1_19lookback_scan_stateINS0_5tupleIJibEEELb0ELb1EEEN6thrust23THRUST_200600_302600_NS6detail15normal_iteratorINS8_10device_ptrIsEEEEjNS1_16block_id_wrapperIjLb0EEEEEvT_jjPNSG_10value_typeET0_PNSt15iterator_traitsISJ_E10value_typeEmT1_T2_.numbered_sgpr, 17
	.set _ZN7rocprim17ROCPRIM_400000_NS6detail30init_device_scan_by_key_kernelINS1_19lookback_scan_stateINS0_5tupleIJibEEELb0ELb1EEEN6thrust23THRUST_200600_302600_NS6detail15normal_iteratorINS8_10device_ptrIsEEEEjNS1_16block_id_wrapperIjLb0EEEEEvT_jjPNSG_10value_typeET0_PNSt15iterator_traitsISJ_E10value_typeEmT1_T2_.num_named_barrier, 0
	.set _ZN7rocprim17ROCPRIM_400000_NS6detail30init_device_scan_by_key_kernelINS1_19lookback_scan_stateINS0_5tupleIJibEEELb0ELb1EEEN6thrust23THRUST_200600_302600_NS6detail15normal_iteratorINS8_10device_ptrIsEEEEjNS1_16block_id_wrapperIjLb0EEEEEvT_jjPNSG_10value_typeET0_PNSt15iterator_traitsISJ_E10value_typeEmT1_T2_.private_seg_size, 0
	.set _ZN7rocprim17ROCPRIM_400000_NS6detail30init_device_scan_by_key_kernelINS1_19lookback_scan_stateINS0_5tupleIJibEEELb0ELb1EEEN6thrust23THRUST_200600_302600_NS6detail15normal_iteratorINS8_10device_ptrIsEEEEjNS1_16block_id_wrapperIjLb0EEEEEvT_jjPNSG_10value_typeET0_PNSt15iterator_traitsISJ_E10value_typeEmT1_T2_.uses_vcc, 1
	.set _ZN7rocprim17ROCPRIM_400000_NS6detail30init_device_scan_by_key_kernelINS1_19lookback_scan_stateINS0_5tupleIJibEEELb0ELb1EEEN6thrust23THRUST_200600_302600_NS6detail15normal_iteratorINS8_10device_ptrIsEEEEjNS1_16block_id_wrapperIjLb0EEEEEvT_jjPNSG_10value_typeET0_PNSt15iterator_traitsISJ_E10value_typeEmT1_T2_.uses_flat_scratch, 0
	.set _ZN7rocprim17ROCPRIM_400000_NS6detail30init_device_scan_by_key_kernelINS1_19lookback_scan_stateINS0_5tupleIJibEEELb0ELb1EEEN6thrust23THRUST_200600_302600_NS6detail15normal_iteratorINS8_10device_ptrIsEEEEjNS1_16block_id_wrapperIjLb0EEEEEvT_jjPNSG_10value_typeET0_PNSt15iterator_traitsISJ_E10value_typeEmT1_T2_.has_dyn_sized_stack, 0
	.set _ZN7rocprim17ROCPRIM_400000_NS6detail30init_device_scan_by_key_kernelINS1_19lookback_scan_stateINS0_5tupleIJibEEELb0ELb1EEEN6thrust23THRUST_200600_302600_NS6detail15normal_iteratorINS8_10device_ptrIsEEEEjNS1_16block_id_wrapperIjLb0EEEEEvT_jjPNSG_10value_typeET0_PNSt15iterator_traitsISJ_E10value_typeEmT1_T2_.has_recursion, 0
	.set _ZN7rocprim17ROCPRIM_400000_NS6detail30init_device_scan_by_key_kernelINS1_19lookback_scan_stateINS0_5tupleIJibEEELb0ELb1EEEN6thrust23THRUST_200600_302600_NS6detail15normal_iteratorINS8_10device_ptrIsEEEEjNS1_16block_id_wrapperIjLb0EEEEEvT_jjPNSG_10value_typeET0_PNSt15iterator_traitsISJ_E10value_typeEmT1_T2_.has_indirect_call, 0
	.section	.AMDGPU.csdata,"",@progbits
; Kernel info:
; codeLenInByte = 664
; TotalNumSgprs: 19
; NumVgprs: 9
; ScratchSize: 0
; MemoryBound: 0
; FloatMode: 240
; IeeeMode: 1
; LDSByteSize: 0 bytes/workgroup (compile time only)
; SGPRBlocks: 0
; VGPRBlocks: 1
; NumSGPRsForWavesPerEU: 19
; NumVGPRsForWavesPerEU: 9
; Occupancy: 16
; WaveLimiterHint : 0
; COMPUTE_PGM_RSRC2:SCRATCH_EN: 0
; COMPUTE_PGM_RSRC2:USER_SGPR: 6
; COMPUTE_PGM_RSRC2:TRAP_HANDLER: 0
; COMPUTE_PGM_RSRC2:TGID_X_EN: 1
; COMPUTE_PGM_RSRC2:TGID_Y_EN: 0
; COMPUTE_PGM_RSRC2:TGID_Z_EN: 0
; COMPUTE_PGM_RSRC2:TIDIG_COMP_CNT: 0
	.section	.text._ZN7rocprim17ROCPRIM_400000_NS6detail17trampoline_kernelINS0_14default_configENS1_27scan_by_key_config_selectorIsiEEZZNS1_16scan_by_key_implILNS1_25lookback_scan_determinismE0ELb1ES3_N6thrust23THRUST_200600_302600_NS6detail15normal_iteratorINS9_10device_ptrIsEEEESE_SE_iNS9_4plusIvEENS9_8equal_toIvEEiEE10hipError_tPvRmT2_T3_T4_T5_mT6_T7_P12ihipStream_tbENKUlT_T0_E_clISt17integral_constantIbLb0EESZ_EEDaSU_SV_EUlSU_E_NS1_11comp_targetILNS1_3genE0ELNS1_11target_archE4294967295ELNS1_3gpuE0ELNS1_3repE0EEENS1_30default_config_static_selectorELNS0_4arch9wavefront6targetE0EEEvT1_,"axG",@progbits,_ZN7rocprim17ROCPRIM_400000_NS6detail17trampoline_kernelINS0_14default_configENS1_27scan_by_key_config_selectorIsiEEZZNS1_16scan_by_key_implILNS1_25lookback_scan_determinismE0ELb1ES3_N6thrust23THRUST_200600_302600_NS6detail15normal_iteratorINS9_10device_ptrIsEEEESE_SE_iNS9_4plusIvEENS9_8equal_toIvEEiEE10hipError_tPvRmT2_T3_T4_T5_mT6_T7_P12ihipStream_tbENKUlT_T0_E_clISt17integral_constantIbLb0EESZ_EEDaSU_SV_EUlSU_E_NS1_11comp_targetILNS1_3genE0ELNS1_11target_archE4294967295ELNS1_3gpuE0ELNS1_3repE0EEENS1_30default_config_static_selectorELNS0_4arch9wavefront6targetE0EEEvT1_,comdat
	.protected	_ZN7rocprim17ROCPRIM_400000_NS6detail17trampoline_kernelINS0_14default_configENS1_27scan_by_key_config_selectorIsiEEZZNS1_16scan_by_key_implILNS1_25lookback_scan_determinismE0ELb1ES3_N6thrust23THRUST_200600_302600_NS6detail15normal_iteratorINS9_10device_ptrIsEEEESE_SE_iNS9_4plusIvEENS9_8equal_toIvEEiEE10hipError_tPvRmT2_T3_T4_T5_mT6_T7_P12ihipStream_tbENKUlT_T0_E_clISt17integral_constantIbLb0EESZ_EEDaSU_SV_EUlSU_E_NS1_11comp_targetILNS1_3genE0ELNS1_11target_archE4294967295ELNS1_3gpuE0ELNS1_3repE0EEENS1_30default_config_static_selectorELNS0_4arch9wavefront6targetE0EEEvT1_ ; -- Begin function _ZN7rocprim17ROCPRIM_400000_NS6detail17trampoline_kernelINS0_14default_configENS1_27scan_by_key_config_selectorIsiEEZZNS1_16scan_by_key_implILNS1_25lookback_scan_determinismE0ELb1ES3_N6thrust23THRUST_200600_302600_NS6detail15normal_iteratorINS9_10device_ptrIsEEEESE_SE_iNS9_4plusIvEENS9_8equal_toIvEEiEE10hipError_tPvRmT2_T3_T4_T5_mT6_T7_P12ihipStream_tbENKUlT_T0_E_clISt17integral_constantIbLb0EESZ_EEDaSU_SV_EUlSU_E_NS1_11comp_targetILNS1_3genE0ELNS1_11target_archE4294967295ELNS1_3gpuE0ELNS1_3repE0EEENS1_30default_config_static_selectorELNS0_4arch9wavefront6targetE0EEEvT1_
	.globl	_ZN7rocprim17ROCPRIM_400000_NS6detail17trampoline_kernelINS0_14default_configENS1_27scan_by_key_config_selectorIsiEEZZNS1_16scan_by_key_implILNS1_25lookback_scan_determinismE0ELb1ES3_N6thrust23THRUST_200600_302600_NS6detail15normal_iteratorINS9_10device_ptrIsEEEESE_SE_iNS9_4plusIvEENS9_8equal_toIvEEiEE10hipError_tPvRmT2_T3_T4_T5_mT6_T7_P12ihipStream_tbENKUlT_T0_E_clISt17integral_constantIbLb0EESZ_EEDaSU_SV_EUlSU_E_NS1_11comp_targetILNS1_3genE0ELNS1_11target_archE4294967295ELNS1_3gpuE0ELNS1_3repE0EEENS1_30default_config_static_selectorELNS0_4arch9wavefront6targetE0EEEvT1_
	.p2align	8
	.type	_ZN7rocprim17ROCPRIM_400000_NS6detail17trampoline_kernelINS0_14default_configENS1_27scan_by_key_config_selectorIsiEEZZNS1_16scan_by_key_implILNS1_25lookback_scan_determinismE0ELb1ES3_N6thrust23THRUST_200600_302600_NS6detail15normal_iteratorINS9_10device_ptrIsEEEESE_SE_iNS9_4plusIvEENS9_8equal_toIvEEiEE10hipError_tPvRmT2_T3_T4_T5_mT6_T7_P12ihipStream_tbENKUlT_T0_E_clISt17integral_constantIbLb0EESZ_EEDaSU_SV_EUlSU_E_NS1_11comp_targetILNS1_3genE0ELNS1_11target_archE4294967295ELNS1_3gpuE0ELNS1_3repE0EEENS1_30default_config_static_selectorELNS0_4arch9wavefront6targetE0EEEvT1_,@function
_ZN7rocprim17ROCPRIM_400000_NS6detail17trampoline_kernelINS0_14default_configENS1_27scan_by_key_config_selectorIsiEEZZNS1_16scan_by_key_implILNS1_25lookback_scan_determinismE0ELb1ES3_N6thrust23THRUST_200600_302600_NS6detail15normal_iteratorINS9_10device_ptrIsEEEESE_SE_iNS9_4plusIvEENS9_8equal_toIvEEiEE10hipError_tPvRmT2_T3_T4_T5_mT6_T7_P12ihipStream_tbENKUlT_T0_E_clISt17integral_constantIbLb0EESZ_EEDaSU_SV_EUlSU_E_NS1_11comp_targetILNS1_3genE0ELNS1_11target_archE4294967295ELNS1_3gpuE0ELNS1_3repE0EEENS1_30default_config_static_selectorELNS0_4arch9wavefront6targetE0EEEvT1_: ; @_ZN7rocprim17ROCPRIM_400000_NS6detail17trampoline_kernelINS0_14default_configENS1_27scan_by_key_config_selectorIsiEEZZNS1_16scan_by_key_implILNS1_25lookback_scan_determinismE0ELb1ES3_N6thrust23THRUST_200600_302600_NS6detail15normal_iteratorINS9_10device_ptrIsEEEESE_SE_iNS9_4plusIvEENS9_8equal_toIvEEiEE10hipError_tPvRmT2_T3_T4_T5_mT6_T7_P12ihipStream_tbENKUlT_T0_E_clISt17integral_constantIbLb0EESZ_EEDaSU_SV_EUlSU_E_NS1_11comp_targetILNS1_3genE0ELNS1_11target_archE4294967295ELNS1_3gpuE0ELNS1_3repE0EEENS1_30default_config_static_selectorELNS0_4arch9wavefront6targetE0EEEvT1_
; %bb.0:
	.section	.rodata,"a",@progbits
	.p2align	6, 0x0
	.amdhsa_kernel _ZN7rocprim17ROCPRIM_400000_NS6detail17trampoline_kernelINS0_14default_configENS1_27scan_by_key_config_selectorIsiEEZZNS1_16scan_by_key_implILNS1_25lookback_scan_determinismE0ELb1ES3_N6thrust23THRUST_200600_302600_NS6detail15normal_iteratorINS9_10device_ptrIsEEEESE_SE_iNS9_4plusIvEENS9_8equal_toIvEEiEE10hipError_tPvRmT2_T3_T4_T5_mT6_T7_P12ihipStream_tbENKUlT_T0_E_clISt17integral_constantIbLb0EESZ_EEDaSU_SV_EUlSU_E_NS1_11comp_targetILNS1_3genE0ELNS1_11target_archE4294967295ELNS1_3gpuE0ELNS1_3repE0EEENS1_30default_config_static_selectorELNS0_4arch9wavefront6targetE0EEEvT1_
		.amdhsa_group_segment_fixed_size 0
		.amdhsa_private_segment_fixed_size 0
		.amdhsa_kernarg_size 112
		.amdhsa_user_sgpr_count 6
		.amdhsa_user_sgpr_private_segment_buffer 1
		.amdhsa_user_sgpr_dispatch_ptr 0
		.amdhsa_user_sgpr_queue_ptr 0
		.amdhsa_user_sgpr_kernarg_segment_ptr 1
		.amdhsa_user_sgpr_dispatch_id 0
		.amdhsa_user_sgpr_flat_scratch_init 0
		.amdhsa_user_sgpr_private_segment_size 0
		.amdhsa_wavefront_size32 1
		.amdhsa_uses_dynamic_stack 0
		.amdhsa_system_sgpr_private_segment_wavefront_offset 0
		.amdhsa_system_sgpr_workgroup_id_x 1
		.amdhsa_system_sgpr_workgroup_id_y 0
		.amdhsa_system_sgpr_workgroup_id_z 0
		.amdhsa_system_sgpr_workgroup_info 0
		.amdhsa_system_vgpr_workitem_id 0
		.amdhsa_next_free_vgpr 1
		.amdhsa_next_free_sgpr 1
		.amdhsa_reserve_vcc 0
		.amdhsa_reserve_flat_scratch 0
		.amdhsa_float_round_mode_32 0
		.amdhsa_float_round_mode_16_64 0
		.amdhsa_float_denorm_mode_32 3
		.amdhsa_float_denorm_mode_16_64 3
		.amdhsa_dx10_clamp 1
		.amdhsa_ieee_mode 1
		.amdhsa_fp16_overflow 0
		.amdhsa_workgroup_processor_mode 1
		.amdhsa_memory_ordered 1
		.amdhsa_forward_progress 1
		.amdhsa_shared_vgpr_count 0
		.amdhsa_exception_fp_ieee_invalid_op 0
		.amdhsa_exception_fp_denorm_src 0
		.amdhsa_exception_fp_ieee_div_zero 0
		.amdhsa_exception_fp_ieee_overflow 0
		.amdhsa_exception_fp_ieee_underflow 0
		.amdhsa_exception_fp_ieee_inexact 0
		.amdhsa_exception_int_div_zero 0
	.end_amdhsa_kernel
	.section	.text._ZN7rocprim17ROCPRIM_400000_NS6detail17trampoline_kernelINS0_14default_configENS1_27scan_by_key_config_selectorIsiEEZZNS1_16scan_by_key_implILNS1_25lookback_scan_determinismE0ELb1ES3_N6thrust23THRUST_200600_302600_NS6detail15normal_iteratorINS9_10device_ptrIsEEEESE_SE_iNS9_4plusIvEENS9_8equal_toIvEEiEE10hipError_tPvRmT2_T3_T4_T5_mT6_T7_P12ihipStream_tbENKUlT_T0_E_clISt17integral_constantIbLb0EESZ_EEDaSU_SV_EUlSU_E_NS1_11comp_targetILNS1_3genE0ELNS1_11target_archE4294967295ELNS1_3gpuE0ELNS1_3repE0EEENS1_30default_config_static_selectorELNS0_4arch9wavefront6targetE0EEEvT1_,"axG",@progbits,_ZN7rocprim17ROCPRIM_400000_NS6detail17trampoline_kernelINS0_14default_configENS1_27scan_by_key_config_selectorIsiEEZZNS1_16scan_by_key_implILNS1_25lookback_scan_determinismE0ELb1ES3_N6thrust23THRUST_200600_302600_NS6detail15normal_iteratorINS9_10device_ptrIsEEEESE_SE_iNS9_4plusIvEENS9_8equal_toIvEEiEE10hipError_tPvRmT2_T3_T4_T5_mT6_T7_P12ihipStream_tbENKUlT_T0_E_clISt17integral_constantIbLb0EESZ_EEDaSU_SV_EUlSU_E_NS1_11comp_targetILNS1_3genE0ELNS1_11target_archE4294967295ELNS1_3gpuE0ELNS1_3repE0EEENS1_30default_config_static_selectorELNS0_4arch9wavefront6targetE0EEEvT1_,comdat
.Lfunc_end1042:
	.size	_ZN7rocprim17ROCPRIM_400000_NS6detail17trampoline_kernelINS0_14default_configENS1_27scan_by_key_config_selectorIsiEEZZNS1_16scan_by_key_implILNS1_25lookback_scan_determinismE0ELb1ES3_N6thrust23THRUST_200600_302600_NS6detail15normal_iteratorINS9_10device_ptrIsEEEESE_SE_iNS9_4plusIvEENS9_8equal_toIvEEiEE10hipError_tPvRmT2_T3_T4_T5_mT6_T7_P12ihipStream_tbENKUlT_T0_E_clISt17integral_constantIbLb0EESZ_EEDaSU_SV_EUlSU_E_NS1_11comp_targetILNS1_3genE0ELNS1_11target_archE4294967295ELNS1_3gpuE0ELNS1_3repE0EEENS1_30default_config_static_selectorELNS0_4arch9wavefront6targetE0EEEvT1_, .Lfunc_end1042-_ZN7rocprim17ROCPRIM_400000_NS6detail17trampoline_kernelINS0_14default_configENS1_27scan_by_key_config_selectorIsiEEZZNS1_16scan_by_key_implILNS1_25lookback_scan_determinismE0ELb1ES3_N6thrust23THRUST_200600_302600_NS6detail15normal_iteratorINS9_10device_ptrIsEEEESE_SE_iNS9_4plusIvEENS9_8equal_toIvEEiEE10hipError_tPvRmT2_T3_T4_T5_mT6_T7_P12ihipStream_tbENKUlT_T0_E_clISt17integral_constantIbLb0EESZ_EEDaSU_SV_EUlSU_E_NS1_11comp_targetILNS1_3genE0ELNS1_11target_archE4294967295ELNS1_3gpuE0ELNS1_3repE0EEENS1_30default_config_static_selectorELNS0_4arch9wavefront6targetE0EEEvT1_
                                        ; -- End function
	.set _ZN7rocprim17ROCPRIM_400000_NS6detail17trampoline_kernelINS0_14default_configENS1_27scan_by_key_config_selectorIsiEEZZNS1_16scan_by_key_implILNS1_25lookback_scan_determinismE0ELb1ES3_N6thrust23THRUST_200600_302600_NS6detail15normal_iteratorINS9_10device_ptrIsEEEESE_SE_iNS9_4plusIvEENS9_8equal_toIvEEiEE10hipError_tPvRmT2_T3_T4_T5_mT6_T7_P12ihipStream_tbENKUlT_T0_E_clISt17integral_constantIbLb0EESZ_EEDaSU_SV_EUlSU_E_NS1_11comp_targetILNS1_3genE0ELNS1_11target_archE4294967295ELNS1_3gpuE0ELNS1_3repE0EEENS1_30default_config_static_selectorELNS0_4arch9wavefront6targetE0EEEvT1_.num_vgpr, 0
	.set _ZN7rocprim17ROCPRIM_400000_NS6detail17trampoline_kernelINS0_14default_configENS1_27scan_by_key_config_selectorIsiEEZZNS1_16scan_by_key_implILNS1_25lookback_scan_determinismE0ELb1ES3_N6thrust23THRUST_200600_302600_NS6detail15normal_iteratorINS9_10device_ptrIsEEEESE_SE_iNS9_4plusIvEENS9_8equal_toIvEEiEE10hipError_tPvRmT2_T3_T4_T5_mT6_T7_P12ihipStream_tbENKUlT_T0_E_clISt17integral_constantIbLb0EESZ_EEDaSU_SV_EUlSU_E_NS1_11comp_targetILNS1_3genE0ELNS1_11target_archE4294967295ELNS1_3gpuE0ELNS1_3repE0EEENS1_30default_config_static_selectorELNS0_4arch9wavefront6targetE0EEEvT1_.num_agpr, 0
	.set _ZN7rocprim17ROCPRIM_400000_NS6detail17trampoline_kernelINS0_14default_configENS1_27scan_by_key_config_selectorIsiEEZZNS1_16scan_by_key_implILNS1_25lookback_scan_determinismE0ELb1ES3_N6thrust23THRUST_200600_302600_NS6detail15normal_iteratorINS9_10device_ptrIsEEEESE_SE_iNS9_4plusIvEENS9_8equal_toIvEEiEE10hipError_tPvRmT2_T3_T4_T5_mT6_T7_P12ihipStream_tbENKUlT_T0_E_clISt17integral_constantIbLb0EESZ_EEDaSU_SV_EUlSU_E_NS1_11comp_targetILNS1_3genE0ELNS1_11target_archE4294967295ELNS1_3gpuE0ELNS1_3repE0EEENS1_30default_config_static_selectorELNS0_4arch9wavefront6targetE0EEEvT1_.numbered_sgpr, 0
	.set _ZN7rocprim17ROCPRIM_400000_NS6detail17trampoline_kernelINS0_14default_configENS1_27scan_by_key_config_selectorIsiEEZZNS1_16scan_by_key_implILNS1_25lookback_scan_determinismE0ELb1ES3_N6thrust23THRUST_200600_302600_NS6detail15normal_iteratorINS9_10device_ptrIsEEEESE_SE_iNS9_4plusIvEENS9_8equal_toIvEEiEE10hipError_tPvRmT2_T3_T4_T5_mT6_T7_P12ihipStream_tbENKUlT_T0_E_clISt17integral_constantIbLb0EESZ_EEDaSU_SV_EUlSU_E_NS1_11comp_targetILNS1_3genE0ELNS1_11target_archE4294967295ELNS1_3gpuE0ELNS1_3repE0EEENS1_30default_config_static_selectorELNS0_4arch9wavefront6targetE0EEEvT1_.num_named_barrier, 0
	.set _ZN7rocprim17ROCPRIM_400000_NS6detail17trampoline_kernelINS0_14default_configENS1_27scan_by_key_config_selectorIsiEEZZNS1_16scan_by_key_implILNS1_25lookback_scan_determinismE0ELb1ES3_N6thrust23THRUST_200600_302600_NS6detail15normal_iteratorINS9_10device_ptrIsEEEESE_SE_iNS9_4plusIvEENS9_8equal_toIvEEiEE10hipError_tPvRmT2_T3_T4_T5_mT6_T7_P12ihipStream_tbENKUlT_T0_E_clISt17integral_constantIbLb0EESZ_EEDaSU_SV_EUlSU_E_NS1_11comp_targetILNS1_3genE0ELNS1_11target_archE4294967295ELNS1_3gpuE0ELNS1_3repE0EEENS1_30default_config_static_selectorELNS0_4arch9wavefront6targetE0EEEvT1_.private_seg_size, 0
	.set _ZN7rocprim17ROCPRIM_400000_NS6detail17trampoline_kernelINS0_14default_configENS1_27scan_by_key_config_selectorIsiEEZZNS1_16scan_by_key_implILNS1_25lookback_scan_determinismE0ELb1ES3_N6thrust23THRUST_200600_302600_NS6detail15normal_iteratorINS9_10device_ptrIsEEEESE_SE_iNS9_4plusIvEENS9_8equal_toIvEEiEE10hipError_tPvRmT2_T3_T4_T5_mT6_T7_P12ihipStream_tbENKUlT_T0_E_clISt17integral_constantIbLb0EESZ_EEDaSU_SV_EUlSU_E_NS1_11comp_targetILNS1_3genE0ELNS1_11target_archE4294967295ELNS1_3gpuE0ELNS1_3repE0EEENS1_30default_config_static_selectorELNS0_4arch9wavefront6targetE0EEEvT1_.uses_vcc, 0
	.set _ZN7rocprim17ROCPRIM_400000_NS6detail17trampoline_kernelINS0_14default_configENS1_27scan_by_key_config_selectorIsiEEZZNS1_16scan_by_key_implILNS1_25lookback_scan_determinismE0ELb1ES3_N6thrust23THRUST_200600_302600_NS6detail15normal_iteratorINS9_10device_ptrIsEEEESE_SE_iNS9_4plusIvEENS9_8equal_toIvEEiEE10hipError_tPvRmT2_T3_T4_T5_mT6_T7_P12ihipStream_tbENKUlT_T0_E_clISt17integral_constantIbLb0EESZ_EEDaSU_SV_EUlSU_E_NS1_11comp_targetILNS1_3genE0ELNS1_11target_archE4294967295ELNS1_3gpuE0ELNS1_3repE0EEENS1_30default_config_static_selectorELNS0_4arch9wavefront6targetE0EEEvT1_.uses_flat_scratch, 0
	.set _ZN7rocprim17ROCPRIM_400000_NS6detail17trampoline_kernelINS0_14default_configENS1_27scan_by_key_config_selectorIsiEEZZNS1_16scan_by_key_implILNS1_25lookback_scan_determinismE0ELb1ES3_N6thrust23THRUST_200600_302600_NS6detail15normal_iteratorINS9_10device_ptrIsEEEESE_SE_iNS9_4plusIvEENS9_8equal_toIvEEiEE10hipError_tPvRmT2_T3_T4_T5_mT6_T7_P12ihipStream_tbENKUlT_T0_E_clISt17integral_constantIbLb0EESZ_EEDaSU_SV_EUlSU_E_NS1_11comp_targetILNS1_3genE0ELNS1_11target_archE4294967295ELNS1_3gpuE0ELNS1_3repE0EEENS1_30default_config_static_selectorELNS0_4arch9wavefront6targetE0EEEvT1_.has_dyn_sized_stack, 0
	.set _ZN7rocprim17ROCPRIM_400000_NS6detail17trampoline_kernelINS0_14default_configENS1_27scan_by_key_config_selectorIsiEEZZNS1_16scan_by_key_implILNS1_25lookback_scan_determinismE0ELb1ES3_N6thrust23THRUST_200600_302600_NS6detail15normal_iteratorINS9_10device_ptrIsEEEESE_SE_iNS9_4plusIvEENS9_8equal_toIvEEiEE10hipError_tPvRmT2_T3_T4_T5_mT6_T7_P12ihipStream_tbENKUlT_T0_E_clISt17integral_constantIbLb0EESZ_EEDaSU_SV_EUlSU_E_NS1_11comp_targetILNS1_3genE0ELNS1_11target_archE4294967295ELNS1_3gpuE0ELNS1_3repE0EEENS1_30default_config_static_selectorELNS0_4arch9wavefront6targetE0EEEvT1_.has_recursion, 0
	.set _ZN7rocprim17ROCPRIM_400000_NS6detail17trampoline_kernelINS0_14default_configENS1_27scan_by_key_config_selectorIsiEEZZNS1_16scan_by_key_implILNS1_25lookback_scan_determinismE0ELb1ES3_N6thrust23THRUST_200600_302600_NS6detail15normal_iteratorINS9_10device_ptrIsEEEESE_SE_iNS9_4plusIvEENS9_8equal_toIvEEiEE10hipError_tPvRmT2_T3_T4_T5_mT6_T7_P12ihipStream_tbENKUlT_T0_E_clISt17integral_constantIbLb0EESZ_EEDaSU_SV_EUlSU_E_NS1_11comp_targetILNS1_3genE0ELNS1_11target_archE4294967295ELNS1_3gpuE0ELNS1_3repE0EEENS1_30default_config_static_selectorELNS0_4arch9wavefront6targetE0EEEvT1_.has_indirect_call, 0
	.section	.AMDGPU.csdata,"",@progbits
; Kernel info:
; codeLenInByte = 0
; TotalNumSgprs: 0
; NumVgprs: 0
; ScratchSize: 0
; MemoryBound: 0
; FloatMode: 240
; IeeeMode: 1
; LDSByteSize: 0 bytes/workgroup (compile time only)
; SGPRBlocks: 0
; VGPRBlocks: 0
; NumSGPRsForWavesPerEU: 1
; NumVGPRsForWavesPerEU: 1
; Occupancy: 16
; WaveLimiterHint : 0
; COMPUTE_PGM_RSRC2:SCRATCH_EN: 0
; COMPUTE_PGM_RSRC2:USER_SGPR: 6
; COMPUTE_PGM_RSRC2:TRAP_HANDLER: 0
; COMPUTE_PGM_RSRC2:TGID_X_EN: 1
; COMPUTE_PGM_RSRC2:TGID_Y_EN: 0
; COMPUTE_PGM_RSRC2:TGID_Z_EN: 0
; COMPUTE_PGM_RSRC2:TIDIG_COMP_CNT: 0
	.section	.text._ZN7rocprim17ROCPRIM_400000_NS6detail17trampoline_kernelINS0_14default_configENS1_27scan_by_key_config_selectorIsiEEZZNS1_16scan_by_key_implILNS1_25lookback_scan_determinismE0ELb1ES3_N6thrust23THRUST_200600_302600_NS6detail15normal_iteratorINS9_10device_ptrIsEEEESE_SE_iNS9_4plusIvEENS9_8equal_toIvEEiEE10hipError_tPvRmT2_T3_T4_T5_mT6_T7_P12ihipStream_tbENKUlT_T0_E_clISt17integral_constantIbLb0EESZ_EEDaSU_SV_EUlSU_E_NS1_11comp_targetILNS1_3genE10ELNS1_11target_archE1201ELNS1_3gpuE5ELNS1_3repE0EEENS1_30default_config_static_selectorELNS0_4arch9wavefront6targetE0EEEvT1_,"axG",@progbits,_ZN7rocprim17ROCPRIM_400000_NS6detail17trampoline_kernelINS0_14default_configENS1_27scan_by_key_config_selectorIsiEEZZNS1_16scan_by_key_implILNS1_25lookback_scan_determinismE0ELb1ES3_N6thrust23THRUST_200600_302600_NS6detail15normal_iteratorINS9_10device_ptrIsEEEESE_SE_iNS9_4plusIvEENS9_8equal_toIvEEiEE10hipError_tPvRmT2_T3_T4_T5_mT6_T7_P12ihipStream_tbENKUlT_T0_E_clISt17integral_constantIbLb0EESZ_EEDaSU_SV_EUlSU_E_NS1_11comp_targetILNS1_3genE10ELNS1_11target_archE1201ELNS1_3gpuE5ELNS1_3repE0EEENS1_30default_config_static_selectorELNS0_4arch9wavefront6targetE0EEEvT1_,comdat
	.protected	_ZN7rocprim17ROCPRIM_400000_NS6detail17trampoline_kernelINS0_14default_configENS1_27scan_by_key_config_selectorIsiEEZZNS1_16scan_by_key_implILNS1_25lookback_scan_determinismE0ELb1ES3_N6thrust23THRUST_200600_302600_NS6detail15normal_iteratorINS9_10device_ptrIsEEEESE_SE_iNS9_4plusIvEENS9_8equal_toIvEEiEE10hipError_tPvRmT2_T3_T4_T5_mT6_T7_P12ihipStream_tbENKUlT_T0_E_clISt17integral_constantIbLb0EESZ_EEDaSU_SV_EUlSU_E_NS1_11comp_targetILNS1_3genE10ELNS1_11target_archE1201ELNS1_3gpuE5ELNS1_3repE0EEENS1_30default_config_static_selectorELNS0_4arch9wavefront6targetE0EEEvT1_ ; -- Begin function _ZN7rocprim17ROCPRIM_400000_NS6detail17trampoline_kernelINS0_14default_configENS1_27scan_by_key_config_selectorIsiEEZZNS1_16scan_by_key_implILNS1_25lookback_scan_determinismE0ELb1ES3_N6thrust23THRUST_200600_302600_NS6detail15normal_iteratorINS9_10device_ptrIsEEEESE_SE_iNS9_4plusIvEENS9_8equal_toIvEEiEE10hipError_tPvRmT2_T3_T4_T5_mT6_T7_P12ihipStream_tbENKUlT_T0_E_clISt17integral_constantIbLb0EESZ_EEDaSU_SV_EUlSU_E_NS1_11comp_targetILNS1_3genE10ELNS1_11target_archE1201ELNS1_3gpuE5ELNS1_3repE0EEENS1_30default_config_static_selectorELNS0_4arch9wavefront6targetE0EEEvT1_
	.globl	_ZN7rocprim17ROCPRIM_400000_NS6detail17trampoline_kernelINS0_14default_configENS1_27scan_by_key_config_selectorIsiEEZZNS1_16scan_by_key_implILNS1_25lookback_scan_determinismE0ELb1ES3_N6thrust23THRUST_200600_302600_NS6detail15normal_iteratorINS9_10device_ptrIsEEEESE_SE_iNS9_4plusIvEENS9_8equal_toIvEEiEE10hipError_tPvRmT2_T3_T4_T5_mT6_T7_P12ihipStream_tbENKUlT_T0_E_clISt17integral_constantIbLb0EESZ_EEDaSU_SV_EUlSU_E_NS1_11comp_targetILNS1_3genE10ELNS1_11target_archE1201ELNS1_3gpuE5ELNS1_3repE0EEENS1_30default_config_static_selectorELNS0_4arch9wavefront6targetE0EEEvT1_
	.p2align	8
	.type	_ZN7rocprim17ROCPRIM_400000_NS6detail17trampoline_kernelINS0_14default_configENS1_27scan_by_key_config_selectorIsiEEZZNS1_16scan_by_key_implILNS1_25lookback_scan_determinismE0ELb1ES3_N6thrust23THRUST_200600_302600_NS6detail15normal_iteratorINS9_10device_ptrIsEEEESE_SE_iNS9_4plusIvEENS9_8equal_toIvEEiEE10hipError_tPvRmT2_T3_T4_T5_mT6_T7_P12ihipStream_tbENKUlT_T0_E_clISt17integral_constantIbLb0EESZ_EEDaSU_SV_EUlSU_E_NS1_11comp_targetILNS1_3genE10ELNS1_11target_archE1201ELNS1_3gpuE5ELNS1_3repE0EEENS1_30default_config_static_selectorELNS0_4arch9wavefront6targetE0EEEvT1_,@function
_ZN7rocprim17ROCPRIM_400000_NS6detail17trampoline_kernelINS0_14default_configENS1_27scan_by_key_config_selectorIsiEEZZNS1_16scan_by_key_implILNS1_25lookback_scan_determinismE0ELb1ES3_N6thrust23THRUST_200600_302600_NS6detail15normal_iteratorINS9_10device_ptrIsEEEESE_SE_iNS9_4plusIvEENS9_8equal_toIvEEiEE10hipError_tPvRmT2_T3_T4_T5_mT6_T7_P12ihipStream_tbENKUlT_T0_E_clISt17integral_constantIbLb0EESZ_EEDaSU_SV_EUlSU_E_NS1_11comp_targetILNS1_3genE10ELNS1_11target_archE1201ELNS1_3gpuE5ELNS1_3repE0EEENS1_30default_config_static_selectorELNS0_4arch9wavefront6targetE0EEEvT1_: ; @_ZN7rocprim17ROCPRIM_400000_NS6detail17trampoline_kernelINS0_14default_configENS1_27scan_by_key_config_selectorIsiEEZZNS1_16scan_by_key_implILNS1_25lookback_scan_determinismE0ELb1ES3_N6thrust23THRUST_200600_302600_NS6detail15normal_iteratorINS9_10device_ptrIsEEEESE_SE_iNS9_4plusIvEENS9_8equal_toIvEEiEE10hipError_tPvRmT2_T3_T4_T5_mT6_T7_P12ihipStream_tbENKUlT_T0_E_clISt17integral_constantIbLb0EESZ_EEDaSU_SV_EUlSU_E_NS1_11comp_targetILNS1_3genE10ELNS1_11target_archE1201ELNS1_3gpuE5ELNS1_3repE0EEENS1_30default_config_static_selectorELNS0_4arch9wavefront6targetE0EEEvT1_
; %bb.0:
	.section	.rodata,"a",@progbits
	.p2align	6, 0x0
	.amdhsa_kernel _ZN7rocprim17ROCPRIM_400000_NS6detail17trampoline_kernelINS0_14default_configENS1_27scan_by_key_config_selectorIsiEEZZNS1_16scan_by_key_implILNS1_25lookback_scan_determinismE0ELb1ES3_N6thrust23THRUST_200600_302600_NS6detail15normal_iteratorINS9_10device_ptrIsEEEESE_SE_iNS9_4plusIvEENS9_8equal_toIvEEiEE10hipError_tPvRmT2_T3_T4_T5_mT6_T7_P12ihipStream_tbENKUlT_T0_E_clISt17integral_constantIbLb0EESZ_EEDaSU_SV_EUlSU_E_NS1_11comp_targetILNS1_3genE10ELNS1_11target_archE1201ELNS1_3gpuE5ELNS1_3repE0EEENS1_30default_config_static_selectorELNS0_4arch9wavefront6targetE0EEEvT1_
		.amdhsa_group_segment_fixed_size 0
		.amdhsa_private_segment_fixed_size 0
		.amdhsa_kernarg_size 112
		.amdhsa_user_sgpr_count 6
		.amdhsa_user_sgpr_private_segment_buffer 1
		.amdhsa_user_sgpr_dispatch_ptr 0
		.amdhsa_user_sgpr_queue_ptr 0
		.amdhsa_user_sgpr_kernarg_segment_ptr 1
		.amdhsa_user_sgpr_dispatch_id 0
		.amdhsa_user_sgpr_flat_scratch_init 0
		.amdhsa_user_sgpr_private_segment_size 0
		.amdhsa_wavefront_size32 1
		.amdhsa_uses_dynamic_stack 0
		.amdhsa_system_sgpr_private_segment_wavefront_offset 0
		.amdhsa_system_sgpr_workgroup_id_x 1
		.amdhsa_system_sgpr_workgroup_id_y 0
		.amdhsa_system_sgpr_workgroup_id_z 0
		.amdhsa_system_sgpr_workgroup_info 0
		.amdhsa_system_vgpr_workitem_id 0
		.amdhsa_next_free_vgpr 1
		.amdhsa_next_free_sgpr 1
		.amdhsa_reserve_vcc 0
		.amdhsa_reserve_flat_scratch 0
		.amdhsa_float_round_mode_32 0
		.amdhsa_float_round_mode_16_64 0
		.amdhsa_float_denorm_mode_32 3
		.amdhsa_float_denorm_mode_16_64 3
		.amdhsa_dx10_clamp 1
		.amdhsa_ieee_mode 1
		.amdhsa_fp16_overflow 0
		.amdhsa_workgroup_processor_mode 1
		.amdhsa_memory_ordered 1
		.amdhsa_forward_progress 1
		.amdhsa_shared_vgpr_count 0
		.amdhsa_exception_fp_ieee_invalid_op 0
		.amdhsa_exception_fp_denorm_src 0
		.amdhsa_exception_fp_ieee_div_zero 0
		.amdhsa_exception_fp_ieee_overflow 0
		.amdhsa_exception_fp_ieee_underflow 0
		.amdhsa_exception_fp_ieee_inexact 0
		.amdhsa_exception_int_div_zero 0
	.end_amdhsa_kernel
	.section	.text._ZN7rocprim17ROCPRIM_400000_NS6detail17trampoline_kernelINS0_14default_configENS1_27scan_by_key_config_selectorIsiEEZZNS1_16scan_by_key_implILNS1_25lookback_scan_determinismE0ELb1ES3_N6thrust23THRUST_200600_302600_NS6detail15normal_iteratorINS9_10device_ptrIsEEEESE_SE_iNS9_4plusIvEENS9_8equal_toIvEEiEE10hipError_tPvRmT2_T3_T4_T5_mT6_T7_P12ihipStream_tbENKUlT_T0_E_clISt17integral_constantIbLb0EESZ_EEDaSU_SV_EUlSU_E_NS1_11comp_targetILNS1_3genE10ELNS1_11target_archE1201ELNS1_3gpuE5ELNS1_3repE0EEENS1_30default_config_static_selectorELNS0_4arch9wavefront6targetE0EEEvT1_,"axG",@progbits,_ZN7rocprim17ROCPRIM_400000_NS6detail17trampoline_kernelINS0_14default_configENS1_27scan_by_key_config_selectorIsiEEZZNS1_16scan_by_key_implILNS1_25lookback_scan_determinismE0ELb1ES3_N6thrust23THRUST_200600_302600_NS6detail15normal_iteratorINS9_10device_ptrIsEEEESE_SE_iNS9_4plusIvEENS9_8equal_toIvEEiEE10hipError_tPvRmT2_T3_T4_T5_mT6_T7_P12ihipStream_tbENKUlT_T0_E_clISt17integral_constantIbLb0EESZ_EEDaSU_SV_EUlSU_E_NS1_11comp_targetILNS1_3genE10ELNS1_11target_archE1201ELNS1_3gpuE5ELNS1_3repE0EEENS1_30default_config_static_selectorELNS0_4arch9wavefront6targetE0EEEvT1_,comdat
.Lfunc_end1043:
	.size	_ZN7rocprim17ROCPRIM_400000_NS6detail17trampoline_kernelINS0_14default_configENS1_27scan_by_key_config_selectorIsiEEZZNS1_16scan_by_key_implILNS1_25lookback_scan_determinismE0ELb1ES3_N6thrust23THRUST_200600_302600_NS6detail15normal_iteratorINS9_10device_ptrIsEEEESE_SE_iNS9_4plusIvEENS9_8equal_toIvEEiEE10hipError_tPvRmT2_T3_T4_T5_mT6_T7_P12ihipStream_tbENKUlT_T0_E_clISt17integral_constantIbLb0EESZ_EEDaSU_SV_EUlSU_E_NS1_11comp_targetILNS1_3genE10ELNS1_11target_archE1201ELNS1_3gpuE5ELNS1_3repE0EEENS1_30default_config_static_selectorELNS0_4arch9wavefront6targetE0EEEvT1_, .Lfunc_end1043-_ZN7rocprim17ROCPRIM_400000_NS6detail17trampoline_kernelINS0_14default_configENS1_27scan_by_key_config_selectorIsiEEZZNS1_16scan_by_key_implILNS1_25lookback_scan_determinismE0ELb1ES3_N6thrust23THRUST_200600_302600_NS6detail15normal_iteratorINS9_10device_ptrIsEEEESE_SE_iNS9_4plusIvEENS9_8equal_toIvEEiEE10hipError_tPvRmT2_T3_T4_T5_mT6_T7_P12ihipStream_tbENKUlT_T0_E_clISt17integral_constantIbLb0EESZ_EEDaSU_SV_EUlSU_E_NS1_11comp_targetILNS1_3genE10ELNS1_11target_archE1201ELNS1_3gpuE5ELNS1_3repE0EEENS1_30default_config_static_selectorELNS0_4arch9wavefront6targetE0EEEvT1_
                                        ; -- End function
	.set _ZN7rocprim17ROCPRIM_400000_NS6detail17trampoline_kernelINS0_14default_configENS1_27scan_by_key_config_selectorIsiEEZZNS1_16scan_by_key_implILNS1_25lookback_scan_determinismE0ELb1ES3_N6thrust23THRUST_200600_302600_NS6detail15normal_iteratorINS9_10device_ptrIsEEEESE_SE_iNS9_4plusIvEENS9_8equal_toIvEEiEE10hipError_tPvRmT2_T3_T4_T5_mT6_T7_P12ihipStream_tbENKUlT_T0_E_clISt17integral_constantIbLb0EESZ_EEDaSU_SV_EUlSU_E_NS1_11comp_targetILNS1_3genE10ELNS1_11target_archE1201ELNS1_3gpuE5ELNS1_3repE0EEENS1_30default_config_static_selectorELNS0_4arch9wavefront6targetE0EEEvT1_.num_vgpr, 0
	.set _ZN7rocprim17ROCPRIM_400000_NS6detail17trampoline_kernelINS0_14default_configENS1_27scan_by_key_config_selectorIsiEEZZNS1_16scan_by_key_implILNS1_25lookback_scan_determinismE0ELb1ES3_N6thrust23THRUST_200600_302600_NS6detail15normal_iteratorINS9_10device_ptrIsEEEESE_SE_iNS9_4plusIvEENS9_8equal_toIvEEiEE10hipError_tPvRmT2_T3_T4_T5_mT6_T7_P12ihipStream_tbENKUlT_T0_E_clISt17integral_constantIbLb0EESZ_EEDaSU_SV_EUlSU_E_NS1_11comp_targetILNS1_3genE10ELNS1_11target_archE1201ELNS1_3gpuE5ELNS1_3repE0EEENS1_30default_config_static_selectorELNS0_4arch9wavefront6targetE0EEEvT1_.num_agpr, 0
	.set _ZN7rocprim17ROCPRIM_400000_NS6detail17trampoline_kernelINS0_14default_configENS1_27scan_by_key_config_selectorIsiEEZZNS1_16scan_by_key_implILNS1_25lookback_scan_determinismE0ELb1ES3_N6thrust23THRUST_200600_302600_NS6detail15normal_iteratorINS9_10device_ptrIsEEEESE_SE_iNS9_4plusIvEENS9_8equal_toIvEEiEE10hipError_tPvRmT2_T3_T4_T5_mT6_T7_P12ihipStream_tbENKUlT_T0_E_clISt17integral_constantIbLb0EESZ_EEDaSU_SV_EUlSU_E_NS1_11comp_targetILNS1_3genE10ELNS1_11target_archE1201ELNS1_3gpuE5ELNS1_3repE0EEENS1_30default_config_static_selectorELNS0_4arch9wavefront6targetE0EEEvT1_.numbered_sgpr, 0
	.set _ZN7rocprim17ROCPRIM_400000_NS6detail17trampoline_kernelINS0_14default_configENS1_27scan_by_key_config_selectorIsiEEZZNS1_16scan_by_key_implILNS1_25lookback_scan_determinismE0ELb1ES3_N6thrust23THRUST_200600_302600_NS6detail15normal_iteratorINS9_10device_ptrIsEEEESE_SE_iNS9_4plusIvEENS9_8equal_toIvEEiEE10hipError_tPvRmT2_T3_T4_T5_mT6_T7_P12ihipStream_tbENKUlT_T0_E_clISt17integral_constantIbLb0EESZ_EEDaSU_SV_EUlSU_E_NS1_11comp_targetILNS1_3genE10ELNS1_11target_archE1201ELNS1_3gpuE5ELNS1_3repE0EEENS1_30default_config_static_selectorELNS0_4arch9wavefront6targetE0EEEvT1_.num_named_barrier, 0
	.set _ZN7rocprim17ROCPRIM_400000_NS6detail17trampoline_kernelINS0_14default_configENS1_27scan_by_key_config_selectorIsiEEZZNS1_16scan_by_key_implILNS1_25lookback_scan_determinismE0ELb1ES3_N6thrust23THRUST_200600_302600_NS6detail15normal_iteratorINS9_10device_ptrIsEEEESE_SE_iNS9_4plusIvEENS9_8equal_toIvEEiEE10hipError_tPvRmT2_T3_T4_T5_mT6_T7_P12ihipStream_tbENKUlT_T0_E_clISt17integral_constantIbLb0EESZ_EEDaSU_SV_EUlSU_E_NS1_11comp_targetILNS1_3genE10ELNS1_11target_archE1201ELNS1_3gpuE5ELNS1_3repE0EEENS1_30default_config_static_selectorELNS0_4arch9wavefront6targetE0EEEvT1_.private_seg_size, 0
	.set _ZN7rocprim17ROCPRIM_400000_NS6detail17trampoline_kernelINS0_14default_configENS1_27scan_by_key_config_selectorIsiEEZZNS1_16scan_by_key_implILNS1_25lookback_scan_determinismE0ELb1ES3_N6thrust23THRUST_200600_302600_NS6detail15normal_iteratorINS9_10device_ptrIsEEEESE_SE_iNS9_4plusIvEENS9_8equal_toIvEEiEE10hipError_tPvRmT2_T3_T4_T5_mT6_T7_P12ihipStream_tbENKUlT_T0_E_clISt17integral_constantIbLb0EESZ_EEDaSU_SV_EUlSU_E_NS1_11comp_targetILNS1_3genE10ELNS1_11target_archE1201ELNS1_3gpuE5ELNS1_3repE0EEENS1_30default_config_static_selectorELNS0_4arch9wavefront6targetE0EEEvT1_.uses_vcc, 0
	.set _ZN7rocprim17ROCPRIM_400000_NS6detail17trampoline_kernelINS0_14default_configENS1_27scan_by_key_config_selectorIsiEEZZNS1_16scan_by_key_implILNS1_25lookback_scan_determinismE0ELb1ES3_N6thrust23THRUST_200600_302600_NS6detail15normal_iteratorINS9_10device_ptrIsEEEESE_SE_iNS9_4plusIvEENS9_8equal_toIvEEiEE10hipError_tPvRmT2_T3_T4_T5_mT6_T7_P12ihipStream_tbENKUlT_T0_E_clISt17integral_constantIbLb0EESZ_EEDaSU_SV_EUlSU_E_NS1_11comp_targetILNS1_3genE10ELNS1_11target_archE1201ELNS1_3gpuE5ELNS1_3repE0EEENS1_30default_config_static_selectorELNS0_4arch9wavefront6targetE0EEEvT1_.uses_flat_scratch, 0
	.set _ZN7rocprim17ROCPRIM_400000_NS6detail17trampoline_kernelINS0_14default_configENS1_27scan_by_key_config_selectorIsiEEZZNS1_16scan_by_key_implILNS1_25lookback_scan_determinismE0ELb1ES3_N6thrust23THRUST_200600_302600_NS6detail15normal_iteratorINS9_10device_ptrIsEEEESE_SE_iNS9_4plusIvEENS9_8equal_toIvEEiEE10hipError_tPvRmT2_T3_T4_T5_mT6_T7_P12ihipStream_tbENKUlT_T0_E_clISt17integral_constantIbLb0EESZ_EEDaSU_SV_EUlSU_E_NS1_11comp_targetILNS1_3genE10ELNS1_11target_archE1201ELNS1_3gpuE5ELNS1_3repE0EEENS1_30default_config_static_selectorELNS0_4arch9wavefront6targetE0EEEvT1_.has_dyn_sized_stack, 0
	.set _ZN7rocprim17ROCPRIM_400000_NS6detail17trampoline_kernelINS0_14default_configENS1_27scan_by_key_config_selectorIsiEEZZNS1_16scan_by_key_implILNS1_25lookback_scan_determinismE0ELb1ES3_N6thrust23THRUST_200600_302600_NS6detail15normal_iteratorINS9_10device_ptrIsEEEESE_SE_iNS9_4plusIvEENS9_8equal_toIvEEiEE10hipError_tPvRmT2_T3_T4_T5_mT6_T7_P12ihipStream_tbENKUlT_T0_E_clISt17integral_constantIbLb0EESZ_EEDaSU_SV_EUlSU_E_NS1_11comp_targetILNS1_3genE10ELNS1_11target_archE1201ELNS1_3gpuE5ELNS1_3repE0EEENS1_30default_config_static_selectorELNS0_4arch9wavefront6targetE0EEEvT1_.has_recursion, 0
	.set _ZN7rocprim17ROCPRIM_400000_NS6detail17trampoline_kernelINS0_14default_configENS1_27scan_by_key_config_selectorIsiEEZZNS1_16scan_by_key_implILNS1_25lookback_scan_determinismE0ELb1ES3_N6thrust23THRUST_200600_302600_NS6detail15normal_iteratorINS9_10device_ptrIsEEEESE_SE_iNS9_4plusIvEENS9_8equal_toIvEEiEE10hipError_tPvRmT2_T3_T4_T5_mT6_T7_P12ihipStream_tbENKUlT_T0_E_clISt17integral_constantIbLb0EESZ_EEDaSU_SV_EUlSU_E_NS1_11comp_targetILNS1_3genE10ELNS1_11target_archE1201ELNS1_3gpuE5ELNS1_3repE0EEENS1_30default_config_static_selectorELNS0_4arch9wavefront6targetE0EEEvT1_.has_indirect_call, 0
	.section	.AMDGPU.csdata,"",@progbits
; Kernel info:
; codeLenInByte = 0
; TotalNumSgprs: 0
; NumVgprs: 0
; ScratchSize: 0
; MemoryBound: 0
; FloatMode: 240
; IeeeMode: 1
; LDSByteSize: 0 bytes/workgroup (compile time only)
; SGPRBlocks: 0
; VGPRBlocks: 0
; NumSGPRsForWavesPerEU: 1
; NumVGPRsForWavesPerEU: 1
; Occupancy: 16
; WaveLimiterHint : 0
; COMPUTE_PGM_RSRC2:SCRATCH_EN: 0
; COMPUTE_PGM_RSRC2:USER_SGPR: 6
; COMPUTE_PGM_RSRC2:TRAP_HANDLER: 0
; COMPUTE_PGM_RSRC2:TGID_X_EN: 1
; COMPUTE_PGM_RSRC2:TGID_Y_EN: 0
; COMPUTE_PGM_RSRC2:TGID_Z_EN: 0
; COMPUTE_PGM_RSRC2:TIDIG_COMP_CNT: 0
	.section	.text._ZN7rocprim17ROCPRIM_400000_NS6detail17trampoline_kernelINS0_14default_configENS1_27scan_by_key_config_selectorIsiEEZZNS1_16scan_by_key_implILNS1_25lookback_scan_determinismE0ELb1ES3_N6thrust23THRUST_200600_302600_NS6detail15normal_iteratorINS9_10device_ptrIsEEEESE_SE_iNS9_4plusIvEENS9_8equal_toIvEEiEE10hipError_tPvRmT2_T3_T4_T5_mT6_T7_P12ihipStream_tbENKUlT_T0_E_clISt17integral_constantIbLb0EESZ_EEDaSU_SV_EUlSU_E_NS1_11comp_targetILNS1_3genE5ELNS1_11target_archE942ELNS1_3gpuE9ELNS1_3repE0EEENS1_30default_config_static_selectorELNS0_4arch9wavefront6targetE0EEEvT1_,"axG",@progbits,_ZN7rocprim17ROCPRIM_400000_NS6detail17trampoline_kernelINS0_14default_configENS1_27scan_by_key_config_selectorIsiEEZZNS1_16scan_by_key_implILNS1_25lookback_scan_determinismE0ELb1ES3_N6thrust23THRUST_200600_302600_NS6detail15normal_iteratorINS9_10device_ptrIsEEEESE_SE_iNS9_4plusIvEENS9_8equal_toIvEEiEE10hipError_tPvRmT2_T3_T4_T5_mT6_T7_P12ihipStream_tbENKUlT_T0_E_clISt17integral_constantIbLb0EESZ_EEDaSU_SV_EUlSU_E_NS1_11comp_targetILNS1_3genE5ELNS1_11target_archE942ELNS1_3gpuE9ELNS1_3repE0EEENS1_30default_config_static_selectorELNS0_4arch9wavefront6targetE0EEEvT1_,comdat
	.protected	_ZN7rocprim17ROCPRIM_400000_NS6detail17trampoline_kernelINS0_14default_configENS1_27scan_by_key_config_selectorIsiEEZZNS1_16scan_by_key_implILNS1_25lookback_scan_determinismE0ELb1ES3_N6thrust23THRUST_200600_302600_NS6detail15normal_iteratorINS9_10device_ptrIsEEEESE_SE_iNS9_4plusIvEENS9_8equal_toIvEEiEE10hipError_tPvRmT2_T3_T4_T5_mT6_T7_P12ihipStream_tbENKUlT_T0_E_clISt17integral_constantIbLb0EESZ_EEDaSU_SV_EUlSU_E_NS1_11comp_targetILNS1_3genE5ELNS1_11target_archE942ELNS1_3gpuE9ELNS1_3repE0EEENS1_30default_config_static_selectorELNS0_4arch9wavefront6targetE0EEEvT1_ ; -- Begin function _ZN7rocprim17ROCPRIM_400000_NS6detail17trampoline_kernelINS0_14default_configENS1_27scan_by_key_config_selectorIsiEEZZNS1_16scan_by_key_implILNS1_25lookback_scan_determinismE0ELb1ES3_N6thrust23THRUST_200600_302600_NS6detail15normal_iteratorINS9_10device_ptrIsEEEESE_SE_iNS9_4plusIvEENS9_8equal_toIvEEiEE10hipError_tPvRmT2_T3_T4_T5_mT6_T7_P12ihipStream_tbENKUlT_T0_E_clISt17integral_constantIbLb0EESZ_EEDaSU_SV_EUlSU_E_NS1_11comp_targetILNS1_3genE5ELNS1_11target_archE942ELNS1_3gpuE9ELNS1_3repE0EEENS1_30default_config_static_selectorELNS0_4arch9wavefront6targetE0EEEvT1_
	.globl	_ZN7rocprim17ROCPRIM_400000_NS6detail17trampoline_kernelINS0_14default_configENS1_27scan_by_key_config_selectorIsiEEZZNS1_16scan_by_key_implILNS1_25lookback_scan_determinismE0ELb1ES3_N6thrust23THRUST_200600_302600_NS6detail15normal_iteratorINS9_10device_ptrIsEEEESE_SE_iNS9_4plusIvEENS9_8equal_toIvEEiEE10hipError_tPvRmT2_T3_T4_T5_mT6_T7_P12ihipStream_tbENKUlT_T0_E_clISt17integral_constantIbLb0EESZ_EEDaSU_SV_EUlSU_E_NS1_11comp_targetILNS1_3genE5ELNS1_11target_archE942ELNS1_3gpuE9ELNS1_3repE0EEENS1_30default_config_static_selectorELNS0_4arch9wavefront6targetE0EEEvT1_
	.p2align	8
	.type	_ZN7rocprim17ROCPRIM_400000_NS6detail17trampoline_kernelINS0_14default_configENS1_27scan_by_key_config_selectorIsiEEZZNS1_16scan_by_key_implILNS1_25lookback_scan_determinismE0ELb1ES3_N6thrust23THRUST_200600_302600_NS6detail15normal_iteratorINS9_10device_ptrIsEEEESE_SE_iNS9_4plusIvEENS9_8equal_toIvEEiEE10hipError_tPvRmT2_T3_T4_T5_mT6_T7_P12ihipStream_tbENKUlT_T0_E_clISt17integral_constantIbLb0EESZ_EEDaSU_SV_EUlSU_E_NS1_11comp_targetILNS1_3genE5ELNS1_11target_archE942ELNS1_3gpuE9ELNS1_3repE0EEENS1_30default_config_static_selectorELNS0_4arch9wavefront6targetE0EEEvT1_,@function
_ZN7rocprim17ROCPRIM_400000_NS6detail17trampoline_kernelINS0_14default_configENS1_27scan_by_key_config_selectorIsiEEZZNS1_16scan_by_key_implILNS1_25lookback_scan_determinismE0ELb1ES3_N6thrust23THRUST_200600_302600_NS6detail15normal_iteratorINS9_10device_ptrIsEEEESE_SE_iNS9_4plusIvEENS9_8equal_toIvEEiEE10hipError_tPvRmT2_T3_T4_T5_mT6_T7_P12ihipStream_tbENKUlT_T0_E_clISt17integral_constantIbLb0EESZ_EEDaSU_SV_EUlSU_E_NS1_11comp_targetILNS1_3genE5ELNS1_11target_archE942ELNS1_3gpuE9ELNS1_3repE0EEENS1_30default_config_static_selectorELNS0_4arch9wavefront6targetE0EEEvT1_: ; @_ZN7rocprim17ROCPRIM_400000_NS6detail17trampoline_kernelINS0_14default_configENS1_27scan_by_key_config_selectorIsiEEZZNS1_16scan_by_key_implILNS1_25lookback_scan_determinismE0ELb1ES3_N6thrust23THRUST_200600_302600_NS6detail15normal_iteratorINS9_10device_ptrIsEEEESE_SE_iNS9_4plusIvEENS9_8equal_toIvEEiEE10hipError_tPvRmT2_T3_T4_T5_mT6_T7_P12ihipStream_tbENKUlT_T0_E_clISt17integral_constantIbLb0EESZ_EEDaSU_SV_EUlSU_E_NS1_11comp_targetILNS1_3genE5ELNS1_11target_archE942ELNS1_3gpuE9ELNS1_3repE0EEENS1_30default_config_static_selectorELNS0_4arch9wavefront6targetE0EEEvT1_
; %bb.0:
	.section	.rodata,"a",@progbits
	.p2align	6, 0x0
	.amdhsa_kernel _ZN7rocprim17ROCPRIM_400000_NS6detail17trampoline_kernelINS0_14default_configENS1_27scan_by_key_config_selectorIsiEEZZNS1_16scan_by_key_implILNS1_25lookback_scan_determinismE0ELb1ES3_N6thrust23THRUST_200600_302600_NS6detail15normal_iteratorINS9_10device_ptrIsEEEESE_SE_iNS9_4plusIvEENS9_8equal_toIvEEiEE10hipError_tPvRmT2_T3_T4_T5_mT6_T7_P12ihipStream_tbENKUlT_T0_E_clISt17integral_constantIbLb0EESZ_EEDaSU_SV_EUlSU_E_NS1_11comp_targetILNS1_3genE5ELNS1_11target_archE942ELNS1_3gpuE9ELNS1_3repE0EEENS1_30default_config_static_selectorELNS0_4arch9wavefront6targetE0EEEvT1_
		.amdhsa_group_segment_fixed_size 0
		.amdhsa_private_segment_fixed_size 0
		.amdhsa_kernarg_size 112
		.amdhsa_user_sgpr_count 6
		.amdhsa_user_sgpr_private_segment_buffer 1
		.amdhsa_user_sgpr_dispatch_ptr 0
		.amdhsa_user_sgpr_queue_ptr 0
		.amdhsa_user_sgpr_kernarg_segment_ptr 1
		.amdhsa_user_sgpr_dispatch_id 0
		.amdhsa_user_sgpr_flat_scratch_init 0
		.amdhsa_user_sgpr_private_segment_size 0
		.amdhsa_wavefront_size32 1
		.amdhsa_uses_dynamic_stack 0
		.amdhsa_system_sgpr_private_segment_wavefront_offset 0
		.amdhsa_system_sgpr_workgroup_id_x 1
		.amdhsa_system_sgpr_workgroup_id_y 0
		.amdhsa_system_sgpr_workgroup_id_z 0
		.amdhsa_system_sgpr_workgroup_info 0
		.amdhsa_system_vgpr_workitem_id 0
		.amdhsa_next_free_vgpr 1
		.amdhsa_next_free_sgpr 1
		.amdhsa_reserve_vcc 0
		.amdhsa_reserve_flat_scratch 0
		.amdhsa_float_round_mode_32 0
		.amdhsa_float_round_mode_16_64 0
		.amdhsa_float_denorm_mode_32 3
		.amdhsa_float_denorm_mode_16_64 3
		.amdhsa_dx10_clamp 1
		.amdhsa_ieee_mode 1
		.amdhsa_fp16_overflow 0
		.amdhsa_workgroup_processor_mode 1
		.amdhsa_memory_ordered 1
		.amdhsa_forward_progress 1
		.amdhsa_shared_vgpr_count 0
		.amdhsa_exception_fp_ieee_invalid_op 0
		.amdhsa_exception_fp_denorm_src 0
		.amdhsa_exception_fp_ieee_div_zero 0
		.amdhsa_exception_fp_ieee_overflow 0
		.amdhsa_exception_fp_ieee_underflow 0
		.amdhsa_exception_fp_ieee_inexact 0
		.amdhsa_exception_int_div_zero 0
	.end_amdhsa_kernel
	.section	.text._ZN7rocprim17ROCPRIM_400000_NS6detail17trampoline_kernelINS0_14default_configENS1_27scan_by_key_config_selectorIsiEEZZNS1_16scan_by_key_implILNS1_25lookback_scan_determinismE0ELb1ES3_N6thrust23THRUST_200600_302600_NS6detail15normal_iteratorINS9_10device_ptrIsEEEESE_SE_iNS9_4plusIvEENS9_8equal_toIvEEiEE10hipError_tPvRmT2_T3_T4_T5_mT6_T7_P12ihipStream_tbENKUlT_T0_E_clISt17integral_constantIbLb0EESZ_EEDaSU_SV_EUlSU_E_NS1_11comp_targetILNS1_3genE5ELNS1_11target_archE942ELNS1_3gpuE9ELNS1_3repE0EEENS1_30default_config_static_selectorELNS0_4arch9wavefront6targetE0EEEvT1_,"axG",@progbits,_ZN7rocprim17ROCPRIM_400000_NS6detail17trampoline_kernelINS0_14default_configENS1_27scan_by_key_config_selectorIsiEEZZNS1_16scan_by_key_implILNS1_25lookback_scan_determinismE0ELb1ES3_N6thrust23THRUST_200600_302600_NS6detail15normal_iteratorINS9_10device_ptrIsEEEESE_SE_iNS9_4plusIvEENS9_8equal_toIvEEiEE10hipError_tPvRmT2_T3_T4_T5_mT6_T7_P12ihipStream_tbENKUlT_T0_E_clISt17integral_constantIbLb0EESZ_EEDaSU_SV_EUlSU_E_NS1_11comp_targetILNS1_3genE5ELNS1_11target_archE942ELNS1_3gpuE9ELNS1_3repE0EEENS1_30default_config_static_selectorELNS0_4arch9wavefront6targetE0EEEvT1_,comdat
.Lfunc_end1044:
	.size	_ZN7rocprim17ROCPRIM_400000_NS6detail17trampoline_kernelINS0_14default_configENS1_27scan_by_key_config_selectorIsiEEZZNS1_16scan_by_key_implILNS1_25lookback_scan_determinismE0ELb1ES3_N6thrust23THRUST_200600_302600_NS6detail15normal_iteratorINS9_10device_ptrIsEEEESE_SE_iNS9_4plusIvEENS9_8equal_toIvEEiEE10hipError_tPvRmT2_T3_T4_T5_mT6_T7_P12ihipStream_tbENKUlT_T0_E_clISt17integral_constantIbLb0EESZ_EEDaSU_SV_EUlSU_E_NS1_11comp_targetILNS1_3genE5ELNS1_11target_archE942ELNS1_3gpuE9ELNS1_3repE0EEENS1_30default_config_static_selectorELNS0_4arch9wavefront6targetE0EEEvT1_, .Lfunc_end1044-_ZN7rocprim17ROCPRIM_400000_NS6detail17trampoline_kernelINS0_14default_configENS1_27scan_by_key_config_selectorIsiEEZZNS1_16scan_by_key_implILNS1_25lookback_scan_determinismE0ELb1ES3_N6thrust23THRUST_200600_302600_NS6detail15normal_iteratorINS9_10device_ptrIsEEEESE_SE_iNS9_4plusIvEENS9_8equal_toIvEEiEE10hipError_tPvRmT2_T3_T4_T5_mT6_T7_P12ihipStream_tbENKUlT_T0_E_clISt17integral_constantIbLb0EESZ_EEDaSU_SV_EUlSU_E_NS1_11comp_targetILNS1_3genE5ELNS1_11target_archE942ELNS1_3gpuE9ELNS1_3repE0EEENS1_30default_config_static_selectorELNS0_4arch9wavefront6targetE0EEEvT1_
                                        ; -- End function
	.set _ZN7rocprim17ROCPRIM_400000_NS6detail17trampoline_kernelINS0_14default_configENS1_27scan_by_key_config_selectorIsiEEZZNS1_16scan_by_key_implILNS1_25lookback_scan_determinismE0ELb1ES3_N6thrust23THRUST_200600_302600_NS6detail15normal_iteratorINS9_10device_ptrIsEEEESE_SE_iNS9_4plusIvEENS9_8equal_toIvEEiEE10hipError_tPvRmT2_T3_T4_T5_mT6_T7_P12ihipStream_tbENKUlT_T0_E_clISt17integral_constantIbLb0EESZ_EEDaSU_SV_EUlSU_E_NS1_11comp_targetILNS1_3genE5ELNS1_11target_archE942ELNS1_3gpuE9ELNS1_3repE0EEENS1_30default_config_static_selectorELNS0_4arch9wavefront6targetE0EEEvT1_.num_vgpr, 0
	.set _ZN7rocprim17ROCPRIM_400000_NS6detail17trampoline_kernelINS0_14default_configENS1_27scan_by_key_config_selectorIsiEEZZNS1_16scan_by_key_implILNS1_25lookback_scan_determinismE0ELb1ES3_N6thrust23THRUST_200600_302600_NS6detail15normal_iteratorINS9_10device_ptrIsEEEESE_SE_iNS9_4plusIvEENS9_8equal_toIvEEiEE10hipError_tPvRmT2_T3_T4_T5_mT6_T7_P12ihipStream_tbENKUlT_T0_E_clISt17integral_constantIbLb0EESZ_EEDaSU_SV_EUlSU_E_NS1_11comp_targetILNS1_3genE5ELNS1_11target_archE942ELNS1_3gpuE9ELNS1_3repE0EEENS1_30default_config_static_selectorELNS0_4arch9wavefront6targetE0EEEvT1_.num_agpr, 0
	.set _ZN7rocprim17ROCPRIM_400000_NS6detail17trampoline_kernelINS0_14default_configENS1_27scan_by_key_config_selectorIsiEEZZNS1_16scan_by_key_implILNS1_25lookback_scan_determinismE0ELb1ES3_N6thrust23THRUST_200600_302600_NS6detail15normal_iteratorINS9_10device_ptrIsEEEESE_SE_iNS9_4plusIvEENS9_8equal_toIvEEiEE10hipError_tPvRmT2_T3_T4_T5_mT6_T7_P12ihipStream_tbENKUlT_T0_E_clISt17integral_constantIbLb0EESZ_EEDaSU_SV_EUlSU_E_NS1_11comp_targetILNS1_3genE5ELNS1_11target_archE942ELNS1_3gpuE9ELNS1_3repE0EEENS1_30default_config_static_selectorELNS0_4arch9wavefront6targetE0EEEvT1_.numbered_sgpr, 0
	.set _ZN7rocprim17ROCPRIM_400000_NS6detail17trampoline_kernelINS0_14default_configENS1_27scan_by_key_config_selectorIsiEEZZNS1_16scan_by_key_implILNS1_25lookback_scan_determinismE0ELb1ES3_N6thrust23THRUST_200600_302600_NS6detail15normal_iteratorINS9_10device_ptrIsEEEESE_SE_iNS9_4plusIvEENS9_8equal_toIvEEiEE10hipError_tPvRmT2_T3_T4_T5_mT6_T7_P12ihipStream_tbENKUlT_T0_E_clISt17integral_constantIbLb0EESZ_EEDaSU_SV_EUlSU_E_NS1_11comp_targetILNS1_3genE5ELNS1_11target_archE942ELNS1_3gpuE9ELNS1_3repE0EEENS1_30default_config_static_selectorELNS0_4arch9wavefront6targetE0EEEvT1_.num_named_barrier, 0
	.set _ZN7rocprim17ROCPRIM_400000_NS6detail17trampoline_kernelINS0_14default_configENS1_27scan_by_key_config_selectorIsiEEZZNS1_16scan_by_key_implILNS1_25lookback_scan_determinismE0ELb1ES3_N6thrust23THRUST_200600_302600_NS6detail15normal_iteratorINS9_10device_ptrIsEEEESE_SE_iNS9_4plusIvEENS9_8equal_toIvEEiEE10hipError_tPvRmT2_T3_T4_T5_mT6_T7_P12ihipStream_tbENKUlT_T0_E_clISt17integral_constantIbLb0EESZ_EEDaSU_SV_EUlSU_E_NS1_11comp_targetILNS1_3genE5ELNS1_11target_archE942ELNS1_3gpuE9ELNS1_3repE0EEENS1_30default_config_static_selectorELNS0_4arch9wavefront6targetE0EEEvT1_.private_seg_size, 0
	.set _ZN7rocprim17ROCPRIM_400000_NS6detail17trampoline_kernelINS0_14default_configENS1_27scan_by_key_config_selectorIsiEEZZNS1_16scan_by_key_implILNS1_25lookback_scan_determinismE0ELb1ES3_N6thrust23THRUST_200600_302600_NS6detail15normal_iteratorINS9_10device_ptrIsEEEESE_SE_iNS9_4plusIvEENS9_8equal_toIvEEiEE10hipError_tPvRmT2_T3_T4_T5_mT6_T7_P12ihipStream_tbENKUlT_T0_E_clISt17integral_constantIbLb0EESZ_EEDaSU_SV_EUlSU_E_NS1_11comp_targetILNS1_3genE5ELNS1_11target_archE942ELNS1_3gpuE9ELNS1_3repE0EEENS1_30default_config_static_selectorELNS0_4arch9wavefront6targetE0EEEvT1_.uses_vcc, 0
	.set _ZN7rocprim17ROCPRIM_400000_NS6detail17trampoline_kernelINS0_14default_configENS1_27scan_by_key_config_selectorIsiEEZZNS1_16scan_by_key_implILNS1_25lookback_scan_determinismE0ELb1ES3_N6thrust23THRUST_200600_302600_NS6detail15normal_iteratorINS9_10device_ptrIsEEEESE_SE_iNS9_4plusIvEENS9_8equal_toIvEEiEE10hipError_tPvRmT2_T3_T4_T5_mT6_T7_P12ihipStream_tbENKUlT_T0_E_clISt17integral_constantIbLb0EESZ_EEDaSU_SV_EUlSU_E_NS1_11comp_targetILNS1_3genE5ELNS1_11target_archE942ELNS1_3gpuE9ELNS1_3repE0EEENS1_30default_config_static_selectorELNS0_4arch9wavefront6targetE0EEEvT1_.uses_flat_scratch, 0
	.set _ZN7rocprim17ROCPRIM_400000_NS6detail17trampoline_kernelINS0_14default_configENS1_27scan_by_key_config_selectorIsiEEZZNS1_16scan_by_key_implILNS1_25lookback_scan_determinismE0ELb1ES3_N6thrust23THRUST_200600_302600_NS6detail15normal_iteratorINS9_10device_ptrIsEEEESE_SE_iNS9_4plusIvEENS9_8equal_toIvEEiEE10hipError_tPvRmT2_T3_T4_T5_mT6_T7_P12ihipStream_tbENKUlT_T0_E_clISt17integral_constantIbLb0EESZ_EEDaSU_SV_EUlSU_E_NS1_11comp_targetILNS1_3genE5ELNS1_11target_archE942ELNS1_3gpuE9ELNS1_3repE0EEENS1_30default_config_static_selectorELNS0_4arch9wavefront6targetE0EEEvT1_.has_dyn_sized_stack, 0
	.set _ZN7rocprim17ROCPRIM_400000_NS6detail17trampoline_kernelINS0_14default_configENS1_27scan_by_key_config_selectorIsiEEZZNS1_16scan_by_key_implILNS1_25lookback_scan_determinismE0ELb1ES3_N6thrust23THRUST_200600_302600_NS6detail15normal_iteratorINS9_10device_ptrIsEEEESE_SE_iNS9_4plusIvEENS9_8equal_toIvEEiEE10hipError_tPvRmT2_T3_T4_T5_mT6_T7_P12ihipStream_tbENKUlT_T0_E_clISt17integral_constantIbLb0EESZ_EEDaSU_SV_EUlSU_E_NS1_11comp_targetILNS1_3genE5ELNS1_11target_archE942ELNS1_3gpuE9ELNS1_3repE0EEENS1_30default_config_static_selectorELNS0_4arch9wavefront6targetE0EEEvT1_.has_recursion, 0
	.set _ZN7rocprim17ROCPRIM_400000_NS6detail17trampoline_kernelINS0_14default_configENS1_27scan_by_key_config_selectorIsiEEZZNS1_16scan_by_key_implILNS1_25lookback_scan_determinismE0ELb1ES3_N6thrust23THRUST_200600_302600_NS6detail15normal_iteratorINS9_10device_ptrIsEEEESE_SE_iNS9_4plusIvEENS9_8equal_toIvEEiEE10hipError_tPvRmT2_T3_T4_T5_mT6_T7_P12ihipStream_tbENKUlT_T0_E_clISt17integral_constantIbLb0EESZ_EEDaSU_SV_EUlSU_E_NS1_11comp_targetILNS1_3genE5ELNS1_11target_archE942ELNS1_3gpuE9ELNS1_3repE0EEENS1_30default_config_static_selectorELNS0_4arch9wavefront6targetE0EEEvT1_.has_indirect_call, 0
	.section	.AMDGPU.csdata,"",@progbits
; Kernel info:
; codeLenInByte = 0
; TotalNumSgprs: 0
; NumVgprs: 0
; ScratchSize: 0
; MemoryBound: 0
; FloatMode: 240
; IeeeMode: 1
; LDSByteSize: 0 bytes/workgroup (compile time only)
; SGPRBlocks: 0
; VGPRBlocks: 0
; NumSGPRsForWavesPerEU: 1
; NumVGPRsForWavesPerEU: 1
; Occupancy: 16
; WaveLimiterHint : 0
; COMPUTE_PGM_RSRC2:SCRATCH_EN: 0
; COMPUTE_PGM_RSRC2:USER_SGPR: 6
; COMPUTE_PGM_RSRC2:TRAP_HANDLER: 0
; COMPUTE_PGM_RSRC2:TGID_X_EN: 1
; COMPUTE_PGM_RSRC2:TGID_Y_EN: 0
; COMPUTE_PGM_RSRC2:TGID_Z_EN: 0
; COMPUTE_PGM_RSRC2:TIDIG_COMP_CNT: 0
	.section	.text._ZN7rocprim17ROCPRIM_400000_NS6detail17trampoline_kernelINS0_14default_configENS1_27scan_by_key_config_selectorIsiEEZZNS1_16scan_by_key_implILNS1_25lookback_scan_determinismE0ELb1ES3_N6thrust23THRUST_200600_302600_NS6detail15normal_iteratorINS9_10device_ptrIsEEEESE_SE_iNS9_4plusIvEENS9_8equal_toIvEEiEE10hipError_tPvRmT2_T3_T4_T5_mT6_T7_P12ihipStream_tbENKUlT_T0_E_clISt17integral_constantIbLb0EESZ_EEDaSU_SV_EUlSU_E_NS1_11comp_targetILNS1_3genE4ELNS1_11target_archE910ELNS1_3gpuE8ELNS1_3repE0EEENS1_30default_config_static_selectorELNS0_4arch9wavefront6targetE0EEEvT1_,"axG",@progbits,_ZN7rocprim17ROCPRIM_400000_NS6detail17trampoline_kernelINS0_14default_configENS1_27scan_by_key_config_selectorIsiEEZZNS1_16scan_by_key_implILNS1_25lookback_scan_determinismE0ELb1ES3_N6thrust23THRUST_200600_302600_NS6detail15normal_iteratorINS9_10device_ptrIsEEEESE_SE_iNS9_4plusIvEENS9_8equal_toIvEEiEE10hipError_tPvRmT2_T3_T4_T5_mT6_T7_P12ihipStream_tbENKUlT_T0_E_clISt17integral_constantIbLb0EESZ_EEDaSU_SV_EUlSU_E_NS1_11comp_targetILNS1_3genE4ELNS1_11target_archE910ELNS1_3gpuE8ELNS1_3repE0EEENS1_30default_config_static_selectorELNS0_4arch9wavefront6targetE0EEEvT1_,comdat
	.protected	_ZN7rocprim17ROCPRIM_400000_NS6detail17trampoline_kernelINS0_14default_configENS1_27scan_by_key_config_selectorIsiEEZZNS1_16scan_by_key_implILNS1_25lookback_scan_determinismE0ELb1ES3_N6thrust23THRUST_200600_302600_NS6detail15normal_iteratorINS9_10device_ptrIsEEEESE_SE_iNS9_4plusIvEENS9_8equal_toIvEEiEE10hipError_tPvRmT2_T3_T4_T5_mT6_T7_P12ihipStream_tbENKUlT_T0_E_clISt17integral_constantIbLb0EESZ_EEDaSU_SV_EUlSU_E_NS1_11comp_targetILNS1_3genE4ELNS1_11target_archE910ELNS1_3gpuE8ELNS1_3repE0EEENS1_30default_config_static_selectorELNS0_4arch9wavefront6targetE0EEEvT1_ ; -- Begin function _ZN7rocprim17ROCPRIM_400000_NS6detail17trampoline_kernelINS0_14default_configENS1_27scan_by_key_config_selectorIsiEEZZNS1_16scan_by_key_implILNS1_25lookback_scan_determinismE0ELb1ES3_N6thrust23THRUST_200600_302600_NS6detail15normal_iteratorINS9_10device_ptrIsEEEESE_SE_iNS9_4plusIvEENS9_8equal_toIvEEiEE10hipError_tPvRmT2_T3_T4_T5_mT6_T7_P12ihipStream_tbENKUlT_T0_E_clISt17integral_constantIbLb0EESZ_EEDaSU_SV_EUlSU_E_NS1_11comp_targetILNS1_3genE4ELNS1_11target_archE910ELNS1_3gpuE8ELNS1_3repE0EEENS1_30default_config_static_selectorELNS0_4arch9wavefront6targetE0EEEvT1_
	.globl	_ZN7rocprim17ROCPRIM_400000_NS6detail17trampoline_kernelINS0_14default_configENS1_27scan_by_key_config_selectorIsiEEZZNS1_16scan_by_key_implILNS1_25lookback_scan_determinismE0ELb1ES3_N6thrust23THRUST_200600_302600_NS6detail15normal_iteratorINS9_10device_ptrIsEEEESE_SE_iNS9_4plusIvEENS9_8equal_toIvEEiEE10hipError_tPvRmT2_T3_T4_T5_mT6_T7_P12ihipStream_tbENKUlT_T0_E_clISt17integral_constantIbLb0EESZ_EEDaSU_SV_EUlSU_E_NS1_11comp_targetILNS1_3genE4ELNS1_11target_archE910ELNS1_3gpuE8ELNS1_3repE0EEENS1_30default_config_static_selectorELNS0_4arch9wavefront6targetE0EEEvT1_
	.p2align	8
	.type	_ZN7rocprim17ROCPRIM_400000_NS6detail17trampoline_kernelINS0_14default_configENS1_27scan_by_key_config_selectorIsiEEZZNS1_16scan_by_key_implILNS1_25lookback_scan_determinismE0ELb1ES3_N6thrust23THRUST_200600_302600_NS6detail15normal_iteratorINS9_10device_ptrIsEEEESE_SE_iNS9_4plusIvEENS9_8equal_toIvEEiEE10hipError_tPvRmT2_T3_T4_T5_mT6_T7_P12ihipStream_tbENKUlT_T0_E_clISt17integral_constantIbLb0EESZ_EEDaSU_SV_EUlSU_E_NS1_11comp_targetILNS1_3genE4ELNS1_11target_archE910ELNS1_3gpuE8ELNS1_3repE0EEENS1_30default_config_static_selectorELNS0_4arch9wavefront6targetE0EEEvT1_,@function
_ZN7rocprim17ROCPRIM_400000_NS6detail17trampoline_kernelINS0_14default_configENS1_27scan_by_key_config_selectorIsiEEZZNS1_16scan_by_key_implILNS1_25lookback_scan_determinismE0ELb1ES3_N6thrust23THRUST_200600_302600_NS6detail15normal_iteratorINS9_10device_ptrIsEEEESE_SE_iNS9_4plusIvEENS9_8equal_toIvEEiEE10hipError_tPvRmT2_T3_T4_T5_mT6_T7_P12ihipStream_tbENKUlT_T0_E_clISt17integral_constantIbLb0EESZ_EEDaSU_SV_EUlSU_E_NS1_11comp_targetILNS1_3genE4ELNS1_11target_archE910ELNS1_3gpuE8ELNS1_3repE0EEENS1_30default_config_static_selectorELNS0_4arch9wavefront6targetE0EEEvT1_: ; @_ZN7rocprim17ROCPRIM_400000_NS6detail17trampoline_kernelINS0_14default_configENS1_27scan_by_key_config_selectorIsiEEZZNS1_16scan_by_key_implILNS1_25lookback_scan_determinismE0ELb1ES3_N6thrust23THRUST_200600_302600_NS6detail15normal_iteratorINS9_10device_ptrIsEEEESE_SE_iNS9_4plusIvEENS9_8equal_toIvEEiEE10hipError_tPvRmT2_T3_T4_T5_mT6_T7_P12ihipStream_tbENKUlT_T0_E_clISt17integral_constantIbLb0EESZ_EEDaSU_SV_EUlSU_E_NS1_11comp_targetILNS1_3genE4ELNS1_11target_archE910ELNS1_3gpuE8ELNS1_3repE0EEENS1_30default_config_static_selectorELNS0_4arch9wavefront6targetE0EEEvT1_
; %bb.0:
	.section	.rodata,"a",@progbits
	.p2align	6, 0x0
	.amdhsa_kernel _ZN7rocprim17ROCPRIM_400000_NS6detail17trampoline_kernelINS0_14default_configENS1_27scan_by_key_config_selectorIsiEEZZNS1_16scan_by_key_implILNS1_25lookback_scan_determinismE0ELb1ES3_N6thrust23THRUST_200600_302600_NS6detail15normal_iteratorINS9_10device_ptrIsEEEESE_SE_iNS9_4plusIvEENS9_8equal_toIvEEiEE10hipError_tPvRmT2_T3_T4_T5_mT6_T7_P12ihipStream_tbENKUlT_T0_E_clISt17integral_constantIbLb0EESZ_EEDaSU_SV_EUlSU_E_NS1_11comp_targetILNS1_3genE4ELNS1_11target_archE910ELNS1_3gpuE8ELNS1_3repE0EEENS1_30default_config_static_selectorELNS0_4arch9wavefront6targetE0EEEvT1_
		.amdhsa_group_segment_fixed_size 0
		.amdhsa_private_segment_fixed_size 0
		.amdhsa_kernarg_size 112
		.amdhsa_user_sgpr_count 6
		.amdhsa_user_sgpr_private_segment_buffer 1
		.amdhsa_user_sgpr_dispatch_ptr 0
		.amdhsa_user_sgpr_queue_ptr 0
		.amdhsa_user_sgpr_kernarg_segment_ptr 1
		.amdhsa_user_sgpr_dispatch_id 0
		.amdhsa_user_sgpr_flat_scratch_init 0
		.amdhsa_user_sgpr_private_segment_size 0
		.amdhsa_wavefront_size32 1
		.amdhsa_uses_dynamic_stack 0
		.amdhsa_system_sgpr_private_segment_wavefront_offset 0
		.amdhsa_system_sgpr_workgroup_id_x 1
		.amdhsa_system_sgpr_workgroup_id_y 0
		.amdhsa_system_sgpr_workgroup_id_z 0
		.amdhsa_system_sgpr_workgroup_info 0
		.amdhsa_system_vgpr_workitem_id 0
		.amdhsa_next_free_vgpr 1
		.amdhsa_next_free_sgpr 1
		.amdhsa_reserve_vcc 0
		.amdhsa_reserve_flat_scratch 0
		.amdhsa_float_round_mode_32 0
		.amdhsa_float_round_mode_16_64 0
		.amdhsa_float_denorm_mode_32 3
		.amdhsa_float_denorm_mode_16_64 3
		.amdhsa_dx10_clamp 1
		.amdhsa_ieee_mode 1
		.amdhsa_fp16_overflow 0
		.amdhsa_workgroup_processor_mode 1
		.amdhsa_memory_ordered 1
		.amdhsa_forward_progress 1
		.amdhsa_shared_vgpr_count 0
		.amdhsa_exception_fp_ieee_invalid_op 0
		.amdhsa_exception_fp_denorm_src 0
		.amdhsa_exception_fp_ieee_div_zero 0
		.amdhsa_exception_fp_ieee_overflow 0
		.amdhsa_exception_fp_ieee_underflow 0
		.amdhsa_exception_fp_ieee_inexact 0
		.amdhsa_exception_int_div_zero 0
	.end_amdhsa_kernel
	.section	.text._ZN7rocprim17ROCPRIM_400000_NS6detail17trampoline_kernelINS0_14default_configENS1_27scan_by_key_config_selectorIsiEEZZNS1_16scan_by_key_implILNS1_25lookback_scan_determinismE0ELb1ES3_N6thrust23THRUST_200600_302600_NS6detail15normal_iteratorINS9_10device_ptrIsEEEESE_SE_iNS9_4plusIvEENS9_8equal_toIvEEiEE10hipError_tPvRmT2_T3_T4_T5_mT6_T7_P12ihipStream_tbENKUlT_T0_E_clISt17integral_constantIbLb0EESZ_EEDaSU_SV_EUlSU_E_NS1_11comp_targetILNS1_3genE4ELNS1_11target_archE910ELNS1_3gpuE8ELNS1_3repE0EEENS1_30default_config_static_selectorELNS0_4arch9wavefront6targetE0EEEvT1_,"axG",@progbits,_ZN7rocprim17ROCPRIM_400000_NS6detail17trampoline_kernelINS0_14default_configENS1_27scan_by_key_config_selectorIsiEEZZNS1_16scan_by_key_implILNS1_25lookback_scan_determinismE0ELb1ES3_N6thrust23THRUST_200600_302600_NS6detail15normal_iteratorINS9_10device_ptrIsEEEESE_SE_iNS9_4plusIvEENS9_8equal_toIvEEiEE10hipError_tPvRmT2_T3_T4_T5_mT6_T7_P12ihipStream_tbENKUlT_T0_E_clISt17integral_constantIbLb0EESZ_EEDaSU_SV_EUlSU_E_NS1_11comp_targetILNS1_3genE4ELNS1_11target_archE910ELNS1_3gpuE8ELNS1_3repE0EEENS1_30default_config_static_selectorELNS0_4arch9wavefront6targetE0EEEvT1_,comdat
.Lfunc_end1045:
	.size	_ZN7rocprim17ROCPRIM_400000_NS6detail17trampoline_kernelINS0_14default_configENS1_27scan_by_key_config_selectorIsiEEZZNS1_16scan_by_key_implILNS1_25lookback_scan_determinismE0ELb1ES3_N6thrust23THRUST_200600_302600_NS6detail15normal_iteratorINS9_10device_ptrIsEEEESE_SE_iNS9_4plusIvEENS9_8equal_toIvEEiEE10hipError_tPvRmT2_T3_T4_T5_mT6_T7_P12ihipStream_tbENKUlT_T0_E_clISt17integral_constantIbLb0EESZ_EEDaSU_SV_EUlSU_E_NS1_11comp_targetILNS1_3genE4ELNS1_11target_archE910ELNS1_3gpuE8ELNS1_3repE0EEENS1_30default_config_static_selectorELNS0_4arch9wavefront6targetE0EEEvT1_, .Lfunc_end1045-_ZN7rocprim17ROCPRIM_400000_NS6detail17trampoline_kernelINS0_14default_configENS1_27scan_by_key_config_selectorIsiEEZZNS1_16scan_by_key_implILNS1_25lookback_scan_determinismE0ELb1ES3_N6thrust23THRUST_200600_302600_NS6detail15normal_iteratorINS9_10device_ptrIsEEEESE_SE_iNS9_4plusIvEENS9_8equal_toIvEEiEE10hipError_tPvRmT2_T3_T4_T5_mT6_T7_P12ihipStream_tbENKUlT_T0_E_clISt17integral_constantIbLb0EESZ_EEDaSU_SV_EUlSU_E_NS1_11comp_targetILNS1_3genE4ELNS1_11target_archE910ELNS1_3gpuE8ELNS1_3repE0EEENS1_30default_config_static_selectorELNS0_4arch9wavefront6targetE0EEEvT1_
                                        ; -- End function
	.set _ZN7rocprim17ROCPRIM_400000_NS6detail17trampoline_kernelINS0_14default_configENS1_27scan_by_key_config_selectorIsiEEZZNS1_16scan_by_key_implILNS1_25lookback_scan_determinismE0ELb1ES3_N6thrust23THRUST_200600_302600_NS6detail15normal_iteratorINS9_10device_ptrIsEEEESE_SE_iNS9_4plusIvEENS9_8equal_toIvEEiEE10hipError_tPvRmT2_T3_T4_T5_mT6_T7_P12ihipStream_tbENKUlT_T0_E_clISt17integral_constantIbLb0EESZ_EEDaSU_SV_EUlSU_E_NS1_11comp_targetILNS1_3genE4ELNS1_11target_archE910ELNS1_3gpuE8ELNS1_3repE0EEENS1_30default_config_static_selectorELNS0_4arch9wavefront6targetE0EEEvT1_.num_vgpr, 0
	.set _ZN7rocprim17ROCPRIM_400000_NS6detail17trampoline_kernelINS0_14default_configENS1_27scan_by_key_config_selectorIsiEEZZNS1_16scan_by_key_implILNS1_25lookback_scan_determinismE0ELb1ES3_N6thrust23THRUST_200600_302600_NS6detail15normal_iteratorINS9_10device_ptrIsEEEESE_SE_iNS9_4plusIvEENS9_8equal_toIvEEiEE10hipError_tPvRmT2_T3_T4_T5_mT6_T7_P12ihipStream_tbENKUlT_T0_E_clISt17integral_constantIbLb0EESZ_EEDaSU_SV_EUlSU_E_NS1_11comp_targetILNS1_3genE4ELNS1_11target_archE910ELNS1_3gpuE8ELNS1_3repE0EEENS1_30default_config_static_selectorELNS0_4arch9wavefront6targetE0EEEvT1_.num_agpr, 0
	.set _ZN7rocprim17ROCPRIM_400000_NS6detail17trampoline_kernelINS0_14default_configENS1_27scan_by_key_config_selectorIsiEEZZNS1_16scan_by_key_implILNS1_25lookback_scan_determinismE0ELb1ES3_N6thrust23THRUST_200600_302600_NS6detail15normal_iteratorINS9_10device_ptrIsEEEESE_SE_iNS9_4plusIvEENS9_8equal_toIvEEiEE10hipError_tPvRmT2_T3_T4_T5_mT6_T7_P12ihipStream_tbENKUlT_T0_E_clISt17integral_constantIbLb0EESZ_EEDaSU_SV_EUlSU_E_NS1_11comp_targetILNS1_3genE4ELNS1_11target_archE910ELNS1_3gpuE8ELNS1_3repE0EEENS1_30default_config_static_selectorELNS0_4arch9wavefront6targetE0EEEvT1_.numbered_sgpr, 0
	.set _ZN7rocprim17ROCPRIM_400000_NS6detail17trampoline_kernelINS0_14default_configENS1_27scan_by_key_config_selectorIsiEEZZNS1_16scan_by_key_implILNS1_25lookback_scan_determinismE0ELb1ES3_N6thrust23THRUST_200600_302600_NS6detail15normal_iteratorINS9_10device_ptrIsEEEESE_SE_iNS9_4plusIvEENS9_8equal_toIvEEiEE10hipError_tPvRmT2_T3_T4_T5_mT6_T7_P12ihipStream_tbENKUlT_T0_E_clISt17integral_constantIbLb0EESZ_EEDaSU_SV_EUlSU_E_NS1_11comp_targetILNS1_3genE4ELNS1_11target_archE910ELNS1_3gpuE8ELNS1_3repE0EEENS1_30default_config_static_selectorELNS0_4arch9wavefront6targetE0EEEvT1_.num_named_barrier, 0
	.set _ZN7rocprim17ROCPRIM_400000_NS6detail17trampoline_kernelINS0_14default_configENS1_27scan_by_key_config_selectorIsiEEZZNS1_16scan_by_key_implILNS1_25lookback_scan_determinismE0ELb1ES3_N6thrust23THRUST_200600_302600_NS6detail15normal_iteratorINS9_10device_ptrIsEEEESE_SE_iNS9_4plusIvEENS9_8equal_toIvEEiEE10hipError_tPvRmT2_T3_T4_T5_mT6_T7_P12ihipStream_tbENKUlT_T0_E_clISt17integral_constantIbLb0EESZ_EEDaSU_SV_EUlSU_E_NS1_11comp_targetILNS1_3genE4ELNS1_11target_archE910ELNS1_3gpuE8ELNS1_3repE0EEENS1_30default_config_static_selectorELNS0_4arch9wavefront6targetE0EEEvT1_.private_seg_size, 0
	.set _ZN7rocprim17ROCPRIM_400000_NS6detail17trampoline_kernelINS0_14default_configENS1_27scan_by_key_config_selectorIsiEEZZNS1_16scan_by_key_implILNS1_25lookback_scan_determinismE0ELb1ES3_N6thrust23THRUST_200600_302600_NS6detail15normal_iteratorINS9_10device_ptrIsEEEESE_SE_iNS9_4plusIvEENS9_8equal_toIvEEiEE10hipError_tPvRmT2_T3_T4_T5_mT6_T7_P12ihipStream_tbENKUlT_T0_E_clISt17integral_constantIbLb0EESZ_EEDaSU_SV_EUlSU_E_NS1_11comp_targetILNS1_3genE4ELNS1_11target_archE910ELNS1_3gpuE8ELNS1_3repE0EEENS1_30default_config_static_selectorELNS0_4arch9wavefront6targetE0EEEvT1_.uses_vcc, 0
	.set _ZN7rocprim17ROCPRIM_400000_NS6detail17trampoline_kernelINS0_14default_configENS1_27scan_by_key_config_selectorIsiEEZZNS1_16scan_by_key_implILNS1_25lookback_scan_determinismE0ELb1ES3_N6thrust23THRUST_200600_302600_NS6detail15normal_iteratorINS9_10device_ptrIsEEEESE_SE_iNS9_4plusIvEENS9_8equal_toIvEEiEE10hipError_tPvRmT2_T3_T4_T5_mT6_T7_P12ihipStream_tbENKUlT_T0_E_clISt17integral_constantIbLb0EESZ_EEDaSU_SV_EUlSU_E_NS1_11comp_targetILNS1_3genE4ELNS1_11target_archE910ELNS1_3gpuE8ELNS1_3repE0EEENS1_30default_config_static_selectorELNS0_4arch9wavefront6targetE0EEEvT1_.uses_flat_scratch, 0
	.set _ZN7rocprim17ROCPRIM_400000_NS6detail17trampoline_kernelINS0_14default_configENS1_27scan_by_key_config_selectorIsiEEZZNS1_16scan_by_key_implILNS1_25lookback_scan_determinismE0ELb1ES3_N6thrust23THRUST_200600_302600_NS6detail15normal_iteratorINS9_10device_ptrIsEEEESE_SE_iNS9_4plusIvEENS9_8equal_toIvEEiEE10hipError_tPvRmT2_T3_T4_T5_mT6_T7_P12ihipStream_tbENKUlT_T0_E_clISt17integral_constantIbLb0EESZ_EEDaSU_SV_EUlSU_E_NS1_11comp_targetILNS1_3genE4ELNS1_11target_archE910ELNS1_3gpuE8ELNS1_3repE0EEENS1_30default_config_static_selectorELNS0_4arch9wavefront6targetE0EEEvT1_.has_dyn_sized_stack, 0
	.set _ZN7rocprim17ROCPRIM_400000_NS6detail17trampoline_kernelINS0_14default_configENS1_27scan_by_key_config_selectorIsiEEZZNS1_16scan_by_key_implILNS1_25lookback_scan_determinismE0ELb1ES3_N6thrust23THRUST_200600_302600_NS6detail15normal_iteratorINS9_10device_ptrIsEEEESE_SE_iNS9_4plusIvEENS9_8equal_toIvEEiEE10hipError_tPvRmT2_T3_T4_T5_mT6_T7_P12ihipStream_tbENKUlT_T0_E_clISt17integral_constantIbLb0EESZ_EEDaSU_SV_EUlSU_E_NS1_11comp_targetILNS1_3genE4ELNS1_11target_archE910ELNS1_3gpuE8ELNS1_3repE0EEENS1_30default_config_static_selectorELNS0_4arch9wavefront6targetE0EEEvT1_.has_recursion, 0
	.set _ZN7rocprim17ROCPRIM_400000_NS6detail17trampoline_kernelINS0_14default_configENS1_27scan_by_key_config_selectorIsiEEZZNS1_16scan_by_key_implILNS1_25lookback_scan_determinismE0ELb1ES3_N6thrust23THRUST_200600_302600_NS6detail15normal_iteratorINS9_10device_ptrIsEEEESE_SE_iNS9_4plusIvEENS9_8equal_toIvEEiEE10hipError_tPvRmT2_T3_T4_T5_mT6_T7_P12ihipStream_tbENKUlT_T0_E_clISt17integral_constantIbLb0EESZ_EEDaSU_SV_EUlSU_E_NS1_11comp_targetILNS1_3genE4ELNS1_11target_archE910ELNS1_3gpuE8ELNS1_3repE0EEENS1_30default_config_static_selectorELNS0_4arch9wavefront6targetE0EEEvT1_.has_indirect_call, 0
	.section	.AMDGPU.csdata,"",@progbits
; Kernel info:
; codeLenInByte = 0
; TotalNumSgprs: 0
; NumVgprs: 0
; ScratchSize: 0
; MemoryBound: 0
; FloatMode: 240
; IeeeMode: 1
; LDSByteSize: 0 bytes/workgroup (compile time only)
; SGPRBlocks: 0
; VGPRBlocks: 0
; NumSGPRsForWavesPerEU: 1
; NumVGPRsForWavesPerEU: 1
; Occupancy: 16
; WaveLimiterHint : 0
; COMPUTE_PGM_RSRC2:SCRATCH_EN: 0
; COMPUTE_PGM_RSRC2:USER_SGPR: 6
; COMPUTE_PGM_RSRC2:TRAP_HANDLER: 0
; COMPUTE_PGM_RSRC2:TGID_X_EN: 1
; COMPUTE_PGM_RSRC2:TGID_Y_EN: 0
; COMPUTE_PGM_RSRC2:TGID_Z_EN: 0
; COMPUTE_PGM_RSRC2:TIDIG_COMP_CNT: 0
	.section	.text._ZN7rocprim17ROCPRIM_400000_NS6detail17trampoline_kernelINS0_14default_configENS1_27scan_by_key_config_selectorIsiEEZZNS1_16scan_by_key_implILNS1_25lookback_scan_determinismE0ELb1ES3_N6thrust23THRUST_200600_302600_NS6detail15normal_iteratorINS9_10device_ptrIsEEEESE_SE_iNS9_4plusIvEENS9_8equal_toIvEEiEE10hipError_tPvRmT2_T3_T4_T5_mT6_T7_P12ihipStream_tbENKUlT_T0_E_clISt17integral_constantIbLb0EESZ_EEDaSU_SV_EUlSU_E_NS1_11comp_targetILNS1_3genE3ELNS1_11target_archE908ELNS1_3gpuE7ELNS1_3repE0EEENS1_30default_config_static_selectorELNS0_4arch9wavefront6targetE0EEEvT1_,"axG",@progbits,_ZN7rocprim17ROCPRIM_400000_NS6detail17trampoline_kernelINS0_14default_configENS1_27scan_by_key_config_selectorIsiEEZZNS1_16scan_by_key_implILNS1_25lookback_scan_determinismE0ELb1ES3_N6thrust23THRUST_200600_302600_NS6detail15normal_iteratorINS9_10device_ptrIsEEEESE_SE_iNS9_4plusIvEENS9_8equal_toIvEEiEE10hipError_tPvRmT2_T3_T4_T5_mT6_T7_P12ihipStream_tbENKUlT_T0_E_clISt17integral_constantIbLb0EESZ_EEDaSU_SV_EUlSU_E_NS1_11comp_targetILNS1_3genE3ELNS1_11target_archE908ELNS1_3gpuE7ELNS1_3repE0EEENS1_30default_config_static_selectorELNS0_4arch9wavefront6targetE0EEEvT1_,comdat
	.protected	_ZN7rocprim17ROCPRIM_400000_NS6detail17trampoline_kernelINS0_14default_configENS1_27scan_by_key_config_selectorIsiEEZZNS1_16scan_by_key_implILNS1_25lookback_scan_determinismE0ELb1ES3_N6thrust23THRUST_200600_302600_NS6detail15normal_iteratorINS9_10device_ptrIsEEEESE_SE_iNS9_4plusIvEENS9_8equal_toIvEEiEE10hipError_tPvRmT2_T3_T4_T5_mT6_T7_P12ihipStream_tbENKUlT_T0_E_clISt17integral_constantIbLb0EESZ_EEDaSU_SV_EUlSU_E_NS1_11comp_targetILNS1_3genE3ELNS1_11target_archE908ELNS1_3gpuE7ELNS1_3repE0EEENS1_30default_config_static_selectorELNS0_4arch9wavefront6targetE0EEEvT1_ ; -- Begin function _ZN7rocprim17ROCPRIM_400000_NS6detail17trampoline_kernelINS0_14default_configENS1_27scan_by_key_config_selectorIsiEEZZNS1_16scan_by_key_implILNS1_25lookback_scan_determinismE0ELb1ES3_N6thrust23THRUST_200600_302600_NS6detail15normal_iteratorINS9_10device_ptrIsEEEESE_SE_iNS9_4plusIvEENS9_8equal_toIvEEiEE10hipError_tPvRmT2_T3_T4_T5_mT6_T7_P12ihipStream_tbENKUlT_T0_E_clISt17integral_constantIbLb0EESZ_EEDaSU_SV_EUlSU_E_NS1_11comp_targetILNS1_3genE3ELNS1_11target_archE908ELNS1_3gpuE7ELNS1_3repE0EEENS1_30default_config_static_selectorELNS0_4arch9wavefront6targetE0EEEvT1_
	.globl	_ZN7rocprim17ROCPRIM_400000_NS6detail17trampoline_kernelINS0_14default_configENS1_27scan_by_key_config_selectorIsiEEZZNS1_16scan_by_key_implILNS1_25lookback_scan_determinismE0ELb1ES3_N6thrust23THRUST_200600_302600_NS6detail15normal_iteratorINS9_10device_ptrIsEEEESE_SE_iNS9_4plusIvEENS9_8equal_toIvEEiEE10hipError_tPvRmT2_T3_T4_T5_mT6_T7_P12ihipStream_tbENKUlT_T0_E_clISt17integral_constantIbLb0EESZ_EEDaSU_SV_EUlSU_E_NS1_11comp_targetILNS1_3genE3ELNS1_11target_archE908ELNS1_3gpuE7ELNS1_3repE0EEENS1_30default_config_static_selectorELNS0_4arch9wavefront6targetE0EEEvT1_
	.p2align	8
	.type	_ZN7rocprim17ROCPRIM_400000_NS6detail17trampoline_kernelINS0_14default_configENS1_27scan_by_key_config_selectorIsiEEZZNS1_16scan_by_key_implILNS1_25lookback_scan_determinismE0ELb1ES3_N6thrust23THRUST_200600_302600_NS6detail15normal_iteratorINS9_10device_ptrIsEEEESE_SE_iNS9_4plusIvEENS9_8equal_toIvEEiEE10hipError_tPvRmT2_T3_T4_T5_mT6_T7_P12ihipStream_tbENKUlT_T0_E_clISt17integral_constantIbLb0EESZ_EEDaSU_SV_EUlSU_E_NS1_11comp_targetILNS1_3genE3ELNS1_11target_archE908ELNS1_3gpuE7ELNS1_3repE0EEENS1_30default_config_static_selectorELNS0_4arch9wavefront6targetE0EEEvT1_,@function
_ZN7rocprim17ROCPRIM_400000_NS6detail17trampoline_kernelINS0_14default_configENS1_27scan_by_key_config_selectorIsiEEZZNS1_16scan_by_key_implILNS1_25lookback_scan_determinismE0ELb1ES3_N6thrust23THRUST_200600_302600_NS6detail15normal_iteratorINS9_10device_ptrIsEEEESE_SE_iNS9_4plusIvEENS9_8equal_toIvEEiEE10hipError_tPvRmT2_T3_T4_T5_mT6_T7_P12ihipStream_tbENKUlT_T0_E_clISt17integral_constantIbLb0EESZ_EEDaSU_SV_EUlSU_E_NS1_11comp_targetILNS1_3genE3ELNS1_11target_archE908ELNS1_3gpuE7ELNS1_3repE0EEENS1_30default_config_static_selectorELNS0_4arch9wavefront6targetE0EEEvT1_: ; @_ZN7rocprim17ROCPRIM_400000_NS6detail17trampoline_kernelINS0_14default_configENS1_27scan_by_key_config_selectorIsiEEZZNS1_16scan_by_key_implILNS1_25lookback_scan_determinismE0ELb1ES3_N6thrust23THRUST_200600_302600_NS6detail15normal_iteratorINS9_10device_ptrIsEEEESE_SE_iNS9_4plusIvEENS9_8equal_toIvEEiEE10hipError_tPvRmT2_T3_T4_T5_mT6_T7_P12ihipStream_tbENKUlT_T0_E_clISt17integral_constantIbLb0EESZ_EEDaSU_SV_EUlSU_E_NS1_11comp_targetILNS1_3genE3ELNS1_11target_archE908ELNS1_3gpuE7ELNS1_3repE0EEENS1_30default_config_static_selectorELNS0_4arch9wavefront6targetE0EEEvT1_
; %bb.0:
	.section	.rodata,"a",@progbits
	.p2align	6, 0x0
	.amdhsa_kernel _ZN7rocprim17ROCPRIM_400000_NS6detail17trampoline_kernelINS0_14default_configENS1_27scan_by_key_config_selectorIsiEEZZNS1_16scan_by_key_implILNS1_25lookback_scan_determinismE0ELb1ES3_N6thrust23THRUST_200600_302600_NS6detail15normal_iteratorINS9_10device_ptrIsEEEESE_SE_iNS9_4plusIvEENS9_8equal_toIvEEiEE10hipError_tPvRmT2_T3_T4_T5_mT6_T7_P12ihipStream_tbENKUlT_T0_E_clISt17integral_constantIbLb0EESZ_EEDaSU_SV_EUlSU_E_NS1_11comp_targetILNS1_3genE3ELNS1_11target_archE908ELNS1_3gpuE7ELNS1_3repE0EEENS1_30default_config_static_selectorELNS0_4arch9wavefront6targetE0EEEvT1_
		.amdhsa_group_segment_fixed_size 0
		.amdhsa_private_segment_fixed_size 0
		.amdhsa_kernarg_size 112
		.amdhsa_user_sgpr_count 6
		.amdhsa_user_sgpr_private_segment_buffer 1
		.amdhsa_user_sgpr_dispatch_ptr 0
		.amdhsa_user_sgpr_queue_ptr 0
		.amdhsa_user_sgpr_kernarg_segment_ptr 1
		.amdhsa_user_sgpr_dispatch_id 0
		.amdhsa_user_sgpr_flat_scratch_init 0
		.amdhsa_user_sgpr_private_segment_size 0
		.amdhsa_wavefront_size32 1
		.amdhsa_uses_dynamic_stack 0
		.amdhsa_system_sgpr_private_segment_wavefront_offset 0
		.amdhsa_system_sgpr_workgroup_id_x 1
		.amdhsa_system_sgpr_workgroup_id_y 0
		.amdhsa_system_sgpr_workgroup_id_z 0
		.amdhsa_system_sgpr_workgroup_info 0
		.amdhsa_system_vgpr_workitem_id 0
		.amdhsa_next_free_vgpr 1
		.amdhsa_next_free_sgpr 1
		.amdhsa_reserve_vcc 0
		.amdhsa_reserve_flat_scratch 0
		.amdhsa_float_round_mode_32 0
		.amdhsa_float_round_mode_16_64 0
		.amdhsa_float_denorm_mode_32 3
		.amdhsa_float_denorm_mode_16_64 3
		.amdhsa_dx10_clamp 1
		.amdhsa_ieee_mode 1
		.amdhsa_fp16_overflow 0
		.amdhsa_workgroup_processor_mode 1
		.amdhsa_memory_ordered 1
		.amdhsa_forward_progress 1
		.amdhsa_shared_vgpr_count 0
		.amdhsa_exception_fp_ieee_invalid_op 0
		.amdhsa_exception_fp_denorm_src 0
		.amdhsa_exception_fp_ieee_div_zero 0
		.amdhsa_exception_fp_ieee_overflow 0
		.amdhsa_exception_fp_ieee_underflow 0
		.amdhsa_exception_fp_ieee_inexact 0
		.amdhsa_exception_int_div_zero 0
	.end_amdhsa_kernel
	.section	.text._ZN7rocprim17ROCPRIM_400000_NS6detail17trampoline_kernelINS0_14default_configENS1_27scan_by_key_config_selectorIsiEEZZNS1_16scan_by_key_implILNS1_25lookback_scan_determinismE0ELb1ES3_N6thrust23THRUST_200600_302600_NS6detail15normal_iteratorINS9_10device_ptrIsEEEESE_SE_iNS9_4plusIvEENS9_8equal_toIvEEiEE10hipError_tPvRmT2_T3_T4_T5_mT6_T7_P12ihipStream_tbENKUlT_T0_E_clISt17integral_constantIbLb0EESZ_EEDaSU_SV_EUlSU_E_NS1_11comp_targetILNS1_3genE3ELNS1_11target_archE908ELNS1_3gpuE7ELNS1_3repE0EEENS1_30default_config_static_selectorELNS0_4arch9wavefront6targetE0EEEvT1_,"axG",@progbits,_ZN7rocprim17ROCPRIM_400000_NS6detail17trampoline_kernelINS0_14default_configENS1_27scan_by_key_config_selectorIsiEEZZNS1_16scan_by_key_implILNS1_25lookback_scan_determinismE0ELb1ES3_N6thrust23THRUST_200600_302600_NS6detail15normal_iteratorINS9_10device_ptrIsEEEESE_SE_iNS9_4plusIvEENS9_8equal_toIvEEiEE10hipError_tPvRmT2_T3_T4_T5_mT6_T7_P12ihipStream_tbENKUlT_T0_E_clISt17integral_constantIbLb0EESZ_EEDaSU_SV_EUlSU_E_NS1_11comp_targetILNS1_3genE3ELNS1_11target_archE908ELNS1_3gpuE7ELNS1_3repE0EEENS1_30default_config_static_selectorELNS0_4arch9wavefront6targetE0EEEvT1_,comdat
.Lfunc_end1046:
	.size	_ZN7rocprim17ROCPRIM_400000_NS6detail17trampoline_kernelINS0_14default_configENS1_27scan_by_key_config_selectorIsiEEZZNS1_16scan_by_key_implILNS1_25lookback_scan_determinismE0ELb1ES3_N6thrust23THRUST_200600_302600_NS6detail15normal_iteratorINS9_10device_ptrIsEEEESE_SE_iNS9_4plusIvEENS9_8equal_toIvEEiEE10hipError_tPvRmT2_T3_T4_T5_mT6_T7_P12ihipStream_tbENKUlT_T0_E_clISt17integral_constantIbLb0EESZ_EEDaSU_SV_EUlSU_E_NS1_11comp_targetILNS1_3genE3ELNS1_11target_archE908ELNS1_3gpuE7ELNS1_3repE0EEENS1_30default_config_static_selectorELNS0_4arch9wavefront6targetE0EEEvT1_, .Lfunc_end1046-_ZN7rocprim17ROCPRIM_400000_NS6detail17trampoline_kernelINS0_14default_configENS1_27scan_by_key_config_selectorIsiEEZZNS1_16scan_by_key_implILNS1_25lookback_scan_determinismE0ELb1ES3_N6thrust23THRUST_200600_302600_NS6detail15normal_iteratorINS9_10device_ptrIsEEEESE_SE_iNS9_4plusIvEENS9_8equal_toIvEEiEE10hipError_tPvRmT2_T3_T4_T5_mT6_T7_P12ihipStream_tbENKUlT_T0_E_clISt17integral_constantIbLb0EESZ_EEDaSU_SV_EUlSU_E_NS1_11comp_targetILNS1_3genE3ELNS1_11target_archE908ELNS1_3gpuE7ELNS1_3repE0EEENS1_30default_config_static_selectorELNS0_4arch9wavefront6targetE0EEEvT1_
                                        ; -- End function
	.set _ZN7rocprim17ROCPRIM_400000_NS6detail17trampoline_kernelINS0_14default_configENS1_27scan_by_key_config_selectorIsiEEZZNS1_16scan_by_key_implILNS1_25lookback_scan_determinismE0ELb1ES3_N6thrust23THRUST_200600_302600_NS6detail15normal_iteratorINS9_10device_ptrIsEEEESE_SE_iNS9_4plusIvEENS9_8equal_toIvEEiEE10hipError_tPvRmT2_T3_T4_T5_mT6_T7_P12ihipStream_tbENKUlT_T0_E_clISt17integral_constantIbLb0EESZ_EEDaSU_SV_EUlSU_E_NS1_11comp_targetILNS1_3genE3ELNS1_11target_archE908ELNS1_3gpuE7ELNS1_3repE0EEENS1_30default_config_static_selectorELNS0_4arch9wavefront6targetE0EEEvT1_.num_vgpr, 0
	.set _ZN7rocprim17ROCPRIM_400000_NS6detail17trampoline_kernelINS0_14default_configENS1_27scan_by_key_config_selectorIsiEEZZNS1_16scan_by_key_implILNS1_25lookback_scan_determinismE0ELb1ES3_N6thrust23THRUST_200600_302600_NS6detail15normal_iteratorINS9_10device_ptrIsEEEESE_SE_iNS9_4plusIvEENS9_8equal_toIvEEiEE10hipError_tPvRmT2_T3_T4_T5_mT6_T7_P12ihipStream_tbENKUlT_T0_E_clISt17integral_constantIbLb0EESZ_EEDaSU_SV_EUlSU_E_NS1_11comp_targetILNS1_3genE3ELNS1_11target_archE908ELNS1_3gpuE7ELNS1_3repE0EEENS1_30default_config_static_selectorELNS0_4arch9wavefront6targetE0EEEvT1_.num_agpr, 0
	.set _ZN7rocprim17ROCPRIM_400000_NS6detail17trampoline_kernelINS0_14default_configENS1_27scan_by_key_config_selectorIsiEEZZNS1_16scan_by_key_implILNS1_25lookback_scan_determinismE0ELb1ES3_N6thrust23THRUST_200600_302600_NS6detail15normal_iteratorINS9_10device_ptrIsEEEESE_SE_iNS9_4plusIvEENS9_8equal_toIvEEiEE10hipError_tPvRmT2_T3_T4_T5_mT6_T7_P12ihipStream_tbENKUlT_T0_E_clISt17integral_constantIbLb0EESZ_EEDaSU_SV_EUlSU_E_NS1_11comp_targetILNS1_3genE3ELNS1_11target_archE908ELNS1_3gpuE7ELNS1_3repE0EEENS1_30default_config_static_selectorELNS0_4arch9wavefront6targetE0EEEvT1_.numbered_sgpr, 0
	.set _ZN7rocprim17ROCPRIM_400000_NS6detail17trampoline_kernelINS0_14default_configENS1_27scan_by_key_config_selectorIsiEEZZNS1_16scan_by_key_implILNS1_25lookback_scan_determinismE0ELb1ES3_N6thrust23THRUST_200600_302600_NS6detail15normal_iteratorINS9_10device_ptrIsEEEESE_SE_iNS9_4plusIvEENS9_8equal_toIvEEiEE10hipError_tPvRmT2_T3_T4_T5_mT6_T7_P12ihipStream_tbENKUlT_T0_E_clISt17integral_constantIbLb0EESZ_EEDaSU_SV_EUlSU_E_NS1_11comp_targetILNS1_3genE3ELNS1_11target_archE908ELNS1_3gpuE7ELNS1_3repE0EEENS1_30default_config_static_selectorELNS0_4arch9wavefront6targetE0EEEvT1_.num_named_barrier, 0
	.set _ZN7rocprim17ROCPRIM_400000_NS6detail17trampoline_kernelINS0_14default_configENS1_27scan_by_key_config_selectorIsiEEZZNS1_16scan_by_key_implILNS1_25lookback_scan_determinismE0ELb1ES3_N6thrust23THRUST_200600_302600_NS6detail15normal_iteratorINS9_10device_ptrIsEEEESE_SE_iNS9_4plusIvEENS9_8equal_toIvEEiEE10hipError_tPvRmT2_T3_T4_T5_mT6_T7_P12ihipStream_tbENKUlT_T0_E_clISt17integral_constantIbLb0EESZ_EEDaSU_SV_EUlSU_E_NS1_11comp_targetILNS1_3genE3ELNS1_11target_archE908ELNS1_3gpuE7ELNS1_3repE0EEENS1_30default_config_static_selectorELNS0_4arch9wavefront6targetE0EEEvT1_.private_seg_size, 0
	.set _ZN7rocprim17ROCPRIM_400000_NS6detail17trampoline_kernelINS0_14default_configENS1_27scan_by_key_config_selectorIsiEEZZNS1_16scan_by_key_implILNS1_25lookback_scan_determinismE0ELb1ES3_N6thrust23THRUST_200600_302600_NS6detail15normal_iteratorINS9_10device_ptrIsEEEESE_SE_iNS9_4plusIvEENS9_8equal_toIvEEiEE10hipError_tPvRmT2_T3_T4_T5_mT6_T7_P12ihipStream_tbENKUlT_T0_E_clISt17integral_constantIbLb0EESZ_EEDaSU_SV_EUlSU_E_NS1_11comp_targetILNS1_3genE3ELNS1_11target_archE908ELNS1_3gpuE7ELNS1_3repE0EEENS1_30default_config_static_selectorELNS0_4arch9wavefront6targetE0EEEvT1_.uses_vcc, 0
	.set _ZN7rocprim17ROCPRIM_400000_NS6detail17trampoline_kernelINS0_14default_configENS1_27scan_by_key_config_selectorIsiEEZZNS1_16scan_by_key_implILNS1_25lookback_scan_determinismE0ELb1ES3_N6thrust23THRUST_200600_302600_NS6detail15normal_iteratorINS9_10device_ptrIsEEEESE_SE_iNS9_4plusIvEENS9_8equal_toIvEEiEE10hipError_tPvRmT2_T3_T4_T5_mT6_T7_P12ihipStream_tbENKUlT_T0_E_clISt17integral_constantIbLb0EESZ_EEDaSU_SV_EUlSU_E_NS1_11comp_targetILNS1_3genE3ELNS1_11target_archE908ELNS1_3gpuE7ELNS1_3repE0EEENS1_30default_config_static_selectorELNS0_4arch9wavefront6targetE0EEEvT1_.uses_flat_scratch, 0
	.set _ZN7rocprim17ROCPRIM_400000_NS6detail17trampoline_kernelINS0_14default_configENS1_27scan_by_key_config_selectorIsiEEZZNS1_16scan_by_key_implILNS1_25lookback_scan_determinismE0ELb1ES3_N6thrust23THRUST_200600_302600_NS6detail15normal_iteratorINS9_10device_ptrIsEEEESE_SE_iNS9_4plusIvEENS9_8equal_toIvEEiEE10hipError_tPvRmT2_T3_T4_T5_mT6_T7_P12ihipStream_tbENKUlT_T0_E_clISt17integral_constantIbLb0EESZ_EEDaSU_SV_EUlSU_E_NS1_11comp_targetILNS1_3genE3ELNS1_11target_archE908ELNS1_3gpuE7ELNS1_3repE0EEENS1_30default_config_static_selectorELNS0_4arch9wavefront6targetE0EEEvT1_.has_dyn_sized_stack, 0
	.set _ZN7rocprim17ROCPRIM_400000_NS6detail17trampoline_kernelINS0_14default_configENS1_27scan_by_key_config_selectorIsiEEZZNS1_16scan_by_key_implILNS1_25lookback_scan_determinismE0ELb1ES3_N6thrust23THRUST_200600_302600_NS6detail15normal_iteratorINS9_10device_ptrIsEEEESE_SE_iNS9_4plusIvEENS9_8equal_toIvEEiEE10hipError_tPvRmT2_T3_T4_T5_mT6_T7_P12ihipStream_tbENKUlT_T0_E_clISt17integral_constantIbLb0EESZ_EEDaSU_SV_EUlSU_E_NS1_11comp_targetILNS1_3genE3ELNS1_11target_archE908ELNS1_3gpuE7ELNS1_3repE0EEENS1_30default_config_static_selectorELNS0_4arch9wavefront6targetE0EEEvT1_.has_recursion, 0
	.set _ZN7rocprim17ROCPRIM_400000_NS6detail17trampoline_kernelINS0_14default_configENS1_27scan_by_key_config_selectorIsiEEZZNS1_16scan_by_key_implILNS1_25lookback_scan_determinismE0ELb1ES3_N6thrust23THRUST_200600_302600_NS6detail15normal_iteratorINS9_10device_ptrIsEEEESE_SE_iNS9_4plusIvEENS9_8equal_toIvEEiEE10hipError_tPvRmT2_T3_T4_T5_mT6_T7_P12ihipStream_tbENKUlT_T0_E_clISt17integral_constantIbLb0EESZ_EEDaSU_SV_EUlSU_E_NS1_11comp_targetILNS1_3genE3ELNS1_11target_archE908ELNS1_3gpuE7ELNS1_3repE0EEENS1_30default_config_static_selectorELNS0_4arch9wavefront6targetE0EEEvT1_.has_indirect_call, 0
	.section	.AMDGPU.csdata,"",@progbits
; Kernel info:
; codeLenInByte = 0
; TotalNumSgprs: 0
; NumVgprs: 0
; ScratchSize: 0
; MemoryBound: 0
; FloatMode: 240
; IeeeMode: 1
; LDSByteSize: 0 bytes/workgroup (compile time only)
; SGPRBlocks: 0
; VGPRBlocks: 0
; NumSGPRsForWavesPerEU: 1
; NumVGPRsForWavesPerEU: 1
; Occupancy: 16
; WaveLimiterHint : 0
; COMPUTE_PGM_RSRC2:SCRATCH_EN: 0
; COMPUTE_PGM_RSRC2:USER_SGPR: 6
; COMPUTE_PGM_RSRC2:TRAP_HANDLER: 0
; COMPUTE_PGM_RSRC2:TGID_X_EN: 1
; COMPUTE_PGM_RSRC2:TGID_Y_EN: 0
; COMPUTE_PGM_RSRC2:TGID_Z_EN: 0
; COMPUTE_PGM_RSRC2:TIDIG_COMP_CNT: 0
	.section	.text._ZN7rocprim17ROCPRIM_400000_NS6detail17trampoline_kernelINS0_14default_configENS1_27scan_by_key_config_selectorIsiEEZZNS1_16scan_by_key_implILNS1_25lookback_scan_determinismE0ELb1ES3_N6thrust23THRUST_200600_302600_NS6detail15normal_iteratorINS9_10device_ptrIsEEEESE_SE_iNS9_4plusIvEENS9_8equal_toIvEEiEE10hipError_tPvRmT2_T3_T4_T5_mT6_T7_P12ihipStream_tbENKUlT_T0_E_clISt17integral_constantIbLb0EESZ_EEDaSU_SV_EUlSU_E_NS1_11comp_targetILNS1_3genE2ELNS1_11target_archE906ELNS1_3gpuE6ELNS1_3repE0EEENS1_30default_config_static_selectorELNS0_4arch9wavefront6targetE0EEEvT1_,"axG",@progbits,_ZN7rocprim17ROCPRIM_400000_NS6detail17trampoline_kernelINS0_14default_configENS1_27scan_by_key_config_selectorIsiEEZZNS1_16scan_by_key_implILNS1_25lookback_scan_determinismE0ELb1ES3_N6thrust23THRUST_200600_302600_NS6detail15normal_iteratorINS9_10device_ptrIsEEEESE_SE_iNS9_4plusIvEENS9_8equal_toIvEEiEE10hipError_tPvRmT2_T3_T4_T5_mT6_T7_P12ihipStream_tbENKUlT_T0_E_clISt17integral_constantIbLb0EESZ_EEDaSU_SV_EUlSU_E_NS1_11comp_targetILNS1_3genE2ELNS1_11target_archE906ELNS1_3gpuE6ELNS1_3repE0EEENS1_30default_config_static_selectorELNS0_4arch9wavefront6targetE0EEEvT1_,comdat
	.protected	_ZN7rocprim17ROCPRIM_400000_NS6detail17trampoline_kernelINS0_14default_configENS1_27scan_by_key_config_selectorIsiEEZZNS1_16scan_by_key_implILNS1_25lookback_scan_determinismE0ELb1ES3_N6thrust23THRUST_200600_302600_NS6detail15normal_iteratorINS9_10device_ptrIsEEEESE_SE_iNS9_4plusIvEENS9_8equal_toIvEEiEE10hipError_tPvRmT2_T3_T4_T5_mT6_T7_P12ihipStream_tbENKUlT_T0_E_clISt17integral_constantIbLb0EESZ_EEDaSU_SV_EUlSU_E_NS1_11comp_targetILNS1_3genE2ELNS1_11target_archE906ELNS1_3gpuE6ELNS1_3repE0EEENS1_30default_config_static_selectorELNS0_4arch9wavefront6targetE0EEEvT1_ ; -- Begin function _ZN7rocprim17ROCPRIM_400000_NS6detail17trampoline_kernelINS0_14default_configENS1_27scan_by_key_config_selectorIsiEEZZNS1_16scan_by_key_implILNS1_25lookback_scan_determinismE0ELb1ES3_N6thrust23THRUST_200600_302600_NS6detail15normal_iteratorINS9_10device_ptrIsEEEESE_SE_iNS9_4plusIvEENS9_8equal_toIvEEiEE10hipError_tPvRmT2_T3_T4_T5_mT6_T7_P12ihipStream_tbENKUlT_T0_E_clISt17integral_constantIbLb0EESZ_EEDaSU_SV_EUlSU_E_NS1_11comp_targetILNS1_3genE2ELNS1_11target_archE906ELNS1_3gpuE6ELNS1_3repE0EEENS1_30default_config_static_selectorELNS0_4arch9wavefront6targetE0EEEvT1_
	.globl	_ZN7rocprim17ROCPRIM_400000_NS6detail17trampoline_kernelINS0_14default_configENS1_27scan_by_key_config_selectorIsiEEZZNS1_16scan_by_key_implILNS1_25lookback_scan_determinismE0ELb1ES3_N6thrust23THRUST_200600_302600_NS6detail15normal_iteratorINS9_10device_ptrIsEEEESE_SE_iNS9_4plusIvEENS9_8equal_toIvEEiEE10hipError_tPvRmT2_T3_T4_T5_mT6_T7_P12ihipStream_tbENKUlT_T0_E_clISt17integral_constantIbLb0EESZ_EEDaSU_SV_EUlSU_E_NS1_11comp_targetILNS1_3genE2ELNS1_11target_archE906ELNS1_3gpuE6ELNS1_3repE0EEENS1_30default_config_static_selectorELNS0_4arch9wavefront6targetE0EEEvT1_
	.p2align	8
	.type	_ZN7rocprim17ROCPRIM_400000_NS6detail17trampoline_kernelINS0_14default_configENS1_27scan_by_key_config_selectorIsiEEZZNS1_16scan_by_key_implILNS1_25lookback_scan_determinismE0ELb1ES3_N6thrust23THRUST_200600_302600_NS6detail15normal_iteratorINS9_10device_ptrIsEEEESE_SE_iNS9_4plusIvEENS9_8equal_toIvEEiEE10hipError_tPvRmT2_T3_T4_T5_mT6_T7_P12ihipStream_tbENKUlT_T0_E_clISt17integral_constantIbLb0EESZ_EEDaSU_SV_EUlSU_E_NS1_11comp_targetILNS1_3genE2ELNS1_11target_archE906ELNS1_3gpuE6ELNS1_3repE0EEENS1_30default_config_static_selectorELNS0_4arch9wavefront6targetE0EEEvT1_,@function
_ZN7rocprim17ROCPRIM_400000_NS6detail17trampoline_kernelINS0_14default_configENS1_27scan_by_key_config_selectorIsiEEZZNS1_16scan_by_key_implILNS1_25lookback_scan_determinismE0ELb1ES3_N6thrust23THRUST_200600_302600_NS6detail15normal_iteratorINS9_10device_ptrIsEEEESE_SE_iNS9_4plusIvEENS9_8equal_toIvEEiEE10hipError_tPvRmT2_T3_T4_T5_mT6_T7_P12ihipStream_tbENKUlT_T0_E_clISt17integral_constantIbLb0EESZ_EEDaSU_SV_EUlSU_E_NS1_11comp_targetILNS1_3genE2ELNS1_11target_archE906ELNS1_3gpuE6ELNS1_3repE0EEENS1_30default_config_static_selectorELNS0_4arch9wavefront6targetE0EEEvT1_: ; @_ZN7rocprim17ROCPRIM_400000_NS6detail17trampoline_kernelINS0_14default_configENS1_27scan_by_key_config_selectorIsiEEZZNS1_16scan_by_key_implILNS1_25lookback_scan_determinismE0ELb1ES3_N6thrust23THRUST_200600_302600_NS6detail15normal_iteratorINS9_10device_ptrIsEEEESE_SE_iNS9_4plusIvEENS9_8equal_toIvEEiEE10hipError_tPvRmT2_T3_T4_T5_mT6_T7_P12ihipStream_tbENKUlT_T0_E_clISt17integral_constantIbLb0EESZ_EEDaSU_SV_EUlSU_E_NS1_11comp_targetILNS1_3genE2ELNS1_11target_archE906ELNS1_3gpuE6ELNS1_3repE0EEENS1_30default_config_static_selectorELNS0_4arch9wavefront6targetE0EEEvT1_
; %bb.0:
	.section	.rodata,"a",@progbits
	.p2align	6, 0x0
	.amdhsa_kernel _ZN7rocprim17ROCPRIM_400000_NS6detail17trampoline_kernelINS0_14default_configENS1_27scan_by_key_config_selectorIsiEEZZNS1_16scan_by_key_implILNS1_25lookback_scan_determinismE0ELb1ES3_N6thrust23THRUST_200600_302600_NS6detail15normal_iteratorINS9_10device_ptrIsEEEESE_SE_iNS9_4plusIvEENS9_8equal_toIvEEiEE10hipError_tPvRmT2_T3_T4_T5_mT6_T7_P12ihipStream_tbENKUlT_T0_E_clISt17integral_constantIbLb0EESZ_EEDaSU_SV_EUlSU_E_NS1_11comp_targetILNS1_3genE2ELNS1_11target_archE906ELNS1_3gpuE6ELNS1_3repE0EEENS1_30default_config_static_selectorELNS0_4arch9wavefront6targetE0EEEvT1_
		.amdhsa_group_segment_fixed_size 0
		.amdhsa_private_segment_fixed_size 0
		.amdhsa_kernarg_size 112
		.amdhsa_user_sgpr_count 6
		.amdhsa_user_sgpr_private_segment_buffer 1
		.amdhsa_user_sgpr_dispatch_ptr 0
		.amdhsa_user_sgpr_queue_ptr 0
		.amdhsa_user_sgpr_kernarg_segment_ptr 1
		.amdhsa_user_sgpr_dispatch_id 0
		.amdhsa_user_sgpr_flat_scratch_init 0
		.amdhsa_user_sgpr_private_segment_size 0
		.amdhsa_wavefront_size32 1
		.amdhsa_uses_dynamic_stack 0
		.amdhsa_system_sgpr_private_segment_wavefront_offset 0
		.amdhsa_system_sgpr_workgroup_id_x 1
		.amdhsa_system_sgpr_workgroup_id_y 0
		.amdhsa_system_sgpr_workgroup_id_z 0
		.amdhsa_system_sgpr_workgroup_info 0
		.amdhsa_system_vgpr_workitem_id 0
		.amdhsa_next_free_vgpr 1
		.amdhsa_next_free_sgpr 1
		.amdhsa_reserve_vcc 0
		.amdhsa_reserve_flat_scratch 0
		.amdhsa_float_round_mode_32 0
		.amdhsa_float_round_mode_16_64 0
		.amdhsa_float_denorm_mode_32 3
		.amdhsa_float_denorm_mode_16_64 3
		.amdhsa_dx10_clamp 1
		.amdhsa_ieee_mode 1
		.amdhsa_fp16_overflow 0
		.amdhsa_workgroup_processor_mode 1
		.amdhsa_memory_ordered 1
		.amdhsa_forward_progress 1
		.amdhsa_shared_vgpr_count 0
		.amdhsa_exception_fp_ieee_invalid_op 0
		.amdhsa_exception_fp_denorm_src 0
		.amdhsa_exception_fp_ieee_div_zero 0
		.amdhsa_exception_fp_ieee_overflow 0
		.amdhsa_exception_fp_ieee_underflow 0
		.amdhsa_exception_fp_ieee_inexact 0
		.amdhsa_exception_int_div_zero 0
	.end_amdhsa_kernel
	.section	.text._ZN7rocprim17ROCPRIM_400000_NS6detail17trampoline_kernelINS0_14default_configENS1_27scan_by_key_config_selectorIsiEEZZNS1_16scan_by_key_implILNS1_25lookback_scan_determinismE0ELb1ES3_N6thrust23THRUST_200600_302600_NS6detail15normal_iteratorINS9_10device_ptrIsEEEESE_SE_iNS9_4plusIvEENS9_8equal_toIvEEiEE10hipError_tPvRmT2_T3_T4_T5_mT6_T7_P12ihipStream_tbENKUlT_T0_E_clISt17integral_constantIbLb0EESZ_EEDaSU_SV_EUlSU_E_NS1_11comp_targetILNS1_3genE2ELNS1_11target_archE906ELNS1_3gpuE6ELNS1_3repE0EEENS1_30default_config_static_selectorELNS0_4arch9wavefront6targetE0EEEvT1_,"axG",@progbits,_ZN7rocprim17ROCPRIM_400000_NS6detail17trampoline_kernelINS0_14default_configENS1_27scan_by_key_config_selectorIsiEEZZNS1_16scan_by_key_implILNS1_25lookback_scan_determinismE0ELb1ES3_N6thrust23THRUST_200600_302600_NS6detail15normal_iteratorINS9_10device_ptrIsEEEESE_SE_iNS9_4plusIvEENS9_8equal_toIvEEiEE10hipError_tPvRmT2_T3_T4_T5_mT6_T7_P12ihipStream_tbENKUlT_T0_E_clISt17integral_constantIbLb0EESZ_EEDaSU_SV_EUlSU_E_NS1_11comp_targetILNS1_3genE2ELNS1_11target_archE906ELNS1_3gpuE6ELNS1_3repE0EEENS1_30default_config_static_selectorELNS0_4arch9wavefront6targetE0EEEvT1_,comdat
.Lfunc_end1047:
	.size	_ZN7rocprim17ROCPRIM_400000_NS6detail17trampoline_kernelINS0_14default_configENS1_27scan_by_key_config_selectorIsiEEZZNS1_16scan_by_key_implILNS1_25lookback_scan_determinismE0ELb1ES3_N6thrust23THRUST_200600_302600_NS6detail15normal_iteratorINS9_10device_ptrIsEEEESE_SE_iNS9_4plusIvEENS9_8equal_toIvEEiEE10hipError_tPvRmT2_T3_T4_T5_mT6_T7_P12ihipStream_tbENKUlT_T0_E_clISt17integral_constantIbLb0EESZ_EEDaSU_SV_EUlSU_E_NS1_11comp_targetILNS1_3genE2ELNS1_11target_archE906ELNS1_3gpuE6ELNS1_3repE0EEENS1_30default_config_static_selectorELNS0_4arch9wavefront6targetE0EEEvT1_, .Lfunc_end1047-_ZN7rocprim17ROCPRIM_400000_NS6detail17trampoline_kernelINS0_14default_configENS1_27scan_by_key_config_selectorIsiEEZZNS1_16scan_by_key_implILNS1_25lookback_scan_determinismE0ELb1ES3_N6thrust23THRUST_200600_302600_NS6detail15normal_iteratorINS9_10device_ptrIsEEEESE_SE_iNS9_4plusIvEENS9_8equal_toIvEEiEE10hipError_tPvRmT2_T3_T4_T5_mT6_T7_P12ihipStream_tbENKUlT_T0_E_clISt17integral_constantIbLb0EESZ_EEDaSU_SV_EUlSU_E_NS1_11comp_targetILNS1_3genE2ELNS1_11target_archE906ELNS1_3gpuE6ELNS1_3repE0EEENS1_30default_config_static_selectorELNS0_4arch9wavefront6targetE0EEEvT1_
                                        ; -- End function
	.set _ZN7rocprim17ROCPRIM_400000_NS6detail17trampoline_kernelINS0_14default_configENS1_27scan_by_key_config_selectorIsiEEZZNS1_16scan_by_key_implILNS1_25lookback_scan_determinismE0ELb1ES3_N6thrust23THRUST_200600_302600_NS6detail15normal_iteratorINS9_10device_ptrIsEEEESE_SE_iNS9_4plusIvEENS9_8equal_toIvEEiEE10hipError_tPvRmT2_T3_T4_T5_mT6_T7_P12ihipStream_tbENKUlT_T0_E_clISt17integral_constantIbLb0EESZ_EEDaSU_SV_EUlSU_E_NS1_11comp_targetILNS1_3genE2ELNS1_11target_archE906ELNS1_3gpuE6ELNS1_3repE0EEENS1_30default_config_static_selectorELNS0_4arch9wavefront6targetE0EEEvT1_.num_vgpr, 0
	.set _ZN7rocprim17ROCPRIM_400000_NS6detail17trampoline_kernelINS0_14default_configENS1_27scan_by_key_config_selectorIsiEEZZNS1_16scan_by_key_implILNS1_25lookback_scan_determinismE0ELb1ES3_N6thrust23THRUST_200600_302600_NS6detail15normal_iteratorINS9_10device_ptrIsEEEESE_SE_iNS9_4plusIvEENS9_8equal_toIvEEiEE10hipError_tPvRmT2_T3_T4_T5_mT6_T7_P12ihipStream_tbENKUlT_T0_E_clISt17integral_constantIbLb0EESZ_EEDaSU_SV_EUlSU_E_NS1_11comp_targetILNS1_3genE2ELNS1_11target_archE906ELNS1_3gpuE6ELNS1_3repE0EEENS1_30default_config_static_selectorELNS0_4arch9wavefront6targetE0EEEvT1_.num_agpr, 0
	.set _ZN7rocprim17ROCPRIM_400000_NS6detail17trampoline_kernelINS0_14default_configENS1_27scan_by_key_config_selectorIsiEEZZNS1_16scan_by_key_implILNS1_25lookback_scan_determinismE0ELb1ES3_N6thrust23THRUST_200600_302600_NS6detail15normal_iteratorINS9_10device_ptrIsEEEESE_SE_iNS9_4plusIvEENS9_8equal_toIvEEiEE10hipError_tPvRmT2_T3_T4_T5_mT6_T7_P12ihipStream_tbENKUlT_T0_E_clISt17integral_constantIbLb0EESZ_EEDaSU_SV_EUlSU_E_NS1_11comp_targetILNS1_3genE2ELNS1_11target_archE906ELNS1_3gpuE6ELNS1_3repE0EEENS1_30default_config_static_selectorELNS0_4arch9wavefront6targetE0EEEvT1_.numbered_sgpr, 0
	.set _ZN7rocprim17ROCPRIM_400000_NS6detail17trampoline_kernelINS0_14default_configENS1_27scan_by_key_config_selectorIsiEEZZNS1_16scan_by_key_implILNS1_25lookback_scan_determinismE0ELb1ES3_N6thrust23THRUST_200600_302600_NS6detail15normal_iteratorINS9_10device_ptrIsEEEESE_SE_iNS9_4plusIvEENS9_8equal_toIvEEiEE10hipError_tPvRmT2_T3_T4_T5_mT6_T7_P12ihipStream_tbENKUlT_T0_E_clISt17integral_constantIbLb0EESZ_EEDaSU_SV_EUlSU_E_NS1_11comp_targetILNS1_3genE2ELNS1_11target_archE906ELNS1_3gpuE6ELNS1_3repE0EEENS1_30default_config_static_selectorELNS0_4arch9wavefront6targetE0EEEvT1_.num_named_barrier, 0
	.set _ZN7rocprim17ROCPRIM_400000_NS6detail17trampoline_kernelINS0_14default_configENS1_27scan_by_key_config_selectorIsiEEZZNS1_16scan_by_key_implILNS1_25lookback_scan_determinismE0ELb1ES3_N6thrust23THRUST_200600_302600_NS6detail15normal_iteratorINS9_10device_ptrIsEEEESE_SE_iNS9_4plusIvEENS9_8equal_toIvEEiEE10hipError_tPvRmT2_T3_T4_T5_mT6_T7_P12ihipStream_tbENKUlT_T0_E_clISt17integral_constantIbLb0EESZ_EEDaSU_SV_EUlSU_E_NS1_11comp_targetILNS1_3genE2ELNS1_11target_archE906ELNS1_3gpuE6ELNS1_3repE0EEENS1_30default_config_static_selectorELNS0_4arch9wavefront6targetE0EEEvT1_.private_seg_size, 0
	.set _ZN7rocprim17ROCPRIM_400000_NS6detail17trampoline_kernelINS0_14default_configENS1_27scan_by_key_config_selectorIsiEEZZNS1_16scan_by_key_implILNS1_25lookback_scan_determinismE0ELb1ES3_N6thrust23THRUST_200600_302600_NS6detail15normal_iteratorINS9_10device_ptrIsEEEESE_SE_iNS9_4plusIvEENS9_8equal_toIvEEiEE10hipError_tPvRmT2_T3_T4_T5_mT6_T7_P12ihipStream_tbENKUlT_T0_E_clISt17integral_constantIbLb0EESZ_EEDaSU_SV_EUlSU_E_NS1_11comp_targetILNS1_3genE2ELNS1_11target_archE906ELNS1_3gpuE6ELNS1_3repE0EEENS1_30default_config_static_selectorELNS0_4arch9wavefront6targetE0EEEvT1_.uses_vcc, 0
	.set _ZN7rocprim17ROCPRIM_400000_NS6detail17trampoline_kernelINS0_14default_configENS1_27scan_by_key_config_selectorIsiEEZZNS1_16scan_by_key_implILNS1_25lookback_scan_determinismE0ELb1ES3_N6thrust23THRUST_200600_302600_NS6detail15normal_iteratorINS9_10device_ptrIsEEEESE_SE_iNS9_4plusIvEENS9_8equal_toIvEEiEE10hipError_tPvRmT2_T3_T4_T5_mT6_T7_P12ihipStream_tbENKUlT_T0_E_clISt17integral_constantIbLb0EESZ_EEDaSU_SV_EUlSU_E_NS1_11comp_targetILNS1_3genE2ELNS1_11target_archE906ELNS1_3gpuE6ELNS1_3repE0EEENS1_30default_config_static_selectorELNS0_4arch9wavefront6targetE0EEEvT1_.uses_flat_scratch, 0
	.set _ZN7rocprim17ROCPRIM_400000_NS6detail17trampoline_kernelINS0_14default_configENS1_27scan_by_key_config_selectorIsiEEZZNS1_16scan_by_key_implILNS1_25lookback_scan_determinismE0ELb1ES3_N6thrust23THRUST_200600_302600_NS6detail15normal_iteratorINS9_10device_ptrIsEEEESE_SE_iNS9_4plusIvEENS9_8equal_toIvEEiEE10hipError_tPvRmT2_T3_T4_T5_mT6_T7_P12ihipStream_tbENKUlT_T0_E_clISt17integral_constantIbLb0EESZ_EEDaSU_SV_EUlSU_E_NS1_11comp_targetILNS1_3genE2ELNS1_11target_archE906ELNS1_3gpuE6ELNS1_3repE0EEENS1_30default_config_static_selectorELNS0_4arch9wavefront6targetE0EEEvT1_.has_dyn_sized_stack, 0
	.set _ZN7rocprim17ROCPRIM_400000_NS6detail17trampoline_kernelINS0_14default_configENS1_27scan_by_key_config_selectorIsiEEZZNS1_16scan_by_key_implILNS1_25lookback_scan_determinismE0ELb1ES3_N6thrust23THRUST_200600_302600_NS6detail15normal_iteratorINS9_10device_ptrIsEEEESE_SE_iNS9_4plusIvEENS9_8equal_toIvEEiEE10hipError_tPvRmT2_T3_T4_T5_mT6_T7_P12ihipStream_tbENKUlT_T0_E_clISt17integral_constantIbLb0EESZ_EEDaSU_SV_EUlSU_E_NS1_11comp_targetILNS1_3genE2ELNS1_11target_archE906ELNS1_3gpuE6ELNS1_3repE0EEENS1_30default_config_static_selectorELNS0_4arch9wavefront6targetE0EEEvT1_.has_recursion, 0
	.set _ZN7rocprim17ROCPRIM_400000_NS6detail17trampoline_kernelINS0_14default_configENS1_27scan_by_key_config_selectorIsiEEZZNS1_16scan_by_key_implILNS1_25lookback_scan_determinismE0ELb1ES3_N6thrust23THRUST_200600_302600_NS6detail15normal_iteratorINS9_10device_ptrIsEEEESE_SE_iNS9_4plusIvEENS9_8equal_toIvEEiEE10hipError_tPvRmT2_T3_T4_T5_mT6_T7_P12ihipStream_tbENKUlT_T0_E_clISt17integral_constantIbLb0EESZ_EEDaSU_SV_EUlSU_E_NS1_11comp_targetILNS1_3genE2ELNS1_11target_archE906ELNS1_3gpuE6ELNS1_3repE0EEENS1_30default_config_static_selectorELNS0_4arch9wavefront6targetE0EEEvT1_.has_indirect_call, 0
	.section	.AMDGPU.csdata,"",@progbits
; Kernel info:
; codeLenInByte = 0
; TotalNumSgprs: 0
; NumVgprs: 0
; ScratchSize: 0
; MemoryBound: 0
; FloatMode: 240
; IeeeMode: 1
; LDSByteSize: 0 bytes/workgroup (compile time only)
; SGPRBlocks: 0
; VGPRBlocks: 0
; NumSGPRsForWavesPerEU: 1
; NumVGPRsForWavesPerEU: 1
; Occupancy: 16
; WaveLimiterHint : 0
; COMPUTE_PGM_RSRC2:SCRATCH_EN: 0
; COMPUTE_PGM_RSRC2:USER_SGPR: 6
; COMPUTE_PGM_RSRC2:TRAP_HANDLER: 0
; COMPUTE_PGM_RSRC2:TGID_X_EN: 1
; COMPUTE_PGM_RSRC2:TGID_Y_EN: 0
; COMPUTE_PGM_RSRC2:TGID_Z_EN: 0
; COMPUTE_PGM_RSRC2:TIDIG_COMP_CNT: 0
	.section	.text._ZN7rocprim17ROCPRIM_400000_NS6detail17trampoline_kernelINS0_14default_configENS1_27scan_by_key_config_selectorIsiEEZZNS1_16scan_by_key_implILNS1_25lookback_scan_determinismE0ELb1ES3_N6thrust23THRUST_200600_302600_NS6detail15normal_iteratorINS9_10device_ptrIsEEEESE_SE_iNS9_4plusIvEENS9_8equal_toIvEEiEE10hipError_tPvRmT2_T3_T4_T5_mT6_T7_P12ihipStream_tbENKUlT_T0_E_clISt17integral_constantIbLb0EESZ_EEDaSU_SV_EUlSU_E_NS1_11comp_targetILNS1_3genE10ELNS1_11target_archE1200ELNS1_3gpuE4ELNS1_3repE0EEENS1_30default_config_static_selectorELNS0_4arch9wavefront6targetE0EEEvT1_,"axG",@progbits,_ZN7rocprim17ROCPRIM_400000_NS6detail17trampoline_kernelINS0_14default_configENS1_27scan_by_key_config_selectorIsiEEZZNS1_16scan_by_key_implILNS1_25lookback_scan_determinismE0ELb1ES3_N6thrust23THRUST_200600_302600_NS6detail15normal_iteratorINS9_10device_ptrIsEEEESE_SE_iNS9_4plusIvEENS9_8equal_toIvEEiEE10hipError_tPvRmT2_T3_T4_T5_mT6_T7_P12ihipStream_tbENKUlT_T0_E_clISt17integral_constantIbLb0EESZ_EEDaSU_SV_EUlSU_E_NS1_11comp_targetILNS1_3genE10ELNS1_11target_archE1200ELNS1_3gpuE4ELNS1_3repE0EEENS1_30default_config_static_selectorELNS0_4arch9wavefront6targetE0EEEvT1_,comdat
	.protected	_ZN7rocprim17ROCPRIM_400000_NS6detail17trampoline_kernelINS0_14default_configENS1_27scan_by_key_config_selectorIsiEEZZNS1_16scan_by_key_implILNS1_25lookback_scan_determinismE0ELb1ES3_N6thrust23THRUST_200600_302600_NS6detail15normal_iteratorINS9_10device_ptrIsEEEESE_SE_iNS9_4plusIvEENS9_8equal_toIvEEiEE10hipError_tPvRmT2_T3_T4_T5_mT6_T7_P12ihipStream_tbENKUlT_T0_E_clISt17integral_constantIbLb0EESZ_EEDaSU_SV_EUlSU_E_NS1_11comp_targetILNS1_3genE10ELNS1_11target_archE1200ELNS1_3gpuE4ELNS1_3repE0EEENS1_30default_config_static_selectorELNS0_4arch9wavefront6targetE0EEEvT1_ ; -- Begin function _ZN7rocprim17ROCPRIM_400000_NS6detail17trampoline_kernelINS0_14default_configENS1_27scan_by_key_config_selectorIsiEEZZNS1_16scan_by_key_implILNS1_25lookback_scan_determinismE0ELb1ES3_N6thrust23THRUST_200600_302600_NS6detail15normal_iteratorINS9_10device_ptrIsEEEESE_SE_iNS9_4plusIvEENS9_8equal_toIvEEiEE10hipError_tPvRmT2_T3_T4_T5_mT6_T7_P12ihipStream_tbENKUlT_T0_E_clISt17integral_constantIbLb0EESZ_EEDaSU_SV_EUlSU_E_NS1_11comp_targetILNS1_3genE10ELNS1_11target_archE1200ELNS1_3gpuE4ELNS1_3repE0EEENS1_30default_config_static_selectorELNS0_4arch9wavefront6targetE0EEEvT1_
	.globl	_ZN7rocprim17ROCPRIM_400000_NS6detail17trampoline_kernelINS0_14default_configENS1_27scan_by_key_config_selectorIsiEEZZNS1_16scan_by_key_implILNS1_25lookback_scan_determinismE0ELb1ES3_N6thrust23THRUST_200600_302600_NS6detail15normal_iteratorINS9_10device_ptrIsEEEESE_SE_iNS9_4plusIvEENS9_8equal_toIvEEiEE10hipError_tPvRmT2_T3_T4_T5_mT6_T7_P12ihipStream_tbENKUlT_T0_E_clISt17integral_constantIbLb0EESZ_EEDaSU_SV_EUlSU_E_NS1_11comp_targetILNS1_3genE10ELNS1_11target_archE1200ELNS1_3gpuE4ELNS1_3repE0EEENS1_30default_config_static_selectorELNS0_4arch9wavefront6targetE0EEEvT1_
	.p2align	8
	.type	_ZN7rocprim17ROCPRIM_400000_NS6detail17trampoline_kernelINS0_14default_configENS1_27scan_by_key_config_selectorIsiEEZZNS1_16scan_by_key_implILNS1_25lookback_scan_determinismE0ELb1ES3_N6thrust23THRUST_200600_302600_NS6detail15normal_iteratorINS9_10device_ptrIsEEEESE_SE_iNS9_4plusIvEENS9_8equal_toIvEEiEE10hipError_tPvRmT2_T3_T4_T5_mT6_T7_P12ihipStream_tbENKUlT_T0_E_clISt17integral_constantIbLb0EESZ_EEDaSU_SV_EUlSU_E_NS1_11comp_targetILNS1_3genE10ELNS1_11target_archE1200ELNS1_3gpuE4ELNS1_3repE0EEENS1_30default_config_static_selectorELNS0_4arch9wavefront6targetE0EEEvT1_,@function
_ZN7rocprim17ROCPRIM_400000_NS6detail17trampoline_kernelINS0_14default_configENS1_27scan_by_key_config_selectorIsiEEZZNS1_16scan_by_key_implILNS1_25lookback_scan_determinismE0ELb1ES3_N6thrust23THRUST_200600_302600_NS6detail15normal_iteratorINS9_10device_ptrIsEEEESE_SE_iNS9_4plusIvEENS9_8equal_toIvEEiEE10hipError_tPvRmT2_T3_T4_T5_mT6_T7_P12ihipStream_tbENKUlT_T0_E_clISt17integral_constantIbLb0EESZ_EEDaSU_SV_EUlSU_E_NS1_11comp_targetILNS1_3genE10ELNS1_11target_archE1200ELNS1_3gpuE4ELNS1_3repE0EEENS1_30default_config_static_selectorELNS0_4arch9wavefront6targetE0EEEvT1_: ; @_ZN7rocprim17ROCPRIM_400000_NS6detail17trampoline_kernelINS0_14default_configENS1_27scan_by_key_config_selectorIsiEEZZNS1_16scan_by_key_implILNS1_25lookback_scan_determinismE0ELb1ES3_N6thrust23THRUST_200600_302600_NS6detail15normal_iteratorINS9_10device_ptrIsEEEESE_SE_iNS9_4plusIvEENS9_8equal_toIvEEiEE10hipError_tPvRmT2_T3_T4_T5_mT6_T7_P12ihipStream_tbENKUlT_T0_E_clISt17integral_constantIbLb0EESZ_EEDaSU_SV_EUlSU_E_NS1_11comp_targetILNS1_3genE10ELNS1_11target_archE1200ELNS1_3gpuE4ELNS1_3repE0EEENS1_30default_config_static_selectorELNS0_4arch9wavefront6targetE0EEEvT1_
; %bb.0:
	.section	.rodata,"a",@progbits
	.p2align	6, 0x0
	.amdhsa_kernel _ZN7rocprim17ROCPRIM_400000_NS6detail17trampoline_kernelINS0_14default_configENS1_27scan_by_key_config_selectorIsiEEZZNS1_16scan_by_key_implILNS1_25lookback_scan_determinismE0ELb1ES3_N6thrust23THRUST_200600_302600_NS6detail15normal_iteratorINS9_10device_ptrIsEEEESE_SE_iNS9_4plusIvEENS9_8equal_toIvEEiEE10hipError_tPvRmT2_T3_T4_T5_mT6_T7_P12ihipStream_tbENKUlT_T0_E_clISt17integral_constantIbLb0EESZ_EEDaSU_SV_EUlSU_E_NS1_11comp_targetILNS1_3genE10ELNS1_11target_archE1200ELNS1_3gpuE4ELNS1_3repE0EEENS1_30default_config_static_selectorELNS0_4arch9wavefront6targetE0EEEvT1_
		.amdhsa_group_segment_fixed_size 0
		.amdhsa_private_segment_fixed_size 0
		.amdhsa_kernarg_size 112
		.amdhsa_user_sgpr_count 6
		.amdhsa_user_sgpr_private_segment_buffer 1
		.amdhsa_user_sgpr_dispatch_ptr 0
		.amdhsa_user_sgpr_queue_ptr 0
		.amdhsa_user_sgpr_kernarg_segment_ptr 1
		.amdhsa_user_sgpr_dispatch_id 0
		.amdhsa_user_sgpr_flat_scratch_init 0
		.amdhsa_user_sgpr_private_segment_size 0
		.amdhsa_wavefront_size32 1
		.amdhsa_uses_dynamic_stack 0
		.amdhsa_system_sgpr_private_segment_wavefront_offset 0
		.amdhsa_system_sgpr_workgroup_id_x 1
		.amdhsa_system_sgpr_workgroup_id_y 0
		.amdhsa_system_sgpr_workgroup_id_z 0
		.amdhsa_system_sgpr_workgroup_info 0
		.amdhsa_system_vgpr_workitem_id 0
		.amdhsa_next_free_vgpr 1
		.amdhsa_next_free_sgpr 1
		.amdhsa_reserve_vcc 0
		.amdhsa_reserve_flat_scratch 0
		.amdhsa_float_round_mode_32 0
		.amdhsa_float_round_mode_16_64 0
		.amdhsa_float_denorm_mode_32 3
		.amdhsa_float_denorm_mode_16_64 3
		.amdhsa_dx10_clamp 1
		.amdhsa_ieee_mode 1
		.amdhsa_fp16_overflow 0
		.amdhsa_workgroup_processor_mode 1
		.amdhsa_memory_ordered 1
		.amdhsa_forward_progress 1
		.amdhsa_shared_vgpr_count 0
		.amdhsa_exception_fp_ieee_invalid_op 0
		.amdhsa_exception_fp_denorm_src 0
		.amdhsa_exception_fp_ieee_div_zero 0
		.amdhsa_exception_fp_ieee_overflow 0
		.amdhsa_exception_fp_ieee_underflow 0
		.amdhsa_exception_fp_ieee_inexact 0
		.amdhsa_exception_int_div_zero 0
	.end_amdhsa_kernel
	.section	.text._ZN7rocprim17ROCPRIM_400000_NS6detail17trampoline_kernelINS0_14default_configENS1_27scan_by_key_config_selectorIsiEEZZNS1_16scan_by_key_implILNS1_25lookback_scan_determinismE0ELb1ES3_N6thrust23THRUST_200600_302600_NS6detail15normal_iteratorINS9_10device_ptrIsEEEESE_SE_iNS9_4plusIvEENS9_8equal_toIvEEiEE10hipError_tPvRmT2_T3_T4_T5_mT6_T7_P12ihipStream_tbENKUlT_T0_E_clISt17integral_constantIbLb0EESZ_EEDaSU_SV_EUlSU_E_NS1_11comp_targetILNS1_3genE10ELNS1_11target_archE1200ELNS1_3gpuE4ELNS1_3repE0EEENS1_30default_config_static_selectorELNS0_4arch9wavefront6targetE0EEEvT1_,"axG",@progbits,_ZN7rocprim17ROCPRIM_400000_NS6detail17trampoline_kernelINS0_14default_configENS1_27scan_by_key_config_selectorIsiEEZZNS1_16scan_by_key_implILNS1_25lookback_scan_determinismE0ELb1ES3_N6thrust23THRUST_200600_302600_NS6detail15normal_iteratorINS9_10device_ptrIsEEEESE_SE_iNS9_4plusIvEENS9_8equal_toIvEEiEE10hipError_tPvRmT2_T3_T4_T5_mT6_T7_P12ihipStream_tbENKUlT_T0_E_clISt17integral_constantIbLb0EESZ_EEDaSU_SV_EUlSU_E_NS1_11comp_targetILNS1_3genE10ELNS1_11target_archE1200ELNS1_3gpuE4ELNS1_3repE0EEENS1_30default_config_static_selectorELNS0_4arch9wavefront6targetE0EEEvT1_,comdat
.Lfunc_end1048:
	.size	_ZN7rocprim17ROCPRIM_400000_NS6detail17trampoline_kernelINS0_14default_configENS1_27scan_by_key_config_selectorIsiEEZZNS1_16scan_by_key_implILNS1_25lookback_scan_determinismE0ELb1ES3_N6thrust23THRUST_200600_302600_NS6detail15normal_iteratorINS9_10device_ptrIsEEEESE_SE_iNS9_4plusIvEENS9_8equal_toIvEEiEE10hipError_tPvRmT2_T3_T4_T5_mT6_T7_P12ihipStream_tbENKUlT_T0_E_clISt17integral_constantIbLb0EESZ_EEDaSU_SV_EUlSU_E_NS1_11comp_targetILNS1_3genE10ELNS1_11target_archE1200ELNS1_3gpuE4ELNS1_3repE0EEENS1_30default_config_static_selectorELNS0_4arch9wavefront6targetE0EEEvT1_, .Lfunc_end1048-_ZN7rocprim17ROCPRIM_400000_NS6detail17trampoline_kernelINS0_14default_configENS1_27scan_by_key_config_selectorIsiEEZZNS1_16scan_by_key_implILNS1_25lookback_scan_determinismE0ELb1ES3_N6thrust23THRUST_200600_302600_NS6detail15normal_iteratorINS9_10device_ptrIsEEEESE_SE_iNS9_4plusIvEENS9_8equal_toIvEEiEE10hipError_tPvRmT2_T3_T4_T5_mT6_T7_P12ihipStream_tbENKUlT_T0_E_clISt17integral_constantIbLb0EESZ_EEDaSU_SV_EUlSU_E_NS1_11comp_targetILNS1_3genE10ELNS1_11target_archE1200ELNS1_3gpuE4ELNS1_3repE0EEENS1_30default_config_static_selectorELNS0_4arch9wavefront6targetE0EEEvT1_
                                        ; -- End function
	.set _ZN7rocprim17ROCPRIM_400000_NS6detail17trampoline_kernelINS0_14default_configENS1_27scan_by_key_config_selectorIsiEEZZNS1_16scan_by_key_implILNS1_25lookback_scan_determinismE0ELb1ES3_N6thrust23THRUST_200600_302600_NS6detail15normal_iteratorINS9_10device_ptrIsEEEESE_SE_iNS9_4plusIvEENS9_8equal_toIvEEiEE10hipError_tPvRmT2_T3_T4_T5_mT6_T7_P12ihipStream_tbENKUlT_T0_E_clISt17integral_constantIbLb0EESZ_EEDaSU_SV_EUlSU_E_NS1_11comp_targetILNS1_3genE10ELNS1_11target_archE1200ELNS1_3gpuE4ELNS1_3repE0EEENS1_30default_config_static_selectorELNS0_4arch9wavefront6targetE0EEEvT1_.num_vgpr, 0
	.set _ZN7rocprim17ROCPRIM_400000_NS6detail17trampoline_kernelINS0_14default_configENS1_27scan_by_key_config_selectorIsiEEZZNS1_16scan_by_key_implILNS1_25lookback_scan_determinismE0ELb1ES3_N6thrust23THRUST_200600_302600_NS6detail15normal_iteratorINS9_10device_ptrIsEEEESE_SE_iNS9_4plusIvEENS9_8equal_toIvEEiEE10hipError_tPvRmT2_T3_T4_T5_mT6_T7_P12ihipStream_tbENKUlT_T0_E_clISt17integral_constantIbLb0EESZ_EEDaSU_SV_EUlSU_E_NS1_11comp_targetILNS1_3genE10ELNS1_11target_archE1200ELNS1_3gpuE4ELNS1_3repE0EEENS1_30default_config_static_selectorELNS0_4arch9wavefront6targetE0EEEvT1_.num_agpr, 0
	.set _ZN7rocprim17ROCPRIM_400000_NS6detail17trampoline_kernelINS0_14default_configENS1_27scan_by_key_config_selectorIsiEEZZNS1_16scan_by_key_implILNS1_25lookback_scan_determinismE0ELb1ES3_N6thrust23THRUST_200600_302600_NS6detail15normal_iteratorINS9_10device_ptrIsEEEESE_SE_iNS9_4plusIvEENS9_8equal_toIvEEiEE10hipError_tPvRmT2_T3_T4_T5_mT6_T7_P12ihipStream_tbENKUlT_T0_E_clISt17integral_constantIbLb0EESZ_EEDaSU_SV_EUlSU_E_NS1_11comp_targetILNS1_3genE10ELNS1_11target_archE1200ELNS1_3gpuE4ELNS1_3repE0EEENS1_30default_config_static_selectorELNS0_4arch9wavefront6targetE0EEEvT1_.numbered_sgpr, 0
	.set _ZN7rocprim17ROCPRIM_400000_NS6detail17trampoline_kernelINS0_14default_configENS1_27scan_by_key_config_selectorIsiEEZZNS1_16scan_by_key_implILNS1_25lookback_scan_determinismE0ELb1ES3_N6thrust23THRUST_200600_302600_NS6detail15normal_iteratorINS9_10device_ptrIsEEEESE_SE_iNS9_4plusIvEENS9_8equal_toIvEEiEE10hipError_tPvRmT2_T3_T4_T5_mT6_T7_P12ihipStream_tbENKUlT_T0_E_clISt17integral_constantIbLb0EESZ_EEDaSU_SV_EUlSU_E_NS1_11comp_targetILNS1_3genE10ELNS1_11target_archE1200ELNS1_3gpuE4ELNS1_3repE0EEENS1_30default_config_static_selectorELNS0_4arch9wavefront6targetE0EEEvT1_.num_named_barrier, 0
	.set _ZN7rocprim17ROCPRIM_400000_NS6detail17trampoline_kernelINS0_14default_configENS1_27scan_by_key_config_selectorIsiEEZZNS1_16scan_by_key_implILNS1_25lookback_scan_determinismE0ELb1ES3_N6thrust23THRUST_200600_302600_NS6detail15normal_iteratorINS9_10device_ptrIsEEEESE_SE_iNS9_4plusIvEENS9_8equal_toIvEEiEE10hipError_tPvRmT2_T3_T4_T5_mT6_T7_P12ihipStream_tbENKUlT_T0_E_clISt17integral_constantIbLb0EESZ_EEDaSU_SV_EUlSU_E_NS1_11comp_targetILNS1_3genE10ELNS1_11target_archE1200ELNS1_3gpuE4ELNS1_3repE0EEENS1_30default_config_static_selectorELNS0_4arch9wavefront6targetE0EEEvT1_.private_seg_size, 0
	.set _ZN7rocprim17ROCPRIM_400000_NS6detail17trampoline_kernelINS0_14default_configENS1_27scan_by_key_config_selectorIsiEEZZNS1_16scan_by_key_implILNS1_25lookback_scan_determinismE0ELb1ES3_N6thrust23THRUST_200600_302600_NS6detail15normal_iteratorINS9_10device_ptrIsEEEESE_SE_iNS9_4plusIvEENS9_8equal_toIvEEiEE10hipError_tPvRmT2_T3_T4_T5_mT6_T7_P12ihipStream_tbENKUlT_T0_E_clISt17integral_constantIbLb0EESZ_EEDaSU_SV_EUlSU_E_NS1_11comp_targetILNS1_3genE10ELNS1_11target_archE1200ELNS1_3gpuE4ELNS1_3repE0EEENS1_30default_config_static_selectorELNS0_4arch9wavefront6targetE0EEEvT1_.uses_vcc, 0
	.set _ZN7rocprim17ROCPRIM_400000_NS6detail17trampoline_kernelINS0_14default_configENS1_27scan_by_key_config_selectorIsiEEZZNS1_16scan_by_key_implILNS1_25lookback_scan_determinismE0ELb1ES3_N6thrust23THRUST_200600_302600_NS6detail15normal_iteratorINS9_10device_ptrIsEEEESE_SE_iNS9_4plusIvEENS9_8equal_toIvEEiEE10hipError_tPvRmT2_T3_T4_T5_mT6_T7_P12ihipStream_tbENKUlT_T0_E_clISt17integral_constantIbLb0EESZ_EEDaSU_SV_EUlSU_E_NS1_11comp_targetILNS1_3genE10ELNS1_11target_archE1200ELNS1_3gpuE4ELNS1_3repE0EEENS1_30default_config_static_selectorELNS0_4arch9wavefront6targetE0EEEvT1_.uses_flat_scratch, 0
	.set _ZN7rocprim17ROCPRIM_400000_NS6detail17trampoline_kernelINS0_14default_configENS1_27scan_by_key_config_selectorIsiEEZZNS1_16scan_by_key_implILNS1_25lookback_scan_determinismE0ELb1ES3_N6thrust23THRUST_200600_302600_NS6detail15normal_iteratorINS9_10device_ptrIsEEEESE_SE_iNS9_4plusIvEENS9_8equal_toIvEEiEE10hipError_tPvRmT2_T3_T4_T5_mT6_T7_P12ihipStream_tbENKUlT_T0_E_clISt17integral_constantIbLb0EESZ_EEDaSU_SV_EUlSU_E_NS1_11comp_targetILNS1_3genE10ELNS1_11target_archE1200ELNS1_3gpuE4ELNS1_3repE0EEENS1_30default_config_static_selectorELNS0_4arch9wavefront6targetE0EEEvT1_.has_dyn_sized_stack, 0
	.set _ZN7rocprim17ROCPRIM_400000_NS6detail17trampoline_kernelINS0_14default_configENS1_27scan_by_key_config_selectorIsiEEZZNS1_16scan_by_key_implILNS1_25lookback_scan_determinismE0ELb1ES3_N6thrust23THRUST_200600_302600_NS6detail15normal_iteratorINS9_10device_ptrIsEEEESE_SE_iNS9_4plusIvEENS9_8equal_toIvEEiEE10hipError_tPvRmT2_T3_T4_T5_mT6_T7_P12ihipStream_tbENKUlT_T0_E_clISt17integral_constantIbLb0EESZ_EEDaSU_SV_EUlSU_E_NS1_11comp_targetILNS1_3genE10ELNS1_11target_archE1200ELNS1_3gpuE4ELNS1_3repE0EEENS1_30default_config_static_selectorELNS0_4arch9wavefront6targetE0EEEvT1_.has_recursion, 0
	.set _ZN7rocprim17ROCPRIM_400000_NS6detail17trampoline_kernelINS0_14default_configENS1_27scan_by_key_config_selectorIsiEEZZNS1_16scan_by_key_implILNS1_25lookback_scan_determinismE0ELb1ES3_N6thrust23THRUST_200600_302600_NS6detail15normal_iteratorINS9_10device_ptrIsEEEESE_SE_iNS9_4plusIvEENS9_8equal_toIvEEiEE10hipError_tPvRmT2_T3_T4_T5_mT6_T7_P12ihipStream_tbENKUlT_T0_E_clISt17integral_constantIbLb0EESZ_EEDaSU_SV_EUlSU_E_NS1_11comp_targetILNS1_3genE10ELNS1_11target_archE1200ELNS1_3gpuE4ELNS1_3repE0EEENS1_30default_config_static_selectorELNS0_4arch9wavefront6targetE0EEEvT1_.has_indirect_call, 0
	.section	.AMDGPU.csdata,"",@progbits
; Kernel info:
; codeLenInByte = 0
; TotalNumSgprs: 0
; NumVgprs: 0
; ScratchSize: 0
; MemoryBound: 0
; FloatMode: 240
; IeeeMode: 1
; LDSByteSize: 0 bytes/workgroup (compile time only)
; SGPRBlocks: 0
; VGPRBlocks: 0
; NumSGPRsForWavesPerEU: 1
; NumVGPRsForWavesPerEU: 1
; Occupancy: 16
; WaveLimiterHint : 0
; COMPUTE_PGM_RSRC2:SCRATCH_EN: 0
; COMPUTE_PGM_RSRC2:USER_SGPR: 6
; COMPUTE_PGM_RSRC2:TRAP_HANDLER: 0
; COMPUTE_PGM_RSRC2:TGID_X_EN: 1
; COMPUTE_PGM_RSRC2:TGID_Y_EN: 0
; COMPUTE_PGM_RSRC2:TGID_Z_EN: 0
; COMPUTE_PGM_RSRC2:TIDIG_COMP_CNT: 0
	.section	.text._ZN7rocprim17ROCPRIM_400000_NS6detail17trampoline_kernelINS0_14default_configENS1_27scan_by_key_config_selectorIsiEEZZNS1_16scan_by_key_implILNS1_25lookback_scan_determinismE0ELb1ES3_N6thrust23THRUST_200600_302600_NS6detail15normal_iteratorINS9_10device_ptrIsEEEESE_SE_iNS9_4plusIvEENS9_8equal_toIvEEiEE10hipError_tPvRmT2_T3_T4_T5_mT6_T7_P12ihipStream_tbENKUlT_T0_E_clISt17integral_constantIbLb0EESZ_EEDaSU_SV_EUlSU_E_NS1_11comp_targetILNS1_3genE9ELNS1_11target_archE1100ELNS1_3gpuE3ELNS1_3repE0EEENS1_30default_config_static_selectorELNS0_4arch9wavefront6targetE0EEEvT1_,"axG",@progbits,_ZN7rocprim17ROCPRIM_400000_NS6detail17trampoline_kernelINS0_14default_configENS1_27scan_by_key_config_selectorIsiEEZZNS1_16scan_by_key_implILNS1_25lookback_scan_determinismE0ELb1ES3_N6thrust23THRUST_200600_302600_NS6detail15normal_iteratorINS9_10device_ptrIsEEEESE_SE_iNS9_4plusIvEENS9_8equal_toIvEEiEE10hipError_tPvRmT2_T3_T4_T5_mT6_T7_P12ihipStream_tbENKUlT_T0_E_clISt17integral_constantIbLb0EESZ_EEDaSU_SV_EUlSU_E_NS1_11comp_targetILNS1_3genE9ELNS1_11target_archE1100ELNS1_3gpuE3ELNS1_3repE0EEENS1_30default_config_static_selectorELNS0_4arch9wavefront6targetE0EEEvT1_,comdat
	.protected	_ZN7rocprim17ROCPRIM_400000_NS6detail17trampoline_kernelINS0_14default_configENS1_27scan_by_key_config_selectorIsiEEZZNS1_16scan_by_key_implILNS1_25lookback_scan_determinismE0ELb1ES3_N6thrust23THRUST_200600_302600_NS6detail15normal_iteratorINS9_10device_ptrIsEEEESE_SE_iNS9_4plusIvEENS9_8equal_toIvEEiEE10hipError_tPvRmT2_T3_T4_T5_mT6_T7_P12ihipStream_tbENKUlT_T0_E_clISt17integral_constantIbLb0EESZ_EEDaSU_SV_EUlSU_E_NS1_11comp_targetILNS1_3genE9ELNS1_11target_archE1100ELNS1_3gpuE3ELNS1_3repE0EEENS1_30default_config_static_selectorELNS0_4arch9wavefront6targetE0EEEvT1_ ; -- Begin function _ZN7rocprim17ROCPRIM_400000_NS6detail17trampoline_kernelINS0_14default_configENS1_27scan_by_key_config_selectorIsiEEZZNS1_16scan_by_key_implILNS1_25lookback_scan_determinismE0ELb1ES3_N6thrust23THRUST_200600_302600_NS6detail15normal_iteratorINS9_10device_ptrIsEEEESE_SE_iNS9_4plusIvEENS9_8equal_toIvEEiEE10hipError_tPvRmT2_T3_T4_T5_mT6_T7_P12ihipStream_tbENKUlT_T0_E_clISt17integral_constantIbLb0EESZ_EEDaSU_SV_EUlSU_E_NS1_11comp_targetILNS1_3genE9ELNS1_11target_archE1100ELNS1_3gpuE3ELNS1_3repE0EEENS1_30default_config_static_selectorELNS0_4arch9wavefront6targetE0EEEvT1_
	.globl	_ZN7rocprim17ROCPRIM_400000_NS6detail17trampoline_kernelINS0_14default_configENS1_27scan_by_key_config_selectorIsiEEZZNS1_16scan_by_key_implILNS1_25lookback_scan_determinismE0ELb1ES3_N6thrust23THRUST_200600_302600_NS6detail15normal_iteratorINS9_10device_ptrIsEEEESE_SE_iNS9_4plusIvEENS9_8equal_toIvEEiEE10hipError_tPvRmT2_T3_T4_T5_mT6_T7_P12ihipStream_tbENKUlT_T0_E_clISt17integral_constantIbLb0EESZ_EEDaSU_SV_EUlSU_E_NS1_11comp_targetILNS1_3genE9ELNS1_11target_archE1100ELNS1_3gpuE3ELNS1_3repE0EEENS1_30default_config_static_selectorELNS0_4arch9wavefront6targetE0EEEvT1_
	.p2align	8
	.type	_ZN7rocprim17ROCPRIM_400000_NS6detail17trampoline_kernelINS0_14default_configENS1_27scan_by_key_config_selectorIsiEEZZNS1_16scan_by_key_implILNS1_25lookback_scan_determinismE0ELb1ES3_N6thrust23THRUST_200600_302600_NS6detail15normal_iteratorINS9_10device_ptrIsEEEESE_SE_iNS9_4plusIvEENS9_8equal_toIvEEiEE10hipError_tPvRmT2_T3_T4_T5_mT6_T7_P12ihipStream_tbENKUlT_T0_E_clISt17integral_constantIbLb0EESZ_EEDaSU_SV_EUlSU_E_NS1_11comp_targetILNS1_3genE9ELNS1_11target_archE1100ELNS1_3gpuE3ELNS1_3repE0EEENS1_30default_config_static_selectorELNS0_4arch9wavefront6targetE0EEEvT1_,@function
_ZN7rocprim17ROCPRIM_400000_NS6detail17trampoline_kernelINS0_14default_configENS1_27scan_by_key_config_selectorIsiEEZZNS1_16scan_by_key_implILNS1_25lookback_scan_determinismE0ELb1ES3_N6thrust23THRUST_200600_302600_NS6detail15normal_iteratorINS9_10device_ptrIsEEEESE_SE_iNS9_4plusIvEENS9_8equal_toIvEEiEE10hipError_tPvRmT2_T3_T4_T5_mT6_T7_P12ihipStream_tbENKUlT_T0_E_clISt17integral_constantIbLb0EESZ_EEDaSU_SV_EUlSU_E_NS1_11comp_targetILNS1_3genE9ELNS1_11target_archE1100ELNS1_3gpuE3ELNS1_3repE0EEENS1_30default_config_static_selectorELNS0_4arch9wavefront6targetE0EEEvT1_: ; @_ZN7rocprim17ROCPRIM_400000_NS6detail17trampoline_kernelINS0_14default_configENS1_27scan_by_key_config_selectorIsiEEZZNS1_16scan_by_key_implILNS1_25lookback_scan_determinismE0ELb1ES3_N6thrust23THRUST_200600_302600_NS6detail15normal_iteratorINS9_10device_ptrIsEEEESE_SE_iNS9_4plusIvEENS9_8equal_toIvEEiEE10hipError_tPvRmT2_T3_T4_T5_mT6_T7_P12ihipStream_tbENKUlT_T0_E_clISt17integral_constantIbLb0EESZ_EEDaSU_SV_EUlSU_E_NS1_11comp_targetILNS1_3genE9ELNS1_11target_archE1100ELNS1_3gpuE3ELNS1_3repE0EEENS1_30default_config_static_selectorELNS0_4arch9wavefront6targetE0EEEvT1_
; %bb.0:
	.section	.rodata,"a",@progbits
	.p2align	6, 0x0
	.amdhsa_kernel _ZN7rocprim17ROCPRIM_400000_NS6detail17trampoline_kernelINS0_14default_configENS1_27scan_by_key_config_selectorIsiEEZZNS1_16scan_by_key_implILNS1_25lookback_scan_determinismE0ELb1ES3_N6thrust23THRUST_200600_302600_NS6detail15normal_iteratorINS9_10device_ptrIsEEEESE_SE_iNS9_4plusIvEENS9_8equal_toIvEEiEE10hipError_tPvRmT2_T3_T4_T5_mT6_T7_P12ihipStream_tbENKUlT_T0_E_clISt17integral_constantIbLb0EESZ_EEDaSU_SV_EUlSU_E_NS1_11comp_targetILNS1_3genE9ELNS1_11target_archE1100ELNS1_3gpuE3ELNS1_3repE0EEENS1_30default_config_static_selectorELNS0_4arch9wavefront6targetE0EEEvT1_
		.amdhsa_group_segment_fixed_size 0
		.amdhsa_private_segment_fixed_size 0
		.amdhsa_kernarg_size 112
		.amdhsa_user_sgpr_count 6
		.amdhsa_user_sgpr_private_segment_buffer 1
		.amdhsa_user_sgpr_dispatch_ptr 0
		.amdhsa_user_sgpr_queue_ptr 0
		.amdhsa_user_sgpr_kernarg_segment_ptr 1
		.amdhsa_user_sgpr_dispatch_id 0
		.amdhsa_user_sgpr_flat_scratch_init 0
		.amdhsa_user_sgpr_private_segment_size 0
		.amdhsa_wavefront_size32 1
		.amdhsa_uses_dynamic_stack 0
		.amdhsa_system_sgpr_private_segment_wavefront_offset 0
		.amdhsa_system_sgpr_workgroup_id_x 1
		.amdhsa_system_sgpr_workgroup_id_y 0
		.amdhsa_system_sgpr_workgroup_id_z 0
		.amdhsa_system_sgpr_workgroup_info 0
		.amdhsa_system_vgpr_workitem_id 0
		.amdhsa_next_free_vgpr 1
		.amdhsa_next_free_sgpr 1
		.amdhsa_reserve_vcc 0
		.amdhsa_reserve_flat_scratch 0
		.amdhsa_float_round_mode_32 0
		.amdhsa_float_round_mode_16_64 0
		.amdhsa_float_denorm_mode_32 3
		.amdhsa_float_denorm_mode_16_64 3
		.amdhsa_dx10_clamp 1
		.amdhsa_ieee_mode 1
		.amdhsa_fp16_overflow 0
		.amdhsa_workgroup_processor_mode 1
		.amdhsa_memory_ordered 1
		.amdhsa_forward_progress 1
		.amdhsa_shared_vgpr_count 0
		.amdhsa_exception_fp_ieee_invalid_op 0
		.amdhsa_exception_fp_denorm_src 0
		.amdhsa_exception_fp_ieee_div_zero 0
		.amdhsa_exception_fp_ieee_overflow 0
		.amdhsa_exception_fp_ieee_underflow 0
		.amdhsa_exception_fp_ieee_inexact 0
		.amdhsa_exception_int_div_zero 0
	.end_amdhsa_kernel
	.section	.text._ZN7rocprim17ROCPRIM_400000_NS6detail17trampoline_kernelINS0_14default_configENS1_27scan_by_key_config_selectorIsiEEZZNS1_16scan_by_key_implILNS1_25lookback_scan_determinismE0ELb1ES3_N6thrust23THRUST_200600_302600_NS6detail15normal_iteratorINS9_10device_ptrIsEEEESE_SE_iNS9_4plusIvEENS9_8equal_toIvEEiEE10hipError_tPvRmT2_T3_T4_T5_mT6_T7_P12ihipStream_tbENKUlT_T0_E_clISt17integral_constantIbLb0EESZ_EEDaSU_SV_EUlSU_E_NS1_11comp_targetILNS1_3genE9ELNS1_11target_archE1100ELNS1_3gpuE3ELNS1_3repE0EEENS1_30default_config_static_selectorELNS0_4arch9wavefront6targetE0EEEvT1_,"axG",@progbits,_ZN7rocprim17ROCPRIM_400000_NS6detail17trampoline_kernelINS0_14default_configENS1_27scan_by_key_config_selectorIsiEEZZNS1_16scan_by_key_implILNS1_25lookback_scan_determinismE0ELb1ES3_N6thrust23THRUST_200600_302600_NS6detail15normal_iteratorINS9_10device_ptrIsEEEESE_SE_iNS9_4plusIvEENS9_8equal_toIvEEiEE10hipError_tPvRmT2_T3_T4_T5_mT6_T7_P12ihipStream_tbENKUlT_T0_E_clISt17integral_constantIbLb0EESZ_EEDaSU_SV_EUlSU_E_NS1_11comp_targetILNS1_3genE9ELNS1_11target_archE1100ELNS1_3gpuE3ELNS1_3repE0EEENS1_30default_config_static_selectorELNS0_4arch9wavefront6targetE0EEEvT1_,comdat
.Lfunc_end1049:
	.size	_ZN7rocprim17ROCPRIM_400000_NS6detail17trampoline_kernelINS0_14default_configENS1_27scan_by_key_config_selectorIsiEEZZNS1_16scan_by_key_implILNS1_25lookback_scan_determinismE0ELb1ES3_N6thrust23THRUST_200600_302600_NS6detail15normal_iteratorINS9_10device_ptrIsEEEESE_SE_iNS9_4plusIvEENS9_8equal_toIvEEiEE10hipError_tPvRmT2_T3_T4_T5_mT6_T7_P12ihipStream_tbENKUlT_T0_E_clISt17integral_constantIbLb0EESZ_EEDaSU_SV_EUlSU_E_NS1_11comp_targetILNS1_3genE9ELNS1_11target_archE1100ELNS1_3gpuE3ELNS1_3repE0EEENS1_30default_config_static_selectorELNS0_4arch9wavefront6targetE0EEEvT1_, .Lfunc_end1049-_ZN7rocprim17ROCPRIM_400000_NS6detail17trampoline_kernelINS0_14default_configENS1_27scan_by_key_config_selectorIsiEEZZNS1_16scan_by_key_implILNS1_25lookback_scan_determinismE0ELb1ES3_N6thrust23THRUST_200600_302600_NS6detail15normal_iteratorINS9_10device_ptrIsEEEESE_SE_iNS9_4plusIvEENS9_8equal_toIvEEiEE10hipError_tPvRmT2_T3_T4_T5_mT6_T7_P12ihipStream_tbENKUlT_T0_E_clISt17integral_constantIbLb0EESZ_EEDaSU_SV_EUlSU_E_NS1_11comp_targetILNS1_3genE9ELNS1_11target_archE1100ELNS1_3gpuE3ELNS1_3repE0EEENS1_30default_config_static_selectorELNS0_4arch9wavefront6targetE0EEEvT1_
                                        ; -- End function
	.set _ZN7rocprim17ROCPRIM_400000_NS6detail17trampoline_kernelINS0_14default_configENS1_27scan_by_key_config_selectorIsiEEZZNS1_16scan_by_key_implILNS1_25lookback_scan_determinismE0ELb1ES3_N6thrust23THRUST_200600_302600_NS6detail15normal_iteratorINS9_10device_ptrIsEEEESE_SE_iNS9_4plusIvEENS9_8equal_toIvEEiEE10hipError_tPvRmT2_T3_T4_T5_mT6_T7_P12ihipStream_tbENKUlT_T0_E_clISt17integral_constantIbLb0EESZ_EEDaSU_SV_EUlSU_E_NS1_11comp_targetILNS1_3genE9ELNS1_11target_archE1100ELNS1_3gpuE3ELNS1_3repE0EEENS1_30default_config_static_selectorELNS0_4arch9wavefront6targetE0EEEvT1_.num_vgpr, 0
	.set _ZN7rocprim17ROCPRIM_400000_NS6detail17trampoline_kernelINS0_14default_configENS1_27scan_by_key_config_selectorIsiEEZZNS1_16scan_by_key_implILNS1_25lookback_scan_determinismE0ELb1ES3_N6thrust23THRUST_200600_302600_NS6detail15normal_iteratorINS9_10device_ptrIsEEEESE_SE_iNS9_4plusIvEENS9_8equal_toIvEEiEE10hipError_tPvRmT2_T3_T4_T5_mT6_T7_P12ihipStream_tbENKUlT_T0_E_clISt17integral_constantIbLb0EESZ_EEDaSU_SV_EUlSU_E_NS1_11comp_targetILNS1_3genE9ELNS1_11target_archE1100ELNS1_3gpuE3ELNS1_3repE0EEENS1_30default_config_static_selectorELNS0_4arch9wavefront6targetE0EEEvT1_.num_agpr, 0
	.set _ZN7rocprim17ROCPRIM_400000_NS6detail17trampoline_kernelINS0_14default_configENS1_27scan_by_key_config_selectorIsiEEZZNS1_16scan_by_key_implILNS1_25lookback_scan_determinismE0ELb1ES3_N6thrust23THRUST_200600_302600_NS6detail15normal_iteratorINS9_10device_ptrIsEEEESE_SE_iNS9_4plusIvEENS9_8equal_toIvEEiEE10hipError_tPvRmT2_T3_T4_T5_mT6_T7_P12ihipStream_tbENKUlT_T0_E_clISt17integral_constantIbLb0EESZ_EEDaSU_SV_EUlSU_E_NS1_11comp_targetILNS1_3genE9ELNS1_11target_archE1100ELNS1_3gpuE3ELNS1_3repE0EEENS1_30default_config_static_selectorELNS0_4arch9wavefront6targetE0EEEvT1_.numbered_sgpr, 0
	.set _ZN7rocprim17ROCPRIM_400000_NS6detail17trampoline_kernelINS0_14default_configENS1_27scan_by_key_config_selectorIsiEEZZNS1_16scan_by_key_implILNS1_25lookback_scan_determinismE0ELb1ES3_N6thrust23THRUST_200600_302600_NS6detail15normal_iteratorINS9_10device_ptrIsEEEESE_SE_iNS9_4plusIvEENS9_8equal_toIvEEiEE10hipError_tPvRmT2_T3_T4_T5_mT6_T7_P12ihipStream_tbENKUlT_T0_E_clISt17integral_constantIbLb0EESZ_EEDaSU_SV_EUlSU_E_NS1_11comp_targetILNS1_3genE9ELNS1_11target_archE1100ELNS1_3gpuE3ELNS1_3repE0EEENS1_30default_config_static_selectorELNS0_4arch9wavefront6targetE0EEEvT1_.num_named_barrier, 0
	.set _ZN7rocprim17ROCPRIM_400000_NS6detail17trampoline_kernelINS0_14default_configENS1_27scan_by_key_config_selectorIsiEEZZNS1_16scan_by_key_implILNS1_25lookback_scan_determinismE0ELb1ES3_N6thrust23THRUST_200600_302600_NS6detail15normal_iteratorINS9_10device_ptrIsEEEESE_SE_iNS9_4plusIvEENS9_8equal_toIvEEiEE10hipError_tPvRmT2_T3_T4_T5_mT6_T7_P12ihipStream_tbENKUlT_T0_E_clISt17integral_constantIbLb0EESZ_EEDaSU_SV_EUlSU_E_NS1_11comp_targetILNS1_3genE9ELNS1_11target_archE1100ELNS1_3gpuE3ELNS1_3repE0EEENS1_30default_config_static_selectorELNS0_4arch9wavefront6targetE0EEEvT1_.private_seg_size, 0
	.set _ZN7rocprim17ROCPRIM_400000_NS6detail17trampoline_kernelINS0_14default_configENS1_27scan_by_key_config_selectorIsiEEZZNS1_16scan_by_key_implILNS1_25lookback_scan_determinismE0ELb1ES3_N6thrust23THRUST_200600_302600_NS6detail15normal_iteratorINS9_10device_ptrIsEEEESE_SE_iNS9_4plusIvEENS9_8equal_toIvEEiEE10hipError_tPvRmT2_T3_T4_T5_mT6_T7_P12ihipStream_tbENKUlT_T0_E_clISt17integral_constantIbLb0EESZ_EEDaSU_SV_EUlSU_E_NS1_11comp_targetILNS1_3genE9ELNS1_11target_archE1100ELNS1_3gpuE3ELNS1_3repE0EEENS1_30default_config_static_selectorELNS0_4arch9wavefront6targetE0EEEvT1_.uses_vcc, 0
	.set _ZN7rocprim17ROCPRIM_400000_NS6detail17trampoline_kernelINS0_14default_configENS1_27scan_by_key_config_selectorIsiEEZZNS1_16scan_by_key_implILNS1_25lookback_scan_determinismE0ELb1ES3_N6thrust23THRUST_200600_302600_NS6detail15normal_iteratorINS9_10device_ptrIsEEEESE_SE_iNS9_4plusIvEENS9_8equal_toIvEEiEE10hipError_tPvRmT2_T3_T4_T5_mT6_T7_P12ihipStream_tbENKUlT_T0_E_clISt17integral_constantIbLb0EESZ_EEDaSU_SV_EUlSU_E_NS1_11comp_targetILNS1_3genE9ELNS1_11target_archE1100ELNS1_3gpuE3ELNS1_3repE0EEENS1_30default_config_static_selectorELNS0_4arch9wavefront6targetE0EEEvT1_.uses_flat_scratch, 0
	.set _ZN7rocprim17ROCPRIM_400000_NS6detail17trampoline_kernelINS0_14default_configENS1_27scan_by_key_config_selectorIsiEEZZNS1_16scan_by_key_implILNS1_25lookback_scan_determinismE0ELb1ES3_N6thrust23THRUST_200600_302600_NS6detail15normal_iteratorINS9_10device_ptrIsEEEESE_SE_iNS9_4plusIvEENS9_8equal_toIvEEiEE10hipError_tPvRmT2_T3_T4_T5_mT6_T7_P12ihipStream_tbENKUlT_T0_E_clISt17integral_constantIbLb0EESZ_EEDaSU_SV_EUlSU_E_NS1_11comp_targetILNS1_3genE9ELNS1_11target_archE1100ELNS1_3gpuE3ELNS1_3repE0EEENS1_30default_config_static_selectorELNS0_4arch9wavefront6targetE0EEEvT1_.has_dyn_sized_stack, 0
	.set _ZN7rocprim17ROCPRIM_400000_NS6detail17trampoline_kernelINS0_14default_configENS1_27scan_by_key_config_selectorIsiEEZZNS1_16scan_by_key_implILNS1_25lookback_scan_determinismE0ELb1ES3_N6thrust23THRUST_200600_302600_NS6detail15normal_iteratorINS9_10device_ptrIsEEEESE_SE_iNS9_4plusIvEENS9_8equal_toIvEEiEE10hipError_tPvRmT2_T3_T4_T5_mT6_T7_P12ihipStream_tbENKUlT_T0_E_clISt17integral_constantIbLb0EESZ_EEDaSU_SV_EUlSU_E_NS1_11comp_targetILNS1_3genE9ELNS1_11target_archE1100ELNS1_3gpuE3ELNS1_3repE0EEENS1_30default_config_static_selectorELNS0_4arch9wavefront6targetE0EEEvT1_.has_recursion, 0
	.set _ZN7rocprim17ROCPRIM_400000_NS6detail17trampoline_kernelINS0_14default_configENS1_27scan_by_key_config_selectorIsiEEZZNS1_16scan_by_key_implILNS1_25lookback_scan_determinismE0ELb1ES3_N6thrust23THRUST_200600_302600_NS6detail15normal_iteratorINS9_10device_ptrIsEEEESE_SE_iNS9_4plusIvEENS9_8equal_toIvEEiEE10hipError_tPvRmT2_T3_T4_T5_mT6_T7_P12ihipStream_tbENKUlT_T0_E_clISt17integral_constantIbLb0EESZ_EEDaSU_SV_EUlSU_E_NS1_11comp_targetILNS1_3genE9ELNS1_11target_archE1100ELNS1_3gpuE3ELNS1_3repE0EEENS1_30default_config_static_selectorELNS0_4arch9wavefront6targetE0EEEvT1_.has_indirect_call, 0
	.section	.AMDGPU.csdata,"",@progbits
; Kernel info:
; codeLenInByte = 0
; TotalNumSgprs: 0
; NumVgprs: 0
; ScratchSize: 0
; MemoryBound: 0
; FloatMode: 240
; IeeeMode: 1
; LDSByteSize: 0 bytes/workgroup (compile time only)
; SGPRBlocks: 0
; VGPRBlocks: 0
; NumSGPRsForWavesPerEU: 1
; NumVGPRsForWavesPerEU: 1
; Occupancy: 16
; WaveLimiterHint : 0
; COMPUTE_PGM_RSRC2:SCRATCH_EN: 0
; COMPUTE_PGM_RSRC2:USER_SGPR: 6
; COMPUTE_PGM_RSRC2:TRAP_HANDLER: 0
; COMPUTE_PGM_RSRC2:TGID_X_EN: 1
; COMPUTE_PGM_RSRC2:TGID_Y_EN: 0
; COMPUTE_PGM_RSRC2:TGID_Z_EN: 0
; COMPUTE_PGM_RSRC2:TIDIG_COMP_CNT: 0
	.section	.text._ZN7rocprim17ROCPRIM_400000_NS6detail17trampoline_kernelINS0_14default_configENS1_27scan_by_key_config_selectorIsiEEZZNS1_16scan_by_key_implILNS1_25lookback_scan_determinismE0ELb1ES3_N6thrust23THRUST_200600_302600_NS6detail15normal_iteratorINS9_10device_ptrIsEEEESE_SE_iNS9_4plusIvEENS9_8equal_toIvEEiEE10hipError_tPvRmT2_T3_T4_T5_mT6_T7_P12ihipStream_tbENKUlT_T0_E_clISt17integral_constantIbLb0EESZ_EEDaSU_SV_EUlSU_E_NS1_11comp_targetILNS1_3genE8ELNS1_11target_archE1030ELNS1_3gpuE2ELNS1_3repE0EEENS1_30default_config_static_selectorELNS0_4arch9wavefront6targetE0EEEvT1_,"axG",@progbits,_ZN7rocprim17ROCPRIM_400000_NS6detail17trampoline_kernelINS0_14default_configENS1_27scan_by_key_config_selectorIsiEEZZNS1_16scan_by_key_implILNS1_25lookback_scan_determinismE0ELb1ES3_N6thrust23THRUST_200600_302600_NS6detail15normal_iteratorINS9_10device_ptrIsEEEESE_SE_iNS9_4plusIvEENS9_8equal_toIvEEiEE10hipError_tPvRmT2_T3_T4_T5_mT6_T7_P12ihipStream_tbENKUlT_T0_E_clISt17integral_constantIbLb0EESZ_EEDaSU_SV_EUlSU_E_NS1_11comp_targetILNS1_3genE8ELNS1_11target_archE1030ELNS1_3gpuE2ELNS1_3repE0EEENS1_30default_config_static_selectorELNS0_4arch9wavefront6targetE0EEEvT1_,comdat
	.protected	_ZN7rocprim17ROCPRIM_400000_NS6detail17trampoline_kernelINS0_14default_configENS1_27scan_by_key_config_selectorIsiEEZZNS1_16scan_by_key_implILNS1_25lookback_scan_determinismE0ELb1ES3_N6thrust23THRUST_200600_302600_NS6detail15normal_iteratorINS9_10device_ptrIsEEEESE_SE_iNS9_4plusIvEENS9_8equal_toIvEEiEE10hipError_tPvRmT2_T3_T4_T5_mT6_T7_P12ihipStream_tbENKUlT_T0_E_clISt17integral_constantIbLb0EESZ_EEDaSU_SV_EUlSU_E_NS1_11comp_targetILNS1_3genE8ELNS1_11target_archE1030ELNS1_3gpuE2ELNS1_3repE0EEENS1_30default_config_static_selectorELNS0_4arch9wavefront6targetE0EEEvT1_ ; -- Begin function _ZN7rocprim17ROCPRIM_400000_NS6detail17trampoline_kernelINS0_14default_configENS1_27scan_by_key_config_selectorIsiEEZZNS1_16scan_by_key_implILNS1_25lookback_scan_determinismE0ELb1ES3_N6thrust23THRUST_200600_302600_NS6detail15normal_iteratorINS9_10device_ptrIsEEEESE_SE_iNS9_4plusIvEENS9_8equal_toIvEEiEE10hipError_tPvRmT2_T3_T4_T5_mT6_T7_P12ihipStream_tbENKUlT_T0_E_clISt17integral_constantIbLb0EESZ_EEDaSU_SV_EUlSU_E_NS1_11comp_targetILNS1_3genE8ELNS1_11target_archE1030ELNS1_3gpuE2ELNS1_3repE0EEENS1_30default_config_static_selectorELNS0_4arch9wavefront6targetE0EEEvT1_
	.globl	_ZN7rocprim17ROCPRIM_400000_NS6detail17trampoline_kernelINS0_14default_configENS1_27scan_by_key_config_selectorIsiEEZZNS1_16scan_by_key_implILNS1_25lookback_scan_determinismE0ELb1ES3_N6thrust23THRUST_200600_302600_NS6detail15normal_iteratorINS9_10device_ptrIsEEEESE_SE_iNS9_4plusIvEENS9_8equal_toIvEEiEE10hipError_tPvRmT2_T3_T4_T5_mT6_T7_P12ihipStream_tbENKUlT_T0_E_clISt17integral_constantIbLb0EESZ_EEDaSU_SV_EUlSU_E_NS1_11comp_targetILNS1_3genE8ELNS1_11target_archE1030ELNS1_3gpuE2ELNS1_3repE0EEENS1_30default_config_static_selectorELNS0_4arch9wavefront6targetE0EEEvT1_
	.p2align	8
	.type	_ZN7rocprim17ROCPRIM_400000_NS6detail17trampoline_kernelINS0_14default_configENS1_27scan_by_key_config_selectorIsiEEZZNS1_16scan_by_key_implILNS1_25lookback_scan_determinismE0ELb1ES3_N6thrust23THRUST_200600_302600_NS6detail15normal_iteratorINS9_10device_ptrIsEEEESE_SE_iNS9_4plusIvEENS9_8equal_toIvEEiEE10hipError_tPvRmT2_T3_T4_T5_mT6_T7_P12ihipStream_tbENKUlT_T0_E_clISt17integral_constantIbLb0EESZ_EEDaSU_SV_EUlSU_E_NS1_11comp_targetILNS1_3genE8ELNS1_11target_archE1030ELNS1_3gpuE2ELNS1_3repE0EEENS1_30default_config_static_selectorELNS0_4arch9wavefront6targetE0EEEvT1_,@function
_ZN7rocprim17ROCPRIM_400000_NS6detail17trampoline_kernelINS0_14default_configENS1_27scan_by_key_config_selectorIsiEEZZNS1_16scan_by_key_implILNS1_25lookback_scan_determinismE0ELb1ES3_N6thrust23THRUST_200600_302600_NS6detail15normal_iteratorINS9_10device_ptrIsEEEESE_SE_iNS9_4plusIvEENS9_8equal_toIvEEiEE10hipError_tPvRmT2_T3_T4_T5_mT6_T7_P12ihipStream_tbENKUlT_T0_E_clISt17integral_constantIbLb0EESZ_EEDaSU_SV_EUlSU_E_NS1_11comp_targetILNS1_3genE8ELNS1_11target_archE1030ELNS1_3gpuE2ELNS1_3repE0EEENS1_30default_config_static_selectorELNS0_4arch9wavefront6targetE0EEEvT1_: ; @_ZN7rocprim17ROCPRIM_400000_NS6detail17trampoline_kernelINS0_14default_configENS1_27scan_by_key_config_selectorIsiEEZZNS1_16scan_by_key_implILNS1_25lookback_scan_determinismE0ELb1ES3_N6thrust23THRUST_200600_302600_NS6detail15normal_iteratorINS9_10device_ptrIsEEEESE_SE_iNS9_4plusIvEENS9_8equal_toIvEEiEE10hipError_tPvRmT2_T3_T4_T5_mT6_T7_P12ihipStream_tbENKUlT_T0_E_clISt17integral_constantIbLb0EESZ_EEDaSU_SV_EUlSU_E_NS1_11comp_targetILNS1_3genE8ELNS1_11target_archE1030ELNS1_3gpuE2ELNS1_3repE0EEENS1_30default_config_static_selectorELNS0_4arch9wavefront6targetE0EEEvT1_
; %bb.0:
	s_clause 0x5
	s_load_dwordx8 s[8:15], s[4:5], 0x0
	s_load_dwordx2 s[24:25], s[4:5], 0x38
	s_load_dword s2, s[4:5], 0x40
	s_load_dwordx4 s[20:23], s[4:5], 0x48
	s_load_dword s26, s[4:5], 0x20
	s_load_dwordx4 s[16:19], s[4:5], 0x28
	s_mov_b32 s1, 0
	s_mul_i32 s0, s6, 0x180
	s_waitcnt lgkmcnt(0)
	s_barrier
	buffer_gl0_inv
	s_lshl_b64 s[10:11], s[10:11], 1
	s_add_u32 s5, s8, s10
	s_addc_u32 s7, s9, s11
	s_mul_i32 s3, s25, s2
	s_mul_hi_u32 s4, s24, s2
	s_add_u32 s19, s12, s10
	s_addc_u32 s27, s13, s11
	s_lshl_b64 s[8:9], s[0:1], 1
	s_add_i32 s4, s4, s3
	s_add_u32 s12, s5, s8
	s_addc_u32 s13, s7, s9
	s_mul_i32 s0, s24, s2
	s_add_u32 s7, s19, s8
	s_addc_u32 s27, s27, s9
	s_add_u32 s2, s0, s6
	s_addc_u32 s3, s4, 0
	s_add_u32 s4, s20, -1
	s_addc_u32 s5, s21, -1
	s_mul_i32 s20, s4, 0xfffffe80
	v_cmp_ge_u64_e64 s19, s[2:3], s[4:5]
	s_and_b32 vcc_lo, exec_lo, s19
	s_cbranch_vccz .LBB1050_35
; %bb.1:
	v_mov_b32_e32 v1, s12
	v_mov_b32_e32 v2, s13
	s_add_i32 s21, s20, s18
	v_cmp_gt_u32_e64 s2, s21, v0
	flat_load_ushort v1, v[1:2]
	s_waitcnt vmcnt(0) lgkmcnt(0)
	v_mov_b32_e32 v2, v1
	s_and_saveexec_b32 s0, s2
	s_cbranch_execz .LBB1050_3
; %bb.2:
	v_lshlrev_b32_e32 v2, 1, v0
	v_add_co_u32 v2, s1, s12, v2
	v_add_co_ci_u32_e64 v3, null, s13, 0, s1
	flat_load_ushort v2, v[2:3]
.LBB1050_3:
	s_or_b32 exec_lo, exec_lo, s0
	v_or_b32_e32 v3, 64, v0
	v_cmp_gt_u32_e32 vcc_lo, s21, v3
	v_mov_b32_e32 v3, v1
	s_and_saveexec_b32 s0, vcc_lo
	s_cbranch_execz .LBB1050_5
; %bb.4:
	v_lshlrev_b32_e32 v3, 1, v0
	v_add_co_u32 v3, s1, s12, v3
	v_add_co_ci_u32_e64 v4, null, s13, 0, s1
	flat_load_ushort v3, v[3:4] offset:128
.LBB1050_5:
	s_or_b32 exec_lo, exec_lo, s0
	v_or_b32_e32 v4, 0x80, v0
	v_cmp_gt_u32_e64 s0, s21, v4
	v_mov_b32_e32 v4, v1
	s_and_saveexec_b32 s1, s0
	s_cbranch_execz .LBB1050_7
; %bb.6:
	v_lshlrev_b32_e32 v4, 1, v0
	v_add_co_u32 v4, s3, s12, v4
	v_add_co_ci_u32_e64 v5, null, s13, 0, s3
	flat_load_ushort v4, v[4:5] offset:256
.LBB1050_7:
	s_or_b32 exec_lo, exec_lo, s1
	v_or_b32_e32 v5, 0xc0, v0
	v_cmp_gt_u32_e64 s1, s21, v5
	v_mov_b32_e32 v5, v1
	s_and_saveexec_b32 s3, s1
	s_cbranch_execz .LBB1050_9
; %bb.8:
	v_lshlrev_b32_e32 v5, 1, v0
	v_add_co_u32 v5, s4, s12, v5
	v_add_co_ci_u32_e64 v6, null, s13, 0, s4
	flat_load_ushort v5, v[5:6] offset:384
.LBB1050_9:
	s_or_b32 exec_lo, exec_lo, s3
	v_or_b32_e32 v6, 0x100, v0
	v_cmp_gt_u32_e64 s3, s21, v6
	v_mov_b32_e32 v6, v1
	s_and_saveexec_b32 s4, s3
	s_cbranch_execz .LBB1050_11
; %bb.10:
	v_lshlrev_b32_e32 v6, 1, v0
	v_add_co_u32 v6, s5, s12, v6
	v_add_co_ci_u32_e64 v7, null, s13, 0, s5
	flat_load_ushort v6, v[6:7] offset:512
.LBB1050_11:
	s_or_b32 exec_lo, exec_lo, s4
	v_or_b32_e32 v7, 0x140, v0
	v_cmp_gt_u32_e64 s4, s21, v7
	v_cmp_le_u32_e64 s5, s21, v7
	s_and_saveexec_b32 s28, s5
	s_xor_b32 s5, exec_lo, s28
	s_andn2_saveexec_b32 s5, s5
	s_cbranch_execz .LBB1050_13
; %bb.12:
	v_lshlrev_b32_e32 v1, 1, v0
	v_add_co_u32 v7, s28, s12, v1
	v_add_co_ci_u32_e64 v8, null, s13, 0, s28
	flat_load_ushort v1, v[7:8] offset:640
.LBB1050_13:
	s_or_b32 exec_lo, exec_lo, s5
	v_lshlrev_b32_e32 v7, 1, v0
	s_mov_b32 s28, exec_lo
	s_waitcnt vmcnt(0) lgkmcnt(0)
	ds_write_b16 v7, v2
	ds_write_b16 v7, v3 offset:128
	ds_write_b16 v7, v4 offset:256
	;; [unrolled: 1-line block ×4, first 2 shown]
	v_mov_b32_e32 v2, s12
	v_mov_b32_e32 v3, s13
	ds_write_b16 v7, v1 offset:640
	s_waitcnt lgkmcnt(0)
	s_barrier
	buffer_gl0_inv
	flat_load_ushort v22, v[2:3]
	v_mad_u32_u24 v1, v0, 10, v7
	ds_read2_b32 v[19:20], v1 offset1:1
	ds_read_b32 v23, v1 offset:8
	v_mad_i32_i24 v7, v0, -10, v1
	s_waitcnt lgkmcnt(1)
	ds_write_b16 v7, v19 offset:896
	s_waitcnt vmcnt(0) lgkmcnt(0)
	s_barrier
	buffer_gl0_inv
	v_cmpx_ne_u32_e32 63, v0
; %bb.14:
	ds_read_u16 v22, v7 offset:898
; %bb.15:
	s_or_b32 exec_lo, exec_lo, s28
	v_mov_b32_e32 v1, 0
	v_lshlrev_b32_e32 v8, 1, v0
	s_waitcnt lgkmcnt(0)
	s_barrier
	buffer_gl0_inv
	v_mov_b32_e32 v2, v1
	v_mov_b32_e32 v3, v1
	;; [unrolled: 1-line block ×5, first 2 shown]
	s_and_saveexec_b32 s5, s2
	s_cbranch_execnz .LBB1050_121
; %bb.16:
	s_or_b32 exec_lo, exec_lo, s5
	s_and_saveexec_b32 s2, vcc_lo
	s_cbranch_execnz .LBB1050_122
.LBB1050_17:
	s_or_b32 exec_lo, exec_lo, s2
	s_and_saveexec_b32 s2, s0
	s_cbranch_execnz .LBB1050_123
.LBB1050_18:
	s_or_b32 exec_lo, exec_lo, s2
	s_and_saveexec_b32 s0, s1
	s_cbranch_execnz .LBB1050_124
.LBB1050_19:
	s_or_b32 exec_lo, exec_lo, s0
	s_and_saveexec_b32 s0, s3
	s_cbranch_execnz .LBB1050_125
.LBB1050_20:
	s_or_b32 exec_lo, exec_lo, s0
	v_mul_u32_u24_e32 v24, 6, v0
	s_and_saveexec_b32 s0, s4
	s_cbranch_execz .LBB1050_22
.LBB1050_21:
	v_add_co_u32 v8, s1, s7, v8
	v_add_co_ci_u32_e64 v9, null, s27, 0, s1
	flat_load_sshort v6, v[8:9] offset:640
.LBB1050_22:
	s_or_b32 exec_lo, exec_lo, s0
	v_lshl_add_u32 v25, v0, 1, v7
	v_mov_b32_e32 v9, 0
	v_mov_b32_e32 v7, 0
	;; [unrolled: 1-line block ×4, first 2 shown]
	s_waitcnt vmcnt(0) lgkmcnt(0)
	ds_write2st64_b32 v25, v1, v2 offset1:1
	ds_write2st64_b32 v25, v3, v4 offset0:2 offset1:3
	ds_write2st64_b32 v25, v5, v6 offset0:4 offset1:5
	v_mov_b32_e32 v1, 0
	v_mov_b32_e32 v3, 0
	;; [unrolled: 1-line block ×14, first 2 shown]
	s_mov_b32 s0, 0
	s_mov_b32 s1, 0
	s_mov_b32 s3, exec_lo
	s_waitcnt lgkmcnt(0)
	s_barrier
	buffer_gl0_inv
                                        ; implicit-def: $sgpr2
                                        ; implicit-def: $vgpr21
	v_cmpx_gt_u32_e64 s21, v24
	s_cbranch_execz .LBB1050_34
; %bb.23:
	v_mad_u32_u24 v1, v0, 20, v25
	v_cmp_ne_u16_sdwa s1, v19, v19 src0_sel:DWORD src1_sel:WORD_1
	v_cmp_eq_u16_sdwa vcc_lo, v19, v19 src0_sel:DWORD src1_sel:WORD_1
	v_mov_b32_e32 v3, 0
	v_mov_b32_e32 v5, 0
	ds_read_b32 v9, v1
	v_mov_b32_e32 v1, 0
	v_mov_b32_e32 v7, 0
	;; [unrolled: 1-line block ×5, first 2 shown]
	v_cndmask_b32_e64 v10, 0, 1, s1
	v_or_b32_e32 v17, 1, v24
	v_mov_b32_e32 v2, 0
	v_mov_b32_e32 v4, 0
	;; [unrolled: 1-line block ×7, first 2 shown]
	s_mov_b32 s4, 0
	s_mov_b32 s1, exec_lo
                                        ; implicit-def: $sgpr2
                                        ; implicit-def: $vgpr21
	s_waitcnt lgkmcnt(0)
	v_cndmask_b32_e32 v9, s26, v9, vcc_lo
	v_cmpx_gt_u32_e64 s21, v17
	s_cbranch_execz .LBB1050_33
; %bb.24:
	v_mul_u32_u24_e32 v1, 20, v0
	v_cmp_ne_u16_sdwa s2, v19, v20 src0_sel:WORD_1 src1_sel:DWORD
	v_cmp_eq_u16_sdwa vcc_lo, v19, v20 src0_sel:WORD_1 src1_sel:DWORD
	v_mov_b32_e32 v3, 0
	v_mov_b32_e32 v5, 0
	v_add_nc_u32_e32 v17, v25, v1
	v_mov_b32_e32 v7, 0
	v_mov_b32_e32 v13, 0
	;; [unrolled: 1-line block ×3, first 2 shown]
	v_cndmask_b32_e64 v2, 0, 1, s2
	ds_read2_b32 v[15:16], v17 offset0:1 offset1:2
	v_add_nc_u32_e32 v18, 2, v24
	v_mov_b32_e32 v4, 0
	v_mov_b32_e32 v6, 0
	;; [unrolled: 1-line block ×5, first 2 shown]
	s_mov_b32 s5, 0
	s_mov_b32 s4, exec_lo
                                        ; implicit-def: $sgpr2
                                        ; implicit-def: $vgpr21
	s_waitcnt lgkmcnt(0)
	v_cndmask_b32_e32 v1, s26, v15, vcc_lo
	v_cmpx_gt_u32_e64 s21, v18
	s_cbranch_execz .LBB1050_32
; %bb.25:
	v_cmp_eq_u16_sdwa vcc_lo, v20, v20 src0_sel:DWORD src1_sel:WORD_1
	v_cmp_ne_u16_sdwa s2, v20, v20 src0_sel:DWORD src1_sel:WORD_1
	v_mov_b32_e32 v5, 0
	v_mov_b32_e32 v7, 0
	;; [unrolled: 1-line block ×3, first 2 shown]
	v_cndmask_b32_e32 v3, s26, v16, vcc_lo
	v_add_nc_u32_e32 v13, 3, v24
	v_cndmask_b32_e64 v4, 0, 1, s2
	v_mov_b32_e32 v6, 0
	v_mov_b32_e32 v8, 0
	;; [unrolled: 1-line block ×3, first 2 shown]
	s_mov_b32 s28, 0
	s_mov_b32 s5, exec_lo
                                        ; implicit-def: $sgpr2
                                        ; implicit-def: $vgpr21
	v_cmpx_gt_u32_e64 s21, v13
	s_cbranch_execz .LBB1050_31
; %bb.26:
	ds_read2_b32 v[11:12], v17 offset0:3 offset1:4
	v_cmp_ne_u16_sdwa s2, v20, v23 src0_sel:WORD_1 src1_sel:DWORD
	v_cmp_eq_u16_sdwa vcc_lo, v20, v23 src0_sel:WORD_1 src1_sel:DWORD
	v_mov_b32_e32 v7, 0
	v_add_nc_u32_e32 v13, 4, v24
	v_mov_b32_e32 v8, 0
	v_cndmask_b32_e64 v6, 0, 1, s2
	s_mov_b32 s29, 0
	s_mov_b32 s28, exec_lo
                                        ; implicit-def: $sgpr2
                                        ; implicit-def: $vgpr21
	s_waitcnt lgkmcnt(0)
	v_cndmask_b32_e32 v5, s26, v11, vcc_lo
	v_cmpx_gt_u32_e64 s21, v13
	s_cbranch_execz .LBB1050_30
; %bb.27:
	v_add_nc_u32_e32 v11, 5, v24
	v_cmp_eq_u16_sdwa vcc_lo, v23, v23 src0_sel:DWORD src1_sel:WORD_1
	v_cmp_ne_u16_sdwa s2, v23, v23 src0_sel:DWORD src1_sel:WORD_1
                                        ; implicit-def: $vgpr21
	v_cndmask_b32_e32 v7, s26, v12, vcc_lo
	v_cndmask_b32_e64 v8, 0, 1, s2
	v_cmp_gt_u32_e32 vcc_lo, s21, v11
	s_mov_b32 s21, 0
                                        ; implicit-def: $sgpr2
	s_and_saveexec_b32 s29, vcc_lo
	s_xor_b32 s29, exec_lo, s29
	s_cbranch_execz .LBB1050_29
; %bb.28:
	ds_read_b32 v11, v17 offset:20
	v_cmp_ne_u16_sdwa s2, v23, v22 src0_sel:WORD_1 src1_sel:DWORD
	s_mov_b32 s21, exec_lo
	s_waitcnt lgkmcnt(0)
	v_cndmask_b32_e64 v21, v11, s26, s2
.LBB1050_29:
	s_or_b32 exec_lo, exec_lo, s29
	s_and_b32 s29, s21, exec_lo
.LBB1050_30:
	s_or_b32 exec_lo, exec_lo, s28
	v_mov_b32_e32 v12, v8
	v_mov_b32_e32 v11, v7
	s_and_b32 s28, s29, exec_lo
.LBB1050_31:
	s_or_b32 exec_lo, exec_lo, s5
	v_mov_b32_e32 v14, v6
	v_mov_b32_e32 v13, v5
	s_and_b32 s5, s28, exec_lo
.LBB1050_32:
	s_or_b32 exec_lo, exec_lo, s4
	v_mov_b32_e32 v16, v4
	v_mov_b32_e32 v15, v3
	s_and_b32 s4, s5, exec_lo
.LBB1050_33:
	s_or_b32 exec_lo, exec_lo, s1
	v_mov_b32_e32 v18, v2
	v_mov_b32_e32 v17, v1
	s_and_b32 s1, s4, exec_lo
.LBB1050_34:
	s_or_b32 exec_lo, exec_lo, s3
	v_lshlrev_b32_e32 v24, 1, v0
	s_and_b32 vcc_lo, exec_lo, s0
	s_cbranch_vccnz .LBB1050_36
	s_branch .LBB1050_39
.LBB1050_35:
                                        ; implicit-def: $sgpr2
                                        ; implicit-def: $vgpr21
                                        ; implicit-def: $vgpr9_vgpr10
                                        ; implicit-def: $vgpr1_vgpr2
                                        ; implicit-def: $vgpr3_vgpr4
                                        ; implicit-def: $vgpr5_vgpr6
                                        ; implicit-def: $vgpr7_vgpr8
                                        ; implicit-def: $vgpr17_vgpr18
                                        ; implicit-def: $vgpr15_vgpr16
                                        ; implicit-def: $vgpr13_vgpr14
                                        ; implicit-def: $vgpr11_vgpr12
	v_lshlrev_b32_e32 v24, 1, v0
	s_cbranch_execz .LBB1050_39
.LBB1050_36:
	v_add_co_u32 v1, s0, s12, v24
	v_add_co_ci_u32_e64 v2, null, s13, 0, s0
	s_mov_b32 s0, exec_lo
	s_clause 0x5
	flat_load_ushort v3, v[1:2]
	flat_load_ushort v4, v[1:2] offset:128
	flat_load_ushort v5, v[1:2] offset:256
	;; [unrolled: 1-line block ×5, first 2 shown]
	v_mov_b32_e32 v1, s12
	v_mov_b32_e32 v2, s13
	s_waitcnt vmcnt(5) lgkmcnt(5)
	ds_write_b16 v24, v3
	s_waitcnt vmcnt(4) lgkmcnt(5)
	ds_write_b16 v24, v4 offset:128
	s_waitcnt vmcnt(3) lgkmcnt(5)
	ds_write_b16 v24, v5 offset:256
	;; [unrolled: 2-line block ×5, first 2 shown]
	s_waitcnt lgkmcnt(0)
	s_barrier
	buffer_gl0_inv
	flat_load_ushort v13, v[1:2] offset:768
	v_mad_u32_u24 v1, v0, 10, v24
	ds_read2_b32 v[11:12], v1 offset1:1
	ds_read_b32 v14, v1 offset:8
	v_mad_i32_i24 v1, v0, -10, v1
	s_waitcnt lgkmcnt(1)
	ds_write_b16 v1, v11 offset:896
	s_waitcnt vmcnt(0) lgkmcnt(0)
	s_barrier
	buffer_gl0_inv
	v_cmpx_ne_u32_e32 63, v0
; %bb.37:
	ds_read_u16 v13, v1 offset:898
; %bb.38:
	s_or_b32 exec_lo, exec_lo, s0
	v_add_co_u32 v2, s0, s7, v24
	v_add_co_ci_u32_e64 v3, null, s27, 0, s0
	s_waitcnt lgkmcnt(0)
	s_barrier
	buffer_gl0_inv
	s_clause 0x5
	flat_load_sshort v4, v[2:3]
	flat_load_sshort v5, v[2:3] offset:128
	flat_load_sshort v6, v[2:3] offset:256
	;; [unrolled: 1-line block ×5, first 2 shown]
	v_lshl_add_u32 v1, v0, 1, v1
	v_cmp_ne_u16_sdwa s0, v11, v11 src0_sel:DWORD src1_sel:WORD_1
	v_cmp_eq_u16_sdwa vcc_lo, v11, v11 src0_sel:DWORD src1_sel:WORD_1
	v_cmp_ne_u16_sdwa s2, v14, v13 src0_sel:WORD_1 src1_sel:DWORD
	s_mov_b32 s1, -1
	v_mad_u32_u24 v3, v0, 20, v1
	v_cndmask_b32_e64 v10, 0, 1, s0
	v_cmp_ne_u16_sdwa s0, v11, v12 src0_sel:WORD_1 src1_sel:DWORD
	s_waitcnt vmcnt(4) lgkmcnt(4)
	ds_write2st64_b32 v1, v4, v5 offset1:1
	s_waitcnt vmcnt(2) lgkmcnt(3)
	ds_write2st64_b32 v1, v6, v7 offset0:2 offset1:3
	s_waitcnt vmcnt(0) lgkmcnt(2)
	ds_write2st64_b32 v1, v8, v2 offset0:4 offset1:5
	s_waitcnt lgkmcnt(0)
	s_barrier
	buffer_gl0_inv
	ds_read2_b64 v[15:18], v3 offset1:1
	ds_read_b64 v[19:20], v3 offset:16
	v_cndmask_b32_e64 v2, 0, 1, s0
	v_cmp_ne_u16_sdwa s0, v12, v12 src0_sel:DWORD src1_sel:WORD_1
	v_cndmask_b32_e64 v4, 0, 1, s0
	v_cmp_ne_u16_sdwa s0, v12, v14 src0_sel:WORD_1 src1_sel:DWORD
	v_cndmask_b32_e64 v6, 0, 1, s0
	v_cmp_ne_u16_sdwa s0, v14, v14 src0_sel:DWORD src1_sel:WORD_1
	s_waitcnt lgkmcnt(1)
	v_cndmask_b32_e32 v9, s26, v15, vcc_lo
	v_cmp_eq_u16_sdwa vcc_lo, v11, v12 src0_sel:WORD_1 src1_sel:DWORD
	v_cndmask_b32_e64 v8, 0, 1, s0
	s_waitcnt lgkmcnt(0)
	v_cndmask_b32_e64 v21, v20, s26, s2
	v_cndmask_b32_e32 v1, s26, v16, vcc_lo
	v_cmp_eq_u16_sdwa vcc_lo, v12, v12 src0_sel:DWORD src1_sel:WORD_1
	v_cndmask_b32_e32 v3, s26, v17, vcc_lo
	v_cmp_eq_u16_sdwa vcc_lo, v12, v14 src0_sel:WORD_1 src1_sel:DWORD
	v_mov_b32_e32 v16, v4
	v_mov_b32_e32 v15, v3
	v_cndmask_b32_e32 v5, s26, v18, vcc_lo
	v_cmp_eq_u16_sdwa vcc_lo, v14, v14 src0_sel:DWORD src1_sel:WORD_1
	v_mov_b32_e32 v18, v2
	v_mov_b32_e32 v14, v6
	;; [unrolled: 1-line block ×4, first 2 shown]
	v_cndmask_b32_e32 v7, s26, v19, vcc_lo
	v_mov_b32_e32 v12, v8
	v_mov_b32_e32 v11, v7
.LBB1050_39:
	v_mov_b32_e32 v19, 0
	v_mov_b32_e32 v20, 0
	s_and_saveexec_b32 s0, s1
	s_cbranch_execz .LBB1050_41
; %bb.40:
	v_cndmask_b32_e64 v22, 0, 1, s2
	v_mov_b32_e32 v12, v8
	v_mov_b32_e32 v14, v6
	;; [unrolled: 1-line block ×10, first 2 shown]
.LBB1050_41:
	s_or_b32 exec_lo, exec_lo, s0
	v_or3_b32 v26, v14, v12, v16
	v_lshrrev_b32_e32 v25, 2, v0
	s_cmp_lg_u32 s6, 0
	s_mov_b32 s4, 0
	v_cmp_gt_u32_e32 vcc_lo, 32, v0
	s_barrier
	buffer_gl0_inv
	s_cbranch_scc0 .LBB1050_69
; %bb.42:
	s_mov_b32 s5, 1
	v_or3_b32 v2, v26, v18, v20
	v_cmp_gt_u64_e64 s0, s[4:5], v[17:18]
	v_cmp_gt_u64_e64 s1, s[4:5], v[15:16]
	;; [unrolled: 1-line block ×5, first 2 shown]
	v_and_b32_e32 v2, 0xff, v2
	v_cndmask_b32_e64 v1, 0, v9, s0
	v_and_b32_e32 v4, 8, v25
	v_add_nc_u32_e32 v1, v1, v17
	v_lshl_add_u32 v4, v0, 3, v4
	v_cndmask_b32_e64 v1, 0, v1, s1
	v_add_nc_u32_e32 v1, v1, v15
	v_cndmask_b32_e64 v1, 0, v1, s2
	v_add_nc_u32_e32 v1, v1, v13
	;; [unrolled: 2-line block ×3, first 2 shown]
	v_mov_b32_e32 v1, 0
	v_cndmask_b32_e64 v3, 0, v3, s4
	v_cmp_eq_u64_e64 s4, 0, v[1:2]
	v_add_nc_u32_e32 v27, v3, v19
	v_cndmask_b32_e64 v28, 1, v10, s4
	ds_write_b8 v4, v28 offset:4
	ds_write_b32 v4, v27
	s_waitcnt lgkmcnt(0)
	s_barrier
	buffer_gl0_inv
	s_and_saveexec_b32 s5, vcc_lo
	s_cbranch_execz .LBB1050_52
; %bb.43:
	v_lshrrev_b32_e32 v1, 1, v0
	v_lshlrev_b32_e32 v2, 4, v0
	s_mov_b32 s7, exec_lo
	v_and_b32_e32 v1, 24, v1
	v_add_nc_u32_e32 v3, v1, v2
	ds_read_u8 v5, v3 offset:12
	ds_read_b64 v[1:2], v3
	ds_read_b32 v6, v3 offset:8
	s_waitcnt lgkmcnt(2)
	v_and_b32_e32 v7, 1, v5
	v_cmp_eq_u16_e64 s4, 0, v5
	s_waitcnt lgkmcnt(1)
	v_and_b32_e32 v4, 1, v2
	v_and_b32_e32 v5, 0xffffff00, v2
	v_cndmask_b32_e64 v21, 0, v1, s4
	v_cmp_eq_u32_e64 s4, 1, v7
	v_mbcnt_lo_u32_b32 v7, -1, 0
	s_waitcnt lgkmcnt(0)
	v_add_nc_u32_e32 v6, v21, v6
	v_cndmask_b32_e64 v8, v4, 1, s4
	v_and_b32_e32 v21, 15, v7
	v_mov_b32_dpp v23, v6 row_shr:1 row_mask:0xf bank_mask:0xf
	v_or_b32_sdwa v22, v5, v8 dst_sel:DWORD dst_unused:UNUSED_PAD src0_sel:DWORD src1_sel:WORD_0
	v_mov_b32_dpp v29, v22 row_shr:1 row_mask:0xf bank_mask:0xf
	v_cmpx_ne_u32_e32 0, v21
	s_cbranch_execz .LBB1050_45
; %bb.44:
	v_and_b32_e32 v22, 1, v8
	v_cmp_eq_u16_e64 s4, 0, v8
	v_and_b32_e32 v29, 1, v29
	v_cndmask_b32_e64 v8, 0, v23, s4
	v_cmp_eq_u32_e64 s4, 1, v22
	v_add_nc_u32_e32 v6, v8, v6
	v_cndmask_b32_e64 v23, v29, 1, s4
	v_or_b32_sdwa v22, v5, v23 dst_sel:DWORD dst_unused:UNUSED_PAD src0_sel:DWORD src1_sel:WORD_0
	v_mov_b32_e32 v8, v23
.LBB1050_45:
	s_or_b32 exec_lo, exec_lo, s7
	v_mov_b32_dpp v23, v6 row_shr:2 row_mask:0xf bank_mask:0xf
	v_mov_b32_dpp v29, v22 row_shr:2 row_mask:0xf bank_mask:0xf
	s_mov_b32 s7, exec_lo
	v_cmpx_lt_u32_e32 1, v21
	s_cbranch_execz .LBB1050_47
; %bb.46:
	v_and_b32_e32 v22, 1, v8
	v_cmp_eq_u16_e64 s4, 0, v8
	v_and_b32_e32 v29, 1, v29
	v_cndmask_b32_e64 v8, 0, v23, s4
	v_cmp_eq_u32_e64 s4, 1, v22
	v_add_nc_u32_e32 v6, v8, v6
	v_cndmask_b32_e64 v23, v29, 1, s4
	v_or_b32_sdwa v22, v5, v23 dst_sel:DWORD dst_unused:UNUSED_PAD src0_sel:DWORD src1_sel:WORD_0
	v_mov_b32_e32 v8, v23
.LBB1050_47:
	s_or_b32 exec_lo, exec_lo, s7
	v_mov_b32_dpp v23, v6 row_shr:4 row_mask:0xf bank_mask:0xf
	v_mov_b32_dpp v29, v22 row_shr:4 row_mask:0xf bank_mask:0xf
	s_mov_b32 s7, exec_lo
	v_cmpx_lt_u32_e32 3, v21
	;; [unrolled: 17-line block ×3, first 2 shown]
	s_cbranch_execz .LBB1050_51
; %bb.50:
	v_and_b32_e32 v21, 1, v8
	v_cmp_eq_u16_e64 s4, 0, v8
	v_and_b32_e32 v22, 1, v29
	v_cndmask_b32_e64 v8, 0, v23, s4
	v_cmp_eq_u32_e64 s4, 1, v21
	v_add_nc_u32_e32 v6, v8, v6
	v_cndmask_b32_e64 v21, v22, 1, s4
	v_or_b32_sdwa v22, v5, v21 dst_sel:DWORD dst_unused:UNUSED_PAD src0_sel:DWORD src1_sel:WORD_0
	v_mov_b32_e32 v8, v21
.LBB1050_51:
	s_or_b32 exec_lo, exec_lo, s7
	ds_swizzle_b32 v21, v22 offset:swizzle(BROADCAST,32,15)
	ds_swizzle_b32 v22, v6 offset:swizzle(BROADCAST,32,15)
	v_and_b32_e32 v30, 1, v8
	v_cmp_eq_u16_e64 s4, 0, v8
	v_add_nc_u32_e32 v31, -1, v7
	v_and_b32_e32 v23, 16, v7
	v_bfe_i32 v29, v7, 4, 1
	; wave barrier
	s_waitcnt lgkmcnt(1)
	v_and_b32_e32 v21, 1, v21
	s_waitcnt lgkmcnt(0)
	v_cndmask_b32_e64 v22, 0, v22, s4
	v_cmp_eq_u32_e64 s4, 1, v30
	v_and_b32_e32 v22, v29, v22
	v_cndmask_b32_e64 v21, v21, 1, s4
	v_cmp_gt_i32_e64 s4, 0, v31
	v_add_nc_u32_e32 v6, v22, v6
	v_cndmask_b32_e64 v7, v31, v7, s4
	v_cmp_eq_u32_e64 s4, 0, v23
	v_lshlrev_b32_e32 v7, 2, v7
	v_cndmask_b32_e64 v8, v21, v8, s4
	ds_bpermute_b32 v6, v7, v6
	v_or_b32_sdwa v5, v5, v8 dst_sel:DWORD dst_unused:UNUSED_PAD src0_sel:DWORD src1_sel:WORD_0
	ds_bpermute_b32 v5, v7, v5
	v_mov_b32_e32 v7, 0
	v_cmp_eq_u16_sdwa s4, v2, v7 src0_sel:BYTE_0 src1_sel:DWORD
	s_waitcnt lgkmcnt(1)
	v_cndmask_b32_e64 v2, 0, v6, s4
	v_cmp_eq_u32_e64 s4, 1, v4
	v_add_nc_u32_e32 v1, v2, v1
	s_waitcnt lgkmcnt(0)
	v_and_b32_e32 v5, 1, v5
	v_cndmask_b32_e64 v2, v5, 1, s4
	v_cmp_eq_u32_e64 s4, 0, v0
	v_cndmask_b32_e64 v1, v1, v27, s4
	v_cndmask_b32_e64 v2, v2, v28, s4
	ds_write_b32 v3, v1
	ds_write_b8 v3, v2 offset:4
	; wave barrier
	ds_read_u8 v4, v3 offset:12
	ds_read_b32 v5, v3 offset:8
	s_waitcnt lgkmcnt(1)
	v_cmp_eq_u16_e64 s4, 0, v4
	v_and_b32_e32 v4, 1, v4
	v_cndmask_b32_e64 v1, 0, v1, s4
	v_cmp_eq_u32_e64 s4, 1, v4
	s_waitcnt lgkmcnt(0)
	v_add_nc_u32_e32 v1, v1, v5
	v_cndmask_b32_e64 v2, v2, 1, s4
	ds_write_b32 v3, v1 offset:8
	ds_write_b8 v3, v2 offset:12
.LBB1050_52:
	s_or_b32 exec_lo, exec_lo, s5
	v_cmp_eq_u32_e64 s4, 0, v0
	s_mov_b32 s7, exec_lo
	s_waitcnt lgkmcnt(0)
	s_barrier
	buffer_gl0_inv
	v_cmpx_ne_u32_e32 0, v0
	s_cbranch_execz .LBB1050_54
; %bb.53:
	v_add_nc_u32_e32 v1, -1, v0
	v_lshrrev_b32_e32 v2, 2, v1
	v_and_b32_e32 v2, 0x3ffffff8, v2
	v_lshl_add_u32 v1, v1, 3, v2
	ds_read_b32 v27, v1
	ds_read_u8 v28, v1 offset:4
.LBB1050_54:
	s_or_b32 exec_lo, exec_lo, s7
	s_and_saveexec_b32 s21, vcc_lo
	s_cbranch_execz .LBB1050_74
; %bb.55:
	v_mov_b32_e32 v4, 0
	v_mbcnt_lo_u32_b32 v29, -1, 0
	s_mov_b32 s13, 0
	ds_read_b64 v[1:2], v4 offset:512
	v_cmp_eq_u32_e64 s5, 0, v29
	s_and_saveexec_b32 s7, s5
	s_cbranch_execz .LBB1050_57
; %bb.56:
	s_add_i32 s12, s6, 32
	v_mov_b32_e32 v3, 1
	s_lshl_b64 s[12:13], s[12:13], 4
	s_add_u32 s12, s16, s12
	s_addc_u32 s13, s17, s13
	v_mov_b32_e32 v5, s12
	v_mov_b32_e32 v6, s13
	s_waitcnt lgkmcnt(0)
	;;#ASMSTART
	global_store_dwordx4 v[5:6], v[1:4] off	
s_waitcnt vmcnt(0)
	;;#ASMEND
.LBB1050_57:
	s_or_b32 exec_lo, exec_lo, s7
	v_xad_u32 v21, v29, -1, s6
	v_add_nc_u32_e32 v3, 32, v21
	v_lshlrev_b64 v[5:6], 4, v[3:4]
	v_add_co_u32 v22, vcc_lo, s16, v5
	v_add_co_ci_u32_e64 v23, null, s17, v6, vcc_lo
	;;#ASMSTART
	global_load_dwordx4 v[5:8], v[22:23] off glc dlc	
s_waitcnt vmcnt(0)
	;;#ASMEND
	v_and_b32_e32 v6, 0xff, v6
	v_cmp_eq_u16_sdwa s12, v7, v4 src0_sel:BYTE_0 src1_sel:DWORD
	s_and_saveexec_b32 s7, s12
	s_cbranch_execz .LBB1050_61
; %bb.58:
	v_mov_b32_e32 v3, 0
	s_mov_b32 s12, 0
.LBB1050_59:                            ; =>This Inner Loop Header: Depth=1
	;;#ASMSTART
	global_load_dwordx4 v[5:8], v[22:23] off glc dlc	
s_waitcnt vmcnt(0)
	;;#ASMEND
	v_cmp_ne_u16_sdwa s13, v7, v3 src0_sel:BYTE_0 src1_sel:DWORD
	s_or_b32 s12, s13, s12
	s_andn2_b32 exec_lo, exec_lo, s12
	s_cbranch_execnz .LBB1050_59
; %bb.60:
	s_or_b32 exec_lo, exec_lo, s12
	v_and_b32_e32 v6, 0xff, v6
.LBB1050_61:
	s_or_b32 exec_lo, exec_lo, s7
	v_cmp_ne_u32_e32 vcc_lo, 31, v29
	v_mov_b32_e32 v30, 2
	v_lshlrev_b32_e64 v31, v29, -1
	v_and_b32_e32 v8, 1, v6
	s_mov_b32 s12, 0
	v_add_co_ci_u32_e64 v3, null, 0, v29, vcc_lo
	v_cmp_eq_u16_sdwa s7, v7, v30 src0_sel:BYTE_0 src1_sel:DWORD
	v_cmp_eq_u32_e32 vcc_lo, 1, v8
	s_mov_b32 s13, 1
	v_lshlrev_b32_e32 v23, 2, v3
	v_add_nc_u32_e32 v39, 8, v29
	v_and_or_b32 v4, s7, v31, 0x80000000
	v_cmp_gt_u64_e64 s7, s[12:13], v[5:6]
	v_lshl_or_b32 v40, v29, 2, 64
	ds_bpermute_b32 v3, v23, v6
	ds_bpermute_b32 v22, v23, v5
	v_ffbl_b32_e32 v4, v4
	v_add_nc_u32_e32 v41, 16, v29
	s_waitcnt lgkmcnt(1)
	v_and_b32_e32 v3, 1, v3
	v_cndmask_b32_e64 v3, v3, 1, vcc_lo
	v_cmp_gt_u32_e32 vcc_lo, 30, v29
	v_and_b32_e32 v33, 0xffff, v3
	v_cndmask_b32_e64 v8, 0, 2, vcc_lo
	v_cmp_lt_u32_e32 vcc_lo, v29, v4
	v_add_lshl_u32 v32, v8, v29, 2
	v_cndmask_b32_e32 v8, v6, v33, vcc_lo
	v_cndmask_b32_e32 v3, v6, v3, vcc_lo
	s_and_b32 vcc_lo, vcc_lo, s7
	s_waitcnt lgkmcnt(0)
	v_cndmask_b32_e32 v6, 0, v22, vcc_lo
	ds_bpermute_b32 v33, v32, v8
	v_and_b32_e32 v22, 1, v3
	v_add_nc_u32_e32 v5, v6, v5
	v_cmp_eq_u32_e32 vcc_lo, 1, v22
	v_mov_b32_e32 v22, 0
	ds_bpermute_b32 v6, v32, v5
	v_cmp_eq_u16_sdwa s7, v3, v22 src0_sel:BYTE_0 src1_sel:DWORD
	s_waitcnt lgkmcnt(1)
	v_and_b32_e32 v34, 1, v33
	v_add_nc_u32_e32 v33, 2, v29
	v_cndmask_b32_e64 v35, v34, 1, vcc_lo
	v_cmp_gt_u32_e32 vcc_lo, 28, v29
	v_and_b32_e32 v36, 0xffff, v35
	v_cndmask_b32_e64 v34, 0, 4, vcc_lo
	v_cmp_gt_u32_e32 vcc_lo, v33, v4
	v_add_lshl_u32 v34, v34, v29, 2
	v_cndmask_b32_e32 v8, v36, v8, vcc_lo
	v_cndmask_b32_e32 v37, v35, v3, vcc_lo
	s_waitcnt lgkmcnt(0)
	v_cndmask_b32_e64 v3, 0, v6, s7
	v_add_nc_u32_e32 v35, 4, v29
	ds_bpermute_b32 v6, v34, v8
	v_and_b32_e32 v36, 1, v37
	v_cndmask_b32_e64 v3, v3, 0, vcc_lo
	v_cmp_eq_u16_sdwa s7, v37, v22 src0_sel:BYTE_0 src1_sel:DWORD
	v_cmp_eq_u32_e32 vcc_lo, 1, v36
	v_add_nc_u32_e32 v3, v3, v5
	ds_bpermute_b32 v5, v34, v3
	s_waitcnt lgkmcnt(1)
	v_and_b32_e32 v6, 1, v6
	v_cndmask_b32_e64 v6, v6, 1, vcc_lo
	v_cmp_gt_u32_e32 vcc_lo, 24, v29
	v_and_b32_e32 v38, 0xffff, v6
	v_cndmask_b32_e64 v36, 0, 8, vcc_lo
	v_cmp_gt_u32_e32 vcc_lo, v35, v4
	s_waitcnt lgkmcnt(0)
	v_cndmask_b32_e64 v5, 0, v5, s7
	v_add_lshl_u32 v36, v36, v29, 2
	v_cndmask_b32_e32 v8, v38, v8, vcc_lo
	v_cndmask_b32_e32 v6, v6, v37, vcc_lo
	v_cndmask_b32_e64 v5, v5, 0, vcc_lo
	ds_bpermute_b32 v37, v36, v8
	v_and_b32_e32 v38, 1, v6
	v_add_nc_u32_e32 v3, v5, v3
	v_cmp_eq_u32_e32 vcc_lo, 1, v38
	ds_bpermute_b32 v5, v36, v3
	s_waitcnt lgkmcnt(1)
	v_and_b32_e32 v37, 1, v37
	v_cndmask_b32_e64 v37, v37, 1, vcc_lo
	v_cmp_eq_u16_sdwa vcc_lo, v6, v22 src0_sel:BYTE_0 src1_sel:DWORD
	v_and_b32_e32 v38, 0xffff, v37
	s_waitcnt lgkmcnt(0)
	v_cndmask_b32_e32 v5, 0, v5, vcc_lo
	v_cmp_gt_u32_e32 vcc_lo, v39, v4
	v_cndmask_b32_e64 v5, v5, 0, vcc_lo
	v_cndmask_b32_e32 v8, v38, v8, vcc_lo
	v_cndmask_b32_e32 v6, v37, v6, vcc_lo
	v_add_nc_u32_e32 v3, v5, v3
	ds_bpermute_b32 v5, v40, v8
	v_and_b32_e32 v37, 1, v6
	v_cmp_eq_u16_sdwa vcc_lo, v6, v22 src0_sel:BYTE_0 src1_sel:DWORD
	ds_bpermute_b32 v8, v40, v3
	s_waitcnt lgkmcnt(1)
	v_and_b32_e32 v5, 1, v5
	s_waitcnt lgkmcnt(0)
	v_cndmask_b32_e32 v8, 0, v8, vcc_lo
	v_cmp_eq_u32_e32 vcc_lo, 1, v37
	v_cndmask_b32_e64 v5, v5, 1, vcc_lo
	v_cmp_gt_u32_e32 vcc_lo, v41, v4
	v_cndmask_b32_e32 v4, v5, v6, vcc_lo
	v_cndmask_b32_e64 v5, v8, 0, vcc_lo
	v_add_nc_u32_e32 v3, v5, v3
	s_branch .LBB1050_65
.LBB1050_62:                            ;   in Loop: Header=BB1050_65 Depth=1
	s_or_b32 exec_lo, exec_lo, s27
	v_and_b32_e32 v6, 0xff, v6
.LBB1050_63:                            ;   in Loop: Header=BB1050_65 Depth=1
	s_or_b32 exec_lo, exec_lo, s7
	ds_bpermute_b32 v3, v23, v6
	v_cmp_eq_u16_sdwa s7, v7, v30 src0_sel:BYTE_0 src1_sel:DWORD
	v_and_b32_e32 v4, 1, v6
	v_subrev_nc_u32_e32 v21, 32, v21
	v_and_or_b32 v8, s7, v31, 0x80000000
	v_cmp_eq_u32_e32 vcc_lo, 1, v4
	v_cmp_gt_u64_e64 s7, s[12:13], v[5:6]
	v_ffbl_b32_e32 v4, v8
	ds_bpermute_b32 v8, v23, v5
	s_waitcnt lgkmcnt(1)
	v_and_b32_e32 v3, 1, v3
	v_cndmask_b32_e64 v3, v3, 1, vcc_lo
	v_cmp_lt_u32_e32 vcc_lo, v29, v4
	v_and_b32_e32 v42, 0xffff, v3
	v_cndmask_b32_e32 v3, v6, v3, vcc_lo
	v_cndmask_b32_e32 v42, v6, v42, vcc_lo
	s_and_b32 vcc_lo, vcc_lo, s7
	v_cmp_eq_u16_sdwa s7, v3, v22 src0_sel:BYTE_0 src1_sel:DWORD
	s_waitcnt lgkmcnt(0)
	v_cndmask_b32_e32 v6, 0, v8, vcc_lo
	v_and_b32_e32 v8, 1, v3
	ds_bpermute_b32 v43, v32, v42
	v_add_nc_u32_e32 v5, v6, v5
	v_cmp_eq_u32_e32 vcc_lo, 1, v8
	ds_bpermute_b32 v6, v32, v5
	s_waitcnt lgkmcnt(1)
	v_and_b32_e32 v43, 1, v43
	v_cndmask_b32_e64 v8, v43, 1, vcc_lo
	v_cmp_gt_u32_e32 vcc_lo, v33, v4
	v_and_b32_e32 v43, 0xffff, v8
	v_cndmask_b32_e32 v8, v8, v3, vcc_lo
	s_waitcnt lgkmcnt(0)
	v_cndmask_b32_e64 v3, 0, v6, s7
	v_cndmask_b32_e32 v42, v43, v42, vcc_lo
	v_and_b32_e32 v43, 1, v8
	v_cndmask_b32_e64 v3, v3, 0, vcc_lo
	v_cmp_eq_u16_sdwa s7, v8, v22 src0_sel:BYTE_0 src1_sel:DWORD
	ds_bpermute_b32 v6, v34, v42
	v_cmp_eq_u32_e32 vcc_lo, 1, v43
	v_add_nc_u32_e32 v3, v3, v5
	ds_bpermute_b32 v5, v34, v3
	s_waitcnt lgkmcnt(1)
	v_and_b32_e32 v6, 1, v6
	v_cndmask_b32_e64 v6, v6, 1, vcc_lo
	v_cmp_gt_u32_e32 vcc_lo, v35, v4
	s_waitcnt lgkmcnt(0)
	v_cndmask_b32_e64 v5, 0, v5, s7
	s_mov_b32 s7, 0
	v_and_b32_e32 v43, 0xffff, v6
	v_cndmask_b32_e32 v6, v6, v8, vcc_lo
	v_cndmask_b32_e64 v5, v5, 0, vcc_lo
	v_cndmask_b32_e32 v8, v43, v42, vcc_lo
	v_and_b32_e32 v43, 1, v6
	v_add_nc_u32_e32 v3, v5, v3
	ds_bpermute_b32 v42, v36, v8
	v_cmp_eq_u32_e32 vcc_lo, 1, v43
	ds_bpermute_b32 v5, v36, v3
	s_waitcnt lgkmcnt(1)
	v_and_b32_e32 v42, 1, v42
	v_cndmask_b32_e64 v42, v42, 1, vcc_lo
	v_cmp_eq_u16_sdwa vcc_lo, v6, v22 src0_sel:BYTE_0 src1_sel:DWORD
	v_and_b32_e32 v43, 0xffff, v42
	s_waitcnt lgkmcnt(0)
	v_cndmask_b32_e32 v5, 0, v5, vcc_lo
	v_cmp_gt_u32_e32 vcc_lo, v39, v4
	v_cndmask_b32_e64 v5, v5, 0, vcc_lo
	v_cndmask_b32_e32 v8, v43, v8, vcc_lo
	v_cndmask_b32_e32 v6, v42, v6, vcc_lo
	v_add_nc_u32_e32 v3, v5, v3
	ds_bpermute_b32 v5, v40, v8
	v_and_b32_e32 v42, 1, v6
	ds_bpermute_b32 v8, v40, v3
	v_cmp_eq_u32_e32 vcc_lo, 1, v42
	s_waitcnt lgkmcnt(1)
	v_cndmask_b32_e64 v5, v5, 1, vcc_lo
	v_cmp_eq_u16_sdwa vcc_lo, v6, v22 src0_sel:BYTE_0 src1_sel:DWORD
	s_waitcnt lgkmcnt(0)
	v_cndmask_b32_e32 v8, 0, v8, vcc_lo
	v_cmp_gt_u32_e32 vcc_lo, v41, v4
	v_cndmask_b32_e32 v4, v5, v6, vcc_lo
	v_cndmask_b32_e64 v5, v8, 0, vcc_lo
	v_cmp_eq_u16_sdwa vcc_lo, v37, v22 src0_sel:BYTE_0 src1_sel:DWORD
	v_and_b32_e32 v4, 1, v4
	v_add_nc_u32_e32 v3, v5, v3
	v_and_b32_e32 v5, 1, v37
	v_cndmask_b32_e32 v3, 0, v3, vcc_lo
	v_cmp_eq_u32_e32 vcc_lo, 1, v5
	v_add_nc_u32_e32 v3, v3, v38
	v_cndmask_b32_e64 v4, v4, 1, vcc_lo
.LBB1050_64:                            ;   in Loop: Header=BB1050_65 Depth=1
	s_and_b32 vcc_lo, exec_lo, s7
	s_cbranch_vccnz .LBB1050_70
.LBB1050_65:                            ; =>This Loop Header: Depth=1
                                        ;     Child Loop BB1050_68 Depth 2
	v_cmp_ne_u16_sdwa s7, v7, v30 src0_sel:BYTE_0 src1_sel:DWORD
	v_mov_b32_e32 v37, v4
	v_mov_b32_e32 v38, v3
                                        ; implicit-def: $vgpr4
                                        ; implicit-def: $vgpr3
                                        ; implicit-def: $vgpr7
	s_cmp_lg_u32 s7, exec_lo
	s_mov_b32 s7, -1
	s_cbranch_scc1 .LBB1050_64
; %bb.66:                               ;   in Loop: Header=BB1050_65 Depth=1
	v_lshlrev_b64 v[3:4], 4, v[21:22]
	v_add_co_u32 v3, vcc_lo, s16, v3
	v_add_co_ci_u32_e64 v4, null, s17, v4, vcc_lo
	;;#ASMSTART
	global_load_dwordx4 v[5:8], v[3:4] off glc dlc	
s_waitcnt vmcnt(0)
	;;#ASMEND
	v_and_b32_e32 v6, 0xff, v6
	v_cmp_eq_u16_sdwa s27, v7, v22 src0_sel:BYTE_0 src1_sel:DWORD
	s_and_saveexec_b32 s7, s27
	s_cbranch_execz .LBB1050_63
; %bb.67:                               ;   in Loop: Header=BB1050_65 Depth=1
	s_mov_b32 s27, 0
.LBB1050_68:                            ;   Parent Loop BB1050_65 Depth=1
                                        ; =>  This Inner Loop Header: Depth=2
	;;#ASMSTART
	global_load_dwordx4 v[5:8], v[3:4] off glc dlc	
s_waitcnt vmcnt(0)
	;;#ASMEND
	v_cmp_ne_u16_sdwa s28, v7, v22 src0_sel:BYTE_0 src1_sel:DWORD
	s_or_b32 s27, s28, s27
	s_andn2_b32 exec_lo, exec_lo, s27
	s_cbranch_execnz .LBB1050_68
	s_branch .LBB1050_62
.LBB1050_69:
                                        ; implicit-def: $vgpr1
                                        ; implicit-def: $vgpr5
                                        ; implicit-def: $vgpr3_vgpr4
	s_cbranch_execnz .LBB1050_75
	s_branch .LBB1050_92
.LBB1050_70:
	s_and_saveexec_b32 s7, s5
	s_cbranch_execz .LBB1050_72
; %bb.71:
	v_mov_b32_e32 v4, 0
	v_and_b32_e32 v3, 1, v2
	s_mov_b32 s13, 0
	s_add_i32 s12, s6, 32
	v_and_b32_e32 v5, 1, v37
	v_cmp_eq_u32_sdwa vcc_lo, v2, v4 src0_sel:BYTE_0 src1_sel:DWORD
	s_lshl_b64 s[12:13], s[12:13], 4
	s_add_u32 s12, s16, s12
	s_addc_u32 s13, s17, s13
	v_cndmask_b32_e32 v2, 0, v38, vcc_lo
	v_cmp_eq_u32_e32 vcc_lo, 1, v3
	v_mov_b32_e32 v3, 2
	v_add_nc_u32_e32 v1, v2, v1
	v_cndmask_b32_e64 v2, v5, 1, vcc_lo
	v_mov_b32_e32 v5, s12
	v_mov_b32_e32 v6, s13
	;;#ASMSTART
	global_store_dwordx4 v[5:6], v[1:4] off	
s_waitcnt vmcnt(0)
	;;#ASMEND
.LBB1050_72:
	s_or_b32 exec_lo, exec_lo, s7
	s_and_b32 exec_lo, exec_lo, s4
	s_cbranch_execz .LBB1050_74
; %bb.73:
	v_mov_b32_e32 v1, 0
	ds_write_b32 v1, v38
	ds_write_b8 v1, v37 offset:4
.LBB1050_74:
	s_or_b32 exec_lo, exec_lo, s21
	v_mov_b32_e32 v2, 0
	s_waitcnt lgkmcnt(0)
	s_barrier
	buffer_gl0_inv
	ds_read_b32 v1, v2
	v_cmp_eq_u16_sdwa vcc_lo, v28, v2 src0_sel:BYTE_0 src1_sel:DWORD
	s_waitcnt lgkmcnt(0)
	v_cndmask_b32_e32 v3, 0, v1, vcc_lo
	v_add_nc_u32_e32 v4, v3, v27
	v_and_b32_e32 v3, 0xff, v10
	v_cndmask_b32_e64 v1, v4, v1, s4
	v_cmp_eq_u64_e32 vcc_lo, 0, v[2:3]
	v_cndmask_b32_e32 v2, 0, v1, vcc_lo
	v_add_nc_u32_e32 v2, v2, v9
	v_cndmask_b32_e64 v3, 0, v2, s0
	v_add_nc_u32_e32 v3, v3, v17
	v_cndmask_b32_e64 v4, 0, v3, s1
	;; [unrolled: 2-line block ×4, first 2 shown]
	v_add_nc_u32_e32 v6, v6, v11
	s_branch .LBB1050_92
.LBB1050_75:
	s_cmp_eq_u64 s[24:25], 0
	v_mov_b32_e32 v8, s26
	s_cselect_b32 s0, -1, 0
	s_cmp_eq_u64 s[22:23], 0
	s_cselect_b32 s1, -1, 0
	s_or_b32 s0, s0, s1
	s_and_b32 vcc_lo, exec_lo, s0
	s_cbranch_vccnz .LBB1050_77
; %bb.76:
	v_mov_b32_e32 v1, 0
	global_load_dword v8, v1, s[22:23]
.LBB1050_77:
	s_mov_b32 s4, 0
	s_mov_b32 s5, 1
	v_or3_b32 v2, v26, v18, v20
	v_cmp_gt_u64_e32 vcc_lo, s[4:5], v[17:18]
	v_cmp_gt_u64_e64 s0, s[4:5], v[15:16]
	v_cmp_gt_u64_e64 s1, s[4:5], v[13:14]
	;; [unrolled: 1-line block ×4, first 2 shown]
	v_and_b32_e32 v2, 0xff, v2
	v_cndmask_b32_e32 v1, 0, v9, vcc_lo
	v_and_b32_e32 v4, 8, v25
	s_mov_b32 s4, exec_lo
	v_add_nc_u32_e32 v1, v1, v17
	v_lshl_add_u32 v6, v0, 3, v4
	v_cndmask_b32_e64 v1, 0, v1, s0
	v_add_nc_u32_e32 v1, v1, v15
	v_cndmask_b32_e64 v1, 0, v1, s1
	v_add_nc_u32_e32 v1, v1, v13
	;; [unrolled: 2-line block ×3, first 2 shown]
	v_mov_b32_e32 v1, 0
	v_cndmask_b32_e64 v5, 0, v3, s3
	v_cmp_eq_u64_e64 s3, 0, v[1:2]
	v_add_nc_u32_e32 v4, v5, v19
	v_cndmask_b32_e64 v3, 1, v10, s3
	ds_write_b8 v6, v3 offset:4
	ds_write_b32 v6, v4
	s_waitcnt vmcnt(0) lgkmcnt(0)
	s_barrier
	buffer_gl0_inv
	v_cmpx_gt_u32_e32 32, v0
	s_cbranch_execz .LBB1050_87
; %bb.78:
	v_lshrrev_b32_e32 v1, 1, v0
	v_lshlrev_b32_e32 v2, 4, v0
	s_mov_b32 s5, exec_lo
	v_and_b32_e32 v1, 24, v1
	v_add_nc_u32_e32 v5, v1, v2
	ds_read_u8 v7, v5 offset:12
	ds_read_b64 v[1:2], v5
	ds_read_b32 v12, v5 offset:8
	s_waitcnt lgkmcnt(2)
	v_and_b32_e32 v14, 1, v7
	v_cmp_eq_u16_e64 s3, 0, v7
	s_waitcnt lgkmcnt(1)
	v_and_b32_e32 v6, 1, v2
	v_and_b32_e32 v7, 0xffffff00, v2
	v_cndmask_b32_e64 v18, 0, v1, s3
	v_cmp_eq_u32_e64 s3, 1, v14
	v_mbcnt_lo_u32_b32 v14, -1, 0
	s_waitcnt lgkmcnt(0)
	v_add_nc_u32_e32 v12, v18, v12
	v_cndmask_b32_e64 v16, v6, 1, s3
	v_and_b32_e32 v18, 15, v14
	v_mov_b32_dpp v20, v12 row_shr:1 row_mask:0xf bank_mask:0xf
	v_or_b32_sdwa v19, v7, v16 dst_sel:DWORD dst_unused:UNUSED_PAD src0_sel:DWORD src1_sel:WORD_0
	v_mov_b32_dpp v21, v19 row_shr:1 row_mask:0xf bank_mask:0xf
	v_cmpx_ne_u32_e32 0, v18
	s_cbranch_execz .LBB1050_80
; %bb.79:
	v_and_b32_e32 v19, 1, v16
	v_cmp_eq_u16_e64 s3, 0, v16
	v_and_b32_e32 v21, 1, v21
	v_cndmask_b32_e64 v16, 0, v20, s3
	v_cmp_eq_u32_e64 s3, 1, v19
	v_add_nc_u32_e32 v12, v16, v12
	v_cndmask_b32_e64 v20, v21, 1, s3
	v_or_b32_sdwa v19, v7, v20 dst_sel:DWORD dst_unused:UNUSED_PAD src0_sel:DWORD src1_sel:WORD_0
	v_mov_b32_e32 v16, v20
.LBB1050_80:
	s_or_b32 exec_lo, exec_lo, s5
	v_mov_b32_dpp v20, v12 row_shr:2 row_mask:0xf bank_mask:0xf
	v_mov_b32_dpp v21, v19 row_shr:2 row_mask:0xf bank_mask:0xf
	s_mov_b32 s5, exec_lo
	v_cmpx_lt_u32_e32 1, v18
	s_cbranch_execz .LBB1050_82
; %bb.81:
	v_and_b32_e32 v19, 1, v16
	v_cmp_eq_u16_e64 s3, 0, v16
	v_and_b32_e32 v21, 1, v21
	v_cndmask_b32_e64 v16, 0, v20, s3
	v_cmp_eq_u32_e64 s3, 1, v19
	v_add_nc_u32_e32 v12, v16, v12
	v_cndmask_b32_e64 v20, v21, 1, s3
	v_or_b32_sdwa v19, v7, v20 dst_sel:DWORD dst_unused:UNUSED_PAD src0_sel:DWORD src1_sel:WORD_0
	v_mov_b32_e32 v16, v20
.LBB1050_82:
	s_or_b32 exec_lo, exec_lo, s5
	v_mov_b32_dpp v20, v12 row_shr:4 row_mask:0xf bank_mask:0xf
	v_mov_b32_dpp v21, v19 row_shr:4 row_mask:0xf bank_mask:0xf
	s_mov_b32 s5, exec_lo
	v_cmpx_lt_u32_e32 3, v18
	;; [unrolled: 17-line block ×3, first 2 shown]
	s_cbranch_execz .LBB1050_86
; %bb.85:
	v_and_b32_e32 v18, 1, v16
	v_cmp_eq_u16_e64 s3, 0, v16
	v_and_b32_e32 v19, 1, v21
	v_cndmask_b32_e64 v16, 0, v20, s3
	v_cmp_eq_u32_e64 s3, 1, v18
	v_add_nc_u32_e32 v12, v16, v12
	v_cndmask_b32_e64 v18, v19, 1, s3
	v_or_b32_sdwa v19, v7, v18 dst_sel:DWORD dst_unused:UNUSED_PAD src0_sel:DWORD src1_sel:WORD_0
	v_mov_b32_e32 v16, v18
.LBB1050_86:
	s_or_b32 exec_lo, exec_lo, s5
	ds_swizzle_b32 v18, v19 offset:swizzle(BROADCAST,32,15)
	ds_swizzle_b32 v19, v12 offset:swizzle(BROADCAST,32,15)
	v_and_b32_e32 v22, 1, v16
	v_cmp_eq_u16_e64 s3, 0, v16
	v_add_nc_u32_e32 v23, -1, v14
	v_and_b32_e32 v20, 16, v14
	v_bfe_i32 v21, v14, 4, 1
	; wave barrier
	s_waitcnt lgkmcnt(1)
	v_and_b32_e32 v18, 1, v18
	s_waitcnt lgkmcnt(0)
	v_cndmask_b32_e64 v19, 0, v19, s3
	v_cmp_eq_u32_e64 s3, 1, v22
	v_and_b32_e32 v19, v21, v19
	v_cndmask_b32_e64 v18, v18, 1, s3
	v_cmp_gt_i32_e64 s3, 0, v23
	v_add_nc_u32_e32 v12, v19, v12
	v_cndmask_b32_e64 v14, v23, v14, s3
	v_cmp_eq_u32_e64 s3, 0, v20
	v_lshlrev_b32_e32 v14, 2, v14
	v_cndmask_b32_e64 v16, v18, v16, s3
	ds_bpermute_b32 v12, v14, v12
	v_or_b32_sdwa v7, v7, v16 dst_sel:DWORD dst_unused:UNUSED_PAD src0_sel:DWORD src1_sel:WORD_0
	ds_bpermute_b32 v7, v14, v7
	v_mov_b32_e32 v14, 0
	v_cmp_eq_u16_sdwa s3, v2, v14 src0_sel:BYTE_0 src1_sel:DWORD
	s_waitcnt lgkmcnt(1)
	v_cndmask_b32_e64 v2, 0, v12, s3
	v_cmp_eq_u32_e64 s3, 1, v6
	v_add_nc_u32_e32 v1, v2, v1
	s_waitcnt lgkmcnt(0)
	v_and_b32_e32 v7, 1, v7
	v_cndmask_b32_e64 v2, v7, 1, s3
	v_cmp_eq_u32_e64 s3, 0, v0
	v_cndmask_b32_e64 v1, v1, v4, s3
	v_cndmask_b32_e64 v2, v2, v3, s3
	ds_write_b32 v5, v1
	ds_write_b8 v5, v2 offset:4
	; wave barrier
	ds_read_u8 v3, v5 offset:12
	ds_read_b32 v4, v5 offset:8
	s_waitcnt lgkmcnt(1)
	v_cmp_eq_u16_e64 s3, 0, v3
	v_and_b32_e32 v3, 1, v3
	v_cndmask_b32_e64 v1, 0, v1, s3
	v_cmp_eq_u32_e64 s3, 1, v3
	s_waitcnt lgkmcnt(0)
	v_add_nc_u32_e32 v1, v1, v4
	v_cndmask_b32_e64 v2, v2, 1, s3
	ds_write_b32 v5, v1 offset:8
	ds_write_b8 v5, v2 offset:12
.LBB1050_87:
	s_or_b32 exec_lo, exec_lo, s4
	v_cmp_eq_u32_e64 s3, 0, v0
	v_mov_b32_e32 v1, v8
	s_mov_b32 s5, exec_lo
	s_waitcnt lgkmcnt(0)
	s_barrier
	buffer_gl0_inv
	v_cmpx_ne_u32_e32 0, v0
	s_cbranch_execz .LBB1050_89
; %bb.88:
	v_add_nc_u32_e32 v1, -1, v0
	v_lshrrev_b32_e32 v2, 2, v1
	v_and_b32_e32 v2, 0x3ffffff8, v2
	v_lshl_add_u32 v1, v1, 3, v2
	ds_read_u8 v2, v1 offset:4
	ds_read_b32 v1, v1
	s_waitcnt lgkmcnt(1)
	v_cmp_eq_u16_e64 s4, 0, v2
	v_cndmask_b32_e64 v2, 0, v8, s4
	s_waitcnt lgkmcnt(0)
	v_add_nc_u32_e32 v1, v2, v1
.LBB1050_89:
	s_or_b32 exec_lo, exec_lo, s5
	v_and_b32_e32 v7, 0xff, v10
	v_mov_b32_e32 v6, 0
	v_cmp_eq_u64_e64 s4, 0, v[6:7]
	v_cndmask_b32_e64 v2, 0, v1, s4
	v_add_nc_u32_e32 v2, v2, v9
	v_cndmask_b32_e32 v3, 0, v2, vcc_lo
	v_add_nc_u32_e32 v3, v3, v17
	v_cndmask_b32_e64 v4, 0, v3, s0
	v_add_nc_u32_e32 v4, v4, v15
	v_cndmask_b32_e64 v5, 0, v4, s1
	;; [unrolled: 2-line block ×3, first 2 shown]
	s_and_saveexec_b32 s0, s3
	s_cbranch_execz .LBB1050_91
; %bb.90:
	ds_read_u8 v9, v6 offset:516
	ds_read_b32 v10, v6 offset:512
	v_mov_b32_e32 v14, v6
	s_add_u32 s2, s16, 0x200
	s_addc_u32 s3, s17, 0
	v_mov_b32_e32 v15, v6
	s_waitcnt lgkmcnt(1)
	v_and_b32_e32 v13, 0xffff, v9
	v_cmp_eq_u64_e32 vcc_lo, 0, v[13:14]
	v_mov_b32_e32 v14, 2
	v_cndmask_b32_e32 v8, 0, v8, vcc_lo
	s_waitcnt lgkmcnt(0)
	v_add_nc_u32_e32 v12, v8, v10
	v_mov_b32_e32 v9, s3
	v_mov_b32_e32 v8, s2
	;;#ASMSTART
	global_store_dwordx4 v[8:9], v[12:15] off	
s_waitcnt vmcnt(0)
	;;#ASMEND
.LBB1050_91:
	s_or_b32 exec_lo, exec_lo, s0
	v_add_nc_u32_e32 v6, v7, v11
.LBB1050_92:
	s_add_u32 s0, s14, s10
	v_mov_b32_e32 v11, 0
	s_addc_u32 s1, s15, s11
	s_add_u32 s0, s0, s8
	s_addc_u32 s1, s1, s9
	s_and_b32 vcc_lo, exec_lo, s19
	s_cbranch_vccz .LBB1050_116
; %bb.93:
	v_mul_u32_u24_e32 v13, 6, v0
	v_mov_b32_e32 v12, 0
	v_mov_b32_e32 v9, 0
	;; [unrolled: 1-line block ×5, first 2 shown]
	s_add_i32 s20, s20, s18
	s_mov_b32 s2, exec_lo
	v_cmpx_gt_u32_e64 s20, v13
	s_cbranch_execz .LBB1050_105
; %bb.94:
	v_or_b32_e32 v11, 1, v13
	v_mov_b32_e32 v8, 0
	v_mov_b32_e32 v7, 0
	;; [unrolled: 1-line block ×5, first 2 shown]
	s_mov_b32 s3, exec_lo
	v_cmpx_gt_u32_e64 s20, v11
	s_cbranch_execz .LBB1050_104
; %bb.95:
	v_add_nc_u32_e32 v9, 2, v13
	v_mov_b32_e32 v8, 0
	v_mov_b32_e32 v7, 0
	;; [unrolled: 1-line block ×3, first 2 shown]
	v_cmp_gt_u32_e32 vcc_lo, s20, v9
	v_mov_b32_e32 v9, 0
	s_and_saveexec_b32 s4, vcc_lo
	s_cbranch_execz .LBB1050_103
; %bb.96:
	v_add_nc_u32_e32 v9, 3, v13
	v_mov_b32_e32 v8, 0
	v_mov_b32_e32 v7, 0
	;; [unrolled: 1-line block ×3, first 2 shown]
	s_mov_b32 s5, exec_lo
	v_cmpx_gt_u32_e64 s20, v9
	s_cbranch_execz .LBB1050_102
; %bb.97:
	v_add_nc_u32_e32 v7, 4, v13
	v_mov_b32_e32 v8, 0
	v_cmp_gt_u32_e32 vcc_lo, s20, v7
	v_mov_b32_e32 v7, 0
	s_and_saveexec_b32 s6, vcc_lo
	s_cbranch_execz .LBB1050_101
; %bb.98:
	v_add_nc_u32_e32 v7, 5, v13
	v_mov_b32_e32 v8, 0
	s_mov_b32 s7, exec_lo
	v_cmpx_gt_u32_e64 s20, v7
; %bb.99:
	v_mov_b32_e32 v8, v6
; %bb.100:
	s_or_b32 exec_lo, exec_lo, s7
	v_mov_b32_e32 v7, v5
.LBB1050_101:
	s_or_b32 exec_lo, exec_lo, s6
	v_mov_b32_e32 v10, v4
.LBB1050_102:
	s_or_b32 exec_lo, exec_lo, s5
	v_mov_b32_e32 v9, v3
.LBB1050_103:
	s_or_b32 exec_lo, exec_lo, s4
	v_mov_b32_e32 v12, v2
.LBB1050_104:
	s_or_b32 exec_lo, exec_lo, s3
	v_mov_b32_e32 v11, v1
.LBB1050_105:
	s_or_b32 exec_lo, exec_lo, s2
	v_lshlrev_b32_e32 v14, 2, v13
	s_barrier
	buffer_gl0_inv
	ds_write2_b64 v14, v[11:12], v[9:10] offset1:1
	v_mad_i32_i24 v10, 0xffffffec, v0, v14
	ds_write_b64 v14, v[7:8] offset:16
	s_waitcnt lgkmcnt(0)
	s_barrier
	buffer_gl0_inv
	ds_read2st64_b32 v[12:13], v10 offset0:1 offset1:2
	ds_read2st64_b32 v[8:9], v10 offset0:3 offset1:4
	ds_read_b32 v7, v10 offset:1280
	v_add_co_u32 v10, s2, s0, v24
	v_add_co_ci_u32_e64 v11, null, s1, 0, s2
	s_mov_b32 s2, exec_lo
	v_cmpx_gt_u32_e64 s20, v0
	s_cbranch_execz .LBB1050_107
; %bb.106:
	v_mul_i32_i24_e32 v15, 0xffffffec, v0
	v_add_nc_u32_e32 v14, v14, v15
	ds_read_b32 v14, v14
	s_waitcnt lgkmcnt(0)
	flat_store_short v[10:11], v14
.LBB1050_107:
	s_or_b32 exec_lo, exec_lo, s2
	v_or_b32_e32 v14, 64, v0
	s_mov_b32 s2, exec_lo
	v_cmpx_gt_u32_e64 s20, v14
	s_cbranch_execz .LBB1050_109
; %bb.108:
	s_waitcnt lgkmcnt(2)
	flat_store_short v[10:11], v12 offset:128
.LBB1050_109:
	s_or_b32 exec_lo, exec_lo, s2
	s_waitcnt lgkmcnt(2)
	v_or_b32_e32 v12, 0x80, v0
	s_mov_b32 s2, exec_lo
	v_cmpx_gt_u32_e64 s20, v12
	s_cbranch_execz .LBB1050_111
; %bb.110:
	flat_store_short v[10:11], v13 offset:256
.LBB1050_111:
	s_or_b32 exec_lo, exec_lo, s2
	v_or_b32_e32 v12, 0xc0, v0
	s_mov_b32 s2, exec_lo
	v_cmpx_gt_u32_e64 s20, v12
	s_cbranch_execz .LBB1050_113
; %bb.112:
	s_waitcnt lgkmcnt(1)
	flat_store_short v[10:11], v8 offset:384
.LBB1050_113:
	s_or_b32 exec_lo, exec_lo, s2
	s_waitcnt lgkmcnt(1)
	v_or_b32_e32 v8, 0x100, v0
	s_mov_b32 s2, exec_lo
	v_cmpx_gt_u32_e64 s20, v8
	s_cbranch_execz .LBB1050_115
; %bb.114:
	flat_store_short v[10:11], v9 offset:512
.LBB1050_115:
	s_or_b32 exec_lo, exec_lo, s2
	v_or_b32_e32 v8, 0x140, v0
	v_cmp_gt_u32_e64 s2, s20, v8
	s_branch .LBB1050_118
.LBB1050_116:
	s_mov_b32 s2, 0
                                        ; implicit-def: $vgpr7
	s_cbranch_execz .LBB1050_118
; %bb.117:
	v_mul_i32_i24_e32 v8, 0xffffffec, v0
	s_waitcnt lgkmcnt(0)
	v_mul_u32_u24_e32 v7, 24, v0
	s_waitcnt_vscnt null, 0x0
	s_barrier
	buffer_gl0_inv
	v_mad_u32_u24 v8, v0, 24, v8
	ds_write2_b64 v7, v[1:2], v[3:4] offset1:1
	ds_write_b64 v7, v[5:6] offset:16
	s_waitcnt lgkmcnt(0)
	s_barrier
	buffer_gl0_inv
	ds_read2st64_b32 v[1:2], v8 offset1:1
	ds_read2st64_b32 v[3:4], v8 offset0:2 offset1:3
	ds_read2st64_b32 v[6:7], v8 offset0:4 offset1:5
	v_add_co_u32 v8, s3, s0, v24
	v_add_co_ci_u32_e64 v9, null, s1, 0, s3
	s_or_b32 s2, s2, exec_lo
	s_waitcnt lgkmcnt(2)
	flat_store_short v[8:9], v1
	flat_store_short v[8:9], v2 offset:128
	s_waitcnt lgkmcnt(3)
	flat_store_short v[8:9], v3 offset:256
	flat_store_short v[8:9], v4 offset:384
	s_waitcnt lgkmcnt(4)
	flat_store_short v[8:9], v6 offset:512
.LBB1050_118:
	s_and_saveexec_b32 s3, s2
	s_cbranch_execnz .LBB1050_120
; %bb.119:
	s_endpgm
.LBB1050_120:
	v_lshlrev_b32_e32 v0, 1, v0
	v_add_co_u32 v0, s0, s0, v0
	v_add_co_ci_u32_e64 v1, null, s1, 0, s0
	s_waitcnt lgkmcnt(0)
	flat_store_short v[0:1], v7 offset:640
	s_endpgm
.LBB1050_121:
	v_add_co_u32 v2, s2, s7, v8
	v_add_co_ci_u32_e64 v3, null, s27, 0, s2
	v_mov_b32_e32 v10, v1
	v_mov_b32_e32 v11, v1
	;; [unrolled: 1-line block ×3, first 2 shown]
	flat_load_sshort v9, v[2:3]
	v_mov_b32_e32 v13, v1
	v_mov_b32_e32 v14, v1
	s_waitcnt vmcnt(0) lgkmcnt(0)
	v_mov_b32_e32 v1, v9
	v_mov_b32_e32 v2, v10
	;; [unrolled: 1-line block ×6, first 2 shown]
	s_or_b32 exec_lo, exec_lo, s5
	s_and_saveexec_b32 s2, vcc_lo
	s_cbranch_execz .LBB1050_17
.LBB1050_122:
	v_add_co_u32 v9, s5, s7, v8
	v_add_co_ci_u32_e64 v10, null, s27, 0, s5
	flat_load_sshort v2, v[9:10] offset:128
	s_or_b32 exec_lo, exec_lo, s2
	s_and_saveexec_b32 s2, s0
	s_cbranch_execz .LBB1050_18
.LBB1050_123:
	v_add_co_u32 v9, s0, s7, v8
	v_add_co_ci_u32_e64 v10, null, s27, 0, s0
	flat_load_sshort v3, v[9:10] offset:256
	s_or_b32 exec_lo, exec_lo, s2
	s_and_saveexec_b32 s0, s1
	s_cbranch_execz .LBB1050_19
.LBB1050_124:
	v_add_co_u32 v9, s1, s7, v8
	v_add_co_ci_u32_e64 v10, null, s27, 0, s1
	flat_load_sshort v4, v[9:10] offset:384
	s_or_b32 exec_lo, exec_lo, s0
	s_and_saveexec_b32 s0, s3
	s_cbranch_execz .LBB1050_20
.LBB1050_125:
	v_add_co_u32 v9, s1, s7, v8
	v_add_co_ci_u32_e64 v10, null, s27, 0, s1
	flat_load_sshort v5, v[9:10] offset:512
	s_or_b32 exec_lo, exec_lo, s0
	v_mul_u32_u24_e32 v24, 6, v0
	s_and_saveexec_b32 s0, s4
	s_cbranch_execnz .LBB1050_21
	s_branch .LBB1050_22
	.section	.rodata,"a",@progbits
	.p2align	6, 0x0
	.amdhsa_kernel _ZN7rocprim17ROCPRIM_400000_NS6detail17trampoline_kernelINS0_14default_configENS1_27scan_by_key_config_selectorIsiEEZZNS1_16scan_by_key_implILNS1_25lookback_scan_determinismE0ELb1ES3_N6thrust23THRUST_200600_302600_NS6detail15normal_iteratorINS9_10device_ptrIsEEEESE_SE_iNS9_4plusIvEENS9_8equal_toIvEEiEE10hipError_tPvRmT2_T3_T4_T5_mT6_T7_P12ihipStream_tbENKUlT_T0_E_clISt17integral_constantIbLb0EESZ_EEDaSU_SV_EUlSU_E_NS1_11comp_targetILNS1_3genE8ELNS1_11target_archE1030ELNS1_3gpuE2ELNS1_3repE0EEENS1_30default_config_static_selectorELNS0_4arch9wavefront6targetE0EEEvT1_
		.amdhsa_group_segment_fixed_size 1536
		.amdhsa_private_segment_fixed_size 0
		.amdhsa_kernarg_size 112
		.amdhsa_user_sgpr_count 6
		.amdhsa_user_sgpr_private_segment_buffer 1
		.amdhsa_user_sgpr_dispatch_ptr 0
		.amdhsa_user_sgpr_queue_ptr 0
		.amdhsa_user_sgpr_kernarg_segment_ptr 1
		.amdhsa_user_sgpr_dispatch_id 0
		.amdhsa_user_sgpr_flat_scratch_init 0
		.amdhsa_user_sgpr_private_segment_size 0
		.amdhsa_wavefront_size32 1
		.amdhsa_uses_dynamic_stack 0
		.amdhsa_system_sgpr_private_segment_wavefront_offset 0
		.amdhsa_system_sgpr_workgroup_id_x 1
		.amdhsa_system_sgpr_workgroup_id_y 0
		.amdhsa_system_sgpr_workgroup_id_z 0
		.amdhsa_system_sgpr_workgroup_info 0
		.amdhsa_system_vgpr_workitem_id 0
		.amdhsa_next_free_vgpr 44
		.amdhsa_next_free_sgpr 30
		.amdhsa_reserve_vcc 1
		.amdhsa_reserve_flat_scratch 1
		.amdhsa_float_round_mode_32 0
		.amdhsa_float_round_mode_16_64 0
		.amdhsa_float_denorm_mode_32 3
		.amdhsa_float_denorm_mode_16_64 3
		.amdhsa_dx10_clamp 1
		.amdhsa_ieee_mode 1
		.amdhsa_fp16_overflow 0
		.amdhsa_workgroup_processor_mode 1
		.amdhsa_memory_ordered 1
		.amdhsa_forward_progress 1
		.amdhsa_shared_vgpr_count 0
		.amdhsa_exception_fp_ieee_invalid_op 0
		.amdhsa_exception_fp_denorm_src 0
		.amdhsa_exception_fp_ieee_div_zero 0
		.amdhsa_exception_fp_ieee_overflow 0
		.amdhsa_exception_fp_ieee_underflow 0
		.amdhsa_exception_fp_ieee_inexact 0
		.amdhsa_exception_int_div_zero 0
	.end_amdhsa_kernel
	.section	.text._ZN7rocprim17ROCPRIM_400000_NS6detail17trampoline_kernelINS0_14default_configENS1_27scan_by_key_config_selectorIsiEEZZNS1_16scan_by_key_implILNS1_25lookback_scan_determinismE0ELb1ES3_N6thrust23THRUST_200600_302600_NS6detail15normal_iteratorINS9_10device_ptrIsEEEESE_SE_iNS9_4plusIvEENS9_8equal_toIvEEiEE10hipError_tPvRmT2_T3_T4_T5_mT6_T7_P12ihipStream_tbENKUlT_T0_E_clISt17integral_constantIbLb0EESZ_EEDaSU_SV_EUlSU_E_NS1_11comp_targetILNS1_3genE8ELNS1_11target_archE1030ELNS1_3gpuE2ELNS1_3repE0EEENS1_30default_config_static_selectorELNS0_4arch9wavefront6targetE0EEEvT1_,"axG",@progbits,_ZN7rocprim17ROCPRIM_400000_NS6detail17trampoline_kernelINS0_14default_configENS1_27scan_by_key_config_selectorIsiEEZZNS1_16scan_by_key_implILNS1_25lookback_scan_determinismE0ELb1ES3_N6thrust23THRUST_200600_302600_NS6detail15normal_iteratorINS9_10device_ptrIsEEEESE_SE_iNS9_4plusIvEENS9_8equal_toIvEEiEE10hipError_tPvRmT2_T3_T4_T5_mT6_T7_P12ihipStream_tbENKUlT_T0_E_clISt17integral_constantIbLb0EESZ_EEDaSU_SV_EUlSU_E_NS1_11comp_targetILNS1_3genE8ELNS1_11target_archE1030ELNS1_3gpuE2ELNS1_3repE0EEENS1_30default_config_static_selectorELNS0_4arch9wavefront6targetE0EEEvT1_,comdat
.Lfunc_end1050:
	.size	_ZN7rocprim17ROCPRIM_400000_NS6detail17trampoline_kernelINS0_14default_configENS1_27scan_by_key_config_selectorIsiEEZZNS1_16scan_by_key_implILNS1_25lookback_scan_determinismE0ELb1ES3_N6thrust23THRUST_200600_302600_NS6detail15normal_iteratorINS9_10device_ptrIsEEEESE_SE_iNS9_4plusIvEENS9_8equal_toIvEEiEE10hipError_tPvRmT2_T3_T4_T5_mT6_T7_P12ihipStream_tbENKUlT_T0_E_clISt17integral_constantIbLb0EESZ_EEDaSU_SV_EUlSU_E_NS1_11comp_targetILNS1_3genE8ELNS1_11target_archE1030ELNS1_3gpuE2ELNS1_3repE0EEENS1_30default_config_static_selectorELNS0_4arch9wavefront6targetE0EEEvT1_, .Lfunc_end1050-_ZN7rocprim17ROCPRIM_400000_NS6detail17trampoline_kernelINS0_14default_configENS1_27scan_by_key_config_selectorIsiEEZZNS1_16scan_by_key_implILNS1_25lookback_scan_determinismE0ELb1ES3_N6thrust23THRUST_200600_302600_NS6detail15normal_iteratorINS9_10device_ptrIsEEEESE_SE_iNS9_4plusIvEENS9_8equal_toIvEEiEE10hipError_tPvRmT2_T3_T4_T5_mT6_T7_P12ihipStream_tbENKUlT_T0_E_clISt17integral_constantIbLb0EESZ_EEDaSU_SV_EUlSU_E_NS1_11comp_targetILNS1_3genE8ELNS1_11target_archE1030ELNS1_3gpuE2ELNS1_3repE0EEENS1_30default_config_static_selectorELNS0_4arch9wavefront6targetE0EEEvT1_
                                        ; -- End function
	.set _ZN7rocprim17ROCPRIM_400000_NS6detail17trampoline_kernelINS0_14default_configENS1_27scan_by_key_config_selectorIsiEEZZNS1_16scan_by_key_implILNS1_25lookback_scan_determinismE0ELb1ES3_N6thrust23THRUST_200600_302600_NS6detail15normal_iteratorINS9_10device_ptrIsEEEESE_SE_iNS9_4plusIvEENS9_8equal_toIvEEiEE10hipError_tPvRmT2_T3_T4_T5_mT6_T7_P12ihipStream_tbENKUlT_T0_E_clISt17integral_constantIbLb0EESZ_EEDaSU_SV_EUlSU_E_NS1_11comp_targetILNS1_3genE8ELNS1_11target_archE1030ELNS1_3gpuE2ELNS1_3repE0EEENS1_30default_config_static_selectorELNS0_4arch9wavefront6targetE0EEEvT1_.num_vgpr, 44
	.set _ZN7rocprim17ROCPRIM_400000_NS6detail17trampoline_kernelINS0_14default_configENS1_27scan_by_key_config_selectorIsiEEZZNS1_16scan_by_key_implILNS1_25lookback_scan_determinismE0ELb1ES3_N6thrust23THRUST_200600_302600_NS6detail15normal_iteratorINS9_10device_ptrIsEEEESE_SE_iNS9_4plusIvEENS9_8equal_toIvEEiEE10hipError_tPvRmT2_T3_T4_T5_mT6_T7_P12ihipStream_tbENKUlT_T0_E_clISt17integral_constantIbLb0EESZ_EEDaSU_SV_EUlSU_E_NS1_11comp_targetILNS1_3genE8ELNS1_11target_archE1030ELNS1_3gpuE2ELNS1_3repE0EEENS1_30default_config_static_selectorELNS0_4arch9wavefront6targetE0EEEvT1_.num_agpr, 0
	.set _ZN7rocprim17ROCPRIM_400000_NS6detail17trampoline_kernelINS0_14default_configENS1_27scan_by_key_config_selectorIsiEEZZNS1_16scan_by_key_implILNS1_25lookback_scan_determinismE0ELb1ES3_N6thrust23THRUST_200600_302600_NS6detail15normal_iteratorINS9_10device_ptrIsEEEESE_SE_iNS9_4plusIvEENS9_8equal_toIvEEiEE10hipError_tPvRmT2_T3_T4_T5_mT6_T7_P12ihipStream_tbENKUlT_T0_E_clISt17integral_constantIbLb0EESZ_EEDaSU_SV_EUlSU_E_NS1_11comp_targetILNS1_3genE8ELNS1_11target_archE1030ELNS1_3gpuE2ELNS1_3repE0EEENS1_30default_config_static_selectorELNS0_4arch9wavefront6targetE0EEEvT1_.numbered_sgpr, 30
	.set _ZN7rocprim17ROCPRIM_400000_NS6detail17trampoline_kernelINS0_14default_configENS1_27scan_by_key_config_selectorIsiEEZZNS1_16scan_by_key_implILNS1_25lookback_scan_determinismE0ELb1ES3_N6thrust23THRUST_200600_302600_NS6detail15normal_iteratorINS9_10device_ptrIsEEEESE_SE_iNS9_4plusIvEENS9_8equal_toIvEEiEE10hipError_tPvRmT2_T3_T4_T5_mT6_T7_P12ihipStream_tbENKUlT_T0_E_clISt17integral_constantIbLb0EESZ_EEDaSU_SV_EUlSU_E_NS1_11comp_targetILNS1_3genE8ELNS1_11target_archE1030ELNS1_3gpuE2ELNS1_3repE0EEENS1_30default_config_static_selectorELNS0_4arch9wavefront6targetE0EEEvT1_.num_named_barrier, 0
	.set _ZN7rocprim17ROCPRIM_400000_NS6detail17trampoline_kernelINS0_14default_configENS1_27scan_by_key_config_selectorIsiEEZZNS1_16scan_by_key_implILNS1_25lookback_scan_determinismE0ELb1ES3_N6thrust23THRUST_200600_302600_NS6detail15normal_iteratorINS9_10device_ptrIsEEEESE_SE_iNS9_4plusIvEENS9_8equal_toIvEEiEE10hipError_tPvRmT2_T3_T4_T5_mT6_T7_P12ihipStream_tbENKUlT_T0_E_clISt17integral_constantIbLb0EESZ_EEDaSU_SV_EUlSU_E_NS1_11comp_targetILNS1_3genE8ELNS1_11target_archE1030ELNS1_3gpuE2ELNS1_3repE0EEENS1_30default_config_static_selectorELNS0_4arch9wavefront6targetE0EEEvT1_.private_seg_size, 0
	.set _ZN7rocprim17ROCPRIM_400000_NS6detail17trampoline_kernelINS0_14default_configENS1_27scan_by_key_config_selectorIsiEEZZNS1_16scan_by_key_implILNS1_25lookback_scan_determinismE0ELb1ES3_N6thrust23THRUST_200600_302600_NS6detail15normal_iteratorINS9_10device_ptrIsEEEESE_SE_iNS9_4plusIvEENS9_8equal_toIvEEiEE10hipError_tPvRmT2_T3_T4_T5_mT6_T7_P12ihipStream_tbENKUlT_T0_E_clISt17integral_constantIbLb0EESZ_EEDaSU_SV_EUlSU_E_NS1_11comp_targetILNS1_3genE8ELNS1_11target_archE1030ELNS1_3gpuE2ELNS1_3repE0EEENS1_30default_config_static_selectorELNS0_4arch9wavefront6targetE0EEEvT1_.uses_vcc, 1
	.set _ZN7rocprim17ROCPRIM_400000_NS6detail17trampoline_kernelINS0_14default_configENS1_27scan_by_key_config_selectorIsiEEZZNS1_16scan_by_key_implILNS1_25lookback_scan_determinismE0ELb1ES3_N6thrust23THRUST_200600_302600_NS6detail15normal_iteratorINS9_10device_ptrIsEEEESE_SE_iNS9_4plusIvEENS9_8equal_toIvEEiEE10hipError_tPvRmT2_T3_T4_T5_mT6_T7_P12ihipStream_tbENKUlT_T0_E_clISt17integral_constantIbLb0EESZ_EEDaSU_SV_EUlSU_E_NS1_11comp_targetILNS1_3genE8ELNS1_11target_archE1030ELNS1_3gpuE2ELNS1_3repE0EEENS1_30default_config_static_selectorELNS0_4arch9wavefront6targetE0EEEvT1_.uses_flat_scratch, 1
	.set _ZN7rocprim17ROCPRIM_400000_NS6detail17trampoline_kernelINS0_14default_configENS1_27scan_by_key_config_selectorIsiEEZZNS1_16scan_by_key_implILNS1_25lookback_scan_determinismE0ELb1ES3_N6thrust23THRUST_200600_302600_NS6detail15normal_iteratorINS9_10device_ptrIsEEEESE_SE_iNS9_4plusIvEENS9_8equal_toIvEEiEE10hipError_tPvRmT2_T3_T4_T5_mT6_T7_P12ihipStream_tbENKUlT_T0_E_clISt17integral_constantIbLb0EESZ_EEDaSU_SV_EUlSU_E_NS1_11comp_targetILNS1_3genE8ELNS1_11target_archE1030ELNS1_3gpuE2ELNS1_3repE0EEENS1_30default_config_static_selectorELNS0_4arch9wavefront6targetE0EEEvT1_.has_dyn_sized_stack, 0
	.set _ZN7rocprim17ROCPRIM_400000_NS6detail17trampoline_kernelINS0_14default_configENS1_27scan_by_key_config_selectorIsiEEZZNS1_16scan_by_key_implILNS1_25lookback_scan_determinismE0ELb1ES3_N6thrust23THRUST_200600_302600_NS6detail15normal_iteratorINS9_10device_ptrIsEEEESE_SE_iNS9_4plusIvEENS9_8equal_toIvEEiEE10hipError_tPvRmT2_T3_T4_T5_mT6_T7_P12ihipStream_tbENKUlT_T0_E_clISt17integral_constantIbLb0EESZ_EEDaSU_SV_EUlSU_E_NS1_11comp_targetILNS1_3genE8ELNS1_11target_archE1030ELNS1_3gpuE2ELNS1_3repE0EEENS1_30default_config_static_selectorELNS0_4arch9wavefront6targetE0EEEvT1_.has_recursion, 0
	.set _ZN7rocprim17ROCPRIM_400000_NS6detail17trampoline_kernelINS0_14default_configENS1_27scan_by_key_config_selectorIsiEEZZNS1_16scan_by_key_implILNS1_25lookback_scan_determinismE0ELb1ES3_N6thrust23THRUST_200600_302600_NS6detail15normal_iteratorINS9_10device_ptrIsEEEESE_SE_iNS9_4plusIvEENS9_8equal_toIvEEiEE10hipError_tPvRmT2_T3_T4_T5_mT6_T7_P12ihipStream_tbENKUlT_T0_E_clISt17integral_constantIbLb0EESZ_EEDaSU_SV_EUlSU_E_NS1_11comp_targetILNS1_3genE8ELNS1_11target_archE1030ELNS1_3gpuE2ELNS1_3repE0EEENS1_30default_config_static_selectorELNS0_4arch9wavefront6targetE0EEEvT1_.has_indirect_call, 0
	.section	.AMDGPU.csdata,"",@progbits
; Kernel info:
; codeLenInByte = 7684
; TotalNumSgprs: 32
; NumVgprs: 44
; ScratchSize: 0
; MemoryBound: 0
; FloatMode: 240
; IeeeMode: 1
; LDSByteSize: 1536 bytes/workgroup (compile time only)
; SGPRBlocks: 0
; VGPRBlocks: 5
; NumSGPRsForWavesPerEU: 32
; NumVGPRsForWavesPerEU: 44
; Occupancy: 16
; WaveLimiterHint : 1
; COMPUTE_PGM_RSRC2:SCRATCH_EN: 0
; COMPUTE_PGM_RSRC2:USER_SGPR: 6
; COMPUTE_PGM_RSRC2:TRAP_HANDLER: 0
; COMPUTE_PGM_RSRC2:TGID_X_EN: 1
; COMPUTE_PGM_RSRC2:TGID_Y_EN: 0
; COMPUTE_PGM_RSRC2:TGID_Z_EN: 0
; COMPUTE_PGM_RSRC2:TIDIG_COMP_CNT: 0
	.section	.text._ZN7rocprim17ROCPRIM_400000_NS6detail30init_device_scan_by_key_kernelINS1_19lookback_scan_stateINS0_5tupleIJibEEELb1ELb1EEEN6thrust23THRUST_200600_302600_NS6detail15normal_iteratorINS8_10device_ptrIsEEEEjNS1_16block_id_wrapperIjLb1EEEEEvT_jjPNSG_10value_typeET0_PNSt15iterator_traitsISJ_E10value_typeEmT1_T2_,"axG",@progbits,_ZN7rocprim17ROCPRIM_400000_NS6detail30init_device_scan_by_key_kernelINS1_19lookback_scan_stateINS0_5tupleIJibEEELb1ELb1EEEN6thrust23THRUST_200600_302600_NS6detail15normal_iteratorINS8_10device_ptrIsEEEEjNS1_16block_id_wrapperIjLb1EEEEEvT_jjPNSG_10value_typeET0_PNSt15iterator_traitsISJ_E10value_typeEmT1_T2_,comdat
	.protected	_ZN7rocprim17ROCPRIM_400000_NS6detail30init_device_scan_by_key_kernelINS1_19lookback_scan_stateINS0_5tupleIJibEEELb1ELb1EEEN6thrust23THRUST_200600_302600_NS6detail15normal_iteratorINS8_10device_ptrIsEEEEjNS1_16block_id_wrapperIjLb1EEEEEvT_jjPNSG_10value_typeET0_PNSt15iterator_traitsISJ_E10value_typeEmT1_T2_ ; -- Begin function _ZN7rocprim17ROCPRIM_400000_NS6detail30init_device_scan_by_key_kernelINS1_19lookback_scan_stateINS0_5tupleIJibEEELb1ELb1EEEN6thrust23THRUST_200600_302600_NS6detail15normal_iteratorINS8_10device_ptrIsEEEEjNS1_16block_id_wrapperIjLb1EEEEEvT_jjPNSG_10value_typeET0_PNSt15iterator_traitsISJ_E10value_typeEmT1_T2_
	.globl	_ZN7rocprim17ROCPRIM_400000_NS6detail30init_device_scan_by_key_kernelINS1_19lookback_scan_stateINS0_5tupleIJibEEELb1ELb1EEEN6thrust23THRUST_200600_302600_NS6detail15normal_iteratorINS8_10device_ptrIsEEEEjNS1_16block_id_wrapperIjLb1EEEEEvT_jjPNSG_10value_typeET0_PNSt15iterator_traitsISJ_E10value_typeEmT1_T2_
	.p2align	8
	.type	_ZN7rocprim17ROCPRIM_400000_NS6detail30init_device_scan_by_key_kernelINS1_19lookback_scan_stateINS0_5tupleIJibEEELb1ELb1EEEN6thrust23THRUST_200600_302600_NS6detail15normal_iteratorINS8_10device_ptrIsEEEEjNS1_16block_id_wrapperIjLb1EEEEEvT_jjPNSG_10value_typeET0_PNSt15iterator_traitsISJ_E10value_typeEmT1_T2_,@function
_ZN7rocprim17ROCPRIM_400000_NS6detail30init_device_scan_by_key_kernelINS1_19lookback_scan_stateINS0_5tupleIJibEEELb1ELb1EEEN6thrust23THRUST_200600_302600_NS6detail15normal_iteratorINS8_10device_ptrIsEEEEjNS1_16block_id_wrapperIjLb1EEEEEvT_jjPNSG_10value_typeET0_PNSt15iterator_traitsISJ_E10value_typeEmT1_T2_: ; @_ZN7rocprim17ROCPRIM_400000_NS6detail30init_device_scan_by_key_kernelINS1_19lookback_scan_stateINS0_5tupleIJibEEELb1ELb1EEEN6thrust23THRUST_200600_302600_NS6detail15normal_iteratorINS8_10device_ptrIsEEEEjNS1_16block_id_wrapperIjLb1EEEEEvT_jjPNSG_10value_typeET0_PNSt15iterator_traitsISJ_E10value_typeEmT1_T2_
; %bb.0:
	s_clause 0x2
	s_load_dword s0, s[4:5], 0x4c
	s_load_dwordx8 s[8:15], s[4:5], 0x0
	s_load_dword s7, s[4:5], 0x40
	s_waitcnt lgkmcnt(0)
	s_and_b32 s16, s0, 0xffff
	s_cmp_eq_u64 s[12:13], 0
	v_mad_u64_u32 v[4:5], null, s6, s16, v[0:1]
	s_cbranch_scc1 .LBB1051_10
; %bb.1:
	s_cmp_lt_u32 s11, s10
	s_mov_b32 s1, 0
	s_cselect_b32 s0, s11, 0
	s_mov_b32 s2, exec_lo
	v_cmpx_eq_u32_e64 s0, v4
	s_cbranch_execz .LBB1051_9
; %bb.2:
	s_add_i32 s0, s11, 32
	v_mov_b32_e32 v6, 0
	s_lshl_b64 s[0:1], s[0:1], 4
	s_mov_b32 s3, exec_lo
	s_add_u32 s0, s8, s0
	s_addc_u32 s1, s9, s1
	v_mov_b32_e32 v0, s0
	v_mov_b32_e32 v1, s1
	;;#ASMSTART
	global_load_dwordx4 v[0:3], v[0:1] off glc dlc	
s_waitcnt vmcnt(0)
	;;#ASMEND
	v_and_b32_e32 v5, 0xff, v2
	v_cmpx_eq_u64_e32 0, v[5:6]
	s_cbranch_execz .LBB1051_8
; %bb.3:
	v_mov_b32_e32 v8, s1
	v_mov_b32_e32 v7, s0
	s_mov_b32 s1, 1
	s_mov_b32 s0, 0
	.p2align	6
.LBB1051_4:                             ; =>This Loop Header: Depth=1
                                        ;     Child Loop BB1051_5 Depth 2
	s_mov_b32 s6, s1
.LBB1051_5:                             ;   Parent Loop BB1051_4 Depth=1
                                        ; =>  This Inner Loop Header: Depth=2
	s_add_i32 s6, s6, -1
	s_sleep 1
	s_cmp_eq_u32 s6, 0
	s_cbranch_scc0 .LBB1051_5
; %bb.6:                                ;   in Loop: Header=BB1051_4 Depth=1
	;;#ASMSTART
	global_load_dwordx4 v[0:3], v[7:8] off glc dlc	
s_waitcnt vmcnt(0)
	;;#ASMEND
	v_and_b32_e32 v5, 0xff, v2
	s_cmp_lt_u32 s1, 32
	s_cselect_b32 s6, -1, 0
	v_cmp_ne_u64_e32 vcc_lo, 0, v[5:6]
	s_cmp_lg_u32 s6, 0
	s_addc_u32 s1, s1, 0
	s_or_b32 s0, vcc_lo, s0
	s_andn2_b32 exec_lo, exec_lo, s0
	s_cbranch_execnz .LBB1051_4
; %bb.7:
	s_or_b32 exec_lo, exec_lo, s0
.LBB1051_8:
	s_or_b32 exec_lo, exec_lo, s3
	v_mov_b32_e32 v2, 0
	global_store_dword v2, v0, s[12:13]
	global_store_byte v2, v1, s[12:13] offset:4
.LBB1051_9:
	s_or_b32 exec_lo, exec_lo, s2
.LBB1051_10:
	s_mov_b32 s0, exec_lo
	v_cmpx_eq_u32_e32 0, v4
	s_cbranch_execz .LBB1051_12
; %bb.11:
	s_load_dwordx2 s[2:3], s[4:5], 0x38
	v_mov_b32_e32 v0, 0
	s_waitcnt lgkmcnt(0)
	global_store_dword v0, v0, s[2:3]
.LBB1051_12:
	s_or_b32 exec_lo, exec_lo, s0
	s_mov_b32 s0, exec_lo
	v_cmpx_gt_u32_e64 s10, v4
	s_cbranch_execz .LBB1051_14
; %bb.13:
	v_add_nc_u32_e32 v0, 32, v4
	v_mov_b32_e32 v1, 0
	v_lshlrev_b64 v[5:6], 4, v[0:1]
	v_mov_b32_e32 v0, v1
	v_mov_b32_e32 v2, v1
	;; [unrolled: 1-line block ×3, first 2 shown]
	v_add_co_u32 v5, vcc_lo, s8, v5
	v_add_co_ci_u32_e64 v6, null, s9, v6, vcc_lo
	global_store_dwordx4 v[5:6], v[0:3], off
.LBB1051_14:
	s_or_b32 exec_lo, exec_lo, s0
	v_mov_b32_e32 v5, 0
	s_mov_b32 s0, exec_lo
	v_cmpx_gt_u32_e32 32, v4
	s_cbranch_execz .LBB1051_16
; %bb.15:
	v_lshlrev_b64 v[6:7], 4, v[4:5]
	v_mov_b32_e32 v2, 0xff
	v_mov_b32_e32 v0, v5
	;; [unrolled: 1-line block ×4, first 2 shown]
	v_add_co_u32 v6, vcc_lo, s8, v6
	v_add_co_ci_u32_e64 v7, null, s9, v7, vcc_lo
	global_store_dwordx4 v[6:7], v[0:3], off
.LBB1051_16:
	s_or_b32 exec_lo, exec_lo, s0
	s_load_dwordx2 s[2:3], s[4:5], 0x28
	s_mov_b32 s0, exec_lo
	s_waitcnt lgkmcnt(0)
	v_cmpx_gt_u64_e64 s[2:3], v[4:5]
	s_cbranch_execz .LBB1051_19
; %bb.17:
	s_clause 0x1
	s_load_dword s6, s[4:5], 0x30
	s_load_dwordx2 s[8:9], s[4:5], 0x20
	s_mov_b32 s1, 0
	v_lshlrev_b64 v[2:3], 1, v[4:5]
	s_mul_i32 s4, s7, s16
	s_waitcnt lgkmcnt(0)
	v_mad_u64_u32 v[0:1], null, s6, v4, 0
	s_add_i32 s0, s6, -1
	s_mul_hi_u32 s7, s6, s4
	s_lshl_b64 s[10:11], s[0:1], 1
	s_mul_i32 s6, s6, s4
	s_add_u32 s0, s14, s10
	s_addc_u32 s5, s15, s11
	v_lshlrev_b64 v[0:1], 1, v[0:1]
	s_lshl_b64 s[6:7], s[6:7], 1
	v_add_co_u32 v0, vcc_lo, s0, v0
	v_add_co_ci_u32_e64 v1, null, s5, v1, vcc_lo
	v_add_co_u32 v2, vcc_lo, s8, v2
	v_add_co_ci_u32_e64 v3, null, s9, v3, vcc_lo
	s_mov_b32 s5, s1
	s_lshl_b64 s[8:9], s[4:5], 1
	.p2align	6
.LBB1051_18:                            ; =>This Inner Loop Header: Depth=1
	global_load_ushort v6, v[0:1], off
	v_add_co_u32 v4, vcc_lo, v4, s4
	v_add_co_ci_u32_e64 v5, null, 0, v5, vcc_lo
	v_add_co_u32 v0, vcc_lo, v0, s6
	v_add_co_ci_u32_e64 v1, null, s7, v1, vcc_lo
	v_cmp_le_u64_e32 vcc_lo, s[2:3], v[4:5]
	s_or_b32 s1, vcc_lo, s1
	s_waitcnt vmcnt(0)
	global_store_short v[2:3], v6, off
	v_add_co_u32 v2, s0, v2, s8
	v_add_co_ci_u32_e64 v3, null, s9, v3, s0
	s_andn2_b32 exec_lo, exec_lo, s1
	s_cbranch_execnz .LBB1051_18
.LBB1051_19:
	s_endpgm
	.section	.rodata,"a",@progbits
	.p2align	6, 0x0
	.amdhsa_kernel _ZN7rocprim17ROCPRIM_400000_NS6detail30init_device_scan_by_key_kernelINS1_19lookback_scan_stateINS0_5tupleIJibEEELb1ELb1EEEN6thrust23THRUST_200600_302600_NS6detail15normal_iteratorINS8_10device_ptrIsEEEEjNS1_16block_id_wrapperIjLb1EEEEEvT_jjPNSG_10value_typeET0_PNSt15iterator_traitsISJ_E10value_typeEmT1_T2_
		.amdhsa_group_segment_fixed_size 0
		.amdhsa_private_segment_fixed_size 0
		.amdhsa_kernarg_size 320
		.amdhsa_user_sgpr_count 6
		.amdhsa_user_sgpr_private_segment_buffer 1
		.amdhsa_user_sgpr_dispatch_ptr 0
		.amdhsa_user_sgpr_queue_ptr 0
		.amdhsa_user_sgpr_kernarg_segment_ptr 1
		.amdhsa_user_sgpr_dispatch_id 0
		.amdhsa_user_sgpr_flat_scratch_init 0
		.amdhsa_user_sgpr_private_segment_size 0
		.amdhsa_wavefront_size32 1
		.amdhsa_uses_dynamic_stack 0
		.amdhsa_system_sgpr_private_segment_wavefront_offset 0
		.amdhsa_system_sgpr_workgroup_id_x 1
		.amdhsa_system_sgpr_workgroup_id_y 0
		.amdhsa_system_sgpr_workgroup_id_z 0
		.amdhsa_system_sgpr_workgroup_info 0
		.amdhsa_system_vgpr_workitem_id 0
		.amdhsa_next_free_vgpr 9
		.amdhsa_next_free_sgpr 17
		.amdhsa_reserve_vcc 1
		.amdhsa_reserve_flat_scratch 0
		.amdhsa_float_round_mode_32 0
		.amdhsa_float_round_mode_16_64 0
		.amdhsa_float_denorm_mode_32 3
		.amdhsa_float_denorm_mode_16_64 3
		.amdhsa_dx10_clamp 1
		.amdhsa_ieee_mode 1
		.amdhsa_fp16_overflow 0
		.amdhsa_workgroup_processor_mode 1
		.amdhsa_memory_ordered 1
		.amdhsa_forward_progress 1
		.amdhsa_shared_vgpr_count 0
		.amdhsa_exception_fp_ieee_invalid_op 0
		.amdhsa_exception_fp_denorm_src 0
		.amdhsa_exception_fp_ieee_div_zero 0
		.amdhsa_exception_fp_ieee_overflow 0
		.amdhsa_exception_fp_ieee_underflow 0
		.amdhsa_exception_fp_ieee_inexact 0
		.amdhsa_exception_int_div_zero 0
	.end_amdhsa_kernel
	.section	.text._ZN7rocprim17ROCPRIM_400000_NS6detail30init_device_scan_by_key_kernelINS1_19lookback_scan_stateINS0_5tupleIJibEEELb1ELb1EEEN6thrust23THRUST_200600_302600_NS6detail15normal_iteratorINS8_10device_ptrIsEEEEjNS1_16block_id_wrapperIjLb1EEEEEvT_jjPNSG_10value_typeET0_PNSt15iterator_traitsISJ_E10value_typeEmT1_T2_,"axG",@progbits,_ZN7rocprim17ROCPRIM_400000_NS6detail30init_device_scan_by_key_kernelINS1_19lookback_scan_stateINS0_5tupleIJibEEELb1ELb1EEEN6thrust23THRUST_200600_302600_NS6detail15normal_iteratorINS8_10device_ptrIsEEEEjNS1_16block_id_wrapperIjLb1EEEEEvT_jjPNSG_10value_typeET0_PNSt15iterator_traitsISJ_E10value_typeEmT1_T2_,comdat
.Lfunc_end1051:
	.size	_ZN7rocprim17ROCPRIM_400000_NS6detail30init_device_scan_by_key_kernelINS1_19lookback_scan_stateINS0_5tupleIJibEEELb1ELb1EEEN6thrust23THRUST_200600_302600_NS6detail15normal_iteratorINS8_10device_ptrIsEEEEjNS1_16block_id_wrapperIjLb1EEEEEvT_jjPNSG_10value_typeET0_PNSt15iterator_traitsISJ_E10value_typeEmT1_T2_, .Lfunc_end1051-_ZN7rocprim17ROCPRIM_400000_NS6detail30init_device_scan_by_key_kernelINS1_19lookback_scan_stateINS0_5tupleIJibEEELb1ELb1EEEN6thrust23THRUST_200600_302600_NS6detail15normal_iteratorINS8_10device_ptrIsEEEEjNS1_16block_id_wrapperIjLb1EEEEEvT_jjPNSG_10value_typeET0_PNSt15iterator_traitsISJ_E10value_typeEmT1_T2_
                                        ; -- End function
	.set _ZN7rocprim17ROCPRIM_400000_NS6detail30init_device_scan_by_key_kernelINS1_19lookback_scan_stateINS0_5tupleIJibEEELb1ELb1EEEN6thrust23THRUST_200600_302600_NS6detail15normal_iteratorINS8_10device_ptrIsEEEEjNS1_16block_id_wrapperIjLb1EEEEEvT_jjPNSG_10value_typeET0_PNSt15iterator_traitsISJ_E10value_typeEmT1_T2_.num_vgpr, 9
	.set _ZN7rocprim17ROCPRIM_400000_NS6detail30init_device_scan_by_key_kernelINS1_19lookback_scan_stateINS0_5tupleIJibEEELb1ELb1EEEN6thrust23THRUST_200600_302600_NS6detail15normal_iteratorINS8_10device_ptrIsEEEEjNS1_16block_id_wrapperIjLb1EEEEEvT_jjPNSG_10value_typeET0_PNSt15iterator_traitsISJ_E10value_typeEmT1_T2_.num_agpr, 0
	.set _ZN7rocprim17ROCPRIM_400000_NS6detail30init_device_scan_by_key_kernelINS1_19lookback_scan_stateINS0_5tupleIJibEEELb1ELb1EEEN6thrust23THRUST_200600_302600_NS6detail15normal_iteratorINS8_10device_ptrIsEEEEjNS1_16block_id_wrapperIjLb1EEEEEvT_jjPNSG_10value_typeET0_PNSt15iterator_traitsISJ_E10value_typeEmT1_T2_.numbered_sgpr, 17
	.set _ZN7rocprim17ROCPRIM_400000_NS6detail30init_device_scan_by_key_kernelINS1_19lookback_scan_stateINS0_5tupleIJibEEELb1ELb1EEEN6thrust23THRUST_200600_302600_NS6detail15normal_iteratorINS8_10device_ptrIsEEEEjNS1_16block_id_wrapperIjLb1EEEEEvT_jjPNSG_10value_typeET0_PNSt15iterator_traitsISJ_E10value_typeEmT1_T2_.num_named_barrier, 0
	.set _ZN7rocprim17ROCPRIM_400000_NS6detail30init_device_scan_by_key_kernelINS1_19lookback_scan_stateINS0_5tupleIJibEEELb1ELb1EEEN6thrust23THRUST_200600_302600_NS6detail15normal_iteratorINS8_10device_ptrIsEEEEjNS1_16block_id_wrapperIjLb1EEEEEvT_jjPNSG_10value_typeET0_PNSt15iterator_traitsISJ_E10value_typeEmT1_T2_.private_seg_size, 0
	.set _ZN7rocprim17ROCPRIM_400000_NS6detail30init_device_scan_by_key_kernelINS1_19lookback_scan_stateINS0_5tupleIJibEEELb1ELb1EEEN6thrust23THRUST_200600_302600_NS6detail15normal_iteratorINS8_10device_ptrIsEEEEjNS1_16block_id_wrapperIjLb1EEEEEvT_jjPNSG_10value_typeET0_PNSt15iterator_traitsISJ_E10value_typeEmT1_T2_.uses_vcc, 1
	.set _ZN7rocprim17ROCPRIM_400000_NS6detail30init_device_scan_by_key_kernelINS1_19lookback_scan_stateINS0_5tupleIJibEEELb1ELb1EEEN6thrust23THRUST_200600_302600_NS6detail15normal_iteratorINS8_10device_ptrIsEEEEjNS1_16block_id_wrapperIjLb1EEEEEvT_jjPNSG_10value_typeET0_PNSt15iterator_traitsISJ_E10value_typeEmT1_T2_.uses_flat_scratch, 0
	.set _ZN7rocprim17ROCPRIM_400000_NS6detail30init_device_scan_by_key_kernelINS1_19lookback_scan_stateINS0_5tupleIJibEEELb1ELb1EEEN6thrust23THRUST_200600_302600_NS6detail15normal_iteratorINS8_10device_ptrIsEEEEjNS1_16block_id_wrapperIjLb1EEEEEvT_jjPNSG_10value_typeET0_PNSt15iterator_traitsISJ_E10value_typeEmT1_T2_.has_dyn_sized_stack, 0
	.set _ZN7rocprim17ROCPRIM_400000_NS6detail30init_device_scan_by_key_kernelINS1_19lookback_scan_stateINS0_5tupleIJibEEELb1ELb1EEEN6thrust23THRUST_200600_302600_NS6detail15normal_iteratorINS8_10device_ptrIsEEEEjNS1_16block_id_wrapperIjLb1EEEEEvT_jjPNSG_10value_typeET0_PNSt15iterator_traitsISJ_E10value_typeEmT1_T2_.has_recursion, 0
	.set _ZN7rocprim17ROCPRIM_400000_NS6detail30init_device_scan_by_key_kernelINS1_19lookback_scan_stateINS0_5tupleIJibEEELb1ELb1EEEN6thrust23THRUST_200600_302600_NS6detail15normal_iteratorINS8_10device_ptrIsEEEEjNS1_16block_id_wrapperIjLb1EEEEEvT_jjPNSG_10value_typeET0_PNSt15iterator_traitsISJ_E10value_typeEmT1_T2_.has_indirect_call, 0
	.section	.AMDGPU.csdata,"",@progbits
; Kernel info:
; codeLenInByte = 792
; TotalNumSgprs: 19
; NumVgprs: 9
; ScratchSize: 0
; MemoryBound: 0
; FloatMode: 240
; IeeeMode: 1
; LDSByteSize: 0 bytes/workgroup (compile time only)
; SGPRBlocks: 0
; VGPRBlocks: 1
; NumSGPRsForWavesPerEU: 19
; NumVGPRsForWavesPerEU: 9
; Occupancy: 16
; WaveLimiterHint : 0
; COMPUTE_PGM_RSRC2:SCRATCH_EN: 0
; COMPUTE_PGM_RSRC2:USER_SGPR: 6
; COMPUTE_PGM_RSRC2:TRAP_HANDLER: 0
; COMPUTE_PGM_RSRC2:TGID_X_EN: 1
; COMPUTE_PGM_RSRC2:TGID_Y_EN: 0
; COMPUTE_PGM_RSRC2:TGID_Z_EN: 0
; COMPUTE_PGM_RSRC2:TIDIG_COMP_CNT: 0
	.section	.text._ZN7rocprim17ROCPRIM_400000_NS6detail17trampoline_kernelINS0_14default_configENS1_27scan_by_key_config_selectorIsiEEZZNS1_16scan_by_key_implILNS1_25lookback_scan_determinismE0ELb1ES3_N6thrust23THRUST_200600_302600_NS6detail15normal_iteratorINS9_10device_ptrIsEEEESE_SE_iNS9_4plusIvEENS9_8equal_toIvEEiEE10hipError_tPvRmT2_T3_T4_T5_mT6_T7_P12ihipStream_tbENKUlT_T0_E_clISt17integral_constantIbLb1EESZ_EEDaSU_SV_EUlSU_E_NS1_11comp_targetILNS1_3genE0ELNS1_11target_archE4294967295ELNS1_3gpuE0ELNS1_3repE0EEENS1_30default_config_static_selectorELNS0_4arch9wavefront6targetE0EEEvT1_,"axG",@progbits,_ZN7rocprim17ROCPRIM_400000_NS6detail17trampoline_kernelINS0_14default_configENS1_27scan_by_key_config_selectorIsiEEZZNS1_16scan_by_key_implILNS1_25lookback_scan_determinismE0ELb1ES3_N6thrust23THRUST_200600_302600_NS6detail15normal_iteratorINS9_10device_ptrIsEEEESE_SE_iNS9_4plusIvEENS9_8equal_toIvEEiEE10hipError_tPvRmT2_T3_T4_T5_mT6_T7_P12ihipStream_tbENKUlT_T0_E_clISt17integral_constantIbLb1EESZ_EEDaSU_SV_EUlSU_E_NS1_11comp_targetILNS1_3genE0ELNS1_11target_archE4294967295ELNS1_3gpuE0ELNS1_3repE0EEENS1_30default_config_static_selectorELNS0_4arch9wavefront6targetE0EEEvT1_,comdat
	.protected	_ZN7rocprim17ROCPRIM_400000_NS6detail17trampoline_kernelINS0_14default_configENS1_27scan_by_key_config_selectorIsiEEZZNS1_16scan_by_key_implILNS1_25lookback_scan_determinismE0ELb1ES3_N6thrust23THRUST_200600_302600_NS6detail15normal_iteratorINS9_10device_ptrIsEEEESE_SE_iNS9_4plusIvEENS9_8equal_toIvEEiEE10hipError_tPvRmT2_T3_T4_T5_mT6_T7_P12ihipStream_tbENKUlT_T0_E_clISt17integral_constantIbLb1EESZ_EEDaSU_SV_EUlSU_E_NS1_11comp_targetILNS1_3genE0ELNS1_11target_archE4294967295ELNS1_3gpuE0ELNS1_3repE0EEENS1_30default_config_static_selectorELNS0_4arch9wavefront6targetE0EEEvT1_ ; -- Begin function _ZN7rocprim17ROCPRIM_400000_NS6detail17trampoline_kernelINS0_14default_configENS1_27scan_by_key_config_selectorIsiEEZZNS1_16scan_by_key_implILNS1_25lookback_scan_determinismE0ELb1ES3_N6thrust23THRUST_200600_302600_NS6detail15normal_iteratorINS9_10device_ptrIsEEEESE_SE_iNS9_4plusIvEENS9_8equal_toIvEEiEE10hipError_tPvRmT2_T3_T4_T5_mT6_T7_P12ihipStream_tbENKUlT_T0_E_clISt17integral_constantIbLb1EESZ_EEDaSU_SV_EUlSU_E_NS1_11comp_targetILNS1_3genE0ELNS1_11target_archE4294967295ELNS1_3gpuE0ELNS1_3repE0EEENS1_30default_config_static_selectorELNS0_4arch9wavefront6targetE0EEEvT1_
	.globl	_ZN7rocprim17ROCPRIM_400000_NS6detail17trampoline_kernelINS0_14default_configENS1_27scan_by_key_config_selectorIsiEEZZNS1_16scan_by_key_implILNS1_25lookback_scan_determinismE0ELb1ES3_N6thrust23THRUST_200600_302600_NS6detail15normal_iteratorINS9_10device_ptrIsEEEESE_SE_iNS9_4plusIvEENS9_8equal_toIvEEiEE10hipError_tPvRmT2_T3_T4_T5_mT6_T7_P12ihipStream_tbENKUlT_T0_E_clISt17integral_constantIbLb1EESZ_EEDaSU_SV_EUlSU_E_NS1_11comp_targetILNS1_3genE0ELNS1_11target_archE4294967295ELNS1_3gpuE0ELNS1_3repE0EEENS1_30default_config_static_selectorELNS0_4arch9wavefront6targetE0EEEvT1_
	.p2align	8
	.type	_ZN7rocprim17ROCPRIM_400000_NS6detail17trampoline_kernelINS0_14default_configENS1_27scan_by_key_config_selectorIsiEEZZNS1_16scan_by_key_implILNS1_25lookback_scan_determinismE0ELb1ES3_N6thrust23THRUST_200600_302600_NS6detail15normal_iteratorINS9_10device_ptrIsEEEESE_SE_iNS9_4plusIvEENS9_8equal_toIvEEiEE10hipError_tPvRmT2_T3_T4_T5_mT6_T7_P12ihipStream_tbENKUlT_T0_E_clISt17integral_constantIbLb1EESZ_EEDaSU_SV_EUlSU_E_NS1_11comp_targetILNS1_3genE0ELNS1_11target_archE4294967295ELNS1_3gpuE0ELNS1_3repE0EEENS1_30default_config_static_selectorELNS0_4arch9wavefront6targetE0EEEvT1_,@function
_ZN7rocprim17ROCPRIM_400000_NS6detail17trampoline_kernelINS0_14default_configENS1_27scan_by_key_config_selectorIsiEEZZNS1_16scan_by_key_implILNS1_25lookback_scan_determinismE0ELb1ES3_N6thrust23THRUST_200600_302600_NS6detail15normal_iteratorINS9_10device_ptrIsEEEESE_SE_iNS9_4plusIvEENS9_8equal_toIvEEiEE10hipError_tPvRmT2_T3_T4_T5_mT6_T7_P12ihipStream_tbENKUlT_T0_E_clISt17integral_constantIbLb1EESZ_EEDaSU_SV_EUlSU_E_NS1_11comp_targetILNS1_3genE0ELNS1_11target_archE4294967295ELNS1_3gpuE0ELNS1_3repE0EEENS1_30default_config_static_selectorELNS0_4arch9wavefront6targetE0EEEvT1_: ; @_ZN7rocprim17ROCPRIM_400000_NS6detail17trampoline_kernelINS0_14default_configENS1_27scan_by_key_config_selectorIsiEEZZNS1_16scan_by_key_implILNS1_25lookback_scan_determinismE0ELb1ES3_N6thrust23THRUST_200600_302600_NS6detail15normal_iteratorINS9_10device_ptrIsEEEESE_SE_iNS9_4plusIvEENS9_8equal_toIvEEiEE10hipError_tPvRmT2_T3_T4_T5_mT6_T7_P12ihipStream_tbENKUlT_T0_E_clISt17integral_constantIbLb1EESZ_EEDaSU_SV_EUlSU_E_NS1_11comp_targetILNS1_3genE0ELNS1_11target_archE4294967295ELNS1_3gpuE0ELNS1_3repE0EEENS1_30default_config_static_selectorELNS0_4arch9wavefront6targetE0EEEvT1_
; %bb.0:
	.section	.rodata,"a",@progbits
	.p2align	6, 0x0
	.amdhsa_kernel _ZN7rocprim17ROCPRIM_400000_NS6detail17trampoline_kernelINS0_14default_configENS1_27scan_by_key_config_selectorIsiEEZZNS1_16scan_by_key_implILNS1_25lookback_scan_determinismE0ELb1ES3_N6thrust23THRUST_200600_302600_NS6detail15normal_iteratorINS9_10device_ptrIsEEEESE_SE_iNS9_4plusIvEENS9_8equal_toIvEEiEE10hipError_tPvRmT2_T3_T4_T5_mT6_T7_P12ihipStream_tbENKUlT_T0_E_clISt17integral_constantIbLb1EESZ_EEDaSU_SV_EUlSU_E_NS1_11comp_targetILNS1_3genE0ELNS1_11target_archE4294967295ELNS1_3gpuE0ELNS1_3repE0EEENS1_30default_config_static_selectorELNS0_4arch9wavefront6targetE0EEEvT1_
		.amdhsa_group_segment_fixed_size 0
		.amdhsa_private_segment_fixed_size 0
		.amdhsa_kernarg_size 112
		.amdhsa_user_sgpr_count 6
		.amdhsa_user_sgpr_private_segment_buffer 1
		.amdhsa_user_sgpr_dispatch_ptr 0
		.amdhsa_user_sgpr_queue_ptr 0
		.amdhsa_user_sgpr_kernarg_segment_ptr 1
		.amdhsa_user_sgpr_dispatch_id 0
		.amdhsa_user_sgpr_flat_scratch_init 0
		.amdhsa_user_sgpr_private_segment_size 0
		.amdhsa_wavefront_size32 1
		.amdhsa_uses_dynamic_stack 0
		.amdhsa_system_sgpr_private_segment_wavefront_offset 0
		.amdhsa_system_sgpr_workgroup_id_x 1
		.amdhsa_system_sgpr_workgroup_id_y 0
		.amdhsa_system_sgpr_workgroup_id_z 0
		.amdhsa_system_sgpr_workgroup_info 0
		.amdhsa_system_vgpr_workitem_id 0
		.amdhsa_next_free_vgpr 1
		.amdhsa_next_free_sgpr 1
		.amdhsa_reserve_vcc 0
		.amdhsa_reserve_flat_scratch 0
		.amdhsa_float_round_mode_32 0
		.amdhsa_float_round_mode_16_64 0
		.amdhsa_float_denorm_mode_32 3
		.amdhsa_float_denorm_mode_16_64 3
		.amdhsa_dx10_clamp 1
		.amdhsa_ieee_mode 1
		.amdhsa_fp16_overflow 0
		.amdhsa_workgroup_processor_mode 1
		.amdhsa_memory_ordered 1
		.amdhsa_forward_progress 1
		.amdhsa_shared_vgpr_count 0
		.amdhsa_exception_fp_ieee_invalid_op 0
		.amdhsa_exception_fp_denorm_src 0
		.amdhsa_exception_fp_ieee_div_zero 0
		.amdhsa_exception_fp_ieee_overflow 0
		.amdhsa_exception_fp_ieee_underflow 0
		.amdhsa_exception_fp_ieee_inexact 0
		.amdhsa_exception_int_div_zero 0
	.end_amdhsa_kernel
	.section	.text._ZN7rocprim17ROCPRIM_400000_NS6detail17trampoline_kernelINS0_14default_configENS1_27scan_by_key_config_selectorIsiEEZZNS1_16scan_by_key_implILNS1_25lookback_scan_determinismE0ELb1ES3_N6thrust23THRUST_200600_302600_NS6detail15normal_iteratorINS9_10device_ptrIsEEEESE_SE_iNS9_4plusIvEENS9_8equal_toIvEEiEE10hipError_tPvRmT2_T3_T4_T5_mT6_T7_P12ihipStream_tbENKUlT_T0_E_clISt17integral_constantIbLb1EESZ_EEDaSU_SV_EUlSU_E_NS1_11comp_targetILNS1_3genE0ELNS1_11target_archE4294967295ELNS1_3gpuE0ELNS1_3repE0EEENS1_30default_config_static_selectorELNS0_4arch9wavefront6targetE0EEEvT1_,"axG",@progbits,_ZN7rocprim17ROCPRIM_400000_NS6detail17trampoline_kernelINS0_14default_configENS1_27scan_by_key_config_selectorIsiEEZZNS1_16scan_by_key_implILNS1_25lookback_scan_determinismE0ELb1ES3_N6thrust23THRUST_200600_302600_NS6detail15normal_iteratorINS9_10device_ptrIsEEEESE_SE_iNS9_4plusIvEENS9_8equal_toIvEEiEE10hipError_tPvRmT2_T3_T4_T5_mT6_T7_P12ihipStream_tbENKUlT_T0_E_clISt17integral_constantIbLb1EESZ_EEDaSU_SV_EUlSU_E_NS1_11comp_targetILNS1_3genE0ELNS1_11target_archE4294967295ELNS1_3gpuE0ELNS1_3repE0EEENS1_30default_config_static_selectorELNS0_4arch9wavefront6targetE0EEEvT1_,comdat
.Lfunc_end1052:
	.size	_ZN7rocprim17ROCPRIM_400000_NS6detail17trampoline_kernelINS0_14default_configENS1_27scan_by_key_config_selectorIsiEEZZNS1_16scan_by_key_implILNS1_25lookback_scan_determinismE0ELb1ES3_N6thrust23THRUST_200600_302600_NS6detail15normal_iteratorINS9_10device_ptrIsEEEESE_SE_iNS9_4plusIvEENS9_8equal_toIvEEiEE10hipError_tPvRmT2_T3_T4_T5_mT6_T7_P12ihipStream_tbENKUlT_T0_E_clISt17integral_constantIbLb1EESZ_EEDaSU_SV_EUlSU_E_NS1_11comp_targetILNS1_3genE0ELNS1_11target_archE4294967295ELNS1_3gpuE0ELNS1_3repE0EEENS1_30default_config_static_selectorELNS0_4arch9wavefront6targetE0EEEvT1_, .Lfunc_end1052-_ZN7rocprim17ROCPRIM_400000_NS6detail17trampoline_kernelINS0_14default_configENS1_27scan_by_key_config_selectorIsiEEZZNS1_16scan_by_key_implILNS1_25lookback_scan_determinismE0ELb1ES3_N6thrust23THRUST_200600_302600_NS6detail15normal_iteratorINS9_10device_ptrIsEEEESE_SE_iNS9_4plusIvEENS9_8equal_toIvEEiEE10hipError_tPvRmT2_T3_T4_T5_mT6_T7_P12ihipStream_tbENKUlT_T0_E_clISt17integral_constantIbLb1EESZ_EEDaSU_SV_EUlSU_E_NS1_11comp_targetILNS1_3genE0ELNS1_11target_archE4294967295ELNS1_3gpuE0ELNS1_3repE0EEENS1_30default_config_static_selectorELNS0_4arch9wavefront6targetE0EEEvT1_
                                        ; -- End function
	.set _ZN7rocprim17ROCPRIM_400000_NS6detail17trampoline_kernelINS0_14default_configENS1_27scan_by_key_config_selectorIsiEEZZNS1_16scan_by_key_implILNS1_25lookback_scan_determinismE0ELb1ES3_N6thrust23THRUST_200600_302600_NS6detail15normal_iteratorINS9_10device_ptrIsEEEESE_SE_iNS9_4plusIvEENS9_8equal_toIvEEiEE10hipError_tPvRmT2_T3_T4_T5_mT6_T7_P12ihipStream_tbENKUlT_T0_E_clISt17integral_constantIbLb1EESZ_EEDaSU_SV_EUlSU_E_NS1_11comp_targetILNS1_3genE0ELNS1_11target_archE4294967295ELNS1_3gpuE0ELNS1_3repE0EEENS1_30default_config_static_selectorELNS0_4arch9wavefront6targetE0EEEvT1_.num_vgpr, 0
	.set _ZN7rocprim17ROCPRIM_400000_NS6detail17trampoline_kernelINS0_14default_configENS1_27scan_by_key_config_selectorIsiEEZZNS1_16scan_by_key_implILNS1_25lookback_scan_determinismE0ELb1ES3_N6thrust23THRUST_200600_302600_NS6detail15normal_iteratorINS9_10device_ptrIsEEEESE_SE_iNS9_4plusIvEENS9_8equal_toIvEEiEE10hipError_tPvRmT2_T3_T4_T5_mT6_T7_P12ihipStream_tbENKUlT_T0_E_clISt17integral_constantIbLb1EESZ_EEDaSU_SV_EUlSU_E_NS1_11comp_targetILNS1_3genE0ELNS1_11target_archE4294967295ELNS1_3gpuE0ELNS1_3repE0EEENS1_30default_config_static_selectorELNS0_4arch9wavefront6targetE0EEEvT1_.num_agpr, 0
	.set _ZN7rocprim17ROCPRIM_400000_NS6detail17trampoline_kernelINS0_14default_configENS1_27scan_by_key_config_selectorIsiEEZZNS1_16scan_by_key_implILNS1_25lookback_scan_determinismE0ELb1ES3_N6thrust23THRUST_200600_302600_NS6detail15normal_iteratorINS9_10device_ptrIsEEEESE_SE_iNS9_4plusIvEENS9_8equal_toIvEEiEE10hipError_tPvRmT2_T3_T4_T5_mT6_T7_P12ihipStream_tbENKUlT_T0_E_clISt17integral_constantIbLb1EESZ_EEDaSU_SV_EUlSU_E_NS1_11comp_targetILNS1_3genE0ELNS1_11target_archE4294967295ELNS1_3gpuE0ELNS1_3repE0EEENS1_30default_config_static_selectorELNS0_4arch9wavefront6targetE0EEEvT1_.numbered_sgpr, 0
	.set _ZN7rocprim17ROCPRIM_400000_NS6detail17trampoline_kernelINS0_14default_configENS1_27scan_by_key_config_selectorIsiEEZZNS1_16scan_by_key_implILNS1_25lookback_scan_determinismE0ELb1ES3_N6thrust23THRUST_200600_302600_NS6detail15normal_iteratorINS9_10device_ptrIsEEEESE_SE_iNS9_4plusIvEENS9_8equal_toIvEEiEE10hipError_tPvRmT2_T3_T4_T5_mT6_T7_P12ihipStream_tbENKUlT_T0_E_clISt17integral_constantIbLb1EESZ_EEDaSU_SV_EUlSU_E_NS1_11comp_targetILNS1_3genE0ELNS1_11target_archE4294967295ELNS1_3gpuE0ELNS1_3repE0EEENS1_30default_config_static_selectorELNS0_4arch9wavefront6targetE0EEEvT1_.num_named_barrier, 0
	.set _ZN7rocprim17ROCPRIM_400000_NS6detail17trampoline_kernelINS0_14default_configENS1_27scan_by_key_config_selectorIsiEEZZNS1_16scan_by_key_implILNS1_25lookback_scan_determinismE0ELb1ES3_N6thrust23THRUST_200600_302600_NS6detail15normal_iteratorINS9_10device_ptrIsEEEESE_SE_iNS9_4plusIvEENS9_8equal_toIvEEiEE10hipError_tPvRmT2_T3_T4_T5_mT6_T7_P12ihipStream_tbENKUlT_T0_E_clISt17integral_constantIbLb1EESZ_EEDaSU_SV_EUlSU_E_NS1_11comp_targetILNS1_3genE0ELNS1_11target_archE4294967295ELNS1_3gpuE0ELNS1_3repE0EEENS1_30default_config_static_selectorELNS0_4arch9wavefront6targetE0EEEvT1_.private_seg_size, 0
	.set _ZN7rocprim17ROCPRIM_400000_NS6detail17trampoline_kernelINS0_14default_configENS1_27scan_by_key_config_selectorIsiEEZZNS1_16scan_by_key_implILNS1_25lookback_scan_determinismE0ELb1ES3_N6thrust23THRUST_200600_302600_NS6detail15normal_iteratorINS9_10device_ptrIsEEEESE_SE_iNS9_4plusIvEENS9_8equal_toIvEEiEE10hipError_tPvRmT2_T3_T4_T5_mT6_T7_P12ihipStream_tbENKUlT_T0_E_clISt17integral_constantIbLb1EESZ_EEDaSU_SV_EUlSU_E_NS1_11comp_targetILNS1_3genE0ELNS1_11target_archE4294967295ELNS1_3gpuE0ELNS1_3repE0EEENS1_30default_config_static_selectorELNS0_4arch9wavefront6targetE0EEEvT1_.uses_vcc, 0
	.set _ZN7rocprim17ROCPRIM_400000_NS6detail17trampoline_kernelINS0_14default_configENS1_27scan_by_key_config_selectorIsiEEZZNS1_16scan_by_key_implILNS1_25lookback_scan_determinismE0ELb1ES3_N6thrust23THRUST_200600_302600_NS6detail15normal_iteratorINS9_10device_ptrIsEEEESE_SE_iNS9_4plusIvEENS9_8equal_toIvEEiEE10hipError_tPvRmT2_T3_T4_T5_mT6_T7_P12ihipStream_tbENKUlT_T0_E_clISt17integral_constantIbLb1EESZ_EEDaSU_SV_EUlSU_E_NS1_11comp_targetILNS1_3genE0ELNS1_11target_archE4294967295ELNS1_3gpuE0ELNS1_3repE0EEENS1_30default_config_static_selectorELNS0_4arch9wavefront6targetE0EEEvT1_.uses_flat_scratch, 0
	.set _ZN7rocprim17ROCPRIM_400000_NS6detail17trampoline_kernelINS0_14default_configENS1_27scan_by_key_config_selectorIsiEEZZNS1_16scan_by_key_implILNS1_25lookback_scan_determinismE0ELb1ES3_N6thrust23THRUST_200600_302600_NS6detail15normal_iteratorINS9_10device_ptrIsEEEESE_SE_iNS9_4plusIvEENS9_8equal_toIvEEiEE10hipError_tPvRmT2_T3_T4_T5_mT6_T7_P12ihipStream_tbENKUlT_T0_E_clISt17integral_constantIbLb1EESZ_EEDaSU_SV_EUlSU_E_NS1_11comp_targetILNS1_3genE0ELNS1_11target_archE4294967295ELNS1_3gpuE0ELNS1_3repE0EEENS1_30default_config_static_selectorELNS0_4arch9wavefront6targetE0EEEvT1_.has_dyn_sized_stack, 0
	.set _ZN7rocprim17ROCPRIM_400000_NS6detail17trampoline_kernelINS0_14default_configENS1_27scan_by_key_config_selectorIsiEEZZNS1_16scan_by_key_implILNS1_25lookback_scan_determinismE0ELb1ES3_N6thrust23THRUST_200600_302600_NS6detail15normal_iteratorINS9_10device_ptrIsEEEESE_SE_iNS9_4plusIvEENS9_8equal_toIvEEiEE10hipError_tPvRmT2_T3_T4_T5_mT6_T7_P12ihipStream_tbENKUlT_T0_E_clISt17integral_constantIbLb1EESZ_EEDaSU_SV_EUlSU_E_NS1_11comp_targetILNS1_3genE0ELNS1_11target_archE4294967295ELNS1_3gpuE0ELNS1_3repE0EEENS1_30default_config_static_selectorELNS0_4arch9wavefront6targetE0EEEvT1_.has_recursion, 0
	.set _ZN7rocprim17ROCPRIM_400000_NS6detail17trampoline_kernelINS0_14default_configENS1_27scan_by_key_config_selectorIsiEEZZNS1_16scan_by_key_implILNS1_25lookback_scan_determinismE0ELb1ES3_N6thrust23THRUST_200600_302600_NS6detail15normal_iteratorINS9_10device_ptrIsEEEESE_SE_iNS9_4plusIvEENS9_8equal_toIvEEiEE10hipError_tPvRmT2_T3_T4_T5_mT6_T7_P12ihipStream_tbENKUlT_T0_E_clISt17integral_constantIbLb1EESZ_EEDaSU_SV_EUlSU_E_NS1_11comp_targetILNS1_3genE0ELNS1_11target_archE4294967295ELNS1_3gpuE0ELNS1_3repE0EEENS1_30default_config_static_selectorELNS0_4arch9wavefront6targetE0EEEvT1_.has_indirect_call, 0
	.section	.AMDGPU.csdata,"",@progbits
; Kernel info:
; codeLenInByte = 0
; TotalNumSgprs: 0
; NumVgprs: 0
; ScratchSize: 0
; MemoryBound: 0
; FloatMode: 240
; IeeeMode: 1
; LDSByteSize: 0 bytes/workgroup (compile time only)
; SGPRBlocks: 0
; VGPRBlocks: 0
; NumSGPRsForWavesPerEU: 1
; NumVGPRsForWavesPerEU: 1
; Occupancy: 16
; WaveLimiterHint : 0
; COMPUTE_PGM_RSRC2:SCRATCH_EN: 0
; COMPUTE_PGM_RSRC2:USER_SGPR: 6
; COMPUTE_PGM_RSRC2:TRAP_HANDLER: 0
; COMPUTE_PGM_RSRC2:TGID_X_EN: 1
; COMPUTE_PGM_RSRC2:TGID_Y_EN: 0
; COMPUTE_PGM_RSRC2:TGID_Z_EN: 0
; COMPUTE_PGM_RSRC2:TIDIG_COMP_CNT: 0
	.section	.text._ZN7rocprim17ROCPRIM_400000_NS6detail17trampoline_kernelINS0_14default_configENS1_27scan_by_key_config_selectorIsiEEZZNS1_16scan_by_key_implILNS1_25lookback_scan_determinismE0ELb1ES3_N6thrust23THRUST_200600_302600_NS6detail15normal_iteratorINS9_10device_ptrIsEEEESE_SE_iNS9_4plusIvEENS9_8equal_toIvEEiEE10hipError_tPvRmT2_T3_T4_T5_mT6_T7_P12ihipStream_tbENKUlT_T0_E_clISt17integral_constantIbLb1EESZ_EEDaSU_SV_EUlSU_E_NS1_11comp_targetILNS1_3genE10ELNS1_11target_archE1201ELNS1_3gpuE5ELNS1_3repE0EEENS1_30default_config_static_selectorELNS0_4arch9wavefront6targetE0EEEvT1_,"axG",@progbits,_ZN7rocprim17ROCPRIM_400000_NS6detail17trampoline_kernelINS0_14default_configENS1_27scan_by_key_config_selectorIsiEEZZNS1_16scan_by_key_implILNS1_25lookback_scan_determinismE0ELb1ES3_N6thrust23THRUST_200600_302600_NS6detail15normal_iteratorINS9_10device_ptrIsEEEESE_SE_iNS9_4plusIvEENS9_8equal_toIvEEiEE10hipError_tPvRmT2_T3_T4_T5_mT6_T7_P12ihipStream_tbENKUlT_T0_E_clISt17integral_constantIbLb1EESZ_EEDaSU_SV_EUlSU_E_NS1_11comp_targetILNS1_3genE10ELNS1_11target_archE1201ELNS1_3gpuE5ELNS1_3repE0EEENS1_30default_config_static_selectorELNS0_4arch9wavefront6targetE0EEEvT1_,comdat
	.protected	_ZN7rocprim17ROCPRIM_400000_NS6detail17trampoline_kernelINS0_14default_configENS1_27scan_by_key_config_selectorIsiEEZZNS1_16scan_by_key_implILNS1_25lookback_scan_determinismE0ELb1ES3_N6thrust23THRUST_200600_302600_NS6detail15normal_iteratorINS9_10device_ptrIsEEEESE_SE_iNS9_4plusIvEENS9_8equal_toIvEEiEE10hipError_tPvRmT2_T3_T4_T5_mT6_T7_P12ihipStream_tbENKUlT_T0_E_clISt17integral_constantIbLb1EESZ_EEDaSU_SV_EUlSU_E_NS1_11comp_targetILNS1_3genE10ELNS1_11target_archE1201ELNS1_3gpuE5ELNS1_3repE0EEENS1_30default_config_static_selectorELNS0_4arch9wavefront6targetE0EEEvT1_ ; -- Begin function _ZN7rocprim17ROCPRIM_400000_NS6detail17trampoline_kernelINS0_14default_configENS1_27scan_by_key_config_selectorIsiEEZZNS1_16scan_by_key_implILNS1_25lookback_scan_determinismE0ELb1ES3_N6thrust23THRUST_200600_302600_NS6detail15normal_iteratorINS9_10device_ptrIsEEEESE_SE_iNS9_4plusIvEENS9_8equal_toIvEEiEE10hipError_tPvRmT2_T3_T4_T5_mT6_T7_P12ihipStream_tbENKUlT_T0_E_clISt17integral_constantIbLb1EESZ_EEDaSU_SV_EUlSU_E_NS1_11comp_targetILNS1_3genE10ELNS1_11target_archE1201ELNS1_3gpuE5ELNS1_3repE0EEENS1_30default_config_static_selectorELNS0_4arch9wavefront6targetE0EEEvT1_
	.globl	_ZN7rocprim17ROCPRIM_400000_NS6detail17trampoline_kernelINS0_14default_configENS1_27scan_by_key_config_selectorIsiEEZZNS1_16scan_by_key_implILNS1_25lookback_scan_determinismE0ELb1ES3_N6thrust23THRUST_200600_302600_NS6detail15normal_iteratorINS9_10device_ptrIsEEEESE_SE_iNS9_4plusIvEENS9_8equal_toIvEEiEE10hipError_tPvRmT2_T3_T4_T5_mT6_T7_P12ihipStream_tbENKUlT_T0_E_clISt17integral_constantIbLb1EESZ_EEDaSU_SV_EUlSU_E_NS1_11comp_targetILNS1_3genE10ELNS1_11target_archE1201ELNS1_3gpuE5ELNS1_3repE0EEENS1_30default_config_static_selectorELNS0_4arch9wavefront6targetE0EEEvT1_
	.p2align	8
	.type	_ZN7rocprim17ROCPRIM_400000_NS6detail17trampoline_kernelINS0_14default_configENS1_27scan_by_key_config_selectorIsiEEZZNS1_16scan_by_key_implILNS1_25lookback_scan_determinismE0ELb1ES3_N6thrust23THRUST_200600_302600_NS6detail15normal_iteratorINS9_10device_ptrIsEEEESE_SE_iNS9_4plusIvEENS9_8equal_toIvEEiEE10hipError_tPvRmT2_T3_T4_T5_mT6_T7_P12ihipStream_tbENKUlT_T0_E_clISt17integral_constantIbLb1EESZ_EEDaSU_SV_EUlSU_E_NS1_11comp_targetILNS1_3genE10ELNS1_11target_archE1201ELNS1_3gpuE5ELNS1_3repE0EEENS1_30default_config_static_selectorELNS0_4arch9wavefront6targetE0EEEvT1_,@function
_ZN7rocprim17ROCPRIM_400000_NS6detail17trampoline_kernelINS0_14default_configENS1_27scan_by_key_config_selectorIsiEEZZNS1_16scan_by_key_implILNS1_25lookback_scan_determinismE0ELb1ES3_N6thrust23THRUST_200600_302600_NS6detail15normal_iteratorINS9_10device_ptrIsEEEESE_SE_iNS9_4plusIvEENS9_8equal_toIvEEiEE10hipError_tPvRmT2_T3_T4_T5_mT6_T7_P12ihipStream_tbENKUlT_T0_E_clISt17integral_constantIbLb1EESZ_EEDaSU_SV_EUlSU_E_NS1_11comp_targetILNS1_3genE10ELNS1_11target_archE1201ELNS1_3gpuE5ELNS1_3repE0EEENS1_30default_config_static_selectorELNS0_4arch9wavefront6targetE0EEEvT1_: ; @_ZN7rocprim17ROCPRIM_400000_NS6detail17trampoline_kernelINS0_14default_configENS1_27scan_by_key_config_selectorIsiEEZZNS1_16scan_by_key_implILNS1_25lookback_scan_determinismE0ELb1ES3_N6thrust23THRUST_200600_302600_NS6detail15normal_iteratorINS9_10device_ptrIsEEEESE_SE_iNS9_4plusIvEENS9_8equal_toIvEEiEE10hipError_tPvRmT2_T3_T4_T5_mT6_T7_P12ihipStream_tbENKUlT_T0_E_clISt17integral_constantIbLb1EESZ_EEDaSU_SV_EUlSU_E_NS1_11comp_targetILNS1_3genE10ELNS1_11target_archE1201ELNS1_3gpuE5ELNS1_3repE0EEENS1_30default_config_static_selectorELNS0_4arch9wavefront6targetE0EEEvT1_
; %bb.0:
	.section	.rodata,"a",@progbits
	.p2align	6, 0x0
	.amdhsa_kernel _ZN7rocprim17ROCPRIM_400000_NS6detail17trampoline_kernelINS0_14default_configENS1_27scan_by_key_config_selectorIsiEEZZNS1_16scan_by_key_implILNS1_25lookback_scan_determinismE0ELb1ES3_N6thrust23THRUST_200600_302600_NS6detail15normal_iteratorINS9_10device_ptrIsEEEESE_SE_iNS9_4plusIvEENS9_8equal_toIvEEiEE10hipError_tPvRmT2_T3_T4_T5_mT6_T7_P12ihipStream_tbENKUlT_T0_E_clISt17integral_constantIbLb1EESZ_EEDaSU_SV_EUlSU_E_NS1_11comp_targetILNS1_3genE10ELNS1_11target_archE1201ELNS1_3gpuE5ELNS1_3repE0EEENS1_30default_config_static_selectorELNS0_4arch9wavefront6targetE0EEEvT1_
		.amdhsa_group_segment_fixed_size 0
		.amdhsa_private_segment_fixed_size 0
		.amdhsa_kernarg_size 112
		.amdhsa_user_sgpr_count 6
		.amdhsa_user_sgpr_private_segment_buffer 1
		.amdhsa_user_sgpr_dispatch_ptr 0
		.amdhsa_user_sgpr_queue_ptr 0
		.amdhsa_user_sgpr_kernarg_segment_ptr 1
		.amdhsa_user_sgpr_dispatch_id 0
		.amdhsa_user_sgpr_flat_scratch_init 0
		.amdhsa_user_sgpr_private_segment_size 0
		.amdhsa_wavefront_size32 1
		.amdhsa_uses_dynamic_stack 0
		.amdhsa_system_sgpr_private_segment_wavefront_offset 0
		.amdhsa_system_sgpr_workgroup_id_x 1
		.amdhsa_system_sgpr_workgroup_id_y 0
		.amdhsa_system_sgpr_workgroup_id_z 0
		.amdhsa_system_sgpr_workgroup_info 0
		.amdhsa_system_vgpr_workitem_id 0
		.amdhsa_next_free_vgpr 1
		.amdhsa_next_free_sgpr 1
		.amdhsa_reserve_vcc 0
		.amdhsa_reserve_flat_scratch 0
		.amdhsa_float_round_mode_32 0
		.amdhsa_float_round_mode_16_64 0
		.amdhsa_float_denorm_mode_32 3
		.amdhsa_float_denorm_mode_16_64 3
		.amdhsa_dx10_clamp 1
		.amdhsa_ieee_mode 1
		.amdhsa_fp16_overflow 0
		.amdhsa_workgroup_processor_mode 1
		.amdhsa_memory_ordered 1
		.amdhsa_forward_progress 1
		.amdhsa_shared_vgpr_count 0
		.amdhsa_exception_fp_ieee_invalid_op 0
		.amdhsa_exception_fp_denorm_src 0
		.amdhsa_exception_fp_ieee_div_zero 0
		.amdhsa_exception_fp_ieee_overflow 0
		.amdhsa_exception_fp_ieee_underflow 0
		.amdhsa_exception_fp_ieee_inexact 0
		.amdhsa_exception_int_div_zero 0
	.end_amdhsa_kernel
	.section	.text._ZN7rocprim17ROCPRIM_400000_NS6detail17trampoline_kernelINS0_14default_configENS1_27scan_by_key_config_selectorIsiEEZZNS1_16scan_by_key_implILNS1_25lookback_scan_determinismE0ELb1ES3_N6thrust23THRUST_200600_302600_NS6detail15normal_iteratorINS9_10device_ptrIsEEEESE_SE_iNS9_4plusIvEENS9_8equal_toIvEEiEE10hipError_tPvRmT2_T3_T4_T5_mT6_T7_P12ihipStream_tbENKUlT_T0_E_clISt17integral_constantIbLb1EESZ_EEDaSU_SV_EUlSU_E_NS1_11comp_targetILNS1_3genE10ELNS1_11target_archE1201ELNS1_3gpuE5ELNS1_3repE0EEENS1_30default_config_static_selectorELNS0_4arch9wavefront6targetE0EEEvT1_,"axG",@progbits,_ZN7rocprim17ROCPRIM_400000_NS6detail17trampoline_kernelINS0_14default_configENS1_27scan_by_key_config_selectorIsiEEZZNS1_16scan_by_key_implILNS1_25lookback_scan_determinismE0ELb1ES3_N6thrust23THRUST_200600_302600_NS6detail15normal_iteratorINS9_10device_ptrIsEEEESE_SE_iNS9_4plusIvEENS9_8equal_toIvEEiEE10hipError_tPvRmT2_T3_T4_T5_mT6_T7_P12ihipStream_tbENKUlT_T0_E_clISt17integral_constantIbLb1EESZ_EEDaSU_SV_EUlSU_E_NS1_11comp_targetILNS1_3genE10ELNS1_11target_archE1201ELNS1_3gpuE5ELNS1_3repE0EEENS1_30default_config_static_selectorELNS0_4arch9wavefront6targetE0EEEvT1_,comdat
.Lfunc_end1053:
	.size	_ZN7rocprim17ROCPRIM_400000_NS6detail17trampoline_kernelINS0_14default_configENS1_27scan_by_key_config_selectorIsiEEZZNS1_16scan_by_key_implILNS1_25lookback_scan_determinismE0ELb1ES3_N6thrust23THRUST_200600_302600_NS6detail15normal_iteratorINS9_10device_ptrIsEEEESE_SE_iNS9_4plusIvEENS9_8equal_toIvEEiEE10hipError_tPvRmT2_T3_T4_T5_mT6_T7_P12ihipStream_tbENKUlT_T0_E_clISt17integral_constantIbLb1EESZ_EEDaSU_SV_EUlSU_E_NS1_11comp_targetILNS1_3genE10ELNS1_11target_archE1201ELNS1_3gpuE5ELNS1_3repE0EEENS1_30default_config_static_selectorELNS0_4arch9wavefront6targetE0EEEvT1_, .Lfunc_end1053-_ZN7rocprim17ROCPRIM_400000_NS6detail17trampoline_kernelINS0_14default_configENS1_27scan_by_key_config_selectorIsiEEZZNS1_16scan_by_key_implILNS1_25lookback_scan_determinismE0ELb1ES3_N6thrust23THRUST_200600_302600_NS6detail15normal_iteratorINS9_10device_ptrIsEEEESE_SE_iNS9_4plusIvEENS9_8equal_toIvEEiEE10hipError_tPvRmT2_T3_T4_T5_mT6_T7_P12ihipStream_tbENKUlT_T0_E_clISt17integral_constantIbLb1EESZ_EEDaSU_SV_EUlSU_E_NS1_11comp_targetILNS1_3genE10ELNS1_11target_archE1201ELNS1_3gpuE5ELNS1_3repE0EEENS1_30default_config_static_selectorELNS0_4arch9wavefront6targetE0EEEvT1_
                                        ; -- End function
	.set _ZN7rocprim17ROCPRIM_400000_NS6detail17trampoline_kernelINS0_14default_configENS1_27scan_by_key_config_selectorIsiEEZZNS1_16scan_by_key_implILNS1_25lookback_scan_determinismE0ELb1ES3_N6thrust23THRUST_200600_302600_NS6detail15normal_iteratorINS9_10device_ptrIsEEEESE_SE_iNS9_4plusIvEENS9_8equal_toIvEEiEE10hipError_tPvRmT2_T3_T4_T5_mT6_T7_P12ihipStream_tbENKUlT_T0_E_clISt17integral_constantIbLb1EESZ_EEDaSU_SV_EUlSU_E_NS1_11comp_targetILNS1_3genE10ELNS1_11target_archE1201ELNS1_3gpuE5ELNS1_3repE0EEENS1_30default_config_static_selectorELNS0_4arch9wavefront6targetE0EEEvT1_.num_vgpr, 0
	.set _ZN7rocprim17ROCPRIM_400000_NS6detail17trampoline_kernelINS0_14default_configENS1_27scan_by_key_config_selectorIsiEEZZNS1_16scan_by_key_implILNS1_25lookback_scan_determinismE0ELb1ES3_N6thrust23THRUST_200600_302600_NS6detail15normal_iteratorINS9_10device_ptrIsEEEESE_SE_iNS9_4plusIvEENS9_8equal_toIvEEiEE10hipError_tPvRmT2_T3_T4_T5_mT6_T7_P12ihipStream_tbENKUlT_T0_E_clISt17integral_constantIbLb1EESZ_EEDaSU_SV_EUlSU_E_NS1_11comp_targetILNS1_3genE10ELNS1_11target_archE1201ELNS1_3gpuE5ELNS1_3repE0EEENS1_30default_config_static_selectorELNS0_4arch9wavefront6targetE0EEEvT1_.num_agpr, 0
	.set _ZN7rocprim17ROCPRIM_400000_NS6detail17trampoline_kernelINS0_14default_configENS1_27scan_by_key_config_selectorIsiEEZZNS1_16scan_by_key_implILNS1_25lookback_scan_determinismE0ELb1ES3_N6thrust23THRUST_200600_302600_NS6detail15normal_iteratorINS9_10device_ptrIsEEEESE_SE_iNS9_4plusIvEENS9_8equal_toIvEEiEE10hipError_tPvRmT2_T3_T4_T5_mT6_T7_P12ihipStream_tbENKUlT_T0_E_clISt17integral_constantIbLb1EESZ_EEDaSU_SV_EUlSU_E_NS1_11comp_targetILNS1_3genE10ELNS1_11target_archE1201ELNS1_3gpuE5ELNS1_3repE0EEENS1_30default_config_static_selectorELNS0_4arch9wavefront6targetE0EEEvT1_.numbered_sgpr, 0
	.set _ZN7rocprim17ROCPRIM_400000_NS6detail17trampoline_kernelINS0_14default_configENS1_27scan_by_key_config_selectorIsiEEZZNS1_16scan_by_key_implILNS1_25lookback_scan_determinismE0ELb1ES3_N6thrust23THRUST_200600_302600_NS6detail15normal_iteratorINS9_10device_ptrIsEEEESE_SE_iNS9_4plusIvEENS9_8equal_toIvEEiEE10hipError_tPvRmT2_T3_T4_T5_mT6_T7_P12ihipStream_tbENKUlT_T0_E_clISt17integral_constantIbLb1EESZ_EEDaSU_SV_EUlSU_E_NS1_11comp_targetILNS1_3genE10ELNS1_11target_archE1201ELNS1_3gpuE5ELNS1_3repE0EEENS1_30default_config_static_selectorELNS0_4arch9wavefront6targetE0EEEvT1_.num_named_barrier, 0
	.set _ZN7rocprim17ROCPRIM_400000_NS6detail17trampoline_kernelINS0_14default_configENS1_27scan_by_key_config_selectorIsiEEZZNS1_16scan_by_key_implILNS1_25lookback_scan_determinismE0ELb1ES3_N6thrust23THRUST_200600_302600_NS6detail15normal_iteratorINS9_10device_ptrIsEEEESE_SE_iNS9_4plusIvEENS9_8equal_toIvEEiEE10hipError_tPvRmT2_T3_T4_T5_mT6_T7_P12ihipStream_tbENKUlT_T0_E_clISt17integral_constantIbLb1EESZ_EEDaSU_SV_EUlSU_E_NS1_11comp_targetILNS1_3genE10ELNS1_11target_archE1201ELNS1_3gpuE5ELNS1_3repE0EEENS1_30default_config_static_selectorELNS0_4arch9wavefront6targetE0EEEvT1_.private_seg_size, 0
	.set _ZN7rocprim17ROCPRIM_400000_NS6detail17trampoline_kernelINS0_14default_configENS1_27scan_by_key_config_selectorIsiEEZZNS1_16scan_by_key_implILNS1_25lookback_scan_determinismE0ELb1ES3_N6thrust23THRUST_200600_302600_NS6detail15normal_iteratorINS9_10device_ptrIsEEEESE_SE_iNS9_4plusIvEENS9_8equal_toIvEEiEE10hipError_tPvRmT2_T3_T4_T5_mT6_T7_P12ihipStream_tbENKUlT_T0_E_clISt17integral_constantIbLb1EESZ_EEDaSU_SV_EUlSU_E_NS1_11comp_targetILNS1_3genE10ELNS1_11target_archE1201ELNS1_3gpuE5ELNS1_3repE0EEENS1_30default_config_static_selectorELNS0_4arch9wavefront6targetE0EEEvT1_.uses_vcc, 0
	.set _ZN7rocprim17ROCPRIM_400000_NS6detail17trampoline_kernelINS0_14default_configENS1_27scan_by_key_config_selectorIsiEEZZNS1_16scan_by_key_implILNS1_25lookback_scan_determinismE0ELb1ES3_N6thrust23THRUST_200600_302600_NS6detail15normal_iteratorINS9_10device_ptrIsEEEESE_SE_iNS9_4plusIvEENS9_8equal_toIvEEiEE10hipError_tPvRmT2_T3_T4_T5_mT6_T7_P12ihipStream_tbENKUlT_T0_E_clISt17integral_constantIbLb1EESZ_EEDaSU_SV_EUlSU_E_NS1_11comp_targetILNS1_3genE10ELNS1_11target_archE1201ELNS1_3gpuE5ELNS1_3repE0EEENS1_30default_config_static_selectorELNS0_4arch9wavefront6targetE0EEEvT1_.uses_flat_scratch, 0
	.set _ZN7rocprim17ROCPRIM_400000_NS6detail17trampoline_kernelINS0_14default_configENS1_27scan_by_key_config_selectorIsiEEZZNS1_16scan_by_key_implILNS1_25lookback_scan_determinismE0ELb1ES3_N6thrust23THRUST_200600_302600_NS6detail15normal_iteratorINS9_10device_ptrIsEEEESE_SE_iNS9_4plusIvEENS9_8equal_toIvEEiEE10hipError_tPvRmT2_T3_T4_T5_mT6_T7_P12ihipStream_tbENKUlT_T0_E_clISt17integral_constantIbLb1EESZ_EEDaSU_SV_EUlSU_E_NS1_11comp_targetILNS1_3genE10ELNS1_11target_archE1201ELNS1_3gpuE5ELNS1_3repE0EEENS1_30default_config_static_selectorELNS0_4arch9wavefront6targetE0EEEvT1_.has_dyn_sized_stack, 0
	.set _ZN7rocprim17ROCPRIM_400000_NS6detail17trampoline_kernelINS0_14default_configENS1_27scan_by_key_config_selectorIsiEEZZNS1_16scan_by_key_implILNS1_25lookback_scan_determinismE0ELb1ES3_N6thrust23THRUST_200600_302600_NS6detail15normal_iteratorINS9_10device_ptrIsEEEESE_SE_iNS9_4plusIvEENS9_8equal_toIvEEiEE10hipError_tPvRmT2_T3_T4_T5_mT6_T7_P12ihipStream_tbENKUlT_T0_E_clISt17integral_constantIbLb1EESZ_EEDaSU_SV_EUlSU_E_NS1_11comp_targetILNS1_3genE10ELNS1_11target_archE1201ELNS1_3gpuE5ELNS1_3repE0EEENS1_30default_config_static_selectorELNS0_4arch9wavefront6targetE0EEEvT1_.has_recursion, 0
	.set _ZN7rocprim17ROCPRIM_400000_NS6detail17trampoline_kernelINS0_14default_configENS1_27scan_by_key_config_selectorIsiEEZZNS1_16scan_by_key_implILNS1_25lookback_scan_determinismE0ELb1ES3_N6thrust23THRUST_200600_302600_NS6detail15normal_iteratorINS9_10device_ptrIsEEEESE_SE_iNS9_4plusIvEENS9_8equal_toIvEEiEE10hipError_tPvRmT2_T3_T4_T5_mT6_T7_P12ihipStream_tbENKUlT_T0_E_clISt17integral_constantIbLb1EESZ_EEDaSU_SV_EUlSU_E_NS1_11comp_targetILNS1_3genE10ELNS1_11target_archE1201ELNS1_3gpuE5ELNS1_3repE0EEENS1_30default_config_static_selectorELNS0_4arch9wavefront6targetE0EEEvT1_.has_indirect_call, 0
	.section	.AMDGPU.csdata,"",@progbits
; Kernel info:
; codeLenInByte = 0
; TotalNumSgprs: 0
; NumVgprs: 0
; ScratchSize: 0
; MemoryBound: 0
; FloatMode: 240
; IeeeMode: 1
; LDSByteSize: 0 bytes/workgroup (compile time only)
; SGPRBlocks: 0
; VGPRBlocks: 0
; NumSGPRsForWavesPerEU: 1
; NumVGPRsForWavesPerEU: 1
; Occupancy: 16
; WaveLimiterHint : 0
; COMPUTE_PGM_RSRC2:SCRATCH_EN: 0
; COMPUTE_PGM_RSRC2:USER_SGPR: 6
; COMPUTE_PGM_RSRC2:TRAP_HANDLER: 0
; COMPUTE_PGM_RSRC2:TGID_X_EN: 1
; COMPUTE_PGM_RSRC2:TGID_Y_EN: 0
; COMPUTE_PGM_RSRC2:TGID_Z_EN: 0
; COMPUTE_PGM_RSRC2:TIDIG_COMP_CNT: 0
	.section	.text._ZN7rocprim17ROCPRIM_400000_NS6detail17trampoline_kernelINS0_14default_configENS1_27scan_by_key_config_selectorIsiEEZZNS1_16scan_by_key_implILNS1_25lookback_scan_determinismE0ELb1ES3_N6thrust23THRUST_200600_302600_NS6detail15normal_iteratorINS9_10device_ptrIsEEEESE_SE_iNS9_4plusIvEENS9_8equal_toIvEEiEE10hipError_tPvRmT2_T3_T4_T5_mT6_T7_P12ihipStream_tbENKUlT_T0_E_clISt17integral_constantIbLb1EESZ_EEDaSU_SV_EUlSU_E_NS1_11comp_targetILNS1_3genE5ELNS1_11target_archE942ELNS1_3gpuE9ELNS1_3repE0EEENS1_30default_config_static_selectorELNS0_4arch9wavefront6targetE0EEEvT1_,"axG",@progbits,_ZN7rocprim17ROCPRIM_400000_NS6detail17trampoline_kernelINS0_14default_configENS1_27scan_by_key_config_selectorIsiEEZZNS1_16scan_by_key_implILNS1_25lookback_scan_determinismE0ELb1ES3_N6thrust23THRUST_200600_302600_NS6detail15normal_iteratorINS9_10device_ptrIsEEEESE_SE_iNS9_4plusIvEENS9_8equal_toIvEEiEE10hipError_tPvRmT2_T3_T4_T5_mT6_T7_P12ihipStream_tbENKUlT_T0_E_clISt17integral_constantIbLb1EESZ_EEDaSU_SV_EUlSU_E_NS1_11comp_targetILNS1_3genE5ELNS1_11target_archE942ELNS1_3gpuE9ELNS1_3repE0EEENS1_30default_config_static_selectorELNS0_4arch9wavefront6targetE0EEEvT1_,comdat
	.protected	_ZN7rocprim17ROCPRIM_400000_NS6detail17trampoline_kernelINS0_14default_configENS1_27scan_by_key_config_selectorIsiEEZZNS1_16scan_by_key_implILNS1_25lookback_scan_determinismE0ELb1ES3_N6thrust23THRUST_200600_302600_NS6detail15normal_iteratorINS9_10device_ptrIsEEEESE_SE_iNS9_4plusIvEENS9_8equal_toIvEEiEE10hipError_tPvRmT2_T3_T4_T5_mT6_T7_P12ihipStream_tbENKUlT_T0_E_clISt17integral_constantIbLb1EESZ_EEDaSU_SV_EUlSU_E_NS1_11comp_targetILNS1_3genE5ELNS1_11target_archE942ELNS1_3gpuE9ELNS1_3repE0EEENS1_30default_config_static_selectorELNS0_4arch9wavefront6targetE0EEEvT1_ ; -- Begin function _ZN7rocprim17ROCPRIM_400000_NS6detail17trampoline_kernelINS0_14default_configENS1_27scan_by_key_config_selectorIsiEEZZNS1_16scan_by_key_implILNS1_25lookback_scan_determinismE0ELb1ES3_N6thrust23THRUST_200600_302600_NS6detail15normal_iteratorINS9_10device_ptrIsEEEESE_SE_iNS9_4plusIvEENS9_8equal_toIvEEiEE10hipError_tPvRmT2_T3_T4_T5_mT6_T7_P12ihipStream_tbENKUlT_T0_E_clISt17integral_constantIbLb1EESZ_EEDaSU_SV_EUlSU_E_NS1_11comp_targetILNS1_3genE5ELNS1_11target_archE942ELNS1_3gpuE9ELNS1_3repE0EEENS1_30default_config_static_selectorELNS0_4arch9wavefront6targetE0EEEvT1_
	.globl	_ZN7rocprim17ROCPRIM_400000_NS6detail17trampoline_kernelINS0_14default_configENS1_27scan_by_key_config_selectorIsiEEZZNS1_16scan_by_key_implILNS1_25lookback_scan_determinismE0ELb1ES3_N6thrust23THRUST_200600_302600_NS6detail15normal_iteratorINS9_10device_ptrIsEEEESE_SE_iNS9_4plusIvEENS9_8equal_toIvEEiEE10hipError_tPvRmT2_T3_T4_T5_mT6_T7_P12ihipStream_tbENKUlT_T0_E_clISt17integral_constantIbLb1EESZ_EEDaSU_SV_EUlSU_E_NS1_11comp_targetILNS1_3genE5ELNS1_11target_archE942ELNS1_3gpuE9ELNS1_3repE0EEENS1_30default_config_static_selectorELNS0_4arch9wavefront6targetE0EEEvT1_
	.p2align	8
	.type	_ZN7rocprim17ROCPRIM_400000_NS6detail17trampoline_kernelINS0_14default_configENS1_27scan_by_key_config_selectorIsiEEZZNS1_16scan_by_key_implILNS1_25lookback_scan_determinismE0ELb1ES3_N6thrust23THRUST_200600_302600_NS6detail15normal_iteratorINS9_10device_ptrIsEEEESE_SE_iNS9_4plusIvEENS9_8equal_toIvEEiEE10hipError_tPvRmT2_T3_T4_T5_mT6_T7_P12ihipStream_tbENKUlT_T0_E_clISt17integral_constantIbLb1EESZ_EEDaSU_SV_EUlSU_E_NS1_11comp_targetILNS1_3genE5ELNS1_11target_archE942ELNS1_3gpuE9ELNS1_3repE0EEENS1_30default_config_static_selectorELNS0_4arch9wavefront6targetE0EEEvT1_,@function
_ZN7rocprim17ROCPRIM_400000_NS6detail17trampoline_kernelINS0_14default_configENS1_27scan_by_key_config_selectorIsiEEZZNS1_16scan_by_key_implILNS1_25lookback_scan_determinismE0ELb1ES3_N6thrust23THRUST_200600_302600_NS6detail15normal_iteratorINS9_10device_ptrIsEEEESE_SE_iNS9_4plusIvEENS9_8equal_toIvEEiEE10hipError_tPvRmT2_T3_T4_T5_mT6_T7_P12ihipStream_tbENKUlT_T0_E_clISt17integral_constantIbLb1EESZ_EEDaSU_SV_EUlSU_E_NS1_11comp_targetILNS1_3genE5ELNS1_11target_archE942ELNS1_3gpuE9ELNS1_3repE0EEENS1_30default_config_static_selectorELNS0_4arch9wavefront6targetE0EEEvT1_: ; @_ZN7rocprim17ROCPRIM_400000_NS6detail17trampoline_kernelINS0_14default_configENS1_27scan_by_key_config_selectorIsiEEZZNS1_16scan_by_key_implILNS1_25lookback_scan_determinismE0ELb1ES3_N6thrust23THRUST_200600_302600_NS6detail15normal_iteratorINS9_10device_ptrIsEEEESE_SE_iNS9_4plusIvEENS9_8equal_toIvEEiEE10hipError_tPvRmT2_T3_T4_T5_mT6_T7_P12ihipStream_tbENKUlT_T0_E_clISt17integral_constantIbLb1EESZ_EEDaSU_SV_EUlSU_E_NS1_11comp_targetILNS1_3genE5ELNS1_11target_archE942ELNS1_3gpuE9ELNS1_3repE0EEENS1_30default_config_static_selectorELNS0_4arch9wavefront6targetE0EEEvT1_
; %bb.0:
	.section	.rodata,"a",@progbits
	.p2align	6, 0x0
	.amdhsa_kernel _ZN7rocprim17ROCPRIM_400000_NS6detail17trampoline_kernelINS0_14default_configENS1_27scan_by_key_config_selectorIsiEEZZNS1_16scan_by_key_implILNS1_25lookback_scan_determinismE0ELb1ES3_N6thrust23THRUST_200600_302600_NS6detail15normal_iteratorINS9_10device_ptrIsEEEESE_SE_iNS9_4plusIvEENS9_8equal_toIvEEiEE10hipError_tPvRmT2_T3_T4_T5_mT6_T7_P12ihipStream_tbENKUlT_T0_E_clISt17integral_constantIbLb1EESZ_EEDaSU_SV_EUlSU_E_NS1_11comp_targetILNS1_3genE5ELNS1_11target_archE942ELNS1_3gpuE9ELNS1_3repE0EEENS1_30default_config_static_selectorELNS0_4arch9wavefront6targetE0EEEvT1_
		.amdhsa_group_segment_fixed_size 0
		.amdhsa_private_segment_fixed_size 0
		.amdhsa_kernarg_size 112
		.amdhsa_user_sgpr_count 6
		.amdhsa_user_sgpr_private_segment_buffer 1
		.amdhsa_user_sgpr_dispatch_ptr 0
		.amdhsa_user_sgpr_queue_ptr 0
		.amdhsa_user_sgpr_kernarg_segment_ptr 1
		.amdhsa_user_sgpr_dispatch_id 0
		.amdhsa_user_sgpr_flat_scratch_init 0
		.amdhsa_user_sgpr_private_segment_size 0
		.amdhsa_wavefront_size32 1
		.amdhsa_uses_dynamic_stack 0
		.amdhsa_system_sgpr_private_segment_wavefront_offset 0
		.amdhsa_system_sgpr_workgroup_id_x 1
		.amdhsa_system_sgpr_workgroup_id_y 0
		.amdhsa_system_sgpr_workgroup_id_z 0
		.amdhsa_system_sgpr_workgroup_info 0
		.amdhsa_system_vgpr_workitem_id 0
		.amdhsa_next_free_vgpr 1
		.amdhsa_next_free_sgpr 1
		.amdhsa_reserve_vcc 0
		.amdhsa_reserve_flat_scratch 0
		.amdhsa_float_round_mode_32 0
		.amdhsa_float_round_mode_16_64 0
		.amdhsa_float_denorm_mode_32 3
		.amdhsa_float_denorm_mode_16_64 3
		.amdhsa_dx10_clamp 1
		.amdhsa_ieee_mode 1
		.amdhsa_fp16_overflow 0
		.amdhsa_workgroup_processor_mode 1
		.amdhsa_memory_ordered 1
		.amdhsa_forward_progress 1
		.amdhsa_shared_vgpr_count 0
		.amdhsa_exception_fp_ieee_invalid_op 0
		.amdhsa_exception_fp_denorm_src 0
		.amdhsa_exception_fp_ieee_div_zero 0
		.amdhsa_exception_fp_ieee_overflow 0
		.amdhsa_exception_fp_ieee_underflow 0
		.amdhsa_exception_fp_ieee_inexact 0
		.amdhsa_exception_int_div_zero 0
	.end_amdhsa_kernel
	.section	.text._ZN7rocprim17ROCPRIM_400000_NS6detail17trampoline_kernelINS0_14default_configENS1_27scan_by_key_config_selectorIsiEEZZNS1_16scan_by_key_implILNS1_25lookback_scan_determinismE0ELb1ES3_N6thrust23THRUST_200600_302600_NS6detail15normal_iteratorINS9_10device_ptrIsEEEESE_SE_iNS9_4plusIvEENS9_8equal_toIvEEiEE10hipError_tPvRmT2_T3_T4_T5_mT6_T7_P12ihipStream_tbENKUlT_T0_E_clISt17integral_constantIbLb1EESZ_EEDaSU_SV_EUlSU_E_NS1_11comp_targetILNS1_3genE5ELNS1_11target_archE942ELNS1_3gpuE9ELNS1_3repE0EEENS1_30default_config_static_selectorELNS0_4arch9wavefront6targetE0EEEvT1_,"axG",@progbits,_ZN7rocprim17ROCPRIM_400000_NS6detail17trampoline_kernelINS0_14default_configENS1_27scan_by_key_config_selectorIsiEEZZNS1_16scan_by_key_implILNS1_25lookback_scan_determinismE0ELb1ES3_N6thrust23THRUST_200600_302600_NS6detail15normal_iteratorINS9_10device_ptrIsEEEESE_SE_iNS9_4plusIvEENS9_8equal_toIvEEiEE10hipError_tPvRmT2_T3_T4_T5_mT6_T7_P12ihipStream_tbENKUlT_T0_E_clISt17integral_constantIbLb1EESZ_EEDaSU_SV_EUlSU_E_NS1_11comp_targetILNS1_3genE5ELNS1_11target_archE942ELNS1_3gpuE9ELNS1_3repE0EEENS1_30default_config_static_selectorELNS0_4arch9wavefront6targetE0EEEvT1_,comdat
.Lfunc_end1054:
	.size	_ZN7rocprim17ROCPRIM_400000_NS6detail17trampoline_kernelINS0_14default_configENS1_27scan_by_key_config_selectorIsiEEZZNS1_16scan_by_key_implILNS1_25lookback_scan_determinismE0ELb1ES3_N6thrust23THRUST_200600_302600_NS6detail15normal_iteratorINS9_10device_ptrIsEEEESE_SE_iNS9_4plusIvEENS9_8equal_toIvEEiEE10hipError_tPvRmT2_T3_T4_T5_mT6_T7_P12ihipStream_tbENKUlT_T0_E_clISt17integral_constantIbLb1EESZ_EEDaSU_SV_EUlSU_E_NS1_11comp_targetILNS1_3genE5ELNS1_11target_archE942ELNS1_3gpuE9ELNS1_3repE0EEENS1_30default_config_static_selectorELNS0_4arch9wavefront6targetE0EEEvT1_, .Lfunc_end1054-_ZN7rocprim17ROCPRIM_400000_NS6detail17trampoline_kernelINS0_14default_configENS1_27scan_by_key_config_selectorIsiEEZZNS1_16scan_by_key_implILNS1_25lookback_scan_determinismE0ELb1ES3_N6thrust23THRUST_200600_302600_NS6detail15normal_iteratorINS9_10device_ptrIsEEEESE_SE_iNS9_4plusIvEENS9_8equal_toIvEEiEE10hipError_tPvRmT2_T3_T4_T5_mT6_T7_P12ihipStream_tbENKUlT_T0_E_clISt17integral_constantIbLb1EESZ_EEDaSU_SV_EUlSU_E_NS1_11comp_targetILNS1_3genE5ELNS1_11target_archE942ELNS1_3gpuE9ELNS1_3repE0EEENS1_30default_config_static_selectorELNS0_4arch9wavefront6targetE0EEEvT1_
                                        ; -- End function
	.set _ZN7rocprim17ROCPRIM_400000_NS6detail17trampoline_kernelINS0_14default_configENS1_27scan_by_key_config_selectorIsiEEZZNS1_16scan_by_key_implILNS1_25lookback_scan_determinismE0ELb1ES3_N6thrust23THRUST_200600_302600_NS6detail15normal_iteratorINS9_10device_ptrIsEEEESE_SE_iNS9_4plusIvEENS9_8equal_toIvEEiEE10hipError_tPvRmT2_T3_T4_T5_mT6_T7_P12ihipStream_tbENKUlT_T0_E_clISt17integral_constantIbLb1EESZ_EEDaSU_SV_EUlSU_E_NS1_11comp_targetILNS1_3genE5ELNS1_11target_archE942ELNS1_3gpuE9ELNS1_3repE0EEENS1_30default_config_static_selectorELNS0_4arch9wavefront6targetE0EEEvT1_.num_vgpr, 0
	.set _ZN7rocprim17ROCPRIM_400000_NS6detail17trampoline_kernelINS0_14default_configENS1_27scan_by_key_config_selectorIsiEEZZNS1_16scan_by_key_implILNS1_25lookback_scan_determinismE0ELb1ES3_N6thrust23THRUST_200600_302600_NS6detail15normal_iteratorINS9_10device_ptrIsEEEESE_SE_iNS9_4plusIvEENS9_8equal_toIvEEiEE10hipError_tPvRmT2_T3_T4_T5_mT6_T7_P12ihipStream_tbENKUlT_T0_E_clISt17integral_constantIbLb1EESZ_EEDaSU_SV_EUlSU_E_NS1_11comp_targetILNS1_3genE5ELNS1_11target_archE942ELNS1_3gpuE9ELNS1_3repE0EEENS1_30default_config_static_selectorELNS0_4arch9wavefront6targetE0EEEvT1_.num_agpr, 0
	.set _ZN7rocprim17ROCPRIM_400000_NS6detail17trampoline_kernelINS0_14default_configENS1_27scan_by_key_config_selectorIsiEEZZNS1_16scan_by_key_implILNS1_25lookback_scan_determinismE0ELb1ES3_N6thrust23THRUST_200600_302600_NS6detail15normal_iteratorINS9_10device_ptrIsEEEESE_SE_iNS9_4plusIvEENS9_8equal_toIvEEiEE10hipError_tPvRmT2_T3_T4_T5_mT6_T7_P12ihipStream_tbENKUlT_T0_E_clISt17integral_constantIbLb1EESZ_EEDaSU_SV_EUlSU_E_NS1_11comp_targetILNS1_3genE5ELNS1_11target_archE942ELNS1_3gpuE9ELNS1_3repE0EEENS1_30default_config_static_selectorELNS0_4arch9wavefront6targetE0EEEvT1_.numbered_sgpr, 0
	.set _ZN7rocprim17ROCPRIM_400000_NS6detail17trampoline_kernelINS0_14default_configENS1_27scan_by_key_config_selectorIsiEEZZNS1_16scan_by_key_implILNS1_25lookback_scan_determinismE0ELb1ES3_N6thrust23THRUST_200600_302600_NS6detail15normal_iteratorINS9_10device_ptrIsEEEESE_SE_iNS9_4plusIvEENS9_8equal_toIvEEiEE10hipError_tPvRmT2_T3_T4_T5_mT6_T7_P12ihipStream_tbENKUlT_T0_E_clISt17integral_constantIbLb1EESZ_EEDaSU_SV_EUlSU_E_NS1_11comp_targetILNS1_3genE5ELNS1_11target_archE942ELNS1_3gpuE9ELNS1_3repE0EEENS1_30default_config_static_selectorELNS0_4arch9wavefront6targetE0EEEvT1_.num_named_barrier, 0
	.set _ZN7rocprim17ROCPRIM_400000_NS6detail17trampoline_kernelINS0_14default_configENS1_27scan_by_key_config_selectorIsiEEZZNS1_16scan_by_key_implILNS1_25lookback_scan_determinismE0ELb1ES3_N6thrust23THRUST_200600_302600_NS6detail15normal_iteratorINS9_10device_ptrIsEEEESE_SE_iNS9_4plusIvEENS9_8equal_toIvEEiEE10hipError_tPvRmT2_T3_T4_T5_mT6_T7_P12ihipStream_tbENKUlT_T0_E_clISt17integral_constantIbLb1EESZ_EEDaSU_SV_EUlSU_E_NS1_11comp_targetILNS1_3genE5ELNS1_11target_archE942ELNS1_3gpuE9ELNS1_3repE0EEENS1_30default_config_static_selectorELNS0_4arch9wavefront6targetE0EEEvT1_.private_seg_size, 0
	.set _ZN7rocprim17ROCPRIM_400000_NS6detail17trampoline_kernelINS0_14default_configENS1_27scan_by_key_config_selectorIsiEEZZNS1_16scan_by_key_implILNS1_25lookback_scan_determinismE0ELb1ES3_N6thrust23THRUST_200600_302600_NS6detail15normal_iteratorINS9_10device_ptrIsEEEESE_SE_iNS9_4plusIvEENS9_8equal_toIvEEiEE10hipError_tPvRmT2_T3_T4_T5_mT6_T7_P12ihipStream_tbENKUlT_T0_E_clISt17integral_constantIbLb1EESZ_EEDaSU_SV_EUlSU_E_NS1_11comp_targetILNS1_3genE5ELNS1_11target_archE942ELNS1_3gpuE9ELNS1_3repE0EEENS1_30default_config_static_selectorELNS0_4arch9wavefront6targetE0EEEvT1_.uses_vcc, 0
	.set _ZN7rocprim17ROCPRIM_400000_NS6detail17trampoline_kernelINS0_14default_configENS1_27scan_by_key_config_selectorIsiEEZZNS1_16scan_by_key_implILNS1_25lookback_scan_determinismE0ELb1ES3_N6thrust23THRUST_200600_302600_NS6detail15normal_iteratorINS9_10device_ptrIsEEEESE_SE_iNS9_4plusIvEENS9_8equal_toIvEEiEE10hipError_tPvRmT2_T3_T4_T5_mT6_T7_P12ihipStream_tbENKUlT_T0_E_clISt17integral_constantIbLb1EESZ_EEDaSU_SV_EUlSU_E_NS1_11comp_targetILNS1_3genE5ELNS1_11target_archE942ELNS1_3gpuE9ELNS1_3repE0EEENS1_30default_config_static_selectorELNS0_4arch9wavefront6targetE0EEEvT1_.uses_flat_scratch, 0
	.set _ZN7rocprim17ROCPRIM_400000_NS6detail17trampoline_kernelINS0_14default_configENS1_27scan_by_key_config_selectorIsiEEZZNS1_16scan_by_key_implILNS1_25lookback_scan_determinismE0ELb1ES3_N6thrust23THRUST_200600_302600_NS6detail15normal_iteratorINS9_10device_ptrIsEEEESE_SE_iNS9_4plusIvEENS9_8equal_toIvEEiEE10hipError_tPvRmT2_T3_T4_T5_mT6_T7_P12ihipStream_tbENKUlT_T0_E_clISt17integral_constantIbLb1EESZ_EEDaSU_SV_EUlSU_E_NS1_11comp_targetILNS1_3genE5ELNS1_11target_archE942ELNS1_3gpuE9ELNS1_3repE0EEENS1_30default_config_static_selectorELNS0_4arch9wavefront6targetE0EEEvT1_.has_dyn_sized_stack, 0
	.set _ZN7rocprim17ROCPRIM_400000_NS6detail17trampoline_kernelINS0_14default_configENS1_27scan_by_key_config_selectorIsiEEZZNS1_16scan_by_key_implILNS1_25lookback_scan_determinismE0ELb1ES3_N6thrust23THRUST_200600_302600_NS6detail15normal_iteratorINS9_10device_ptrIsEEEESE_SE_iNS9_4plusIvEENS9_8equal_toIvEEiEE10hipError_tPvRmT2_T3_T4_T5_mT6_T7_P12ihipStream_tbENKUlT_T0_E_clISt17integral_constantIbLb1EESZ_EEDaSU_SV_EUlSU_E_NS1_11comp_targetILNS1_3genE5ELNS1_11target_archE942ELNS1_3gpuE9ELNS1_3repE0EEENS1_30default_config_static_selectorELNS0_4arch9wavefront6targetE0EEEvT1_.has_recursion, 0
	.set _ZN7rocprim17ROCPRIM_400000_NS6detail17trampoline_kernelINS0_14default_configENS1_27scan_by_key_config_selectorIsiEEZZNS1_16scan_by_key_implILNS1_25lookback_scan_determinismE0ELb1ES3_N6thrust23THRUST_200600_302600_NS6detail15normal_iteratorINS9_10device_ptrIsEEEESE_SE_iNS9_4plusIvEENS9_8equal_toIvEEiEE10hipError_tPvRmT2_T3_T4_T5_mT6_T7_P12ihipStream_tbENKUlT_T0_E_clISt17integral_constantIbLb1EESZ_EEDaSU_SV_EUlSU_E_NS1_11comp_targetILNS1_3genE5ELNS1_11target_archE942ELNS1_3gpuE9ELNS1_3repE0EEENS1_30default_config_static_selectorELNS0_4arch9wavefront6targetE0EEEvT1_.has_indirect_call, 0
	.section	.AMDGPU.csdata,"",@progbits
; Kernel info:
; codeLenInByte = 0
; TotalNumSgprs: 0
; NumVgprs: 0
; ScratchSize: 0
; MemoryBound: 0
; FloatMode: 240
; IeeeMode: 1
; LDSByteSize: 0 bytes/workgroup (compile time only)
; SGPRBlocks: 0
; VGPRBlocks: 0
; NumSGPRsForWavesPerEU: 1
; NumVGPRsForWavesPerEU: 1
; Occupancy: 16
; WaveLimiterHint : 0
; COMPUTE_PGM_RSRC2:SCRATCH_EN: 0
; COMPUTE_PGM_RSRC2:USER_SGPR: 6
; COMPUTE_PGM_RSRC2:TRAP_HANDLER: 0
; COMPUTE_PGM_RSRC2:TGID_X_EN: 1
; COMPUTE_PGM_RSRC2:TGID_Y_EN: 0
; COMPUTE_PGM_RSRC2:TGID_Z_EN: 0
; COMPUTE_PGM_RSRC2:TIDIG_COMP_CNT: 0
	.section	.text._ZN7rocprim17ROCPRIM_400000_NS6detail17trampoline_kernelINS0_14default_configENS1_27scan_by_key_config_selectorIsiEEZZNS1_16scan_by_key_implILNS1_25lookback_scan_determinismE0ELb1ES3_N6thrust23THRUST_200600_302600_NS6detail15normal_iteratorINS9_10device_ptrIsEEEESE_SE_iNS9_4plusIvEENS9_8equal_toIvEEiEE10hipError_tPvRmT2_T3_T4_T5_mT6_T7_P12ihipStream_tbENKUlT_T0_E_clISt17integral_constantIbLb1EESZ_EEDaSU_SV_EUlSU_E_NS1_11comp_targetILNS1_3genE4ELNS1_11target_archE910ELNS1_3gpuE8ELNS1_3repE0EEENS1_30default_config_static_selectorELNS0_4arch9wavefront6targetE0EEEvT1_,"axG",@progbits,_ZN7rocprim17ROCPRIM_400000_NS6detail17trampoline_kernelINS0_14default_configENS1_27scan_by_key_config_selectorIsiEEZZNS1_16scan_by_key_implILNS1_25lookback_scan_determinismE0ELb1ES3_N6thrust23THRUST_200600_302600_NS6detail15normal_iteratorINS9_10device_ptrIsEEEESE_SE_iNS9_4plusIvEENS9_8equal_toIvEEiEE10hipError_tPvRmT2_T3_T4_T5_mT6_T7_P12ihipStream_tbENKUlT_T0_E_clISt17integral_constantIbLb1EESZ_EEDaSU_SV_EUlSU_E_NS1_11comp_targetILNS1_3genE4ELNS1_11target_archE910ELNS1_3gpuE8ELNS1_3repE0EEENS1_30default_config_static_selectorELNS0_4arch9wavefront6targetE0EEEvT1_,comdat
	.protected	_ZN7rocprim17ROCPRIM_400000_NS6detail17trampoline_kernelINS0_14default_configENS1_27scan_by_key_config_selectorIsiEEZZNS1_16scan_by_key_implILNS1_25lookback_scan_determinismE0ELb1ES3_N6thrust23THRUST_200600_302600_NS6detail15normal_iteratorINS9_10device_ptrIsEEEESE_SE_iNS9_4plusIvEENS9_8equal_toIvEEiEE10hipError_tPvRmT2_T3_T4_T5_mT6_T7_P12ihipStream_tbENKUlT_T0_E_clISt17integral_constantIbLb1EESZ_EEDaSU_SV_EUlSU_E_NS1_11comp_targetILNS1_3genE4ELNS1_11target_archE910ELNS1_3gpuE8ELNS1_3repE0EEENS1_30default_config_static_selectorELNS0_4arch9wavefront6targetE0EEEvT1_ ; -- Begin function _ZN7rocprim17ROCPRIM_400000_NS6detail17trampoline_kernelINS0_14default_configENS1_27scan_by_key_config_selectorIsiEEZZNS1_16scan_by_key_implILNS1_25lookback_scan_determinismE0ELb1ES3_N6thrust23THRUST_200600_302600_NS6detail15normal_iteratorINS9_10device_ptrIsEEEESE_SE_iNS9_4plusIvEENS9_8equal_toIvEEiEE10hipError_tPvRmT2_T3_T4_T5_mT6_T7_P12ihipStream_tbENKUlT_T0_E_clISt17integral_constantIbLb1EESZ_EEDaSU_SV_EUlSU_E_NS1_11comp_targetILNS1_3genE4ELNS1_11target_archE910ELNS1_3gpuE8ELNS1_3repE0EEENS1_30default_config_static_selectorELNS0_4arch9wavefront6targetE0EEEvT1_
	.globl	_ZN7rocprim17ROCPRIM_400000_NS6detail17trampoline_kernelINS0_14default_configENS1_27scan_by_key_config_selectorIsiEEZZNS1_16scan_by_key_implILNS1_25lookback_scan_determinismE0ELb1ES3_N6thrust23THRUST_200600_302600_NS6detail15normal_iteratorINS9_10device_ptrIsEEEESE_SE_iNS9_4plusIvEENS9_8equal_toIvEEiEE10hipError_tPvRmT2_T3_T4_T5_mT6_T7_P12ihipStream_tbENKUlT_T0_E_clISt17integral_constantIbLb1EESZ_EEDaSU_SV_EUlSU_E_NS1_11comp_targetILNS1_3genE4ELNS1_11target_archE910ELNS1_3gpuE8ELNS1_3repE0EEENS1_30default_config_static_selectorELNS0_4arch9wavefront6targetE0EEEvT1_
	.p2align	8
	.type	_ZN7rocprim17ROCPRIM_400000_NS6detail17trampoline_kernelINS0_14default_configENS1_27scan_by_key_config_selectorIsiEEZZNS1_16scan_by_key_implILNS1_25lookback_scan_determinismE0ELb1ES3_N6thrust23THRUST_200600_302600_NS6detail15normal_iteratorINS9_10device_ptrIsEEEESE_SE_iNS9_4plusIvEENS9_8equal_toIvEEiEE10hipError_tPvRmT2_T3_T4_T5_mT6_T7_P12ihipStream_tbENKUlT_T0_E_clISt17integral_constantIbLb1EESZ_EEDaSU_SV_EUlSU_E_NS1_11comp_targetILNS1_3genE4ELNS1_11target_archE910ELNS1_3gpuE8ELNS1_3repE0EEENS1_30default_config_static_selectorELNS0_4arch9wavefront6targetE0EEEvT1_,@function
_ZN7rocprim17ROCPRIM_400000_NS6detail17trampoline_kernelINS0_14default_configENS1_27scan_by_key_config_selectorIsiEEZZNS1_16scan_by_key_implILNS1_25lookback_scan_determinismE0ELb1ES3_N6thrust23THRUST_200600_302600_NS6detail15normal_iteratorINS9_10device_ptrIsEEEESE_SE_iNS9_4plusIvEENS9_8equal_toIvEEiEE10hipError_tPvRmT2_T3_T4_T5_mT6_T7_P12ihipStream_tbENKUlT_T0_E_clISt17integral_constantIbLb1EESZ_EEDaSU_SV_EUlSU_E_NS1_11comp_targetILNS1_3genE4ELNS1_11target_archE910ELNS1_3gpuE8ELNS1_3repE0EEENS1_30default_config_static_selectorELNS0_4arch9wavefront6targetE0EEEvT1_: ; @_ZN7rocprim17ROCPRIM_400000_NS6detail17trampoline_kernelINS0_14default_configENS1_27scan_by_key_config_selectorIsiEEZZNS1_16scan_by_key_implILNS1_25lookback_scan_determinismE0ELb1ES3_N6thrust23THRUST_200600_302600_NS6detail15normal_iteratorINS9_10device_ptrIsEEEESE_SE_iNS9_4plusIvEENS9_8equal_toIvEEiEE10hipError_tPvRmT2_T3_T4_T5_mT6_T7_P12ihipStream_tbENKUlT_T0_E_clISt17integral_constantIbLb1EESZ_EEDaSU_SV_EUlSU_E_NS1_11comp_targetILNS1_3genE4ELNS1_11target_archE910ELNS1_3gpuE8ELNS1_3repE0EEENS1_30default_config_static_selectorELNS0_4arch9wavefront6targetE0EEEvT1_
; %bb.0:
	.section	.rodata,"a",@progbits
	.p2align	6, 0x0
	.amdhsa_kernel _ZN7rocprim17ROCPRIM_400000_NS6detail17trampoline_kernelINS0_14default_configENS1_27scan_by_key_config_selectorIsiEEZZNS1_16scan_by_key_implILNS1_25lookback_scan_determinismE0ELb1ES3_N6thrust23THRUST_200600_302600_NS6detail15normal_iteratorINS9_10device_ptrIsEEEESE_SE_iNS9_4plusIvEENS9_8equal_toIvEEiEE10hipError_tPvRmT2_T3_T4_T5_mT6_T7_P12ihipStream_tbENKUlT_T0_E_clISt17integral_constantIbLb1EESZ_EEDaSU_SV_EUlSU_E_NS1_11comp_targetILNS1_3genE4ELNS1_11target_archE910ELNS1_3gpuE8ELNS1_3repE0EEENS1_30default_config_static_selectorELNS0_4arch9wavefront6targetE0EEEvT1_
		.amdhsa_group_segment_fixed_size 0
		.amdhsa_private_segment_fixed_size 0
		.amdhsa_kernarg_size 112
		.amdhsa_user_sgpr_count 6
		.amdhsa_user_sgpr_private_segment_buffer 1
		.amdhsa_user_sgpr_dispatch_ptr 0
		.amdhsa_user_sgpr_queue_ptr 0
		.amdhsa_user_sgpr_kernarg_segment_ptr 1
		.amdhsa_user_sgpr_dispatch_id 0
		.amdhsa_user_sgpr_flat_scratch_init 0
		.amdhsa_user_sgpr_private_segment_size 0
		.amdhsa_wavefront_size32 1
		.amdhsa_uses_dynamic_stack 0
		.amdhsa_system_sgpr_private_segment_wavefront_offset 0
		.amdhsa_system_sgpr_workgroup_id_x 1
		.amdhsa_system_sgpr_workgroup_id_y 0
		.amdhsa_system_sgpr_workgroup_id_z 0
		.amdhsa_system_sgpr_workgroup_info 0
		.amdhsa_system_vgpr_workitem_id 0
		.amdhsa_next_free_vgpr 1
		.amdhsa_next_free_sgpr 1
		.amdhsa_reserve_vcc 0
		.amdhsa_reserve_flat_scratch 0
		.amdhsa_float_round_mode_32 0
		.amdhsa_float_round_mode_16_64 0
		.amdhsa_float_denorm_mode_32 3
		.amdhsa_float_denorm_mode_16_64 3
		.amdhsa_dx10_clamp 1
		.amdhsa_ieee_mode 1
		.amdhsa_fp16_overflow 0
		.amdhsa_workgroup_processor_mode 1
		.amdhsa_memory_ordered 1
		.amdhsa_forward_progress 1
		.amdhsa_shared_vgpr_count 0
		.amdhsa_exception_fp_ieee_invalid_op 0
		.amdhsa_exception_fp_denorm_src 0
		.amdhsa_exception_fp_ieee_div_zero 0
		.amdhsa_exception_fp_ieee_overflow 0
		.amdhsa_exception_fp_ieee_underflow 0
		.amdhsa_exception_fp_ieee_inexact 0
		.amdhsa_exception_int_div_zero 0
	.end_amdhsa_kernel
	.section	.text._ZN7rocprim17ROCPRIM_400000_NS6detail17trampoline_kernelINS0_14default_configENS1_27scan_by_key_config_selectorIsiEEZZNS1_16scan_by_key_implILNS1_25lookback_scan_determinismE0ELb1ES3_N6thrust23THRUST_200600_302600_NS6detail15normal_iteratorINS9_10device_ptrIsEEEESE_SE_iNS9_4plusIvEENS9_8equal_toIvEEiEE10hipError_tPvRmT2_T3_T4_T5_mT6_T7_P12ihipStream_tbENKUlT_T0_E_clISt17integral_constantIbLb1EESZ_EEDaSU_SV_EUlSU_E_NS1_11comp_targetILNS1_3genE4ELNS1_11target_archE910ELNS1_3gpuE8ELNS1_3repE0EEENS1_30default_config_static_selectorELNS0_4arch9wavefront6targetE0EEEvT1_,"axG",@progbits,_ZN7rocprim17ROCPRIM_400000_NS6detail17trampoline_kernelINS0_14default_configENS1_27scan_by_key_config_selectorIsiEEZZNS1_16scan_by_key_implILNS1_25lookback_scan_determinismE0ELb1ES3_N6thrust23THRUST_200600_302600_NS6detail15normal_iteratorINS9_10device_ptrIsEEEESE_SE_iNS9_4plusIvEENS9_8equal_toIvEEiEE10hipError_tPvRmT2_T3_T4_T5_mT6_T7_P12ihipStream_tbENKUlT_T0_E_clISt17integral_constantIbLb1EESZ_EEDaSU_SV_EUlSU_E_NS1_11comp_targetILNS1_3genE4ELNS1_11target_archE910ELNS1_3gpuE8ELNS1_3repE0EEENS1_30default_config_static_selectorELNS0_4arch9wavefront6targetE0EEEvT1_,comdat
.Lfunc_end1055:
	.size	_ZN7rocprim17ROCPRIM_400000_NS6detail17trampoline_kernelINS0_14default_configENS1_27scan_by_key_config_selectorIsiEEZZNS1_16scan_by_key_implILNS1_25lookback_scan_determinismE0ELb1ES3_N6thrust23THRUST_200600_302600_NS6detail15normal_iteratorINS9_10device_ptrIsEEEESE_SE_iNS9_4plusIvEENS9_8equal_toIvEEiEE10hipError_tPvRmT2_T3_T4_T5_mT6_T7_P12ihipStream_tbENKUlT_T0_E_clISt17integral_constantIbLb1EESZ_EEDaSU_SV_EUlSU_E_NS1_11comp_targetILNS1_3genE4ELNS1_11target_archE910ELNS1_3gpuE8ELNS1_3repE0EEENS1_30default_config_static_selectorELNS0_4arch9wavefront6targetE0EEEvT1_, .Lfunc_end1055-_ZN7rocprim17ROCPRIM_400000_NS6detail17trampoline_kernelINS0_14default_configENS1_27scan_by_key_config_selectorIsiEEZZNS1_16scan_by_key_implILNS1_25lookback_scan_determinismE0ELb1ES3_N6thrust23THRUST_200600_302600_NS6detail15normal_iteratorINS9_10device_ptrIsEEEESE_SE_iNS9_4plusIvEENS9_8equal_toIvEEiEE10hipError_tPvRmT2_T3_T4_T5_mT6_T7_P12ihipStream_tbENKUlT_T0_E_clISt17integral_constantIbLb1EESZ_EEDaSU_SV_EUlSU_E_NS1_11comp_targetILNS1_3genE4ELNS1_11target_archE910ELNS1_3gpuE8ELNS1_3repE0EEENS1_30default_config_static_selectorELNS0_4arch9wavefront6targetE0EEEvT1_
                                        ; -- End function
	.set _ZN7rocprim17ROCPRIM_400000_NS6detail17trampoline_kernelINS0_14default_configENS1_27scan_by_key_config_selectorIsiEEZZNS1_16scan_by_key_implILNS1_25lookback_scan_determinismE0ELb1ES3_N6thrust23THRUST_200600_302600_NS6detail15normal_iteratorINS9_10device_ptrIsEEEESE_SE_iNS9_4plusIvEENS9_8equal_toIvEEiEE10hipError_tPvRmT2_T3_T4_T5_mT6_T7_P12ihipStream_tbENKUlT_T0_E_clISt17integral_constantIbLb1EESZ_EEDaSU_SV_EUlSU_E_NS1_11comp_targetILNS1_3genE4ELNS1_11target_archE910ELNS1_3gpuE8ELNS1_3repE0EEENS1_30default_config_static_selectorELNS0_4arch9wavefront6targetE0EEEvT1_.num_vgpr, 0
	.set _ZN7rocprim17ROCPRIM_400000_NS6detail17trampoline_kernelINS0_14default_configENS1_27scan_by_key_config_selectorIsiEEZZNS1_16scan_by_key_implILNS1_25lookback_scan_determinismE0ELb1ES3_N6thrust23THRUST_200600_302600_NS6detail15normal_iteratorINS9_10device_ptrIsEEEESE_SE_iNS9_4plusIvEENS9_8equal_toIvEEiEE10hipError_tPvRmT2_T3_T4_T5_mT6_T7_P12ihipStream_tbENKUlT_T0_E_clISt17integral_constantIbLb1EESZ_EEDaSU_SV_EUlSU_E_NS1_11comp_targetILNS1_3genE4ELNS1_11target_archE910ELNS1_3gpuE8ELNS1_3repE0EEENS1_30default_config_static_selectorELNS0_4arch9wavefront6targetE0EEEvT1_.num_agpr, 0
	.set _ZN7rocprim17ROCPRIM_400000_NS6detail17trampoline_kernelINS0_14default_configENS1_27scan_by_key_config_selectorIsiEEZZNS1_16scan_by_key_implILNS1_25lookback_scan_determinismE0ELb1ES3_N6thrust23THRUST_200600_302600_NS6detail15normal_iteratorINS9_10device_ptrIsEEEESE_SE_iNS9_4plusIvEENS9_8equal_toIvEEiEE10hipError_tPvRmT2_T3_T4_T5_mT6_T7_P12ihipStream_tbENKUlT_T0_E_clISt17integral_constantIbLb1EESZ_EEDaSU_SV_EUlSU_E_NS1_11comp_targetILNS1_3genE4ELNS1_11target_archE910ELNS1_3gpuE8ELNS1_3repE0EEENS1_30default_config_static_selectorELNS0_4arch9wavefront6targetE0EEEvT1_.numbered_sgpr, 0
	.set _ZN7rocprim17ROCPRIM_400000_NS6detail17trampoline_kernelINS0_14default_configENS1_27scan_by_key_config_selectorIsiEEZZNS1_16scan_by_key_implILNS1_25lookback_scan_determinismE0ELb1ES3_N6thrust23THRUST_200600_302600_NS6detail15normal_iteratorINS9_10device_ptrIsEEEESE_SE_iNS9_4plusIvEENS9_8equal_toIvEEiEE10hipError_tPvRmT2_T3_T4_T5_mT6_T7_P12ihipStream_tbENKUlT_T0_E_clISt17integral_constantIbLb1EESZ_EEDaSU_SV_EUlSU_E_NS1_11comp_targetILNS1_3genE4ELNS1_11target_archE910ELNS1_3gpuE8ELNS1_3repE0EEENS1_30default_config_static_selectorELNS0_4arch9wavefront6targetE0EEEvT1_.num_named_barrier, 0
	.set _ZN7rocprim17ROCPRIM_400000_NS6detail17trampoline_kernelINS0_14default_configENS1_27scan_by_key_config_selectorIsiEEZZNS1_16scan_by_key_implILNS1_25lookback_scan_determinismE0ELb1ES3_N6thrust23THRUST_200600_302600_NS6detail15normal_iteratorINS9_10device_ptrIsEEEESE_SE_iNS9_4plusIvEENS9_8equal_toIvEEiEE10hipError_tPvRmT2_T3_T4_T5_mT6_T7_P12ihipStream_tbENKUlT_T0_E_clISt17integral_constantIbLb1EESZ_EEDaSU_SV_EUlSU_E_NS1_11comp_targetILNS1_3genE4ELNS1_11target_archE910ELNS1_3gpuE8ELNS1_3repE0EEENS1_30default_config_static_selectorELNS0_4arch9wavefront6targetE0EEEvT1_.private_seg_size, 0
	.set _ZN7rocprim17ROCPRIM_400000_NS6detail17trampoline_kernelINS0_14default_configENS1_27scan_by_key_config_selectorIsiEEZZNS1_16scan_by_key_implILNS1_25lookback_scan_determinismE0ELb1ES3_N6thrust23THRUST_200600_302600_NS6detail15normal_iteratorINS9_10device_ptrIsEEEESE_SE_iNS9_4plusIvEENS9_8equal_toIvEEiEE10hipError_tPvRmT2_T3_T4_T5_mT6_T7_P12ihipStream_tbENKUlT_T0_E_clISt17integral_constantIbLb1EESZ_EEDaSU_SV_EUlSU_E_NS1_11comp_targetILNS1_3genE4ELNS1_11target_archE910ELNS1_3gpuE8ELNS1_3repE0EEENS1_30default_config_static_selectorELNS0_4arch9wavefront6targetE0EEEvT1_.uses_vcc, 0
	.set _ZN7rocprim17ROCPRIM_400000_NS6detail17trampoline_kernelINS0_14default_configENS1_27scan_by_key_config_selectorIsiEEZZNS1_16scan_by_key_implILNS1_25lookback_scan_determinismE0ELb1ES3_N6thrust23THRUST_200600_302600_NS6detail15normal_iteratorINS9_10device_ptrIsEEEESE_SE_iNS9_4plusIvEENS9_8equal_toIvEEiEE10hipError_tPvRmT2_T3_T4_T5_mT6_T7_P12ihipStream_tbENKUlT_T0_E_clISt17integral_constantIbLb1EESZ_EEDaSU_SV_EUlSU_E_NS1_11comp_targetILNS1_3genE4ELNS1_11target_archE910ELNS1_3gpuE8ELNS1_3repE0EEENS1_30default_config_static_selectorELNS0_4arch9wavefront6targetE0EEEvT1_.uses_flat_scratch, 0
	.set _ZN7rocprim17ROCPRIM_400000_NS6detail17trampoline_kernelINS0_14default_configENS1_27scan_by_key_config_selectorIsiEEZZNS1_16scan_by_key_implILNS1_25lookback_scan_determinismE0ELb1ES3_N6thrust23THRUST_200600_302600_NS6detail15normal_iteratorINS9_10device_ptrIsEEEESE_SE_iNS9_4plusIvEENS9_8equal_toIvEEiEE10hipError_tPvRmT2_T3_T4_T5_mT6_T7_P12ihipStream_tbENKUlT_T0_E_clISt17integral_constantIbLb1EESZ_EEDaSU_SV_EUlSU_E_NS1_11comp_targetILNS1_3genE4ELNS1_11target_archE910ELNS1_3gpuE8ELNS1_3repE0EEENS1_30default_config_static_selectorELNS0_4arch9wavefront6targetE0EEEvT1_.has_dyn_sized_stack, 0
	.set _ZN7rocprim17ROCPRIM_400000_NS6detail17trampoline_kernelINS0_14default_configENS1_27scan_by_key_config_selectorIsiEEZZNS1_16scan_by_key_implILNS1_25lookback_scan_determinismE0ELb1ES3_N6thrust23THRUST_200600_302600_NS6detail15normal_iteratorINS9_10device_ptrIsEEEESE_SE_iNS9_4plusIvEENS9_8equal_toIvEEiEE10hipError_tPvRmT2_T3_T4_T5_mT6_T7_P12ihipStream_tbENKUlT_T0_E_clISt17integral_constantIbLb1EESZ_EEDaSU_SV_EUlSU_E_NS1_11comp_targetILNS1_3genE4ELNS1_11target_archE910ELNS1_3gpuE8ELNS1_3repE0EEENS1_30default_config_static_selectorELNS0_4arch9wavefront6targetE0EEEvT1_.has_recursion, 0
	.set _ZN7rocprim17ROCPRIM_400000_NS6detail17trampoline_kernelINS0_14default_configENS1_27scan_by_key_config_selectorIsiEEZZNS1_16scan_by_key_implILNS1_25lookback_scan_determinismE0ELb1ES3_N6thrust23THRUST_200600_302600_NS6detail15normal_iteratorINS9_10device_ptrIsEEEESE_SE_iNS9_4plusIvEENS9_8equal_toIvEEiEE10hipError_tPvRmT2_T3_T4_T5_mT6_T7_P12ihipStream_tbENKUlT_T0_E_clISt17integral_constantIbLb1EESZ_EEDaSU_SV_EUlSU_E_NS1_11comp_targetILNS1_3genE4ELNS1_11target_archE910ELNS1_3gpuE8ELNS1_3repE0EEENS1_30default_config_static_selectorELNS0_4arch9wavefront6targetE0EEEvT1_.has_indirect_call, 0
	.section	.AMDGPU.csdata,"",@progbits
; Kernel info:
; codeLenInByte = 0
; TotalNumSgprs: 0
; NumVgprs: 0
; ScratchSize: 0
; MemoryBound: 0
; FloatMode: 240
; IeeeMode: 1
; LDSByteSize: 0 bytes/workgroup (compile time only)
; SGPRBlocks: 0
; VGPRBlocks: 0
; NumSGPRsForWavesPerEU: 1
; NumVGPRsForWavesPerEU: 1
; Occupancy: 16
; WaveLimiterHint : 0
; COMPUTE_PGM_RSRC2:SCRATCH_EN: 0
; COMPUTE_PGM_RSRC2:USER_SGPR: 6
; COMPUTE_PGM_RSRC2:TRAP_HANDLER: 0
; COMPUTE_PGM_RSRC2:TGID_X_EN: 1
; COMPUTE_PGM_RSRC2:TGID_Y_EN: 0
; COMPUTE_PGM_RSRC2:TGID_Z_EN: 0
; COMPUTE_PGM_RSRC2:TIDIG_COMP_CNT: 0
	.section	.text._ZN7rocprim17ROCPRIM_400000_NS6detail17trampoline_kernelINS0_14default_configENS1_27scan_by_key_config_selectorIsiEEZZNS1_16scan_by_key_implILNS1_25lookback_scan_determinismE0ELb1ES3_N6thrust23THRUST_200600_302600_NS6detail15normal_iteratorINS9_10device_ptrIsEEEESE_SE_iNS9_4plusIvEENS9_8equal_toIvEEiEE10hipError_tPvRmT2_T3_T4_T5_mT6_T7_P12ihipStream_tbENKUlT_T0_E_clISt17integral_constantIbLb1EESZ_EEDaSU_SV_EUlSU_E_NS1_11comp_targetILNS1_3genE3ELNS1_11target_archE908ELNS1_3gpuE7ELNS1_3repE0EEENS1_30default_config_static_selectorELNS0_4arch9wavefront6targetE0EEEvT1_,"axG",@progbits,_ZN7rocprim17ROCPRIM_400000_NS6detail17trampoline_kernelINS0_14default_configENS1_27scan_by_key_config_selectorIsiEEZZNS1_16scan_by_key_implILNS1_25lookback_scan_determinismE0ELb1ES3_N6thrust23THRUST_200600_302600_NS6detail15normal_iteratorINS9_10device_ptrIsEEEESE_SE_iNS9_4plusIvEENS9_8equal_toIvEEiEE10hipError_tPvRmT2_T3_T4_T5_mT6_T7_P12ihipStream_tbENKUlT_T0_E_clISt17integral_constantIbLb1EESZ_EEDaSU_SV_EUlSU_E_NS1_11comp_targetILNS1_3genE3ELNS1_11target_archE908ELNS1_3gpuE7ELNS1_3repE0EEENS1_30default_config_static_selectorELNS0_4arch9wavefront6targetE0EEEvT1_,comdat
	.protected	_ZN7rocprim17ROCPRIM_400000_NS6detail17trampoline_kernelINS0_14default_configENS1_27scan_by_key_config_selectorIsiEEZZNS1_16scan_by_key_implILNS1_25lookback_scan_determinismE0ELb1ES3_N6thrust23THRUST_200600_302600_NS6detail15normal_iteratorINS9_10device_ptrIsEEEESE_SE_iNS9_4plusIvEENS9_8equal_toIvEEiEE10hipError_tPvRmT2_T3_T4_T5_mT6_T7_P12ihipStream_tbENKUlT_T0_E_clISt17integral_constantIbLb1EESZ_EEDaSU_SV_EUlSU_E_NS1_11comp_targetILNS1_3genE3ELNS1_11target_archE908ELNS1_3gpuE7ELNS1_3repE0EEENS1_30default_config_static_selectorELNS0_4arch9wavefront6targetE0EEEvT1_ ; -- Begin function _ZN7rocprim17ROCPRIM_400000_NS6detail17trampoline_kernelINS0_14default_configENS1_27scan_by_key_config_selectorIsiEEZZNS1_16scan_by_key_implILNS1_25lookback_scan_determinismE0ELb1ES3_N6thrust23THRUST_200600_302600_NS6detail15normal_iteratorINS9_10device_ptrIsEEEESE_SE_iNS9_4plusIvEENS9_8equal_toIvEEiEE10hipError_tPvRmT2_T3_T4_T5_mT6_T7_P12ihipStream_tbENKUlT_T0_E_clISt17integral_constantIbLb1EESZ_EEDaSU_SV_EUlSU_E_NS1_11comp_targetILNS1_3genE3ELNS1_11target_archE908ELNS1_3gpuE7ELNS1_3repE0EEENS1_30default_config_static_selectorELNS0_4arch9wavefront6targetE0EEEvT1_
	.globl	_ZN7rocprim17ROCPRIM_400000_NS6detail17trampoline_kernelINS0_14default_configENS1_27scan_by_key_config_selectorIsiEEZZNS1_16scan_by_key_implILNS1_25lookback_scan_determinismE0ELb1ES3_N6thrust23THRUST_200600_302600_NS6detail15normal_iteratorINS9_10device_ptrIsEEEESE_SE_iNS9_4plusIvEENS9_8equal_toIvEEiEE10hipError_tPvRmT2_T3_T4_T5_mT6_T7_P12ihipStream_tbENKUlT_T0_E_clISt17integral_constantIbLb1EESZ_EEDaSU_SV_EUlSU_E_NS1_11comp_targetILNS1_3genE3ELNS1_11target_archE908ELNS1_3gpuE7ELNS1_3repE0EEENS1_30default_config_static_selectorELNS0_4arch9wavefront6targetE0EEEvT1_
	.p2align	8
	.type	_ZN7rocprim17ROCPRIM_400000_NS6detail17trampoline_kernelINS0_14default_configENS1_27scan_by_key_config_selectorIsiEEZZNS1_16scan_by_key_implILNS1_25lookback_scan_determinismE0ELb1ES3_N6thrust23THRUST_200600_302600_NS6detail15normal_iteratorINS9_10device_ptrIsEEEESE_SE_iNS9_4plusIvEENS9_8equal_toIvEEiEE10hipError_tPvRmT2_T3_T4_T5_mT6_T7_P12ihipStream_tbENKUlT_T0_E_clISt17integral_constantIbLb1EESZ_EEDaSU_SV_EUlSU_E_NS1_11comp_targetILNS1_3genE3ELNS1_11target_archE908ELNS1_3gpuE7ELNS1_3repE0EEENS1_30default_config_static_selectorELNS0_4arch9wavefront6targetE0EEEvT1_,@function
_ZN7rocprim17ROCPRIM_400000_NS6detail17trampoline_kernelINS0_14default_configENS1_27scan_by_key_config_selectorIsiEEZZNS1_16scan_by_key_implILNS1_25lookback_scan_determinismE0ELb1ES3_N6thrust23THRUST_200600_302600_NS6detail15normal_iteratorINS9_10device_ptrIsEEEESE_SE_iNS9_4plusIvEENS9_8equal_toIvEEiEE10hipError_tPvRmT2_T3_T4_T5_mT6_T7_P12ihipStream_tbENKUlT_T0_E_clISt17integral_constantIbLb1EESZ_EEDaSU_SV_EUlSU_E_NS1_11comp_targetILNS1_3genE3ELNS1_11target_archE908ELNS1_3gpuE7ELNS1_3repE0EEENS1_30default_config_static_selectorELNS0_4arch9wavefront6targetE0EEEvT1_: ; @_ZN7rocprim17ROCPRIM_400000_NS6detail17trampoline_kernelINS0_14default_configENS1_27scan_by_key_config_selectorIsiEEZZNS1_16scan_by_key_implILNS1_25lookback_scan_determinismE0ELb1ES3_N6thrust23THRUST_200600_302600_NS6detail15normal_iteratorINS9_10device_ptrIsEEEESE_SE_iNS9_4plusIvEENS9_8equal_toIvEEiEE10hipError_tPvRmT2_T3_T4_T5_mT6_T7_P12ihipStream_tbENKUlT_T0_E_clISt17integral_constantIbLb1EESZ_EEDaSU_SV_EUlSU_E_NS1_11comp_targetILNS1_3genE3ELNS1_11target_archE908ELNS1_3gpuE7ELNS1_3repE0EEENS1_30default_config_static_selectorELNS0_4arch9wavefront6targetE0EEEvT1_
; %bb.0:
	.section	.rodata,"a",@progbits
	.p2align	6, 0x0
	.amdhsa_kernel _ZN7rocprim17ROCPRIM_400000_NS6detail17trampoline_kernelINS0_14default_configENS1_27scan_by_key_config_selectorIsiEEZZNS1_16scan_by_key_implILNS1_25lookback_scan_determinismE0ELb1ES3_N6thrust23THRUST_200600_302600_NS6detail15normal_iteratorINS9_10device_ptrIsEEEESE_SE_iNS9_4plusIvEENS9_8equal_toIvEEiEE10hipError_tPvRmT2_T3_T4_T5_mT6_T7_P12ihipStream_tbENKUlT_T0_E_clISt17integral_constantIbLb1EESZ_EEDaSU_SV_EUlSU_E_NS1_11comp_targetILNS1_3genE3ELNS1_11target_archE908ELNS1_3gpuE7ELNS1_3repE0EEENS1_30default_config_static_selectorELNS0_4arch9wavefront6targetE0EEEvT1_
		.amdhsa_group_segment_fixed_size 0
		.amdhsa_private_segment_fixed_size 0
		.amdhsa_kernarg_size 112
		.amdhsa_user_sgpr_count 6
		.amdhsa_user_sgpr_private_segment_buffer 1
		.amdhsa_user_sgpr_dispatch_ptr 0
		.amdhsa_user_sgpr_queue_ptr 0
		.amdhsa_user_sgpr_kernarg_segment_ptr 1
		.amdhsa_user_sgpr_dispatch_id 0
		.amdhsa_user_sgpr_flat_scratch_init 0
		.amdhsa_user_sgpr_private_segment_size 0
		.amdhsa_wavefront_size32 1
		.amdhsa_uses_dynamic_stack 0
		.amdhsa_system_sgpr_private_segment_wavefront_offset 0
		.amdhsa_system_sgpr_workgroup_id_x 1
		.amdhsa_system_sgpr_workgroup_id_y 0
		.amdhsa_system_sgpr_workgroup_id_z 0
		.amdhsa_system_sgpr_workgroup_info 0
		.amdhsa_system_vgpr_workitem_id 0
		.amdhsa_next_free_vgpr 1
		.amdhsa_next_free_sgpr 1
		.amdhsa_reserve_vcc 0
		.amdhsa_reserve_flat_scratch 0
		.amdhsa_float_round_mode_32 0
		.amdhsa_float_round_mode_16_64 0
		.amdhsa_float_denorm_mode_32 3
		.amdhsa_float_denorm_mode_16_64 3
		.amdhsa_dx10_clamp 1
		.amdhsa_ieee_mode 1
		.amdhsa_fp16_overflow 0
		.amdhsa_workgroup_processor_mode 1
		.amdhsa_memory_ordered 1
		.amdhsa_forward_progress 1
		.amdhsa_shared_vgpr_count 0
		.amdhsa_exception_fp_ieee_invalid_op 0
		.amdhsa_exception_fp_denorm_src 0
		.amdhsa_exception_fp_ieee_div_zero 0
		.amdhsa_exception_fp_ieee_overflow 0
		.amdhsa_exception_fp_ieee_underflow 0
		.amdhsa_exception_fp_ieee_inexact 0
		.amdhsa_exception_int_div_zero 0
	.end_amdhsa_kernel
	.section	.text._ZN7rocprim17ROCPRIM_400000_NS6detail17trampoline_kernelINS0_14default_configENS1_27scan_by_key_config_selectorIsiEEZZNS1_16scan_by_key_implILNS1_25lookback_scan_determinismE0ELb1ES3_N6thrust23THRUST_200600_302600_NS6detail15normal_iteratorINS9_10device_ptrIsEEEESE_SE_iNS9_4plusIvEENS9_8equal_toIvEEiEE10hipError_tPvRmT2_T3_T4_T5_mT6_T7_P12ihipStream_tbENKUlT_T0_E_clISt17integral_constantIbLb1EESZ_EEDaSU_SV_EUlSU_E_NS1_11comp_targetILNS1_3genE3ELNS1_11target_archE908ELNS1_3gpuE7ELNS1_3repE0EEENS1_30default_config_static_selectorELNS0_4arch9wavefront6targetE0EEEvT1_,"axG",@progbits,_ZN7rocprim17ROCPRIM_400000_NS6detail17trampoline_kernelINS0_14default_configENS1_27scan_by_key_config_selectorIsiEEZZNS1_16scan_by_key_implILNS1_25lookback_scan_determinismE0ELb1ES3_N6thrust23THRUST_200600_302600_NS6detail15normal_iteratorINS9_10device_ptrIsEEEESE_SE_iNS9_4plusIvEENS9_8equal_toIvEEiEE10hipError_tPvRmT2_T3_T4_T5_mT6_T7_P12ihipStream_tbENKUlT_T0_E_clISt17integral_constantIbLb1EESZ_EEDaSU_SV_EUlSU_E_NS1_11comp_targetILNS1_3genE3ELNS1_11target_archE908ELNS1_3gpuE7ELNS1_3repE0EEENS1_30default_config_static_selectorELNS0_4arch9wavefront6targetE0EEEvT1_,comdat
.Lfunc_end1056:
	.size	_ZN7rocprim17ROCPRIM_400000_NS6detail17trampoline_kernelINS0_14default_configENS1_27scan_by_key_config_selectorIsiEEZZNS1_16scan_by_key_implILNS1_25lookback_scan_determinismE0ELb1ES3_N6thrust23THRUST_200600_302600_NS6detail15normal_iteratorINS9_10device_ptrIsEEEESE_SE_iNS9_4plusIvEENS9_8equal_toIvEEiEE10hipError_tPvRmT2_T3_T4_T5_mT6_T7_P12ihipStream_tbENKUlT_T0_E_clISt17integral_constantIbLb1EESZ_EEDaSU_SV_EUlSU_E_NS1_11comp_targetILNS1_3genE3ELNS1_11target_archE908ELNS1_3gpuE7ELNS1_3repE0EEENS1_30default_config_static_selectorELNS0_4arch9wavefront6targetE0EEEvT1_, .Lfunc_end1056-_ZN7rocprim17ROCPRIM_400000_NS6detail17trampoline_kernelINS0_14default_configENS1_27scan_by_key_config_selectorIsiEEZZNS1_16scan_by_key_implILNS1_25lookback_scan_determinismE0ELb1ES3_N6thrust23THRUST_200600_302600_NS6detail15normal_iteratorINS9_10device_ptrIsEEEESE_SE_iNS9_4plusIvEENS9_8equal_toIvEEiEE10hipError_tPvRmT2_T3_T4_T5_mT6_T7_P12ihipStream_tbENKUlT_T0_E_clISt17integral_constantIbLb1EESZ_EEDaSU_SV_EUlSU_E_NS1_11comp_targetILNS1_3genE3ELNS1_11target_archE908ELNS1_3gpuE7ELNS1_3repE0EEENS1_30default_config_static_selectorELNS0_4arch9wavefront6targetE0EEEvT1_
                                        ; -- End function
	.set _ZN7rocprim17ROCPRIM_400000_NS6detail17trampoline_kernelINS0_14default_configENS1_27scan_by_key_config_selectorIsiEEZZNS1_16scan_by_key_implILNS1_25lookback_scan_determinismE0ELb1ES3_N6thrust23THRUST_200600_302600_NS6detail15normal_iteratorINS9_10device_ptrIsEEEESE_SE_iNS9_4plusIvEENS9_8equal_toIvEEiEE10hipError_tPvRmT2_T3_T4_T5_mT6_T7_P12ihipStream_tbENKUlT_T0_E_clISt17integral_constantIbLb1EESZ_EEDaSU_SV_EUlSU_E_NS1_11comp_targetILNS1_3genE3ELNS1_11target_archE908ELNS1_3gpuE7ELNS1_3repE0EEENS1_30default_config_static_selectorELNS0_4arch9wavefront6targetE0EEEvT1_.num_vgpr, 0
	.set _ZN7rocprim17ROCPRIM_400000_NS6detail17trampoline_kernelINS0_14default_configENS1_27scan_by_key_config_selectorIsiEEZZNS1_16scan_by_key_implILNS1_25lookback_scan_determinismE0ELb1ES3_N6thrust23THRUST_200600_302600_NS6detail15normal_iteratorINS9_10device_ptrIsEEEESE_SE_iNS9_4plusIvEENS9_8equal_toIvEEiEE10hipError_tPvRmT2_T3_T4_T5_mT6_T7_P12ihipStream_tbENKUlT_T0_E_clISt17integral_constantIbLb1EESZ_EEDaSU_SV_EUlSU_E_NS1_11comp_targetILNS1_3genE3ELNS1_11target_archE908ELNS1_3gpuE7ELNS1_3repE0EEENS1_30default_config_static_selectorELNS0_4arch9wavefront6targetE0EEEvT1_.num_agpr, 0
	.set _ZN7rocprim17ROCPRIM_400000_NS6detail17trampoline_kernelINS0_14default_configENS1_27scan_by_key_config_selectorIsiEEZZNS1_16scan_by_key_implILNS1_25lookback_scan_determinismE0ELb1ES3_N6thrust23THRUST_200600_302600_NS6detail15normal_iteratorINS9_10device_ptrIsEEEESE_SE_iNS9_4plusIvEENS9_8equal_toIvEEiEE10hipError_tPvRmT2_T3_T4_T5_mT6_T7_P12ihipStream_tbENKUlT_T0_E_clISt17integral_constantIbLb1EESZ_EEDaSU_SV_EUlSU_E_NS1_11comp_targetILNS1_3genE3ELNS1_11target_archE908ELNS1_3gpuE7ELNS1_3repE0EEENS1_30default_config_static_selectorELNS0_4arch9wavefront6targetE0EEEvT1_.numbered_sgpr, 0
	.set _ZN7rocprim17ROCPRIM_400000_NS6detail17trampoline_kernelINS0_14default_configENS1_27scan_by_key_config_selectorIsiEEZZNS1_16scan_by_key_implILNS1_25lookback_scan_determinismE0ELb1ES3_N6thrust23THRUST_200600_302600_NS6detail15normal_iteratorINS9_10device_ptrIsEEEESE_SE_iNS9_4plusIvEENS9_8equal_toIvEEiEE10hipError_tPvRmT2_T3_T4_T5_mT6_T7_P12ihipStream_tbENKUlT_T0_E_clISt17integral_constantIbLb1EESZ_EEDaSU_SV_EUlSU_E_NS1_11comp_targetILNS1_3genE3ELNS1_11target_archE908ELNS1_3gpuE7ELNS1_3repE0EEENS1_30default_config_static_selectorELNS0_4arch9wavefront6targetE0EEEvT1_.num_named_barrier, 0
	.set _ZN7rocprim17ROCPRIM_400000_NS6detail17trampoline_kernelINS0_14default_configENS1_27scan_by_key_config_selectorIsiEEZZNS1_16scan_by_key_implILNS1_25lookback_scan_determinismE0ELb1ES3_N6thrust23THRUST_200600_302600_NS6detail15normal_iteratorINS9_10device_ptrIsEEEESE_SE_iNS9_4plusIvEENS9_8equal_toIvEEiEE10hipError_tPvRmT2_T3_T4_T5_mT6_T7_P12ihipStream_tbENKUlT_T0_E_clISt17integral_constantIbLb1EESZ_EEDaSU_SV_EUlSU_E_NS1_11comp_targetILNS1_3genE3ELNS1_11target_archE908ELNS1_3gpuE7ELNS1_3repE0EEENS1_30default_config_static_selectorELNS0_4arch9wavefront6targetE0EEEvT1_.private_seg_size, 0
	.set _ZN7rocprim17ROCPRIM_400000_NS6detail17trampoline_kernelINS0_14default_configENS1_27scan_by_key_config_selectorIsiEEZZNS1_16scan_by_key_implILNS1_25lookback_scan_determinismE0ELb1ES3_N6thrust23THRUST_200600_302600_NS6detail15normal_iteratorINS9_10device_ptrIsEEEESE_SE_iNS9_4plusIvEENS9_8equal_toIvEEiEE10hipError_tPvRmT2_T3_T4_T5_mT6_T7_P12ihipStream_tbENKUlT_T0_E_clISt17integral_constantIbLb1EESZ_EEDaSU_SV_EUlSU_E_NS1_11comp_targetILNS1_3genE3ELNS1_11target_archE908ELNS1_3gpuE7ELNS1_3repE0EEENS1_30default_config_static_selectorELNS0_4arch9wavefront6targetE0EEEvT1_.uses_vcc, 0
	.set _ZN7rocprim17ROCPRIM_400000_NS6detail17trampoline_kernelINS0_14default_configENS1_27scan_by_key_config_selectorIsiEEZZNS1_16scan_by_key_implILNS1_25lookback_scan_determinismE0ELb1ES3_N6thrust23THRUST_200600_302600_NS6detail15normal_iteratorINS9_10device_ptrIsEEEESE_SE_iNS9_4plusIvEENS9_8equal_toIvEEiEE10hipError_tPvRmT2_T3_T4_T5_mT6_T7_P12ihipStream_tbENKUlT_T0_E_clISt17integral_constantIbLb1EESZ_EEDaSU_SV_EUlSU_E_NS1_11comp_targetILNS1_3genE3ELNS1_11target_archE908ELNS1_3gpuE7ELNS1_3repE0EEENS1_30default_config_static_selectorELNS0_4arch9wavefront6targetE0EEEvT1_.uses_flat_scratch, 0
	.set _ZN7rocprim17ROCPRIM_400000_NS6detail17trampoline_kernelINS0_14default_configENS1_27scan_by_key_config_selectorIsiEEZZNS1_16scan_by_key_implILNS1_25lookback_scan_determinismE0ELb1ES3_N6thrust23THRUST_200600_302600_NS6detail15normal_iteratorINS9_10device_ptrIsEEEESE_SE_iNS9_4plusIvEENS9_8equal_toIvEEiEE10hipError_tPvRmT2_T3_T4_T5_mT6_T7_P12ihipStream_tbENKUlT_T0_E_clISt17integral_constantIbLb1EESZ_EEDaSU_SV_EUlSU_E_NS1_11comp_targetILNS1_3genE3ELNS1_11target_archE908ELNS1_3gpuE7ELNS1_3repE0EEENS1_30default_config_static_selectorELNS0_4arch9wavefront6targetE0EEEvT1_.has_dyn_sized_stack, 0
	.set _ZN7rocprim17ROCPRIM_400000_NS6detail17trampoline_kernelINS0_14default_configENS1_27scan_by_key_config_selectorIsiEEZZNS1_16scan_by_key_implILNS1_25lookback_scan_determinismE0ELb1ES3_N6thrust23THRUST_200600_302600_NS6detail15normal_iteratorINS9_10device_ptrIsEEEESE_SE_iNS9_4plusIvEENS9_8equal_toIvEEiEE10hipError_tPvRmT2_T3_T4_T5_mT6_T7_P12ihipStream_tbENKUlT_T0_E_clISt17integral_constantIbLb1EESZ_EEDaSU_SV_EUlSU_E_NS1_11comp_targetILNS1_3genE3ELNS1_11target_archE908ELNS1_3gpuE7ELNS1_3repE0EEENS1_30default_config_static_selectorELNS0_4arch9wavefront6targetE0EEEvT1_.has_recursion, 0
	.set _ZN7rocprim17ROCPRIM_400000_NS6detail17trampoline_kernelINS0_14default_configENS1_27scan_by_key_config_selectorIsiEEZZNS1_16scan_by_key_implILNS1_25lookback_scan_determinismE0ELb1ES3_N6thrust23THRUST_200600_302600_NS6detail15normal_iteratorINS9_10device_ptrIsEEEESE_SE_iNS9_4plusIvEENS9_8equal_toIvEEiEE10hipError_tPvRmT2_T3_T4_T5_mT6_T7_P12ihipStream_tbENKUlT_T0_E_clISt17integral_constantIbLb1EESZ_EEDaSU_SV_EUlSU_E_NS1_11comp_targetILNS1_3genE3ELNS1_11target_archE908ELNS1_3gpuE7ELNS1_3repE0EEENS1_30default_config_static_selectorELNS0_4arch9wavefront6targetE0EEEvT1_.has_indirect_call, 0
	.section	.AMDGPU.csdata,"",@progbits
; Kernel info:
; codeLenInByte = 0
; TotalNumSgprs: 0
; NumVgprs: 0
; ScratchSize: 0
; MemoryBound: 0
; FloatMode: 240
; IeeeMode: 1
; LDSByteSize: 0 bytes/workgroup (compile time only)
; SGPRBlocks: 0
; VGPRBlocks: 0
; NumSGPRsForWavesPerEU: 1
; NumVGPRsForWavesPerEU: 1
; Occupancy: 16
; WaveLimiterHint : 0
; COMPUTE_PGM_RSRC2:SCRATCH_EN: 0
; COMPUTE_PGM_RSRC2:USER_SGPR: 6
; COMPUTE_PGM_RSRC2:TRAP_HANDLER: 0
; COMPUTE_PGM_RSRC2:TGID_X_EN: 1
; COMPUTE_PGM_RSRC2:TGID_Y_EN: 0
; COMPUTE_PGM_RSRC2:TGID_Z_EN: 0
; COMPUTE_PGM_RSRC2:TIDIG_COMP_CNT: 0
	.section	.text._ZN7rocprim17ROCPRIM_400000_NS6detail17trampoline_kernelINS0_14default_configENS1_27scan_by_key_config_selectorIsiEEZZNS1_16scan_by_key_implILNS1_25lookback_scan_determinismE0ELb1ES3_N6thrust23THRUST_200600_302600_NS6detail15normal_iteratorINS9_10device_ptrIsEEEESE_SE_iNS9_4plusIvEENS9_8equal_toIvEEiEE10hipError_tPvRmT2_T3_T4_T5_mT6_T7_P12ihipStream_tbENKUlT_T0_E_clISt17integral_constantIbLb1EESZ_EEDaSU_SV_EUlSU_E_NS1_11comp_targetILNS1_3genE2ELNS1_11target_archE906ELNS1_3gpuE6ELNS1_3repE0EEENS1_30default_config_static_selectorELNS0_4arch9wavefront6targetE0EEEvT1_,"axG",@progbits,_ZN7rocprim17ROCPRIM_400000_NS6detail17trampoline_kernelINS0_14default_configENS1_27scan_by_key_config_selectorIsiEEZZNS1_16scan_by_key_implILNS1_25lookback_scan_determinismE0ELb1ES3_N6thrust23THRUST_200600_302600_NS6detail15normal_iteratorINS9_10device_ptrIsEEEESE_SE_iNS9_4plusIvEENS9_8equal_toIvEEiEE10hipError_tPvRmT2_T3_T4_T5_mT6_T7_P12ihipStream_tbENKUlT_T0_E_clISt17integral_constantIbLb1EESZ_EEDaSU_SV_EUlSU_E_NS1_11comp_targetILNS1_3genE2ELNS1_11target_archE906ELNS1_3gpuE6ELNS1_3repE0EEENS1_30default_config_static_selectorELNS0_4arch9wavefront6targetE0EEEvT1_,comdat
	.protected	_ZN7rocprim17ROCPRIM_400000_NS6detail17trampoline_kernelINS0_14default_configENS1_27scan_by_key_config_selectorIsiEEZZNS1_16scan_by_key_implILNS1_25lookback_scan_determinismE0ELb1ES3_N6thrust23THRUST_200600_302600_NS6detail15normal_iteratorINS9_10device_ptrIsEEEESE_SE_iNS9_4plusIvEENS9_8equal_toIvEEiEE10hipError_tPvRmT2_T3_T4_T5_mT6_T7_P12ihipStream_tbENKUlT_T0_E_clISt17integral_constantIbLb1EESZ_EEDaSU_SV_EUlSU_E_NS1_11comp_targetILNS1_3genE2ELNS1_11target_archE906ELNS1_3gpuE6ELNS1_3repE0EEENS1_30default_config_static_selectorELNS0_4arch9wavefront6targetE0EEEvT1_ ; -- Begin function _ZN7rocprim17ROCPRIM_400000_NS6detail17trampoline_kernelINS0_14default_configENS1_27scan_by_key_config_selectorIsiEEZZNS1_16scan_by_key_implILNS1_25lookback_scan_determinismE0ELb1ES3_N6thrust23THRUST_200600_302600_NS6detail15normal_iteratorINS9_10device_ptrIsEEEESE_SE_iNS9_4plusIvEENS9_8equal_toIvEEiEE10hipError_tPvRmT2_T3_T4_T5_mT6_T7_P12ihipStream_tbENKUlT_T0_E_clISt17integral_constantIbLb1EESZ_EEDaSU_SV_EUlSU_E_NS1_11comp_targetILNS1_3genE2ELNS1_11target_archE906ELNS1_3gpuE6ELNS1_3repE0EEENS1_30default_config_static_selectorELNS0_4arch9wavefront6targetE0EEEvT1_
	.globl	_ZN7rocprim17ROCPRIM_400000_NS6detail17trampoline_kernelINS0_14default_configENS1_27scan_by_key_config_selectorIsiEEZZNS1_16scan_by_key_implILNS1_25lookback_scan_determinismE0ELb1ES3_N6thrust23THRUST_200600_302600_NS6detail15normal_iteratorINS9_10device_ptrIsEEEESE_SE_iNS9_4plusIvEENS9_8equal_toIvEEiEE10hipError_tPvRmT2_T3_T4_T5_mT6_T7_P12ihipStream_tbENKUlT_T0_E_clISt17integral_constantIbLb1EESZ_EEDaSU_SV_EUlSU_E_NS1_11comp_targetILNS1_3genE2ELNS1_11target_archE906ELNS1_3gpuE6ELNS1_3repE0EEENS1_30default_config_static_selectorELNS0_4arch9wavefront6targetE0EEEvT1_
	.p2align	8
	.type	_ZN7rocprim17ROCPRIM_400000_NS6detail17trampoline_kernelINS0_14default_configENS1_27scan_by_key_config_selectorIsiEEZZNS1_16scan_by_key_implILNS1_25lookback_scan_determinismE0ELb1ES3_N6thrust23THRUST_200600_302600_NS6detail15normal_iteratorINS9_10device_ptrIsEEEESE_SE_iNS9_4plusIvEENS9_8equal_toIvEEiEE10hipError_tPvRmT2_T3_T4_T5_mT6_T7_P12ihipStream_tbENKUlT_T0_E_clISt17integral_constantIbLb1EESZ_EEDaSU_SV_EUlSU_E_NS1_11comp_targetILNS1_3genE2ELNS1_11target_archE906ELNS1_3gpuE6ELNS1_3repE0EEENS1_30default_config_static_selectorELNS0_4arch9wavefront6targetE0EEEvT1_,@function
_ZN7rocprim17ROCPRIM_400000_NS6detail17trampoline_kernelINS0_14default_configENS1_27scan_by_key_config_selectorIsiEEZZNS1_16scan_by_key_implILNS1_25lookback_scan_determinismE0ELb1ES3_N6thrust23THRUST_200600_302600_NS6detail15normal_iteratorINS9_10device_ptrIsEEEESE_SE_iNS9_4plusIvEENS9_8equal_toIvEEiEE10hipError_tPvRmT2_T3_T4_T5_mT6_T7_P12ihipStream_tbENKUlT_T0_E_clISt17integral_constantIbLb1EESZ_EEDaSU_SV_EUlSU_E_NS1_11comp_targetILNS1_3genE2ELNS1_11target_archE906ELNS1_3gpuE6ELNS1_3repE0EEENS1_30default_config_static_selectorELNS0_4arch9wavefront6targetE0EEEvT1_: ; @_ZN7rocprim17ROCPRIM_400000_NS6detail17trampoline_kernelINS0_14default_configENS1_27scan_by_key_config_selectorIsiEEZZNS1_16scan_by_key_implILNS1_25lookback_scan_determinismE0ELb1ES3_N6thrust23THRUST_200600_302600_NS6detail15normal_iteratorINS9_10device_ptrIsEEEESE_SE_iNS9_4plusIvEENS9_8equal_toIvEEiEE10hipError_tPvRmT2_T3_T4_T5_mT6_T7_P12ihipStream_tbENKUlT_T0_E_clISt17integral_constantIbLb1EESZ_EEDaSU_SV_EUlSU_E_NS1_11comp_targetILNS1_3genE2ELNS1_11target_archE906ELNS1_3gpuE6ELNS1_3repE0EEENS1_30default_config_static_selectorELNS0_4arch9wavefront6targetE0EEEvT1_
; %bb.0:
	.section	.rodata,"a",@progbits
	.p2align	6, 0x0
	.amdhsa_kernel _ZN7rocprim17ROCPRIM_400000_NS6detail17trampoline_kernelINS0_14default_configENS1_27scan_by_key_config_selectorIsiEEZZNS1_16scan_by_key_implILNS1_25lookback_scan_determinismE0ELb1ES3_N6thrust23THRUST_200600_302600_NS6detail15normal_iteratorINS9_10device_ptrIsEEEESE_SE_iNS9_4plusIvEENS9_8equal_toIvEEiEE10hipError_tPvRmT2_T3_T4_T5_mT6_T7_P12ihipStream_tbENKUlT_T0_E_clISt17integral_constantIbLb1EESZ_EEDaSU_SV_EUlSU_E_NS1_11comp_targetILNS1_3genE2ELNS1_11target_archE906ELNS1_3gpuE6ELNS1_3repE0EEENS1_30default_config_static_selectorELNS0_4arch9wavefront6targetE0EEEvT1_
		.amdhsa_group_segment_fixed_size 0
		.amdhsa_private_segment_fixed_size 0
		.amdhsa_kernarg_size 112
		.amdhsa_user_sgpr_count 6
		.amdhsa_user_sgpr_private_segment_buffer 1
		.amdhsa_user_sgpr_dispatch_ptr 0
		.amdhsa_user_sgpr_queue_ptr 0
		.amdhsa_user_sgpr_kernarg_segment_ptr 1
		.amdhsa_user_sgpr_dispatch_id 0
		.amdhsa_user_sgpr_flat_scratch_init 0
		.amdhsa_user_sgpr_private_segment_size 0
		.amdhsa_wavefront_size32 1
		.amdhsa_uses_dynamic_stack 0
		.amdhsa_system_sgpr_private_segment_wavefront_offset 0
		.amdhsa_system_sgpr_workgroup_id_x 1
		.amdhsa_system_sgpr_workgroup_id_y 0
		.amdhsa_system_sgpr_workgroup_id_z 0
		.amdhsa_system_sgpr_workgroup_info 0
		.amdhsa_system_vgpr_workitem_id 0
		.amdhsa_next_free_vgpr 1
		.amdhsa_next_free_sgpr 1
		.amdhsa_reserve_vcc 0
		.amdhsa_reserve_flat_scratch 0
		.amdhsa_float_round_mode_32 0
		.amdhsa_float_round_mode_16_64 0
		.amdhsa_float_denorm_mode_32 3
		.amdhsa_float_denorm_mode_16_64 3
		.amdhsa_dx10_clamp 1
		.amdhsa_ieee_mode 1
		.amdhsa_fp16_overflow 0
		.amdhsa_workgroup_processor_mode 1
		.amdhsa_memory_ordered 1
		.amdhsa_forward_progress 1
		.amdhsa_shared_vgpr_count 0
		.amdhsa_exception_fp_ieee_invalid_op 0
		.amdhsa_exception_fp_denorm_src 0
		.amdhsa_exception_fp_ieee_div_zero 0
		.amdhsa_exception_fp_ieee_overflow 0
		.amdhsa_exception_fp_ieee_underflow 0
		.amdhsa_exception_fp_ieee_inexact 0
		.amdhsa_exception_int_div_zero 0
	.end_amdhsa_kernel
	.section	.text._ZN7rocprim17ROCPRIM_400000_NS6detail17trampoline_kernelINS0_14default_configENS1_27scan_by_key_config_selectorIsiEEZZNS1_16scan_by_key_implILNS1_25lookback_scan_determinismE0ELb1ES3_N6thrust23THRUST_200600_302600_NS6detail15normal_iteratorINS9_10device_ptrIsEEEESE_SE_iNS9_4plusIvEENS9_8equal_toIvEEiEE10hipError_tPvRmT2_T3_T4_T5_mT6_T7_P12ihipStream_tbENKUlT_T0_E_clISt17integral_constantIbLb1EESZ_EEDaSU_SV_EUlSU_E_NS1_11comp_targetILNS1_3genE2ELNS1_11target_archE906ELNS1_3gpuE6ELNS1_3repE0EEENS1_30default_config_static_selectorELNS0_4arch9wavefront6targetE0EEEvT1_,"axG",@progbits,_ZN7rocprim17ROCPRIM_400000_NS6detail17trampoline_kernelINS0_14default_configENS1_27scan_by_key_config_selectorIsiEEZZNS1_16scan_by_key_implILNS1_25lookback_scan_determinismE0ELb1ES3_N6thrust23THRUST_200600_302600_NS6detail15normal_iteratorINS9_10device_ptrIsEEEESE_SE_iNS9_4plusIvEENS9_8equal_toIvEEiEE10hipError_tPvRmT2_T3_T4_T5_mT6_T7_P12ihipStream_tbENKUlT_T0_E_clISt17integral_constantIbLb1EESZ_EEDaSU_SV_EUlSU_E_NS1_11comp_targetILNS1_3genE2ELNS1_11target_archE906ELNS1_3gpuE6ELNS1_3repE0EEENS1_30default_config_static_selectorELNS0_4arch9wavefront6targetE0EEEvT1_,comdat
.Lfunc_end1057:
	.size	_ZN7rocprim17ROCPRIM_400000_NS6detail17trampoline_kernelINS0_14default_configENS1_27scan_by_key_config_selectorIsiEEZZNS1_16scan_by_key_implILNS1_25lookback_scan_determinismE0ELb1ES3_N6thrust23THRUST_200600_302600_NS6detail15normal_iteratorINS9_10device_ptrIsEEEESE_SE_iNS9_4plusIvEENS9_8equal_toIvEEiEE10hipError_tPvRmT2_T3_T4_T5_mT6_T7_P12ihipStream_tbENKUlT_T0_E_clISt17integral_constantIbLb1EESZ_EEDaSU_SV_EUlSU_E_NS1_11comp_targetILNS1_3genE2ELNS1_11target_archE906ELNS1_3gpuE6ELNS1_3repE0EEENS1_30default_config_static_selectorELNS0_4arch9wavefront6targetE0EEEvT1_, .Lfunc_end1057-_ZN7rocprim17ROCPRIM_400000_NS6detail17trampoline_kernelINS0_14default_configENS1_27scan_by_key_config_selectorIsiEEZZNS1_16scan_by_key_implILNS1_25lookback_scan_determinismE0ELb1ES3_N6thrust23THRUST_200600_302600_NS6detail15normal_iteratorINS9_10device_ptrIsEEEESE_SE_iNS9_4plusIvEENS9_8equal_toIvEEiEE10hipError_tPvRmT2_T3_T4_T5_mT6_T7_P12ihipStream_tbENKUlT_T0_E_clISt17integral_constantIbLb1EESZ_EEDaSU_SV_EUlSU_E_NS1_11comp_targetILNS1_3genE2ELNS1_11target_archE906ELNS1_3gpuE6ELNS1_3repE0EEENS1_30default_config_static_selectorELNS0_4arch9wavefront6targetE0EEEvT1_
                                        ; -- End function
	.set _ZN7rocprim17ROCPRIM_400000_NS6detail17trampoline_kernelINS0_14default_configENS1_27scan_by_key_config_selectorIsiEEZZNS1_16scan_by_key_implILNS1_25lookback_scan_determinismE0ELb1ES3_N6thrust23THRUST_200600_302600_NS6detail15normal_iteratorINS9_10device_ptrIsEEEESE_SE_iNS9_4plusIvEENS9_8equal_toIvEEiEE10hipError_tPvRmT2_T3_T4_T5_mT6_T7_P12ihipStream_tbENKUlT_T0_E_clISt17integral_constantIbLb1EESZ_EEDaSU_SV_EUlSU_E_NS1_11comp_targetILNS1_3genE2ELNS1_11target_archE906ELNS1_3gpuE6ELNS1_3repE0EEENS1_30default_config_static_selectorELNS0_4arch9wavefront6targetE0EEEvT1_.num_vgpr, 0
	.set _ZN7rocprim17ROCPRIM_400000_NS6detail17trampoline_kernelINS0_14default_configENS1_27scan_by_key_config_selectorIsiEEZZNS1_16scan_by_key_implILNS1_25lookback_scan_determinismE0ELb1ES3_N6thrust23THRUST_200600_302600_NS6detail15normal_iteratorINS9_10device_ptrIsEEEESE_SE_iNS9_4plusIvEENS9_8equal_toIvEEiEE10hipError_tPvRmT2_T3_T4_T5_mT6_T7_P12ihipStream_tbENKUlT_T0_E_clISt17integral_constantIbLb1EESZ_EEDaSU_SV_EUlSU_E_NS1_11comp_targetILNS1_3genE2ELNS1_11target_archE906ELNS1_3gpuE6ELNS1_3repE0EEENS1_30default_config_static_selectorELNS0_4arch9wavefront6targetE0EEEvT1_.num_agpr, 0
	.set _ZN7rocprim17ROCPRIM_400000_NS6detail17trampoline_kernelINS0_14default_configENS1_27scan_by_key_config_selectorIsiEEZZNS1_16scan_by_key_implILNS1_25lookback_scan_determinismE0ELb1ES3_N6thrust23THRUST_200600_302600_NS6detail15normal_iteratorINS9_10device_ptrIsEEEESE_SE_iNS9_4plusIvEENS9_8equal_toIvEEiEE10hipError_tPvRmT2_T3_T4_T5_mT6_T7_P12ihipStream_tbENKUlT_T0_E_clISt17integral_constantIbLb1EESZ_EEDaSU_SV_EUlSU_E_NS1_11comp_targetILNS1_3genE2ELNS1_11target_archE906ELNS1_3gpuE6ELNS1_3repE0EEENS1_30default_config_static_selectorELNS0_4arch9wavefront6targetE0EEEvT1_.numbered_sgpr, 0
	.set _ZN7rocprim17ROCPRIM_400000_NS6detail17trampoline_kernelINS0_14default_configENS1_27scan_by_key_config_selectorIsiEEZZNS1_16scan_by_key_implILNS1_25lookback_scan_determinismE0ELb1ES3_N6thrust23THRUST_200600_302600_NS6detail15normal_iteratorINS9_10device_ptrIsEEEESE_SE_iNS9_4plusIvEENS9_8equal_toIvEEiEE10hipError_tPvRmT2_T3_T4_T5_mT6_T7_P12ihipStream_tbENKUlT_T0_E_clISt17integral_constantIbLb1EESZ_EEDaSU_SV_EUlSU_E_NS1_11comp_targetILNS1_3genE2ELNS1_11target_archE906ELNS1_3gpuE6ELNS1_3repE0EEENS1_30default_config_static_selectorELNS0_4arch9wavefront6targetE0EEEvT1_.num_named_barrier, 0
	.set _ZN7rocprim17ROCPRIM_400000_NS6detail17trampoline_kernelINS0_14default_configENS1_27scan_by_key_config_selectorIsiEEZZNS1_16scan_by_key_implILNS1_25lookback_scan_determinismE0ELb1ES3_N6thrust23THRUST_200600_302600_NS6detail15normal_iteratorINS9_10device_ptrIsEEEESE_SE_iNS9_4plusIvEENS9_8equal_toIvEEiEE10hipError_tPvRmT2_T3_T4_T5_mT6_T7_P12ihipStream_tbENKUlT_T0_E_clISt17integral_constantIbLb1EESZ_EEDaSU_SV_EUlSU_E_NS1_11comp_targetILNS1_3genE2ELNS1_11target_archE906ELNS1_3gpuE6ELNS1_3repE0EEENS1_30default_config_static_selectorELNS0_4arch9wavefront6targetE0EEEvT1_.private_seg_size, 0
	.set _ZN7rocprim17ROCPRIM_400000_NS6detail17trampoline_kernelINS0_14default_configENS1_27scan_by_key_config_selectorIsiEEZZNS1_16scan_by_key_implILNS1_25lookback_scan_determinismE0ELb1ES3_N6thrust23THRUST_200600_302600_NS6detail15normal_iteratorINS9_10device_ptrIsEEEESE_SE_iNS9_4plusIvEENS9_8equal_toIvEEiEE10hipError_tPvRmT2_T3_T4_T5_mT6_T7_P12ihipStream_tbENKUlT_T0_E_clISt17integral_constantIbLb1EESZ_EEDaSU_SV_EUlSU_E_NS1_11comp_targetILNS1_3genE2ELNS1_11target_archE906ELNS1_3gpuE6ELNS1_3repE0EEENS1_30default_config_static_selectorELNS0_4arch9wavefront6targetE0EEEvT1_.uses_vcc, 0
	.set _ZN7rocprim17ROCPRIM_400000_NS6detail17trampoline_kernelINS0_14default_configENS1_27scan_by_key_config_selectorIsiEEZZNS1_16scan_by_key_implILNS1_25lookback_scan_determinismE0ELb1ES3_N6thrust23THRUST_200600_302600_NS6detail15normal_iteratorINS9_10device_ptrIsEEEESE_SE_iNS9_4plusIvEENS9_8equal_toIvEEiEE10hipError_tPvRmT2_T3_T4_T5_mT6_T7_P12ihipStream_tbENKUlT_T0_E_clISt17integral_constantIbLb1EESZ_EEDaSU_SV_EUlSU_E_NS1_11comp_targetILNS1_3genE2ELNS1_11target_archE906ELNS1_3gpuE6ELNS1_3repE0EEENS1_30default_config_static_selectorELNS0_4arch9wavefront6targetE0EEEvT1_.uses_flat_scratch, 0
	.set _ZN7rocprim17ROCPRIM_400000_NS6detail17trampoline_kernelINS0_14default_configENS1_27scan_by_key_config_selectorIsiEEZZNS1_16scan_by_key_implILNS1_25lookback_scan_determinismE0ELb1ES3_N6thrust23THRUST_200600_302600_NS6detail15normal_iteratorINS9_10device_ptrIsEEEESE_SE_iNS9_4plusIvEENS9_8equal_toIvEEiEE10hipError_tPvRmT2_T3_T4_T5_mT6_T7_P12ihipStream_tbENKUlT_T0_E_clISt17integral_constantIbLb1EESZ_EEDaSU_SV_EUlSU_E_NS1_11comp_targetILNS1_3genE2ELNS1_11target_archE906ELNS1_3gpuE6ELNS1_3repE0EEENS1_30default_config_static_selectorELNS0_4arch9wavefront6targetE0EEEvT1_.has_dyn_sized_stack, 0
	.set _ZN7rocprim17ROCPRIM_400000_NS6detail17trampoline_kernelINS0_14default_configENS1_27scan_by_key_config_selectorIsiEEZZNS1_16scan_by_key_implILNS1_25lookback_scan_determinismE0ELb1ES3_N6thrust23THRUST_200600_302600_NS6detail15normal_iteratorINS9_10device_ptrIsEEEESE_SE_iNS9_4plusIvEENS9_8equal_toIvEEiEE10hipError_tPvRmT2_T3_T4_T5_mT6_T7_P12ihipStream_tbENKUlT_T0_E_clISt17integral_constantIbLb1EESZ_EEDaSU_SV_EUlSU_E_NS1_11comp_targetILNS1_3genE2ELNS1_11target_archE906ELNS1_3gpuE6ELNS1_3repE0EEENS1_30default_config_static_selectorELNS0_4arch9wavefront6targetE0EEEvT1_.has_recursion, 0
	.set _ZN7rocprim17ROCPRIM_400000_NS6detail17trampoline_kernelINS0_14default_configENS1_27scan_by_key_config_selectorIsiEEZZNS1_16scan_by_key_implILNS1_25lookback_scan_determinismE0ELb1ES3_N6thrust23THRUST_200600_302600_NS6detail15normal_iteratorINS9_10device_ptrIsEEEESE_SE_iNS9_4plusIvEENS9_8equal_toIvEEiEE10hipError_tPvRmT2_T3_T4_T5_mT6_T7_P12ihipStream_tbENKUlT_T0_E_clISt17integral_constantIbLb1EESZ_EEDaSU_SV_EUlSU_E_NS1_11comp_targetILNS1_3genE2ELNS1_11target_archE906ELNS1_3gpuE6ELNS1_3repE0EEENS1_30default_config_static_selectorELNS0_4arch9wavefront6targetE0EEEvT1_.has_indirect_call, 0
	.section	.AMDGPU.csdata,"",@progbits
; Kernel info:
; codeLenInByte = 0
; TotalNumSgprs: 0
; NumVgprs: 0
; ScratchSize: 0
; MemoryBound: 0
; FloatMode: 240
; IeeeMode: 1
; LDSByteSize: 0 bytes/workgroup (compile time only)
; SGPRBlocks: 0
; VGPRBlocks: 0
; NumSGPRsForWavesPerEU: 1
; NumVGPRsForWavesPerEU: 1
; Occupancy: 16
; WaveLimiterHint : 0
; COMPUTE_PGM_RSRC2:SCRATCH_EN: 0
; COMPUTE_PGM_RSRC2:USER_SGPR: 6
; COMPUTE_PGM_RSRC2:TRAP_HANDLER: 0
; COMPUTE_PGM_RSRC2:TGID_X_EN: 1
; COMPUTE_PGM_RSRC2:TGID_Y_EN: 0
; COMPUTE_PGM_RSRC2:TGID_Z_EN: 0
; COMPUTE_PGM_RSRC2:TIDIG_COMP_CNT: 0
	.section	.text._ZN7rocprim17ROCPRIM_400000_NS6detail17trampoline_kernelINS0_14default_configENS1_27scan_by_key_config_selectorIsiEEZZNS1_16scan_by_key_implILNS1_25lookback_scan_determinismE0ELb1ES3_N6thrust23THRUST_200600_302600_NS6detail15normal_iteratorINS9_10device_ptrIsEEEESE_SE_iNS9_4plusIvEENS9_8equal_toIvEEiEE10hipError_tPvRmT2_T3_T4_T5_mT6_T7_P12ihipStream_tbENKUlT_T0_E_clISt17integral_constantIbLb1EESZ_EEDaSU_SV_EUlSU_E_NS1_11comp_targetILNS1_3genE10ELNS1_11target_archE1200ELNS1_3gpuE4ELNS1_3repE0EEENS1_30default_config_static_selectorELNS0_4arch9wavefront6targetE0EEEvT1_,"axG",@progbits,_ZN7rocprim17ROCPRIM_400000_NS6detail17trampoline_kernelINS0_14default_configENS1_27scan_by_key_config_selectorIsiEEZZNS1_16scan_by_key_implILNS1_25lookback_scan_determinismE0ELb1ES3_N6thrust23THRUST_200600_302600_NS6detail15normal_iteratorINS9_10device_ptrIsEEEESE_SE_iNS9_4plusIvEENS9_8equal_toIvEEiEE10hipError_tPvRmT2_T3_T4_T5_mT6_T7_P12ihipStream_tbENKUlT_T0_E_clISt17integral_constantIbLb1EESZ_EEDaSU_SV_EUlSU_E_NS1_11comp_targetILNS1_3genE10ELNS1_11target_archE1200ELNS1_3gpuE4ELNS1_3repE0EEENS1_30default_config_static_selectorELNS0_4arch9wavefront6targetE0EEEvT1_,comdat
	.protected	_ZN7rocprim17ROCPRIM_400000_NS6detail17trampoline_kernelINS0_14default_configENS1_27scan_by_key_config_selectorIsiEEZZNS1_16scan_by_key_implILNS1_25lookback_scan_determinismE0ELb1ES3_N6thrust23THRUST_200600_302600_NS6detail15normal_iteratorINS9_10device_ptrIsEEEESE_SE_iNS9_4plusIvEENS9_8equal_toIvEEiEE10hipError_tPvRmT2_T3_T4_T5_mT6_T7_P12ihipStream_tbENKUlT_T0_E_clISt17integral_constantIbLb1EESZ_EEDaSU_SV_EUlSU_E_NS1_11comp_targetILNS1_3genE10ELNS1_11target_archE1200ELNS1_3gpuE4ELNS1_3repE0EEENS1_30default_config_static_selectorELNS0_4arch9wavefront6targetE0EEEvT1_ ; -- Begin function _ZN7rocprim17ROCPRIM_400000_NS6detail17trampoline_kernelINS0_14default_configENS1_27scan_by_key_config_selectorIsiEEZZNS1_16scan_by_key_implILNS1_25lookback_scan_determinismE0ELb1ES3_N6thrust23THRUST_200600_302600_NS6detail15normal_iteratorINS9_10device_ptrIsEEEESE_SE_iNS9_4plusIvEENS9_8equal_toIvEEiEE10hipError_tPvRmT2_T3_T4_T5_mT6_T7_P12ihipStream_tbENKUlT_T0_E_clISt17integral_constantIbLb1EESZ_EEDaSU_SV_EUlSU_E_NS1_11comp_targetILNS1_3genE10ELNS1_11target_archE1200ELNS1_3gpuE4ELNS1_3repE0EEENS1_30default_config_static_selectorELNS0_4arch9wavefront6targetE0EEEvT1_
	.globl	_ZN7rocprim17ROCPRIM_400000_NS6detail17trampoline_kernelINS0_14default_configENS1_27scan_by_key_config_selectorIsiEEZZNS1_16scan_by_key_implILNS1_25lookback_scan_determinismE0ELb1ES3_N6thrust23THRUST_200600_302600_NS6detail15normal_iteratorINS9_10device_ptrIsEEEESE_SE_iNS9_4plusIvEENS9_8equal_toIvEEiEE10hipError_tPvRmT2_T3_T4_T5_mT6_T7_P12ihipStream_tbENKUlT_T0_E_clISt17integral_constantIbLb1EESZ_EEDaSU_SV_EUlSU_E_NS1_11comp_targetILNS1_3genE10ELNS1_11target_archE1200ELNS1_3gpuE4ELNS1_3repE0EEENS1_30default_config_static_selectorELNS0_4arch9wavefront6targetE0EEEvT1_
	.p2align	8
	.type	_ZN7rocprim17ROCPRIM_400000_NS6detail17trampoline_kernelINS0_14default_configENS1_27scan_by_key_config_selectorIsiEEZZNS1_16scan_by_key_implILNS1_25lookback_scan_determinismE0ELb1ES3_N6thrust23THRUST_200600_302600_NS6detail15normal_iteratorINS9_10device_ptrIsEEEESE_SE_iNS9_4plusIvEENS9_8equal_toIvEEiEE10hipError_tPvRmT2_T3_T4_T5_mT6_T7_P12ihipStream_tbENKUlT_T0_E_clISt17integral_constantIbLb1EESZ_EEDaSU_SV_EUlSU_E_NS1_11comp_targetILNS1_3genE10ELNS1_11target_archE1200ELNS1_3gpuE4ELNS1_3repE0EEENS1_30default_config_static_selectorELNS0_4arch9wavefront6targetE0EEEvT1_,@function
_ZN7rocprim17ROCPRIM_400000_NS6detail17trampoline_kernelINS0_14default_configENS1_27scan_by_key_config_selectorIsiEEZZNS1_16scan_by_key_implILNS1_25lookback_scan_determinismE0ELb1ES3_N6thrust23THRUST_200600_302600_NS6detail15normal_iteratorINS9_10device_ptrIsEEEESE_SE_iNS9_4plusIvEENS9_8equal_toIvEEiEE10hipError_tPvRmT2_T3_T4_T5_mT6_T7_P12ihipStream_tbENKUlT_T0_E_clISt17integral_constantIbLb1EESZ_EEDaSU_SV_EUlSU_E_NS1_11comp_targetILNS1_3genE10ELNS1_11target_archE1200ELNS1_3gpuE4ELNS1_3repE0EEENS1_30default_config_static_selectorELNS0_4arch9wavefront6targetE0EEEvT1_: ; @_ZN7rocprim17ROCPRIM_400000_NS6detail17trampoline_kernelINS0_14default_configENS1_27scan_by_key_config_selectorIsiEEZZNS1_16scan_by_key_implILNS1_25lookback_scan_determinismE0ELb1ES3_N6thrust23THRUST_200600_302600_NS6detail15normal_iteratorINS9_10device_ptrIsEEEESE_SE_iNS9_4plusIvEENS9_8equal_toIvEEiEE10hipError_tPvRmT2_T3_T4_T5_mT6_T7_P12ihipStream_tbENKUlT_T0_E_clISt17integral_constantIbLb1EESZ_EEDaSU_SV_EUlSU_E_NS1_11comp_targetILNS1_3genE10ELNS1_11target_archE1200ELNS1_3gpuE4ELNS1_3repE0EEENS1_30default_config_static_selectorELNS0_4arch9wavefront6targetE0EEEvT1_
; %bb.0:
	.section	.rodata,"a",@progbits
	.p2align	6, 0x0
	.amdhsa_kernel _ZN7rocprim17ROCPRIM_400000_NS6detail17trampoline_kernelINS0_14default_configENS1_27scan_by_key_config_selectorIsiEEZZNS1_16scan_by_key_implILNS1_25lookback_scan_determinismE0ELb1ES3_N6thrust23THRUST_200600_302600_NS6detail15normal_iteratorINS9_10device_ptrIsEEEESE_SE_iNS9_4plusIvEENS9_8equal_toIvEEiEE10hipError_tPvRmT2_T3_T4_T5_mT6_T7_P12ihipStream_tbENKUlT_T0_E_clISt17integral_constantIbLb1EESZ_EEDaSU_SV_EUlSU_E_NS1_11comp_targetILNS1_3genE10ELNS1_11target_archE1200ELNS1_3gpuE4ELNS1_3repE0EEENS1_30default_config_static_selectorELNS0_4arch9wavefront6targetE0EEEvT1_
		.amdhsa_group_segment_fixed_size 0
		.amdhsa_private_segment_fixed_size 0
		.amdhsa_kernarg_size 112
		.amdhsa_user_sgpr_count 6
		.amdhsa_user_sgpr_private_segment_buffer 1
		.amdhsa_user_sgpr_dispatch_ptr 0
		.amdhsa_user_sgpr_queue_ptr 0
		.amdhsa_user_sgpr_kernarg_segment_ptr 1
		.amdhsa_user_sgpr_dispatch_id 0
		.amdhsa_user_sgpr_flat_scratch_init 0
		.amdhsa_user_sgpr_private_segment_size 0
		.amdhsa_wavefront_size32 1
		.amdhsa_uses_dynamic_stack 0
		.amdhsa_system_sgpr_private_segment_wavefront_offset 0
		.amdhsa_system_sgpr_workgroup_id_x 1
		.amdhsa_system_sgpr_workgroup_id_y 0
		.amdhsa_system_sgpr_workgroup_id_z 0
		.amdhsa_system_sgpr_workgroup_info 0
		.amdhsa_system_vgpr_workitem_id 0
		.amdhsa_next_free_vgpr 1
		.amdhsa_next_free_sgpr 1
		.amdhsa_reserve_vcc 0
		.amdhsa_reserve_flat_scratch 0
		.amdhsa_float_round_mode_32 0
		.amdhsa_float_round_mode_16_64 0
		.amdhsa_float_denorm_mode_32 3
		.amdhsa_float_denorm_mode_16_64 3
		.amdhsa_dx10_clamp 1
		.amdhsa_ieee_mode 1
		.amdhsa_fp16_overflow 0
		.amdhsa_workgroup_processor_mode 1
		.amdhsa_memory_ordered 1
		.amdhsa_forward_progress 1
		.amdhsa_shared_vgpr_count 0
		.amdhsa_exception_fp_ieee_invalid_op 0
		.amdhsa_exception_fp_denorm_src 0
		.amdhsa_exception_fp_ieee_div_zero 0
		.amdhsa_exception_fp_ieee_overflow 0
		.amdhsa_exception_fp_ieee_underflow 0
		.amdhsa_exception_fp_ieee_inexact 0
		.amdhsa_exception_int_div_zero 0
	.end_amdhsa_kernel
	.section	.text._ZN7rocprim17ROCPRIM_400000_NS6detail17trampoline_kernelINS0_14default_configENS1_27scan_by_key_config_selectorIsiEEZZNS1_16scan_by_key_implILNS1_25lookback_scan_determinismE0ELb1ES3_N6thrust23THRUST_200600_302600_NS6detail15normal_iteratorINS9_10device_ptrIsEEEESE_SE_iNS9_4plusIvEENS9_8equal_toIvEEiEE10hipError_tPvRmT2_T3_T4_T5_mT6_T7_P12ihipStream_tbENKUlT_T0_E_clISt17integral_constantIbLb1EESZ_EEDaSU_SV_EUlSU_E_NS1_11comp_targetILNS1_3genE10ELNS1_11target_archE1200ELNS1_3gpuE4ELNS1_3repE0EEENS1_30default_config_static_selectorELNS0_4arch9wavefront6targetE0EEEvT1_,"axG",@progbits,_ZN7rocprim17ROCPRIM_400000_NS6detail17trampoline_kernelINS0_14default_configENS1_27scan_by_key_config_selectorIsiEEZZNS1_16scan_by_key_implILNS1_25lookback_scan_determinismE0ELb1ES3_N6thrust23THRUST_200600_302600_NS6detail15normal_iteratorINS9_10device_ptrIsEEEESE_SE_iNS9_4plusIvEENS9_8equal_toIvEEiEE10hipError_tPvRmT2_T3_T4_T5_mT6_T7_P12ihipStream_tbENKUlT_T0_E_clISt17integral_constantIbLb1EESZ_EEDaSU_SV_EUlSU_E_NS1_11comp_targetILNS1_3genE10ELNS1_11target_archE1200ELNS1_3gpuE4ELNS1_3repE0EEENS1_30default_config_static_selectorELNS0_4arch9wavefront6targetE0EEEvT1_,comdat
.Lfunc_end1058:
	.size	_ZN7rocprim17ROCPRIM_400000_NS6detail17trampoline_kernelINS0_14default_configENS1_27scan_by_key_config_selectorIsiEEZZNS1_16scan_by_key_implILNS1_25lookback_scan_determinismE0ELb1ES3_N6thrust23THRUST_200600_302600_NS6detail15normal_iteratorINS9_10device_ptrIsEEEESE_SE_iNS9_4plusIvEENS9_8equal_toIvEEiEE10hipError_tPvRmT2_T3_T4_T5_mT6_T7_P12ihipStream_tbENKUlT_T0_E_clISt17integral_constantIbLb1EESZ_EEDaSU_SV_EUlSU_E_NS1_11comp_targetILNS1_3genE10ELNS1_11target_archE1200ELNS1_3gpuE4ELNS1_3repE0EEENS1_30default_config_static_selectorELNS0_4arch9wavefront6targetE0EEEvT1_, .Lfunc_end1058-_ZN7rocprim17ROCPRIM_400000_NS6detail17trampoline_kernelINS0_14default_configENS1_27scan_by_key_config_selectorIsiEEZZNS1_16scan_by_key_implILNS1_25lookback_scan_determinismE0ELb1ES3_N6thrust23THRUST_200600_302600_NS6detail15normal_iteratorINS9_10device_ptrIsEEEESE_SE_iNS9_4plusIvEENS9_8equal_toIvEEiEE10hipError_tPvRmT2_T3_T4_T5_mT6_T7_P12ihipStream_tbENKUlT_T0_E_clISt17integral_constantIbLb1EESZ_EEDaSU_SV_EUlSU_E_NS1_11comp_targetILNS1_3genE10ELNS1_11target_archE1200ELNS1_3gpuE4ELNS1_3repE0EEENS1_30default_config_static_selectorELNS0_4arch9wavefront6targetE0EEEvT1_
                                        ; -- End function
	.set _ZN7rocprim17ROCPRIM_400000_NS6detail17trampoline_kernelINS0_14default_configENS1_27scan_by_key_config_selectorIsiEEZZNS1_16scan_by_key_implILNS1_25lookback_scan_determinismE0ELb1ES3_N6thrust23THRUST_200600_302600_NS6detail15normal_iteratorINS9_10device_ptrIsEEEESE_SE_iNS9_4plusIvEENS9_8equal_toIvEEiEE10hipError_tPvRmT2_T3_T4_T5_mT6_T7_P12ihipStream_tbENKUlT_T0_E_clISt17integral_constantIbLb1EESZ_EEDaSU_SV_EUlSU_E_NS1_11comp_targetILNS1_3genE10ELNS1_11target_archE1200ELNS1_3gpuE4ELNS1_3repE0EEENS1_30default_config_static_selectorELNS0_4arch9wavefront6targetE0EEEvT1_.num_vgpr, 0
	.set _ZN7rocprim17ROCPRIM_400000_NS6detail17trampoline_kernelINS0_14default_configENS1_27scan_by_key_config_selectorIsiEEZZNS1_16scan_by_key_implILNS1_25lookback_scan_determinismE0ELb1ES3_N6thrust23THRUST_200600_302600_NS6detail15normal_iteratorINS9_10device_ptrIsEEEESE_SE_iNS9_4plusIvEENS9_8equal_toIvEEiEE10hipError_tPvRmT2_T3_T4_T5_mT6_T7_P12ihipStream_tbENKUlT_T0_E_clISt17integral_constantIbLb1EESZ_EEDaSU_SV_EUlSU_E_NS1_11comp_targetILNS1_3genE10ELNS1_11target_archE1200ELNS1_3gpuE4ELNS1_3repE0EEENS1_30default_config_static_selectorELNS0_4arch9wavefront6targetE0EEEvT1_.num_agpr, 0
	.set _ZN7rocprim17ROCPRIM_400000_NS6detail17trampoline_kernelINS0_14default_configENS1_27scan_by_key_config_selectorIsiEEZZNS1_16scan_by_key_implILNS1_25lookback_scan_determinismE0ELb1ES3_N6thrust23THRUST_200600_302600_NS6detail15normal_iteratorINS9_10device_ptrIsEEEESE_SE_iNS9_4plusIvEENS9_8equal_toIvEEiEE10hipError_tPvRmT2_T3_T4_T5_mT6_T7_P12ihipStream_tbENKUlT_T0_E_clISt17integral_constantIbLb1EESZ_EEDaSU_SV_EUlSU_E_NS1_11comp_targetILNS1_3genE10ELNS1_11target_archE1200ELNS1_3gpuE4ELNS1_3repE0EEENS1_30default_config_static_selectorELNS0_4arch9wavefront6targetE0EEEvT1_.numbered_sgpr, 0
	.set _ZN7rocprim17ROCPRIM_400000_NS6detail17trampoline_kernelINS0_14default_configENS1_27scan_by_key_config_selectorIsiEEZZNS1_16scan_by_key_implILNS1_25lookback_scan_determinismE0ELb1ES3_N6thrust23THRUST_200600_302600_NS6detail15normal_iteratorINS9_10device_ptrIsEEEESE_SE_iNS9_4plusIvEENS9_8equal_toIvEEiEE10hipError_tPvRmT2_T3_T4_T5_mT6_T7_P12ihipStream_tbENKUlT_T0_E_clISt17integral_constantIbLb1EESZ_EEDaSU_SV_EUlSU_E_NS1_11comp_targetILNS1_3genE10ELNS1_11target_archE1200ELNS1_3gpuE4ELNS1_3repE0EEENS1_30default_config_static_selectorELNS0_4arch9wavefront6targetE0EEEvT1_.num_named_barrier, 0
	.set _ZN7rocprim17ROCPRIM_400000_NS6detail17trampoline_kernelINS0_14default_configENS1_27scan_by_key_config_selectorIsiEEZZNS1_16scan_by_key_implILNS1_25lookback_scan_determinismE0ELb1ES3_N6thrust23THRUST_200600_302600_NS6detail15normal_iteratorINS9_10device_ptrIsEEEESE_SE_iNS9_4plusIvEENS9_8equal_toIvEEiEE10hipError_tPvRmT2_T3_T4_T5_mT6_T7_P12ihipStream_tbENKUlT_T0_E_clISt17integral_constantIbLb1EESZ_EEDaSU_SV_EUlSU_E_NS1_11comp_targetILNS1_3genE10ELNS1_11target_archE1200ELNS1_3gpuE4ELNS1_3repE0EEENS1_30default_config_static_selectorELNS0_4arch9wavefront6targetE0EEEvT1_.private_seg_size, 0
	.set _ZN7rocprim17ROCPRIM_400000_NS6detail17trampoline_kernelINS0_14default_configENS1_27scan_by_key_config_selectorIsiEEZZNS1_16scan_by_key_implILNS1_25lookback_scan_determinismE0ELb1ES3_N6thrust23THRUST_200600_302600_NS6detail15normal_iteratorINS9_10device_ptrIsEEEESE_SE_iNS9_4plusIvEENS9_8equal_toIvEEiEE10hipError_tPvRmT2_T3_T4_T5_mT6_T7_P12ihipStream_tbENKUlT_T0_E_clISt17integral_constantIbLb1EESZ_EEDaSU_SV_EUlSU_E_NS1_11comp_targetILNS1_3genE10ELNS1_11target_archE1200ELNS1_3gpuE4ELNS1_3repE0EEENS1_30default_config_static_selectorELNS0_4arch9wavefront6targetE0EEEvT1_.uses_vcc, 0
	.set _ZN7rocprim17ROCPRIM_400000_NS6detail17trampoline_kernelINS0_14default_configENS1_27scan_by_key_config_selectorIsiEEZZNS1_16scan_by_key_implILNS1_25lookback_scan_determinismE0ELb1ES3_N6thrust23THRUST_200600_302600_NS6detail15normal_iteratorINS9_10device_ptrIsEEEESE_SE_iNS9_4plusIvEENS9_8equal_toIvEEiEE10hipError_tPvRmT2_T3_T4_T5_mT6_T7_P12ihipStream_tbENKUlT_T0_E_clISt17integral_constantIbLb1EESZ_EEDaSU_SV_EUlSU_E_NS1_11comp_targetILNS1_3genE10ELNS1_11target_archE1200ELNS1_3gpuE4ELNS1_3repE0EEENS1_30default_config_static_selectorELNS0_4arch9wavefront6targetE0EEEvT1_.uses_flat_scratch, 0
	.set _ZN7rocprim17ROCPRIM_400000_NS6detail17trampoline_kernelINS0_14default_configENS1_27scan_by_key_config_selectorIsiEEZZNS1_16scan_by_key_implILNS1_25lookback_scan_determinismE0ELb1ES3_N6thrust23THRUST_200600_302600_NS6detail15normal_iteratorINS9_10device_ptrIsEEEESE_SE_iNS9_4plusIvEENS9_8equal_toIvEEiEE10hipError_tPvRmT2_T3_T4_T5_mT6_T7_P12ihipStream_tbENKUlT_T0_E_clISt17integral_constantIbLb1EESZ_EEDaSU_SV_EUlSU_E_NS1_11comp_targetILNS1_3genE10ELNS1_11target_archE1200ELNS1_3gpuE4ELNS1_3repE0EEENS1_30default_config_static_selectorELNS0_4arch9wavefront6targetE0EEEvT1_.has_dyn_sized_stack, 0
	.set _ZN7rocprim17ROCPRIM_400000_NS6detail17trampoline_kernelINS0_14default_configENS1_27scan_by_key_config_selectorIsiEEZZNS1_16scan_by_key_implILNS1_25lookback_scan_determinismE0ELb1ES3_N6thrust23THRUST_200600_302600_NS6detail15normal_iteratorINS9_10device_ptrIsEEEESE_SE_iNS9_4plusIvEENS9_8equal_toIvEEiEE10hipError_tPvRmT2_T3_T4_T5_mT6_T7_P12ihipStream_tbENKUlT_T0_E_clISt17integral_constantIbLb1EESZ_EEDaSU_SV_EUlSU_E_NS1_11comp_targetILNS1_3genE10ELNS1_11target_archE1200ELNS1_3gpuE4ELNS1_3repE0EEENS1_30default_config_static_selectorELNS0_4arch9wavefront6targetE0EEEvT1_.has_recursion, 0
	.set _ZN7rocprim17ROCPRIM_400000_NS6detail17trampoline_kernelINS0_14default_configENS1_27scan_by_key_config_selectorIsiEEZZNS1_16scan_by_key_implILNS1_25lookback_scan_determinismE0ELb1ES3_N6thrust23THRUST_200600_302600_NS6detail15normal_iteratorINS9_10device_ptrIsEEEESE_SE_iNS9_4plusIvEENS9_8equal_toIvEEiEE10hipError_tPvRmT2_T3_T4_T5_mT6_T7_P12ihipStream_tbENKUlT_T0_E_clISt17integral_constantIbLb1EESZ_EEDaSU_SV_EUlSU_E_NS1_11comp_targetILNS1_3genE10ELNS1_11target_archE1200ELNS1_3gpuE4ELNS1_3repE0EEENS1_30default_config_static_selectorELNS0_4arch9wavefront6targetE0EEEvT1_.has_indirect_call, 0
	.section	.AMDGPU.csdata,"",@progbits
; Kernel info:
; codeLenInByte = 0
; TotalNumSgprs: 0
; NumVgprs: 0
; ScratchSize: 0
; MemoryBound: 0
; FloatMode: 240
; IeeeMode: 1
; LDSByteSize: 0 bytes/workgroup (compile time only)
; SGPRBlocks: 0
; VGPRBlocks: 0
; NumSGPRsForWavesPerEU: 1
; NumVGPRsForWavesPerEU: 1
; Occupancy: 16
; WaveLimiterHint : 0
; COMPUTE_PGM_RSRC2:SCRATCH_EN: 0
; COMPUTE_PGM_RSRC2:USER_SGPR: 6
; COMPUTE_PGM_RSRC2:TRAP_HANDLER: 0
; COMPUTE_PGM_RSRC2:TGID_X_EN: 1
; COMPUTE_PGM_RSRC2:TGID_Y_EN: 0
; COMPUTE_PGM_RSRC2:TGID_Z_EN: 0
; COMPUTE_PGM_RSRC2:TIDIG_COMP_CNT: 0
	.section	.text._ZN7rocprim17ROCPRIM_400000_NS6detail17trampoline_kernelINS0_14default_configENS1_27scan_by_key_config_selectorIsiEEZZNS1_16scan_by_key_implILNS1_25lookback_scan_determinismE0ELb1ES3_N6thrust23THRUST_200600_302600_NS6detail15normal_iteratorINS9_10device_ptrIsEEEESE_SE_iNS9_4plusIvEENS9_8equal_toIvEEiEE10hipError_tPvRmT2_T3_T4_T5_mT6_T7_P12ihipStream_tbENKUlT_T0_E_clISt17integral_constantIbLb1EESZ_EEDaSU_SV_EUlSU_E_NS1_11comp_targetILNS1_3genE9ELNS1_11target_archE1100ELNS1_3gpuE3ELNS1_3repE0EEENS1_30default_config_static_selectorELNS0_4arch9wavefront6targetE0EEEvT1_,"axG",@progbits,_ZN7rocprim17ROCPRIM_400000_NS6detail17trampoline_kernelINS0_14default_configENS1_27scan_by_key_config_selectorIsiEEZZNS1_16scan_by_key_implILNS1_25lookback_scan_determinismE0ELb1ES3_N6thrust23THRUST_200600_302600_NS6detail15normal_iteratorINS9_10device_ptrIsEEEESE_SE_iNS9_4plusIvEENS9_8equal_toIvEEiEE10hipError_tPvRmT2_T3_T4_T5_mT6_T7_P12ihipStream_tbENKUlT_T0_E_clISt17integral_constantIbLb1EESZ_EEDaSU_SV_EUlSU_E_NS1_11comp_targetILNS1_3genE9ELNS1_11target_archE1100ELNS1_3gpuE3ELNS1_3repE0EEENS1_30default_config_static_selectorELNS0_4arch9wavefront6targetE0EEEvT1_,comdat
	.protected	_ZN7rocprim17ROCPRIM_400000_NS6detail17trampoline_kernelINS0_14default_configENS1_27scan_by_key_config_selectorIsiEEZZNS1_16scan_by_key_implILNS1_25lookback_scan_determinismE0ELb1ES3_N6thrust23THRUST_200600_302600_NS6detail15normal_iteratorINS9_10device_ptrIsEEEESE_SE_iNS9_4plusIvEENS9_8equal_toIvEEiEE10hipError_tPvRmT2_T3_T4_T5_mT6_T7_P12ihipStream_tbENKUlT_T0_E_clISt17integral_constantIbLb1EESZ_EEDaSU_SV_EUlSU_E_NS1_11comp_targetILNS1_3genE9ELNS1_11target_archE1100ELNS1_3gpuE3ELNS1_3repE0EEENS1_30default_config_static_selectorELNS0_4arch9wavefront6targetE0EEEvT1_ ; -- Begin function _ZN7rocprim17ROCPRIM_400000_NS6detail17trampoline_kernelINS0_14default_configENS1_27scan_by_key_config_selectorIsiEEZZNS1_16scan_by_key_implILNS1_25lookback_scan_determinismE0ELb1ES3_N6thrust23THRUST_200600_302600_NS6detail15normal_iteratorINS9_10device_ptrIsEEEESE_SE_iNS9_4plusIvEENS9_8equal_toIvEEiEE10hipError_tPvRmT2_T3_T4_T5_mT6_T7_P12ihipStream_tbENKUlT_T0_E_clISt17integral_constantIbLb1EESZ_EEDaSU_SV_EUlSU_E_NS1_11comp_targetILNS1_3genE9ELNS1_11target_archE1100ELNS1_3gpuE3ELNS1_3repE0EEENS1_30default_config_static_selectorELNS0_4arch9wavefront6targetE0EEEvT1_
	.globl	_ZN7rocprim17ROCPRIM_400000_NS6detail17trampoline_kernelINS0_14default_configENS1_27scan_by_key_config_selectorIsiEEZZNS1_16scan_by_key_implILNS1_25lookback_scan_determinismE0ELb1ES3_N6thrust23THRUST_200600_302600_NS6detail15normal_iteratorINS9_10device_ptrIsEEEESE_SE_iNS9_4plusIvEENS9_8equal_toIvEEiEE10hipError_tPvRmT2_T3_T4_T5_mT6_T7_P12ihipStream_tbENKUlT_T0_E_clISt17integral_constantIbLb1EESZ_EEDaSU_SV_EUlSU_E_NS1_11comp_targetILNS1_3genE9ELNS1_11target_archE1100ELNS1_3gpuE3ELNS1_3repE0EEENS1_30default_config_static_selectorELNS0_4arch9wavefront6targetE0EEEvT1_
	.p2align	8
	.type	_ZN7rocprim17ROCPRIM_400000_NS6detail17trampoline_kernelINS0_14default_configENS1_27scan_by_key_config_selectorIsiEEZZNS1_16scan_by_key_implILNS1_25lookback_scan_determinismE0ELb1ES3_N6thrust23THRUST_200600_302600_NS6detail15normal_iteratorINS9_10device_ptrIsEEEESE_SE_iNS9_4plusIvEENS9_8equal_toIvEEiEE10hipError_tPvRmT2_T3_T4_T5_mT6_T7_P12ihipStream_tbENKUlT_T0_E_clISt17integral_constantIbLb1EESZ_EEDaSU_SV_EUlSU_E_NS1_11comp_targetILNS1_3genE9ELNS1_11target_archE1100ELNS1_3gpuE3ELNS1_3repE0EEENS1_30default_config_static_selectorELNS0_4arch9wavefront6targetE0EEEvT1_,@function
_ZN7rocprim17ROCPRIM_400000_NS6detail17trampoline_kernelINS0_14default_configENS1_27scan_by_key_config_selectorIsiEEZZNS1_16scan_by_key_implILNS1_25lookback_scan_determinismE0ELb1ES3_N6thrust23THRUST_200600_302600_NS6detail15normal_iteratorINS9_10device_ptrIsEEEESE_SE_iNS9_4plusIvEENS9_8equal_toIvEEiEE10hipError_tPvRmT2_T3_T4_T5_mT6_T7_P12ihipStream_tbENKUlT_T0_E_clISt17integral_constantIbLb1EESZ_EEDaSU_SV_EUlSU_E_NS1_11comp_targetILNS1_3genE9ELNS1_11target_archE1100ELNS1_3gpuE3ELNS1_3repE0EEENS1_30default_config_static_selectorELNS0_4arch9wavefront6targetE0EEEvT1_: ; @_ZN7rocprim17ROCPRIM_400000_NS6detail17trampoline_kernelINS0_14default_configENS1_27scan_by_key_config_selectorIsiEEZZNS1_16scan_by_key_implILNS1_25lookback_scan_determinismE0ELb1ES3_N6thrust23THRUST_200600_302600_NS6detail15normal_iteratorINS9_10device_ptrIsEEEESE_SE_iNS9_4plusIvEENS9_8equal_toIvEEiEE10hipError_tPvRmT2_T3_T4_T5_mT6_T7_P12ihipStream_tbENKUlT_T0_E_clISt17integral_constantIbLb1EESZ_EEDaSU_SV_EUlSU_E_NS1_11comp_targetILNS1_3genE9ELNS1_11target_archE1100ELNS1_3gpuE3ELNS1_3repE0EEENS1_30default_config_static_selectorELNS0_4arch9wavefront6targetE0EEEvT1_
; %bb.0:
	.section	.rodata,"a",@progbits
	.p2align	6, 0x0
	.amdhsa_kernel _ZN7rocprim17ROCPRIM_400000_NS6detail17trampoline_kernelINS0_14default_configENS1_27scan_by_key_config_selectorIsiEEZZNS1_16scan_by_key_implILNS1_25lookback_scan_determinismE0ELb1ES3_N6thrust23THRUST_200600_302600_NS6detail15normal_iteratorINS9_10device_ptrIsEEEESE_SE_iNS9_4plusIvEENS9_8equal_toIvEEiEE10hipError_tPvRmT2_T3_T4_T5_mT6_T7_P12ihipStream_tbENKUlT_T0_E_clISt17integral_constantIbLb1EESZ_EEDaSU_SV_EUlSU_E_NS1_11comp_targetILNS1_3genE9ELNS1_11target_archE1100ELNS1_3gpuE3ELNS1_3repE0EEENS1_30default_config_static_selectorELNS0_4arch9wavefront6targetE0EEEvT1_
		.amdhsa_group_segment_fixed_size 0
		.amdhsa_private_segment_fixed_size 0
		.amdhsa_kernarg_size 112
		.amdhsa_user_sgpr_count 6
		.amdhsa_user_sgpr_private_segment_buffer 1
		.amdhsa_user_sgpr_dispatch_ptr 0
		.amdhsa_user_sgpr_queue_ptr 0
		.amdhsa_user_sgpr_kernarg_segment_ptr 1
		.amdhsa_user_sgpr_dispatch_id 0
		.amdhsa_user_sgpr_flat_scratch_init 0
		.amdhsa_user_sgpr_private_segment_size 0
		.amdhsa_wavefront_size32 1
		.amdhsa_uses_dynamic_stack 0
		.amdhsa_system_sgpr_private_segment_wavefront_offset 0
		.amdhsa_system_sgpr_workgroup_id_x 1
		.amdhsa_system_sgpr_workgroup_id_y 0
		.amdhsa_system_sgpr_workgroup_id_z 0
		.amdhsa_system_sgpr_workgroup_info 0
		.amdhsa_system_vgpr_workitem_id 0
		.amdhsa_next_free_vgpr 1
		.amdhsa_next_free_sgpr 1
		.amdhsa_reserve_vcc 0
		.amdhsa_reserve_flat_scratch 0
		.amdhsa_float_round_mode_32 0
		.amdhsa_float_round_mode_16_64 0
		.amdhsa_float_denorm_mode_32 3
		.amdhsa_float_denorm_mode_16_64 3
		.amdhsa_dx10_clamp 1
		.amdhsa_ieee_mode 1
		.amdhsa_fp16_overflow 0
		.amdhsa_workgroup_processor_mode 1
		.amdhsa_memory_ordered 1
		.amdhsa_forward_progress 1
		.amdhsa_shared_vgpr_count 0
		.amdhsa_exception_fp_ieee_invalid_op 0
		.amdhsa_exception_fp_denorm_src 0
		.amdhsa_exception_fp_ieee_div_zero 0
		.amdhsa_exception_fp_ieee_overflow 0
		.amdhsa_exception_fp_ieee_underflow 0
		.amdhsa_exception_fp_ieee_inexact 0
		.amdhsa_exception_int_div_zero 0
	.end_amdhsa_kernel
	.section	.text._ZN7rocprim17ROCPRIM_400000_NS6detail17trampoline_kernelINS0_14default_configENS1_27scan_by_key_config_selectorIsiEEZZNS1_16scan_by_key_implILNS1_25lookback_scan_determinismE0ELb1ES3_N6thrust23THRUST_200600_302600_NS6detail15normal_iteratorINS9_10device_ptrIsEEEESE_SE_iNS9_4plusIvEENS9_8equal_toIvEEiEE10hipError_tPvRmT2_T3_T4_T5_mT6_T7_P12ihipStream_tbENKUlT_T0_E_clISt17integral_constantIbLb1EESZ_EEDaSU_SV_EUlSU_E_NS1_11comp_targetILNS1_3genE9ELNS1_11target_archE1100ELNS1_3gpuE3ELNS1_3repE0EEENS1_30default_config_static_selectorELNS0_4arch9wavefront6targetE0EEEvT1_,"axG",@progbits,_ZN7rocprim17ROCPRIM_400000_NS6detail17trampoline_kernelINS0_14default_configENS1_27scan_by_key_config_selectorIsiEEZZNS1_16scan_by_key_implILNS1_25lookback_scan_determinismE0ELb1ES3_N6thrust23THRUST_200600_302600_NS6detail15normal_iteratorINS9_10device_ptrIsEEEESE_SE_iNS9_4plusIvEENS9_8equal_toIvEEiEE10hipError_tPvRmT2_T3_T4_T5_mT6_T7_P12ihipStream_tbENKUlT_T0_E_clISt17integral_constantIbLb1EESZ_EEDaSU_SV_EUlSU_E_NS1_11comp_targetILNS1_3genE9ELNS1_11target_archE1100ELNS1_3gpuE3ELNS1_3repE0EEENS1_30default_config_static_selectorELNS0_4arch9wavefront6targetE0EEEvT1_,comdat
.Lfunc_end1059:
	.size	_ZN7rocprim17ROCPRIM_400000_NS6detail17trampoline_kernelINS0_14default_configENS1_27scan_by_key_config_selectorIsiEEZZNS1_16scan_by_key_implILNS1_25lookback_scan_determinismE0ELb1ES3_N6thrust23THRUST_200600_302600_NS6detail15normal_iteratorINS9_10device_ptrIsEEEESE_SE_iNS9_4plusIvEENS9_8equal_toIvEEiEE10hipError_tPvRmT2_T3_T4_T5_mT6_T7_P12ihipStream_tbENKUlT_T0_E_clISt17integral_constantIbLb1EESZ_EEDaSU_SV_EUlSU_E_NS1_11comp_targetILNS1_3genE9ELNS1_11target_archE1100ELNS1_3gpuE3ELNS1_3repE0EEENS1_30default_config_static_selectorELNS0_4arch9wavefront6targetE0EEEvT1_, .Lfunc_end1059-_ZN7rocprim17ROCPRIM_400000_NS6detail17trampoline_kernelINS0_14default_configENS1_27scan_by_key_config_selectorIsiEEZZNS1_16scan_by_key_implILNS1_25lookback_scan_determinismE0ELb1ES3_N6thrust23THRUST_200600_302600_NS6detail15normal_iteratorINS9_10device_ptrIsEEEESE_SE_iNS9_4plusIvEENS9_8equal_toIvEEiEE10hipError_tPvRmT2_T3_T4_T5_mT6_T7_P12ihipStream_tbENKUlT_T0_E_clISt17integral_constantIbLb1EESZ_EEDaSU_SV_EUlSU_E_NS1_11comp_targetILNS1_3genE9ELNS1_11target_archE1100ELNS1_3gpuE3ELNS1_3repE0EEENS1_30default_config_static_selectorELNS0_4arch9wavefront6targetE0EEEvT1_
                                        ; -- End function
	.set _ZN7rocprim17ROCPRIM_400000_NS6detail17trampoline_kernelINS0_14default_configENS1_27scan_by_key_config_selectorIsiEEZZNS1_16scan_by_key_implILNS1_25lookback_scan_determinismE0ELb1ES3_N6thrust23THRUST_200600_302600_NS6detail15normal_iteratorINS9_10device_ptrIsEEEESE_SE_iNS9_4plusIvEENS9_8equal_toIvEEiEE10hipError_tPvRmT2_T3_T4_T5_mT6_T7_P12ihipStream_tbENKUlT_T0_E_clISt17integral_constantIbLb1EESZ_EEDaSU_SV_EUlSU_E_NS1_11comp_targetILNS1_3genE9ELNS1_11target_archE1100ELNS1_3gpuE3ELNS1_3repE0EEENS1_30default_config_static_selectorELNS0_4arch9wavefront6targetE0EEEvT1_.num_vgpr, 0
	.set _ZN7rocprim17ROCPRIM_400000_NS6detail17trampoline_kernelINS0_14default_configENS1_27scan_by_key_config_selectorIsiEEZZNS1_16scan_by_key_implILNS1_25lookback_scan_determinismE0ELb1ES3_N6thrust23THRUST_200600_302600_NS6detail15normal_iteratorINS9_10device_ptrIsEEEESE_SE_iNS9_4plusIvEENS9_8equal_toIvEEiEE10hipError_tPvRmT2_T3_T4_T5_mT6_T7_P12ihipStream_tbENKUlT_T0_E_clISt17integral_constantIbLb1EESZ_EEDaSU_SV_EUlSU_E_NS1_11comp_targetILNS1_3genE9ELNS1_11target_archE1100ELNS1_3gpuE3ELNS1_3repE0EEENS1_30default_config_static_selectorELNS0_4arch9wavefront6targetE0EEEvT1_.num_agpr, 0
	.set _ZN7rocprim17ROCPRIM_400000_NS6detail17trampoline_kernelINS0_14default_configENS1_27scan_by_key_config_selectorIsiEEZZNS1_16scan_by_key_implILNS1_25lookback_scan_determinismE0ELb1ES3_N6thrust23THRUST_200600_302600_NS6detail15normal_iteratorINS9_10device_ptrIsEEEESE_SE_iNS9_4plusIvEENS9_8equal_toIvEEiEE10hipError_tPvRmT2_T3_T4_T5_mT6_T7_P12ihipStream_tbENKUlT_T0_E_clISt17integral_constantIbLb1EESZ_EEDaSU_SV_EUlSU_E_NS1_11comp_targetILNS1_3genE9ELNS1_11target_archE1100ELNS1_3gpuE3ELNS1_3repE0EEENS1_30default_config_static_selectorELNS0_4arch9wavefront6targetE0EEEvT1_.numbered_sgpr, 0
	.set _ZN7rocprim17ROCPRIM_400000_NS6detail17trampoline_kernelINS0_14default_configENS1_27scan_by_key_config_selectorIsiEEZZNS1_16scan_by_key_implILNS1_25lookback_scan_determinismE0ELb1ES3_N6thrust23THRUST_200600_302600_NS6detail15normal_iteratorINS9_10device_ptrIsEEEESE_SE_iNS9_4plusIvEENS9_8equal_toIvEEiEE10hipError_tPvRmT2_T3_T4_T5_mT6_T7_P12ihipStream_tbENKUlT_T0_E_clISt17integral_constantIbLb1EESZ_EEDaSU_SV_EUlSU_E_NS1_11comp_targetILNS1_3genE9ELNS1_11target_archE1100ELNS1_3gpuE3ELNS1_3repE0EEENS1_30default_config_static_selectorELNS0_4arch9wavefront6targetE0EEEvT1_.num_named_barrier, 0
	.set _ZN7rocprim17ROCPRIM_400000_NS6detail17trampoline_kernelINS0_14default_configENS1_27scan_by_key_config_selectorIsiEEZZNS1_16scan_by_key_implILNS1_25lookback_scan_determinismE0ELb1ES3_N6thrust23THRUST_200600_302600_NS6detail15normal_iteratorINS9_10device_ptrIsEEEESE_SE_iNS9_4plusIvEENS9_8equal_toIvEEiEE10hipError_tPvRmT2_T3_T4_T5_mT6_T7_P12ihipStream_tbENKUlT_T0_E_clISt17integral_constantIbLb1EESZ_EEDaSU_SV_EUlSU_E_NS1_11comp_targetILNS1_3genE9ELNS1_11target_archE1100ELNS1_3gpuE3ELNS1_3repE0EEENS1_30default_config_static_selectorELNS0_4arch9wavefront6targetE0EEEvT1_.private_seg_size, 0
	.set _ZN7rocprim17ROCPRIM_400000_NS6detail17trampoline_kernelINS0_14default_configENS1_27scan_by_key_config_selectorIsiEEZZNS1_16scan_by_key_implILNS1_25lookback_scan_determinismE0ELb1ES3_N6thrust23THRUST_200600_302600_NS6detail15normal_iteratorINS9_10device_ptrIsEEEESE_SE_iNS9_4plusIvEENS9_8equal_toIvEEiEE10hipError_tPvRmT2_T3_T4_T5_mT6_T7_P12ihipStream_tbENKUlT_T0_E_clISt17integral_constantIbLb1EESZ_EEDaSU_SV_EUlSU_E_NS1_11comp_targetILNS1_3genE9ELNS1_11target_archE1100ELNS1_3gpuE3ELNS1_3repE0EEENS1_30default_config_static_selectorELNS0_4arch9wavefront6targetE0EEEvT1_.uses_vcc, 0
	.set _ZN7rocprim17ROCPRIM_400000_NS6detail17trampoline_kernelINS0_14default_configENS1_27scan_by_key_config_selectorIsiEEZZNS1_16scan_by_key_implILNS1_25lookback_scan_determinismE0ELb1ES3_N6thrust23THRUST_200600_302600_NS6detail15normal_iteratorINS9_10device_ptrIsEEEESE_SE_iNS9_4plusIvEENS9_8equal_toIvEEiEE10hipError_tPvRmT2_T3_T4_T5_mT6_T7_P12ihipStream_tbENKUlT_T0_E_clISt17integral_constantIbLb1EESZ_EEDaSU_SV_EUlSU_E_NS1_11comp_targetILNS1_3genE9ELNS1_11target_archE1100ELNS1_3gpuE3ELNS1_3repE0EEENS1_30default_config_static_selectorELNS0_4arch9wavefront6targetE0EEEvT1_.uses_flat_scratch, 0
	.set _ZN7rocprim17ROCPRIM_400000_NS6detail17trampoline_kernelINS0_14default_configENS1_27scan_by_key_config_selectorIsiEEZZNS1_16scan_by_key_implILNS1_25lookback_scan_determinismE0ELb1ES3_N6thrust23THRUST_200600_302600_NS6detail15normal_iteratorINS9_10device_ptrIsEEEESE_SE_iNS9_4plusIvEENS9_8equal_toIvEEiEE10hipError_tPvRmT2_T3_T4_T5_mT6_T7_P12ihipStream_tbENKUlT_T0_E_clISt17integral_constantIbLb1EESZ_EEDaSU_SV_EUlSU_E_NS1_11comp_targetILNS1_3genE9ELNS1_11target_archE1100ELNS1_3gpuE3ELNS1_3repE0EEENS1_30default_config_static_selectorELNS0_4arch9wavefront6targetE0EEEvT1_.has_dyn_sized_stack, 0
	.set _ZN7rocprim17ROCPRIM_400000_NS6detail17trampoline_kernelINS0_14default_configENS1_27scan_by_key_config_selectorIsiEEZZNS1_16scan_by_key_implILNS1_25lookback_scan_determinismE0ELb1ES3_N6thrust23THRUST_200600_302600_NS6detail15normal_iteratorINS9_10device_ptrIsEEEESE_SE_iNS9_4plusIvEENS9_8equal_toIvEEiEE10hipError_tPvRmT2_T3_T4_T5_mT6_T7_P12ihipStream_tbENKUlT_T0_E_clISt17integral_constantIbLb1EESZ_EEDaSU_SV_EUlSU_E_NS1_11comp_targetILNS1_3genE9ELNS1_11target_archE1100ELNS1_3gpuE3ELNS1_3repE0EEENS1_30default_config_static_selectorELNS0_4arch9wavefront6targetE0EEEvT1_.has_recursion, 0
	.set _ZN7rocprim17ROCPRIM_400000_NS6detail17trampoline_kernelINS0_14default_configENS1_27scan_by_key_config_selectorIsiEEZZNS1_16scan_by_key_implILNS1_25lookback_scan_determinismE0ELb1ES3_N6thrust23THRUST_200600_302600_NS6detail15normal_iteratorINS9_10device_ptrIsEEEESE_SE_iNS9_4plusIvEENS9_8equal_toIvEEiEE10hipError_tPvRmT2_T3_T4_T5_mT6_T7_P12ihipStream_tbENKUlT_T0_E_clISt17integral_constantIbLb1EESZ_EEDaSU_SV_EUlSU_E_NS1_11comp_targetILNS1_3genE9ELNS1_11target_archE1100ELNS1_3gpuE3ELNS1_3repE0EEENS1_30default_config_static_selectorELNS0_4arch9wavefront6targetE0EEEvT1_.has_indirect_call, 0
	.section	.AMDGPU.csdata,"",@progbits
; Kernel info:
; codeLenInByte = 0
; TotalNumSgprs: 0
; NumVgprs: 0
; ScratchSize: 0
; MemoryBound: 0
; FloatMode: 240
; IeeeMode: 1
; LDSByteSize: 0 bytes/workgroup (compile time only)
; SGPRBlocks: 0
; VGPRBlocks: 0
; NumSGPRsForWavesPerEU: 1
; NumVGPRsForWavesPerEU: 1
; Occupancy: 16
; WaveLimiterHint : 0
; COMPUTE_PGM_RSRC2:SCRATCH_EN: 0
; COMPUTE_PGM_RSRC2:USER_SGPR: 6
; COMPUTE_PGM_RSRC2:TRAP_HANDLER: 0
; COMPUTE_PGM_RSRC2:TGID_X_EN: 1
; COMPUTE_PGM_RSRC2:TGID_Y_EN: 0
; COMPUTE_PGM_RSRC2:TGID_Z_EN: 0
; COMPUTE_PGM_RSRC2:TIDIG_COMP_CNT: 0
	.section	.text._ZN7rocprim17ROCPRIM_400000_NS6detail17trampoline_kernelINS0_14default_configENS1_27scan_by_key_config_selectorIsiEEZZNS1_16scan_by_key_implILNS1_25lookback_scan_determinismE0ELb1ES3_N6thrust23THRUST_200600_302600_NS6detail15normal_iteratorINS9_10device_ptrIsEEEESE_SE_iNS9_4plusIvEENS9_8equal_toIvEEiEE10hipError_tPvRmT2_T3_T4_T5_mT6_T7_P12ihipStream_tbENKUlT_T0_E_clISt17integral_constantIbLb1EESZ_EEDaSU_SV_EUlSU_E_NS1_11comp_targetILNS1_3genE8ELNS1_11target_archE1030ELNS1_3gpuE2ELNS1_3repE0EEENS1_30default_config_static_selectorELNS0_4arch9wavefront6targetE0EEEvT1_,"axG",@progbits,_ZN7rocprim17ROCPRIM_400000_NS6detail17trampoline_kernelINS0_14default_configENS1_27scan_by_key_config_selectorIsiEEZZNS1_16scan_by_key_implILNS1_25lookback_scan_determinismE0ELb1ES3_N6thrust23THRUST_200600_302600_NS6detail15normal_iteratorINS9_10device_ptrIsEEEESE_SE_iNS9_4plusIvEENS9_8equal_toIvEEiEE10hipError_tPvRmT2_T3_T4_T5_mT6_T7_P12ihipStream_tbENKUlT_T0_E_clISt17integral_constantIbLb1EESZ_EEDaSU_SV_EUlSU_E_NS1_11comp_targetILNS1_3genE8ELNS1_11target_archE1030ELNS1_3gpuE2ELNS1_3repE0EEENS1_30default_config_static_selectorELNS0_4arch9wavefront6targetE0EEEvT1_,comdat
	.protected	_ZN7rocprim17ROCPRIM_400000_NS6detail17trampoline_kernelINS0_14default_configENS1_27scan_by_key_config_selectorIsiEEZZNS1_16scan_by_key_implILNS1_25lookback_scan_determinismE0ELb1ES3_N6thrust23THRUST_200600_302600_NS6detail15normal_iteratorINS9_10device_ptrIsEEEESE_SE_iNS9_4plusIvEENS9_8equal_toIvEEiEE10hipError_tPvRmT2_T3_T4_T5_mT6_T7_P12ihipStream_tbENKUlT_T0_E_clISt17integral_constantIbLb1EESZ_EEDaSU_SV_EUlSU_E_NS1_11comp_targetILNS1_3genE8ELNS1_11target_archE1030ELNS1_3gpuE2ELNS1_3repE0EEENS1_30default_config_static_selectorELNS0_4arch9wavefront6targetE0EEEvT1_ ; -- Begin function _ZN7rocprim17ROCPRIM_400000_NS6detail17trampoline_kernelINS0_14default_configENS1_27scan_by_key_config_selectorIsiEEZZNS1_16scan_by_key_implILNS1_25lookback_scan_determinismE0ELb1ES3_N6thrust23THRUST_200600_302600_NS6detail15normal_iteratorINS9_10device_ptrIsEEEESE_SE_iNS9_4plusIvEENS9_8equal_toIvEEiEE10hipError_tPvRmT2_T3_T4_T5_mT6_T7_P12ihipStream_tbENKUlT_T0_E_clISt17integral_constantIbLb1EESZ_EEDaSU_SV_EUlSU_E_NS1_11comp_targetILNS1_3genE8ELNS1_11target_archE1030ELNS1_3gpuE2ELNS1_3repE0EEENS1_30default_config_static_selectorELNS0_4arch9wavefront6targetE0EEEvT1_
	.globl	_ZN7rocprim17ROCPRIM_400000_NS6detail17trampoline_kernelINS0_14default_configENS1_27scan_by_key_config_selectorIsiEEZZNS1_16scan_by_key_implILNS1_25lookback_scan_determinismE0ELb1ES3_N6thrust23THRUST_200600_302600_NS6detail15normal_iteratorINS9_10device_ptrIsEEEESE_SE_iNS9_4plusIvEENS9_8equal_toIvEEiEE10hipError_tPvRmT2_T3_T4_T5_mT6_T7_P12ihipStream_tbENKUlT_T0_E_clISt17integral_constantIbLb1EESZ_EEDaSU_SV_EUlSU_E_NS1_11comp_targetILNS1_3genE8ELNS1_11target_archE1030ELNS1_3gpuE2ELNS1_3repE0EEENS1_30default_config_static_selectorELNS0_4arch9wavefront6targetE0EEEvT1_
	.p2align	8
	.type	_ZN7rocprim17ROCPRIM_400000_NS6detail17trampoline_kernelINS0_14default_configENS1_27scan_by_key_config_selectorIsiEEZZNS1_16scan_by_key_implILNS1_25lookback_scan_determinismE0ELb1ES3_N6thrust23THRUST_200600_302600_NS6detail15normal_iteratorINS9_10device_ptrIsEEEESE_SE_iNS9_4plusIvEENS9_8equal_toIvEEiEE10hipError_tPvRmT2_T3_T4_T5_mT6_T7_P12ihipStream_tbENKUlT_T0_E_clISt17integral_constantIbLb1EESZ_EEDaSU_SV_EUlSU_E_NS1_11comp_targetILNS1_3genE8ELNS1_11target_archE1030ELNS1_3gpuE2ELNS1_3repE0EEENS1_30default_config_static_selectorELNS0_4arch9wavefront6targetE0EEEvT1_,@function
_ZN7rocprim17ROCPRIM_400000_NS6detail17trampoline_kernelINS0_14default_configENS1_27scan_by_key_config_selectorIsiEEZZNS1_16scan_by_key_implILNS1_25lookback_scan_determinismE0ELb1ES3_N6thrust23THRUST_200600_302600_NS6detail15normal_iteratorINS9_10device_ptrIsEEEESE_SE_iNS9_4plusIvEENS9_8equal_toIvEEiEE10hipError_tPvRmT2_T3_T4_T5_mT6_T7_P12ihipStream_tbENKUlT_T0_E_clISt17integral_constantIbLb1EESZ_EEDaSU_SV_EUlSU_E_NS1_11comp_targetILNS1_3genE8ELNS1_11target_archE1030ELNS1_3gpuE2ELNS1_3repE0EEENS1_30default_config_static_selectorELNS0_4arch9wavefront6targetE0EEEvT1_: ; @_ZN7rocprim17ROCPRIM_400000_NS6detail17trampoline_kernelINS0_14default_configENS1_27scan_by_key_config_selectorIsiEEZZNS1_16scan_by_key_implILNS1_25lookback_scan_determinismE0ELb1ES3_N6thrust23THRUST_200600_302600_NS6detail15normal_iteratorINS9_10device_ptrIsEEEESE_SE_iNS9_4plusIvEENS9_8equal_toIvEEiEE10hipError_tPvRmT2_T3_T4_T5_mT6_T7_P12ihipStream_tbENKUlT_T0_E_clISt17integral_constantIbLb1EESZ_EEDaSU_SV_EUlSU_E_NS1_11comp_targetILNS1_3genE8ELNS1_11target_archE1030ELNS1_3gpuE2ELNS1_3repE0EEENS1_30default_config_static_selectorELNS0_4arch9wavefront6targetE0EEEvT1_
; %bb.0:
	s_endpgm
	.section	.rodata,"a",@progbits
	.p2align	6, 0x0
	.amdhsa_kernel _ZN7rocprim17ROCPRIM_400000_NS6detail17trampoline_kernelINS0_14default_configENS1_27scan_by_key_config_selectorIsiEEZZNS1_16scan_by_key_implILNS1_25lookback_scan_determinismE0ELb1ES3_N6thrust23THRUST_200600_302600_NS6detail15normal_iteratorINS9_10device_ptrIsEEEESE_SE_iNS9_4plusIvEENS9_8equal_toIvEEiEE10hipError_tPvRmT2_T3_T4_T5_mT6_T7_P12ihipStream_tbENKUlT_T0_E_clISt17integral_constantIbLb1EESZ_EEDaSU_SV_EUlSU_E_NS1_11comp_targetILNS1_3genE8ELNS1_11target_archE1030ELNS1_3gpuE2ELNS1_3repE0EEENS1_30default_config_static_selectorELNS0_4arch9wavefront6targetE0EEEvT1_
		.amdhsa_group_segment_fixed_size 0
		.amdhsa_private_segment_fixed_size 0
		.amdhsa_kernarg_size 112
		.amdhsa_user_sgpr_count 6
		.amdhsa_user_sgpr_private_segment_buffer 1
		.amdhsa_user_sgpr_dispatch_ptr 0
		.amdhsa_user_sgpr_queue_ptr 0
		.amdhsa_user_sgpr_kernarg_segment_ptr 1
		.amdhsa_user_sgpr_dispatch_id 0
		.amdhsa_user_sgpr_flat_scratch_init 0
		.amdhsa_user_sgpr_private_segment_size 0
		.amdhsa_wavefront_size32 1
		.amdhsa_uses_dynamic_stack 0
		.amdhsa_system_sgpr_private_segment_wavefront_offset 0
		.amdhsa_system_sgpr_workgroup_id_x 1
		.amdhsa_system_sgpr_workgroup_id_y 0
		.amdhsa_system_sgpr_workgroup_id_z 0
		.amdhsa_system_sgpr_workgroup_info 0
		.amdhsa_system_vgpr_workitem_id 0
		.amdhsa_next_free_vgpr 1
		.amdhsa_next_free_sgpr 1
		.amdhsa_reserve_vcc 0
		.amdhsa_reserve_flat_scratch 0
		.amdhsa_float_round_mode_32 0
		.amdhsa_float_round_mode_16_64 0
		.amdhsa_float_denorm_mode_32 3
		.amdhsa_float_denorm_mode_16_64 3
		.amdhsa_dx10_clamp 1
		.amdhsa_ieee_mode 1
		.amdhsa_fp16_overflow 0
		.amdhsa_workgroup_processor_mode 1
		.amdhsa_memory_ordered 1
		.amdhsa_forward_progress 1
		.amdhsa_shared_vgpr_count 0
		.amdhsa_exception_fp_ieee_invalid_op 0
		.amdhsa_exception_fp_denorm_src 0
		.amdhsa_exception_fp_ieee_div_zero 0
		.amdhsa_exception_fp_ieee_overflow 0
		.amdhsa_exception_fp_ieee_underflow 0
		.amdhsa_exception_fp_ieee_inexact 0
		.amdhsa_exception_int_div_zero 0
	.end_amdhsa_kernel
	.section	.text._ZN7rocprim17ROCPRIM_400000_NS6detail17trampoline_kernelINS0_14default_configENS1_27scan_by_key_config_selectorIsiEEZZNS1_16scan_by_key_implILNS1_25lookback_scan_determinismE0ELb1ES3_N6thrust23THRUST_200600_302600_NS6detail15normal_iteratorINS9_10device_ptrIsEEEESE_SE_iNS9_4plusIvEENS9_8equal_toIvEEiEE10hipError_tPvRmT2_T3_T4_T5_mT6_T7_P12ihipStream_tbENKUlT_T0_E_clISt17integral_constantIbLb1EESZ_EEDaSU_SV_EUlSU_E_NS1_11comp_targetILNS1_3genE8ELNS1_11target_archE1030ELNS1_3gpuE2ELNS1_3repE0EEENS1_30default_config_static_selectorELNS0_4arch9wavefront6targetE0EEEvT1_,"axG",@progbits,_ZN7rocprim17ROCPRIM_400000_NS6detail17trampoline_kernelINS0_14default_configENS1_27scan_by_key_config_selectorIsiEEZZNS1_16scan_by_key_implILNS1_25lookback_scan_determinismE0ELb1ES3_N6thrust23THRUST_200600_302600_NS6detail15normal_iteratorINS9_10device_ptrIsEEEESE_SE_iNS9_4plusIvEENS9_8equal_toIvEEiEE10hipError_tPvRmT2_T3_T4_T5_mT6_T7_P12ihipStream_tbENKUlT_T0_E_clISt17integral_constantIbLb1EESZ_EEDaSU_SV_EUlSU_E_NS1_11comp_targetILNS1_3genE8ELNS1_11target_archE1030ELNS1_3gpuE2ELNS1_3repE0EEENS1_30default_config_static_selectorELNS0_4arch9wavefront6targetE0EEEvT1_,comdat
.Lfunc_end1060:
	.size	_ZN7rocprim17ROCPRIM_400000_NS6detail17trampoline_kernelINS0_14default_configENS1_27scan_by_key_config_selectorIsiEEZZNS1_16scan_by_key_implILNS1_25lookback_scan_determinismE0ELb1ES3_N6thrust23THRUST_200600_302600_NS6detail15normal_iteratorINS9_10device_ptrIsEEEESE_SE_iNS9_4plusIvEENS9_8equal_toIvEEiEE10hipError_tPvRmT2_T3_T4_T5_mT6_T7_P12ihipStream_tbENKUlT_T0_E_clISt17integral_constantIbLb1EESZ_EEDaSU_SV_EUlSU_E_NS1_11comp_targetILNS1_3genE8ELNS1_11target_archE1030ELNS1_3gpuE2ELNS1_3repE0EEENS1_30default_config_static_selectorELNS0_4arch9wavefront6targetE0EEEvT1_, .Lfunc_end1060-_ZN7rocprim17ROCPRIM_400000_NS6detail17trampoline_kernelINS0_14default_configENS1_27scan_by_key_config_selectorIsiEEZZNS1_16scan_by_key_implILNS1_25lookback_scan_determinismE0ELb1ES3_N6thrust23THRUST_200600_302600_NS6detail15normal_iteratorINS9_10device_ptrIsEEEESE_SE_iNS9_4plusIvEENS9_8equal_toIvEEiEE10hipError_tPvRmT2_T3_T4_T5_mT6_T7_P12ihipStream_tbENKUlT_T0_E_clISt17integral_constantIbLb1EESZ_EEDaSU_SV_EUlSU_E_NS1_11comp_targetILNS1_3genE8ELNS1_11target_archE1030ELNS1_3gpuE2ELNS1_3repE0EEENS1_30default_config_static_selectorELNS0_4arch9wavefront6targetE0EEEvT1_
                                        ; -- End function
	.set _ZN7rocprim17ROCPRIM_400000_NS6detail17trampoline_kernelINS0_14default_configENS1_27scan_by_key_config_selectorIsiEEZZNS1_16scan_by_key_implILNS1_25lookback_scan_determinismE0ELb1ES3_N6thrust23THRUST_200600_302600_NS6detail15normal_iteratorINS9_10device_ptrIsEEEESE_SE_iNS9_4plusIvEENS9_8equal_toIvEEiEE10hipError_tPvRmT2_T3_T4_T5_mT6_T7_P12ihipStream_tbENKUlT_T0_E_clISt17integral_constantIbLb1EESZ_EEDaSU_SV_EUlSU_E_NS1_11comp_targetILNS1_3genE8ELNS1_11target_archE1030ELNS1_3gpuE2ELNS1_3repE0EEENS1_30default_config_static_selectorELNS0_4arch9wavefront6targetE0EEEvT1_.num_vgpr, 0
	.set _ZN7rocprim17ROCPRIM_400000_NS6detail17trampoline_kernelINS0_14default_configENS1_27scan_by_key_config_selectorIsiEEZZNS1_16scan_by_key_implILNS1_25lookback_scan_determinismE0ELb1ES3_N6thrust23THRUST_200600_302600_NS6detail15normal_iteratorINS9_10device_ptrIsEEEESE_SE_iNS9_4plusIvEENS9_8equal_toIvEEiEE10hipError_tPvRmT2_T3_T4_T5_mT6_T7_P12ihipStream_tbENKUlT_T0_E_clISt17integral_constantIbLb1EESZ_EEDaSU_SV_EUlSU_E_NS1_11comp_targetILNS1_3genE8ELNS1_11target_archE1030ELNS1_3gpuE2ELNS1_3repE0EEENS1_30default_config_static_selectorELNS0_4arch9wavefront6targetE0EEEvT1_.num_agpr, 0
	.set _ZN7rocprim17ROCPRIM_400000_NS6detail17trampoline_kernelINS0_14default_configENS1_27scan_by_key_config_selectorIsiEEZZNS1_16scan_by_key_implILNS1_25lookback_scan_determinismE0ELb1ES3_N6thrust23THRUST_200600_302600_NS6detail15normal_iteratorINS9_10device_ptrIsEEEESE_SE_iNS9_4plusIvEENS9_8equal_toIvEEiEE10hipError_tPvRmT2_T3_T4_T5_mT6_T7_P12ihipStream_tbENKUlT_T0_E_clISt17integral_constantIbLb1EESZ_EEDaSU_SV_EUlSU_E_NS1_11comp_targetILNS1_3genE8ELNS1_11target_archE1030ELNS1_3gpuE2ELNS1_3repE0EEENS1_30default_config_static_selectorELNS0_4arch9wavefront6targetE0EEEvT1_.numbered_sgpr, 0
	.set _ZN7rocprim17ROCPRIM_400000_NS6detail17trampoline_kernelINS0_14default_configENS1_27scan_by_key_config_selectorIsiEEZZNS1_16scan_by_key_implILNS1_25lookback_scan_determinismE0ELb1ES3_N6thrust23THRUST_200600_302600_NS6detail15normal_iteratorINS9_10device_ptrIsEEEESE_SE_iNS9_4plusIvEENS9_8equal_toIvEEiEE10hipError_tPvRmT2_T3_T4_T5_mT6_T7_P12ihipStream_tbENKUlT_T0_E_clISt17integral_constantIbLb1EESZ_EEDaSU_SV_EUlSU_E_NS1_11comp_targetILNS1_3genE8ELNS1_11target_archE1030ELNS1_3gpuE2ELNS1_3repE0EEENS1_30default_config_static_selectorELNS0_4arch9wavefront6targetE0EEEvT1_.num_named_barrier, 0
	.set _ZN7rocprim17ROCPRIM_400000_NS6detail17trampoline_kernelINS0_14default_configENS1_27scan_by_key_config_selectorIsiEEZZNS1_16scan_by_key_implILNS1_25lookback_scan_determinismE0ELb1ES3_N6thrust23THRUST_200600_302600_NS6detail15normal_iteratorINS9_10device_ptrIsEEEESE_SE_iNS9_4plusIvEENS9_8equal_toIvEEiEE10hipError_tPvRmT2_T3_T4_T5_mT6_T7_P12ihipStream_tbENKUlT_T0_E_clISt17integral_constantIbLb1EESZ_EEDaSU_SV_EUlSU_E_NS1_11comp_targetILNS1_3genE8ELNS1_11target_archE1030ELNS1_3gpuE2ELNS1_3repE0EEENS1_30default_config_static_selectorELNS0_4arch9wavefront6targetE0EEEvT1_.private_seg_size, 0
	.set _ZN7rocprim17ROCPRIM_400000_NS6detail17trampoline_kernelINS0_14default_configENS1_27scan_by_key_config_selectorIsiEEZZNS1_16scan_by_key_implILNS1_25lookback_scan_determinismE0ELb1ES3_N6thrust23THRUST_200600_302600_NS6detail15normal_iteratorINS9_10device_ptrIsEEEESE_SE_iNS9_4plusIvEENS9_8equal_toIvEEiEE10hipError_tPvRmT2_T3_T4_T5_mT6_T7_P12ihipStream_tbENKUlT_T0_E_clISt17integral_constantIbLb1EESZ_EEDaSU_SV_EUlSU_E_NS1_11comp_targetILNS1_3genE8ELNS1_11target_archE1030ELNS1_3gpuE2ELNS1_3repE0EEENS1_30default_config_static_selectorELNS0_4arch9wavefront6targetE0EEEvT1_.uses_vcc, 0
	.set _ZN7rocprim17ROCPRIM_400000_NS6detail17trampoline_kernelINS0_14default_configENS1_27scan_by_key_config_selectorIsiEEZZNS1_16scan_by_key_implILNS1_25lookback_scan_determinismE0ELb1ES3_N6thrust23THRUST_200600_302600_NS6detail15normal_iteratorINS9_10device_ptrIsEEEESE_SE_iNS9_4plusIvEENS9_8equal_toIvEEiEE10hipError_tPvRmT2_T3_T4_T5_mT6_T7_P12ihipStream_tbENKUlT_T0_E_clISt17integral_constantIbLb1EESZ_EEDaSU_SV_EUlSU_E_NS1_11comp_targetILNS1_3genE8ELNS1_11target_archE1030ELNS1_3gpuE2ELNS1_3repE0EEENS1_30default_config_static_selectorELNS0_4arch9wavefront6targetE0EEEvT1_.uses_flat_scratch, 0
	.set _ZN7rocprim17ROCPRIM_400000_NS6detail17trampoline_kernelINS0_14default_configENS1_27scan_by_key_config_selectorIsiEEZZNS1_16scan_by_key_implILNS1_25lookback_scan_determinismE0ELb1ES3_N6thrust23THRUST_200600_302600_NS6detail15normal_iteratorINS9_10device_ptrIsEEEESE_SE_iNS9_4plusIvEENS9_8equal_toIvEEiEE10hipError_tPvRmT2_T3_T4_T5_mT6_T7_P12ihipStream_tbENKUlT_T0_E_clISt17integral_constantIbLb1EESZ_EEDaSU_SV_EUlSU_E_NS1_11comp_targetILNS1_3genE8ELNS1_11target_archE1030ELNS1_3gpuE2ELNS1_3repE0EEENS1_30default_config_static_selectorELNS0_4arch9wavefront6targetE0EEEvT1_.has_dyn_sized_stack, 0
	.set _ZN7rocprim17ROCPRIM_400000_NS6detail17trampoline_kernelINS0_14default_configENS1_27scan_by_key_config_selectorIsiEEZZNS1_16scan_by_key_implILNS1_25lookback_scan_determinismE0ELb1ES3_N6thrust23THRUST_200600_302600_NS6detail15normal_iteratorINS9_10device_ptrIsEEEESE_SE_iNS9_4plusIvEENS9_8equal_toIvEEiEE10hipError_tPvRmT2_T3_T4_T5_mT6_T7_P12ihipStream_tbENKUlT_T0_E_clISt17integral_constantIbLb1EESZ_EEDaSU_SV_EUlSU_E_NS1_11comp_targetILNS1_3genE8ELNS1_11target_archE1030ELNS1_3gpuE2ELNS1_3repE0EEENS1_30default_config_static_selectorELNS0_4arch9wavefront6targetE0EEEvT1_.has_recursion, 0
	.set _ZN7rocprim17ROCPRIM_400000_NS6detail17trampoline_kernelINS0_14default_configENS1_27scan_by_key_config_selectorIsiEEZZNS1_16scan_by_key_implILNS1_25lookback_scan_determinismE0ELb1ES3_N6thrust23THRUST_200600_302600_NS6detail15normal_iteratorINS9_10device_ptrIsEEEESE_SE_iNS9_4plusIvEENS9_8equal_toIvEEiEE10hipError_tPvRmT2_T3_T4_T5_mT6_T7_P12ihipStream_tbENKUlT_T0_E_clISt17integral_constantIbLb1EESZ_EEDaSU_SV_EUlSU_E_NS1_11comp_targetILNS1_3genE8ELNS1_11target_archE1030ELNS1_3gpuE2ELNS1_3repE0EEENS1_30default_config_static_selectorELNS0_4arch9wavefront6targetE0EEEvT1_.has_indirect_call, 0
	.section	.AMDGPU.csdata,"",@progbits
; Kernel info:
; codeLenInByte = 4
; TotalNumSgprs: 0
; NumVgprs: 0
; ScratchSize: 0
; MemoryBound: 0
; FloatMode: 240
; IeeeMode: 1
; LDSByteSize: 0 bytes/workgroup (compile time only)
; SGPRBlocks: 0
; VGPRBlocks: 0
; NumSGPRsForWavesPerEU: 1
; NumVGPRsForWavesPerEU: 1
; Occupancy: 16
; WaveLimiterHint : 0
; COMPUTE_PGM_RSRC2:SCRATCH_EN: 0
; COMPUTE_PGM_RSRC2:USER_SGPR: 6
; COMPUTE_PGM_RSRC2:TRAP_HANDLER: 0
; COMPUTE_PGM_RSRC2:TGID_X_EN: 1
; COMPUTE_PGM_RSRC2:TGID_Y_EN: 0
; COMPUTE_PGM_RSRC2:TGID_Z_EN: 0
; COMPUTE_PGM_RSRC2:TIDIG_COMP_CNT: 0
	.section	.text._ZN7rocprim17ROCPRIM_400000_NS6detail30init_device_scan_by_key_kernelINS1_19lookback_scan_stateINS0_5tupleIJibEEELb1ELb1EEEN6thrust23THRUST_200600_302600_NS6detail15normal_iteratorINS8_10device_ptrIsEEEEjNS1_16block_id_wrapperIjLb0EEEEEvT_jjPNSG_10value_typeET0_PNSt15iterator_traitsISJ_E10value_typeEmT1_T2_,"axG",@progbits,_ZN7rocprim17ROCPRIM_400000_NS6detail30init_device_scan_by_key_kernelINS1_19lookback_scan_stateINS0_5tupleIJibEEELb1ELb1EEEN6thrust23THRUST_200600_302600_NS6detail15normal_iteratorINS8_10device_ptrIsEEEEjNS1_16block_id_wrapperIjLb0EEEEEvT_jjPNSG_10value_typeET0_PNSt15iterator_traitsISJ_E10value_typeEmT1_T2_,comdat
	.protected	_ZN7rocprim17ROCPRIM_400000_NS6detail30init_device_scan_by_key_kernelINS1_19lookback_scan_stateINS0_5tupleIJibEEELb1ELb1EEEN6thrust23THRUST_200600_302600_NS6detail15normal_iteratorINS8_10device_ptrIsEEEEjNS1_16block_id_wrapperIjLb0EEEEEvT_jjPNSG_10value_typeET0_PNSt15iterator_traitsISJ_E10value_typeEmT1_T2_ ; -- Begin function _ZN7rocprim17ROCPRIM_400000_NS6detail30init_device_scan_by_key_kernelINS1_19lookback_scan_stateINS0_5tupleIJibEEELb1ELb1EEEN6thrust23THRUST_200600_302600_NS6detail15normal_iteratorINS8_10device_ptrIsEEEEjNS1_16block_id_wrapperIjLb0EEEEEvT_jjPNSG_10value_typeET0_PNSt15iterator_traitsISJ_E10value_typeEmT1_T2_
	.globl	_ZN7rocprim17ROCPRIM_400000_NS6detail30init_device_scan_by_key_kernelINS1_19lookback_scan_stateINS0_5tupleIJibEEELb1ELb1EEEN6thrust23THRUST_200600_302600_NS6detail15normal_iteratorINS8_10device_ptrIsEEEEjNS1_16block_id_wrapperIjLb0EEEEEvT_jjPNSG_10value_typeET0_PNSt15iterator_traitsISJ_E10value_typeEmT1_T2_
	.p2align	8
	.type	_ZN7rocprim17ROCPRIM_400000_NS6detail30init_device_scan_by_key_kernelINS1_19lookback_scan_stateINS0_5tupleIJibEEELb1ELb1EEEN6thrust23THRUST_200600_302600_NS6detail15normal_iteratorINS8_10device_ptrIsEEEEjNS1_16block_id_wrapperIjLb0EEEEEvT_jjPNSG_10value_typeET0_PNSt15iterator_traitsISJ_E10value_typeEmT1_T2_,@function
_ZN7rocprim17ROCPRIM_400000_NS6detail30init_device_scan_by_key_kernelINS1_19lookback_scan_stateINS0_5tupleIJibEEELb1ELb1EEEN6thrust23THRUST_200600_302600_NS6detail15normal_iteratorINS8_10device_ptrIsEEEEjNS1_16block_id_wrapperIjLb0EEEEEvT_jjPNSG_10value_typeET0_PNSt15iterator_traitsISJ_E10value_typeEmT1_T2_: ; @_ZN7rocprim17ROCPRIM_400000_NS6detail30init_device_scan_by_key_kernelINS1_19lookback_scan_stateINS0_5tupleIJibEEELb1ELb1EEEN6thrust23THRUST_200600_302600_NS6detail15normal_iteratorINS8_10device_ptrIsEEEEjNS1_16block_id_wrapperIjLb0EEEEEvT_jjPNSG_10value_typeET0_PNSt15iterator_traitsISJ_E10value_typeEmT1_T2_
; %bb.0:
	s_clause 0x2
	s_load_dword s0, s[4:5], 0x44
	s_load_dwordx8 s[8:15], s[4:5], 0x0
	s_load_dword s7, s[4:5], 0x38
	s_waitcnt lgkmcnt(0)
	s_and_b32 s16, s0, 0xffff
	s_cmp_eq_u64 s[12:13], 0
	v_mad_u64_u32 v[4:5], null, s6, s16, v[0:1]
	s_cbranch_scc1 .LBB1061_10
; %bb.1:
	s_cmp_lt_u32 s11, s10
	s_mov_b32 s1, 0
	s_cselect_b32 s0, s11, 0
	s_mov_b32 s2, exec_lo
	v_cmpx_eq_u32_e64 s0, v4
	s_cbranch_execz .LBB1061_9
; %bb.2:
	s_add_i32 s0, s11, 32
	v_mov_b32_e32 v6, 0
	s_lshl_b64 s[0:1], s[0:1], 4
	s_mov_b32 s3, exec_lo
	s_add_u32 s0, s8, s0
	s_addc_u32 s1, s9, s1
	v_mov_b32_e32 v0, s0
	v_mov_b32_e32 v1, s1
	;;#ASMSTART
	global_load_dwordx4 v[0:3], v[0:1] off glc dlc	
s_waitcnt vmcnt(0)
	;;#ASMEND
	v_and_b32_e32 v5, 0xff, v2
	v_cmpx_eq_u64_e32 0, v[5:6]
	s_cbranch_execz .LBB1061_8
; %bb.3:
	v_mov_b32_e32 v8, s1
	v_mov_b32_e32 v7, s0
	s_mov_b32 s1, 1
	s_mov_b32 s0, 0
	.p2align	6
.LBB1061_4:                             ; =>This Loop Header: Depth=1
                                        ;     Child Loop BB1061_5 Depth 2
	s_mov_b32 s6, s1
.LBB1061_5:                             ;   Parent Loop BB1061_4 Depth=1
                                        ; =>  This Inner Loop Header: Depth=2
	s_add_i32 s6, s6, -1
	s_sleep 1
	s_cmp_eq_u32 s6, 0
	s_cbranch_scc0 .LBB1061_5
; %bb.6:                                ;   in Loop: Header=BB1061_4 Depth=1
	;;#ASMSTART
	global_load_dwordx4 v[0:3], v[7:8] off glc dlc	
s_waitcnt vmcnt(0)
	;;#ASMEND
	v_and_b32_e32 v5, 0xff, v2
	s_cmp_lt_u32 s1, 32
	s_cselect_b32 s6, -1, 0
	v_cmp_ne_u64_e32 vcc_lo, 0, v[5:6]
	s_cmp_lg_u32 s6, 0
	s_addc_u32 s1, s1, 0
	s_or_b32 s0, vcc_lo, s0
	s_andn2_b32 exec_lo, exec_lo, s0
	s_cbranch_execnz .LBB1061_4
; %bb.7:
	s_or_b32 exec_lo, exec_lo, s0
.LBB1061_8:
	s_or_b32 exec_lo, exec_lo, s3
	v_mov_b32_e32 v2, 0
	global_store_dword v2, v0, s[12:13]
	global_store_byte v2, v1, s[12:13] offset:4
.LBB1061_9:
	s_or_b32 exec_lo, exec_lo, s2
.LBB1061_10:
	s_mov_b32 s0, exec_lo
	v_cmpx_gt_u32_e64 s10, v4
	s_cbranch_execz .LBB1061_12
; %bb.11:
	v_add_nc_u32_e32 v0, 32, v4
	v_mov_b32_e32 v1, 0
	v_lshlrev_b64 v[5:6], 4, v[0:1]
	v_mov_b32_e32 v0, v1
	v_mov_b32_e32 v2, v1
	;; [unrolled: 1-line block ×3, first 2 shown]
	v_add_co_u32 v5, vcc_lo, s8, v5
	v_add_co_ci_u32_e64 v6, null, s9, v6, vcc_lo
	global_store_dwordx4 v[5:6], v[0:3], off
.LBB1061_12:
	s_or_b32 exec_lo, exec_lo, s0
	v_mov_b32_e32 v5, 0
	s_mov_b32 s0, exec_lo
	v_cmpx_gt_u32_e32 32, v4
	s_cbranch_execz .LBB1061_14
; %bb.13:
	v_lshlrev_b64 v[6:7], 4, v[4:5]
	v_mov_b32_e32 v2, 0xff
	v_mov_b32_e32 v0, v5
	;; [unrolled: 1-line block ×4, first 2 shown]
	v_add_co_u32 v6, vcc_lo, s8, v6
	v_add_co_ci_u32_e64 v7, null, s9, v7, vcc_lo
	global_store_dwordx4 v[6:7], v[0:3], off
.LBB1061_14:
	s_or_b32 exec_lo, exec_lo, s0
	s_load_dwordx2 s[2:3], s[4:5], 0x28
	s_mov_b32 s0, exec_lo
	s_waitcnt lgkmcnt(0)
	v_cmpx_gt_u64_e64 s[2:3], v[4:5]
	s_cbranch_execz .LBB1061_17
; %bb.15:
	s_clause 0x1
	s_load_dword s6, s[4:5], 0x30
	s_load_dwordx2 s[8:9], s[4:5], 0x20
	s_mov_b32 s1, 0
	v_lshlrev_b64 v[2:3], 1, v[4:5]
	s_mul_i32 s4, s7, s16
	s_waitcnt lgkmcnt(0)
	v_mad_u64_u32 v[0:1], null, s6, v4, 0
	s_add_i32 s0, s6, -1
	s_mul_hi_u32 s7, s6, s4
	s_lshl_b64 s[10:11], s[0:1], 1
	s_mul_i32 s6, s6, s4
	s_add_u32 s0, s14, s10
	s_addc_u32 s5, s15, s11
	v_lshlrev_b64 v[0:1], 1, v[0:1]
	s_lshl_b64 s[6:7], s[6:7], 1
	v_add_co_u32 v0, vcc_lo, s0, v0
	v_add_co_ci_u32_e64 v1, null, s5, v1, vcc_lo
	v_add_co_u32 v2, vcc_lo, s8, v2
	v_add_co_ci_u32_e64 v3, null, s9, v3, vcc_lo
	s_mov_b32 s5, s1
	s_lshl_b64 s[8:9], s[4:5], 1
	.p2align	6
.LBB1061_16:                            ; =>This Inner Loop Header: Depth=1
	global_load_ushort v6, v[0:1], off
	v_add_co_u32 v4, vcc_lo, v4, s4
	v_add_co_ci_u32_e64 v5, null, 0, v5, vcc_lo
	v_add_co_u32 v0, vcc_lo, v0, s6
	v_add_co_ci_u32_e64 v1, null, s7, v1, vcc_lo
	v_cmp_le_u64_e32 vcc_lo, s[2:3], v[4:5]
	s_or_b32 s1, vcc_lo, s1
	s_waitcnt vmcnt(0)
	global_store_short v[2:3], v6, off
	v_add_co_u32 v2, s0, v2, s8
	v_add_co_ci_u32_e64 v3, null, s9, v3, s0
	s_andn2_b32 exec_lo, exec_lo, s1
	s_cbranch_execnz .LBB1061_16
.LBB1061_17:
	s_endpgm
	.section	.rodata,"a",@progbits
	.p2align	6, 0x0
	.amdhsa_kernel _ZN7rocprim17ROCPRIM_400000_NS6detail30init_device_scan_by_key_kernelINS1_19lookback_scan_stateINS0_5tupleIJibEEELb1ELb1EEEN6thrust23THRUST_200600_302600_NS6detail15normal_iteratorINS8_10device_ptrIsEEEEjNS1_16block_id_wrapperIjLb0EEEEEvT_jjPNSG_10value_typeET0_PNSt15iterator_traitsISJ_E10value_typeEmT1_T2_
		.amdhsa_group_segment_fixed_size 0
		.amdhsa_private_segment_fixed_size 0
		.amdhsa_kernarg_size 312
		.amdhsa_user_sgpr_count 6
		.amdhsa_user_sgpr_private_segment_buffer 1
		.amdhsa_user_sgpr_dispatch_ptr 0
		.amdhsa_user_sgpr_queue_ptr 0
		.amdhsa_user_sgpr_kernarg_segment_ptr 1
		.amdhsa_user_sgpr_dispatch_id 0
		.amdhsa_user_sgpr_flat_scratch_init 0
		.amdhsa_user_sgpr_private_segment_size 0
		.amdhsa_wavefront_size32 1
		.amdhsa_uses_dynamic_stack 0
		.amdhsa_system_sgpr_private_segment_wavefront_offset 0
		.amdhsa_system_sgpr_workgroup_id_x 1
		.amdhsa_system_sgpr_workgroup_id_y 0
		.amdhsa_system_sgpr_workgroup_id_z 0
		.amdhsa_system_sgpr_workgroup_info 0
		.amdhsa_system_vgpr_workitem_id 0
		.amdhsa_next_free_vgpr 9
		.amdhsa_next_free_sgpr 17
		.amdhsa_reserve_vcc 1
		.amdhsa_reserve_flat_scratch 0
		.amdhsa_float_round_mode_32 0
		.amdhsa_float_round_mode_16_64 0
		.amdhsa_float_denorm_mode_32 3
		.amdhsa_float_denorm_mode_16_64 3
		.amdhsa_dx10_clamp 1
		.amdhsa_ieee_mode 1
		.amdhsa_fp16_overflow 0
		.amdhsa_workgroup_processor_mode 1
		.amdhsa_memory_ordered 1
		.amdhsa_forward_progress 1
		.amdhsa_shared_vgpr_count 0
		.amdhsa_exception_fp_ieee_invalid_op 0
		.amdhsa_exception_fp_denorm_src 0
		.amdhsa_exception_fp_ieee_div_zero 0
		.amdhsa_exception_fp_ieee_overflow 0
		.amdhsa_exception_fp_ieee_underflow 0
		.amdhsa_exception_fp_ieee_inexact 0
		.amdhsa_exception_int_div_zero 0
	.end_amdhsa_kernel
	.section	.text._ZN7rocprim17ROCPRIM_400000_NS6detail30init_device_scan_by_key_kernelINS1_19lookback_scan_stateINS0_5tupleIJibEEELb1ELb1EEEN6thrust23THRUST_200600_302600_NS6detail15normal_iteratorINS8_10device_ptrIsEEEEjNS1_16block_id_wrapperIjLb0EEEEEvT_jjPNSG_10value_typeET0_PNSt15iterator_traitsISJ_E10value_typeEmT1_T2_,"axG",@progbits,_ZN7rocprim17ROCPRIM_400000_NS6detail30init_device_scan_by_key_kernelINS1_19lookback_scan_stateINS0_5tupleIJibEEELb1ELb1EEEN6thrust23THRUST_200600_302600_NS6detail15normal_iteratorINS8_10device_ptrIsEEEEjNS1_16block_id_wrapperIjLb0EEEEEvT_jjPNSG_10value_typeET0_PNSt15iterator_traitsISJ_E10value_typeEmT1_T2_,comdat
.Lfunc_end1061:
	.size	_ZN7rocprim17ROCPRIM_400000_NS6detail30init_device_scan_by_key_kernelINS1_19lookback_scan_stateINS0_5tupleIJibEEELb1ELb1EEEN6thrust23THRUST_200600_302600_NS6detail15normal_iteratorINS8_10device_ptrIsEEEEjNS1_16block_id_wrapperIjLb0EEEEEvT_jjPNSG_10value_typeET0_PNSt15iterator_traitsISJ_E10value_typeEmT1_T2_, .Lfunc_end1061-_ZN7rocprim17ROCPRIM_400000_NS6detail30init_device_scan_by_key_kernelINS1_19lookback_scan_stateINS0_5tupleIJibEEELb1ELb1EEEN6thrust23THRUST_200600_302600_NS6detail15normal_iteratorINS8_10device_ptrIsEEEEjNS1_16block_id_wrapperIjLb0EEEEEvT_jjPNSG_10value_typeET0_PNSt15iterator_traitsISJ_E10value_typeEmT1_T2_
                                        ; -- End function
	.set _ZN7rocprim17ROCPRIM_400000_NS6detail30init_device_scan_by_key_kernelINS1_19lookback_scan_stateINS0_5tupleIJibEEELb1ELb1EEEN6thrust23THRUST_200600_302600_NS6detail15normal_iteratorINS8_10device_ptrIsEEEEjNS1_16block_id_wrapperIjLb0EEEEEvT_jjPNSG_10value_typeET0_PNSt15iterator_traitsISJ_E10value_typeEmT1_T2_.num_vgpr, 9
	.set _ZN7rocprim17ROCPRIM_400000_NS6detail30init_device_scan_by_key_kernelINS1_19lookback_scan_stateINS0_5tupleIJibEEELb1ELb1EEEN6thrust23THRUST_200600_302600_NS6detail15normal_iteratorINS8_10device_ptrIsEEEEjNS1_16block_id_wrapperIjLb0EEEEEvT_jjPNSG_10value_typeET0_PNSt15iterator_traitsISJ_E10value_typeEmT1_T2_.num_agpr, 0
	.set _ZN7rocprim17ROCPRIM_400000_NS6detail30init_device_scan_by_key_kernelINS1_19lookback_scan_stateINS0_5tupleIJibEEELb1ELb1EEEN6thrust23THRUST_200600_302600_NS6detail15normal_iteratorINS8_10device_ptrIsEEEEjNS1_16block_id_wrapperIjLb0EEEEEvT_jjPNSG_10value_typeET0_PNSt15iterator_traitsISJ_E10value_typeEmT1_T2_.numbered_sgpr, 17
	.set _ZN7rocprim17ROCPRIM_400000_NS6detail30init_device_scan_by_key_kernelINS1_19lookback_scan_stateINS0_5tupleIJibEEELb1ELb1EEEN6thrust23THRUST_200600_302600_NS6detail15normal_iteratorINS8_10device_ptrIsEEEEjNS1_16block_id_wrapperIjLb0EEEEEvT_jjPNSG_10value_typeET0_PNSt15iterator_traitsISJ_E10value_typeEmT1_T2_.num_named_barrier, 0
	.set _ZN7rocprim17ROCPRIM_400000_NS6detail30init_device_scan_by_key_kernelINS1_19lookback_scan_stateINS0_5tupleIJibEEELb1ELb1EEEN6thrust23THRUST_200600_302600_NS6detail15normal_iteratorINS8_10device_ptrIsEEEEjNS1_16block_id_wrapperIjLb0EEEEEvT_jjPNSG_10value_typeET0_PNSt15iterator_traitsISJ_E10value_typeEmT1_T2_.private_seg_size, 0
	.set _ZN7rocprim17ROCPRIM_400000_NS6detail30init_device_scan_by_key_kernelINS1_19lookback_scan_stateINS0_5tupleIJibEEELb1ELb1EEEN6thrust23THRUST_200600_302600_NS6detail15normal_iteratorINS8_10device_ptrIsEEEEjNS1_16block_id_wrapperIjLb0EEEEEvT_jjPNSG_10value_typeET0_PNSt15iterator_traitsISJ_E10value_typeEmT1_T2_.uses_vcc, 1
	.set _ZN7rocprim17ROCPRIM_400000_NS6detail30init_device_scan_by_key_kernelINS1_19lookback_scan_stateINS0_5tupleIJibEEELb1ELb1EEEN6thrust23THRUST_200600_302600_NS6detail15normal_iteratorINS8_10device_ptrIsEEEEjNS1_16block_id_wrapperIjLb0EEEEEvT_jjPNSG_10value_typeET0_PNSt15iterator_traitsISJ_E10value_typeEmT1_T2_.uses_flat_scratch, 0
	.set _ZN7rocprim17ROCPRIM_400000_NS6detail30init_device_scan_by_key_kernelINS1_19lookback_scan_stateINS0_5tupleIJibEEELb1ELb1EEEN6thrust23THRUST_200600_302600_NS6detail15normal_iteratorINS8_10device_ptrIsEEEEjNS1_16block_id_wrapperIjLb0EEEEEvT_jjPNSG_10value_typeET0_PNSt15iterator_traitsISJ_E10value_typeEmT1_T2_.has_dyn_sized_stack, 0
	.set _ZN7rocprim17ROCPRIM_400000_NS6detail30init_device_scan_by_key_kernelINS1_19lookback_scan_stateINS0_5tupleIJibEEELb1ELb1EEEN6thrust23THRUST_200600_302600_NS6detail15normal_iteratorINS8_10device_ptrIsEEEEjNS1_16block_id_wrapperIjLb0EEEEEvT_jjPNSG_10value_typeET0_PNSt15iterator_traitsISJ_E10value_typeEmT1_T2_.has_recursion, 0
	.set _ZN7rocprim17ROCPRIM_400000_NS6detail30init_device_scan_by_key_kernelINS1_19lookback_scan_stateINS0_5tupleIJibEEELb1ELb1EEEN6thrust23THRUST_200600_302600_NS6detail15normal_iteratorINS8_10device_ptrIsEEEEjNS1_16block_id_wrapperIjLb0EEEEEvT_jjPNSG_10value_typeET0_PNSt15iterator_traitsISJ_E10value_typeEmT1_T2_.has_indirect_call, 0
	.section	.AMDGPU.csdata,"",@progbits
; Kernel info:
; codeLenInByte = 728
; TotalNumSgprs: 19
; NumVgprs: 9
; ScratchSize: 0
; MemoryBound: 0
; FloatMode: 240
; IeeeMode: 1
; LDSByteSize: 0 bytes/workgroup (compile time only)
; SGPRBlocks: 0
; VGPRBlocks: 1
; NumSGPRsForWavesPerEU: 19
; NumVGPRsForWavesPerEU: 9
; Occupancy: 16
; WaveLimiterHint : 0
; COMPUTE_PGM_RSRC2:SCRATCH_EN: 0
; COMPUTE_PGM_RSRC2:USER_SGPR: 6
; COMPUTE_PGM_RSRC2:TRAP_HANDLER: 0
; COMPUTE_PGM_RSRC2:TGID_X_EN: 1
; COMPUTE_PGM_RSRC2:TGID_Y_EN: 0
; COMPUTE_PGM_RSRC2:TGID_Z_EN: 0
; COMPUTE_PGM_RSRC2:TIDIG_COMP_CNT: 0
	.section	.text._ZN7rocprim17ROCPRIM_400000_NS6detail17trampoline_kernelINS0_14default_configENS1_27scan_by_key_config_selectorIsiEEZZNS1_16scan_by_key_implILNS1_25lookback_scan_determinismE0ELb1ES3_N6thrust23THRUST_200600_302600_NS6detail15normal_iteratorINS9_10device_ptrIsEEEESE_SE_iNS9_4plusIvEENS9_8equal_toIvEEiEE10hipError_tPvRmT2_T3_T4_T5_mT6_T7_P12ihipStream_tbENKUlT_T0_E_clISt17integral_constantIbLb1EESY_IbLb0EEEEDaSU_SV_EUlSU_E_NS1_11comp_targetILNS1_3genE0ELNS1_11target_archE4294967295ELNS1_3gpuE0ELNS1_3repE0EEENS1_30default_config_static_selectorELNS0_4arch9wavefront6targetE0EEEvT1_,"axG",@progbits,_ZN7rocprim17ROCPRIM_400000_NS6detail17trampoline_kernelINS0_14default_configENS1_27scan_by_key_config_selectorIsiEEZZNS1_16scan_by_key_implILNS1_25lookback_scan_determinismE0ELb1ES3_N6thrust23THRUST_200600_302600_NS6detail15normal_iteratorINS9_10device_ptrIsEEEESE_SE_iNS9_4plusIvEENS9_8equal_toIvEEiEE10hipError_tPvRmT2_T3_T4_T5_mT6_T7_P12ihipStream_tbENKUlT_T0_E_clISt17integral_constantIbLb1EESY_IbLb0EEEEDaSU_SV_EUlSU_E_NS1_11comp_targetILNS1_3genE0ELNS1_11target_archE4294967295ELNS1_3gpuE0ELNS1_3repE0EEENS1_30default_config_static_selectorELNS0_4arch9wavefront6targetE0EEEvT1_,comdat
	.protected	_ZN7rocprim17ROCPRIM_400000_NS6detail17trampoline_kernelINS0_14default_configENS1_27scan_by_key_config_selectorIsiEEZZNS1_16scan_by_key_implILNS1_25lookback_scan_determinismE0ELb1ES3_N6thrust23THRUST_200600_302600_NS6detail15normal_iteratorINS9_10device_ptrIsEEEESE_SE_iNS9_4plusIvEENS9_8equal_toIvEEiEE10hipError_tPvRmT2_T3_T4_T5_mT6_T7_P12ihipStream_tbENKUlT_T0_E_clISt17integral_constantIbLb1EESY_IbLb0EEEEDaSU_SV_EUlSU_E_NS1_11comp_targetILNS1_3genE0ELNS1_11target_archE4294967295ELNS1_3gpuE0ELNS1_3repE0EEENS1_30default_config_static_selectorELNS0_4arch9wavefront6targetE0EEEvT1_ ; -- Begin function _ZN7rocprim17ROCPRIM_400000_NS6detail17trampoline_kernelINS0_14default_configENS1_27scan_by_key_config_selectorIsiEEZZNS1_16scan_by_key_implILNS1_25lookback_scan_determinismE0ELb1ES3_N6thrust23THRUST_200600_302600_NS6detail15normal_iteratorINS9_10device_ptrIsEEEESE_SE_iNS9_4plusIvEENS9_8equal_toIvEEiEE10hipError_tPvRmT2_T3_T4_T5_mT6_T7_P12ihipStream_tbENKUlT_T0_E_clISt17integral_constantIbLb1EESY_IbLb0EEEEDaSU_SV_EUlSU_E_NS1_11comp_targetILNS1_3genE0ELNS1_11target_archE4294967295ELNS1_3gpuE0ELNS1_3repE0EEENS1_30default_config_static_selectorELNS0_4arch9wavefront6targetE0EEEvT1_
	.globl	_ZN7rocprim17ROCPRIM_400000_NS6detail17trampoline_kernelINS0_14default_configENS1_27scan_by_key_config_selectorIsiEEZZNS1_16scan_by_key_implILNS1_25lookback_scan_determinismE0ELb1ES3_N6thrust23THRUST_200600_302600_NS6detail15normal_iteratorINS9_10device_ptrIsEEEESE_SE_iNS9_4plusIvEENS9_8equal_toIvEEiEE10hipError_tPvRmT2_T3_T4_T5_mT6_T7_P12ihipStream_tbENKUlT_T0_E_clISt17integral_constantIbLb1EESY_IbLb0EEEEDaSU_SV_EUlSU_E_NS1_11comp_targetILNS1_3genE0ELNS1_11target_archE4294967295ELNS1_3gpuE0ELNS1_3repE0EEENS1_30default_config_static_selectorELNS0_4arch9wavefront6targetE0EEEvT1_
	.p2align	8
	.type	_ZN7rocprim17ROCPRIM_400000_NS6detail17trampoline_kernelINS0_14default_configENS1_27scan_by_key_config_selectorIsiEEZZNS1_16scan_by_key_implILNS1_25lookback_scan_determinismE0ELb1ES3_N6thrust23THRUST_200600_302600_NS6detail15normal_iteratorINS9_10device_ptrIsEEEESE_SE_iNS9_4plusIvEENS9_8equal_toIvEEiEE10hipError_tPvRmT2_T3_T4_T5_mT6_T7_P12ihipStream_tbENKUlT_T0_E_clISt17integral_constantIbLb1EESY_IbLb0EEEEDaSU_SV_EUlSU_E_NS1_11comp_targetILNS1_3genE0ELNS1_11target_archE4294967295ELNS1_3gpuE0ELNS1_3repE0EEENS1_30default_config_static_selectorELNS0_4arch9wavefront6targetE0EEEvT1_,@function
_ZN7rocprim17ROCPRIM_400000_NS6detail17trampoline_kernelINS0_14default_configENS1_27scan_by_key_config_selectorIsiEEZZNS1_16scan_by_key_implILNS1_25lookback_scan_determinismE0ELb1ES3_N6thrust23THRUST_200600_302600_NS6detail15normal_iteratorINS9_10device_ptrIsEEEESE_SE_iNS9_4plusIvEENS9_8equal_toIvEEiEE10hipError_tPvRmT2_T3_T4_T5_mT6_T7_P12ihipStream_tbENKUlT_T0_E_clISt17integral_constantIbLb1EESY_IbLb0EEEEDaSU_SV_EUlSU_E_NS1_11comp_targetILNS1_3genE0ELNS1_11target_archE4294967295ELNS1_3gpuE0ELNS1_3repE0EEENS1_30default_config_static_selectorELNS0_4arch9wavefront6targetE0EEEvT1_: ; @_ZN7rocprim17ROCPRIM_400000_NS6detail17trampoline_kernelINS0_14default_configENS1_27scan_by_key_config_selectorIsiEEZZNS1_16scan_by_key_implILNS1_25lookback_scan_determinismE0ELb1ES3_N6thrust23THRUST_200600_302600_NS6detail15normal_iteratorINS9_10device_ptrIsEEEESE_SE_iNS9_4plusIvEENS9_8equal_toIvEEiEE10hipError_tPvRmT2_T3_T4_T5_mT6_T7_P12ihipStream_tbENKUlT_T0_E_clISt17integral_constantIbLb1EESY_IbLb0EEEEDaSU_SV_EUlSU_E_NS1_11comp_targetILNS1_3genE0ELNS1_11target_archE4294967295ELNS1_3gpuE0ELNS1_3repE0EEENS1_30default_config_static_selectorELNS0_4arch9wavefront6targetE0EEEvT1_
; %bb.0:
	.section	.rodata,"a",@progbits
	.p2align	6, 0x0
	.amdhsa_kernel _ZN7rocprim17ROCPRIM_400000_NS6detail17trampoline_kernelINS0_14default_configENS1_27scan_by_key_config_selectorIsiEEZZNS1_16scan_by_key_implILNS1_25lookback_scan_determinismE0ELb1ES3_N6thrust23THRUST_200600_302600_NS6detail15normal_iteratorINS9_10device_ptrIsEEEESE_SE_iNS9_4plusIvEENS9_8equal_toIvEEiEE10hipError_tPvRmT2_T3_T4_T5_mT6_T7_P12ihipStream_tbENKUlT_T0_E_clISt17integral_constantIbLb1EESY_IbLb0EEEEDaSU_SV_EUlSU_E_NS1_11comp_targetILNS1_3genE0ELNS1_11target_archE4294967295ELNS1_3gpuE0ELNS1_3repE0EEENS1_30default_config_static_selectorELNS0_4arch9wavefront6targetE0EEEvT1_
		.amdhsa_group_segment_fixed_size 0
		.amdhsa_private_segment_fixed_size 0
		.amdhsa_kernarg_size 112
		.amdhsa_user_sgpr_count 6
		.amdhsa_user_sgpr_private_segment_buffer 1
		.amdhsa_user_sgpr_dispatch_ptr 0
		.amdhsa_user_sgpr_queue_ptr 0
		.amdhsa_user_sgpr_kernarg_segment_ptr 1
		.amdhsa_user_sgpr_dispatch_id 0
		.amdhsa_user_sgpr_flat_scratch_init 0
		.amdhsa_user_sgpr_private_segment_size 0
		.amdhsa_wavefront_size32 1
		.amdhsa_uses_dynamic_stack 0
		.amdhsa_system_sgpr_private_segment_wavefront_offset 0
		.amdhsa_system_sgpr_workgroup_id_x 1
		.amdhsa_system_sgpr_workgroup_id_y 0
		.amdhsa_system_sgpr_workgroup_id_z 0
		.amdhsa_system_sgpr_workgroup_info 0
		.amdhsa_system_vgpr_workitem_id 0
		.amdhsa_next_free_vgpr 1
		.amdhsa_next_free_sgpr 1
		.amdhsa_reserve_vcc 0
		.amdhsa_reserve_flat_scratch 0
		.amdhsa_float_round_mode_32 0
		.amdhsa_float_round_mode_16_64 0
		.amdhsa_float_denorm_mode_32 3
		.amdhsa_float_denorm_mode_16_64 3
		.amdhsa_dx10_clamp 1
		.amdhsa_ieee_mode 1
		.amdhsa_fp16_overflow 0
		.amdhsa_workgroup_processor_mode 1
		.amdhsa_memory_ordered 1
		.amdhsa_forward_progress 1
		.amdhsa_shared_vgpr_count 0
		.amdhsa_exception_fp_ieee_invalid_op 0
		.amdhsa_exception_fp_denorm_src 0
		.amdhsa_exception_fp_ieee_div_zero 0
		.amdhsa_exception_fp_ieee_overflow 0
		.amdhsa_exception_fp_ieee_underflow 0
		.amdhsa_exception_fp_ieee_inexact 0
		.amdhsa_exception_int_div_zero 0
	.end_amdhsa_kernel
	.section	.text._ZN7rocprim17ROCPRIM_400000_NS6detail17trampoline_kernelINS0_14default_configENS1_27scan_by_key_config_selectorIsiEEZZNS1_16scan_by_key_implILNS1_25lookback_scan_determinismE0ELb1ES3_N6thrust23THRUST_200600_302600_NS6detail15normal_iteratorINS9_10device_ptrIsEEEESE_SE_iNS9_4plusIvEENS9_8equal_toIvEEiEE10hipError_tPvRmT2_T3_T4_T5_mT6_T7_P12ihipStream_tbENKUlT_T0_E_clISt17integral_constantIbLb1EESY_IbLb0EEEEDaSU_SV_EUlSU_E_NS1_11comp_targetILNS1_3genE0ELNS1_11target_archE4294967295ELNS1_3gpuE0ELNS1_3repE0EEENS1_30default_config_static_selectorELNS0_4arch9wavefront6targetE0EEEvT1_,"axG",@progbits,_ZN7rocprim17ROCPRIM_400000_NS6detail17trampoline_kernelINS0_14default_configENS1_27scan_by_key_config_selectorIsiEEZZNS1_16scan_by_key_implILNS1_25lookback_scan_determinismE0ELb1ES3_N6thrust23THRUST_200600_302600_NS6detail15normal_iteratorINS9_10device_ptrIsEEEESE_SE_iNS9_4plusIvEENS9_8equal_toIvEEiEE10hipError_tPvRmT2_T3_T4_T5_mT6_T7_P12ihipStream_tbENKUlT_T0_E_clISt17integral_constantIbLb1EESY_IbLb0EEEEDaSU_SV_EUlSU_E_NS1_11comp_targetILNS1_3genE0ELNS1_11target_archE4294967295ELNS1_3gpuE0ELNS1_3repE0EEENS1_30default_config_static_selectorELNS0_4arch9wavefront6targetE0EEEvT1_,comdat
.Lfunc_end1062:
	.size	_ZN7rocprim17ROCPRIM_400000_NS6detail17trampoline_kernelINS0_14default_configENS1_27scan_by_key_config_selectorIsiEEZZNS1_16scan_by_key_implILNS1_25lookback_scan_determinismE0ELb1ES3_N6thrust23THRUST_200600_302600_NS6detail15normal_iteratorINS9_10device_ptrIsEEEESE_SE_iNS9_4plusIvEENS9_8equal_toIvEEiEE10hipError_tPvRmT2_T3_T4_T5_mT6_T7_P12ihipStream_tbENKUlT_T0_E_clISt17integral_constantIbLb1EESY_IbLb0EEEEDaSU_SV_EUlSU_E_NS1_11comp_targetILNS1_3genE0ELNS1_11target_archE4294967295ELNS1_3gpuE0ELNS1_3repE0EEENS1_30default_config_static_selectorELNS0_4arch9wavefront6targetE0EEEvT1_, .Lfunc_end1062-_ZN7rocprim17ROCPRIM_400000_NS6detail17trampoline_kernelINS0_14default_configENS1_27scan_by_key_config_selectorIsiEEZZNS1_16scan_by_key_implILNS1_25lookback_scan_determinismE0ELb1ES3_N6thrust23THRUST_200600_302600_NS6detail15normal_iteratorINS9_10device_ptrIsEEEESE_SE_iNS9_4plusIvEENS9_8equal_toIvEEiEE10hipError_tPvRmT2_T3_T4_T5_mT6_T7_P12ihipStream_tbENKUlT_T0_E_clISt17integral_constantIbLb1EESY_IbLb0EEEEDaSU_SV_EUlSU_E_NS1_11comp_targetILNS1_3genE0ELNS1_11target_archE4294967295ELNS1_3gpuE0ELNS1_3repE0EEENS1_30default_config_static_selectorELNS0_4arch9wavefront6targetE0EEEvT1_
                                        ; -- End function
	.set _ZN7rocprim17ROCPRIM_400000_NS6detail17trampoline_kernelINS0_14default_configENS1_27scan_by_key_config_selectorIsiEEZZNS1_16scan_by_key_implILNS1_25lookback_scan_determinismE0ELb1ES3_N6thrust23THRUST_200600_302600_NS6detail15normal_iteratorINS9_10device_ptrIsEEEESE_SE_iNS9_4plusIvEENS9_8equal_toIvEEiEE10hipError_tPvRmT2_T3_T4_T5_mT6_T7_P12ihipStream_tbENKUlT_T0_E_clISt17integral_constantIbLb1EESY_IbLb0EEEEDaSU_SV_EUlSU_E_NS1_11comp_targetILNS1_3genE0ELNS1_11target_archE4294967295ELNS1_3gpuE0ELNS1_3repE0EEENS1_30default_config_static_selectorELNS0_4arch9wavefront6targetE0EEEvT1_.num_vgpr, 0
	.set _ZN7rocprim17ROCPRIM_400000_NS6detail17trampoline_kernelINS0_14default_configENS1_27scan_by_key_config_selectorIsiEEZZNS1_16scan_by_key_implILNS1_25lookback_scan_determinismE0ELb1ES3_N6thrust23THRUST_200600_302600_NS6detail15normal_iteratorINS9_10device_ptrIsEEEESE_SE_iNS9_4plusIvEENS9_8equal_toIvEEiEE10hipError_tPvRmT2_T3_T4_T5_mT6_T7_P12ihipStream_tbENKUlT_T0_E_clISt17integral_constantIbLb1EESY_IbLb0EEEEDaSU_SV_EUlSU_E_NS1_11comp_targetILNS1_3genE0ELNS1_11target_archE4294967295ELNS1_3gpuE0ELNS1_3repE0EEENS1_30default_config_static_selectorELNS0_4arch9wavefront6targetE0EEEvT1_.num_agpr, 0
	.set _ZN7rocprim17ROCPRIM_400000_NS6detail17trampoline_kernelINS0_14default_configENS1_27scan_by_key_config_selectorIsiEEZZNS1_16scan_by_key_implILNS1_25lookback_scan_determinismE0ELb1ES3_N6thrust23THRUST_200600_302600_NS6detail15normal_iteratorINS9_10device_ptrIsEEEESE_SE_iNS9_4plusIvEENS9_8equal_toIvEEiEE10hipError_tPvRmT2_T3_T4_T5_mT6_T7_P12ihipStream_tbENKUlT_T0_E_clISt17integral_constantIbLb1EESY_IbLb0EEEEDaSU_SV_EUlSU_E_NS1_11comp_targetILNS1_3genE0ELNS1_11target_archE4294967295ELNS1_3gpuE0ELNS1_3repE0EEENS1_30default_config_static_selectorELNS0_4arch9wavefront6targetE0EEEvT1_.numbered_sgpr, 0
	.set _ZN7rocprim17ROCPRIM_400000_NS6detail17trampoline_kernelINS0_14default_configENS1_27scan_by_key_config_selectorIsiEEZZNS1_16scan_by_key_implILNS1_25lookback_scan_determinismE0ELb1ES3_N6thrust23THRUST_200600_302600_NS6detail15normal_iteratorINS9_10device_ptrIsEEEESE_SE_iNS9_4plusIvEENS9_8equal_toIvEEiEE10hipError_tPvRmT2_T3_T4_T5_mT6_T7_P12ihipStream_tbENKUlT_T0_E_clISt17integral_constantIbLb1EESY_IbLb0EEEEDaSU_SV_EUlSU_E_NS1_11comp_targetILNS1_3genE0ELNS1_11target_archE4294967295ELNS1_3gpuE0ELNS1_3repE0EEENS1_30default_config_static_selectorELNS0_4arch9wavefront6targetE0EEEvT1_.num_named_barrier, 0
	.set _ZN7rocprim17ROCPRIM_400000_NS6detail17trampoline_kernelINS0_14default_configENS1_27scan_by_key_config_selectorIsiEEZZNS1_16scan_by_key_implILNS1_25lookback_scan_determinismE0ELb1ES3_N6thrust23THRUST_200600_302600_NS6detail15normal_iteratorINS9_10device_ptrIsEEEESE_SE_iNS9_4plusIvEENS9_8equal_toIvEEiEE10hipError_tPvRmT2_T3_T4_T5_mT6_T7_P12ihipStream_tbENKUlT_T0_E_clISt17integral_constantIbLb1EESY_IbLb0EEEEDaSU_SV_EUlSU_E_NS1_11comp_targetILNS1_3genE0ELNS1_11target_archE4294967295ELNS1_3gpuE0ELNS1_3repE0EEENS1_30default_config_static_selectorELNS0_4arch9wavefront6targetE0EEEvT1_.private_seg_size, 0
	.set _ZN7rocprim17ROCPRIM_400000_NS6detail17trampoline_kernelINS0_14default_configENS1_27scan_by_key_config_selectorIsiEEZZNS1_16scan_by_key_implILNS1_25lookback_scan_determinismE0ELb1ES3_N6thrust23THRUST_200600_302600_NS6detail15normal_iteratorINS9_10device_ptrIsEEEESE_SE_iNS9_4plusIvEENS9_8equal_toIvEEiEE10hipError_tPvRmT2_T3_T4_T5_mT6_T7_P12ihipStream_tbENKUlT_T0_E_clISt17integral_constantIbLb1EESY_IbLb0EEEEDaSU_SV_EUlSU_E_NS1_11comp_targetILNS1_3genE0ELNS1_11target_archE4294967295ELNS1_3gpuE0ELNS1_3repE0EEENS1_30default_config_static_selectorELNS0_4arch9wavefront6targetE0EEEvT1_.uses_vcc, 0
	.set _ZN7rocprim17ROCPRIM_400000_NS6detail17trampoline_kernelINS0_14default_configENS1_27scan_by_key_config_selectorIsiEEZZNS1_16scan_by_key_implILNS1_25lookback_scan_determinismE0ELb1ES3_N6thrust23THRUST_200600_302600_NS6detail15normal_iteratorINS9_10device_ptrIsEEEESE_SE_iNS9_4plusIvEENS9_8equal_toIvEEiEE10hipError_tPvRmT2_T3_T4_T5_mT6_T7_P12ihipStream_tbENKUlT_T0_E_clISt17integral_constantIbLb1EESY_IbLb0EEEEDaSU_SV_EUlSU_E_NS1_11comp_targetILNS1_3genE0ELNS1_11target_archE4294967295ELNS1_3gpuE0ELNS1_3repE0EEENS1_30default_config_static_selectorELNS0_4arch9wavefront6targetE0EEEvT1_.uses_flat_scratch, 0
	.set _ZN7rocprim17ROCPRIM_400000_NS6detail17trampoline_kernelINS0_14default_configENS1_27scan_by_key_config_selectorIsiEEZZNS1_16scan_by_key_implILNS1_25lookback_scan_determinismE0ELb1ES3_N6thrust23THRUST_200600_302600_NS6detail15normal_iteratorINS9_10device_ptrIsEEEESE_SE_iNS9_4plusIvEENS9_8equal_toIvEEiEE10hipError_tPvRmT2_T3_T4_T5_mT6_T7_P12ihipStream_tbENKUlT_T0_E_clISt17integral_constantIbLb1EESY_IbLb0EEEEDaSU_SV_EUlSU_E_NS1_11comp_targetILNS1_3genE0ELNS1_11target_archE4294967295ELNS1_3gpuE0ELNS1_3repE0EEENS1_30default_config_static_selectorELNS0_4arch9wavefront6targetE0EEEvT1_.has_dyn_sized_stack, 0
	.set _ZN7rocprim17ROCPRIM_400000_NS6detail17trampoline_kernelINS0_14default_configENS1_27scan_by_key_config_selectorIsiEEZZNS1_16scan_by_key_implILNS1_25lookback_scan_determinismE0ELb1ES3_N6thrust23THRUST_200600_302600_NS6detail15normal_iteratorINS9_10device_ptrIsEEEESE_SE_iNS9_4plusIvEENS9_8equal_toIvEEiEE10hipError_tPvRmT2_T3_T4_T5_mT6_T7_P12ihipStream_tbENKUlT_T0_E_clISt17integral_constantIbLb1EESY_IbLb0EEEEDaSU_SV_EUlSU_E_NS1_11comp_targetILNS1_3genE0ELNS1_11target_archE4294967295ELNS1_3gpuE0ELNS1_3repE0EEENS1_30default_config_static_selectorELNS0_4arch9wavefront6targetE0EEEvT1_.has_recursion, 0
	.set _ZN7rocprim17ROCPRIM_400000_NS6detail17trampoline_kernelINS0_14default_configENS1_27scan_by_key_config_selectorIsiEEZZNS1_16scan_by_key_implILNS1_25lookback_scan_determinismE0ELb1ES3_N6thrust23THRUST_200600_302600_NS6detail15normal_iteratorINS9_10device_ptrIsEEEESE_SE_iNS9_4plusIvEENS9_8equal_toIvEEiEE10hipError_tPvRmT2_T3_T4_T5_mT6_T7_P12ihipStream_tbENKUlT_T0_E_clISt17integral_constantIbLb1EESY_IbLb0EEEEDaSU_SV_EUlSU_E_NS1_11comp_targetILNS1_3genE0ELNS1_11target_archE4294967295ELNS1_3gpuE0ELNS1_3repE0EEENS1_30default_config_static_selectorELNS0_4arch9wavefront6targetE0EEEvT1_.has_indirect_call, 0
	.section	.AMDGPU.csdata,"",@progbits
; Kernel info:
; codeLenInByte = 0
; TotalNumSgprs: 0
; NumVgprs: 0
; ScratchSize: 0
; MemoryBound: 0
; FloatMode: 240
; IeeeMode: 1
; LDSByteSize: 0 bytes/workgroup (compile time only)
; SGPRBlocks: 0
; VGPRBlocks: 0
; NumSGPRsForWavesPerEU: 1
; NumVGPRsForWavesPerEU: 1
; Occupancy: 16
; WaveLimiterHint : 0
; COMPUTE_PGM_RSRC2:SCRATCH_EN: 0
; COMPUTE_PGM_RSRC2:USER_SGPR: 6
; COMPUTE_PGM_RSRC2:TRAP_HANDLER: 0
; COMPUTE_PGM_RSRC2:TGID_X_EN: 1
; COMPUTE_PGM_RSRC2:TGID_Y_EN: 0
; COMPUTE_PGM_RSRC2:TGID_Z_EN: 0
; COMPUTE_PGM_RSRC2:TIDIG_COMP_CNT: 0
	.section	.text._ZN7rocprim17ROCPRIM_400000_NS6detail17trampoline_kernelINS0_14default_configENS1_27scan_by_key_config_selectorIsiEEZZNS1_16scan_by_key_implILNS1_25lookback_scan_determinismE0ELb1ES3_N6thrust23THRUST_200600_302600_NS6detail15normal_iteratorINS9_10device_ptrIsEEEESE_SE_iNS9_4plusIvEENS9_8equal_toIvEEiEE10hipError_tPvRmT2_T3_T4_T5_mT6_T7_P12ihipStream_tbENKUlT_T0_E_clISt17integral_constantIbLb1EESY_IbLb0EEEEDaSU_SV_EUlSU_E_NS1_11comp_targetILNS1_3genE10ELNS1_11target_archE1201ELNS1_3gpuE5ELNS1_3repE0EEENS1_30default_config_static_selectorELNS0_4arch9wavefront6targetE0EEEvT1_,"axG",@progbits,_ZN7rocprim17ROCPRIM_400000_NS6detail17trampoline_kernelINS0_14default_configENS1_27scan_by_key_config_selectorIsiEEZZNS1_16scan_by_key_implILNS1_25lookback_scan_determinismE0ELb1ES3_N6thrust23THRUST_200600_302600_NS6detail15normal_iteratorINS9_10device_ptrIsEEEESE_SE_iNS9_4plusIvEENS9_8equal_toIvEEiEE10hipError_tPvRmT2_T3_T4_T5_mT6_T7_P12ihipStream_tbENKUlT_T0_E_clISt17integral_constantIbLb1EESY_IbLb0EEEEDaSU_SV_EUlSU_E_NS1_11comp_targetILNS1_3genE10ELNS1_11target_archE1201ELNS1_3gpuE5ELNS1_3repE0EEENS1_30default_config_static_selectorELNS0_4arch9wavefront6targetE0EEEvT1_,comdat
	.protected	_ZN7rocprim17ROCPRIM_400000_NS6detail17trampoline_kernelINS0_14default_configENS1_27scan_by_key_config_selectorIsiEEZZNS1_16scan_by_key_implILNS1_25lookback_scan_determinismE0ELb1ES3_N6thrust23THRUST_200600_302600_NS6detail15normal_iteratorINS9_10device_ptrIsEEEESE_SE_iNS9_4plusIvEENS9_8equal_toIvEEiEE10hipError_tPvRmT2_T3_T4_T5_mT6_T7_P12ihipStream_tbENKUlT_T0_E_clISt17integral_constantIbLb1EESY_IbLb0EEEEDaSU_SV_EUlSU_E_NS1_11comp_targetILNS1_3genE10ELNS1_11target_archE1201ELNS1_3gpuE5ELNS1_3repE0EEENS1_30default_config_static_selectorELNS0_4arch9wavefront6targetE0EEEvT1_ ; -- Begin function _ZN7rocprim17ROCPRIM_400000_NS6detail17trampoline_kernelINS0_14default_configENS1_27scan_by_key_config_selectorIsiEEZZNS1_16scan_by_key_implILNS1_25lookback_scan_determinismE0ELb1ES3_N6thrust23THRUST_200600_302600_NS6detail15normal_iteratorINS9_10device_ptrIsEEEESE_SE_iNS9_4plusIvEENS9_8equal_toIvEEiEE10hipError_tPvRmT2_T3_T4_T5_mT6_T7_P12ihipStream_tbENKUlT_T0_E_clISt17integral_constantIbLb1EESY_IbLb0EEEEDaSU_SV_EUlSU_E_NS1_11comp_targetILNS1_3genE10ELNS1_11target_archE1201ELNS1_3gpuE5ELNS1_3repE0EEENS1_30default_config_static_selectorELNS0_4arch9wavefront6targetE0EEEvT1_
	.globl	_ZN7rocprim17ROCPRIM_400000_NS6detail17trampoline_kernelINS0_14default_configENS1_27scan_by_key_config_selectorIsiEEZZNS1_16scan_by_key_implILNS1_25lookback_scan_determinismE0ELb1ES3_N6thrust23THRUST_200600_302600_NS6detail15normal_iteratorINS9_10device_ptrIsEEEESE_SE_iNS9_4plusIvEENS9_8equal_toIvEEiEE10hipError_tPvRmT2_T3_T4_T5_mT6_T7_P12ihipStream_tbENKUlT_T0_E_clISt17integral_constantIbLb1EESY_IbLb0EEEEDaSU_SV_EUlSU_E_NS1_11comp_targetILNS1_3genE10ELNS1_11target_archE1201ELNS1_3gpuE5ELNS1_3repE0EEENS1_30default_config_static_selectorELNS0_4arch9wavefront6targetE0EEEvT1_
	.p2align	8
	.type	_ZN7rocprim17ROCPRIM_400000_NS6detail17trampoline_kernelINS0_14default_configENS1_27scan_by_key_config_selectorIsiEEZZNS1_16scan_by_key_implILNS1_25lookback_scan_determinismE0ELb1ES3_N6thrust23THRUST_200600_302600_NS6detail15normal_iteratorINS9_10device_ptrIsEEEESE_SE_iNS9_4plusIvEENS9_8equal_toIvEEiEE10hipError_tPvRmT2_T3_T4_T5_mT6_T7_P12ihipStream_tbENKUlT_T0_E_clISt17integral_constantIbLb1EESY_IbLb0EEEEDaSU_SV_EUlSU_E_NS1_11comp_targetILNS1_3genE10ELNS1_11target_archE1201ELNS1_3gpuE5ELNS1_3repE0EEENS1_30default_config_static_selectorELNS0_4arch9wavefront6targetE0EEEvT1_,@function
_ZN7rocprim17ROCPRIM_400000_NS6detail17trampoline_kernelINS0_14default_configENS1_27scan_by_key_config_selectorIsiEEZZNS1_16scan_by_key_implILNS1_25lookback_scan_determinismE0ELb1ES3_N6thrust23THRUST_200600_302600_NS6detail15normal_iteratorINS9_10device_ptrIsEEEESE_SE_iNS9_4plusIvEENS9_8equal_toIvEEiEE10hipError_tPvRmT2_T3_T4_T5_mT6_T7_P12ihipStream_tbENKUlT_T0_E_clISt17integral_constantIbLb1EESY_IbLb0EEEEDaSU_SV_EUlSU_E_NS1_11comp_targetILNS1_3genE10ELNS1_11target_archE1201ELNS1_3gpuE5ELNS1_3repE0EEENS1_30default_config_static_selectorELNS0_4arch9wavefront6targetE0EEEvT1_: ; @_ZN7rocprim17ROCPRIM_400000_NS6detail17trampoline_kernelINS0_14default_configENS1_27scan_by_key_config_selectorIsiEEZZNS1_16scan_by_key_implILNS1_25lookback_scan_determinismE0ELb1ES3_N6thrust23THRUST_200600_302600_NS6detail15normal_iteratorINS9_10device_ptrIsEEEESE_SE_iNS9_4plusIvEENS9_8equal_toIvEEiEE10hipError_tPvRmT2_T3_T4_T5_mT6_T7_P12ihipStream_tbENKUlT_T0_E_clISt17integral_constantIbLb1EESY_IbLb0EEEEDaSU_SV_EUlSU_E_NS1_11comp_targetILNS1_3genE10ELNS1_11target_archE1201ELNS1_3gpuE5ELNS1_3repE0EEENS1_30default_config_static_selectorELNS0_4arch9wavefront6targetE0EEEvT1_
; %bb.0:
	.section	.rodata,"a",@progbits
	.p2align	6, 0x0
	.amdhsa_kernel _ZN7rocprim17ROCPRIM_400000_NS6detail17trampoline_kernelINS0_14default_configENS1_27scan_by_key_config_selectorIsiEEZZNS1_16scan_by_key_implILNS1_25lookback_scan_determinismE0ELb1ES3_N6thrust23THRUST_200600_302600_NS6detail15normal_iteratorINS9_10device_ptrIsEEEESE_SE_iNS9_4plusIvEENS9_8equal_toIvEEiEE10hipError_tPvRmT2_T3_T4_T5_mT6_T7_P12ihipStream_tbENKUlT_T0_E_clISt17integral_constantIbLb1EESY_IbLb0EEEEDaSU_SV_EUlSU_E_NS1_11comp_targetILNS1_3genE10ELNS1_11target_archE1201ELNS1_3gpuE5ELNS1_3repE0EEENS1_30default_config_static_selectorELNS0_4arch9wavefront6targetE0EEEvT1_
		.amdhsa_group_segment_fixed_size 0
		.amdhsa_private_segment_fixed_size 0
		.amdhsa_kernarg_size 112
		.amdhsa_user_sgpr_count 6
		.amdhsa_user_sgpr_private_segment_buffer 1
		.amdhsa_user_sgpr_dispatch_ptr 0
		.amdhsa_user_sgpr_queue_ptr 0
		.amdhsa_user_sgpr_kernarg_segment_ptr 1
		.amdhsa_user_sgpr_dispatch_id 0
		.amdhsa_user_sgpr_flat_scratch_init 0
		.amdhsa_user_sgpr_private_segment_size 0
		.amdhsa_wavefront_size32 1
		.amdhsa_uses_dynamic_stack 0
		.amdhsa_system_sgpr_private_segment_wavefront_offset 0
		.amdhsa_system_sgpr_workgroup_id_x 1
		.amdhsa_system_sgpr_workgroup_id_y 0
		.amdhsa_system_sgpr_workgroup_id_z 0
		.amdhsa_system_sgpr_workgroup_info 0
		.amdhsa_system_vgpr_workitem_id 0
		.amdhsa_next_free_vgpr 1
		.amdhsa_next_free_sgpr 1
		.amdhsa_reserve_vcc 0
		.amdhsa_reserve_flat_scratch 0
		.amdhsa_float_round_mode_32 0
		.amdhsa_float_round_mode_16_64 0
		.amdhsa_float_denorm_mode_32 3
		.amdhsa_float_denorm_mode_16_64 3
		.amdhsa_dx10_clamp 1
		.amdhsa_ieee_mode 1
		.amdhsa_fp16_overflow 0
		.amdhsa_workgroup_processor_mode 1
		.amdhsa_memory_ordered 1
		.amdhsa_forward_progress 1
		.amdhsa_shared_vgpr_count 0
		.amdhsa_exception_fp_ieee_invalid_op 0
		.amdhsa_exception_fp_denorm_src 0
		.amdhsa_exception_fp_ieee_div_zero 0
		.amdhsa_exception_fp_ieee_overflow 0
		.amdhsa_exception_fp_ieee_underflow 0
		.amdhsa_exception_fp_ieee_inexact 0
		.amdhsa_exception_int_div_zero 0
	.end_amdhsa_kernel
	.section	.text._ZN7rocprim17ROCPRIM_400000_NS6detail17trampoline_kernelINS0_14default_configENS1_27scan_by_key_config_selectorIsiEEZZNS1_16scan_by_key_implILNS1_25lookback_scan_determinismE0ELb1ES3_N6thrust23THRUST_200600_302600_NS6detail15normal_iteratorINS9_10device_ptrIsEEEESE_SE_iNS9_4plusIvEENS9_8equal_toIvEEiEE10hipError_tPvRmT2_T3_T4_T5_mT6_T7_P12ihipStream_tbENKUlT_T0_E_clISt17integral_constantIbLb1EESY_IbLb0EEEEDaSU_SV_EUlSU_E_NS1_11comp_targetILNS1_3genE10ELNS1_11target_archE1201ELNS1_3gpuE5ELNS1_3repE0EEENS1_30default_config_static_selectorELNS0_4arch9wavefront6targetE0EEEvT1_,"axG",@progbits,_ZN7rocprim17ROCPRIM_400000_NS6detail17trampoline_kernelINS0_14default_configENS1_27scan_by_key_config_selectorIsiEEZZNS1_16scan_by_key_implILNS1_25lookback_scan_determinismE0ELb1ES3_N6thrust23THRUST_200600_302600_NS6detail15normal_iteratorINS9_10device_ptrIsEEEESE_SE_iNS9_4plusIvEENS9_8equal_toIvEEiEE10hipError_tPvRmT2_T3_T4_T5_mT6_T7_P12ihipStream_tbENKUlT_T0_E_clISt17integral_constantIbLb1EESY_IbLb0EEEEDaSU_SV_EUlSU_E_NS1_11comp_targetILNS1_3genE10ELNS1_11target_archE1201ELNS1_3gpuE5ELNS1_3repE0EEENS1_30default_config_static_selectorELNS0_4arch9wavefront6targetE0EEEvT1_,comdat
.Lfunc_end1063:
	.size	_ZN7rocprim17ROCPRIM_400000_NS6detail17trampoline_kernelINS0_14default_configENS1_27scan_by_key_config_selectorIsiEEZZNS1_16scan_by_key_implILNS1_25lookback_scan_determinismE0ELb1ES3_N6thrust23THRUST_200600_302600_NS6detail15normal_iteratorINS9_10device_ptrIsEEEESE_SE_iNS9_4plusIvEENS9_8equal_toIvEEiEE10hipError_tPvRmT2_T3_T4_T5_mT6_T7_P12ihipStream_tbENKUlT_T0_E_clISt17integral_constantIbLb1EESY_IbLb0EEEEDaSU_SV_EUlSU_E_NS1_11comp_targetILNS1_3genE10ELNS1_11target_archE1201ELNS1_3gpuE5ELNS1_3repE0EEENS1_30default_config_static_selectorELNS0_4arch9wavefront6targetE0EEEvT1_, .Lfunc_end1063-_ZN7rocprim17ROCPRIM_400000_NS6detail17trampoline_kernelINS0_14default_configENS1_27scan_by_key_config_selectorIsiEEZZNS1_16scan_by_key_implILNS1_25lookback_scan_determinismE0ELb1ES3_N6thrust23THRUST_200600_302600_NS6detail15normal_iteratorINS9_10device_ptrIsEEEESE_SE_iNS9_4plusIvEENS9_8equal_toIvEEiEE10hipError_tPvRmT2_T3_T4_T5_mT6_T7_P12ihipStream_tbENKUlT_T0_E_clISt17integral_constantIbLb1EESY_IbLb0EEEEDaSU_SV_EUlSU_E_NS1_11comp_targetILNS1_3genE10ELNS1_11target_archE1201ELNS1_3gpuE5ELNS1_3repE0EEENS1_30default_config_static_selectorELNS0_4arch9wavefront6targetE0EEEvT1_
                                        ; -- End function
	.set _ZN7rocprim17ROCPRIM_400000_NS6detail17trampoline_kernelINS0_14default_configENS1_27scan_by_key_config_selectorIsiEEZZNS1_16scan_by_key_implILNS1_25lookback_scan_determinismE0ELb1ES3_N6thrust23THRUST_200600_302600_NS6detail15normal_iteratorINS9_10device_ptrIsEEEESE_SE_iNS9_4plusIvEENS9_8equal_toIvEEiEE10hipError_tPvRmT2_T3_T4_T5_mT6_T7_P12ihipStream_tbENKUlT_T0_E_clISt17integral_constantIbLb1EESY_IbLb0EEEEDaSU_SV_EUlSU_E_NS1_11comp_targetILNS1_3genE10ELNS1_11target_archE1201ELNS1_3gpuE5ELNS1_3repE0EEENS1_30default_config_static_selectorELNS0_4arch9wavefront6targetE0EEEvT1_.num_vgpr, 0
	.set _ZN7rocprim17ROCPRIM_400000_NS6detail17trampoline_kernelINS0_14default_configENS1_27scan_by_key_config_selectorIsiEEZZNS1_16scan_by_key_implILNS1_25lookback_scan_determinismE0ELb1ES3_N6thrust23THRUST_200600_302600_NS6detail15normal_iteratorINS9_10device_ptrIsEEEESE_SE_iNS9_4plusIvEENS9_8equal_toIvEEiEE10hipError_tPvRmT2_T3_T4_T5_mT6_T7_P12ihipStream_tbENKUlT_T0_E_clISt17integral_constantIbLb1EESY_IbLb0EEEEDaSU_SV_EUlSU_E_NS1_11comp_targetILNS1_3genE10ELNS1_11target_archE1201ELNS1_3gpuE5ELNS1_3repE0EEENS1_30default_config_static_selectorELNS0_4arch9wavefront6targetE0EEEvT1_.num_agpr, 0
	.set _ZN7rocprim17ROCPRIM_400000_NS6detail17trampoline_kernelINS0_14default_configENS1_27scan_by_key_config_selectorIsiEEZZNS1_16scan_by_key_implILNS1_25lookback_scan_determinismE0ELb1ES3_N6thrust23THRUST_200600_302600_NS6detail15normal_iteratorINS9_10device_ptrIsEEEESE_SE_iNS9_4plusIvEENS9_8equal_toIvEEiEE10hipError_tPvRmT2_T3_T4_T5_mT6_T7_P12ihipStream_tbENKUlT_T0_E_clISt17integral_constantIbLb1EESY_IbLb0EEEEDaSU_SV_EUlSU_E_NS1_11comp_targetILNS1_3genE10ELNS1_11target_archE1201ELNS1_3gpuE5ELNS1_3repE0EEENS1_30default_config_static_selectorELNS0_4arch9wavefront6targetE0EEEvT1_.numbered_sgpr, 0
	.set _ZN7rocprim17ROCPRIM_400000_NS6detail17trampoline_kernelINS0_14default_configENS1_27scan_by_key_config_selectorIsiEEZZNS1_16scan_by_key_implILNS1_25lookback_scan_determinismE0ELb1ES3_N6thrust23THRUST_200600_302600_NS6detail15normal_iteratorINS9_10device_ptrIsEEEESE_SE_iNS9_4plusIvEENS9_8equal_toIvEEiEE10hipError_tPvRmT2_T3_T4_T5_mT6_T7_P12ihipStream_tbENKUlT_T0_E_clISt17integral_constantIbLb1EESY_IbLb0EEEEDaSU_SV_EUlSU_E_NS1_11comp_targetILNS1_3genE10ELNS1_11target_archE1201ELNS1_3gpuE5ELNS1_3repE0EEENS1_30default_config_static_selectorELNS0_4arch9wavefront6targetE0EEEvT1_.num_named_barrier, 0
	.set _ZN7rocprim17ROCPRIM_400000_NS6detail17trampoline_kernelINS0_14default_configENS1_27scan_by_key_config_selectorIsiEEZZNS1_16scan_by_key_implILNS1_25lookback_scan_determinismE0ELb1ES3_N6thrust23THRUST_200600_302600_NS6detail15normal_iteratorINS9_10device_ptrIsEEEESE_SE_iNS9_4plusIvEENS9_8equal_toIvEEiEE10hipError_tPvRmT2_T3_T4_T5_mT6_T7_P12ihipStream_tbENKUlT_T0_E_clISt17integral_constantIbLb1EESY_IbLb0EEEEDaSU_SV_EUlSU_E_NS1_11comp_targetILNS1_3genE10ELNS1_11target_archE1201ELNS1_3gpuE5ELNS1_3repE0EEENS1_30default_config_static_selectorELNS0_4arch9wavefront6targetE0EEEvT1_.private_seg_size, 0
	.set _ZN7rocprim17ROCPRIM_400000_NS6detail17trampoline_kernelINS0_14default_configENS1_27scan_by_key_config_selectorIsiEEZZNS1_16scan_by_key_implILNS1_25lookback_scan_determinismE0ELb1ES3_N6thrust23THRUST_200600_302600_NS6detail15normal_iteratorINS9_10device_ptrIsEEEESE_SE_iNS9_4plusIvEENS9_8equal_toIvEEiEE10hipError_tPvRmT2_T3_T4_T5_mT6_T7_P12ihipStream_tbENKUlT_T0_E_clISt17integral_constantIbLb1EESY_IbLb0EEEEDaSU_SV_EUlSU_E_NS1_11comp_targetILNS1_3genE10ELNS1_11target_archE1201ELNS1_3gpuE5ELNS1_3repE0EEENS1_30default_config_static_selectorELNS0_4arch9wavefront6targetE0EEEvT1_.uses_vcc, 0
	.set _ZN7rocprim17ROCPRIM_400000_NS6detail17trampoline_kernelINS0_14default_configENS1_27scan_by_key_config_selectorIsiEEZZNS1_16scan_by_key_implILNS1_25lookback_scan_determinismE0ELb1ES3_N6thrust23THRUST_200600_302600_NS6detail15normal_iteratorINS9_10device_ptrIsEEEESE_SE_iNS9_4plusIvEENS9_8equal_toIvEEiEE10hipError_tPvRmT2_T3_T4_T5_mT6_T7_P12ihipStream_tbENKUlT_T0_E_clISt17integral_constantIbLb1EESY_IbLb0EEEEDaSU_SV_EUlSU_E_NS1_11comp_targetILNS1_3genE10ELNS1_11target_archE1201ELNS1_3gpuE5ELNS1_3repE0EEENS1_30default_config_static_selectorELNS0_4arch9wavefront6targetE0EEEvT1_.uses_flat_scratch, 0
	.set _ZN7rocprim17ROCPRIM_400000_NS6detail17trampoline_kernelINS0_14default_configENS1_27scan_by_key_config_selectorIsiEEZZNS1_16scan_by_key_implILNS1_25lookback_scan_determinismE0ELb1ES3_N6thrust23THRUST_200600_302600_NS6detail15normal_iteratorINS9_10device_ptrIsEEEESE_SE_iNS9_4plusIvEENS9_8equal_toIvEEiEE10hipError_tPvRmT2_T3_T4_T5_mT6_T7_P12ihipStream_tbENKUlT_T0_E_clISt17integral_constantIbLb1EESY_IbLb0EEEEDaSU_SV_EUlSU_E_NS1_11comp_targetILNS1_3genE10ELNS1_11target_archE1201ELNS1_3gpuE5ELNS1_3repE0EEENS1_30default_config_static_selectorELNS0_4arch9wavefront6targetE0EEEvT1_.has_dyn_sized_stack, 0
	.set _ZN7rocprim17ROCPRIM_400000_NS6detail17trampoline_kernelINS0_14default_configENS1_27scan_by_key_config_selectorIsiEEZZNS1_16scan_by_key_implILNS1_25lookback_scan_determinismE0ELb1ES3_N6thrust23THRUST_200600_302600_NS6detail15normal_iteratorINS9_10device_ptrIsEEEESE_SE_iNS9_4plusIvEENS9_8equal_toIvEEiEE10hipError_tPvRmT2_T3_T4_T5_mT6_T7_P12ihipStream_tbENKUlT_T0_E_clISt17integral_constantIbLb1EESY_IbLb0EEEEDaSU_SV_EUlSU_E_NS1_11comp_targetILNS1_3genE10ELNS1_11target_archE1201ELNS1_3gpuE5ELNS1_3repE0EEENS1_30default_config_static_selectorELNS0_4arch9wavefront6targetE0EEEvT1_.has_recursion, 0
	.set _ZN7rocprim17ROCPRIM_400000_NS6detail17trampoline_kernelINS0_14default_configENS1_27scan_by_key_config_selectorIsiEEZZNS1_16scan_by_key_implILNS1_25lookback_scan_determinismE0ELb1ES3_N6thrust23THRUST_200600_302600_NS6detail15normal_iteratorINS9_10device_ptrIsEEEESE_SE_iNS9_4plusIvEENS9_8equal_toIvEEiEE10hipError_tPvRmT2_T3_T4_T5_mT6_T7_P12ihipStream_tbENKUlT_T0_E_clISt17integral_constantIbLb1EESY_IbLb0EEEEDaSU_SV_EUlSU_E_NS1_11comp_targetILNS1_3genE10ELNS1_11target_archE1201ELNS1_3gpuE5ELNS1_3repE0EEENS1_30default_config_static_selectorELNS0_4arch9wavefront6targetE0EEEvT1_.has_indirect_call, 0
	.section	.AMDGPU.csdata,"",@progbits
; Kernel info:
; codeLenInByte = 0
; TotalNumSgprs: 0
; NumVgprs: 0
; ScratchSize: 0
; MemoryBound: 0
; FloatMode: 240
; IeeeMode: 1
; LDSByteSize: 0 bytes/workgroup (compile time only)
; SGPRBlocks: 0
; VGPRBlocks: 0
; NumSGPRsForWavesPerEU: 1
; NumVGPRsForWavesPerEU: 1
; Occupancy: 16
; WaveLimiterHint : 0
; COMPUTE_PGM_RSRC2:SCRATCH_EN: 0
; COMPUTE_PGM_RSRC2:USER_SGPR: 6
; COMPUTE_PGM_RSRC2:TRAP_HANDLER: 0
; COMPUTE_PGM_RSRC2:TGID_X_EN: 1
; COMPUTE_PGM_RSRC2:TGID_Y_EN: 0
; COMPUTE_PGM_RSRC2:TGID_Z_EN: 0
; COMPUTE_PGM_RSRC2:TIDIG_COMP_CNT: 0
	.section	.text._ZN7rocprim17ROCPRIM_400000_NS6detail17trampoline_kernelINS0_14default_configENS1_27scan_by_key_config_selectorIsiEEZZNS1_16scan_by_key_implILNS1_25lookback_scan_determinismE0ELb1ES3_N6thrust23THRUST_200600_302600_NS6detail15normal_iteratorINS9_10device_ptrIsEEEESE_SE_iNS9_4plusIvEENS9_8equal_toIvEEiEE10hipError_tPvRmT2_T3_T4_T5_mT6_T7_P12ihipStream_tbENKUlT_T0_E_clISt17integral_constantIbLb1EESY_IbLb0EEEEDaSU_SV_EUlSU_E_NS1_11comp_targetILNS1_3genE5ELNS1_11target_archE942ELNS1_3gpuE9ELNS1_3repE0EEENS1_30default_config_static_selectorELNS0_4arch9wavefront6targetE0EEEvT1_,"axG",@progbits,_ZN7rocprim17ROCPRIM_400000_NS6detail17trampoline_kernelINS0_14default_configENS1_27scan_by_key_config_selectorIsiEEZZNS1_16scan_by_key_implILNS1_25lookback_scan_determinismE0ELb1ES3_N6thrust23THRUST_200600_302600_NS6detail15normal_iteratorINS9_10device_ptrIsEEEESE_SE_iNS9_4plusIvEENS9_8equal_toIvEEiEE10hipError_tPvRmT2_T3_T4_T5_mT6_T7_P12ihipStream_tbENKUlT_T0_E_clISt17integral_constantIbLb1EESY_IbLb0EEEEDaSU_SV_EUlSU_E_NS1_11comp_targetILNS1_3genE5ELNS1_11target_archE942ELNS1_3gpuE9ELNS1_3repE0EEENS1_30default_config_static_selectorELNS0_4arch9wavefront6targetE0EEEvT1_,comdat
	.protected	_ZN7rocprim17ROCPRIM_400000_NS6detail17trampoline_kernelINS0_14default_configENS1_27scan_by_key_config_selectorIsiEEZZNS1_16scan_by_key_implILNS1_25lookback_scan_determinismE0ELb1ES3_N6thrust23THRUST_200600_302600_NS6detail15normal_iteratorINS9_10device_ptrIsEEEESE_SE_iNS9_4plusIvEENS9_8equal_toIvEEiEE10hipError_tPvRmT2_T3_T4_T5_mT6_T7_P12ihipStream_tbENKUlT_T0_E_clISt17integral_constantIbLb1EESY_IbLb0EEEEDaSU_SV_EUlSU_E_NS1_11comp_targetILNS1_3genE5ELNS1_11target_archE942ELNS1_3gpuE9ELNS1_3repE0EEENS1_30default_config_static_selectorELNS0_4arch9wavefront6targetE0EEEvT1_ ; -- Begin function _ZN7rocprim17ROCPRIM_400000_NS6detail17trampoline_kernelINS0_14default_configENS1_27scan_by_key_config_selectorIsiEEZZNS1_16scan_by_key_implILNS1_25lookback_scan_determinismE0ELb1ES3_N6thrust23THRUST_200600_302600_NS6detail15normal_iteratorINS9_10device_ptrIsEEEESE_SE_iNS9_4plusIvEENS9_8equal_toIvEEiEE10hipError_tPvRmT2_T3_T4_T5_mT6_T7_P12ihipStream_tbENKUlT_T0_E_clISt17integral_constantIbLb1EESY_IbLb0EEEEDaSU_SV_EUlSU_E_NS1_11comp_targetILNS1_3genE5ELNS1_11target_archE942ELNS1_3gpuE9ELNS1_3repE0EEENS1_30default_config_static_selectorELNS0_4arch9wavefront6targetE0EEEvT1_
	.globl	_ZN7rocprim17ROCPRIM_400000_NS6detail17trampoline_kernelINS0_14default_configENS1_27scan_by_key_config_selectorIsiEEZZNS1_16scan_by_key_implILNS1_25lookback_scan_determinismE0ELb1ES3_N6thrust23THRUST_200600_302600_NS6detail15normal_iteratorINS9_10device_ptrIsEEEESE_SE_iNS9_4plusIvEENS9_8equal_toIvEEiEE10hipError_tPvRmT2_T3_T4_T5_mT6_T7_P12ihipStream_tbENKUlT_T0_E_clISt17integral_constantIbLb1EESY_IbLb0EEEEDaSU_SV_EUlSU_E_NS1_11comp_targetILNS1_3genE5ELNS1_11target_archE942ELNS1_3gpuE9ELNS1_3repE0EEENS1_30default_config_static_selectorELNS0_4arch9wavefront6targetE0EEEvT1_
	.p2align	8
	.type	_ZN7rocprim17ROCPRIM_400000_NS6detail17trampoline_kernelINS0_14default_configENS1_27scan_by_key_config_selectorIsiEEZZNS1_16scan_by_key_implILNS1_25lookback_scan_determinismE0ELb1ES3_N6thrust23THRUST_200600_302600_NS6detail15normal_iteratorINS9_10device_ptrIsEEEESE_SE_iNS9_4plusIvEENS9_8equal_toIvEEiEE10hipError_tPvRmT2_T3_T4_T5_mT6_T7_P12ihipStream_tbENKUlT_T0_E_clISt17integral_constantIbLb1EESY_IbLb0EEEEDaSU_SV_EUlSU_E_NS1_11comp_targetILNS1_3genE5ELNS1_11target_archE942ELNS1_3gpuE9ELNS1_3repE0EEENS1_30default_config_static_selectorELNS0_4arch9wavefront6targetE0EEEvT1_,@function
_ZN7rocprim17ROCPRIM_400000_NS6detail17trampoline_kernelINS0_14default_configENS1_27scan_by_key_config_selectorIsiEEZZNS1_16scan_by_key_implILNS1_25lookback_scan_determinismE0ELb1ES3_N6thrust23THRUST_200600_302600_NS6detail15normal_iteratorINS9_10device_ptrIsEEEESE_SE_iNS9_4plusIvEENS9_8equal_toIvEEiEE10hipError_tPvRmT2_T3_T4_T5_mT6_T7_P12ihipStream_tbENKUlT_T0_E_clISt17integral_constantIbLb1EESY_IbLb0EEEEDaSU_SV_EUlSU_E_NS1_11comp_targetILNS1_3genE5ELNS1_11target_archE942ELNS1_3gpuE9ELNS1_3repE0EEENS1_30default_config_static_selectorELNS0_4arch9wavefront6targetE0EEEvT1_: ; @_ZN7rocprim17ROCPRIM_400000_NS6detail17trampoline_kernelINS0_14default_configENS1_27scan_by_key_config_selectorIsiEEZZNS1_16scan_by_key_implILNS1_25lookback_scan_determinismE0ELb1ES3_N6thrust23THRUST_200600_302600_NS6detail15normal_iteratorINS9_10device_ptrIsEEEESE_SE_iNS9_4plusIvEENS9_8equal_toIvEEiEE10hipError_tPvRmT2_T3_T4_T5_mT6_T7_P12ihipStream_tbENKUlT_T0_E_clISt17integral_constantIbLb1EESY_IbLb0EEEEDaSU_SV_EUlSU_E_NS1_11comp_targetILNS1_3genE5ELNS1_11target_archE942ELNS1_3gpuE9ELNS1_3repE0EEENS1_30default_config_static_selectorELNS0_4arch9wavefront6targetE0EEEvT1_
; %bb.0:
	.section	.rodata,"a",@progbits
	.p2align	6, 0x0
	.amdhsa_kernel _ZN7rocprim17ROCPRIM_400000_NS6detail17trampoline_kernelINS0_14default_configENS1_27scan_by_key_config_selectorIsiEEZZNS1_16scan_by_key_implILNS1_25lookback_scan_determinismE0ELb1ES3_N6thrust23THRUST_200600_302600_NS6detail15normal_iteratorINS9_10device_ptrIsEEEESE_SE_iNS9_4plusIvEENS9_8equal_toIvEEiEE10hipError_tPvRmT2_T3_T4_T5_mT6_T7_P12ihipStream_tbENKUlT_T0_E_clISt17integral_constantIbLb1EESY_IbLb0EEEEDaSU_SV_EUlSU_E_NS1_11comp_targetILNS1_3genE5ELNS1_11target_archE942ELNS1_3gpuE9ELNS1_3repE0EEENS1_30default_config_static_selectorELNS0_4arch9wavefront6targetE0EEEvT1_
		.amdhsa_group_segment_fixed_size 0
		.amdhsa_private_segment_fixed_size 0
		.amdhsa_kernarg_size 112
		.amdhsa_user_sgpr_count 6
		.amdhsa_user_sgpr_private_segment_buffer 1
		.amdhsa_user_sgpr_dispatch_ptr 0
		.amdhsa_user_sgpr_queue_ptr 0
		.amdhsa_user_sgpr_kernarg_segment_ptr 1
		.amdhsa_user_sgpr_dispatch_id 0
		.amdhsa_user_sgpr_flat_scratch_init 0
		.amdhsa_user_sgpr_private_segment_size 0
		.amdhsa_wavefront_size32 1
		.amdhsa_uses_dynamic_stack 0
		.amdhsa_system_sgpr_private_segment_wavefront_offset 0
		.amdhsa_system_sgpr_workgroup_id_x 1
		.amdhsa_system_sgpr_workgroup_id_y 0
		.amdhsa_system_sgpr_workgroup_id_z 0
		.amdhsa_system_sgpr_workgroup_info 0
		.amdhsa_system_vgpr_workitem_id 0
		.amdhsa_next_free_vgpr 1
		.amdhsa_next_free_sgpr 1
		.amdhsa_reserve_vcc 0
		.amdhsa_reserve_flat_scratch 0
		.amdhsa_float_round_mode_32 0
		.amdhsa_float_round_mode_16_64 0
		.amdhsa_float_denorm_mode_32 3
		.amdhsa_float_denorm_mode_16_64 3
		.amdhsa_dx10_clamp 1
		.amdhsa_ieee_mode 1
		.amdhsa_fp16_overflow 0
		.amdhsa_workgroup_processor_mode 1
		.amdhsa_memory_ordered 1
		.amdhsa_forward_progress 1
		.amdhsa_shared_vgpr_count 0
		.amdhsa_exception_fp_ieee_invalid_op 0
		.amdhsa_exception_fp_denorm_src 0
		.amdhsa_exception_fp_ieee_div_zero 0
		.amdhsa_exception_fp_ieee_overflow 0
		.amdhsa_exception_fp_ieee_underflow 0
		.amdhsa_exception_fp_ieee_inexact 0
		.amdhsa_exception_int_div_zero 0
	.end_amdhsa_kernel
	.section	.text._ZN7rocprim17ROCPRIM_400000_NS6detail17trampoline_kernelINS0_14default_configENS1_27scan_by_key_config_selectorIsiEEZZNS1_16scan_by_key_implILNS1_25lookback_scan_determinismE0ELb1ES3_N6thrust23THRUST_200600_302600_NS6detail15normal_iteratorINS9_10device_ptrIsEEEESE_SE_iNS9_4plusIvEENS9_8equal_toIvEEiEE10hipError_tPvRmT2_T3_T4_T5_mT6_T7_P12ihipStream_tbENKUlT_T0_E_clISt17integral_constantIbLb1EESY_IbLb0EEEEDaSU_SV_EUlSU_E_NS1_11comp_targetILNS1_3genE5ELNS1_11target_archE942ELNS1_3gpuE9ELNS1_3repE0EEENS1_30default_config_static_selectorELNS0_4arch9wavefront6targetE0EEEvT1_,"axG",@progbits,_ZN7rocprim17ROCPRIM_400000_NS6detail17trampoline_kernelINS0_14default_configENS1_27scan_by_key_config_selectorIsiEEZZNS1_16scan_by_key_implILNS1_25lookback_scan_determinismE0ELb1ES3_N6thrust23THRUST_200600_302600_NS6detail15normal_iteratorINS9_10device_ptrIsEEEESE_SE_iNS9_4plusIvEENS9_8equal_toIvEEiEE10hipError_tPvRmT2_T3_T4_T5_mT6_T7_P12ihipStream_tbENKUlT_T0_E_clISt17integral_constantIbLb1EESY_IbLb0EEEEDaSU_SV_EUlSU_E_NS1_11comp_targetILNS1_3genE5ELNS1_11target_archE942ELNS1_3gpuE9ELNS1_3repE0EEENS1_30default_config_static_selectorELNS0_4arch9wavefront6targetE0EEEvT1_,comdat
.Lfunc_end1064:
	.size	_ZN7rocprim17ROCPRIM_400000_NS6detail17trampoline_kernelINS0_14default_configENS1_27scan_by_key_config_selectorIsiEEZZNS1_16scan_by_key_implILNS1_25lookback_scan_determinismE0ELb1ES3_N6thrust23THRUST_200600_302600_NS6detail15normal_iteratorINS9_10device_ptrIsEEEESE_SE_iNS9_4plusIvEENS9_8equal_toIvEEiEE10hipError_tPvRmT2_T3_T4_T5_mT6_T7_P12ihipStream_tbENKUlT_T0_E_clISt17integral_constantIbLb1EESY_IbLb0EEEEDaSU_SV_EUlSU_E_NS1_11comp_targetILNS1_3genE5ELNS1_11target_archE942ELNS1_3gpuE9ELNS1_3repE0EEENS1_30default_config_static_selectorELNS0_4arch9wavefront6targetE0EEEvT1_, .Lfunc_end1064-_ZN7rocprim17ROCPRIM_400000_NS6detail17trampoline_kernelINS0_14default_configENS1_27scan_by_key_config_selectorIsiEEZZNS1_16scan_by_key_implILNS1_25lookback_scan_determinismE0ELb1ES3_N6thrust23THRUST_200600_302600_NS6detail15normal_iteratorINS9_10device_ptrIsEEEESE_SE_iNS9_4plusIvEENS9_8equal_toIvEEiEE10hipError_tPvRmT2_T3_T4_T5_mT6_T7_P12ihipStream_tbENKUlT_T0_E_clISt17integral_constantIbLb1EESY_IbLb0EEEEDaSU_SV_EUlSU_E_NS1_11comp_targetILNS1_3genE5ELNS1_11target_archE942ELNS1_3gpuE9ELNS1_3repE0EEENS1_30default_config_static_selectorELNS0_4arch9wavefront6targetE0EEEvT1_
                                        ; -- End function
	.set _ZN7rocprim17ROCPRIM_400000_NS6detail17trampoline_kernelINS0_14default_configENS1_27scan_by_key_config_selectorIsiEEZZNS1_16scan_by_key_implILNS1_25lookback_scan_determinismE0ELb1ES3_N6thrust23THRUST_200600_302600_NS6detail15normal_iteratorINS9_10device_ptrIsEEEESE_SE_iNS9_4plusIvEENS9_8equal_toIvEEiEE10hipError_tPvRmT2_T3_T4_T5_mT6_T7_P12ihipStream_tbENKUlT_T0_E_clISt17integral_constantIbLb1EESY_IbLb0EEEEDaSU_SV_EUlSU_E_NS1_11comp_targetILNS1_3genE5ELNS1_11target_archE942ELNS1_3gpuE9ELNS1_3repE0EEENS1_30default_config_static_selectorELNS0_4arch9wavefront6targetE0EEEvT1_.num_vgpr, 0
	.set _ZN7rocprim17ROCPRIM_400000_NS6detail17trampoline_kernelINS0_14default_configENS1_27scan_by_key_config_selectorIsiEEZZNS1_16scan_by_key_implILNS1_25lookback_scan_determinismE0ELb1ES3_N6thrust23THRUST_200600_302600_NS6detail15normal_iteratorINS9_10device_ptrIsEEEESE_SE_iNS9_4plusIvEENS9_8equal_toIvEEiEE10hipError_tPvRmT2_T3_T4_T5_mT6_T7_P12ihipStream_tbENKUlT_T0_E_clISt17integral_constantIbLb1EESY_IbLb0EEEEDaSU_SV_EUlSU_E_NS1_11comp_targetILNS1_3genE5ELNS1_11target_archE942ELNS1_3gpuE9ELNS1_3repE0EEENS1_30default_config_static_selectorELNS0_4arch9wavefront6targetE0EEEvT1_.num_agpr, 0
	.set _ZN7rocprim17ROCPRIM_400000_NS6detail17trampoline_kernelINS0_14default_configENS1_27scan_by_key_config_selectorIsiEEZZNS1_16scan_by_key_implILNS1_25lookback_scan_determinismE0ELb1ES3_N6thrust23THRUST_200600_302600_NS6detail15normal_iteratorINS9_10device_ptrIsEEEESE_SE_iNS9_4plusIvEENS9_8equal_toIvEEiEE10hipError_tPvRmT2_T3_T4_T5_mT6_T7_P12ihipStream_tbENKUlT_T0_E_clISt17integral_constantIbLb1EESY_IbLb0EEEEDaSU_SV_EUlSU_E_NS1_11comp_targetILNS1_3genE5ELNS1_11target_archE942ELNS1_3gpuE9ELNS1_3repE0EEENS1_30default_config_static_selectorELNS0_4arch9wavefront6targetE0EEEvT1_.numbered_sgpr, 0
	.set _ZN7rocprim17ROCPRIM_400000_NS6detail17trampoline_kernelINS0_14default_configENS1_27scan_by_key_config_selectorIsiEEZZNS1_16scan_by_key_implILNS1_25lookback_scan_determinismE0ELb1ES3_N6thrust23THRUST_200600_302600_NS6detail15normal_iteratorINS9_10device_ptrIsEEEESE_SE_iNS9_4plusIvEENS9_8equal_toIvEEiEE10hipError_tPvRmT2_T3_T4_T5_mT6_T7_P12ihipStream_tbENKUlT_T0_E_clISt17integral_constantIbLb1EESY_IbLb0EEEEDaSU_SV_EUlSU_E_NS1_11comp_targetILNS1_3genE5ELNS1_11target_archE942ELNS1_3gpuE9ELNS1_3repE0EEENS1_30default_config_static_selectorELNS0_4arch9wavefront6targetE0EEEvT1_.num_named_barrier, 0
	.set _ZN7rocprim17ROCPRIM_400000_NS6detail17trampoline_kernelINS0_14default_configENS1_27scan_by_key_config_selectorIsiEEZZNS1_16scan_by_key_implILNS1_25lookback_scan_determinismE0ELb1ES3_N6thrust23THRUST_200600_302600_NS6detail15normal_iteratorINS9_10device_ptrIsEEEESE_SE_iNS9_4plusIvEENS9_8equal_toIvEEiEE10hipError_tPvRmT2_T3_T4_T5_mT6_T7_P12ihipStream_tbENKUlT_T0_E_clISt17integral_constantIbLb1EESY_IbLb0EEEEDaSU_SV_EUlSU_E_NS1_11comp_targetILNS1_3genE5ELNS1_11target_archE942ELNS1_3gpuE9ELNS1_3repE0EEENS1_30default_config_static_selectorELNS0_4arch9wavefront6targetE0EEEvT1_.private_seg_size, 0
	.set _ZN7rocprim17ROCPRIM_400000_NS6detail17trampoline_kernelINS0_14default_configENS1_27scan_by_key_config_selectorIsiEEZZNS1_16scan_by_key_implILNS1_25lookback_scan_determinismE0ELb1ES3_N6thrust23THRUST_200600_302600_NS6detail15normal_iteratorINS9_10device_ptrIsEEEESE_SE_iNS9_4plusIvEENS9_8equal_toIvEEiEE10hipError_tPvRmT2_T3_T4_T5_mT6_T7_P12ihipStream_tbENKUlT_T0_E_clISt17integral_constantIbLb1EESY_IbLb0EEEEDaSU_SV_EUlSU_E_NS1_11comp_targetILNS1_3genE5ELNS1_11target_archE942ELNS1_3gpuE9ELNS1_3repE0EEENS1_30default_config_static_selectorELNS0_4arch9wavefront6targetE0EEEvT1_.uses_vcc, 0
	.set _ZN7rocprim17ROCPRIM_400000_NS6detail17trampoline_kernelINS0_14default_configENS1_27scan_by_key_config_selectorIsiEEZZNS1_16scan_by_key_implILNS1_25lookback_scan_determinismE0ELb1ES3_N6thrust23THRUST_200600_302600_NS6detail15normal_iteratorINS9_10device_ptrIsEEEESE_SE_iNS9_4plusIvEENS9_8equal_toIvEEiEE10hipError_tPvRmT2_T3_T4_T5_mT6_T7_P12ihipStream_tbENKUlT_T0_E_clISt17integral_constantIbLb1EESY_IbLb0EEEEDaSU_SV_EUlSU_E_NS1_11comp_targetILNS1_3genE5ELNS1_11target_archE942ELNS1_3gpuE9ELNS1_3repE0EEENS1_30default_config_static_selectorELNS0_4arch9wavefront6targetE0EEEvT1_.uses_flat_scratch, 0
	.set _ZN7rocprim17ROCPRIM_400000_NS6detail17trampoline_kernelINS0_14default_configENS1_27scan_by_key_config_selectorIsiEEZZNS1_16scan_by_key_implILNS1_25lookback_scan_determinismE0ELb1ES3_N6thrust23THRUST_200600_302600_NS6detail15normal_iteratorINS9_10device_ptrIsEEEESE_SE_iNS9_4plusIvEENS9_8equal_toIvEEiEE10hipError_tPvRmT2_T3_T4_T5_mT6_T7_P12ihipStream_tbENKUlT_T0_E_clISt17integral_constantIbLb1EESY_IbLb0EEEEDaSU_SV_EUlSU_E_NS1_11comp_targetILNS1_3genE5ELNS1_11target_archE942ELNS1_3gpuE9ELNS1_3repE0EEENS1_30default_config_static_selectorELNS0_4arch9wavefront6targetE0EEEvT1_.has_dyn_sized_stack, 0
	.set _ZN7rocprim17ROCPRIM_400000_NS6detail17trampoline_kernelINS0_14default_configENS1_27scan_by_key_config_selectorIsiEEZZNS1_16scan_by_key_implILNS1_25lookback_scan_determinismE0ELb1ES3_N6thrust23THRUST_200600_302600_NS6detail15normal_iteratorINS9_10device_ptrIsEEEESE_SE_iNS9_4plusIvEENS9_8equal_toIvEEiEE10hipError_tPvRmT2_T3_T4_T5_mT6_T7_P12ihipStream_tbENKUlT_T0_E_clISt17integral_constantIbLb1EESY_IbLb0EEEEDaSU_SV_EUlSU_E_NS1_11comp_targetILNS1_3genE5ELNS1_11target_archE942ELNS1_3gpuE9ELNS1_3repE0EEENS1_30default_config_static_selectorELNS0_4arch9wavefront6targetE0EEEvT1_.has_recursion, 0
	.set _ZN7rocprim17ROCPRIM_400000_NS6detail17trampoline_kernelINS0_14default_configENS1_27scan_by_key_config_selectorIsiEEZZNS1_16scan_by_key_implILNS1_25lookback_scan_determinismE0ELb1ES3_N6thrust23THRUST_200600_302600_NS6detail15normal_iteratorINS9_10device_ptrIsEEEESE_SE_iNS9_4plusIvEENS9_8equal_toIvEEiEE10hipError_tPvRmT2_T3_T4_T5_mT6_T7_P12ihipStream_tbENKUlT_T0_E_clISt17integral_constantIbLb1EESY_IbLb0EEEEDaSU_SV_EUlSU_E_NS1_11comp_targetILNS1_3genE5ELNS1_11target_archE942ELNS1_3gpuE9ELNS1_3repE0EEENS1_30default_config_static_selectorELNS0_4arch9wavefront6targetE0EEEvT1_.has_indirect_call, 0
	.section	.AMDGPU.csdata,"",@progbits
; Kernel info:
; codeLenInByte = 0
; TotalNumSgprs: 0
; NumVgprs: 0
; ScratchSize: 0
; MemoryBound: 0
; FloatMode: 240
; IeeeMode: 1
; LDSByteSize: 0 bytes/workgroup (compile time only)
; SGPRBlocks: 0
; VGPRBlocks: 0
; NumSGPRsForWavesPerEU: 1
; NumVGPRsForWavesPerEU: 1
; Occupancy: 16
; WaveLimiterHint : 0
; COMPUTE_PGM_RSRC2:SCRATCH_EN: 0
; COMPUTE_PGM_RSRC2:USER_SGPR: 6
; COMPUTE_PGM_RSRC2:TRAP_HANDLER: 0
; COMPUTE_PGM_RSRC2:TGID_X_EN: 1
; COMPUTE_PGM_RSRC2:TGID_Y_EN: 0
; COMPUTE_PGM_RSRC2:TGID_Z_EN: 0
; COMPUTE_PGM_RSRC2:TIDIG_COMP_CNT: 0
	.section	.text._ZN7rocprim17ROCPRIM_400000_NS6detail17trampoline_kernelINS0_14default_configENS1_27scan_by_key_config_selectorIsiEEZZNS1_16scan_by_key_implILNS1_25lookback_scan_determinismE0ELb1ES3_N6thrust23THRUST_200600_302600_NS6detail15normal_iteratorINS9_10device_ptrIsEEEESE_SE_iNS9_4plusIvEENS9_8equal_toIvEEiEE10hipError_tPvRmT2_T3_T4_T5_mT6_T7_P12ihipStream_tbENKUlT_T0_E_clISt17integral_constantIbLb1EESY_IbLb0EEEEDaSU_SV_EUlSU_E_NS1_11comp_targetILNS1_3genE4ELNS1_11target_archE910ELNS1_3gpuE8ELNS1_3repE0EEENS1_30default_config_static_selectorELNS0_4arch9wavefront6targetE0EEEvT1_,"axG",@progbits,_ZN7rocprim17ROCPRIM_400000_NS6detail17trampoline_kernelINS0_14default_configENS1_27scan_by_key_config_selectorIsiEEZZNS1_16scan_by_key_implILNS1_25lookback_scan_determinismE0ELb1ES3_N6thrust23THRUST_200600_302600_NS6detail15normal_iteratorINS9_10device_ptrIsEEEESE_SE_iNS9_4plusIvEENS9_8equal_toIvEEiEE10hipError_tPvRmT2_T3_T4_T5_mT6_T7_P12ihipStream_tbENKUlT_T0_E_clISt17integral_constantIbLb1EESY_IbLb0EEEEDaSU_SV_EUlSU_E_NS1_11comp_targetILNS1_3genE4ELNS1_11target_archE910ELNS1_3gpuE8ELNS1_3repE0EEENS1_30default_config_static_selectorELNS0_4arch9wavefront6targetE0EEEvT1_,comdat
	.protected	_ZN7rocprim17ROCPRIM_400000_NS6detail17trampoline_kernelINS0_14default_configENS1_27scan_by_key_config_selectorIsiEEZZNS1_16scan_by_key_implILNS1_25lookback_scan_determinismE0ELb1ES3_N6thrust23THRUST_200600_302600_NS6detail15normal_iteratorINS9_10device_ptrIsEEEESE_SE_iNS9_4plusIvEENS9_8equal_toIvEEiEE10hipError_tPvRmT2_T3_T4_T5_mT6_T7_P12ihipStream_tbENKUlT_T0_E_clISt17integral_constantIbLb1EESY_IbLb0EEEEDaSU_SV_EUlSU_E_NS1_11comp_targetILNS1_3genE4ELNS1_11target_archE910ELNS1_3gpuE8ELNS1_3repE0EEENS1_30default_config_static_selectorELNS0_4arch9wavefront6targetE0EEEvT1_ ; -- Begin function _ZN7rocprim17ROCPRIM_400000_NS6detail17trampoline_kernelINS0_14default_configENS1_27scan_by_key_config_selectorIsiEEZZNS1_16scan_by_key_implILNS1_25lookback_scan_determinismE0ELb1ES3_N6thrust23THRUST_200600_302600_NS6detail15normal_iteratorINS9_10device_ptrIsEEEESE_SE_iNS9_4plusIvEENS9_8equal_toIvEEiEE10hipError_tPvRmT2_T3_T4_T5_mT6_T7_P12ihipStream_tbENKUlT_T0_E_clISt17integral_constantIbLb1EESY_IbLb0EEEEDaSU_SV_EUlSU_E_NS1_11comp_targetILNS1_3genE4ELNS1_11target_archE910ELNS1_3gpuE8ELNS1_3repE0EEENS1_30default_config_static_selectorELNS0_4arch9wavefront6targetE0EEEvT1_
	.globl	_ZN7rocprim17ROCPRIM_400000_NS6detail17trampoline_kernelINS0_14default_configENS1_27scan_by_key_config_selectorIsiEEZZNS1_16scan_by_key_implILNS1_25lookback_scan_determinismE0ELb1ES3_N6thrust23THRUST_200600_302600_NS6detail15normal_iteratorINS9_10device_ptrIsEEEESE_SE_iNS9_4plusIvEENS9_8equal_toIvEEiEE10hipError_tPvRmT2_T3_T4_T5_mT6_T7_P12ihipStream_tbENKUlT_T0_E_clISt17integral_constantIbLb1EESY_IbLb0EEEEDaSU_SV_EUlSU_E_NS1_11comp_targetILNS1_3genE4ELNS1_11target_archE910ELNS1_3gpuE8ELNS1_3repE0EEENS1_30default_config_static_selectorELNS0_4arch9wavefront6targetE0EEEvT1_
	.p2align	8
	.type	_ZN7rocprim17ROCPRIM_400000_NS6detail17trampoline_kernelINS0_14default_configENS1_27scan_by_key_config_selectorIsiEEZZNS1_16scan_by_key_implILNS1_25lookback_scan_determinismE0ELb1ES3_N6thrust23THRUST_200600_302600_NS6detail15normal_iteratorINS9_10device_ptrIsEEEESE_SE_iNS9_4plusIvEENS9_8equal_toIvEEiEE10hipError_tPvRmT2_T3_T4_T5_mT6_T7_P12ihipStream_tbENKUlT_T0_E_clISt17integral_constantIbLb1EESY_IbLb0EEEEDaSU_SV_EUlSU_E_NS1_11comp_targetILNS1_3genE4ELNS1_11target_archE910ELNS1_3gpuE8ELNS1_3repE0EEENS1_30default_config_static_selectorELNS0_4arch9wavefront6targetE0EEEvT1_,@function
_ZN7rocprim17ROCPRIM_400000_NS6detail17trampoline_kernelINS0_14default_configENS1_27scan_by_key_config_selectorIsiEEZZNS1_16scan_by_key_implILNS1_25lookback_scan_determinismE0ELb1ES3_N6thrust23THRUST_200600_302600_NS6detail15normal_iteratorINS9_10device_ptrIsEEEESE_SE_iNS9_4plusIvEENS9_8equal_toIvEEiEE10hipError_tPvRmT2_T3_T4_T5_mT6_T7_P12ihipStream_tbENKUlT_T0_E_clISt17integral_constantIbLb1EESY_IbLb0EEEEDaSU_SV_EUlSU_E_NS1_11comp_targetILNS1_3genE4ELNS1_11target_archE910ELNS1_3gpuE8ELNS1_3repE0EEENS1_30default_config_static_selectorELNS0_4arch9wavefront6targetE0EEEvT1_: ; @_ZN7rocprim17ROCPRIM_400000_NS6detail17trampoline_kernelINS0_14default_configENS1_27scan_by_key_config_selectorIsiEEZZNS1_16scan_by_key_implILNS1_25lookback_scan_determinismE0ELb1ES3_N6thrust23THRUST_200600_302600_NS6detail15normal_iteratorINS9_10device_ptrIsEEEESE_SE_iNS9_4plusIvEENS9_8equal_toIvEEiEE10hipError_tPvRmT2_T3_T4_T5_mT6_T7_P12ihipStream_tbENKUlT_T0_E_clISt17integral_constantIbLb1EESY_IbLb0EEEEDaSU_SV_EUlSU_E_NS1_11comp_targetILNS1_3genE4ELNS1_11target_archE910ELNS1_3gpuE8ELNS1_3repE0EEENS1_30default_config_static_selectorELNS0_4arch9wavefront6targetE0EEEvT1_
; %bb.0:
	.section	.rodata,"a",@progbits
	.p2align	6, 0x0
	.amdhsa_kernel _ZN7rocprim17ROCPRIM_400000_NS6detail17trampoline_kernelINS0_14default_configENS1_27scan_by_key_config_selectorIsiEEZZNS1_16scan_by_key_implILNS1_25lookback_scan_determinismE0ELb1ES3_N6thrust23THRUST_200600_302600_NS6detail15normal_iteratorINS9_10device_ptrIsEEEESE_SE_iNS9_4plusIvEENS9_8equal_toIvEEiEE10hipError_tPvRmT2_T3_T4_T5_mT6_T7_P12ihipStream_tbENKUlT_T0_E_clISt17integral_constantIbLb1EESY_IbLb0EEEEDaSU_SV_EUlSU_E_NS1_11comp_targetILNS1_3genE4ELNS1_11target_archE910ELNS1_3gpuE8ELNS1_3repE0EEENS1_30default_config_static_selectorELNS0_4arch9wavefront6targetE0EEEvT1_
		.amdhsa_group_segment_fixed_size 0
		.amdhsa_private_segment_fixed_size 0
		.amdhsa_kernarg_size 112
		.amdhsa_user_sgpr_count 6
		.amdhsa_user_sgpr_private_segment_buffer 1
		.amdhsa_user_sgpr_dispatch_ptr 0
		.amdhsa_user_sgpr_queue_ptr 0
		.amdhsa_user_sgpr_kernarg_segment_ptr 1
		.amdhsa_user_sgpr_dispatch_id 0
		.amdhsa_user_sgpr_flat_scratch_init 0
		.amdhsa_user_sgpr_private_segment_size 0
		.amdhsa_wavefront_size32 1
		.amdhsa_uses_dynamic_stack 0
		.amdhsa_system_sgpr_private_segment_wavefront_offset 0
		.amdhsa_system_sgpr_workgroup_id_x 1
		.amdhsa_system_sgpr_workgroup_id_y 0
		.amdhsa_system_sgpr_workgroup_id_z 0
		.amdhsa_system_sgpr_workgroup_info 0
		.amdhsa_system_vgpr_workitem_id 0
		.amdhsa_next_free_vgpr 1
		.amdhsa_next_free_sgpr 1
		.amdhsa_reserve_vcc 0
		.amdhsa_reserve_flat_scratch 0
		.amdhsa_float_round_mode_32 0
		.amdhsa_float_round_mode_16_64 0
		.amdhsa_float_denorm_mode_32 3
		.amdhsa_float_denorm_mode_16_64 3
		.amdhsa_dx10_clamp 1
		.amdhsa_ieee_mode 1
		.amdhsa_fp16_overflow 0
		.amdhsa_workgroup_processor_mode 1
		.amdhsa_memory_ordered 1
		.amdhsa_forward_progress 1
		.amdhsa_shared_vgpr_count 0
		.amdhsa_exception_fp_ieee_invalid_op 0
		.amdhsa_exception_fp_denorm_src 0
		.amdhsa_exception_fp_ieee_div_zero 0
		.amdhsa_exception_fp_ieee_overflow 0
		.amdhsa_exception_fp_ieee_underflow 0
		.amdhsa_exception_fp_ieee_inexact 0
		.amdhsa_exception_int_div_zero 0
	.end_amdhsa_kernel
	.section	.text._ZN7rocprim17ROCPRIM_400000_NS6detail17trampoline_kernelINS0_14default_configENS1_27scan_by_key_config_selectorIsiEEZZNS1_16scan_by_key_implILNS1_25lookback_scan_determinismE0ELb1ES3_N6thrust23THRUST_200600_302600_NS6detail15normal_iteratorINS9_10device_ptrIsEEEESE_SE_iNS9_4plusIvEENS9_8equal_toIvEEiEE10hipError_tPvRmT2_T3_T4_T5_mT6_T7_P12ihipStream_tbENKUlT_T0_E_clISt17integral_constantIbLb1EESY_IbLb0EEEEDaSU_SV_EUlSU_E_NS1_11comp_targetILNS1_3genE4ELNS1_11target_archE910ELNS1_3gpuE8ELNS1_3repE0EEENS1_30default_config_static_selectorELNS0_4arch9wavefront6targetE0EEEvT1_,"axG",@progbits,_ZN7rocprim17ROCPRIM_400000_NS6detail17trampoline_kernelINS0_14default_configENS1_27scan_by_key_config_selectorIsiEEZZNS1_16scan_by_key_implILNS1_25lookback_scan_determinismE0ELb1ES3_N6thrust23THRUST_200600_302600_NS6detail15normal_iteratorINS9_10device_ptrIsEEEESE_SE_iNS9_4plusIvEENS9_8equal_toIvEEiEE10hipError_tPvRmT2_T3_T4_T5_mT6_T7_P12ihipStream_tbENKUlT_T0_E_clISt17integral_constantIbLb1EESY_IbLb0EEEEDaSU_SV_EUlSU_E_NS1_11comp_targetILNS1_3genE4ELNS1_11target_archE910ELNS1_3gpuE8ELNS1_3repE0EEENS1_30default_config_static_selectorELNS0_4arch9wavefront6targetE0EEEvT1_,comdat
.Lfunc_end1065:
	.size	_ZN7rocprim17ROCPRIM_400000_NS6detail17trampoline_kernelINS0_14default_configENS1_27scan_by_key_config_selectorIsiEEZZNS1_16scan_by_key_implILNS1_25lookback_scan_determinismE0ELb1ES3_N6thrust23THRUST_200600_302600_NS6detail15normal_iteratorINS9_10device_ptrIsEEEESE_SE_iNS9_4plusIvEENS9_8equal_toIvEEiEE10hipError_tPvRmT2_T3_T4_T5_mT6_T7_P12ihipStream_tbENKUlT_T0_E_clISt17integral_constantIbLb1EESY_IbLb0EEEEDaSU_SV_EUlSU_E_NS1_11comp_targetILNS1_3genE4ELNS1_11target_archE910ELNS1_3gpuE8ELNS1_3repE0EEENS1_30default_config_static_selectorELNS0_4arch9wavefront6targetE0EEEvT1_, .Lfunc_end1065-_ZN7rocprim17ROCPRIM_400000_NS6detail17trampoline_kernelINS0_14default_configENS1_27scan_by_key_config_selectorIsiEEZZNS1_16scan_by_key_implILNS1_25lookback_scan_determinismE0ELb1ES3_N6thrust23THRUST_200600_302600_NS6detail15normal_iteratorINS9_10device_ptrIsEEEESE_SE_iNS9_4plusIvEENS9_8equal_toIvEEiEE10hipError_tPvRmT2_T3_T4_T5_mT6_T7_P12ihipStream_tbENKUlT_T0_E_clISt17integral_constantIbLb1EESY_IbLb0EEEEDaSU_SV_EUlSU_E_NS1_11comp_targetILNS1_3genE4ELNS1_11target_archE910ELNS1_3gpuE8ELNS1_3repE0EEENS1_30default_config_static_selectorELNS0_4arch9wavefront6targetE0EEEvT1_
                                        ; -- End function
	.set _ZN7rocprim17ROCPRIM_400000_NS6detail17trampoline_kernelINS0_14default_configENS1_27scan_by_key_config_selectorIsiEEZZNS1_16scan_by_key_implILNS1_25lookback_scan_determinismE0ELb1ES3_N6thrust23THRUST_200600_302600_NS6detail15normal_iteratorINS9_10device_ptrIsEEEESE_SE_iNS9_4plusIvEENS9_8equal_toIvEEiEE10hipError_tPvRmT2_T3_T4_T5_mT6_T7_P12ihipStream_tbENKUlT_T0_E_clISt17integral_constantIbLb1EESY_IbLb0EEEEDaSU_SV_EUlSU_E_NS1_11comp_targetILNS1_3genE4ELNS1_11target_archE910ELNS1_3gpuE8ELNS1_3repE0EEENS1_30default_config_static_selectorELNS0_4arch9wavefront6targetE0EEEvT1_.num_vgpr, 0
	.set _ZN7rocprim17ROCPRIM_400000_NS6detail17trampoline_kernelINS0_14default_configENS1_27scan_by_key_config_selectorIsiEEZZNS1_16scan_by_key_implILNS1_25lookback_scan_determinismE0ELb1ES3_N6thrust23THRUST_200600_302600_NS6detail15normal_iteratorINS9_10device_ptrIsEEEESE_SE_iNS9_4plusIvEENS9_8equal_toIvEEiEE10hipError_tPvRmT2_T3_T4_T5_mT6_T7_P12ihipStream_tbENKUlT_T0_E_clISt17integral_constantIbLb1EESY_IbLb0EEEEDaSU_SV_EUlSU_E_NS1_11comp_targetILNS1_3genE4ELNS1_11target_archE910ELNS1_3gpuE8ELNS1_3repE0EEENS1_30default_config_static_selectorELNS0_4arch9wavefront6targetE0EEEvT1_.num_agpr, 0
	.set _ZN7rocprim17ROCPRIM_400000_NS6detail17trampoline_kernelINS0_14default_configENS1_27scan_by_key_config_selectorIsiEEZZNS1_16scan_by_key_implILNS1_25lookback_scan_determinismE0ELb1ES3_N6thrust23THRUST_200600_302600_NS6detail15normal_iteratorINS9_10device_ptrIsEEEESE_SE_iNS9_4plusIvEENS9_8equal_toIvEEiEE10hipError_tPvRmT2_T3_T4_T5_mT6_T7_P12ihipStream_tbENKUlT_T0_E_clISt17integral_constantIbLb1EESY_IbLb0EEEEDaSU_SV_EUlSU_E_NS1_11comp_targetILNS1_3genE4ELNS1_11target_archE910ELNS1_3gpuE8ELNS1_3repE0EEENS1_30default_config_static_selectorELNS0_4arch9wavefront6targetE0EEEvT1_.numbered_sgpr, 0
	.set _ZN7rocprim17ROCPRIM_400000_NS6detail17trampoline_kernelINS0_14default_configENS1_27scan_by_key_config_selectorIsiEEZZNS1_16scan_by_key_implILNS1_25lookback_scan_determinismE0ELb1ES3_N6thrust23THRUST_200600_302600_NS6detail15normal_iteratorINS9_10device_ptrIsEEEESE_SE_iNS9_4plusIvEENS9_8equal_toIvEEiEE10hipError_tPvRmT2_T3_T4_T5_mT6_T7_P12ihipStream_tbENKUlT_T0_E_clISt17integral_constantIbLb1EESY_IbLb0EEEEDaSU_SV_EUlSU_E_NS1_11comp_targetILNS1_3genE4ELNS1_11target_archE910ELNS1_3gpuE8ELNS1_3repE0EEENS1_30default_config_static_selectorELNS0_4arch9wavefront6targetE0EEEvT1_.num_named_barrier, 0
	.set _ZN7rocprim17ROCPRIM_400000_NS6detail17trampoline_kernelINS0_14default_configENS1_27scan_by_key_config_selectorIsiEEZZNS1_16scan_by_key_implILNS1_25lookback_scan_determinismE0ELb1ES3_N6thrust23THRUST_200600_302600_NS6detail15normal_iteratorINS9_10device_ptrIsEEEESE_SE_iNS9_4plusIvEENS9_8equal_toIvEEiEE10hipError_tPvRmT2_T3_T4_T5_mT6_T7_P12ihipStream_tbENKUlT_T0_E_clISt17integral_constantIbLb1EESY_IbLb0EEEEDaSU_SV_EUlSU_E_NS1_11comp_targetILNS1_3genE4ELNS1_11target_archE910ELNS1_3gpuE8ELNS1_3repE0EEENS1_30default_config_static_selectorELNS0_4arch9wavefront6targetE0EEEvT1_.private_seg_size, 0
	.set _ZN7rocprim17ROCPRIM_400000_NS6detail17trampoline_kernelINS0_14default_configENS1_27scan_by_key_config_selectorIsiEEZZNS1_16scan_by_key_implILNS1_25lookback_scan_determinismE0ELb1ES3_N6thrust23THRUST_200600_302600_NS6detail15normal_iteratorINS9_10device_ptrIsEEEESE_SE_iNS9_4plusIvEENS9_8equal_toIvEEiEE10hipError_tPvRmT2_T3_T4_T5_mT6_T7_P12ihipStream_tbENKUlT_T0_E_clISt17integral_constantIbLb1EESY_IbLb0EEEEDaSU_SV_EUlSU_E_NS1_11comp_targetILNS1_3genE4ELNS1_11target_archE910ELNS1_3gpuE8ELNS1_3repE0EEENS1_30default_config_static_selectorELNS0_4arch9wavefront6targetE0EEEvT1_.uses_vcc, 0
	.set _ZN7rocprim17ROCPRIM_400000_NS6detail17trampoline_kernelINS0_14default_configENS1_27scan_by_key_config_selectorIsiEEZZNS1_16scan_by_key_implILNS1_25lookback_scan_determinismE0ELb1ES3_N6thrust23THRUST_200600_302600_NS6detail15normal_iteratorINS9_10device_ptrIsEEEESE_SE_iNS9_4plusIvEENS9_8equal_toIvEEiEE10hipError_tPvRmT2_T3_T4_T5_mT6_T7_P12ihipStream_tbENKUlT_T0_E_clISt17integral_constantIbLb1EESY_IbLb0EEEEDaSU_SV_EUlSU_E_NS1_11comp_targetILNS1_3genE4ELNS1_11target_archE910ELNS1_3gpuE8ELNS1_3repE0EEENS1_30default_config_static_selectorELNS0_4arch9wavefront6targetE0EEEvT1_.uses_flat_scratch, 0
	.set _ZN7rocprim17ROCPRIM_400000_NS6detail17trampoline_kernelINS0_14default_configENS1_27scan_by_key_config_selectorIsiEEZZNS1_16scan_by_key_implILNS1_25lookback_scan_determinismE0ELb1ES3_N6thrust23THRUST_200600_302600_NS6detail15normal_iteratorINS9_10device_ptrIsEEEESE_SE_iNS9_4plusIvEENS9_8equal_toIvEEiEE10hipError_tPvRmT2_T3_T4_T5_mT6_T7_P12ihipStream_tbENKUlT_T0_E_clISt17integral_constantIbLb1EESY_IbLb0EEEEDaSU_SV_EUlSU_E_NS1_11comp_targetILNS1_3genE4ELNS1_11target_archE910ELNS1_3gpuE8ELNS1_3repE0EEENS1_30default_config_static_selectorELNS0_4arch9wavefront6targetE0EEEvT1_.has_dyn_sized_stack, 0
	.set _ZN7rocprim17ROCPRIM_400000_NS6detail17trampoline_kernelINS0_14default_configENS1_27scan_by_key_config_selectorIsiEEZZNS1_16scan_by_key_implILNS1_25lookback_scan_determinismE0ELb1ES3_N6thrust23THRUST_200600_302600_NS6detail15normal_iteratorINS9_10device_ptrIsEEEESE_SE_iNS9_4plusIvEENS9_8equal_toIvEEiEE10hipError_tPvRmT2_T3_T4_T5_mT6_T7_P12ihipStream_tbENKUlT_T0_E_clISt17integral_constantIbLb1EESY_IbLb0EEEEDaSU_SV_EUlSU_E_NS1_11comp_targetILNS1_3genE4ELNS1_11target_archE910ELNS1_3gpuE8ELNS1_3repE0EEENS1_30default_config_static_selectorELNS0_4arch9wavefront6targetE0EEEvT1_.has_recursion, 0
	.set _ZN7rocprim17ROCPRIM_400000_NS6detail17trampoline_kernelINS0_14default_configENS1_27scan_by_key_config_selectorIsiEEZZNS1_16scan_by_key_implILNS1_25lookback_scan_determinismE0ELb1ES3_N6thrust23THRUST_200600_302600_NS6detail15normal_iteratorINS9_10device_ptrIsEEEESE_SE_iNS9_4plusIvEENS9_8equal_toIvEEiEE10hipError_tPvRmT2_T3_T4_T5_mT6_T7_P12ihipStream_tbENKUlT_T0_E_clISt17integral_constantIbLb1EESY_IbLb0EEEEDaSU_SV_EUlSU_E_NS1_11comp_targetILNS1_3genE4ELNS1_11target_archE910ELNS1_3gpuE8ELNS1_3repE0EEENS1_30default_config_static_selectorELNS0_4arch9wavefront6targetE0EEEvT1_.has_indirect_call, 0
	.section	.AMDGPU.csdata,"",@progbits
; Kernel info:
; codeLenInByte = 0
; TotalNumSgprs: 0
; NumVgprs: 0
; ScratchSize: 0
; MemoryBound: 0
; FloatMode: 240
; IeeeMode: 1
; LDSByteSize: 0 bytes/workgroup (compile time only)
; SGPRBlocks: 0
; VGPRBlocks: 0
; NumSGPRsForWavesPerEU: 1
; NumVGPRsForWavesPerEU: 1
; Occupancy: 16
; WaveLimiterHint : 0
; COMPUTE_PGM_RSRC2:SCRATCH_EN: 0
; COMPUTE_PGM_RSRC2:USER_SGPR: 6
; COMPUTE_PGM_RSRC2:TRAP_HANDLER: 0
; COMPUTE_PGM_RSRC2:TGID_X_EN: 1
; COMPUTE_PGM_RSRC2:TGID_Y_EN: 0
; COMPUTE_PGM_RSRC2:TGID_Z_EN: 0
; COMPUTE_PGM_RSRC2:TIDIG_COMP_CNT: 0
	.section	.text._ZN7rocprim17ROCPRIM_400000_NS6detail17trampoline_kernelINS0_14default_configENS1_27scan_by_key_config_selectorIsiEEZZNS1_16scan_by_key_implILNS1_25lookback_scan_determinismE0ELb1ES3_N6thrust23THRUST_200600_302600_NS6detail15normal_iteratorINS9_10device_ptrIsEEEESE_SE_iNS9_4plusIvEENS9_8equal_toIvEEiEE10hipError_tPvRmT2_T3_T4_T5_mT6_T7_P12ihipStream_tbENKUlT_T0_E_clISt17integral_constantIbLb1EESY_IbLb0EEEEDaSU_SV_EUlSU_E_NS1_11comp_targetILNS1_3genE3ELNS1_11target_archE908ELNS1_3gpuE7ELNS1_3repE0EEENS1_30default_config_static_selectorELNS0_4arch9wavefront6targetE0EEEvT1_,"axG",@progbits,_ZN7rocprim17ROCPRIM_400000_NS6detail17trampoline_kernelINS0_14default_configENS1_27scan_by_key_config_selectorIsiEEZZNS1_16scan_by_key_implILNS1_25lookback_scan_determinismE0ELb1ES3_N6thrust23THRUST_200600_302600_NS6detail15normal_iteratorINS9_10device_ptrIsEEEESE_SE_iNS9_4plusIvEENS9_8equal_toIvEEiEE10hipError_tPvRmT2_T3_T4_T5_mT6_T7_P12ihipStream_tbENKUlT_T0_E_clISt17integral_constantIbLb1EESY_IbLb0EEEEDaSU_SV_EUlSU_E_NS1_11comp_targetILNS1_3genE3ELNS1_11target_archE908ELNS1_3gpuE7ELNS1_3repE0EEENS1_30default_config_static_selectorELNS0_4arch9wavefront6targetE0EEEvT1_,comdat
	.protected	_ZN7rocprim17ROCPRIM_400000_NS6detail17trampoline_kernelINS0_14default_configENS1_27scan_by_key_config_selectorIsiEEZZNS1_16scan_by_key_implILNS1_25lookback_scan_determinismE0ELb1ES3_N6thrust23THRUST_200600_302600_NS6detail15normal_iteratorINS9_10device_ptrIsEEEESE_SE_iNS9_4plusIvEENS9_8equal_toIvEEiEE10hipError_tPvRmT2_T3_T4_T5_mT6_T7_P12ihipStream_tbENKUlT_T0_E_clISt17integral_constantIbLb1EESY_IbLb0EEEEDaSU_SV_EUlSU_E_NS1_11comp_targetILNS1_3genE3ELNS1_11target_archE908ELNS1_3gpuE7ELNS1_3repE0EEENS1_30default_config_static_selectorELNS0_4arch9wavefront6targetE0EEEvT1_ ; -- Begin function _ZN7rocprim17ROCPRIM_400000_NS6detail17trampoline_kernelINS0_14default_configENS1_27scan_by_key_config_selectorIsiEEZZNS1_16scan_by_key_implILNS1_25lookback_scan_determinismE0ELb1ES3_N6thrust23THRUST_200600_302600_NS6detail15normal_iteratorINS9_10device_ptrIsEEEESE_SE_iNS9_4plusIvEENS9_8equal_toIvEEiEE10hipError_tPvRmT2_T3_T4_T5_mT6_T7_P12ihipStream_tbENKUlT_T0_E_clISt17integral_constantIbLb1EESY_IbLb0EEEEDaSU_SV_EUlSU_E_NS1_11comp_targetILNS1_3genE3ELNS1_11target_archE908ELNS1_3gpuE7ELNS1_3repE0EEENS1_30default_config_static_selectorELNS0_4arch9wavefront6targetE0EEEvT1_
	.globl	_ZN7rocprim17ROCPRIM_400000_NS6detail17trampoline_kernelINS0_14default_configENS1_27scan_by_key_config_selectorIsiEEZZNS1_16scan_by_key_implILNS1_25lookback_scan_determinismE0ELb1ES3_N6thrust23THRUST_200600_302600_NS6detail15normal_iteratorINS9_10device_ptrIsEEEESE_SE_iNS9_4plusIvEENS9_8equal_toIvEEiEE10hipError_tPvRmT2_T3_T4_T5_mT6_T7_P12ihipStream_tbENKUlT_T0_E_clISt17integral_constantIbLb1EESY_IbLb0EEEEDaSU_SV_EUlSU_E_NS1_11comp_targetILNS1_3genE3ELNS1_11target_archE908ELNS1_3gpuE7ELNS1_3repE0EEENS1_30default_config_static_selectorELNS0_4arch9wavefront6targetE0EEEvT1_
	.p2align	8
	.type	_ZN7rocprim17ROCPRIM_400000_NS6detail17trampoline_kernelINS0_14default_configENS1_27scan_by_key_config_selectorIsiEEZZNS1_16scan_by_key_implILNS1_25lookback_scan_determinismE0ELb1ES3_N6thrust23THRUST_200600_302600_NS6detail15normal_iteratorINS9_10device_ptrIsEEEESE_SE_iNS9_4plusIvEENS9_8equal_toIvEEiEE10hipError_tPvRmT2_T3_T4_T5_mT6_T7_P12ihipStream_tbENKUlT_T0_E_clISt17integral_constantIbLb1EESY_IbLb0EEEEDaSU_SV_EUlSU_E_NS1_11comp_targetILNS1_3genE3ELNS1_11target_archE908ELNS1_3gpuE7ELNS1_3repE0EEENS1_30default_config_static_selectorELNS0_4arch9wavefront6targetE0EEEvT1_,@function
_ZN7rocprim17ROCPRIM_400000_NS6detail17trampoline_kernelINS0_14default_configENS1_27scan_by_key_config_selectorIsiEEZZNS1_16scan_by_key_implILNS1_25lookback_scan_determinismE0ELb1ES3_N6thrust23THRUST_200600_302600_NS6detail15normal_iteratorINS9_10device_ptrIsEEEESE_SE_iNS9_4plusIvEENS9_8equal_toIvEEiEE10hipError_tPvRmT2_T3_T4_T5_mT6_T7_P12ihipStream_tbENKUlT_T0_E_clISt17integral_constantIbLb1EESY_IbLb0EEEEDaSU_SV_EUlSU_E_NS1_11comp_targetILNS1_3genE3ELNS1_11target_archE908ELNS1_3gpuE7ELNS1_3repE0EEENS1_30default_config_static_selectorELNS0_4arch9wavefront6targetE0EEEvT1_: ; @_ZN7rocprim17ROCPRIM_400000_NS6detail17trampoline_kernelINS0_14default_configENS1_27scan_by_key_config_selectorIsiEEZZNS1_16scan_by_key_implILNS1_25lookback_scan_determinismE0ELb1ES3_N6thrust23THRUST_200600_302600_NS6detail15normal_iteratorINS9_10device_ptrIsEEEESE_SE_iNS9_4plusIvEENS9_8equal_toIvEEiEE10hipError_tPvRmT2_T3_T4_T5_mT6_T7_P12ihipStream_tbENKUlT_T0_E_clISt17integral_constantIbLb1EESY_IbLb0EEEEDaSU_SV_EUlSU_E_NS1_11comp_targetILNS1_3genE3ELNS1_11target_archE908ELNS1_3gpuE7ELNS1_3repE0EEENS1_30default_config_static_selectorELNS0_4arch9wavefront6targetE0EEEvT1_
; %bb.0:
	.section	.rodata,"a",@progbits
	.p2align	6, 0x0
	.amdhsa_kernel _ZN7rocprim17ROCPRIM_400000_NS6detail17trampoline_kernelINS0_14default_configENS1_27scan_by_key_config_selectorIsiEEZZNS1_16scan_by_key_implILNS1_25lookback_scan_determinismE0ELb1ES3_N6thrust23THRUST_200600_302600_NS6detail15normal_iteratorINS9_10device_ptrIsEEEESE_SE_iNS9_4plusIvEENS9_8equal_toIvEEiEE10hipError_tPvRmT2_T3_T4_T5_mT6_T7_P12ihipStream_tbENKUlT_T0_E_clISt17integral_constantIbLb1EESY_IbLb0EEEEDaSU_SV_EUlSU_E_NS1_11comp_targetILNS1_3genE3ELNS1_11target_archE908ELNS1_3gpuE7ELNS1_3repE0EEENS1_30default_config_static_selectorELNS0_4arch9wavefront6targetE0EEEvT1_
		.amdhsa_group_segment_fixed_size 0
		.amdhsa_private_segment_fixed_size 0
		.amdhsa_kernarg_size 112
		.amdhsa_user_sgpr_count 6
		.amdhsa_user_sgpr_private_segment_buffer 1
		.amdhsa_user_sgpr_dispatch_ptr 0
		.amdhsa_user_sgpr_queue_ptr 0
		.amdhsa_user_sgpr_kernarg_segment_ptr 1
		.amdhsa_user_sgpr_dispatch_id 0
		.amdhsa_user_sgpr_flat_scratch_init 0
		.amdhsa_user_sgpr_private_segment_size 0
		.amdhsa_wavefront_size32 1
		.amdhsa_uses_dynamic_stack 0
		.amdhsa_system_sgpr_private_segment_wavefront_offset 0
		.amdhsa_system_sgpr_workgroup_id_x 1
		.amdhsa_system_sgpr_workgroup_id_y 0
		.amdhsa_system_sgpr_workgroup_id_z 0
		.amdhsa_system_sgpr_workgroup_info 0
		.amdhsa_system_vgpr_workitem_id 0
		.amdhsa_next_free_vgpr 1
		.amdhsa_next_free_sgpr 1
		.amdhsa_reserve_vcc 0
		.amdhsa_reserve_flat_scratch 0
		.amdhsa_float_round_mode_32 0
		.amdhsa_float_round_mode_16_64 0
		.amdhsa_float_denorm_mode_32 3
		.amdhsa_float_denorm_mode_16_64 3
		.amdhsa_dx10_clamp 1
		.amdhsa_ieee_mode 1
		.amdhsa_fp16_overflow 0
		.amdhsa_workgroup_processor_mode 1
		.amdhsa_memory_ordered 1
		.amdhsa_forward_progress 1
		.amdhsa_shared_vgpr_count 0
		.amdhsa_exception_fp_ieee_invalid_op 0
		.amdhsa_exception_fp_denorm_src 0
		.amdhsa_exception_fp_ieee_div_zero 0
		.amdhsa_exception_fp_ieee_overflow 0
		.amdhsa_exception_fp_ieee_underflow 0
		.amdhsa_exception_fp_ieee_inexact 0
		.amdhsa_exception_int_div_zero 0
	.end_amdhsa_kernel
	.section	.text._ZN7rocprim17ROCPRIM_400000_NS6detail17trampoline_kernelINS0_14default_configENS1_27scan_by_key_config_selectorIsiEEZZNS1_16scan_by_key_implILNS1_25lookback_scan_determinismE0ELb1ES3_N6thrust23THRUST_200600_302600_NS6detail15normal_iteratorINS9_10device_ptrIsEEEESE_SE_iNS9_4plusIvEENS9_8equal_toIvEEiEE10hipError_tPvRmT2_T3_T4_T5_mT6_T7_P12ihipStream_tbENKUlT_T0_E_clISt17integral_constantIbLb1EESY_IbLb0EEEEDaSU_SV_EUlSU_E_NS1_11comp_targetILNS1_3genE3ELNS1_11target_archE908ELNS1_3gpuE7ELNS1_3repE0EEENS1_30default_config_static_selectorELNS0_4arch9wavefront6targetE0EEEvT1_,"axG",@progbits,_ZN7rocprim17ROCPRIM_400000_NS6detail17trampoline_kernelINS0_14default_configENS1_27scan_by_key_config_selectorIsiEEZZNS1_16scan_by_key_implILNS1_25lookback_scan_determinismE0ELb1ES3_N6thrust23THRUST_200600_302600_NS6detail15normal_iteratorINS9_10device_ptrIsEEEESE_SE_iNS9_4plusIvEENS9_8equal_toIvEEiEE10hipError_tPvRmT2_T3_T4_T5_mT6_T7_P12ihipStream_tbENKUlT_T0_E_clISt17integral_constantIbLb1EESY_IbLb0EEEEDaSU_SV_EUlSU_E_NS1_11comp_targetILNS1_3genE3ELNS1_11target_archE908ELNS1_3gpuE7ELNS1_3repE0EEENS1_30default_config_static_selectorELNS0_4arch9wavefront6targetE0EEEvT1_,comdat
.Lfunc_end1066:
	.size	_ZN7rocprim17ROCPRIM_400000_NS6detail17trampoline_kernelINS0_14default_configENS1_27scan_by_key_config_selectorIsiEEZZNS1_16scan_by_key_implILNS1_25lookback_scan_determinismE0ELb1ES3_N6thrust23THRUST_200600_302600_NS6detail15normal_iteratorINS9_10device_ptrIsEEEESE_SE_iNS9_4plusIvEENS9_8equal_toIvEEiEE10hipError_tPvRmT2_T3_T4_T5_mT6_T7_P12ihipStream_tbENKUlT_T0_E_clISt17integral_constantIbLb1EESY_IbLb0EEEEDaSU_SV_EUlSU_E_NS1_11comp_targetILNS1_3genE3ELNS1_11target_archE908ELNS1_3gpuE7ELNS1_3repE0EEENS1_30default_config_static_selectorELNS0_4arch9wavefront6targetE0EEEvT1_, .Lfunc_end1066-_ZN7rocprim17ROCPRIM_400000_NS6detail17trampoline_kernelINS0_14default_configENS1_27scan_by_key_config_selectorIsiEEZZNS1_16scan_by_key_implILNS1_25lookback_scan_determinismE0ELb1ES3_N6thrust23THRUST_200600_302600_NS6detail15normal_iteratorINS9_10device_ptrIsEEEESE_SE_iNS9_4plusIvEENS9_8equal_toIvEEiEE10hipError_tPvRmT2_T3_T4_T5_mT6_T7_P12ihipStream_tbENKUlT_T0_E_clISt17integral_constantIbLb1EESY_IbLb0EEEEDaSU_SV_EUlSU_E_NS1_11comp_targetILNS1_3genE3ELNS1_11target_archE908ELNS1_3gpuE7ELNS1_3repE0EEENS1_30default_config_static_selectorELNS0_4arch9wavefront6targetE0EEEvT1_
                                        ; -- End function
	.set _ZN7rocprim17ROCPRIM_400000_NS6detail17trampoline_kernelINS0_14default_configENS1_27scan_by_key_config_selectorIsiEEZZNS1_16scan_by_key_implILNS1_25lookback_scan_determinismE0ELb1ES3_N6thrust23THRUST_200600_302600_NS6detail15normal_iteratorINS9_10device_ptrIsEEEESE_SE_iNS9_4plusIvEENS9_8equal_toIvEEiEE10hipError_tPvRmT2_T3_T4_T5_mT6_T7_P12ihipStream_tbENKUlT_T0_E_clISt17integral_constantIbLb1EESY_IbLb0EEEEDaSU_SV_EUlSU_E_NS1_11comp_targetILNS1_3genE3ELNS1_11target_archE908ELNS1_3gpuE7ELNS1_3repE0EEENS1_30default_config_static_selectorELNS0_4arch9wavefront6targetE0EEEvT1_.num_vgpr, 0
	.set _ZN7rocprim17ROCPRIM_400000_NS6detail17trampoline_kernelINS0_14default_configENS1_27scan_by_key_config_selectorIsiEEZZNS1_16scan_by_key_implILNS1_25lookback_scan_determinismE0ELb1ES3_N6thrust23THRUST_200600_302600_NS6detail15normal_iteratorINS9_10device_ptrIsEEEESE_SE_iNS9_4plusIvEENS9_8equal_toIvEEiEE10hipError_tPvRmT2_T3_T4_T5_mT6_T7_P12ihipStream_tbENKUlT_T0_E_clISt17integral_constantIbLb1EESY_IbLb0EEEEDaSU_SV_EUlSU_E_NS1_11comp_targetILNS1_3genE3ELNS1_11target_archE908ELNS1_3gpuE7ELNS1_3repE0EEENS1_30default_config_static_selectorELNS0_4arch9wavefront6targetE0EEEvT1_.num_agpr, 0
	.set _ZN7rocprim17ROCPRIM_400000_NS6detail17trampoline_kernelINS0_14default_configENS1_27scan_by_key_config_selectorIsiEEZZNS1_16scan_by_key_implILNS1_25lookback_scan_determinismE0ELb1ES3_N6thrust23THRUST_200600_302600_NS6detail15normal_iteratorINS9_10device_ptrIsEEEESE_SE_iNS9_4plusIvEENS9_8equal_toIvEEiEE10hipError_tPvRmT2_T3_T4_T5_mT6_T7_P12ihipStream_tbENKUlT_T0_E_clISt17integral_constantIbLb1EESY_IbLb0EEEEDaSU_SV_EUlSU_E_NS1_11comp_targetILNS1_3genE3ELNS1_11target_archE908ELNS1_3gpuE7ELNS1_3repE0EEENS1_30default_config_static_selectorELNS0_4arch9wavefront6targetE0EEEvT1_.numbered_sgpr, 0
	.set _ZN7rocprim17ROCPRIM_400000_NS6detail17trampoline_kernelINS0_14default_configENS1_27scan_by_key_config_selectorIsiEEZZNS1_16scan_by_key_implILNS1_25lookback_scan_determinismE0ELb1ES3_N6thrust23THRUST_200600_302600_NS6detail15normal_iteratorINS9_10device_ptrIsEEEESE_SE_iNS9_4plusIvEENS9_8equal_toIvEEiEE10hipError_tPvRmT2_T3_T4_T5_mT6_T7_P12ihipStream_tbENKUlT_T0_E_clISt17integral_constantIbLb1EESY_IbLb0EEEEDaSU_SV_EUlSU_E_NS1_11comp_targetILNS1_3genE3ELNS1_11target_archE908ELNS1_3gpuE7ELNS1_3repE0EEENS1_30default_config_static_selectorELNS0_4arch9wavefront6targetE0EEEvT1_.num_named_barrier, 0
	.set _ZN7rocprim17ROCPRIM_400000_NS6detail17trampoline_kernelINS0_14default_configENS1_27scan_by_key_config_selectorIsiEEZZNS1_16scan_by_key_implILNS1_25lookback_scan_determinismE0ELb1ES3_N6thrust23THRUST_200600_302600_NS6detail15normal_iteratorINS9_10device_ptrIsEEEESE_SE_iNS9_4plusIvEENS9_8equal_toIvEEiEE10hipError_tPvRmT2_T3_T4_T5_mT6_T7_P12ihipStream_tbENKUlT_T0_E_clISt17integral_constantIbLb1EESY_IbLb0EEEEDaSU_SV_EUlSU_E_NS1_11comp_targetILNS1_3genE3ELNS1_11target_archE908ELNS1_3gpuE7ELNS1_3repE0EEENS1_30default_config_static_selectorELNS0_4arch9wavefront6targetE0EEEvT1_.private_seg_size, 0
	.set _ZN7rocprim17ROCPRIM_400000_NS6detail17trampoline_kernelINS0_14default_configENS1_27scan_by_key_config_selectorIsiEEZZNS1_16scan_by_key_implILNS1_25lookback_scan_determinismE0ELb1ES3_N6thrust23THRUST_200600_302600_NS6detail15normal_iteratorINS9_10device_ptrIsEEEESE_SE_iNS9_4plusIvEENS9_8equal_toIvEEiEE10hipError_tPvRmT2_T3_T4_T5_mT6_T7_P12ihipStream_tbENKUlT_T0_E_clISt17integral_constantIbLb1EESY_IbLb0EEEEDaSU_SV_EUlSU_E_NS1_11comp_targetILNS1_3genE3ELNS1_11target_archE908ELNS1_3gpuE7ELNS1_3repE0EEENS1_30default_config_static_selectorELNS0_4arch9wavefront6targetE0EEEvT1_.uses_vcc, 0
	.set _ZN7rocprim17ROCPRIM_400000_NS6detail17trampoline_kernelINS0_14default_configENS1_27scan_by_key_config_selectorIsiEEZZNS1_16scan_by_key_implILNS1_25lookback_scan_determinismE0ELb1ES3_N6thrust23THRUST_200600_302600_NS6detail15normal_iteratorINS9_10device_ptrIsEEEESE_SE_iNS9_4plusIvEENS9_8equal_toIvEEiEE10hipError_tPvRmT2_T3_T4_T5_mT6_T7_P12ihipStream_tbENKUlT_T0_E_clISt17integral_constantIbLb1EESY_IbLb0EEEEDaSU_SV_EUlSU_E_NS1_11comp_targetILNS1_3genE3ELNS1_11target_archE908ELNS1_3gpuE7ELNS1_3repE0EEENS1_30default_config_static_selectorELNS0_4arch9wavefront6targetE0EEEvT1_.uses_flat_scratch, 0
	.set _ZN7rocprim17ROCPRIM_400000_NS6detail17trampoline_kernelINS0_14default_configENS1_27scan_by_key_config_selectorIsiEEZZNS1_16scan_by_key_implILNS1_25lookback_scan_determinismE0ELb1ES3_N6thrust23THRUST_200600_302600_NS6detail15normal_iteratorINS9_10device_ptrIsEEEESE_SE_iNS9_4plusIvEENS9_8equal_toIvEEiEE10hipError_tPvRmT2_T3_T4_T5_mT6_T7_P12ihipStream_tbENKUlT_T0_E_clISt17integral_constantIbLb1EESY_IbLb0EEEEDaSU_SV_EUlSU_E_NS1_11comp_targetILNS1_3genE3ELNS1_11target_archE908ELNS1_3gpuE7ELNS1_3repE0EEENS1_30default_config_static_selectorELNS0_4arch9wavefront6targetE0EEEvT1_.has_dyn_sized_stack, 0
	.set _ZN7rocprim17ROCPRIM_400000_NS6detail17trampoline_kernelINS0_14default_configENS1_27scan_by_key_config_selectorIsiEEZZNS1_16scan_by_key_implILNS1_25lookback_scan_determinismE0ELb1ES3_N6thrust23THRUST_200600_302600_NS6detail15normal_iteratorINS9_10device_ptrIsEEEESE_SE_iNS9_4plusIvEENS9_8equal_toIvEEiEE10hipError_tPvRmT2_T3_T4_T5_mT6_T7_P12ihipStream_tbENKUlT_T0_E_clISt17integral_constantIbLb1EESY_IbLb0EEEEDaSU_SV_EUlSU_E_NS1_11comp_targetILNS1_3genE3ELNS1_11target_archE908ELNS1_3gpuE7ELNS1_3repE0EEENS1_30default_config_static_selectorELNS0_4arch9wavefront6targetE0EEEvT1_.has_recursion, 0
	.set _ZN7rocprim17ROCPRIM_400000_NS6detail17trampoline_kernelINS0_14default_configENS1_27scan_by_key_config_selectorIsiEEZZNS1_16scan_by_key_implILNS1_25lookback_scan_determinismE0ELb1ES3_N6thrust23THRUST_200600_302600_NS6detail15normal_iteratorINS9_10device_ptrIsEEEESE_SE_iNS9_4plusIvEENS9_8equal_toIvEEiEE10hipError_tPvRmT2_T3_T4_T5_mT6_T7_P12ihipStream_tbENKUlT_T0_E_clISt17integral_constantIbLb1EESY_IbLb0EEEEDaSU_SV_EUlSU_E_NS1_11comp_targetILNS1_3genE3ELNS1_11target_archE908ELNS1_3gpuE7ELNS1_3repE0EEENS1_30default_config_static_selectorELNS0_4arch9wavefront6targetE0EEEvT1_.has_indirect_call, 0
	.section	.AMDGPU.csdata,"",@progbits
; Kernel info:
; codeLenInByte = 0
; TotalNumSgprs: 0
; NumVgprs: 0
; ScratchSize: 0
; MemoryBound: 0
; FloatMode: 240
; IeeeMode: 1
; LDSByteSize: 0 bytes/workgroup (compile time only)
; SGPRBlocks: 0
; VGPRBlocks: 0
; NumSGPRsForWavesPerEU: 1
; NumVGPRsForWavesPerEU: 1
; Occupancy: 16
; WaveLimiterHint : 0
; COMPUTE_PGM_RSRC2:SCRATCH_EN: 0
; COMPUTE_PGM_RSRC2:USER_SGPR: 6
; COMPUTE_PGM_RSRC2:TRAP_HANDLER: 0
; COMPUTE_PGM_RSRC2:TGID_X_EN: 1
; COMPUTE_PGM_RSRC2:TGID_Y_EN: 0
; COMPUTE_PGM_RSRC2:TGID_Z_EN: 0
; COMPUTE_PGM_RSRC2:TIDIG_COMP_CNT: 0
	.section	.text._ZN7rocprim17ROCPRIM_400000_NS6detail17trampoline_kernelINS0_14default_configENS1_27scan_by_key_config_selectorIsiEEZZNS1_16scan_by_key_implILNS1_25lookback_scan_determinismE0ELb1ES3_N6thrust23THRUST_200600_302600_NS6detail15normal_iteratorINS9_10device_ptrIsEEEESE_SE_iNS9_4plusIvEENS9_8equal_toIvEEiEE10hipError_tPvRmT2_T3_T4_T5_mT6_T7_P12ihipStream_tbENKUlT_T0_E_clISt17integral_constantIbLb1EESY_IbLb0EEEEDaSU_SV_EUlSU_E_NS1_11comp_targetILNS1_3genE2ELNS1_11target_archE906ELNS1_3gpuE6ELNS1_3repE0EEENS1_30default_config_static_selectorELNS0_4arch9wavefront6targetE0EEEvT1_,"axG",@progbits,_ZN7rocprim17ROCPRIM_400000_NS6detail17trampoline_kernelINS0_14default_configENS1_27scan_by_key_config_selectorIsiEEZZNS1_16scan_by_key_implILNS1_25lookback_scan_determinismE0ELb1ES3_N6thrust23THRUST_200600_302600_NS6detail15normal_iteratorINS9_10device_ptrIsEEEESE_SE_iNS9_4plusIvEENS9_8equal_toIvEEiEE10hipError_tPvRmT2_T3_T4_T5_mT6_T7_P12ihipStream_tbENKUlT_T0_E_clISt17integral_constantIbLb1EESY_IbLb0EEEEDaSU_SV_EUlSU_E_NS1_11comp_targetILNS1_3genE2ELNS1_11target_archE906ELNS1_3gpuE6ELNS1_3repE0EEENS1_30default_config_static_selectorELNS0_4arch9wavefront6targetE0EEEvT1_,comdat
	.protected	_ZN7rocprim17ROCPRIM_400000_NS6detail17trampoline_kernelINS0_14default_configENS1_27scan_by_key_config_selectorIsiEEZZNS1_16scan_by_key_implILNS1_25lookback_scan_determinismE0ELb1ES3_N6thrust23THRUST_200600_302600_NS6detail15normal_iteratorINS9_10device_ptrIsEEEESE_SE_iNS9_4plusIvEENS9_8equal_toIvEEiEE10hipError_tPvRmT2_T3_T4_T5_mT6_T7_P12ihipStream_tbENKUlT_T0_E_clISt17integral_constantIbLb1EESY_IbLb0EEEEDaSU_SV_EUlSU_E_NS1_11comp_targetILNS1_3genE2ELNS1_11target_archE906ELNS1_3gpuE6ELNS1_3repE0EEENS1_30default_config_static_selectorELNS0_4arch9wavefront6targetE0EEEvT1_ ; -- Begin function _ZN7rocprim17ROCPRIM_400000_NS6detail17trampoline_kernelINS0_14default_configENS1_27scan_by_key_config_selectorIsiEEZZNS1_16scan_by_key_implILNS1_25lookback_scan_determinismE0ELb1ES3_N6thrust23THRUST_200600_302600_NS6detail15normal_iteratorINS9_10device_ptrIsEEEESE_SE_iNS9_4plusIvEENS9_8equal_toIvEEiEE10hipError_tPvRmT2_T3_T4_T5_mT6_T7_P12ihipStream_tbENKUlT_T0_E_clISt17integral_constantIbLb1EESY_IbLb0EEEEDaSU_SV_EUlSU_E_NS1_11comp_targetILNS1_3genE2ELNS1_11target_archE906ELNS1_3gpuE6ELNS1_3repE0EEENS1_30default_config_static_selectorELNS0_4arch9wavefront6targetE0EEEvT1_
	.globl	_ZN7rocprim17ROCPRIM_400000_NS6detail17trampoline_kernelINS0_14default_configENS1_27scan_by_key_config_selectorIsiEEZZNS1_16scan_by_key_implILNS1_25lookback_scan_determinismE0ELb1ES3_N6thrust23THRUST_200600_302600_NS6detail15normal_iteratorINS9_10device_ptrIsEEEESE_SE_iNS9_4plusIvEENS9_8equal_toIvEEiEE10hipError_tPvRmT2_T3_T4_T5_mT6_T7_P12ihipStream_tbENKUlT_T0_E_clISt17integral_constantIbLb1EESY_IbLb0EEEEDaSU_SV_EUlSU_E_NS1_11comp_targetILNS1_3genE2ELNS1_11target_archE906ELNS1_3gpuE6ELNS1_3repE0EEENS1_30default_config_static_selectorELNS0_4arch9wavefront6targetE0EEEvT1_
	.p2align	8
	.type	_ZN7rocprim17ROCPRIM_400000_NS6detail17trampoline_kernelINS0_14default_configENS1_27scan_by_key_config_selectorIsiEEZZNS1_16scan_by_key_implILNS1_25lookback_scan_determinismE0ELb1ES3_N6thrust23THRUST_200600_302600_NS6detail15normal_iteratorINS9_10device_ptrIsEEEESE_SE_iNS9_4plusIvEENS9_8equal_toIvEEiEE10hipError_tPvRmT2_T3_T4_T5_mT6_T7_P12ihipStream_tbENKUlT_T0_E_clISt17integral_constantIbLb1EESY_IbLb0EEEEDaSU_SV_EUlSU_E_NS1_11comp_targetILNS1_3genE2ELNS1_11target_archE906ELNS1_3gpuE6ELNS1_3repE0EEENS1_30default_config_static_selectorELNS0_4arch9wavefront6targetE0EEEvT1_,@function
_ZN7rocprim17ROCPRIM_400000_NS6detail17trampoline_kernelINS0_14default_configENS1_27scan_by_key_config_selectorIsiEEZZNS1_16scan_by_key_implILNS1_25lookback_scan_determinismE0ELb1ES3_N6thrust23THRUST_200600_302600_NS6detail15normal_iteratorINS9_10device_ptrIsEEEESE_SE_iNS9_4plusIvEENS9_8equal_toIvEEiEE10hipError_tPvRmT2_T3_T4_T5_mT6_T7_P12ihipStream_tbENKUlT_T0_E_clISt17integral_constantIbLb1EESY_IbLb0EEEEDaSU_SV_EUlSU_E_NS1_11comp_targetILNS1_3genE2ELNS1_11target_archE906ELNS1_3gpuE6ELNS1_3repE0EEENS1_30default_config_static_selectorELNS0_4arch9wavefront6targetE0EEEvT1_: ; @_ZN7rocprim17ROCPRIM_400000_NS6detail17trampoline_kernelINS0_14default_configENS1_27scan_by_key_config_selectorIsiEEZZNS1_16scan_by_key_implILNS1_25lookback_scan_determinismE0ELb1ES3_N6thrust23THRUST_200600_302600_NS6detail15normal_iteratorINS9_10device_ptrIsEEEESE_SE_iNS9_4plusIvEENS9_8equal_toIvEEiEE10hipError_tPvRmT2_T3_T4_T5_mT6_T7_P12ihipStream_tbENKUlT_T0_E_clISt17integral_constantIbLb1EESY_IbLb0EEEEDaSU_SV_EUlSU_E_NS1_11comp_targetILNS1_3genE2ELNS1_11target_archE906ELNS1_3gpuE6ELNS1_3repE0EEENS1_30default_config_static_selectorELNS0_4arch9wavefront6targetE0EEEvT1_
; %bb.0:
	.section	.rodata,"a",@progbits
	.p2align	6, 0x0
	.amdhsa_kernel _ZN7rocprim17ROCPRIM_400000_NS6detail17trampoline_kernelINS0_14default_configENS1_27scan_by_key_config_selectorIsiEEZZNS1_16scan_by_key_implILNS1_25lookback_scan_determinismE0ELb1ES3_N6thrust23THRUST_200600_302600_NS6detail15normal_iteratorINS9_10device_ptrIsEEEESE_SE_iNS9_4plusIvEENS9_8equal_toIvEEiEE10hipError_tPvRmT2_T3_T4_T5_mT6_T7_P12ihipStream_tbENKUlT_T0_E_clISt17integral_constantIbLb1EESY_IbLb0EEEEDaSU_SV_EUlSU_E_NS1_11comp_targetILNS1_3genE2ELNS1_11target_archE906ELNS1_3gpuE6ELNS1_3repE0EEENS1_30default_config_static_selectorELNS0_4arch9wavefront6targetE0EEEvT1_
		.amdhsa_group_segment_fixed_size 0
		.amdhsa_private_segment_fixed_size 0
		.amdhsa_kernarg_size 112
		.amdhsa_user_sgpr_count 6
		.amdhsa_user_sgpr_private_segment_buffer 1
		.amdhsa_user_sgpr_dispatch_ptr 0
		.amdhsa_user_sgpr_queue_ptr 0
		.amdhsa_user_sgpr_kernarg_segment_ptr 1
		.amdhsa_user_sgpr_dispatch_id 0
		.amdhsa_user_sgpr_flat_scratch_init 0
		.amdhsa_user_sgpr_private_segment_size 0
		.amdhsa_wavefront_size32 1
		.amdhsa_uses_dynamic_stack 0
		.amdhsa_system_sgpr_private_segment_wavefront_offset 0
		.amdhsa_system_sgpr_workgroup_id_x 1
		.amdhsa_system_sgpr_workgroup_id_y 0
		.amdhsa_system_sgpr_workgroup_id_z 0
		.amdhsa_system_sgpr_workgroup_info 0
		.amdhsa_system_vgpr_workitem_id 0
		.amdhsa_next_free_vgpr 1
		.amdhsa_next_free_sgpr 1
		.amdhsa_reserve_vcc 0
		.amdhsa_reserve_flat_scratch 0
		.amdhsa_float_round_mode_32 0
		.amdhsa_float_round_mode_16_64 0
		.amdhsa_float_denorm_mode_32 3
		.amdhsa_float_denorm_mode_16_64 3
		.amdhsa_dx10_clamp 1
		.amdhsa_ieee_mode 1
		.amdhsa_fp16_overflow 0
		.amdhsa_workgroup_processor_mode 1
		.amdhsa_memory_ordered 1
		.amdhsa_forward_progress 1
		.amdhsa_shared_vgpr_count 0
		.amdhsa_exception_fp_ieee_invalid_op 0
		.amdhsa_exception_fp_denorm_src 0
		.amdhsa_exception_fp_ieee_div_zero 0
		.amdhsa_exception_fp_ieee_overflow 0
		.amdhsa_exception_fp_ieee_underflow 0
		.amdhsa_exception_fp_ieee_inexact 0
		.amdhsa_exception_int_div_zero 0
	.end_amdhsa_kernel
	.section	.text._ZN7rocprim17ROCPRIM_400000_NS6detail17trampoline_kernelINS0_14default_configENS1_27scan_by_key_config_selectorIsiEEZZNS1_16scan_by_key_implILNS1_25lookback_scan_determinismE0ELb1ES3_N6thrust23THRUST_200600_302600_NS6detail15normal_iteratorINS9_10device_ptrIsEEEESE_SE_iNS9_4plusIvEENS9_8equal_toIvEEiEE10hipError_tPvRmT2_T3_T4_T5_mT6_T7_P12ihipStream_tbENKUlT_T0_E_clISt17integral_constantIbLb1EESY_IbLb0EEEEDaSU_SV_EUlSU_E_NS1_11comp_targetILNS1_3genE2ELNS1_11target_archE906ELNS1_3gpuE6ELNS1_3repE0EEENS1_30default_config_static_selectorELNS0_4arch9wavefront6targetE0EEEvT1_,"axG",@progbits,_ZN7rocprim17ROCPRIM_400000_NS6detail17trampoline_kernelINS0_14default_configENS1_27scan_by_key_config_selectorIsiEEZZNS1_16scan_by_key_implILNS1_25lookback_scan_determinismE0ELb1ES3_N6thrust23THRUST_200600_302600_NS6detail15normal_iteratorINS9_10device_ptrIsEEEESE_SE_iNS9_4plusIvEENS9_8equal_toIvEEiEE10hipError_tPvRmT2_T3_T4_T5_mT6_T7_P12ihipStream_tbENKUlT_T0_E_clISt17integral_constantIbLb1EESY_IbLb0EEEEDaSU_SV_EUlSU_E_NS1_11comp_targetILNS1_3genE2ELNS1_11target_archE906ELNS1_3gpuE6ELNS1_3repE0EEENS1_30default_config_static_selectorELNS0_4arch9wavefront6targetE0EEEvT1_,comdat
.Lfunc_end1067:
	.size	_ZN7rocprim17ROCPRIM_400000_NS6detail17trampoline_kernelINS0_14default_configENS1_27scan_by_key_config_selectorIsiEEZZNS1_16scan_by_key_implILNS1_25lookback_scan_determinismE0ELb1ES3_N6thrust23THRUST_200600_302600_NS6detail15normal_iteratorINS9_10device_ptrIsEEEESE_SE_iNS9_4plusIvEENS9_8equal_toIvEEiEE10hipError_tPvRmT2_T3_T4_T5_mT6_T7_P12ihipStream_tbENKUlT_T0_E_clISt17integral_constantIbLb1EESY_IbLb0EEEEDaSU_SV_EUlSU_E_NS1_11comp_targetILNS1_3genE2ELNS1_11target_archE906ELNS1_3gpuE6ELNS1_3repE0EEENS1_30default_config_static_selectorELNS0_4arch9wavefront6targetE0EEEvT1_, .Lfunc_end1067-_ZN7rocprim17ROCPRIM_400000_NS6detail17trampoline_kernelINS0_14default_configENS1_27scan_by_key_config_selectorIsiEEZZNS1_16scan_by_key_implILNS1_25lookback_scan_determinismE0ELb1ES3_N6thrust23THRUST_200600_302600_NS6detail15normal_iteratorINS9_10device_ptrIsEEEESE_SE_iNS9_4plusIvEENS9_8equal_toIvEEiEE10hipError_tPvRmT2_T3_T4_T5_mT6_T7_P12ihipStream_tbENKUlT_T0_E_clISt17integral_constantIbLb1EESY_IbLb0EEEEDaSU_SV_EUlSU_E_NS1_11comp_targetILNS1_3genE2ELNS1_11target_archE906ELNS1_3gpuE6ELNS1_3repE0EEENS1_30default_config_static_selectorELNS0_4arch9wavefront6targetE0EEEvT1_
                                        ; -- End function
	.set _ZN7rocprim17ROCPRIM_400000_NS6detail17trampoline_kernelINS0_14default_configENS1_27scan_by_key_config_selectorIsiEEZZNS1_16scan_by_key_implILNS1_25lookback_scan_determinismE0ELb1ES3_N6thrust23THRUST_200600_302600_NS6detail15normal_iteratorINS9_10device_ptrIsEEEESE_SE_iNS9_4plusIvEENS9_8equal_toIvEEiEE10hipError_tPvRmT2_T3_T4_T5_mT6_T7_P12ihipStream_tbENKUlT_T0_E_clISt17integral_constantIbLb1EESY_IbLb0EEEEDaSU_SV_EUlSU_E_NS1_11comp_targetILNS1_3genE2ELNS1_11target_archE906ELNS1_3gpuE6ELNS1_3repE0EEENS1_30default_config_static_selectorELNS0_4arch9wavefront6targetE0EEEvT1_.num_vgpr, 0
	.set _ZN7rocprim17ROCPRIM_400000_NS6detail17trampoline_kernelINS0_14default_configENS1_27scan_by_key_config_selectorIsiEEZZNS1_16scan_by_key_implILNS1_25lookback_scan_determinismE0ELb1ES3_N6thrust23THRUST_200600_302600_NS6detail15normal_iteratorINS9_10device_ptrIsEEEESE_SE_iNS9_4plusIvEENS9_8equal_toIvEEiEE10hipError_tPvRmT2_T3_T4_T5_mT6_T7_P12ihipStream_tbENKUlT_T0_E_clISt17integral_constantIbLb1EESY_IbLb0EEEEDaSU_SV_EUlSU_E_NS1_11comp_targetILNS1_3genE2ELNS1_11target_archE906ELNS1_3gpuE6ELNS1_3repE0EEENS1_30default_config_static_selectorELNS0_4arch9wavefront6targetE0EEEvT1_.num_agpr, 0
	.set _ZN7rocprim17ROCPRIM_400000_NS6detail17trampoline_kernelINS0_14default_configENS1_27scan_by_key_config_selectorIsiEEZZNS1_16scan_by_key_implILNS1_25lookback_scan_determinismE0ELb1ES3_N6thrust23THRUST_200600_302600_NS6detail15normal_iteratorINS9_10device_ptrIsEEEESE_SE_iNS9_4plusIvEENS9_8equal_toIvEEiEE10hipError_tPvRmT2_T3_T4_T5_mT6_T7_P12ihipStream_tbENKUlT_T0_E_clISt17integral_constantIbLb1EESY_IbLb0EEEEDaSU_SV_EUlSU_E_NS1_11comp_targetILNS1_3genE2ELNS1_11target_archE906ELNS1_3gpuE6ELNS1_3repE0EEENS1_30default_config_static_selectorELNS0_4arch9wavefront6targetE0EEEvT1_.numbered_sgpr, 0
	.set _ZN7rocprim17ROCPRIM_400000_NS6detail17trampoline_kernelINS0_14default_configENS1_27scan_by_key_config_selectorIsiEEZZNS1_16scan_by_key_implILNS1_25lookback_scan_determinismE0ELb1ES3_N6thrust23THRUST_200600_302600_NS6detail15normal_iteratorINS9_10device_ptrIsEEEESE_SE_iNS9_4plusIvEENS9_8equal_toIvEEiEE10hipError_tPvRmT2_T3_T4_T5_mT6_T7_P12ihipStream_tbENKUlT_T0_E_clISt17integral_constantIbLb1EESY_IbLb0EEEEDaSU_SV_EUlSU_E_NS1_11comp_targetILNS1_3genE2ELNS1_11target_archE906ELNS1_3gpuE6ELNS1_3repE0EEENS1_30default_config_static_selectorELNS0_4arch9wavefront6targetE0EEEvT1_.num_named_barrier, 0
	.set _ZN7rocprim17ROCPRIM_400000_NS6detail17trampoline_kernelINS0_14default_configENS1_27scan_by_key_config_selectorIsiEEZZNS1_16scan_by_key_implILNS1_25lookback_scan_determinismE0ELb1ES3_N6thrust23THRUST_200600_302600_NS6detail15normal_iteratorINS9_10device_ptrIsEEEESE_SE_iNS9_4plusIvEENS9_8equal_toIvEEiEE10hipError_tPvRmT2_T3_T4_T5_mT6_T7_P12ihipStream_tbENKUlT_T0_E_clISt17integral_constantIbLb1EESY_IbLb0EEEEDaSU_SV_EUlSU_E_NS1_11comp_targetILNS1_3genE2ELNS1_11target_archE906ELNS1_3gpuE6ELNS1_3repE0EEENS1_30default_config_static_selectorELNS0_4arch9wavefront6targetE0EEEvT1_.private_seg_size, 0
	.set _ZN7rocprim17ROCPRIM_400000_NS6detail17trampoline_kernelINS0_14default_configENS1_27scan_by_key_config_selectorIsiEEZZNS1_16scan_by_key_implILNS1_25lookback_scan_determinismE0ELb1ES3_N6thrust23THRUST_200600_302600_NS6detail15normal_iteratorINS9_10device_ptrIsEEEESE_SE_iNS9_4plusIvEENS9_8equal_toIvEEiEE10hipError_tPvRmT2_T3_T4_T5_mT6_T7_P12ihipStream_tbENKUlT_T0_E_clISt17integral_constantIbLb1EESY_IbLb0EEEEDaSU_SV_EUlSU_E_NS1_11comp_targetILNS1_3genE2ELNS1_11target_archE906ELNS1_3gpuE6ELNS1_3repE0EEENS1_30default_config_static_selectorELNS0_4arch9wavefront6targetE0EEEvT1_.uses_vcc, 0
	.set _ZN7rocprim17ROCPRIM_400000_NS6detail17trampoline_kernelINS0_14default_configENS1_27scan_by_key_config_selectorIsiEEZZNS1_16scan_by_key_implILNS1_25lookback_scan_determinismE0ELb1ES3_N6thrust23THRUST_200600_302600_NS6detail15normal_iteratorINS9_10device_ptrIsEEEESE_SE_iNS9_4plusIvEENS9_8equal_toIvEEiEE10hipError_tPvRmT2_T3_T4_T5_mT6_T7_P12ihipStream_tbENKUlT_T0_E_clISt17integral_constantIbLb1EESY_IbLb0EEEEDaSU_SV_EUlSU_E_NS1_11comp_targetILNS1_3genE2ELNS1_11target_archE906ELNS1_3gpuE6ELNS1_3repE0EEENS1_30default_config_static_selectorELNS0_4arch9wavefront6targetE0EEEvT1_.uses_flat_scratch, 0
	.set _ZN7rocprim17ROCPRIM_400000_NS6detail17trampoline_kernelINS0_14default_configENS1_27scan_by_key_config_selectorIsiEEZZNS1_16scan_by_key_implILNS1_25lookback_scan_determinismE0ELb1ES3_N6thrust23THRUST_200600_302600_NS6detail15normal_iteratorINS9_10device_ptrIsEEEESE_SE_iNS9_4plusIvEENS9_8equal_toIvEEiEE10hipError_tPvRmT2_T3_T4_T5_mT6_T7_P12ihipStream_tbENKUlT_T0_E_clISt17integral_constantIbLb1EESY_IbLb0EEEEDaSU_SV_EUlSU_E_NS1_11comp_targetILNS1_3genE2ELNS1_11target_archE906ELNS1_3gpuE6ELNS1_3repE0EEENS1_30default_config_static_selectorELNS0_4arch9wavefront6targetE0EEEvT1_.has_dyn_sized_stack, 0
	.set _ZN7rocprim17ROCPRIM_400000_NS6detail17trampoline_kernelINS0_14default_configENS1_27scan_by_key_config_selectorIsiEEZZNS1_16scan_by_key_implILNS1_25lookback_scan_determinismE0ELb1ES3_N6thrust23THRUST_200600_302600_NS6detail15normal_iteratorINS9_10device_ptrIsEEEESE_SE_iNS9_4plusIvEENS9_8equal_toIvEEiEE10hipError_tPvRmT2_T3_T4_T5_mT6_T7_P12ihipStream_tbENKUlT_T0_E_clISt17integral_constantIbLb1EESY_IbLb0EEEEDaSU_SV_EUlSU_E_NS1_11comp_targetILNS1_3genE2ELNS1_11target_archE906ELNS1_3gpuE6ELNS1_3repE0EEENS1_30default_config_static_selectorELNS0_4arch9wavefront6targetE0EEEvT1_.has_recursion, 0
	.set _ZN7rocprim17ROCPRIM_400000_NS6detail17trampoline_kernelINS0_14default_configENS1_27scan_by_key_config_selectorIsiEEZZNS1_16scan_by_key_implILNS1_25lookback_scan_determinismE0ELb1ES3_N6thrust23THRUST_200600_302600_NS6detail15normal_iteratorINS9_10device_ptrIsEEEESE_SE_iNS9_4plusIvEENS9_8equal_toIvEEiEE10hipError_tPvRmT2_T3_T4_T5_mT6_T7_P12ihipStream_tbENKUlT_T0_E_clISt17integral_constantIbLb1EESY_IbLb0EEEEDaSU_SV_EUlSU_E_NS1_11comp_targetILNS1_3genE2ELNS1_11target_archE906ELNS1_3gpuE6ELNS1_3repE0EEENS1_30default_config_static_selectorELNS0_4arch9wavefront6targetE0EEEvT1_.has_indirect_call, 0
	.section	.AMDGPU.csdata,"",@progbits
; Kernel info:
; codeLenInByte = 0
; TotalNumSgprs: 0
; NumVgprs: 0
; ScratchSize: 0
; MemoryBound: 0
; FloatMode: 240
; IeeeMode: 1
; LDSByteSize: 0 bytes/workgroup (compile time only)
; SGPRBlocks: 0
; VGPRBlocks: 0
; NumSGPRsForWavesPerEU: 1
; NumVGPRsForWavesPerEU: 1
; Occupancy: 16
; WaveLimiterHint : 0
; COMPUTE_PGM_RSRC2:SCRATCH_EN: 0
; COMPUTE_PGM_RSRC2:USER_SGPR: 6
; COMPUTE_PGM_RSRC2:TRAP_HANDLER: 0
; COMPUTE_PGM_RSRC2:TGID_X_EN: 1
; COMPUTE_PGM_RSRC2:TGID_Y_EN: 0
; COMPUTE_PGM_RSRC2:TGID_Z_EN: 0
; COMPUTE_PGM_RSRC2:TIDIG_COMP_CNT: 0
	.section	.text._ZN7rocprim17ROCPRIM_400000_NS6detail17trampoline_kernelINS0_14default_configENS1_27scan_by_key_config_selectorIsiEEZZNS1_16scan_by_key_implILNS1_25lookback_scan_determinismE0ELb1ES3_N6thrust23THRUST_200600_302600_NS6detail15normal_iteratorINS9_10device_ptrIsEEEESE_SE_iNS9_4plusIvEENS9_8equal_toIvEEiEE10hipError_tPvRmT2_T3_T4_T5_mT6_T7_P12ihipStream_tbENKUlT_T0_E_clISt17integral_constantIbLb1EESY_IbLb0EEEEDaSU_SV_EUlSU_E_NS1_11comp_targetILNS1_3genE10ELNS1_11target_archE1200ELNS1_3gpuE4ELNS1_3repE0EEENS1_30default_config_static_selectorELNS0_4arch9wavefront6targetE0EEEvT1_,"axG",@progbits,_ZN7rocprim17ROCPRIM_400000_NS6detail17trampoline_kernelINS0_14default_configENS1_27scan_by_key_config_selectorIsiEEZZNS1_16scan_by_key_implILNS1_25lookback_scan_determinismE0ELb1ES3_N6thrust23THRUST_200600_302600_NS6detail15normal_iteratorINS9_10device_ptrIsEEEESE_SE_iNS9_4plusIvEENS9_8equal_toIvEEiEE10hipError_tPvRmT2_T3_T4_T5_mT6_T7_P12ihipStream_tbENKUlT_T0_E_clISt17integral_constantIbLb1EESY_IbLb0EEEEDaSU_SV_EUlSU_E_NS1_11comp_targetILNS1_3genE10ELNS1_11target_archE1200ELNS1_3gpuE4ELNS1_3repE0EEENS1_30default_config_static_selectorELNS0_4arch9wavefront6targetE0EEEvT1_,comdat
	.protected	_ZN7rocprim17ROCPRIM_400000_NS6detail17trampoline_kernelINS0_14default_configENS1_27scan_by_key_config_selectorIsiEEZZNS1_16scan_by_key_implILNS1_25lookback_scan_determinismE0ELb1ES3_N6thrust23THRUST_200600_302600_NS6detail15normal_iteratorINS9_10device_ptrIsEEEESE_SE_iNS9_4plusIvEENS9_8equal_toIvEEiEE10hipError_tPvRmT2_T3_T4_T5_mT6_T7_P12ihipStream_tbENKUlT_T0_E_clISt17integral_constantIbLb1EESY_IbLb0EEEEDaSU_SV_EUlSU_E_NS1_11comp_targetILNS1_3genE10ELNS1_11target_archE1200ELNS1_3gpuE4ELNS1_3repE0EEENS1_30default_config_static_selectorELNS0_4arch9wavefront6targetE0EEEvT1_ ; -- Begin function _ZN7rocprim17ROCPRIM_400000_NS6detail17trampoline_kernelINS0_14default_configENS1_27scan_by_key_config_selectorIsiEEZZNS1_16scan_by_key_implILNS1_25lookback_scan_determinismE0ELb1ES3_N6thrust23THRUST_200600_302600_NS6detail15normal_iteratorINS9_10device_ptrIsEEEESE_SE_iNS9_4plusIvEENS9_8equal_toIvEEiEE10hipError_tPvRmT2_T3_T4_T5_mT6_T7_P12ihipStream_tbENKUlT_T0_E_clISt17integral_constantIbLb1EESY_IbLb0EEEEDaSU_SV_EUlSU_E_NS1_11comp_targetILNS1_3genE10ELNS1_11target_archE1200ELNS1_3gpuE4ELNS1_3repE0EEENS1_30default_config_static_selectorELNS0_4arch9wavefront6targetE0EEEvT1_
	.globl	_ZN7rocprim17ROCPRIM_400000_NS6detail17trampoline_kernelINS0_14default_configENS1_27scan_by_key_config_selectorIsiEEZZNS1_16scan_by_key_implILNS1_25lookback_scan_determinismE0ELb1ES3_N6thrust23THRUST_200600_302600_NS6detail15normal_iteratorINS9_10device_ptrIsEEEESE_SE_iNS9_4plusIvEENS9_8equal_toIvEEiEE10hipError_tPvRmT2_T3_T4_T5_mT6_T7_P12ihipStream_tbENKUlT_T0_E_clISt17integral_constantIbLb1EESY_IbLb0EEEEDaSU_SV_EUlSU_E_NS1_11comp_targetILNS1_3genE10ELNS1_11target_archE1200ELNS1_3gpuE4ELNS1_3repE0EEENS1_30default_config_static_selectorELNS0_4arch9wavefront6targetE0EEEvT1_
	.p2align	8
	.type	_ZN7rocprim17ROCPRIM_400000_NS6detail17trampoline_kernelINS0_14default_configENS1_27scan_by_key_config_selectorIsiEEZZNS1_16scan_by_key_implILNS1_25lookback_scan_determinismE0ELb1ES3_N6thrust23THRUST_200600_302600_NS6detail15normal_iteratorINS9_10device_ptrIsEEEESE_SE_iNS9_4plusIvEENS9_8equal_toIvEEiEE10hipError_tPvRmT2_T3_T4_T5_mT6_T7_P12ihipStream_tbENKUlT_T0_E_clISt17integral_constantIbLb1EESY_IbLb0EEEEDaSU_SV_EUlSU_E_NS1_11comp_targetILNS1_3genE10ELNS1_11target_archE1200ELNS1_3gpuE4ELNS1_3repE0EEENS1_30default_config_static_selectorELNS0_4arch9wavefront6targetE0EEEvT1_,@function
_ZN7rocprim17ROCPRIM_400000_NS6detail17trampoline_kernelINS0_14default_configENS1_27scan_by_key_config_selectorIsiEEZZNS1_16scan_by_key_implILNS1_25lookback_scan_determinismE0ELb1ES3_N6thrust23THRUST_200600_302600_NS6detail15normal_iteratorINS9_10device_ptrIsEEEESE_SE_iNS9_4plusIvEENS9_8equal_toIvEEiEE10hipError_tPvRmT2_T3_T4_T5_mT6_T7_P12ihipStream_tbENKUlT_T0_E_clISt17integral_constantIbLb1EESY_IbLb0EEEEDaSU_SV_EUlSU_E_NS1_11comp_targetILNS1_3genE10ELNS1_11target_archE1200ELNS1_3gpuE4ELNS1_3repE0EEENS1_30default_config_static_selectorELNS0_4arch9wavefront6targetE0EEEvT1_: ; @_ZN7rocprim17ROCPRIM_400000_NS6detail17trampoline_kernelINS0_14default_configENS1_27scan_by_key_config_selectorIsiEEZZNS1_16scan_by_key_implILNS1_25lookback_scan_determinismE0ELb1ES3_N6thrust23THRUST_200600_302600_NS6detail15normal_iteratorINS9_10device_ptrIsEEEESE_SE_iNS9_4plusIvEENS9_8equal_toIvEEiEE10hipError_tPvRmT2_T3_T4_T5_mT6_T7_P12ihipStream_tbENKUlT_T0_E_clISt17integral_constantIbLb1EESY_IbLb0EEEEDaSU_SV_EUlSU_E_NS1_11comp_targetILNS1_3genE10ELNS1_11target_archE1200ELNS1_3gpuE4ELNS1_3repE0EEENS1_30default_config_static_selectorELNS0_4arch9wavefront6targetE0EEEvT1_
; %bb.0:
	.section	.rodata,"a",@progbits
	.p2align	6, 0x0
	.amdhsa_kernel _ZN7rocprim17ROCPRIM_400000_NS6detail17trampoline_kernelINS0_14default_configENS1_27scan_by_key_config_selectorIsiEEZZNS1_16scan_by_key_implILNS1_25lookback_scan_determinismE0ELb1ES3_N6thrust23THRUST_200600_302600_NS6detail15normal_iteratorINS9_10device_ptrIsEEEESE_SE_iNS9_4plusIvEENS9_8equal_toIvEEiEE10hipError_tPvRmT2_T3_T4_T5_mT6_T7_P12ihipStream_tbENKUlT_T0_E_clISt17integral_constantIbLb1EESY_IbLb0EEEEDaSU_SV_EUlSU_E_NS1_11comp_targetILNS1_3genE10ELNS1_11target_archE1200ELNS1_3gpuE4ELNS1_3repE0EEENS1_30default_config_static_selectorELNS0_4arch9wavefront6targetE0EEEvT1_
		.amdhsa_group_segment_fixed_size 0
		.amdhsa_private_segment_fixed_size 0
		.amdhsa_kernarg_size 112
		.amdhsa_user_sgpr_count 6
		.amdhsa_user_sgpr_private_segment_buffer 1
		.amdhsa_user_sgpr_dispatch_ptr 0
		.amdhsa_user_sgpr_queue_ptr 0
		.amdhsa_user_sgpr_kernarg_segment_ptr 1
		.amdhsa_user_sgpr_dispatch_id 0
		.amdhsa_user_sgpr_flat_scratch_init 0
		.amdhsa_user_sgpr_private_segment_size 0
		.amdhsa_wavefront_size32 1
		.amdhsa_uses_dynamic_stack 0
		.amdhsa_system_sgpr_private_segment_wavefront_offset 0
		.amdhsa_system_sgpr_workgroup_id_x 1
		.amdhsa_system_sgpr_workgroup_id_y 0
		.amdhsa_system_sgpr_workgroup_id_z 0
		.amdhsa_system_sgpr_workgroup_info 0
		.amdhsa_system_vgpr_workitem_id 0
		.amdhsa_next_free_vgpr 1
		.amdhsa_next_free_sgpr 1
		.amdhsa_reserve_vcc 0
		.amdhsa_reserve_flat_scratch 0
		.amdhsa_float_round_mode_32 0
		.amdhsa_float_round_mode_16_64 0
		.amdhsa_float_denorm_mode_32 3
		.amdhsa_float_denorm_mode_16_64 3
		.amdhsa_dx10_clamp 1
		.amdhsa_ieee_mode 1
		.amdhsa_fp16_overflow 0
		.amdhsa_workgroup_processor_mode 1
		.amdhsa_memory_ordered 1
		.amdhsa_forward_progress 1
		.amdhsa_shared_vgpr_count 0
		.amdhsa_exception_fp_ieee_invalid_op 0
		.amdhsa_exception_fp_denorm_src 0
		.amdhsa_exception_fp_ieee_div_zero 0
		.amdhsa_exception_fp_ieee_overflow 0
		.amdhsa_exception_fp_ieee_underflow 0
		.amdhsa_exception_fp_ieee_inexact 0
		.amdhsa_exception_int_div_zero 0
	.end_amdhsa_kernel
	.section	.text._ZN7rocprim17ROCPRIM_400000_NS6detail17trampoline_kernelINS0_14default_configENS1_27scan_by_key_config_selectorIsiEEZZNS1_16scan_by_key_implILNS1_25lookback_scan_determinismE0ELb1ES3_N6thrust23THRUST_200600_302600_NS6detail15normal_iteratorINS9_10device_ptrIsEEEESE_SE_iNS9_4plusIvEENS9_8equal_toIvEEiEE10hipError_tPvRmT2_T3_T4_T5_mT6_T7_P12ihipStream_tbENKUlT_T0_E_clISt17integral_constantIbLb1EESY_IbLb0EEEEDaSU_SV_EUlSU_E_NS1_11comp_targetILNS1_3genE10ELNS1_11target_archE1200ELNS1_3gpuE4ELNS1_3repE0EEENS1_30default_config_static_selectorELNS0_4arch9wavefront6targetE0EEEvT1_,"axG",@progbits,_ZN7rocprim17ROCPRIM_400000_NS6detail17trampoline_kernelINS0_14default_configENS1_27scan_by_key_config_selectorIsiEEZZNS1_16scan_by_key_implILNS1_25lookback_scan_determinismE0ELb1ES3_N6thrust23THRUST_200600_302600_NS6detail15normal_iteratorINS9_10device_ptrIsEEEESE_SE_iNS9_4plusIvEENS9_8equal_toIvEEiEE10hipError_tPvRmT2_T3_T4_T5_mT6_T7_P12ihipStream_tbENKUlT_T0_E_clISt17integral_constantIbLb1EESY_IbLb0EEEEDaSU_SV_EUlSU_E_NS1_11comp_targetILNS1_3genE10ELNS1_11target_archE1200ELNS1_3gpuE4ELNS1_3repE0EEENS1_30default_config_static_selectorELNS0_4arch9wavefront6targetE0EEEvT1_,comdat
.Lfunc_end1068:
	.size	_ZN7rocprim17ROCPRIM_400000_NS6detail17trampoline_kernelINS0_14default_configENS1_27scan_by_key_config_selectorIsiEEZZNS1_16scan_by_key_implILNS1_25lookback_scan_determinismE0ELb1ES3_N6thrust23THRUST_200600_302600_NS6detail15normal_iteratorINS9_10device_ptrIsEEEESE_SE_iNS9_4plusIvEENS9_8equal_toIvEEiEE10hipError_tPvRmT2_T3_T4_T5_mT6_T7_P12ihipStream_tbENKUlT_T0_E_clISt17integral_constantIbLb1EESY_IbLb0EEEEDaSU_SV_EUlSU_E_NS1_11comp_targetILNS1_3genE10ELNS1_11target_archE1200ELNS1_3gpuE4ELNS1_3repE0EEENS1_30default_config_static_selectorELNS0_4arch9wavefront6targetE0EEEvT1_, .Lfunc_end1068-_ZN7rocprim17ROCPRIM_400000_NS6detail17trampoline_kernelINS0_14default_configENS1_27scan_by_key_config_selectorIsiEEZZNS1_16scan_by_key_implILNS1_25lookback_scan_determinismE0ELb1ES3_N6thrust23THRUST_200600_302600_NS6detail15normal_iteratorINS9_10device_ptrIsEEEESE_SE_iNS9_4plusIvEENS9_8equal_toIvEEiEE10hipError_tPvRmT2_T3_T4_T5_mT6_T7_P12ihipStream_tbENKUlT_T0_E_clISt17integral_constantIbLb1EESY_IbLb0EEEEDaSU_SV_EUlSU_E_NS1_11comp_targetILNS1_3genE10ELNS1_11target_archE1200ELNS1_3gpuE4ELNS1_3repE0EEENS1_30default_config_static_selectorELNS0_4arch9wavefront6targetE0EEEvT1_
                                        ; -- End function
	.set _ZN7rocprim17ROCPRIM_400000_NS6detail17trampoline_kernelINS0_14default_configENS1_27scan_by_key_config_selectorIsiEEZZNS1_16scan_by_key_implILNS1_25lookback_scan_determinismE0ELb1ES3_N6thrust23THRUST_200600_302600_NS6detail15normal_iteratorINS9_10device_ptrIsEEEESE_SE_iNS9_4plusIvEENS9_8equal_toIvEEiEE10hipError_tPvRmT2_T3_T4_T5_mT6_T7_P12ihipStream_tbENKUlT_T0_E_clISt17integral_constantIbLb1EESY_IbLb0EEEEDaSU_SV_EUlSU_E_NS1_11comp_targetILNS1_3genE10ELNS1_11target_archE1200ELNS1_3gpuE4ELNS1_3repE0EEENS1_30default_config_static_selectorELNS0_4arch9wavefront6targetE0EEEvT1_.num_vgpr, 0
	.set _ZN7rocprim17ROCPRIM_400000_NS6detail17trampoline_kernelINS0_14default_configENS1_27scan_by_key_config_selectorIsiEEZZNS1_16scan_by_key_implILNS1_25lookback_scan_determinismE0ELb1ES3_N6thrust23THRUST_200600_302600_NS6detail15normal_iteratorINS9_10device_ptrIsEEEESE_SE_iNS9_4plusIvEENS9_8equal_toIvEEiEE10hipError_tPvRmT2_T3_T4_T5_mT6_T7_P12ihipStream_tbENKUlT_T0_E_clISt17integral_constantIbLb1EESY_IbLb0EEEEDaSU_SV_EUlSU_E_NS1_11comp_targetILNS1_3genE10ELNS1_11target_archE1200ELNS1_3gpuE4ELNS1_3repE0EEENS1_30default_config_static_selectorELNS0_4arch9wavefront6targetE0EEEvT1_.num_agpr, 0
	.set _ZN7rocprim17ROCPRIM_400000_NS6detail17trampoline_kernelINS0_14default_configENS1_27scan_by_key_config_selectorIsiEEZZNS1_16scan_by_key_implILNS1_25lookback_scan_determinismE0ELb1ES3_N6thrust23THRUST_200600_302600_NS6detail15normal_iteratorINS9_10device_ptrIsEEEESE_SE_iNS9_4plusIvEENS9_8equal_toIvEEiEE10hipError_tPvRmT2_T3_T4_T5_mT6_T7_P12ihipStream_tbENKUlT_T0_E_clISt17integral_constantIbLb1EESY_IbLb0EEEEDaSU_SV_EUlSU_E_NS1_11comp_targetILNS1_3genE10ELNS1_11target_archE1200ELNS1_3gpuE4ELNS1_3repE0EEENS1_30default_config_static_selectorELNS0_4arch9wavefront6targetE0EEEvT1_.numbered_sgpr, 0
	.set _ZN7rocprim17ROCPRIM_400000_NS6detail17trampoline_kernelINS0_14default_configENS1_27scan_by_key_config_selectorIsiEEZZNS1_16scan_by_key_implILNS1_25lookback_scan_determinismE0ELb1ES3_N6thrust23THRUST_200600_302600_NS6detail15normal_iteratorINS9_10device_ptrIsEEEESE_SE_iNS9_4plusIvEENS9_8equal_toIvEEiEE10hipError_tPvRmT2_T3_T4_T5_mT6_T7_P12ihipStream_tbENKUlT_T0_E_clISt17integral_constantIbLb1EESY_IbLb0EEEEDaSU_SV_EUlSU_E_NS1_11comp_targetILNS1_3genE10ELNS1_11target_archE1200ELNS1_3gpuE4ELNS1_3repE0EEENS1_30default_config_static_selectorELNS0_4arch9wavefront6targetE0EEEvT1_.num_named_barrier, 0
	.set _ZN7rocprim17ROCPRIM_400000_NS6detail17trampoline_kernelINS0_14default_configENS1_27scan_by_key_config_selectorIsiEEZZNS1_16scan_by_key_implILNS1_25lookback_scan_determinismE0ELb1ES3_N6thrust23THRUST_200600_302600_NS6detail15normal_iteratorINS9_10device_ptrIsEEEESE_SE_iNS9_4plusIvEENS9_8equal_toIvEEiEE10hipError_tPvRmT2_T3_T4_T5_mT6_T7_P12ihipStream_tbENKUlT_T0_E_clISt17integral_constantIbLb1EESY_IbLb0EEEEDaSU_SV_EUlSU_E_NS1_11comp_targetILNS1_3genE10ELNS1_11target_archE1200ELNS1_3gpuE4ELNS1_3repE0EEENS1_30default_config_static_selectorELNS0_4arch9wavefront6targetE0EEEvT1_.private_seg_size, 0
	.set _ZN7rocprim17ROCPRIM_400000_NS6detail17trampoline_kernelINS0_14default_configENS1_27scan_by_key_config_selectorIsiEEZZNS1_16scan_by_key_implILNS1_25lookback_scan_determinismE0ELb1ES3_N6thrust23THRUST_200600_302600_NS6detail15normal_iteratorINS9_10device_ptrIsEEEESE_SE_iNS9_4plusIvEENS9_8equal_toIvEEiEE10hipError_tPvRmT2_T3_T4_T5_mT6_T7_P12ihipStream_tbENKUlT_T0_E_clISt17integral_constantIbLb1EESY_IbLb0EEEEDaSU_SV_EUlSU_E_NS1_11comp_targetILNS1_3genE10ELNS1_11target_archE1200ELNS1_3gpuE4ELNS1_3repE0EEENS1_30default_config_static_selectorELNS0_4arch9wavefront6targetE0EEEvT1_.uses_vcc, 0
	.set _ZN7rocprim17ROCPRIM_400000_NS6detail17trampoline_kernelINS0_14default_configENS1_27scan_by_key_config_selectorIsiEEZZNS1_16scan_by_key_implILNS1_25lookback_scan_determinismE0ELb1ES3_N6thrust23THRUST_200600_302600_NS6detail15normal_iteratorINS9_10device_ptrIsEEEESE_SE_iNS9_4plusIvEENS9_8equal_toIvEEiEE10hipError_tPvRmT2_T3_T4_T5_mT6_T7_P12ihipStream_tbENKUlT_T0_E_clISt17integral_constantIbLb1EESY_IbLb0EEEEDaSU_SV_EUlSU_E_NS1_11comp_targetILNS1_3genE10ELNS1_11target_archE1200ELNS1_3gpuE4ELNS1_3repE0EEENS1_30default_config_static_selectorELNS0_4arch9wavefront6targetE0EEEvT1_.uses_flat_scratch, 0
	.set _ZN7rocprim17ROCPRIM_400000_NS6detail17trampoline_kernelINS0_14default_configENS1_27scan_by_key_config_selectorIsiEEZZNS1_16scan_by_key_implILNS1_25lookback_scan_determinismE0ELb1ES3_N6thrust23THRUST_200600_302600_NS6detail15normal_iteratorINS9_10device_ptrIsEEEESE_SE_iNS9_4plusIvEENS9_8equal_toIvEEiEE10hipError_tPvRmT2_T3_T4_T5_mT6_T7_P12ihipStream_tbENKUlT_T0_E_clISt17integral_constantIbLb1EESY_IbLb0EEEEDaSU_SV_EUlSU_E_NS1_11comp_targetILNS1_3genE10ELNS1_11target_archE1200ELNS1_3gpuE4ELNS1_3repE0EEENS1_30default_config_static_selectorELNS0_4arch9wavefront6targetE0EEEvT1_.has_dyn_sized_stack, 0
	.set _ZN7rocprim17ROCPRIM_400000_NS6detail17trampoline_kernelINS0_14default_configENS1_27scan_by_key_config_selectorIsiEEZZNS1_16scan_by_key_implILNS1_25lookback_scan_determinismE0ELb1ES3_N6thrust23THRUST_200600_302600_NS6detail15normal_iteratorINS9_10device_ptrIsEEEESE_SE_iNS9_4plusIvEENS9_8equal_toIvEEiEE10hipError_tPvRmT2_T3_T4_T5_mT6_T7_P12ihipStream_tbENKUlT_T0_E_clISt17integral_constantIbLb1EESY_IbLb0EEEEDaSU_SV_EUlSU_E_NS1_11comp_targetILNS1_3genE10ELNS1_11target_archE1200ELNS1_3gpuE4ELNS1_3repE0EEENS1_30default_config_static_selectorELNS0_4arch9wavefront6targetE0EEEvT1_.has_recursion, 0
	.set _ZN7rocprim17ROCPRIM_400000_NS6detail17trampoline_kernelINS0_14default_configENS1_27scan_by_key_config_selectorIsiEEZZNS1_16scan_by_key_implILNS1_25lookback_scan_determinismE0ELb1ES3_N6thrust23THRUST_200600_302600_NS6detail15normal_iteratorINS9_10device_ptrIsEEEESE_SE_iNS9_4plusIvEENS9_8equal_toIvEEiEE10hipError_tPvRmT2_T3_T4_T5_mT6_T7_P12ihipStream_tbENKUlT_T0_E_clISt17integral_constantIbLb1EESY_IbLb0EEEEDaSU_SV_EUlSU_E_NS1_11comp_targetILNS1_3genE10ELNS1_11target_archE1200ELNS1_3gpuE4ELNS1_3repE0EEENS1_30default_config_static_selectorELNS0_4arch9wavefront6targetE0EEEvT1_.has_indirect_call, 0
	.section	.AMDGPU.csdata,"",@progbits
; Kernel info:
; codeLenInByte = 0
; TotalNumSgprs: 0
; NumVgprs: 0
; ScratchSize: 0
; MemoryBound: 0
; FloatMode: 240
; IeeeMode: 1
; LDSByteSize: 0 bytes/workgroup (compile time only)
; SGPRBlocks: 0
; VGPRBlocks: 0
; NumSGPRsForWavesPerEU: 1
; NumVGPRsForWavesPerEU: 1
; Occupancy: 16
; WaveLimiterHint : 0
; COMPUTE_PGM_RSRC2:SCRATCH_EN: 0
; COMPUTE_PGM_RSRC2:USER_SGPR: 6
; COMPUTE_PGM_RSRC2:TRAP_HANDLER: 0
; COMPUTE_PGM_RSRC2:TGID_X_EN: 1
; COMPUTE_PGM_RSRC2:TGID_Y_EN: 0
; COMPUTE_PGM_RSRC2:TGID_Z_EN: 0
; COMPUTE_PGM_RSRC2:TIDIG_COMP_CNT: 0
	.section	.text._ZN7rocprim17ROCPRIM_400000_NS6detail17trampoline_kernelINS0_14default_configENS1_27scan_by_key_config_selectorIsiEEZZNS1_16scan_by_key_implILNS1_25lookback_scan_determinismE0ELb1ES3_N6thrust23THRUST_200600_302600_NS6detail15normal_iteratorINS9_10device_ptrIsEEEESE_SE_iNS9_4plusIvEENS9_8equal_toIvEEiEE10hipError_tPvRmT2_T3_T4_T5_mT6_T7_P12ihipStream_tbENKUlT_T0_E_clISt17integral_constantIbLb1EESY_IbLb0EEEEDaSU_SV_EUlSU_E_NS1_11comp_targetILNS1_3genE9ELNS1_11target_archE1100ELNS1_3gpuE3ELNS1_3repE0EEENS1_30default_config_static_selectorELNS0_4arch9wavefront6targetE0EEEvT1_,"axG",@progbits,_ZN7rocprim17ROCPRIM_400000_NS6detail17trampoline_kernelINS0_14default_configENS1_27scan_by_key_config_selectorIsiEEZZNS1_16scan_by_key_implILNS1_25lookback_scan_determinismE0ELb1ES3_N6thrust23THRUST_200600_302600_NS6detail15normal_iteratorINS9_10device_ptrIsEEEESE_SE_iNS9_4plusIvEENS9_8equal_toIvEEiEE10hipError_tPvRmT2_T3_T4_T5_mT6_T7_P12ihipStream_tbENKUlT_T0_E_clISt17integral_constantIbLb1EESY_IbLb0EEEEDaSU_SV_EUlSU_E_NS1_11comp_targetILNS1_3genE9ELNS1_11target_archE1100ELNS1_3gpuE3ELNS1_3repE0EEENS1_30default_config_static_selectorELNS0_4arch9wavefront6targetE0EEEvT1_,comdat
	.protected	_ZN7rocprim17ROCPRIM_400000_NS6detail17trampoline_kernelINS0_14default_configENS1_27scan_by_key_config_selectorIsiEEZZNS1_16scan_by_key_implILNS1_25lookback_scan_determinismE0ELb1ES3_N6thrust23THRUST_200600_302600_NS6detail15normal_iteratorINS9_10device_ptrIsEEEESE_SE_iNS9_4plusIvEENS9_8equal_toIvEEiEE10hipError_tPvRmT2_T3_T4_T5_mT6_T7_P12ihipStream_tbENKUlT_T0_E_clISt17integral_constantIbLb1EESY_IbLb0EEEEDaSU_SV_EUlSU_E_NS1_11comp_targetILNS1_3genE9ELNS1_11target_archE1100ELNS1_3gpuE3ELNS1_3repE0EEENS1_30default_config_static_selectorELNS0_4arch9wavefront6targetE0EEEvT1_ ; -- Begin function _ZN7rocprim17ROCPRIM_400000_NS6detail17trampoline_kernelINS0_14default_configENS1_27scan_by_key_config_selectorIsiEEZZNS1_16scan_by_key_implILNS1_25lookback_scan_determinismE0ELb1ES3_N6thrust23THRUST_200600_302600_NS6detail15normal_iteratorINS9_10device_ptrIsEEEESE_SE_iNS9_4plusIvEENS9_8equal_toIvEEiEE10hipError_tPvRmT2_T3_T4_T5_mT6_T7_P12ihipStream_tbENKUlT_T0_E_clISt17integral_constantIbLb1EESY_IbLb0EEEEDaSU_SV_EUlSU_E_NS1_11comp_targetILNS1_3genE9ELNS1_11target_archE1100ELNS1_3gpuE3ELNS1_3repE0EEENS1_30default_config_static_selectorELNS0_4arch9wavefront6targetE0EEEvT1_
	.globl	_ZN7rocprim17ROCPRIM_400000_NS6detail17trampoline_kernelINS0_14default_configENS1_27scan_by_key_config_selectorIsiEEZZNS1_16scan_by_key_implILNS1_25lookback_scan_determinismE0ELb1ES3_N6thrust23THRUST_200600_302600_NS6detail15normal_iteratorINS9_10device_ptrIsEEEESE_SE_iNS9_4plusIvEENS9_8equal_toIvEEiEE10hipError_tPvRmT2_T3_T4_T5_mT6_T7_P12ihipStream_tbENKUlT_T0_E_clISt17integral_constantIbLb1EESY_IbLb0EEEEDaSU_SV_EUlSU_E_NS1_11comp_targetILNS1_3genE9ELNS1_11target_archE1100ELNS1_3gpuE3ELNS1_3repE0EEENS1_30default_config_static_selectorELNS0_4arch9wavefront6targetE0EEEvT1_
	.p2align	8
	.type	_ZN7rocprim17ROCPRIM_400000_NS6detail17trampoline_kernelINS0_14default_configENS1_27scan_by_key_config_selectorIsiEEZZNS1_16scan_by_key_implILNS1_25lookback_scan_determinismE0ELb1ES3_N6thrust23THRUST_200600_302600_NS6detail15normal_iteratorINS9_10device_ptrIsEEEESE_SE_iNS9_4plusIvEENS9_8equal_toIvEEiEE10hipError_tPvRmT2_T3_T4_T5_mT6_T7_P12ihipStream_tbENKUlT_T0_E_clISt17integral_constantIbLb1EESY_IbLb0EEEEDaSU_SV_EUlSU_E_NS1_11comp_targetILNS1_3genE9ELNS1_11target_archE1100ELNS1_3gpuE3ELNS1_3repE0EEENS1_30default_config_static_selectorELNS0_4arch9wavefront6targetE0EEEvT1_,@function
_ZN7rocprim17ROCPRIM_400000_NS6detail17trampoline_kernelINS0_14default_configENS1_27scan_by_key_config_selectorIsiEEZZNS1_16scan_by_key_implILNS1_25lookback_scan_determinismE0ELb1ES3_N6thrust23THRUST_200600_302600_NS6detail15normal_iteratorINS9_10device_ptrIsEEEESE_SE_iNS9_4plusIvEENS9_8equal_toIvEEiEE10hipError_tPvRmT2_T3_T4_T5_mT6_T7_P12ihipStream_tbENKUlT_T0_E_clISt17integral_constantIbLb1EESY_IbLb0EEEEDaSU_SV_EUlSU_E_NS1_11comp_targetILNS1_3genE9ELNS1_11target_archE1100ELNS1_3gpuE3ELNS1_3repE0EEENS1_30default_config_static_selectorELNS0_4arch9wavefront6targetE0EEEvT1_: ; @_ZN7rocprim17ROCPRIM_400000_NS6detail17trampoline_kernelINS0_14default_configENS1_27scan_by_key_config_selectorIsiEEZZNS1_16scan_by_key_implILNS1_25lookback_scan_determinismE0ELb1ES3_N6thrust23THRUST_200600_302600_NS6detail15normal_iteratorINS9_10device_ptrIsEEEESE_SE_iNS9_4plusIvEENS9_8equal_toIvEEiEE10hipError_tPvRmT2_T3_T4_T5_mT6_T7_P12ihipStream_tbENKUlT_T0_E_clISt17integral_constantIbLb1EESY_IbLb0EEEEDaSU_SV_EUlSU_E_NS1_11comp_targetILNS1_3genE9ELNS1_11target_archE1100ELNS1_3gpuE3ELNS1_3repE0EEENS1_30default_config_static_selectorELNS0_4arch9wavefront6targetE0EEEvT1_
; %bb.0:
	.section	.rodata,"a",@progbits
	.p2align	6, 0x0
	.amdhsa_kernel _ZN7rocprim17ROCPRIM_400000_NS6detail17trampoline_kernelINS0_14default_configENS1_27scan_by_key_config_selectorIsiEEZZNS1_16scan_by_key_implILNS1_25lookback_scan_determinismE0ELb1ES3_N6thrust23THRUST_200600_302600_NS6detail15normal_iteratorINS9_10device_ptrIsEEEESE_SE_iNS9_4plusIvEENS9_8equal_toIvEEiEE10hipError_tPvRmT2_T3_T4_T5_mT6_T7_P12ihipStream_tbENKUlT_T0_E_clISt17integral_constantIbLb1EESY_IbLb0EEEEDaSU_SV_EUlSU_E_NS1_11comp_targetILNS1_3genE9ELNS1_11target_archE1100ELNS1_3gpuE3ELNS1_3repE0EEENS1_30default_config_static_selectorELNS0_4arch9wavefront6targetE0EEEvT1_
		.amdhsa_group_segment_fixed_size 0
		.amdhsa_private_segment_fixed_size 0
		.amdhsa_kernarg_size 112
		.amdhsa_user_sgpr_count 6
		.amdhsa_user_sgpr_private_segment_buffer 1
		.amdhsa_user_sgpr_dispatch_ptr 0
		.amdhsa_user_sgpr_queue_ptr 0
		.amdhsa_user_sgpr_kernarg_segment_ptr 1
		.amdhsa_user_sgpr_dispatch_id 0
		.amdhsa_user_sgpr_flat_scratch_init 0
		.amdhsa_user_sgpr_private_segment_size 0
		.amdhsa_wavefront_size32 1
		.amdhsa_uses_dynamic_stack 0
		.amdhsa_system_sgpr_private_segment_wavefront_offset 0
		.amdhsa_system_sgpr_workgroup_id_x 1
		.amdhsa_system_sgpr_workgroup_id_y 0
		.amdhsa_system_sgpr_workgroup_id_z 0
		.amdhsa_system_sgpr_workgroup_info 0
		.amdhsa_system_vgpr_workitem_id 0
		.amdhsa_next_free_vgpr 1
		.amdhsa_next_free_sgpr 1
		.amdhsa_reserve_vcc 0
		.amdhsa_reserve_flat_scratch 0
		.amdhsa_float_round_mode_32 0
		.amdhsa_float_round_mode_16_64 0
		.amdhsa_float_denorm_mode_32 3
		.amdhsa_float_denorm_mode_16_64 3
		.amdhsa_dx10_clamp 1
		.amdhsa_ieee_mode 1
		.amdhsa_fp16_overflow 0
		.amdhsa_workgroup_processor_mode 1
		.amdhsa_memory_ordered 1
		.amdhsa_forward_progress 1
		.amdhsa_shared_vgpr_count 0
		.amdhsa_exception_fp_ieee_invalid_op 0
		.amdhsa_exception_fp_denorm_src 0
		.amdhsa_exception_fp_ieee_div_zero 0
		.amdhsa_exception_fp_ieee_overflow 0
		.amdhsa_exception_fp_ieee_underflow 0
		.amdhsa_exception_fp_ieee_inexact 0
		.amdhsa_exception_int_div_zero 0
	.end_amdhsa_kernel
	.section	.text._ZN7rocprim17ROCPRIM_400000_NS6detail17trampoline_kernelINS0_14default_configENS1_27scan_by_key_config_selectorIsiEEZZNS1_16scan_by_key_implILNS1_25lookback_scan_determinismE0ELb1ES3_N6thrust23THRUST_200600_302600_NS6detail15normal_iteratorINS9_10device_ptrIsEEEESE_SE_iNS9_4plusIvEENS9_8equal_toIvEEiEE10hipError_tPvRmT2_T3_T4_T5_mT6_T7_P12ihipStream_tbENKUlT_T0_E_clISt17integral_constantIbLb1EESY_IbLb0EEEEDaSU_SV_EUlSU_E_NS1_11comp_targetILNS1_3genE9ELNS1_11target_archE1100ELNS1_3gpuE3ELNS1_3repE0EEENS1_30default_config_static_selectorELNS0_4arch9wavefront6targetE0EEEvT1_,"axG",@progbits,_ZN7rocprim17ROCPRIM_400000_NS6detail17trampoline_kernelINS0_14default_configENS1_27scan_by_key_config_selectorIsiEEZZNS1_16scan_by_key_implILNS1_25lookback_scan_determinismE0ELb1ES3_N6thrust23THRUST_200600_302600_NS6detail15normal_iteratorINS9_10device_ptrIsEEEESE_SE_iNS9_4plusIvEENS9_8equal_toIvEEiEE10hipError_tPvRmT2_T3_T4_T5_mT6_T7_P12ihipStream_tbENKUlT_T0_E_clISt17integral_constantIbLb1EESY_IbLb0EEEEDaSU_SV_EUlSU_E_NS1_11comp_targetILNS1_3genE9ELNS1_11target_archE1100ELNS1_3gpuE3ELNS1_3repE0EEENS1_30default_config_static_selectorELNS0_4arch9wavefront6targetE0EEEvT1_,comdat
.Lfunc_end1069:
	.size	_ZN7rocprim17ROCPRIM_400000_NS6detail17trampoline_kernelINS0_14default_configENS1_27scan_by_key_config_selectorIsiEEZZNS1_16scan_by_key_implILNS1_25lookback_scan_determinismE0ELb1ES3_N6thrust23THRUST_200600_302600_NS6detail15normal_iteratorINS9_10device_ptrIsEEEESE_SE_iNS9_4plusIvEENS9_8equal_toIvEEiEE10hipError_tPvRmT2_T3_T4_T5_mT6_T7_P12ihipStream_tbENKUlT_T0_E_clISt17integral_constantIbLb1EESY_IbLb0EEEEDaSU_SV_EUlSU_E_NS1_11comp_targetILNS1_3genE9ELNS1_11target_archE1100ELNS1_3gpuE3ELNS1_3repE0EEENS1_30default_config_static_selectorELNS0_4arch9wavefront6targetE0EEEvT1_, .Lfunc_end1069-_ZN7rocprim17ROCPRIM_400000_NS6detail17trampoline_kernelINS0_14default_configENS1_27scan_by_key_config_selectorIsiEEZZNS1_16scan_by_key_implILNS1_25lookback_scan_determinismE0ELb1ES3_N6thrust23THRUST_200600_302600_NS6detail15normal_iteratorINS9_10device_ptrIsEEEESE_SE_iNS9_4plusIvEENS9_8equal_toIvEEiEE10hipError_tPvRmT2_T3_T4_T5_mT6_T7_P12ihipStream_tbENKUlT_T0_E_clISt17integral_constantIbLb1EESY_IbLb0EEEEDaSU_SV_EUlSU_E_NS1_11comp_targetILNS1_3genE9ELNS1_11target_archE1100ELNS1_3gpuE3ELNS1_3repE0EEENS1_30default_config_static_selectorELNS0_4arch9wavefront6targetE0EEEvT1_
                                        ; -- End function
	.set _ZN7rocprim17ROCPRIM_400000_NS6detail17trampoline_kernelINS0_14default_configENS1_27scan_by_key_config_selectorIsiEEZZNS1_16scan_by_key_implILNS1_25lookback_scan_determinismE0ELb1ES3_N6thrust23THRUST_200600_302600_NS6detail15normal_iteratorINS9_10device_ptrIsEEEESE_SE_iNS9_4plusIvEENS9_8equal_toIvEEiEE10hipError_tPvRmT2_T3_T4_T5_mT6_T7_P12ihipStream_tbENKUlT_T0_E_clISt17integral_constantIbLb1EESY_IbLb0EEEEDaSU_SV_EUlSU_E_NS1_11comp_targetILNS1_3genE9ELNS1_11target_archE1100ELNS1_3gpuE3ELNS1_3repE0EEENS1_30default_config_static_selectorELNS0_4arch9wavefront6targetE0EEEvT1_.num_vgpr, 0
	.set _ZN7rocprim17ROCPRIM_400000_NS6detail17trampoline_kernelINS0_14default_configENS1_27scan_by_key_config_selectorIsiEEZZNS1_16scan_by_key_implILNS1_25lookback_scan_determinismE0ELb1ES3_N6thrust23THRUST_200600_302600_NS6detail15normal_iteratorINS9_10device_ptrIsEEEESE_SE_iNS9_4plusIvEENS9_8equal_toIvEEiEE10hipError_tPvRmT2_T3_T4_T5_mT6_T7_P12ihipStream_tbENKUlT_T0_E_clISt17integral_constantIbLb1EESY_IbLb0EEEEDaSU_SV_EUlSU_E_NS1_11comp_targetILNS1_3genE9ELNS1_11target_archE1100ELNS1_3gpuE3ELNS1_3repE0EEENS1_30default_config_static_selectorELNS0_4arch9wavefront6targetE0EEEvT1_.num_agpr, 0
	.set _ZN7rocprim17ROCPRIM_400000_NS6detail17trampoline_kernelINS0_14default_configENS1_27scan_by_key_config_selectorIsiEEZZNS1_16scan_by_key_implILNS1_25lookback_scan_determinismE0ELb1ES3_N6thrust23THRUST_200600_302600_NS6detail15normal_iteratorINS9_10device_ptrIsEEEESE_SE_iNS9_4plusIvEENS9_8equal_toIvEEiEE10hipError_tPvRmT2_T3_T4_T5_mT6_T7_P12ihipStream_tbENKUlT_T0_E_clISt17integral_constantIbLb1EESY_IbLb0EEEEDaSU_SV_EUlSU_E_NS1_11comp_targetILNS1_3genE9ELNS1_11target_archE1100ELNS1_3gpuE3ELNS1_3repE0EEENS1_30default_config_static_selectorELNS0_4arch9wavefront6targetE0EEEvT1_.numbered_sgpr, 0
	.set _ZN7rocprim17ROCPRIM_400000_NS6detail17trampoline_kernelINS0_14default_configENS1_27scan_by_key_config_selectorIsiEEZZNS1_16scan_by_key_implILNS1_25lookback_scan_determinismE0ELb1ES3_N6thrust23THRUST_200600_302600_NS6detail15normal_iteratorINS9_10device_ptrIsEEEESE_SE_iNS9_4plusIvEENS9_8equal_toIvEEiEE10hipError_tPvRmT2_T3_T4_T5_mT6_T7_P12ihipStream_tbENKUlT_T0_E_clISt17integral_constantIbLb1EESY_IbLb0EEEEDaSU_SV_EUlSU_E_NS1_11comp_targetILNS1_3genE9ELNS1_11target_archE1100ELNS1_3gpuE3ELNS1_3repE0EEENS1_30default_config_static_selectorELNS0_4arch9wavefront6targetE0EEEvT1_.num_named_barrier, 0
	.set _ZN7rocprim17ROCPRIM_400000_NS6detail17trampoline_kernelINS0_14default_configENS1_27scan_by_key_config_selectorIsiEEZZNS1_16scan_by_key_implILNS1_25lookback_scan_determinismE0ELb1ES3_N6thrust23THRUST_200600_302600_NS6detail15normal_iteratorINS9_10device_ptrIsEEEESE_SE_iNS9_4plusIvEENS9_8equal_toIvEEiEE10hipError_tPvRmT2_T3_T4_T5_mT6_T7_P12ihipStream_tbENKUlT_T0_E_clISt17integral_constantIbLb1EESY_IbLb0EEEEDaSU_SV_EUlSU_E_NS1_11comp_targetILNS1_3genE9ELNS1_11target_archE1100ELNS1_3gpuE3ELNS1_3repE0EEENS1_30default_config_static_selectorELNS0_4arch9wavefront6targetE0EEEvT1_.private_seg_size, 0
	.set _ZN7rocprim17ROCPRIM_400000_NS6detail17trampoline_kernelINS0_14default_configENS1_27scan_by_key_config_selectorIsiEEZZNS1_16scan_by_key_implILNS1_25lookback_scan_determinismE0ELb1ES3_N6thrust23THRUST_200600_302600_NS6detail15normal_iteratorINS9_10device_ptrIsEEEESE_SE_iNS9_4plusIvEENS9_8equal_toIvEEiEE10hipError_tPvRmT2_T3_T4_T5_mT6_T7_P12ihipStream_tbENKUlT_T0_E_clISt17integral_constantIbLb1EESY_IbLb0EEEEDaSU_SV_EUlSU_E_NS1_11comp_targetILNS1_3genE9ELNS1_11target_archE1100ELNS1_3gpuE3ELNS1_3repE0EEENS1_30default_config_static_selectorELNS0_4arch9wavefront6targetE0EEEvT1_.uses_vcc, 0
	.set _ZN7rocprim17ROCPRIM_400000_NS6detail17trampoline_kernelINS0_14default_configENS1_27scan_by_key_config_selectorIsiEEZZNS1_16scan_by_key_implILNS1_25lookback_scan_determinismE0ELb1ES3_N6thrust23THRUST_200600_302600_NS6detail15normal_iteratorINS9_10device_ptrIsEEEESE_SE_iNS9_4plusIvEENS9_8equal_toIvEEiEE10hipError_tPvRmT2_T3_T4_T5_mT6_T7_P12ihipStream_tbENKUlT_T0_E_clISt17integral_constantIbLb1EESY_IbLb0EEEEDaSU_SV_EUlSU_E_NS1_11comp_targetILNS1_3genE9ELNS1_11target_archE1100ELNS1_3gpuE3ELNS1_3repE0EEENS1_30default_config_static_selectorELNS0_4arch9wavefront6targetE0EEEvT1_.uses_flat_scratch, 0
	.set _ZN7rocprim17ROCPRIM_400000_NS6detail17trampoline_kernelINS0_14default_configENS1_27scan_by_key_config_selectorIsiEEZZNS1_16scan_by_key_implILNS1_25lookback_scan_determinismE0ELb1ES3_N6thrust23THRUST_200600_302600_NS6detail15normal_iteratorINS9_10device_ptrIsEEEESE_SE_iNS9_4plusIvEENS9_8equal_toIvEEiEE10hipError_tPvRmT2_T3_T4_T5_mT6_T7_P12ihipStream_tbENKUlT_T0_E_clISt17integral_constantIbLb1EESY_IbLb0EEEEDaSU_SV_EUlSU_E_NS1_11comp_targetILNS1_3genE9ELNS1_11target_archE1100ELNS1_3gpuE3ELNS1_3repE0EEENS1_30default_config_static_selectorELNS0_4arch9wavefront6targetE0EEEvT1_.has_dyn_sized_stack, 0
	.set _ZN7rocprim17ROCPRIM_400000_NS6detail17trampoline_kernelINS0_14default_configENS1_27scan_by_key_config_selectorIsiEEZZNS1_16scan_by_key_implILNS1_25lookback_scan_determinismE0ELb1ES3_N6thrust23THRUST_200600_302600_NS6detail15normal_iteratorINS9_10device_ptrIsEEEESE_SE_iNS9_4plusIvEENS9_8equal_toIvEEiEE10hipError_tPvRmT2_T3_T4_T5_mT6_T7_P12ihipStream_tbENKUlT_T0_E_clISt17integral_constantIbLb1EESY_IbLb0EEEEDaSU_SV_EUlSU_E_NS1_11comp_targetILNS1_3genE9ELNS1_11target_archE1100ELNS1_3gpuE3ELNS1_3repE0EEENS1_30default_config_static_selectorELNS0_4arch9wavefront6targetE0EEEvT1_.has_recursion, 0
	.set _ZN7rocprim17ROCPRIM_400000_NS6detail17trampoline_kernelINS0_14default_configENS1_27scan_by_key_config_selectorIsiEEZZNS1_16scan_by_key_implILNS1_25lookback_scan_determinismE0ELb1ES3_N6thrust23THRUST_200600_302600_NS6detail15normal_iteratorINS9_10device_ptrIsEEEESE_SE_iNS9_4plusIvEENS9_8equal_toIvEEiEE10hipError_tPvRmT2_T3_T4_T5_mT6_T7_P12ihipStream_tbENKUlT_T0_E_clISt17integral_constantIbLb1EESY_IbLb0EEEEDaSU_SV_EUlSU_E_NS1_11comp_targetILNS1_3genE9ELNS1_11target_archE1100ELNS1_3gpuE3ELNS1_3repE0EEENS1_30default_config_static_selectorELNS0_4arch9wavefront6targetE0EEEvT1_.has_indirect_call, 0
	.section	.AMDGPU.csdata,"",@progbits
; Kernel info:
; codeLenInByte = 0
; TotalNumSgprs: 0
; NumVgprs: 0
; ScratchSize: 0
; MemoryBound: 0
; FloatMode: 240
; IeeeMode: 1
; LDSByteSize: 0 bytes/workgroup (compile time only)
; SGPRBlocks: 0
; VGPRBlocks: 0
; NumSGPRsForWavesPerEU: 1
; NumVGPRsForWavesPerEU: 1
; Occupancy: 16
; WaveLimiterHint : 0
; COMPUTE_PGM_RSRC2:SCRATCH_EN: 0
; COMPUTE_PGM_RSRC2:USER_SGPR: 6
; COMPUTE_PGM_RSRC2:TRAP_HANDLER: 0
; COMPUTE_PGM_RSRC2:TGID_X_EN: 1
; COMPUTE_PGM_RSRC2:TGID_Y_EN: 0
; COMPUTE_PGM_RSRC2:TGID_Z_EN: 0
; COMPUTE_PGM_RSRC2:TIDIG_COMP_CNT: 0
	.section	.text._ZN7rocprim17ROCPRIM_400000_NS6detail17trampoline_kernelINS0_14default_configENS1_27scan_by_key_config_selectorIsiEEZZNS1_16scan_by_key_implILNS1_25lookback_scan_determinismE0ELb1ES3_N6thrust23THRUST_200600_302600_NS6detail15normal_iteratorINS9_10device_ptrIsEEEESE_SE_iNS9_4plusIvEENS9_8equal_toIvEEiEE10hipError_tPvRmT2_T3_T4_T5_mT6_T7_P12ihipStream_tbENKUlT_T0_E_clISt17integral_constantIbLb1EESY_IbLb0EEEEDaSU_SV_EUlSU_E_NS1_11comp_targetILNS1_3genE8ELNS1_11target_archE1030ELNS1_3gpuE2ELNS1_3repE0EEENS1_30default_config_static_selectorELNS0_4arch9wavefront6targetE0EEEvT1_,"axG",@progbits,_ZN7rocprim17ROCPRIM_400000_NS6detail17trampoline_kernelINS0_14default_configENS1_27scan_by_key_config_selectorIsiEEZZNS1_16scan_by_key_implILNS1_25lookback_scan_determinismE0ELb1ES3_N6thrust23THRUST_200600_302600_NS6detail15normal_iteratorINS9_10device_ptrIsEEEESE_SE_iNS9_4plusIvEENS9_8equal_toIvEEiEE10hipError_tPvRmT2_T3_T4_T5_mT6_T7_P12ihipStream_tbENKUlT_T0_E_clISt17integral_constantIbLb1EESY_IbLb0EEEEDaSU_SV_EUlSU_E_NS1_11comp_targetILNS1_3genE8ELNS1_11target_archE1030ELNS1_3gpuE2ELNS1_3repE0EEENS1_30default_config_static_selectorELNS0_4arch9wavefront6targetE0EEEvT1_,comdat
	.protected	_ZN7rocprim17ROCPRIM_400000_NS6detail17trampoline_kernelINS0_14default_configENS1_27scan_by_key_config_selectorIsiEEZZNS1_16scan_by_key_implILNS1_25lookback_scan_determinismE0ELb1ES3_N6thrust23THRUST_200600_302600_NS6detail15normal_iteratorINS9_10device_ptrIsEEEESE_SE_iNS9_4plusIvEENS9_8equal_toIvEEiEE10hipError_tPvRmT2_T3_T4_T5_mT6_T7_P12ihipStream_tbENKUlT_T0_E_clISt17integral_constantIbLb1EESY_IbLb0EEEEDaSU_SV_EUlSU_E_NS1_11comp_targetILNS1_3genE8ELNS1_11target_archE1030ELNS1_3gpuE2ELNS1_3repE0EEENS1_30default_config_static_selectorELNS0_4arch9wavefront6targetE0EEEvT1_ ; -- Begin function _ZN7rocprim17ROCPRIM_400000_NS6detail17trampoline_kernelINS0_14default_configENS1_27scan_by_key_config_selectorIsiEEZZNS1_16scan_by_key_implILNS1_25lookback_scan_determinismE0ELb1ES3_N6thrust23THRUST_200600_302600_NS6detail15normal_iteratorINS9_10device_ptrIsEEEESE_SE_iNS9_4plusIvEENS9_8equal_toIvEEiEE10hipError_tPvRmT2_T3_T4_T5_mT6_T7_P12ihipStream_tbENKUlT_T0_E_clISt17integral_constantIbLb1EESY_IbLb0EEEEDaSU_SV_EUlSU_E_NS1_11comp_targetILNS1_3genE8ELNS1_11target_archE1030ELNS1_3gpuE2ELNS1_3repE0EEENS1_30default_config_static_selectorELNS0_4arch9wavefront6targetE0EEEvT1_
	.globl	_ZN7rocprim17ROCPRIM_400000_NS6detail17trampoline_kernelINS0_14default_configENS1_27scan_by_key_config_selectorIsiEEZZNS1_16scan_by_key_implILNS1_25lookback_scan_determinismE0ELb1ES3_N6thrust23THRUST_200600_302600_NS6detail15normal_iteratorINS9_10device_ptrIsEEEESE_SE_iNS9_4plusIvEENS9_8equal_toIvEEiEE10hipError_tPvRmT2_T3_T4_T5_mT6_T7_P12ihipStream_tbENKUlT_T0_E_clISt17integral_constantIbLb1EESY_IbLb0EEEEDaSU_SV_EUlSU_E_NS1_11comp_targetILNS1_3genE8ELNS1_11target_archE1030ELNS1_3gpuE2ELNS1_3repE0EEENS1_30default_config_static_selectorELNS0_4arch9wavefront6targetE0EEEvT1_
	.p2align	8
	.type	_ZN7rocprim17ROCPRIM_400000_NS6detail17trampoline_kernelINS0_14default_configENS1_27scan_by_key_config_selectorIsiEEZZNS1_16scan_by_key_implILNS1_25lookback_scan_determinismE0ELb1ES3_N6thrust23THRUST_200600_302600_NS6detail15normal_iteratorINS9_10device_ptrIsEEEESE_SE_iNS9_4plusIvEENS9_8equal_toIvEEiEE10hipError_tPvRmT2_T3_T4_T5_mT6_T7_P12ihipStream_tbENKUlT_T0_E_clISt17integral_constantIbLb1EESY_IbLb0EEEEDaSU_SV_EUlSU_E_NS1_11comp_targetILNS1_3genE8ELNS1_11target_archE1030ELNS1_3gpuE2ELNS1_3repE0EEENS1_30default_config_static_selectorELNS0_4arch9wavefront6targetE0EEEvT1_,@function
_ZN7rocprim17ROCPRIM_400000_NS6detail17trampoline_kernelINS0_14default_configENS1_27scan_by_key_config_selectorIsiEEZZNS1_16scan_by_key_implILNS1_25lookback_scan_determinismE0ELb1ES3_N6thrust23THRUST_200600_302600_NS6detail15normal_iteratorINS9_10device_ptrIsEEEESE_SE_iNS9_4plusIvEENS9_8equal_toIvEEiEE10hipError_tPvRmT2_T3_T4_T5_mT6_T7_P12ihipStream_tbENKUlT_T0_E_clISt17integral_constantIbLb1EESY_IbLb0EEEEDaSU_SV_EUlSU_E_NS1_11comp_targetILNS1_3genE8ELNS1_11target_archE1030ELNS1_3gpuE2ELNS1_3repE0EEENS1_30default_config_static_selectorELNS0_4arch9wavefront6targetE0EEEvT1_: ; @_ZN7rocprim17ROCPRIM_400000_NS6detail17trampoline_kernelINS0_14default_configENS1_27scan_by_key_config_selectorIsiEEZZNS1_16scan_by_key_implILNS1_25lookback_scan_determinismE0ELb1ES3_N6thrust23THRUST_200600_302600_NS6detail15normal_iteratorINS9_10device_ptrIsEEEESE_SE_iNS9_4plusIvEENS9_8equal_toIvEEiEE10hipError_tPvRmT2_T3_T4_T5_mT6_T7_P12ihipStream_tbENKUlT_T0_E_clISt17integral_constantIbLb1EESY_IbLb0EEEEDaSU_SV_EUlSU_E_NS1_11comp_targetILNS1_3genE8ELNS1_11target_archE1030ELNS1_3gpuE2ELNS1_3repE0EEENS1_30default_config_static_selectorELNS0_4arch9wavefront6targetE0EEEvT1_
; %bb.0:
	s_endpgm
	.section	.rodata,"a",@progbits
	.p2align	6, 0x0
	.amdhsa_kernel _ZN7rocprim17ROCPRIM_400000_NS6detail17trampoline_kernelINS0_14default_configENS1_27scan_by_key_config_selectorIsiEEZZNS1_16scan_by_key_implILNS1_25lookback_scan_determinismE0ELb1ES3_N6thrust23THRUST_200600_302600_NS6detail15normal_iteratorINS9_10device_ptrIsEEEESE_SE_iNS9_4plusIvEENS9_8equal_toIvEEiEE10hipError_tPvRmT2_T3_T4_T5_mT6_T7_P12ihipStream_tbENKUlT_T0_E_clISt17integral_constantIbLb1EESY_IbLb0EEEEDaSU_SV_EUlSU_E_NS1_11comp_targetILNS1_3genE8ELNS1_11target_archE1030ELNS1_3gpuE2ELNS1_3repE0EEENS1_30default_config_static_selectorELNS0_4arch9wavefront6targetE0EEEvT1_
		.amdhsa_group_segment_fixed_size 0
		.amdhsa_private_segment_fixed_size 0
		.amdhsa_kernarg_size 112
		.amdhsa_user_sgpr_count 6
		.amdhsa_user_sgpr_private_segment_buffer 1
		.amdhsa_user_sgpr_dispatch_ptr 0
		.amdhsa_user_sgpr_queue_ptr 0
		.amdhsa_user_sgpr_kernarg_segment_ptr 1
		.amdhsa_user_sgpr_dispatch_id 0
		.amdhsa_user_sgpr_flat_scratch_init 0
		.amdhsa_user_sgpr_private_segment_size 0
		.amdhsa_wavefront_size32 1
		.amdhsa_uses_dynamic_stack 0
		.amdhsa_system_sgpr_private_segment_wavefront_offset 0
		.amdhsa_system_sgpr_workgroup_id_x 1
		.amdhsa_system_sgpr_workgroup_id_y 0
		.amdhsa_system_sgpr_workgroup_id_z 0
		.amdhsa_system_sgpr_workgroup_info 0
		.amdhsa_system_vgpr_workitem_id 0
		.amdhsa_next_free_vgpr 1
		.amdhsa_next_free_sgpr 1
		.amdhsa_reserve_vcc 0
		.amdhsa_reserve_flat_scratch 0
		.amdhsa_float_round_mode_32 0
		.amdhsa_float_round_mode_16_64 0
		.amdhsa_float_denorm_mode_32 3
		.amdhsa_float_denorm_mode_16_64 3
		.amdhsa_dx10_clamp 1
		.amdhsa_ieee_mode 1
		.amdhsa_fp16_overflow 0
		.amdhsa_workgroup_processor_mode 1
		.amdhsa_memory_ordered 1
		.amdhsa_forward_progress 1
		.amdhsa_shared_vgpr_count 0
		.amdhsa_exception_fp_ieee_invalid_op 0
		.amdhsa_exception_fp_denorm_src 0
		.amdhsa_exception_fp_ieee_div_zero 0
		.amdhsa_exception_fp_ieee_overflow 0
		.amdhsa_exception_fp_ieee_underflow 0
		.amdhsa_exception_fp_ieee_inexact 0
		.amdhsa_exception_int_div_zero 0
	.end_amdhsa_kernel
	.section	.text._ZN7rocprim17ROCPRIM_400000_NS6detail17trampoline_kernelINS0_14default_configENS1_27scan_by_key_config_selectorIsiEEZZNS1_16scan_by_key_implILNS1_25lookback_scan_determinismE0ELb1ES3_N6thrust23THRUST_200600_302600_NS6detail15normal_iteratorINS9_10device_ptrIsEEEESE_SE_iNS9_4plusIvEENS9_8equal_toIvEEiEE10hipError_tPvRmT2_T3_T4_T5_mT6_T7_P12ihipStream_tbENKUlT_T0_E_clISt17integral_constantIbLb1EESY_IbLb0EEEEDaSU_SV_EUlSU_E_NS1_11comp_targetILNS1_3genE8ELNS1_11target_archE1030ELNS1_3gpuE2ELNS1_3repE0EEENS1_30default_config_static_selectorELNS0_4arch9wavefront6targetE0EEEvT1_,"axG",@progbits,_ZN7rocprim17ROCPRIM_400000_NS6detail17trampoline_kernelINS0_14default_configENS1_27scan_by_key_config_selectorIsiEEZZNS1_16scan_by_key_implILNS1_25lookback_scan_determinismE0ELb1ES3_N6thrust23THRUST_200600_302600_NS6detail15normal_iteratorINS9_10device_ptrIsEEEESE_SE_iNS9_4plusIvEENS9_8equal_toIvEEiEE10hipError_tPvRmT2_T3_T4_T5_mT6_T7_P12ihipStream_tbENKUlT_T0_E_clISt17integral_constantIbLb1EESY_IbLb0EEEEDaSU_SV_EUlSU_E_NS1_11comp_targetILNS1_3genE8ELNS1_11target_archE1030ELNS1_3gpuE2ELNS1_3repE0EEENS1_30default_config_static_selectorELNS0_4arch9wavefront6targetE0EEEvT1_,comdat
.Lfunc_end1070:
	.size	_ZN7rocprim17ROCPRIM_400000_NS6detail17trampoline_kernelINS0_14default_configENS1_27scan_by_key_config_selectorIsiEEZZNS1_16scan_by_key_implILNS1_25lookback_scan_determinismE0ELb1ES3_N6thrust23THRUST_200600_302600_NS6detail15normal_iteratorINS9_10device_ptrIsEEEESE_SE_iNS9_4plusIvEENS9_8equal_toIvEEiEE10hipError_tPvRmT2_T3_T4_T5_mT6_T7_P12ihipStream_tbENKUlT_T0_E_clISt17integral_constantIbLb1EESY_IbLb0EEEEDaSU_SV_EUlSU_E_NS1_11comp_targetILNS1_3genE8ELNS1_11target_archE1030ELNS1_3gpuE2ELNS1_3repE0EEENS1_30default_config_static_selectorELNS0_4arch9wavefront6targetE0EEEvT1_, .Lfunc_end1070-_ZN7rocprim17ROCPRIM_400000_NS6detail17trampoline_kernelINS0_14default_configENS1_27scan_by_key_config_selectorIsiEEZZNS1_16scan_by_key_implILNS1_25lookback_scan_determinismE0ELb1ES3_N6thrust23THRUST_200600_302600_NS6detail15normal_iteratorINS9_10device_ptrIsEEEESE_SE_iNS9_4plusIvEENS9_8equal_toIvEEiEE10hipError_tPvRmT2_T3_T4_T5_mT6_T7_P12ihipStream_tbENKUlT_T0_E_clISt17integral_constantIbLb1EESY_IbLb0EEEEDaSU_SV_EUlSU_E_NS1_11comp_targetILNS1_3genE8ELNS1_11target_archE1030ELNS1_3gpuE2ELNS1_3repE0EEENS1_30default_config_static_selectorELNS0_4arch9wavefront6targetE0EEEvT1_
                                        ; -- End function
	.set _ZN7rocprim17ROCPRIM_400000_NS6detail17trampoline_kernelINS0_14default_configENS1_27scan_by_key_config_selectorIsiEEZZNS1_16scan_by_key_implILNS1_25lookback_scan_determinismE0ELb1ES3_N6thrust23THRUST_200600_302600_NS6detail15normal_iteratorINS9_10device_ptrIsEEEESE_SE_iNS9_4plusIvEENS9_8equal_toIvEEiEE10hipError_tPvRmT2_T3_T4_T5_mT6_T7_P12ihipStream_tbENKUlT_T0_E_clISt17integral_constantIbLb1EESY_IbLb0EEEEDaSU_SV_EUlSU_E_NS1_11comp_targetILNS1_3genE8ELNS1_11target_archE1030ELNS1_3gpuE2ELNS1_3repE0EEENS1_30default_config_static_selectorELNS0_4arch9wavefront6targetE0EEEvT1_.num_vgpr, 0
	.set _ZN7rocprim17ROCPRIM_400000_NS6detail17trampoline_kernelINS0_14default_configENS1_27scan_by_key_config_selectorIsiEEZZNS1_16scan_by_key_implILNS1_25lookback_scan_determinismE0ELb1ES3_N6thrust23THRUST_200600_302600_NS6detail15normal_iteratorINS9_10device_ptrIsEEEESE_SE_iNS9_4plusIvEENS9_8equal_toIvEEiEE10hipError_tPvRmT2_T3_T4_T5_mT6_T7_P12ihipStream_tbENKUlT_T0_E_clISt17integral_constantIbLb1EESY_IbLb0EEEEDaSU_SV_EUlSU_E_NS1_11comp_targetILNS1_3genE8ELNS1_11target_archE1030ELNS1_3gpuE2ELNS1_3repE0EEENS1_30default_config_static_selectorELNS0_4arch9wavefront6targetE0EEEvT1_.num_agpr, 0
	.set _ZN7rocprim17ROCPRIM_400000_NS6detail17trampoline_kernelINS0_14default_configENS1_27scan_by_key_config_selectorIsiEEZZNS1_16scan_by_key_implILNS1_25lookback_scan_determinismE0ELb1ES3_N6thrust23THRUST_200600_302600_NS6detail15normal_iteratorINS9_10device_ptrIsEEEESE_SE_iNS9_4plusIvEENS9_8equal_toIvEEiEE10hipError_tPvRmT2_T3_T4_T5_mT6_T7_P12ihipStream_tbENKUlT_T0_E_clISt17integral_constantIbLb1EESY_IbLb0EEEEDaSU_SV_EUlSU_E_NS1_11comp_targetILNS1_3genE8ELNS1_11target_archE1030ELNS1_3gpuE2ELNS1_3repE0EEENS1_30default_config_static_selectorELNS0_4arch9wavefront6targetE0EEEvT1_.numbered_sgpr, 0
	.set _ZN7rocprim17ROCPRIM_400000_NS6detail17trampoline_kernelINS0_14default_configENS1_27scan_by_key_config_selectorIsiEEZZNS1_16scan_by_key_implILNS1_25lookback_scan_determinismE0ELb1ES3_N6thrust23THRUST_200600_302600_NS6detail15normal_iteratorINS9_10device_ptrIsEEEESE_SE_iNS9_4plusIvEENS9_8equal_toIvEEiEE10hipError_tPvRmT2_T3_T4_T5_mT6_T7_P12ihipStream_tbENKUlT_T0_E_clISt17integral_constantIbLb1EESY_IbLb0EEEEDaSU_SV_EUlSU_E_NS1_11comp_targetILNS1_3genE8ELNS1_11target_archE1030ELNS1_3gpuE2ELNS1_3repE0EEENS1_30default_config_static_selectorELNS0_4arch9wavefront6targetE0EEEvT1_.num_named_barrier, 0
	.set _ZN7rocprim17ROCPRIM_400000_NS6detail17trampoline_kernelINS0_14default_configENS1_27scan_by_key_config_selectorIsiEEZZNS1_16scan_by_key_implILNS1_25lookback_scan_determinismE0ELb1ES3_N6thrust23THRUST_200600_302600_NS6detail15normal_iteratorINS9_10device_ptrIsEEEESE_SE_iNS9_4plusIvEENS9_8equal_toIvEEiEE10hipError_tPvRmT2_T3_T4_T5_mT6_T7_P12ihipStream_tbENKUlT_T0_E_clISt17integral_constantIbLb1EESY_IbLb0EEEEDaSU_SV_EUlSU_E_NS1_11comp_targetILNS1_3genE8ELNS1_11target_archE1030ELNS1_3gpuE2ELNS1_3repE0EEENS1_30default_config_static_selectorELNS0_4arch9wavefront6targetE0EEEvT1_.private_seg_size, 0
	.set _ZN7rocprim17ROCPRIM_400000_NS6detail17trampoline_kernelINS0_14default_configENS1_27scan_by_key_config_selectorIsiEEZZNS1_16scan_by_key_implILNS1_25lookback_scan_determinismE0ELb1ES3_N6thrust23THRUST_200600_302600_NS6detail15normal_iteratorINS9_10device_ptrIsEEEESE_SE_iNS9_4plusIvEENS9_8equal_toIvEEiEE10hipError_tPvRmT2_T3_T4_T5_mT6_T7_P12ihipStream_tbENKUlT_T0_E_clISt17integral_constantIbLb1EESY_IbLb0EEEEDaSU_SV_EUlSU_E_NS1_11comp_targetILNS1_3genE8ELNS1_11target_archE1030ELNS1_3gpuE2ELNS1_3repE0EEENS1_30default_config_static_selectorELNS0_4arch9wavefront6targetE0EEEvT1_.uses_vcc, 0
	.set _ZN7rocprim17ROCPRIM_400000_NS6detail17trampoline_kernelINS0_14default_configENS1_27scan_by_key_config_selectorIsiEEZZNS1_16scan_by_key_implILNS1_25lookback_scan_determinismE0ELb1ES3_N6thrust23THRUST_200600_302600_NS6detail15normal_iteratorINS9_10device_ptrIsEEEESE_SE_iNS9_4plusIvEENS9_8equal_toIvEEiEE10hipError_tPvRmT2_T3_T4_T5_mT6_T7_P12ihipStream_tbENKUlT_T0_E_clISt17integral_constantIbLb1EESY_IbLb0EEEEDaSU_SV_EUlSU_E_NS1_11comp_targetILNS1_3genE8ELNS1_11target_archE1030ELNS1_3gpuE2ELNS1_3repE0EEENS1_30default_config_static_selectorELNS0_4arch9wavefront6targetE0EEEvT1_.uses_flat_scratch, 0
	.set _ZN7rocprim17ROCPRIM_400000_NS6detail17trampoline_kernelINS0_14default_configENS1_27scan_by_key_config_selectorIsiEEZZNS1_16scan_by_key_implILNS1_25lookback_scan_determinismE0ELb1ES3_N6thrust23THRUST_200600_302600_NS6detail15normal_iteratorINS9_10device_ptrIsEEEESE_SE_iNS9_4plusIvEENS9_8equal_toIvEEiEE10hipError_tPvRmT2_T3_T4_T5_mT6_T7_P12ihipStream_tbENKUlT_T0_E_clISt17integral_constantIbLb1EESY_IbLb0EEEEDaSU_SV_EUlSU_E_NS1_11comp_targetILNS1_3genE8ELNS1_11target_archE1030ELNS1_3gpuE2ELNS1_3repE0EEENS1_30default_config_static_selectorELNS0_4arch9wavefront6targetE0EEEvT1_.has_dyn_sized_stack, 0
	.set _ZN7rocprim17ROCPRIM_400000_NS6detail17trampoline_kernelINS0_14default_configENS1_27scan_by_key_config_selectorIsiEEZZNS1_16scan_by_key_implILNS1_25lookback_scan_determinismE0ELb1ES3_N6thrust23THRUST_200600_302600_NS6detail15normal_iteratorINS9_10device_ptrIsEEEESE_SE_iNS9_4plusIvEENS9_8equal_toIvEEiEE10hipError_tPvRmT2_T3_T4_T5_mT6_T7_P12ihipStream_tbENKUlT_T0_E_clISt17integral_constantIbLb1EESY_IbLb0EEEEDaSU_SV_EUlSU_E_NS1_11comp_targetILNS1_3genE8ELNS1_11target_archE1030ELNS1_3gpuE2ELNS1_3repE0EEENS1_30default_config_static_selectorELNS0_4arch9wavefront6targetE0EEEvT1_.has_recursion, 0
	.set _ZN7rocprim17ROCPRIM_400000_NS6detail17trampoline_kernelINS0_14default_configENS1_27scan_by_key_config_selectorIsiEEZZNS1_16scan_by_key_implILNS1_25lookback_scan_determinismE0ELb1ES3_N6thrust23THRUST_200600_302600_NS6detail15normal_iteratorINS9_10device_ptrIsEEEESE_SE_iNS9_4plusIvEENS9_8equal_toIvEEiEE10hipError_tPvRmT2_T3_T4_T5_mT6_T7_P12ihipStream_tbENKUlT_T0_E_clISt17integral_constantIbLb1EESY_IbLb0EEEEDaSU_SV_EUlSU_E_NS1_11comp_targetILNS1_3genE8ELNS1_11target_archE1030ELNS1_3gpuE2ELNS1_3repE0EEENS1_30default_config_static_selectorELNS0_4arch9wavefront6targetE0EEEvT1_.has_indirect_call, 0
	.section	.AMDGPU.csdata,"",@progbits
; Kernel info:
; codeLenInByte = 4
; TotalNumSgprs: 0
; NumVgprs: 0
; ScratchSize: 0
; MemoryBound: 0
; FloatMode: 240
; IeeeMode: 1
; LDSByteSize: 0 bytes/workgroup (compile time only)
; SGPRBlocks: 0
; VGPRBlocks: 0
; NumSGPRsForWavesPerEU: 1
; NumVGPRsForWavesPerEU: 1
; Occupancy: 16
; WaveLimiterHint : 0
; COMPUTE_PGM_RSRC2:SCRATCH_EN: 0
; COMPUTE_PGM_RSRC2:USER_SGPR: 6
; COMPUTE_PGM_RSRC2:TRAP_HANDLER: 0
; COMPUTE_PGM_RSRC2:TGID_X_EN: 1
; COMPUTE_PGM_RSRC2:TGID_Y_EN: 0
; COMPUTE_PGM_RSRC2:TGID_Z_EN: 0
; COMPUTE_PGM_RSRC2:TIDIG_COMP_CNT: 0
	.section	.text._ZN7rocprim17ROCPRIM_400000_NS6detail30init_device_scan_by_key_kernelINS1_19lookback_scan_stateINS0_5tupleIJibEEELb0ELb1EEEN6thrust23THRUST_200600_302600_NS6detail15normal_iteratorINS8_10device_ptrIsEEEEjNS1_16block_id_wrapperIjLb1EEEEEvT_jjPNSG_10value_typeET0_PNSt15iterator_traitsISJ_E10value_typeEmT1_T2_,"axG",@progbits,_ZN7rocprim17ROCPRIM_400000_NS6detail30init_device_scan_by_key_kernelINS1_19lookback_scan_stateINS0_5tupleIJibEEELb0ELb1EEEN6thrust23THRUST_200600_302600_NS6detail15normal_iteratorINS8_10device_ptrIsEEEEjNS1_16block_id_wrapperIjLb1EEEEEvT_jjPNSG_10value_typeET0_PNSt15iterator_traitsISJ_E10value_typeEmT1_T2_,comdat
	.protected	_ZN7rocprim17ROCPRIM_400000_NS6detail30init_device_scan_by_key_kernelINS1_19lookback_scan_stateINS0_5tupleIJibEEELb0ELb1EEEN6thrust23THRUST_200600_302600_NS6detail15normal_iteratorINS8_10device_ptrIsEEEEjNS1_16block_id_wrapperIjLb1EEEEEvT_jjPNSG_10value_typeET0_PNSt15iterator_traitsISJ_E10value_typeEmT1_T2_ ; -- Begin function _ZN7rocprim17ROCPRIM_400000_NS6detail30init_device_scan_by_key_kernelINS1_19lookback_scan_stateINS0_5tupleIJibEEELb0ELb1EEEN6thrust23THRUST_200600_302600_NS6detail15normal_iteratorINS8_10device_ptrIsEEEEjNS1_16block_id_wrapperIjLb1EEEEEvT_jjPNSG_10value_typeET0_PNSt15iterator_traitsISJ_E10value_typeEmT1_T2_
	.globl	_ZN7rocprim17ROCPRIM_400000_NS6detail30init_device_scan_by_key_kernelINS1_19lookback_scan_stateINS0_5tupleIJibEEELb0ELb1EEEN6thrust23THRUST_200600_302600_NS6detail15normal_iteratorINS8_10device_ptrIsEEEEjNS1_16block_id_wrapperIjLb1EEEEEvT_jjPNSG_10value_typeET0_PNSt15iterator_traitsISJ_E10value_typeEmT1_T2_
	.p2align	8
	.type	_ZN7rocprim17ROCPRIM_400000_NS6detail30init_device_scan_by_key_kernelINS1_19lookback_scan_stateINS0_5tupleIJibEEELb0ELb1EEEN6thrust23THRUST_200600_302600_NS6detail15normal_iteratorINS8_10device_ptrIsEEEEjNS1_16block_id_wrapperIjLb1EEEEEvT_jjPNSG_10value_typeET0_PNSt15iterator_traitsISJ_E10value_typeEmT1_T2_,@function
_ZN7rocprim17ROCPRIM_400000_NS6detail30init_device_scan_by_key_kernelINS1_19lookback_scan_stateINS0_5tupleIJibEEELb0ELb1EEEN6thrust23THRUST_200600_302600_NS6detail15normal_iteratorINS8_10device_ptrIsEEEEjNS1_16block_id_wrapperIjLb1EEEEEvT_jjPNSG_10value_typeET0_PNSt15iterator_traitsISJ_E10value_typeEmT1_T2_: ; @_ZN7rocprim17ROCPRIM_400000_NS6detail30init_device_scan_by_key_kernelINS1_19lookback_scan_stateINS0_5tupleIJibEEELb0ELb1EEEN6thrust23THRUST_200600_302600_NS6detail15normal_iteratorINS8_10device_ptrIsEEEEjNS1_16block_id_wrapperIjLb1EEEEEvT_jjPNSG_10value_typeET0_PNSt15iterator_traitsISJ_E10value_typeEmT1_T2_
; %bb.0:
	s_clause 0x2
	s_load_dword s0, s[4:5], 0x4c
	s_load_dwordx8 s[8:15], s[4:5], 0x0
	s_load_dword s7, s[4:5], 0x40
	s_waitcnt lgkmcnt(0)
	s_and_b32 s16, s0, 0xffff
	s_cmp_eq_u64 s[12:13], 0
	v_mad_u64_u32 v[4:5], null, s6, s16, v[0:1]
	s_cbranch_scc1 .LBB1071_8
; %bb.1:
	s_cmp_lt_u32 s11, s10
	s_mov_b32 s1, 0
	s_cselect_b32 s0, s11, 0
	s_mov_b32 s2, exec_lo
	v_cmpx_eq_u32_e64 s0, v4
	s_cbranch_execz .LBB1071_7
; %bb.2:
	s_add_i32 s0, s11, 32
	v_mov_b32_e32 v6, 0
	s_lshl_b64 s[0:1], s[0:1], 4
	s_mov_b32 s3, exec_lo
	s_add_u32 s0, s8, s0
	s_addc_u32 s1, s9, s1
	v_mov_b32_e32 v0, s0
	v_mov_b32_e32 v1, s1
	;;#ASMSTART
	global_load_dwordx4 v[0:3], v[0:1] off glc dlc	
s_waitcnt vmcnt(0)
	;;#ASMEND
	v_and_b32_e32 v5, 0xff, v2
	v_cmpx_eq_u64_e32 0, v[5:6]
	s_cbranch_execz .LBB1071_6
; %bb.3:
	v_mov_b32_e32 v8, s1
	v_mov_b32_e32 v7, s0
	s_mov_b32 s0, 0
.LBB1071_4:                             ; =>This Inner Loop Header: Depth=1
	;;#ASMSTART
	global_load_dwordx4 v[0:3], v[7:8] off glc dlc	
s_waitcnt vmcnt(0)
	;;#ASMEND
	v_and_b32_e32 v5, 0xff, v2
	v_cmp_ne_u64_e32 vcc_lo, 0, v[5:6]
	s_or_b32 s0, vcc_lo, s0
	s_andn2_b32 exec_lo, exec_lo, s0
	s_cbranch_execnz .LBB1071_4
; %bb.5:
	s_or_b32 exec_lo, exec_lo, s0
.LBB1071_6:
	s_or_b32 exec_lo, exec_lo, s3
	v_mov_b32_e32 v2, 0
	global_store_dword v2, v0, s[12:13]
	global_store_byte v2, v1, s[12:13] offset:4
.LBB1071_7:
	s_or_b32 exec_lo, exec_lo, s2
.LBB1071_8:
	s_mov_b32 s0, exec_lo
	v_cmpx_eq_u32_e32 0, v4
	s_cbranch_execz .LBB1071_10
; %bb.9:
	s_load_dwordx2 s[2:3], s[4:5], 0x38
	v_mov_b32_e32 v0, 0
	s_waitcnt lgkmcnt(0)
	global_store_dword v0, v0, s[2:3]
.LBB1071_10:
	s_or_b32 exec_lo, exec_lo, s0
	s_mov_b32 s0, exec_lo
	v_cmpx_gt_u32_e64 s10, v4
	s_cbranch_execz .LBB1071_12
; %bb.11:
	v_add_nc_u32_e32 v0, 32, v4
	v_mov_b32_e32 v1, 0
	v_lshlrev_b64 v[5:6], 4, v[0:1]
	v_mov_b32_e32 v0, v1
	v_mov_b32_e32 v2, v1
	;; [unrolled: 1-line block ×3, first 2 shown]
	v_add_co_u32 v5, vcc_lo, s8, v5
	v_add_co_ci_u32_e64 v6, null, s9, v6, vcc_lo
	global_store_dwordx4 v[5:6], v[0:3], off
.LBB1071_12:
	s_or_b32 exec_lo, exec_lo, s0
	v_mov_b32_e32 v5, 0
	s_mov_b32 s0, exec_lo
	v_cmpx_gt_u32_e32 32, v4
	s_cbranch_execz .LBB1071_14
; %bb.13:
	v_lshlrev_b64 v[6:7], 4, v[4:5]
	v_mov_b32_e32 v2, 0xff
	v_mov_b32_e32 v0, v5
	;; [unrolled: 1-line block ×4, first 2 shown]
	v_add_co_u32 v6, vcc_lo, s8, v6
	v_add_co_ci_u32_e64 v7, null, s9, v7, vcc_lo
	global_store_dwordx4 v[6:7], v[0:3], off
.LBB1071_14:
	s_or_b32 exec_lo, exec_lo, s0
	s_load_dwordx2 s[2:3], s[4:5], 0x28
	s_mov_b32 s0, exec_lo
	s_waitcnt lgkmcnt(0)
	v_cmpx_gt_u64_e64 s[2:3], v[4:5]
	s_cbranch_execz .LBB1071_17
; %bb.15:
	s_clause 0x1
	s_load_dword s6, s[4:5], 0x30
	s_load_dwordx2 s[8:9], s[4:5], 0x20
	s_mov_b32 s1, 0
	v_lshlrev_b64 v[2:3], 1, v[4:5]
	s_mul_i32 s4, s7, s16
	s_waitcnt lgkmcnt(0)
	v_mad_u64_u32 v[0:1], null, s6, v4, 0
	s_add_i32 s0, s6, -1
	s_mul_hi_u32 s7, s6, s4
	s_lshl_b64 s[10:11], s[0:1], 1
	s_mul_i32 s6, s6, s4
	s_add_u32 s0, s14, s10
	s_addc_u32 s5, s15, s11
	v_lshlrev_b64 v[0:1], 1, v[0:1]
	s_lshl_b64 s[6:7], s[6:7], 1
	v_add_co_u32 v0, vcc_lo, s0, v0
	v_add_co_ci_u32_e64 v1, null, s5, v1, vcc_lo
	v_add_co_u32 v2, vcc_lo, s8, v2
	v_add_co_ci_u32_e64 v3, null, s9, v3, vcc_lo
	s_mov_b32 s5, s1
	s_lshl_b64 s[8:9], s[4:5], 1
	.p2align	6
.LBB1071_16:                            ; =>This Inner Loop Header: Depth=1
	global_load_ushort v6, v[0:1], off
	v_add_co_u32 v4, vcc_lo, v4, s4
	v_add_co_ci_u32_e64 v5, null, 0, v5, vcc_lo
	v_add_co_u32 v0, vcc_lo, v0, s6
	v_add_co_ci_u32_e64 v1, null, s7, v1, vcc_lo
	v_cmp_le_u64_e32 vcc_lo, s[2:3], v[4:5]
	s_or_b32 s1, vcc_lo, s1
	s_waitcnt vmcnt(0)
	global_store_short v[2:3], v6, off
	v_add_co_u32 v2, s0, v2, s8
	v_add_co_ci_u32_e64 v3, null, s9, v3, s0
	s_andn2_b32 exec_lo, exec_lo, s1
	s_cbranch_execnz .LBB1071_16
.LBB1071_17:
	s_endpgm
	.section	.rodata,"a",@progbits
	.p2align	6, 0x0
	.amdhsa_kernel _ZN7rocprim17ROCPRIM_400000_NS6detail30init_device_scan_by_key_kernelINS1_19lookback_scan_stateINS0_5tupleIJibEEELb0ELb1EEEN6thrust23THRUST_200600_302600_NS6detail15normal_iteratorINS8_10device_ptrIsEEEEjNS1_16block_id_wrapperIjLb1EEEEEvT_jjPNSG_10value_typeET0_PNSt15iterator_traitsISJ_E10value_typeEmT1_T2_
		.amdhsa_group_segment_fixed_size 0
		.amdhsa_private_segment_fixed_size 0
		.amdhsa_kernarg_size 320
		.amdhsa_user_sgpr_count 6
		.amdhsa_user_sgpr_private_segment_buffer 1
		.amdhsa_user_sgpr_dispatch_ptr 0
		.amdhsa_user_sgpr_queue_ptr 0
		.amdhsa_user_sgpr_kernarg_segment_ptr 1
		.amdhsa_user_sgpr_dispatch_id 0
		.amdhsa_user_sgpr_flat_scratch_init 0
		.amdhsa_user_sgpr_private_segment_size 0
		.amdhsa_wavefront_size32 1
		.amdhsa_uses_dynamic_stack 0
		.amdhsa_system_sgpr_private_segment_wavefront_offset 0
		.amdhsa_system_sgpr_workgroup_id_x 1
		.amdhsa_system_sgpr_workgroup_id_y 0
		.amdhsa_system_sgpr_workgroup_id_z 0
		.amdhsa_system_sgpr_workgroup_info 0
		.amdhsa_system_vgpr_workitem_id 0
		.amdhsa_next_free_vgpr 9
		.amdhsa_next_free_sgpr 17
		.amdhsa_reserve_vcc 1
		.amdhsa_reserve_flat_scratch 0
		.amdhsa_float_round_mode_32 0
		.amdhsa_float_round_mode_16_64 0
		.amdhsa_float_denorm_mode_32 3
		.amdhsa_float_denorm_mode_16_64 3
		.amdhsa_dx10_clamp 1
		.amdhsa_ieee_mode 1
		.amdhsa_fp16_overflow 0
		.amdhsa_workgroup_processor_mode 1
		.amdhsa_memory_ordered 1
		.amdhsa_forward_progress 1
		.amdhsa_shared_vgpr_count 0
		.amdhsa_exception_fp_ieee_invalid_op 0
		.amdhsa_exception_fp_denorm_src 0
		.amdhsa_exception_fp_ieee_div_zero 0
		.amdhsa_exception_fp_ieee_overflow 0
		.amdhsa_exception_fp_ieee_underflow 0
		.amdhsa_exception_fp_ieee_inexact 0
		.amdhsa_exception_int_div_zero 0
	.end_amdhsa_kernel
	.section	.text._ZN7rocprim17ROCPRIM_400000_NS6detail30init_device_scan_by_key_kernelINS1_19lookback_scan_stateINS0_5tupleIJibEEELb0ELb1EEEN6thrust23THRUST_200600_302600_NS6detail15normal_iteratorINS8_10device_ptrIsEEEEjNS1_16block_id_wrapperIjLb1EEEEEvT_jjPNSG_10value_typeET0_PNSt15iterator_traitsISJ_E10value_typeEmT1_T2_,"axG",@progbits,_ZN7rocprim17ROCPRIM_400000_NS6detail30init_device_scan_by_key_kernelINS1_19lookback_scan_stateINS0_5tupleIJibEEELb0ELb1EEEN6thrust23THRUST_200600_302600_NS6detail15normal_iteratorINS8_10device_ptrIsEEEEjNS1_16block_id_wrapperIjLb1EEEEEvT_jjPNSG_10value_typeET0_PNSt15iterator_traitsISJ_E10value_typeEmT1_T2_,comdat
.Lfunc_end1071:
	.size	_ZN7rocprim17ROCPRIM_400000_NS6detail30init_device_scan_by_key_kernelINS1_19lookback_scan_stateINS0_5tupleIJibEEELb0ELb1EEEN6thrust23THRUST_200600_302600_NS6detail15normal_iteratorINS8_10device_ptrIsEEEEjNS1_16block_id_wrapperIjLb1EEEEEvT_jjPNSG_10value_typeET0_PNSt15iterator_traitsISJ_E10value_typeEmT1_T2_, .Lfunc_end1071-_ZN7rocprim17ROCPRIM_400000_NS6detail30init_device_scan_by_key_kernelINS1_19lookback_scan_stateINS0_5tupleIJibEEELb0ELb1EEEN6thrust23THRUST_200600_302600_NS6detail15normal_iteratorINS8_10device_ptrIsEEEEjNS1_16block_id_wrapperIjLb1EEEEEvT_jjPNSG_10value_typeET0_PNSt15iterator_traitsISJ_E10value_typeEmT1_T2_
                                        ; -- End function
	.set _ZN7rocprim17ROCPRIM_400000_NS6detail30init_device_scan_by_key_kernelINS1_19lookback_scan_stateINS0_5tupleIJibEEELb0ELb1EEEN6thrust23THRUST_200600_302600_NS6detail15normal_iteratorINS8_10device_ptrIsEEEEjNS1_16block_id_wrapperIjLb1EEEEEvT_jjPNSG_10value_typeET0_PNSt15iterator_traitsISJ_E10value_typeEmT1_T2_.num_vgpr, 9
	.set _ZN7rocprim17ROCPRIM_400000_NS6detail30init_device_scan_by_key_kernelINS1_19lookback_scan_stateINS0_5tupleIJibEEELb0ELb1EEEN6thrust23THRUST_200600_302600_NS6detail15normal_iteratorINS8_10device_ptrIsEEEEjNS1_16block_id_wrapperIjLb1EEEEEvT_jjPNSG_10value_typeET0_PNSt15iterator_traitsISJ_E10value_typeEmT1_T2_.num_agpr, 0
	.set _ZN7rocprim17ROCPRIM_400000_NS6detail30init_device_scan_by_key_kernelINS1_19lookback_scan_stateINS0_5tupleIJibEEELb0ELb1EEEN6thrust23THRUST_200600_302600_NS6detail15normal_iteratorINS8_10device_ptrIsEEEEjNS1_16block_id_wrapperIjLb1EEEEEvT_jjPNSG_10value_typeET0_PNSt15iterator_traitsISJ_E10value_typeEmT1_T2_.numbered_sgpr, 17
	.set _ZN7rocprim17ROCPRIM_400000_NS6detail30init_device_scan_by_key_kernelINS1_19lookback_scan_stateINS0_5tupleIJibEEELb0ELb1EEEN6thrust23THRUST_200600_302600_NS6detail15normal_iteratorINS8_10device_ptrIsEEEEjNS1_16block_id_wrapperIjLb1EEEEEvT_jjPNSG_10value_typeET0_PNSt15iterator_traitsISJ_E10value_typeEmT1_T2_.num_named_barrier, 0
	.set _ZN7rocprim17ROCPRIM_400000_NS6detail30init_device_scan_by_key_kernelINS1_19lookback_scan_stateINS0_5tupleIJibEEELb0ELb1EEEN6thrust23THRUST_200600_302600_NS6detail15normal_iteratorINS8_10device_ptrIsEEEEjNS1_16block_id_wrapperIjLb1EEEEEvT_jjPNSG_10value_typeET0_PNSt15iterator_traitsISJ_E10value_typeEmT1_T2_.private_seg_size, 0
	.set _ZN7rocprim17ROCPRIM_400000_NS6detail30init_device_scan_by_key_kernelINS1_19lookback_scan_stateINS0_5tupleIJibEEELb0ELb1EEEN6thrust23THRUST_200600_302600_NS6detail15normal_iteratorINS8_10device_ptrIsEEEEjNS1_16block_id_wrapperIjLb1EEEEEvT_jjPNSG_10value_typeET0_PNSt15iterator_traitsISJ_E10value_typeEmT1_T2_.uses_vcc, 1
	.set _ZN7rocprim17ROCPRIM_400000_NS6detail30init_device_scan_by_key_kernelINS1_19lookback_scan_stateINS0_5tupleIJibEEELb0ELb1EEEN6thrust23THRUST_200600_302600_NS6detail15normal_iteratorINS8_10device_ptrIsEEEEjNS1_16block_id_wrapperIjLb1EEEEEvT_jjPNSG_10value_typeET0_PNSt15iterator_traitsISJ_E10value_typeEmT1_T2_.uses_flat_scratch, 0
	.set _ZN7rocprim17ROCPRIM_400000_NS6detail30init_device_scan_by_key_kernelINS1_19lookback_scan_stateINS0_5tupleIJibEEELb0ELb1EEEN6thrust23THRUST_200600_302600_NS6detail15normal_iteratorINS8_10device_ptrIsEEEEjNS1_16block_id_wrapperIjLb1EEEEEvT_jjPNSG_10value_typeET0_PNSt15iterator_traitsISJ_E10value_typeEmT1_T2_.has_dyn_sized_stack, 0
	.set _ZN7rocprim17ROCPRIM_400000_NS6detail30init_device_scan_by_key_kernelINS1_19lookback_scan_stateINS0_5tupleIJibEEELb0ELb1EEEN6thrust23THRUST_200600_302600_NS6detail15normal_iteratorINS8_10device_ptrIsEEEEjNS1_16block_id_wrapperIjLb1EEEEEvT_jjPNSG_10value_typeET0_PNSt15iterator_traitsISJ_E10value_typeEmT1_T2_.has_recursion, 0
	.set _ZN7rocprim17ROCPRIM_400000_NS6detail30init_device_scan_by_key_kernelINS1_19lookback_scan_stateINS0_5tupleIJibEEELb0ELb1EEEN6thrust23THRUST_200600_302600_NS6detail15normal_iteratorINS8_10device_ptrIsEEEEjNS1_16block_id_wrapperIjLb1EEEEEvT_jjPNSG_10value_typeET0_PNSt15iterator_traitsISJ_E10value_typeEmT1_T2_.has_indirect_call, 0
	.section	.AMDGPU.csdata,"",@progbits
; Kernel info:
; codeLenInByte = 728
; TotalNumSgprs: 19
; NumVgprs: 9
; ScratchSize: 0
; MemoryBound: 0
; FloatMode: 240
; IeeeMode: 1
; LDSByteSize: 0 bytes/workgroup (compile time only)
; SGPRBlocks: 0
; VGPRBlocks: 1
; NumSGPRsForWavesPerEU: 19
; NumVGPRsForWavesPerEU: 9
; Occupancy: 16
; WaveLimiterHint : 0
; COMPUTE_PGM_RSRC2:SCRATCH_EN: 0
; COMPUTE_PGM_RSRC2:USER_SGPR: 6
; COMPUTE_PGM_RSRC2:TRAP_HANDLER: 0
; COMPUTE_PGM_RSRC2:TGID_X_EN: 1
; COMPUTE_PGM_RSRC2:TGID_Y_EN: 0
; COMPUTE_PGM_RSRC2:TGID_Z_EN: 0
; COMPUTE_PGM_RSRC2:TIDIG_COMP_CNT: 0
	.section	.text._ZN7rocprim17ROCPRIM_400000_NS6detail17trampoline_kernelINS0_14default_configENS1_27scan_by_key_config_selectorIsiEEZZNS1_16scan_by_key_implILNS1_25lookback_scan_determinismE0ELb1ES3_N6thrust23THRUST_200600_302600_NS6detail15normal_iteratorINS9_10device_ptrIsEEEESE_SE_iNS9_4plusIvEENS9_8equal_toIvEEiEE10hipError_tPvRmT2_T3_T4_T5_mT6_T7_P12ihipStream_tbENKUlT_T0_E_clISt17integral_constantIbLb0EESY_IbLb1EEEEDaSU_SV_EUlSU_E_NS1_11comp_targetILNS1_3genE0ELNS1_11target_archE4294967295ELNS1_3gpuE0ELNS1_3repE0EEENS1_30default_config_static_selectorELNS0_4arch9wavefront6targetE0EEEvT1_,"axG",@progbits,_ZN7rocprim17ROCPRIM_400000_NS6detail17trampoline_kernelINS0_14default_configENS1_27scan_by_key_config_selectorIsiEEZZNS1_16scan_by_key_implILNS1_25lookback_scan_determinismE0ELb1ES3_N6thrust23THRUST_200600_302600_NS6detail15normal_iteratorINS9_10device_ptrIsEEEESE_SE_iNS9_4plusIvEENS9_8equal_toIvEEiEE10hipError_tPvRmT2_T3_T4_T5_mT6_T7_P12ihipStream_tbENKUlT_T0_E_clISt17integral_constantIbLb0EESY_IbLb1EEEEDaSU_SV_EUlSU_E_NS1_11comp_targetILNS1_3genE0ELNS1_11target_archE4294967295ELNS1_3gpuE0ELNS1_3repE0EEENS1_30default_config_static_selectorELNS0_4arch9wavefront6targetE0EEEvT1_,comdat
	.protected	_ZN7rocprim17ROCPRIM_400000_NS6detail17trampoline_kernelINS0_14default_configENS1_27scan_by_key_config_selectorIsiEEZZNS1_16scan_by_key_implILNS1_25lookback_scan_determinismE0ELb1ES3_N6thrust23THRUST_200600_302600_NS6detail15normal_iteratorINS9_10device_ptrIsEEEESE_SE_iNS9_4plusIvEENS9_8equal_toIvEEiEE10hipError_tPvRmT2_T3_T4_T5_mT6_T7_P12ihipStream_tbENKUlT_T0_E_clISt17integral_constantIbLb0EESY_IbLb1EEEEDaSU_SV_EUlSU_E_NS1_11comp_targetILNS1_3genE0ELNS1_11target_archE4294967295ELNS1_3gpuE0ELNS1_3repE0EEENS1_30default_config_static_selectorELNS0_4arch9wavefront6targetE0EEEvT1_ ; -- Begin function _ZN7rocprim17ROCPRIM_400000_NS6detail17trampoline_kernelINS0_14default_configENS1_27scan_by_key_config_selectorIsiEEZZNS1_16scan_by_key_implILNS1_25lookback_scan_determinismE0ELb1ES3_N6thrust23THRUST_200600_302600_NS6detail15normal_iteratorINS9_10device_ptrIsEEEESE_SE_iNS9_4plusIvEENS9_8equal_toIvEEiEE10hipError_tPvRmT2_T3_T4_T5_mT6_T7_P12ihipStream_tbENKUlT_T0_E_clISt17integral_constantIbLb0EESY_IbLb1EEEEDaSU_SV_EUlSU_E_NS1_11comp_targetILNS1_3genE0ELNS1_11target_archE4294967295ELNS1_3gpuE0ELNS1_3repE0EEENS1_30default_config_static_selectorELNS0_4arch9wavefront6targetE0EEEvT1_
	.globl	_ZN7rocprim17ROCPRIM_400000_NS6detail17trampoline_kernelINS0_14default_configENS1_27scan_by_key_config_selectorIsiEEZZNS1_16scan_by_key_implILNS1_25lookback_scan_determinismE0ELb1ES3_N6thrust23THRUST_200600_302600_NS6detail15normal_iteratorINS9_10device_ptrIsEEEESE_SE_iNS9_4plusIvEENS9_8equal_toIvEEiEE10hipError_tPvRmT2_T3_T4_T5_mT6_T7_P12ihipStream_tbENKUlT_T0_E_clISt17integral_constantIbLb0EESY_IbLb1EEEEDaSU_SV_EUlSU_E_NS1_11comp_targetILNS1_3genE0ELNS1_11target_archE4294967295ELNS1_3gpuE0ELNS1_3repE0EEENS1_30default_config_static_selectorELNS0_4arch9wavefront6targetE0EEEvT1_
	.p2align	8
	.type	_ZN7rocprim17ROCPRIM_400000_NS6detail17trampoline_kernelINS0_14default_configENS1_27scan_by_key_config_selectorIsiEEZZNS1_16scan_by_key_implILNS1_25lookback_scan_determinismE0ELb1ES3_N6thrust23THRUST_200600_302600_NS6detail15normal_iteratorINS9_10device_ptrIsEEEESE_SE_iNS9_4plusIvEENS9_8equal_toIvEEiEE10hipError_tPvRmT2_T3_T4_T5_mT6_T7_P12ihipStream_tbENKUlT_T0_E_clISt17integral_constantIbLb0EESY_IbLb1EEEEDaSU_SV_EUlSU_E_NS1_11comp_targetILNS1_3genE0ELNS1_11target_archE4294967295ELNS1_3gpuE0ELNS1_3repE0EEENS1_30default_config_static_selectorELNS0_4arch9wavefront6targetE0EEEvT1_,@function
_ZN7rocprim17ROCPRIM_400000_NS6detail17trampoline_kernelINS0_14default_configENS1_27scan_by_key_config_selectorIsiEEZZNS1_16scan_by_key_implILNS1_25lookback_scan_determinismE0ELb1ES3_N6thrust23THRUST_200600_302600_NS6detail15normal_iteratorINS9_10device_ptrIsEEEESE_SE_iNS9_4plusIvEENS9_8equal_toIvEEiEE10hipError_tPvRmT2_T3_T4_T5_mT6_T7_P12ihipStream_tbENKUlT_T0_E_clISt17integral_constantIbLb0EESY_IbLb1EEEEDaSU_SV_EUlSU_E_NS1_11comp_targetILNS1_3genE0ELNS1_11target_archE4294967295ELNS1_3gpuE0ELNS1_3repE0EEENS1_30default_config_static_selectorELNS0_4arch9wavefront6targetE0EEEvT1_: ; @_ZN7rocprim17ROCPRIM_400000_NS6detail17trampoline_kernelINS0_14default_configENS1_27scan_by_key_config_selectorIsiEEZZNS1_16scan_by_key_implILNS1_25lookback_scan_determinismE0ELb1ES3_N6thrust23THRUST_200600_302600_NS6detail15normal_iteratorINS9_10device_ptrIsEEEESE_SE_iNS9_4plusIvEENS9_8equal_toIvEEiEE10hipError_tPvRmT2_T3_T4_T5_mT6_T7_P12ihipStream_tbENKUlT_T0_E_clISt17integral_constantIbLb0EESY_IbLb1EEEEDaSU_SV_EUlSU_E_NS1_11comp_targetILNS1_3genE0ELNS1_11target_archE4294967295ELNS1_3gpuE0ELNS1_3repE0EEENS1_30default_config_static_selectorELNS0_4arch9wavefront6targetE0EEEvT1_
; %bb.0:
	.section	.rodata,"a",@progbits
	.p2align	6, 0x0
	.amdhsa_kernel _ZN7rocprim17ROCPRIM_400000_NS6detail17trampoline_kernelINS0_14default_configENS1_27scan_by_key_config_selectorIsiEEZZNS1_16scan_by_key_implILNS1_25lookback_scan_determinismE0ELb1ES3_N6thrust23THRUST_200600_302600_NS6detail15normal_iteratorINS9_10device_ptrIsEEEESE_SE_iNS9_4plusIvEENS9_8equal_toIvEEiEE10hipError_tPvRmT2_T3_T4_T5_mT6_T7_P12ihipStream_tbENKUlT_T0_E_clISt17integral_constantIbLb0EESY_IbLb1EEEEDaSU_SV_EUlSU_E_NS1_11comp_targetILNS1_3genE0ELNS1_11target_archE4294967295ELNS1_3gpuE0ELNS1_3repE0EEENS1_30default_config_static_selectorELNS0_4arch9wavefront6targetE0EEEvT1_
		.amdhsa_group_segment_fixed_size 0
		.amdhsa_private_segment_fixed_size 0
		.amdhsa_kernarg_size 112
		.amdhsa_user_sgpr_count 6
		.amdhsa_user_sgpr_private_segment_buffer 1
		.amdhsa_user_sgpr_dispatch_ptr 0
		.amdhsa_user_sgpr_queue_ptr 0
		.amdhsa_user_sgpr_kernarg_segment_ptr 1
		.amdhsa_user_sgpr_dispatch_id 0
		.amdhsa_user_sgpr_flat_scratch_init 0
		.amdhsa_user_sgpr_private_segment_size 0
		.amdhsa_wavefront_size32 1
		.amdhsa_uses_dynamic_stack 0
		.amdhsa_system_sgpr_private_segment_wavefront_offset 0
		.amdhsa_system_sgpr_workgroup_id_x 1
		.amdhsa_system_sgpr_workgroup_id_y 0
		.amdhsa_system_sgpr_workgroup_id_z 0
		.amdhsa_system_sgpr_workgroup_info 0
		.amdhsa_system_vgpr_workitem_id 0
		.amdhsa_next_free_vgpr 1
		.amdhsa_next_free_sgpr 1
		.amdhsa_reserve_vcc 0
		.amdhsa_reserve_flat_scratch 0
		.amdhsa_float_round_mode_32 0
		.amdhsa_float_round_mode_16_64 0
		.amdhsa_float_denorm_mode_32 3
		.amdhsa_float_denorm_mode_16_64 3
		.amdhsa_dx10_clamp 1
		.amdhsa_ieee_mode 1
		.amdhsa_fp16_overflow 0
		.amdhsa_workgroup_processor_mode 1
		.amdhsa_memory_ordered 1
		.amdhsa_forward_progress 1
		.amdhsa_shared_vgpr_count 0
		.amdhsa_exception_fp_ieee_invalid_op 0
		.amdhsa_exception_fp_denorm_src 0
		.amdhsa_exception_fp_ieee_div_zero 0
		.amdhsa_exception_fp_ieee_overflow 0
		.amdhsa_exception_fp_ieee_underflow 0
		.amdhsa_exception_fp_ieee_inexact 0
		.amdhsa_exception_int_div_zero 0
	.end_amdhsa_kernel
	.section	.text._ZN7rocprim17ROCPRIM_400000_NS6detail17trampoline_kernelINS0_14default_configENS1_27scan_by_key_config_selectorIsiEEZZNS1_16scan_by_key_implILNS1_25lookback_scan_determinismE0ELb1ES3_N6thrust23THRUST_200600_302600_NS6detail15normal_iteratorINS9_10device_ptrIsEEEESE_SE_iNS9_4plusIvEENS9_8equal_toIvEEiEE10hipError_tPvRmT2_T3_T4_T5_mT6_T7_P12ihipStream_tbENKUlT_T0_E_clISt17integral_constantIbLb0EESY_IbLb1EEEEDaSU_SV_EUlSU_E_NS1_11comp_targetILNS1_3genE0ELNS1_11target_archE4294967295ELNS1_3gpuE0ELNS1_3repE0EEENS1_30default_config_static_selectorELNS0_4arch9wavefront6targetE0EEEvT1_,"axG",@progbits,_ZN7rocprim17ROCPRIM_400000_NS6detail17trampoline_kernelINS0_14default_configENS1_27scan_by_key_config_selectorIsiEEZZNS1_16scan_by_key_implILNS1_25lookback_scan_determinismE0ELb1ES3_N6thrust23THRUST_200600_302600_NS6detail15normal_iteratorINS9_10device_ptrIsEEEESE_SE_iNS9_4plusIvEENS9_8equal_toIvEEiEE10hipError_tPvRmT2_T3_T4_T5_mT6_T7_P12ihipStream_tbENKUlT_T0_E_clISt17integral_constantIbLb0EESY_IbLb1EEEEDaSU_SV_EUlSU_E_NS1_11comp_targetILNS1_3genE0ELNS1_11target_archE4294967295ELNS1_3gpuE0ELNS1_3repE0EEENS1_30default_config_static_selectorELNS0_4arch9wavefront6targetE0EEEvT1_,comdat
.Lfunc_end1072:
	.size	_ZN7rocprim17ROCPRIM_400000_NS6detail17trampoline_kernelINS0_14default_configENS1_27scan_by_key_config_selectorIsiEEZZNS1_16scan_by_key_implILNS1_25lookback_scan_determinismE0ELb1ES3_N6thrust23THRUST_200600_302600_NS6detail15normal_iteratorINS9_10device_ptrIsEEEESE_SE_iNS9_4plusIvEENS9_8equal_toIvEEiEE10hipError_tPvRmT2_T3_T4_T5_mT6_T7_P12ihipStream_tbENKUlT_T0_E_clISt17integral_constantIbLb0EESY_IbLb1EEEEDaSU_SV_EUlSU_E_NS1_11comp_targetILNS1_3genE0ELNS1_11target_archE4294967295ELNS1_3gpuE0ELNS1_3repE0EEENS1_30default_config_static_selectorELNS0_4arch9wavefront6targetE0EEEvT1_, .Lfunc_end1072-_ZN7rocprim17ROCPRIM_400000_NS6detail17trampoline_kernelINS0_14default_configENS1_27scan_by_key_config_selectorIsiEEZZNS1_16scan_by_key_implILNS1_25lookback_scan_determinismE0ELb1ES3_N6thrust23THRUST_200600_302600_NS6detail15normal_iteratorINS9_10device_ptrIsEEEESE_SE_iNS9_4plusIvEENS9_8equal_toIvEEiEE10hipError_tPvRmT2_T3_T4_T5_mT6_T7_P12ihipStream_tbENKUlT_T0_E_clISt17integral_constantIbLb0EESY_IbLb1EEEEDaSU_SV_EUlSU_E_NS1_11comp_targetILNS1_3genE0ELNS1_11target_archE4294967295ELNS1_3gpuE0ELNS1_3repE0EEENS1_30default_config_static_selectorELNS0_4arch9wavefront6targetE0EEEvT1_
                                        ; -- End function
	.set _ZN7rocprim17ROCPRIM_400000_NS6detail17trampoline_kernelINS0_14default_configENS1_27scan_by_key_config_selectorIsiEEZZNS1_16scan_by_key_implILNS1_25lookback_scan_determinismE0ELb1ES3_N6thrust23THRUST_200600_302600_NS6detail15normal_iteratorINS9_10device_ptrIsEEEESE_SE_iNS9_4plusIvEENS9_8equal_toIvEEiEE10hipError_tPvRmT2_T3_T4_T5_mT6_T7_P12ihipStream_tbENKUlT_T0_E_clISt17integral_constantIbLb0EESY_IbLb1EEEEDaSU_SV_EUlSU_E_NS1_11comp_targetILNS1_3genE0ELNS1_11target_archE4294967295ELNS1_3gpuE0ELNS1_3repE0EEENS1_30default_config_static_selectorELNS0_4arch9wavefront6targetE0EEEvT1_.num_vgpr, 0
	.set _ZN7rocprim17ROCPRIM_400000_NS6detail17trampoline_kernelINS0_14default_configENS1_27scan_by_key_config_selectorIsiEEZZNS1_16scan_by_key_implILNS1_25lookback_scan_determinismE0ELb1ES3_N6thrust23THRUST_200600_302600_NS6detail15normal_iteratorINS9_10device_ptrIsEEEESE_SE_iNS9_4plusIvEENS9_8equal_toIvEEiEE10hipError_tPvRmT2_T3_T4_T5_mT6_T7_P12ihipStream_tbENKUlT_T0_E_clISt17integral_constantIbLb0EESY_IbLb1EEEEDaSU_SV_EUlSU_E_NS1_11comp_targetILNS1_3genE0ELNS1_11target_archE4294967295ELNS1_3gpuE0ELNS1_3repE0EEENS1_30default_config_static_selectorELNS0_4arch9wavefront6targetE0EEEvT1_.num_agpr, 0
	.set _ZN7rocprim17ROCPRIM_400000_NS6detail17trampoline_kernelINS0_14default_configENS1_27scan_by_key_config_selectorIsiEEZZNS1_16scan_by_key_implILNS1_25lookback_scan_determinismE0ELb1ES3_N6thrust23THRUST_200600_302600_NS6detail15normal_iteratorINS9_10device_ptrIsEEEESE_SE_iNS9_4plusIvEENS9_8equal_toIvEEiEE10hipError_tPvRmT2_T3_T4_T5_mT6_T7_P12ihipStream_tbENKUlT_T0_E_clISt17integral_constantIbLb0EESY_IbLb1EEEEDaSU_SV_EUlSU_E_NS1_11comp_targetILNS1_3genE0ELNS1_11target_archE4294967295ELNS1_3gpuE0ELNS1_3repE0EEENS1_30default_config_static_selectorELNS0_4arch9wavefront6targetE0EEEvT1_.numbered_sgpr, 0
	.set _ZN7rocprim17ROCPRIM_400000_NS6detail17trampoline_kernelINS0_14default_configENS1_27scan_by_key_config_selectorIsiEEZZNS1_16scan_by_key_implILNS1_25lookback_scan_determinismE0ELb1ES3_N6thrust23THRUST_200600_302600_NS6detail15normal_iteratorINS9_10device_ptrIsEEEESE_SE_iNS9_4plusIvEENS9_8equal_toIvEEiEE10hipError_tPvRmT2_T3_T4_T5_mT6_T7_P12ihipStream_tbENKUlT_T0_E_clISt17integral_constantIbLb0EESY_IbLb1EEEEDaSU_SV_EUlSU_E_NS1_11comp_targetILNS1_3genE0ELNS1_11target_archE4294967295ELNS1_3gpuE0ELNS1_3repE0EEENS1_30default_config_static_selectorELNS0_4arch9wavefront6targetE0EEEvT1_.num_named_barrier, 0
	.set _ZN7rocprim17ROCPRIM_400000_NS6detail17trampoline_kernelINS0_14default_configENS1_27scan_by_key_config_selectorIsiEEZZNS1_16scan_by_key_implILNS1_25lookback_scan_determinismE0ELb1ES3_N6thrust23THRUST_200600_302600_NS6detail15normal_iteratorINS9_10device_ptrIsEEEESE_SE_iNS9_4plusIvEENS9_8equal_toIvEEiEE10hipError_tPvRmT2_T3_T4_T5_mT6_T7_P12ihipStream_tbENKUlT_T0_E_clISt17integral_constantIbLb0EESY_IbLb1EEEEDaSU_SV_EUlSU_E_NS1_11comp_targetILNS1_3genE0ELNS1_11target_archE4294967295ELNS1_3gpuE0ELNS1_3repE0EEENS1_30default_config_static_selectorELNS0_4arch9wavefront6targetE0EEEvT1_.private_seg_size, 0
	.set _ZN7rocprim17ROCPRIM_400000_NS6detail17trampoline_kernelINS0_14default_configENS1_27scan_by_key_config_selectorIsiEEZZNS1_16scan_by_key_implILNS1_25lookback_scan_determinismE0ELb1ES3_N6thrust23THRUST_200600_302600_NS6detail15normal_iteratorINS9_10device_ptrIsEEEESE_SE_iNS9_4plusIvEENS9_8equal_toIvEEiEE10hipError_tPvRmT2_T3_T4_T5_mT6_T7_P12ihipStream_tbENKUlT_T0_E_clISt17integral_constantIbLb0EESY_IbLb1EEEEDaSU_SV_EUlSU_E_NS1_11comp_targetILNS1_3genE0ELNS1_11target_archE4294967295ELNS1_3gpuE0ELNS1_3repE0EEENS1_30default_config_static_selectorELNS0_4arch9wavefront6targetE0EEEvT1_.uses_vcc, 0
	.set _ZN7rocprim17ROCPRIM_400000_NS6detail17trampoline_kernelINS0_14default_configENS1_27scan_by_key_config_selectorIsiEEZZNS1_16scan_by_key_implILNS1_25lookback_scan_determinismE0ELb1ES3_N6thrust23THRUST_200600_302600_NS6detail15normal_iteratorINS9_10device_ptrIsEEEESE_SE_iNS9_4plusIvEENS9_8equal_toIvEEiEE10hipError_tPvRmT2_T3_T4_T5_mT6_T7_P12ihipStream_tbENKUlT_T0_E_clISt17integral_constantIbLb0EESY_IbLb1EEEEDaSU_SV_EUlSU_E_NS1_11comp_targetILNS1_3genE0ELNS1_11target_archE4294967295ELNS1_3gpuE0ELNS1_3repE0EEENS1_30default_config_static_selectorELNS0_4arch9wavefront6targetE0EEEvT1_.uses_flat_scratch, 0
	.set _ZN7rocprim17ROCPRIM_400000_NS6detail17trampoline_kernelINS0_14default_configENS1_27scan_by_key_config_selectorIsiEEZZNS1_16scan_by_key_implILNS1_25lookback_scan_determinismE0ELb1ES3_N6thrust23THRUST_200600_302600_NS6detail15normal_iteratorINS9_10device_ptrIsEEEESE_SE_iNS9_4plusIvEENS9_8equal_toIvEEiEE10hipError_tPvRmT2_T3_T4_T5_mT6_T7_P12ihipStream_tbENKUlT_T0_E_clISt17integral_constantIbLb0EESY_IbLb1EEEEDaSU_SV_EUlSU_E_NS1_11comp_targetILNS1_3genE0ELNS1_11target_archE4294967295ELNS1_3gpuE0ELNS1_3repE0EEENS1_30default_config_static_selectorELNS0_4arch9wavefront6targetE0EEEvT1_.has_dyn_sized_stack, 0
	.set _ZN7rocprim17ROCPRIM_400000_NS6detail17trampoline_kernelINS0_14default_configENS1_27scan_by_key_config_selectorIsiEEZZNS1_16scan_by_key_implILNS1_25lookback_scan_determinismE0ELb1ES3_N6thrust23THRUST_200600_302600_NS6detail15normal_iteratorINS9_10device_ptrIsEEEESE_SE_iNS9_4plusIvEENS9_8equal_toIvEEiEE10hipError_tPvRmT2_T3_T4_T5_mT6_T7_P12ihipStream_tbENKUlT_T0_E_clISt17integral_constantIbLb0EESY_IbLb1EEEEDaSU_SV_EUlSU_E_NS1_11comp_targetILNS1_3genE0ELNS1_11target_archE4294967295ELNS1_3gpuE0ELNS1_3repE0EEENS1_30default_config_static_selectorELNS0_4arch9wavefront6targetE0EEEvT1_.has_recursion, 0
	.set _ZN7rocprim17ROCPRIM_400000_NS6detail17trampoline_kernelINS0_14default_configENS1_27scan_by_key_config_selectorIsiEEZZNS1_16scan_by_key_implILNS1_25lookback_scan_determinismE0ELb1ES3_N6thrust23THRUST_200600_302600_NS6detail15normal_iteratorINS9_10device_ptrIsEEEESE_SE_iNS9_4plusIvEENS9_8equal_toIvEEiEE10hipError_tPvRmT2_T3_T4_T5_mT6_T7_P12ihipStream_tbENKUlT_T0_E_clISt17integral_constantIbLb0EESY_IbLb1EEEEDaSU_SV_EUlSU_E_NS1_11comp_targetILNS1_3genE0ELNS1_11target_archE4294967295ELNS1_3gpuE0ELNS1_3repE0EEENS1_30default_config_static_selectorELNS0_4arch9wavefront6targetE0EEEvT1_.has_indirect_call, 0
	.section	.AMDGPU.csdata,"",@progbits
; Kernel info:
; codeLenInByte = 0
; TotalNumSgprs: 0
; NumVgprs: 0
; ScratchSize: 0
; MemoryBound: 0
; FloatMode: 240
; IeeeMode: 1
; LDSByteSize: 0 bytes/workgroup (compile time only)
; SGPRBlocks: 0
; VGPRBlocks: 0
; NumSGPRsForWavesPerEU: 1
; NumVGPRsForWavesPerEU: 1
; Occupancy: 16
; WaveLimiterHint : 0
; COMPUTE_PGM_RSRC2:SCRATCH_EN: 0
; COMPUTE_PGM_RSRC2:USER_SGPR: 6
; COMPUTE_PGM_RSRC2:TRAP_HANDLER: 0
; COMPUTE_PGM_RSRC2:TGID_X_EN: 1
; COMPUTE_PGM_RSRC2:TGID_Y_EN: 0
; COMPUTE_PGM_RSRC2:TGID_Z_EN: 0
; COMPUTE_PGM_RSRC2:TIDIG_COMP_CNT: 0
	.section	.text._ZN7rocprim17ROCPRIM_400000_NS6detail17trampoline_kernelINS0_14default_configENS1_27scan_by_key_config_selectorIsiEEZZNS1_16scan_by_key_implILNS1_25lookback_scan_determinismE0ELb1ES3_N6thrust23THRUST_200600_302600_NS6detail15normal_iteratorINS9_10device_ptrIsEEEESE_SE_iNS9_4plusIvEENS9_8equal_toIvEEiEE10hipError_tPvRmT2_T3_T4_T5_mT6_T7_P12ihipStream_tbENKUlT_T0_E_clISt17integral_constantIbLb0EESY_IbLb1EEEEDaSU_SV_EUlSU_E_NS1_11comp_targetILNS1_3genE10ELNS1_11target_archE1201ELNS1_3gpuE5ELNS1_3repE0EEENS1_30default_config_static_selectorELNS0_4arch9wavefront6targetE0EEEvT1_,"axG",@progbits,_ZN7rocprim17ROCPRIM_400000_NS6detail17trampoline_kernelINS0_14default_configENS1_27scan_by_key_config_selectorIsiEEZZNS1_16scan_by_key_implILNS1_25lookback_scan_determinismE0ELb1ES3_N6thrust23THRUST_200600_302600_NS6detail15normal_iteratorINS9_10device_ptrIsEEEESE_SE_iNS9_4plusIvEENS9_8equal_toIvEEiEE10hipError_tPvRmT2_T3_T4_T5_mT6_T7_P12ihipStream_tbENKUlT_T0_E_clISt17integral_constantIbLb0EESY_IbLb1EEEEDaSU_SV_EUlSU_E_NS1_11comp_targetILNS1_3genE10ELNS1_11target_archE1201ELNS1_3gpuE5ELNS1_3repE0EEENS1_30default_config_static_selectorELNS0_4arch9wavefront6targetE0EEEvT1_,comdat
	.protected	_ZN7rocprim17ROCPRIM_400000_NS6detail17trampoline_kernelINS0_14default_configENS1_27scan_by_key_config_selectorIsiEEZZNS1_16scan_by_key_implILNS1_25lookback_scan_determinismE0ELb1ES3_N6thrust23THRUST_200600_302600_NS6detail15normal_iteratorINS9_10device_ptrIsEEEESE_SE_iNS9_4plusIvEENS9_8equal_toIvEEiEE10hipError_tPvRmT2_T3_T4_T5_mT6_T7_P12ihipStream_tbENKUlT_T0_E_clISt17integral_constantIbLb0EESY_IbLb1EEEEDaSU_SV_EUlSU_E_NS1_11comp_targetILNS1_3genE10ELNS1_11target_archE1201ELNS1_3gpuE5ELNS1_3repE0EEENS1_30default_config_static_selectorELNS0_4arch9wavefront6targetE0EEEvT1_ ; -- Begin function _ZN7rocprim17ROCPRIM_400000_NS6detail17trampoline_kernelINS0_14default_configENS1_27scan_by_key_config_selectorIsiEEZZNS1_16scan_by_key_implILNS1_25lookback_scan_determinismE0ELb1ES3_N6thrust23THRUST_200600_302600_NS6detail15normal_iteratorINS9_10device_ptrIsEEEESE_SE_iNS9_4plusIvEENS9_8equal_toIvEEiEE10hipError_tPvRmT2_T3_T4_T5_mT6_T7_P12ihipStream_tbENKUlT_T0_E_clISt17integral_constantIbLb0EESY_IbLb1EEEEDaSU_SV_EUlSU_E_NS1_11comp_targetILNS1_3genE10ELNS1_11target_archE1201ELNS1_3gpuE5ELNS1_3repE0EEENS1_30default_config_static_selectorELNS0_4arch9wavefront6targetE0EEEvT1_
	.globl	_ZN7rocprim17ROCPRIM_400000_NS6detail17trampoline_kernelINS0_14default_configENS1_27scan_by_key_config_selectorIsiEEZZNS1_16scan_by_key_implILNS1_25lookback_scan_determinismE0ELb1ES3_N6thrust23THRUST_200600_302600_NS6detail15normal_iteratorINS9_10device_ptrIsEEEESE_SE_iNS9_4plusIvEENS9_8equal_toIvEEiEE10hipError_tPvRmT2_T3_T4_T5_mT6_T7_P12ihipStream_tbENKUlT_T0_E_clISt17integral_constantIbLb0EESY_IbLb1EEEEDaSU_SV_EUlSU_E_NS1_11comp_targetILNS1_3genE10ELNS1_11target_archE1201ELNS1_3gpuE5ELNS1_3repE0EEENS1_30default_config_static_selectorELNS0_4arch9wavefront6targetE0EEEvT1_
	.p2align	8
	.type	_ZN7rocprim17ROCPRIM_400000_NS6detail17trampoline_kernelINS0_14default_configENS1_27scan_by_key_config_selectorIsiEEZZNS1_16scan_by_key_implILNS1_25lookback_scan_determinismE0ELb1ES3_N6thrust23THRUST_200600_302600_NS6detail15normal_iteratorINS9_10device_ptrIsEEEESE_SE_iNS9_4plusIvEENS9_8equal_toIvEEiEE10hipError_tPvRmT2_T3_T4_T5_mT6_T7_P12ihipStream_tbENKUlT_T0_E_clISt17integral_constantIbLb0EESY_IbLb1EEEEDaSU_SV_EUlSU_E_NS1_11comp_targetILNS1_3genE10ELNS1_11target_archE1201ELNS1_3gpuE5ELNS1_3repE0EEENS1_30default_config_static_selectorELNS0_4arch9wavefront6targetE0EEEvT1_,@function
_ZN7rocprim17ROCPRIM_400000_NS6detail17trampoline_kernelINS0_14default_configENS1_27scan_by_key_config_selectorIsiEEZZNS1_16scan_by_key_implILNS1_25lookback_scan_determinismE0ELb1ES3_N6thrust23THRUST_200600_302600_NS6detail15normal_iteratorINS9_10device_ptrIsEEEESE_SE_iNS9_4plusIvEENS9_8equal_toIvEEiEE10hipError_tPvRmT2_T3_T4_T5_mT6_T7_P12ihipStream_tbENKUlT_T0_E_clISt17integral_constantIbLb0EESY_IbLb1EEEEDaSU_SV_EUlSU_E_NS1_11comp_targetILNS1_3genE10ELNS1_11target_archE1201ELNS1_3gpuE5ELNS1_3repE0EEENS1_30default_config_static_selectorELNS0_4arch9wavefront6targetE0EEEvT1_: ; @_ZN7rocprim17ROCPRIM_400000_NS6detail17trampoline_kernelINS0_14default_configENS1_27scan_by_key_config_selectorIsiEEZZNS1_16scan_by_key_implILNS1_25lookback_scan_determinismE0ELb1ES3_N6thrust23THRUST_200600_302600_NS6detail15normal_iteratorINS9_10device_ptrIsEEEESE_SE_iNS9_4plusIvEENS9_8equal_toIvEEiEE10hipError_tPvRmT2_T3_T4_T5_mT6_T7_P12ihipStream_tbENKUlT_T0_E_clISt17integral_constantIbLb0EESY_IbLb1EEEEDaSU_SV_EUlSU_E_NS1_11comp_targetILNS1_3genE10ELNS1_11target_archE1201ELNS1_3gpuE5ELNS1_3repE0EEENS1_30default_config_static_selectorELNS0_4arch9wavefront6targetE0EEEvT1_
; %bb.0:
	.section	.rodata,"a",@progbits
	.p2align	6, 0x0
	.amdhsa_kernel _ZN7rocprim17ROCPRIM_400000_NS6detail17trampoline_kernelINS0_14default_configENS1_27scan_by_key_config_selectorIsiEEZZNS1_16scan_by_key_implILNS1_25lookback_scan_determinismE0ELb1ES3_N6thrust23THRUST_200600_302600_NS6detail15normal_iteratorINS9_10device_ptrIsEEEESE_SE_iNS9_4plusIvEENS9_8equal_toIvEEiEE10hipError_tPvRmT2_T3_T4_T5_mT6_T7_P12ihipStream_tbENKUlT_T0_E_clISt17integral_constantIbLb0EESY_IbLb1EEEEDaSU_SV_EUlSU_E_NS1_11comp_targetILNS1_3genE10ELNS1_11target_archE1201ELNS1_3gpuE5ELNS1_3repE0EEENS1_30default_config_static_selectorELNS0_4arch9wavefront6targetE0EEEvT1_
		.amdhsa_group_segment_fixed_size 0
		.amdhsa_private_segment_fixed_size 0
		.amdhsa_kernarg_size 112
		.amdhsa_user_sgpr_count 6
		.amdhsa_user_sgpr_private_segment_buffer 1
		.amdhsa_user_sgpr_dispatch_ptr 0
		.amdhsa_user_sgpr_queue_ptr 0
		.amdhsa_user_sgpr_kernarg_segment_ptr 1
		.amdhsa_user_sgpr_dispatch_id 0
		.amdhsa_user_sgpr_flat_scratch_init 0
		.amdhsa_user_sgpr_private_segment_size 0
		.amdhsa_wavefront_size32 1
		.amdhsa_uses_dynamic_stack 0
		.amdhsa_system_sgpr_private_segment_wavefront_offset 0
		.amdhsa_system_sgpr_workgroup_id_x 1
		.amdhsa_system_sgpr_workgroup_id_y 0
		.amdhsa_system_sgpr_workgroup_id_z 0
		.amdhsa_system_sgpr_workgroup_info 0
		.amdhsa_system_vgpr_workitem_id 0
		.amdhsa_next_free_vgpr 1
		.amdhsa_next_free_sgpr 1
		.amdhsa_reserve_vcc 0
		.amdhsa_reserve_flat_scratch 0
		.amdhsa_float_round_mode_32 0
		.amdhsa_float_round_mode_16_64 0
		.amdhsa_float_denorm_mode_32 3
		.amdhsa_float_denorm_mode_16_64 3
		.amdhsa_dx10_clamp 1
		.amdhsa_ieee_mode 1
		.amdhsa_fp16_overflow 0
		.amdhsa_workgroup_processor_mode 1
		.amdhsa_memory_ordered 1
		.amdhsa_forward_progress 1
		.amdhsa_shared_vgpr_count 0
		.amdhsa_exception_fp_ieee_invalid_op 0
		.amdhsa_exception_fp_denorm_src 0
		.amdhsa_exception_fp_ieee_div_zero 0
		.amdhsa_exception_fp_ieee_overflow 0
		.amdhsa_exception_fp_ieee_underflow 0
		.amdhsa_exception_fp_ieee_inexact 0
		.amdhsa_exception_int_div_zero 0
	.end_amdhsa_kernel
	.section	.text._ZN7rocprim17ROCPRIM_400000_NS6detail17trampoline_kernelINS0_14default_configENS1_27scan_by_key_config_selectorIsiEEZZNS1_16scan_by_key_implILNS1_25lookback_scan_determinismE0ELb1ES3_N6thrust23THRUST_200600_302600_NS6detail15normal_iteratorINS9_10device_ptrIsEEEESE_SE_iNS9_4plusIvEENS9_8equal_toIvEEiEE10hipError_tPvRmT2_T3_T4_T5_mT6_T7_P12ihipStream_tbENKUlT_T0_E_clISt17integral_constantIbLb0EESY_IbLb1EEEEDaSU_SV_EUlSU_E_NS1_11comp_targetILNS1_3genE10ELNS1_11target_archE1201ELNS1_3gpuE5ELNS1_3repE0EEENS1_30default_config_static_selectorELNS0_4arch9wavefront6targetE0EEEvT1_,"axG",@progbits,_ZN7rocprim17ROCPRIM_400000_NS6detail17trampoline_kernelINS0_14default_configENS1_27scan_by_key_config_selectorIsiEEZZNS1_16scan_by_key_implILNS1_25lookback_scan_determinismE0ELb1ES3_N6thrust23THRUST_200600_302600_NS6detail15normal_iteratorINS9_10device_ptrIsEEEESE_SE_iNS9_4plusIvEENS9_8equal_toIvEEiEE10hipError_tPvRmT2_T3_T4_T5_mT6_T7_P12ihipStream_tbENKUlT_T0_E_clISt17integral_constantIbLb0EESY_IbLb1EEEEDaSU_SV_EUlSU_E_NS1_11comp_targetILNS1_3genE10ELNS1_11target_archE1201ELNS1_3gpuE5ELNS1_3repE0EEENS1_30default_config_static_selectorELNS0_4arch9wavefront6targetE0EEEvT1_,comdat
.Lfunc_end1073:
	.size	_ZN7rocprim17ROCPRIM_400000_NS6detail17trampoline_kernelINS0_14default_configENS1_27scan_by_key_config_selectorIsiEEZZNS1_16scan_by_key_implILNS1_25lookback_scan_determinismE0ELb1ES3_N6thrust23THRUST_200600_302600_NS6detail15normal_iteratorINS9_10device_ptrIsEEEESE_SE_iNS9_4plusIvEENS9_8equal_toIvEEiEE10hipError_tPvRmT2_T3_T4_T5_mT6_T7_P12ihipStream_tbENKUlT_T0_E_clISt17integral_constantIbLb0EESY_IbLb1EEEEDaSU_SV_EUlSU_E_NS1_11comp_targetILNS1_3genE10ELNS1_11target_archE1201ELNS1_3gpuE5ELNS1_3repE0EEENS1_30default_config_static_selectorELNS0_4arch9wavefront6targetE0EEEvT1_, .Lfunc_end1073-_ZN7rocprim17ROCPRIM_400000_NS6detail17trampoline_kernelINS0_14default_configENS1_27scan_by_key_config_selectorIsiEEZZNS1_16scan_by_key_implILNS1_25lookback_scan_determinismE0ELb1ES3_N6thrust23THRUST_200600_302600_NS6detail15normal_iteratorINS9_10device_ptrIsEEEESE_SE_iNS9_4plusIvEENS9_8equal_toIvEEiEE10hipError_tPvRmT2_T3_T4_T5_mT6_T7_P12ihipStream_tbENKUlT_T0_E_clISt17integral_constantIbLb0EESY_IbLb1EEEEDaSU_SV_EUlSU_E_NS1_11comp_targetILNS1_3genE10ELNS1_11target_archE1201ELNS1_3gpuE5ELNS1_3repE0EEENS1_30default_config_static_selectorELNS0_4arch9wavefront6targetE0EEEvT1_
                                        ; -- End function
	.set _ZN7rocprim17ROCPRIM_400000_NS6detail17trampoline_kernelINS0_14default_configENS1_27scan_by_key_config_selectorIsiEEZZNS1_16scan_by_key_implILNS1_25lookback_scan_determinismE0ELb1ES3_N6thrust23THRUST_200600_302600_NS6detail15normal_iteratorINS9_10device_ptrIsEEEESE_SE_iNS9_4plusIvEENS9_8equal_toIvEEiEE10hipError_tPvRmT2_T3_T4_T5_mT6_T7_P12ihipStream_tbENKUlT_T0_E_clISt17integral_constantIbLb0EESY_IbLb1EEEEDaSU_SV_EUlSU_E_NS1_11comp_targetILNS1_3genE10ELNS1_11target_archE1201ELNS1_3gpuE5ELNS1_3repE0EEENS1_30default_config_static_selectorELNS0_4arch9wavefront6targetE0EEEvT1_.num_vgpr, 0
	.set _ZN7rocprim17ROCPRIM_400000_NS6detail17trampoline_kernelINS0_14default_configENS1_27scan_by_key_config_selectorIsiEEZZNS1_16scan_by_key_implILNS1_25lookback_scan_determinismE0ELb1ES3_N6thrust23THRUST_200600_302600_NS6detail15normal_iteratorINS9_10device_ptrIsEEEESE_SE_iNS9_4plusIvEENS9_8equal_toIvEEiEE10hipError_tPvRmT2_T3_T4_T5_mT6_T7_P12ihipStream_tbENKUlT_T0_E_clISt17integral_constantIbLb0EESY_IbLb1EEEEDaSU_SV_EUlSU_E_NS1_11comp_targetILNS1_3genE10ELNS1_11target_archE1201ELNS1_3gpuE5ELNS1_3repE0EEENS1_30default_config_static_selectorELNS0_4arch9wavefront6targetE0EEEvT1_.num_agpr, 0
	.set _ZN7rocprim17ROCPRIM_400000_NS6detail17trampoline_kernelINS0_14default_configENS1_27scan_by_key_config_selectorIsiEEZZNS1_16scan_by_key_implILNS1_25lookback_scan_determinismE0ELb1ES3_N6thrust23THRUST_200600_302600_NS6detail15normal_iteratorINS9_10device_ptrIsEEEESE_SE_iNS9_4plusIvEENS9_8equal_toIvEEiEE10hipError_tPvRmT2_T3_T4_T5_mT6_T7_P12ihipStream_tbENKUlT_T0_E_clISt17integral_constantIbLb0EESY_IbLb1EEEEDaSU_SV_EUlSU_E_NS1_11comp_targetILNS1_3genE10ELNS1_11target_archE1201ELNS1_3gpuE5ELNS1_3repE0EEENS1_30default_config_static_selectorELNS0_4arch9wavefront6targetE0EEEvT1_.numbered_sgpr, 0
	.set _ZN7rocprim17ROCPRIM_400000_NS6detail17trampoline_kernelINS0_14default_configENS1_27scan_by_key_config_selectorIsiEEZZNS1_16scan_by_key_implILNS1_25lookback_scan_determinismE0ELb1ES3_N6thrust23THRUST_200600_302600_NS6detail15normal_iteratorINS9_10device_ptrIsEEEESE_SE_iNS9_4plusIvEENS9_8equal_toIvEEiEE10hipError_tPvRmT2_T3_T4_T5_mT6_T7_P12ihipStream_tbENKUlT_T0_E_clISt17integral_constantIbLb0EESY_IbLb1EEEEDaSU_SV_EUlSU_E_NS1_11comp_targetILNS1_3genE10ELNS1_11target_archE1201ELNS1_3gpuE5ELNS1_3repE0EEENS1_30default_config_static_selectorELNS0_4arch9wavefront6targetE0EEEvT1_.num_named_barrier, 0
	.set _ZN7rocprim17ROCPRIM_400000_NS6detail17trampoline_kernelINS0_14default_configENS1_27scan_by_key_config_selectorIsiEEZZNS1_16scan_by_key_implILNS1_25lookback_scan_determinismE0ELb1ES3_N6thrust23THRUST_200600_302600_NS6detail15normal_iteratorINS9_10device_ptrIsEEEESE_SE_iNS9_4plusIvEENS9_8equal_toIvEEiEE10hipError_tPvRmT2_T3_T4_T5_mT6_T7_P12ihipStream_tbENKUlT_T0_E_clISt17integral_constantIbLb0EESY_IbLb1EEEEDaSU_SV_EUlSU_E_NS1_11comp_targetILNS1_3genE10ELNS1_11target_archE1201ELNS1_3gpuE5ELNS1_3repE0EEENS1_30default_config_static_selectorELNS0_4arch9wavefront6targetE0EEEvT1_.private_seg_size, 0
	.set _ZN7rocprim17ROCPRIM_400000_NS6detail17trampoline_kernelINS0_14default_configENS1_27scan_by_key_config_selectorIsiEEZZNS1_16scan_by_key_implILNS1_25lookback_scan_determinismE0ELb1ES3_N6thrust23THRUST_200600_302600_NS6detail15normal_iteratorINS9_10device_ptrIsEEEESE_SE_iNS9_4plusIvEENS9_8equal_toIvEEiEE10hipError_tPvRmT2_T3_T4_T5_mT6_T7_P12ihipStream_tbENKUlT_T0_E_clISt17integral_constantIbLb0EESY_IbLb1EEEEDaSU_SV_EUlSU_E_NS1_11comp_targetILNS1_3genE10ELNS1_11target_archE1201ELNS1_3gpuE5ELNS1_3repE0EEENS1_30default_config_static_selectorELNS0_4arch9wavefront6targetE0EEEvT1_.uses_vcc, 0
	.set _ZN7rocprim17ROCPRIM_400000_NS6detail17trampoline_kernelINS0_14default_configENS1_27scan_by_key_config_selectorIsiEEZZNS1_16scan_by_key_implILNS1_25lookback_scan_determinismE0ELb1ES3_N6thrust23THRUST_200600_302600_NS6detail15normal_iteratorINS9_10device_ptrIsEEEESE_SE_iNS9_4plusIvEENS9_8equal_toIvEEiEE10hipError_tPvRmT2_T3_T4_T5_mT6_T7_P12ihipStream_tbENKUlT_T0_E_clISt17integral_constantIbLb0EESY_IbLb1EEEEDaSU_SV_EUlSU_E_NS1_11comp_targetILNS1_3genE10ELNS1_11target_archE1201ELNS1_3gpuE5ELNS1_3repE0EEENS1_30default_config_static_selectorELNS0_4arch9wavefront6targetE0EEEvT1_.uses_flat_scratch, 0
	.set _ZN7rocprim17ROCPRIM_400000_NS6detail17trampoline_kernelINS0_14default_configENS1_27scan_by_key_config_selectorIsiEEZZNS1_16scan_by_key_implILNS1_25lookback_scan_determinismE0ELb1ES3_N6thrust23THRUST_200600_302600_NS6detail15normal_iteratorINS9_10device_ptrIsEEEESE_SE_iNS9_4plusIvEENS9_8equal_toIvEEiEE10hipError_tPvRmT2_T3_T4_T5_mT6_T7_P12ihipStream_tbENKUlT_T0_E_clISt17integral_constantIbLb0EESY_IbLb1EEEEDaSU_SV_EUlSU_E_NS1_11comp_targetILNS1_3genE10ELNS1_11target_archE1201ELNS1_3gpuE5ELNS1_3repE0EEENS1_30default_config_static_selectorELNS0_4arch9wavefront6targetE0EEEvT1_.has_dyn_sized_stack, 0
	.set _ZN7rocprim17ROCPRIM_400000_NS6detail17trampoline_kernelINS0_14default_configENS1_27scan_by_key_config_selectorIsiEEZZNS1_16scan_by_key_implILNS1_25lookback_scan_determinismE0ELb1ES3_N6thrust23THRUST_200600_302600_NS6detail15normal_iteratorINS9_10device_ptrIsEEEESE_SE_iNS9_4plusIvEENS9_8equal_toIvEEiEE10hipError_tPvRmT2_T3_T4_T5_mT6_T7_P12ihipStream_tbENKUlT_T0_E_clISt17integral_constantIbLb0EESY_IbLb1EEEEDaSU_SV_EUlSU_E_NS1_11comp_targetILNS1_3genE10ELNS1_11target_archE1201ELNS1_3gpuE5ELNS1_3repE0EEENS1_30default_config_static_selectorELNS0_4arch9wavefront6targetE0EEEvT1_.has_recursion, 0
	.set _ZN7rocprim17ROCPRIM_400000_NS6detail17trampoline_kernelINS0_14default_configENS1_27scan_by_key_config_selectorIsiEEZZNS1_16scan_by_key_implILNS1_25lookback_scan_determinismE0ELb1ES3_N6thrust23THRUST_200600_302600_NS6detail15normal_iteratorINS9_10device_ptrIsEEEESE_SE_iNS9_4plusIvEENS9_8equal_toIvEEiEE10hipError_tPvRmT2_T3_T4_T5_mT6_T7_P12ihipStream_tbENKUlT_T0_E_clISt17integral_constantIbLb0EESY_IbLb1EEEEDaSU_SV_EUlSU_E_NS1_11comp_targetILNS1_3genE10ELNS1_11target_archE1201ELNS1_3gpuE5ELNS1_3repE0EEENS1_30default_config_static_selectorELNS0_4arch9wavefront6targetE0EEEvT1_.has_indirect_call, 0
	.section	.AMDGPU.csdata,"",@progbits
; Kernel info:
; codeLenInByte = 0
; TotalNumSgprs: 0
; NumVgprs: 0
; ScratchSize: 0
; MemoryBound: 0
; FloatMode: 240
; IeeeMode: 1
; LDSByteSize: 0 bytes/workgroup (compile time only)
; SGPRBlocks: 0
; VGPRBlocks: 0
; NumSGPRsForWavesPerEU: 1
; NumVGPRsForWavesPerEU: 1
; Occupancy: 16
; WaveLimiterHint : 0
; COMPUTE_PGM_RSRC2:SCRATCH_EN: 0
; COMPUTE_PGM_RSRC2:USER_SGPR: 6
; COMPUTE_PGM_RSRC2:TRAP_HANDLER: 0
; COMPUTE_PGM_RSRC2:TGID_X_EN: 1
; COMPUTE_PGM_RSRC2:TGID_Y_EN: 0
; COMPUTE_PGM_RSRC2:TGID_Z_EN: 0
; COMPUTE_PGM_RSRC2:TIDIG_COMP_CNT: 0
	.section	.text._ZN7rocprim17ROCPRIM_400000_NS6detail17trampoline_kernelINS0_14default_configENS1_27scan_by_key_config_selectorIsiEEZZNS1_16scan_by_key_implILNS1_25lookback_scan_determinismE0ELb1ES3_N6thrust23THRUST_200600_302600_NS6detail15normal_iteratorINS9_10device_ptrIsEEEESE_SE_iNS9_4plusIvEENS9_8equal_toIvEEiEE10hipError_tPvRmT2_T3_T4_T5_mT6_T7_P12ihipStream_tbENKUlT_T0_E_clISt17integral_constantIbLb0EESY_IbLb1EEEEDaSU_SV_EUlSU_E_NS1_11comp_targetILNS1_3genE5ELNS1_11target_archE942ELNS1_3gpuE9ELNS1_3repE0EEENS1_30default_config_static_selectorELNS0_4arch9wavefront6targetE0EEEvT1_,"axG",@progbits,_ZN7rocprim17ROCPRIM_400000_NS6detail17trampoline_kernelINS0_14default_configENS1_27scan_by_key_config_selectorIsiEEZZNS1_16scan_by_key_implILNS1_25lookback_scan_determinismE0ELb1ES3_N6thrust23THRUST_200600_302600_NS6detail15normal_iteratorINS9_10device_ptrIsEEEESE_SE_iNS9_4plusIvEENS9_8equal_toIvEEiEE10hipError_tPvRmT2_T3_T4_T5_mT6_T7_P12ihipStream_tbENKUlT_T0_E_clISt17integral_constantIbLb0EESY_IbLb1EEEEDaSU_SV_EUlSU_E_NS1_11comp_targetILNS1_3genE5ELNS1_11target_archE942ELNS1_3gpuE9ELNS1_3repE0EEENS1_30default_config_static_selectorELNS0_4arch9wavefront6targetE0EEEvT1_,comdat
	.protected	_ZN7rocprim17ROCPRIM_400000_NS6detail17trampoline_kernelINS0_14default_configENS1_27scan_by_key_config_selectorIsiEEZZNS1_16scan_by_key_implILNS1_25lookback_scan_determinismE0ELb1ES3_N6thrust23THRUST_200600_302600_NS6detail15normal_iteratorINS9_10device_ptrIsEEEESE_SE_iNS9_4plusIvEENS9_8equal_toIvEEiEE10hipError_tPvRmT2_T3_T4_T5_mT6_T7_P12ihipStream_tbENKUlT_T0_E_clISt17integral_constantIbLb0EESY_IbLb1EEEEDaSU_SV_EUlSU_E_NS1_11comp_targetILNS1_3genE5ELNS1_11target_archE942ELNS1_3gpuE9ELNS1_3repE0EEENS1_30default_config_static_selectorELNS0_4arch9wavefront6targetE0EEEvT1_ ; -- Begin function _ZN7rocprim17ROCPRIM_400000_NS6detail17trampoline_kernelINS0_14default_configENS1_27scan_by_key_config_selectorIsiEEZZNS1_16scan_by_key_implILNS1_25lookback_scan_determinismE0ELb1ES3_N6thrust23THRUST_200600_302600_NS6detail15normal_iteratorINS9_10device_ptrIsEEEESE_SE_iNS9_4plusIvEENS9_8equal_toIvEEiEE10hipError_tPvRmT2_T3_T4_T5_mT6_T7_P12ihipStream_tbENKUlT_T0_E_clISt17integral_constantIbLb0EESY_IbLb1EEEEDaSU_SV_EUlSU_E_NS1_11comp_targetILNS1_3genE5ELNS1_11target_archE942ELNS1_3gpuE9ELNS1_3repE0EEENS1_30default_config_static_selectorELNS0_4arch9wavefront6targetE0EEEvT1_
	.globl	_ZN7rocprim17ROCPRIM_400000_NS6detail17trampoline_kernelINS0_14default_configENS1_27scan_by_key_config_selectorIsiEEZZNS1_16scan_by_key_implILNS1_25lookback_scan_determinismE0ELb1ES3_N6thrust23THRUST_200600_302600_NS6detail15normal_iteratorINS9_10device_ptrIsEEEESE_SE_iNS9_4plusIvEENS9_8equal_toIvEEiEE10hipError_tPvRmT2_T3_T4_T5_mT6_T7_P12ihipStream_tbENKUlT_T0_E_clISt17integral_constantIbLb0EESY_IbLb1EEEEDaSU_SV_EUlSU_E_NS1_11comp_targetILNS1_3genE5ELNS1_11target_archE942ELNS1_3gpuE9ELNS1_3repE0EEENS1_30default_config_static_selectorELNS0_4arch9wavefront6targetE0EEEvT1_
	.p2align	8
	.type	_ZN7rocprim17ROCPRIM_400000_NS6detail17trampoline_kernelINS0_14default_configENS1_27scan_by_key_config_selectorIsiEEZZNS1_16scan_by_key_implILNS1_25lookback_scan_determinismE0ELb1ES3_N6thrust23THRUST_200600_302600_NS6detail15normal_iteratorINS9_10device_ptrIsEEEESE_SE_iNS9_4plusIvEENS9_8equal_toIvEEiEE10hipError_tPvRmT2_T3_T4_T5_mT6_T7_P12ihipStream_tbENKUlT_T0_E_clISt17integral_constantIbLb0EESY_IbLb1EEEEDaSU_SV_EUlSU_E_NS1_11comp_targetILNS1_3genE5ELNS1_11target_archE942ELNS1_3gpuE9ELNS1_3repE0EEENS1_30default_config_static_selectorELNS0_4arch9wavefront6targetE0EEEvT1_,@function
_ZN7rocprim17ROCPRIM_400000_NS6detail17trampoline_kernelINS0_14default_configENS1_27scan_by_key_config_selectorIsiEEZZNS1_16scan_by_key_implILNS1_25lookback_scan_determinismE0ELb1ES3_N6thrust23THRUST_200600_302600_NS6detail15normal_iteratorINS9_10device_ptrIsEEEESE_SE_iNS9_4plusIvEENS9_8equal_toIvEEiEE10hipError_tPvRmT2_T3_T4_T5_mT6_T7_P12ihipStream_tbENKUlT_T0_E_clISt17integral_constantIbLb0EESY_IbLb1EEEEDaSU_SV_EUlSU_E_NS1_11comp_targetILNS1_3genE5ELNS1_11target_archE942ELNS1_3gpuE9ELNS1_3repE0EEENS1_30default_config_static_selectorELNS0_4arch9wavefront6targetE0EEEvT1_: ; @_ZN7rocprim17ROCPRIM_400000_NS6detail17trampoline_kernelINS0_14default_configENS1_27scan_by_key_config_selectorIsiEEZZNS1_16scan_by_key_implILNS1_25lookback_scan_determinismE0ELb1ES3_N6thrust23THRUST_200600_302600_NS6detail15normal_iteratorINS9_10device_ptrIsEEEESE_SE_iNS9_4plusIvEENS9_8equal_toIvEEiEE10hipError_tPvRmT2_T3_T4_T5_mT6_T7_P12ihipStream_tbENKUlT_T0_E_clISt17integral_constantIbLb0EESY_IbLb1EEEEDaSU_SV_EUlSU_E_NS1_11comp_targetILNS1_3genE5ELNS1_11target_archE942ELNS1_3gpuE9ELNS1_3repE0EEENS1_30default_config_static_selectorELNS0_4arch9wavefront6targetE0EEEvT1_
; %bb.0:
	.section	.rodata,"a",@progbits
	.p2align	6, 0x0
	.amdhsa_kernel _ZN7rocprim17ROCPRIM_400000_NS6detail17trampoline_kernelINS0_14default_configENS1_27scan_by_key_config_selectorIsiEEZZNS1_16scan_by_key_implILNS1_25lookback_scan_determinismE0ELb1ES3_N6thrust23THRUST_200600_302600_NS6detail15normal_iteratorINS9_10device_ptrIsEEEESE_SE_iNS9_4plusIvEENS9_8equal_toIvEEiEE10hipError_tPvRmT2_T3_T4_T5_mT6_T7_P12ihipStream_tbENKUlT_T0_E_clISt17integral_constantIbLb0EESY_IbLb1EEEEDaSU_SV_EUlSU_E_NS1_11comp_targetILNS1_3genE5ELNS1_11target_archE942ELNS1_3gpuE9ELNS1_3repE0EEENS1_30default_config_static_selectorELNS0_4arch9wavefront6targetE0EEEvT1_
		.amdhsa_group_segment_fixed_size 0
		.amdhsa_private_segment_fixed_size 0
		.amdhsa_kernarg_size 112
		.amdhsa_user_sgpr_count 6
		.amdhsa_user_sgpr_private_segment_buffer 1
		.amdhsa_user_sgpr_dispatch_ptr 0
		.amdhsa_user_sgpr_queue_ptr 0
		.amdhsa_user_sgpr_kernarg_segment_ptr 1
		.amdhsa_user_sgpr_dispatch_id 0
		.amdhsa_user_sgpr_flat_scratch_init 0
		.amdhsa_user_sgpr_private_segment_size 0
		.amdhsa_wavefront_size32 1
		.amdhsa_uses_dynamic_stack 0
		.amdhsa_system_sgpr_private_segment_wavefront_offset 0
		.amdhsa_system_sgpr_workgroup_id_x 1
		.amdhsa_system_sgpr_workgroup_id_y 0
		.amdhsa_system_sgpr_workgroup_id_z 0
		.amdhsa_system_sgpr_workgroup_info 0
		.amdhsa_system_vgpr_workitem_id 0
		.amdhsa_next_free_vgpr 1
		.amdhsa_next_free_sgpr 1
		.amdhsa_reserve_vcc 0
		.amdhsa_reserve_flat_scratch 0
		.amdhsa_float_round_mode_32 0
		.amdhsa_float_round_mode_16_64 0
		.amdhsa_float_denorm_mode_32 3
		.amdhsa_float_denorm_mode_16_64 3
		.amdhsa_dx10_clamp 1
		.amdhsa_ieee_mode 1
		.amdhsa_fp16_overflow 0
		.amdhsa_workgroup_processor_mode 1
		.amdhsa_memory_ordered 1
		.amdhsa_forward_progress 1
		.amdhsa_shared_vgpr_count 0
		.amdhsa_exception_fp_ieee_invalid_op 0
		.amdhsa_exception_fp_denorm_src 0
		.amdhsa_exception_fp_ieee_div_zero 0
		.amdhsa_exception_fp_ieee_overflow 0
		.amdhsa_exception_fp_ieee_underflow 0
		.amdhsa_exception_fp_ieee_inexact 0
		.amdhsa_exception_int_div_zero 0
	.end_amdhsa_kernel
	.section	.text._ZN7rocprim17ROCPRIM_400000_NS6detail17trampoline_kernelINS0_14default_configENS1_27scan_by_key_config_selectorIsiEEZZNS1_16scan_by_key_implILNS1_25lookback_scan_determinismE0ELb1ES3_N6thrust23THRUST_200600_302600_NS6detail15normal_iteratorINS9_10device_ptrIsEEEESE_SE_iNS9_4plusIvEENS9_8equal_toIvEEiEE10hipError_tPvRmT2_T3_T4_T5_mT6_T7_P12ihipStream_tbENKUlT_T0_E_clISt17integral_constantIbLb0EESY_IbLb1EEEEDaSU_SV_EUlSU_E_NS1_11comp_targetILNS1_3genE5ELNS1_11target_archE942ELNS1_3gpuE9ELNS1_3repE0EEENS1_30default_config_static_selectorELNS0_4arch9wavefront6targetE0EEEvT1_,"axG",@progbits,_ZN7rocprim17ROCPRIM_400000_NS6detail17trampoline_kernelINS0_14default_configENS1_27scan_by_key_config_selectorIsiEEZZNS1_16scan_by_key_implILNS1_25lookback_scan_determinismE0ELb1ES3_N6thrust23THRUST_200600_302600_NS6detail15normal_iteratorINS9_10device_ptrIsEEEESE_SE_iNS9_4plusIvEENS9_8equal_toIvEEiEE10hipError_tPvRmT2_T3_T4_T5_mT6_T7_P12ihipStream_tbENKUlT_T0_E_clISt17integral_constantIbLb0EESY_IbLb1EEEEDaSU_SV_EUlSU_E_NS1_11comp_targetILNS1_3genE5ELNS1_11target_archE942ELNS1_3gpuE9ELNS1_3repE0EEENS1_30default_config_static_selectorELNS0_4arch9wavefront6targetE0EEEvT1_,comdat
.Lfunc_end1074:
	.size	_ZN7rocprim17ROCPRIM_400000_NS6detail17trampoline_kernelINS0_14default_configENS1_27scan_by_key_config_selectorIsiEEZZNS1_16scan_by_key_implILNS1_25lookback_scan_determinismE0ELb1ES3_N6thrust23THRUST_200600_302600_NS6detail15normal_iteratorINS9_10device_ptrIsEEEESE_SE_iNS9_4plusIvEENS9_8equal_toIvEEiEE10hipError_tPvRmT2_T3_T4_T5_mT6_T7_P12ihipStream_tbENKUlT_T0_E_clISt17integral_constantIbLb0EESY_IbLb1EEEEDaSU_SV_EUlSU_E_NS1_11comp_targetILNS1_3genE5ELNS1_11target_archE942ELNS1_3gpuE9ELNS1_3repE0EEENS1_30default_config_static_selectorELNS0_4arch9wavefront6targetE0EEEvT1_, .Lfunc_end1074-_ZN7rocprim17ROCPRIM_400000_NS6detail17trampoline_kernelINS0_14default_configENS1_27scan_by_key_config_selectorIsiEEZZNS1_16scan_by_key_implILNS1_25lookback_scan_determinismE0ELb1ES3_N6thrust23THRUST_200600_302600_NS6detail15normal_iteratorINS9_10device_ptrIsEEEESE_SE_iNS9_4plusIvEENS9_8equal_toIvEEiEE10hipError_tPvRmT2_T3_T4_T5_mT6_T7_P12ihipStream_tbENKUlT_T0_E_clISt17integral_constantIbLb0EESY_IbLb1EEEEDaSU_SV_EUlSU_E_NS1_11comp_targetILNS1_3genE5ELNS1_11target_archE942ELNS1_3gpuE9ELNS1_3repE0EEENS1_30default_config_static_selectorELNS0_4arch9wavefront6targetE0EEEvT1_
                                        ; -- End function
	.set _ZN7rocprim17ROCPRIM_400000_NS6detail17trampoline_kernelINS0_14default_configENS1_27scan_by_key_config_selectorIsiEEZZNS1_16scan_by_key_implILNS1_25lookback_scan_determinismE0ELb1ES3_N6thrust23THRUST_200600_302600_NS6detail15normal_iteratorINS9_10device_ptrIsEEEESE_SE_iNS9_4plusIvEENS9_8equal_toIvEEiEE10hipError_tPvRmT2_T3_T4_T5_mT6_T7_P12ihipStream_tbENKUlT_T0_E_clISt17integral_constantIbLb0EESY_IbLb1EEEEDaSU_SV_EUlSU_E_NS1_11comp_targetILNS1_3genE5ELNS1_11target_archE942ELNS1_3gpuE9ELNS1_3repE0EEENS1_30default_config_static_selectorELNS0_4arch9wavefront6targetE0EEEvT1_.num_vgpr, 0
	.set _ZN7rocprim17ROCPRIM_400000_NS6detail17trampoline_kernelINS0_14default_configENS1_27scan_by_key_config_selectorIsiEEZZNS1_16scan_by_key_implILNS1_25lookback_scan_determinismE0ELb1ES3_N6thrust23THRUST_200600_302600_NS6detail15normal_iteratorINS9_10device_ptrIsEEEESE_SE_iNS9_4plusIvEENS9_8equal_toIvEEiEE10hipError_tPvRmT2_T3_T4_T5_mT6_T7_P12ihipStream_tbENKUlT_T0_E_clISt17integral_constantIbLb0EESY_IbLb1EEEEDaSU_SV_EUlSU_E_NS1_11comp_targetILNS1_3genE5ELNS1_11target_archE942ELNS1_3gpuE9ELNS1_3repE0EEENS1_30default_config_static_selectorELNS0_4arch9wavefront6targetE0EEEvT1_.num_agpr, 0
	.set _ZN7rocprim17ROCPRIM_400000_NS6detail17trampoline_kernelINS0_14default_configENS1_27scan_by_key_config_selectorIsiEEZZNS1_16scan_by_key_implILNS1_25lookback_scan_determinismE0ELb1ES3_N6thrust23THRUST_200600_302600_NS6detail15normal_iteratorINS9_10device_ptrIsEEEESE_SE_iNS9_4plusIvEENS9_8equal_toIvEEiEE10hipError_tPvRmT2_T3_T4_T5_mT6_T7_P12ihipStream_tbENKUlT_T0_E_clISt17integral_constantIbLb0EESY_IbLb1EEEEDaSU_SV_EUlSU_E_NS1_11comp_targetILNS1_3genE5ELNS1_11target_archE942ELNS1_3gpuE9ELNS1_3repE0EEENS1_30default_config_static_selectorELNS0_4arch9wavefront6targetE0EEEvT1_.numbered_sgpr, 0
	.set _ZN7rocprim17ROCPRIM_400000_NS6detail17trampoline_kernelINS0_14default_configENS1_27scan_by_key_config_selectorIsiEEZZNS1_16scan_by_key_implILNS1_25lookback_scan_determinismE0ELb1ES3_N6thrust23THRUST_200600_302600_NS6detail15normal_iteratorINS9_10device_ptrIsEEEESE_SE_iNS9_4plusIvEENS9_8equal_toIvEEiEE10hipError_tPvRmT2_T3_T4_T5_mT6_T7_P12ihipStream_tbENKUlT_T0_E_clISt17integral_constantIbLb0EESY_IbLb1EEEEDaSU_SV_EUlSU_E_NS1_11comp_targetILNS1_3genE5ELNS1_11target_archE942ELNS1_3gpuE9ELNS1_3repE0EEENS1_30default_config_static_selectorELNS0_4arch9wavefront6targetE0EEEvT1_.num_named_barrier, 0
	.set _ZN7rocprim17ROCPRIM_400000_NS6detail17trampoline_kernelINS0_14default_configENS1_27scan_by_key_config_selectorIsiEEZZNS1_16scan_by_key_implILNS1_25lookback_scan_determinismE0ELb1ES3_N6thrust23THRUST_200600_302600_NS6detail15normal_iteratorINS9_10device_ptrIsEEEESE_SE_iNS9_4plusIvEENS9_8equal_toIvEEiEE10hipError_tPvRmT2_T3_T4_T5_mT6_T7_P12ihipStream_tbENKUlT_T0_E_clISt17integral_constantIbLb0EESY_IbLb1EEEEDaSU_SV_EUlSU_E_NS1_11comp_targetILNS1_3genE5ELNS1_11target_archE942ELNS1_3gpuE9ELNS1_3repE0EEENS1_30default_config_static_selectorELNS0_4arch9wavefront6targetE0EEEvT1_.private_seg_size, 0
	.set _ZN7rocprim17ROCPRIM_400000_NS6detail17trampoline_kernelINS0_14default_configENS1_27scan_by_key_config_selectorIsiEEZZNS1_16scan_by_key_implILNS1_25lookback_scan_determinismE0ELb1ES3_N6thrust23THRUST_200600_302600_NS6detail15normal_iteratorINS9_10device_ptrIsEEEESE_SE_iNS9_4plusIvEENS9_8equal_toIvEEiEE10hipError_tPvRmT2_T3_T4_T5_mT6_T7_P12ihipStream_tbENKUlT_T0_E_clISt17integral_constantIbLb0EESY_IbLb1EEEEDaSU_SV_EUlSU_E_NS1_11comp_targetILNS1_3genE5ELNS1_11target_archE942ELNS1_3gpuE9ELNS1_3repE0EEENS1_30default_config_static_selectorELNS0_4arch9wavefront6targetE0EEEvT1_.uses_vcc, 0
	.set _ZN7rocprim17ROCPRIM_400000_NS6detail17trampoline_kernelINS0_14default_configENS1_27scan_by_key_config_selectorIsiEEZZNS1_16scan_by_key_implILNS1_25lookback_scan_determinismE0ELb1ES3_N6thrust23THRUST_200600_302600_NS6detail15normal_iteratorINS9_10device_ptrIsEEEESE_SE_iNS9_4plusIvEENS9_8equal_toIvEEiEE10hipError_tPvRmT2_T3_T4_T5_mT6_T7_P12ihipStream_tbENKUlT_T0_E_clISt17integral_constantIbLb0EESY_IbLb1EEEEDaSU_SV_EUlSU_E_NS1_11comp_targetILNS1_3genE5ELNS1_11target_archE942ELNS1_3gpuE9ELNS1_3repE0EEENS1_30default_config_static_selectorELNS0_4arch9wavefront6targetE0EEEvT1_.uses_flat_scratch, 0
	.set _ZN7rocprim17ROCPRIM_400000_NS6detail17trampoline_kernelINS0_14default_configENS1_27scan_by_key_config_selectorIsiEEZZNS1_16scan_by_key_implILNS1_25lookback_scan_determinismE0ELb1ES3_N6thrust23THRUST_200600_302600_NS6detail15normal_iteratorINS9_10device_ptrIsEEEESE_SE_iNS9_4plusIvEENS9_8equal_toIvEEiEE10hipError_tPvRmT2_T3_T4_T5_mT6_T7_P12ihipStream_tbENKUlT_T0_E_clISt17integral_constantIbLb0EESY_IbLb1EEEEDaSU_SV_EUlSU_E_NS1_11comp_targetILNS1_3genE5ELNS1_11target_archE942ELNS1_3gpuE9ELNS1_3repE0EEENS1_30default_config_static_selectorELNS0_4arch9wavefront6targetE0EEEvT1_.has_dyn_sized_stack, 0
	.set _ZN7rocprim17ROCPRIM_400000_NS6detail17trampoline_kernelINS0_14default_configENS1_27scan_by_key_config_selectorIsiEEZZNS1_16scan_by_key_implILNS1_25lookback_scan_determinismE0ELb1ES3_N6thrust23THRUST_200600_302600_NS6detail15normal_iteratorINS9_10device_ptrIsEEEESE_SE_iNS9_4plusIvEENS9_8equal_toIvEEiEE10hipError_tPvRmT2_T3_T4_T5_mT6_T7_P12ihipStream_tbENKUlT_T0_E_clISt17integral_constantIbLb0EESY_IbLb1EEEEDaSU_SV_EUlSU_E_NS1_11comp_targetILNS1_3genE5ELNS1_11target_archE942ELNS1_3gpuE9ELNS1_3repE0EEENS1_30default_config_static_selectorELNS0_4arch9wavefront6targetE0EEEvT1_.has_recursion, 0
	.set _ZN7rocprim17ROCPRIM_400000_NS6detail17trampoline_kernelINS0_14default_configENS1_27scan_by_key_config_selectorIsiEEZZNS1_16scan_by_key_implILNS1_25lookback_scan_determinismE0ELb1ES3_N6thrust23THRUST_200600_302600_NS6detail15normal_iteratorINS9_10device_ptrIsEEEESE_SE_iNS9_4plusIvEENS9_8equal_toIvEEiEE10hipError_tPvRmT2_T3_T4_T5_mT6_T7_P12ihipStream_tbENKUlT_T0_E_clISt17integral_constantIbLb0EESY_IbLb1EEEEDaSU_SV_EUlSU_E_NS1_11comp_targetILNS1_3genE5ELNS1_11target_archE942ELNS1_3gpuE9ELNS1_3repE0EEENS1_30default_config_static_selectorELNS0_4arch9wavefront6targetE0EEEvT1_.has_indirect_call, 0
	.section	.AMDGPU.csdata,"",@progbits
; Kernel info:
; codeLenInByte = 0
; TotalNumSgprs: 0
; NumVgprs: 0
; ScratchSize: 0
; MemoryBound: 0
; FloatMode: 240
; IeeeMode: 1
; LDSByteSize: 0 bytes/workgroup (compile time only)
; SGPRBlocks: 0
; VGPRBlocks: 0
; NumSGPRsForWavesPerEU: 1
; NumVGPRsForWavesPerEU: 1
; Occupancy: 16
; WaveLimiterHint : 0
; COMPUTE_PGM_RSRC2:SCRATCH_EN: 0
; COMPUTE_PGM_RSRC2:USER_SGPR: 6
; COMPUTE_PGM_RSRC2:TRAP_HANDLER: 0
; COMPUTE_PGM_RSRC2:TGID_X_EN: 1
; COMPUTE_PGM_RSRC2:TGID_Y_EN: 0
; COMPUTE_PGM_RSRC2:TGID_Z_EN: 0
; COMPUTE_PGM_RSRC2:TIDIG_COMP_CNT: 0
	.section	.text._ZN7rocprim17ROCPRIM_400000_NS6detail17trampoline_kernelINS0_14default_configENS1_27scan_by_key_config_selectorIsiEEZZNS1_16scan_by_key_implILNS1_25lookback_scan_determinismE0ELb1ES3_N6thrust23THRUST_200600_302600_NS6detail15normal_iteratorINS9_10device_ptrIsEEEESE_SE_iNS9_4plusIvEENS9_8equal_toIvEEiEE10hipError_tPvRmT2_T3_T4_T5_mT6_T7_P12ihipStream_tbENKUlT_T0_E_clISt17integral_constantIbLb0EESY_IbLb1EEEEDaSU_SV_EUlSU_E_NS1_11comp_targetILNS1_3genE4ELNS1_11target_archE910ELNS1_3gpuE8ELNS1_3repE0EEENS1_30default_config_static_selectorELNS0_4arch9wavefront6targetE0EEEvT1_,"axG",@progbits,_ZN7rocprim17ROCPRIM_400000_NS6detail17trampoline_kernelINS0_14default_configENS1_27scan_by_key_config_selectorIsiEEZZNS1_16scan_by_key_implILNS1_25lookback_scan_determinismE0ELb1ES3_N6thrust23THRUST_200600_302600_NS6detail15normal_iteratorINS9_10device_ptrIsEEEESE_SE_iNS9_4plusIvEENS9_8equal_toIvEEiEE10hipError_tPvRmT2_T3_T4_T5_mT6_T7_P12ihipStream_tbENKUlT_T0_E_clISt17integral_constantIbLb0EESY_IbLb1EEEEDaSU_SV_EUlSU_E_NS1_11comp_targetILNS1_3genE4ELNS1_11target_archE910ELNS1_3gpuE8ELNS1_3repE0EEENS1_30default_config_static_selectorELNS0_4arch9wavefront6targetE0EEEvT1_,comdat
	.protected	_ZN7rocprim17ROCPRIM_400000_NS6detail17trampoline_kernelINS0_14default_configENS1_27scan_by_key_config_selectorIsiEEZZNS1_16scan_by_key_implILNS1_25lookback_scan_determinismE0ELb1ES3_N6thrust23THRUST_200600_302600_NS6detail15normal_iteratorINS9_10device_ptrIsEEEESE_SE_iNS9_4plusIvEENS9_8equal_toIvEEiEE10hipError_tPvRmT2_T3_T4_T5_mT6_T7_P12ihipStream_tbENKUlT_T0_E_clISt17integral_constantIbLb0EESY_IbLb1EEEEDaSU_SV_EUlSU_E_NS1_11comp_targetILNS1_3genE4ELNS1_11target_archE910ELNS1_3gpuE8ELNS1_3repE0EEENS1_30default_config_static_selectorELNS0_4arch9wavefront6targetE0EEEvT1_ ; -- Begin function _ZN7rocprim17ROCPRIM_400000_NS6detail17trampoline_kernelINS0_14default_configENS1_27scan_by_key_config_selectorIsiEEZZNS1_16scan_by_key_implILNS1_25lookback_scan_determinismE0ELb1ES3_N6thrust23THRUST_200600_302600_NS6detail15normal_iteratorINS9_10device_ptrIsEEEESE_SE_iNS9_4plusIvEENS9_8equal_toIvEEiEE10hipError_tPvRmT2_T3_T4_T5_mT6_T7_P12ihipStream_tbENKUlT_T0_E_clISt17integral_constantIbLb0EESY_IbLb1EEEEDaSU_SV_EUlSU_E_NS1_11comp_targetILNS1_3genE4ELNS1_11target_archE910ELNS1_3gpuE8ELNS1_3repE0EEENS1_30default_config_static_selectorELNS0_4arch9wavefront6targetE0EEEvT1_
	.globl	_ZN7rocprim17ROCPRIM_400000_NS6detail17trampoline_kernelINS0_14default_configENS1_27scan_by_key_config_selectorIsiEEZZNS1_16scan_by_key_implILNS1_25lookback_scan_determinismE0ELb1ES3_N6thrust23THRUST_200600_302600_NS6detail15normal_iteratorINS9_10device_ptrIsEEEESE_SE_iNS9_4plusIvEENS9_8equal_toIvEEiEE10hipError_tPvRmT2_T3_T4_T5_mT6_T7_P12ihipStream_tbENKUlT_T0_E_clISt17integral_constantIbLb0EESY_IbLb1EEEEDaSU_SV_EUlSU_E_NS1_11comp_targetILNS1_3genE4ELNS1_11target_archE910ELNS1_3gpuE8ELNS1_3repE0EEENS1_30default_config_static_selectorELNS0_4arch9wavefront6targetE0EEEvT1_
	.p2align	8
	.type	_ZN7rocprim17ROCPRIM_400000_NS6detail17trampoline_kernelINS0_14default_configENS1_27scan_by_key_config_selectorIsiEEZZNS1_16scan_by_key_implILNS1_25lookback_scan_determinismE0ELb1ES3_N6thrust23THRUST_200600_302600_NS6detail15normal_iteratorINS9_10device_ptrIsEEEESE_SE_iNS9_4plusIvEENS9_8equal_toIvEEiEE10hipError_tPvRmT2_T3_T4_T5_mT6_T7_P12ihipStream_tbENKUlT_T0_E_clISt17integral_constantIbLb0EESY_IbLb1EEEEDaSU_SV_EUlSU_E_NS1_11comp_targetILNS1_3genE4ELNS1_11target_archE910ELNS1_3gpuE8ELNS1_3repE0EEENS1_30default_config_static_selectorELNS0_4arch9wavefront6targetE0EEEvT1_,@function
_ZN7rocprim17ROCPRIM_400000_NS6detail17trampoline_kernelINS0_14default_configENS1_27scan_by_key_config_selectorIsiEEZZNS1_16scan_by_key_implILNS1_25lookback_scan_determinismE0ELb1ES3_N6thrust23THRUST_200600_302600_NS6detail15normal_iteratorINS9_10device_ptrIsEEEESE_SE_iNS9_4plusIvEENS9_8equal_toIvEEiEE10hipError_tPvRmT2_T3_T4_T5_mT6_T7_P12ihipStream_tbENKUlT_T0_E_clISt17integral_constantIbLb0EESY_IbLb1EEEEDaSU_SV_EUlSU_E_NS1_11comp_targetILNS1_3genE4ELNS1_11target_archE910ELNS1_3gpuE8ELNS1_3repE0EEENS1_30default_config_static_selectorELNS0_4arch9wavefront6targetE0EEEvT1_: ; @_ZN7rocprim17ROCPRIM_400000_NS6detail17trampoline_kernelINS0_14default_configENS1_27scan_by_key_config_selectorIsiEEZZNS1_16scan_by_key_implILNS1_25lookback_scan_determinismE0ELb1ES3_N6thrust23THRUST_200600_302600_NS6detail15normal_iteratorINS9_10device_ptrIsEEEESE_SE_iNS9_4plusIvEENS9_8equal_toIvEEiEE10hipError_tPvRmT2_T3_T4_T5_mT6_T7_P12ihipStream_tbENKUlT_T0_E_clISt17integral_constantIbLb0EESY_IbLb1EEEEDaSU_SV_EUlSU_E_NS1_11comp_targetILNS1_3genE4ELNS1_11target_archE910ELNS1_3gpuE8ELNS1_3repE0EEENS1_30default_config_static_selectorELNS0_4arch9wavefront6targetE0EEEvT1_
; %bb.0:
	.section	.rodata,"a",@progbits
	.p2align	6, 0x0
	.amdhsa_kernel _ZN7rocprim17ROCPRIM_400000_NS6detail17trampoline_kernelINS0_14default_configENS1_27scan_by_key_config_selectorIsiEEZZNS1_16scan_by_key_implILNS1_25lookback_scan_determinismE0ELb1ES3_N6thrust23THRUST_200600_302600_NS6detail15normal_iteratorINS9_10device_ptrIsEEEESE_SE_iNS9_4plusIvEENS9_8equal_toIvEEiEE10hipError_tPvRmT2_T3_T4_T5_mT6_T7_P12ihipStream_tbENKUlT_T0_E_clISt17integral_constantIbLb0EESY_IbLb1EEEEDaSU_SV_EUlSU_E_NS1_11comp_targetILNS1_3genE4ELNS1_11target_archE910ELNS1_3gpuE8ELNS1_3repE0EEENS1_30default_config_static_selectorELNS0_4arch9wavefront6targetE0EEEvT1_
		.amdhsa_group_segment_fixed_size 0
		.amdhsa_private_segment_fixed_size 0
		.amdhsa_kernarg_size 112
		.amdhsa_user_sgpr_count 6
		.amdhsa_user_sgpr_private_segment_buffer 1
		.amdhsa_user_sgpr_dispatch_ptr 0
		.amdhsa_user_sgpr_queue_ptr 0
		.amdhsa_user_sgpr_kernarg_segment_ptr 1
		.amdhsa_user_sgpr_dispatch_id 0
		.amdhsa_user_sgpr_flat_scratch_init 0
		.amdhsa_user_sgpr_private_segment_size 0
		.amdhsa_wavefront_size32 1
		.amdhsa_uses_dynamic_stack 0
		.amdhsa_system_sgpr_private_segment_wavefront_offset 0
		.amdhsa_system_sgpr_workgroup_id_x 1
		.amdhsa_system_sgpr_workgroup_id_y 0
		.amdhsa_system_sgpr_workgroup_id_z 0
		.amdhsa_system_sgpr_workgroup_info 0
		.amdhsa_system_vgpr_workitem_id 0
		.amdhsa_next_free_vgpr 1
		.amdhsa_next_free_sgpr 1
		.amdhsa_reserve_vcc 0
		.amdhsa_reserve_flat_scratch 0
		.amdhsa_float_round_mode_32 0
		.amdhsa_float_round_mode_16_64 0
		.amdhsa_float_denorm_mode_32 3
		.amdhsa_float_denorm_mode_16_64 3
		.amdhsa_dx10_clamp 1
		.amdhsa_ieee_mode 1
		.amdhsa_fp16_overflow 0
		.amdhsa_workgroup_processor_mode 1
		.amdhsa_memory_ordered 1
		.amdhsa_forward_progress 1
		.amdhsa_shared_vgpr_count 0
		.amdhsa_exception_fp_ieee_invalid_op 0
		.amdhsa_exception_fp_denorm_src 0
		.amdhsa_exception_fp_ieee_div_zero 0
		.amdhsa_exception_fp_ieee_overflow 0
		.amdhsa_exception_fp_ieee_underflow 0
		.amdhsa_exception_fp_ieee_inexact 0
		.amdhsa_exception_int_div_zero 0
	.end_amdhsa_kernel
	.section	.text._ZN7rocprim17ROCPRIM_400000_NS6detail17trampoline_kernelINS0_14default_configENS1_27scan_by_key_config_selectorIsiEEZZNS1_16scan_by_key_implILNS1_25lookback_scan_determinismE0ELb1ES3_N6thrust23THRUST_200600_302600_NS6detail15normal_iteratorINS9_10device_ptrIsEEEESE_SE_iNS9_4plusIvEENS9_8equal_toIvEEiEE10hipError_tPvRmT2_T3_T4_T5_mT6_T7_P12ihipStream_tbENKUlT_T0_E_clISt17integral_constantIbLb0EESY_IbLb1EEEEDaSU_SV_EUlSU_E_NS1_11comp_targetILNS1_3genE4ELNS1_11target_archE910ELNS1_3gpuE8ELNS1_3repE0EEENS1_30default_config_static_selectorELNS0_4arch9wavefront6targetE0EEEvT1_,"axG",@progbits,_ZN7rocprim17ROCPRIM_400000_NS6detail17trampoline_kernelINS0_14default_configENS1_27scan_by_key_config_selectorIsiEEZZNS1_16scan_by_key_implILNS1_25lookback_scan_determinismE0ELb1ES3_N6thrust23THRUST_200600_302600_NS6detail15normal_iteratorINS9_10device_ptrIsEEEESE_SE_iNS9_4plusIvEENS9_8equal_toIvEEiEE10hipError_tPvRmT2_T3_T4_T5_mT6_T7_P12ihipStream_tbENKUlT_T0_E_clISt17integral_constantIbLb0EESY_IbLb1EEEEDaSU_SV_EUlSU_E_NS1_11comp_targetILNS1_3genE4ELNS1_11target_archE910ELNS1_3gpuE8ELNS1_3repE0EEENS1_30default_config_static_selectorELNS0_4arch9wavefront6targetE0EEEvT1_,comdat
.Lfunc_end1075:
	.size	_ZN7rocprim17ROCPRIM_400000_NS6detail17trampoline_kernelINS0_14default_configENS1_27scan_by_key_config_selectorIsiEEZZNS1_16scan_by_key_implILNS1_25lookback_scan_determinismE0ELb1ES3_N6thrust23THRUST_200600_302600_NS6detail15normal_iteratorINS9_10device_ptrIsEEEESE_SE_iNS9_4plusIvEENS9_8equal_toIvEEiEE10hipError_tPvRmT2_T3_T4_T5_mT6_T7_P12ihipStream_tbENKUlT_T0_E_clISt17integral_constantIbLb0EESY_IbLb1EEEEDaSU_SV_EUlSU_E_NS1_11comp_targetILNS1_3genE4ELNS1_11target_archE910ELNS1_3gpuE8ELNS1_3repE0EEENS1_30default_config_static_selectorELNS0_4arch9wavefront6targetE0EEEvT1_, .Lfunc_end1075-_ZN7rocprim17ROCPRIM_400000_NS6detail17trampoline_kernelINS0_14default_configENS1_27scan_by_key_config_selectorIsiEEZZNS1_16scan_by_key_implILNS1_25lookback_scan_determinismE0ELb1ES3_N6thrust23THRUST_200600_302600_NS6detail15normal_iteratorINS9_10device_ptrIsEEEESE_SE_iNS9_4plusIvEENS9_8equal_toIvEEiEE10hipError_tPvRmT2_T3_T4_T5_mT6_T7_P12ihipStream_tbENKUlT_T0_E_clISt17integral_constantIbLb0EESY_IbLb1EEEEDaSU_SV_EUlSU_E_NS1_11comp_targetILNS1_3genE4ELNS1_11target_archE910ELNS1_3gpuE8ELNS1_3repE0EEENS1_30default_config_static_selectorELNS0_4arch9wavefront6targetE0EEEvT1_
                                        ; -- End function
	.set _ZN7rocprim17ROCPRIM_400000_NS6detail17trampoline_kernelINS0_14default_configENS1_27scan_by_key_config_selectorIsiEEZZNS1_16scan_by_key_implILNS1_25lookback_scan_determinismE0ELb1ES3_N6thrust23THRUST_200600_302600_NS6detail15normal_iteratorINS9_10device_ptrIsEEEESE_SE_iNS9_4plusIvEENS9_8equal_toIvEEiEE10hipError_tPvRmT2_T3_T4_T5_mT6_T7_P12ihipStream_tbENKUlT_T0_E_clISt17integral_constantIbLb0EESY_IbLb1EEEEDaSU_SV_EUlSU_E_NS1_11comp_targetILNS1_3genE4ELNS1_11target_archE910ELNS1_3gpuE8ELNS1_3repE0EEENS1_30default_config_static_selectorELNS0_4arch9wavefront6targetE0EEEvT1_.num_vgpr, 0
	.set _ZN7rocprim17ROCPRIM_400000_NS6detail17trampoline_kernelINS0_14default_configENS1_27scan_by_key_config_selectorIsiEEZZNS1_16scan_by_key_implILNS1_25lookback_scan_determinismE0ELb1ES3_N6thrust23THRUST_200600_302600_NS6detail15normal_iteratorINS9_10device_ptrIsEEEESE_SE_iNS9_4plusIvEENS9_8equal_toIvEEiEE10hipError_tPvRmT2_T3_T4_T5_mT6_T7_P12ihipStream_tbENKUlT_T0_E_clISt17integral_constantIbLb0EESY_IbLb1EEEEDaSU_SV_EUlSU_E_NS1_11comp_targetILNS1_3genE4ELNS1_11target_archE910ELNS1_3gpuE8ELNS1_3repE0EEENS1_30default_config_static_selectorELNS0_4arch9wavefront6targetE0EEEvT1_.num_agpr, 0
	.set _ZN7rocprim17ROCPRIM_400000_NS6detail17trampoline_kernelINS0_14default_configENS1_27scan_by_key_config_selectorIsiEEZZNS1_16scan_by_key_implILNS1_25lookback_scan_determinismE0ELb1ES3_N6thrust23THRUST_200600_302600_NS6detail15normal_iteratorINS9_10device_ptrIsEEEESE_SE_iNS9_4plusIvEENS9_8equal_toIvEEiEE10hipError_tPvRmT2_T3_T4_T5_mT6_T7_P12ihipStream_tbENKUlT_T0_E_clISt17integral_constantIbLb0EESY_IbLb1EEEEDaSU_SV_EUlSU_E_NS1_11comp_targetILNS1_3genE4ELNS1_11target_archE910ELNS1_3gpuE8ELNS1_3repE0EEENS1_30default_config_static_selectorELNS0_4arch9wavefront6targetE0EEEvT1_.numbered_sgpr, 0
	.set _ZN7rocprim17ROCPRIM_400000_NS6detail17trampoline_kernelINS0_14default_configENS1_27scan_by_key_config_selectorIsiEEZZNS1_16scan_by_key_implILNS1_25lookback_scan_determinismE0ELb1ES3_N6thrust23THRUST_200600_302600_NS6detail15normal_iteratorINS9_10device_ptrIsEEEESE_SE_iNS9_4plusIvEENS9_8equal_toIvEEiEE10hipError_tPvRmT2_T3_T4_T5_mT6_T7_P12ihipStream_tbENKUlT_T0_E_clISt17integral_constantIbLb0EESY_IbLb1EEEEDaSU_SV_EUlSU_E_NS1_11comp_targetILNS1_3genE4ELNS1_11target_archE910ELNS1_3gpuE8ELNS1_3repE0EEENS1_30default_config_static_selectorELNS0_4arch9wavefront6targetE0EEEvT1_.num_named_barrier, 0
	.set _ZN7rocprim17ROCPRIM_400000_NS6detail17trampoline_kernelINS0_14default_configENS1_27scan_by_key_config_selectorIsiEEZZNS1_16scan_by_key_implILNS1_25lookback_scan_determinismE0ELb1ES3_N6thrust23THRUST_200600_302600_NS6detail15normal_iteratorINS9_10device_ptrIsEEEESE_SE_iNS9_4plusIvEENS9_8equal_toIvEEiEE10hipError_tPvRmT2_T3_T4_T5_mT6_T7_P12ihipStream_tbENKUlT_T0_E_clISt17integral_constantIbLb0EESY_IbLb1EEEEDaSU_SV_EUlSU_E_NS1_11comp_targetILNS1_3genE4ELNS1_11target_archE910ELNS1_3gpuE8ELNS1_3repE0EEENS1_30default_config_static_selectorELNS0_4arch9wavefront6targetE0EEEvT1_.private_seg_size, 0
	.set _ZN7rocprim17ROCPRIM_400000_NS6detail17trampoline_kernelINS0_14default_configENS1_27scan_by_key_config_selectorIsiEEZZNS1_16scan_by_key_implILNS1_25lookback_scan_determinismE0ELb1ES3_N6thrust23THRUST_200600_302600_NS6detail15normal_iteratorINS9_10device_ptrIsEEEESE_SE_iNS9_4plusIvEENS9_8equal_toIvEEiEE10hipError_tPvRmT2_T3_T4_T5_mT6_T7_P12ihipStream_tbENKUlT_T0_E_clISt17integral_constantIbLb0EESY_IbLb1EEEEDaSU_SV_EUlSU_E_NS1_11comp_targetILNS1_3genE4ELNS1_11target_archE910ELNS1_3gpuE8ELNS1_3repE0EEENS1_30default_config_static_selectorELNS0_4arch9wavefront6targetE0EEEvT1_.uses_vcc, 0
	.set _ZN7rocprim17ROCPRIM_400000_NS6detail17trampoline_kernelINS0_14default_configENS1_27scan_by_key_config_selectorIsiEEZZNS1_16scan_by_key_implILNS1_25lookback_scan_determinismE0ELb1ES3_N6thrust23THRUST_200600_302600_NS6detail15normal_iteratorINS9_10device_ptrIsEEEESE_SE_iNS9_4plusIvEENS9_8equal_toIvEEiEE10hipError_tPvRmT2_T3_T4_T5_mT6_T7_P12ihipStream_tbENKUlT_T0_E_clISt17integral_constantIbLb0EESY_IbLb1EEEEDaSU_SV_EUlSU_E_NS1_11comp_targetILNS1_3genE4ELNS1_11target_archE910ELNS1_3gpuE8ELNS1_3repE0EEENS1_30default_config_static_selectorELNS0_4arch9wavefront6targetE0EEEvT1_.uses_flat_scratch, 0
	.set _ZN7rocprim17ROCPRIM_400000_NS6detail17trampoline_kernelINS0_14default_configENS1_27scan_by_key_config_selectorIsiEEZZNS1_16scan_by_key_implILNS1_25lookback_scan_determinismE0ELb1ES3_N6thrust23THRUST_200600_302600_NS6detail15normal_iteratorINS9_10device_ptrIsEEEESE_SE_iNS9_4plusIvEENS9_8equal_toIvEEiEE10hipError_tPvRmT2_T3_T4_T5_mT6_T7_P12ihipStream_tbENKUlT_T0_E_clISt17integral_constantIbLb0EESY_IbLb1EEEEDaSU_SV_EUlSU_E_NS1_11comp_targetILNS1_3genE4ELNS1_11target_archE910ELNS1_3gpuE8ELNS1_3repE0EEENS1_30default_config_static_selectorELNS0_4arch9wavefront6targetE0EEEvT1_.has_dyn_sized_stack, 0
	.set _ZN7rocprim17ROCPRIM_400000_NS6detail17trampoline_kernelINS0_14default_configENS1_27scan_by_key_config_selectorIsiEEZZNS1_16scan_by_key_implILNS1_25lookback_scan_determinismE0ELb1ES3_N6thrust23THRUST_200600_302600_NS6detail15normal_iteratorINS9_10device_ptrIsEEEESE_SE_iNS9_4plusIvEENS9_8equal_toIvEEiEE10hipError_tPvRmT2_T3_T4_T5_mT6_T7_P12ihipStream_tbENKUlT_T0_E_clISt17integral_constantIbLb0EESY_IbLb1EEEEDaSU_SV_EUlSU_E_NS1_11comp_targetILNS1_3genE4ELNS1_11target_archE910ELNS1_3gpuE8ELNS1_3repE0EEENS1_30default_config_static_selectorELNS0_4arch9wavefront6targetE0EEEvT1_.has_recursion, 0
	.set _ZN7rocprim17ROCPRIM_400000_NS6detail17trampoline_kernelINS0_14default_configENS1_27scan_by_key_config_selectorIsiEEZZNS1_16scan_by_key_implILNS1_25lookback_scan_determinismE0ELb1ES3_N6thrust23THRUST_200600_302600_NS6detail15normal_iteratorINS9_10device_ptrIsEEEESE_SE_iNS9_4plusIvEENS9_8equal_toIvEEiEE10hipError_tPvRmT2_T3_T4_T5_mT6_T7_P12ihipStream_tbENKUlT_T0_E_clISt17integral_constantIbLb0EESY_IbLb1EEEEDaSU_SV_EUlSU_E_NS1_11comp_targetILNS1_3genE4ELNS1_11target_archE910ELNS1_3gpuE8ELNS1_3repE0EEENS1_30default_config_static_selectorELNS0_4arch9wavefront6targetE0EEEvT1_.has_indirect_call, 0
	.section	.AMDGPU.csdata,"",@progbits
; Kernel info:
; codeLenInByte = 0
; TotalNumSgprs: 0
; NumVgprs: 0
; ScratchSize: 0
; MemoryBound: 0
; FloatMode: 240
; IeeeMode: 1
; LDSByteSize: 0 bytes/workgroup (compile time only)
; SGPRBlocks: 0
; VGPRBlocks: 0
; NumSGPRsForWavesPerEU: 1
; NumVGPRsForWavesPerEU: 1
; Occupancy: 16
; WaveLimiterHint : 0
; COMPUTE_PGM_RSRC2:SCRATCH_EN: 0
; COMPUTE_PGM_RSRC2:USER_SGPR: 6
; COMPUTE_PGM_RSRC2:TRAP_HANDLER: 0
; COMPUTE_PGM_RSRC2:TGID_X_EN: 1
; COMPUTE_PGM_RSRC2:TGID_Y_EN: 0
; COMPUTE_PGM_RSRC2:TGID_Z_EN: 0
; COMPUTE_PGM_RSRC2:TIDIG_COMP_CNT: 0
	.section	.text._ZN7rocprim17ROCPRIM_400000_NS6detail17trampoline_kernelINS0_14default_configENS1_27scan_by_key_config_selectorIsiEEZZNS1_16scan_by_key_implILNS1_25lookback_scan_determinismE0ELb1ES3_N6thrust23THRUST_200600_302600_NS6detail15normal_iteratorINS9_10device_ptrIsEEEESE_SE_iNS9_4plusIvEENS9_8equal_toIvEEiEE10hipError_tPvRmT2_T3_T4_T5_mT6_T7_P12ihipStream_tbENKUlT_T0_E_clISt17integral_constantIbLb0EESY_IbLb1EEEEDaSU_SV_EUlSU_E_NS1_11comp_targetILNS1_3genE3ELNS1_11target_archE908ELNS1_3gpuE7ELNS1_3repE0EEENS1_30default_config_static_selectorELNS0_4arch9wavefront6targetE0EEEvT1_,"axG",@progbits,_ZN7rocprim17ROCPRIM_400000_NS6detail17trampoline_kernelINS0_14default_configENS1_27scan_by_key_config_selectorIsiEEZZNS1_16scan_by_key_implILNS1_25lookback_scan_determinismE0ELb1ES3_N6thrust23THRUST_200600_302600_NS6detail15normal_iteratorINS9_10device_ptrIsEEEESE_SE_iNS9_4plusIvEENS9_8equal_toIvEEiEE10hipError_tPvRmT2_T3_T4_T5_mT6_T7_P12ihipStream_tbENKUlT_T0_E_clISt17integral_constantIbLb0EESY_IbLb1EEEEDaSU_SV_EUlSU_E_NS1_11comp_targetILNS1_3genE3ELNS1_11target_archE908ELNS1_3gpuE7ELNS1_3repE0EEENS1_30default_config_static_selectorELNS0_4arch9wavefront6targetE0EEEvT1_,comdat
	.protected	_ZN7rocprim17ROCPRIM_400000_NS6detail17trampoline_kernelINS0_14default_configENS1_27scan_by_key_config_selectorIsiEEZZNS1_16scan_by_key_implILNS1_25lookback_scan_determinismE0ELb1ES3_N6thrust23THRUST_200600_302600_NS6detail15normal_iteratorINS9_10device_ptrIsEEEESE_SE_iNS9_4plusIvEENS9_8equal_toIvEEiEE10hipError_tPvRmT2_T3_T4_T5_mT6_T7_P12ihipStream_tbENKUlT_T0_E_clISt17integral_constantIbLb0EESY_IbLb1EEEEDaSU_SV_EUlSU_E_NS1_11comp_targetILNS1_3genE3ELNS1_11target_archE908ELNS1_3gpuE7ELNS1_3repE0EEENS1_30default_config_static_selectorELNS0_4arch9wavefront6targetE0EEEvT1_ ; -- Begin function _ZN7rocprim17ROCPRIM_400000_NS6detail17trampoline_kernelINS0_14default_configENS1_27scan_by_key_config_selectorIsiEEZZNS1_16scan_by_key_implILNS1_25lookback_scan_determinismE0ELb1ES3_N6thrust23THRUST_200600_302600_NS6detail15normal_iteratorINS9_10device_ptrIsEEEESE_SE_iNS9_4plusIvEENS9_8equal_toIvEEiEE10hipError_tPvRmT2_T3_T4_T5_mT6_T7_P12ihipStream_tbENKUlT_T0_E_clISt17integral_constantIbLb0EESY_IbLb1EEEEDaSU_SV_EUlSU_E_NS1_11comp_targetILNS1_3genE3ELNS1_11target_archE908ELNS1_3gpuE7ELNS1_3repE0EEENS1_30default_config_static_selectorELNS0_4arch9wavefront6targetE0EEEvT1_
	.globl	_ZN7rocprim17ROCPRIM_400000_NS6detail17trampoline_kernelINS0_14default_configENS1_27scan_by_key_config_selectorIsiEEZZNS1_16scan_by_key_implILNS1_25lookback_scan_determinismE0ELb1ES3_N6thrust23THRUST_200600_302600_NS6detail15normal_iteratorINS9_10device_ptrIsEEEESE_SE_iNS9_4plusIvEENS9_8equal_toIvEEiEE10hipError_tPvRmT2_T3_T4_T5_mT6_T7_P12ihipStream_tbENKUlT_T0_E_clISt17integral_constantIbLb0EESY_IbLb1EEEEDaSU_SV_EUlSU_E_NS1_11comp_targetILNS1_3genE3ELNS1_11target_archE908ELNS1_3gpuE7ELNS1_3repE0EEENS1_30default_config_static_selectorELNS0_4arch9wavefront6targetE0EEEvT1_
	.p2align	8
	.type	_ZN7rocprim17ROCPRIM_400000_NS6detail17trampoline_kernelINS0_14default_configENS1_27scan_by_key_config_selectorIsiEEZZNS1_16scan_by_key_implILNS1_25lookback_scan_determinismE0ELb1ES3_N6thrust23THRUST_200600_302600_NS6detail15normal_iteratorINS9_10device_ptrIsEEEESE_SE_iNS9_4plusIvEENS9_8equal_toIvEEiEE10hipError_tPvRmT2_T3_T4_T5_mT6_T7_P12ihipStream_tbENKUlT_T0_E_clISt17integral_constantIbLb0EESY_IbLb1EEEEDaSU_SV_EUlSU_E_NS1_11comp_targetILNS1_3genE3ELNS1_11target_archE908ELNS1_3gpuE7ELNS1_3repE0EEENS1_30default_config_static_selectorELNS0_4arch9wavefront6targetE0EEEvT1_,@function
_ZN7rocprim17ROCPRIM_400000_NS6detail17trampoline_kernelINS0_14default_configENS1_27scan_by_key_config_selectorIsiEEZZNS1_16scan_by_key_implILNS1_25lookback_scan_determinismE0ELb1ES3_N6thrust23THRUST_200600_302600_NS6detail15normal_iteratorINS9_10device_ptrIsEEEESE_SE_iNS9_4plusIvEENS9_8equal_toIvEEiEE10hipError_tPvRmT2_T3_T4_T5_mT6_T7_P12ihipStream_tbENKUlT_T0_E_clISt17integral_constantIbLb0EESY_IbLb1EEEEDaSU_SV_EUlSU_E_NS1_11comp_targetILNS1_3genE3ELNS1_11target_archE908ELNS1_3gpuE7ELNS1_3repE0EEENS1_30default_config_static_selectorELNS0_4arch9wavefront6targetE0EEEvT1_: ; @_ZN7rocprim17ROCPRIM_400000_NS6detail17trampoline_kernelINS0_14default_configENS1_27scan_by_key_config_selectorIsiEEZZNS1_16scan_by_key_implILNS1_25lookback_scan_determinismE0ELb1ES3_N6thrust23THRUST_200600_302600_NS6detail15normal_iteratorINS9_10device_ptrIsEEEESE_SE_iNS9_4plusIvEENS9_8equal_toIvEEiEE10hipError_tPvRmT2_T3_T4_T5_mT6_T7_P12ihipStream_tbENKUlT_T0_E_clISt17integral_constantIbLb0EESY_IbLb1EEEEDaSU_SV_EUlSU_E_NS1_11comp_targetILNS1_3genE3ELNS1_11target_archE908ELNS1_3gpuE7ELNS1_3repE0EEENS1_30default_config_static_selectorELNS0_4arch9wavefront6targetE0EEEvT1_
; %bb.0:
	.section	.rodata,"a",@progbits
	.p2align	6, 0x0
	.amdhsa_kernel _ZN7rocprim17ROCPRIM_400000_NS6detail17trampoline_kernelINS0_14default_configENS1_27scan_by_key_config_selectorIsiEEZZNS1_16scan_by_key_implILNS1_25lookback_scan_determinismE0ELb1ES3_N6thrust23THRUST_200600_302600_NS6detail15normal_iteratorINS9_10device_ptrIsEEEESE_SE_iNS9_4plusIvEENS9_8equal_toIvEEiEE10hipError_tPvRmT2_T3_T4_T5_mT6_T7_P12ihipStream_tbENKUlT_T0_E_clISt17integral_constantIbLb0EESY_IbLb1EEEEDaSU_SV_EUlSU_E_NS1_11comp_targetILNS1_3genE3ELNS1_11target_archE908ELNS1_3gpuE7ELNS1_3repE0EEENS1_30default_config_static_selectorELNS0_4arch9wavefront6targetE0EEEvT1_
		.amdhsa_group_segment_fixed_size 0
		.amdhsa_private_segment_fixed_size 0
		.amdhsa_kernarg_size 112
		.amdhsa_user_sgpr_count 6
		.amdhsa_user_sgpr_private_segment_buffer 1
		.amdhsa_user_sgpr_dispatch_ptr 0
		.amdhsa_user_sgpr_queue_ptr 0
		.amdhsa_user_sgpr_kernarg_segment_ptr 1
		.amdhsa_user_sgpr_dispatch_id 0
		.amdhsa_user_sgpr_flat_scratch_init 0
		.amdhsa_user_sgpr_private_segment_size 0
		.amdhsa_wavefront_size32 1
		.amdhsa_uses_dynamic_stack 0
		.amdhsa_system_sgpr_private_segment_wavefront_offset 0
		.amdhsa_system_sgpr_workgroup_id_x 1
		.amdhsa_system_sgpr_workgroup_id_y 0
		.amdhsa_system_sgpr_workgroup_id_z 0
		.amdhsa_system_sgpr_workgroup_info 0
		.amdhsa_system_vgpr_workitem_id 0
		.amdhsa_next_free_vgpr 1
		.amdhsa_next_free_sgpr 1
		.amdhsa_reserve_vcc 0
		.amdhsa_reserve_flat_scratch 0
		.amdhsa_float_round_mode_32 0
		.amdhsa_float_round_mode_16_64 0
		.amdhsa_float_denorm_mode_32 3
		.amdhsa_float_denorm_mode_16_64 3
		.amdhsa_dx10_clamp 1
		.amdhsa_ieee_mode 1
		.amdhsa_fp16_overflow 0
		.amdhsa_workgroup_processor_mode 1
		.amdhsa_memory_ordered 1
		.amdhsa_forward_progress 1
		.amdhsa_shared_vgpr_count 0
		.amdhsa_exception_fp_ieee_invalid_op 0
		.amdhsa_exception_fp_denorm_src 0
		.amdhsa_exception_fp_ieee_div_zero 0
		.amdhsa_exception_fp_ieee_overflow 0
		.amdhsa_exception_fp_ieee_underflow 0
		.amdhsa_exception_fp_ieee_inexact 0
		.amdhsa_exception_int_div_zero 0
	.end_amdhsa_kernel
	.section	.text._ZN7rocprim17ROCPRIM_400000_NS6detail17trampoline_kernelINS0_14default_configENS1_27scan_by_key_config_selectorIsiEEZZNS1_16scan_by_key_implILNS1_25lookback_scan_determinismE0ELb1ES3_N6thrust23THRUST_200600_302600_NS6detail15normal_iteratorINS9_10device_ptrIsEEEESE_SE_iNS9_4plusIvEENS9_8equal_toIvEEiEE10hipError_tPvRmT2_T3_T4_T5_mT6_T7_P12ihipStream_tbENKUlT_T0_E_clISt17integral_constantIbLb0EESY_IbLb1EEEEDaSU_SV_EUlSU_E_NS1_11comp_targetILNS1_3genE3ELNS1_11target_archE908ELNS1_3gpuE7ELNS1_3repE0EEENS1_30default_config_static_selectorELNS0_4arch9wavefront6targetE0EEEvT1_,"axG",@progbits,_ZN7rocprim17ROCPRIM_400000_NS6detail17trampoline_kernelINS0_14default_configENS1_27scan_by_key_config_selectorIsiEEZZNS1_16scan_by_key_implILNS1_25lookback_scan_determinismE0ELb1ES3_N6thrust23THRUST_200600_302600_NS6detail15normal_iteratorINS9_10device_ptrIsEEEESE_SE_iNS9_4plusIvEENS9_8equal_toIvEEiEE10hipError_tPvRmT2_T3_T4_T5_mT6_T7_P12ihipStream_tbENKUlT_T0_E_clISt17integral_constantIbLb0EESY_IbLb1EEEEDaSU_SV_EUlSU_E_NS1_11comp_targetILNS1_3genE3ELNS1_11target_archE908ELNS1_3gpuE7ELNS1_3repE0EEENS1_30default_config_static_selectorELNS0_4arch9wavefront6targetE0EEEvT1_,comdat
.Lfunc_end1076:
	.size	_ZN7rocprim17ROCPRIM_400000_NS6detail17trampoline_kernelINS0_14default_configENS1_27scan_by_key_config_selectorIsiEEZZNS1_16scan_by_key_implILNS1_25lookback_scan_determinismE0ELb1ES3_N6thrust23THRUST_200600_302600_NS6detail15normal_iteratorINS9_10device_ptrIsEEEESE_SE_iNS9_4plusIvEENS9_8equal_toIvEEiEE10hipError_tPvRmT2_T3_T4_T5_mT6_T7_P12ihipStream_tbENKUlT_T0_E_clISt17integral_constantIbLb0EESY_IbLb1EEEEDaSU_SV_EUlSU_E_NS1_11comp_targetILNS1_3genE3ELNS1_11target_archE908ELNS1_3gpuE7ELNS1_3repE0EEENS1_30default_config_static_selectorELNS0_4arch9wavefront6targetE0EEEvT1_, .Lfunc_end1076-_ZN7rocprim17ROCPRIM_400000_NS6detail17trampoline_kernelINS0_14default_configENS1_27scan_by_key_config_selectorIsiEEZZNS1_16scan_by_key_implILNS1_25lookback_scan_determinismE0ELb1ES3_N6thrust23THRUST_200600_302600_NS6detail15normal_iteratorINS9_10device_ptrIsEEEESE_SE_iNS9_4plusIvEENS9_8equal_toIvEEiEE10hipError_tPvRmT2_T3_T4_T5_mT6_T7_P12ihipStream_tbENKUlT_T0_E_clISt17integral_constantIbLb0EESY_IbLb1EEEEDaSU_SV_EUlSU_E_NS1_11comp_targetILNS1_3genE3ELNS1_11target_archE908ELNS1_3gpuE7ELNS1_3repE0EEENS1_30default_config_static_selectorELNS0_4arch9wavefront6targetE0EEEvT1_
                                        ; -- End function
	.set _ZN7rocprim17ROCPRIM_400000_NS6detail17trampoline_kernelINS0_14default_configENS1_27scan_by_key_config_selectorIsiEEZZNS1_16scan_by_key_implILNS1_25lookback_scan_determinismE0ELb1ES3_N6thrust23THRUST_200600_302600_NS6detail15normal_iteratorINS9_10device_ptrIsEEEESE_SE_iNS9_4plusIvEENS9_8equal_toIvEEiEE10hipError_tPvRmT2_T3_T4_T5_mT6_T7_P12ihipStream_tbENKUlT_T0_E_clISt17integral_constantIbLb0EESY_IbLb1EEEEDaSU_SV_EUlSU_E_NS1_11comp_targetILNS1_3genE3ELNS1_11target_archE908ELNS1_3gpuE7ELNS1_3repE0EEENS1_30default_config_static_selectorELNS0_4arch9wavefront6targetE0EEEvT1_.num_vgpr, 0
	.set _ZN7rocprim17ROCPRIM_400000_NS6detail17trampoline_kernelINS0_14default_configENS1_27scan_by_key_config_selectorIsiEEZZNS1_16scan_by_key_implILNS1_25lookback_scan_determinismE0ELb1ES3_N6thrust23THRUST_200600_302600_NS6detail15normal_iteratorINS9_10device_ptrIsEEEESE_SE_iNS9_4plusIvEENS9_8equal_toIvEEiEE10hipError_tPvRmT2_T3_T4_T5_mT6_T7_P12ihipStream_tbENKUlT_T0_E_clISt17integral_constantIbLb0EESY_IbLb1EEEEDaSU_SV_EUlSU_E_NS1_11comp_targetILNS1_3genE3ELNS1_11target_archE908ELNS1_3gpuE7ELNS1_3repE0EEENS1_30default_config_static_selectorELNS0_4arch9wavefront6targetE0EEEvT1_.num_agpr, 0
	.set _ZN7rocprim17ROCPRIM_400000_NS6detail17trampoline_kernelINS0_14default_configENS1_27scan_by_key_config_selectorIsiEEZZNS1_16scan_by_key_implILNS1_25lookback_scan_determinismE0ELb1ES3_N6thrust23THRUST_200600_302600_NS6detail15normal_iteratorINS9_10device_ptrIsEEEESE_SE_iNS9_4plusIvEENS9_8equal_toIvEEiEE10hipError_tPvRmT2_T3_T4_T5_mT6_T7_P12ihipStream_tbENKUlT_T0_E_clISt17integral_constantIbLb0EESY_IbLb1EEEEDaSU_SV_EUlSU_E_NS1_11comp_targetILNS1_3genE3ELNS1_11target_archE908ELNS1_3gpuE7ELNS1_3repE0EEENS1_30default_config_static_selectorELNS0_4arch9wavefront6targetE0EEEvT1_.numbered_sgpr, 0
	.set _ZN7rocprim17ROCPRIM_400000_NS6detail17trampoline_kernelINS0_14default_configENS1_27scan_by_key_config_selectorIsiEEZZNS1_16scan_by_key_implILNS1_25lookback_scan_determinismE0ELb1ES3_N6thrust23THRUST_200600_302600_NS6detail15normal_iteratorINS9_10device_ptrIsEEEESE_SE_iNS9_4plusIvEENS9_8equal_toIvEEiEE10hipError_tPvRmT2_T3_T4_T5_mT6_T7_P12ihipStream_tbENKUlT_T0_E_clISt17integral_constantIbLb0EESY_IbLb1EEEEDaSU_SV_EUlSU_E_NS1_11comp_targetILNS1_3genE3ELNS1_11target_archE908ELNS1_3gpuE7ELNS1_3repE0EEENS1_30default_config_static_selectorELNS0_4arch9wavefront6targetE0EEEvT1_.num_named_barrier, 0
	.set _ZN7rocprim17ROCPRIM_400000_NS6detail17trampoline_kernelINS0_14default_configENS1_27scan_by_key_config_selectorIsiEEZZNS1_16scan_by_key_implILNS1_25lookback_scan_determinismE0ELb1ES3_N6thrust23THRUST_200600_302600_NS6detail15normal_iteratorINS9_10device_ptrIsEEEESE_SE_iNS9_4plusIvEENS9_8equal_toIvEEiEE10hipError_tPvRmT2_T3_T4_T5_mT6_T7_P12ihipStream_tbENKUlT_T0_E_clISt17integral_constantIbLb0EESY_IbLb1EEEEDaSU_SV_EUlSU_E_NS1_11comp_targetILNS1_3genE3ELNS1_11target_archE908ELNS1_3gpuE7ELNS1_3repE0EEENS1_30default_config_static_selectorELNS0_4arch9wavefront6targetE0EEEvT1_.private_seg_size, 0
	.set _ZN7rocprim17ROCPRIM_400000_NS6detail17trampoline_kernelINS0_14default_configENS1_27scan_by_key_config_selectorIsiEEZZNS1_16scan_by_key_implILNS1_25lookback_scan_determinismE0ELb1ES3_N6thrust23THRUST_200600_302600_NS6detail15normal_iteratorINS9_10device_ptrIsEEEESE_SE_iNS9_4plusIvEENS9_8equal_toIvEEiEE10hipError_tPvRmT2_T3_T4_T5_mT6_T7_P12ihipStream_tbENKUlT_T0_E_clISt17integral_constantIbLb0EESY_IbLb1EEEEDaSU_SV_EUlSU_E_NS1_11comp_targetILNS1_3genE3ELNS1_11target_archE908ELNS1_3gpuE7ELNS1_3repE0EEENS1_30default_config_static_selectorELNS0_4arch9wavefront6targetE0EEEvT1_.uses_vcc, 0
	.set _ZN7rocprim17ROCPRIM_400000_NS6detail17trampoline_kernelINS0_14default_configENS1_27scan_by_key_config_selectorIsiEEZZNS1_16scan_by_key_implILNS1_25lookback_scan_determinismE0ELb1ES3_N6thrust23THRUST_200600_302600_NS6detail15normal_iteratorINS9_10device_ptrIsEEEESE_SE_iNS9_4plusIvEENS9_8equal_toIvEEiEE10hipError_tPvRmT2_T3_T4_T5_mT6_T7_P12ihipStream_tbENKUlT_T0_E_clISt17integral_constantIbLb0EESY_IbLb1EEEEDaSU_SV_EUlSU_E_NS1_11comp_targetILNS1_3genE3ELNS1_11target_archE908ELNS1_3gpuE7ELNS1_3repE0EEENS1_30default_config_static_selectorELNS0_4arch9wavefront6targetE0EEEvT1_.uses_flat_scratch, 0
	.set _ZN7rocprim17ROCPRIM_400000_NS6detail17trampoline_kernelINS0_14default_configENS1_27scan_by_key_config_selectorIsiEEZZNS1_16scan_by_key_implILNS1_25lookback_scan_determinismE0ELb1ES3_N6thrust23THRUST_200600_302600_NS6detail15normal_iteratorINS9_10device_ptrIsEEEESE_SE_iNS9_4plusIvEENS9_8equal_toIvEEiEE10hipError_tPvRmT2_T3_T4_T5_mT6_T7_P12ihipStream_tbENKUlT_T0_E_clISt17integral_constantIbLb0EESY_IbLb1EEEEDaSU_SV_EUlSU_E_NS1_11comp_targetILNS1_3genE3ELNS1_11target_archE908ELNS1_3gpuE7ELNS1_3repE0EEENS1_30default_config_static_selectorELNS0_4arch9wavefront6targetE0EEEvT1_.has_dyn_sized_stack, 0
	.set _ZN7rocprim17ROCPRIM_400000_NS6detail17trampoline_kernelINS0_14default_configENS1_27scan_by_key_config_selectorIsiEEZZNS1_16scan_by_key_implILNS1_25lookback_scan_determinismE0ELb1ES3_N6thrust23THRUST_200600_302600_NS6detail15normal_iteratorINS9_10device_ptrIsEEEESE_SE_iNS9_4plusIvEENS9_8equal_toIvEEiEE10hipError_tPvRmT2_T3_T4_T5_mT6_T7_P12ihipStream_tbENKUlT_T0_E_clISt17integral_constantIbLb0EESY_IbLb1EEEEDaSU_SV_EUlSU_E_NS1_11comp_targetILNS1_3genE3ELNS1_11target_archE908ELNS1_3gpuE7ELNS1_3repE0EEENS1_30default_config_static_selectorELNS0_4arch9wavefront6targetE0EEEvT1_.has_recursion, 0
	.set _ZN7rocprim17ROCPRIM_400000_NS6detail17trampoline_kernelINS0_14default_configENS1_27scan_by_key_config_selectorIsiEEZZNS1_16scan_by_key_implILNS1_25lookback_scan_determinismE0ELb1ES3_N6thrust23THRUST_200600_302600_NS6detail15normal_iteratorINS9_10device_ptrIsEEEESE_SE_iNS9_4plusIvEENS9_8equal_toIvEEiEE10hipError_tPvRmT2_T3_T4_T5_mT6_T7_P12ihipStream_tbENKUlT_T0_E_clISt17integral_constantIbLb0EESY_IbLb1EEEEDaSU_SV_EUlSU_E_NS1_11comp_targetILNS1_3genE3ELNS1_11target_archE908ELNS1_3gpuE7ELNS1_3repE0EEENS1_30default_config_static_selectorELNS0_4arch9wavefront6targetE0EEEvT1_.has_indirect_call, 0
	.section	.AMDGPU.csdata,"",@progbits
; Kernel info:
; codeLenInByte = 0
; TotalNumSgprs: 0
; NumVgprs: 0
; ScratchSize: 0
; MemoryBound: 0
; FloatMode: 240
; IeeeMode: 1
; LDSByteSize: 0 bytes/workgroup (compile time only)
; SGPRBlocks: 0
; VGPRBlocks: 0
; NumSGPRsForWavesPerEU: 1
; NumVGPRsForWavesPerEU: 1
; Occupancy: 16
; WaveLimiterHint : 0
; COMPUTE_PGM_RSRC2:SCRATCH_EN: 0
; COMPUTE_PGM_RSRC2:USER_SGPR: 6
; COMPUTE_PGM_RSRC2:TRAP_HANDLER: 0
; COMPUTE_PGM_RSRC2:TGID_X_EN: 1
; COMPUTE_PGM_RSRC2:TGID_Y_EN: 0
; COMPUTE_PGM_RSRC2:TGID_Z_EN: 0
; COMPUTE_PGM_RSRC2:TIDIG_COMP_CNT: 0
	.section	.text._ZN7rocprim17ROCPRIM_400000_NS6detail17trampoline_kernelINS0_14default_configENS1_27scan_by_key_config_selectorIsiEEZZNS1_16scan_by_key_implILNS1_25lookback_scan_determinismE0ELb1ES3_N6thrust23THRUST_200600_302600_NS6detail15normal_iteratorINS9_10device_ptrIsEEEESE_SE_iNS9_4plusIvEENS9_8equal_toIvEEiEE10hipError_tPvRmT2_T3_T4_T5_mT6_T7_P12ihipStream_tbENKUlT_T0_E_clISt17integral_constantIbLb0EESY_IbLb1EEEEDaSU_SV_EUlSU_E_NS1_11comp_targetILNS1_3genE2ELNS1_11target_archE906ELNS1_3gpuE6ELNS1_3repE0EEENS1_30default_config_static_selectorELNS0_4arch9wavefront6targetE0EEEvT1_,"axG",@progbits,_ZN7rocprim17ROCPRIM_400000_NS6detail17trampoline_kernelINS0_14default_configENS1_27scan_by_key_config_selectorIsiEEZZNS1_16scan_by_key_implILNS1_25lookback_scan_determinismE0ELb1ES3_N6thrust23THRUST_200600_302600_NS6detail15normal_iteratorINS9_10device_ptrIsEEEESE_SE_iNS9_4plusIvEENS9_8equal_toIvEEiEE10hipError_tPvRmT2_T3_T4_T5_mT6_T7_P12ihipStream_tbENKUlT_T0_E_clISt17integral_constantIbLb0EESY_IbLb1EEEEDaSU_SV_EUlSU_E_NS1_11comp_targetILNS1_3genE2ELNS1_11target_archE906ELNS1_3gpuE6ELNS1_3repE0EEENS1_30default_config_static_selectorELNS0_4arch9wavefront6targetE0EEEvT1_,comdat
	.protected	_ZN7rocprim17ROCPRIM_400000_NS6detail17trampoline_kernelINS0_14default_configENS1_27scan_by_key_config_selectorIsiEEZZNS1_16scan_by_key_implILNS1_25lookback_scan_determinismE0ELb1ES3_N6thrust23THRUST_200600_302600_NS6detail15normal_iteratorINS9_10device_ptrIsEEEESE_SE_iNS9_4plusIvEENS9_8equal_toIvEEiEE10hipError_tPvRmT2_T3_T4_T5_mT6_T7_P12ihipStream_tbENKUlT_T0_E_clISt17integral_constantIbLb0EESY_IbLb1EEEEDaSU_SV_EUlSU_E_NS1_11comp_targetILNS1_3genE2ELNS1_11target_archE906ELNS1_3gpuE6ELNS1_3repE0EEENS1_30default_config_static_selectorELNS0_4arch9wavefront6targetE0EEEvT1_ ; -- Begin function _ZN7rocprim17ROCPRIM_400000_NS6detail17trampoline_kernelINS0_14default_configENS1_27scan_by_key_config_selectorIsiEEZZNS1_16scan_by_key_implILNS1_25lookback_scan_determinismE0ELb1ES3_N6thrust23THRUST_200600_302600_NS6detail15normal_iteratorINS9_10device_ptrIsEEEESE_SE_iNS9_4plusIvEENS9_8equal_toIvEEiEE10hipError_tPvRmT2_T3_T4_T5_mT6_T7_P12ihipStream_tbENKUlT_T0_E_clISt17integral_constantIbLb0EESY_IbLb1EEEEDaSU_SV_EUlSU_E_NS1_11comp_targetILNS1_3genE2ELNS1_11target_archE906ELNS1_3gpuE6ELNS1_3repE0EEENS1_30default_config_static_selectorELNS0_4arch9wavefront6targetE0EEEvT1_
	.globl	_ZN7rocprim17ROCPRIM_400000_NS6detail17trampoline_kernelINS0_14default_configENS1_27scan_by_key_config_selectorIsiEEZZNS1_16scan_by_key_implILNS1_25lookback_scan_determinismE0ELb1ES3_N6thrust23THRUST_200600_302600_NS6detail15normal_iteratorINS9_10device_ptrIsEEEESE_SE_iNS9_4plusIvEENS9_8equal_toIvEEiEE10hipError_tPvRmT2_T3_T4_T5_mT6_T7_P12ihipStream_tbENKUlT_T0_E_clISt17integral_constantIbLb0EESY_IbLb1EEEEDaSU_SV_EUlSU_E_NS1_11comp_targetILNS1_3genE2ELNS1_11target_archE906ELNS1_3gpuE6ELNS1_3repE0EEENS1_30default_config_static_selectorELNS0_4arch9wavefront6targetE0EEEvT1_
	.p2align	8
	.type	_ZN7rocprim17ROCPRIM_400000_NS6detail17trampoline_kernelINS0_14default_configENS1_27scan_by_key_config_selectorIsiEEZZNS1_16scan_by_key_implILNS1_25lookback_scan_determinismE0ELb1ES3_N6thrust23THRUST_200600_302600_NS6detail15normal_iteratorINS9_10device_ptrIsEEEESE_SE_iNS9_4plusIvEENS9_8equal_toIvEEiEE10hipError_tPvRmT2_T3_T4_T5_mT6_T7_P12ihipStream_tbENKUlT_T0_E_clISt17integral_constantIbLb0EESY_IbLb1EEEEDaSU_SV_EUlSU_E_NS1_11comp_targetILNS1_3genE2ELNS1_11target_archE906ELNS1_3gpuE6ELNS1_3repE0EEENS1_30default_config_static_selectorELNS0_4arch9wavefront6targetE0EEEvT1_,@function
_ZN7rocprim17ROCPRIM_400000_NS6detail17trampoline_kernelINS0_14default_configENS1_27scan_by_key_config_selectorIsiEEZZNS1_16scan_by_key_implILNS1_25lookback_scan_determinismE0ELb1ES3_N6thrust23THRUST_200600_302600_NS6detail15normal_iteratorINS9_10device_ptrIsEEEESE_SE_iNS9_4plusIvEENS9_8equal_toIvEEiEE10hipError_tPvRmT2_T3_T4_T5_mT6_T7_P12ihipStream_tbENKUlT_T0_E_clISt17integral_constantIbLb0EESY_IbLb1EEEEDaSU_SV_EUlSU_E_NS1_11comp_targetILNS1_3genE2ELNS1_11target_archE906ELNS1_3gpuE6ELNS1_3repE0EEENS1_30default_config_static_selectorELNS0_4arch9wavefront6targetE0EEEvT1_: ; @_ZN7rocprim17ROCPRIM_400000_NS6detail17trampoline_kernelINS0_14default_configENS1_27scan_by_key_config_selectorIsiEEZZNS1_16scan_by_key_implILNS1_25lookback_scan_determinismE0ELb1ES3_N6thrust23THRUST_200600_302600_NS6detail15normal_iteratorINS9_10device_ptrIsEEEESE_SE_iNS9_4plusIvEENS9_8equal_toIvEEiEE10hipError_tPvRmT2_T3_T4_T5_mT6_T7_P12ihipStream_tbENKUlT_T0_E_clISt17integral_constantIbLb0EESY_IbLb1EEEEDaSU_SV_EUlSU_E_NS1_11comp_targetILNS1_3genE2ELNS1_11target_archE906ELNS1_3gpuE6ELNS1_3repE0EEENS1_30default_config_static_selectorELNS0_4arch9wavefront6targetE0EEEvT1_
; %bb.0:
	.section	.rodata,"a",@progbits
	.p2align	6, 0x0
	.amdhsa_kernel _ZN7rocprim17ROCPRIM_400000_NS6detail17trampoline_kernelINS0_14default_configENS1_27scan_by_key_config_selectorIsiEEZZNS1_16scan_by_key_implILNS1_25lookback_scan_determinismE0ELb1ES3_N6thrust23THRUST_200600_302600_NS6detail15normal_iteratorINS9_10device_ptrIsEEEESE_SE_iNS9_4plusIvEENS9_8equal_toIvEEiEE10hipError_tPvRmT2_T3_T4_T5_mT6_T7_P12ihipStream_tbENKUlT_T0_E_clISt17integral_constantIbLb0EESY_IbLb1EEEEDaSU_SV_EUlSU_E_NS1_11comp_targetILNS1_3genE2ELNS1_11target_archE906ELNS1_3gpuE6ELNS1_3repE0EEENS1_30default_config_static_selectorELNS0_4arch9wavefront6targetE0EEEvT1_
		.amdhsa_group_segment_fixed_size 0
		.amdhsa_private_segment_fixed_size 0
		.amdhsa_kernarg_size 112
		.amdhsa_user_sgpr_count 6
		.amdhsa_user_sgpr_private_segment_buffer 1
		.amdhsa_user_sgpr_dispatch_ptr 0
		.amdhsa_user_sgpr_queue_ptr 0
		.amdhsa_user_sgpr_kernarg_segment_ptr 1
		.amdhsa_user_sgpr_dispatch_id 0
		.amdhsa_user_sgpr_flat_scratch_init 0
		.amdhsa_user_sgpr_private_segment_size 0
		.amdhsa_wavefront_size32 1
		.amdhsa_uses_dynamic_stack 0
		.amdhsa_system_sgpr_private_segment_wavefront_offset 0
		.amdhsa_system_sgpr_workgroup_id_x 1
		.amdhsa_system_sgpr_workgroup_id_y 0
		.amdhsa_system_sgpr_workgroup_id_z 0
		.amdhsa_system_sgpr_workgroup_info 0
		.amdhsa_system_vgpr_workitem_id 0
		.amdhsa_next_free_vgpr 1
		.amdhsa_next_free_sgpr 1
		.amdhsa_reserve_vcc 0
		.amdhsa_reserve_flat_scratch 0
		.amdhsa_float_round_mode_32 0
		.amdhsa_float_round_mode_16_64 0
		.amdhsa_float_denorm_mode_32 3
		.amdhsa_float_denorm_mode_16_64 3
		.amdhsa_dx10_clamp 1
		.amdhsa_ieee_mode 1
		.amdhsa_fp16_overflow 0
		.amdhsa_workgroup_processor_mode 1
		.amdhsa_memory_ordered 1
		.amdhsa_forward_progress 1
		.amdhsa_shared_vgpr_count 0
		.amdhsa_exception_fp_ieee_invalid_op 0
		.amdhsa_exception_fp_denorm_src 0
		.amdhsa_exception_fp_ieee_div_zero 0
		.amdhsa_exception_fp_ieee_overflow 0
		.amdhsa_exception_fp_ieee_underflow 0
		.amdhsa_exception_fp_ieee_inexact 0
		.amdhsa_exception_int_div_zero 0
	.end_amdhsa_kernel
	.section	.text._ZN7rocprim17ROCPRIM_400000_NS6detail17trampoline_kernelINS0_14default_configENS1_27scan_by_key_config_selectorIsiEEZZNS1_16scan_by_key_implILNS1_25lookback_scan_determinismE0ELb1ES3_N6thrust23THRUST_200600_302600_NS6detail15normal_iteratorINS9_10device_ptrIsEEEESE_SE_iNS9_4plusIvEENS9_8equal_toIvEEiEE10hipError_tPvRmT2_T3_T4_T5_mT6_T7_P12ihipStream_tbENKUlT_T0_E_clISt17integral_constantIbLb0EESY_IbLb1EEEEDaSU_SV_EUlSU_E_NS1_11comp_targetILNS1_3genE2ELNS1_11target_archE906ELNS1_3gpuE6ELNS1_3repE0EEENS1_30default_config_static_selectorELNS0_4arch9wavefront6targetE0EEEvT1_,"axG",@progbits,_ZN7rocprim17ROCPRIM_400000_NS6detail17trampoline_kernelINS0_14default_configENS1_27scan_by_key_config_selectorIsiEEZZNS1_16scan_by_key_implILNS1_25lookback_scan_determinismE0ELb1ES3_N6thrust23THRUST_200600_302600_NS6detail15normal_iteratorINS9_10device_ptrIsEEEESE_SE_iNS9_4plusIvEENS9_8equal_toIvEEiEE10hipError_tPvRmT2_T3_T4_T5_mT6_T7_P12ihipStream_tbENKUlT_T0_E_clISt17integral_constantIbLb0EESY_IbLb1EEEEDaSU_SV_EUlSU_E_NS1_11comp_targetILNS1_3genE2ELNS1_11target_archE906ELNS1_3gpuE6ELNS1_3repE0EEENS1_30default_config_static_selectorELNS0_4arch9wavefront6targetE0EEEvT1_,comdat
.Lfunc_end1077:
	.size	_ZN7rocprim17ROCPRIM_400000_NS6detail17trampoline_kernelINS0_14default_configENS1_27scan_by_key_config_selectorIsiEEZZNS1_16scan_by_key_implILNS1_25lookback_scan_determinismE0ELb1ES3_N6thrust23THRUST_200600_302600_NS6detail15normal_iteratorINS9_10device_ptrIsEEEESE_SE_iNS9_4plusIvEENS9_8equal_toIvEEiEE10hipError_tPvRmT2_T3_T4_T5_mT6_T7_P12ihipStream_tbENKUlT_T0_E_clISt17integral_constantIbLb0EESY_IbLb1EEEEDaSU_SV_EUlSU_E_NS1_11comp_targetILNS1_3genE2ELNS1_11target_archE906ELNS1_3gpuE6ELNS1_3repE0EEENS1_30default_config_static_selectorELNS0_4arch9wavefront6targetE0EEEvT1_, .Lfunc_end1077-_ZN7rocprim17ROCPRIM_400000_NS6detail17trampoline_kernelINS0_14default_configENS1_27scan_by_key_config_selectorIsiEEZZNS1_16scan_by_key_implILNS1_25lookback_scan_determinismE0ELb1ES3_N6thrust23THRUST_200600_302600_NS6detail15normal_iteratorINS9_10device_ptrIsEEEESE_SE_iNS9_4plusIvEENS9_8equal_toIvEEiEE10hipError_tPvRmT2_T3_T4_T5_mT6_T7_P12ihipStream_tbENKUlT_T0_E_clISt17integral_constantIbLb0EESY_IbLb1EEEEDaSU_SV_EUlSU_E_NS1_11comp_targetILNS1_3genE2ELNS1_11target_archE906ELNS1_3gpuE6ELNS1_3repE0EEENS1_30default_config_static_selectorELNS0_4arch9wavefront6targetE0EEEvT1_
                                        ; -- End function
	.set _ZN7rocprim17ROCPRIM_400000_NS6detail17trampoline_kernelINS0_14default_configENS1_27scan_by_key_config_selectorIsiEEZZNS1_16scan_by_key_implILNS1_25lookback_scan_determinismE0ELb1ES3_N6thrust23THRUST_200600_302600_NS6detail15normal_iteratorINS9_10device_ptrIsEEEESE_SE_iNS9_4plusIvEENS9_8equal_toIvEEiEE10hipError_tPvRmT2_T3_T4_T5_mT6_T7_P12ihipStream_tbENKUlT_T0_E_clISt17integral_constantIbLb0EESY_IbLb1EEEEDaSU_SV_EUlSU_E_NS1_11comp_targetILNS1_3genE2ELNS1_11target_archE906ELNS1_3gpuE6ELNS1_3repE0EEENS1_30default_config_static_selectorELNS0_4arch9wavefront6targetE0EEEvT1_.num_vgpr, 0
	.set _ZN7rocprim17ROCPRIM_400000_NS6detail17trampoline_kernelINS0_14default_configENS1_27scan_by_key_config_selectorIsiEEZZNS1_16scan_by_key_implILNS1_25lookback_scan_determinismE0ELb1ES3_N6thrust23THRUST_200600_302600_NS6detail15normal_iteratorINS9_10device_ptrIsEEEESE_SE_iNS9_4plusIvEENS9_8equal_toIvEEiEE10hipError_tPvRmT2_T3_T4_T5_mT6_T7_P12ihipStream_tbENKUlT_T0_E_clISt17integral_constantIbLb0EESY_IbLb1EEEEDaSU_SV_EUlSU_E_NS1_11comp_targetILNS1_3genE2ELNS1_11target_archE906ELNS1_3gpuE6ELNS1_3repE0EEENS1_30default_config_static_selectorELNS0_4arch9wavefront6targetE0EEEvT1_.num_agpr, 0
	.set _ZN7rocprim17ROCPRIM_400000_NS6detail17trampoline_kernelINS0_14default_configENS1_27scan_by_key_config_selectorIsiEEZZNS1_16scan_by_key_implILNS1_25lookback_scan_determinismE0ELb1ES3_N6thrust23THRUST_200600_302600_NS6detail15normal_iteratorINS9_10device_ptrIsEEEESE_SE_iNS9_4plusIvEENS9_8equal_toIvEEiEE10hipError_tPvRmT2_T3_T4_T5_mT6_T7_P12ihipStream_tbENKUlT_T0_E_clISt17integral_constantIbLb0EESY_IbLb1EEEEDaSU_SV_EUlSU_E_NS1_11comp_targetILNS1_3genE2ELNS1_11target_archE906ELNS1_3gpuE6ELNS1_3repE0EEENS1_30default_config_static_selectorELNS0_4arch9wavefront6targetE0EEEvT1_.numbered_sgpr, 0
	.set _ZN7rocprim17ROCPRIM_400000_NS6detail17trampoline_kernelINS0_14default_configENS1_27scan_by_key_config_selectorIsiEEZZNS1_16scan_by_key_implILNS1_25lookback_scan_determinismE0ELb1ES3_N6thrust23THRUST_200600_302600_NS6detail15normal_iteratorINS9_10device_ptrIsEEEESE_SE_iNS9_4plusIvEENS9_8equal_toIvEEiEE10hipError_tPvRmT2_T3_T4_T5_mT6_T7_P12ihipStream_tbENKUlT_T0_E_clISt17integral_constantIbLb0EESY_IbLb1EEEEDaSU_SV_EUlSU_E_NS1_11comp_targetILNS1_3genE2ELNS1_11target_archE906ELNS1_3gpuE6ELNS1_3repE0EEENS1_30default_config_static_selectorELNS0_4arch9wavefront6targetE0EEEvT1_.num_named_barrier, 0
	.set _ZN7rocprim17ROCPRIM_400000_NS6detail17trampoline_kernelINS0_14default_configENS1_27scan_by_key_config_selectorIsiEEZZNS1_16scan_by_key_implILNS1_25lookback_scan_determinismE0ELb1ES3_N6thrust23THRUST_200600_302600_NS6detail15normal_iteratorINS9_10device_ptrIsEEEESE_SE_iNS9_4plusIvEENS9_8equal_toIvEEiEE10hipError_tPvRmT2_T3_T4_T5_mT6_T7_P12ihipStream_tbENKUlT_T0_E_clISt17integral_constantIbLb0EESY_IbLb1EEEEDaSU_SV_EUlSU_E_NS1_11comp_targetILNS1_3genE2ELNS1_11target_archE906ELNS1_3gpuE6ELNS1_3repE0EEENS1_30default_config_static_selectorELNS0_4arch9wavefront6targetE0EEEvT1_.private_seg_size, 0
	.set _ZN7rocprim17ROCPRIM_400000_NS6detail17trampoline_kernelINS0_14default_configENS1_27scan_by_key_config_selectorIsiEEZZNS1_16scan_by_key_implILNS1_25lookback_scan_determinismE0ELb1ES3_N6thrust23THRUST_200600_302600_NS6detail15normal_iteratorINS9_10device_ptrIsEEEESE_SE_iNS9_4plusIvEENS9_8equal_toIvEEiEE10hipError_tPvRmT2_T3_T4_T5_mT6_T7_P12ihipStream_tbENKUlT_T0_E_clISt17integral_constantIbLb0EESY_IbLb1EEEEDaSU_SV_EUlSU_E_NS1_11comp_targetILNS1_3genE2ELNS1_11target_archE906ELNS1_3gpuE6ELNS1_3repE0EEENS1_30default_config_static_selectorELNS0_4arch9wavefront6targetE0EEEvT1_.uses_vcc, 0
	.set _ZN7rocprim17ROCPRIM_400000_NS6detail17trampoline_kernelINS0_14default_configENS1_27scan_by_key_config_selectorIsiEEZZNS1_16scan_by_key_implILNS1_25lookback_scan_determinismE0ELb1ES3_N6thrust23THRUST_200600_302600_NS6detail15normal_iteratorINS9_10device_ptrIsEEEESE_SE_iNS9_4plusIvEENS9_8equal_toIvEEiEE10hipError_tPvRmT2_T3_T4_T5_mT6_T7_P12ihipStream_tbENKUlT_T0_E_clISt17integral_constantIbLb0EESY_IbLb1EEEEDaSU_SV_EUlSU_E_NS1_11comp_targetILNS1_3genE2ELNS1_11target_archE906ELNS1_3gpuE6ELNS1_3repE0EEENS1_30default_config_static_selectorELNS0_4arch9wavefront6targetE0EEEvT1_.uses_flat_scratch, 0
	.set _ZN7rocprim17ROCPRIM_400000_NS6detail17trampoline_kernelINS0_14default_configENS1_27scan_by_key_config_selectorIsiEEZZNS1_16scan_by_key_implILNS1_25lookback_scan_determinismE0ELb1ES3_N6thrust23THRUST_200600_302600_NS6detail15normal_iteratorINS9_10device_ptrIsEEEESE_SE_iNS9_4plusIvEENS9_8equal_toIvEEiEE10hipError_tPvRmT2_T3_T4_T5_mT6_T7_P12ihipStream_tbENKUlT_T0_E_clISt17integral_constantIbLb0EESY_IbLb1EEEEDaSU_SV_EUlSU_E_NS1_11comp_targetILNS1_3genE2ELNS1_11target_archE906ELNS1_3gpuE6ELNS1_3repE0EEENS1_30default_config_static_selectorELNS0_4arch9wavefront6targetE0EEEvT1_.has_dyn_sized_stack, 0
	.set _ZN7rocprim17ROCPRIM_400000_NS6detail17trampoline_kernelINS0_14default_configENS1_27scan_by_key_config_selectorIsiEEZZNS1_16scan_by_key_implILNS1_25lookback_scan_determinismE0ELb1ES3_N6thrust23THRUST_200600_302600_NS6detail15normal_iteratorINS9_10device_ptrIsEEEESE_SE_iNS9_4plusIvEENS9_8equal_toIvEEiEE10hipError_tPvRmT2_T3_T4_T5_mT6_T7_P12ihipStream_tbENKUlT_T0_E_clISt17integral_constantIbLb0EESY_IbLb1EEEEDaSU_SV_EUlSU_E_NS1_11comp_targetILNS1_3genE2ELNS1_11target_archE906ELNS1_3gpuE6ELNS1_3repE0EEENS1_30default_config_static_selectorELNS0_4arch9wavefront6targetE0EEEvT1_.has_recursion, 0
	.set _ZN7rocprim17ROCPRIM_400000_NS6detail17trampoline_kernelINS0_14default_configENS1_27scan_by_key_config_selectorIsiEEZZNS1_16scan_by_key_implILNS1_25lookback_scan_determinismE0ELb1ES3_N6thrust23THRUST_200600_302600_NS6detail15normal_iteratorINS9_10device_ptrIsEEEESE_SE_iNS9_4plusIvEENS9_8equal_toIvEEiEE10hipError_tPvRmT2_T3_T4_T5_mT6_T7_P12ihipStream_tbENKUlT_T0_E_clISt17integral_constantIbLb0EESY_IbLb1EEEEDaSU_SV_EUlSU_E_NS1_11comp_targetILNS1_3genE2ELNS1_11target_archE906ELNS1_3gpuE6ELNS1_3repE0EEENS1_30default_config_static_selectorELNS0_4arch9wavefront6targetE0EEEvT1_.has_indirect_call, 0
	.section	.AMDGPU.csdata,"",@progbits
; Kernel info:
; codeLenInByte = 0
; TotalNumSgprs: 0
; NumVgprs: 0
; ScratchSize: 0
; MemoryBound: 0
; FloatMode: 240
; IeeeMode: 1
; LDSByteSize: 0 bytes/workgroup (compile time only)
; SGPRBlocks: 0
; VGPRBlocks: 0
; NumSGPRsForWavesPerEU: 1
; NumVGPRsForWavesPerEU: 1
; Occupancy: 16
; WaveLimiterHint : 0
; COMPUTE_PGM_RSRC2:SCRATCH_EN: 0
; COMPUTE_PGM_RSRC2:USER_SGPR: 6
; COMPUTE_PGM_RSRC2:TRAP_HANDLER: 0
; COMPUTE_PGM_RSRC2:TGID_X_EN: 1
; COMPUTE_PGM_RSRC2:TGID_Y_EN: 0
; COMPUTE_PGM_RSRC2:TGID_Z_EN: 0
; COMPUTE_PGM_RSRC2:TIDIG_COMP_CNT: 0
	.section	.text._ZN7rocprim17ROCPRIM_400000_NS6detail17trampoline_kernelINS0_14default_configENS1_27scan_by_key_config_selectorIsiEEZZNS1_16scan_by_key_implILNS1_25lookback_scan_determinismE0ELb1ES3_N6thrust23THRUST_200600_302600_NS6detail15normal_iteratorINS9_10device_ptrIsEEEESE_SE_iNS9_4plusIvEENS9_8equal_toIvEEiEE10hipError_tPvRmT2_T3_T4_T5_mT6_T7_P12ihipStream_tbENKUlT_T0_E_clISt17integral_constantIbLb0EESY_IbLb1EEEEDaSU_SV_EUlSU_E_NS1_11comp_targetILNS1_3genE10ELNS1_11target_archE1200ELNS1_3gpuE4ELNS1_3repE0EEENS1_30default_config_static_selectorELNS0_4arch9wavefront6targetE0EEEvT1_,"axG",@progbits,_ZN7rocprim17ROCPRIM_400000_NS6detail17trampoline_kernelINS0_14default_configENS1_27scan_by_key_config_selectorIsiEEZZNS1_16scan_by_key_implILNS1_25lookback_scan_determinismE0ELb1ES3_N6thrust23THRUST_200600_302600_NS6detail15normal_iteratorINS9_10device_ptrIsEEEESE_SE_iNS9_4plusIvEENS9_8equal_toIvEEiEE10hipError_tPvRmT2_T3_T4_T5_mT6_T7_P12ihipStream_tbENKUlT_T0_E_clISt17integral_constantIbLb0EESY_IbLb1EEEEDaSU_SV_EUlSU_E_NS1_11comp_targetILNS1_3genE10ELNS1_11target_archE1200ELNS1_3gpuE4ELNS1_3repE0EEENS1_30default_config_static_selectorELNS0_4arch9wavefront6targetE0EEEvT1_,comdat
	.protected	_ZN7rocprim17ROCPRIM_400000_NS6detail17trampoline_kernelINS0_14default_configENS1_27scan_by_key_config_selectorIsiEEZZNS1_16scan_by_key_implILNS1_25lookback_scan_determinismE0ELb1ES3_N6thrust23THRUST_200600_302600_NS6detail15normal_iteratorINS9_10device_ptrIsEEEESE_SE_iNS9_4plusIvEENS9_8equal_toIvEEiEE10hipError_tPvRmT2_T3_T4_T5_mT6_T7_P12ihipStream_tbENKUlT_T0_E_clISt17integral_constantIbLb0EESY_IbLb1EEEEDaSU_SV_EUlSU_E_NS1_11comp_targetILNS1_3genE10ELNS1_11target_archE1200ELNS1_3gpuE4ELNS1_3repE0EEENS1_30default_config_static_selectorELNS0_4arch9wavefront6targetE0EEEvT1_ ; -- Begin function _ZN7rocprim17ROCPRIM_400000_NS6detail17trampoline_kernelINS0_14default_configENS1_27scan_by_key_config_selectorIsiEEZZNS1_16scan_by_key_implILNS1_25lookback_scan_determinismE0ELb1ES3_N6thrust23THRUST_200600_302600_NS6detail15normal_iteratorINS9_10device_ptrIsEEEESE_SE_iNS9_4plusIvEENS9_8equal_toIvEEiEE10hipError_tPvRmT2_T3_T4_T5_mT6_T7_P12ihipStream_tbENKUlT_T0_E_clISt17integral_constantIbLb0EESY_IbLb1EEEEDaSU_SV_EUlSU_E_NS1_11comp_targetILNS1_3genE10ELNS1_11target_archE1200ELNS1_3gpuE4ELNS1_3repE0EEENS1_30default_config_static_selectorELNS0_4arch9wavefront6targetE0EEEvT1_
	.globl	_ZN7rocprim17ROCPRIM_400000_NS6detail17trampoline_kernelINS0_14default_configENS1_27scan_by_key_config_selectorIsiEEZZNS1_16scan_by_key_implILNS1_25lookback_scan_determinismE0ELb1ES3_N6thrust23THRUST_200600_302600_NS6detail15normal_iteratorINS9_10device_ptrIsEEEESE_SE_iNS9_4plusIvEENS9_8equal_toIvEEiEE10hipError_tPvRmT2_T3_T4_T5_mT6_T7_P12ihipStream_tbENKUlT_T0_E_clISt17integral_constantIbLb0EESY_IbLb1EEEEDaSU_SV_EUlSU_E_NS1_11comp_targetILNS1_3genE10ELNS1_11target_archE1200ELNS1_3gpuE4ELNS1_3repE0EEENS1_30default_config_static_selectorELNS0_4arch9wavefront6targetE0EEEvT1_
	.p2align	8
	.type	_ZN7rocprim17ROCPRIM_400000_NS6detail17trampoline_kernelINS0_14default_configENS1_27scan_by_key_config_selectorIsiEEZZNS1_16scan_by_key_implILNS1_25lookback_scan_determinismE0ELb1ES3_N6thrust23THRUST_200600_302600_NS6detail15normal_iteratorINS9_10device_ptrIsEEEESE_SE_iNS9_4plusIvEENS9_8equal_toIvEEiEE10hipError_tPvRmT2_T3_T4_T5_mT6_T7_P12ihipStream_tbENKUlT_T0_E_clISt17integral_constantIbLb0EESY_IbLb1EEEEDaSU_SV_EUlSU_E_NS1_11comp_targetILNS1_3genE10ELNS1_11target_archE1200ELNS1_3gpuE4ELNS1_3repE0EEENS1_30default_config_static_selectorELNS0_4arch9wavefront6targetE0EEEvT1_,@function
_ZN7rocprim17ROCPRIM_400000_NS6detail17trampoline_kernelINS0_14default_configENS1_27scan_by_key_config_selectorIsiEEZZNS1_16scan_by_key_implILNS1_25lookback_scan_determinismE0ELb1ES3_N6thrust23THRUST_200600_302600_NS6detail15normal_iteratorINS9_10device_ptrIsEEEESE_SE_iNS9_4plusIvEENS9_8equal_toIvEEiEE10hipError_tPvRmT2_T3_T4_T5_mT6_T7_P12ihipStream_tbENKUlT_T0_E_clISt17integral_constantIbLb0EESY_IbLb1EEEEDaSU_SV_EUlSU_E_NS1_11comp_targetILNS1_3genE10ELNS1_11target_archE1200ELNS1_3gpuE4ELNS1_3repE0EEENS1_30default_config_static_selectorELNS0_4arch9wavefront6targetE0EEEvT1_: ; @_ZN7rocprim17ROCPRIM_400000_NS6detail17trampoline_kernelINS0_14default_configENS1_27scan_by_key_config_selectorIsiEEZZNS1_16scan_by_key_implILNS1_25lookback_scan_determinismE0ELb1ES3_N6thrust23THRUST_200600_302600_NS6detail15normal_iteratorINS9_10device_ptrIsEEEESE_SE_iNS9_4plusIvEENS9_8equal_toIvEEiEE10hipError_tPvRmT2_T3_T4_T5_mT6_T7_P12ihipStream_tbENKUlT_T0_E_clISt17integral_constantIbLb0EESY_IbLb1EEEEDaSU_SV_EUlSU_E_NS1_11comp_targetILNS1_3genE10ELNS1_11target_archE1200ELNS1_3gpuE4ELNS1_3repE0EEENS1_30default_config_static_selectorELNS0_4arch9wavefront6targetE0EEEvT1_
; %bb.0:
	.section	.rodata,"a",@progbits
	.p2align	6, 0x0
	.amdhsa_kernel _ZN7rocprim17ROCPRIM_400000_NS6detail17trampoline_kernelINS0_14default_configENS1_27scan_by_key_config_selectorIsiEEZZNS1_16scan_by_key_implILNS1_25lookback_scan_determinismE0ELb1ES3_N6thrust23THRUST_200600_302600_NS6detail15normal_iteratorINS9_10device_ptrIsEEEESE_SE_iNS9_4plusIvEENS9_8equal_toIvEEiEE10hipError_tPvRmT2_T3_T4_T5_mT6_T7_P12ihipStream_tbENKUlT_T0_E_clISt17integral_constantIbLb0EESY_IbLb1EEEEDaSU_SV_EUlSU_E_NS1_11comp_targetILNS1_3genE10ELNS1_11target_archE1200ELNS1_3gpuE4ELNS1_3repE0EEENS1_30default_config_static_selectorELNS0_4arch9wavefront6targetE0EEEvT1_
		.amdhsa_group_segment_fixed_size 0
		.amdhsa_private_segment_fixed_size 0
		.amdhsa_kernarg_size 112
		.amdhsa_user_sgpr_count 6
		.amdhsa_user_sgpr_private_segment_buffer 1
		.amdhsa_user_sgpr_dispatch_ptr 0
		.amdhsa_user_sgpr_queue_ptr 0
		.amdhsa_user_sgpr_kernarg_segment_ptr 1
		.amdhsa_user_sgpr_dispatch_id 0
		.amdhsa_user_sgpr_flat_scratch_init 0
		.amdhsa_user_sgpr_private_segment_size 0
		.amdhsa_wavefront_size32 1
		.amdhsa_uses_dynamic_stack 0
		.amdhsa_system_sgpr_private_segment_wavefront_offset 0
		.amdhsa_system_sgpr_workgroup_id_x 1
		.amdhsa_system_sgpr_workgroup_id_y 0
		.amdhsa_system_sgpr_workgroup_id_z 0
		.amdhsa_system_sgpr_workgroup_info 0
		.amdhsa_system_vgpr_workitem_id 0
		.amdhsa_next_free_vgpr 1
		.amdhsa_next_free_sgpr 1
		.amdhsa_reserve_vcc 0
		.amdhsa_reserve_flat_scratch 0
		.amdhsa_float_round_mode_32 0
		.amdhsa_float_round_mode_16_64 0
		.amdhsa_float_denorm_mode_32 3
		.amdhsa_float_denorm_mode_16_64 3
		.amdhsa_dx10_clamp 1
		.amdhsa_ieee_mode 1
		.amdhsa_fp16_overflow 0
		.amdhsa_workgroup_processor_mode 1
		.amdhsa_memory_ordered 1
		.amdhsa_forward_progress 1
		.amdhsa_shared_vgpr_count 0
		.amdhsa_exception_fp_ieee_invalid_op 0
		.amdhsa_exception_fp_denorm_src 0
		.amdhsa_exception_fp_ieee_div_zero 0
		.amdhsa_exception_fp_ieee_overflow 0
		.amdhsa_exception_fp_ieee_underflow 0
		.amdhsa_exception_fp_ieee_inexact 0
		.amdhsa_exception_int_div_zero 0
	.end_amdhsa_kernel
	.section	.text._ZN7rocprim17ROCPRIM_400000_NS6detail17trampoline_kernelINS0_14default_configENS1_27scan_by_key_config_selectorIsiEEZZNS1_16scan_by_key_implILNS1_25lookback_scan_determinismE0ELb1ES3_N6thrust23THRUST_200600_302600_NS6detail15normal_iteratorINS9_10device_ptrIsEEEESE_SE_iNS9_4plusIvEENS9_8equal_toIvEEiEE10hipError_tPvRmT2_T3_T4_T5_mT6_T7_P12ihipStream_tbENKUlT_T0_E_clISt17integral_constantIbLb0EESY_IbLb1EEEEDaSU_SV_EUlSU_E_NS1_11comp_targetILNS1_3genE10ELNS1_11target_archE1200ELNS1_3gpuE4ELNS1_3repE0EEENS1_30default_config_static_selectorELNS0_4arch9wavefront6targetE0EEEvT1_,"axG",@progbits,_ZN7rocprim17ROCPRIM_400000_NS6detail17trampoline_kernelINS0_14default_configENS1_27scan_by_key_config_selectorIsiEEZZNS1_16scan_by_key_implILNS1_25lookback_scan_determinismE0ELb1ES3_N6thrust23THRUST_200600_302600_NS6detail15normal_iteratorINS9_10device_ptrIsEEEESE_SE_iNS9_4plusIvEENS9_8equal_toIvEEiEE10hipError_tPvRmT2_T3_T4_T5_mT6_T7_P12ihipStream_tbENKUlT_T0_E_clISt17integral_constantIbLb0EESY_IbLb1EEEEDaSU_SV_EUlSU_E_NS1_11comp_targetILNS1_3genE10ELNS1_11target_archE1200ELNS1_3gpuE4ELNS1_3repE0EEENS1_30default_config_static_selectorELNS0_4arch9wavefront6targetE0EEEvT1_,comdat
.Lfunc_end1078:
	.size	_ZN7rocprim17ROCPRIM_400000_NS6detail17trampoline_kernelINS0_14default_configENS1_27scan_by_key_config_selectorIsiEEZZNS1_16scan_by_key_implILNS1_25lookback_scan_determinismE0ELb1ES3_N6thrust23THRUST_200600_302600_NS6detail15normal_iteratorINS9_10device_ptrIsEEEESE_SE_iNS9_4plusIvEENS9_8equal_toIvEEiEE10hipError_tPvRmT2_T3_T4_T5_mT6_T7_P12ihipStream_tbENKUlT_T0_E_clISt17integral_constantIbLb0EESY_IbLb1EEEEDaSU_SV_EUlSU_E_NS1_11comp_targetILNS1_3genE10ELNS1_11target_archE1200ELNS1_3gpuE4ELNS1_3repE0EEENS1_30default_config_static_selectorELNS0_4arch9wavefront6targetE0EEEvT1_, .Lfunc_end1078-_ZN7rocprim17ROCPRIM_400000_NS6detail17trampoline_kernelINS0_14default_configENS1_27scan_by_key_config_selectorIsiEEZZNS1_16scan_by_key_implILNS1_25lookback_scan_determinismE0ELb1ES3_N6thrust23THRUST_200600_302600_NS6detail15normal_iteratorINS9_10device_ptrIsEEEESE_SE_iNS9_4plusIvEENS9_8equal_toIvEEiEE10hipError_tPvRmT2_T3_T4_T5_mT6_T7_P12ihipStream_tbENKUlT_T0_E_clISt17integral_constantIbLb0EESY_IbLb1EEEEDaSU_SV_EUlSU_E_NS1_11comp_targetILNS1_3genE10ELNS1_11target_archE1200ELNS1_3gpuE4ELNS1_3repE0EEENS1_30default_config_static_selectorELNS0_4arch9wavefront6targetE0EEEvT1_
                                        ; -- End function
	.set _ZN7rocprim17ROCPRIM_400000_NS6detail17trampoline_kernelINS0_14default_configENS1_27scan_by_key_config_selectorIsiEEZZNS1_16scan_by_key_implILNS1_25lookback_scan_determinismE0ELb1ES3_N6thrust23THRUST_200600_302600_NS6detail15normal_iteratorINS9_10device_ptrIsEEEESE_SE_iNS9_4plusIvEENS9_8equal_toIvEEiEE10hipError_tPvRmT2_T3_T4_T5_mT6_T7_P12ihipStream_tbENKUlT_T0_E_clISt17integral_constantIbLb0EESY_IbLb1EEEEDaSU_SV_EUlSU_E_NS1_11comp_targetILNS1_3genE10ELNS1_11target_archE1200ELNS1_3gpuE4ELNS1_3repE0EEENS1_30default_config_static_selectorELNS0_4arch9wavefront6targetE0EEEvT1_.num_vgpr, 0
	.set _ZN7rocprim17ROCPRIM_400000_NS6detail17trampoline_kernelINS0_14default_configENS1_27scan_by_key_config_selectorIsiEEZZNS1_16scan_by_key_implILNS1_25lookback_scan_determinismE0ELb1ES3_N6thrust23THRUST_200600_302600_NS6detail15normal_iteratorINS9_10device_ptrIsEEEESE_SE_iNS9_4plusIvEENS9_8equal_toIvEEiEE10hipError_tPvRmT2_T3_T4_T5_mT6_T7_P12ihipStream_tbENKUlT_T0_E_clISt17integral_constantIbLb0EESY_IbLb1EEEEDaSU_SV_EUlSU_E_NS1_11comp_targetILNS1_3genE10ELNS1_11target_archE1200ELNS1_3gpuE4ELNS1_3repE0EEENS1_30default_config_static_selectorELNS0_4arch9wavefront6targetE0EEEvT1_.num_agpr, 0
	.set _ZN7rocprim17ROCPRIM_400000_NS6detail17trampoline_kernelINS0_14default_configENS1_27scan_by_key_config_selectorIsiEEZZNS1_16scan_by_key_implILNS1_25lookback_scan_determinismE0ELb1ES3_N6thrust23THRUST_200600_302600_NS6detail15normal_iteratorINS9_10device_ptrIsEEEESE_SE_iNS9_4plusIvEENS9_8equal_toIvEEiEE10hipError_tPvRmT2_T3_T4_T5_mT6_T7_P12ihipStream_tbENKUlT_T0_E_clISt17integral_constantIbLb0EESY_IbLb1EEEEDaSU_SV_EUlSU_E_NS1_11comp_targetILNS1_3genE10ELNS1_11target_archE1200ELNS1_3gpuE4ELNS1_3repE0EEENS1_30default_config_static_selectorELNS0_4arch9wavefront6targetE0EEEvT1_.numbered_sgpr, 0
	.set _ZN7rocprim17ROCPRIM_400000_NS6detail17trampoline_kernelINS0_14default_configENS1_27scan_by_key_config_selectorIsiEEZZNS1_16scan_by_key_implILNS1_25lookback_scan_determinismE0ELb1ES3_N6thrust23THRUST_200600_302600_NS6detail15normal_iteratorINS9_10device_ptrIsEEEESE_SE_iNS9_4plusIvEENS9_8equal_toIvEEiEE10hipError_tPvRmT2_T3_T4_T5_mT6_T7_P12ihipStream_tbENKUlT_T0_E_clISt17integral_constantIbLb0EESY_IbLb1EEEEDaSU_SV_EUlSU_E_NS1_11comp_targetILNS1_3genE10ELNS1_11target_archE1200ELNS1_3gpuE4ELNS1_3repE0EEENS1_30default_config_static_selectorELNS0_4arch9wavefront6targetE0EEEvT1_.num_named_barrier, 0
	.set _ZN7rocprim17ROCPRIM_400000_NS6detail17trampoline_kernelINS0_14default_configENS1_27scan_by_key_config_selectorIsiEEZZNS1_16scan_by_key_implILNS1_25lookback_scan_determinismE0ELb1ES3_N6thrust23THRUST_200600_302600_NS6detail15normal_iteratorINS9_10device_ptrIsEEEESE_SE_iNS9_4plusIvEENS9_8equal_toIvEEiEE10hipError_tPvRmT2_T3_T4_T5_mT6_T7_P12ihipStream_tbENKUlT_T0_E_clISt17integral_constantIbLb0EESY_IbLb1EEEEDaSU_SV_EUlSU_E_NS1_11comp_targetILNS1_3genE10ELNS1_11target_archE1200ELNS1_3gpuE4ELNS1_3repE0EEENS1_30default_config_static_selectorELNS0_4arch9wavefront6targetE0EEEvT1_.private_seg_size, 0
	.set _ZN7rocprim17ROCPRIM_400000_NS6detail17trampoline_kernelINS0_14default_configENS1_27scan_by_key_config_selectorIsiEEZZNS1_16scan_by_key_implILNS1_25lookback_scan_determinismE0ELb1ES3_N6thrust23THRUST_200600_302600_NS6detail15normal_iteratorINS9_10device_ptrIsEEEESE_SE_iNS9_4plusIvEENS9_8equal_toIvEEiEE10hipError_tPvRmT2_T3_T4_T5_mT6_T7_P12ihipStream_tbENKUlT_T0_E_clISt17integral_constantIbLb0EESY_IbLb1EEEEDaSU_SV_EUlSU_E_NS1_11comp_targetILNS1_3genE10ELNS1_11target_archE1200ELNS1_3gpuE4ELNS1_3repE0EEENS1_30default_config_static_selectorELNS0_4arch9wavefront6targetE0EEEvT1_.uses_vcc, 0
	.set _ZN7rocprim17ROCPRIM_400000_NS6detail17trampoline_kernelINS0_14default_configENS1_27scan_by_key_config_selectorIsiEEZZNS1_16scan_by_key_implILNS1_25lookback_scan_determinismE0ELb1ES3_N6thrust23THRUST_200600_302600_NS6detail15normal_iteratorINS9_10device_ptrIsEEEESE_SE_iNS9_4plusIvEENS9_8equal_toIvEEiEE10hipError_tPvRmT2_T3_T4_T5_mT6_T7_P12ihipStream_tbENKUlT_T0_E_clISt17integral_constantIbLb0EESY_IbLb1EEEEDaSU_SV_EUlSU_E_NS1_11comp_targetILNS1_3genE10ELNS1_11target_archE1200ELNS1_3gpuE4ELNS1_3repE0EEENS1_30default_config_static_selectorELNS0_4arch9wavefront6targetE0EEEvT1_.uses_flat_scratch, 0
	.set _ZN7rocprim17ROCPRIM_400000_NS6detail17trampoline_kernelINS0_14default_configENS1_27scan_by_key_config_selectorIsiEEZZNS1_16scan_by_key_implILNS1_25lookback_scan_determinismE0ELb1ES3_N6thrust23THRUST_200600_302600_NS6detail15normal_iteratorINS9_10device_ptrIsEEEESE_SE_iNS9_4plusIvEENS9_8equal_toIvEEiEE10hipError_tPvRmT2_T3_T4_T5_mT6_T7_P12ihipStream_tbENKUlT_T0_E_clISt17integral_constantIbLb0EESY_IbLb1EEEEDaSU_SV_EUlSU_E_NS1_11comp_targetILNS1_3genE10ELNS1_11target_archE1200ELNS1_3gpuE4ELNS1_3repE0EEENS1_30default_config_static_selectorELNS0_4arch9wavefront6targetE0EEEvT1_.has_dyn_sized_stack, 0
	.set _ZN7rocprim17ROCPRIM_400000_NS6detail17trampoline_kernelINS0_14default_configENS1_27scan_by_key_config_selectorIsiEEZZNS1_16scan_by_key_implILNS1_25lookback_scan_determinismE0ELb1ES3_N6thrust23THRUST_200600_302600_NS6detail15normal_iteratorINS9_10device_ptrIsEEEESE_SE_iNS9_4plusIvEENS9_8equal_toIvEEiEE10hipError_tPvRmT2_T3_T4_T5_mT6_T7_P12ihipStream_tbENKUlT_T0_E_clISt17integral_constantIbLb0EESY_IbLb1EEEEDaSU_SV_EUlSU_E_NS1_11comp_targetILNS1_3genE10ELNS1_11target_archE1200ELNS1_3gpuE4ELNS1_3repE0EEENS1_30default_config_static_selectorELNS0_4arch9wavefront6targetE0EEEvT1_.has_recursion, 0
	.set _ZN7rocprim17ROCPRIM_400000_NS6detail17trampoline_kernelINS0_14default_configENS1_27scan_by_key_config_selectorIsiEEZZNS1_16scan_by_key_implILNS1_25lookback_scan_determinismE0ELb1ES3_N6thrust23THRUST_200600_302600_NS6detail15normal_iteratorINS9_10device_ptrIsEEEESE_SE_iNS9_4plusIvEENS9_8equal_toIvEEiEE10hipError_tPvRmT2_T3_T4_T5_mT6_T7_P12ihipStream_tbENKUlT_T0_E_clISt17integral_constantIbLb0EESY_IbLb1EEEEDaSU_SV_EUlSU_E_NS1_11comp_targetILNS1_3genE10ELNS1_11target_archE1200ELNS1_3gpuE4ELNS1_3repE0EEENS1_30default_config_static_selectorELNS0_4arch9wavefront6targetE0EEEvT1_.has_indirect_call, 0
	.section	.AMDGPU.csdata,"",@progbits
; Kernel info:
; codeLenInByte = 0
; TotalNumSgprs: 0
; NumVgprs: 0
; ScratchSize: 0
; MemoryBound: 0
; FloatMode: 240
; IeeeMode: 1
; LDSByteSize: 0 bytes/workgroup (compile time only)
; SGPRBlocks: 0
; VGPRBlocks: 0
; NumSGPRsForWavesPerEU: 1
; NumVGPRsForWavesPerEU: 1
; Occupancy: 16
; WaveLimiterHint : 0
; COMPUTE_PGM_RSRC2:SCRATCH_EN: 0
; COMPUTE_PGM_RSRC2:USER_SGPR: 6
; COMPUTE_PGM_RSRC2:TRAP_HANDLER: 0
; COMPUTE_PGM_RSRC2:TGID_X_EN: 1
; COMPUTE_PGM_RSRC2:TGID_Y_EN: 0
; COMPUTE_PGM_RSRC2:TGID_Z_EN: 0
; COMPUTE_PGM_RSRC2:TIDIG_COMP_CNT: 0
	.section	.text._ZN7rocprim17ROCPRIM_400000_NS6detail17trampoline_kernelINS0_14default_configENS1_27scan_by_key_config_selectorIsiEEZZNS1_16scan_by_key_implILNS1_25lookback_scan_determinismE0ELb1ES3_N6thrust23THRUST_200600_302600_NS6detail15normal_iteratorINS9_10device_ptrIsEEEESE_SE_iNS9_4plusIvEENS9_8equal_toIvEEiEE10hipError_tPvRmT2_T3_T4_T5_mT6_T7_P12ihipStream_tbENKUlT_T0_E_clISt17integral_constantIbLb0EESY_IbLb1EEEEDaSU_SV_EUlSU_E_NS1_11comp_targetILNS1_3genE9ELNS1_11target_archE1100ELNS1_3gpuE3ELNS1_3repE0EEENS1_30default_config_static_selectorELNS0_4arch9wavefront6targetE0EEEvT1_,"axG",@progbits,_ZN7rocprim17ROCPRIM_400000_NS6detail17trampoline_kernelINS0_14default_configENS1_27scan_by_key_config_selectorIsiEEZZNS1_16scan_by_key_implILNS1_25lookback_scan_determinismE0ELb1ES3_N6thrust23THRUST_200600_302600_NS6detail15normal_iteratorINS9_10device_ptrIsEEEESE_SE_iNS9_4plusIvEENS9_8equal_toIvEEiEE10hipError_tPvRmT2_T3_T4_T5_mT6_T7_P12ihipStream_tbENKUlT_T0_E_clISt17integral_constantIbLb0EESY_IbLb1EEEEDaSU_SV_EUlSU_E_NS1_11comp_targetILNS1_3genE9ELNS1_11target_archE1100ELNS1_3gpuE3ELNS1_3repE0EEENS1_30default_config_static_selectorELNS0_4arch9wavefront6targetE0EEEvT1_,comdat
	.protected	_ZN7rocprim17ROCPRIM_400000_NS6detail17trampoline_kernelINS0_14default_configENS1_27scan_by_key_config_selectorIsiEEZZNS1_16scan_by_key_implILNS1_25lookback_scan_determinismE0ELb1ES3_N6thrust23THRUST_200600_302600_NS6detail15normal_iteratorINS9_10device_ptrIsEEEESE_SE_iNS9_4plusIvEENS9_8equal_toIvEEiEE10hipError_tPvRmT2_T3_T4_T5_mT6_T7_P12ihipStream_tbENKUlT_T0_E_clISt17integral_constantIbLb0EESY_IbLb1EEEEDaSU_SV_EUlSU_E_NS1_11comp_targetILNS1_3genE9ELNS1_11target_archE1100ELNS1_3gpuE3ELNS1_3repE0EEENS1_30default_config_static_selectorELNS0_4arch9wavefront6targetE0EEEvT1_ ; -- Begin function _ZN7rocprim17ROCPRIM_400000_NS6detail17trampoline_kernelINS0_14default_configENS1_27scan_by_key_config_selectorIsiEEZZNS1_16scan_by_key_implILNS1_25lookback_scan_determinismE0ELb1ES3_N6thrust23THRUST_200600_302600_NS6detail15normal_iteratorINS9_10device_ptrIsEEEESE_SE_iNS9_4plusIvEENS9_8equal_toIvEEiEE10hipError_tPvRmT2_T3_T4_T5_mT6_T7_P12ihipStream_tbENKUlT_T0_E_clISt17integral_constantIbLb0EESY_IbLb1EEEEDaSU_SV_EUlSU_E_NS1_11comp_targetILNS1_3genE9ELNS1_11target_archE1100ELNS1_3gpuE3ELNS1_3repE0EEENS1_30default_config_static_selectorELNS0_4arch9wavefront6targetE0EEEvT1_
	.globl	_ZN7rocprim17ROCPRIM_400000_NS6detail17trampoline_kernelINS0_14default_configENS1_27scan_by_key_config_selectorIsiEEZZNS1_16scan_by_key_implILNS1_25lookback_scan_determinismE0ELb1ES3_N6thrust23THRUST_200600_302600_NS6detail15normal_iteratorINS9_10device_ptrIsEEEESE_SE_iNS9_4plusIvEENS9_8equal_toIvEEiEE10hipError_tPvRmT2_T3_T4_T5_mT6_T7_P12ihipStream_tbENKUlT_T0_E_clISt17integral_constantIbLb0EESY_IbLb1EEEEDaSU_SV_EUlSU_E_NS1_11comp_targetILNS1_3genE9ELNS1_11target_archE1100ELNS1_3gpuE3ELNS1_3repE0EEENS1_30default_config_static_selectorELNS0_4arch9wavefront6targetE0EEEvT1_
	.p2align	8
	.type	_ZN7rocprim17ROCPRIM_400000_NS6detail17trampoline_kernelINS0_14default_configENS1_27scan_by_key_config_selectorIsiEEZZNS1_16scan_by_key_implILNS1_25lookback_scan_determinismE0ELb1ES3_N6thrust23THRUST_200600_302600_NS6detail15normal_iteratorINS9_10device_ptrIsEEEESE_SE_iNS9_4plusIvEENS9_8equal_toIvEEiEE10hipError_tPvRmT2_T3_T4_T5_mT6_T7_P12ihipStream_tbENKUlT_T0_E_clISt17integral_constantIbLb0EESY_IbLb1EEEEDaSU_SV_EUlSU_E_NS1_11comp_targetILNS1_3genE9ELNS1_11target_archE1100ELNS1_3gpuE3ELNS1_3repE0EEENS1_30default_config_static_selectorELNS0_4arch9wavefront6targetE0EEEvT1_,@function
_ZN7rocprim17ROCPRIM_400000_NS6detail17trampoline_kernelINS0_14default_configENS1_27scan_by_key_config_selectorIsiEEZZNS1_16scan_by_key_implILNS1_25lookback_scan_determinismE0ELb1ES3_N6thrust23THRUST_200600_302600_NS6detail15normal_iteratorINS9_10device_ptrIsEEEESE_SE_iNS9_4plusIvEENS9_8equal_toIvEEiEE10hipError_tPvRmT2_T3_T4_T5_mT6_T7_P12ihipStream_tbENKUlT_T0_E_clISt17integral_constantIbLb0EESY_IbLb1EEEEDaSU_SV_EUlSU_E_NS1_11comp_targetILNS1_3genE9ELNS1_11target_archE1100ELNS1_3gpuE3ELNS1_3repE0EEENS1_30default_config_static_selectorELNS0_4arch9wavefront6targetE0EEEvT1_: ; @_ZN7rocprim17ROCPRIM_400000_NS6detail17trampoline_kernelINS0_14default_configENS1_27scan_by_key_config_selectorIsiEEZZNS1_16scan_by_key_implILNS1_25lookback_scan_determinismE0ELb1ES3_N6thrust23THRUST_200600_302600_NS6detail15normal_iteratorINS9_10device_ptrIsEEEESE_SE_iNS9_4plusIvEENS9_8equal_toIvEEiEE10hipError_tPvRmT2_T3_T4_T5_mT6_T7_P12ihipStream_tbENKUlT_T0_E_clISt17integral_constantIbLb0EESY_IbLb1EEEEDaSU_SV_EUlSU_E_NS1_11comp_targetILNS1_3genE9ELNS1_11target_archE1100ELNS1_3gpuE3ELNS1_3repE0EEENS1_30default_config_static_selectorELNS0_4arch9wavefront6targetE0EEEvT1_
; %bb.0:
	.section	.rodata,"a",@progbits
	.p2align	6, 0x0
	.amdhsa_kernel _ZN7rocprim17ROCPRIM_400000_NS6detail17trampoline_kernelINS0_14default_configENS1_27scan_by_key_config_selectorIsiEEZZNS1_16scan_by_key_implILNS1_25lookback_scan_determinismE0ELb1ES3_N6thrust23THRUST_200600_302600_NS6detail15normal_iteratorINS9_10device_ptrIsEEEESE_SE_iNS9_4plusIvEENS9_8equal_toIvEEiEE10hipError_tPvRmT2_T3_T4_T5_mT6_T7_P12ihipStream_tbENKUlT_T0_E_clISt17integral_constantIbLb0EESY_IbLb1EEEEDaSU_SV_EUlSU_E_NS1_11comp_targetILNS1_3genE9ELNS1_11target_archE1100ELNS1_3gpuE3ELNS1_3repE0EEENS1_30default_config_static_selectorELNS0_4arch9wavefront6targetE0EEEvT1_
		.amdhsa_group_segment_fixed_size 0
		.amdhsa_private_segment_fixed_size 0
		.amdhsa_kernarg_size 112
		.amdhsa_user_sgpr_count 6
		.amdhsa_user_sgpr_private_segment_buffer 1
		.amdhsa_user_sgpr_dispatch_ptr 0
		.amdhsa_user_sgpr_queue_ptr 0
		.amdhsa_user_sgpr_kernarg_segment_ptr 1
		.amdhsa_user_sgpr_dispatch_id 0
		.amdhsa_user_sgpr_flat_scratch_init 0
		.amdhsa_user_sgpr_private_segment_size 0
		.amdhsa_wavefront_size32 1
		.amdhsa_uses_dynamic_stack 0
		.amdhsa_system_sgpr_private_segment_wavefront_offset 0
		.amdhsa_system_sgpr_workgroup_id_x 1
		.amdhsa_system_sgpr_workgroup_id_y 0
		.amdhsa_system_sgpr_workgroup_id_z 0
		.amdhsa_system_sgpr_workgroup_info 0
		.amdhsa_system_vgpr_workitem_id 0
		.amdhsa_next_free_vgpr 1
		.amdhsa_next_free_sgpr 1
		.amdhsa_reserve_vcc 0
		.amdhsa_reserve_flat_scratch 0
		.amdhsa_float_round_mode_32 0
		.amdhsa_float_round_mode_16_64 0
		.amdhsa_float_denorm_mode_32 3
		.amdhsa_float_denorm_mode_16_64 3
		.amdhsa_dx10_clamp 1
		.amdhsa_ieee_mode 1
		.amdhsa_fp16_overflow 0
		.amdhsa_workgroup_processor_mode 1
		.amdhsa_memory_ordered 1
		.amdhsa_forward_progress 1
		.amdhsa_shared_vgpr_count 0
		.amdhsa_exception_fp_ieee_invalid_op 0
		.amdhsa_exception_fp_denorm_src 0
		.amdhsa_exception_fp_ieee_div_zero 0
		.amdhsa_exception_fp_ieee_overflow 0
		.amdhsa_exception_fp_ieee_underflow 0
		.amdhsa_exception_fp_ieee_inexact 0
		.amdhsa_exception_int_div_zero 0
	.end_amdhsa_kernel
	.section	.text._ZN7rocprim17ROCPRIM_400000_NS6detail17trampoline_kernelINS0_14default_configENS1_27scan_by_key_config_selectorIsiEEZZNS1_16scan_by_key_implILNS1_25lookback_scan_determinismE0ELb1ES3_N6thrust23THRUST_200600_302600_NS6detail15normal_iteratorINS9_10device_ptrIsEEEESE_SE_iNS9_4plusIvEENS9_8equal_toIvEEiEE10hipError_tPvRmT2_T3_T4_T5_mT6_T7_P12ihipStream_tbENKUlT_T0_E_clISt17integral_constantIbLb0EESY_IbLb1EEEEDaSU_SV_EUlSU_E_NS1_11comp_targetILNS1_3genE9ELNS1_11target_archE1100ELNS1_3gpuE3ELNS1_3repE0EEENS1_30default_config_static_selectorELNS0_4arch9wavefront6targetE0EEEvT1_,"axG",@progbits,_ZN7rocprim17ROCPRIM_400000_NS6detail17trampoline_kernelINS0_14default_configENS1_27scan_by_key_config_selectorIsiEEZZNS1_16scan_by_key_implILNS1_25lookback_scan_determinismE0ELb1ES3_N6thrust23THRUST_200600_302600_NS6detail15normal_iteratorINS9_10device_ptrIsEEEESE_SE_iNS9_4plusIvEENS9_8equal_toIvEEiEE10hipError_tPvRmT2_T3_T4_T5_mT6_T7_P12ihipStream_tbENKUlT_T0_E_clISt17integral_constantIbLb0EESY_IbLb1EEEEDaSU_SV_EUlSU_E_NS1_11comp_targetILNS1_3genE9ELNS1_11target_archE1100ELNS1_3gpuE3ELNS1_3repE0EEENS1_30default_config_static_selectorELNS0_4arch9wavefront6targetE0EEEvT1_,comdat
.Lfunc_end1079:
	.size	_ZN7rocprim17ROCPRIM_400000_NS6detail17trampoline_kernelINS0_14default_configENS1_27scan_by_key_config_selectorIsiEEZZNS1_16scan_by_key_implILNS1_25lookback_scan_determinismE0ELb1ES3_N6thrust23THRUST_200600_302600_NS6detail15normal_iteratorINS9_10device_ptrIsEEEESE_SE_iNS9_4plusIvEENS9_8equal_toIvEEiEE10hipError_tPvRmT2_T3_T4_T5_mT6_T7_P12ihipStream_tbENKUlT_T0_E_clISt17integral_constantIbLb0EESY_IbLb1EEEEDaSU_SV_EUlSU_E_NS1_11comp_targetILNS1_3genE9ELNS1_11target_archE1100ELNS1_3gpuE3ELNS1_3repE0EEENS1_30default_config_static_selectorELNS0_4arch9wavefront6targetE0EEEvT1_, .Lfunc_end1079-_ZN7rocprim17ROCPRIM_400000_NS6detail17trampoline_kernelINS0_14default_configENS1_27scan_by_key_config_selectorIsiEEZZNS1_16scan_by_key_implILNS1_25lookback_scan_determinismE0ELb1ES3_N6thrust23THRUST_200600_302600_NS6detail15normal_iteratorINS9_10device_ptrIsEEEESE_SE_iNS9_4plusIvEENS9_8equal_toIvEEiEE10hipError_tPvRmT2_T3_T4_T5_mT6_T7_P12ihipStream_tbENKUlT_T0_E_clISt17integral_constantIbLb0EESY_IbLb1EEEEDaSU_SV_EUlSU_E_NS1_11comp_targetILNS1_3genE9ELNS1_11target_archE1100ELNS1_3gpuE3ELNS1_3repE0EEENS1_30default_config_static_selectorELNS0_4arch9wavefront6targetE0EEEvT1_
                                        ; -- End function
	.set _ZN7rocprim17ROCPRIM_400000_NS6detail17trampoline_kernelINS0_14default_configENS1_27scan_by_key_config_selectorIsiEEZZNS1_16scan_by_key_implILNS1_25lookback_scan_determinismE0ELb1ES3_N6thrust23THRUST_200600_302600_NS6detail15normal_iteratorINS9_10device_ptrIsEEEESE_SE_iNS9_4plusIvEENS9_8equal_toIvEEiEE10hipError_tPvRmT2_T3_T4_T5_mT6_T7_P12ihipStream_tbENKUlT_T0_E_clISt17integral_constantIbLb0EESY_IbLb1EEEEDaSU_SV_EUlSU_E_NS1_11comp_targetILNS1_3genE9ELNS1_11target_archE1100ELNS1_3gpuE3ELNS1_3repE0EEENS1_30default_config_static_selectorELNS0_4arch9wavefront6targetE0EEEvT1_.num_vgpr, 0
	.set _ZN7rocprim17ROCPRIM_400000_NS6detail17trampoline_kernelINS0_14default_configENS1_27scan_by_key_config_selectorIsiEEZZNS1_16scan_by_key_implILNS1_25lookback_scan_determinismE0ELb1ES3_N6thrust23THRUST_200600_302600_NS6detail15normal_iteratorINS9_10device_ptrIsEEEESE_SE_iNS9_4plusIvEENS9_8equal_toIvEEiEE10hipError_tPvRmT2_T3_T4_T5_mT6_T7_P12ihipStream_tbENKUlT_T0_E_clISt17integral_constantIbLb0EESY_IbLb1EEEEDaSU_SV_EUlSU_E_NS1_11comp_targetILNS1_3genE9ELNS1_11target_archE1100ELNS1_3gpuE3ELNS1_3repE0EEENS1_30default_config_static_selectorELNS0_4arch9wavefront6targetE0EEEvT1_.num_agpr, 0
	.set _ZN7rocprim17ROCPRIM_400000_NS6detail17trampoline_kernelINS0_14default_configENS1_27scan_by_key_config_selectorIsiEEZZNS1_16scan_by_key_implILNS1_25lookback_scan_determinismE0ELb1ES3_N6thrust23THRUST_200600_302600_NS6detail15normal_iteratorINS9_10device_ptrIsEEEESE_SE_iNS9_4plusIvEENS9_8equal_toIvEEiEE10hipError_tPvRmT2_T3_T4_T5_mT6_T7_P12ihipStream_tbENKUlT_T0_E_clISt17integral_constantIbLb0EESY_IbLb1EEEEDaSU_SV_EUlSU_E_NS1_11comp_targetILNS1_3genE9ELNS1_11target_archE1100ELNS1_3gpuE3ELNS1_3repE0EEENS1_30default_config_static_selectorELNS0_4arch9wavefront6targetE0EEEvT1_.numbered_sgpr, 0
	.set _ZN7rocprim17ROCPRIM_400000_NS6detail17trampoline_kernelINS0_14default_configENS1_27scan_by_key_config_selectorIsiEEZZNS1_16scan_by_key_implILNS1_25lookback_scan_determinismE0ELb1ES3_N6thrust23THRUST_200600_302600_NS6detail15normal_iteratorINS9_10device_ptrIsEEEESE_SE_iNS9_4plusIvEENS9_8equal_toIvEEiEE10hipError_tPvRmT2_T3_T4_T5_mT6_T7_P12ihipStream_tbENKUlT_T0_E_clISt17integral_constantIbLb0EESY_IbLb1EEEEDaSU_SV_EUlSU_E_NS1_11comp_targetILNS1_3genE9ELNS1_11target_archE1100ELNS1_3gpuE3ELNS1_3repE0EEENS1_30default_config_static_selectorELNS0_4arch9wavefront6targetE0EEEvT1_.num_named_barrier, 0
	.set _ZN7rocprim17ROCPRIM_400000_NS6detail17trampoline_kernelINS0_14default_configENS1_27scan_by_key_config_selectorIsiEEZZNS1_16scan_by_key_implILNS1_25lookback_scan_determinismE0ELb1ES3_N6thrust23THRUST_200600_302600_NS6detail15normal_iteratorINS9_10device_ptrIsEEEESE_SE_iNS9_4plusIvEENS9_8equal_toIvEEiEE10hipError_tPvRmT2_T3_T4_T5_mT6_T7_P12ihipStream_tbENKUlT_T0_E_clISt17integral_constantIbLb0EESY_IbLb1EEEEDaSU_SV_EUlSU_E_NS1_11comp_targetILNS1_3genE9ELNS1_11target_archE1100ELNS1_3gpuE3ELNS1_3repE0EEENS1_30default_config_static_selectorELNS0_4arch9wavefront6targetE0EEEvT1_.private_seg_size, 0
	.set _ZN7rocprim17ROCPRIM_400000_NS6detail17trampoline_kernelINS0_14default_configENS1_27scan_by_key_config_selectorIsiEEZZNS1_16scan_by_key_implILNS1_25lookback_scan_determinismE0ELb1ES3_N6thrust23THRUST_200600_302600_NS6detail15normal_iteratorINS9_10device_ptrIsEEEESE_SE_iNS9_4plusIvEENS9_8equal_toIvEEiEE10hipError_tPvRmT2_T3_T4_T5_mT6_T7_P12ihipStream_tbENKUlT_T0_E_clISt17integral_constantIbLb0EESY_IbLb1EEEEDaSU_SV_EUlSU_E_NS1_11comp_targetILNS1_3genE9ELNS1_11target_archE1100ELNS1_3gpuE3ELNS1_3repE0EEENS1_30default_config_static_selectorELNS0_4arch9wavefront6targetE0EEEvT1_.uses_vcc, 0
	.set _ZN7rocprim17ROCPRIM_400000_NS6detail17trampoline_kernelINS0_14default_configENS1_27scan_by_key_config_selectorIsiEEZZNS1_16scan_by_key_implILNS1_25lookback_scan_determinismE0ELb1ES3_N6thrust23THRUST_200600_302600_NS6detail15normal_iteratorINS9_10device_ptrIsEEEESE_SE_iNS9_4plusIvEENS9_8equal_toIvEEiEE10hipError_tPvRmT2_T3_T4_T5_mT6_T7_P12ihipStream_tbENKUlT_T0_E_clISt17integral_constantIbLb0EESY_IbLb1EEEEDaSU_SV_EUlSU_E_NS1_11comp_targetILNS1_3genE9ELNS1_11target_archE1100ELNS1_3gpuE3ELNS1_3repE0EEENS1_30default_config_static_selectorELNS0_4arch9wavefront6targetE0EEEvT1_.uses_flat_scratch, 0
	.set _ZN7rocprim17ROCPRIM_400000_NS6detail17trampoline_kernelINS0_14default_configENS1_27scan_by_key_config_selectorIsiEEZZNS1_16scan_by_key_implILNS1_25lookback_scan_determinismE0ELb1ES3_N6thrust23THRUST_200600_302600_NS6detail15normal_iteratorINS9_10device_ptrIsEEEESE_SE_iNS9_4plusIvEENS9_8equal_toIvEEiEE10hipError_tPvRmT2_T3_T4_T5_mT6_T7_P12ihipStream_tbENKUlT_T0_E_clISt17integral_constantIbLb0EESY_IbLb1EEEEDaSU_SV_EUlSU_E_NS1_11comp_targetILNS1_3genE9ELNS1_11target_archE1100ELNS1_3gpuE3ELNS1_3repE0EEENS1_30default_config_static_selectorELNS0_4arch9wavefront6targetE0EEEvT1_.has_dyn_sized_stack, 0
	.set _ZN7rocprim17ROCPRIM_400000_NS6detail17trampoline_kernelINS0_14default_configENS1_27scan_by_key_config_selectorIsiEEZZNS1_16scan_by_key_implILNS1_25lookback_scan_determinismE0ELb1ES3_N6thrust23THRUST_200600_302600_NS6detail15normal_iteratorINS9_10device_ptrIsEEEESE_SE_iNS9_4plusIvEENS9_8equal_toIvEEiEE10hipError_tPvRmT2_T3_T4_T5_mT6_T7_P12ihipStream_tbENKUlT_T0_E_clISt17integral_constantIbLb0EESY_IbLb1EEEEDaSU_SV_EUlSU_E_NS1_11comp_targetILNS1_3genE9ELNS1_11target_archE1100ELNS1_3gpuE3ELNS1_3repE0EEENS1_30default_config_static_selectorELNS0_4arch9wavefront6targetE0EEEvT1_.has_recursion, 0
	.set _ZN7rocprim17ROCPRIM_400000_NS6detail17trampoline_kernelINS0_14default_configENS1_27scan_by_key_config_selectorIsiEEZZNS1_16scan_by_key_implILNS1_25lookback_scan_determinismE0ELb1ES3_N6thrust23THRUST_200600_302600_NS6detail15normal_iteratorINS9_10device_ptrIsEEEESE_SE_iNS9_4plusIvEENS9_8equal_toIvEEiEE10hipError_tPvRmT2_T3_T4_T5_mT6_T7_P12ihipStream_tbENKUlT_T0_E_clISt17integral_constantIbLb0EESY_IbLb1EEEEDaSU_SV_EUlSU_E_NS1_11comp_targetILNS1_3genE9ELNS1_11target_archE1100ELNS1_3gpuE3ELNS1_3repE0EEENS1_30default_config_static_selectorELNS0_4arch9wavefront6targetE0EEEvT1_.has_indirect_call, 0
	.section	.AMDGPU.csdata,"",@progbits
; Kernel info:
; codeLenInByte = 0
; TotalNumSgprs: 0
; NumVgprs: 0
; ScratchSize: 0
; MemoryBound: 0
; FloatMode: 240
; IeeeMode: 1
; LDSByteSize: 0 bytes/workgroup (compile time only)
; SGPRBlocks: 0
; VGPRBlocks: 0
; NumSGPRsForWavesPerEU: 1
; NumVGPRsForWavesPerEU: 1
; Occupancy: 16
; WaveLimiterHint : 0
; COMPUTE_PGM_RSRC2:SCRATCH_EN: 0
; COMPUTE_PGM_RSRC2:USER_SGPR: 6
; COMPUTE_PGM_RSRC2:TRAP_HANDLER: 0
; COMPUTE_PGM_RSRC2:TGID_X_EN: 1
; COMPUTE_PGM_RSRC2:TGID_Y_EN: 0
; COMPUTE_PGM_RSRC2:TGID_Z_EN: 0
; COMPUTE_PGM_RSRC2:TIDIG_COMP_CNT: 0
	.section	.text._ZN7rocprim17ROCPRIM_400000_NS6detail17trampoline_kernelINS0_14default_configENS1_27scan_by_key_config_selectorIsiEEZZNS1_16scan_by_key_implILNS1_25lookback_scan_determinismE0ELb1ES3_N6thrust23THRUST_200600_302600_NS6detail15normal_iteratorINS9_10device_ptrIsEEEESE_SE_iNS9_4plusIvEENS9_8equal_toIvEEiEE10hipError_tPvRmT2_T3_T4_T5_mT6_T7_P12ihipStream_tbENKUlT_T0_E_clISt17integral_constantIbLb0EESY_IbLb1EEEEDaSU_SV_EUlSU_E_NS1_11comp_targetILNS1_3genE8ELNS1_11target_archE1030ELNS1_3gpuE2ELNS1_3repE0EEENS1_30default_config_static_selectorELNS0_4arch9wavefront6targetE0EEEvT1_,"axG",@progbits,_ZN7rocprim17ROCPRIM_400000_NS6detail17trampoline_kernelINS0_14default_configENS1_27scan_by_key_config_selectorIsiEEZZNS1_16scan_by_key_implILNS1_25lookback_scan_determinismE0ELb1ES3_N6thrust23THRUST_200600_302600_NS6detail15normal_iteratorINS9_10device_ptrIsEEEESE_SE_iNS9_4plusIvEENS9_8equal_toIvEEiEE10hipError_tPvRmT2_T3_T4_T5_mT6_T7_P12ihipStream_tbENKUlT_T0_E_clISt17integral_constantIbLb0EESY_IbLb1EEEEDaSU_SV_EUlSU_E_NS1_11comp_targetILNS1_3genE8ELNS1_11target_archE1030ELNS1_3gpuE2ELNS1_3repE0EEENS1_30default_config_static_selectorELNS0_4arch9wavefront6targetE0EEEvT1_,comdat
	.protected	_ZN7rocprim17ROCPRIM_400000_NS6detail17trampoline_kernelINS0_14default_configENS1_27scan_by_key_config_selectorIsiEEZZNS1_16scan_by_key_implILNS1_25lookback_scan_determinismE0ELb1ES3_N6thrust23THRUST_200600_302600_NS6detail15normal_iteratorINS9_10device_ptrIsEEEESE_SE_iNS9_4plusIvEENS9_8equal_toIvEEiEE10hipError_tPvRmT2_T3_T4_T5_mT6_T7_P12ihipStream_tbENKUlT_T0_E_clISt17integral_constantIbLb0EESY_IbLb1EEEEDaSU_SV_EUlSU_E_NS1_11comp_targetILNS1_3genE8ELNS1_11target_archE1030ELNS1_3gpuE2ELNS1_3repE0EEENS1_30default_config_static_selectorELNS0_4arch9wavefront6targetE0EEEvT1_ ; -- Begin function _ZN7rocprim17ROCPRIM_400000_NS6detail17trampoline_kernelINS0_14default_configENS1_27scan_by_key_config_selectorIsiEEZZNS1_16scan_by_key_implILNS1_25lookback_scan_determinismE0ELb1ES3_N6thrust23THRUST_200600_302600_NS6detail15normal_iteratorINS9_10device_ptrIsEEEESE_SE_iNS9_4plusIvEENS9_8equal_toIvEEiEE10hipError_tPvRmT2_T3_T4_T5_mT6_T7_P12ihipStream_tbENKUlT_T0_E_clISt17integral_constantIbLb0EESY_IbLb1EEEEDaSU_SV_EUlSU_E_NS1_11comp_targetILNS1_3genE8ELNS1_11target_archE1030ELNS1_3gpuE2ELNS1_3repE0EEENS1_30default_config_static_selectorELNS0_4arch9wavefront6targetE0EEEvT1_
	.globl	_ZN7rocprim17ROCPRIM_400000_NS6detail17trampoline_kernelINS0_14default_configENS1_27scan_by_key_config_selectorIsiEEZZNS1_16scan_by_key_implILNS1_25lookback_scan_determinismE0ELb1ES3_N6thrust23THRUST_200600_302600_NS6detail15normal_iteratorINS9_10device_ptrIsEEEESE_SE_iNS9_4plusIvEENS9_8equal_toIvEEiEE10hipError_tPvRmT2_T3_T4_T5_mT6_T7_P12ihipStream_tbENKUlT_T0_E_clISt17integral_constantIbLb0EESY_IbLb1EEEEDaSU_SV_EUlSU_E_NS1_11comp_targetILNS1_3genE8ELNS1_11target_archE1030ELNS1_3gpuE2ELNS1_3repE0EEENS1_30default_config_static_selectorELNS0_4arch9wavefront6targetE0EEEvT1_
	.p2align	8
	.type	_ZN7rocprim17ROCPRIM_400000_NS6detail17trampoline_kernelINS0_14default_configENS1_27scan_by_key_config_selectorIsiEEZZNS1_16scan_by_key_implILNS1_25lookback_scan_determinismE0ELb1ES3_N6thrust23THRUST_200600_302600_NS6detail15normal_iteratorINS9_10device_ptrIsEEEESE_SE_iNS9_4plusIvEENS9_8equal_toIvEEiEE10hipError_tPvRmT2_T3_T4_T5_mT6_T7_P12ihipStream_tbENKUlT_T0_E_clISt17integral_constantIbLb0EESY_IbLb1EEEEDaSU_SV_EUlSU_E_NS1_11comp_targetILNS1_3genE8ELNS1_11target_archE1030ELNS1_3gpuE2ELNS1_3repE0EEENS1_30default_config_static_selectorELNS0_4arch9wavefront6targetE0EEEvT1_,@function
_ZN7rocprim17ROCPRIM_400000_NS6detail17trampoline_kernelINS0_14default_configENS1_27scan_by_key_config_selectorIsiEEZZNS1_16scan_by_key_implILNS1_25lookback_scan_determinismE0ELb1ES3_N6thrust23THRUST_200600_302600_NS6detail15normal_iteratorINS9_10device_ptrIsEEEESE_SE_iNS9_4plusIvEENS9_8equal_toIvEEiEE10hipError_tPvRmT2_T3_T4_T5_mT6_T7_P12ihipStream_tbENKUlT_T0_E_clISt17integral_constantIbLb0EESY_IbLb1EEEEDaSU_SV_EUlSU_E_NS1_11comp_targetILNS1_3genE8ELNS1_11target_archE1030ELNS1_3gpuE2ELNS1_3repE0EEENS1_30default_config_static_selectorELNS0_4arch9wavefront6targetE0EEEvT1_: ; @_ZN7rocprim17ROCPRIM_400000_NS6detail17trampoline_kernelINS0_14default_configENS1_27scan_by_key_config_selectorIsiEEZZNS1_16scan_by_key_implILNS1_25lookback_scan_determinismE0ELb1ES3_N6thrust23THRUST_200600_302600_NS6detail15normal_iteratorINS9_10device_ptrIsEEEESE_SE_iNS9_4plusIvEENS9_8equal_toIvEEiEE10hipError_tPvRmT2_T3_T4_T5_mT6_T7_P12ihipStream_tbENKUlT_T0_E_clISt17integral_constantIbLb0EESY_IbLb1EEEEDaSU_SV_EUlSU_E_NS1_11comp_targetILNS1_3genE8ELNS1_11target_archE1030ELNS1_3gpuE2ELNS1_3repE0EEENS1_30default_config_static_selectorELNS0_4arch9wavefront6targetE0EEEvT1_
; %bb.0:
	s_clause 0x2
	s_load_dword s26, s[4:5], 0x20
	s_load_dwordx4 s[16:19], s[4:5], 0x28
	s_load_dwordx2 s[24:25], s[4:5], 0x38
	v_cmp_ne_u32_e64 s1, 0, v0
	v_cmp_eq_u32_e64 s0, 0, v0
	s_and_saveexec_b32 s2, s0
	s_cbranch_execz .LBB1080_4
; %bb.1:
	s_mov_b32 s6, exec_lo
	s_mov_b32 s3, exec_lo
	v_mbcnt_lo_u32_b32 v1, s6, 0
                                        ; implicit-def: $vgpr2
	v_cmpx_eq_u32_e32 0, v1
	s_cbranch_execz .LBB1080_3
; %bb.2:
	s_load_dwordx2 s[8:9], s[4:5], 0x68
	s_bcnt1_i32_b32 s6, s6
	v_mov_b32_e32 v2, 0
	v_mov_b32_e32 v3, s6
	s_waitcnt lgkmcnt(0)
	global_atomic_add v2, v2, v3, s[8:9] glc
.LBB1080_3:
	s_or_b32 exec_lo, exec_lo, s3
	s_waitcnt vmcnt(0)
	v_readfirstlane_b32 s3, v2
	v_mov_b32_e32 v2, 0
	v_add_nc_u32_e32 v1, s3, v1
	ds_write_b32 v2, v1
.LBB1080_4:
	s_or_b32 exec_lo, exec_lo, s2
	v_mov_b32_e32 v2, 0
	s_clause 0x2
	s_load_dwordx8 s[8:15], s[4:5], 0x0
	s_load_dword s2, s[4:5], 0x40
	s_load_dwordx4 s[20:23], s[4:5], 0x48
	s_waitcnt lgkmcnt(0)
	s_barrier
	buffer_gl0_inv
	ds_read_b32 v5, v2
	s_waitcnt lgkmcnt(0)
	s_barrier
	buffer_gl0_inv
	s_barrier
	buffer_gl0_inv
	s_lshl_b64 s[10:11], s[10:11], 1
	s_mul_i32 s3, s25, s2
	s_add_u32 s6, s8, s10
	s_mul_hi_u32 s4, s24, s2
	s_mul_i32 s2, s24, s2
	s_addc_u32 s7, s9, s11
	v_mul_lo_u32 v1, 0x180, v5
	s_add_u32 s8, s12, s10
	s_addc_u32 s9, s13, s11
	s_add_i32 s4, s4, s3
	v_add_co_u32 v3, s2, s2, v5
	v_add_co_ci_u32_e64 v4, null, s4, 0, s2
	v_lshlrev_b64 v[9:10], 1, v[1:2]
	s_add_u32 s4, s20, -1
	s_addc_u32 s5, s21, -1
	v_readfirstlane_b32 s20, v5
	v_cmp_le_u64_e64 s2, s[4:5], v[3:4]
	s_mul_i32 s19, s4, 0xfffffe80
	v_add_co_u32 v7, vcc_lo, s6, v9
	v_add_co_ci_u32_e64 v8, null, s7, v10, vcc_lo
	v_add_co_u32 v26, vcc_lo, s8, v9
	v_add_co_ci_u32_e64 v28, null, s9, v10, vcc_lo
	s_and_b32 vcc_lo, exec_lo, s2
	s_cbranch_vccz .LBB1080_39
; %bb.5:
	flat_load_ushort v1, v[7:8]
	s_add_i32 s9, s19, s18
	v_cmp_gt_u32_e64 s5, s9, v0
	s_waitcnt vmcnt(0) lgkmcnt(0)
	v_mov_b32_e32 v2, v1
	s_and_saveexec_b32 s3, s5
	s_cbranch_execz .LBB1080_7
; %bb.6:
	v_lshlrev_b32_e32 v2, 1, v0
	v_add_co_u32 v2, vcc_lo, v7, v2
	v_add_co_ci_u32_e64 v3, null, 0, v8, vcc_lo
	flat_load_ushort v2, v[2:3]
.LBB1080_7:
	s_or_b32 exec_lo, exec_lo, s3
	v_or_b32_e32 v3, 64, v0
	v_cmp_gt_u32_e32 vcc_lo, s9, v3
	v_mov_b32_e32 v3, v1
	s_and_saveexec_b32 s4, vcc_lo
	s_cbranch_execz .LBB1080_9
; %bb.8:
	v_lshlrev_b32_e32 v3, 1, v0
	v_add_co_u32 v3, s3, v7, v3
	v_add_co_ci_u32_e64 v4, null, 0, v8, s3
	flat_load_ushort v3, v[3:4] offset:128
.LBB1080_9:
	s_or_b32 exec_lo, exec_lo, s4
	v_or_b32_e32 v4, 0x80, v0
	v_cmp_gt_u32_e64 s3, s9, v4
	v_mov_b32_e32 v4, v1
	s_and_saveexec_b32 s6, s3
	s_cbranch_execz .LBB1080_11
; %bb.10:
	v_lshlrev_b32_e32 v4, 1, v0
	v_add_co_u32 v4, s4, v7, v4
	v_add_co_ci_u32_e64 v5, null, 0, v8, s4
	flat_load_ushort v4, v[4:5] offset:256
.LBB1080_11:
	s_or_b32 exec_lo, exec_lo, s6
	v_or_b32_e32 v5, 0xc0, v0
	v_cmp_gt_u32_e64 s4, s9, v5
	v_mov_b32_e32 v5, v1
	s_and_saveexec_b32 s7, s4
	;; [unrolled: 12-line block ×3, first 2 shown]
	s_cbranch_execz .LBB1080_15
; %bb.14:
	v_lshlrev_b32_e32 v6, 1, v0
	v_add_co_u32 v11, s7, v7, v6
	v_add_co_ci_u32_e64 v12, null, 0, v8, s7
	flat_load_ushort v6, v[11:12] offset:512
.LBB1080_15:
	s_or_b32 exec_lo, exec_lo, s8
	v_or_b32_e32 v11, 0x140, v0
	v_cmp_gt_u32_e64 s7, s9, v11
	v_cmp_le_u32_e64 s8, s9, v11
	s_and_saveexec_b32 s12, s8
	s_xor_b32 s8, exec_lo, s12
	s_andn2_saveexec_b32 s12, s8
	s_cbranch_execz .LBB1080_17
; %bb.16:
	v_lshlrev_b32_e32 v1, 1, v0
	v_add_co_u32 v11, s8, v7, v1
	v_add_co_ci_u32_e64 v12, null, 0, v8, s8
	flat_load_ushort v1, v[11:12] offset:640
.LBB1080_17:
	s_or_b32 exec_lo, exec_lo, s12
	v_lshlrev_b32_e32 v11, 1, v0
	s_mov_b32 s12, exec_lo
	s_waitcnt vmcnt(0) lgkmcnt(0)
	ds_write_b16 v11, v2
	ds_write_b16 v11, v3 offset:128
	ds_write_b16 v11, v4 offset:256
	;; [unrolled: 1-line block ×5, first 2 shown]
	s_waitcnt lgkmcnt(0)
	s_barrier
	buffer_gl0_inv
	flat_load_ushort v27, v[7:8]
	v_mad_u32_u24 v1, v0, 10, v11
	ds_read2_b32 v[21:22], v1 offset1:1
	ds_read_b32 v29, v1 offset:8
	v_mad_i32_i24 v11, v0, -10, v1
	s_waitcnt lgkmcnt(1)
	ds_write_b16 v11, v21 offset:896
	s_waitcnt vmcnt(0) lgkmcnt(0)
	s_barrier
	buffer_gl0_inv
	v_cmpx_ne_u32_e32 63, v0
; %bb.18:
	ds_read_u16 v27, v11 offset:898
; %bb.19:
	s_or_b32 exec_lo, exec_lo, s12
	v_mov_b32_e32 v1, 0
	v_lshlrev_b32_e32 v12, 1, v0
	s_waitcnt lgkmcnt(0)
	s_barrier
	buffer_gl0_inv
	v_mov_b32_e32 v2, v1
	v_mov_b32_e32 v3, v1
	;; [unrolled: 1-line block ×5, first 2 shown]
	s_and_saveexec_b32 s8, s5
	s_cbranch_execnz .LBB1080_125
; %bb.20:
	s_or_b32 exec_lo, exec_lo, s8
	s_and_saveexec_b32 s5, vcc_lo
	s_cbranch_execnz .LBB1080_126
.LBB1080_21:
	s_or_b32 exec_lo, exec_lo, s5
	s_and_saveexec_b32 s5, s3
	s_cbranch_execnz .LBB1080_127
.LBB1080_22:
	s_or_b32 exec_lo, exec_lo, s5
	s_and_saveexec_b32 s3, s4
	s_cbranch_execnz .LBB1080_128
.LBB1080_23:
	s_or_b32 exec_lo, exec_lo, s3
	s_and_saveexec_b32 s3, s6
	s_cbranch_execnz .LBB1080_129
.LBB1080_24:
	s_or_b32 exec_lo, exec_lo, s3
	v_mul_u32_u24_e32 v30, 6, v0
	s_and_saveexec_b32 s3, s7
	s_cbranch_execz .LBB1080_26
.LBB1080_25:
	v_add_co_u32 v12, vcc_lo, v26, v12
	v_add_co_ci_u32_e64 v13, null, 0, v28, vcc_lo
	flat_load_sshort v6, v[12:13] offset:640
.LBB1080_26:
	s_or_b32 exec_lo, exec_lo, s3
	v_lshl_add_u32 v31, v0, 1, v11
	v_mov_b32_e32 v11, 0
	v_mov_b32_e32 v23, 0
	;; [unrolled: 1-line block ×4, first 2 shown]
	s_waitcnt vmcnt(0) lgkmcnt(0)
	ds_write2st64_b32 v31, v1, v2 offset1:1
	ds_write2st64_b32 v31, v3, v4 offset0:2 offset1:3
	ds_write2st64_b32 v31, v5, v6 offset0:4 offset1:5
	v_mov_b32_e32 v1, 0
	v_mov_b32_e32 v3, 0
	;; [unrolled: 1-line block ×14, first 2 shown]
	s_mov_b32 s3, 0
	s_mov_b32 s6, 0
	s_mov_b32 s5, exec_lo
	s_waitcnt lgkmcnt(0)
	s_barrier
	buffer_gl0_inv
                                        ; implicit-def: $sgpr4
                                        ; implicit-def: $vgpr25
	v_cmpx_gt_u32_e64 s9, v30
	s_cbranch_execz .LBB1080_38
; %bb.27:
	v_mad_u32_u24 v1, v0, 20, v31
	v_cmp_ne_u16_sdwa s4, v21, v21 src0_sel:DWORD src1_sel:WORD_1
	v_cmp_eq_u16_sdwa vcc_lo, v21, v21 src0_sel:DWORD src1_sel:WORD_1
	v_mov_b32_e32 v3, 0
	v_mov_b32_e32 v5, 0
	ds_read_b32 v11, v1
	v_mov_b32_e32 v1, 0
	v_mov_b32_e32 v23, 0
	;; [unrolled: 1-line block ×5, first 2 shown]
	v_cndmask_b32_e64 v12, 0, 1, s4
	v_or_b32_e32 v19, 1, v30
	v_mov_b32_e32 v2, 0
	v_mov_b32_e32 v4, 0
	;; [unrolled: 1-line block ×7, first 2 shown]
	s_mov_b32 s7, 0
	s_mov_b32 s6, exec_lo
                                        ; implicit-def: $sgpr4
                                        ; implicit-def: $vgpr25
	s_waitcnt lgkmcnt(0)
	v_cndmask_b32_e32 v11, s26, v11, vcc_lo
	v_cmpx_gt_u32_e64 s9, v19
	s_cbranch_execz .LBB1080_37
; %bb.28:
	v_mul_u32_u24_e32 v1, 20, v0
	v_cmp_ne_u16_sdwa s4, v21, v22 src0_sel:WORD_1 src1_sel:DWORD
	v_cmp_eq_u16_sdwa vcc_lo, v21, v22 src0_sel:WORD_1 src1_sel:DWORD
	v_mov_b32_e32 v3, 0
	v_mov_b32_e32 v5, 0
	v_add_nc_u32_e32 v19, v31, v1
	v_mov_b32_e32 v23, 0
	v_mov_b32_e32 v15, 0
	v_mov_b32_e32 v13, 0
	v_cndmask_b32_e64 v2, 0, 1, s4
	ds_read2_b32 v[17:18], v19 offset0:1 offset1:2
	v_add_nc_u32_e32 v20, 2, v30
	v_mov_b32_e32 v4, 0
	v_mov_b32_e32 v6, 0
	;; [unrolled: 1-line block ×5, first 2 shown]
	s_mov_b32 s8, 0
	s_mov_b32 s7, exec_lo
                                        ; implicit-def: $sgpr4
                                        ; implicit-def: $vgpr25
	s_waitcnt lgkmcnt(0)
	v_cndmask_b32_e32 v1, s26, v17, vcc_lo
	v_cmpx_gt_u32_e64 s9, v20
	s_cbranch_execz .LBB1080_36
; %bb.29:
	v_cmp_eq_u16_sdwa vcc_lo, v22, v22 src0_sel:DWORD src1_sel:WORD_1
	v_cmp_ne_u16_sdwa s4, v22, v22 src0_sel:DWORD src1_sel:WORD_1
	v_mov_b32_e32 v5, 0
	v_mov_b32_e32 v23, 0
	;; [unrolled: 1-line block ×3, first 2 shown]
	v_cndmask_b32_e32 v3, s26, v18, vcc_lo
	v_add_nc_u32_e32 v15, 3, v30
	v_cndmask_b32_e64 v4, 0, 1, s4
	v_mov_b32_e32 v6, 0
	v_mov_b32_e32 v24, 0
	;; [unrolled: 1-line block ×3, first 2 shown]
	s_mov_b32 s12, 0
	s_mov_b32 s8, exec_lo
                                        ; implicit-def: $sgpr4
                                        ; implicit-def: $vgpr25
	v_cmpx_gt_u32_e64 s9, v15
	s_cbranch_execz .LBB1080_35
; %bb.30:
	ds_read2_b32 v[13:14], v19 offset0:3 offset1:4
	v_cmp_ne_u16_sdwa s4, v22, v29 src0_sel:WORD_1 src1_sel:DWORD
	v_cmp_eq_u16_sdwa vcc_lo, v22, v29 src0_sel:WORD_1 src1_sel:DWORD
	v_mov_b32_e32 v23, 0
	v_add_nc_u32_e32 v15, 4, v30
	v_mov_b32_e32 v24, 0
	v_cndmask_b32_e64 v6, 0, 1, s4
	s_mov_b32 s13, 0
	s_mov_b32 s12, exec_lo
                                        ; implicit-def: $sgpr4
                                        ; implicit-def: $vgpr25
	s_waitcnt lgkmcnt(0)
	v_cndmask_b32_e32 v5, s26, v13, vcc_lo
	v_cmpx_gt_u32_e64 s9, v15
	s_cbranch_execz .LBB1080_34
; %bb.31:
	v_add_nc_u32_e32 v13, 5, v30
	v_cmp_eq_u16_sdwa vcc_lo, v29, v29 src0_sel:DWORD src1_sel:WORD_1
	v_cmp_ne_u16_sdwa s4, v29, v29 src0_sel:DWORD src1_sel:WORD_1
                                        ; implicit-def: $vgpr25
	v_cndmask_b32_e32 v23, s26, v14, vcc_lo
	v_cndmask_b32_e64 v24, 0, 1, s4
	v_cmp_gt_u32_e32 vcc_lo, s9, v13
	s_mov_b32 s9, 0
                                        ; implicit-def: $sgpr4
	s_and_saveexec_b32 s13, vcc_lo
	s_xor_b32 s13, exec_lo, s13
	s_cbranch_execz .LBB1080_33
; %bb.32:
	ds_read_b32 v13, v19 offset:20
	v_cmp_ne_u16_sdwa s4, v29, v27 src0_sel:WORD_1 src1_sel:DWORD
	s_mov_b32 s9, exec_lo
	s_waitcnt lgkmcnt(0)
	v_cndmask_b32_e64 v25, v13, s26, s4
.LBB1080_33:
	s_or_b32 exec_lo, exec_lo, s13
	s_and_b32 s13, s9, exec_lo
.LBB1080_34:
	s_or_b32 exec_lo, exec_lo, s12
	v_mov_b32_e32 v13, v23
	v_mov_b32_e32 v14, v24
	s_and_b32 s12, s13, exec_lo
.LBB1080_35:
	s_or_b32 exec_lo, exec_lo, s8
	v_mov_b32_e32 v16, v6
	v_mov_b32_e32 v15, v5
	s_and_b32 s8, s12, exec_lo
.LBB1080_36:
	s_or_b32 exec_lo, exec_lo, s7
	v_mov_b32_e32 v18, v4
	v_mov_b32_e32 v17, v3
	s_and_b32 s7, s8, exec_lo
.LBB1080_37:
	s_or_b32 exec_lo, exec_lo, s6
	v_mov_b32_e32 v20, v2
	v_mov_b32_e32 v19, v1
	s_and_b32 s6, s7, exec_lo
.LBB1080_38:
	s_or_b32 exec_lo, exec_lo, s5
	v_lshlrev_b32_e32 v27, 1, v0
	s_and_b32 vcc_lo, exec_lo, s3
	s_cbranch_vccnz .LBB1080_40
	s_branch .LBB1080_43
.LBB1080_39:
	s_mov_b32 s6, 0
                                        ; implicit-def: $sgpr4
                                        ; implicit-def: $vgpr25
                                        ; implicit-def: $vgpr11_vgpr12
                                        ; implicit-def: $vgpr1_vgpr2
                                        ; implicit-def: $vgpr3_vgpr4
                                        ; implicit-def: $vgpr5_vgpr6
                                        ; implicit-def: $vgpr23_vgpr24
                                        ; implicit-def: $vgpr19_vgpr20
                                        ; implicit-def: $vgpr17_vgpr18
                                        ; implicit-def: $vgpr15_vgpr16
                                        ; implicit-def: $vgpr13_vgpr14
	v_lshlrev_b32_e32 v27, 1, v0
	s_cbranch_execz .LBB1080_43
.LBB1080_40:
	v_add_co_u32 v1, vcc_lo, v7, v27
	v_add_co_ci_u32_e64 v2, null, 0, v8, vcc_lo
	s_mov_b32 s3, exec_lo
	s_clause 0x5
	flat_load_ushort v3, v[1:2]
	flat_load_ushort v4, v[1:2] offset:128
	flat_load_ushort v5, v[1:2] offset:256
	;; [unrolled: 1-line block ×5, first 2 shown]
	s_waitcnt vmcnt(5) lgkmcnt(5)
	ds_write_b16 v27, v3
	s_waitcnt vmcnt(4) lgkmcnt(5)
	ds_write_b16 v27, v4 offset:128
	s_waitcnt vmcnt(3) lgkmcnt(5)
	ds_write_b16 v27, v5 offset:256
	;; [unrolled: 2-line block ×5, first 2 shown]
	s_waitcnt lgkmcnt(0)
	s_barrier
	buffer_gl0_inv
	flat_load_ushort v13, v[7:8] offset:768
	v_mad_u32_u24 v1, v0, 10, v27
	ds_read2_b32 v[7:8], v1 offset1:1
	ds_read_b32 v14, v1 offset:8
	v_mad_i32_i24 v1, v0, -10, v1
	s_waitcnt lgkmcnt(1)
	ds_write_b16 v1, v7 offset:896
	s_waitcnt vmcnt(0) lgkmcnt(0)
	s_barrier
	buffer_gl0_inv
	v_cmpx_ne_u32_e32 63, v0
; %bb.41:
	ds_read_u16 v13, v1 offset:898
; %bb.42:
	s_or_b32 exec_lo, exec_lo, s3
	v_add_co_u32 v2, vcc_lo, v26, v27
	v_add_co_ci_u32_e64 v3, null, 0, v28, vcc_lo
	s_waitcnt lgkmcnt(0)
	s_barrier
	buffer_gl0_inv
	s_clause 0x5
	flat_load_sshort v4, v[2:3]
	flat_load_sshort v5, v[2:3] offset:128
	flat_load_sshort v6, v[2:3] offset:256
	;; [unrolled: 1-line block ×5, first 2 shown]
	v_lshl_add_u32 v1, v0, 1, v1
	v_cmp_eq_u16_sdwa vcc_lo, v7, v7 src0_sel:DWORD src1_sel:WORD_1
	v_cmp_ne_u16_sdwa s3, v7, v7 src0_sel:DWORD src1_sel:WORD_1
	v_cmp_ne_u16_sdwa s4, v14, v13 src0_sel:WORD_1 src1_sel:DWORD
	s_mov_b32 s6, -1
	v_mad_u32_u24 v3, v0, 20, v1
	s_waitcnt vmcnt(4) lgkmcnt(4)
	ds_write2st64_b32 v1, v4, v5 offset1:1
	s_waitcnt vmcnt(2) lgkmcnt(3)
	ds_write2st64_b32 v1, v6, v11 offset0:2 offset1:3
	s_waitcnt vmcnt(0) lgkmcnt(2)
	ds_write2st64_b32 v1, v12, v2 offset0:4 offset1:5
	s_waitcnt lgkmcnt(0)
	s_barrier
	buffer_gl0_inv
	ds_read2_b64 v[15:18], v3 offset1:1
	ds_read_b64 v[19:20], v3 offset:16
	v_cndmask_b32_e64 v12, 0, 1, s3
	v_cmp_ne_u16_sdwa s3, v7, v8 src0_sel:WORD_1 src1_sel:DWORD
	v_cndmask_b32_e64 v2, 0, 1, s3
	v_cmp_ne_u16_sdwa s3, v8, v8 src0_sel:DWORD src1_sel:WORD_1
	v_cndmask_b32_e64 v4, 0, 1, s3
	v_cmp_ne_u16_sdwa s3, v8, v14 src0_sel:WORD_1 src1_sel:DWORD
	s_waitcnt lgkmcnt(1)
	v_cndmask_b32_e32 v11, s26, v15, vcc_lo
	v_cmp_eq_u16_sdwa vcc_lo, v7, v8 src0_sel:WORD_1 src1_sel:DWORD
	v_cndmask_b32_e64 v6, 0, 1, s3
	v_cmp_ne_u16_sdwa s3, v14, v14 src0_sel:DWORD src1_sel:WORD_1
	s_waitcnt lgkmcnt(0)
	v_cndmask_b32_e64 v25, v20, s26, s4
	v_cndmask_b32_e32 v1, s26, v16, vcc_lo
	v_cmp_eq_u16_sdwa vcc_lo, v8, v8 src0_sel:DWORD src1_sel:WORD_1
	v_cndmask_b32_e64 v24, 0, 1, s3
	v_cndmask_b32_e32 v3, s26, v17, vcc_lo
	v_cmp_eq_u16_sdwa vcc_lo, v8, v14 src0_sel:WORD_1 src1_sel:DWORD
	v_cndmask_b32_e32 v5, s26, v18, vcc_lo
	v_cmp_eq_u16_sdwa vcc_lo, v14, v14 src0_sel:DWORD src1_sel:WORD_1
	v_mov_b32_e32 v18, v4
	v_mov_b32_e32 v16, v6
	;; [unrolled: 1-line block ×4, first 2 shown]
	v_cndmask_b32_e32 v23, s26, v19, vcc_lo
	v_mov_b32_e32 v20, v2
	v_mov_b32_e32 v19, v1
	;; [unrolled: 1-line block ×4, first 2 shown]
.LBB1080_43:
	v_mov_b32_e32 v21, 0
	v_mov_b32_e32 v22, 0
	s_and_saveexec_b32 s3, s6
	s_cbranch_execz .LBB1080_45
; %bb.44:
	v_cndmask_b32_e64 v26, 0, 1, s4
	v_mov_b32_e32 v13, v23
	v_mov_b32_e32 v16, v6
	;; [unrolled: 1-line block ×10, first 2 shown]
.LBB1080_45:
	s_or_b32 exec_lo, exec_lo, s3
	v_or3_b32 v28, v16, v14, v18
	v_lshrrev_b32_e32 v26, 2, v0
	s_cmp_lg_u32 s20, 0
	s_mov_b32 s8, 0
	v_cmp_gt_u32_e32 vcc_lo, 32, v0
	s_barrier
	buffer_gl0_inv
	s_cbranch_scc0 .LBB1080_73
; %bb.46:
	s_mov_b32 s9, 1
	v_or3_b32 v2, v28, v20, v22
	v_cmp_gt_u64_e64 s3, s[8:9], v[19:20]
	v_cmp_gt_u64_e64 s4, s[8:9], v[17:18]
	;; [unrolled: 1-line block ×5, first 2 shown]
	v_and_b32_e32 v2, 0xff, v2
	v_cndmask_b32_e64 v1, 0, v11, s3
	v_and_b32_e32 v4, 8, v26
	v_add_nc_u32_e32 v1, v1, v19
	v_lshl_add_u32 v4, v0, 3, v4
	v_cndmask_b32_e64 v1, 0, v1, s4
	v_add_nc_u32_e32 v1, v1, v17
	v_cndmask_b32_e64 v1, 0, v1, s5
	v_add_nc_u32_e32 v1, v1, v15
	v_cndmask_b32_e64 v1, 0, v1, s6
	v_add_nc_u32_e32 v3, v1, v13
	v_mov_b32_e32 v1, 0
	v_cndmask_b32_e64 v3, 0, v3, s7
	v_cmp_eq_u64_e64 s7, 0, v[1:2]
	v_add_nc_u32_e32 v29, v3, v21
	v_cndmask_b32_e64 v30, 1, v12, s7
	ds_write_b8 v4, v30 offset:4
	ds_write_b32 v4, v29
	s_waitcnt lgkmcnt(0)
	s_barrier
	buffer_gl0_inv
	s_and_saveexec_b32 s8, vcc_lo
	s_cbranch_execz .LBB1080_56
; %bb.47:
	v_lshrrev_b32_e32 v1, 1, v0
	v_lshlrev_b32_e32 v2, 4, v0
	s_mov_b32 s9, exec_lo
	v_and_b32_e32 v1, 24, v1
	v_add_nc_u32_e32 v3, v1, v2
	ds_read_u8 v5, v3 offset:12
	ds_read_b64 v[1:2], v3
	ds_read_b32 v6, v3 offset:8
	s_waitcnt lgkmcnt(2)
	v_and_b32_e32 v7, 1, v5
	v_cmp_eq_u16_e64 s7, 0, v5
	s_waitcnt lgkmcnt(1)
	v_and_b32_e32 v4, 1, v2
	v_and_b32_e32 v5, 0xffffff00, v2
	v_cndmask_b32_e64 v23, 0, v1, s7
	v_cmp_eq_u32_e64 s7, 1, v7
	v_mbcnt_lo_u32_b32 v7, -1, 0
	s_waitcnt lgkmcnt(0)
	v_add_nc_u32_e32 v6, v23, v6
	v_cndmask_b32_e64 v8, v4, 1, s7
	v_and_b32_e32 v23, 15, v7
	v_mov_b32_dpp v25, v6 row_shr:1 row_mask:0xf bank_mask:0xf
	v_or_b32_sdwa v24, v5, v8 dst_sel:DWORD dst_unused:UNUSED_PAD src0_sel:DWORD src1_sel:WORD_0
	v_mov_b32_dpp v31, v24 row_shr:1 row_mask:0xf bank_mask:0xf
	v_cmpx_ne_u32_e32 0, v23
	s_cbranch_execz .LBB1080_49
; %bb.48:
	v_and_b32_e32 v24, 1, v8
	v_cmp_eq_u16_e64 s7, 0, v8
	v_and_b32_e32 v31, 1, v31
	v_cndmask_b32_e64 v8, 0, v25, s7
	v_cmp_eq_u32_e64 s7, 1, v24
	v_add_nc_u32_e32 v6, v8, v6
	v_cndmask_b32_e64 v25, v31, 1, s7
	v_or_b32_sdwa v24, v5, v25 dst_sel:DWORD dst_unused:UNUSED_PAD src0_sel:DWORD src1_sel:WORD_0
	v_mov_b32_e32 v8, v25
.LBB1080_49:
	s_or_b32 exec_lo, exec_lo, s9
	v_mov_b32_dpp v25, v6 row_shr:2 row_mask:0xf bank_mask:0xf
	v_mov_b32_dpp v31, v24 row_shr:2 row_mask:0xf bank_mask:0xf
	s_mov_b32 s9, exec_lo
	v_cmpx_lt_u32_e32 1, v23
	s_cbranch_execz .LBB1080_51
; %bb.50:
	v_and_b32_e32 v24, 1, v8
	v_cmp_eq_u16_e64 s7, 0, v8
	v_and_b32_e32 v31, 1, v31
	v_cndmask_b32_e64 v8, 0, v25, s7
	v_cmp_eq_u32_e64 s7, 1, v24
	v_add_nc_u32_e32 v6, v8, v6
	v_cndmask_b32_e64 v25, v31, 1, s7
	v_or_b32_sdwa v24, v5, v25 dst_sel:DWORD dst_unused:UNUSED_PAD src0_sel:DWORD src1_sel:WORD_0
	v_mov_b32_e32 v8, v25
.LBB1080_51:
	s_or_b32 exec_lo, exec_lo, s9
	v_mov_b32_dpp v25, v6 row_shr:4 row_mask:0xf bank_mask:0xf
	v_mov_b32_dpp v31, v24 row_shr:4 row_mask:0xf bank_mask:0xf
	s_mov_b32 s9, exec_lo
	v_cmpx_lt_u32_e32 3, v23
	;; [unrolled: 17-line block ×3, first 2 shown]
	s_cbranch_execz .LBB1080_55
; %bb.54:
	v_and_b32_e32 v23, 1, v8
	v_cmp_eq_u16_e64 s7, 0, v8
	v_and_b32_e32 v24, 1, v31
	v_cndmask_b32_e64 v8, 0, v25, s7
	v_cmp_eq_u32_e64 s7, 1, v23
	v_add_nc_u32_e32 v6, v8, v6
	v_cndmask_b32_e64 v23, v24, 1, s7
	v_or_b32_sdwa v24, v5, v23 dst_sel:DWORD dst_unused:UNUSED_PAD src0_sel:DWORD src1_sel:WORD_0
	v_mov_b32_e32 v8, v23
.LBB1080_55:
	s_or_b32 exec_lo, exec_lo, s9
	ds_swizzle_b32 v23, v24 offset:swizzle(BROADCAST,32,15)
	ds_swizzle_b32 v24, v6 offset:swizzle(BROADCAST,32,15)
	v_and_b32_e32 v32, 1, v8
	v_cmp_eq_u16_e64 s7, 0, v8
	v_add_nc_u32_e32 v33, -1, v7
	v_and_b32_e32 v25, 16, v7
	v_bfe_i32 v31, v7, 4, 1
	; wave barrier
	s_waitcnt lgkmcnt(1)
	v_and_b32_e32 v23, 1, v23
	s_waitcnt lgkmcnt(0)
	v_cndmask_b32_e64 v24, 0, v24, s7
	v_cmp_eq_u32_e64 s7, 1, v32
	v_and_b32_e32 v24, v31, v24
	v_cndmask_b32_e64 v23, v23, 1, s7
	v_cmp_gt_i32_e64 s7, 0, v33
	v_add_nc_u32_e32 v6, v24, v6
	v_cndmask_b32_e64 v7, v33, v7, s7
	v_cmp_eq_u32_e64 s7, 0, v25
	v_lshlrev_b32_e32 v7, 2, v7
	v_cndmask_b32_e64 v8, v23, v8, s7
	ds_bpermute_b32 v6, v7, v6
	v_or_b32_sdwa v5, v5, v8 dst_sel:DWORD dst_unused:UNUSED_PAD src0_sel:DWORD src1_sel:WORD_0
	ds_bpermute_b32 v5, v7, v5
	v_mov_b32_e32 v7, 0
	v_cmp_eq_u16_sdwa s7, v2, v7 src0_sel:BYTE_0 src1_sel:DWORD
	s_waitcnt lgkmcnt(1)
	v_cndmask_b32_e64 v2, 0, v6, s7
	v_cmp_eq_u32_e64 s7, 1, v4
	v_add_nc_u32_e32 v1, v2, v1
	s_waitcnt lgkmcnt(0)
	v_and_b32_e32 v5, 1, v5
	v_cndmask_b32_e64 v1, v1, v29, s0
	v_cndmask_b32_e64 v2, v5, 1, s7
	;; [unrolled: 1-line block ×3, first 2 shown]
	ds_write_b32 v3, v1
	ds_write_b8 v3, v2 offset:4
	; wave barrier
	ds_read_u8 v4, v3 offset:12
	ds_read_b32 v5, v3 offset:8
	s_waitcnt lgkmcnt(1)
	v_cmp_eq_u16_e64 s7, 0, v4
	v_and_b32_e32 v4, 1, v4
	v_cndmask_b32_e64 v1, 0, v1, s7
	v_cmp_eq_u32_e64 s7, 1, v4
	s_waitcnt lgkmcnt(0)
	v_add_nc_u32_e32 v1, v1, v5
	v_cndmask_b32_e64 v2, v2, 1, s7
	ds_write_b32 v3, v1 offset:8
	ds_write_b8 v3, v2 offset:12
.LBB1080_56:
	s_or_b32 exec_lo, exec_lo, s8
	s_waitcnt lgkmcnt(0)
	s_barrier
	buffer_gl0_inv
	s_and_saveexec_b32 s7, s1
	s_cbranch_execz .LBB1080_58
; %bb.57:
	v_add_nc_u32_e32 v1, -1, v0
	v_lshrrev_b32_e32 v2, 2, v1
	v_and_b32_e32 v2, 0x3ffffff8, v2
	v_lshl_add_u32 v1, v1, 3, v2
	ds_read_b32 v29, v1
	ds_read_u8 v30, v1 offset:4
.LBB1080_58:
	s_or_b32 exec_lo, exec_lo, s7
	s_and_saveexec_b32 s21, vcc_lo
	s_cbranch_execz .LBB1080_78
; %bb.59:
	v_mov_b32_e32 v4, 0
	v_mbcnt_lo_u32_b32 v31, -1, 0
	s_mov_b32 s9, 0
	ds_read_b64 v[1:2], v4 offset:512
	v_cmp_eq_u32_e64 s7, 0, v31
	s_and_saveexec_b32 s12, s7
	s_cbranch_execz .LBB1080_61
; %bb.60:
	s_add_i32 s8, s20, 32
	v_mov_b32_e32 v3, 1
	s_lshl_b64 s[8:9], s[8:9], 4
	s_add_u32 s8, s16, s8
	s_addc_u32 s9, s17, s9
	v_mov_b32_e32 v5, s8
	v_mov_b32_e32 v6, s9
	s_waitcnt lgkmcnt(0)
	;;#ASMSTART
	global_store_dwordx4 v[5:6], v[1:4] off	
s_waitcnt vmcnt(0)
	;;#ASMEND
.LBB1080_61:
	s_or_b32 exec_lo, exec_lo, s12
	v_xad_u32 v23, v31, -1, s20
	v_add_nc_u32_e32 v3, 32, v23
	v_lshlrev_b64 v[5:6], 4, v[3:4]
	v_add_co_u32 v24, vcc_lo, s16, v5
	v_add_co_ci_u32_e64 v25, null, s17, v6, vcc_lo
	;;#ASMSTART
	global_load_dwordx4 v[5:8], v[24:25] off glc dlc	
s_waitcnt vmcnt(0)
	;;#ASMEND
	v_and_b32_e32 v6, 0xff, v6
	v_cmp_eq_u16_sdwa s9, v7, v4 src0_sel:BYTE_0 src1_sel:DWORD
	s_and_saveexec_b32 s8, s9
	s_cbranch_execz .LBB1080_65
; %bb.62:
	v_mov_b32_e32 v3, 0
	s_mov_b32 s9, 0
.LBB1080_63:                            ; =>This Inner Loop Header: Depth=1
	;;#ASMSTART
	global_load_dwordx4 v[5:8], v[24:25] off glc dlc	
s_waitcnt vmcnt(0)
	;;#ASMEND
	v_cmp_ne_u16_sdwa s12, v7, v3 src0_sel:BYTE_0 src1_sel:DWORD
	s_or_b32 s9, s12, s9
	s_andn2_b32 exec_lo, exec_lo, s9
	s_cbranch_execnz .LBB1080_63
; %bb.64:
	s_or_b32 exec_lo, exec_lo, s9
	v_and_b32_e32 v6, 0xff, v6
.LBB1080_65:
	s_or_b32 exec_lo, exec_lo, s8
	v_cmp_ne_u32_e32 vcc_lo, 31, v31
	v_mov_b32_e32 v32, 2
	v_lshlrev_b32_e64 v33, v31, -1
	v_and_b32_e32 v8, 1, v6
	s_mov_b32 s12, 0
	v_add_co_ci_u32_e64 v3, null, 0, v31, vcc_lo
	v_cmp_eq_u16_sdwa s8, v7, v32 src0_sel:BYTE_0 src1_sel:DWORD
	v_cmp_eq_u32_e32 vcc_lo, 1, v8
	s_mov_b32 s13, 1
	v_lshlrev_b32_e32 v25, 2, v3
	v_add_nc_u32_e32 v41, 8, v31
	v_and_or_b32 v4, s8, v33, 0x80000000
	v_cmp_gt_u64_e64 s8, s[12:13], v[5:6]
	v_lshl_or_b32 v42, v31, 2, 64
	ds_bpermute_b32 v3, v25, v6
	ds_bpermute_b32 v24, v25, v5
	v_ffbl_b32_e32 v4, v4
	v_add_nc_u32_e32 v43, 16, v31
	s_waitcnt lgkmcnt(1)
	v_and_b32_e32 v3, 1, v3
	v_cndmask_b32_e64 v3, v3, 1, vcc_lo
	v_cmp_gt_u32_e32 vcc_lo, 30, v31
	v_and_b32_e32 v35, 0xffff, v3
	v_cndmask_b32_e64 v8, 0, 2, vcc_lo
	v_cmp_lt_u32_e32 vcc_lo, v31, v4
	v_add_lshl_u32 v34, v8, v31, 2
	v_cndmask_b32_e32 v8, v6, v35, vcc_lo
	v_cndmask_b32_e32 v3, v6, v3, vcc_lo
	s_and_b32 vcc_lo, vcc_lo, s8
	s_waitcnt lgkmcnt(0)
	v_cndmask_b32_e32 v6, 0, v24, vcc_lo
	ds_bpermute_b32 v35, v34, v8
	v_and_b32_e32 v24, 1, v3
	v_add_nc_u32_e32 v5, v6, v5
	v_cmp_eq_u32_e32 vcc_lo, 1, v24
	v_mov_b32_e32 v24, 0
	ds_bpermute_b32 v6, v34, v5
	v_cmp_eq_u16_sdwa s8, v3, v24 src0_sel:BYTE_0 src1_sel:DWORD
	s_waitcnt lgkmcnt(1)
	v_and_b32_e32 v36, 1, v35
	v_add_nc_u32_e32 v35, 2, v31
	v_cndmask_b32_e64 v37, v36, 1, vcc_lo
	v_cmp_gt_u32_e32 vcc_lo, 28, v31
	v_and_b32_e32 v38, 0xffff, v37
	v_cndmask_b32_e64 v36, 0, 4, vcc_lo
	v_cmp_gt_u32_e32 vcc_lo, v35, v4
	v_add_lshl_u32 v36, v36, v31, 2
	v_cndmask_b32_e32 v8, v38, v8, vcc_lo
	v_cndmask_b32_e32 v39, v37, v3, vcc_lo
	s_waitcnt lgkmcnt(0)
	v_cndmask_b32_e64 v3, 0, v6, s8
	v_add_nc_u32_e32 v37, 4, v31
	ds_bpermute_b32 v6, v36, v8
	v_and_b32_e32 v38, 1, v39
	v_cndmask_b32_e64 v3, v3, 0, vcc_lo
	v_cmp_eq_u16_sdwa s8, v39, v24 src0_sel:BYTE_0 src1_sel:DWORD
	v_cmp_eq_u32_e32 vcc_lo, 1, v38
	v_add_nc_u32_e32 v3, v3, v5
	ds_bpermute_b32 v5, v36, v3
	s_waitcnt lgkmcnt(1)
	v_and_b32_e32 v6, 1, v6
	v_cndmask_b32_e64 v6, v6, 1, vcc_lo
	v_cmp_gt_u32_e32 vcc_lo, 24, v31
	v_and_b32_e32 v40, 0xffff, v6
	v_cndmask_b32_e64 v38, 0, 8, vcc_lo
	v_cmp_gt_u32_e32 vcc_lo, v37, v4
	s_waitcnt lgkmcnt(0)
	v_cndmask_b32_e64 v5, 0, v5, s8
	v_add_lshl_u32 v38, v38, v31, 2
	v_cndmask_b32_e32 v8, v40, v8, vcc_lo
	v_cndmask_b32_e32 v6, v6, v39, vcc_lo
	v_cndmask_b32_e64 v5, v5, 0, vcc_lo
	ds_bpermute_b32 v39, v38, v8
	v_and_b32_e32 v40, 1, v6
	v_add_nc_u32_e32 v3, v5, v3
	v_cmp_eq_u32_e32 vcc_lo, 1, v40
	ds_bpermute_b32 v5, v38, v3
	s_waitcnt lgkmcnt(1)
	v_and_b32_e32 v39, 1, v39
	v_cndmask_b32_e64 v39, v39, 1, vcc_lo
	v_cmp_eq_u16_sdwa vcc_lo, v6, v24 src0_sel:BYTE_0 src1_sel:DWORD
	v_and_b32_e32 v40, 0xffff, v39
	s_waitcnt lgkmcnt(0)
	v_cndmask_b32_e32 v5, 0, v5, vcc_lo
	v_cmp_gt_u32_e32 vcc_lo, v41, v4
	v_cndmask_b32_e64 v5, v5, 0, vcc_lo
	v_cndmask_b32_e32 v8, v40, v8, vcc_lo
	v_cndmask_b32_e32 v6, v39, v6, vcc_lo
	v_add_nc_u32_e32 v3, v5, v3
	ds_bpermute_b32 v5, v42, v8
	v_and_b32_e32 v39, 1, v6
	v_cmp_eq_u16_sdwa vcc_lo, v6, v24 src0_sel:BYTE_0 src1_sel:DWORD
	ds_bpermute_b32 v8, v42, v3
	s_waitcnt lgkmcnt(1)
	v_and_b32_e32 v5, 1, v5
	s_waitcnt lgkmcnt(0)
	v_cndmask_b32_e32 v8, 0, v8, vcc_lo
	v_cmp_eq_u32_e32 vcc_lo, 1, v39
	v_cndmask_b32_e64 v5, v5, 1, vcc_lo
	v_cmp_gt_u32_e32 vcc_lo, v43, v4
	v_cndmask_b32_e32 v4, v5, v6, vcc_lo
	v_cndmask_b32_e64 v5, v8, 0, vcc_lo
	v_add_nc_u32_e32 v3, v5, v3
	s_branch .LBB1080_69
.LBB1080_66:                            ;   in Loop: Header=BB1080_69 Depth=1
	s_or_b32 exec_lo, exec_lo, s9
	v_and_b32_e32 v6, 0xff, v6
.LBB1080_67:                            ;   in Loop: Header=BB1080_69 Depth=1
	s_or_b32 exec_lo, exec_lo, s8
	ds_bpermute_b32 v3, v25, v6
	v_cmp_eq_u16_sdwa s8, v7, v32 src0_sel:BYTE_0 src1_sel:DWORD
	v_and_b32_e32 v4, 1, v6
	v_subrev_nc_u32_e32 v23, 32, v23
	v_and_or_b32 v8, s8, v33, 0x80000000
	v_cmp_eq_u32_e32 vcc_lo, 1, v4
	v_cmp_gt_u64_e64 s8, s[12:13], v[5:6]
	v_ffbl_b32_e32 v4, v8
	ds_bpermute_b32 v8, v25, v5
	s_waitcnt lgkmcnt(1)
	v_and_b32_e32 v3, 1, v3
	v_cndmask_b32_e64 v3, v3, 1, vcc_lo
	v_cmp_lt_u32_e32 vcc_lo, v31, v4
	v_and_b32_e32 v44, 0xffff, v3
	v_cndmask_b32_e32 v3, v6, v3, vcc_lo
	v_cndmask_b32_e32 v44, v6, v44, vcc_lo
	s_and_b32 vcc_lo, vcc_lo, s8
	v_cmp_eq_u16_sdwa s8, v3, v24 src0_sel:BYTE_0 src1_sel:DWORD
	s_waitcnt lgkmcnt(0)
	v_cndmask_b32_e32 v6, 0, v8, vcc_lo
	v_and_b32_e32 v8, 1, v3
	ds_bpermute_b32 v45, v34, v44
	v_add_nc_u32_e32 v5, v6, v5
	v_cmp_eq_u32_e32 vcc_lo, 1, v8
	ds_bpermute_b32 v6, v34, v5
	s_waitcnt lgkmcnt(1)
	v_and_b32_e32 v45, 1, v45
	v_cndmask_b32_e64 v8, v45, 1, vcc_lo
	v_cmp_gt_u32_e32 vcc_lo, v35, v4
	v_and_b32_e32 v45, 0xffff, v8
	v_cndmask_b32_e32 v8, v8, v3, vcc_lo
	s_waitcnt lgkmcnt(0)
	v_cndmask_b32_e64 v3, 0, v6, s8
	v_cndmask_b32_e32 v44, v45, v44, vcc_lo
	v_and_b32_e32 v45, 1, v8
	v_cndmask_b32_e64 v3, v3, 0, vcc_lo
	v_cmp_eq_u16_sdwa s8, v8, v24 src0_sel:BYTE_0 src1_sel:DWORD
	ds_bpermute_b32 v6, v36, v44
	v_cmp_eq_u32_e32 vcc_lo, 1, v45
	v_add_nc_u32_e32 v3, v3, v5
	ds_bpermute_b32 v5, v36, v3
	s_waitcnt lgkmcnt(1)
	v_and_b32_e32 v6, 1, v6
	v_cndmask_b32_e64 v6, v6, 1, vcc_lo
	v_cmp_gt_u32_e32 vcc_lo, v37, v4
	s_waitcnt lgkmcnt(0)
	v_cndmask_b32_e64 v5, 0, v5, s8
	s_mov_b32 s8, 0
	v_and_b32_e32 v45, 0xffff, v6
	v_cndmask_b32_e32 v6, v6, v8, vcc_lo
	v_cndmask_b32_e64 v5, v5, 0, vcc_lo
	v_cndmask_b32_e32 v8, v45, v44, vcc_lo
	v_and_b32_e32 v45, 1, v6
	v_add_nc_u32_e32 v3, v5, v3
	ds_bpermute_b32 v44, v38, v8
	v_cmp_eq_u32_e32 vcc_lo, 1, v45
	ds_bpermute_b32 v5, v38, v3
	s_waitcnt lgkmcnt(1)
	v_and_b32_e32 v44, 1, v44
	v_cndmask_b32_e64 v44, v44, 1, vcc_lo
	v_cmp_eq_u16_sdwa vcc_lo, v6, v24 src0_sel:BYTE_0 src1_sel:DWORD
	v_and_b32_e32 v45, 0xffff, v44
	s_waitcnt lgkmcnt(0)
	v_cndmask_b32_e32 v5, 0, v5, vcc_lo
	v_cmp_gt_u32_e32 vcc_lo, v41, v4
	v_cndmask_b32_e64 v5, v5, 0, vcc_lo
	v_cndmask_b32_e32 v8, v45, v8, vcc_lo
	v_cndmask_b32_e32 v6, v44, v6, vcc_lo
	v_add_nc_u32_e32 v3, v5, v3
	ds_bpermute_b32 v5, v42, v8
	v_and_b32_e32 v44, 1, v6
	ds_bpermute_b32 v8, v42, v3
	v_cmp_eq_u32_e32 vcc_lo, 1, v44
	s_waitcnt lgkmcnt(1)
	v_cndmask_b32_e64 v5, v5, 1, vcc_lo
	v_cmp_eq_u16_sdwa vcc_lo, v6, v24 src0_sel:BYTE_0 src1_sel:DWORD
	s_waitcnt lgkmcnt(0)
	v_cndmask_b32_e32 v8, 0, v8, vcc_lo
	v_cmp_gt_u32_e32 vcc_lo, v43, v4
	v_cndmask_b32_e32 v4, v5, v6, vcc_lo
	v_cndmask_b32_e64 v5, v8, 0, vcc_lo
	v_cmp_eq_u16_sdwa vcc_lo, v39, v24 src0_sel:BYTE_0 src1_sel:DWORD
	v_and_b32_e32 v4, 1, v4
	v_add_nc_u32_e32 v3, v5, v3
	v_and_b32_e32 v5, 1, v39
	v_cndmask_b32_e32 v3, 0, v3, vcc_lo
	v_cmp_eq_u32_e32 vcc_lo, 1, v5
	v_add_nc_u32_e32 v3, v3, v40
	v_cndmask_b32_e64 v4, v4, 1, vcc_lo
.LBB1080_68:                            ;   in Loop: Header=BB1080_69 Depth=1
	s_and_b32 vcc_lo, exec_lo, s8
	s_cbranch_vccnz .LBB1080_74
.LBB1080_69:                            ; =>This Loop Header: Depth=1
                                        ;     Child Loop BB1080_72 Depth 2
	v_cmp_ne_u16_sdwa s8, v7, v32 src0_sel:BYTE_0 src1_sel:DWORD
	v_mov_b32_e32 v39, v4
	v_mov_b32_e32 v40, v3
                                        ; implicit-def: $vgpr4
                                        ; implicit-def: $vgpr3
                                        ; implicit-def: $vgpr7
	s_cmp_lg_u32 s8, exec_lo
	s_mov_b32 s8, -1
	s_cbranch_scc1 .LBB1080_68
; %bb.70:                               ;   in Loop: Header=BB1080_69 Depth=1
	v_lshlrev_b64 v[3:4], 4, v[23:24]
	v_add_co_u32 v3, vcc_lo, s16, v3
	v_add_co_ci_u32_e64 v4, null, s17, v4, vcc_lo
	;;#ASMSTART
	global_load_dwordx4 v[5:8], v[3:4] off glc dlc	
s_waitcnt vmcnt(0)
	;;#ASMEND
	v_and_b32_e32 v6, 0xff, v6
	v_cmp_eq_u16_sdwa s9, v7, v24 src0_sel:BYTE_0 src1_sel:DWORD
	s_and_saveexec_b32 s8, s9
	s_cbranch_execz .LBB1080_67
; %bb.71:                               ;   in Loop: Header=BB1080_69 Depth=1
	s_mov_b32 s9, 0
.LBB1080_72:                            ;   Parent Loop BB1080_69 Depth=1
                                        ; =>  This Inner Loop Header: Depth=2
	;;#ASMSTART
	global_load_dwordx4 v[5:8], v[3:4] off glc dlc	
s_waitcnt vmcnt(0)
	;;#ASMEND
	v_cmp_ne_u16_sdwa s27, v7, v24 src0_sel:BYTE_0 src1_sel:DWORD
	s_or_b32 s9, s27, s9
	s_andn2_b32 exec_lo, exec_lo, s9
	s_cbranch_execnz .LBB1080_72
	s_branch .LBB1080_66
.LBB1080_73:
                                        ; implicit-def: $vgpr1
                                        ; implicit-def: $vgpr5
                                        ; implicit-def: $vgpr3_vgpr4
	s_cbranch_execnz .LBB1080_79
	s_branch .LBB1080_96
.LBB1080_74:
	s_and_saveexec_b32 s8, s7
	s_cbranch_execz .LBB1080_76
; %bb.75:
	v_mov_b32_e32 v4, 0
	v_and_b32_e32 v3, 1, v2
	s_mov_b32 s13, 0
	s_add_i32 s12, s20, 32
	v_and_b32_e32 v5, 1, v39
	v_cmp_eq_u32_sdwa vcc_lo, v2, v4 src0_sel:BYTE_0 src1_sel:DWORD
	s_lshl_b64 s[12:13], s[12:13], 4
	s_add_u32 s12, s16, s12
	s_addc_u32 s13, s17, s13
	v_cndmask_b32_e32 v2, 0, v40, vcc_lo
	v_cmp_eq_u32_e32 vcc_lo, 1, v3
	v_mov_b32_e32 v3, 2
	v_add_nc_u32_e32 v1, v2, v1
	v_cndmask_b32_e64 v2, v5, 1, vcc_lo
	v_mov_b32_e32 v5, s12
	v_mov_b32_e32 v6, s13
	;;#ASMSTART
	global_store_dwordx4 v[5:6], v[1:4] off	
s_waitcnt vmcnt(0)
	;;#ASMEND
.LBB1080_76:
	s_or_b32 exec_lo, exec_lo, s8
	s_and_b32 exec_lo, exec_lo, s0
	s_cbranch_execz .LBB1080_78
; %bb.77:
	v_mov_b32_e32 v1, 0
	ds_write_b32 v1, v40
	ds_write_b8 v1, v39 offset:4
.LBB1080_78:
	s_or_b32 exec_lo, exec_lo, s21
	v_mov_b32_e32 v2, 0
	s_waitcnt lgkmcnt(0)
	s_barrier
	buffer_gl0_inv
	ds_read_b32 v1, v2
	v_cmp_eq_u16_sdwa vcc_lo, v30, v2 src0_sel:BYTE_0 src1_sel:DWORD
	s_waitcnt lgkmcnt(0)
	v_cndmask_b32_e32 v3, 0, v1, vcc_lo
	v_add_nc_u32_e32 v4, v3, v29
	v_and_b32_e32 v3, 0xff, v12
	v_cndmask_b32_e64 v1, v4, v1, s0
	v_cmp_eq_u64_e32 vcc_lo, 0, v[2:3]
	v_cndmask_b32_e32 v2, 0, v1, vcc_lo
	v_add_nc_u32_e32 v2, v2, v11
	v_cndmask_b32_e64 v3, 0, v2, s3
	v_add_nc_u32_e32 v3, v3, v19
	v_cndmask_b32_e64 v4, 0, v3, s4
	;; [unrolled: 2-line block ×4, first 2 shown]
	v_add_nc_u32_e32 v6, v6, v13
	s_branch .LBB1080_96
.LBB1080_79:
	s_cmp_eq_u64 s[24:25], 0
	v_mov_b32_e32 v8, s26
	s_cselect_b32 s3, -1, 0
	s_cmp_eq_u64 s[22:23], 0
	s_cselect_b32 s4, -1, 0
	s_or_b32 s3, s3, s4
	s_and_b32 vcc_lo, exec_lo, s3
	s_cbranch_vccnz .LBB1080_81
; %bb.80:
	v_mov_b32_e32 v1, 0
	global_load_dword v8, v1, s[22:23]
.LBB1080_81:
	s_mov_b32 s6, 0
	s_mov_b32 s7, 1
	v_or3_b32 v2, v28, v20, v22
	v_cmp_gt_u64_e32 vcc_lo, s[6:7], v[19:20]
	v_cmp_gt_u64_e64 s3, s[6:7], v[17:18]
	v_cmp_gt_u64_e64 s4, s[6:7], v[15:16]
	;; [unrolled: 1-line block ×4, first 2 shown]
	v_and_b32_e32 v2, 0xff, v2
	v_cndmask_b32_e32 v1, 0, v11, vcc_lo
	v_and_b32_e32 v4, 8, v26
	s_mov_b32 s7, exec_lo
	v_add_nc_u32_e32 v1, v1, v19
	v_lshl_add_u32 v6, v0, 3, v4
	v_cndmask_b32_e64 v1, 0, v1, s3
	v_add_nc_u32_e32 v1, v1, v17
	v_cndmask_b32_e64 v1, 0, v1, s4
	v_add_nc_u32_e32 v1, v1, v15
	;; [unrolled: 2-line block ×3, first 2 shown]
	v_mov_b32_e32 v1, 0
	v_cndmask_b32_e64 v5, 0, v3, s6
	v_cmp_eq_u64_e64 s6, 0, v[1:2]
	v_add_nc_u32_e32 v4, v5, v21
	v_cndmask_b32_e64 v3, 1, v12, s6
	ds_write_b8 v6, v3 offset:4
	ds_write_b32 v6, v4
	s_waitcnt vmcnt(0) lgkmcnt(0)
	s_barrier
	buffer_gl0_inv
	v_cmpx_gt_u32_e32 32, v0
	s_cbranch_execz .LBB1080_91
; %bb.82:
	v_lshrrev_b32_e32 v1, 1, v0
	v_lshlrev_b32_e32 v2, 4, v0
	s_mov_b32 s8, exec_lo
	v_and_b32_e32 v1, 24, v1
	v_add_nc_u32_e32 v5, v1, v2
	ds_read_u8 v7, v5 offset:12
	ds_read_b64 v[1:2], v5
	ds_read_b32 v14, v5 offset:8
	s_waitcnt lgkmcnt(2)
	v_and_b32_e32 v16, 1, v7
	v_cmp_eq_u16_e64 s6, 0, v7
	s_waitcnt lgkmcnt(1)
	v_and_b32_e32 v6, 1, v2
	v_and_b32_e32 v7, 0xffffff00, v2
	v_cndmask_b32_e64 v20, 0, v1, s6
	v_cmp_eq_u32_e64 s6, 1, v16
	v_mbcnt_lo_u32_b32 v16, -1, 0
	s_waitcnt lgkmcnt(0)
	v_add_nc_u32_e32 v14, v20, v14
	v_cndmask_b32_e64 v18, v6, 1, s6
	v_and_b32_e32 v20, 15, v16
	v_mov_b32_dpp v22, v14 row_shr:1 row_mask:0xf bank_mask:0xf
	v_or_b32_sdwa v21, v7, v18 dst_sel:DWORD dst_unused:UNUSED_PAD src0_sel:DWORD src1_sel:WORD_0
	v_mov_b32_dpp v23, v21 row_shr:1 row_mask:0xf bank_mask:0xf
	v_cmpx_ne_u32_e32 0, v20
	s_cbranch_execz .LBB1080_84
; %bb.83:
	v_and_b32_e32 v21, 1, v18
	v_cmp_eq_u16_e64 s6, 0, v18
	v_and_b32_e32 v23, 1, v23
	v_cndmask_b32_e64 v18, 0, v22, s6
	v_cmp_eq_u32_e64 s6, 1, v21
	v_add_nc_u32_e32 v14, v18, v14
	v_cndmask_b32_e64 v22, v23, 1, s6
	v_or_b32_sdwa v21, v7, v22 dst_sel:DWORD dst_unused:UNUSED_PAD src0_sel:DWORD src1_sel:WORD_0
	v_mov_b32_e32 v18, v22
.LBB1080_84:
	s_or_b32 exec_lo, exec_lo, s8
	v_mov_b32_dpp v22, v14 row_shr:2 row_mask:0xf bank_mask:0xf
	v_mov_b32_dpp v23, v21 row_shr:2 row_mask:0xf bank_mask:0xf
	s_mov_b32 s8, exec_lo
	v_cmpx_lt_u32_e32 1, v20
	s_cbranch_execz .LBB1080_86
; %bb.85:
	v_and_b32_e32 v21, 1, v18
	v_cmp_eq_u16_e64 s6, 0, v18
	v_and_b32_e32 v23, 1, v23
	v_cndmask_b32_e64 v18, 0, v22, s6
	v_cmp_eq_u32_e64 s6, 1, v21
	v_add_nc_u32_e32 v14, v18, v14
	v_cndmask_b32_e64 v22, v23, 1, s6
	v_or_b32_sdwa v21, v7, v22 dst_sel:DWORD dst_unused:UNUSED_PAD src0_sel:DWORD src1_sel:WORD_0
	v_mov_b32_e32 v18, v22
.LBB1080_86:
	s_or_b32 exec_lo, exec_lo, s8
	v_mov_b32_dpp v22, v14 row_shr:4 row_mask:0xf bank_mask:0xf
	v_mov_b32_dpp v23, v21 row_shr:4 row_mask:0xf bank_mask:0xf
	s_mov_b32 s8, exec_lo
	v_cmpx_lt_u32_e32 3, v20
	;; [unrolled: 17-line block ×3, first 2 shown]
	s_cbranch_execz .LBB1080_90
; %bb.89:
	v_and_b32_e32 v20, 1, v18
	v_cmp_eq_u16_e64 s6, 0, v18
	v_and_b32_e32 v21, 1, v23
	v_cndmask_b32_e64 v18, 0, v22, s6
	v_cmp_eq_u32_e64 s6, 1, v20
	v_add_nc_u32_e32 v14, v18, v14
	v_cndmask_b32_e64 v20, v21, 1, s6
	v_or_b32_sdwa v21, v7, v20 dst_sel:DWORD dst_unused:UNUSED_PAD src0_sel:DWORD src1_sel:WORD_0
	v_mov_b32_e32 v18, v20
.LBB1080_90:
	s_or_b32 exec_lo, exec_lo, s8
	ds_swizzle_b32 v20, v21 offset:swizzle(BROADCAST,32,15)
	ds_swizzle_b32 v21, v14 offset:swizzle(BROADCAST,32,15)
	v_and_b32_e32 v24, 1, v18
	v_cmp_eq_u16_e64 s6, 0, v18
	v_add_nc_u32_e32 v25, -1, v16
	v_and_b32_e32 v22, 16, v16
	v_bfe_i32 v23, v16, 4, 1
	; wave barrier
	s_waitcnt lgkmcnt(1)
	v_and_b32_e32 v20, 1, v20
	s_waitcnt lgkmcnt(0)
	v_cndmask_b32_e64 v21, 0, v21, s6
	v_cmp_eq_u32_e64 s6, 1, v24
	v_and_b32_e32 v21, v23, v21
	v_cndmask_b32_e64 v20, v20, 1, s6
	v_cmp_gt_i32_e64 s6, 0, v25
	v_add_nc_u32_e32 v14, v21, v14
	v_cndmask_b32_e64 v16, v25, v16, s6
	v_cmp_eq_u32_e64 s6, 0, v22
	v_lshlrev_b32_e32 v16, 2, v16
	v_cndmask_b32_e64 v18, v20, v18, s6
	ds_bpermute_b32 v14, v16, v14
	v_or_b32_sdwa v7, v7, v18 dst_sel:DWORD dst_unused:UNUSED_PAD src0_sel:DWORD src1_sel:WORD_0
	ds_bpermute_b32 v7, v16, v7
	v_mov_b32_e32 v16, 0
	v_cmp_eq_u16_sdwa s6, v2, v16 src0_sel:BYTE_0 src1_sel:DWORD
	s_waitcnt lgkmcnt(1)
	v_cndmask_b32_e64 v2, 0, v14, s6
	v_cmp_eq_u32_e64 s6, 1, v6
	v_add_nc_u32_e32 v1, v2, v1
	s_waitcnt lgkmcnt(0)
	v_and_b32_e32 v7, 1, v7
	v_cndmask_b32_e64 v1, v1, v4, s0
	v_cndmask_b32_e64 v2, v7, 1, s6
	v_cndmask_b32_e64 v2, v2, v3, s0
	ds_write_b32 v5, v1
	ds_write_b8 v5, v2 offset:4
	; wave barrier
	ds_read_u8 v3, v5 offset:12
	ds_read_b32 v4, v5 offset:8
	s_waitcnt lgkmcnt(1)
	v_cmp_eq_u16_e64 s6, 0, v3
	v_and_b32_e32 v3, 1, v3
	v_cndmask_b32_e64 v1, 0, v1, s6
	v_cmp_eq_u32_e64 s6, 1, v3
	s_waitcnt lgkmcnt(0)
	v_add_nc_u32_e32 v1, v1, v4
	v_cndmask_b32_e64 v2, v2, 1, s6
	ds_write_b32 v5, v1 offset:8
	ds_write_b8 v5, v2 offset:12
.LBB1080_91:
	s_or_b32 exec_lo, exec_lo, s7
	v_mov_b32_e32 v1, v8
	s_waitcnt lgkmcnt(0)
	s_barrier
	buffer_gl0_inv
	s_and_saveexec_b32 s6, s1
	s_cbranch_execz .LBB1080_93
; %bb.92:
	v_add_nc_u32_e32 v1, -1, v0
	v_lshrrev_b32_e32 v2, 2, v1
	v_and_b32_e32 v2, 0x3ffffff8, v2
	v_lshl_add_u32 v1, v1, 3, v2
	ds_read_u8 v2, v1 offset:4
	ds_read_b32 v1, v1
	s_waitcnt lgkmcnt(1)
	v_cmp_eq_u16_e64 s1, 0, v2
	v_cndmask_b32_e64 v2, 0, v8, s1
	s_waitcnt lgkmcnt(0)
	v_add_nc_u32_e32 v1, v2, v1
.LBB1080_93:
	s_or_b32 exec_lo, exec_lo, s6
	v_and_b32_e32 v7, 0xff, v12
	v_mov_b32_e32 v6, 0
	v_cmp_eq_u64_e64 s1, 0, v[6:7]
	v_cndmask_b32_e64 v2, 0, v1, s1
	v_add_nc_u32_e32 v2, v2, v11
	v_cndmask_b32_e32 v3, 0, v2, vcc_lo
	v_add_nc_u32_e32 v3, v3, v19
	v_cndmask_b32_e64 v4, 0, v3, s3
	v_add_nc_u32_e32 v4, v4, v17
	v_cndmask_b32_e64 v5, 0, v4, s4
	;; [unrolled: 2-line block ×3, first 2 shown]
	s_and_saveexec_b32 s1, s0
	s_cbranch_execz .LBB1080_95
; %bb.94:
	ds_read_u8 v11, v6 offset:516
	ds_read_b32 v12, v6 offset:512
	v_mov_b32_e32 v16, v6
	s_add_u32 s4, s16, 0x200
	s_addc_u32 s5, s17, 0
	v_mov_b32_e32 v17, v6
	s_waitcnt lgkmcnt(1)
	v_and_b32_e32 v15, 0xffff, v11
	v_cmp_eq_u64_e32 vcc_lo, 0, v[15:16]
	v_mov_b32_e32 v16, 2
	v_cndmask_b32_e32 v8, 0, v8, vcc_lo
	s_waitcnt lgkmcnt(0)
	v_add_nc_u32_e32 v14, v8, v12
	v_mov_b32_e32 v12, s5
	v_mov_b32_e32 v11, s4
	;;#ASMSTART
	global_store_dwordx4 v[11:12], v[14:17] off	
s_waitcnt vmcnt(0)
	;;#ASMEND
.LBB1080_95:
	s_or_b32 exec_lo, exec_lo, s1
	v_add_nc_u32_e32 v6, v7, v13
.LBB1080_96:
	s_add_u32 s0, s14, s10
	s_addc_u32 s1, s15, s11
	v_add_co_u32 v14, vcc_lo, s0, v9
	v_add_co_ci_u32_e64 v15, null, s1, v10, vcc_lo
	v_mov_b32_e32 v11, 0
	s_and_b32 vcc_lo, exec_lo, s2
	s_cbranch_vccz .LBB1080_120
; %bb.97:
	v_mul_u32_u24_e32 v13, 6, v0
	v_mov_b32_e32 v12, 0
	v_mov_b32_e32 v9, 0
	;; [unrolled: 1-line block ×5, first 2 shown]
	s_add_i32 s19, s19, s18
	s_mov_b32 s0, exec_lo
	v_cmpx_gt_u32_e64 s19, v13
	s_cbranch_execz .LBB1080_109
; %bb.98:
	v_or_b32_e32 v11, 1, v13
	v_mov_b32_e32 v8, 0
	v_mov_b32_e32 v7, 0
	;; [unrolled: 1-line block ×5, first 2 shown]
	s_mov_b32 s1, exec_lo
	v_cmpx_gt_u32_e64 s19, v11
	s_cbranch_execz .LBB1080_108
; %bb.99:
	v_add_nc_u32_e32 v9, 2, v13
	v_mov_b32_e32 v8, 0
	v_mov_b32_e32 v7, 0
	;; [unrolled: 1-line block ×3, first 2 shown]
	v_cmp_gt_u32_e32 vcc_lo, s19, v9
	v_mov_b32_e32 v9, 0
	s_and_saveexec_b32 s2, vcc_lo
	s_cbranch_execz .LBB1080_107
; %bb.100:
	v_add_nc_u32_e32 v9, 3, v13
	v_mov_b32_e32 v8, 0
	v_mov_b32_e32 v7, 0
	;; [unrolled: 1-line block ×3, first 2 shown]
	s_mov_b32 s3, exec_lo
	v_cmpx_gt_u32_e64 s19, v9
	s_cbranch_execz .LBB1080_106
; %bb.101:
	v_add_nc_u32_e32 v7, 4, v13
	v_mov_b32_e32 v8, 0
	v_cmp_gt_u32_e32 vcc_lo, s19, v7
	v_mov_b32_e32 v7, 0
	s_and_saveexec_b32 s4, vcc_lo
	s_cbranch_execz .LBB1080_105
; %bb.102:
	v_add_nc_u32_e32 v7, 5, v13
	v_mov_b32_e32 v8, 0
	s_mov_b32 s5, exec_lo
	v_cmpx_gt_u32_e64 s19, v7
; %bb.103:
	v_mov_b32_e32 v8, v6
; %bb.104:
	s_or_b32 exec_lo, exec_lo, s5
	v_mov_b32_e32 v7, v5
.LBB1080_105:
	s_or_b32 exec_lo, exec_lo, s4
	v_mov_b32_e32 v10, v4
.LBB1080_106:
	s_or_b32 exec_lo, exec_lo, s3
	v_mov_b32_e32 v9, v3
.LBB1080_107:
	s_or_b32 exec_lo, exec_lo, s2
	v_mov_b32_e32 v12, v2
.LBB1080_108:
	s_or_b32 exec_lo, exec_lo, s1
	v_mov_b32_e32 v11, v1
.LBB1080_109:
	s_or_b32 exec_lo, exec_lo, s0
	v_lshlrev_b32_e32 v16, 2, v13
	s_barrier
	buffer_gl0_inv
	s_mov_b32 s0, exec_lo
	ds_write2_b64 v16, v[11:12], v[9:10] offset1:1
	v_mad_i32_i24 v10, 0xffffffec, v0, v16
	ds_write_b64 v16, v[7:8] offset:16
	s_waitcnt lgkmcnt(0)
	s_barrier
	buffer_gl0_inv
	ds_read2st64_b32 v[12:13], v10 offset0:1 offset1:2
	ds_read2st64_b32 v[8:9], v10 offset0:3 offset1:4
	ds_read_b32 v7, v10 offset:1280
	v_add_co_u32 v10, vcc_lo, v14, v27
	v_add_co_ci_u32_e64 v11, null, 0, v15, vcc_lo
	v_cmpx_gt_u32_e64 s19, v0
	s_cbranch_execz .LBB1080_111
; %bb.110:
	v_mul_i32_i24_e32 v17, 0xffffffec, v0
	v_add_nc_u32_e32 v16, v16, v17
	ds_read_b32 v16, v16
	s_waitcnt lgkmcnt(0)
	flat_store_short v[10:11], v16
.LBB1080_111:
	s_or_b32 exec_lo, exec_lo, s0
	v_or_b32_e32 v16, 64, v0
	s_mov_b32 s0, exec_lo
	v_cmpx_gt_u32_e64 s19, v16
	s_cbranch_execz .LBB1080_113
; %bb.112:
	s_waitcnt lgkmcnt(2)
	flat_store_short v[10:11], v12 offset:128
.LBB1080_113:
	s_or_b32 exec_lo, exec_lo, s0
	s_waitcnt lgkmcnt(2)
	v_or_b32_e32 v12, 0x80, v0
	s_mov_b32 s0, exec_lo
	v_cmpx_gt_u32_e64 s19, v12
	s_cbranch_execz .LBB1080_115
; %bb.114:
	flat_store_short v[10:11], v13 offset:256
.LBB1080_115:
	s_or_b32 exec_lo, exec_lo, s0
	v_or_b32_e32 v12, 0xc0, v0
	s_mov_b32 s0, exec_lo
	v_cmpx_gt_u32_e64 s19, v12
	s_cbranch_execz .LBB1080_117
; %bb.116:
	s_waitcnt lgkmcnt(1)
	flat_store_short v[10:11], v8 offset:384
.LBB1080_117:
	s_or_b32 exec_lo, exec_lo, s0
	s_waitcnt lgkmcnt(1)
	v_or_b32_e32 v8, 0x100, v0
	s_mov_b32 s0, exec_lo
	v_cmpx_gt_u32_e64 s19, v8
	s_cbranch_execz .LBB1080_119
; %bb.118:
	flat_store_short v[10:11], v9 offset:512
.LBB1080_119:
	s_or_b32 exec_lo, exec_lo, s0
	v_or_b32_e32 v8, 0x140, v0
	v_cmp_gt_u32_e64 s0, s19, v8
	s_branch .LBB1080_122
.LBB1080_120:
	s_mov_b32 s0, 0
                                        ; implicit-def: $vgpr7
	s_cbranch_execz .LBB1080_122
; %bb.121:
	v_mul_i32_i24_e32 v8, 0xffffffec, v0
	s_waitcnt lgkmcnt(0)
	v_mul_u32_u24_e32 v7, 24, v0
	s_waitcnt_vscnt null, 0x0
	s_barrier
	buffer_gl0_inv
	v_mad_u32_u24 v8, v0, 24, v8
	ds_write2_b64 v7, v[1:2], v[3:4] offset1:1
	ds_write_b64 v7, v[5:6] offset:16
	s_waitcnt lgkmcnt(0)
	s_barrier
	buffer_gl0_inv
	ds_read2st64_b32 v[1:2], v8 offset1:1
	ds_read2st64_b32 v[3:4], v8 offset0:2 offset1:3
	ds_read2st64_b32 v[6:7], v8 offset0:4 offset1:5
	v_add_co_u32 v8, vcc_lo, v14, v27
	v_add_co_ci_u32_e64 v9, null, 0, v15, vcc_lo
	s_or_b32 s0, s0, exec_lo
	s_waitcnt lgkmcnt(2)
	flat_store_short v[8:9], v1
	flat_store_short v[8:9], v2 offset:128
	s_waitcnt lgkmcnt(3)
	flat_store_short v[8:9], v3 offset:256
	flat_store_short v[8:9], v4 offset:384
	s_waitcnt lgkmcnt(4)
	flat_store_short v[8:9], v6 offset:512
.LBB1080_122:
	s_and_saveexec_b32 s1, s0
	s_cbranch_execnz .LBB1080_124
; %bb.123:
	s_endpgm
.LBB1080_124:
	v_lshlrev_b32_e32 v0, 1, v0
	v_add_co_u32 v0, vcc_lo, v14, v0
	v_add_co_ci_u32_e64 v1, null, 0, v15, vcc_lo
	s_waitcnt lgkmcnt(0)
	flat_store_short v[0:1], v7 offset:640
	s_endpgm
.LBB1080_125:
	v_add_co_u32 v2, s5, v26, v12
	v_add_co_ci_u32_e64 v3, null, 0, v28, s5
	v_mov_b32_e32 v14, v1
	v_mov_b32_e32 v15, v1
	;; [unrolled: 1-line block ×3, first 2 shown]
	flat_load_sshort v13, v[2:3]
	v_mov_b32_e32 v17, v1
	v_mov_b32_e32 v18, v1
	s_waitcnt vmcnt(0) lgkmcnt(0)
	v_mov_b32_e32 v1, v13
	v_mov_b32_e32 v2, v14
	v_mov_b32_e32 v3, v15
	v_mov_b32_e32 v4, v16
	v_mov_b32_e32 v5, v17
	v_mov_b32_e32 v6, v18
	s_or_b32 exec_lo, exec_lo, s8
	s_and_saveexec_b32 s5, vcc_lo
	s_cbranch_execz .LBB1080_21
.LBB1080_126:
	v_add_co_u32 v13, vcc_lo, v26, v12
	v_add_co_ci_u32_e64 v14, null, 0, v28, vcc_lo
	flat_load_sshort v2, v[13:14] offset:128
	s_or_b32 exec_lo, exec_lo, s5
	s_and_saveexec_b32 s5, s3
	s_cbranch_execz .LBB1080_22
.LBB1080_127:
	v_add_co_u32 v13, vcc_lo, v26, v12
	v_add_co_ci_u32_e64 v14, null, 0, v28, vcc_lo
	flat_load_sshort v3, v[13:14] offset:256
	s_or_b32 exec_lo, exec_lo, s5
	s_and_saveexec_b32 s3, s4
	s_cbranch_execz .LBB1080_23
.LBB1080_128:
	v_add_co_u32 v13, vcc_lo, v26, v12
	v_add_co_ci_u32_e64 v14, null, 0, v28, vcc_lo
	flat_load_sshort v4, v[13:14] offset:384
	s_or_b32 exec_lo, exec_lo, s3
	s_and_saveexec_b32 s3, s6
	s_cbranch_execz .LBB1080_24
.LBB1080_129:
	v_add_co_u32 v13, vcc_lo, v26, v12
	v_add_co_ci_u32_e64 v14, null, 0, v28, vcc_lo
	flat_load_sshort v5, v[13:14] offset:512
	s_or_b32 exec_lo, exec_lo, s3
	v_mul_u32_u24_e32 v30, 6, v0
	s_and_saveexec_b32 s3, s7
	s_cbranch_execnz .LBB1080_25
	s_branch .LBB1080_26
	.section	.rodata,"a",@progbits
	.p2align	6, 0x0
	.amdhsa_kernel _ZN7rocprim17ROCPRIM_400000_NS6detail17trampoline_kernelINS0_14default_configENS1_27scan_by_key_config_selectorIsiEEZZNS1_16scan_by_key_implILNS1_25lookback_scan_determinismE0ELb1ES3_N6thrust23THRUST_200600_302600_NS6detail15normal_iteratorINS9_10device_ptrIsEEEESE_SE_iNS9_4plusIvEENS9_8equal_toIvEEiEE10hipError_tPvRmT2_T3_T4_T5_mT6_T7_P12ihipStream_tbENKUlT_T0_E_clISt17integral_constantIbLb0EESY_IbLb1EEEEDaSU_SV_EUlSU_E_NS1_11comp_targetILNS1_3genE8ELNS1_11target_archE1030ELNS1_3gpuE2ELNS1_3repE0EEENS1_30default_config_static_selectorELNS0_4arch9wavefront6targetE0EEEvT1_
		.amdhsa_group_segment_fixed_size 1536
		.amdhsa_private_segment_fixed_size 0
		.amdhsa_kernarg_size 112
		.amdhsa_user_sgpr_count 6
		.amdhsa_user_sgpr_private_segment_buffer 1
		.amdhsa_user_sgpr_dispatch_ptr 0
		.amdhsa_user_sgpr_queue_ptr 0
		.amdhsa_user_sgpr_kernarg_segment_ptr 1
		.amdhsa_user_sgpr_dispatch_id 0
		.amdhsa_user_sgpr_flat_scratch_init 0
		.amdhsa_user_sgpr_private_segment_size 0
		.amdhsa_wavefront_size32 1
		.amdhsa_uses_dynamic_stack 0
		.amdhsa_system_sgpr_private_segment_wavefront_offset 0
		.amdhsa_system_sgpr_workgroup_id_x 1
		.amdhsa_system_sgpr_workgroup_id_y 0
		.amdhsa_system_sgpr_workgroup_id_z 0
		.amdhsa_system_sgpr_workgroup_info 0
		.amdhsa_system_vgpr_workitem_id 0
		.amdhsa_next_free_vgpr 46
		.amdhsa_next_free_sgpr 28
		.amdhsa_reserve_vcc 1
		.amdhsa_reserve_flat_scratch 1
		.amdhsa_float_round_mode_32 0
		.amdhsa_float_round_mode_16_64 0
		.amdhsa_float_denorm_mode_32 3
		.amdhsa_float_denorm_mode_16_64 3
		.amdhsa_dx10_clamp 1
		.amdhsa_ieee_mode 1
		.amdhsa_fp16_overflow 0
		.amdhsa_workgroup_processor_mode 1
		.amdhsa_memory_ordered 1
		.amdhsa_forward_progress 1
		.amdhsa_shared_vgpr_count 0
		.amdhsa_exception_fp_ieee_invalid_op 0
		.amdhsa_exception_fp_denorm_src 0
		.amdhsa_exception_fp_ieee_div_zero 0
		.amdhsa_exception_fp_ieee_overflow 0
		.amdhsa_exception_fp_ieee_underflow 0
		.amdhsa_exception_fp_ieee_inexact 0
		.amdhsa_exception_int_div_zero 0
	.end_amdhsa_kernel
	.section	.text._ZN7rocprim17ROCPRIM_400000_NS6detail17trampoline_kernelINS0_14default_configENS1_27scan_by_key_config_selectorIsiEEZZNS1_16scan_by_key_implILNS1_25lookback_scan_determinismE0ELb1ES3_N6thrust23THRUST_200600_302600_NS6detail15normal_iteratorINS9_10device_ptrIsEEEESE_SE_iNS9_4plusIvEENS9_8equal_toIvEEiEE10hipError_tPvRmT2_T3_T4_T5_mT6_T7_P12ihipStream_tbENKUlT_T0_E_clISt17integral_constantIbLb0EESY_IbLb1EEEEDaSU_SV_EUlSU_E_NS1_11comp_targetILNS1_3genE8ELNS1_11target_archE1030ELNS1_3gpuE2ELNS1_3repE0EEENS1_30default_config_static_selectorELNS0_4arch9wavefront6targetE0EEEvT1_,"axG",@progbits,_ZN7rocprim17ROCPRIM_400000_NS6detail17trampoline_kernelINS0_14default_configENS1_27scan_by_key_config_selectorIsiEEZZNS1_16scan_by_key_implILNS1_25lookback_scan_determinismE0ELb1ES3_N6thrust23THRUST_200600_302600_NS6detail15normal_iteratorINS9_10device_ptrIsEEEESE_SE_iNS9_4plusIvEENS9_8equal_toIvEEiEE10hipError_tPvRmT2_T3_T4_T5_mT6_T7_P12ihipStream_tbENKUlT_T0_E_clISt17integral_constantIbLb0EESY_IbLb1EEEEDaSU_SV_EUlSU_E_NS1_11comp_targetILNS1_3genE8ELNS1_11target_archE1030ELNS1_3gpuE2ELNS1_3repE0EEENS1_30default_config_static_selectorELNS0_4arch9wavefront6targetE0EEEvT1_,comdat
.Lfunc_end1080:
	.size	_ZN7rocprim17ROCPRIM_400000_NS6detail17trampoline_kernelINS0_14default_configENS1_27scan_by_key_config_selectorIsiEEZZNS1_16scan_by_key_implILNS1_25lookback_scan_determinismE0ELb1ES3_N6thrust23THRUST_200600_302600_NS6detail15normal_iteratorINS9_10device_ptrIsEEEESE_SE_iNS9_4plusIvEENS9_8equal_toIvEEiEE10hipError_tPvRmT2_T3_T4_T5_mT6_T7_P12ihipStream_tbENKUlT_T0_E_clISt17integral_constantIbLb0EESY_IbLb1EEEEDaSU_SV_EUlSU_E_NS1_11comp_targetILNS1_3genE8ELNS1_11target_archE1030ELNS1_3gpuE2ELNS1_3repE0EEENS1_30default_config_static_selectorELNS0_4arch9wavefront6targetE0EEEvT1_, .Lfunc_end1080-_ZN7rocprim17ROCPRIM_400000_NS6detail17trampoline_kernelINS0_14default_configENS1_27scan_by_key_config_selectorIsiEEZZNS1_16scan_by_key_implILNS1_25lookback_scan_determinismE0ELb1ES3_N6thrust23THRUST_200600_302600_NS6detail15normal_iteratorINS9_10device_ptrIsEEEESE_SE_iNS9_4plusIvEENS9_8equal_toIvEEiEE10hipError_tPvRmT2_T3_T4_T5_mT6_T7_P12ihipStream_tbENKUlT_T0_E_clISt17integral_constantIbLb0EESY_IbLb1EEEEDaSU_SV_EUlSU_E_NS1_11comp_targetILNS1_3genE8ELNS1_11target_archE1030ELNS1_3gpuE2ELNS1_3repE0EEENS1_30default_config_static_selectorELNS0_4arch9wavefront6targetE0EEEvT1_
                                        ; -- End function
	.set _ZN7rocprim17ROCPRIM_400000_NS6detail17trampoline_kernelINS0_14default_configENS1_27scan_by_key_config_selectorIsiEEZZNS1_16scan_by_key_implILNS1_25lookback_scan_determinismE0ELb1ES3_N6thrust23THRUST_200600_302600_NS6detail15normal_iteratorINS9_10device_ptrIsEEEESE_SE_iNS9_4plusIvEENS9_8equal_toIvEEiEE10hipError_tPvRmT2_T3_T4_T5_mT6_T7_P12ihipStream_tbENKUlT_T0_E_clISt17integral_constantIbLb0EESY_IbLb1EEEEDaSU_SV_EUlSU_E_NS1_11comp_targetILNS1_3genE8ELNS1_11target_archE1030ELNS1_3gpuE2ELNS1_3repE0EEENS1_30default_config_static_selectorELNS0_4arch9wavefront6targetE0EEEvT1_.num_vgpr, 46
	.set _ZN7rocprim17ROCPRIM_400000_NS6detail17trampoline_kernelINS0_14default_configENS1_27scan_by_key_config_selectorIsiEEZZNS1_16scan_by_key_implILNS1_25lookback_scan_determinismE0ELb1ES3_N6thrust23THRUST_200600_302600_NS6detail15normal_iteratorINS9_10device_ptrIsEEEESE_SE_iNS9_4plusIvEENS9_8equal_toIvEEiEE10hipError_tPvRmT2_T3_T4_T5_mT6_T7_P12ihipStream_tbENKUlT_T0_E_clISt17integral_constantIbLb0EESY_IbLb1EEEEDaSU_SV_EUlSU_E_NS1_11comp_targetILNS1_3genE8ELNS1_11target_archE1030ELNS1_3gpuE2ELNS1_3repE0EEENS1_30default_config_static_selectorELNS0_4arch9wavefront6targetE0EEEvT1_.num_agpr, 0
	.set _ZN7rocprim17ROCPRIM_400000_NS6detail17trampoline_kernelINS0_14default_configENS1_27scan_by_key_config_selectorIsiEEZZNS1_16scan_by_key_implILNS1_25lookback_scan_determinismE0ELb1ES3_N6thrust23THRUST_200600_302600_NS6detail15normal_iteratorINS9_10device_ptrIsEEEESE_SE_iNS9_4plusIvEENS9_8equal_toIvEEiEE10hipError_tPvRmT2_T3_T4_T5_mT6_T7_P12ihipStream_tbENKUlT_T0_E_clISt17integral_constantIbLb0EESY_IbLb1EEEEDaSU_SV_EUlSU_E_NS1_11comp_targetILNS1_3genE8ELNS1_11target_archE1030ELNS1_3gpuE2ELNS1_3repE0EEENS1_30default_config_static_selectorELNS0_4arch9wavefront6targetE0EEEvT1_.numbered_sgpr, 28
	.set _ZN7rocprim17ROCPRIM_400000_NS6detail17trampoline_kernelINS0_14default_configENS1_27scan_by_key_config_selectorIsiEEZZNS1_16scan_by_key_implILNS1_25lookback_scan_determinismE0ELb1ES3_N6thrust23THRUST_200600_302600_NS6detail15normal_iteratorINS9_10device_ptrIsEEEESE_SE_iNS9_4plusIvEENS9_8equal_toIvEEiEE10hipError_tPvRmT2_T3_T4_T5_mT6_T7_P12ihipStream_tbENKUlT_T0_E_clISt17integral_constantIbLb0EESY_IbLb1EEEEDaSU_SV_EUlSU_E_NS1_11comp_targetILNS1_3genE8ELNS1_11target_archE1030ELNS1_3gpuE2ELNS1_3repE0EEENS1_30default_config_static_selectorELNS0_4arch9wavefront6targetE0EEEvT1_.num_named_barrier, 0
	.set _ZN7rocprim17ROCPRIM_400000_NS6detail17trampoline_kernelINS0_14default_configENS1_27scan_by_key_config_selectorIsiEEZZNS1_16scan_by_key_implILNS1_25lookback_scan_determinismE0ELb1ES3_N6thrust23THRUST_200600_302600_NS6detail15normal_iteratorINS9_10device_ptrIsEEEESE_SE_iNS9_4plusIvEENS9_8equal_toIvEEiEE10hipError_tPvRmT2_T3_T4_T5_mT6_T7_P12ihipStream_tbENKUlT_T0_E_clISt17integral_constantIbLb0EESY_IbLb1EEEEDaSU_SV_EUlSU_E_NS1_11comp_targetILNS1_3genE8ELNS1_11target_archE1030ELNS1_3gpuE2ELNS1_3repE0EEENS1_30default_config_static_selectorELNS0_4arch9wavefront6targetE0EEEvT1_.private_seg_size, 0
	.set _ZN7rocprim17ROCPRIM_400000_NS6detail17trampoline_kernelINS0_14default_configENS1_27scan_by_key_config_selectorIsiEEZZNS1_16scan_by_key_implILNS1_25lookback_scan_determinismE0ELb1ES3_N6thrust23THRUST_200600_302600_NS6detail15normal_iteratorINS9_10device_ptrIsEEEESE_SE_iNS9_4plusIvEENS9_8equal_toIvEEiEE10hipError_tPvRmT2_T3_T4_T5_mT6_T7_P12ihipStream_tbENKUlT_T0_E_clISt17integral_constantIbLb0EESY_IbLb1EEEEDaSU_SV_EUlSU_E_NS1_11comp_targetILNS1_3genE8ELNS1_11target_archE1030ELNS1_3gpuE2ELNS1_3repE0EEENS1_30default_config_static_selectorELNS0_4arch9wavefront6targetE0EEEvT1_.uses_vcc, 1
	.set _ZN7rocprim17ROCPRIM_400000_NS6detail17trampoline_kernelINS0_14default_configENS1_27scan_by_key_config_selectorIsiEEZZNS1_16scan_by_key_implILNS1_25lookback_scan_determinismE0ELb1ES3_N6thrust23THRUST_200600_302600_NS6detail15normal_iteratorINS9_10device_ptrIsEEEESE_SE_iNS9_4plusIvEENS9_8equal_toIvEEiEE10hipError_tPvRmT2_T3_T4_T5_mT6_T7_P12ihipStream_tbENKUlT_T0_E_clISt17integral_constantIbLb0EESY_IbLb1EEEEDaSU_SV_EUlSU_E_NS1_11comp_targetILNS1_3genE8ELNS1_11target_archE1030ELNS1_3gpuE2ELNS1_3repE0EEENS1_30default_config_static_selectorELNS0_4arch9wavefront6targetE0EEEvT1_.uses_flat_scratch, 1
	.set _ZN7rocprim17ROCPRIM_400000_NS6detail17trampoline_kernelINS0_14default_configENS1_27scan_by_key_config_selectorIsiEEZZNS1_16scan_by_key_implILNS1_25lookback_scan_determinismE0ELb1ES3_N6thrust23THRUST_200600_302600_NS6detail15normal_iteratorINS9_10device_ptrIsEEEESE_SE_iNS9_4plusIvEENS9_8equal_toIvEEiEE10hipError_tPvRmT2_T3_T4_T5_mT6_T7_P12ihipStream_tbENKUlT_T0_E_clISt17integral_constantIbLb0EESY_IbLb1EEEEDaSU_SV_EUlSU_E_NS1_11comp_targetILNS1_3genE8ELNS1_11target_archE1030ELNS1_3gpuE2ELNS1_3repE0EEENS1_30default_config_static_selectorELNS0_4arch9wavefront6targetE0EEEvT1_.has_dyn_sized_stack, 0
	.set _ZN7rocprim17ROCPRIM_400000_NS6detail17trampoline_kernelINS0_14default_configENS1_27scan_by_key_config_selectorIsiEEZZNS1_16scan_by_key_implILNS1_25lookback_scan_determinismE0ELb1ES3_N6thrust23THRUST_200600_302600_NS6detail15normal_iteratorINS9_10device_ptrIsEEEESE_SE_iNS9_4plusIvEENS9_8equal_toIvEEiEE10hipError_tPvRmT2_T3_T4_T5_mT6_T7_P12ihipStream_tbENKUlT_T0_E_clISt17integral_constantIbLb0EESY_IbLb1EEEEDaSU_SV_EUlSU_E_NS1_11comp_targetILNS1_3genE8ELNS1_11target_archE1030ELNS1_3gpuE2ELNS1_3repE0EEENS1_30default_config_static_selectorELNS0_4arch9wavefront6targetE0EEEvT1_.has_recursion, 0
	.set _ZN7rocprim17ROCPRIM_400000_NS6detail17trampoline_kernelINS0_14default_configENS1_27scan_by_key_config_selectorIsiEEZZNS1_16scan_by_key_implILNS1_25lookback_scan_determinismE0ELb1ES3_N6thrust23THRUST_200600_302600_NS6detail15normal_iteratorINS9_10device_ptrIsEEEESE_SE_iNS9_4plusIvEENS9_8equal_toIvEEiEE10hipError_tPvRmT2_T3_T4_T5_mT6_T7_P12ihipStream_tbENKUlT_T0_E_clISt17integral_constantIbLb0EESY_IbLb1EEEEDaSU_SV_EUlSU_E_NS1_11comp_targetILNS1_3genE8ELNS1_11target_archE1030ELNS1_3gpuE2ELNS1_3repE0EEENS1_30default_config_static_selectorELNS0_4arch9wavefront6targetE0EEEvT1_.has_indirect_call, 0
	.section	.AMDGPU.csdata,"",@progbits
; Kernel info:
; codeLenInByte = 7820
; TotalNumSgprs: 30
; NumVgprs: 46
; ScratchSize: 0
; MemoryBound: 0
; FloatMode: 240
; IeeeMode: 1
; LDSByteSize: 1536 bytes/workgroup (compile time only)
; SGPRBlocks: 0
; VGPRBlocks: 5
; NumSGPRsForWavesPerEU: 30
; NumVGPRsForWavesPerEU: 46
; Occupancy: 16
; WaveLimiterHint : 1
; COMPUTE_PGM_RSRC2:SCRATCH_EN: 0
; COMPUTE_PGM_RSRC2:USER_SGPR: 6
; COMPUTE_PGM_RSRC2:TRAP_HANDLER: 0
; COMPUTE_PGM_RSRC2:TGID_X_EN: 1
; COMPUTE_PGM_RSRC2:TGID_Y_EN: 0
; COMPUTE_PGM_RSRC2:TGID_Z_EN: 0
; COMPUTE_PGM_RSRC2:TIDIG_COMP_CNT: 0
	.section	.text._ZN6thrust23THRUST_200600_302600_NS11hip_rocprim14__parallel_for6kernelILj256ENS1_11__transform17unary_transform_fINS0_7pointerIiNS1_3tagENS0_11use_defaultES8_EENS0_10device_ptrIdEENS4_14no_stencil_tagENS0_8identityIiEENS4_21always_true_predicateEEElLj1EEEvT0_T1_SI_,"axG",@progbits,_ZN6thrust23THRUST_200600_302600_NS11hip_rocprim14__parallel_for6kernelILj256ENS1_11__transform17unary_transform_fINS0_7pointerIiNS1_3tagENS0_11use_defaultES8_EENS0_10device_ptrIdEENS4_14no_stencil_tagENS0_8identityIiEENS4_21always_true_predicateEEElLj1EEEvT0_T1_SI_,comdat
	.protected	_ZN6thrust23THRUST_200600_302600_NS11hip_rocprim14__parallel_for6kernelILj256ENS1_11__transform17unary_transform_fINS0_7pointerIiNS1_3tagENS0_11use_defaultES8_EENS0_10device_ptrIdEENS4_14no_stencil_tagENS0_8identityIiEENS4_21always_true_predicateEEElLj1EEEvT0_T1_SI_ ; -- Begin function _ZN6thrust23THRUST_200600_302600_NS11hip_rocprim14__parallel_for6kernelILj256ENS1_11__transform17unary_transform_fINS0_7pointerIiNS1_3tagENS0_11use_defaultES8_EENS0_10device_ptrIdEENS4_14no_stencil_tagENS0_8identityIiEENS4_21always_true_predicateEEElLj1EEEvT0_T1_SI_
	.globl	_ZN6thrust23THRUST_200600_302600_NS11hip_rocprim14__parallel_for6kernelILj256ENS1_11__transform17unary_transform_fINS0_7pointerIiNS1_3tagENS0_11use_defaultES8_EENS0_10device_ptrIdEENS4_14no_stencil_tagENS0_8identityIiEENS4_21always_true_predicateEEElLj1EEEvT0_T1_SI_
	.p2align	8
	.type	_ZN6thrust23THRUST_200600_302600_NS11hip_rocprim14__parallel_for6kernelILj256ENS1_11__transform17unary_transform_fINS0_7pointerIiNS1_3tagENS0_11use_defaultES8_EENS0_10device_ptrIdEENS4_14no_stencil_tagENS0_8identityIiEENS4_21always_true_predicateEEElLj1EEEvT0_T1_SI_,@function
_ZN6thrust23THRUST_200600_302600_NS11hip_rocprim14__parallel_for6kernelILj256ENS1_11__transform17unary_transform_fINS0_7pointerIiNS1_3tagENS0_11use_defaultES8_EENS0_10device_ptrIdEENS4_14no_stencil_tagENS0_8identityIiEENS4_21always_true_predicateEEElLj1EEEvT0_T1_SI_: ; @_ZN6thrust23THRUST_200600_302600_NS11hip_rocprim14__parallel_for6kernelILj256ENS1_11__transform17unary_transform_fINS0_7pointerIiNS1_3tagENS0_11use_defaultES8_EENS0_10device_ptrIdEENS4_14no_stencil_tagENS0_8identityIiEENS4_21always_true_predicateEEElLj1EEEvT0_T1_SI_
; %bb.0:
	s_clause 0x1
	s_load_dwordx4 s[8:11], s[4:5], 0x18
	s_load_dwordx4 s[0:3], s[4:5], 0x0
	s_lshl_b32 s4, s6, 8
	s_waitcnt lgkmcnt(0)
	s_add_u32 s4, s10, s4
	s_addc_u32 s5, s11, 0
	s_sub_u32 s6, s8, s4
	s_subb_u32 s7, s9, s5
	v_cmp_gt_i64_e64 s7, 0x100, s[6:7]
	s_and_b32 s7, s7, exec_lo
	s_cselect_b32 s7, s6, 0x100
	s_mov_b32 s6, -1
	s_cmpk_eq_i32 s7, 0x100
	s_cbranch_scc0 .LBB1081_3
; %bb.1:
	s_andn2_b32 vcc_lo, exec_lo, s6
	s_cbranch_vccz .LBB1081_6
.LBB1081_2:
	s_endpgm
.LBB1081_3:
	s_mov_b32 s6, exec_lo
	v_cmpx_gt_u32_e64 s7, v0
	s_cbranch_execz .LBB1081_5
; %bb.4:
	v_add_co_u32 v1, s7, s4, v0
	v_add_co_ci_u32_e64 v2, null, s5, 0, s7
	v_lshlrev_b64 v[3:4], 2, v[1:2]
	v_lshlrev_b64 v[1:2], 3, v[1:2]
	v_add_co_u32 v3, vcc_lo, s0, v3
	v_add_co_ci_u32_e64 v4, null, s1, v4, vcc_lo
	v_add_co_u32 v1, vcc_lo, s2, v1
	v_add_co_ci_u32_e64 v2, null, s3, v2, vcc_lo
	flat_load_dword v3, v[3:4]
	s_waitcnt vmcnt(0) lgkmcnt(0)
	v_cvt_f64_i32_e32 v[3:4], v3
	flat_store_dwordx2 v[1:2], v[3:4]
.LBB1081_5:
	s_or_b32 exec_lo, exec_lo, s6
	s_cbranch_execnz .LBB1081_2
.LBB1081_6:
	v_add_co_u32 v0, s4, s4, v0
	v_add_co_ci_u32_e64 v1, null, s5, 0, s4
	v_lshlrev_b64 v[2:3], 2, v[0:1]
	v_lshlrev_b64 v[0:1], 3, v[0:1]
	v_add_co_u32 v2, vcc_lo, s0, v2
	v_add_co_ci_u32_e64 v3, null, s1, v3, vcc_lo
	v_add_co_u32 v0, vcc_lo, s2, v0
	v_add_co_ci_u32_e64 v1, null, s3, v1, vcc_lo
	flat_load_dword v2, v[2:3]
	s_waitcnt vmcnt(0) lgkmcnt(0)
	v_cvt_f64_i32_e32 v[2:3], v2
	flat_store_dwordx2 v[0:1], v[2:3]
	s_endpgm
	.section	.rodata,"a",@progbits
	.p2align	6, 0x0
	.amdhsa_kernel _ZN6thrust23THRUST_200600_302600_NS11hip_rocprim14__parallel_for6kernelILj256ENS1_11__transform17unary_transform_fINS0_7pointerIiNS1_3tagENS0_11use_defaultES8_EENS0_10device_ptrIdEENS4_14no_stencil_tagENS0_8identityIiEENS4_21always_true_predicateEEElLj1EEEvT0_T1_SI_
		.amdhsa_group_segment_fixed_size 0
		.amdhsa_private_segment_fixed_size 0
		.amdhsa_kernarg_size 40
		.amdhsa_user_sgpr_count 6
		.amdhsa_user_sgpr_private_segment_buffer 1
		.amdhsa_user_sgpr_dispatch_ptr 0
		.amdhsa_user_sgpr_queue_ptr 0
		.amdhsa_user_sgpr_kernarg_segment_ptr 1
		.amdhsa_user_sgpr_dispatch_id 0
		.amdhsa_user_sgpr_flat_scratch_init 0
		.amdhsa_user_sgpr_private_segment_size 0
		.amdhsa_wavefront_size32 1
		.amdhsa_uses_dynamic_stack 0
		.amdhsa_system_sgpr_private_segment_wavefront_offset 0
		.amdhsa_system_sgpr_workgroup_id_x 1
		.amdhsa_system_sgpr_workgroup_id_y 0
		.amdhsa_system_sgpr_workgroup_id_z 0
		.amdhsa_system_sgpr_workgroup_info 0
		.amdhsa_system_vgpr_workitem_id 0
		.amdhsa_next_free_vgpr 5
		.amdhsa_next_free_sgpr 12
		.amdhsa_reserve_vcc 1
		.amdhsa_reserve_flat_scratch 0
		.amdhsa_float_round_mode_32 0
		.amdhsa_float_round_mode_16_64 0
		.amdhsa_float_denorm_mode_32 3
		.amdhsa_float_denorm_mode_16_64 3
		.amdhsa_dx10_clamp 1
		.amdhsa_ieee_mode 1
		.amdhsa_fp16_overflow 0
		.amdhsa_workgroup_processor_mode 1
		.amdhsa_memory_ordered 1
		.amdhsa_forward_progress 1
		.amdhsa_shared_vgpr_count 0
		.amdhsa_exception_fp_ieee_invalid_op 0
		.amdhsa_exception_fp_denorm_src 0
		.amdhsa_exception_fp_ieee_div_zero 0
		.amdhsa_exception_fp_ieee_overflow 0
		.amdhsa_exception_fp_ieee_underflow 0
		.amdhsa_exception_fp_ieee_inexact 0
		.amdhsa_exception_int_div_zero 0
	.end_amdhsa_kernel
	.section	.text._ZN6thrust23THRUST_200600_302600_NS11hip_rocprim14__parallel_for6kernelILj256ENS1_11__transform17unary_transform_fINS0_7pointerIiNS1_3tagENS0_11use_defaultES8_EENS0_10device_ptrIdEENS4_14no_stencil_tagENS0_8identityIiEENS4_21always_true_predicateEEElLj1EEEvT0_T1_SI_,"axG",@progbits,_ZN6thrust23THRUST_200600_302600_NS11hip_rocprim14__parallel_for6kernelILj256ENS1_11__transform17unary_transform_fINS0_7pointerIiNS1_3tagENS0_11use_defaultES8_EENS0_10device_ptrIdEENS4_14no_stencil_tagENS0_8identityIiEENS4_21always_true_predicateEEElLj1EEEvT0_T1_SI_,comdat
.Lfunc_end1081:
	.size	_ZN6thrust23THRUST_200600_302600_NS11hip_rocprim14__parallel_for6kernelILj256ENS1_11__transform17unary_transform_fINS0_7pointerIiNS1_3tagENS0_11use_defaultES8_EENS0_10device_ptrIdEENS4_14no_stencil_tagENS0_8identityIiEENS4_21always_true_predicateEEElLj1EEEvT0_T1_SI_, .Lfunc_end1081-_ZN6thrust23THRUST_200600_302600_NS11hip_rocprim14__parallel_for6kernelILj256ENS1_11__transform17unary_transform_fINS0_7pointerIiNS1_3tagENS0_11use_defaultES8_EENS0_10device_ptrIdEENS4_14no_stencil_tagENS0_8identityIiEENS4_21always_true_predicateEEElLj1EEEvT0_T1_SI_
                                        ; -- End function
	.set _ZN6thrust23THRUST_200600_302600_NS11hip_rocprim14__parallel_for6kernelILj256ENS1_11__transform17unary_transform_fINS0_7pointerIiNS1_3tagENS0_11use_defaultES8_EENS0_10device_ptrIdEENS4_14no_stencil_tagENS0_8identityIiEENS4_21always_true_predicateEEElLj1EEEvT0_T1_SI_.num_vgpr, 5
	.set _ZN6thrust23THRUST_200600_302600_NS11hip_rocprim14__parallel_for6kernelILj256ENS1_11__transform17unary_transform_fINS0_7pointerIiNS1_3tagENS0_11use_defaultES8_EENS0_10device_ptrIdEENS4_14no_stencil_tagENS0_8identityIiEENS4_21always_true_predicateEEElLj1EEEvT0_T1_SI_.num_agpr, 0
	.set _ZN6thrust23THRUST_200600_302600_NS11hip_rocprim14__parallel_for6kernelILj256ENS1_11__transform17unary_transform_fINS0_7pointerIiNS1_3tagENS0_11use_defaultES8_EENS0_10device_ptrIdEENS4_14no_stencil_tagENS0_8identityIiEENS4_21always_true_predicateEEElLj1EEEvT0_T1_SI_.numbered_sgpr, 12
	.set _ZN6thrust23THRUST_200600_302600_NS11hip_rocprim14__parallel_for6kernelILj256ENS1_11__transform17unary_transform_fINS0_7pointerIiNS1_3tagENS0_11use_defaultES8_EENS0_10device_ptrIdEENS4_14no_stencil_tagENS0_8identityIiEENS4_21always_true_predicateEEElLj1EEEvT0_T1_SI_.num_named_barrier, 0
	.set _ZN6thrust23THRUST_200600_302600_NS11hip_rocprim14__parallel_for6kernelILj256ENS1_11__transform17unary_transform_fINS0_7pointerIiNS1_3tagENS0_11use_defaultES8_EENS0_10device_ptrIdEENS4_14no_stencil_tagENS0_8identityIiEENS4_21always_true_predicateEEElLj1EEEvT0_T1_SI_.private_seg_size, 0
	.set _ZN6thrust23THRUST_200600_302600_NS11hip_rocprim14__parallel_for6kernelILj256ENS1_11__transform17unary_transform_fINS0_7pointerIiNS1_3tagENS0_11use_defaultES8_EENS0_10device_ptrIdEENS4_14no_stencil_tagENS0_8identityIiEENS4_21always_true_predicateEEElLj1EEEvT0_T1_SI_.uses_vcc, 1
	.set _ZN6thrust23THRUST_200600_302600_NS11hip_rocprim14__parallel_for6kernelILj256ENS1_11__transform17unary_transform_fINS0_7pointerIiNS1_3tagENS0_11use_defaultES8_EENS0_10device_ptrIdEENS4_14no_stencil_tagENS0_8identityIiEENS4_21always_true_predicateEEElLj1EEEvT0_T1_SI_.uses_flat_scratch, 0
	.set _ZN6thrust23THRUST_200600_302600_NS11hip_rocprim14__parallel_for6kernelILj256ENS1_11__transform17unary_transform_fINS0_7pointerIiNS1_3tagENS0_11use_defaultES8_EENS0_10device_ptrIdEENS4_14no_stencil_tagENS0_8identityIiEENS4_21always_true_predicateEEElLj1EEEvT0_T1_SI_.has_dyn_sized_stack, 0
	.set _ZN6thrust23THRUST_200600_302600_NS11hip_rocprim14__parallel_for6kernelILj256ENS1_11__transform17unary_transform_fINS0_7pointerIiNS1_3tagENS0_11use_defaultES8_EENS0_10device_ptrIdEENS4_14no_stencil_tagENS0_8identityIiEENS4_21always_true_predicateEEElLj1EEEvT0_T1_SI_.has_recursion, 0
	.set _ZN6thrust23THRUST_200600_302600_NS11hip_rocprim14__parallel_for6kernelILj256ENS1_11__transform17unary_transform_fINS0_7pointerIiNS1_3tagENS0_11use_defaultES8_EENS0_10device_ptrIdEENS4_14no_stencil_tagENS0_8identityIiEENS4_21always_true_predicateEEElLj1EEEvT0_T1_SI_.has_indirect_call, 0
	.section	.AMDGPU.csdata,"",@progbits
; Kernel info:
; codeLenInByte = 296
; TotalNumSgprs: 14
; NumVgprs: 5
; ScratchSize: 0
; MemoryBound: 0
; FloatMode: 240
; IeeeMode: 1
; LDSByteSize: 0 bytes/workgroup (compile time only)
; SGPRBlocks: 0
; VGPRBlocks: 0
; NumSGPRsForWavesPerEU: 14
; NumVGPRsForWavesPerEU: 5
; Occupancy: 16
; WaveLimiterHint : 0
; COMPUTE_PGM_RSRC2:SCRATCH_EN: 0
; COMPUTE_PGM_RSRC2:USER_SGPR: 6
; COMPUTE_PGM_RSRC2:TRAP_HANDLER: 0
; COMPUTE_PGM_RSRC2:TGID_X_EN: 1
; COMPUTE_PGM_RSRC2:TGID_Y_EN: 0
; COMPUTE_PGM_RSRC2:TGID_Z_EN: 0
; COMPUTE_PGM_RSRC2:TIDIG_COMP_CNT: 0
	.section	.text._ZN6thrust23THRUST_200600_302600_NS11hip_rocprim14__parallel_for6kernelILj256ENS1_20__uninitialized_fill7functorINS0_10device_ptrIdEEdEEmLj1EEEvT0_T1_SA_,"axG",@progbits,_ZN6thrust23THRUST_200600_302600_NS11hip_rocprim14__parallel_for6kernelILj256ENS1_20__uninitialized_fill7functorINS0_10device_ptrIdEEdEEmLj1EEEvT0_T1_SA_,comdat
	.protected	_ZN6thrust23THRUST_200600_302600_NS11hip_rocprim14__parallel_for6kernelILj256ENS1_20__uninitialized_fill7functorINS0_10device_ptrIdEEdEEmLj1EEEvT0_T1_SA_ ; -- Begin function _ZN6thrust23THRUST_200600_302600_NS11hip_rocprim14__parallel_for6kernelILj256ENS1_20__uninitialized_fill7functorINS0_10device_ptrIdEEdEEmLj1EEEvT0_T1_SA_
	.globl	_ZN6thrust23THRUST_200600_302600_NS11hip_rocprim14__parallel_for6kernelILj256ENS1_20__uninitialized_fill7functorINS0_10device_ptrIdEEdEEmLj1EEEvT0_T1_SA_
	.p2align	8
	.type	_ZN6thrust23THRUST_200600_302600_NS11hip_rocprim14__parallel_for6kernelILj256ENS1_20__uninitialized_fill7functorINS0_10device_ptrIdEEdEEmLj1EEEvT0_T1_SA_,@function
_ZN6thrust23THRUST_200600_302600_NS11hip_rocprim14__parallel_for6kernelILj256ENS1_20__uninitialized_fill7functorINS0_10device_ptrIdEEdEEmLj1EEEvT0_T1_SA_: ; @_ZN6thrust23THRUST_200600_302600_NS11hip_rocprim14__parallel_for6kernelILj256ENS1_20__uninitialized_fill7functorINS0_10device_ptrIdEEdEEmLj1EEEvT0_T1_SA_
; %bb.0:
	s_load_dwordx8 s[8:15], s[4:5], 0x0
	s_lshl_b32 s0, s6, 8
	s_waitcnt lgkmcnt(0)
	s_add_u32 s0, s14, s0
	s_addc_u32 s1, s15, 0
	s_sub_u32 s2, s12, s0
	s_subb_u32 s3, s13, s1
	v_cmp_lt_u64_e64 s3, 0xff, s[2:3]
	s_and_b32 vcc_lo, exec_lo, s3
	s_mov_b32 s3, -1
	s_cbranch_vccz .LBB1082_3
; %bb.1:
	s_andn2_b32 vcc_lo, exec_lo, s3
	s_cbranch_vccz .LBB1082_6
.LBB1082_2:
	s_endpgm
.LBB1082_3:
	v_cmp_gt_u32_e32 vcc_lo, s2, v0
	s_and_saveexec_b32 s2, vcc_lo
	s_cbranch_execz .LBB1082_5
; %bb.4:
	v_lshlrev_b32_e32 v1, 3, v0
	s_lshl_b64 s[4:5], s[0:1], 3
	v_mov_b32_e32 v3, s10
	s_add_u32 s3, s8, s4
	s_addc_u32 s4, s9, s5
	v_add_co_u32 v1, s3, s3, v1
	v_add_co_ci_u32_e64 v2, null, s4, 0, s3
	v_mov_b32_e32 v4, s11
	flat_store_dwordx2 v[1:2], v[3:4]
.LBB1082_5:
	s_or_b32 exec_lo, exec_lo, s2
	s_cbranch_execnz .LBB1082_2
.LBB1082_6:
	v_lshlrev_b32_e32 v0, 3, v0
	s_lshl_b64 s[0:1], s[0:1], 3
	v_mov_b32_e32 v2, s10
	s_add_u32 s0, s8, s0
	s_addc_u32 s1, s9, s1
	v_add_co_u32 v0, s0, s0, v0
	v_add_co_ci_u32_e64 v1, null, s1, 0, s0
	v_mov_b32_e32 v3, s11
	flat_store_dwordx2 v[0:1], v[2:3]
	s_endpgm
	.section	.rodata,"a",@progbits
	.p2align	6, 0x0
	.amdhsa_kernel _ZN6thrust23THRUST_200600_302600_NS11hip_rocprim14__parallel_for6kernelILj256ENS1_20__uninitialized_fill7functorINS0_10device_ptrIdEEdEEmLj1EEEvT0_T1_SA_
		.amdhsa_group_segment_fixed_size 0
		.amdhsa_private_segment_fixed_size 0
		.amdhsa_kernarg_size 32
		.amdhsa_user_sgpr_count 6
		.amdhsa_user_sgpr_private_segment_buffer 1
		.amdhsa_user_sgpr_dispatch_ptr 0
		.amdhsa_user_sgpr_queue_ptr 0
		.amdhsa_user_sgpr_kernarg_segment_ptr 1
		.amdhsa_user_sgpr_dispatch_id 0
		.amdhsa_user_sgpr_flat_scratch_init 0
		.amdhsa_user_sgpr_private_segment_size 0
		.amdhsa_wavefront_size32 1
		.amdhsa_uses_dynamic_stack 0
		.amdhsa_system_sgpr_private_segment_wavefront_offset 0
		.amdhsa_system_sgpr_workgroup_id_x 1
		.amdhsa_system_sgpr_workgroup_id_y 0
		.amdhsa_system_sgpr_workgroup_id_z 0
		.amdhsa_system_sgpr_workgroup_info 0
		.amdhsa_system_vgpr_workitem_id 0
		.amdhsa_next_free_vgpr 5
		.amdhsa_next_free_sgpr 16
		.amdhsa_reserve_vcc 1
		.amdhsa_reserve_flat_scratch 0
		.amdhsa_float_round_mode_32 0
		.amdhsa_float_round_mode_16_64 0
		.amdhsa_float_denorm_mode_32 3
		.amdhsa_float_denorm_mode_16_64 3
		.amdhsa_dx10_clamp 1
		.amdhsa_ieee_mode 1
		.amdhsa_fp16_overflow 0
		.amdhsa_workgroup_processor_mode 1
		.amdhsa_memory_ordered 1
		.amdhsa_forward_progress 1
		.amdhsa_shared_vgpr_count 0
		.amdhsa_exception_fp_ieee_invalid_op 0
		.amdhsa_exception_fp_denorm_src 0
		.amdhsa_exception_fp_ieee_div_zero 0
		.amdhsa_exception_fp_ieee_overflow 0
		.amdhsa_exception_fp_ieee_underflow 0
		.amdhsa_exception_fp_ieee_inexact 0
		.amdhsa_exception_int_div_zero 0
	.end_amdhsa_kernel
	.section	.text._ZN6thrust23THRUST_200600_302600_NS11hip_rocprim14__parallel_for6kernelILj256ENS1_20__uninitialized_fill7functorINS0_10device_ptrIdEEdEEmLj1EEEvT0_T1_SA_,"axG",@progbits,_ZN6thrust23THRUST_200600_302600_NS11hip_rocprim14__parallel_for6kernelILj256ENS1_20__uninitialized_fill7functorINS0_10device_ptrIdEEdEEmLj1EEEvT0_T1_SA_,comdat
.Lfunc_end1082:
	.size	_ZN6thrust23THRUST_200600_302600_NS11hip_rocprim14__parallel_for6kernelILj256ENS1_20__uninitialized_fill7functorINS0_10device_ptrIdEEdEEmLj1EEEvT0_T1_SA_, .Lfunc_end1082-_ZN6thrust23THRUST_200600_302600_NS11hip_rocprim14__parallel_for6kernelILj256ENS1_20__uninitialized_fill7functorINS0_10device_ptrIdEEdEEmLj1EEEvT0_T1_SA_
                                        ; -- End function
	.set _ZN6thrust23THRUST_200600_302600_NS11hip_rocprim14__parallel_for6kernelILj256ENS1_20__uninitialized_fill7functorINS0_10device_ptrIdEEdEEmLj1EEEvT0_T1_SA_.num_vgpr, 5
	.set _ZN6thrust23THRUST_200600_302600_NS11hip_rocprim14__parallel_for6kernelILj256ENS1_20__uninitialized_fill7functorINS0_10device_ptrIdEEdEEmLj1EEEvT0_T1_SA_.num_agpr, 0
	.set _ZN6thrust23THRUST_200600_302600_NS11hip_rocprim14__parallel_for6kernelILj256ENS1_20__uninitialized_fill7functorINS0_10device_ptrIdEEdEEmLj1EEEvT0_T1_SA_.numbered_sgpr, 16
	.set _ZN6thrust23THRUST_200600_302600_NS11hip_rocprim14__parallel_for6kernelILj256ENS1_20__uninitialized_fill7functorINS0_10device_ptrIdEEdEEmLj1EEEvT0_T1_SA_.num_named_barrier, 0
	.set _ZN6thrust23THRUST_200600_302600_NS11hip_rocprim14__parallel_for6kernelILj256ENS1_20__uninitialized_fill7functorINS0_10device_ptrIdEEdEEmLj1EEEvT0_T1_SA_.private_seg_size, 0
	.set _ZN6thrust23THRUST_200600_302600_NS11hip_rocprim14__parallel_for6kernelILj256ENS1_20__uninitialized_fill7functorINS0_10device_ptrIdEEdEEmLj1EEEvT0_T1_SA_.uses_vcc, 1
	.set _ZN6thrust23THRUST_200600_302600_NS11hip_rocprim14__parallel_for6kernelILj256ENS1_20__uninitialized_fill7functorINS0_10device_ptrIdEEdEEmLj1EEEvT0_T1_SA_.uses_flat_scratch, 0
	.set _ZN6thrust23THRUST_200600_302600_NS11hip_rocprim14__parallel_for6kernelILj256ENS1_20__uninitialized_fill7functorINS0_10device_ptrIdEEdEEmLj1EEEvT0_T1_SA_.has_dyn_sized_stack, 0
	.set _ZN6thrust23THRUST_200600_302600_NS11hip_rocprim14__parallel_for6kernelILj256ENS1_20__uninitialized_fill7functorINS0_10device_ptrIdEEdEEmLj1EEEvT0_T1_SA_.has_recursion, 0
	.set _ZN6thrust23THRUST_200600_302600_NS11hip_rocprim14__parallel_for6kernelILj256ENS1_20__uninitialized_fill7functorINS0_10device_ptrIdEEdEEmLj1EEEvT0_T1_SA_.has_indirect_call, 0
	.section	.AMDGPU.csdata,"",@progbits
; Kernel info:
; codeLenInByte = 188
; TotalNumSgprs: 18
; NumVgprs: 5
; ScratchSize: 0
; MemoryBound: 0
; FloatMode: 240
; IeeeMode: 1
; LDSByteSize: 0 bytes/workgroup (compile time only)
; SGPRBlocks: 0
; VGPRBlocks: 0
; NumSGPRsForWavesPerEU: 18
; NumVGPRsForWavesPerEU: 5
; Occupancy: 16
; WaveLimiterHint : 0
; COMPUTE_PGM_RSRC2:SCRATCH_EN: 0
; COMPUTE_PGM_RSRC2:USER_SGPR: 6
; COMPUTE_PGM_RSRC2:TRAP_HANDLER: 0
; COMPUTE_PGM_RSRC2:TGID_X_EN: 1
; COMPUTE_PGM_RSRC2:TGID_Y_EN: 0
; COMPUTE_PGM_RSRC2:TGID_Z_EN: 0
; COMPUTE_PGM_RSRC2:TIDIG_COMP_CNT: 0
	.section	.text._ZN7rocprim17ROCPRIM_400000_NS6detail30init_device_scan_by_key_kernelINS1_19lookback_scan_stateINS0_5tupleIJdbEEELb0ELb0EEEN6thrust23THRUST_200600_302600_NS6detail15normal_iteratorINS8_10device_ptrIiEEEEjNS1_16block_id_wrapperIjLb0EEEEEvT_jjPNSG_10value_typeET0_PNSt15iterator_traitsISJ_E10value_typeEmT1_T2_,"axG",@progbits,_ZN7rocprim17ROCPRIM_400000_NS6detail30init_device_scan_by_key_kernelINS1_19lookback_scan_stateINS0_5tupleIJdbEEELb0ELb0EEEN6thrust23THRUST_200600_302600_NS6detail15normal_iteratorINS8_10device_ptrIiEEEEjNS1_16block_id_wrapperIjLb0EEEEEvT_jjPNSG_10value_typeET0_PNSt15iterator_traitsISJ_E10value_typeEmT1_T2_,comdat
	.protected	_ZN7rocprim17ROCPRIM_400000_NS6detail30init_device_scan_by_key_kernelINS1_19lookback_scan_stateINS0_5tupleIJdbEEELb0ELb0EEEN6thrust23THRUST_200600_302600_NS6detail15normal_iteratorINS8_10device_ptrIiEEEEjNS1_16block_id_wrapperIjLb0EEEEEvT_jjPNSG_10value_typeET0_PNSt15iterator_traitsISJ_E10value_typeEmT1_T2_ ; -- Begin function _ZN7rocprim17ROCPRIM_400000_NS6detail30init_device_scan_by_key_kernelINS1_19lookback_scan_stateINS0_5tupleIJdbEEELb0ELb0EEEN6thrust23THRUST_200600_302600_NS6detail15normal_iteratorINS8_10device_ptrIiEEEEjNS1_16block_id_wrapperIjLb0EEEEEvT_jjPNSG_10value_typeET0_PNSt15iterator_traitsISJ_E10value_typeEmT1_T2_
	.globl	_ZN7rocprim17ROCPRIM_400000_NS6detail30init_device_scan_by_key_kernelINS1_19lookback_scan_stateINS0_5tupleIJdbEEELb0ELb0EEEN6thrust23THRUST_200600_302600_NS6detail15normal_iteratorINS8_10device_ptrIiEEEEjNS1_16block_id_wrapperIjLb0EEEEEvT_jjPNSG_10value_typeET0_PNSt15iterator_traitsISJ_E10value_typeEmT1_T2_
	.p2align	8
	.type	_ZN7rocprim17ROCPRIM_400000_NS6detail30init_device_scan_by_key_kernelINS1_19lookback_scan_stateINS0_5tupleIJdbEEELb0ELb0EEEN6thrust23THRUST_200600_302600_NS6detail15normal_iteratorINS8_10device_ptrIiEEEEjNS1_16block_id_wrapperIjLb0EEEEEvT_jjPNSG_10value_typeET0_PNSt15iterator_traitsISJ_E10value_typeEmT1_T2_,@function
_ZN7rocprim17ROCPRIM_400000_NS6detail30init_device_scan_by_key_kernelINS1_19lookback_scan_stateINS0_5tupleIJdbEEELb0ELb0EEEN6thrust23THRUST_200600_302600_NS6detail15normal_iteratorINS8_10device_ptrIiEEEEjNS1_16block_id_wrapperIjLb0EEEEEvT_jjPNSG_10value_typeET0_PNSt15iterator_traitsISJ_E10value_typeEmT1_T2_: ; @_ZN7rocprim17ROCPRIM_400000_NS6detail30init_device_scan_by_key_kernelINS1_19lookback_scan_stateINS0_5tupleIJdbEEELb0ELb0EEEN6thrust23THRUST_200600_302600_NS6detail15normal_iteratorINS8_10device_ptrIiEEEEjNS1_16block_id_wrapperIjLb0EEEEEvT_jjPNSG_10value_typeET0_PNSt15iterator_traitsISJ_E10value_typeEmT1_T2_
; %bb.0:
	s_clause 0x2
	s_load_dword s0, s[4:5], 0x54
	s_load_dwordx8 s[8:15], s[4:5], 0x10
	s_load_dword s18, s[4:5], 0x48
	s_waitcnt lgkmcnt(0)
	s_and_b32 s19, s0, 0xffff
	s_cmp_eq_u64 s[12:13], 0
	v_mad_u64_u32 v[0:1], null, s6, s19, v[0:1]
	s_cbranch_scc1 .LBB1083_6
; %bb.1:
	s_cmp_lt_u32 s11, s10
	s_mov_b32 s7, 0
	s_cselect_b32 s0, s11, 0
	s_mov_b32 s20, exec_lo
	v_cmpx_eq_u32_e64 s0, v0
	s_cbranch_execz .LBB1083_5
; %bb.2:
	s_add_i32 s6, s11, 32
	s_load_dwordx4 s[0:3], s[4:5], 0x0
	v_mov_b32_e32 v1, s6
	s_add_u32 s16, s8, s6
	s_addc_u32 s17, s9, 0
	global_load_ubyte v2, v1, s[8:9] glc dlc
	v_mov_b32_e32 v1, 0
	s_waitcnt vmcnt(0)
	v_cmp_ne_u32_sdwa s21, v2, v1 src0_sel:WORD_0 src1_sel:DWORD
	v_readfirstlane_b32 s11, v2
	s_and_b32 vcc_lo, exec_lo, s21
	s_cbranch_vccnz .LBB1083_4
.LBB1083_3:                             ; =>This Inner Loop Header: Depth=1
	global_load_ubyte v2, v1, s[16:17] glc dlc
	s_waitcnt vmcnt(0)
	v_cmp_eq_u32_sdwa s21, v2, v1 src0_sel:WORD_0 src1_sel:DWORD
	v_readfirstlane_b32 s11, v2
	s_and_b32 vcc_lo, exec_lo, s21
	s_cbranch_vccnz .LBB1083_3
.LBB1083_4:
	s_and_b32 s11, 0xffff, s11
	v_mov_b32_e32 v3, 0
	s_cmp_eq_u32 s11, 1
	s_waitcnt lgkmcnt(0)
	buffer_gl1_inv
	buffer_gl0_inv
	s_cselect_b32 s3, s1, s3
	s_cselect_b32 s2, s0, s2
	s_lshl_b64 s[0:1], s[6:7], 4
	s_add_u32 s0, s2, s0
	s_addc_u32 s1, s3, s1
	s_clause 0x1
	global_load_dwordx2 v[1:2], v3, s[0:1]
	global_load_ubyte v4, v3, s[0:1] offset:8
	s_waitcnt vmcnt(1)
	global_store_dwordx2 v3, v[1:2], s[12:13]
	s_waitcnt vmcnt(0)
	global_store_byte v3, v4, s[12:13] offset:8
.LBB1083_5:
	s_or_b32 exec_lo, exec_lo, s20
.LBB1083_6:
	s_mov_b32 s0, exec_lo
	v_cmpx_gt_u32_e64 s10, v0
	s_cbranch_execz .LBB1083_8
; %bb.7:
	v_add_nc_u32_e32 v1, 32, v0
	v_mov_b32_e32 v2, 0
	global_store_byte v1, v2, s[8:9]
.LBB1083_8:
	s_or_b32 exec_lo, exec_lo, s0
	v_mov_b32_e32 v1, 0
	s_mov_b32 s0, exec_lo
	v_cmpx_gt_u32_e32 32, v0
	s_cbranch_execz .LBB1083_10
; %bb.9:
	v_add_co_u32 v2, s1, s8, v0
	v_add_co_ci_u32_e64 v3, null, s9, 0, s1
	v_mov_b32_e32 v4, 0xff
	global_store_byte v[2:3], v4, off
.LBB1083_10:
	s_or_b32 exec_lo, exec_lo, s0
	s_load_dwordx2 s[2:3], s[4:5], 0x38
	s_mov_b32 s0, exec_lo
	s_waitcnt lgkmcnt(0)
	v_cmpx_gt_u64_e64 s[2:3], v[0:1]
	s_cbranch_execz .LBB1083_13
; %bb.11:
	s_clause 0x1
	s_load_dword s8, s[4:5], 0x40
	s_load_dwordx2 s[6:7], s[4:5], 0x30
	s_mov_b32 s1, 0
	v_lshlrev_b64 v[4:5], 2, v[0:1]
	s_mul_i32 s4, s18, s19
	s_waitcnt lgkmcnt(0)
	v_mad_u64_u32 v[2:3], null, s8, v0, 0
	s_add_i32 s0, s8, -1
	s_mul_hi_u32 s9, s8, s4
	s_lshl_b64 s[10:11], s[0:1], 2
	s_mul_i32 s8, s8, s4
	s_add_u32 s0, s14, s10
	s_addc_u32 s5, s15, s11
	v_lshlrev_b64 v[2:3], 2, v[2:3]
	v_add_co_u32 v2, vcc_lo, s0, v2
	v_add_co_ci_u32_e64 v3, null, s5, v3, vcc_lo
	v_add_co_u32 v4, vcc_lo, s6, v4
	v_add_co_ci_u32_e64 v5, null, s7, v5, vcc_lo
	s_mov_b32 s5, s1
	s_lshl_b64 s[6:7], s[8:9], 2
	s_lshl_b64 s[8:9], s[4:5], 2
	.p2align	6
.LBB1083_12:                            ; =>This Inner Loop Header: Depth=1
	global_load_dword v6, v[2:3], off
	v_add_co_u32 v0, vcc_lo, v0, s4
	v_add_co_ci_u32_e64 v1, null, 0, v1, vcc_lo
	v_add_co_u32 v2, vcc_lo, v2, s6
	v_add_co_ci_u32_e64 v3, null, s7, v3, vcc_lo
	v_cmp_le_u64_e32 vcc_lo, s[2:3], v[0:1]
	s_or_b32 s1, vcc_lo, s1
	s_waitcnt vmcnt(0)
	global_store_dword v[4:5], v6, off
	v_add_co_u32 v4, s0, v4, s8
	v_add_co_ci_u32_e64 v5, null, s9, v5, s0
	s_andn2_b32 exec_lo, exec_lo, s1
	s_cbranch_execnz .LBB1083_12
.LBB1083_13:
	s_endpgm
	.section	.rodata,"a",@progbits
	.p2align	6, 0x0
	.amdhsa_kernel _ZN7rocprim17ROCPRIM_400000_NS6detail30init_device_scan_by_key_kernelINS1_19lookback_scan_stateINS0_5tupleIJdbEEELb0ELb0EEEN6thrust23THRUST_200600_302600_NS6detail15normal_iteratorINS8_10device_ptrIiEEEEjNS1_16block_id_wrapperIjLb0EEEEEvT_jjPNSG_10value_typeET0_PNSt15iterator_traitsISJ_E10value_typeEmT1_T2_
		.amdhsa_group_segment_fixed_size 0
		.amdhsa_private_segment_fixed_size 0
		.amdhsa_kernarg_size 328
		.amdhsa_user_sgpr_count 6
		.amdhsa_user_sgpr_private_segment_buffer 1
		.amdhsa_user_sgpr_dispatch_ptr 0
		.amdhsa_user_sgpr_queue_ptr 0
		.amdhsa_user_sgpr_kernarg_segment_ptr 1
		.amdhsa_user_sgpr_dispatch_id 0
		.amdhsa_user_sgpr_flat_scratch_init 0
		.amdhsa_user_sgpr_private_segment_size 0
		.amdhsa_wavefront_size32 1
		.amdhsa_uses_dynamic_stack 0
		.amdhsa_system_sgpr_private_segment_wavefront_offset 0
		.amdhsa_system_sgpr_workgroup_id_x 1
		.amdhsa_system_sgpr_workgroup_id_y 0
		.amdhsa_system_sgpr_workgroup_id_z 0
		.amdhsa_system_sgpr_workgroup_info 0
		.amdhsa_system_vgpr_workitem_id 0
		.amdhsa_next_free_vgpr 7
		.amdhsa_next_free_sgpr 22
		.amdhsa_reserve_vcc 1
		.amdhsa_reserve_flat_scratch 0
		.amdhsa_float_round_mode_32 0
		.amdhsa_float_round_mode_16_64 0
		.amdhsa_float_denorm_mode_32 3
		.amdhsa_float_denorm_mode_16_64 3
		.amdhsa_dx10_clamp 1
		.amdhsa_ieee_mode 1
		.amdhsa_fp16_overflow 0
		.amdhsa_workgroup_processor_mode 1
		.amdhsa_memory_ordered 1
		.amdhsa_forward_progress 1
		.amdhsa_shared_vgpr_count 0
		.amdhsa_exception_fp_ieee_invalid_op 0
		.amdhsa_exception_fp_denorm_src 0
		.amdhsa_exception_fp_ieee_div_zero 0
		.amdhsa_exception_fp_ieee_overflow 0
		.amdhsa_exception_fp_ieee_underflow 0
		.amdhsa_exception_fp_ieee_inexact 0
		.amdhsa_exception_int_div_zero 0
	.end_amdhsa_kernel
	.section	.text._ZN7rocprim17ROCPRIM_400000_NS6detail30init_device_scan_by_key_kernelINS1_19lookback_scan_stateINS0_5tupleIJdbEEELb0ELb0EEEN6thrust23THRUST_200600_302600_NS6detail15normal_iteratorINS8_10device_ptrIiEEEEjNS1_16block_id_wrapperIjLb0EEEEEvT_jjPNSG_10value_typeET0_PNSt15iterator_traitsISJ_E10value_typeEmT1_T2_,"axG",@progbits,_ZN7rocprim17ROCPRIM_400000_NS6detail30init_device_scan_by_key_kernelINS1_19lookback_scan_stateINS0_5tupleIJdbEEELb0ELb0EEEN6thrust23THRUST_200600_302600_NS6detail15normal_iteratorINS8_10device_ptrIiEEEEjNS1_16block_id_wrapperIjLb0EEEEEvT_jjPNSG_10value_typeET0_PNSt15iterator_traitsISJ_E10value_typeEmT1_T2_,comdat
.Lfunc_end1083:
	.size	_ZN7rocprim17ROCPRIM_400000_NS6detail30init_device_scan_by_key_kernelINS1_19lookback_scan_stateINS0_5tupleIJdbEEELb0ELb0EEEN6thrust23THRUST_200600_302600_NS6detail15normal_iteratorINS8_10device_ptrIiEEEEjNS1_16block_id_wrapperIjLb0EEEEEvT_jjPNSG_10value_typeET0_PNSt15iterator_traitsISJ_E10value_typeEmT1_T2_, .Lfunc_end1083-_ZN7rocprim17ROCPRIM_400000_NS6detail30init_device_scan_by_key_kernelINS1_19lookback_scan_stateINS0_5tupleIJdbEEELb0ELb0EEEN6thrust23THRUST_200600_302600_NS6detail15normal_iteratorINS8_10device_ptrIiEEEEjNS1_16block_id_wrapperIjLb0EEEEEvT_jjPNSG_10value_typeET0_PNSt15iterator_traitsISJ_E10value_typeEmT1_T2_
                                        ; -- End function
	.set _ZN7rocprim17ROCPRIM_400000_NS6detail30init_device_scan_by_key_kernelINS1_19lookback_scan_stateINS0_5tupleIJdbEEELb0ELb0EEEN6thrust23THRUST_200600_302600_NS6detail15normal_iteratorINS8_10device_ptrIiEEEEjNS1_16block_id_wrapperIjLb0EEEEEvT_jjPNSG_10value_typeET0_PNSt15iterator_traitsISJ_E10value_typeEmT1_T2_.num_vgpr, 7
	.set _ZN7rocprim17ROCPRIM_400000_NS6detail30init_device_scan_by_key_kernelINS1_19lookback_scan_stateINS0_5tupleIJdbEEELb0ELb0EEEN6thrust23THRUST_200600_302600_NS6detail15normal_iteratorINS8_10device_ptrIiEEEEjNS1_16block_id_wrapperIjLb0EEEEEvT_jjPNSG_10value_typeET0_PNSt15iterator_traitsISJ_E10value_typeEmT1_T2_.num_agpr, 0
	.set _ZN7rocprim17ROCPRIM_400000_NS6detail30init_device_scan_by_key_kernelINS1_19lookback_scan_stateINS0_5tupleIJdbEEELb0ELb0EEEN6thrust23THRUST_200600_302600_NS6detail15normal_iteratorINS8_10device_ptrIiEEEEjNS1_16block_id_wrapperIjLb0EEEEEvT_jjPNSG_10value_typeET0_PNSt15iterator_traitsISJ_E10value_typeEmT1_T2_.numbered_sgpr, 22
	.set _ZN7rocprim17ROCPRIM_400000_NS6detail30init_device_scan_by_key_kernelINS1_19lookback_scan_stateINS0_5tupleIJdbEEELb0ELb0EEEN6thrust23THRUST_200600_302600_NS6detail15normal_iteratorINS8_10device_ptrIiEEEEjNS1_16block_id_wrapperIjLb0EEEEEvT_jjPNSG_10value_typeET0_PNSt15iterator_traitsISJ_E10value_typeEmT1_T2_.num_named_barrier, 0
	.set _ZN7rocprim17ROCPRIM_400000_NS6detail30init_device_scan_by_key_kernelINS1_19lookback_scan_stateINS0_5tupleIJdbEEELb0ELb0EEEN6thrust23THRUST_200600_302600_NS6detail15normal_iteratorINS8_10device_ptrIiEEEEjNS1_16block_id_wrapperIjLb0EEEEEvT_jjPNSG_10value_typeET0_PNSt15iterator_traitsISJ_E10value_typeEmT1_T2_.private_seg_size, 0
	.set _ZN7rocprim17ROCPRIM_400000_NS6detail30init_device_scan_by_key_kernelINS1_19lookback_scan_stateINS0_5tupleIJdbEEELb0ELb0EEEN6thrust23THRUST_200600_302600_NS6detail15normal_iteratorINS8_10device_ptrIiEEEEjNS1_16block_id_wrapperIjLb0EEEEEvT_jjPNSG_10value_typeET0_PNSt15iterator_traitsISJ_E10value_typeEmT1_T2_.uses_vcc, 1
	.set _ZN7rocprim17ROCPRIM_400000_NS6detail30init_device_scan_by_key_kernelINS1_19lookback_scan_stateINS0_5tupleIJdbEEELb0ELb0EEEN6thrust23THRUST_200600_302600_NS6detail15normal_iteratorINS8_10device_ptrIiEEEEjNS1_16block_id_wrapperIjLb0EEEEEvT_jjPNSG_10value_typeET0_PNSt15iterator_traitsISJ_E10value_typeEmT1_T2_.uses_flat_scratch, 0
	.set _ZN7rocprim17ROCPRIM_400000_NS6detail30init_device_scan_by_key_kernelINS1_19lookback_scan_stateINS0_5tupleIJdbEEELb0ELb0EEEN6thrust23THRUST_200600_302600_NS6detail15normal_iteratorINS8_10device_ptrIiEEEEjNS1_16block_id_wrapperIjLb0EEEEEvT_jjPNSG_10value_typeET0_PNSt15iterator_traitsISJ_E10value_typeEmT1_T2_.has_dyn_sized_stack, 0
	.set _ZN7rocprim17ROCPRIM_400000_NS6detail30init_device_scan_by_key_kernelINS1_19lookback_scan_stateINS0_5tupleIJdbEEELb0ELb0EEEN6thrust23THRUST_200600_302600_NS6detail15normal_iteratorINS8_10device_ptrIiEEEEjNS1_16block_id_wrapperIjLb0EEEEEvT_jjPNSG_10value_typeET0_PNSt15iterator_traitsISJ_E10value_typeEmT1_T2_.has_recursion, 0
	.set _ZN7rocprim17ROCPRIM_400000_NS6detail30init_device_scan_by_key_kernelINS1_19lookback_scan_stateINS0_5tupleIJdbEEELb0ELb0EEEN6thrust23THRUST_200600_302600_NS6detail15normal_iteratorINS8_10device_ptrIiEEEEjNS1_16block_id_wrapperIjLb0EEEEEvT_jjPNSG_10value_typeET0_PNSt15iterator_traitsISJ_E10value_typeEmT1_T2_.has_indirect_call, 0
	.section	.AMDGPU.csdata,"",@progbits
; Kernel info:
; codeLenInByte = 664
; TotalNumSgprs: 24
; NumVgprs: 7
; ScratchSize: 0
; MemoryBound: 0
; FloatMode: 240
; IeeeMode: 1
; LDSByteSize: 0 bytes/workgroup (compile time only)
; SGPRBlocks: 0
; VGPRBlocks: 0
; NumSGPRsForWavesPerEU: 24
; NumVGPRsForWavesPerEU: 7
; Occupancy: 16
; WaveLimiterHint : 0
; COMPUTE_PGM_RSRC2:SCRATCH_EN: 0
; COMPUTE_PGM_RSRC2:USER_SGPR: 6
; COMPUTE_PGM_RSRC2:TRAP_HANDLER: 0
; COMPUTE_PGM_RSRC2:TGID_X_EN: 1
; COMPUTE_PGM_RSRC2:TGID_Y_EN: 0
; COMPUTE_PGM_RSRC2:TGID_Z_EN: 0
; COMPUTE_PGM_RSRC2:TIDIG_COMP_CNT: 0
	.section	.text._ZN7rocprim17ROCPRIM_400000_NS6detail30init_device_scan_by_key_kernelINS1_19lookback_scan_stateINS0_5tupleIJdbEEELb0ELb0EEENS1_16block_id_wrapperIjLb0EEEEEvT_jjPNS9_10value_typeET0_,"axG",@progbits,_ZN7rocprim17ROCPRIM_400000_NS6detail30init_device_scan_by_key_kernelINS1_19lookback_scan_stateINS0_5tupleIJdbEEELb0ELb0EEENS1_16block_id_wrapperIjLb0EEEEEvT_jjPNS9_10value_typeET0_,comdat
	.protected	_ZN7rocprim17ROCPRIM_400000_NS6detail30init_device_scan_by_key_kernelINS1_19lookback_scan_stateINS0_5tupleIJdbEEELb0ELb0EEENS1_16block_id_wrapperIjLb0EEEEEvT_jjPNS9_10value_typeET0_ ; -- Begin function _ZN7rocprim17ROCPRIM_400000_NS6detail30init_device_scan_by_key_kernelINS1_19lookback_scan_stateINS0_5tupleIJdbEEELb0ELb0EEENS1_16block_id_wrapperIjLb0EEEEEvT_jjPNS9_10value_typeET0_
	.globl	_ZN7rocprim17ROCPRIM_400000_NS6detail30init_device_scan_by_key_kernelINS1_19lookback_scan_stateINS0_5tupleIJdbEEELb0ELb0EEENS1_16block_id_wrapperIjLb0EEEEEvT_jjPNS9_10value_typeET0_
	.p2align	8
	.type	_ZN7rocprim17ROCPRIM_400000_NS6detail30init_device_scan_by_key_kernelINS1_19lookback_scan_stateINS0_5tupleIJdbEEELb0ELb0EEENS1_16block_id_wrapperIjLb0EEEEEvT_jjPNS9_10value_typeET0_,@function
_ZN7rocprim17ROCPRIM_400000_NS6detail30init_device_scan_by_key_kernelINS1_19lookback_scan_stateINS0_5tupleIJdbEEELb0ELb0EEENS1_16block_id_wrapperIjLb0EEEEEvT_jjPNS9_10value_typeET0_: ; @_ZN7rocprim17ROCPRIM_400000_NS6detail30init_device_scan_by_key_kernelINS1_19lookback_scan_stateINS0_5tupleIJdbEEELb0ELb0EEENS1_16block_id_wrapperIjLb0EEEEEvT_jjPNS9_10value_typeET0_
; %bb.0:
	s_clause 0x2
	s_load_dword s7, s[4:5], 0x3c
	s_load_dwordx2 s[8:9], s[4:5], 0x20
	s_load_dwordx4 s[0:3], s[4:5], 0x10
	s_waitcnt lgkmcnt(0)
	s_and_b32 s7, s7, 0xffff
	s_cmp_eq_u64 s[8:9], 0
	v_mad_u64_u32 v[0:1], null, s6, s7, v[0:1]
	s_cbranch_scc1 .LBB1084_6
; %bb.1:
	s_cmp_lt_u32 s3, s2
	s_mov_b32 s11, 0
	s_cselect_b32 s6, s3, 0
	s_mov_b32 s14, exec_lo
	v_cmpx_eq_u32_e64 s6, v0
	s_cbranch_execz .LBB1084_5
; %bb.2:
	s_add_i32 s10, s3, 32
	s_load_dwordx4 s[4:7], s[4:5], 0x0
	v_mov_b32_e32 v1, s10
	s_add_u32 s12, s0, s10
	s_addc_u32 s13, s1, 0
	global_load_ubyte v2, v1, s[0:1] glc dlc
	v_mov_b32_e32 v1, 0
	s_waitcnt vmcnt(0)
	v_cmp_ne_u32_sdwa s15, v2, v1 src0_sel:WORD_0 src1_sel:DWORD
	v_readfirstlane_b32 s3, v2
	s_and_b32 vcc_lo, exec_lo, s15
	s_cbranch_vccnz .LBB1084_4
.LBB1084_3:                             ; =>This Inner Loop Header: Depth=1
	global_load_ubyte v2, v1, s[12:13] glc dlc
	s_waitcnt vmcnt(0)
	v_cmp_eq_u32_sdwa s15, v2, v1 src0_sel:WORD_0 src1_sel:DWORD
	v_readfirstlane_b32 s3, v2
	s_and_b32 vcc_lo, exec_lo, s15
	s_cbranch_vccnz .LBB1084_3
.LBB1084_4:
	s_and_b32 s3, 0xffff, s3
	v_mov_b32_e32 v3, 0
	s_cmp_eq_u32 s3, 1
	s_waitcnt lgkmcnt(0)
	buffer_gl1_inv
	buffer_gl0_inv
	s_cselect_b32 s3, s5, s7
	s_cselect_b32 s6, s4, s6
	s_lshl_b64 s[4:5], s[10:11], 4
	s_add_u32 s4, s6, s4
	s_addc_u32 s5, s3, s5
	s_clause 0x1
	global_load_dwordx2 v[1:2], v3, s[4:5]
	global_load_ubyte v4, v3, s[4:5] offset:8
	s_waitcnt vmcnt(1)
	global_store_dwordx2 v3, v[1:2], s[8:9]
	s_waitcnt vmcnt(0)
	global_store_byte v3, v4, s[8:9] offset:8
.LBB1084_5:
	s_or_b32 exec_lo, exec_lo, s14
.LBB1084_6:
	v_cmp_gt_u32_e32 vcc_lo, s2, v0
	s_and_saveexec_b32 s2, vcc_lo
	s_cbranch_execz .LBB1084_8
; %bb.7:
	v_add_nc_u32_e32 v1, 32, v0
	v_mov_b32_e32 v2, 0
	global_store_byte v1, v2, s[0:1]
.LBB1084_8:
	s_or_b32 exec_lo, exec_lo, s2
	s_mov_b32 s2, exec_lo
	v_cmpx_gt_u32_e32 32, v0
	s_cbranch_execz .LBB1084_10
; %bb.9:
	v_mov_b32_e32 v1, 0xff
	global_store_byte v0, v1, s[0:1]
.LBB1084_10:
	s_endpgm
	.section	.rodata,"a",@progbits
	.p2align	6, 0x0
	.amdhsa_kernel _ZN7rocprim17ROCPRIM_400000_NS6detail30init_device_scan_by_key_kernelINS1_19lookback_scan_stateINS0_5tupleIJdbEEELb0ELb0EEENS1_16block_id_wrapperIjLb0EEEEEvT_jjPNS9_10value_typeET0_
		.amdhsa_group_segment_fixed_size 0
		.amdhsa_private_segment_fixed_size 0
		.amdhsa_kernarg_size 304
		.amdhsa_user_sgpr_count 6
		.amdhsa_user_sgpr_private_segment_buffer 1
		.amdhsa_user_sgpr_dispatch_ptr 0
		.amdhsa_user_sgpr_queue_ptr 0
		.amdhsa_user_sgpr_kernarg_segment_ptr 1
		.amdhsa_user_sgpr_dispatch_id 0
		.amdhsa_user_sgpr_flat_scratch_init 0
		.amdhsa_user_sgpr_private_segment_size 0
		.amdhsa_wavefront_size32 1
		.amdhsa_uses_dynamic_stack 0
		.amdhsa_system_sgpr_private_segment_wavefront_offset 0
		.amdhsa_system_sgpr_workgroup_id_x 1
		.amdhsa_system_sgpr_workgroup_id_y 0
		.amdhsa_system_sgpr_workgroup_id_z 0
		.amdhsa_system_sgpr_workgroup_info 0
		.amdhsa_system_vgpr_workitem_id 0
		.amdhsa_next_free_vgpr 5
		.amdhsa_next_free_sgpr 16
		.amdhsa_reserve_vcc 1
		.amdhsa_reserve_flat_scratch 0
		.amdhsa_float_round_mode_32 0
		.amdhsa_float_round_mode_16_64 0
		.amdhsa_float_denorm_mode_32 3
		.amdhsa_float_denorm_mode_16_64 3
		.amdhsa_dx10_clamp 1
		.amdhsa_ieee_mode 1
		.amdhsa_fp16_overflow 0
		.amdhsa_workgroup_processor_mode 1
		.amdhsa_memory_ordered 1
		.amdhsa_forward_progress 1
		.amdhsa_shared_vgpr_count 0
		.amdhsa_exception_fp_ieee_invalid_op 0
		.amdhsa_exception_fp_denorm_src 0
		.amdhsa_exception_fp_ieee_div_zero 0
		.amdhsa_exception_fp_ieee_overflow 0
		.amdhsa_exception_fp_ieee_underflow 0
		.amdhsa_exception_fp_ieee_inexact 0
		.amdhsa_exception_int_div_zero 0
	.end_amdhsa_kernel
	.section	.text._ZN7rocprim17ROCPRIM_400000_NS6detail30init_device_scan_by_key_kernelINS1_19lookback_scan_stateINS0_5tupleIJdbEEELb0ELb0EEENS1_16block_id_wrapperIjLb0EEEEEvT_jjPNS9_10value_typeET0_,"axG",@progbits,_ZN7rocprim17ROCPRIM_400000_NS6detail30init_device_scan_by_key_kernelINS1_19lookback_scan_stateINS0_5tupleIJdbEEELb0ELb0EEENS1_16block_id_wrapperIjLb0EEEEEvT_jjPNS9_10value_typeET0_,comdat
.Lfunc_end1084:
	.size	_ZN7rocprim17ROCPRIM_400000_NS6detail30init_device_scan_by_key_kernelINS1_19lookback_scan_stateINS0_5tupleIJdbEEELb0ELb0EEENS1_16block_id_wrapperIjLb0EEEEEvT_jjPNS9_10value_typeET0_, .Lfunc_end1084-_ZN7rocprim17ROCPRIM_400000_NS6detail30init_device_scan_by_key_kernelINS1_19lookback_scan_stateINS0_5tupleIJdbEEELb0ELb0EEENS1_16block_id_wrapperIjLb0EEEEEvT_jjPNS9_10value_typeET0_
                                        ; -- End function
	.set _ZN7rocprim17ROCPRIM_400000_NS6detail30init_device_scan_by_key_kernelINS1_19lookback_scan_stateINS0_5tupleIJdbEEELb0ELb0EEENS1_16block_id_wrapperIjLb0EEEEEvT_jjPNS9_10value_typeET0_.num_vgpr, 5
	.set _ZN7rocprim17ROCPRIM_400000_NS6detail30init_device_scan_by_key_kernelINS1_19lookback_scan_stateINS0_5tupleIJdbEEELb0ELb0EEENS1_16block_id_wrapperIjLb0EEEEEvT_jjPNS9_10value_typeET0_.num_agpr, 0
	.set _ZN7rocprim17ROCPRIM_400000_NS6detail30init_device_scan_by_key_kernelINS1_19lookback_scan_stateINS0_5tupleIJdbEEELb0ELb0EEENS1_16block_id_wrapperIjLb0EEEEEvT_jjPNS9_10value_typeET0_.numbered_sgpr, 16
	.set _ZN7rocprim17ROCPRIM_400000_NS6detail30init_device_scan_by_key_kernelINS1_19lookback_scan_stateINS0_5tupleIJdbEEELb0ELb0EEENS1_16block_id_wrapperIjLb0EEEEEvT_jjPNS9_10value_typeET0_.num_named_barrier, 0
	.set _ZN7rocprim17ROCPRIM_400000_NS6detail30init_device_scan_by_key_kernelINS1_19lookback_scan_stateINS0_5tupleIJdbEEELb0ELb0EEENS1_16block_id_wrapperIjLb0EEEEEvT_jjPNS9_10value_typeET0_.private_seg_size, 0
	.set _ZN7rocprim17ROCPRIM_400000_NS6detail30init_device_scan_by_key_kernelINS1_19lookback_scan_stateINS0_5tupleIJdbEEELb0ELb0EEENS1_16block_id_wrapperIjLb0EEEEEvT_jjPNS9_10value_typeET0_.uses_vcc, 1
	.set _ZN7rocprim17ROCPRIM_400000_NS6detail30init_device_scan_by_key_kernelINS1_19lookback_scan_stateINS0_5tupleIJdbEEELb0ELb0EEENS1_16block_id_wrapperIjLb0EEEEEvT_jjPNS9_10value_typeET0_.uses_flat_scratch, 0
	.set _ZN7rocprim17ROCPRIM_400000_NS6detail30init_device_scan_by_key_kernelINS1_19lookback_scan_stateINS0_5tupleIJdbEEELb0ELb0EEENS1_16block_id_wrapperIjLb0EEEEEvT_jjPNS9_10value_typeET0_.has_dyn_sized_stack, 0
	.set _ZN7rocprim17ROCPRIM_400000_NS6detail30init_device_scan_by_key_kernelINS1_19lookback_scan_stateINS0_5tupleIJdbEEELb0ELb0EEENS1_16block_id_wrapperIjLb0EEEEEvT_jjPNS9_10value_typeET0_.has_recursion, 0
	.set _ZN7rocprim17ROCPRIM_400000_NS6detail30init_device_scan_by_key_kernelINS1_19lookback_scan_stateINS0_5tupleIJdbEEELb0ELb0EEENS1_16block_id_wrapperIjLb0EEEEEvT_jjPNS9_10value_typeET0_.has_indirect_call, 0
	.section	.AMDGPU.csdata,"",@progbits
; Kernel info:
; codeLenInByte = 344
; TotalNumSgprs: 18
; NumVgprs: 5
; ScratchSize: 0
; MemoryBound: 0
; FloatMode: 240
; IeeeMode: 1
; LDSByteSize: 0 bytes/workgroup (compile time only)
; SGPRBlocks: 0
; VGPRBlocks: 0
; NumSGPRsForWavesPerEU: 18
; NumVGPRsForWavesPerEU: 5
; Occupancy: 16
; WaveLimiterHint : 0
; COMPUTE_PGM_RSRC2:SCRATCH_EN: 0
; COMPUTE_PGM_RSRC2:USER_SGPR: 6
; COMPUTE_PGM_RSRC2:TRAP_HANDLER: 0
; COMPUTE_PGM_RSRC2:TGID_X_EN: 1
; COMPUTE_PGM_RSRC2:TGID_Y_EN: 0
; COMPUTE_PGM_RSRC2:TGID_Z_EN: 0
; COMPUTE_PGM_RSRC2:TIDIG_COMP_CNT: 0
	.section	.text._ZN7rocprim17ROCPRIM_400000_NS6detail17trampoline_kernelINS0_14default_configENS1_27scan_by_key_config_selectorIidEEZZNS1_16scan_by_key_implILNS1_25lookback_scan_determinismE0ELb0ES3_N6thrust23THRUST_200600_302600_NS6detail15normal_iteratorINS9_10device_ptrIiEEEENSB_INSC_IdEEEESG_dNS9_4plusIvEENS9_8equal_toIvEEdEE10hipError_tPvRmT2_T3_T4_T5_mT6_T7_P12ihipStream_tbENKUlT_T0_E_clISt17integral_constantIbLb0EES11_EEDaSW_SX_EUlSW_E_NS1_11comp_targetILNS1_3genE0ELNS1_11target_archE4294967295ELNS1_3gpuE0ELNS1_3repE0EEENS1_30default_config_static_selectorELNS0_4arch9wavefront6targetE0EEEvT1_,"axG",@progbits,_ZN7rocprim17ROCPRIM_400000_NS6detail17trampoline_kernelINS0_14default_configENS1_27scan_by_key_config_selectorIidEEZZNS1_16scan_by_key_implILNS1_25lookback_scan_determinismE0ELb0ES3_N6thrust23THRUST_200600_302600_NS6detail15normal_iteratorINS9_10device_ptrIiEEEENSB_INSC_IdEEEESG_dNS9_4plusIvEENS9_8equal_toIvEEdEE10hipError_tPvRmT2_T3_T4_T5_mT6_T7_P12ihipStream_tbENKUlT_T0_E_clISt17integral_constantIbLb0EES11_EEDaSW_SX_EUlSW_E_NS1_11comp_targetILNS1_3genE0ELNS1_11target_archE4294967295ELNS1_3gpuE0ELNS1_3repE0EEENS1_30default_config_static_selectorELNS0_4arch9wavefront6targetE0EEEvT1_,comdat
	.protected	_ZN7rocprim17ROCPRIM_400000_NS6detail17trampoline_kernelINS0_14default_configENS1_27scan_by_key_config_selectorIidEEZZNS1_16scan_by_key_implILNS1_25lookback_scan_determinismE0ELb0ES3_N6thrust23THRUST_200600_302600_NS6detail15normal_iteratorINS9_10device_ptrIiEEEENSB_INSC_IdEEEESG_dNS9_4plusIvEENS9_8equal_toIvEEdEE10hipError_tPvRmT2_T3_T4_T5_mT6_T7_P12ihipStream_tbENKUlT_T0_E_clISt17integral_constantIbLb0EES11_EEDaSW_SX_EUlSW_E_NS1_11comp_targetILNS1_3genE0ELNS1_11target_archE4294967295ELNS1_3gpuE0ELNS1_3repE0EEENS1_30default_config_static_selectorELNS0_4arch9wavefront6targetE0EEEvT1_ ; -- Begin function _ZN7rocprim17ROCPRIM_400000_NS6detail17trampoline_kernelINS0_14default_configENS1_27scan_by_key_config_selectorIidEEZZNS1_16scan_by_key_implILNS1_25lookback_scan_determinismE0ELb0ES3_N6thrust23THRUST_200600_302600_NS6detail15normal_iteratorINS9_10device_ptrIiEEEENSB_INSC_IdEEEESG_dNS9_4plusIvEENS9_8equal_toIvEEdEE10hipError_tPvRmT2_T3_T4_T5_mT6_T7_P12ihipStream_tbENKUlT_T0_E_clISt17integral_constantIbLb0EES11_EEDaSW_SX_EUlSW_E_NS1_11comp_targetILNS1_3genE0ELNS1_11target_archE4294967295ELNS1_3gpuE0ELNS1_3repE0EEENS1_30default_config_static_selectorELNS0_4arch9wavefront6targetE0EEEvT1_
	.globl	_ZN7rocprim17ROCPRIM_400000_NS6detail17trampoline_kernelINS0_14default_configENS1_27scan_by_key_config_selectorIidEEZZNS1_16scan_by_key_implILNS1_25lookback_scan_determinismE0ELb0ES3_N6thrust23THRUST_200600_302600_NS6detail15normal_iteratorINS9_10device_ptrIiEEEENSB_INSC_IdEEEESG_dNS9_4plusIvEENS9_8equal_toIvEEdEE10hipError_tPvRmT2_T3_T4_T5_mT6_T7_P12ihipStream_tbENKUlT_T0_E_clISt17integral_constantIbLb0EES11_EEDaSW_SX_EUlSW_E_NS1_11comp_targetILNS1_3genE0ELNS1_11target_archE4294967295ELNS1_3gpuE0ELNS1_3repE0EEENS1_30default_config_static_selectorELNS0_4arch9wavefront6targetE0EEEvT1_
	.p2align	8
	.type	_ZN7rocprim17ROCPRIM_400000_NS6detail17trampoline_kernelINS0_14default_configENS1_27scan_by_key_config_selectorIidEEZZNS1_16scan_by_key_implILNS1_25lookback_scan_determinismE0ELb0ES3_N6thrust23THRUST_200600_302600_NS6detail15normal_iteratorINS9_10device_ptrIiEEEENSB_INSC_IdEEEESG_dNS9_4plusIvEENS9_8equal_toIvEEdEE10hipError_tPvRmT2_T3_T4_T5_mT6_T7_P12ihipStream_tbENKUlT_T0_E_clISt17integral_constantIbLb0EES11_EEDaSW_SX_EUlSW_E_NS1_11comp_targetILNS1_3genE0ELNS1_11target_archE4294967295ELNS1_3gpuE0ELNS1_3repE0EEENS1_30default_config_static_selectorELNS0_4arch9wavefront6targetE0EEEvT1_,@function
_ZN7rocprim17ROCPRIM_400000_NS6detail17trampoline_kernelINS0_14default_configENS1_27scan_by_key_config_selectorIidEEZZNS1_16scan_by_key_implILNS1_25lookback_scan_determinismE0ELb0ES3_N6thrust23THRUST_200600_302600_NS6detail15normal_iteratorINS9_10device_ptrIiEEEENSB_INSC_IdEEEESG_dNS9_4plusIvEENS9_8equal_toIvEEdEE10hipError_tPvRmT2_T3_T4_T5_mT6_T7_P12ihipStream_tbENKUlT_T0_E_clISt17integral_constantIbLb0EES11_EEDaSW_SX_EUlSW_E_NS1_11comp_targetILNS1_3genE0ELNS1_11target_archE4294967295ELNS1_3gpuE0ELNS1_3repE0EEENS1_30default_config_static_selectorELNS0_4arch9wavefront6targetE0EEEvT1_: ; @_ZN7rocprim17ROCPRIM_400000_NS6detail17trampoline_kernelINS0_14default_configENS1_27scan_by_key_config_selectorIidEEZZNS1_16scan_by_key_implILNS1_25lookback_scan_determinismE0ELb0ES3_N6thrust23THRUST_200600_302600_NS6detail15normal_iteratorINS9_10device_ptrIiEEEENSB_INSC_IdEEEESG_dNS9_4plusIvEENS9_8equal_toIvEEdEE10hipError_tPvRmT2_T3_T4_T5_mT6_T7_P12ihipStream_tbENKUlT_T0_E_clISt17integral_constantIbLb0EES11_EEDaSW_SX_EUlSW_E_NS1_11comp_targetILNS1_3genE0ELNS1_11target_archE4294967295ELNS1_3gpuE0ELNS1_3repE0EEENS1_30default_config_static_selectorELNS0_4arch9wavefront6targetE0EEEvT1_
; %bb.0:
	.section	.rodata,"a",@progbits
	.p2align	6, 0x0
	.amdhsa_kernel _ZN7rocprim17ROCPRIM_400000_NS6detail17trampoline_kernelINS0_14default_configENS1_27scan_by_key_config_selectorIidEEZZNS1_16scan_by_key_implILNS1_25lookback_scan_determinismE0ELb0ES3_N6thrust23THRUST_200600_302600_NS6detail15normal_iteratorINS9_10device_ptrIiEEEENSB_INSC_IdEEEESG_dNS9_4plusIvEENS9_8equal_toIvEEdEE10hipError_tPvRmT2_T3_T4_T5_mT6_T7_P12ihipStream_tbENKUlT_T0_E_clISt17integral_constantIbLb0EES11_EEDaSW_SX_EUlSW_E_NS1_11comp_targetILNS1_3genE0ELNS1_11target_archE4294967295ELNS1_3gpuE0ELNS1_3repE0EEENS1_30default_config_static_selectorELNS0_4arch9wavefront6targetE0EEEvT1_
		.amdhsa_group_segment_fixed_size 0
		.amdhsa_private_segment_fixed_size 0
		.amdhsa_kernarg_size 136
		.amdhsa_user_sgpr_count 6
		.amdhsa_user_sgpr_private_segment_buffer 1
		.amdhsa_user_sgpr_dispatch_ptr 0
		.amdhsa_user_sgpr_queue_ptr 0
		.amdhsa_user_sgpr_kernarg_segment_ptr 1
		.amdhsa_user_sgpr_dispatch_id 0
		.amdhsa_user_sgpr_flat_scratch_init 0
		.amdhsa_user_sgpr_private_segment_size 0
		.amdhsa_wavefront_size32 1
		.amdhsa_uses_dynamic_stack 0
		.amdhsa_system_sgpr_private_segment_wavefront_offset 0
		.amdhsa_system_sgpr_workgroup_id_x 1
		.amdhsa_system_sgpr_workgroup_id_y 0
		.amdhsa_system_sgpr_workgroup_id_z 0
		.amdhsa_system_sgpr_workgroup_info 0
		.amdhsa_system_vgpr_workitem_id 0
		.amdhsa_next_free_vgpr 1
		.amdhsa_next_free_sgpr 1
		.amdhsa_reserve_vcc 0
		.amdhsa_reserve_flat_scratch 0
		.amdhsa_float_round_mode_32 0
		.amdhsa_float_round_mode_16_64 0
		.amdhsa_float_denorm_mode_32 3
		.amdhsa_float_denorm_mode_16_64 3
		.amdhsa_dx10_clamp 1
		.amdhsa_ieee_mode 1
		.amdhsa_fp16_overflow 0
		.amdhsa_workgroup_processor_mode 1
		.amdhsa_memory_ordered 1
		.amdhsa_forward_progress 1
		.amdhsa_shared_vgpr_count 0
		.amdhsa_exception_fp_ieee_invalid_op 0
		.amdhsa_exception_fp_denorm_src 0
		.amdhsa_exception_fp_ieee_div_zero 0
		.amdhsa_exception_fp_ieee_overflow 0
		.amdhsa_exception_fp_ieee_underflow 0
		.amdhsa_exception_fp_ieee_inexact 0
		.amdhsa_exception_int_div_zero 0
	.end_amdhsa_kernel
	.section	.text._ZN7rocprim17ROCPRIM_400000_NS6detail17trampoline_kernelINS0_14default_configENS1_27scan_by_key_config_selectorIidEEZZNS1_16scan_by_key_implILNS1_25lookback_scan_determinismE0ELb0ES3_N6thrust23THRUST_200600_302600_NS6detail15normal_iteratorINS9_10device_ptrIiEEEENSB_INSC_IdEEEESG_dNS9_4plusIvEENS9_8equal_toIvEEdEE10hipError_tPvRmT2_T3_T4_T5_mT6_T7_P12ihipStream_tbENKUlT_T0_E_clISt17integral_constantIbLb0EES11_EEDaSW_SX_EUlSW_E_NS1_11comp_targetILNS1_3genE0ELNS1_11target_archE4294967295ELNS1_3gpuE0ELNS1_3repE0EEENS1_30default_config_static_selectorELNS0_4arch9wavefront6targetE0EEEvT1_,"axG",@progbits,_ZN7rocprim17ROCPRIM_400000_NS6detail17trampoline_kernelINS0_14default_configENS1_27scan_by_key_config_selectorIidEEZZNS1_16scan_by_key_implILNS1_25lookback_scan_determinismE0ELb0ES3_N6thrust23THRUST_200600_302600_NS6detail15normal_iteratorINS9_10device_ptrIiEEEENSB_INSC_IdEEEESG_dNS9_4plusIvEENS9_8equal_toIvEEdEE10hipError_tPvRmT2_T3_T4_T5_mT6_T7_P12ihipStream_tbENKUlT_T0_E_clISt17integral_constantIbLb0EES11_EEDaSW_SX_EUlSW_E_NS1_11comp_targetILNS1_3genE0ELNS1_11target_archE4294967295ELNS1_3gpuE0ELNS1_3repE0EEENS1_30default_config_static_selectorELNS0_4arch9wavefront6targetE0EEEvT1_,comdat
.Lfunc_end1085:
	.size	_ZN7rocprim17ROCPRIM_400000_NS6detail17trampoline_kernelINS0_14default_configENS1_27scan_by_key_config_selectorIidEEZZNS1_16scan_by_key_implILNS1_25lookback_scan_determinismE0ELb0ES3_N6thrust23THRUST_200600_302600_NS6detail15normal_iteratorINS9_10device_ptrIiEEEENSB_INSC_IdEEEESG_dNS9_4plusIvEENS9_8equal_toIvEEdEE10hipError_tPvRmT2_T3_T4_T5_mT6_T7_P12ihipStream_tbENKUlT_T0_E_clISt17integral_constantIbLb0EES11_EEDaSW_SX_EUlSW_E_NS1_11comp_targetILNS1_3genE0ELNS1_11target_archE4294967295ELNS1_3gpuE0ELNS1_3repE0EEENS1_30default_config_static_selectorELNS0_4arch9wavefront6targetE0EEEvT1_, .Lfunc_end1085-_ZN7rocprim17ROCPRIM_400000_NS6detail17trampoline_kernelINS0_14default_configENS1_27scan_by_key_config_selectorIidEEZZNS1_16scan_by_key_implILNS1_25lookback_scan_determinismE0ELb0ES3_N6thrust23THRUST_200600_302600_NS6detail15normal_iteratorINS9_10device_ptrIiEEEENSB_INSC_IdEEEESG_dNS9_4plusIvEENS9_8equal_toIvEEdEE10hipError_tPvRmT2_T3_T4_T5_mT6_T7_P12ihipStream_tbENKUlT_T0_E_clISt17integral_constantIbLb0EES11_EEDaSW_SX_EUlSW_E_NS1_11comp_targetILNS1_3genE0ELNS1_11target_archE4294967295ELNS1_3gpuE0ELNS1_3repE0EEENS1_30default_config_static_selectorELNS0_4arch9wavefront6targetE0EEEvT1_
                                        ; -- End function
	.set _ZN7rocprim17ROCPRIM_400000_NS6detail17trampoline_kernelINS0_14default_configENS1_27scan_by_key_config_selectorIidEEZZNS1_16scan_by_key_implILNS1_25lookback_scan_determinismE0ELb0ES3_N6thrust23THRUST_200600_302600_NS6detail15normal_iteratorINS9_10device_ptrIiEEEENSB_INSC_IdEEEESG_dNS9_4plusIvEENS9_8equal_toIvEEdEE10hipError_tPvRmT2_T3_T4_T5_mT6_T7_P12ihipStream_tbENKUlT_T0_E_clISt17integral_constantIbLb0EES11_EEDaSW_SX_EUlSW_E_NS1_11comp_targetILNS1_3genE0ELNS1_11target_archE4294967295ELNS1_3gpuE0ELNS1_3repE0EEENS1_30default_config_static_selectorELNS0_4arch9wavefront6targetE0EEEvT1_.num_vgpr, 0
	.set _ZN7rocprim17ROCPRIM_400000_NS6detail17trampoline_kernelINS0_14default_configENS1_27scan_by_key_config_selectorIidEEZZNS1_16scan_by_key_implILNS1_25lookback_scan_determinismE0ELb0ES3_N6thrust23THRUST_200600_302600_NS6detail15normal_iteratorINS9_10device_ptrIiEEEENSB_INSC_IdEEEESG_dNS9_4plusIvEENS9_8equal_toIvEEdEE10hipError_tPvRmT2_T3_T4_T5_mT6_T7_P12ihipStream_tbENKUlT_T0_E_clISt17integral_constantIbLb0EES11_EEDaSW_SX_EUlSW_E_NS1_11comp_targetILNS1_3genE0ELNS1_11target_archE4294967295ELNS1_3gpuE0ELNS1_3repE0EEENS1_30default_config_static_selectorELNS0_4arch9wavefront6targetE0EEEvT1_.num_agpr, 0
	.set _ZN7rocprim17ROCPRIM_400000_NS6detail17trampoline_kernelINS0_14default_configENS1_27scan_by_key_config_selectorIidEEZZNS1_16scan_by_key_implILNS1_25lookback_scan_determinismE0ELb0ES3_N6thrust23THRUST_200600_302600_NS6detail15normal_iteratorINS9_10device_ptrIiEEEENSB_INSC_IdEEEESG_dNS9_4plusIvEENS9_8equal_toIvEEdEE10hipError_tPvRmT2_T3_T4_T5_mT6_T7_P12ihipStream_tbENKUlT_T0_E_clISt17integral_constantIbLb0EES11_EEDaSW_SX_EUlSW_E_NS1_11comp_targetILNS1_3genE0ELNS1_11target_archE4294967295ELNS1_3gpuE0ELNS1_3repE0EEENS1_30default_config_static_selectorELNS0_4arch9wavefront6targetE0EEEvT1_.numbered_sgpr, 0
	.set _ZN7rocprim17ROCPRIM_400000_NS6detail17trampoline_kernelINS0_14default_configENS1_27scan_by_key_config_selectorIidEEZZNS1_16scan_by_key_implILNS1_25lookback_scan_determinismE0ELb0ES3_N6thrust23THRUST_200600_302600_NS6detail15normal_iteratorINS9_10device_ptrIiEEEENSB_INSC_IdEEEESG_dNS9_4plusIvEENS9_8equal_toIvEEdEE10hipError_tPvRmT2_T3_T4_T5_mT6_T7_P12ihipStream_tbENKUlT_T0_E_clISt17integral_constantIbLb0EES11_EEDaSW_SX_EUlSW_E_NS1_11comp_targetILNS1_3genE0ELNS1_11target_archE4294967295ELNS1_3gpuE0ELNS1_3repE0EEENS1_30default_config_static_selectorELNS0_4arch9wavefront6targetE0EEEvT1_.num_named_barrier, 0
	.set _ZN7rocprim17ROCPRIM_400000_NS6detail17trampoline_kernelINS0_14default_configENS1_27scan_by_key_config_selectorIidEEZZNS1_16scan_by_key_implILNS1_25lookback_scan_determinismE0ELb0ES3_N6thrust23THRUST_200600_302600_NS6detail15normal_iteratorINS9_10device_ptrIiEEEENSB_INSC_IdEEEESG_dNS9_4plusIvEENS9_8equal_toIvEEdEE10hipError_tPvRmT2_T3_T4_T5_mT6_T7_P12ihipStream_tbENKUlT_T0_E_clISt17integral_constantIbLb0EES11_EEDaSW_SX_EUlSW_E_NS1_11comp_targetILNS1_3genE0ELNS1_11target_archE4294967295ELNS1_3gpuE0ELNS1_3repE0EEENS1_30default_config_static_selectorELNS0_4arch9wavefront6targetE0EEEvT1_.private_seg_size, 0
	.set _ZN7rocprim17ROCPRIM_400000_NS6detail17trampoline_kernelINS0_14default_configENS1_27scan_by_key_config_selectorIidEEZZNS1_16scan_by_key_implILNS1_25lookback_scan_determinismE0ELb0ES3_N6thrust23THRUST_200600_302600_NS6detail15normal_iteratorINS9_10device_ptrIiEEEENSB_INSC_IdEEEESG_dNS9_4plusIvEENS9_8equal_toIvEEdEE10hipError_tPvRmT2_T3_T4_T5_mT6_T7_P12ihipStream_tbENKUlT_T0_E_clISt17integral_constantIbLb0EES11_EEDaSW_SX_EUlSW_E_NS1_11comp_targetILNS1_3genE0ELNS1_11target_archE4294967295ELNS1_3gpuE0ELNS1_3repE0EEENS1_30default_config_static_selectorELNS0_4arch9wavefront6targetE0EEEvT1_.uses_vcc, 0
	.set _ZN7rocprim17ROCPRIM_400000_NS6detail17trampoline_kernelINS0_14default_configENS1_27scan_by_key_config_selectorIidEEZZNS1_16scan_by_key_implILNS1_25lookback_scan_determinismE0ELb0ES3_N6thrust23THRUST_200600_302600_NS6detail15normal_iteratorINS9_10device_ptrIiEEEENSB_INSC_IdEEEESG_dNS9_4plusIvEENS9_8equal_toIvEEdEE10hipError_tPvRmT2_T3_T4_T5_mT6_T7_P12ihipStream_tbENKUlT_T0_E_clISt17integral_constantIbLb0EES11_EEDaSW_SX_EUlSW_E_NS1_11comp_targetILNS1_3genE0ELNS1_11target_archE4294967295ELNS1_3gpuE0ELNS1_3repE0EEENS1_30default_config_static_selectorELNS0_4arch9wavefront6targetE0EEEvT1_.uses_flat_scratch, 0
	.set _ZN7rocprim17ROCPRIM_400000_NS6detail17trampoline_kernelINS0_14default_configENS1_27scan_by_key_config_selectorIidEEZZNS1_16scan_by_key_implILNS1_25lookback_scan_determinismE0ELb0ES3_N6thrust23THRUST_200600_302600_NS6detail15normal_iteratorINS9_10device_ptrIiEEEENSB_INSC_IdEEEESG_dNS9_4plusIvEENS9_8equal_toIvEEdEE10hipError_tPvRmT2_T3_T4_T5_mT6_T7_P12ihipStream_tbENKUlT_T0_E_clISt17integral_constantIbLb0EES11_EEDaSW_SX_EUlSW_E_NS1_11comp_targetILNS1_3genE0ELNS1_11target_archE4294967295ELNS1_3gpuE0ELNS1_3repE0EEENS1_30default_config_static_selectorELNS0_4arch9wavefront6targetE0EEEvT1_.has_dyn_sized_stack, 0
	.set _ZN7rocprim17ROCPRIM_400000_NS6detail17trampoline_kernelINS0_14default_configENS1_27scan_by_key_config_selectorIidEEZZNS1_16scan_by_key_implILNS1_25lookback_scan_determinismE0ELb0ES3_N6thrust23THRUST_200600_302600_NS6detail15normal_iteratorINS9_10device_ptrIiEEEENSB_INSC_IdEEEESG_dNS9_4plusIvEENS9_8equal_toIvEEdEE10hipError_tPvRmT2_T3_T4_T5_mT6_T7_P12ihipStream_tbENKUlT_T0_E_clISt17integral_constantIbLb0EES11_EEDaSW_SX_EUlSW_E_NS1_11comp_targetILNS1_3genE0ELNS1_11target_archE4294967295ELNS1_3gpuE0ELNS1_3repE0EEENS1_30default_config_static_selectorELNS0_4arch9wavefront6targetE0EEEvT1_.has_recursion, 0
	.set _ZN7rocprim17ROCPRIM_400000_NS6detail17trampoline_kernelINS0_14default_configENS1_27scan_by_key_config_selectorIidEEZZNS1_16scan_by_key_implILNS1_25lookback_scan_determinismE0ELb0ES3_N6thrust23THRUST_200600_302600_NS6detail15normal_iteratorINS9_10device_ptrIiEEEENSB_INSC_IdEEEESG_dNS9_4plusIvEENS9_8equal_toIvEEdEE10hipError_tPvRmT2_T3_T4_T5_mT6_T7_P12ihipStream_tbENKUlT_T0_E_clISt17integral_constantIbLb0EES11_EEDaSW_SX_EUlSW_E_NS1_11comp_targetILNS1_3genE0ELNS1_11target_archE4294967295ELNS1_3gpuE0ELNS1_3repE0EEENS1_30default_config_static_selectorELNS0_4arch9wavefront6targetE0EEEvT1_.has_indirect_call, 0
	.section	.AMDGPU.csdata,"",@progbits
; Kernel info:
; codeLenInByte = 0
; TotalNumSgprs: 0
; NumVgprs: 0
; ScratchSize: 0
; MemoryBound: 0
; FloatMode: 240
; IeeeMode: 1
; LDSByteSize: 0 bytes/workgroup (compile time only)
; SGPRBlocks: 0
; VGPRBlocks: 0
; NumSGPRsForWavesPerEU: 1
; NumVGPRsForWavesPerEU: 1
; Occupancy: 16
; WaveLimiterHint : 0
; COMPUTE_PGM_RSRC2:SCRATCH_EN: 0
; COMPUTE_PGM_RSRC2:USER_SGPR: 6
; COMPUTE_PGM_RSRC2:TRAP_HANDLER: 0
; COMPUTE_PGM_RSRC2:TGID_X_EN: 1
; COMPUTE_PGM_RSRC2:TGID_Y_EN: 0
; COMPUTE_PGM_RSRC2:TGID_Z_EN: 0
; COMPUTE_PGM_RSRC2:TIDIG_COMP_CNT: 0
	.section	.text._ZN7rocprim17ROCPRIM_400000_NS6detail17trampoline_kernelINS0_14default_configENS1_27scan_by_key_config_selectorIidEEZZNS1_16scan_by_key_implILNS1_25lookback_scan_determinismE0ELb0ES3_N6thrust23THRUST_200600_302600_NS6detail15normal_iteratorINS9_10device_ptrIiEEEENSB_INSC_IdEEEESG_dNS9_4plusIvEENS9_8equal_toIvEEdEE10hipError_tPvRmT2_T3_T4_T5_mT6_T7_P12ihipStream_tbENKUlT_T0_E_clISt17integral_constantIbLb0EES11_EEDaSW_SX_EUlSW_E_NS1_11comp_targetILNS1_3genE10ELNS1_11target_archE1201ELNS1_3gpuE5ELNS1_3repE0EEENS1_30default_config_static_selectorELNS0_4arch9wavefront6targetE0EEEvT1_,"axG",@progbits,_ZN7rocprim17ROCPRIM_400000_NS6detail17trampoline_kernelINS0_14default_configENS1_27scan_by_key_config_selectorIidEEZZNS1_16scan_by_key_implILNS1_25lookback_scan_determinismE0ELb0ES3_N6thrust23THRUST_200600_302600_NS6detail15normal_iteratorINS9_10device_ptrIiEEEENSB_INSC_IdEEEESG_dNS9_4plusIvEENS9_8equal_toIvEEdEE10hipError_tPvRmT2_T3_T4_T5_mT6_T7_P12ihipStream_tbENKUlT_T0_E_clISt17integral_constantIbLb0EES11_EEDaSW_SX_EUlSW_E_NS1_11comp_targetILNS1_3genE10ELNS1_11target_archE1201ELNS1_3gpuE5ELNS1_3repE0EEENS1_30default_config_static_selectorELNS0_4arch9wavefront6targetE0EEEvT1_,comdat
	.protected	_ZN7rocprim17ROCPRIM_400000_NS6detail17trampoline_kernelINS0_14default_configENS1_27scan_by_key_config_selectorIidEEZZNS1_16scan_by_key_implILNS1_25lookback_scan_determinismE0ELb0ES3_N6thrust23THRUST_200600_302600_NS6detail15normal_iteratorINS9_10device_ptrIiEEEENSB_INSC_IdEEEESG_dNS9_4plusIvEENS9_8equal_toIvEEdEE10hipError_tPvRmT2_T3_T4_T5_mT6_T7_P12ihipStream_tbENKUlT_T0_E_clISt17integral_constantIbLb0EES11_EEDaSW_SX_EUlSW_E_NS1_11comp_targetILNS1_3genE10ELNS1_11target_archE1201ELNS1_3gpuE5ELNS1_3repE0EEENS1_30default_config_static_selectorELNS0_4arch9wavefront6targetE0EEEvT1_ ; -- Begin function _ZN7rocprim17ROCPRIM_400000_NS6detail17trampoline_kernelINS0_14default_configENS1_27scan_by_key_config_selectorIidEEZZNS1_16scan_by_key_implILNS1_25lookback_scan_determinismE0ELb0ES3_N6thrust23THRUST_200600_302600_NS6detail15normal_iteratorINS9_10device_ptrIiEEEENSB_INSC_IdEEEESG_dNS9_4plusIvEENS9_8equal_toIvEEdEE10hipError_tPvRmT2_T3_T4_T5_mT6_T7_P12ihipStream_tbENKUlT_T0_E_clISt17integral_constantIbLb0EES11_EEDaSW_SX_EUlSW_E_NS1_11comp_targetILNS1_3genE10ELNS1_11target_archE1201ELNS1_3gpuE5ELNS1_3repE0EEENS1_30default_config_static_selectorELNS0_4arch9wavefront6targetE0EEEvT1_
	.globl	_ZN7rocprim17ROCPRIM_400000_NS6detail17trampoline_kernelINS0_14default_configENS1_27scan_by_key_config_selectorIidEEZZNS1_16scan_by_key_implILNS1_25lookback_scan_determinismE0ELb0ES3_N6thrust23THRUST_200600_302600_NS6detail15normal_iteratorINS9_10device_ptrIiEEEENSB_INSC_IdEEEESG_dNS9_4plusIvEENS9_8equal_toIvEEdEE10hipError_tPvRmT2_T3_T4_T5_mT6_T7_P12ihipStream_tbENKUlT_T0_E_clISt17integral_constantIbLb0EES11_EEDaSW_SX_EUlSW_E_NS1_11comp_targetILNS1_3genE10ELNS1_11target_archE1201ELNS1_3gpuE5ELNS1_3repE0EEENS1_30default_config_static_selectorELNS0_4arch9wavefront6targetE0EEEvT1_
	.p2align	8
	.type	_ZN7rocprim17ROCPRIM_400000_NS6detail17trampoline_kernelINS0_14default_configENS1_27scan_by_key_config_selectorIidEEZZNS1_16scan_by_key_implILNS1_25lookback_scan_determinismE0ELb0ES3_N6thrust23THRUST_200600_302600_NS6detail15normal_iteratorINS9_10device_ptrIiEEEENSB_INSC_IdEEEESG_dNS9_4plusIvEENS9_8equal_toIvEEdEE10hipError_tPvRmT2_T3_T4_T5_mT6_T7_P12ihipStream_tbENKUlT_T0_E_clISt17integral_constantIbLb0EES11_EEDaSW_SX_EUlSW_E_NS1_11comp_targetILNS1_3genE10ELNS1_11target_archE1201ELNS1_3gpuE5ELNS1_3repE0EEENS1_30default_config_static_selectorELNS0_4arch9wavefront6targetE0EEEvT1_,@function
_ZN7rocprim17ROCPRIM_400000_NS6detail17trampoline_kernelINS0_14default_configENS1_27scan_by_key_config_selectorIidEEZZNS1_16scan_by_key_implILNS1_25lookback_scan_determinismE0ELb0ES3_N6thrust23THRUST_200600_302600_NS6detail15normal_iteratorINS9_10device_ptrIiEEEENSB_INSC_IdEEEESG_dNS9_4plusIvEENS9_8equal_toIvEEdEE10hipError_tPvRmT2_T3_T4_T5_mT6_T7_P12ihipStream_tbENKUlT_T0_E_clISt17integral_constantIbLb0EES11_EEDaSW_SX_EUlSW_E_NS1_11comp_targetILNS1_3genE10ELNS1_11target_archE1201ELNS1_3gpuE5ELNS1_3repE0EEENS1_30default_config_static_selectorELNS0_4arch9wavefront6targetE0EEEvT1_: ; @_ZN7rocprim17ROCPRIM_400000_NS6detail17trampoline_kernelINS0_14default_configENS1_27scan_by_key_config_selectorIidEEZZNS1_16scan_by_key_implILNS1_25lookback_scan_determinismE0ELb0ES3_N6thrust23THRUST_200600_302600_NS6detail15normal_iteratorINS9_10device_ptrIiEEEENSB_INSC_IdEEEESG_dNS9_4plusIvEENS9_8equal_toIvEEdEE10hipError_tPvRmT2_T3_T4_T5_mT6_T7_P12ihipStream_tbENKUlT_T0_E_clISt17integral_constantIbLb0EES11_EEDaSW_SX_EUlSW_E_NS1_11comp_targetILNS1_3genE10ELNS1_11target_archE1201ELNS1_3gpuE5ELNS1_3repE0EEENS1_30default_config_static_selectorELNS0_4arch9wavefront6targetE0EEEvT1_
; %bb.0:
	.section	.rodata,"a",@progbits
	.p2align	6, 0x0
	.amdhsa_kernel _ZN7rocprim17ROCPRIM_400000_NS6detail17trampoline_kernelINS0_14default_configENS1_27scan_by_key_config_selectorIidEEZZNS1_16scan_by_key_implILNS1_25lookback_scan_determinismE0ELb0ES3_N6thrust23THRUST_200600_302600_NS6detail15normal_iteratorINS9_10device_ptrIiEEEENSB_INSC_IdEEEESG_dNS9_4plusIvEENS9_8equal_toIvEEdEE10hipError_tPvRmT2_T3_T4_T5_mT6_T7_P12ihipStream_tbENKUlT_T0_E_clISt17integral_constantIbLb0EES11_EEDaSW_SX_EUlSW_E_NS1_11comp_targetILNS1_3genE10ELNS1_11target_archE1201ELNS1_3gpuE5ELNS1_3repE0EEENS1_30default_config_static_selectorELNS0_4arch9wavefront6targetE0EEEvT1_
		.amdhsa_group_segment_fixed_size 0
		.amdhsa_private_segment_fixed_size 0
		.amdhsa_kernarg_size 136
		.amdhsa_user_sgpr_count 6
		.amdhsa_user_sgpr_private_segment_buffer 1
		.amdhsa_user_sgpr_dispatch_ptr 0
		.amdhsa_user_sgpr_queue_ptr 0
		.amdhsa_user_sgpr_kernarg_segment_ptr 1
		.amdhsa_user_sgpr_dispatch_id 0
		.amdhsa_user_sgpr_flat_scratch_init 0
		.amdhsa_user_sgpr_private_segment_size 0
		.amdhsa_wavefront_size32 1
		.amdhsa_uses_dynamic_stack 0
		.amdhsa_system_sgpr_private_segment_wavefront_offset 0
		.amdhsa_system_sgpr_workgroup_id_x 1
		.amdhsa_system_sgpr_workgroup_id_y 0
		.amdhsa_system_sgpr_workgroup_id_z 0
		.amdhsa_system_sgpr_workgroup_info 0
		.amdhsa_system_vgpr_workitem_id 0
		.amdhsa_next_free_vgpr 1
		.amdhsa_next_free_sgpr 1
		.amdhsa_reserve_vcc 0
		.amdhsa_reserve_flat_scratch 0
		.amdhsa_float_round_mode_32 0
		.amdhsa_float_round_mode_16_64 0
		.amdhsa_float_denorm_mode_32 3
		.amdhsa_float_denorm_mode_16_64 3
		.amdhsa_dx10_clamp 1
		.amdhsa_ieee_mode 1
		.amdhsa_fp16_overflow 0
		.amdhsa_workgroup_processor_mode 1
		.amdhsa_memory_ordered 1
		.amdhsa_forward_progress 1
		.amdhsa_shared_vgpr_count 0
		.amdhsa_exception_fp_ieee_invalid_op 0
		.amdhsa_exception_fp_denorm_src 0
		.amdhsa_exception_fp_ieee_div_zero 0
		.amdhsa_exception_fp_ieee_overflow 0
		.amdhsa_exception_fp_ieee_underflow 0
		.amdhsa_exception_fp_ieee_inexact 0
		.amdhsa_exception_int_div_zero 0
	.end_amdhsa_kernel
	.section	.text._ZN7rocprim17ROCPRIM_400000_NS6detail17trampoline_kernelINS0_14default_configENS1_27scan_by_key_config_selectorIidEEZZNS1_16scan_by_key_implILNS1_25lookback_scan_determinismE0ELb0ES3_N6thrust23THRUST_200600_302600_NS6detail15normal_iteratorINS9_10device_ptrIiEEEENSB_INSC_IdEEEESG_dNS9_4plusIvEENS9_8equal_toIvEEdEE10hipError_tPvRmT2_T3_T4_T5_mT6_T7_P12ihipStream_tbENKUlT_T0_E_clISt17integral_constantIbLb0EES11_EEDaSW_SX_EUlSW_E_NS1_11comp_targetILNS1_3genE10ELNS1_11target_archE1201ELNS1_3gpuE5ELNS1_3repE0EEENS1_30default_config_static_selectorELNS0_4arch9wavefront6targetE0EEEvT1_,"axG",@progbits,_ZN7rocprim17ROCPRIM_400000_NS6detail17trampoline_kernelINS0_14default_configENS1_27scan_by_key_config_selectorIidEEZZNS1_16scan_by_key_implILNS1_25lookback_scan_determinismE0ELb0ES3_N6thrust23THRUST_200600_302600_NS6detail15normal_iteratorINS9_10device_ptrIiEEEENSB_INSC_IdEEEESG_dNS9_4plusIvEENS9_8equal_toIvEEdEE10hipError_tPvRmT2_T3_T4_T5_mT6_T7_P12ihipStream_tbENKUlT_T0_E_clISt17integral_constantIbLb0EES11_EEDaSW_SX_EUlSW_E_NS1_11comp_targetILNS1_3genE10ELNS1_11target_archE1201ELNS1_3gpuE5ELNS1_3repE0EEENS1_30default_config_static_selectorELNS0_4arch9wavefront6targetE0EEEvT1_,comdat
.Lfunc_end1086:
	.size	_ZN7rocprim17ROCPRIM_400000_NS6detail17trampoline_kernelINS0_14default_configENS1_27scan_by_key_config_selectorIidEEZZNS1_16scan_by_key_implILNS1_25lookback_scan_determinismE0ELb0ES3_N6thrust23THRUST_200600_302600_NS6detail15normal_iteratorINS9_10device_ptrIiEEEENSB_INSC_IdEEEESG_dNS9_4plusIvEENS9_8equal_toIvEEdEE10hipError_tPvRmT2_T3_T4_T5_mT6_T7_P12ihipStream_tbENKUlT_T0_E_clISt17integral_constantIbLb0EES11_EEDaSW_SX_EUlSW_E_NS1_11comp_targetILNS1_3genE10ELNS1_11target_archE1201ELNS1_3gpuE5ELNS1_3repE0EEENS1_30default_config_static_selectorELNS0_4arch9wavefront6targetE0EEEvT1_, .Lfunc_end1086-_ZN7rocprim17ROCPRIM_400000_NS6detail17trampoline_kernelINS0_14default_configENS1_27scan_by_key_config_selectorIidEEZZNS1_16scan_by_key_implILNS1_25lookback_scan_determinismE0ELb0ES3_N6thrust23THRUST_200600_302600_NS6detail15normal_iteratorINS9_10device_ptrIiEEEENSB_INSC_IdEEEESG_dNS9_4plusIvEENS9_8equal_toIvEEdEE10hipError_tPvRmT2_T3_T4_T5_mT6_T7_P12ihipStream_tbENKUlT_T0_E_clISt17integral_constantIbLb0EES11_EEDaSW_SX_EUlSW_E_NS1_11comp_targetILNS1_3genE10ELNS1_11target_archE1201ELNS1_3gpuE5ELNS1_3repE0EEENS1_30default_config_static_selectorELNS0_4arch9wavefront6targetE0EEEvT1_
                                        ; -- End function
	.set _ZN7rocprim17ROCPRIM_400000_NS6detail17trampoline_kernelINS0_14default_configENS1_27scan_by_key_config_selectorIidEEZZNS1_16scan_by_key_implILNS1_25lookback_scan_determinismE0ELb0ES3_N6thrust23THRUST_200600_302600_NS6detail15normal_iteratorINS9_10device_ptrIiEEEENSB_INSC_IdEEEESG_dNS9_4plusIvEENS9_8equal_toIvEEdEE10hipError_tPvRmT2_T3_T4_T5_mT6_T7_P12ihipStream_tbENKUlT_T0_E_clISt17integral_constantIbLb0EES11_EEDaSW_SX_EUlSW_E_NS1_11comp_targetILNS1_3genE10ELNS1_11target_archE1201ELNS1_3gpuE5ELNS1_3repE0EEENS1_30default_config_static_selectorELNS0_4arch9wavefront6targetE0EEEvT1_.num_vgpr, 0
	.set _ZN7rocprim17ROCPRIM_400000_NS6detail17trampoline_kernelINS0_14default_configENS1_27scan_by_key_config_selectorIidEEZZNS1_16scan_by_key_implILNS1_25lookback_scan_determinismE0ELb0ES3_N6thrust23THRUST_200600_302600_NS6detail15normal_iteratorINS9_10device_ptrIiEEEENSB_INSC_IdEEEESG_dNS9_4plusIvEENS9_8equal_toIvEEdEE10hipError_tPvRmT2_T3_T4_T5_mT6_T7_P12ihipStream_tbENKUlT_T0_E_clISt17integral_constantIbLb0EES11_EEDaSW_SX_EUlSW_E_NS1_11comp_targetILNS1_3genE10ELNS1_11target_archE1201ELNS1_3gpuE5ELNS1_3repE0EEENS1_30default_config_static_selectorELNS0_4arch9wavefront6targetE0EEEvT1_.num_agpr, 0
	.set _ZN7rocprim17ROCPRIM_400000_NS6detail17trampoline_kernelINS0_14default_configENS1_27scan_by_key_config_selectorIidEEZZNS1_16scan_by_key_implILNS1_25lookback_scan_determinismE0ELb0ES3_N6thrust23THRUST_200600_302600_NS6detail15normal_iteratorINS9_10device_ptrIiEEEENSB_INSC_IdEEEESG_dNS9_4plusIvEENS9_8equal_toIvEEdEE10hipError_tPvRmT2_T3_T4_T5_mT6_T7_P12ihipStream_tbENKUlT_T0_E_clISt17integral_constantIbLb0EES11_EEDaSW_SX_EUlSW_E_NS1_11comp_targetILNS1_3genE10ELNS1_11target_archE1201ELNS1_3gpuE5ELNS1_3repE0EEENS1_30default_config_static_selectorELNS0_4arch9wavefront6targetE0EEEvT1_.numbered_sgpr, 0
	.set _ZN7rocprim17ROCPRIM_400000_NS6detail17trampoline_kernelINS0_14default_configENS1_27scan_by_key_config_selectorIidEEZZNS1_16scan_by_key_implILNS1_25lookback_scan_determinismE0ELb0ES3_N6thrust23THRUST_200600_302600_NS6detail15normal_iteratorINS9_10device_ptrIiEEEENSB_INSC_IdEEEESG_dNS9_4plusIvEENS9_8equal_toIvEEdEE10hipError_tPvRmT2_T3_T4_T5_mT6_T7_P12ihipStream_tbENKUlT_T0_E_clISt17integral_constantIbLb0EES11_EEDaSW_SX_EUlSW_E_NS1_11comp_targetILNS1_3genE10ELNS1_11target_archE1201ELNS1_3gpuE5ELNS1_3repE0EEENS1_30default_config_static_selectorELNS0_4arch9wavefront6targetE0EEEvT1_.num_named_barrier, 0
	.set _ZN7rocprim17ROCPRIM_400000_NS6detail17trampoline_kernelINS0_14default_configENS1_27scan_by_key_config_selectorIidEEZZNS1_16scan_by_key_implILNS1_25lookback_scan_determinismE0ELb0ES3_N6thrust23THRUST_200600_302600_NS6detail15normal_iteratorINS9_10device_ptrIiEEEENSB_INSC_IdEEEESG_dNS9_4plusIvEENS9_8equal_toIvEEdEE10hipError_tPvRmT2_T3_T4_T5_mT6_T7_P12ihipStream_tbENKUlT_T0_E_clISt17integral_constantIbLb0EES11_EEDaSW_SX_EUlSW_E_NS1_11comp_targetILNS1_3genE10ELNS1_11target_archE1201ELNS1_3gpuE5ELNS1_3repE0EEENS1_30default_config_static_selectorELNS0_4arch9wavefront6targetE0EEEvT1_.private_seg_size, 0
	.set _ZN7rocprim17ROCPRIM_400000_NS6detail17trampoline_kernelINS0_14default_configENS1_27scan_by_key_config_selectorIidEEZZNS1_16scan_by_key_implILNS1_25lookback_scan_determinismE0ELb0ES3_N6thrust23THRUST_200600_302600_NS6detail15normal_iteratorINS9_10device_ptrIiEEEENSB_INSC_IdEEEESG_dNS9_4plusIvEENS9_8equal_toIvEEdEE10hipError_tPvRmT2_T3_T4_T5_mT6_T7_P12ihipStream_tbENKUlT_T0_E_clISt17integral_constantIbLb0EES11_EEDaSW_SX_EUlSW_E_NS1_11comp_targetILNS1_3genE10ELNS1_11target_archE1201ELNS1_3gpuE5ELNS1_3repE0EEENS1_30default_config_static_selectorELNS0_4arch9wavefront6targetE0EEEvT1_.uses_vcc, 0
	.set _ZN7rocprim17ROCPRIM_400000_NS6detail17trampoline_kernelINS0_14default_configENS1_27scan_by_key_config_selectorIidEEZZNS1_16scan_by_key_implILNS1_25lookback_scan_determinismE0ELb0ES3_N6thrust23THRUST_200600_302600_NS6detail15normal_iteratorINS9_10device_ptrIiEEEENSB_INSC_IdEEEESG_dNS9_4plusIvEENS9_8equal_toIvEEdEE10hipError_tPvRmT2_T3_T4_T5_mT6_T7_P12ihipStream_tbENKUlT_T0_E_clISt17integral_constantIbLb0EES11_EEDaSW_SX_EUlSW_E_NS1_11comp_targetILNS1_3genE10ELNS1_11target_archE1201ELNS1_3gpuE5ELNS1_3repE0EEENS1_30default_config_static_selectorELNS0_4arch9wavefront6targetE0EEEvT1_.uses_flat_scratch, 0
	.set _ZN7rocprim17ROCPRIM_400000_NS6detail17trampoline_kernelINS0_14default_configENS1_27scan_by_key_config_selectorIidEEZZNS1_16scan_by_key_implILNS1_25lookback_scan_determinismE0ELb0ES3_N6thrust23THRUST_200600_302600_NS6detail15normal_iteratorINS9_10device_ptrIiEEEENSB_INSC_IdEEEESG_dNS9_4plusIvEENS9_8equal_toIvEEdEE10hipError_tPvRmT2_T3_T4_T5_mT6_T7_P12ihipStream_tbENKUlT_T0_E_clISt17integral_constantIbLb0EES11_EEDaSW_SX_EUlSW_E_NS1_11comp_targetILNS1_3genE10ELNS1_11target_archE1201ELNS1_3gpuE5ELNS1_3repE0EEENS1_30default_config_static_selectorELNS0_4arch9wavefront6targetE0EEEvT1_.has_dyn_sized_stack, 0
	.set _ZN7rocprim17ROCPRIM_400000_NS6detail17trampoline_kernelINS0_14default_configENS1_27scan_by_key_config_selectorIidEEZZNS1_16scan_by_key_implILNS1_25lookback_scan_determinismE0ELb0ES3_N6thrust23THRUST_200600_302600_NS6detail15normal_iteratorINS9_10device_ptrIiEEEENSB_INSC_IdEEEESG_dNS9_4plusIvEENS9_8equal_toIvEEdEE10hipError_tPvRmT2_T3_T4_T5_mT6_T7_P12ihipStream_tbENKUlT_T0_E_clISt17integral_constantIbLb0EES11_EEDaSW_SX_EUlSW_E_NS1_11comp_targetILNS1_3genE10ELNS1_11target_archE1201ELNS1_3gpuE5ELNS1_3repE0EEENS1_30default_config_static_selectorELNS0_4arch9wavefront6targetE0EEEvT1_.has_recursion, 0
	.set _ZN7rocprim17ROCPRIM_400000_NS6detail17trampoline_kernelINS0_14default_configENS1_27scan_by_key_config_selectorIidEEZZNS1_16scan_by_key_implILNS1_25lookback_scan_determinismE0ELb0ES3_N6thrust23THRUST_200600_302600_NS6detail15normal_iteratorINS9_10device_ptrIiEEEENSB_INSC_IdEEEESG_dNS9_4plusIvEENS9_8equal_toIvEEdEE10hipError_tPvRmT2_T3_T4_T5_mT6_T7_P12ihipStream_tbENKUlT_T0_E_clISt17integral_constantIbLb0EES11_EEDaSW_SX_EUlSW_E_NS1_11comp_targetILNS1_3genE10ELNS1_11target_archE1201ELNS1_3gpuE5ELNS1_3repE0EEENS1_30default_config_static_selectorELNS0_4arch9wavefront6targetE0EEEvT1_.has_indirect_call, 0
	.section	.AMDGPU.csdata,"",@progbits
; Kernel info:
; codeLenInByte = 0
; TotalNumSgprs: 0
; NumVgprs: 0
; ScratchSize: 0
; MemoryBound: 0
; FloatMode: 240
; IeeeMode: 1
; LDSByteSize: 0 bytes/workgroup (compile time only)
; SGPRBlocks: 0
; VGPRBlocks: 0
; NumSGPRsForWavesPerEU: 1
; NumVGPRsForWavesPerEU: 1
; Occupancy: 16
; WaveLimiterHint : 0
; COMPUTE_PGM_RSRC2:SCRATCH_EN: 0
; COMPUTE_PGM_RSRC2:USER_SGPR: 6
; COMPUTE_PGM_RSRC2:TRAP_HANDLER: 0
; COMPUTE_PGM_RSRC2:TGID_X_EN: 1
; COMPUTE_PGM_RSRC2:TGID_Y_EN: 0
; COMPUTE_PGM_RSRC2:TGID_Z_EN: 0
; COMPUTE_PGM_RSRC2:TIDIG_COMP_CNT: 0
	.section	.text._ZN7rocprim17ROCPRIM_400000_NS6detail17trampoline_kernelINS0_14default_configENS1_27scan_by_key_config_selectorIidEEZZNS1_16scan_by_key_implILNS1_25lookback_scan_determinismE0ELb0ES3_N6thrust23THRUST_200600_302600_NS6detail15normal_iteratorINS9_10device_ptrIiEEEENSB_INSC_IdEEEESG_dNS9_4plusIvEENS9_8equal_toIvEEdEE10hipError_tPvRmT2_T3_T4_T5_mT6_T7_P12ihipStream_tbENKUlT_T0_E_clISt17integral_constantIbLb0EES11_EEDaSW_SX_EUlSW_E_NS1_11comp_targetILNS1_3genE5ELNS1_11target_archE942ELNS1_3gpuE9ELNS1_3repE0EEENS1_30default_config_static_selectorELNS0_4arch9wavefront6targetE0EEEvT1_,"axG",@progbits,_ZN7rocprim17ROCPRIM_400000_NS6detail17trampoline_kernelINS0_14default_configENS1_27scan_by_key_config_selectorIidEEZZNS1_16scan_by_key_implILNS1_25lookback_scan_determinismE0ELb0ES3_N6thrust23THRUST_200600_302600_NS6detail15normal_iteratorINS9_10device_ptrIiEEEENSB_INSC_IdEEEESG_dNS9_4plusIvEENS9_8equal_toIvEEdEE10hipError_tPvRmT2_T3_T4_T5_mT6_T7_P12ihipStream_tbENKUlT_T0_E_clISt17integral_constantIbLb0EES11_EEDaSW_SX_EUlSW_E_NS1_11comp_targetILNS1_3genE5ELNS1_11target_archE942ELNS1_3gpuE9ELNS1_3repE0EEENS1_30default_config_static_selectorELNS0_4arch9wavefront6targetE0EEEvT1_,comdat
	.protected	_ZN7rocprim17ROCPRIM_400000_NS6detail17trampoline_kernelINS0_14default_configENS1_27scan_by_key_config_selectorIidEEZZNS1_16scan_by_key_implILNS1_25lookback_scan_determinismE0ELb0ES3_N6thrust23THRUST_200600_302600_NS6detail15normal_iteratorINS9_10device_ptrIiEEEENSB_INSC_IdEEEESG_dNS9_4plusIvEENS9_8equal_toIvEEdEE10hipError_tPvRmT2_T3_T4_T5_mT6_T7_P12ihipStream_tbENKUlT_T0_E_clISt17integral_constantIbLb0EES11_EEDaSW_SX_EUlSW_E_NS1_11comp_targetILNS1_3genE5ELNS1_11target_archE942ELNS1_3gpuE9ELNS1_3repE0EEENS1_30default_config_static_selectorELNS0_4arch9wavefront6targetE0EEEvT1_ ; -- Begin function _ZN7rocprim17ROCPRIM_400000_NS6detail17trampoline_kernelINS0_14default_configENS1_27scan_by_key_config_selectorIidEEZZNS1_16scan_by_key_implILNS1_25lookback_scan_determinismE0ELb0ES3_N6thrust23THRUST_200600_302600_NS6detail15normal_iteratorINS9_10device_ptrIiEEEENSB_INSC_IdEEEESG_dNS9_4plusIvEENS9_8equal_toIvEEdEE10hipError_tPvRmT2_T3_T4_T5_mT6_T7_P12ihipStream_tbENKUlT_T0_E_clISt17integral_constantIbLb0EES11_EEDaSW_SX_EUlSW_E_NS1_11comp_targetILNS1_3genE5ELNS1_11target_archE942ELNS1_3gpuE9ELNS1_3repE0EEENS1_30default_config_static_selectorELNS0_4arch9wavefront6targetE0EEEvT1_
	.globl	_ZN7rocprim17ROCPRIM_400000_NS6detail17trampoline_kernelINS0_14default_configENS1_27scan_by_key_config_selectorIidEEZZNS1_16scan_by_key_implILNS1_25lookback_scan_determinismE0ELb0ES3_N6thrust23THRUST_200600_302600_NS6detail15normal_iteratorINS9_10device_ptrIiEEEENSB_INSC_IdEEEESG_dNS9_4plusIvEENS9_8equal_toIvEEdEE10hipError_tPvRmT2_T3_T4_T5_mT6_T7_P12ihipStream_tbENKUlT_T0_E_clISt17integral_constantIbLb0EES11_EEDaSW_SX_EUlSW_E_NS1_11comp_targetILNS1_3genE5ELNS1_11target_archE942ELNS1_3gpuE9ELNS1_3repE0EEENS1_30default_config_static_selectorELNS0_4arch9wavefront6targetE0EEEvT1_
	.p2align	8
	.type	_ZN7rocprim17ROCPRIM_400000_NS6detail17trampoline_kernelINS0_14default_configENS1_27scan_by_key_config_selectorIidEEZZNS1_16scan_by_key_implILNS1_25lookback_scan_determinismE0ELb0ES3_N6thrust23THRUST_200600_302600_NS6detail15normal_iteratorINS9_10device_ptrIiEEEENSB_INSC_IdEEEESG_dNS9_4plusIvEENS9_8equal_toIvEEdEE10hipError_tPvRmT2_T3_T4_T5_mT6_T7_P12ihipStream_tbENKUlT_T0_E_clISt17integral_constantIbLb0EES11_EEDaSW_SX_EUlSW_E_NS1_11comp_targetILNS1_3genE5ELNS1_11target_archE942ELNS1_3gpuE9ELNS1_3repE0EEENS1_30default_config_static_selectorELNS0_4arch9wavefront6targetE0EEEvT1_,@function
_ZN7rocprim17ROCPRIM_400000_NS6detail17trampoline_kernelINS0_14default_configENS1_27scan_by_key_config_selectorIidEEZZNS1_16scan_by_key_implILNS1_25lookback_scan_determinismE0ELb0ES3_N6thrust23THRUST_200600_302600_NS6detail15normal_iteratorINS9_10device_ptrIiEEEENSB_INSC_IdEEEESG_dNS9_4plusIvEENS9_8equal_toIvEEdEE10hipError_tPvRmT2_T3_T4_T5_mT6_T7_P12ihipStream_tbENKUlT_T0_E_clISt17integral_constantIbLb0EES11_EEDaSW_SX_EUlSW_E_NS1_11comp_targetILNS1_3genE5ELNS1_11target_archE942ELNS1_3gpuE9ELNS1_3repE0EEENS1_30default_config_static_selectorELNS0_4arch9wavefront6targetE0EEEvT1_: ; @_ZN7rocprim17ROCPRIM_400000_NS6detail17trampoline_kernelINS0_14default_configENS1_27scan_by_key_config_selectorIidEEZZNS1_16scan_by_key_implILNS1_25lookback_scan_determinismE0ELb0ES3_N6thrust23THRUST_200600_302600_NS6detail15normal_iteratorINS9_10device_ptrIiEEEENSB_INSC_IdEEEESG_dNS9_4plusIvEENS9_8equal_toIvEEdEE10hipError_tPvRmT2_T3_T4_T5_mT6_T7_P12ihipStream_tbENKUlT_T0_E_clISt17integral_constantIbLb0EES11_EEDaSW_SX_EUlSW_E_NS1_11comp_targetILNS1_3genE5ELNS1_11target_archE942ELNS1_3gpuE9ELNS1_3repE0EEENS1_30default_config_static_selectorELNS0_4arch9wavefront6targetE0EEEvT1_
; %bb.0:
	.section	.rodata,"a",@progbits
	.p2align	6, 0x0
	.amdhsa_kernel _ZN7rocprim17ROCPRIM_400000_NS6detail17trampoline_kernelINS0_14default_configENS1_27scan_by_key_config_selectorIidEEZZNS1_16scan_by_key_implILNS1_25lookback_scan_determinismE0ELb0ES3_N6thrust23THRUST_200600_302600_NS6detail15normal_iteratorINS9_10device_ptrIiEEEENSB_INSC_IdEEEESG_dNS9_4plusIvEENS9_8equal_toIvEEdEE10hipError_tPvRmT2_T3_T4_T5_mT6_T7_P12ihipStream_tbENKUlT_T0_E_clISt17integral_constantIbLb0EES11_EEDaSW_SX_EUlSW_E_NS1_11comp_targetILNS1_3genE5ELNS1_11target_archE942ELNS1_3gpuE9ELNS1_3repE0EEENS1_30default_config_static_selectorELNS0_4arch9wavefront6targetE0EEEvT1_
		.amdhsa_group_segment_fixed_size 0
		.amdhsa_private_segment_fixed_size 0
		.amdhsa_kernarg_size 136
		.amdhsa_user_sgpr_count 6
		.amdhsa_user_sgpr_private_segment_buffer 1
		.amdhsa_user_sgpr_dispatch_ptr 0
		.amdhsa_user_sgpr_queue_ptr 0
		.amdhsa_user_sgpr_kernarg_segment_ptr 1
		.amdhsa_user_sgpr_dispatch_id 0
		.amdhsa_user_sgpr_flat_scratch_init 0
		.amdhsa_user_sgpr_private_segment_size 0
		.amdhsa_wavefront_size32 1
		.amdhsa_uses_dynamic_stack 0
		.amdhsa_system_sgpr_private_segment_wavefront_offset 0
		.amdhsa_system_sgpr_workgroup_id_x 1
		.amdhsa_system_sgpr_workgroup_id_y 0
		.amdhsa_system_sgpr_workgroup_id_z 0
		.amdhsa_system_sgpr_workgroup_info 0
		.amdhsa_system_vgpr_workitem_id 0
		.amdhsa_next_free_vgpr 1
		.amdhsa_next_free_sgpr 1
		.amdhsa_reserve_vcc 0
		.amdhsa_reserve_flat_scratch 0
		.amdhsa_float_round_mode_32 0
		.amdhsa_float_round_mode_16_64 0
		.amdhsa_float_denorm_mode_32 3
		.amdhsa_float_denorm_mode_16_64 3
		.amdhsa_dx10_clamp 1
		.amdhsa_ieee_mode 1
		.amdhsa_fp16_overflow 0
		.amdhsa_workgroup_processor_mode 1
		.amdhsa_memory_ordered 1
		.amdhsa_forward_progress 1
		.amdhsa_shared_vgpr_count 0
		.amdhsa_exception_fp_ieee_invalid_op 0
		.amdhsa_exception_fp_denorm_src 0
		.amdhsa_exception_fp_ieee_div_zero 0
		.amdhsa_exception_fp_ieee_overflow 0
		.amdhsa_exception_fp_ieee_underflow 0
		.amdhsa_exception_fp_ieee_inexact 0
		.amdhsa_exception_int_div_zero 0
	.end_amdhsa_kernel
	.section	.text._ZN7rocprim17ROCPRIM_400000_NS6detail17trampoline_kernelINS0_14default_configENS1_27scan_by_key_config_selectorIidEEZZNS1_16scan_by_key_implILNS1_25lookback_scan_determinismE0ELb0ES3_N6thrust23THRUST_200600_302600_NS6detail15normal_iteratorINS9_10device_ptrIiEEEENSB_INSC_IdEEEESG_dNS9_4plusIvEENS9_8equal_toIvEEdEE10hipError_tPvRmT2_T3_T4_T5_mT6_T7_P12ihipStream_tbENKUlT_T0_E_clISt17integral_constantIbLb0EES11_EEDaSW_SX_EUlSW_E_NS1_11comp_targetILNS1_3genE5ELNS1_11target_archE942ELNS1_3gpuE9ELNS1_3repE0EEENS1_30default_config_static_selectorELNS0_4arch9wavefront6targetE0EEEvT1_,"axG",@progbits,_ZN7rocprim17ROCPRIM_400000_NS6detail17trampoline_kernelINS0_14default_configENS1_27scan_by_key_config_selectorIidEEZZNS1_16scan_by_key_implILNS1_25lookback_scan_determinismE0ELb0ES3_N6thrust23THRUST_200600_302600_NS6detail15normal_iteratorINS9_10device_ptrIiEEEENSB_INSC_IdEEEESG_dNS9_4plusIvEENS9_8equal_toIvEEdEE10hipError_tPvRmT2_T3_T4_T5_mT6_T7_P12ihipStream_tbENKUlT_T0_E_clISt17integral_constantIbLb0EES11_EEDaSW_SX_EUlSW_E_NS1_11comp_targetILNS1_3genE5ELNS1_11target_archE942ELNS1_3gpuE9ELNS1_3repE0EEENS1_30default_config_static_selectorELNS0_4arch9wavefront6targetE0EEEvT1_,comdat
.Lfunc_end1087:
	.size	_ZN7rocprim17ROCPRIM_400000_NS6detail17trampoline_kernelINS0_14default_configENS1_27scan_by_key_config_selectorIidEEZZNS1_16scan_by_key_implILNS1_25lookback_scan_determinismE0ELb0ES3_N6thrust23THRUST_200600_302600_NS6detail15normal_iteratorINS9_10device_ptrIiEEEENSB_INSC_IdEEEESG_dNS9_4plusIvEENS9_8equal_toIvEEdEE10hipError_tPvRmT2_T3_T4_T5_mT6_T7_P12ihipStream_tbENKUlT_T0_E_clISt17integral_constantIbLb0EES11_EEDaSW_SX_EUlSW_E_NS1_11comp_targetILNS1_3genE5ELNS1_11target_archE942ELNS1_3gpuE9ELNS1_3repE0EEENS1_30default_config_static_selectorELNS0_4arch9wavefront6targetE0EEEvT1_, .Lfunc_end1087-_ZN7rocprim17ROCPRIM_400000_NS6detail17trampoline_kernelINS0_14default_configENS1_27scan_by_key_config_selectorIidEEZZNS1_16scan_by_key_implILNS1_25lookback_scan_determinismE0ELb0ES3_N6thrust23THRUST_200600_302600_NS6detail15normal_iteratorINS9_10device_ptrIiEEEENSB_INSC_IdEEEESG_dNS9_4plusIvEENS9_8equal_toIvEEdEE10hipError_tPvRmT2_T3_T4_T5_mT6_T7_P12ihipStream_tbENKUlT_T0_E_clISt17integral_constantIbLb0EES11_EEDaSW_SX_EUlSW_E_NS1_11comp_targetILNS1_3genE5ELNS1_11target_archE942ELNS1_3gpuE9ELNS1_3repE0EEENS1_30default_config_static_selectorELNS0_4arch9wavefront6targetE0EEEvT1_
                                        ; -- End function
	.set _ZN7rocprim17ROCPRIM_400000_NS6detail17trampoline_kernelINS0_14default_configENS1_27scan_by_key_config_selectorIidEEZZNS1_16scan_by_key_implILNS1_25lookback_scan_determinismE0ELb0ES3_N6thrust23THRUST_200600_302600_NS6detail15normal_iteratorINS9_10device_ptrIiEEEENSB_INSC_IdEEEESG_dNS9_4plusIvEENS9_8equal_toIvEEdEE10hipError_tPvRmT2_T3_T4_T5_mT6_T7_P12ihipStream_tbENKUlT_T0_E_clISt17integral_constantIbLb0EES11_EEDaSW_SX_EUlSW_E_NS1_11comp_targetILNS1_3genE5ELNS1_11target_archE942ELNS1_3gpuE9ELNS1_3repE0EEENS1_30default_config_static_selectorELNS0_4arch9wavefront6targetE0EEEvT1_.num_vgpr, 0
	.set _ZN7rocprim17ROCPRIM_400000_NS6detail17trampoline_kernelINS0_14default_configENS1_27scan_by_key_config_selectorIidEEZZNS1_16scan_by_key_implILNS1_25lookback_scan_determinismE0ELb0ES3_N6thrust23THRUST_200600_302600_NS6detail15normal_iteratorINS9_10device_ptrIiEEEENSB_INSC_IdEEEESG_dNS9_4plusIvEENS9_8equal_toIvEEdEE10hipError_tPvRmT2_T3_T4_T5_mT6_T7_P12ihipStream_tbENKUlT_T0_E_clISt17integral_constantIbLb0EES11_EEDaSW_SX_EUlSW_E_NS1_11comp_targetILNS1_3genE5ELNS1_11target_archE942ELNS1_3gpuE9ELNS1_3repE0EEENS1_30default_config_static_selectorELNS0_4arch9wavefront6targetE0EEEvT1_.num_agpr, 0
	.set _ZN7rocprim17ROCPRIM_400000_NS6detail17trampoline_kernelINS0_14default_configENS1_27scan_by_key_config_selectorIidEEZZNS1_16scan_by_key_implILNS1_25lookback_scan_determinismE0ELb0ES3_N6thrust23THRUST_200600_302600_NS6detail15normal_iteratorINS9_10device_ptrIiEEEENSB_INSC_IdEEEESG_dNS9_4plusIvEENS9_8equal_toIvEEdEE10hipError_tPvRmT2_T3_T4_T5_mT6_T7_P12ihipStream_tbENKUlT_T0_E_clISt17integral_constantIbLb0EES11_EEDaSW_SX_EUlSW_E_NS1_11comp_targetILNS1_3genE5ELNS1_11target_archE942ELNS1_3gpuE9ELNS1_3repE0EEENS1_30default_config_static_selectorELNS0_4arch9wavefront6targetE0EEEvT1_.numbered_sgpr, 0
	.set _ZN7rocprim17ROCPRIM_400000_NS6detail17trampoline_kernelINS0_14default_configENS1_27scan_by_key_config_selectorIidEEZZNS1_16scan_by_key_implILNS1_25lookback_scan_determinismE0ELb0ES3_N6thrust23THRUST_200600_302600_NS6detail15normal_iteratorINS9_10device_ptrIiEEEENSB_INSC_IdEEEESG_dNS9_4plusIvEENS9_8equal_toIvEEdEE10hipError_tPvRmT2_T3_T4_T5_mT6_T7_P12ihipStream_tbENKUlT_T0_E_clISt17integral_constantIbLb0EES11_EEDaSW_SX_EUlSW_E_NS1_11comp_targetILNS1_3genE5ELNS1_11target_archE942ELNS1_3gpuE9ELNS1_3repE0EEENS1_30default_config_static_selectorELNS0_4arch9wavefront6targetE0EEEvT1_.num_named_barrier, 0
	.set _ZN7rocprim17ROCPRIM_400000_NS6detail17trampoline_kernelINS0_14default_configENS1_27scan_by_key_config_selectorIidEEZZNS1_16scan_by_key_implILNS1_25lookback_scan_determinismE0ELb0ES3_N6thrust23THRUST_200600_302600_NS6detail15normal_iteratorINS9_10device_ptrIiEEEENSB_INSC_IdEEEESG_dNS9_4plusIvEENS9_8equal_toIvEEdEE10hipError_tPvRmT2_T3_T4_T5_mT6_T7_P12ihipStream_tbENKUlT_T0_E_clISt17integral_constantIbLb0EES11_EEDaSW_SX_EUlSW_E_NS1_11comp_targetILNS1_3genE5ELNS1_11target_archE942ELNS1_3gpuE9ELNS1_3repE0EEENS1_30default_config_static_selectorELNS0_4arch9wavefront6targetE0EEEvT1_.private_seg_size, 0
	.set _ZN7rocprim17ROCPRIM_400000_NS6detail17trampoline_kernelINS0_14default_configENS1_27scan_by_key_config_selectorIidEEZZNS1_16scan_by_key_implILNS1_25lookback_scan_determinismE0ELb0ES3_N6thrust23THRUST_200600_302600_NS6detail15normal_iteratorINS9_10device_ptrIiEEEENSB_INSC_IdEEEESG_dNS9_4plusIvEENS9_8equal_toIvEEdEE10hipError_tPvRmT2_T3_T4_T5_mT6_T7_P12ihipStream_tbENKUlT_T0_E_clISt17integral_constantIbLb0EES11_EEDaSW_SX_EUlSW_E_NS1_11comp_targetILNS1_3genE5ELNS1_11target_archE942ELNS1_3gpuE9ELNS1_3repE0EEENS1_30default_config_static_selectorELNS0_4arch9wavefront6targetE0EEEvT1_.uses_vcc, 0
	.set _ZN7rocprim17ROCPRIM_400000_NS6detail17trampoline_kernelINS0_14default_configENS1_27scan_by_key_config_selectorIidEEZZNS1_16scan_by_key_implILNS1_25lookback_scan_determinismE0ELb0ES3_N6thrust23THRUST_200600_302600_NS6detail15normal_iteratorINS9_10device_ptrIiEEEENSB_INSC_IdEEEESG_dNS9_4plusIvEENS9_8equal_toIvEEdEE10hipError_tPvRmT2_T3_T4_T5_mT6_T7_P12ihipStream_tbENKUlT_T0_E_clISt17integral_constantIbLb0EES11_EEDaSW_SX_EUlSW_E_NS1_11comp_targetILNS1_3genE5ELNS1_11target_archE942ELNS1_3gpuE9ELNS1_3repE0EEENS1_30default_config_static_selectorELNS0_4arch9wavefront6targetE0EEEvT1_.uses_flat_scratch, 0
	.set _ZN7rocprim17ROCPRIM_400000_NS6detail17trampoline_kernelINS0_14default_configENS1_27scan_by_key_config_selectorIidEEZZNS1_16scan_by_key_implILNS1_25lookback_scan_determinismE0ELb0ES3_N6thrust23THRUST_200600_302600_NS6detail15normal_iteratorINS9_10device_ptrIiEEEENSB_INSC_IdEEEESG_dNS9_4plusIvEENS9_8equal_toIvEEdEE10hipError_tPvRmT2_T3_T4_T5_mT6_T7_P12ihipStream_tbENKUlT_T0_E_clISt17integral_constantIbLb0EES11_EEDaSW_SX_EUlSW_E_NS1_11comp_targetILNS1_3genE5ELNS1_11target_archE942ELNS1_3gpuE9ELNS1_3repE0EEENS1_30default_config_static_selectorELNS0_4arch9wavefront6targetE0EEEvT1_.has_dyn_sized_stack, 0
	.set _ZN7rocprim17ROCPRIM_400000_NS6detail17trampoline_kernelINS0_14default_configENS1_27scan_by_key_config_selectorIidEEZZNS1_16scan_by_key_implILNS1_25lookback_scan_determinismE0ELb0ES3_N6thrust23THRUST_200600_302600_NS6detail15normal_iteratorINS9_10device_ptrIiEEEENSB_INSC_IdEEEESG_dNS9_4plusIvEENS9_8equal_toIvEEdEE10hipError_tPvRmT2_T3_T4_T5_mT6_T7_P12ihipStream_tbENKUlT_T0_E_clISt17integral_constantIbLb0EES11_EEDaSW_SX_EUlSW_E_NS1_11comp_targetILNS1_3genE5ELNS1_11target_archE942ELNS1_3gpuE9ELNS1_3repE0EEENS1_30default_config_static_selectorELNS0_4arch9wavefront6targetE0EEEvT1_.has_recursion, 0
	.set _ZN7rocprim17ROCPRIM_400000_NS6detail17trampoline_kernelINS0_14default_configENS1_27scan_by_key_config_selectorIidEEZZNS1_16scan_by_key_implILNS1_25lookback_scan_determinismE0ELb0ES3_N6thrust23THRUST_200600_302600_NS6detail15normal_iteratorINS9_10device_ptrIiEEEENSB_INSC_IdEEEESG_dNS9_4plusIvEENS9_8equal_toIvEEdEE10hipError_tPvRmT2_T3_T4_T5_mT6_T7_P12ihipStream_tbENKUlT_T0_E_clISt17integral_constantIbLb0EES11_EEDaSW_SX_EUlSW_E_NS1_11comp_targetILNS1_3genE5ELNS1_11target_archE942ELNS1_3gpuE9ELNS1_3repE0EEENS1_30default_config_static_selectorELNS0_4arch9wavefront6targetE0EEEvT1_.has_indirect_call, 0
	.section	.AMDGPU.csdata,"",@progbits
; Kernel info:
; codeLenInByte = 0
; TotalNumSgprs: 0
; NumVgprs: 0
; ScratchSize: 0
; MemoryBound: 0
; FloatMode: 240
; IeeeMode: 1
; LDSByteSize: 0 bytes/workgroup (compile time only)
; SGPRBlocks: 0
; VGPRBlocks: 0
; NumSGPRsForWavesPerEU: 1
; NumVGPRsForWavesPerEU: 1
; Occupancy: 16
; WaveLimiterHint : 0
; COMPUTE_PGM_RSRC2:SCRATCH_EN: 0
; COMPUTE_PGM_RSRC2:USER_SGPR: 6
; COMPUTE_PGM_RSRC2:TRAP_HANDLER: 0
; COMPUTE_PGM_RSRC2:TGID_X_EN: 1
; COMPUTE_PGM_RSRC2:TGID_Y_EN: 0
; COMPUTE_PGM_RSRC2:TGID_Z_EN: 0
; COMPUTE_PGM_RSRC2:TIDIG_COMP_CNT: 0
	.section	.text._ZN7rocprim17ROCPRIM_400000_NS6detail17trampoline_kernelINS0_14default_configENS1_27scan_by_key_config_selectorIidEEZZNS1_16scan_by_key_implILNS1_25lookback_scan_determinismE0ELb0ES3_N6thrust23THRUST_200600_302600_NS6detail15normal_iteratorINS9_10device_ptrIiEEEENSB_INSC_IdEEEESG_dNS9_4plusIvEENS9_8equal_toIvEEdEE10hipError_tPvRmT2_T3_T4_T5_mT6_T7_P12ihipStream_tbENKUlT_T0_E_clISt17integral_constantIbLb0EES11_EEDaSW_SX_EUlSW_E_NS1_11comp_targetILNS1_3genE4ELNS1_11target_archE910ELNS1_3gpuE8ELNS1_3repE0EEENS1_30default_config_static_selectorELNS0_4arch9wavefront6targetE0EEEvT1_,"axG",@progbits,_ZN7rocprim17ROCPRIM_400000_NS6detail17trampoline_kernelINS0_14default_configENS1_27scan_by_key_config_selectorIidEEZZNS1_16scan_by_key_implILNS1_25lookback_scan_determinismE0ELb0ES3_N6thrust23THRUST_200600_302600_NS6detail15normal_iteratorINS9_10device_ptrIiEEEENSB_INSC_IdEEEESG_dNS9_4plusIvEENS9_8equal_toIvEEdEE10hipError_tPvRmT2_T3_T4_T5_mT6_T7_P12ihipStream_tbENKUlT_T0_E_clISt17integral_constantIbLb0EES11_EEDaSW_SX_EUlSW_E_NS1_11comp_targetILNS1_3genE4ELNS1_11target_archE910ELNS1_3gpuE8ELNS1_3repE0EEENS1_30default_config_static_selectorELNS0_4arch9wavefront6targetE0EEEvT1_,comdat
	.protected	_ZN7rocprim17ROCPRIM_400000_NS6detail17trampoline_kernelINS0_14default_configENS1_27scan_by_key_config_selectorIidEEZZNS1_16scan_by_key_implILNS1_25lookback_scan_determinismE0ELb0ES3_N6thrust23THRUST_200600_302600_NS6detail15normal_iteratorINS9_10device_ptrIiEEEENSB_INSC_IdEEEESG_dNS9_4plusIvEENS9_8equal_toIvEEdEE10hipError_tPvRmT2_T3_T4_T5_mT6_T7_P12ihipStream_tbENKUlT_T0_E_clISt17integral_constantIbLb0EES11_EEDaSW_SX_EUlSW_E_NS1_11comp_targetILNS1_3genE4ELNS1_11target_archE910ELNS1_3gpuE8ELNS1_3repE0EEENS1_30default_config_static_selectorELNS0_4arch9wavefront6targetE0EEEvT1_ ; -- Begin function _ZN7rocprim17ROCPRIM_400000_NS6detail17trampoline_kernelINS0_14default_configENS1_27scan_by_key_config_selectorIidEEZZNS1_16scan_by_key_implILNS1_25lookback_scan_determinismE0ELb0ES3_N6thrust23THRUST_200600_302600_NS6detail15normal_iteratorINS9_10device_ptrIiEEEENSB_INSC_IdEEEESG_dNS9_4plusIvEENS9_8equal_toIvEEdEE10hipError_tPvRmT2_T3_T4_T5_mT6_T7_P12ihipStream_tbENKUlT_T0_E_clISt17integral_constantIbLb0EES11_EEDaSW_SX_EUlSW_E_NS1_11comp_targetILNS1_3genE4ELNS1_11target_archE910ELNS1_3gpuE8ELNS1_3repE0EEENS1_30default_config_static_selectorELNS0_4arch9wavefront6targetE0EEEvT1_
	.globl	_ZN7rocprim17ROCPRIM_400000_NS6detail17trampoline_kernelINS0_14default_configENS1_27scan_by_key_config_selectorIidEEZZNS1_16scan_by_key_implILNS1_25lookback_scan_determinismE0ELb0ES3_N6thrust23THRUST_200600_302600_NS6detail15normal_iteratorINS9_10device_ptrIiEEEENSB_INSC_IdEEEESG_dNS9_4plusIvEENS9_8equal_toIvEEdEE10hipError_tPvRmT2_T3_T4_T5_mT6_T7_P12ihipStream_tbENKUlT_T0_E_clISt17integral_constantIbLb0EES11_EEDaSW_SX_EUlSW_E_NS1_11comp_targetILNS1_3genE4ELNS1_11target_archE910ELNS1_3gpuE8ELNS1_3repE0EEENS1_30default_config_static_selectorELNS0_4arch9wavefront6targetE0EEEvT1_
	.p2align	8
	.type	_ZN7rocprim17ROCPRIM_400000_NS6detail17trampoline_kernelINS0_14default_configENS1_27scan_by_key_config_selectorIidEEZZNS1_16scan_by_key_implILNS1_25lookback_scan_determinismE0ELb0ES3_N6thrust23THRUST_200600_302600_NS6detail15normal_iteratorINS9_10device_ptrIiEEEENSB_INSC_IdEEEESG_dNS9_4plusIvEENS9_8equal_toIvEEdEE10hipError_tPvRmT2_T3_T4_T5_mT6_T7_P12ihipStream_tbENKUlT_T0_E_clISt17integral_constantIbLb0EES11_EEDaSW_SX_EUlSW_E_NS1_11comp_targetILNS1_3genE4ELNS1_11target_archE910ELNS1_3gpuE8ELNS1_3repE0EEENS1_30default_config_static_selectorELNS0_4arch9wavefront6targetE0EEEvT1_,@function
_ZN7rocprim17ROCPRIM_400000_NS6detail17trampoline_kernelINS0_14default_configENS1_27scan_by_key_config_selectorIidEEZZNS1_16scan_by_key_implILNS1_25lookback_scan_determinismE0ELb0ES3_N6thrust23THRUST_200600_302600_NS6detail15normal_iteratorINS9_10device_ptrIiEEEENSB_INSC_IdEEEESG_dNS9_4plusIvEENS9_8equal_toIvEEdEE10hipError_tPvRmT2_T3_T4_T5_mT6_T7_P12ihipStream_tbENKUlT_T0_E_clISt17integral_constantIbLb0EES11_EEDaSW_SX_EUlSW_E_NS1_11comp_targetILNS1_3genE4ELNS1_11target_archE910ELNS1_3gpuE8ELNS1_3repE0EEENS1_30default_config_static_selectorELNS0_4arch9wavefront6targetE0EEEvT1_: ; @_ZN7rocprim17ROCPRIM_400000_NS6detail17trampoline_kernelINS0_14default_configENS1_27scan_by_key_config_selectorIidEEZZNS1_16scan_by_key_implILNS1_25lookback_scan_determinismE0ELb0ES3_N6thrust23THRUST_200600_302600_NS6detail15normal_iteratorINS9_10device_ptrIiEEEENSB_INSC_IdEEEESG_dNS9_4plusIvEENS9_8equal_toIvEEdEE10hipError_tPvRmT2_T3_T4_T5_mT6_T7_P12ihipStream_tbENKUlT_T0_E_clISt17integral_constantIbLb0EES11_EEDaSW_SX_EUlSW_E_NS1_11comp_targetILNS1_3genE4ELNS1_11target_archE910ELNS1_3gpuE8ELNS1_3repE0EEENS1_30default_config_static_selectorELNS0_4arch9wavefront6targetE0EEEvT1_
; %bb.0:
	.section	.rodata,"a",@progbits
	.p2align	6, 0x0
	.amdhsa_kernel _ZN7rocprim17ROCPRIM_400000_NS6detail17trampoline_kernelINS0_14default_configENS1_27scan_by_key_config_selectorIidEEZZNS1_16scan_by_key_implILNS1_25lookback_scan_determinismE0ELb0ES3_N6thrust23THRUST_200600_302600_NS6detail15normal_iteratorINS9_10device_ptrIiEEEENSB_INSC_IdEEEESG_dNS9_4plusIvEENS9_8equal_toIvEEdEE10hipError_tPvRmT2_T3_T4_T5_mT6_T7_P12ihipStream_tbENKUlT_T0_E_clISt17integral_constantIbLb0EES11_EEDaSW_SX_EUlSW_E_NS1_11comp_targetILNS1_3genE4ELNS1_11target_archE910ELNS1_3gpuE8ELNS1_3repE0EEENS1_30default_config_static_selectorELNS0_4arch9wavefront6targetE0EEEvT1_
		.amdhsa_group_segment_fixed_size 0
		.amdhsa_private_segment_fixed_size 0
		.amdhsa_kernarg_size 136
		.amdhsa_user_sgpr_count 6
		.amdhsa_user_sgpr_private_segment_buffer 1
		.amdhsa_user_sgpr_dispatch_ptr 0
		.amdhsa_user_sgpr_queue_ptr 0
		.amdhsa_user_sgpr_kernarg_segment_ptr 1
		.amdhsa_user_sgpr_dispatch_id 0
		.amdhsa_user_sgpr_flat_scratch_init 0
		.amdhsa_user_sgpr_private_segment_size 0
		.amdhsa_wavefront_size32 1
		.amdhsa_uses_dynamic_stack 0
		.amdhsa_system_sgpr_private_segment_wavefront_offset 0
		.amdhsa_system_sgpr_workgroup_id_x 1
		.amdhsa_system_sgpr_workgroup_id_y 0
		.amdhsa_system_sgpr_workgroup_id_z 0
		.amdhsa_system_sgpr_workgroup_info 0
		.amdhsa_system_vgpr_workitem_id 0
		.amdhsa_next_free_vgpr 1
		.amdhsa_next_free_sgpr 1
		.amdhsa_reserve_vcc 0
		.amdhsa_reserve_flat_scratch 0
		.amdhsa_float_round_mode_32 0
		.amdhsa_float_round_mode_16_64 0
		.amdhsa_float_denorm_mode_32 3
		.amdhsa_float_denorm_mode_16_64 3
		.amdhsa_dx10_clamp 1
		.amdhsa_ieee_mode 1
		.amdhsa_fp16_overflow 0
		.amdhsa_workgroup_processor_mode 1
		.amdhsa_memory_ordered 1
		.amdhsa_forward_progress 1
		.amdhsa_shared_vgpr_count 0
		.amdhsa_exception_fp_ieee_invalid_op 0
		.amdhsa_exception_fp_denorm_src 0
		.amdhsa_exception_fp_ieee_div_zero 0
		.amdhsa_exception_fp_ieee_overflow 0
		.amdhsa_exception_fp_ieee_underflow 0
		.amdhsa_exception_fp_ieee_inexact 0
		.amdhsa_exception_int_div_zero 0
	.end_amdhsa_kernel
	.section	.text._ZN7rocprim17ROCPRIM_400000_NS6detail17trampoline_kernelINS0_14default_configENS1_27scan_by_key_config_selectorIidEEZZNS1_16scan_by_key_implILNS1_25lookback_scan_determinismE0ELb0ES3_N6thrust23THRUST_200600_302600_NS6detail15normal_iteratorINS9_10device_ptrIiEEEENSB_INSC_IdEEEESG_dNS9_4plusIvEENS9_8equal_toIvEEdEE10hipError_tPvRmT2_T3_T4_T5_mT6_T7_P12ihipStream_tbENKUlT_T0_E_clISt17integral_constantIbLb0EES11_EEDaSW_SX_EUlSW_E_NS1_11comp_targetILNS1_3genE4ELNS1_11target_archE910ELNS1_3gpuE8ELNS1_3repE0EEENS1_30default_config_static_selectorELNS0_4arch9wavefront6targetE0EEEvT1_,"axG",@progbits,_ZN7rocprim17ROCPRIM_400000_NS6detail17trampoline_kernelINS0_14default_configENS1_27scan_by_key_config_selectorIidEEZZNS1_16scan_by_key_implILNS1_25lookback_scan_determinismE0ELb0ES3_N6thrust23THRUST_200600_302600_NS6detail15normal_iteratorINS9_10device_ptrIiEEEENSB_INSC_IdEEEESG_dNS9_4plusIvEENS9_8equal_toIvEEdEE10hipError_tPvRmT2_T3_T4_T5_mT6_T7_P12ihipStream_tbENKUlT_T0_E_clISt17integral_constantIbLb0EES11_EEDaSW_SX_EUlSW_E_NS1_11comp_targetILNS1_3genE4ELNS1_11target_archE910ELNS1_3gpuE8ELNS1_3repE0EEENS1_30default_config_static_selectorELNS0_4arch9wavefront6targetE0EEEvT1_,comdat
.Lfunc_end1088:
	.size	_ZN7rocprim17ROCPRIM_400000_NS6detail17trampoline_kernelINS0_14default_configENS1_27scan_by_key_config_selectorIidEEZZNS1_16scan_by_key_implILNS1_25lookback_scan_determinismE0ELb0ES3_N6thrust23THRUST_200600_302600_NS6detail15normal_iteratorINS9_10device_ptrIiEEEENSB_INSC_IdEEEESG_dNS9_4plusIvEENS9_8equal_toIvEEdEE10hipError_tPvRmT2_T3_T4_T5_mT6_T7_P12ihipStream_tbENKUlT_T0_E_clISt17integral_constantIbLb0EES11_EEDaSW_SX_EUlSW_E_NS1_11comp_targetILNS1_3genE4ELNS1_11target_archE910ELNS1_3gpuE8ELNS1_3repE0EEENS1_30default_config_static_selectorELNS0_4arch9wavefront6targetE0EEEvT1_, .Lfunc_end1088-_ZN7rocprim17ROCPRIM_400000_NS6detail17trampoline_kernelINS0_14default_configENS1_27scan_by_key_config_selectorIidEEZZNS1_16scan_by_key_implILNS1_25lookback_scan_determinismE0ELb0ES3_N6thrust23THRUST_200600_302600_NS6detail15normal_iteratorINS9_10device_ptrIiEEEENSB_INSC_IdEEEESG_dNS9_4plusIvEENS9_8equal_toIvEEdEE10hipError_tPvRmT2_T3_T4_T5_mT6_T7_P12ihipStream_tbENKUlT_T0_E_clISt17integral_constantIbLb0EES11_EEDaSW_SX_EUlSW_E_NS1_11comp_targetILNS1_3genE4ELNS1_11target_archE910ELNS1_3gpuE8ELNS1_3repE0EEENS1_30default_config_static_selectorELNS0_4arch9wavefront6targetE0EEEvT1_
                                        ; -- End function
	.set _ZN7rocprim17ROCPRIM_400000_NS6detail17trampoline_kernelINS0_14default_configENS1_27scan_by_key_config_selectorIidEEZZNS1_16scan_by_key_implILNS1_25lookback_scan_determinismE0ELb0ES3_N6thrust23THRUST_200600_302600_NS6detail15normal_iteratorINS9_10device_ptrIiEEEENSB_INSC_IdEEEESG_dNS9_4plusIvEENS9_8equal_toIvEEdEE10hipError_tPvRmT2_T3_T4_T5_mT6_T7_P12ihipStream_tbENKUlT_T0_E_clISt17integral_constantIbLb0EES11_EEDaSW_SX_EUlSW_E_NS1_11comp_targetILNS1_3genE4ELNS1_11target_archE910ELNS1_3gpuE8ELNS1_3repE0EEENS1_30default_config_static_selectorELNS0_4arch9wavefront6targetE0EEEvT1_.num_vgpr, 0
	.set _ZN7rocprim17ROCPRIM_400000_NS6detail17trampoline_kernelINS0_14default_configENS1_27scan_by_key_config_selectorIidEEZZNS1_16scan_by_key_implILNS1_25lookback_scan_determinismE0ELb0ES3_N6thrust23THRUST_200600_302600_NS6detail15normal_iteratorINS9_10device_ptrIiEEEENSB_INSC_IdEEEESG_dNS9_4plusIvEENS9_8equal_toIvEEdEE10hipError_tPvRmT2_T3_T4_T5_mT6_T7_P12ihipStream_tbENKUlT_T0_E_clISt17integral_constantIbLb0EES11_EEDaSW_SX_EUlSW_E_NS1_11comp_targetILNS1_3genE4ELNS1_11target_archE910ELNS1_3gpuE8ELNS1_3repE0EEENS1_30default_config_static_selectorELNS0_4arch9wavefront6targetE0EEEvT1_.num_agpr, 0
	.set _ZN7rocprim17ROCPRIM_400000_NS6detail17trampoline_kernelINS0_14default_configENS1_27scan_by_key_config_selectorIidEEZZNS1_16scan_by_key_implILNS1_25lookback_scan_determinismE0ELb0ES3_N6thrust23THRUST_200600_302600_NS6detail15normal_iteratorINS9_10device_ptrIiEEEENSB_INSC_IdEEEESG_dNS9_4plusIvEENS9_8equal_toIvEEdEE10hipError_tPvRmT2_T3_T4_T5_mT6_T7_P12ihipStream_tbENKUlT_T0_E_clISt17integral_constantIbLb0EES11_EEDaSW_SX_EUlSW_E_NS1_11comp_targetILNS1_3genE4ELNS1_11target_archE910ELNS1_3gpuE8ELNS1_3repE0EEENS1_30default_config_static_selectorELNS0_4arch9wavefront6targetE0EEEvT1_.numbered_sgpr, 0
	.set _ZN7rocprim17ROCPRIM_400000_NS6detail17trampoline_kernelINS0_14default_configENS1_27scan_by_key_config_selectorIidEEZZNS1_16scan_by_key_implILNS1_25lookback_scan_determinismE0ELb0ES3_N6thrust23THRUST_200600_302600_NS6detail15normal_iteratorINS9_10device_ptrIiEEEENSB_INSC_IdEEEESG_dNS9_4plusIvEENS9_8equal_toIvEEdEE10hipError_tPvRmT2_T3_T4_T5_mT6_T7_P12ihipStream_tbENKUlT_T0_E_clISt17integral_constantIbLb0EES11_EEDaSW_SX_EUlSW_E_NS1_11comp_targetILNS1_3genE4ELNS1_11target_archE910ELNS1_3gpuE8ELNS1_3repE0EEENS1_30default_config_static_selectorELNS0_4arch9wavefront6targetE0EEEvT1_.num_named_barrier, 0
	.set _ZN7rocprim17ROCPRIM_400000_NS6detail17trampoline_kernelINS0_14default_configENS1_27scan_by_key_config_selectorIidEEZZNS1_16scan_by_key_implILNS1_25lookback_scan_determinismE0ELb0ES3_N6thrust23THRUST_200600_302600_NS6detail15normal_iteratorINS9_10device_ptrIiEEEENSB_INSC_IdEEEESG_dNS9_4plusIvEENS9_8equal_toIvEEdEE10hipError_tPvRmT2_T3_T4_T5_mT6_T7_P12ihipStream_tbENKUlT_T0_E_clISt17integral_constantIbLb0EES11_EEDaSW_SX_EUlSW_E_NS1_11comp_targetILNS1_3genE4ELNS1_11target_archE910ELNS1_3gpuE8ELNS1_3repE0EEENS1_30default_config_static_selectorELNS0_4arch9wavefront6targetE0EEEvT1_.private_seg_size, 0
	.set _ZN7rocprim17ROCPRIM_400000_NS6detail17trampoline_kernelINS0_14default_configENS1_27scan_by_key_config_selectorIidEEZZNS1_16scan_by_key_implILNS1_25lookback_scan_determinismE0ELb0ES3_N6thrust23THRUST_200600_302600_NS6detail15normal_iteratorINS9_10device_ptrIiEEEENSB_INSC_IdEEEESG_dNS9_4plusIvEENS9_8equal_toIvEEdEE10hipError_tPvRmT2_T3_T4_T5_mT6_T7_P12ihipStream_tbENKUlT_T0_E_clISt17integral_constantIbLb0EES11_EEDaSW_SX_EUlSW_E_NS1_11comp_targetILNS1_3genE4ELNS1_11target_archE910ELNS1_3gpuE8ELNS1_3repE0EEENS1_30default_config_static_selectorELNS0_4arch9wavefront6targetE0EEEvT1_.uses_vcc, 0
	.set _ZN7rocprim17ROCPRIM_400000_NS6detail17trampoline_kernelINS0_14default_configENS1_27scan_by_key_config_selectorIidEEZZNS1_16scan_by_key_implILNS1_25lookback_scan_determinismE0ELb0ES3_N6thrust23THRUST_200600_302600_NS6detail15normal_iteratorINS9_10device_ptrIiEEEENSB_INSC_IdEEEESG_dNS9_4plusIvEENS9_8equal_toIvEEdEE10hipError_tPvRmT2_T3_T4_T5_mT6_T7_P12ihipStream_tbENKUlT_T0_E_clISt17integral_constantIbLb0EES11_EEDaSW_SX_EUlSW_E_NS1_11comp_targetILNS1_3genE4ELNS1_11target_archE910ELNS1_3gpuE8ELNS1_3repE0EEENS1_30default_config_static_selectorELNS0_4arch9wavefront6targetE0EEEvT1_.uses_flat_scratch, 0
	.set _ZN7rocprim17ROCPRIM_400000_NS6detail17trampoline_kernelINS0_14default_configENS1_27scan_by_key_config_selectorIidEEZZNS1_16scan_by_key_implILNS1_25lookback_scan_determinismE0ELb0ES3_N6thrust23THRUST_200600_302600_NS6detail15normal_iteratorINS9_10device_ptrIiEEEENSB_INSC_IdEEEESG_dNS9_4plusIvEENS9_8equal_toIvEEdEE10hipError_tPvRmT2_T3_T4_T5_mT6_T7_P12ihipStream_tbENKUlT_T0_E_clISt17integral_constantIbLb0EES11_EEDaSW_SX_EUlSW_E_NS1_11comp_targetILNS1_3genE4ELNS1_11target_archE910ELNS1_3gpuE8ELNS1_3repE0EEENS1_30default_config_static_selectorELNS0_4arch9wavefront6targetE0EEEvT1_.has_dyn_sized_stack, 0
	.set _ZN7rocprim17ROCPRIM_400000_NS6detail17trampoline_kernelINS0_14default_configENS1_27scan_by_key_config_selectorIidEEZZNS1_16scan_by_key_implILNS1_25lookback_scan_determinismE0ELb0ES3_N6thrust23THRUST_200600_302600_NS6detail15normal_iteratorINS9_10device_ptrIiEEEENSB_INSC_IdEEEESG_dNS9_4plusIvEENS9_8equal_toIvEEdEE10hipError_tPvRmT2_T3_T4_T5_mT6_T7_P12ihipStream_tbENKUlT_T0_E_clISt17integral_constantIbLb0EES11_EEDaSW_SX_EUlSW_E_NS1_11comp_targetILNS1_3genE4ELNS1_11target_archE910ELNS1_3gpuE8ELNS1_3repE0EEENS1_30default_config_static_selectorELNS0_4arch9wavefront6targetE0EEEvT1_.has_recursion, 0
	.set _ZN7rocprim17ROCPRIM_400000_NS6detail17trampoline_kernelINS0_14default_configENS1_27scan_by_key_config_selectorIidEEZZNS1_16scan_by_key_implILNS1_25lookback_scan_determinismE0ELb0ES3_N6thrust23THRUST_200600_302600_NS6detail15normal_iteratorINS9_10device_ptrIiEEEENSB_INSC_IdEEEESG_dNS9_4plusIvEENS9_8equal_toIvEEdEE10hipError_tPvRmT2_T3_T4_T5_mT6_T7_P12ihipStream_tbENKUlT_T0_E_clISt17integral_constantIbLb0EES11_EEDaSW_SX_EUlSW_E_NS1_11comp_targetILNS1_3genE4ELNS1_11target_archE910ELNS1_3gpuE8ELNS1_3repE0EEENS1_30default_config_static_selectorELNS0_4arch9wavefront6targetE0EEEvT1_.has_indirect_call, 0
	.section	.AMDGPU.csdata,"",@progbits
; Kernel info:
; codeLenInByte = 0
; TotalNumSgprs: 0
; NumVgprs: 0
; ScratchSize: 0
; MemoryBound: 0
; FloatMode: 240
; IeeeMode: 1
; LDSByteSize: 0 bytes/workgroup (compile time only)
; SGPRBlocks: 0
; VGPRBlocks: 0
; NumSGPRsForWavesPerEU: 1
; NumVGPRsForWavesPerEU: 1
; Occupancy: 16
; WaveLimiterHint : 0
; COMPUTE_PGM_RSRC2:SCRATCH_EN: 0
; COMPUTE_PGM_RSRC2:USER_SGPR: 6
; COMPUTE_PGM_RSRC2:TRAP_HANDLER: 0
; COMPUTE_PGM_RSRC2:TGID_X_EN: 1
; COMPUTE_PGM_RSRC2:TGID_Y_EN: 0
; COMPUTE_PGM_RSRC2:TGID_Z_EN: 0
; COMPUTE_PGM_RSRC2:TIDIG_COMP_CNT: 0
	.section	.text._ZN7rocprim17ROCPRIM_400000_NS6detail17trampoline_kernelINS0_14default_configENS1_27scan_by_key_config_selectorIidEEZZNS1_16scan_by_key_implILNS1_25lookback_scan_determinismE0ELb0ES3_N6thrust23THRUST_200600_302600_NS6detail15normal_iteratorINS9_10device_ptrIiEEEENSB_INSC_IdEEEESG_dNS9_4plusIvEENS9_8equal_toIvEEdEE10hipError_tPvRmT2_T3_T4_T5_mT6_T7_P12ihipStream_tbENKUlT_T0_E_clISt17integral_constantIbLb0EES11_EEDaSW_SX_EUlSW_E_NS1_11comp_targetILNS1_3genE3ELNS1_11target_archE908ELNS1_3gpuE7ELNS1_3repE0EEENS1_30default_config_static_selectorELNS0_4arch9wavefront6targetE0EEEvT1_,"axG",@progbits,_ZN7rocprim17ROCPRIM_400000_NS6detail17trampoline_kernelINS0_14default_configENS1_27scan_by_key_config_selectorIidEEZZNS1_16scan_by_key_implILNS1_25lookback_scan_determinismE0ELb0ES3_N6thrust23THRUST_200600_302600_NS6detail15normal_iteratorINS9_10device_ptrIiEEEENSB_INSC_IdEEEESG_dNS9_4plusIvEENS9_8equal_toIvEEdEE10hipError_tPvRmT2_T3_T4_T5_mT6_T7_P12ihipStream_tbENKUlT_T0_E_clISt17integral_constantIbLb0EES11_EEDaSW_SX_EUlSW_E_NS1_11comp_targetILNS1_3genE3ELNS1_11target_archE908ELNS1_3gpuE7ELNS1_3repE0EEENS1_30default_config_static_selectorELNS0_4arch9wavefront6targetE0EEEvT1_,comdat
	.protected	_ZN7rocprim17ROCPRIM_400000_NS6detail17trampoline_kernelINS0_14default_configENS1_27scan_by_key_config_selectorIidEEZZNS1_16scan_by_key_implILNS1_25lookback_scan_determinismE0ELb0ES3_N6thrust23THRUST_200600_302600_NS6detail15normal_iteratorINS9_10device_ptrIiEEEENSB_INSC_IdEEEESG_dNS9_4plusIvEENS9_8equal_toIvEEdEE10hipError_tPvRmT2_T3_T4_T5_mT6_T7_P12ihipStream_tbENKUlT_T0_E_clISt17integral_constantIbLb0EES11_EEDaSW_SX_EUlSW_E_NS1_11comp_targetILNS1_3genE3ELNS1_11target_archE908ELNS1_3gpuE7ELNS1_3repE0EEENS1_30default_config_static_selectorELNS0_4arch9wavefront6targetE0EEEvT1_ ; -- Begin function _ZN7rocprim17ROCPRIM_400000_NS6detail17trampoline_kernelINS0_14default_configENS1_27scan_by_key_config_selectorIidEEZZNS1_16scan_by_key_implILNS1_25lookback_scan_determinismE0ELb0ES3_N6thrust23THRUST_200600_302600_NS6detail15normal_iteratorINS9_10device_ptrIiEEEENSB_INSC_IdEEEESG_dNS9_4plusIvEENS9_8equal_toIvEEdEE10hipError_tPvRmT2_T3_T4_T5_mT6_T7_P12ihipStream_tbENKUlT_T0_E_clISt17integral_constantIbLb0EES11_EEDaSW_SX_EUlSW_E_NS1_11comp_targetILNS1_3genE3ELNS1_11target_archE908ELNS1_3gpuE7ELNS1_3repE0EEENS1_30default_config_static_selectorELNS0_4arch9wavefront6targetE0EEEvT1_
	.globl	_ZN7rocprim17ROCPRIM_400000_NS6detail17trampoline_kernelINS0_14default_configENS1_27scan_by_key_config_selectorIidEEZZNS1_16scan_by_key_implILNS1_25lookback_scan_determinismE0ELb0ES3_N6thrust23THRUST_200600_302600_NS6detail15normal_iteratorINS9_10device_ptrIiEEEENSB_INSC_IdEEEESG_dNS9_4plusIvEENS9_8equal_toIvEEdEE10hipError_tPvRmT2_T3_T4_T5_mT6_T7_P12ihipStream_tbENKUlT_T0_E_clISt17integral_constantIbLb0EES11_EEDaSW_SX_EUlSW_E_NS1_11comp_targetILNS1_3genE3ELNS1_11target_archE908ELNS1_3gpuE7ELNS1_3repE0EEENS1_30default_config_static_selectorELNS0_4arch9wavefront6targetE0EEEvT1_
	.p2align	8
	.type	_ZN7rocprim17ROCPRIM_400000_NS6detail17trampoline_kernelINS0_14default_configENS1_27scan_by_key_config_selectorIidEEZZNS1_16scan_by_key_implILNS1_25lookback_scan_determinismE0ELb0ES3_N6thrust23THRUST_200600_302600_NS6detail15normal_iteratorINS9_10device_ptrIiEEEENSB_INSC_IdEEEESG_dNS9_4plusIvEENS9_8equal_toIvEEdEE10hipError_tPvRmT2_T3_T4_T5_mT6_T7_P12ihipStream_tbENKUlT_T0_E_clISt17integral_constantIbLb0EES11_EEDaSW_SX_EUlSW_E_NS1_11comp_targetILNS1_3genE3ELNS1_11target_archE908ELNS1_3gpuE7ELNS1_3repE0EEENS1_30default_config_static_selectorELNS0_4arch9wavefront6targetE0EEEvT1_,@function
_ZN7rocprim17ROCPRIM_400000_NS6detail17trampoline_kernelINS0_14default_configENS1_27scan_by_key_config_selectorIidEEZZNS1_16scan_by_key_implILNS1_25lookback_scan_determinismE0ELb0ES3_N6thrust23THRUST_200600_302600_NS6detail15normal_iteratorINS9_10device_ptrIiEEEENSB_INSC_IdEEEESG_dNS9_4plusIvEENS9_8equal_toIvEEdEE10hipError_tPvRmT2_T3_T4_T5_mT6_T7_P12ihipStream_tbENKUlT_T0_E_clISt17integral_constantIbLb0EES11_EEDaSW_SX_EUlSW_E_NS1_11comp_targetILNS1_3genE3ELNS1_11target_archE908ELNS1_3gpuE7ELNS1_3repE0EEENS1_30default_config_static_selectorELNS0_4arch9wavefront6targetE0EEEvT1_: ; @_ZN7rocprim17ROCPRIM_400000_NS6detail17trampoline_kernelINS0_14default_configENS1_27scan_by_key_config_selectorIidEEZZNS1_16scan_by_key_implILNS1_25lookback_scan_determinismE0ELb0ES3_N6thrust23THRUST_200600_302600_NS6detail15normal_iteratorINS9_10device_ptrIiEEEENSB_INSC_IdEEEESG_dNS9_4plusIvEENS9_8equal_toIvEEdEE10hipError_tPvRmT2_T3_T4_T5_mT6_T7_P12ihipStream_tbENKUlT_T0_E_clISt17integral_constantIbLb0EES11_EEDaSW_SX_EUlSW_E_NS1_11comp_targetILNS1_3genE3ELNS1_11target_archE908ELNS1_3gpuE7ELNS1_3repE0EEENS1_30default_config_static_selectorELNS0_4arch9wavefront6targetE0EEEvT1_
; %bb.0:
	.section	.rodata,"a",@progbits
	.p2align	6, 0x0
	.amdhsa_kernel _ZN7rocprim17ROCPRIM_400000_NS6detail17trampoline_kernelINS0_14default_configENS1_27scan_by_key_config_selectorIidEEZZNS1_16scan_by_key_implILNS1_25lookback_scan_determinismE0ELb0ES3_N6thrust23THRUST_200600_302600_NS6detail15normal_iteratorINS9_10device_ptrIiEEEENSB_INSC_IdEEEESG_dNS9_4plusIvEENS9_8equal_toIvEEdEE10hipError_tPvRmT2_T3_T4_T5_mT6_T7_P12ihipStream_tbENKUlT_T0_E_clISt17integral_constantIbLb0EES11_EEDaSW_SX_EUlSW_E_NS1_11comp_targetILNS1_3genE3ELNS1_11target_archE908ELNS1_3gpuE7ELNS1_3repE0EEENS1_30default_config_static_selectorELNS0_4arch9wavefront6targetE0EEEvT1_
		.amdhsa_group_segment_fixed_size 0
		.amdhsa_private_segment_fixed_size 0
		.amdhsa_kernarg_size 136
		.amdhsa_user_sgpr_count 6
		.amdhsa_user_sgpr_private_segment_buffer 1
		.amdhsa_user_sgpr_dispatch_ptr 0
		.amdhsa_user_sgpr_queue_ptr 0
		.amdhsa_user_sgpr_kernarg_segment_ptr 1
		.amdhsa_user_sgpr_dispatch_id 0
		.amdhsa_user_sgpr_flat_scratch_init 0
		.amdhsa_user_sgpr_private_segment_size 0
		.amdhsa_wavefront_size32 1
		.amdhsa_uses_dynamic_stack 0
		.amdhsa_system_sgpr_private_segment_wavefront_offset 0
		.amdhsa_system_sgpr_workgroup_id_x 1
		.amdhsa_system_sgpr_workgroup_id_y 0
		.amdhsa_system_sgpr_workgroup_id_z 0
		.amdhsa_system_sgpr_workgroup_info 0
		.amdhsa_system_vgpr_workitem_id 0
		.amdhsa_next_free_vgpr 1
		.amdhsa_next_free_sgpr 1
		.amdhsa_reserve_vcc 0
		.amdhsa_reserve_flat_scratch 0
		.amdhsa_float_round_mode_32 0
		.amdhsa_float_round_mode_16_64 0
		.amdhsa_float_denorm_mode_32 3
		.amdhsa_float_denorm_mode_16_64 3
		.amdhsa_dx10_clamp 1
		.amdhsa_ieee_mode 1
		.amdhsa_fp16_overflow 0
		.amdhsa_workgroup_processor_mode 1
		.amdhsa_memory_ordered 1
		.amdhsa_forward_progress 1
		.amdhsa_shared_vgpr_count 0
		.amdhsa_exception_fp_ieee_invalid_op 0
		.amdhsa_exception_fp_denorm_src 0
		.amdhsa_exception_fp_ieee_div_zero 0
		.amdhsa_exception_fp_ieee_overflow 0
		.amdhsa_exception_fp_ieee_underflow 0
		.amdhsa_exception_fp_ieee_inexact 0
		.amdhsa_exception_int_div_zero 0
	.end_amdhsa_kernel
	.section	.text._ZN7rocprim17ROCPRIM_400000_NS6detail17trampoline_kernelINS0_14default_configENS1_27scan_by_key_config_selectorIidEEZZNS1_16scan_by_key_implILNS1_25lookback_scan_determinismE0ELb0ES3_N6thrust23THRUST_200600_302600_NS6detail15normal_iteratorINS9_10device_ptrIiEEEENSB_INSC_IdEEEESG_dNS9_4plusIvEENS9_8equal_toIvEEdEE10hipError_tPvRmT2_T3_T4_T5_mT6_T7_P12ihipStream_tbENKUlT_T0_E_clISt17integral_constantIbLb0EES11_EEDaSW_SX_EUlSW_E_NS1_11comp_targetILNS1_3genE3ELNS1_11target_archE908ELNS1_3gpuE7ELNS1_3repE0EEENS1_30default_config_static_selectorELNS0_4arch9wavefront6targetE0EEEvT1_,"axG",@progbits,_ZN7rocprim17ROCPRIM_400000_NS6detail17trampoline_kernelINS0_14default_configENS1_27scan_by_key_config_selectorIidEEZZNS1_16scan_by_key_implILNS1_25lookback_scan_determinismE0ELb0ES3_N6thrust23THRUST_200600_302600_NS6detail15normal_iteratorINS9_10device_ptrIiEEEENSB_INSC_IdEEEESG_dNS9_4plusIvEENS9_8equal_toIvEEdEE10hipError_tPvRmT2_T3_T4_T5_mT6_T7_P12ihipStream_tbENKUlT_T0_E_clISt17integral_constantIbLb0EES11_EEDaSW_SX_EUlSW_E_NS1_11comp_targetILNS1_3genE3ELNS1_11target_archE908ELNS1_3gpuE7ELNS1_3repE0EEENS1_30default_config_static_selectorELNS0_4arch9wavefront6targetE0EEEvT1_,comdat
.Lfunc_end1089:
	.size	_ZN7rocprim17ROCPRIM_400000_NS6detail17trampoline_kernelINS0_14default_configENS1_27scan_by_key_config_selectorIidEEZZNS1_16scan_by_key_implILNS1_25lookback_scan_determinismE0ELb0ES3_N6thrust23THRUST_200600_302600_NS6detail15normal_iteratorINS9_10device_ptrIiEEEENSB_INSC_IdEEEESG_dNS9_4plusIvEENS9_8equal_toIvEEdEE10hipError_tPvRmT2_T3_T4_T5_mT6_T7_P12ihipStream_tbENKUlT_T0_E_clISt17integral_constantIbLb0EES11_EEDaSW_SX_EUlSW_E_NS1_11comp_targetILNS1_3genE3ELNS1_11target_archE908ELNS1_3gpuE7ELNS1_3repE0EEENS1_30default_config_static_selectorELNS0_4arch9wavefront6targetE0EEEvT1_, .Lfunc_end1089-_ZN7rocprim17ROCPRIM_400000_NS6detail17trampoline_kernelINS0_14default_configENS1_27scan_by_key_config_selectorIidEEZZNS1_16scan_by_key_implILNS1_25lookback_scan_determinismE0ELb0ES3_N6thrust23THRUST_200600_302600_NS6detail15normal_iteratorINS9_10device_ptrIiEEEENSB_INSC_IdEEEESG_dNS9_4plusIvEENS9_8equal_toIvEEdEE10hipError_tPvRmT2_T3_T4_T5_mT6_T7_P12ihipStream_tbENKUlT_T0_E_clISt17integral_constantIbLb0EES11_EEDaSW_SX_EUlSW_E_NS1_11comp_targetILNS1_3genE3ELNS1_11target_archE908ELNS1_3gpuE7ELNS1_3repE0EEENS1_30default_config_static_selectorELNS0_4arch9wavefront6targetE0EEEvT1_
                                        ; -- End function
	.set _ZN7rocprim17ROCPRIM_400000_NS6detail17trampoline_kernelINS0_14default_configENS1_27scan_by_key_config_selectorIidEEZZNS1_16scan_by_key_implILNS1_25lookback_scan_determinismE0ELb0ES3_N6thrust23THRUST_200600_302600_NS6detail15normal_iteratorINS9_10device_ptrIiEEEENSB_INSC_IdEEEESG_dNS9_4plusIvEENS9_8equal_toIvEEdEE10hipError_tPvRmT2_T3_T4_T5_mT6_T7_P12ihipStream_tbENKUlT_T0_E_clISt17integral_constantIbLb0EES11_EEDaSW_SX_EUlSW_E_NS1_11comp_targetILNS1_3genE3ELNS1_11target_archE908ELNS1_3gpuE7ELNS1_3repE0EEENS1_30default_config_static_selectorELNS0_4arch9wavefront6targetE0EEEvT1_.num_vgpr, 0
	.set _ZN7rocprim17ROCPRIM_400000_NS6detail17trampoline_kernelINS0_14default_configENS1_27scan_by_key_config_selectorIidEEZZNS1_16scan_by_key_implILNS1_25lookback_scan_determinismE0ELb0ES3_N6thrust23THRUST_200600_302600_NS6detail15normal_iteratorINS9_10device_ptrIiEEEENSB_INSC_IdEEEESG_dNS9_4plusIvEENS9_8equal_toIvEEdEE10hipError_tPvRmT2_T3_T4_T5_mT6_T7_P12ihipStream_tbENKUlT_T0_E_clISt17integral_constantIbLb0EES11_EEDaSW_SX_EUlSW_E_NS1_11comp_targetILNS1_3genE3ELNS1_11target_archE908ELNS1_3gpuE7ELNS1_3repE0EEENS1_30default_config_static_selectorELNS0_4arch9wavefront6targetE0EEEvT1_.num_agpr, 0
	.set _ZN7rocprim17ROCPRIM_400000_NS6detail17trampoline_kernelINS0_14default_configENS1_27scan_by_key_config_selectorIidEEZZNS1_16scan_by_key_implILNS1_25lookback_scan_determinismE0ELb0ES3_N6thrust23THRUST_200600_302600_NS6detail15normal_iteratorINS9_10device_ptrIiEEEENSB_INSC_IdEEEESG_dNS9_4plusIvEENS9_8equal_toIvEEdEE10hipError_tPvRmT2_T3_T4_T5_mT6_T7_P12ihipStream_tbENKUlT_T0_E_clISt17integral_constantIbLb0EES11_EEDaSW_SX_EUlSW_E_NS1_11comp_targetILNS1_3genE3ELNS1_11target_archE908ELNS1_3gpuE7ELNS1_3repE0EEENS1_30default_config_static_selectorELNS0_4arch9wavefront6targetE0EEEvT1_.numbered_sgpr, 0
	.set _ZN7rocprim17ROCPRIM_400000_NS6detail17trampoline_kernelINS0_14default_configENS1_27scan_by_key_config_selectorIidEEZZNS1_16scan_by_key_implILNS1_25lookback_scan_determinismE0ELb0ES3_N6thrust23THRUST_200600_302600_NS6detail15normal_iteratorINS9_10device_ptrIiEEEENSB_INSC_IdEEEESG_dNS9_4plusIvEENS9_8equal_toIvEEdEE10hipError_tPvRmT2_T3_T4_T5_mT6_T7_P12ihipStream_tbENKUlT_T0_E_clISt17integral_constantIbLb0EES11_EEDaSW_SX_EUlSW_E_NS1_11comp_targetILNS1_3genE3ELNS1_11target_archE908ELNS1_3gpuE7ELNS1_3repE0EEENS1_30default_config_static_selectorELNS0_4arch9wavefront6targetE0EEEvT1_.num_named_barrier, 0
	.set _ZN7rocprim17ROCPRIM_400000_NS6detail17trampoline_kernelINS0_14default_configENS1_27scan_by_key_config_selectorIidEEZZNS1_16scan_by_key_implILNS1_25lookback_scan_determinismE0ELb0ES3_N6thrust23THRUST_200600_302600_NS6detail15normal_iteratorINS9_10device_ptrIiEEEENSB_INSC_IdEEEESG_dNS9_4plusIvEENS9_8equal_toIvEEdEE10hipError_tPvRmT2_T3_T4_T5_mT6_T7_P12ihipStream_tbENKUlT_T0_E_clISt17integral_constantIbLb0EES11_EEDaSW_SX_EUlSW_E_NS1_11comp_targetILNS1_3genE3ELNS1_11target_archE908ELNS1_3gpuE7ELNS1_3repE0EEENS1_30default_config_static_selectorELNS0_4arch9wavefront6targetE0EEEvT1_.private_seg_size, 0
	.set _ZN7rocprim17ROCPRIM_400000_NS6detail17trampoline_kernelINS0_14default_configENS1_27scan_by_key_config_selectorIidEEZZNS1_16scan_by_key_implILNS1_25lookback_scan_determinismE0ELb0ES3_N6thrust23THRUST_200600_302600_NS6detail15normal_iteratorINS9_10device_ptrIiEEEENSB_INSC_IdEEEESG_dNS9_4plusIvEENS9_8equal_toIvEEdEE10hipError_tPvRmT2_T3_T4_T5_mT6_T7_P12ihipStream_tbENKUlT_T0_E_clISt17integral_constantIbLb0EES11_EEDaSW_SX_EUlSW_E_NS1_11comp_targetILNS1_3genE3ELNS1_11target_archE908ELNS1_3gpuE7ELNS1_3repE0EEENS1_30default_config_static_selectorELNS0_4arch9wavefront6targetE0EEEvT1_.uses_vcc, 0
	.set _ZN7rocprim17ROCPRIM_400000_NS6detail17trampoline_kernelINS0_14default_configENS1_27scan_by_key_config_selectorIidEEZZNS1_16scan_by_key_implILNS1_25lookback_scan_determinismE0ELb0ES3_N6thrust23THRUST_200600_302600_NS6detail15normal_iteratorINS9_10device_ptrIiEEEENSB_INSC_IdEEEESG_dNS9_4plusIvEENS9_8equal_toIvEEdEE10hipError_tPvRmT2_T3_T4_T5_mT6_T7_P12ihipStream_tbENKUlT_T0_E_clISt17integral_constantIbLb0EES11_EEDaSW_SX_EUlSW_E_NS1_11comp_targetILNS1_3genE3ELNS1_11target_archE908ELNS1_3gpuE7ELNS1_3repE0EEENS1_30default_config_static_selectorELNS0_4arch9wavefront6targetE0EEEvT1_.uses_flat_scratch, 0
	.set _ZN7rocprim17ROCPRIM_400000_NS6detail17trampoline_kernelINS0_14default_configENS1_27scan_by_key_config_selectorIidEEZZNS1_16scan_by_key_implILNS1_25lookback_scan_determinismE0ELb0ES3_N6thrust23THRUST_200600_302600_NS6detail15normal_iteratorINS9_10device_ptrIiEEEENSB_INSC_IdEEEESG_dNS9_4plusIvEENS9_8equal_toIvEEdEE10hipError_tPvRmT2_T3_T4_T5_mT6_T7_P12ihipStream_tbENKUlT_T0_E_clISt17integral_constantIbLb0EES11_EEDaSW_SX_EUlSW_E_NS1_11comp_targetILNS1_3genE3ELNS1_11target_archE908ELNS1_3gpuE7ELNS1_3repE0EEENS1_30default_config_static_selectorELNS0_4arch9wavefront6targetE0EEEvT1_.has_dyn_sized_stack, 0
	.set _ZN7rocprim17ROCPRIM_400000_NS6detail17trampoline_kernelINS0_14default_configENS1_27scan_by_key_config_selectorIidEEZZNS1_16scan_by_key_implILNS1_25lookback_scan_determinismE0ELb0ES3_N6thrust23THRUST_200600_302600_NS6detail15normal_iteratorINS9_10device_ptrIiEEEENSB_INSC_IdEEEESG_dNS9_4plusIvEENS9_8equal_toIvEEdEE10hipError_tPvRmT2_T3_T4_T5_mT6_T7_P12ihipStream_tbENKUlT_T0_E_clISt17integral_constantIbLb0EES11_EEDaSW_SX_EUlSW_E_NS1_11comp_targetILNS1_3genE3ELNS1_11target_archE908ELNS1_3gpuE7ELNS1_3repE0EEENS1_30default_config_static_selectorELNS0_4arch9wavefront6targetE0EEEvT1_.has_recursion, 0
	.set _ZN7rocprim17ROCPRIM_400000_NS6detail17trampoline_kernelINS0_14default_configENS1_27scan_by_key_config_selectorIidEEZZNS1_16scan_by_key_implILNS1_25lookback_scan_determinismE0ELb0ES3_N6thrust23THRUST_200600_302600_NS6detail15normal_iteratorINS9_10device_ptrIiEEEENSB_INSC_IdEEEESG_dNS9_4plusIvEENS9_8equal_toIvEEdEE10hipError_tPvRmT2_T3_T4_T5_mT6_T7_P12ihipStream_tbENKUlT_T0_E_clISt17integral_constantIbLb0EES11_EEDaSW_SX_EUlSW_E_NS1_11comp_targetILNS1_3genE3ELNS1_11target_archE908ELNS1_3gpuE7ELNS1_3repE0EEENS1_30default_config_static_selectorELNS0_4arch9wavefront6targetE0EEEvT1_.has_indirect_call, 0
	.section	.AMDGPU.csdata,"",@progbits
; Kernel info:
; codeLenInByte = 0
; TotalNumSgprs: 0
; NumVgprs: 0
; ScratchSize: 0
; MemoryBound: 0
; FloatMode: 240
; IeeeMode: 1
; LDSByteSize: 0 bytes/workgroup (compile time only)
; SGPRBlocks: 0
; VGPRBlocks: 0
; NumSGPRsForWavesPerEU: 1
; NumVGPRsForWavesPerEU: 1
; Occupancy: 16
; WaveLimiterHint : 0
; COMPUTE_PGM_RSRC2:SCRATCH_EN: 0
; COMPUTE_PGM_RSRC2:USER_SGPR: 6
; COMPUTE_PGM_RSRC2:TRAP_HANDLER: 0
; COMPUTE_PGM_RSRC2:TGID_X_EN: 1
; COMPUTE_PGM_RSRC2:TGID_Y_EN: 0
; COMPUTE_PGM_RSRC2:TGID_Z_EN: 0
; COMPUTE_PGM_RSRC2:TIDIG_COMP_CNT: 0
	.section	.text._ZN7rocprim17ROCPRIM_400000_NS6detail17trampoline_kernelINS0_14default_configENS1_27scan_by_key_config_selectorIidEEZZNS1_16scan_by_key_implILNS1_25lookback_scan_determinismE0ELb0ES3_N6thrust23THRUST_200600_302600_NS6detail15normal_iteratorINS9_10device_ptrIiEEEENSB_INSC_IdEEEESG_dNS9_4plusIvEENS9_8equal_toIvEEdEE10hipError_tPvRmT2_T3_T4_T5_mT6_T7_P12ihipStream_tbENKUlT_T0_E_clISt17integral_constantIbLb0EES11_EEDaSW_SX_EUlSW_E_NS1_11comp_targetILNS1_3genE2ELNS1_11target_archE906ELNS1_3gpuE6ELNS1_3repE0EEENS1_30default_config_static_selectorELNS0_4arch9wavefront6targetE0EEEvT1_,"axG",@progbits,_ZN7rocprim17ROCPRIM_400000_NS6detail17trampoline_kernelINS0_14default_configENS1_27scan_by_key_config_selectorIidEEZZNS1_16scan_by_key_implILNS1_25lookback_scan_determinismE0ELb0ES3_N6thrust23THRUST_200600_302600_NS6detail15normal_iteratorINS9_10device_ptrIiEEEENSB_INSC_IdEEEESG_dNS9_4plusIvEENS9_8equal_toIvEEdEE10hipError_tPvRmT2_T3_T4_T5_mT6_T7_P12ihipStream_tbENKUlT_T0_E_clISt17integral_constantIbLb0EES11_EEDaSW_SX_EUlSW_E_NS1_11comp_targetILNS1_3genE2ELNS1_11target_archE906ELNS1_3gpuE6ELNS1_3repE0EEENS1_30default_config_static_selectorELNS0_4arch9wavefront6targetE0EEEvT1_,comdat
	.protected	_ZN7rocprim17ROCPRIM_400000_NS6detail17trampoline_kernelINS0_14default_configENS1_27scan_by_key_config_selectorIidEEZZNS1_16scan_by_key_implILNS1_25lookback_scan_determinismE0ELb0ES3_N6thrust23THRUST_200600_302600_NS6detail15normal_iteratorINS9_10device_ptrIiEEEENSB_INSC_IdEEEESG_dNS9_4plusIvEENS9_8equal_toIvEEdEE10hipError_tPvRmT2_T3_T4_T5_mT6_T7_P12ihipStream_tbENKUlT_T0_E_clISt17integral_constantIbLb0EES11_EEDaSW_SX_EUlSW_E_NS1_11comp_targetILNS1_3genE2ELNS1_11target_archE906ELNS1_3gpuE6ELNS1_3repE0EEENS1_30default_config_static_selectorELNS0_4arch9wavefront6targetE0EEEvT1_ ; -- Begin function _ZN7rocprim17ROCPRIM_400000_NS6detail17trampoline_kernelINS0_14default_configENS1_27scan_by_key_config_selectorIidEEZZNS1_16scan_by_key_implILNS1_25lookback_scan_determinismE0ELb0ES3_N6thrust23THRUST_200600_302600_NS6detail15normal_iteratorINS9_10device_ptrIiEEEENSB_INSC_IdEEEESG_dNS9_4plusIvEENS9_8equal_toIvEEdEE10hipError_tPvRmT2_T3_T4_T5_mT6_T7_P12ihipStream_tbENKUlT_T0_E_clISt17integral_constantIbLb0EES11_EEDaSW_SX_EUlSW_E_NS1_11comp_targetILNS1_3genE2ELNS1_11target_archE906ELNS1_3gpuE6ELNS1_3repE0EEENS1_30default_config_static_selectorELNS0_4arch9wavefront6targetE0EEEvT1_
	.globl	_ZN7rocprim17ROCPRIM_400000_NS6detail17trampoline_kernelINS0_14default_configENS1_27scan_by_key_config_selectorIidEEZZNS1_16scan_by_key_implILNS1_25lookback_scan_determinismE0ELb0ES3_N6thrust23THRUST_200600_302600_NS6detail15normal_iteratorINS9_10device_ptrIiEEEENSB_INSC_IdEEEESG_dNS9_4plusIvEENS9_8equal_toIvEEdEE10hipError_tPvRmT2_T3_T4_T5_mT6_T7_P12ihipStream_tbENKUlT_T0_E_clISt17integral_constantIbLb0EES11_EEDaSW_SX_EUlSW_E_NS1_11comp_targetILNS1_3genE2ELNS1_11target_archE906ELNS1_3gpuE6ELNS1_3repE0EEENS1_30default_config_static_selectorELNS0_4arch9wavefront6targetE0EEEvT1_
	.p2align	8
	.type	_ZN7rocprim17ROCPRIM_400000_NS6detail17trampoline_kernelINS0_14default_configENS1_27scan_by_key_config_selectorIidEEZZNS1_16scan_by_key_implILNS1_25lookback_scan_determinismE0ELb0ES3_N6thrust23THRUST_200600_302600_NS6detail15normal_iteratorINS9_10device_ptrIiEEEENSB_INSC_IdEEEESG_dNS9_4plusIvEENS9_8equal_toIvEEdEE10hipError_tPvRmT2_T3_T4_T5_mT6_T7_P12ihipStream_tbENKUlT_T0_E_clISt17integral_constantIbLb0EES11_EEDaSW_SX_EUlSW_E_NS1_11comp_targetILNS1_3genE2ELNS1_11target_archE906ELNS1_3gpuE6ELNS1_3repE0EEENS1_30default_config_static_selectorELNS0_4arch9wavefront6targetE0EEEvT1_,@function
_ZN7rocprim17ROCPRIM_400000_NS6detail17trampoline_kernelINS0_14default_configENS1_27scan_by_key_config_selectorIidEEZZNS1_16scan_by_key_implILNS1_25lookback_scan_determinismE0ELb0ES3_N6thrust23THRUST_200600_302600_NS6detail15normal_iteratorINS9_10device_ptrIiEEEENSB_INSC_IdEEEESG_dNS9_4plusIvEENS9_8equal_toIvEEdEE10hipError_tPvRmT2_T3_T4_T5_mT6_T7_P12ihipStream_tbENKUlT_T0_E_clISt17integral_constantIbLb0EES11_EEDaSW_SX_EUlSW_E_NS1_11comp_targetILNS1_3genE2ELNS1_11target_archE906ELNS1_3gpuE6ELNS1_3repE0EEENS1_30default_config_static_selectorELNS0_4arch9wavefront6targetE0EEEvT1_: ; @_ZN7rocprim17ROCPRIM_400000_NS6detail17trampoline_kernelINS0_14default_configENS1_27scan_by_key_config_selectorIidEEZZNS1_16scan_by_key_implILNS1_25lookback_scan_determinismE0ELb0ES3_N6thrust23THRUST_200600_302600_NS6detail15normal_iteratorINS9_10device_ptrIiEEEENSB_INSC_IdEEEESG_dNS9_4plusIvEENS9_8equal_toIvEEdEE10hipError_tPvRmT2_T3_T4_T5_mT6_T7_P12ihipStream_tbENKUlT_T0_E_clISt17integral_constantIbLb0EES11_EEDaSW_SX_EUlSW_E_NS1_11comp_targetILNS1_3genE2ELNS1_11target_archE906ELNS1_3gpuE6ELNS1_3repE0EEENS1_30default_config_static_selectorELNS0_4arch9wavefront6targetE0EEEvT1_
; %bb.0:
	.section	.rodata,"a",@progbits
	.p2align	6, 0x0
	.amdhsa_kernel _ZN7rocprim17ROCPRIM_400000_NS6detail17trampoline_kernelINS0_14default_configENS1_27scan_by_key_config_selectorIidEEZZNS1_16scan_by_key_implILNS1_25lookback_scan_determinismE0ELb0ES3_N6thrust23THRUST_200600_302600_NS6detail15normal_iteratorINS9_10device_ptrIiEEEENSB_INSC_IdEEEESG_dNS9_4plusIvEENS9_8equal_toIvEEdEE10hipError_tPvRmT2_T3_T4_T5_mT6_T7_P12ihipStream_tbENKUlT_T0_E_clISt17integral_constantIbLb0EES11_EEDaSW_SX_EUlSW_E_NS1_11comp_targetILNS1_3genE2ELNS1_11target_archE906ELNS1_3gpuE6ELNS1_3repE0EEENS1_30default_config_static_selectorELNS0_4arch9wavefront6targetE0EEEvT1_
		.amdhsa_group_segment_fixed_size 0
		.amdhsa_private_segment_fixed_size 0
		.amdhsa_kernarg_size 136
		.amdhsa_user_sgpr_count 6
		.amdhsa_user_sgpr_private_segment_buffer 1
		.amdhsa_user_sgpr_dispatch_ptr 0
		.amdhsa_user_sgpr_queue_ptr 0
		.amdhsa_user_sgpr_kernarg_segment_ptr 1
		.amdhsa_user_sgpr_dispatch_id 0
		.amdhsa_user_sgpr_flat_scratch_init 0
		.amdhsa_user_sgpr_private_segment_size 0
		.amdhsa_wavefront_size32 1
		.amdhsa_uses_dynamic_stack 0
		.amdhsa_system_sgpr_private_segment_wavefront_offset 0
		.amdhsa_system_sgpr_workgroup_id_x 1
		.amdhsa_system_sgpr_workgroup_id_y 0
		.amdhsa_system_sgpr_workgroup_id_z 0
		.amdhsa_system_sgpr_workgroup_info 0
		.amdhsa_system_vgpr_workitem_id 0
		.amdhsa_next_free_vgpr 1
		.amdhsa_next_free_sgpr 1
		.amdhsa_reserve_vcc 0
		.amdhsa_reserve_flat_scratch 0
		.amdhsa_float_round_mode_32 0
		.amdhsa_float_round_mode_16_64 0
		.amdhsa_float_denorm_mode_32 3
		.amdhsa_float_denorm_mode_16_64 3
		.amdhsa_dx10_clamp 1
		.amdhsa_ieee_mode 1
		.amdhsa_fp16_overflow 0
		.amdhsa_workgroup_processor_mode 1
		.amdhsa_memory_ordered 1
		.amdhsa_forward_progress 1
		.amdhsa_shared_vgpr_count 0
		.amdhsa_exception_fp_ieee_invalid_op 0
		.amdhsa_exception_fp_denorm_src 0
		.amdhsa_exception_fp_ieee_div_zero 0
		.amdhsa_exception_fp_ieee_overflow 0
		.amdhsa_exception_fp_ieee_underflow 0
		.amdhsa_exception_fp_ieee_inexact 0
		.amdhsa_exception_int_div_zero 0
	.end_amdhsa_kernel
	.section	.text._ZN7rocprim17ROCPRIM_400000_NS6detail17trampoline_kernelINS0_14default_configENS1_27scan_by_key_config_selectorIidEEZZNS1_16scan_by_key_implILNS1_25lookback_scan_determinismE0ELb0ES3_N6thrust23THRUST_200600_302600_NS6detail15normal_iteratorINS9_10device_ptrIiEEEENSB_INSC_IdEEEESG_dNS9_4plusIvEENS9_8equal_toIvEEdEE10hipError_tPvRmT2_T3_T4_T5_mT6_T7_P12ihipStream_tbENKUlT_T0_E_clISt17integral_constantIbLb0EES11_EEDaSW_SX_EUlSW_E_NS1_11comp_targetILNS1_3genE2ELNS1_11target_archE906ELNS1_3gpuE6ELNS1_3repE0EEENS1_30default_config_static_selectorELNS0_4arch9wavefront6targetE0EEEvT1_,"axG",@progbits,_ZN7rocprim17ROCPRIM_400000_NS6detail17trampoline_kernelINS0_14default_configENS1_27scan_by_key_config_selectorIidEEZZNS1_16scan_by_key_implILNS1_25lookback_scan_determinismE0ELb0ES3_N6thrust23THRUST_200600_302600_NS6detail15normal_iteratorINS9_10device_ptrIiEEEENSB_INSC_IdEEEESG_dNS9_4plusIvEENS9_8equal_toIvEEdEE10hipError_tPvRmT2_T3_T4_T5_mT6_T7_P12ihipStream_tbENKUlT_T0_E_clISt17integral_constantIbLb0EES11_EEDaSW_SX_EUlSW_E_NS1_11comp_targetILNS1_3genE2ELNS1_11target_archE906ELNS1_3gpuE6ELNS1_3repE0EEENS1_30default_config_static_selectorELNS0_4arch9wavefront6targetE0EEEvT1_,comdat
.Lfunc_end1090:
	.size	_ZN7rocprim17ROCPRIM_400000_NS6detail17trampoline_kernelINS0_14default_configENS1_27scan_by_key_config_selectorIidEEZZNS1_16scan_by_key_implILNS1_25lookback_scan_determinismE0ELb0ES3_N6thrust23THRUST_200600_302600_NS6detail15normal_iteratorINS9_10device_ptrIiEEEENSB_INSC_IdEEEESG_dNS9_4plusIvEENS9_8equal_toIvEEdEE10hipError_tPvRmT2_T3_T4_T5_mT6_T7_P12ihipStream_tbENKUlT_T0_E_clISt17integral_constantIbLb0EES11_EEDaSW_SX_EUlSW_E_NS1_11comp_targetILNS1_3genE2ELNS1_11target_archE906ELNS1_3gpuE6ELNS1_3repE0EEENS1_30default_config_static_selectorELNS0_4arch9wavefront6targetE0EEEvT1_, .Lfunc_end1090-_ZN7rocprim17ROCPRIM_400000_NS6detail17trampoline_kernelINS0_14default_configENS1_27scan_by_key_config_selectorIidEEZZNS1_16scan_by_key_implILNS1_25lookback_scan_determinismE0ELb0ES3_N6thrust23THRUST_200600_302600_NS6detail15normal_iteratorINS9_10device_ptrIiEEEENSB_INSC_IdEEEESG_dNS9_4plusIvEENS9_8equal_toIvEEdEE10hipError_tPvRmT2_T3_T4_T5_mT6_T7_P12ihipStream_tbENKUlT_T0_E_clISt17integral_constantIbLb0EES11_EEDaSW_SX_EUlSW_E_NS1_11comp_targetILNS1_3genE2ELNS1_11target_archE906ELNS1_3gpuE6ELNS1_3repE0EEENS1_30default_config_static_selectorELNS0_4arch9wavefront6targetE0EEEvT1_
                                        ; -- End function
	.set _ZN7rocprim17ROCPRIM_400000_NS6detail17trampoline_kernelINS0_14default_configENS1_27scan_by_key_config_selectorIidEEZZNS1_16scan_by_key_implILNS1_25lookback_scan_determinismE0ELb0ES3_N6thrust23THRUST_200600_302600_NS6detail15normal_iteratorINS9_10device_ptrIiEEEENSB_INSC_IdEEEESG_dNS9_4plusIvEENS9_8equal_toIvEEdEE10hipError_tPvRmT2_T3_T4_T5_mT6_T7_P12ihipStream_tbENKUlT_T0_E_clISt17integral_constantIbLb0EES11_EEDaSW_SX_EUlSW_E_NS1_11comp_targetILNS1_3genE2ELNS1_11target_archE906ELNS1_3gpuE6ELNS1_3repE0EEENS1_30default_config_static_selectorELNS0_4arch9wavefront6targetE0EEEvT1_.num_vgpr, 0
	.set _ZN7rocprim17ROCPRIM_400000_NS6detail17trampoline_kernelINS0_14default_configENS1_27scan_by_key_config_selectorIidEEZZNS1_16scan_by_key_implILNS1_25lookback_scan_determinismE0ELb0ES3_N6thrust23THRUST_200600_302600_NS6detail15normal_iteratorINS9_10device_ptrIiEEEENSB_INSC_IdEEEESG_dNS9_4plusIvEENS9_8equal_toIvEEdEE10hipError_tPvRmT2_T3_T4_T5_mT6_T7_P12ihipStream_tbENKUlT_T0_E_clISt17integral_constantIbLb0EES11_EEDaSW_SX_EUlSW_E_NS1_11comp_targetILNS1_3genE2ELNS1_11target_archE906ELNS1_3gpuE6ELNS1_3repE0EEENS1_30default_config_static_selectorELNS0_4arch9wavefront6targetE0EEEvT1_.num_agpr, 0
	.set _ZN7rocprim17ROCPRIM_400000_NS6detail17trampoline_kernelINS0_14default_configENS1_27scan_by_key_config_selectorIidEEZZNS1_16scan_by_key_implILNS1_25lookback_scan_determinismE0ELb0ES3_N6thrust23THRUST_200600_302600_NS6detail15normal_iteratorINS9_10device_ptrIiEEEENSB_INSC_IdEEEESG_dNS9_4plusIvEENS9_8equal_toIvEEdEE10hipError_tPvRmT2_T3_T4_T5_mT6_T7_P12ihipStream_tbENKUlT_T0_E_clISt17integral_constantIbLb0EES11_EEDaSW_SX_EUlSW_E_NS1_11comp_targetILNS1_3genE2ELNS1_11target_archE906ELNS1_3gpuE6ELNS1_3repE0EEENS1_30default_config_static_selectorELNS0_4arch9wavefront6targetE0EEEvT1_.numbered_sgpr, 0
	.set _ZN7rocprim17ROCPRIM_400000_NS6detail17trampoline_kernelINS0_14default_configENS1_27scan_by_key_config_selectorIidEEZZNS1_16scan_by_key_implILNS1_25lookback_scan_determinismE0ELb0ES3_N6thrust23THRUST_200600_302600_NS6detail15normal_iteratorINS9_10device_ptrIiEEEENSB_INSC_IdEEEESG_dNS9_4plusIvEENS9_8equal_toIvEEdEE10hipError_tPvRmT2_T3_T4_T5_mT6_T7_P12ihipStream_tbENKUlT_T0_E_clISt17integral_constantIbLb0EES11_EEDaSW_SX_EUlSW_E_NS1_11comp_targetILNS1_3genE2ELNS1_11target_archE906ELNS1_3gpuE6ELNS1_3repE0EEENS1_30default_config_static_selectorELNS0_4arch9wavefront6targetE0EEEvT1_.num_named_barrier, 0
	.set _ZN7rocprim17ROCPRIM_400000_NS6detail17trampoline_kernelINS0_14default_configENS1_27scan_by_key_config_selectorIidEEZZNS1_16scan_by_key_implILNS1_25lookback_scan_determinismE0ELb0ES3_N6thrust23THRUST_200600_302600_NS6detail15normal_iteratorINS9_10device_ptrIiEEEENSB_INSC_IdEEEESG_dNS9_4plusIvEENS9_8equal_toIvEEdEE10hipError_tPvRmT2_T3_T4_T5_mT6_T7_P12ihipStream_tbENKUlT_T0_E_clISt17integral_constantIbLb0EES11_EEDaSW_SX_EUlSW_E_NS1_11comp_targetILNS1_3genE2ELNS1_11target_archE906ELNS1_3gpuE6ELNS1_3repE0EEENS1_30default_config_static_selectorELNS0_4arch9wavefront6targetE0EEEvT1_.private_seg_size, 0
	.set _ZN7rocprim17ROCPRIM_400000_NS6detail17trampoline_kernelINS0_14default_configENS1_27scan_by_key_config_selectorIidEEZZNS1_16scan_by_key_implILNS1_25lookback_scan_determinismE0ELb0ES3_N6thrust23THRUST_200600_302600_NS6detail15normal_iteratorINS9_10device_ptrIiEEEENSB_INSC_IdEEEESG_dNS9_4plusIvEENS9_8equal_toIvEEdEE10hipError_tPvRmT2_T3_T4_T5_mT6_T7_P12ihipStream_tbENKUlT_T0_E_clISt17integral_constantIbLb0EES11_EEDaSW_SX_EUlSW_E_NS1_11comp_targetILNS1_3genE2ELNS1_11target_archE906ELNS1_3gpuE6ELNS1_3repE0EEENS1_30default_config_static_selectorELNS0_4arch9wavefront6targetE0EEEvT1_.uses_vcc, 0
	.set _ZN7rocprim17ROCPRIM_400000_NS6detail17trampoline_kernelINS0_14default_configENS1_27scan_by_key_config_selectorIidEEZZNS1_16scan_by_key_implILNS1_25lookback_scan_determinismE0ELb0ES3_N6thrust23THRUST_200600_302600_NS6detail15normal_iteratorINS9_10device_ptrIiEEEENSB_INSC_IdEEEESG_dNS9_4plusIvEENS9_8equal_toIvEEdEE10hipError_tPvRmT2_T3_T4_T5_mT6_T7_P12ihipStream_tbENKUlT_T0_E_clISt17integral_constantIbLb0EES11_EEDaSW_SX_EUlSW_E_NS1_11comp_targetILNS1_3genE2ELNS1_11target_archE906ELNS1_3gpuE6ELNS1_3repE0EEENS1_30default_config_static_selectorELNS0_4arch9wavefront6targetE0EEEvT1_.uses_flat_scratch, 0
	.set _ZN7rocprim17ROCPRIM_400000_NS6detail17trampoline_kernelINS0_14default_configENS1_27scan_by_key_config_selectorIidEEZZNS1_16scan_by_key_implILNS1_25lookback_scan_determinismE0ELb0ES3_N6thrust23THRUST_200600_302600_NS6detail15normal_iteratorINS9_10device_ptrIiEEEENSB_INSC_IdEEEESG_dNS9_4plusIvEENS9_8equal_toIvEEdEE10hipError_tPvRmT2_T3_T4_T5_mT6_T7_P12ihipStream_tbENKUlT_T0_E_clISt17integral_constantIbLb0EES11_EEDaSW_SX_EUlSW_E_NS1_11comp_targetILNS1_3genE2ELNS1_11target_archE906ELNS1_3gpuE6ELNS1_3repE0EEENS1_30default_config_static_selectorELNS0_4arch9wavefront6targetE0EEEvT1_.has_dyn_sized_stack, 0
	.set _ZN7rocprim17ROCPRIM_400000_NS6detail17trampoline_kernelINS0_14default_configENS1_27scan_by_key_config_selectorIidEEZZNS1_16scan_by_key_implILNS1_25lookback_scan_determinismE0ELb0ES3_N6thrust23THRUST_200600_302600_NS6detail15normal_iteratorINS9_10device_ptrIiEEEENSB_INSC_IdEEEESG_dNS9_4plusIvEENS9_8equal_toIvEEdEE10hipError_tPvRmT2_T3_T4_T5_mT6_T7_P12ihipStream_tbENKUlT_T0_E_clISt17integral_constantIbLb0EES11_EEDaSW_SX_EUlSW_E_NS1_11comp_targetILNS1_3genE2ELNS1_11target_archE906ELNS1_3gpuE6ELNS1_3repE0EEENS1_30default_config_static_selectorELNS0_4arch9wavefront6targetE0EEEvT1_.has_recursion, 0
	.set _ZN7rocprim17ROCPRIM_400000_NS6detail17trampoline_kernelINS0_14default_configENS1_27scan_by_key_config_selectorIidEEZZNS1_16scan_by_key_implILNS1_25lookback_scan_determinismE0ELb0ES3_N6thrust23THRUST_200600_302600_NS6detail15normal_iteratorINS9_10device_ptrIiEEEENSB_INSC_IdEEEESG_dNS9_4plusIvEENS9_8equal_toIvEEdEE10hipError_tPvRmT2_T3_T4_T5_mT6_T7_P12ihipStream_tbENKUlT_T0_E_clISt17integral_constantIbLb0EES11_EEDaSW_SX_EUlSW_E_NS1_11comp_targetILNS1_3genE2ELNS1_11target_archE906ELNS1_3gpuE6ELNS1_3repE0EEENS1_30default_config_static_selectorELNS0_4arch9wavefront6targetE0EEEvT1_.has_indirect_call, 0
	.section	.AMDGPU.csdata,"",@progbits
; Kernel info:
; codeLenInByte = 0
; TotalNumSgprs: 0
; NumVgprs: 0
; ScratchSize: 0
; MemoryBound: 0
; FloatMode: 240
; IeeeMode: 1
; LDSByteSize: 0 bytes/workgroup (compile time only)
; SGPRBlocks: 0
; VGPRBlocks: 0
; NumSGPRsForWavesPerEU: 1
; NumVGPRsForWavesPerEU: 1
; Occupancy: 16
; WaveLimiterHint : 0
; COMPUTE_PGM_RSRC2:SCRATCH_EN: 0
; COMPUTE_PGM_RSRC2:USER_SGPR: 6
; COMPUTE_PGM_RSRC2:TRAP_HANDLER: 0
; COMPUTE_PGM_RSRC2:TGID_X_EN: 1
; COMPUTE_PGM_RSRC2:TGID_Y_EN: 0
; COMPUTE_PGM_RSRC2:TGID_Z_EN: 0
; COMPUTE_PGM_RSRC2:TIDIG_COMP_CNT: 0
	.section	.text._ZN7rocprim17ROCPRIM_400000_NS6detail17trampoline_kernelINS0_14default_configENS1_27scan_by_key_config_selectorIidEEZZNS1_16scan_by_key_implILNS1_25lookback_scan_determinismE0ELb0ES3_N6thrust23THRUST_200600_302600_NS6detail15normal_iteratorINS9_10device_ptrIiEEEENSB_INSC_IdEEEESG_dNS9_4plusIvEENS9_8equal_toIvEEdEE10hipError_tPvRmT2_T3_T4_T5_mT6_T7_P12ihipStream_tbENKUlT_T0_E_clISt17integral_constantIbLb0EES11_EEDaSW_SX_EUlSW_E_NS1_11comp_targetILNS1_3genE10ELNS1_11target_archE1200ELNS1_3gpuE4ELNS1_3repE0EEENS1_30default_config_static_selectorELNS0_4arch9wavefront6targetE0EEEvT1_,"axG",@progbits,_ZN7rocprim17ROCPRIM_400000_NS6detail17trampoline_kernelINS0_14default_configENS1_27scan_by_key_config_selectorIidEEZZNS1_16scan_by_key_implILNS1_25lookback_scan_determinismE0ELb0ES3_N6thrust23THRUST_200600_302600_NS6detail15normal_iteratorINS9_10device_ptrIiEEEENSB_INSC_IdEEEESG_dNS9_4plusIvEENS9_8equal_toIvEEdEE10hipError_tPvRmT2_T3_T4_T5_mT6_T7_P12ihipStream_tbENKUlT_T0_E_clISt17integral_constantIbLb0EES11_EEDaSW_SX_EUlSW_E_NS1_11comp_targetILNS1_3genE10ELNS1_11target_archE1200ELNS1_3gpuE4ELNS1_3repE0EEENS1_30default_config_static_selectorELNS0_4arch9wavefront6targetE0EEEvT1_,comdat
	.protected	_ZN7rocprim17ROCPRIM_400000_NS6detail17trampoline_kernelINS0_14default_configENS1_27scan_by_key_config_selectorIidEEZZNS1_16scan_by_key_implILNS1_25lookback_scan_determinismE0ELb0ES3_N6thrust23THRUST_200600_302600_NS6detail15normal_iteratorINS9_10device_ptrIiEEEENSB_INSC_IdEEEESG_dNS9_4plusIvEENS9_8equal_toIvEEdEE10hipError_tPvRmT2_T3_T4_T5_mT6_T7_P12ihipStream_tbENKUlT_T0_E_clISt17integral_constantIbLb0EES11_EEDaSW_SX_EUlSW_E_NS1_11comp_targetILNS1_3genE10ELNS1_11target_archE1200ELNS1_3gpuE4ELNS1_3repE0EEENS1_30default_config_static_selectorELNS0_4arch9wavefront6targetE0EEEvT1_ ; -- Begin function _ZN7rocprim17ROCPRIM_400000_NS6detail17trampoline_kernelINS0_14default_configENS1_27scan_by_key_config_selectorIidEEZZNS1_16scan_by_key_implILNS1_25lookback_scan_determinismE0ELb0ES3_N6thrust23THRUST_200600_302600_NS6detail15normal_iteratorINS9_10device_ptrIiEEEENSB_INSC_IdEEEESG_dNS9_4plusIvEENS9_8equal_toIvEEdEE10hipError_tPvRmT2_T3_T4_T5_mT6_T7_P12ihipStream_tbENKUlT_T0_E_clISt17integral_constantIbLb0EES11_EEDaSW_SX_EUlSW_E_NS1_11comp_targetILNS1_3genE10ELNS1_11target_archE1200ELNS1_3gpuE4ELNS1_3repE0EEENS1_30default_config_static_selectorELNS0_4arch9wavefront6targetE0EEEvT1_
	.globl	_ZN7rocprim17ROCPRIM_400000_NS6detail17trampoline_kernelINS0_14default_configENS1_27scan_by_key_config_selectorIidEEZZNS1_16scan_by_key_implILNS1_25lookback_scan_determinismE0ELb0ES3_N6thrust23THRUST_200600_302600_NS6detail15normal_iteratorINS9_10device_ptrIiEEEENSB_INSC_IdEEEESG_dNS9_4plusIvEENS9_8equal_toIvEEdEE10hipError_tPvRmT2_T3_T4_T5_mT6_T7_P12ihipStream_tbENKUlT_T0_E_clISt17integral_constantIbLb0EES11_EEDaSW_SX_EUlSW_E_NS1_11comp_targetILNS1_3genE10ELNS1_11target_archE1200ELNS1_3gpuE4ELNS1_3repE0EEENS1_30default_config_static_selectorELNS0_4arch9wavefront6targetE0EEEvT1_
	.p2align	8
	.type	_ZN7rocprim17ROCPRIM_400000_NS6detail17trampoline_kernelINS0_14default_configENS1_27scan_by_key_config_selectorIidEEZZNS1_16scan_by_key_implILNS1_25lookback_scan_determinismE0ELb0ES3_N6thrust23THRUST_200600_302600_NS6detail15normal_iteratorINS9_10device_ptrIiEEEENSB_INSC_IdEEEESG_dNS9_4plusIvEENS9_8equal_toIvEEdEE10hipError_tPvRmT2_T3_T4_T5_mT6_T7_P12ihipStream_tbENKUlT_T0_E_clISt17integral_constantIbLb0EES11_EEDaSW_SX_EUlSW_E_NS1_11comp_targetILNS1_3genE10ELNS1_11target_archE1200ELNS1_3gpuE4ELNS1_3repE0EEENS1_30default_config_static_selectorELNS0_4arch9wavefront6targetE0EEEvT1_,@function
_ZN7rocprim17ROCPRIM_400000_NS6detail17trampoline_kernelINS0_14default_configENS1_27scan_by_key_config_selectorIidEEZZNS1_16scan_by_key_implILNS1_25lookback_scan_determinismE0ELb0ES3_N6thrust23THRUST_200600_302600_NS6detail15normal_iteratorINS9_10device_ptrIiEEEENSB_INSC_IdEEEESG_dNS9_4plusIvEENS9_8equal_toIvEEdEE10hipError_tPvRmT2_T3_T4_T5_mT6_T7_P12ihipStream_tbENKUlT_T0_E_clISt17integral_constantIbLb0EES11_EEDaSW_SX_EUlSW_E_NS1_11comp_targetILNS1_3genE10ELNS1_11target_archE1200ELNS1_3gpuE4ELNS1_3repE0EEENS1_30default_config_static_selectorELNS0_4arch9wavefront6targetE0EEEvT1_: ; @_ZN7rocprim17ROCPRIM_400000_NS6detail17trampoline_kernelINS0_14default_configENS1_27scan_by_key_config_selectorIidEEZZNS1_16scan_by_key_implILNS1_25lookback_scan_determinismE0ELb0ES3_N6thrust23THRUST_200600_302600_NS6detail15normal_iteratorINS9_10device_ptrIiEEEENSB_INSC_IdEEEESG_dNS9_4plusIvEENS9_8equal_toIvEEdEE10hipError_tPvRmT2_T3_T4_T5_mT6_T7_P12ihipStream_tbENKUlT_T0_E_clISt17integral_constantIbLb0EES11_EEDaSW_SX_EUlSW_E_NS1_11comp_targetILNS1_3genE10ELNS1_11target_archE1200ELNS1_3gpuE4ELNS1_3repE0EEENS1_30default_config_static_selectorELNS0_4arch9wavefront6targetE0EEEvT1_
; %bb.0:
	.section	.rodata,"a",@progbits
	.p2align	6, 0x0
	.amdhsa_kernel _ZN7rocprim17ROCPRIM_400000_NS6detail17trampoline_kernelINS0_14default_configENS1_27scan_by_key_config_selectorIidEEZZNS1_16scan_by_key_implILNS1_25lookback_scan_determinismE0ELb0ES3_N6thrust23THRUST_200600_302600_NS6detail15normal_iteratorINS9_10device_ptrIiEEEENSB_INSC_IdEEEESG_dNS9_4plusIvEENS9_8equal_toIvEEdEE10hipError_tPvRmT2_T3_T4_T5_mT6_T7_P12ihipStream_tbENKUlT_T0_E_clISt17integral_constantIbLb0EES11_EEDaSW_SX_EUlSW_E_NS1_11comp_targetILNS1_3genE10ELNS1_11target_archE1200ELNS1_3gpuE4ELNS1_3repE0EEENS1_30default_config_static_selectorELNS0_4arch9wavefront6targetE0EEEvT1_
		.amdhsa_group_segment_fixed_size 0
		.amdhsa_private_segment_fixed_size 0
		.amdhsa_kernarg_size 136
		.amdhsa_user_sgpr_count 6
		.amdhsa_user_sgpr_private_segment_buffer 1
		.amdhsa_user_sgpr_dispatch_ptr 0
		.amdhsa_user_sgpr_queue_ptr 0
		.amdhsa_user_sgpr_kernarg_segment_ptr 1
		.amdhsa_user_sgpr_dispatch_id 0
		.amdhsa_user_sgpr_flat_scratch_init 0
		.amdhsa_user_sgpr_private_segment_size 0
		.amdhsa_wavefront_size32 1
		.amdhsa_uses_dynamic_stack 0
		.amdhsa_system_sgpr_private_segment_wavefront_offset 0
		.amdhsa_system_sgpr_workgroup_id_x 1
		.amdhsa_system_sgpr_workgroup_id_y 0
		.amdhsa_system_sgpr_workgroup_id_z 0
		.amdhsa_system_sgpr_workgroup_info 0
		.amdhsa_system_vgpr_workitem_id 0
		.amdhsa_next_free_vgpr 1
		.amdhsa_next_free_sgpr 1
		.amdhsa_reserve_vcc 0
		.amdhsa_reserve_flat_scratch 0
		.amdhsa_float_round_mode_32 0
		.amdhsa_float_round_mode_16_64 0
		.amdhsa_float_denorm_mode_32 3
		.amdhsa_float_denorm_mode_16_64 3
		.amdhsa_dx10_clamp 1
		.amdhsa_ieee_mode 1
		.amdhsa_fp16_overflow 0
		.amdhsa_workgroup_processor_mode 1
		.amdhsa_memory_ordered 1
		.amdhsa_forward_progress 1
		.amdhsa_shared_vgpr_count 0
		.amdhsa_exception_fp_ieee_invalid_op 0
		.amdhsa_exception_fp_denorm_src 0
		.amdhsa_exception_fp_ieee_div_zero 0
		.amdhsa_exception_fp_ieee_overflow 0
		.amdhsa_exception_fp_ieee_underflow 0
		.amdhsa_exception_fp_ieee_inexact 0
		.amdhsa_exception_int_div_zero 0
	.end_amdhsa_kernel
	.section	.text._ZN7rocprim17ROCPRIM_400000_NS6detail17trampoline_kernelINS0_14default_configENS1_27scan_by_key_config_selectorIidEEZZNS1_16scan_by_key_implILNS1_25lookback_scan_determinismE0ELb0ES3_N6thrust23THRUST_200600_302600_NS6detail15normal_iteratorINS9_10device_ptrIiEEEENSB_INSC_IdEEEESG_dNS9_4plusIvEENS9_8equal_toIvEEdEE10hipError_tPvRmT2_T3_T4_T5_mT6_T7_P12ihipStream_tbENKUlT_T0_E_clISt17integral_constantIbLb0EES11_EEDaSW_SX_EUlSW_E_NS1_11comp_targetILNS1_3genE10ELNS1_11target_archE1200ELNS1_3gpuE4ELNS1_3repE0EEENS1_30default_config_static_selectorELNS0_4arch9wavefront6targetE0EEEvT1_,"axG",@progbits,_ZN7rocprim17ROCPRIM_400000_NS6detail17trampoline_kernelINS0_14default_configENS1_27scan_by_key_config_selectorIidEEZZNS1_16scan_by_key_implILNS1_25lookback_scan_determinismE0ELb0ES3_N6thrust23THRUST_200600_302600_NS6detail15normal_iteratorINS9_10device_ptrIiEEEENSB_INSC_IdEEEESG_dNS9_4plusIvEENS9_8equal_toIvEEdEE10hipError_tPvRmT2_T3_T4_T5_mT6_T7_P12ihipStream_tbENKUlT_T0_E_clISt17integral_constantIbLb0EES11_EEDaSW_SX_EUlSW_E_NS1_11comp_targetILNS1_3genE10ELNS1_11target_archE1200ELNS1_3gpuE4ELNS1_3repE0EEENS1_30default_config_static_selectorELNS0_4arch9wavefront6targetE0EEEvT1_,comdat
.Lfunc_end1091:
	.size	_ZN7rocprim17ROCPRIM_400000_NS6detail17trampoline_kernelINS0_14default_configENS1_27scan_by_key_config_selectorIidEEZZNS1_16scan_by_key_implILNS1_25lookback_scan_determinismE0ELb0ES3_N6thrust23THRUST_200600_302600_NS6detail15normal_iteratorINS9_10device_ptrIiEEEENSB_INSC_IdEEEESG_dNS9_4plusIvEENS9_8equal_toIvEEdEE10hipError_tPvRmT2_T3_T4_T5_mT6_T7_P12ihipStream_tbENKUlT_T0_E_clISt17integral_constantIbLb0EES11_EEDaSW_SX_EUlSW_E_NS1_11comp_targetILNS1_3genE10ELNS1_11target_archE1200ELNS1_3gpuE4ELNS1_3repE0EEENS1_30default_config_static_selectorELNS0_4arch9wavefront6targetE0EEEvT1_, .Lfunc_end1091-_ZN7rocprim17ROCPRIM_400000_NS6detail17trampoline_kernelINS0_14default_configENS1_27scan_by_key_config_selectorIidEEZZNS1_16scan_by_key_implILNS1_25lookback_scan_determinismE0ELb0ES3_N6thrust23THRUST_200600_302600_NS6detail15normal_iteratorINS9_10device_ptrIiEEEENSB_INSC_IdEEEESG_dNS9_4plusIvEENS9_8equal_toIvEEdEE10hipError_tPvRmT2_T3_T4_T5_mT6_T7_P12ihipStream_tbENKUlT_T0_E_clISt17integral_constantIbLb0EES11_EEDaSW_SX_EUlSW_E_NS1_11comp_targetILNS1_3genE10ELNS1_11target_archE1200ELNS1_3gpuE4ELNS1_3repE0EEENS1_30default_config_static_selectorELNS0_4arch9wavefront6targetE0EEEvT1_
                                        ; -- End function
	.set _ZN7rocprim17ROCPRIM_400000_NS6detail17trampoline_kernelINS0_14default_configENS1_27scan_by_key_config_selectorIidEEZZNS1_16scan_by_key_implILNS1_25lookback_scan_determinismE0ELb0ES3_N6thrust23THRUST_200600_302600_NS6detail15normal_iteratorINS9_10device_ptrIiEEEENSB_INSC_IdEEEESG_dNS9_4plusIvEENS9_8equal_toIvEEdEE10hipError_tPvRmT2_T3_T4_T5_mT6_T7_P12ihipStream_tbENKUlT_T0_E_clISt17integral_constantIbLb0EES11_EEDaSW_SX_EUlSW_E_NS1_11comp_targetILNS1_3genE10ELNS1_11target_archE1200ELNS1_3gpuE4ELNS1_3repE0EEENS1_30default_config_static_selectorELNS0_4arch9wavefront6targetE0EEEvT1_.num_vgpr, 0
	.set _ZN7rocprim17ROCPRIM_400000_NS6detail17trampoline_kernelINS0_14default_configENS1_27scan_by_key_config_selectorIidEEZZNS1_16scan_by_key_implILNS1_25lookback_scan_determinismE0ELb0ES3_N6thrust23THRUST_200600_302600_NS6detail15normal_iteratorINS9_10device_ptrIiEEEENSB_INSC_IdEEEESG_dNS9_4plusIvEENS9_8equal_toIvEEdEE10hipError_tPvRmT2_T3_T4_T5_mT6_T7_P12ihipStream_tbENKUlT_T0_E_clISt17integral_constantIbLb0EES11_EEDaSW_SX_EUlSW_E_NS1_11comp_targetILNS1_3genE10ELNS1_11target_archE1200ELNS1_3gpuE4ELNS1_3repE0EEENS1_30default_config_static_selectorELNS0_4arch9wavefront6targetE0EEEvT1_.num_agpr, 0
	.set _ZN7rocprim17ROCPRIM_400000_NS6detail17trampoline_kernelINS0_14default_configENS1_27scan_by_key_config_selectorIidEEZZNS1_16scan_by_key_implILNS1_25lookback_scan_determinismE0ELb0ES3_N6thrust23THRUST_200600_302600_NS6detail15normal_iteratorINS9_10device_ptrIiEEEENSB_INSC_IdEEEESG_dNS9_4plusIvEENS9_8equal_toIvEEdEE10hipError_tPvRmT2_T3_T4_T5_mT6_T7_P12ihipStream_tbENKUlT_T0_E_clISt17integral_constantIbLb0EES11_EEDaSW_SX_EUlSW_E_NS1_11comp_targetILNS1_3genE10ELNS1_11target_archE1200ELNS1_3gpuE4ELNS1_3repE0EEENS1_30default_config_static_selectorELNS0_4arch9wavefront6targetE0EEEvT1_.numbered_sgpr, 0
	.set _ZN7rocprim17ROCPRIM_400000_NS6detail17trampoline_kernelINS0_14default_configENS1_27scan_by_key_config_selectorIidEEZZNS1_16scan_by_key_implILNS1_25lookback_scan_determinismE0ELb0ES3_N6thrust23THRUST_200600_302600_NS6detail15normal_iteratorINS9_10device_ptrIiEEEENSB_INSC_IdEEEESG_dNS9_4plusIvEENS9_8equal_toIvEEdEE10hipError_tPvRmT2_T3_T4_T5_mT6_T7_P12ihipStream_tbENKUlT_T0_E_clISt17integral_constantIbLb0EES11_EEDaSW_SX_EUlSW_E_NS1_11comp_targetILNS1_3genE10ELNS1_11target_archE1200ELNS1_3gpuE4ELNS1_3repE0EEENS1_30default_config_static_selectorELNS0_4arch9wavefront6targetE0EEEvT1_.num_named_barrier, 0
	.set _ZN7rocprim17ROCPRIM_400000_NS6detail17trampoline_kernelINS0_14default_configENS1_27scan_by_key_config_selectorIidEEZZNS1_16scan_by_key_implILNS1_25lookback_scan_determinismE0ELb0ES3_N6thrust23THRUST_200600_302600_NS6detail15normal_iteratorINS9_10device_ptrIiEEEENSB_INSC_IdEEEESG_dNS9_4plusIvEENS9_8equal_toIvEEdEE10hipError_tPvRmT2_T3_T4_T5_mT6_T7_P12ihipStream_tbENKUlT_T0_E_clISt17integral_constantIbLb0EES11_EEDaSW_SX_EUlSW_E_NS1_11comp_targetILNS1_3genE10ELNS1_11target_archE1200ELNS1_3gpuE4ELNS1_3repE0EEENS1_30default_config_static_selectorELNS0_4arch9wavefront6targetE0EEEvT1_.private_seg_size, 0
	.set _ZN7rocprim17ROCPRIM_400000_NS6detail17trampoline_kernelINS0_14default_configENS1_27scan_by_key_config_selectorIidEEZZNS1_16scan_by_key_implILNS1_25lookback_scan_determinismE0ELb0ES3_N6thrust23THRUST_200600_302600_NS6detail15normal_iteratorINS9_10device_ptrIiEEEENSB_INSC_IdEEEESG_dNS9_4plusIvEENS9_8equal_toIvEEdEE10hipError_tPvRmT2_T3_T4_T5_mT6_T7_P12ihipStream_tbENKUlT_T0_E_clISt17integral_constantIbLb0EES11_EEDaSW_SX_EUlSW_E_NS1_11comp_targetILNS1_3genE10ELNS1_11target_archE1200ELNS1_3gpuE4ELNS1_3repE0EEENS1_30default_config_static_selectorELNS0_4arch9wavefront6targetE0EEEvT1_.uses_vcc, 0
	.set _ZN7rocprim17ROCPRIM_400000_NS6detail17trampoline_kernelINS0_14default_configENS1_27scan_by_key_config_selectorIidEEZZNS1_16scan_by_key_implILNS1_25lookback_scan_determinismE0ELb0ES3_N6thrust23THRUST_200600_302600_NS6detail15normal_iteratorINS9_10device_ptrIiEEEENSB_INSC_IdEEEESG_dNS9_4plusIvEENS9_8equal_toIvEEdEE10hipError_tPvRmT2_T3_T4_T5_mT6_T7_P12ihipStream_tbENKUlT_T0_E_clISt17integral_constantIbLb0EES11_EEDaSW_SX_EUlSW_E_NS1_11comp_targetILNS1_3genE10ELNS1_11target_archE1200ELNS1_3gpuE4ELNS1_3repE0EEENS1_30default_config_static_selectorELNS0_4arch9wavefront6targetE0EEEvT1_.uses_flat_scratch, 0
	.set _ZN7rocprim17ROCPRIM_400000_NS6detail17trampoline_kernelINS0_14default_configENS1_27scan_by_key_config_selectorIidEEZZNS1_16scan_by_key_implILNS1_25lookback_scan_determinismE0ELb0ES3_N6thrust23THRUST_200600_302600_NS6detail15normal_iteratorINS9_10device_ptrIiEEEENSB_INSC_IdEEEESG_dNS9_4plusIvEENS9_8equal_toIvEEdEE10hipError_tPvRmT2_T3_T4_T5_mT6_T7_P12ihipStream_tbENKUlT_T0_E_clISt17integral_constantIbLb0EES11_EEDaSW_SX_EUlSW_E_NS1_11comp_targetILNS1_3genE10ELNS1_11target_archE1200ELNS1_3gpuE4ELNS1_3repE0EEENS1_30default_config_static_selectorELNS0_4arch9wavefront6targetE0EEEvT1_.has_dyn_sized_stack, 0
	.set _ZN7rocprim17ROCPRIM_400000_NS6detail17trampoline_kernelINS0_14default_configENS1_27scan_by_key_config_selectorIidEEZZNS1_16scan_by_key_implILNS1_25lookback_scan_determinismE0ELb0ES3_N6thrust23THRUST_200600_302600_NS6detail15normal_iteratorINS9_10device_ptrIiEEEENSB_INSC_IdEEEESG_dNS9_4plusIvEENS9_8equal_toIvEEdEE10hipError_tPvRmT2_T3_T4_T5_mT6_T7_P12ihipStream_tbENKUlT_T0_E_clISt17integral_constantIbLb0EES11_EEDaSW_SX_EUlSW_E_NS1_11comp_targetILNS1_3genE10ELNS1_11target_archE1200ELNS1_3gpuE4ELNS1_3repE0EEENS1_30default_config_static_selectorELNS0_4arch9wavefront6targetE0EEEvT1_.has_recursion, 0
	.set _ZN7rocprim17ROCPRIM_400000_NS6detail17trampoline_kernelINS0_14default_configENS1_27scan_by_key_config_selectorIidEEZZNS1_16scan_by_key_implILNS1_25lookback_scan_determinismE0ELb0ES3_N6thrust23THRUST_200600_302600_NS6detail15normal_iteratorINS9_10device_ptrIiEEEENSB_INSC_IdEEEESG_dNS9_4plusIvEENS9_8equal_toIvEEdEE10hipError_tPvRmT2_T3_T4_T5_mT6_T7_P12ihipStream_tbENKUlT_T0_E_clISt17integral_constantIbLb0EES11_EEDaSW_SX_EUlSW_E_NS1_11comp_targetILNS1_3genE10ELNS1_11target_archE1200ELNS1_3gpuE4ELNS1_3repE0EEENS1_30default_config_static_selectorELNS0_4arch9wavefront6targetE0EEEvT1_.has_indirect_call, 0
	.section	.AMDGPU.csdata,"",@progbits
; Kernel info:
; codeLenInByte = 0
; TotalNumSgprs: 0
; NumVgprs: 0
; ScratchSize: 0
; MemoryBound: 0
; FloatMode: 240
; IeeeMode: 1
; LDSByteSize: 0 bytes/workgroup (compile time only)
; SGPRBlocks: 0
; VGPRBlocks: 0
; NumSGPRsForWavesPerEU: 1
; NumVGPRsForWavesPerEU: 1
; Occupancy: 16
; WaveLimiterHint : 0
; COMPUTE_PGM_RSRC2:SCRATCH_EN: 0
; COMPUTE_PGM_RSRC2:USER_SGPR: 6
; COMPUTE_PGM_RSRC2:TRAP_HANDLER: 0
; COMPUTE_PGM_RSRC2:TGID_X_EN: 1
; COMPUTE_PGM_RSRC2:TGID_Y_EN: 0
; COMPUTE_PGM_RSRC2:TGID_Z_EN: 0
; COMPUTE_PGM_RSRC2:TIDIG_COMP_CNT: 0
	.section	.text._ZN7rocprim17ROCPRIM_400000_NS6detail17trampoline_kernelINS0_14default_configENS1_27scan_by_key_config_selectorIidEEZZNS1_16scan_by_key_implILNS1_25lookback_scan_determinismE0ELb0ES3_N6thrust23THRUST_200600_302600_NS6detail15normal_iteratorINS9_10device_ptrIiEEEENSB_INSC_IdEEEESG_dNS9_4plusIvEENS9_8equal_toIvEEdEE10hipError_tPvRmT2_T3_T4_T5_mT6_T7_P12ihipStream_tbENKUlT_T0_E_clISt17integral_constantIbLb0EES11_EEDaSW_SX_EUlSW_E_NS1_11comp_targetILNS1_3genE9ELNS1_11target_archE1100ELNS1_3gpuE3ELNS1_3repE0EEENS1_30default_config_static_selectorELNS0_4arch9wavefront6targetE0EEEvT1_,"axG",@progbits,_ZN7rocprim17ROCPRIM_400000_NS6detail17trampoline_kernelINS0_14default_configENS1_27scan_by_key_config_selectorIidEEZZNS1_16scan_by_key_implILNS1_25lookback_scan_determinismE0ELb0ES3_N6thrust23THRUST_200600_302600_NS6detail15normal_iteratorINS9_10device_ptrIiEEEENSB_INSC_IdEEEESG_dNS9_4plusIvEENS9_8equal_toIvEEdEE10hipError_tPvRmT2_T3_T4_T5_mT6_T7_P12ihipStream_tbENKUlT_T0_E_clISt17integral_constantIbLb0EES11_EEDaSW_SX_EUlSW_E_NS1_11comp_targetILNS1_3genE9ELNS1_11target_archE1100ELNS1_3gpuE3ELNS1_3repE0EEENS1_30default_config_static_selectorELNS0_4arch9wavefront6targetE0EEEvT1_,comdat
	.protected	_ZN7rocprim17ROCPRIM_400000_NS6detail17trampoline_kernelINS0_14default_configENS1_27scan_by_key_config_selectorIidEEZZNS1_16scan_by_key_implILNS1_25lookback_scan_determinismE0ELb0ES3_N6thrust23THRUST_200600_302600_NS6detail15normal_iteratorINS9_10device_ptrIiEEEENSB_INSC_IdEEEESG_dNS9_4plusIvEENS9_8equal_toIvEEdEE10hipError_tPvRmT2_T3_T4_T5_mT6_T7_P12ihipStream_tbENKUlT_T0_E_clISt17integral_constantIbLb0EES11_EEDaSW_SX_EUlSW_E_NS1_11comp_targetILNS1_3genE9ELNS1_11target_archE1100ELNS1_3gpuE3ELNS1_3repE0EEENS1_30default_config_static_selectorELNS0_4arch9wavefront6targetE0EEEvT1_ ; -- Begin function _ZN7rocprim17ROCPRIM_400000_NS6detail17trampoline_kernelINS0_14default_configENS1_27scan_by_key_config_selectorIidEEZZNS1_16scan_by_key_implILNS1_25lookback_scan_determinismE0ELb0ES3_N6thrust23THRUST_200600_302600_NS6detail15normal_iteratorINS9_10device_ptrIiEEEENSB_INSC_IdEEEESG_dNS9_4plusIvEENS9_8equal_toIvEEdEE10hipError_tPvRmT2_T3_T4_T5_mT6_T7_P12ihipStream_tbENKUlT_T0_E_clISt17integral_constantIbLb0EES11_EEDaSW_SX_EUlSW_E_NS1_11comp_targetILNS1_3genE9ELNS1_11target_archE1100ELNS1_3gpuE3ELNS1_3repE0EEENS1_30default_config_static_selectorELNS0_4arch9wavefront6targetE0EEEvT1_
	.globl	_ZN7rocprim17ROCPRIM_400000_NS6detail17trampoline_kernelINS0_14default_configENS1_27scan_by_key_config_selectorIidEEZZNS1_16scan_by_key_implILNS1_25lookback_scan_determinismE0ELb0ES3_N6thrust23THRUST_200600_302600_NS6detail15normal_iteratorINS9_10device_ptrIiEEEENSB_INSC_IdEEEESG_dNS9_4plusIvEENS9_8equal_toIvEEdEE10hipError_tPvRmT2_T3_T4_T5_mT6_T7_P12ihipStream_tbENKUlT_T0_E_clISt17integral_constantIbLb0EES11_EEDaSW_SX_EUlSW_E_NS1_11comp_targetILNS1_3genE9ELNS1_11target_archE1100ELNS1_3gpuE3ELNS1_3repE0EEENS1_30default_config_static_selectorELNS0_4arch9wavefront6targetE0EEEvT1_
	.p2align	8
	.type	_ZN7rocprim17ROCPRIM_400000_NS6detail17trampoline_kernelINS0_14default_configENS1_27scan_by_key_config_selectorIidEEZZNS1_16scan_by_key_implILNS1_25lookback_scan_determinismE0ELb0ES3_N6thrust23THRUST_200600_302600_NS6detail15normal_iteratorINS9_10device_ptrIiEEEENSB_INSC_IdEEEESG_dNS9_4plusIvEENS9_8equal_toIvEEdEE10hipError_tPvRmT2_T3_T4_T5_mT6_T7_P12ihipStream_tbENKUlT_T0_E_clISt17integral_constantIbLb0EES11_EEDaSW_SX_EUlSW_E_NS1_11comp_targetILNS1_3genE9ELNS1_11target_archE1100ELNS1_3gpuE3ELNS1_3repE0EEENS1_30default_config_static_selectorELNS0_4arch9wavefront6targetE0EEEvT1_,@function
_ZN7rocprim17ROCPRIM_400000_NS6detail17trampoline_kernelINS0_14default_configENS1_27scan_by_key_config_selectorIidEEZZNS1_16scan_by_key_implILNS1_25lookback_scan_determinismE0ELb0ES3_N6thrust23THRUST_200600_302600_NS6detail15normal_iteratorINS9_10device_ptrIiEEEENSB_INSC_IdEEEESG_dNS9_4plusIvEENS9_8equal_toIvEEdEE10hipError_tPvRmT2_T3_T4_T5_mT6_T7_P12ihipStream_tbENKUlT_T0_E_clISt17integral_constantIbLb0EES11_EEDaSW_SX_EUlSW_E_NS1_11comp_targetILNS1_3genE9ELNS1_11target_archE1100ELNS1_3gpuE3ELNS1_3repE0EEENS1_30default_config_static_selectorELNS0_4arch9wavefront6targetE0EEEvT1_: ; @_ZN7rocprim17ROCPRIM_400000_NS6detail17trampoline_kernelINS0_14default_configENS1_27scan_by_key_config_selectorIidEEZZNS1_16scan_by_key_implILNS1_25lookback_scan_determinismE0ELb0ES3_N6thrust23THRUST_200600_302600_NS6detail15normal_iteratorINS9_10device_ptrIiEEEENSB_INSC_IdEEEESG_dNS9_4plusIvEENS9_8equal_toIvEEdEE10hipError_tPvRmT2_T3_T4_T5_mT6_T7_P12ihipStream_tbENKUlT_T0_E_clISt17integral_constantIbLb0EES11_EEDaSW_SX_EUlSW_E_NS1_11comp_targetILNS1_3genE9ELNS1_11target_archE1100ELNS1_3gpuE3ELNS1_3repE0EEENS1_30default_config_static_selectorELNS0_4arch9wavefront6targetE0EEEvT1_
; %bb.0:
	.section	.rodata,"a",@progbits
	.p2align	6, 0x0
	.amdhsa_kernel _ZN7rocprim17ROCPRIM_400000_NS6detail17trampoline_kernelINS0_14default_configENS1_27scan_by_key_config_selectorIidEEZZNS1_16scan_by_key_implILNS1_25lookback_scan_determinismE0ELb0ES3_N6thrust23THRUST_200600_302600_NS6detail15normal_iteratorINS9_10device_ptrIiEEEENSB_INSC_IdEEEESG_dNS9_4plusIvEENS9_8equal_toIvEEdEE10hipError_tPvRmT2_T3_T4_T5_mT6_T7_P12ihipStream_tbENKUlT_T0_E_clISt17integral_constantIbLb0EES11_EEDaSW_SX_EUlSW_E_NS1_11comp_targetILNS1_3genE9ELNS1_11target_archE1100ELNS1_3gpuE3ELNS1_3repE0EEENS1_30default_config_static_selectorELNS0_4arch9wavefront6targetE0EEEvT1_
		.amdhsa_group_segment_fixed_size 0
		.amdhsa_private_segment_fixed_size 0
		.amdhsa_kernarg_size 136
		.amdhsa_user_sgpr_count 6
		.amdhsa_user_sgpr_private_segment_buffer 1
		.amdhsa_user_sgpr_dispatch_ptr 0
		.amdhsa_user_sgpr_queue_ptr 0
		.amdhsa_user_sgpr_kernarg_segment_ptr 1
		.amdhsa_user_sgpr_dispatch_id 0
		.amdhsa_user_sgpr_flat_scratch_init 0
		.amdhsa_user_sgpr_private_segment_size 0
		.amdhsa_wavefront_size32 1
		.amdhsa_uses_dynamic_stack 0
		.amdhsa_system_sgpr_private_segment_wavefront_offset 0
		.amdhsa_system_sgpr_workgroup_id_x 1
		.amdhsa_system_sgpr_workgroup_id_y 0
		.amdhsa_system_sgpr_workgroup_id_z 0
		.amdhsa_system_sgpr_workgroup_info 0
		.amdhsa_system_vgpr_workitem_id 0
		.amdhsa_next_free_vgpr 1
		.amdhsa_next_free_sgpr 1
		.amdhsa_reserve_vcc 0
		.amdhsa_reserve_flat_scratch 0
		.amdhsa_float_round_mode_32 0
		.amdhsa_float_round_mode_16_64 0
		.amdhsa_float_denorm_mode_32 3
		.amdhsa_float_denorm_mode_16_64 3
		.amdhsa_dx10_clamp 1
		.amdhsa_ieee_mode 1
		.amdhsa_fp16_overflow 0
		.amdhsa_workgroup_processor_mode 1
		.amdhsa_memory_ordered 1
		.amdhsa_forward_progress 1
		.amdhsa_shared_vgpr_count 0
		.amdhsa_exception_fp_ieee_invalid_op 0
		.amdhsa_exception_fp_denorm_src 0
		.amdhsa_exception_fp_ieee_div_zero 0
		.amdhsa_exception_fp_ieee_overflow 0
		.amdhsa_exception_fp_ieee_underflow 0
		.amdhsa_exception_fp_ieee_inexact 0
		.amdhsa_exception_int_div_zero 0
	.end_amdhsa_kernel
	.section	.text._ZN7rocprim17ROCPRIM_400000_NS6detail17trampoline_kernelINS0_14default_configENS1_27scan_by_key_config_selectorIidEEZZNS1_16scan_by_key_implILNS1_25lookback_scan_determinismE0ELb0ES3_N6thrust23THRUST_200600_302600_NS6detail15normal_iteratorINS9_10device_ptrIiEEEENSB_INSC_IdEEEESG_dNS9_4plusIvEENS9_8equal_toIvEEdEE10hipError_tPvRmT2_T3_T4_T5_mT6_T7_P12ihipStream_tbENKUlT_T0_E_clISt17integral_constantIbLb0EES11_EEDaSW_SX_EUlSW_E_NS1_11comp_targetILNS1_3genE9ELNS1_11target_archE1100ELNS1_3gpuE3ELNS1_3repE0EEENS1_30default_config_static_selectorELNS0_4arch9wavefront6targetE0EEEvT1_,"axG",@progbits,_ZN7rocprim17ROCPRIM_400000_NS6detail17trampoline_kernelINS0_14default_configENS1_27scan_by_key_config_selectorIidEEZZNS1_16scan_by_key_implILNS1_25lookback_scan_determinismE0ELb0ES3_N6thrust23THRUST_200600_302600_NS6detail15normal_iteratorINS9_10device_ptrIiEEEENSB_INSC_IdEEEESG_dNS9_4plusIvEENS9_8equal_toIvEEdEE10hipError_tPvRmT2_T3_T4_T5_mT6_T7_P12ihipStream_tbENKUlT_T0_E_clISt17integral_constantIbLb0EES11_EEDaSW_SX_EUlSW_E_NS1_11comp_targetILNS1_3genE9ELNS1_11target_archE1100ELNS1_3gpuE3ELNS1_3repE0EEENS1_30default_config_static_selectorELNS0_4arch9wavefront6targetE0EEEvT1_,comdat
.Lfunc_end1092:
	.size	_ZN7rocprim17ROCPRIM_400000_NS6detail17trampoline_kernelINS0_14default_configENS1_27scan_by_key_config_selectorIidEEZZNS1_16scan_by_key_implILNS1_25lookback_scan_determinismE0ELb0ES3_N6thrust23THRUST_200600_302600_NS6detail15normal_iteratorINS9_10device_ptrIiEEEENSB_INSC_IdEEEESG_dNS9_4plusIvEENS9_8equal_toIvEEdEE10hipError_tPvRmT2_T3_T4_T5_mT6_T7_P12ihipStream_tbENKUlT_T0_E_clISt17integral_constantIbLb0EES11_EEDaSW_SX_EUlSW_E_NS1_11comp_targetILNS1_3genE9ELNS1_11target_archE1100ELNS1_3gpuE3ELNS1_3repE0EEENS1_30default_config_static_selectorELNS0_4arch9wavefront6targetE0EEEvT1_, .Lfunc_end1092-_ZN7rocprim17ROCPRIM_400000_NS6detail17trampoline_kernelINS0_14default_configENS1_27scan_by_key_config_selectorIidEEZZNS1_16scan_by_key_implILNS1_25lookback_scan_determinismE0ELb0ES3_N6thrust23THRUST_200600_302600_NS6detail15normal_iteratorINS9_10device_ptrIiEEEENSB_INSC_IdEEEESG_dNS9_4plusIvEENS9_8equal_toIvEEdEE10hipError_tPvRmT2_T3_T4_T5_mT6_T7_P12ihipStream_tbENKUlT_T0_E_clISt17integral_constantIbLb0EES11_EEDaSW_SX_EUlSW_E_NS1_11comp_targetILNS1_3genE9ELNS1_11target_archE1100ELNS1_3gpuE3ELNS1_3repE0EEENS1_30default_config_static_selectorELNS0_4arch9wavefront6targetE0EEEvT1_
                                        ; -- End function
	.set _ZN7rocprim17ROCPRIM_400000_NS6detail17trampoline_kernelINS0_14default_configENS1_27scan_by_key_config_selectorIidEEZZNS1_16scan_by_key_implILNS1_25lookback_scan_determinismE0ELb0ES3_N6thrust23THRUST_200600_302600_NS6detail15normal_iteratorINS9_10device_ptrIiEEEENSB_INSC_IdEEEESG_dNS9_4plusIvEENS9_8equal_toIvEEdEE10hipError_tPvRmT2_T3_T4_T5_mT6_T7_P12ihipStream_tbENKUlT_T0_E_clISt17integral_constantIbLb0EES11_EEDaSW_SX_EUlSW_E_NS1_11comp_targetILNS1_3genE9ELNS1_11target_archE1100ELNS1_3gpuE3ELNS1_3repE0EEENS1_30default_config_static_selectorELNS0_4arch9wavefront6targetE0EEEvT1_.num_vgpr, 0
	.set _ZN7rocprim17ROCPRIM_400000_NS6detail17trampoline_kernelINS0_14default_configENS1_27scan_by_key_config_selectorIidEEZZNS1_16scan_by_key_implILNS1_25lookback_scan_determinismE0ELb0ES3_N6thrust23THRUST_200600_302600_NS6detail15normal_iteratorINS9_10device_ptrIiEEEENSB_INSC_IdEEEESG_dNS9_4plusIvEENS9_8equal_toIvEEdEE10hipError_tPvRmT2_T3_T4_T5_mT6_T7_P12ihipStream_tbENKUlT_T0_E_clISt17integral_constantIbLb0EES11_EEDaSW_SX_EUlSW_E_NS1_11comp_targetILNS1_3genE9ELNS1_11target_archE1100ELNS1_3gpuE3ELNS1_3repE0EEENS1_30default_config_static_selectorELNS0_4arch9wavefront6targetE0EEEvT1_.num_agpr, 0
	.set _ZN7rocprim17ROCPRIM_400000_NS6detail17trampoline_kernelINS0_14default_configENS1_27scan_by_key_config_selectorIidEEZZNS1_16scan_by_key_implILNS1_25lookback_scan_determinismE0ELb0ES3_N6thrust23THRUST_200600_302600_NS6detail15normal_iteratorINS9_10device_ptrIiEEEENSB_INSC_IdEEEESG_dNS9_4plusIvEENS9_8equal_toIvEEdEE10hipError_tPvRmT2_T3_T4_T5_mT6_T7_P12ihipStream_tbENKUlT_T0_E_clISt17integral_constantIbLb0EES11_EEDaSW_SX_EUlSW_E_NS1_11comp_targetILNS1_3genE9ELNS1_11target_archE1100ELNS1_3gpuE3ELNS1_3repE0EEENS1_30default_config_static_selectorELNS0_4arch9wavefront6targetE0EEEvT1_.numbered_sgpr, 0
	.set _ZN7rocprim17ROCPRIM_400000_NS6detail17trampoline_kernelINS0_14default_configENS1_27scan_by_key_config_selectorIidEEZZNS1_16scan_by_key_implILNS1_25lookback_scan_determinismE0ELb0ES3_N6thrust23THRUST_200600_302600_NS6detail15normal_iteratorINS9_10device_ptrIiEEEENSB_INSC_IdEEEESG_dNS9_4plusIvEENS9_8equal_toIvEEdEE10hipError_tPvRmT2_T3_T4_T5_mT6_T7_P12ihipStream_tbENKUlT_T0_E_clISt17integral_constantIbLb0EES11_EEDaSW_SX_EUlSW_E_NS1_11comp_targetILNS1_3genE9ELNS1_11target_archE1100ELNS1_3gpuE3ELNS1_3repE0EEENS1_30default_config_static_selectorELNS0_4arch9wavefront6targetE0EEEvT1_.num_named_barrier, 0
	.set _ZN7rocprim17ROCPRIM_400000_NS6detail17trampoline_kernelINS0_14default_configENS1_27scan_by_key_config_selectorIidEEZZNS1_16scan_by_key_implILNS1_25lookback_scan_determinismE0ELb0ES3_N6thrust23THRUST_200600_302600_NS6detail15normal_iteratorINS9_10device_ptrIiEEEENSB_INSC_IdEEEESG_dNS9_4plusIvEENS9_8equal_toIvEEdEE10hipError_tPvRmT2_T3_T4_T5_mT6_T7_P12ihipStream_tbENKUlT_T0_E_clISt17integral_constantIbLb0EES11_EEDaSW_SX_EUlSW_E_NS1_11comp_targetILNS1_3genE9ELNS1_11target_archE1100ELNS1_3gpuE3ELNS1_3repE0EEENS1_30default_config_static_selectorELNS0_4arch9wavefront6targetE0EEEvT1_.private_seg_size, 0
	.set _ZN7rocprim17ROCPRIM_400000_NS6detail17trampoline_kernelINS0_14default_configENS1_27scan_by_key_config_selectorIidEEZZNS1_16scan_by_key_implILNS1_25lookback_scan_determinismE0ELb0ES3_N6thrust23THRUST_200600_302600_NS6detail15normal_iteratorINS9_10device_ptrIiEEEENSB_INSC_IdEEEESG_dNS9_4plusIvEENS9_8equal_toIvEEdEE10hipError_tPvRmT2_T3_T4_T5_mT6_T7_P12ihipStream_tbENKUlT_T0_E_clISt17integral_constantIbLb0EES11_EEDaSW_SX_EUlSW_E_NS1_11comp_targetILNS1_3genE9ELNS1_11target_archE1100ELNS1_3gpuE3ELNS1_3repE0EEENS1_30default_config_static_selectorELNS0_4arch9wavefront6targetE0EEEvT1_.uses_vcc, 0
	.set _ZN7rocprim17ROCPRIM_400000_NS6detail17trampoline_kernelINS0_14default_configENS1_27scan_by_key_config_selectorIidEEZZNS1_16scan_by_key_implILNS1_25lookback_scan_determinismE0ELb0ES3_N6thrust23THRUST_200600_302600_NS6detail15normal_iteratorINS9_10device_ptrIiEEEENSB_INSC_IdEEEESG_dNS9_4plusIvEENS9_8equal_toIvEEdEE10hipError_tPvRmT2_T3_T4_T5_mT6_T7_P12ihipStream_tbENKUlT_T0_E_clISt17integral_constantIbLb0EES11_EEDaSW_SX_EUlSW_E_NS1_11comp_targetILNS1_3genE9ELNS1_11target_archE1100ELNS1_3gpuE3ELNS1_3repE0EEENS1_30default_config_static_selectorELNS0_4arch9wavefront6targetE0EEEvT1_.uses_flat_scratch, 0
	.set _ZN7rocprim17ROCPRIM_400000_NS6detail17trampoline_kernelINS0_14default_configENS1_27scan_by_key_config_selectorIidEEZZNS1_16scan_by_key_implILNS1_25lookback_scan_determinismE0ELb0ES3_N6thrust23THRUST_200600_302600_NS6detail15normal_iteratorINS9_10device_ptrIiEEEENSB_INSC_IdEEEESG_dNS9_4plusIvEENS9_8equal_toIvEEdEE10hipError_tPvRmT2_T3_T4_T5_mT6_T7_P12ihipStream_tbENKUlT_T0_E_clISt17integral_constantIbLb0EES11_EEDaSW_SX_EUlSW_E_NS1_11comp_targetILNS1_3genE9ELNS1_11target_archE1100ELNS1_3gpuE3ELNS1_3repE0EEENS1_30default_config_static_selectorELNS0_4arch9wavefront6targetE0EEEvT1_.has_dyn_sized_stack, 0
	.set _ZN7rocprim17ROCPRIM_400000_NS6detail17trampoline_kernelINS0_14default_configENS1_27scan_by_key_config_selectorIidEEZZNS1_16scan_by_key_implILNS1_25lookback_scan_determinismE0ELb0ES3_N6thrust23THRUST_200600_302600_NS6detail15normal_iteratorINS9_10device_ptrIiEEEENSB_INSC_IdEEEESG_dNS9_4plusIvEENS9_8equal_toIvEEdEE10hipError_tPvRmT2_T3_T4_T5_mT6_T7_P12ihipStream_tbENKUlT_T0_E_clISt17integral_constantIbLb0EES11_EEDaSW_SX_EUlSW_E_NS1_11comp_targetILNS1_3genE9ELNS1_11target_archE1100ELNS1_3gpuE3ELNS1_3repE0EEENS1_30default_config_static_selectorELNS0_4arch9wavefront6targetE0EEEvT1_.has_recursion, 0
	.set _ZN7rocprim17ROCPRIM_400000_NS6detail17trampoline_kernelINS0_14default_configENS1_27scan_by_key_config_selectorIidEEZZNS1_16scan_by_key_implILNS1_25lookback_scan_determinismE0ELb0ES3_N6thrust23THRUST_200600_302600_NS6detail15normal_iteratorINS9_10device_ptrIiEEEENSB_INSC_IdEEEESG_dNS9_4plusIvEENS9_8equal_toIvEEdEE10hipError_tPvRmT2_T3_T4_T5_mT6_T7_P12ihipStream_tbENKUlT_T0_E_clISt17integral_constantIbLb0EES11_EEDaSW_SX_EUlSW_E_NS1_11comp_targetILNS1_3genE9ELNS1_11target_archE1100ELNS1_3gpuE3ELNS1_3repE0EEENS1_30default_config_static_selectorELNS0_4arch9wavefront6targetE0EEEvT1_.has_indirect_call, 0
	.section	.AMDGPU.csdata,"",@progbits
; Kernel info:
; codeLenInByte = 0
; TotalNumSgprs: 0
; NumVgprs: 0
; ScratchSize: 0
; MemoryBound: 0
; FloatMode: 240
; IeeeMode: 1
; LDSByteSize: 0 bytes/workgroup (compile time only)
; SGPRBlocks: 0
; VGPRBlocks: 0
; NumSGPRsForWavesPerEU: 1
; NumVGPRsForWavesPerEU: 1
; Occupancy: 16
; WaveLimiterHint : 0
; COMPUTE_PGM_RSRC2:SCRATCH_EN: 0
; COMPUTE_PGM_RSRC2:USER_SGPR: 6
; COMPUTE_PGM_RSRC2:TRAP_HANDLER: 0
; COMPUTE_PGM_RSRC2:TGID_X_EN: 1
; COMPUTE_PGM_RSRC2:TGID_Y_EN: 0
; COMPUTE_PGM_RSRC2:TGID_Z_EN: 0
; COMPUTE_PGM_RSRC2:TIDIG_COMP_CNT: 0
	.section	.text._ZN7rocprim17ROCPRIM_400000_NS6detail17trampoline_kernelINS0_14default_configENS1_27scan_by_key_config_selectorIidEEZZNS1_16scan_by_key_implILNS1_25lookback_scan_determinismE0ELb0ES3_N6thrust23THRUST_200600_302600_NS6detail15normal_iteratorINS9_10device_ptrIiEEEENSB_INSC_IdEEEESG_dNS9_4plusIvEENS9_8equal_toIvEEdEE10hipError_tPvRmT2_T3_T4_T5_mT6_T7_P12ihipStream_tbENKUlT_T0_E_clISt17integral_constantIbLb0EES11_EEDaSW_SX_EUlSW_E_NS1_11comp_targetILNS1_3genE8ELNS1_11target_archE1030ELNS1_3gpuE2ELNS1_3repE0EEENS1_30default_config_static_selectorELNS0_4arch9wavefront6targetE0EEEvT1_,"axG",@progbits,_ZN7rocprim17ROCPRIM_400000_NS6detail17trampoline_kernelINS0_14default_configENS1_27scan_by_key_config_selectorIidEEZZNS1_16scan_by_key_implILNS1_25lookback_scan_determinismE0ELb0ES3_N6thrust23THRUST_200600_302600_NS6detail15normal_iteratorINS9_10device_ptrIiEEEENSB_INSC_IdEEEESG_dNS9_4plusIvEENS9_8equal_toIvEEdEE10hipError_tPvRmT2_T3_T4_T5_mT6_T7_P12ihipStream_tbENKUlT_T0_E_clISt17integral_constantIbLb0EES11_EEDaSW_SX_EUlSW_E_NS1_11comp_targetILNS1_3genE8ELNS1_11target_archE1030ELNS1_3gpuE2ELNS1_3repE0EEENS1_30default_config_static_selectorELNS0_4arch9wavefront6targetE0EEEvT1_,comdat
	.protected	_ZN7rocprim17ROCPRIM_400000_NS6detail17trampoline_kernelINS0_14default_configENS1_27scan_by_key_config_selectorIidEEZZNS1_16scan_by_key_implILNS1_25lookback_scan_determinismE0ELb0ES3_N6thrust23THRUST_200600_302600_NS6detail15normal_iteratorINS9_10device_ptrIiEEEENSB_INSC_IdEEEESG_dNS9_4plusIvEENS9_8equal_toIvEEdEE10hipError_tPvRmT2_T3_T4_T5_mT6_T7_P12ihipStream_tbENKUlT_T0_E_clISt17integral_constantIbLb0EES11_EEDaSW_SX_EUlSW_E_NS1_11comp_targetILNS1_3genE8ELNS1_11target_archE1030ELNS1_3gpuE2ELNS1_3repE0EEENS1_30default_config_static_selectorELNS0_4arch9wavefront6targetE0EEEvT1_ ; -- Begin function _ZN7rocprim17ROCPRIM_400000_NS6detail17trampoline_kernelINS0_14default_configENS1_27scan_by_key_config_selectorIidEEZZNS1_16scan_by_key_implILNS1_25lookback_scan_determinismE0ELb0ES3_N6thrust23THRUST_200600_302600_NS6detail15normal_iteratorINS9_10device_ptrIiEEEENSB_INSC_IdEEEESG_dNS9_4plusIvEENS9_8equal_toIvEEdEE10hipError_tPvRmT2_T3_T4_T5_mT6_T7_P12ihipStream_tbENKUlT_T0_E_clISt17integral_constantIbLb0EES11_EEDaSW_SX_EUlSW_E_NS1_11comp_targetILNS1_3genE8ELNS1_11target_archE1030ELNS1_3gpuE2ELNS1_3repE0EEENS1_30default_config_static_selectorELNS0_4arch9wavefront6targetE0EEEvT1_
	.globl	_ZN7rocprim17ROCPRIM_400000_NS6detail17trampoline_kernelINS0_14default_configENS1_27scan_by_key_config_selectorIidEEZZNS1_16scan_by_key_implILNS1_25lookback_scan_determinismE0ELb0ES3_N6thrust23THRUST_200600_302600_NS6detail15normal_iteratorINS9_10device_ptrIiEEEENSB_INSC_IdEEEESG_dNS9_4plusIvEENS9_8equal_toIvEEdEE10hipError_tPvRmT2_T3_T4_T5_mT6_T7_P12ihipStream_tbENKUlT_T0_E_clISt17integral_constantIbLb0EES11_EEDaSW_SX_EUlSW_E_NS1_11comp_targetILNS1_3genE8ELNS1_11target_archE1030ELNS1_3gpuE2ELNS1_3repE0EEENS1_30default_config_static_selectorELNS0_4arch9wavefront6targetE0EEEvT1_
	.p2align	8
	.type	_ZN7rocprim17ROCPRIM_400000_NS6detail17trampoline_kernelINS0_14default_configENS1_27scan_by_key_config_selectorIidEEZZNS1_16scan_by_key_implILNS1_25lookback_scan_determinismE0ELb0ES3_N6thrust23THRUST_200600_302600_NS6detail15normal_iteratorINS9_10device_ptrIiEEEENSB_INSC_IdEEEESG_dNS9_4plusIvEENS9_8equal_toIvEEdEE10hipError_tPvRmT2_T3_T4_T5_mT6_T7_P12ihipStream_tbENKUlT_T0_E_clISt17integral_constantIbLb0EES11_EEDaSW_SX_EUlSW_E_NS1_11comp_targetILNS1_3genE8ELNS1_11target_archE1030ELNS1_3gpuE2ELNS1_3repE0EEENS1_30default_config_static_selectorELNS0_4arch9wavefront6targetE0EEEvT1_,@function
_ZN7rocprim17ROCPRIM_400000_NS6detail17trampoline_kernelINS0_14default_configENS1_27scan_by_key_config_selectorIidEEZZNS1_16scan_by_key_implILNS1_25lookback_scan_determinismE0ELb0ES3_N6thrust23THRUST_200600_302600_NS6detail15normal_iteratorINS9_10device_ptrIiEEEENSB_INSC_IdEEEESG_dNS9_4plusIvEENS9_8equal_toIvEEdEE10hipError_tPvRmT2_T3_T4_T5_mT6_T7_P12ihipStream_tbENKUlT_T0_E_clISt17integral_constantIbLb0EES11_EEDaSW_SX_EUlSW_E_NS1_11comp_targetILNS1_3genE8ELNS1_11target_archE1030ELNS1_3gpuE2ELNS1_3repE0EEENS1_30default_config_static_selectorELNS0_4arch9wavefront6targetE0EEEvT1_: ; @_ZN7rocprim17ROCPRIM_400000_NS6detail17trampoline_kernelINS0_14default_configENS1_27scan_by_key_config_selectorIidEEZZNS1_16scan_by_key_implILNS1_25lookback_scan_determinismE0ELb0ES3_N6thrust23THRUST_200600_302600_NS6detail15normal_iteratorINS9_10device_ptrIiEEEENSB_INSC_IdEEEESG_dNS9_4plusIvEENS9_8equal_toIvEEdEE10hipError_tPvRmT2_T3_T4_T5_mT6_T7_P12ihipStream_tbENKUlT_T0_E_clISt17integral_constantIbLb0EES11_EEDaSW_SX_EUlSW_E_NS1_11comp_targetILNS1_3genE8ELNS1_11target_archE1030ELNS1_3gpuE2ELNS1_3repE0EEENS1_30default_config_static_selectorELNS0_4arch9wavefront6targetE0EEEvT1_
; %bb.0:
	s_clause 0x3
	s_load_dwordx8 s[8:15], s[4:5], 0x0
	s_load_dwordx2 s[34:35], s[4:5], 0x50
	s_load_dword s7, s[4:5], 0x58
	s_load_dwordx8 s[24:31], s[4:5], 0x60
	s_mov_b32 s1, 0
	s_load_dwordx8 s[16:23], s[4:5], 0x30
	s_waitcnt lgkmcnt(0)
	s_barrier
	buffer_gl0_inv
	s_lshl_b64 s[2:3], s[10:11], 2
	s_add_u32 s33, s8, s2
	s_addc_u32 s36, s9, s3
	s_lshl_b64 s[8:9], s[10:11], 3
	s_mul_i32 s0, s35, s7
	s_mul_hi_u32 s2, s34, s7
	s_add_u32 s12, s12, s8
	s_addc_u32 s13, s13, s9
	s_add_i32 s37, s2, s0
	s_cmp_lg_u64 s[28:29], 0
	s_mul_i32 s0, s6, 0x300
	s_cselect_b32 s29, -1, 0
	s_lshl_b64 s[2:3], s[0:1], 2
	s_add_u32 s4, s33, s2
	s_addc_u32 s5, s36, s3
	s_lshl_b64 s[10:11], s[0:1], 3
	s_mul_i32 s0, s34, s7
	s_add_u32 s3, s12, s10
	s_addc_u32 s28, s13, s11
	s_add_u32 s12, s0, s6
	s_addc_u32 s13, s37, 0
	s_add_u32 s24, s24, -1
	s_addc_u32 s25, s25, -1
	s_mul_i32 s7, s24, 0xfffffd00
	v_cmp_ge_u64_e64 s23, s[12:13], s[24:25]
	s_and_b32 vcc_lo, exec_lo, s23
	s_cbranch_vccz .LBB1093_22
; %bb.1:
	v_mov_b32_e32 v1, s4
	v_mov_b32_e32 v2, s5
	s_add_i32 s33, s7, s22
	v_cmp_gt_u32_e64 s2, s33, v0
	flat_load_dword v1, v[1:2]
	s_waitcnt vmcnt(0) lgkmcnt(0)
	v_mov_b32_e32 v2, v1
	s_and_saveexec_b32 s0, s2
	s_cbranch_execz .LBB1093_3
; %bb.2:
	v_lshlrev_b32_e32 v2, 2, v0
	v_add_co_u32 v2, s1, s4, v2
	v_add_co_ci_u32_e64 v3, null, s5, 0, s1
	flat_load_dword v2, v[2:3]
.LBB1093_3:
	s_or_b32 exec_lo, exec_lo, s0
	v_or_b32_e32 v11, 0x100, v0
	v_mov_b32_e32 v3, v1
	v_cmp_gt_u32_e64 s1, s33, v11
	s_and_saveexec_b32 s0, s1
	s_cbranch_execz .LBB1093_5
; %bb.4:
	v_lshlrev_b32_e32 v3, 2, v0
	v_add_co_u32 v3, s24, s4, v3
	v_add_co_ci_u32_e64 v4, null, s5, 0, s24
	flat_load_dword v3, v[3:4] offset:1024
.LBB1093_5:
	s_or_b32 exec_lo, exec_lo, s0
	v_or_b32_e32 v10, 0x200, v0
	v_cmp_gt_u32_e64 s0, s33, v10
	s_and_saveexec_b32 s24, s0
	s_cbranch_execz .LBB1093_7
; %bb.6:
	v_lshlrev_b32_e32 v1, 2, v10
	v_add_co_u32 v4, s25, s4, v1
	v_add_co_ci_u32_e64 v5, null, s5, 0, s25
	flat_load_dword v1, v[4:5]
.LBB1093_7:
	s_or_b32 exec_lo, exec_lo, s24
	v_lshlrev_b32_e32 v4, 2, v0
	v_lshlrev_b32_e32 v14, 3, v0
	s_cmp_eq_u64 s[12:13], 0
	s_mov_b64 s[24:25], s[4:5]
	s_waitcnt vmcnt(0) lgkmcnt(0)
	ds_write2st64_b32 v4, v2, v3 offset1:4
	v_add_nc_u32_e32 v2, v4, v14
	ds_write_b32 v4, v1 offset:2048
	s_waitcnt lgkmcnt(0)
	s_barrier
	buffer_gl0_inv
	ds_read2_b32 v[7:8], v2 offset1:1
	ds_read_b32 v9, v2 offset:8
	s_cbranch_scc1 .LBB1093_11
; %bb.8:
	s_andn2_b32 vcc_lo, exec_lo, s29
	s_cbranch_vccnz .LBB1093_147
; %bb.9:
	s_lshl_b64 s[24:25], s[12:13], 2
	s_add_u32 s24, s30, s24
	s_addc_u32 s25, s31, s25
	s_add_u32 s24, s24, -4
	s_addc_u32 s25, s25, -1
	s_cbranch_execnz .LBB1093_11
.LBB1093_10:
	s_add_u32 s24, s4, -4
	s_addc_u32 s25, s5, -1
.LBB1093_11:
	v_mov_b32_e32 v3, s24
	v_mov_b32_e32 v4, s25
	v_sub_nc_u32_e32 v13, v2, v14
	s_mov_b32 s24, exec_lo
	flat_load_dword v12, v[3:4]
	s_waitcnt lgkmcnt(1)
	ds_write_b32 v13, v9 offset:3072
	s_waitcnt vmcnt(0) lgkmcnt(0)
	s_barrier
	buffer_gl0_inv
	v_cmpx_ne_u32_e32 0, v0
; %bb.12:
	ds_read_b32 v12, v13 offset:3068
; %bb.13:
	s_or_b32 exec_lo, exec_lo, s24
	v_mov_b32_e32 v1, 0
	s_waitcnt lgkmcnt(0)
	s_barrier
	buffer_gl0_inv
	v_mov_b32_e32 v2, v1
	v_mov_b32_e32 v3, v1
	v_mov_b32_e32 v4, v1
	v_mov_b32_e32 v5, v1
	v_mov_b32_e32 v6, v1
	s_and_saveexec_b32 s24, s2
	s_cbranch_execnz .LBB1093_145
; %bb.14:
	s_or_b32 exec_lo, exec_lo, s24
	s_and_saveexec_b32 s2, s1
	s_cbranch_execnz .LBB1093_146
.LBB1093_15:
	s_or_b32 exec_lo, exec_lo, s2
	s_and_saveexec_b32 s1, s0
	s_cbranch_execz .LBB1093_17
.LBB1093_16:
	v_lshlrev_b32_e32 v5, 3, v10
	v_add_co_u32 v5, s0, s3, v5
	v_add_co_ci_u32_e64 v6, null, s28, 0, s0
	flat_load_dwordx2 v[5:6], v[5:6]
.LBB1093_17:
	s_or_b32 exec_lo, exec_lo, s1
	v_lshl_add_u32 v11, v0, 2, v13
	v_mul_u32_u24_e32 v10, 3, v0
	v_mov_b32_e32 v20, 0
	v_mov_b32_e32 v22, 0
	s_mov_b32 s24, 0
	s_waitcnt vmcnt(0) lgkmcnt(0)
	ds_write2st64_b64 v11, v[1:2], v[3:4] offset1:4
	ds_write_b64 v11, v[5:6] offset:4096
	v_mov_b32_e32 v1, 0
	v_mov_b32_e32 v3, 0
	;; [unrolled: 1-line block ×4, first 2 shown]
	s_mov_b32 s1, 0
	s_mov_b32 s25, exec_lo
	s_waitcnt lgkmcnt(0)
	s_barrier
	buffer_gl0_inv
                                        ; implicit-def: $sgpr2
                                        ; implicit-def: $vgpr5_vgpr6
	v_cmpx_gt_u32_e64 s33, v10
	s_cbranch_execz .LBB1093_21
; %bb.18:
	v_lshlrev_b32_e32 v1, 4, v0
	v_add_nc_u32_e32 v3, 1, v10
	v_mov_b32_e32 v22, 0
	v_cmp_ne_u32_e32 vcc_lo, v12, v7
                                        ; implicit-def: $sgpr2
                                        ; implicit-def: $vgpr5_vgpr6
	v_add_nc_u32_e32 v11, v11, v1
	v_cmp_gt_u32_e64 s0, s33, v3
	v_mov_b32_e32 v3, 0
	v_mov_b32_e32 v4, 0
	ds_read_b64 v[1:2], v11
	s_and_saveexec_b32 s36, s0
	s_xor_b32 s36, exec_lo, s36
	s_cbranch_execz .LBB1093_20
; %bb.19:
	ds_read2_b64 v[3:6], v11 offset0:1 offset1:2
	v_add_nc_u32_e32 v10, 2, v10
	v_cmp_ne_u32_e64 s1, v7, v8
	v_cmp_ne_u32_e64 s2, v8, v9
	v_cmp_gt_u32_e64 s0, s33, v10
	v_cndmask_b32_e64 v22, 0, 1, s1
	s_and_b32 s1, s0, exec_lo
.LBB1093_20:
	s_or_b32 exec_lo, exec_lo, s36
	v_cndmask_b32_e64 v20, 0, 1, vcc_lo
	s_and_b32 s1, s1, exec_lo
.LBB1093_21:
	s_or_b32 exec_lo, exec_lo, s25
	v_lshlrev_b32_e32 v19, 3, v0
	s_and_b32 vcc_lo, exec_lo, s24
	s_cbranch_vccnz .LBB1093_23
	s_branch .LBB1093_31
.LBB1093_22:
                                        ; implicit-def: $sgpr2
                                        ; implicit-def: $vgpr5_vgpr6
                                        ; implicit-def: $vgpr20
                                        ; implicit-def: $vgpr1_vgpr2
                                        ; implicit-def: $vgpr22
	v_lshlrev_b32_e32 v19, 3, v0
	s_cbranch_execz .LBB1093_31
.LBB1093_23:
	s_waitcnt lgkmcnt(0)
	v_lshlrev_b32_e32 v5, 2, v0
	s_cmp_eq_u64 s[12:13], 0
	v_add_co_u32 v1, s0, s4, v5
	v_add_co_ci_u32_e64 v2, null, s5, 0, s0
	v_add_co_u32 v3, vcc_lo, 0x800, v1
	v_add_co_ci_u32_e64 v4, null, 0, v2, vcc_lo
	s_clause 0x2
	flat_load_dword v6, v[1:2]
	flat_load_dword v2, v[1:2] offset:1024
	flat_load_dword v3, v[3:4]
	v_add_nc_u32_e32 v1, v5, v19
	s_waitcnt vmcnt(1) lgkmcnt(1)
	ds_write2st64_b32 v5, v6, v2 offset1:4
	s_waitcnt vmcnt(0) lgkmcnt(1)
	ds_write_b32 v5, v3 offset:2048
	s_waitcnt lgkmcnt(0)
	s_barrier
	buffer_gl0_inv
	ds_read2_b32 v[7:8], v1 offset1:1
	ds_read_b32 v9, v1 offset:8
	s_cbranch_scc1 .LBB1093_28
; %bb.24:
	s_andn2_b32 vcc_lo, exec_lo, s29
	s_cbranch_vccnz .LBB1093_148
; %bb.25:
	s_lshl_b64 s[0:1], s[12:13], 2
	s_add_u32 s0, s30, s0
	s_addc_u32 s1, s31, s1
	s_add_u32 s0, s0, -4
	s_addc_u32 s1, s1, -1
	s_cbranch_execnz .LBB1093_27
.LBB1093_26:
	s_add_u32 s0, s4, -4
	s_addc_u32 s1, s5, -1
.LBB1093_27:
	s_mov_b64 s[4:5], s[0:1]
.LBB1093_28:
	v_mov_b32_e32 v2, s4
	v_mov_b32_e32 v3, s5
	v_sub_nc_u32_e32 v1, v1, v19
	s_mov_b32 s0, exec_lo
	flat_load_dword v10, v[2:3]
	s_waitcnt lgkmcnt(1)
	ds_write_b32 v1, v9 offset:3072
	s_waitcnt vmcnt(0) lgkmcnt(0)
	s_barrier
	buffer_gl0_inv
	v_cmpx_ne_u32_e32 0, v0
; %bb.29:
	ds_read_b32 v10, v1 offset:3068
; %bb.30:
	s_or_b32 exec_lo, exec_lo, s0
	v_add_co_u32 v2, s0, s3, v19
	v_add_co_ci_u32_e64 v3, null, s28, 0, s0
	s_waitcnt lgkmcnt(0)
	v_add_co_u32 v4, vcc_lo, 0x800, v2
	v_add_co_ci_u32_e64 v5, null, 0, v3, vcc_lo
	v_add_co_u32 v11, vcc_lo, 0x1000, v2
	v_add_co_ci_u32_e64 v12, null, 0, v3, vcc_lo
	s_barrier
	buffer_gl0_inv
	s_clause 0x2
	flat_load_dwordx2 v[2:3], v[2:3]
	flat_load_dwordx2 v[4:5], v[4:5]
	;; [unrolled: 1-line block ×3, first 2 shown]
	v_lshl_add_u32 v1, v0, 2, v1
	v_cmp_ne_u32_e32 vcc_lo, v7, v8
	v_cmp_ne_u32_e64 s2, v8, v9
	s_mov_b32 s1, -1
	s_waitcnt vmcnt(1) lgkmcnt(1)
	ds_write2st64_b64 v1, v[2:3], v[4:5] offset1:4
	s_waitcnt vmcnt(0) lgkmcnt(1)
	ds_write_b64 v1, v[11:12] offset:4096
	v_lshl_add_u32 v6, v0, 4, v1
	s_waitcnt lgkmcnt(0)
	s_barrier
	buffer_gl0_inv
	ds_read2_b64 v[1:4], v6 offset1:1
	ds_read_b64 v[5:6], v6 offset:16
	v_cndmask_b32_e64 v22, 0, 1, vcc_lo
	v_cmp_ne_u32_e32 vcc_lo, v10, v7
	v_cndmask_b32_e64 v20, 0, 1, vcc_lo
.LBB1093_31:
	v_mov_b32_e32 v7, 0
	v_mov_b32_e32 v8, 0
	;; [unrolled: 1-line block ×3, first 2 shown]
	s_and_saveexec_b32 s0, s1
	s_cbranch_execz .LBB1093_33
; %bb.32:
	s_waitcnt lgkmcnt(0)
	v_mov_b32_e32 v8, v6
	v_cndmask_b32_e64 v23, 0, 1, s2
	v_mov_b32_e32 v7, v5
.LBB1093_33:
	s_or_b32 exec_lo, exec_lo, s0
	v_and_b32_e32 v24, 1, v23
	v_cmp_eq_u16_e64 s0, 0, v23
	v_mbcnt_lo_u32_b32 v21, -1, 0
	s_cmp_lg_u32 s6, 0
	s_waitcnt lgkmcnt(0)
	v_cmp_eq_u32_e32 vcc_lo, 1, v24
	s_barrier
	buffer_gl0_inv
	s_cbranch_scc0 .LBB1093_91
; %bb.34:
	v_add_f64 v[5:6], v[1:2], v[3:4]
	v_mov_b32_e32 v9, 0
	v_or_b32_e32 v10, v22, v20
	v_and_b32_e32 v12, 15, v21
	s_mov_b32 s3, exec_lo
	v_cmp_eq_u16_sdwa s1, v22, v9 src0_sel:BYTE_0 src1_sel:DWORD
	v_cmp_ne_u16_sdwa s2, v10, v9 src0_sel:BYTE_0 src1_sel:DWORD
	s_or_b32 vcc_lo, s2, vcc_lo
	v_cndmask_b32_e64 v11, 0, 1, vcc_lo
	v_mov_b32_dpp v13, v11 row_shr:1 row_mask:0xf bank_mask:0xf
	v_cndmask_b32_e64 v6, v4, v6, s1
	v_cndmask_b32_e64 v5, v3, v5, s1
	v_add_f64 v[5:6], v[7:8], v[5:6]
	v_cndmask_b32_e64 v9, v7, v5, s0
	v_cndmask_b32_e64 v10, v8, v6, s0
	v_mov_b32_dpp v5, v9 row_shr:1 row_mask:0xf bank_mask:0xf
	v_mov_b32_dpp v6, v10 row_shr:1 row_mask:0xf bank_mask:0xf
	v_cmpx_ne_u32_e32 0, v12
	s_cbranch_execz .LBB1093_36
; %bb.35:
	v_add_f64 v[5:6], v[9:10], v[5:6]
	v_and_or_b32 v11, v13, 1, v11
	v_cndmask_b32_e32 v10, v6, v10, vcc_lo
	v_cndmask_b32_e32 v9, v5, v9, vcc_lo
.LBB1093_36:
	s_or_b32 exec_lo, exec_lo, s3
	v_mov_b32_dpp v5, v9 row_shr:2 row_mask:0xf bank_mask:0xf
	v_mov_b32_dpp v6, v10 row_shr:2 row_mask:0xf bank_mask:0xf
	v_mov_b32_dpp v13, v11 row_shr:2 row_mask:0xf bank_mask:0xf
	s_mov_b32 s2, exec_lo
	v_cmpx_lt_u32_e32 1, v12
	s_cbranch_execz .LBB1093_38
; %bb.37:
	v_add_f64 v[5:6], v[9:10], v[5:6]
	v_cmp_eq_u16_e32 vcc_lo, 0, v11
	v_or_b32_e32 v11, v13, v11
	v_and_b32_e32 v11, 1, v11
	v_cndmask_b32_e32 v10, v10, v6, vcc_lo
	v_cndmask_b32_e32 v9, v9, v5, vcc_lo
.LBB1093_38:
	s_or_b32 exec_lo, exec_lo, s2
	v_mov_b32_dpp v5, v9 row_shr:4 row_mask:0xf bank_mask:0xf
	v_mov_b32_dpp v6, v10 row_shr:4 row_mask:0xf bank_mask:0xf
	v_mov_b32_dpp v13, v11 row_shr:4 row_mask:0xf bank_mask:0xf
	s_mov_b32 s2, exec_lo
	v_cmpx_lt_u32_e32 3, v12
	s_cbranch_execz .LBB1093_40
; %bb.39:
	v_add_f64 v[5:6], v[9:10], v[5:6]
	v_cmp_eq_u16_e32 vcc_lo, 0, v11
	v_or_b32_e32 v11, v13, v11
	v_and_b32_e32 v11, 1, v11
	v_cndmask_b32_e32 v10, v10, v6, vcc_lo
	v_cndmask_b32_e32 v9, v9, v5, vcc_lo
.LBB1093_40:
	;; [unrolled: 15-line block ×3, first 2 shown]
	s_or_b32 exec_lo, exec_lo, s2
	ds_swizzle_b32 v5, v9 offset:swizzle(BROADCAST,32,15)
	ds_swizzle_b32 v6, v10 offset:swizzle(BROADCAST,32,15)
	;; [unrolled: 1-line block ×3, first 2 shown]
	v_and_b32_e32 v13, 16, v21
	v_cmp_ne_u32_e32 vcc_lo, 0, v13
	v_mov_b32_e32 v13, v11
	s_and_saveexec_b32 s4, vcc_lo
	s_cbranch_execz .LBB1093_44
; %bb.43:
	s_waitcnt lgkmcnt(1)
	v_add_f64 v[5:6], v[9:10], v[5:6]
	v_and_b32_e32 v13, 1, v11
	s_waitcnt lgkmcnt(0)
	v_and_b32_e32 v12, 1, v12
	v_cmp_eq_u16_e64 s3, 0, v11
	v_cmp_eq_u32_e32 vcc_lo, 1, v13
	v_cmp_eq_u32_e64 s2, 1, v12
	s_or_b32 s2, vcc_lo, s2
	v_cndmask_b32_e64 v11, 0, 1, s2
	v_cndmask_b32_e64 v13, 0, 1, s2
	;; [unrolled: 1-line block ×4, first 2 shown]
.LBB1093_44:
	s_or_b32 exec_lo, exec_lo, s4
	s_waitcnt lgkmcnt(1)
	v_lshrrev_b32_e32 v6, 5, v0
	v_or_b32_e32 v5, 31, v0
	s_mov_b32 s2, exec_lo
	v_lshlrev_b32_e32 v14, 4, v6
	v_cmpx_eq_u32_e64 v0, v5
	s_cbranch_execz .LBB1093_46
; %bb.45:
	ds_write_b64 v14, v[9:10]
	ds_write_b8 v14, v11 offset:8
.LBB1093_46:
	s_or_b32 exec_lo, exec_lo, s2
	s_mov_b32 s4, exec_lo
	s_waitcnt lgkmcnt(0)
	s_barrier
	buffer_gl0_inv
	v_cmpx_gt_u32_e32 8, v0
	s_cbranch_execz .LBB1093_54
; %bb.47:
	v_lshlrev_b32_e32 v15, 4, v0
	v_and_b32_e32 v16, 7, v21
	s_mov_b32 s2, exec_lo
	ds_read_b64 v[5:6], v15
	ds_read_b32 v18, v15 offset:8
	s_waitcnt lgkmcnt(1)
	v_mov_b32_dpp v11, v5 row_shr:1 row_mask:0xf bank_mask:0xf
	v_mov_b32_dpp v12, v6 row_shr:1 row_mask:0xf bank_mask:0xf
	s_waitcnt lgkmcnt(0)
	v_and_b32_e32 v25, 0xffffff00, v18
	v_mov_b32_dpp v27, v18 row_shr:1 row_mask:0xf bank_mask:0xf
	v_mov_b32_e32 v26, v18
	v_mov_b32_e32 v17, v18
	v_cmpx_ne_u32_e32 0, v16
	s_cbranch_execz .LBB1093_49
; %bb.48:
	v_add_f64 v[11:12], v[5:6], v[11:12]
	v_mov_b32_e32 v17, 0
	v_or_b32_e32 v26, v27, v18
	v_cmp_eq_u16_sdwa vcc_lo, v18, v17 src0_sel:BYTE_0 src1_sel:DWORD
	v_and_b32_e32 v17, 1, v26
	v_and_b32_e32 v26, 1, v26
	v_or_b32_e32 v18, v17, v25
	v_cndmask_b32_e32 v6, v6, v12, vcc_lo
	v_cndmask_b32_e32 v5, v5, v11, vcc_lo
.LBB1093_49:
	s_or_b32 exec_lo, exec_lo, s2
	v_mov_b32_dpp v11, v5 row_shr:2 row_mask:0xf bank_mask:0xf
	v_mov_b32_dpp v12, v6 row_shr:2 row_mask:0xf bank_mask:0xf
	;; [unrolled: 1-line block ×3, first 2 shown]
	s_mov_b32 s3, exec_lo
	v_cmpx_lt_u32_e32 1, v16
	s_cbranch_execz .LBB1093_51
; %bb.50:
	v_add_f64 v[11:12], v[5:6], v[11:12]
	v_and_b32_e32 v18, 1, v17
	v_and_b32_e32 v26, 1, v27
	v_cmp_eq_u32_e32 vcc_lo, 1, v18
	v_cmp_eq_u32_e64 s2, 1, v26
	v_mov_b32_e32 v18, 0
	s_or_b32 s2, vcc_lo, s2
	v_cmp_eq_u16_sdwa vcc_lo, v17, v18 src0_sel:BYTE_0 src1_sel:DWORD
	v_cndmask_b32_e64 v26, 0, 1, s2
	v_cndmask_b32_e64 v27, 0, 1, s2
	v_mov_b32_e32 v17, v26
	v_or_b32_e32 v18, v25, v27
	v_cndmask_b32_e32 v6, v6, v12, vcc_lo
	v_cndmask_b32_e32 v5, v5, v11, vcc_lo
.LBB1093_51:
	s_or_b32 exec_lo, exec_lo, s3
	v_mov_b32_dpp v11, v5 row_shr:4 row_mask:0xf bank_mask:0xf
	v_mov_b32_dpp v12, v6 row_shr:4 row_mask:0xf bank_mask:0xf
	;; [unrolled: 1-line block ×3, first 2 shown]
	s_mov_b32 s5, exec_lo
	v_cmpx_lt_u32_e32 3, v16
	s_cbranch_execz .LBB1093_53
; %bb.52:
	v_add_f64 v[11:12], v[5:6], v[11:12]
	v_and_b32_e32 v25, 1, v17
	v_and_b32_e32 v18, 1, v18
	v_mov_b32_e32 v16, 0
	v_cmp_eq_u32_e64 s2, 1, v25
	v_cmp_eq_u32_e64 s3, 1, v18
	v_cmp_eq_u16_sdwa vcc_lo, v17, v16 src0_sel:BYTE_0 src1_sel:DWORD
	s_or_b32 s2, s2, s3
	v_cndmask_b32_e64 v26, 0, 1, s2
	v_cndmask_b32_e32 v6, v6, v12, vcc_lo
	v_cndmask_b32_e32 v5, v5, v11, vcc_lo
.LBB1093_53:
	s_or_b32 exec_lo, exec_lo, s5
	ds_write_b64 v15, v[5:6]
	ds_write_b8 v15, v26 offset:8
.LBB1093_54:
	s_or_b32 exec_lo, exec_lo, s4
	v_mov_b32_e32 v5, 0
	v_mov_b32_e32 v6, 0
	;; [unrolled: 1-line block ×3, first 2 shown]
	s_mov_b32 s3, exec_lo
	v_cmp_gt_u32_e32 vcc_lo, 32, v0
	s_waitcnt lgkmcnt(0)
	s_barrier
	buffer_gl0_inv
	v_cmpx_lt_u32_e32 31, v0
	s_cbranch_execz .LBB1093_56
; %bb.55:
	v_add_nc_u32_e32 v5, -16, v14
	v_add_nc_u32_e32 v11, -8, v14
	v_cmp_eq_u32_e64 s2, 0, v13
	ds_read_b64 v[5:6], v5
	ds_read_u8 v14, v11
	s_waitcnt lgkmcnt(1)
	v_add_f64 v[11:12], v[9:10], v[5:6]
	s_waitcnt lgkmcnt(0)
	v_or_b32_e32 v15, v14, v13
	v_and_b32_e32 v25, 1, v14
	v_and_b32_e32 v13, 1, v15
	v_cndmask_b32_e64 v10, v10, v12, s2
	v_cndmask_b32_e64 v9, v9, v11, s2
.LBB1093_56:
	s_or_b32 exec_lo, exec_lo, s3
	v_sub_co_u32 v11, s2, v21, 1
	v_cmp_gt_i32_e64 s3, 0, v11
	v_cndmask_b32_e64 v11, v11, v21, s3
	v_lshlrev_b32_e32 v11, 2, v11
	ds_bpermute_b32 v27, v11, v9
	ds_bpermute_b32 v28, v11, v10
	;; [unrolled: 1-line block ×3, first 2 shown]
	s_and_saveexec_b32 s5, vcc_lo
	s_cbranch_execz .LBB1093_96
; %bb.57:
	v_mov_b32_e32 v13, 0
	ds_read_b64 v[9:10], v13 offset:112
	ds_read_u8 v29, v13 offset:120
	s_and_saveexec_b32 s3, s2
	s_cbranch_execz .LBB1093_59
; %bb.58:
	s_add_i32 s12, s6, 32
	s_mov_b32 s13, 0
	v_mov_b32_e32 v11, 1
	s_lshl_b64 s[24:25], s[12:13], 4
	v_mov_b32_e32 v12, s12
	s_add_u32 s24, s16, s24
	s_addc_u32 s25, s17, s25
	s_waitcnt lgkmcnt(1)
	global_store_dwordx2 v13, v[9:10], s[24:25]
	s_waitcnt lgkmcnt(0)
	global_store_byte v13, v29, s[24:25] offset:8
	s_waitcnt_vscnt null, 0x0
	buffer_gl1_inv
	buffer_gl0_inv
	global_store_byte v12, v11, s[20:21]
.LBB1093_59:
	s_or_b32 exec_lo, exec_lo, s3
	v_xad_u32 v11, v21, -1, s6
	s_mov_b32 s4, 0
	s_mov_b32 s3, exec_lo
	v_add_nc_u32_e32 v12, 32, v11
	global_load_ubyte v30, v12, s[20:21] glc dlc
	s_waitcnt vmcnt(0)
	v_cmpx_eq_u16_e32 0, v30
	s_cbranch_execz .LBB1093_63
; %bb.60:
	v_add_co_u32 v14, s12, s20, v12
	v_add_co_ci_u32_e64 v15, null, s21, 0, s12
.LBB1093_61:                            ; =>This Inner Loop Header: Depth=1
	global_load_ubyte v30, v[14:15], off glc dlc
	s_waitcnt vmcnt(0)
	v_cmp_ne_u16_e32 vcc_lo, 0, v30
	s_or_b32 s4, vcc_lo, s4
	s_andn2_b32 exec_lo, exec_lo, s4
	s_cbranch_execnz .LBB1093_61
; %bb.62:
	s_or_b32 exec_lo, exec_lo, s4
.LBB1093_63:
	s_or_b32 exec_lo, exec_lo, s3
	v_cmp_eq_u16_e32 vcc_lo, 1, v30
	v_mov_b32_e32 v15, s16
	v_mov_b32_e32 v14, s17
	v_lshlrev_b64 v[12:13], 4, v[12:13]
	s_waitcnt lgkmcnt(0)
	s_waitcnt_vscnt null, 0x0
	buffer_gl1_inv
	buffer_gl0_inv
	v_lshlrev_b32_e64 v32, v21, -1
	v_cndmask_b32_e32 v15, s18, v15, vcc_lo
	v_cndmask_b32_e32 v14, s19, v14, vcc_lo
	s_mov_b32 s3, exec_lo
	v_add_co_u32 v12, vcc_lo, v15, v12
	v_add_co_ci_u32_e64 v13, null, v14, v13, vcc_lo
	v_cmp_ne_u32_e32 vcc_lo, 31, v21
	s_clause 0x1
	global_load_ubyte v17, v[12:13], off offset:8
	global_load_dwordx2 v[15:16], v[12:13], off
	v_add_co_ci_u32_e64 v12, null, 0, v21, vcc_lo
	v_cmp_eq_u16_e32 vcc_lo, 2, v30
	v_lshlrev_b32_e32 v31, 2, v12
	v_and_or_b32 v14, vcc_lo, v32, 0x80000000
	v_ffbl_b32_e32 v14, v14
	s_waitcnt vmcnt(1)
	v_and_b32_e32 v18, 1, v17
	s_waitcnt vmcnt(0)
	ds_bpermute_b32 v12, v31, v15
	ds_bpermute_b32 v13, v31, v16
	;; [unrolled: 1-line block ×3, first 2 shown]
	v_cmpx_lt_u32_e64 v21, v14
	s_cbranch_execz .LBB1093_65
; %bb.64:
	s_waitcnt lgkmcnt(1)
	v_add_f64 v[12:13], v[15:16], v[12:13]
	v_mov_b32_e32 v18, 0
	s_waitcnt lgkmcnt(0)
	v_and_b32_e32 v33, 1, v33
	v_cmp_eq_u16_sdwa vcc_lo, v17, v18 src0_sel:BYTE_0 src1_sel:DWORD
	v_or_b32_e32 v17, v33, v17
	v_and_b32_e32 v18, 0xff, v17
	v_cndmask_b32_e32 v16, v16, v13, vcc_lo
	v_cndmask_b32_e32 v15, v15, v12, vcc_lo
.LBB1093_65:
	s_or_b32 exec_lo, exec_lo, s3
	v_cmp_gt_u32_e32 vcc_lo, 30, v21
	v_add_nc_u32_e32 v34, 2, v21
	s_mov_b32 s12, exec_lo
	s_waitcnt lgkmcnt(2)
	v_cndmask_b32_e64 v12, 0, 2, vcc_lo
	s_waitcnt lgkmcnt(0)
	v_add_lshl_u32 v33, v12, v21, 2
	ds_bpermute_b32 v12, v33, v15
	ds_bpermute_b32 v13, v33, v16
	ds_bpermute_b32 v35, v33, v18
	v_cmpx_le_u32_e64 v34, v14
	s_cbranch_execz .LBB1093_67
; %bb.66:
	s_waitcnt lgkmcnt(1)
	v_add_f64 v[12:13], v[15:16], v[12:13]
	v_and_b32_e32 v18, 1, v17
	s_waitcnt lgkmcnt(0)
	v_and_b32_e32 v35, 1, v35
	v_mov_b32_e32 v36, 0
	v_cmp_eq_u32_e32 vcc_lo, 1, v18
	v_cmp_eq_u32_e64 s3, 1, v35
	v_cmp_eq_u16_sdwa s4, v17, v36 src0_sel:BYTE_0 src1_sel:DWORD
	s_or_b32 s3, vcc_lo, s3
	v_cndmask_b32_e64 v17, 0, 1, s3
	v_cndmask_b32_e64 v18, 0, 1, s3
	v_cndmask_b32_e64 v16, v16, v13, s4
	v_cndmask_b32_e64 v15, v15, v12, s4
.LBB1093_67:
	s_or_b32 exec_lo, exec_lo, s12
	v_cmp_gt_u32_e32 vcc_lo, 28, v21
	v_add_nc_u32_e32 v36, 4, v21
	s_mov_b32 s12, exec_lo
	s_waitcnt lgkmcnt(2)
	v_cndmask_b32_e64 v12, 0, 4, vcc_lo
	s_waitcnt lgkmcnt(0)
	v_add_lshl_u32 v35, v12, v21, 2
	ds_bpermute_b32 v12, v35, v15
	ds_bpermute_b32 v13, v35, v16
	ds_bpermute_b32 v37, v35, v18
	v_cmpx_le_u32_e64 v36, v14
	s_cbranch_execz .LBB1093_69
; %bb.68:
	s_waitcnt lgkmcnt(1)
	v_add_f64 v[12:13], v[15:16], v[12:13]
	v_and_b32_e32 v18, 1, v17
	s_waitcnt lgkmcnt(0)
	v_and_b32_e32 v37, 1, v37
	v_mov_b32_e32 v38, 0
	v_cmp_eq_u32_e32 vcc_lo, 1, v18
	v_cmp_eq_u32_e64 s3, 1, v37
	v_cmp_eq_u16_sdwa s4, v17, v38 src0_sel:BYTE_0 src1_sel:DWORD
	s_or_b32 s3, vcc_lo, s3
	v_cndmask_b32_e64 v17, 0, 1, s3
	v_cndmask_b32_e64 v18, 0, 1, s3
	v_cndmask_b32_e64 v16, v16, v13, s4
	v_cndmask_b32_e64 v15, v15, v12, s4
.LBB1093_69:
	;; [unrolled: 29-line block ×3, first 2 shown]
	s_or_b32 exec_lo, exec_lo, s12
	v_lshl_or_b32 v40, v21, 2, 64
	v_add_nc_u32_e32 v41, 16, v21
	s_mov_b32 s12, exec_lo
	s_waitcnt lgkmcnt(2)
	ds_bpermute_b32 v12, v40, v15
	s_waitcnt lgkmcnt(2)
	ds_bpermute_b32 v13, v40, v16
	ds_bpermute_b32 v18, v40, v18
	v_cmpx_le_u32_e64 v41, v14
	s_cbranch_execz .LBB1093_73
; %bb.72:
	s_waitcnt lgkmcnt(1)
	v_add_f64 v[12:13], v[15:16], v[12:13]
	v_and_b32_e32 v39, 1, v17
	s_waitcnt lgkmcnt(0)
	v_and_b32_e32 v18, 1, v18
	v_mov_b32_e32 v14, 0
	v_cmp_eq_u32_e64 s3, 1, v39
	v_cmp_eq_u32_e64 s4, 1, v18
	v_cmp_eq_u16_sdwa vcc_lo, v17, v14 src0_sel:BYTE_0 src1_sel:DWORD
	s_or_b32 s3, s3, s4
	v_cndmask_b32_e64 v17, 0, 1, s3
	v_cndmask_b32_e32 v16, v16, v13, vcc_lo
	v_cndmask_b32_e32 v15, v15, v12, vcc_lo
.LBB1093_73:
	s_or_b32 exec_lo, exec_lo, s12
	s_waitcnt lgkmcnt(2)
	v_mov_b32_e32 v12, 0
	v_mov_b32_e32 v42, 2
	s_branch .LBB1093_76
.LBB1093_74:                            ;   in Loop: Header=BB1093_76 Depth=1
	s_or_b32 exec_lo, exec_lo, s13
	v_add_f64 v[15:16], v[13:14], v[15:16]
	s_waitcnt lgkmcnt(2)
	v_and_b32_e32 v17, 1, v39
	v_cmp_eq_u16_sdwa vcc_lo, v39, v12 src0_sel:BYTE_0 src1_sel:DWORD
	v_subrev_nc_u32_e32 v11, 32, v11
	v_cmp_eq_u32_e64 s3, 1, v17
	s_or_b32 s3, s3, s12
	v_cndmask_b32_e64 v17, 0, 1, s3
	s_mov_b32 s3, 0
	v_cndmask_b32_e32 v16, v14, v16, vcc_lo
	v_cndmask_b32_e32 v15, v13, v15, vcc_lo
.LBB1093_75:                            ;   in Loop: Header=BB1093_76 Depth=1
	s_and_b32 vcc_lo, exec_lo, s3
	s_cbranch_vccnz .LBB1093_92
.LBB1093_76:                            ; =>This Loop Header: Depth=1
                                        ;     Child Loop BB1093_79 Depth 2
	v_cmp_ne_u16_sdwa s3, v30, v42 src0_sel:BYTE_0 src1_sel:DWORD
	s_waitcnt lgkmcnt(1)
	v_mov_b32_e32 v13, v15
	v_mov_b32_e32 v39, v17
	;; [unrolled: 1-line block ×3, first 2 shown]
                                        ; implicit-def: $vgpr17
                                        ; implicit-def: $vgpr15_vgpr16
                                        ; implicit-def: $vgpr30
	s_cmp_lg_u32 s3, exec_lo
	s_mov_b32 s3, -1
	s_cbranch_scc1 .LBB1093_75
; %bb.77:                               ;   in Loop: Header=BB1093_76 Depth=1
	global_load_ubyte v30, v11, s[20:21] glc dlc
	s_mov_b32 s3, exec_lo
	s_waitcnt vmcnt(0)
	v_cmpx_eq_u16_e32 0, v30
	s_cbranch_execz .LBB1093_81
; %bb.78:                               ;   in Loop: Header=BB1093_76 Depth=1
	v_add_co_u32 v15, s4, s20, v11
	v_add_co_ci_u32_e64 v16, null, s21, 0, s4
	s_mov_b32 s4, 0
.LBB1093_79:                            ;   Parent Loop BB1093_76 Depth=1
                                        ; =>  This Inner Loop Header: Depth=2
	global_load_ubyte v30, v[15:16], off glc dlc
	s_waitcnt vmcnt(0)
	v_cmp_ne_u16_e32 vcc_lo, 0, v30
	s_or_b32 s4, vcc_lo, s4
	s_andn2_b32 exec_lo, exec_lo, s4
	s_cbranch_execnz .LBB1093_79
; %bb.80:                               ;   in Loop: Header=BB1093_76 Depth=1
	s_or_b32 exec_lo, exec_lo, s4
.LBB1093_81:                            ;   in Loop: Header=BB1093_76 Depth=1
	s_or_b32 exec_lo, exec_lo, s3
	v_cmp_eq_u16_e32 vcc_lo, 1, v30
	s_waitcnt lgkmcnt(0)
	v_mov_b32_e32 v18, s16
	v_mov_b32_e32 v17, s17
	v_lshlrev_b64 v[15:16], 4, v[11:12]
	buffer_gl1_inv
	buffer_gl0_inv
	s_mov_b32 s3, exec_lo
	v_cndmask_b32_e32 v18, s18, v18, vcc_lo
	v_cndmask_b32_e32 v17, s19, v17, vcc_lo
	v_add_co_u32 v15, vcc_lo, v18, v15
	v_add_co_ci_u32_e64 v16, null, v17, v16, vcc_lo
	v_cmp_eq_u16_e32 vcc_lo, 2, v30
	s_clause 0x1
	global_load_ubyte v43, v[15:16], off offset:8
	global_load_dwordx2 v[15:16], v[15:16], off
	v_and_or_b32 v44, vcc_lo, v32, 0x80000000
	v_ffbl_b32_e32 v44, v44
	s_waitcnt vmcnt(1)
	v_and_b32_e32 v45, 1, v43
	s_waitcnt vmcnt(0)
	ds_bpermute_b32 v17, v31, v15
	ds_bpermute_b32 v18, v31, v16
	;; [unrolled: 1-line block ×3, first 2 shown]
	v_cmpx_lt_u32_e64 v21, v44
	s_cbranch_execz .LBB1093_83
; %bb.82:                               ;   in Loop: Header=BB1093_76 Depth=1
	s_waitcnt lgkmcnt(1)
	v_add_f64 v[17:18], v[15:16], v[17:18]
	s_waitcnt lgkmcnt(0)
	v_and_b32_e32 v45, 1, v46
	v_cmp_eq_u16_sdwa vcc_lo, v43, v12 src0_sel:BYTE_0 src1_sel:DWORD
	v_or_b32_e32 v43, v45, v43
	v_and_b32_e32 v45, 0xff, v43
	v_cndmask_b32_e32 v16, v16, v18, vcc_lo
	v_cndmask_b32_e32 v15, v15, v17, vcc_lo
.LBB1093_83:                            ;   in Loop: Header=BB1093_76 Depth=1
	s_or_b32 exec_lo, exec_lo, s3
	s_waitcnt lgkmcnt(2)
	ds_bpermute_b32 v17, v33, v15
	s_waitcnt lgkmcnt(2)
	ds_bpermute_b32 v18, v33, v16
	;; [unrolled: 2-line block ×3, first 2 shown]
	v_and_b32_e32 v47, 1, v43
	s_mov_b32 s4, exec_lo
	v_cmp_eq_u32_e64 s12, 1, v47
	v_cmpx_le_u32_e64 v34, v44
	s_cbranch_execz .LBB1093_85
; %bb.84:                               ;   in Loop: Header=BB1093_76 Depth=1
	s_waitcnt lgkmcnt(1)
	v_add_f64 v[17:18], v[15:16], v[17:18]
	s_waitcnt lgkmcnt(0)
	v_and_b32_e32 v45, 1, v46
	v_cmp_eq_u16_sdwa s3, v43, v12 src0_sel:BYTE_0 src1_sel:DWORD
	v_cmp_eq_u32_e32 vcc_lo, 1, v45
	s_or_b32 s13, s12, vcc_lo
	v_cndmask_b32_e64 v43, 0, 1, s13
	v_cndmask_b32_e64 v45, 0, 1, s13
	;; [unrolled: 1-line block ×4, first 2 shown]
	s_andn2_b32 s3, s12, exec_lo
	s_and_b32 s12, s13, exec_lo
	s_or_b32 s12, s3, s12
.LBB1093_85:                            ;   in Loop: Header=BB1093_76 Depth=1
	s_or_b32 exec_lo, exec_lo, s4
	s_waitcnt lgkmcnt(2)
	ds_bpermute_b32 v17, v35, v15
	s_waitcnt lgkmcnt(2)
	ds_bpermute_b32 v18, v35, v16
	;; [unrolled: 2-line block ×3, first 2 shown]
	s_mov_b32 s13, exec_lo
	v_cmpx_le_u32_e64 v36, v44
	s_cbranch_execz .LBB1093_87
; %bb.86:                               ;   in Loop: Header=BB1093_76 Depth=1
	s_waitcnt lgkmcnt(1)
	v_add_f64 v[17:18], v[15:16], v[17:18]
	v_and_b32_e32 v45, 1, v43
	s_waitcnt lgkmcnt(0)
	v_and_b32_e32 v46, 1, v46
	v_cmp_eq_u16_sdwa s4, v43, v12 src0_sel:BYTE_0 src1_sel:DWORD
	v_cmp_eq_u32_e32 vcc_lo, 1, v45
	v_cmp_eq_u32_e64 s3, 1, v46
	s_or_b32 s3, vcc_lo, s3
	v_cndmask_b32_e64 v43, 0, 1, s3
	v_cndmask_b32_e64 v45, 0, 1, s3
	s_and_b32 s3, s3, exec_lo
	v_cndmask_b32_e64 v16, v16, v18, s4
	v_cndmask_b32_e64 v15, v15, v17, s4
	s_andn2_b32 s4, s12, exec_lo
	s_or_b32 s12, s4, s3
.LBB1093_87:                            ;   in Loop: Header=BB1093_76 Depth=1
	s_or_b32 exec_lo, exec_lo, s13
	s_waitcnt lgkmcnt(2)
	ds_bpermute_b32 v17, v37, v15
	s_waitcnt lgkmcnt(2)
	ds_bpermute_b32 v18, v37, v16
	;; [unrolled: 2-line block ×3, first 2 shown]
	s_mov_b32 s13, exec_lo
	v_cmpx_le_u32_e64 v38, v44
	s_cbranch_execz .LBB1093_89
; %bb.88:                               ;   in Loop: Header=BB1093_76 Depth=1
	s_waitcnt lgkmcnt(1)
	v_add_f64 v[17:18], v[15:16], v[17:18]
	v_and_b32_e32 v45, 1, v43
	s_waitcnt lgkmcnt(0)
	v_and_b32_e32 v46, 1, v46
	v_cmp_eq_u16_sdwa s4, v43, v12 src0_sel:BYTE_0 src1_sel:DWORD
	v_cmp_eq_u32_e32 vcc_lo, 1, v45
	v_cmp_eq_u32_e64 s3, 1, v46
	s_or_b32 s3, vcc_lo, s3
	v_cndmask_b32_e64 v43, 0, 1, s3
	v_cndmask_b32_e64 v45, 0, 1, s3
	s_and_b32 s3, s3, exec_lo
	v_cndmask_b32_e64 v16, v16, v18, s4
	v_cndmask_b32_e64 v15, v15, v17, s4
	s_andn2_b32 s4, s12, exec_lo
	s_or_b32 s12, s4, s3
.LBB1093_89:                            ;   in Loop: Header=BB1093_76 Depth=1
	s_or_b32 exec_lo, exec_lo, s13
	s_waitcnt lgkmcnt(2)
	ds_bpermute_b32 v17, v40, v15
	s_waitcnt lgkmcnt(2)
	ds_bpermute_b32 v18, v40, v16
	ds_bpermute_b32 v45, v40, v45
	s_mov_b32 s13, exec_lo
	v_cmpx_le_u32_e64 v41, v44
	s_cbranch_execz .LBB1093_74
; %bb.90:                               ;   in Loop: Header=BB1093_76 Depth=1
	s_waitcnt lgkmcnt(1)
	v_add_f64 v[17:18], v[15:16], v[17:18]
	v_and_b32_e32 v44, 1, v43
	s_waitcnt lgkmcnt(0)
	v_and_b32_e32 v45, 1, v45
	v_cmp_eq_u16_sdwa s4, v43, v12 src0_sel:BYTE_0 src1_sel:DWORD
	v_cmp_eq_u32_e32 vcc_lo, 1, v44
	v_cmp_eq_u32_e64 s3, 1, v45
	s_or_b32 s3, vcc_lo, s3
	s_and_b32 s3, s3, exec_lo
	v_cndmask_b32_e64 v16, v16, v18, s4
	v_cndmask_b32_e64 v15, v15, v17, s4
	s_andn2_b32 s4, s12, exec_lo
	s_or_b32 s12, s4, s3
	s_branch .LBB1093_74
.LBB1093_91:
                                        ; implicit-def: $vgpr9_vgpr10
                                        ; implicit-def: $vgpr5_vgpr6
                                        ; implicit-def: $vgpr11_vgpr12
	s_cbranch_execnz .LBB1093_99
	s_branch .LBB1093_128
.LBB1093_92:
	s_and_saveexec_b32 s3, s2
	s_cbranch_execz .LBB1093_94
; %bb.93:
	v_add_f64 v[11:12], v[9:10], v[13:14]
	v_mov_b32_e32 v15, 0
	v_or_b32_e32 v16, v29, v39
	s_mov_b32 s13, 0
	s_add_i32 s12, s6, 32
	v_mov_b32_e32 v17, 2
	v_cmp_eq_u32_sdwa vcc_lo, v29, v15 src0_sel:BYTE_0 src1_sel:DWORD
	s_lshl_b64 s[16:17], s[12:13], 4
	s_waitcnt lgkmcnt(0)
	v_mov_b32_e32 v18, s12
	v_and_b32_e32 v16, 1, v16
	s_add_u32 s12, s18, s16
	s_addc_u32 s13, s19, s17
	v_cndmask_b32_e32 v10, v10, v12, vcc_lo
	v_cndmask_b32_e32 v9, v9, v11, vcc_lo
	global_store_byte v15, v16, s[12:13] offset:8
	global_store_dwordx2 v15, v[9:10], s[12:13]
	s_waitcnt_vscnt null, 0x0
	buffer_gl1_inv
	buffer_gl0_inv
	global_store_byte v18, v17, s[20:21]
.LBB1093_94:
	s_or_b32 exec_lo, exec_lo, s3
	v_cmp_eq_u32_e32 vcc_lo, 0, v0
	s_and_b32 exec_lo, exec_lo, vcc_lo
	s_cbranch_execz .LBB1093_96
; %bb.95:
	v_mov_b32_e32 v9, 0
	ds_write_b64 v9, v[13:14] offset:112
	ds_write_b8 v9, v39 offset:120
.LBB1093_96:
	s_or_b32 exec_lo, exec_lo, s5
	v_mov_b32_e32 v13, 0
	s_waitcnt lgkmcnt(0)
	s_waitcnt_vscnt null, 0x0
	s_barrier
	buffer_gl0_inv
	v_mov_b32_e32 v12, v2
	ds_read_b64 v[9:10], v13 offset:112
	v_mov_b32_e32 v14, v20
	v_mov_b32_e32 v11, v1
	s_mov_b32 s4, 0
	s_mov_b32 s5, exec_lo
	v_cmpx_ne_u32_e32 0, v0
	s_cbranch_execz .LBB1093_98
; %bb.97:
	v_cndmask_b32_e64 v6, v28, v6, s2
	v_cndmask_b32_e64 v5, v27, v5, s2
	;; [unrolled: 1-line block ×3, first 2 shown]
	v_and_b32_e32 v12, 1, v20
	v_cmp_eq_u16_sdwa s3, v20, v13 src0_sel:BYTE_0 src1_sel:DWORD
	v_add_f64 v[5:6], v[1:2], v[5:6]
	v_and_b32_e32 v11, 1, v11
	v_cmp_eq_u32_e32 vcc_lo, 1, v12
	v_cmp_eq_u32_e64 s2, 1, v11
	s_or_b32 s2, vcc_lo, s2
	v_cndmask_b32_e64 v14, 0, 1, s2
	v_cndmask_b32_e64 v12, v2, v6, s3
	;; [unrolled: 1-line block ×3, first 2 shown]
.LBB1093_98:
	s_or_b32 exec_lo, exec_lo, s5
	s_waitcnt lgkmcnt(0)
	v_add_f64 v[5:6], v[9:10], v[11:12]
	v_cmp_eq_u16_sdwa vcc_lo, v14, v13 src0_sel:BYTE_0 src1_sel:DWORD
	v_cndmask_b32_e32 v12, v12, v6, vcc_lo
	v_cndmask_b32_e32 v11, v11, v5, vcc_lo
	v_add_f64 v[5:6], v[3:4], v[11:12]
	v_cndmask_b32_e64 v6, v4, v6, s1
	v_cndmask_b32_e64 v5, v3, v5, s1
	v_add_f64 v[9:10], v[7:8], v[5:6]
	v_cndmask_b32_e64 v10, v8, v10, s0
	v_cndmask_b32_e64 v9, v7, v9, s0
	s_and_b32 vcc_lo, exec_lo, s4
	s_cbranch_vccz .LBB1093_128
.LBB1093_99:
	s_cmp_lg_u64 s[34:35], 0
	v_cmp_eq_u32_e32 vcc_lo, 0, v0
	s_cselect_b32 s1, -1, 0
	s_cmp_lg_u64 s[26:27], 0
	v_cmp_ne_u32_e64 s0, 0, v0
	s_cselect_b32 s2, -1, 0
	s_and_b32 s1, s1, s2
	s_and_b32 s1, vcc_lo, s1
	s_and_saveexec_b32 s2, s1
	s_cbranch_execz .LBB1093_101
; %bb.100:
	v_mov_b32_e32 v9, 0
	s_clause 0x1
	global_load_dwordx2 v[5:6], v9, s[26:27]
	global_load_ubyte v10, v9, s[26:27] offset:8
	v_cmp_eq_u16_sdwa s1, v20, v9 src0_sel:BYTE_0 src1_sel:DWORD
	s_waitcnt vmcnt(1)
	v_add_f64 v[5:6], v[1:2], v[5:6]
	s_waitcnt vmcnt(0)
	v_or_b32_e32 v9, v20, v10
	v_and_b32_e32 v20, 1, v9
	v_cndmask_b32_e64 v2, v2, v6, s1
	v_cndmask_b32_e64 v1, v1, v5, s1
.LBB1093_101:
	s_or_b32 exec_lo, exec_lo, s2
	v_add_f64 v[5:6], v[3:4], v[1:2]
	v_mov_b32_e32 v11, 0
	v_or_b32_e32 v12, v20, v22
	v_cmp_eq_u32_e64 s3, 1, v24
	v_cmp_eq_u16_e64 s2, 0, v23
	v_and_b32_e32 v17, 15, v21
	v_cmp_eq_u16_sdwa s1, v22, v11 src0_sel:BYTE_0 src1_sel:DWORD
	v_cmp_ne_u16_sdwa s4, v12, v11 src0_sel:BYTE_0 src1_sel:DWORD
	s_mov_b32 s5, exec_lo
	s_or_b32 s3, s4, s3
	v_cndmask_b32_e64 v18, 0, 1, s3
	v_mov_b32_dpp v22, v18 row_shr:1 row_mask:0xf bank_mask:0xf
	v_cndmask_b32_e64 v6, v4, v6, s1
	v_cndmask_b32_e64 v5, v3, v5, s1
	v_add_f64 v[9:10], v[7:8], v[5:6]
	v_cndmask_b32_e64 v10, v8, v10, s2
	v_cndmask_b32_e64 v9, v7, v9, s2
	v_mov_b32_e32 v12, v10
	v_mov_b32_dpp v15, v9 row_shr:1 row_mask:0xf bank_mask:0xf
	v_mov_b32_dpp v16, v10 row_shr:1 row_mask:0xf bank_mask:0xf
	v_mov_b32_e32 v11, v9
	v_mov_b32_e32 v14, v10
	;; [unrolled: 1-line block ×3, first 2 shown]
	v_cmpx_ne_u32_e32 0, v17
	s_cbranch_execz .LBB1093_103
; %bb.102:
	v_add_f64 v[11:12], v[9:10], v[15:16]
	v_and_or_b32 v18, v22, 1, v18
	v_cndmask_b32_e64 v12, v12, v10, s3
	v_cndmask_b32_e64 v11, v11, v9, s3
	v_mov_b32_e32 v14, v12
	v_mov_b32_e32 v13, v11
.LBB1093_103:
	s_or_b32 exec_lo, exec_lo, s5
	v_mov_b32_dpp v15, v13 row_shr:2 row_mask:0xf bank_mask:0xf
	v_mov_b32_dpp v16, v14 row_shr:2 row_mask:0xf bank_mask:0xf
	v_mov_b32_dpp v22, v18 row_shr:2 row_mask:0xf bank_mask:0xf
	s_mov_b32 s4, exec_lo
	v_cmpx_lt_u32_e32 1, v17
	s_cbranch_execz .LBB1093_105
; %bb.104:
	v_add_f64 v[13:14], v[11:12], v[15:16]
	v_cmp_eq_u16_e64 s3, 0, v18
	v_or_b32_e32 v15, v22, v18
	v_and_b32_e32 v18, 1, v15
	v_cndmask_b32_e64 v13, v11, v13, s3
	v_cndmask_b32_e64 v14, v12, v14, s3
	v_mov_b32_e32 v11, v13
	v_mov_b32_e32 v12, v14
.LBB1093_105:
	s_or_b32 exec_lo, exec_lo, s4
	v_mov_b32_dpp v15, v13 row_shr:4 row_mask:0xf bank_mask:0xf
	v_mov_b32_dpp v16, v14 row_shr:4 row_mask:0xf bank_mask:0xf
	v_mov_b32_dpp v22, v18 row_shr:4 row_mask:0xf bank_mask:0xf
	s_mov_b32 s4, exec_lo
	v_cmpx_lt_u32_e32 3, v17
	s_cbranch_execz .LBB1093_107
; %bb.106:
	v_add_f64 v[13:14], v[11:12], v[15:16]
	v_cmp_eq_u16_e64 s3, 0, v18
	v_or_b32_e32 v15, v22, v18
	v_and_b32_e32 v18, 1, v15
	v_cndmask_b32_e64 v13, v11, v13, s3
	v_cndmask_b32_e64 v14, v12, v14, s3
	v_mov_b32_e32 v11, v13
	v_mov_b32_e32 v12, v14
.LBB1093_107:
	;; [unrolled: 17-line block ×3, first 2 shown]
	s_or_b32 exec_lo, exec_lo, s4
	ds_swizzle_b32 v13, v13 offset:swizzle(BROADCAST,32,15)
	ds_swizzle_b32 v14, v14 offset:swizzle(BROADCAST,32,15)
	;; [unrolled: 1-line block ×3, first 2 shown]
	v_and_b32_e32 v16, 16, v21
	v_mov_b32_e32 v17, v18
	s_mov_b32 s6, exec_lo
	v_cmpx_ne_u32_e32 0, v16
	s_cbranch_execz .LBB1093_111
; %bb.110:
	s_waitcnt lgkmcnt(1)
	v_add_f64 v[13:14], v[11:12], v[13:14]
	v_and_b32_e32 v16, 1, v18
	s_waitcnt lgkmcnt(0)
	v_and_b32_e32 v15, 1, v15
	v_cmp_eq_u16_e64 s5, 0, v18
	v_cmp_eq_u32_e64 s3, 1, v16
	v_cmp_eq_u32_e64 s4, 1, v15
	s_or_b32 s3, s3, s4
	v_cndmask_b32_e64 v18, 0, 1, s3
	v_cndmask_b32_e64 v17, 0, 1, s3
	;; [unrolled: 1-line block ×4, first 2 shown]
.LBB1093_111:
	s_or_b32 exec_lo, exec_lo, s6
	s_waitcnt lgkmcnt(2)
	v_or_b32_e32 v13, 31, v0
	v_lshrrev_b32_e32 v22, 5, v0
	s_mov_b32 s4, exec_lo
	v_cmpx_eq_u32_e64 v0, v13
	s_cbranch_execz .LBB1093_113
; %bb.112:
	v_lshlrev_b32_e32 v13, 4, v22
	ds_write_b64 v13, v[11:12]
	ds_write_b8 v13, v18 offset:8
.LBB1093_113:
	s_or_b32 exec_lo, exec_lo, s4
	s_mov_b32 s6, exec_lo
	s_waitcnt lgkmcnt(0)
	s_barrier
	buffer_gl0_inv
	v_cmpx_gt_u32_e32 8, v0
	s_cbranch_execz .LBB1093_121
; %bb.114:
	v_lshlrev_b32_e32 v18, 4, v0
	v_and_b32_e32 v23, 7, v21
	s_mov_b32 s4, exec_lo
	ds_read_b64 v[13:14], v18
	ds_read_b32 v25, v18 offset:8
	s_waitcnt lgkmcnt(1)
	v_mov_b32_dpp v15, v13 row_shr:1 row_mask:0xf bank_mask:0xf
	v_mov_b32_dpp v16, v14 row_shr:1 row_mask:0xf bank_mask:0xf
	s_waitcnt lgkmcnt(0)
	v_and_b32_e32 v26, 0xffffff00, v25
	v_mov_b32_dpp v28, v25 row_shr:1 row_mask:0xf bank_mask:0xf
	v_mov_b32_e32 v27, v25
	v_mov_b32_e32 v24, v25
	v_cmpx_ne_u32_e32 0, v23
	s_cbranch_execz .LBB1093_116
; %bb.115:
	v_add_f64 v[15:16], v[13:14], v[15:16]
	v_mov_b32_e32 v24, 0
	v_or_b32_e32 v27, v28, v25
	v_cmp_eq_u16_sdwa s3, v25, v24 src0_sel:BYTE_0 src1_sel:DWORD
	v_and_b32_e32 v24, 1, v27
	v_and_b32_e32 v27, 1, v27
	v_or_b32_e32 v25, v24, v26
	v_cndmask_b32_e64 v14, v14, v16, s3
	v_cndmask_b32_e64 v13, v13, v15, s3
.LBB1093_116:
	s_or_b32 exec_lo, exec_lo, s4
	v_mov_b32_dpp v15, v13 row_shr:2 row_mask:0xf bank_mask:0xf
	v_mov_b32_dpp v16, v14 row_shr:2 row_mask:0xf bank_mask:0xf
	;; [unrolled: 1-line block ×3, first 2 shown]
	s_mov_b32 s5, exec_lo
	v_cmpx_lt_u32_e32 1, v23
	s_cbranch_execz .LBB1093_118
; %bb.117:
	v_add_f64 v[15:16], v[13:14], v[15:16]
	v_and_b32_e32 v25, 1, v24
	v_and_b32_e32 v27, 1, v28
	v_cmp_eq_u32_e64 s3, 1, v25
	v_cmp_eq_u32_e64 s4, 1, v27
	v_mov_b32_e32 v25, 0
	s_or_b32 s3, s3, s4
	v_cndmask_b32_e64 v27, 0, 1, s3
	v_cndmask_b32_e64 v28, 0, 1, s3
	v_cmp_eq_u16_sdwa s3, v24, v25 src0_sel:BYTE_0 src1_sel:DWORD
	v_mov_b32_e32 v24, v27
	v_or_b32_e32 v25, v26, v28
	v_cndmask_b32_e64 v14, v14, v16, s3
	v_cndmask_b32_e64 v13, v13, v15, s3
.LBB1093_118:
	s_or_b32 exec_lo, exec_lo, s5
	v_mov_b32_dpp v15, v13 row_shr:4 row_mask:0xf bank_mask:0xf
	v_mov_b32_dpp v16, v14 row_shr:4 row_mask:0xf bank_mask:0xf
	v_mov_b32_dpp v25, v25 row_shr:4 row_mask:0xf bank_mask:0xf
	s_mov_b32 s12, exec_lo
	v_cmpx_lt_u32_e32 3, v23
	s_cbranch_execz .LBB1093_120
; %bb.119:
	v_add_f64 v[15:16], v[13:14], v[15:16]
	v_mov_b32_e32 v23, 0
	v_and_b32_e32 v26, 1, v24
	v_and_b32_e32 v25, 1, v25
	v_cmp_eq_u16_sdwa s3, v24, v23 src0_sel:BYTE_0 src1_sel:DWORD
	v_cmp_eq_u32_e64 s4, 1, v26
	v_cmp_eq_u32_e64 s5, 1, v25
	v_cndmask_b32_e64 v14, v14, v16, s3
	v_cndmask_b32_e64 v13, v13, v15, s3
	s_or_b32 s3, s4, s5
	v_cndmask_b32_e64 v27, 0, 1, s3
.LBB1093_120:
	s_or_b32 exec_lo, exec_lo, s12
	ds_write_b64 v18, v[13:14]
	ds_write_b8 v18, v27 offset:8
.LBB1093_121:
	s_or_b32 exec_lo, exec_lo, s6
	v_mov_b32_e32 v13, 0
	v_mov_b32_e32 v14, 0
	s_mov_b32 s4, exec_lo
	s_waitcnt lgkmcnt(0)
	s_barrier
	buffer_gl0_inv
	v_cmpx_lt_u32_e32 31, v0
	s_cbranch_execz .LBB1093_123
; %bb.122:
	v_lshl_add_u32 v13, v22, 4, -16
	v_cmp_eq_u32_e64 s3, 0, v17
	ds_read_b64 v[13:14], v13
	s_waitcnt lgkmcnt(0)
	v_add_f64 v[15:16], v[11:12], v[13:14]
	v_cndmask_b32_e64 v12, v12, v16, s3
	v_cndmask_b32_e64 v11, v11, v15, s3
.LBB1093_123:
	s_or_b32 exec_lo, exec_lo, s4
	v_add_nc_u32_e32 v15, -1, v21
	v_cmp_gt_i32_e64 s3, 0, v15
	v_cndmask_b32_e64 v15, v15, v21, s3
	v_lshlrev_b32_e32 v15, 2, v15
	ds_bpermute_b32 v11, v15, v11
	ds_bpermute_b32 v12, v15, v12
	s_and_saveexec_b32 s3, s0
	s_cbranch_execz .LBB1093_125
; %bb.124:
	v_cmp_eq_u32_e64 s0, 0, v21
	v_mov_b32_e32 v9, 0
	;;#ASMSTART
	;;#ASMEND
	s_waitcnt lgkmcnt(0)
	v_cndmask_b32_e64 v6, v12, v14, s0
	v_cndmask_b32_e64 v5, v11, v13, s0
	v_cmp_eq_u16_sdwa s0, v20, v9 src0_sel:BYTE_0 src1_sel:DWORD
	v_add_f64 v[5:6], v[1:2], v[5:6]
	v_cndmask_b32_e64 v2, v2, v6, s0
	v_cndmask_b32_e64 v1, v1, v5, s0
	v_add_f64 v[5:6], v[3:4], v[1:2]
	v_cndmask_b32_e64 v6, v4, v6, s1
	v_cndmask_b32_e64 v5, v3, v5, s1
	;; [unrolled: 3-line block ×3, first 2 shown]
.LBB1093_125:
	s_or_b32 exec_lo, exec_lo, s3
	s_and_saveexec_b32 s0, vcc_lo
	s_cbranch_execz .LBB1093_127
; %bb.126:
	v_mov_b32_e32 v7, 0
	s_waitcnt lgkmcnt(1)
	v_mov_b32_e32 v11, 2
	ds_read_b64 v[3:4], v7 offset:112
	ds_read_u8 v8, v7 offset:120
	s_waitcnt lgkmcnt(1)
	global_store_dwordx2 v7, v[3:4], s[18:19] offset:512
	s_waitcnt lgkmcnt(0)
	global_store_byte v7, v8, s[18:19] offset:520
	s_waitcnt_vscnt null, 0x0
	buffer_gl1_inv
	buffer_gl0_inv
	global_store_byte v7, v11, s[20:21] offset:32
.LBB1093_127:
	s_or_b32 exec_lo, exec_lo, s0
	s_waitcnt lgkmcnt(0)
	v_mov_b32_e32 v12, v2
	v_mov_b32_e32 v11, v1
.LBB1093_128:
	s_add_u32 s0, s14, s8
	s_addc_u32 s1, s15, s9
	s_add_u32 s0, s0, s10
	s_addc_u32 s1, s1, s11
	s_and_b32 vcc_lo, exec_lo, s23
	s_cbranch_vccz .LBB1093_140
; %bb.129:
	v_mov_b32_e32 v7, 0
	v_mov_b32_e32 v8, 0
	;; [unrolled: 1-line block ×4, first 2 shown]
	v_mul_u32_u24_e32 v13, 3, v0
	s_add_i32 s7, s7, s22
	v_mov_b32_e32 v4, v8
	v_mov_b32_e32 v2, v8
	s_mov_b32 s2, exec_lo
	v_cmpx_gt_u32_e64 s7, v13
	s_cbranch_execz .LBB1093_135
; %bb.130:
	v_mov_b32_e32 v1, 0
	v_mov_b32_e32 v3, 0
	v_add_nc_u32_e32 v7, 1, v13
	v_mov_b32_e32 v2, 0
	v_mov_b32_e32 v4, 0
	s_mov_b32 s3, exec_lo
	v_cmpx_gt_u32_e64 s7, v7
	s_cbranch_execz .LBB1093_134
; %bb.131:
	v_mov_b32_e32 v1, 0
	v_add_nc_u32_e32 v3, 2, v13
	v_mov_b32_e32 v2, 0
	s_mov_b32 s4, exec_lo
	v_cmpx_gt_u32_e64 s7, v3
; %bb.132:
	v_mov_b32_e32 v1, v9
	v_mov_b32_e32 v2, v10
; %bb.133:
	s_or_b32 exec_lo, exec_lo, s4
	v_mov_b32_e32 v3, v5
	v_mov_b32_e32 v4, v6
.LBB1093_134:
	s_or_b32 exec_lo, exec_lo, s3
	v_mov_b32_e32 v7, v11
	v_mov_b32_e32 v8, v12
.LBB1093_135:
	s_or_b32 exec_lo, exec_lo, s2
	v_lshlrev_b32_e32 v13, 3, v13
	v_lshlrev_b32_e32 v14, 4, v0
	s_waitcnt_vscnt null, 0x0
	s_barrier
	buffer_gl0_inv
	ds_write2_b64 v13, v[7:8], v[3:4] offset1:1
	v_sub_nc_u32_e32 v3, v13, v14
	ds_write_b64 v13, v[1:2] offset:16
	s_waitcnt lgkmcnt(0)
	s_barrier
	buffer_gl0_inv
	ds_read2st64_b64 v[1:4], v3 offset0:4 offset1:8
	v_add_co_u32 v7, s2, s0, v19
	v_add_co_ci_u32_e64 v8, null, s1, 0, s2
	s_mov_b32 s2, exec_lo
	v_cmpx_gt_u32_e64 s7, v0
	s_cbranch_execz .LBB1093_137
; %bb.136:
	v_sub_nc_u32_e32 v14, 0, v14
	v_add_nc_u32_e32 v13, v13, v14
	ds_read_b64 v[13:14], v13
	s_waitcnt lgkmcnt(0)
	flat_store_dwordx2 v[7:8], v[13:14]
.LBB1093_137:
	s_or_b32 exec_lo, exec_lo, s2
	v_or_b32_e32 v13, 0x100, v0
	s_mov_b32 s2, exec_lo
	v_cmpx_gt_u32_e64 s7, v13
	s_cbranch_execz .LBB1093_139
; %bb.138:
	v_add_co_u32 v7, vcc_lo, 0x800, v7
	v_add_co_ci_u32_e64 v8, null, 0, v8, vcc_lo
	s_waitcnt lgkmcnt(0)
	flat_store_dwordx2 v[7:8], v[1:2]
.LBB1093_139:
	s_or_b32 exec_lo, exec_lo, s2
	s_waitcnt lgkmcnt(0)
	v_or_b32_e32 v1, 0x200, v0
	v_cmp_gt_u32_e64 s2, s7, v1
	s_branch .LBB1093_142
.LBB1093_140:
	s_mov_b32 s2, 0
                                        ; implicit-def: $vgpr3_vgpr4
	s_cbranch_execz .LBB1093_142
; %bb.141:
	v_mul_u32_u24_e32 v1, 24, v0
	v_lshlrev_b32_e32 v2, 4, v0
	s_waitcnt_vscnt null, 0x0
	s_barrier
	buffer_gl0_inv
	ds_write2_b64 v1, v[11:12], v[5:6] offset1:1
	v_sub_nc_u32_e32 v2, v1, v2
	ds_write_b64 v1, v[9:10] offset:16
	s_waitcnt lgkmcnt(0)
	s_barrier
	buffer_gl0_inv
	ds_read2st64_b64 v[5:8], v2 offset1:4
	ds_read_b64 v[3:4], v2 offset:4096
	v_add_co_u32 v1, s3, s0, v19
	v_add_co_ci_u32_e64 v2, null, s1, 0, s3
	s_or_b32 s2, s2, exec_lo
	v_add_co_u32 v9, vcc_lo, 0x800, v1
	v_add_co_ci_u32_e64 v10, null, 0, v2, vcc_lo
	s_waitcnt lgkmcnt(1)
	flat_store_dwordx2 v[1:2], v[5:6]
	flat_store_dwordx2 v[9:10], v[7:8]
.LBB1093_142:
	s_and_saveexec_b32 s3, s2
	s_cbranch_execnz .LBB1093_144
; %bb.143:
	s_endpgm
.LBB1093_144:
	v_lshlrev_b32_e32 v0, 3, v0
	v_add_co_u32 v0, s0, s0, v0
	v_add_co_ci_u32_e64 v1, null, s1, 0, s0
	v_add_co_u32 v0, vcc_lo, 0x1000, v0
	v_add_co_ci_u32_e64 v1, null, 0, v1, vcc_lo
	s_waitcnt lgkmcnt(2)
	flat_store_dwordx2 v[0:1], v[3:4]
	s_endpgm
.LBB1093_145:
	v_add_co_u32 v2, s2, s3, v14
	v_add_co_ci_u32_e64 v3, null, s28, 0, s2
	v_mov_b32_e32 v16, v1
	v_mov_b32_e32 v17, v1
	;; [unrolled: 1-line block ×3, first 2 shown]
	flat_load_dwordx2 v[14:15], v[2:3]
	v_mov_b32_e32 v19, v1
	s_waitcnt vmcnt(0) lgkmcnt(0)
	v_mov_b32_e32 v1, v14
	v_mov_b32_e32 v2, v15
	;; [unrolled: 1-line block ×6, first 2 shown]
	s_or_b32 exec_lo, exec_lo, s24
	s_and_saveexec_b32 s2, s1
	s_cbranch_execz .LBB1093_15
.LBB1093_146:
	v_lshlrev_b32_e32 v3, 3, v11
	v_add_co_u32 v3, s1, s3, v3
	v_add_co_ci_u32_e64 v4, null, s28, 0, s1
	flat_load_dwordx2 v[3:4], v[3:4]
	s_or_b32 exec_lo, exec_lo, s2
	s_and_saveexec_b32 s1, s0
	s_cbranch_execnz .LBB1093_16
	s_branch .LBB1093_17
.LBB1093_147:
                                        ; implicit-def: $sgpr24_sgpr25
	s_branch .LBB1093_10
.LBB1093_148:
                                        ; implicit-def: $sgpr0_sgpr1
	s_branch .LBB1093_26
	.section	.rodata,"a",@progbits
	.p2align	6, 0x0
	.amdhsa_kernel _ZN7rocprim17ROCPRIM_400000_NS6detail17trampoline_kernelINS0_14default_configENS1_27scan_by_key_config_selectorIidEEZZNS1_16scan_by_key_implILNS1_25lookback_scan_determinismE0ELb0ES3_N6thrust23THRUST_200600_302600_NS6detail15normal_iteratorINS9_10device_ptrIiEEEENSB_INSC_IdEEEESG_dNS9_4plusIvEENS9_8equal_toIvEEdEE10hipError_tPvRmT2_T3_T4_T5_mT6_T7_P12ihipStream_tbENKUlT_T0_E_clISt17integral_constantIbLb0EES11_EEDaSW_SX_EUlSW_E_NS1_11comp_targetILNS1_3genE8ELNS1_11target_archE1030ELNS1_3gpuE2ELNS1_3repE0EEENS1_30default_config_static_selectorELNS0_4arch9wavefront6targetE0EEEvT1_
		.amdhsa_group_segment_fixed_size 6144
		.amdhsa_private_segment_fixed_size 0
		.amdhsa_kernarg_size 136
		.amdhsa_user_sgpr_count 6
		.amdhsa_user_sgpr_private_segment_buffer 1
		.amdhsa_user_sgpr_dispatch_ptr 0
		.amdhsa_user_sgpr_queue_ptr 0
		.amdhsa_user_sgpr_kernarg_segment_ptr 1
		.amdhsa_user_sgpr_dispatch_id 0
		.amdhsa_user_sgpr_flat_scratch_init 0
		.amdhsa_user_sgpr_private_segment_size 0
		.amdhsa_wavefront_size32 1
		.amdhsa_uses_dynamic_stack 0
		.amdhsa_system_sgpr_private_segment_wavefront_offset 0
		.amdhsa_system_sgpr_workgroup_id_x 1
		.amdhsa_system_sgpr_workgroup_id_y 0
		.amdhsa_system_sgpr_workgroup_id_z 0
		.amdhsa_system_sgpr_workgroup_info 0
		.amdhsa_system_vgpr_workitem_id 0
		.amdhsa_next_free_vgpr 48
		.amdhsa_next_free_sgpr 38
		.amdhsa_reserve_vcc 1
		.amdhsa_reserve_flat_scratch 1
		.amdhsa_float_round_mode_32 0
		.amdhsa_float_round_mode_16_64 0
		.amdhsa_float_denorm_mode_32 3
		.amdhsa_float_denorm_mode_16_64 3
		.amdhsa_dx10_clamp 1
		.amdhsa_ieee_mode 1
		.amdhsa_fp16_overflow 0
		.amdhsa_workgroup_processor_mode 1
		.amdhsa_memory_ordered 1
		.amdhsa_forward_progress 1
		.amdhsa_shared_vgpr_count 0
		.amdhsa_exception_fp_ieee_invalid_op 0
		.amdhsa_exception_fp_denorm_src 0
		.amdhsa_exception_fp_ieee_div_zero 0
		.amdhsa_exception_fp_ieee_overflow 0
		.amdhsa_exception_fp_ieee_underflow 0
		.amdhsa_exception_fp_ieee_inexact 0
		.amdhsa_exception_int_div_zero 0
	.end_amdhsa_kernel
	.section	.text._ZN7rocprim17ROCPRIM_400000_NS6detail17trampoline_kernelINS0_14default_configENS1_27scan_by_key_config_selectorIidEEZZNS1_16scan_by_key_implILNS1_25lookback_scan_determinismE0ELb0ES3_N6thrust23THRUST_200600_302600_NS6detail15normal_iteratorINS9_10device_ptrIiEEEENSB_INSC_IdEEEESG_dNS9_4plusIvEENS9_8equal_toIvEEdEE10hipError_tPvRmT2_T3_T4_T5_mT6_T7_P12ihipStream_tbENKUlT_T0_E_clISt17integral_constantIbLb0EES11_EEDaSW_SX_EUlSW_E_NS1_11comp_targetILNS1_3genE8ELNS1_11target_archE1030ELNS1_3gpuE2ELNS1_3repE0EEENS1_30default_config_static_selectorELNS0_4arch9wavefront6targetE0EEEvT1_,"axG",@progbits,_ZN7rocprim17ROCPRIM_400000_NS6detail17trampoline_kernelINS0_14default_configENS1_27scan_by_key_config_selectorIidEEZZNS1_16scan_by_key_implILNS1_25lookback_scan_determinismE0ELb0ES3_N6thrust23THRUST_200600_302600_NS6detail15normal_iteratorINS9_10device_ptrIiEEEENSB_INSC_IdEEEESG_dNS9_4plusIvEENS9_8equal_toIvEEdEE10hipError_tPvRmT2_T3_T4_T5_mT6_T7_P12ihipStream_tbENKUlT_T0_E_clISt17integral_constantIbLb0EES11_EEDaSW_SX_EUlSW_E_NS1_11comp_targetILNS1_3genE8ELNS1_11target_archE1030ELNS1_3gpuE2ELNS1_3repE0EEENS1_30default_config_static_selectorELNS0_4arch9wavefront6targetE0EEEvT1_,comdat
.Lfunc_end1093:
	.size	_ZN7rocprim17ROCPRIM_400000_NS6detail17trampoline_kernelINS0_14default_configENS1_27scan_by_key_config_selectorIidEEZZNS1_16scan_by_key_implILNS1_25lookback_scan_determinismE0ELb0ES3_N6thrust23THRUST_200600_302600_NS6detail15normal_iteratorINS9_10device_ptrIiEEEENSB_INSC_IdEEEESG_dNS9_4plusIvEENS9_8equal_toIvEEdEE10hipError_tPvRmT2_T3_T4_T5_mT6_T7_P12ihipStream_tbENKUlT_T0_E_clISt17integral_constantIbLb0EES11_EEDaSW_SX_EUlSW_E_NS1_11comp_targetILNS1_3genE8ELNS1_11target_archE1030ELNS1_3gpuE2ELNS1_3repE0EEENS1_30default_config_static_selectorELNS0_4arch9wavefront6targetE0EEEvT1_, .Lfunc_end1093-_ZN7rocprim17ROCPRIM_400000_NS6detail17trampoline_kernelINS0_14default_configENS1_27scan_by_key_config_selectorIidEEZZNS1_16scan_by_key_implILNS1_25lookback_scan_determinismE0ELb0ES3_N6thrust23THRUST_200600_302600_NS6detail15normal_iteratorINS9_10device_ptrIiEEEENSB_INSC_IdEEEESG_dNS9_4plusIvEENS9_8equal_toIvEEdEE10hipError_tPvRmT2_T3_T4_T5_mT6_T7_P12ihipStream_tbENKUlT_T0_E_clISt17integral_constantIbLb0EES11_EEDaSW_SX_EUlSW_E_NS1_11comp_targetILNS1_3genE8ELNS1_11target_archE1030ELNS1_3gpuE2ELNS1_3repE0EEENS1_30default_config_static_selectorELNS0_4arch9wavefront6targetE0EEEvT1_
                                        ; -- End function
	.set _ZN7rocprim17ROCPRIM_400000_NS6detail17trampoline_kernelINS0_14default_configENS1_27scan_by_key_config_selectorIidEEZZNS1_16scan_by_key_implILNS1_25lookback_scan_determinismE0ELb0ES3_N6thrust23THRUST_200600_302600_NS6detail15normal_iteratorINS9_10device_ptrIiEEEENSB_INSC_IdEEEESG_dNS9_4plusIvEENS9_8equal_toIvEEdEE10hipError_tPvRmT2_T3_T4_T5_mT6_T7_P12ihipStream_tbENKUlT_T0_E_clISt17integral_constantIbLb0EES11_EEDaSW_SX_EUlSW_E_NS1_11comp_targetILNS1_3genE8ELNS1_11target_archE1030ELNS1_3gpuE2ELNS1_3repE0EEENS1_30default_config_static_selectorELNS0_4arch9wavefront6targetE0EEEvT1_.num_vgpr, 48
	.set _ZN7rocprim17ROCPRIM_400000_NS6detail17trampoline_kernelINS0_14default_configENS1_27scan_by_key_config_selectorIidEEZZNS1_16scan_by_key_implILNS1_25lookback_scan_determinismE0ELb0ES3_N6thrust23THRUST_200600_302600_NS6detail15normal_iteratorINS9_10device_ptrIiEEEENSB_INSC_IdEEEESG_dNS9_4plusIvEENS9_8equal_toIvEEdEE10hipError_tPvRmT2_T3_T4_T5_mT6_T7_P12ihipStream_tbENKUlT_T0_E_clISt17integral_constantIbLb0EES11_EEDaSW_SX_EUlSW_E_NS1_11comp_targetILNS1_3genE8ELNS1_11target_archE1030ELNS1_3gpuE2ELNS1_3repE0EEENS1_30default_config_static_selectorELNS0_4arch9wavefront6targetE0EEEvT1_.num_agpr, 0
	.set _ZN7rocprim17ROCPRIM_400000_NS6detail17trampoline_kernelINS0_14default_configENS1_27scan_by_key_config_selectorIidEEZZNS1_16scan_by_key_implILNS1_25lookback_scan_determinismE0ELb0ES3_N6thrust23THRUST_200600_302600_NS6detail15normal_iteratorINS9_10device_ptrIiEEEENSB_INSC_IdEEEESG_dNS9_4plusIvEENS9_8equal_toIvEEdEE10hipError_tPvRmT2_T3_T4_T5_mT6_T7_P12ihipStream_tbENKUlT_T0_E_clISt17integral_constantIbLb0EES11_EEDaSW_SX_EUlSW_E_NS1_11comp_targetILNS1_3genE8ELNS1_11target_archE1030ELNS1_3gpuE2ELNS1_3repE0EEENS1_30default_config_static_selectorELNS0_4arch9wavefront6targetE0EEEvT1_.numbered_sgpr, 38
	.set _ZN7rocprim17ROCPRIM_400000_NS6detail17trampoline_kernelINS0_14default_configENS1_27scan_by_key_config_selectorIidEEZZNS1_16scan_by_key_implILNS1_25lookback_scan_determinismE0ELb0ES3_N6thrust23THRUST_200600_302600_NS6detail15normal_iteratorINS9_10device_ptrIiEEEENSB_INSC_IdEEEESG_dNS9_4plusIvEENS9_8equal_toIvEEdEE10hipError_tPvRmT2_T3_T4_T5_mT6_T7_P12ihipStream_tbENKUlT_T0_E_clISt17integral_constantIbLb0EES11_EEDaSW_SX_EUlSW_E_NS1_11comp_targetILNS1_3genE8ELNS1_11target_archE1030ELNS1_3gpuE2ELNS1_3repE0EEENS1_30default_config_static_selectorELNS0_4arch9wavefront6targetE0EEEvT1_.num_named_barrier, 0
	.set _ZN7rocprim17ROCPRIM_400000_NS6detail17trampoline_kernelINS0_14default_configENS1_27scan_by_key_config_selectorIidEEZZNS1_16scan_by_key_implILNS1_25lookback_scan_determinismE0ELb0ES3_N6thrust23THRUST_200600_302600_NS6detail15normal_iteratorINS9_10device_ptrIiEEEENSB_INSC_IdEEEESG_dNS9_4plusIvEENS9_8equal_toIvEEdEE10hipError_tPvRmT2_T3_T4_T5_mT6_T7_P12ihipStream_tbENKUlT_T0_E_clISt17integral_constantIbLb0EES11_EEDaSW_SX_EUlSW_E_NS1_11comp_targetILNS1_3genE8ELNS1_11target_archE1030ELNS1_3gpuE2ELNS1_3repE0EEENS1_30default_config_static_selectorELNS0_4arch9wavefront6targetE0EEEvT1_.private_seg_size, 0
	.set _ZN7rocprim17ROCPRIM_400000_NS6detail17trampoline_kernelINS0_14default_configENS1_27scan_by_key_config_selectorIidEEZZNS1_16scan_by_key_implILNS1_25lookback_scan_determinismE0ELb0ES3_N6thrust23THRUST_200600_302600_NS6detail15normal_iteratorINS9_10device_ptrIiEEEENSB_INSC_IdEEEESG_dNS9_4plusIvEENS9_8equal_toIvEEdEE10hipError_tPvRmT2_T3_T4_T5_mT6_T7_P12ihipStream_tbENKUlT_T0_E_clISt17integral_constantIbLb0EES11_EEDaSW_SX_EUlSW_E_NS1_11comp_targetILNS1_3genE8ELNS1_11target_archE1030ELNS1_3gpuE2ELNS1_3repE0EEENS1_30default_config_static_selectorELNS0_4arch9wavefront6targetE0EEEvT1_.uses_vcc, 1
	.set _ZN7rocprim17ROCPRIM_400000_NS6detail17trampoline_kernelINS0_14default_configENS1_27scan_by_key_config_selectorIidEEZZNS1_16scan_by_key_implILNS1_25lookback_scan_determinismE0ELb0ES3_N6thrust23THRUST_200600_302600_NS6detail15normal_iteratorINS9_10device_ptrIiEEEENSB_INSC_IdEEEESG_dNS9_4plusIvEENS9_8equal_toIvEEdEE10hipError_tPvRmT2_T3_T4_T5_mT6_T7_P12ihipStream_tbENKUlT_T0_E_clISt17integral_constantIbLb0EES11_EEDaSW_SX_EUlSW_E_NS1_11comp_targetILNS1_3genE8ELNS1_11target_archE1030ELNS1_3gpuE2ELNS1_3repE0EEENS1_30default_config_static_selectorELNS0_4arch9wavefront6targetE0EEEvT1_.uses_flat_scratch, 1
	.set _ZN7rocprim17ROCPRIM_400000_NS6detail17trampoline_kernelINS0_14default_configENS1_27scan_by_key_config_selectorIidEEZZNS1_16scan_by_key_implILNS1_25lookback_scan_determinismE0ELb0ES3_N6thrust23THRUST_200600_302600_NS6detail15normal_iteratorINS9_10device_ptrIiEEEENSB_INSC_IdEEEESG_dNS9_4plusIvEENS9_8equal_toIvEEdEE10hipError_tPvRmT2_T3_T4_T5_mT6_T7_P12ihipStream_tbENKUlT_T0_E_clISt17integral_constantIbLb0EES11_EEDaSW_SX_EUlSW_E_NS1_11comp_targetILNS1_3genE8ELNS1_11target_archE1030ELNS1_3gpuE2ELNS1_3repE0EEENS1_30default_config_static_selectorELNS0_4arch9wavefront6targetE0EEEvT1_.has_dyn_sized_stack, 0
	.set _ZN7rocprim17ROCPRIM_400000_NS6detail17trampoline_kernelINS0_14default_configENS1_27scan_by_key_config_selectorIidEEZZNS1_16scan_by_key_implILNS1_25lookback_scan_determinismE0ELb0ES3_N6thrust23THRUST_200600_302600_NS6detail15normal_iteratorINS9_10device_ptrIiEEEENSB_INSC_IdEEEESG_dNS9_4plusIvEENS9_8equal_toIvEEdEE10hipError_tPvRmT2_T3_T4_T5_mT6_T7_P12ihipStream_tbENKUlT_T0_E_clISt17integral_constantIbLb0EES11_EEDaSW_SX_EUlSW_E_NS1_11comp_targetILNS1_3genE8ELNS1_11target_archE1030ELNS1_3gpuE2ELNS1_3repE0EEENS1_30default_config_static_selectorELNS0_4arch9wavefront6targetE0EEEvT1_.has_recursion, 0
	.set _ZN7rocprim17ROCPRIM_400000_NS6detail17trampoline_kernelINS0_14default_configENS1_27scan_by_key_config_selectorIidEEZZNS1_16scan_by_key_implILNS1_25lookback_scan_determinismE0ELb0ES3_N6thrust23THRUST_200600_302600_NS6detail15normal_iteratorINS9_10device_ptrIiEEEENSB_INSC_IdEEEESG_dNS9_4plusIvEENS9_8equal_toIvEEdEE10hipError_tPvRmT2_T3_T4_T5_mT6_T7_P12ihipStream_tbENKUlT_T0_E_clISt17integral_constantIbLb0EES11_EEDaSW_SX_EUlSW_E_NS1_11comp_targetILNS1_3genE8ELNS1_11target_archE1030ELNS1_3gpuE2ELNS1_3repE0EEENS1_30default_config_static_selectorELNS0_4arch9wavefront6targetE0EEEvT1_.has_indirect_call, 0
	.section	.AMDGPU.csdata,"",@progbits
; Kernel info:
; codeLenInByte = 7312
; TotalNumSgprs: 40
; NumVgprs: 48
; ScratchSize: 0
; MemoryBound: 0
; FloatMode: 240
; IeeeMode: 1
; LDSByteSize: 6144 bytes/workgroup (compile time only)
; SGPRBlocks: 0
; VGPRBlocks: 5
; NumSGPRsForWavesPerEU: 40
; NumVGPRsForWavesPerEU: 48
; Occupancy: 16
; WaveLimiterHint : 1
; COMPUTE_PGM_RSRC2:SCRATCH_EN: 0
; COMPUTE_PGM_RSRC2:USER_SGPR: 6
; COMPUTE_PGM_RSRC2:TRAP_HANDLER: 0
; COMPUTE_PGM_RSRC2:TGID_X_EN: 1
; COMPUTE_PGM_RSRC2:TGID_Y_EN: 0
; COMPUTE_PGM_RSRC2:TGID_Z_EN: 0
; COMPUTE_PGM_RSRC2:TIDIG_COMP_CNT: 0
	.section	.text._ZN7rocprim17ROCPRIM_400000_NS6detail30init_device_scan_by_key_kernelINS1_19lookback_scan_stateINS0_5tupleIJdbEEELb1ELb0EEEN6thrust23THRUST_200600_302600_NS6detail15normal_iteratorINS8_10device_ptrIiEEEEjNS1_16block_id_wrapperIjLb1EEEEEvT_jjPNSG_10value_typeET0_PNSt15iterator_traitsISJ_E10value_typeEmT1_T2_,"axG",@progbits,_ZN7rocprim17ROCPRIM_400000_NS6detail30init_device_scan_by_key_kernelINS1_19lookback_scan_stateINS0_5tupleIJdbEEELb1ELb0EEEN6thrust23THRUST_200600_302600_NS6detail15normal_iteratorINS8_10device_ptrIiEEEEjNS1_16block_id_wrapperIjLb1EEEEEvT_jjPNSG_10value_typeET0_PNSt15iterator_traitsISJ_E10value_typeEmT1_T2_,comdat
	.protected	_ZN7rocprim17ROCPRIM_400000_NS6detail30init_device_scan_by_key_kernelINS1_19lookback_scan_stateINS0_5tupleIJdbEEELb1ELb0EEEN6thrust23THRUST_200600_302600_NS6detail15normal_iteratorINS8_10device_ptrIiEEEEjNS1_16block_id_wrapperIjLb1EEEEEvT_jjPNSG_10value_typeET0_PNSt15iterator_traitsISJ_E10value_typeEmT1_T2_ ; -- Begin function _ZN7rocprim17ROCPRIM_400000_NS6detail30init_device_scan_by_key_kernelINS1_19lookback_scan_stateINS0_5tupleIJdbEEELb1ELb0EEEN6thrust23THRUST_200600_302600_NS6detail15normal_iteratorINS8_10device_ptrIiEEEEjNS1_16block_id_wrapperIjLb1EEEEEvT_jjPNSG_10value_typeET0_PNSt15iterator_traitsISJ_E10value_typeEmT1_T2_
	.globl	_ZN7rocprim17ROCPRIM_400000_NS6detail30init_device_scan_by_key_kernelINS1_19lookback_scan_stateINS0_5tupleIJdbEEELb1ELb0EEEN6thrust23THRUST_200600_302600_NS6detail15normal_iteratorINS8_10device_ptrIiEEEEjNS1_16block_id_wrapperIjLb1EEEEEvT_jjPNSG_10value_typeET0_PNSt15iterator_traitsISJ_E10value_typeEmT1_T2_
	.p2align	8
	.type	_ZN7rocprim17ROCPRIM_400000_NS6detail30init_device_scan_by_key_kernelINS1_19lookback_scan_stateINS0_5tupleIJdbEEELb1ELb0EEEN6thrust23THRUST_200600_302600_NS6detail15normal_iteratorINS8_10device_ptrIiEEEEjNS1_16block_id_wrapperIjLb1EEEEEvT_jjPNSG_10value_typeET0_PNSt15iterator_traitsISJ_E10value_typeEmT1_T2_,@function
_ZN7rocprim17ROCPRIM_400000_NS6detail30init_device_scan_by_key_kernelINS1_19lookback_scan_stateINS0_5tupleIJdbEEELb1ELb0EEEN6thrust23THRUST_200600_302600_NS6detail15normal_iteratorINS8_10device_ptrIiEEEEjNS1_16block_id_wrapperIjLb1EEEEEvT_jjPNSG_10value_typeET0_PNSt15iterator_traitsISJ_E10value_typeEmT1_T2_: ; @_ZN7rocprim17ROCPRIM_400000_NS6detail30init_device_scan_by_key_kernelINS1_19lookback_scan_stateINS0_5tupleIJdbEEELb1ELb0EEEN6thrust23THRUST_200600_302600_NS6detail15normal_iteratorINS8_10device_ptrIiEEEEjNS1_16block_id_wrapperIjLb1EEEEEvT_jjPNSG_10value_typeET0_PNSt15iterator_traitsISJ_E10value_typeEmT1_T2_
; %bb.0:
	s_clause 0x2
	s_load_dword s0, s[4:5], 0x5c
	s_load_dwordx8 s[8:15], s[4:5], 0x10
	s_load_dword s18, s[4:5], 0x50
	s_waitcnt lgkmcnt(0)
	s_and_b32 s19, s0, 0xffff
	s_cmp_eq_u64 s[12:13], 0
	v_mad_u64_u32 v[0:1], null, s6, s19, v[0:1]
	s_cbranch_scc1 .LBB1094_9
; %bb.1:
	s_cmp_lt_u32 s11, s10
	s_mov_b32 s7, 0
	s_cselect_b32 s0, s11, 0
	s_mov_b32 s20, exec_lo
	v_cmpx_eq_u32_e64 s0, v0
	s_cbranch_execz .LBB1094_8
; %bb.2:
	s_add_i32 s6, s11, 32
	s_load_dwordx4 s[0:3], s[4:5], 0x0
	v_mov_b32_e32 v1, s6
	s_add_u32 s16, s8, s6
	s_addc_u32 s17, s9, 0
	global_load_ubyte v2, v1, s[8:9] glc dlc
	v_mov_b32_e32 v1, 0
	s_waitcnt vmcnt(0)
	v_cmp_ne_u32_sdwa s11, v2, v1 src0_sel:WORD_0 src1_sel:DWORD
	v_readfirstlane_b32 s21, v2
	s_and_b32 vcc_lo, exec_lo, s11
	s_cbranch_vccnz .LBB1094_7
; %bb.3:
	s_mov_b32 s11, 1
.LBB1094_4:                             ; =>This Loop Header: Depth=1
                                        ;     Child Loop BB1094_5 Depth 2
	s_mov_b32 s21, s11
.LBB1094_5:                             ;   Parent Loop BB1094_4 Depth=1
                                        ; =>  This Inner Loop Header: Depth=2
	s_add_i32 s21, s21, -1
	s_sleep 1
	s_cmp_eq_u32 s21, 0
	s_cbranch_scc0 .LBB1094_5
; %bb.6:                                ;   in Loop: Header=BB1094_4 Depth=1
	global_load_ubyte v2, v1, s[16:17] glc dlc
	s_cmp_lt_u32 s11, 32
	s_cselect_b32 s21, -1, 0
	s_cmp_lg_u32 s21, 0
	s_addc_u32 s11, s11, 0
	s_waitcnt vmcnt(0)
	v_cmp_ne_u32_sdwa s22, v2, v1 src0_sel:WORD_0 src1_sel:DWORD
	v_readfirstlane_b32 s21, v2
	s_and_b32 vcc_lo, exec_lo, s22
	s_cbranch_vccz .LBB1094_4
.LBB1094_7:
	s_and_b32 s11, 0xffff, s21
	v_mov_b32_e32 v3, 0
	s_cmp_eq_u32 s11, 1
	s_waitcnt lgkmcnt(0)
	buffer_gl1_inv
	buffer_gl0_inv
	s_cselect_b32 s3, s1, s3
	s_cselect_b32 s2, s0, s2
	s_lshl_b64 s[0:1], s[6:7], 4
	s_add_u32 s0, s2, s0
	s_addc_u32 s1, s3, s1
	s_clause 0x1
	global_load_dwordx2 v[1:2], v3, s[0:1]
	global_load_ubyte v4, v3, s[0:1] offset:8
	s_waitcnt vmcnt(1)
	global_store_dwordx2 v3, v[1:2], s[12:13]
	s_waitcnt vmcnt(0)
	global_store_byte v3, v4, s[12:13] offset:8
.LBB1094_8:
	s_or_b32 exec_lo, exec_lo, s20
.LBB1094_9:
	s_mov_b32 s0, exec_lo
	v_cmpx_eq_u32_e32 0, v0
	s_cbranch_execz .LBB1094_11
; %bb.10:
	s_load_dwordx2 s[2:3], s[4:5], 0x48
	v_mov_b32_e32 v1, 0
	s_waitcnt lgkmcnt(0)
	global_store_dword v1, v1, s[2:3]
.LBB1094_11:
	s_or_b32 exec_lo, exec_lo, s0
	s_mov_b32 s0, exec_lo
	v_cmpx_gt_u32_e64 s10, v0
	s_cbranch_execz .LBB1094_13
; %bb.12:
	v_add_nc_u32_e32 v1, 32, v0
	v_mov_b32_e32 v2, 0
	global_store_byte v1, v2, s[8:9]
.LBB1094_13:
	s_or_b32 exec_lo, exec_lo, s0
	v_mov_b32_e32 v1, 0
	s_mov_b32 s0, exec_lo
	v_cmpx_gt_u32_e32 32, v0
	s_cbranch_execz .LBB1094_15
; %bb.14:
	v_add_co_u32 v2, s1, s8, v0
	v_add_co_ci_u32_e64 v3, null, s9, 0, s1
	v_mov_b32_e32 v4, 0xff
	global_store_byte v[2:3], v4, off
.LBB1094_15:
	s_or_b32 exec_lo, exec_lo, s0
	s_load_dwordx2 s[2:3], s[4:5], 0x38
	s_mov_b32 s0, exec_lo
	s_waitcnt lgkmcnt(0)
	v_cmpx_gt_u64_e64 s[2:3], v[0:1]
	s_cbranch_execz .LBB1094_18
; %bb.16:
	s_clause 0x1
	s_load_dword s8, s[4:5], 0x40
	s_load_dwordx2 s[6:7], s[4:5], 0x30
	s_mov_b32 s1, 0
	v_lshlrev_b64 v[4:5], 2, v[0:1]
	s_mul_i32 s4, s18, s19
	s_waitcnt lgkmcnt(0)
	v_mad_u64_u32 v[2:3], null, s8, v0, 0
	s_add_i32 s0, s8, -1
	s_mul_hi_u32 s9, s8, s4
	s_lshl_b64 s[10:11], s[0:1], 2
	s_mul_i32 s8, s8, s4
	s_add_u32 s0, s14, s10
	s_addc_u32 s5, s15, s11
	v_lshlrev_b64 v[2:3], 2, v[2:3]
	v_add_co_u32 v2, vcc_lo, s0, v2
	v_add_co_ci_u32_e64 v3, null, s5, v3, vcc_lo
	v_add_co_u32 v4, vcc_lo, s6, v4
	v_add_co_ci_u32_e64 v5, null, s7, v5, vcc_lo
	s_mov_b32 s5, s1
	s_lshl_b64 s[6:7], s[8:9], 2
	s_lshl_b64 s[8:9], s[4:5], 2
	.p2align	6
.LBB1094_17:                            ; =>This Inner Loop Header: Depth=1
	global_load_dword v6, v[2:3], off
	v_add_co_u32 v0, vcc_lo, v0, s4
	v_add_co_ci_u32_e64 v1, null, 0, v1, vcc_lo
	v_add_co_u32 v2, vcc_lo, v2, s6
	v_add_co_ci_u32_e64 v3, null, s7, v3, vcc_lo
	v_cmp_le_u64_e32 vcc_lo, s[2:3], v[0:1]
	s_or_b32 s1, vcc_lo, s1
	s_waitcnt vmcnt(0)
	global_store_dword v[4:5], v6, off
	v_add_co_u32 v4, s0, v4, s8
	v_add_co_ci_u32_e64 v5, null, s9, v5, s0
	s_andn2_b32 exec_lo, exec_lo, s1
	s_cbranch_execnz .LBB1094_17
.LBB1094_18:
	s_endpgm
	.section	.rodata,"a",@progbits
	.p2align	6, 0x0
	.amdhsa_kernel _ZN7rocprim17ROCPRIM_400000_NS6detail30init_device_scan_by_key_kernelINS1_19lookback_scan_stateINS0_5tupleIJdbEEELb1ELb0EEEN6thrust23THRUST_200600_302600_NS6detail15normal_iteratorINS8_10device_ptrIiEEEEjNS1_16block_id_wrapperIjLb1EEEEEvT_jjPNSG_10value_typeET0_PNSt15iterator_traitsISJ_E10value_typeEmT1_T2_
		.amdhsa_group_segment_fixed_size 0
		.amdhsa_private_segment_fixed_size 0
		.amdhsa_kernarg_size 336
		.amdhsa_user_sgpr_count 6
		.amdhsa_user_sgpr_private_segment_buffer 1
		.amdhsa_user_sgpr_dispatch_ptr 0
		.amdhsa_user_sgpr_queue_ptr 0
		.amdhsa_user_sgpr_kernarg_segment_ptr 1
		.amdhsa_user_sgpr_dispatch_id 0
		.amdhsa_user_sgpr_flat_scratch_init 0
		.amdhsa_user_sgpr_private_segment_size 0
		.amdhsa_wavefront_size32 1
		.amdhsa_uses_dynamic_stack 0
		.amdhsa_system_sgpr_private_segment_wavefront_offset 0
		.amdhsa_system_sgpr_workgroup_id_x 1
		.amdhsa_system_sgpr_workgroup_id_y 0
		.amdhsa_system_sgpr_workgroup_id_z 0
		.amdhsa_system_sgpr_workgroup_info 0
		.amdhsa_system_vgpr_workitem_id 0
		.amdhsa_next_free_vgpr 7
		.amdhsa_next_free_sgpr 23
		.amdhsa_reserve_vcc 1
		.amdhsa_reserve_flat_scratch 0
		.amdhsa_float_round_mode_32 0
		.amdhsa_float_round_mode_16_64 0
		.amdhsa_float_denorm_mode_32 3
		.amdhsa_float_denorm_mode_16_64 3
		.amdhsa_dx10_clamp 1
		.amdhsa_ieee_mode 1
		.amdhsa_fp16_overflow 0
		.amdhsa_workgroup_processor_mode 1
		.amdhsa_memory_ordered 1
		.amdhsa_forward_progress 1
		.amdhsa_shared_vgpr_count 0
		.amdhsa_exception_fp_ieee_invalid_op 0
		.amdhsa_exception_fp_denorm_src 0
		.amdhsa_exception_fp_ieee_div_zero 0
		.amdhsa_exception_fp_ieee_overflow 0
		.amdhsa_exception_fp_ieee_underflow 0
		.amdhsa_exception_fp_ieee_inexact 0
		.amdhsa_exception_int_div_zero 0
	.end_amdhsa_kernel
	.section	.text._ZN7rocprim17ROCPRIM_400000_NS6detail30init_device_scan_by_key_kernelINS1_19lookback_scan_stateINS0_5tupleIJdbEEELb1ELb0EEEN6thrust23THRUST_200600_302600_NS6detail15normal_iteratorINS8_10device_ptrIiEEEEjNS1_16block_id_wrapperIjLb1EEEEEvT_jjPNSG_10value_typeET0_PNSt15iterator_traitsISJ_E10value_typeEmT1_T2_,"axG",@progbits,_ZN7rocprim17ROCPRIM_400000_NS6detail30init_device_scan_by_key_kernelINS1_19lookback_scan_stateINS0_5tupleIJdbEEELb1ELb0EEEN6thrust23THRUST_200600_302600_NS6detail15normal_iteratorINS8_10device_ptrIiEEEEjNS1_16block_id_wrapperIjLb1EEEEEvT_jjPNSG_10value_typeET0_PNSt15iterator_traitsISJ_E10value_typeEmT1_T2_,comdat
.Lfunc_end1094:
	.size	_ZN7rocprim17ROCPRIM_400000_NS6detail30init_device_scan_by_key_kernelINS1_19lookback_scan_stateINS0_5tupleIJdbEEELb1ELb0EEEN6thrust23THRUST_200600_302600_NS6detail15normal_iteratorINS8_10device_ptrIiEEEEjNS1_16block_id_wrapperIjLb1EEEEEvT_jjPNSG_10value_typeET0_PNSt15iterator_traitsISJ_E10value_typeEmT1_T2_, .Lfunc_end1094-_ZN7rocprim17ROCPRIM_400000_NS6detail30init_device_scan_by_key_kernelINS1_19lookback_scan_stateINS0_5tupleIJdbEEELb1ELb0EEEN6thrust23THRUST_200600_302600_NS6detail15normal_iteratorINS8_10device_ptrIiEEEEjNS1_16block_id_wrapperIjLb1EEEEEvT_jjPNSG_10value_typeET0_PNSt15iterator_traitsISJ_E10value_typeEmT1_T2_
                                        ; -- End function
	.set _ZN7rocprim17ROCPRIM_400000_NS6detail30init_device_scan_by_key_kernelINS1_19lookback_scan_stateINS0_5tupleIJdbEEELb1ELb0EEEN6thrust23THRUST_200600_302600_NS6detail15normal_iteratorINS8_10device_ptrIiEEEEjNS1_16block_id_wrapperIjLb1EEEEEvT_jjPNSG_10value_typeET0_PNSt15iterator_traitsISJ_E10value_typeEmT1_T2_.num_vgpr, 7
	.set _ZN7rocprim17ROCPRIM_400000_NS6detail30init_device_scan_by_key_kernelINS1_19lookback_scan_stateINS0_5tupleIJdbEEELb1ELb0EEEN6thrust23THRUST_200600_302600_NS6detail15normal_iteratorINS8_10device_ptrIiEEEEjNS1_16block_id_wrapperIjLb1EEEEEvT_jjPNSG_10value_typeET0_PNSt15iterator_traitsISJ_E10value_typeEmT1_T2_.num_agpr, 0
	.set _ZN7rocprim17ROCPRIM_400000_NS6detail30init_device_scan_by_key_kernelINS1_19lookback_scan_stateINS0_5tupleIJdbEEELb1ELb0EEEN6thrust23THRUST_200600_302600_NS6detail15normal_iteratorINS8_10device_ptrIiEEEEjNS1_16block_id_wrapperIjLb1EEEEEvT_jjPNSG_10value_typeET0_PNSt15iterator_traitsISJ_E10value_typeEmT1_T2_.numbered_sgpr, 23
	.set _ZN7rocprim17ROCPRIM_400000_NS6detail30init_device_scan_by_key_kernelINS1_19lookback_scan_stateINS0_5tupleIJdbEEELb1ELb0EEEN6thrust23THRUST_200600_302600_NS6detail15normal_iteratorINS8_10device_ptrIiEEEEjNS1_16block_id_wrapperIjLb1EEEEEvT_jjPNSG_10value_typeET0_PNSt15iterator_traitsISJ_E10value_typeEmT1_T2_.num_named_barrier, 0
	.set _ZN7rocprim17ROCPRIM_400000_NS6detail30init_device_scan_by_key_kernelINS1_19lookback_scan_stateINS0_5tupleIJdbEEELb1ELb0EEEN6thrust23THRUST_200600_302600_NS6detail15normal_iteratorINS8_10device_ptrIiEEEEjNS1_16block_id_wrapperIjLb1EEEEEvT_jjPNSG_10value_typeET0_PNSt15iterator_traitsISJ_E10value_typeEmT1_T2_.private_seg_size, 0
	.set _ZN7rocprim17ROCPRIM_400000_NS6detail30init_device_scan_by_key_kernelINS1_19lookback_scan_stateINS0_5tupleIJdbEEELb1ELb0EEEN6thrust23THRUST_200600_302600_NS6detail15normal_iteratorINS8_10device_ptrIiEEEEjNS1_16block_id_wrapperIjLb1EEEEEvT_jjPNSG_10value_typeET0_PNSt15iterator_traitsISJ_E10value_typeEmT1_T2_.uses_vcc, 1
	.set _ZN7rocprim17ROCPRIM_400000_NS6detail30init_device_scan_by_key_kernelINS1_19lookback_scan_stateINS0_5tupleIJdbEEELb1ELb0EEEN6thrust23THRUST_200600_302600_NS6detail15normal_iteratorINS8_10device_ptrIiEEEEjNS1_16block_id_wrapperIjLb1EEEEEvT_jjPNSG_10value_typeET0_PNSt15iterator_traitsISJ_E10value_typeEmT1_T2_.uses_flat_scratch, 0
	.set _ZN7rocprim17ROCPRIM_400000_NS6detail30init_device_scan_by_key_kernelINS1_19lookback_scan_stateINS0_5tupleIJdbEEELb1ELb0EEEN6thrust23THRUST_200600_302600_NS6detail15normal_iteratorINS8_10device_ptrIiEEEEjNS1_16block_id_wrapperIjLb1EEEEEvT_jjPNSG_10value_typeET0_PNSt15iterator_traitsISJ_E10value_typeEmT1_T2_.has_dyn_sized_stack, 0
	.set _ZN7rocprim17ROCPRIM_400000_NS6detail30init_device_scan_by_key_kernelINS1_19lookback_scan_stateINS0_5tupleIJdbEEELb1ELb0EEEN6thrust23THRUST_200600_302600_NS6detail15normal_iteratorINS8_10device_ptrIiEEEEjNS1_16block_id_wrapperIjLb1EEEEEvT_jjPNSG_10value_typeET0_PNSt15iterator_traitsISJ_E10value_typeEmT1_T2_.has_recursion, 0
	.set _ZN7rocprim17ROCPRIM_400000_NS6detail30init_device_scan_by_key_kernelINS1_19lookback_scan_stateINS0_5tupleIJdbEEELb1ELb0EEEN6thrust23THRUST_200600_302600_NS6detail15normal_iteratorINS8_10device_ptrIiEEEEjNS1_16block_id_wrapperIjLb1EEEEEvT_jjPNSG_10value_typeET0_PNSt15iterator_traitsISJ_E10value_typeEmT1_T2_.has_indirect_call, 0
	.section	.AMDGPU.csdata,"",@progbits
; Kernel info:
; codeLenInByte = 728
; TotalNumSgprs: 25
; NumVgprs: 7
; ScratchSize: 0
; MemoryBound: 0
; FloatMode: 240
; IeeeMode: 1
; LDSByteSize: 0 bytes/workgroup (compile time only)
; SGPRBlocks: 0
; VGPRBlocks: 0
; NumSGPRsForWavesPerEU: 25
; NumVGPRsForWavesPerEU: 7
; Occupancy: 16
; WaveLimiterHint : 0
; COMPUTE_PGM_RSRC2:SCRATCH_EN: 0
; COMPUTE_PGM_RSRC2:USER_SGPR: 6
; COMPUTE_PGM_RSRC2:TRAP_HANDLER: 0
; COMPUTE_PGM_RSRC2:TGID_X_EN: 1
; COMPUTE_PGM_RSRC2:TGID_Y_EN: 0
; COMPUTE_PGM_RSRC2:TGID_Z_EN: 0
; COMPUTE_PGM_RSRC2:TIDIG_COMP_CNT: 0
	.section	.text._ZN7rocprim17ROCPRIM_400000_NS6detail30init_device_scan_by_key_kernelINS1_19lookback_scan_stateINS0_5tupleIJdbEEELb1ELb0EEENS1_16block_id_wrapperIjLb1EEEEEvT_jjPNS9_10value_typeET0_,"axG",@progbits,_ZN7rocprim17ROCPRIM_400000_NS6detail30init_device_scan_by_key_kernelINS1_19lookback_scan_stateINS0_5tupleIJdbEEELb1ELb0EEENS1_16block_id_wrapperIjLb1EEEEEvT_jjPNS9_10value_typeET0_,comdat
	.protected	_ZN7rocprim17ROCPRIM_400000_NS6detail30init_device_scan_by_key_kernelINS1_19lookback_scan_stateINS0_5tupleIJdbEEELb1ELb0EEENS1_16block_id_wrapperIjLb1EEEEEvT_jjPNS9_10value_typeET0_ ; -- Begin function _ZN7rocprim17ROCPRIM_400000_NS6detail30init_device_scan_by_key_kernelINS1_19lookback_scan_stateINS0_5tupleIJdbEEELb1ELb0EEENS1_16block_id_wrapperIjLb1EEEEEvT_jjPNS9_10value_typeET0_
	.globl	_ZN7rocprim17ROCPRIM_400000_NS6detail30init_device_scan_by_key_kernelINS1_19lookback_scan_stateINS0_5tupleIJdbEEELb1ELb0EEENS1_16block_id_wrapperIjLb1EEEEEvT_jjPNS9_10value_typeET0_
	.p2align	8
	.type	_ZN7rocprim17ROCPRIM_400000_NS6detail30init_device_scan_by_key_kernelINS1_19lookback_scan_stateINS0_5tupleIJdbEEELb1ELb0EEENS1_16block_id_wrapperIjLb1EEEEEvT_jjPNS9_10value_typeET0_,@function
_ZN7rocprim17ROCPRIM_400000_NS6detail30init_device_scan_by_key_kernelINS1_19lookback_scan_stateINS0_5tupleIJdbEEELb1ELb0EEENS1_16block_id_wrapperIjLb1EEEEEvT_jjPNS9_10value_typeET0_: ; @_ZN7rocprim17ROCPRIM_400000_NS6detail30init_device_scan_by_key_kernelINS1_19lookback_scan_stateINS0_5tupleIJdbEEELb1ELb0EEENS1_16block_id_wrapperIjLb1EEEEEvT_jjPNS9_10value_typeET0_
; %bb.0:
	s_clause 0x1
	s_load_dword s0, s[4:5], 0x3c
	s_load_dwordx8 s[8:15], s[4:5], 0x10
	s_waitcnt lgkmcnt(0)
	s_and_b32 s0, s0, 0xffff
	s_cmp_eq_u64 s[12:13], 0
	v_mad_u64_u32 v[0:1], null, s6, s0, v[0:1]
	s_cbranch_scc1 .LBB1095_9
; %bb.1:
	s_cmp_lt_u32 s11, s10
	s_mov_b32 s7, 0
	s_cselect_b32 s0, s11, 0
	s_mov_b32 s16, exec_lo
	v_cmpx_eq_u32_e64 s0, v0
	s_cbranch_execz .LBB1095_8
; %bb.2:
	s_add_i32 s6, s11, 32
	s_load_dwordx4 s[0:3], s[4:5], 0x0
	v_mov_b32_e32 v1, s6
	s_add_u32 s4, s8, s6
	s_addc_u32 s5, s9, 0
	global_load_ubyte v2, v1, s[8:9] glc dlc
	v_mov_b32_e32 v1, 0
	s_waitcnt vmcnt(0)
	v_cmp_ne_u32_sdwa s11, v2, v1 src0_sel:WORD_0 src1_sel:DWORD
	v_readfirstlane_b32 s17, v2
	s_and_b32 vcc_lo, exec_lo, s11
	s_cbranch_vccnz .LBB1095_7
; %bb.3:
	s_mov_b32 s11, 1
.LBB1095_4:                             ; =>This Loop Header: Depth=1
                                        ;     Child Loop BB1095_5 Depth 2
	s_mov_b32 s17, s11
.LBB1095_5:                             ;   Parent Loop BB1095_4 Depth=1
                                        ; =>  This Inner Loop Header: Depth=2
	s_add_i32 s17, s17, -1
	s_sleep 1
	s_cmp_eq_u32 s17, 0
	s_cbranch_scc0 .LBB1095_5
; %bb.6:                                ;   in Loop: Header=BB1095_4 Depth=1
	global_load_ubyte v2, v1, s[4:5] glc dlc
	s_cmp_lt_u32 s11, 32
	s_cselect_b32 s17, -1, 0
	s_cmp_lg_u32 s17, 0
	s_addc_u32 s11, s11, 0
	s_waitcnt vmcnt(0)
	v_cmp_ne_u32_sdwa s18, v2, v1 src0_sel:WORD_0 src1_sel:DWORD
	v_readfirstlane_b32 s17, v2
	s_and_b32 vcc_lo, exec_lo, s18
	s_cbranch_vccz .LBB1095_4
.LBB1095_7:
	s_and_b32 s4, 0xffff, s17
	v_mov_b32_e32 v3, 0
	s_cmp_eq_u32 s4, 1
	s_waitcnt lgkmcnt(0)
	buffer_gl1_inv
	buffer_gl0_inv
	s_cselect_b32 s3, s1, s3
	s_cselect_b32 s2, s0, s2
	s_lshl_b64 s[0:1], s[6:7], 4
	s_add_u32 s0, s2, s0
	s_addc_u32 s1, s3, s1
	s_clause 0x1
	global_load_dwordx2 v[1:2], v3, s[0:1]
	global_load_ubyte v4, v3, s[0:1] offset:8
	s_waitcnt vmcnt(1)
	global_store_dwordx2 v3, v[1:2], s[12:13]
	s_waitcnt vmcnt(0)
	global_store_byte v3, v4, s[12:13] offset:8
.LBB1095_8:
	s_or_b32 exec_lo, exec_lo, s16
.LBB1095_9:
	s_mov_b32 s0, exec_lo
	v_cmpx_eq_u32_e32 0, v0
	s_cbranch_execz .LBB1095_11
; %bb.10:
	v_mov_b32_e32 v1, 0
	global_store_dword v1, v1, s[14:15]
.LBB1095_11:
	s_or_b32 exec_lo, exec_lo, s0
	s_mov_b32 s0, exec_lo
	v_cmpx_gt_u32_e64 s10, v0
	s_cbranch_execz .LBB1095_13
; %bb.12:
	v_add_nc_u32_e32 v1, 32, v0
	v_mov_b32_e32 v2, 0
	global_store_byte v1, v2, s[8:9]
.LBB1095_13:
	s_or_b32 exec_lo, exec_lo, s0
	s_mov_b32 s0, exec_lo
	v_cmpx_gt_u32_e32 32, v0
	s_cbranch_execz .LBB1095_15
; %bb.14:
	v_mov_b32_e32 v1, 0xff
	global_store_byte v0, v1, s[8:9]
.LBB1095_15:
	s_endpgm
	.section	.rodata,"a",@progbits
	.p2align	6, 0x0
	.amdhsa_kernel _ZN7rocprim17ROCPRIM_400000_NS6detail30init_device_scan_by_key_kernelINS1_19lookback_scan_stateINS0_5tupleIJdbEEELb1ELb0EEENS1_16block_id_wrapperIjLb1EEEEEvT_jjPNS9_10value_typeET0_
		.amdhsa_group_segment_fixed_size 0
		.amdhsa_private_segment_fixed_size 0
		.amdhsa_kernarg_size 304
		.amdhsa_user_sgpr_count 6
		.amdhsa_user_sgpr_private_segment_buffer 1
		.amdhsa_user_sgpr_dispatch_ptr 0
		.amdhsa_user_sgpr_queue_ptr 0
		.amdhsa_user_sgpr_kernarg_segment_ptr 1
		.amdhsa_user_sgpr_dispatch_id 0
		.amdhsa_user_sgpr_flat_scratch_init 0
		.amdhsa_user_sgpr_private_segment_size 0
		.amdhsa_wavefront_size32 1
		.amdhsa_uses_dynamic_stack 0
		.amdhsa_system_sgpr_private_segment_wavefront_offset 0
		.amdhsa_system_sgpr_workgroup_id_x 1
		.amdhsa_system_sgpr_workgroup_id_y 0
		.amdhsa_system_sgpr_workgroup_id_z 0
		.amdhsa_system_sgpr_workgroup_info 0
		.amdhsa_system_vgpr_workitem_id 0
		.amdhsa_next_free_vgpr 5
		.amdhsa_next_free_sgpr 19
		.amdhsa_reserve_vcc 1
		.amdhsa_reserve_flat_scratch 0
		.amdhsa_float_round_mode_32 0
		.amdhsa_float_round_mode_16_64 0
		.amdhsa_float_denorm_mode_32 3
		.amdhsa_float_denorm_mode_16_64 3
		.amdhsa_dx10_clamp 1
		.amdhsa_ieee_mode 1
		.amdhsa_fp16_overflow 0
		.amdhsa_workgroup_processor_mode 1
		.amdhsa_memory_ordered 1
		.amdhsa_forward_progress 1
		.amdhsa_shared_vgpr_count 0
		.amdhsa_exception_fp_ieee_invalid_op 0
		.amdhsa_exception_fp_denorm_src 0
		.amdhsa_exception_fp_ieee_div_zero 0
		.amdhsa_exception_fp_ieee_overflow 0
		.amdhsa_exception_fp_ieee_underflow 0
		.amdhsa_exception_fp_ieee_inexact 0
		.amdhsa_exception_int_div_zero 0
	.end_amdhsa_kernel
	.section	.text._ZN7rocprim17ROCPRIM_400000_NS6detail30init_device_scan_by_key_kernelINS1_19lookback_scan_stateINS0_5tupleIJdbEEELb1ELb0EEENS1_16block_id_wrapperIjLb1EEEEEvT_jjPNS9_10value_typeET0_,"axG",@progbits,_ZN7rocprim17ROCPRIM_400000_NS6detail30init_device_scan_by_key_kernelINS1_19lookback_scan_stateINS0_5tupleIJdbEEELb1ELb0EEENS1_16block_id_wrapperIjLb1EEEEEvT_jjPNS9_10value_typeET0_,comdat
.Lfunc_end1095:
	.size	_ZN7rocprim17ROCPRIM_400000_NS6detail30init_device_scan_by_key_kernelINS1_19lookback_scan_stateINS0_5tupleIJdbEEELb1ELb0EEENS1_16block_id_wrapperIjLb1EEEEEvT_jjPNS9_10value_typeET0_, .Lfunc_end1095-_ZN7rocprim17ROCPRIM_400000_NS6detail30init_device_scan_by_key_kernelINS1_19lookback_scan_stateINS0_5tupleIJdbEEELb1ELb0EEENS1_16block_id_wrapperIjLb1EEEEEvT_jjPNS9_10value_typeET0_
                                        ; -- End function
	.set _ZN7rocprim17ROCPRIM_400000_NS6detail30init_device_scan_by_key_kernelINS1_19lookback_scan_stateINS0_5tupleIJdbEEELb1ELb0EEENS1_16block_id_wrapperIjLb1EEEEEvT_jjPNS9_10value_typeET0_.num_vgpr, 5
	.set _ZN7rocprim17ROCPRIM_400000_NS6detail30init_device_scan_by_key_kernelINS1_19lookback_scan_stateINS0_5tupleIJdbEEELb1ELb0EEENS1_16block_id_wrapperIjLb1EEEEEvT_jjPNS9_10value_typeET0_.num_agpr, 0
	.set _ZN7rocprim17ROCPRIM_400000_NS6detail30init_device_scan_by_key_kernelINS1_19lookback_scan_stateINS0_5tupleIJdbEEELb1ELb0EEENS1_16block_id_wrapperIjLb1EEEEEvT_jjPNS9_10value_typeET0_.numbered_sgpr, 19
	.set _ZN7rocprim17ROCPRIM_400000_NS6detail30init_device_scan_by_key_kernelINS1_19lookback_scan_stateINS0_5tupleIJdbEEELb1ELb0EEENS1_16block_id_wrapperIjLb1EEEEEvT_jjPNS9_10value_typeET0_.num_named_barrier, 0
	.set _ZN7rocprim17ROCPRIM_400000_NS6detail30init_device_scan_by_key_kernelINS1_19lookback_scan_stateINS0_5tupleIJdbEEELb1ELb0EEENS1_16block_id_wrapperIjLb1EEEEEvT_jjPNS9_10value_typeET0_.private_seg_size, 0
	.set _ZN7rocprim17ROCPRIM_400000_NS6detail30init_device_scan_by_key_kernelINS1_19lookback_scan_stateINS0_5tupleIJdbEEELb1ELb0EEENS1_16block_id_wrapperIjLb1EEEEEvT_jjPNS9_10value_typeET0_.uses_vcc, 1
	.set _ZN7rocprim17ROCPRIM_400000_NS6detail30init_device_scan_by_key_kernelINS1_19lookback_scan_stateINS0_5tupleIJdbEEELb1ELb0EEENS1_16block_id_wrapperIjLb1EEEEEvT_jjPNS9_10value_typeET0_.uses_flat_scratch, 0
	.set _ZN7rocprim17ROCPRIM_400000_NS6detail30init_device_scan_by_key_kernelINS1_19lookback_scan_stateINS0_5tupleIJdbEEELb1ELb0EEENS1_16block_id_wrapperIjLb1EEEEEvT_jjPNS9_10value_typeET0_.has_dyn_sized_stack, 0
	.set _ZN7rocprim17ROCPRIM_400000_NS6detail30init_device_scan_by_key_kernelINS1_19lookback_scan_stateINS0_5tupleIJdbEEELb1ELb0EEENS1_16block_id_wrapperIjLb1EEEEEvT_jjPNS9_10value_typeET0_.has_recursion, 0
	.set _ZN7rocprim17ROCPRIM_400000_NS6detail30init_device_scan_by_key_kernelINS1_19lookback_scan_stateINS0_5tupleIJdbEEELb1ELb0EEENS1_16block_id_wrapperIjLb1EEEEEvT_jjPNS9_10value_typeET0_.has_indirect_call, 0
	.section	.AMDGPU.csdata,"",@progbits
; Kernel info:
; codeLenInByte = 408
; TotalNumSgprs: 21
; NumVgprs: 5
; ScratchSize: 0
; MemoryBound: 0
; FloatMode: 240
; IeeeMode: 1
; LDSByteSize: 0 bytes/workgroup (compile time only)
; SGPRBlocks: 0
; VGPRBlocks: 0
; NumSGPRsForWavesPerEU: 21
; NumVGPRsForWavesPerEU: 5
; Occupancy: 16
; WaveLimiterHint : 0
; COMPUTE_PGM_RSRC2:SCRATCH_EN: 0
; COMPUTE_PGM_RSRC2:USER_SGPR: 6
; COMPUTE_PGM_RSRC2:TRAP_HANDLER: 0
; COMPUTE_PGM_RSRC2:TGID_X_EN: 1
; COMPUTE_PGM_RSRC2:TGID_Y_EN: 0
; COMPUTE_PGM_RSRC2:TGID_Z_EN: 0
; COMPUTE_PGM_RSRC2:TIDIG_COMP_CNT: 0
	.section	.text._ZN7rocprim17ROCPRIM_400000_NS6detail17trampoline_kernelINS0_14default_configENS1_27scan_by_key_config_selectorIidEEZZNS1_16scan_by_key_implILNS1_25lookback_scan_determinismE0ELb0ES3_N6thrust23THRUST_200600_302600_NS6detail15normal_iteratorINS9_10device_ptrIiEEEENSB_INSC_IdEEEESG_dNS9_4plusIvEENS9_8equal_toIvEEdEE10hipError_tPvRmT2_T3_T4_T5_mT6_T7_P12ihipStream_tbENKUlT_T0_E_clISt17integral_constantIbLb1EES11_EEDaSW_SX_EUlSW_E_NS1_11comp_targetILNS1_3genE0ELNS1_11target_archE4294967295ELNS1_3gpuE0ELNS1_3repE0EEENS1_30default_config_static_selectorELNS0_4arch9wavefront6targetE0EEEvT1_,"axG",@progbits,_ZN7rocprim17ROCPRIM_400000_NS6detail17trampoline_kernelINS0_14default_configENS1_27scan_by_key_config_selectorIidEEZZNS1_16scan_by_key_implILNS1_25lookback_scan_determinismE0ELb0ES3_N6thrust23THRUST_200600_302600_NS6detail15normal_iteratorINS9_10device_ptrIiEEEENSB_INSC_IdEEEESG_dNS9_4plusIvEENS9_8equal_toIvEEdEE10hipError_tPvRmT2_T3_T4_T5_mT6_T7_P12ihipStream_tbENKUlT_T0_E_clISt17integral_constantIbLb1EES11_EEDaSW_SX_EUlSW_E_NS1_11comp_targetILNS1_3genE0ELNS1_11target_archE4294967295ELNS1_3gpuE0ELNS1_3repE0EEENS1_30default_config_static_selectorELNS0_4arch9wavefront6targetE0EEEvT1_,comdat
	.protected	_ZN7rocprim17ROCPRIM_400000_NS6detail17trampoline_kernelINS0_14default_configENS1_27scan_by_key_config_selectorIidEEZZNS1_16scan_by_key_implILNS1_25lookback_scan_determinismE0ELb0ES3_N6thrust23THRUST_200600_302600_NS6detail15normal_iteratorINS9_10device_ptrIiEEEENSB_INSC_IdEEEESG_dNS9_4plusIvEENS9_8equal_toIvEEdEE10hipError_tPvRmT2_T3_T4_T5_mT6_T7_P12ihipStream_tbENKUlT_T0_E_clISt17integral_constantIbLb1EES11_EEDaSW_SX_EUlSW_E_NS1_11comp_targetILNS1_3genE0ELNS1_11target_archE4294967295ELNS1_3gpuE0ELNS1_3repE0EEENS1_30default_config_static_selectorELNS0_4arch9wavefront6targetE0EEEvT1_ ; -- Begin function _ZN7rocprim17ROCPRIM_400000_NS6detail17trampoline_kernelINS0_14default_configENS1_27scan_by_key_config_selectorIidEEZZNS1_16scan_by_key_implILNS1_25lookback_scan_determinismE0ELb0ES3_N6thrust23THRUST_200600_302600_NS6detail15normal_iteratorINS9_10device_ptrIiEEEENSB_INSC_IdEEEESG_dNS9_4plusIvEENS9_8equal_toIvEEdEE10hipError_tPvRmT2_T3_T4_T5_mT6_T7_P12ihipStream_tbENKUlT_T0_E_clISt17integral_constantIbLb1EES11_EEDaSW_SX_EUlSW_E_NS1_11comp_targetILNS1_3genE0ELNS1_11target_archE4294967295ELNS1_3gpuE0ELNS1_3repE0EEENS1_30default_config_static_selectorELNS0_4arch9wavefront6targetE0EEEvT1_
	.globl	_ZN7rocprim17ROCPRIM_400000_NS6detail17trampoline_kernelINS0_14default_configENS1_27scan_by_key_config_selectorIidEEZZNS1_16scan_by_key_implILNS1_25lookback_scan_determinismE0ELb0ES3_N6thrust23THRUST_200600_302600_NS6detail15normal_iteratorINS9_10device_ptrIiEEEENSB_INSC_IdEEEESG_dNS9_4plusIvEENS9_8equal_toIvEEdEE10hipError_tPvRmT2_T3_T4_T5_mT6_T7_P12ihipStream_tbENKUlT_T0_E_clISt17integral_constantIbLb1EES11_EEDaSW_SX_EUlSW_E_NS1_11comp_targetILNS1_3genE0ELNS1_11target_archE4294967295ELNS1_3gpuE0ELNS1_3repE0EEENS1_30default_config_static_selectorELNS0_4arch9wavefront6targetE0EEEvT1_
	.p2align	8
	.type	_ZN7rocprim17ROCPRIM_400000_NS6detail17trampoline_kernelINS0_14default_configENS1_27scan_by_key_config_selectorIidEEZZNS1_16scan_by_key_implILNS1_25lookback_scan_determinismE0ELb0ES3_N6thrust23THRUST_200600_302600_NS6detail15normal_iteratorINS9_10device_ptrIiEEEENSB_INSC_IdEEEESG_dNS9_4plusIvEENS9_8equal_toIvEEdEE10hipError_tPvRmT2_T3_T4_T5_mT6_T7_P12ihipStream_tbENKUlT_T0_E_clISt17integral_constantIbLb1EES11_EEDaSW_SX_EUlSW_E_NS1_11comp_targetILNS1_3genE0ELNS1_11target_archE4294967295ELNS1_3gpuE0ELNS1_3repE0EEENS1_30default_config_static_selectorELNS0_4arch9wavefront6targetE0EEEvT1_,@function
_ZN7rocprim17ROCPRIM_400000_NS6detail17trampoline_kernelINS0_14default_configENS1_27scan_by_key_config_selectorIidEEZZNS1_16scan_by_key_implILNS1_25lookback_scan_determinismE0ELb0ES3_N6thrust23THRUST_200600_302600_NS6detail15normal_iteratorINS9_10device_ptrIiEEEENSB_INSC_IdEEEESG_dNS9_4plusIvEENS9_8equal_toIvEEdEE10hipError_tPvRmT2_T3_T4_T5_mT6_T7_P12ihipStream_tbENKUlT_T0_E_clISt17integral_constantIbLb1EES11_EEDaSW_SX_EUlSW_E_NS1_11comp_targetILNS1_3genE0ELNS1_11target_archE4294967295ELNS1_3gpuE0ELNS1_3repE0EEENS1_30default_config_static_selectorELNS0_4arch9wavefront6targetE0EEEvT1_: ; @_ZN7rocprim17ROCPRIM_400000_NS6detail17trampoline_kernelINS0_14default_configENS1_27scan_by_key_config_selectorIidEEZZNS1_16scan_by_key_implILNS1_25lookback_scan_determinismE0ELb0ES3_N6thrust23THRUST_200600_302600_NS6detail15normal_iteratorINS9_10device_ptrIiEEEENSB_INSC_IdEEEESG_dNS9_4plusIvEENS9_8equal_toIvEEdEE10hipError_tPvRmT2_T3_T4_T5_mT6_T7_P12ihipStream_tbENKUlT_T0_E_clISt17integral_constantIbLb1EES11_EEDaSW_SX_EUlSW_E_NS1_11comp_targetILNS1_3genE0ELNS1_11target_archE4294967295ELNS1_3gpuE0ELNS1_3repE0EEENS1_30default_config_static_selectorELNS0_4arch9wavefront6targetE0EEEvT1_
; %bb.0:
	.section	.rodata,"a",@progbits
	.p2align	6, 0x0
	.amdhsa_kernel _ZN7rocprim17ROCPRIM_400000_NS6detail17trampoline_kernelINS0_14default_configENS1_27scan_by_key_config_selectorIidEEZZNS1_16scan_by_key_implILNS1_25lookback_scan_determinismE0ELb0ES3_N6thrust23THRUST_200600_302600_NS6detail15normal_iteratorINS9_10device_ptrIiEEEENSB_INSC_IdEEEESG_dNS9_4plusIvEENS9_8equal_toIvEEdEE10hipError_tPvRmT2_T3_T4_T5_mT6_T7_P12ihipStream_tbENKUlT_T0_E_clISt17integral_constantIbLb1EES11_EEDaSW_SX_EUlSW_E_NS1_11comp_targetILNS1_3genE0ELNS1_11target_archE4294967295ELNS1_3gpuE0ELNS1_3repE0EEENS1_30default_config_static_selectorELNS0_4arch9wavefront6targetE0EEEvT1_
		.amdhsa_group_segment_fixed_size 0
		.amdhsa_private_segment_fixed_size 0
		.amdhsa_kernarg_size 136
		.amdhsa_user_sgpr_count 6
		.amdhsa_user_sgpr_private_segment_buffer 1
		.amdhsa_user_sgpr_dispatch_ptr 0
		.amdhsa_user_sgpr_queue_ptr 0
		.amdhsa_user_sgpr_kernarg_segment_ptr 1
		.amdhsa_user_sgpr_dispatch_id 0
		.amdhsa_user_sgpr_flat_scratch_init 0
		.amdhsa_user_sgpr_private_segment_size 0
		.amdhsa_wavefront_size32 1
		.amdhsa_uses_dynamic_stack 0
		.amdhsa_system_sgpr_private_segment_wavefront_offset 0
		.amdhsa_system_sgpr_workgroup_id_x 1
		.amdhsa_system_sgpr_workgroup_id_y 0
		.amdhsa_system_sgpr_workgroup_id_z 0
		.amdhsa_system_sgpr_workgroup_info 0
		.amdhsa_system_vgpr_workitem_id 0
		.amdhsa_next_free_vgpr 1
		.amdhsa_next_free_sgpr 1
		.amdhsa_reserve_vcc 0
		.amdhsa_reserve_flat_scratch 0
		.amdhsa_float_round_mode_32 0
		.amdhsa_float_round_mode_16_64 0
		.amdhsa_float_denorm_mode_32 3
		.amdhsa_float_denorm_mode_16_64 3
		.amdhsa_dx10_clamp 1
		.amdhsa_ieee_mode 1
		.amdhsa_fp16_overflow 0
		.amdhsa_workgroup_processor_mode 1
		.amdhsa_memory_ordered 1
		.amdhsa_forward_progress 1
		.amdhsa_shared_vgpr_count 0
		.amdhsa_exception_fp_ieee_invalid_op 0
		.amdhsa_exception_fp_denorm_src 0
		.amdhsa_exception_fp_ieee_div_zero 0
		.amdhsa_exception_fp_ieee_overflow 0
		.amdhsa_exception_fp_ieee_underflow 0
		.amdhsa_exception_fp_ieee_inexact 0
		.amdhsa_exception_int_div_zero 0
	.end_amdhsa_kernel
	.section	.text._ZN7rocprim17ROCPRIM_400000_NS6detail17trampoline_kernelINS0_14default_configENS1_27scan_by_key_config_selectorIidEEZZNS1_16scan_by_key_implILNS1_25lookback_scan_determinismE0ELb0ES3_N6thrust23THRUST_200600_302600_NS6detail15normal_iteratorINS9_10device_ptrIiEEEENSB_INSC_IdEEEESG_dNS9_4plusIvEENS9_8equal_toIvEEdEE10hipError_tPvRmT2_T3_T4_T5_mT6_T7_P12ihipStream_tbENKUlT_T0_E_clISt17integral_constantIbLb1EES11_EEDaSW_SX_EUlSW_E_NS1_11comp_targetILNS1_3genE0ELNS1_11target_archE4294967295ELNS1_3gpuE0ELNS1_3repE0EEENS1_30default_config_static_selectorELNS0_4arch9wavefront6targetE0EEEvT1_,"axG",@progbits,_ZN7rocprim17ROCPRIM_400000_NS6detail17trampoline_kernelINS0_14default_configENS1_27scan_by_key_config_selectorIidEEZZNS1_16scan_by_key_implILNS1_25lookback_scan_determinismE0ELb0ES3_N6thrust23THRUST_200600_302600_NS6detail15normal_iteratorINS9_10device_ptrIiEEEENSB_INSC_IdEEEESG_dNS9_4plusIvEENS9_8equal_toIvEEdEE10hipError_tPvRmT2_T3_T4_T5_mT6_T7_P12ihipStream_tbENKUlT_T0_E_clISt17integral_constantIbLb1EES11_EEDaSW_SX_EUlSW_E_NS1_11comp_targetILNS1_3genE0ELNS1_11target_archE4294967295ELNS1_3gpuE0ELNS1_3repE0EEENS1_30default_config_static_selectorELNS0_4arch9wavefront6targetE0EEEvT1_,comdat
.Lfunc_end1096:
	.size	_ZN7rocprim17ROCPRIM_400000_NS6detail17trampoline_kernelINS0_14default_configENS1_27scan_by_key_config_selectorIidEEZZNS1_16scan_by_key_implILNS1_25lookback_scan_determinismE0ELb0ES3_N6thrust23THRUST_200600_302600_NS6detail15normal_iteratorINS9_10device_ptrIiEEEENSB_INSC_IdEEEESG_dNS9_4plusIvEENS9_8equal_toIvEEdEE10hipError_tPvRmT2_T3_T4_T5_mT6_T7_P12ihipStream_tbENKUlT_T0_E_clISt17integral_constantIbLb1EES11_EEDaSW_SX_EUlSW_E_NS1_11comp_targetILNS1_3genE0ELNS1_11target_archE4294967295ELNS1_3gpuE0ELNS1_3repE0EEENS1_30default_config_static_selectorELNS0_4arch9wavefront6targetE0EEEvT1_, .Lfunc_end1096-_ZN7rocprim17ROCPRIM_400000_NS6detail17trampoline_kernelINS0_14default_configENS1_27scan_by_key_config_selectorIidEEZZNS1_16scan_by_key_implILNS1_25lookback_scan_determinismE0ELb0ES3_N6thrust23THRUST_200600_302600_NS6detail15normal_iteratorINS9_10device_ptrIiEEEENSB_INSC_IdEEEESG_dNS9_4plusIvEENS9_8equal_toIvEEdEE10hipError_tPvRmT2_T3_T4_T5_mT6_T7_P12ihipStream_tbENKUlT_T0_E_clISt17integral_constantIbLb1EES11_EEDaSW_SX_EUlSW_E_NS1_11comp_targetILNS1_3genE0ELNS1_11target_archE4294967295ELNS1_3gpuE0ELNS1_3repE0EEENS1_30default_config_static_selectorELNS0_4arch9wavefront6targetE0EEEvT1_
                                        ; -- End function
	.set _ZN7rocprim17ROCPRIM_400000_NS6detail17trampoline_kernelINS0_14default_configENS1_27scan_by_key_config_selectorIidEEZZNS1_16scan_by_key_implILNS1_25lookback_scan_determinismE0ELb0ES3_N6thrust23THRUST_200600_302600_NS6detail15normal_iteratorINS9_10device_ptrIiEEEENSB_INSC_IdEEEESG_dNS9_4plusIvEENS9_8equal_toIvEEdEE10hipError_tPvRmT2_T3_T4_T5_mT6_T7_P12ihipStream_tbENKUlT_T0_E_clISt17integral_constantIbLb1EES11_EEDaSW_SX_EUlSW_E_NS1_11comp_targetILNS1_3genE0ELNS1_11target_archE4294967295ELNS1_3gpuE0ELNS1_3repE0EEENS1_30default_config_static_selectorELNS0_4arch9wavefront6targetE0EEEvT1_.num_vgpr, 0
	.set _ZN7rocprim17ROCPRIM_400000_NS6detail17trampoline_kernelINS0_14default_configENS1_27scan_by_key_config_selectorIidEEZZNS1_16scan_by_key_implILNS1_25lookback_scan_determinismE0ELb0ES3_N6thrust23THRUST_200600_302600_NS6detail15normal_iteratorINS9_10device_ptrIiEEEENSB_INSC_IdEEEESG_dNS9_4plusIvEENS9_8equal_toIvEEdEE10hipError_tPvRmT2_T3_T4_T5_mT6_T7_P12ihipStream_tbENKUlT_T0_E_clISt17integral_constantIbLb1EES11_EEDaSW_SX_EUlSW_E_NS1_11comp_targetILNS1_3genE0ELNS1_11target_archE4294967295ELNS1_3gpuE0ELNS1_3repE0EEENS1_30default_config_static_selectorELNS0_4arch9wavefront6targetE0EEEvT1_.num_agpr, 0
	.set _ZN7rocprim17ROCPRIM_400000_NS6detail17trampoline_kernelINS0_14default_configENS1_27scan_by_key_config_selectorIidEEZZNS1_16scan_by_key_implILNS1_25lookback_scan_determinismE0ELb0ES3_N6thrust23THRUST_200600_302600_NS6detail15normal_iteratorINS9_10device_ptrIiEEEENSB_INSC_IdEEEESG_dNS9_4plusIvEENS9_8equal_toIvEEdEE10hipError_tPvRmT2_T3_T4_T5_mT6_T7_P12ihipStream_tbENKUlT_T0_E_clISt17integral_constantIbLb1EES11_EEDaSW_SX_EUlSW_E_NS1_11comp_targetILNS1_3genE0ELNS1_11target_archE4294967295ELNS1_3gpuE0ELNS1_3repE0EEENS1_30default_config_static_selectorELNS0_4arch9wavefront6targetE0EEEvT1_.numbered_sgpr, 0
	.set _ZN7rocprim17ROCPRIM_400000_NS6detail17trampoline_kernelINS0_14default_configENS1_27scan_by_key_config_selectorIidEEZZNS1_16scan_by_key_implILNS1_25lookback_scan_determinismE0ELb0ES3_N6thrust23THRUST_200600_302600_NS6detail15normal_iteratorINS9_10device_ptrIiEEEENSB_INSC_IdEEEESG_dNS9_4plusIvEENS9_8equal_toIvEEdEE10hipError_tPvRmT2_T3_T4_T5_mT6_T7_P12ihipStream_tbENKUlT_T0_E_clISt17integral_constantIbLb1EES11_EEDaSW_SX_EUlSW_E_NS1_11comp_targetILNS1_3genE0ELNS1_11target_archE4294967295ELNS1_3gpuE0ELNS1_3repE0EEENS1_30default_config_static_selectorELNS0_4arch9wavefront6targetE0EEEvT1_.num_named_barrier, 0
	.set _ZN7rocprim17ROCPRIM_400000_NS6detail17trampoline_kernelINS0_14default_configENS1_27scan_by_key_config_selectorIidEEZZNS1_16scan_by_key_implILNS1_25lookback_scan_determinismE0ELb0ES3_N6thrust23THRUST_200600_302600_NS6detail15normal_iteratorINS9_10device_ptrIiEEEENSB_INSC_IdEEEESG_dNS9_4plusIvEENS9_8equal_toIvEEdEE10hipError_tPvRmT2_T3_T4_T5_mT6_T7_P12ihipStream_tbENKUlT_T0_E_clISt17integral_constantIbLb1EES11_EEDaSW_SX_EUlSW_E_NS1_11comp_targetILNS1_3genE0ELNS1_11target_archE4294967295ELNS1_3gpuE0ELNS1_3repE0EEENS1_30default_config_static_selectorELNS0_4arch9wavefront6targetE0EEEvT1_.private_seg_size, 0
	.set _ZN7rocprim17ROCPRIM_400000_NS6detail17trampoline_kernelINS0_14default_configENS1_27scan_by_key_config_selectorIidEEZZNS1_16scan_by_key_implILNS1_25lookback_scan_determinismE0ELb0ES3_N6thrust23THRUST_200600_302600_NS6detail15normal_iteratorINS9_10device_ptrIiEEEENSB_INSC_IdEEEESG_dNS9_4plusIvEENS9_8equal_toIvEEdEE10hipError_tPvRmT2_T3_T4_T5_mT6_T7_P12ihipStream_tbENKUlT_T0_E_clISt17integral_constantIbLb1EES11_EEDaSW_SX_EUlSW_E_NS1_11comp_targetILNS1_3genE0ELNS1_11target_archE4294967295ELNS1_3gpuE0ELNS1_3repE0EEENS1_30default_config_static_selectorELNS0_4arch9wavefront6targetE0EEEvT1_.uses_vcc, 0
	.set _ZN7rocprim17ROCPRIM_400000_NS6detail17trampoline_kernelINS0_14default_configENS1_27scan_by_key_config_selectorIidEEZZNS1_16scan_by_key_implILNS1_25lookback_scan_determinismE0ELb0ES3_N6thrust23THRUST_200600_302600_NS6detail15normal_iteratorINS9_10device_ptrIiEEEENSB_INSC_IdEEEESG_dNS9_4plusIvEENS9_8equal_toIvEEdEE10hipError_tPvRmT2_T3_T4_T5_mT6_T7_P12ihipStream_tbENKUlT_T0_E_clISt17integral_constantIbLb1EES11_EEDaSW_SX_EUlSW_E_NS1_11comp_targetILNS1_3genE0ELNS1_11target_archE4294967295ELNS1_3gpuE0ELNS1_3repE0EEENS1_30default_config_static_selectorELNS0_4arch9wavefront6targetE0EEEvT1_.uses_flat_scratch, 0
	.set _ZN7rocprim17ROCPRIM_400000_NS6detail17trampoline_kernelINS0_14default_configENS1_27scan_by_key_config_selectorIidEEZZNS1_16scan_by_key_implILNS1_25lookback_scan_determinismE0ELb0ES3_N6thrust23THRUST_200600_302600_NS6detail15normal_iteratorINS9_10device_ptrIiEEEENSB_INSC_IdEEEESG_dNS9_4plusIvEENS9_8equal_toIvEEdEE10hipError_tPvRmT2_T3_T4_T5_mT6_T7_P12ihipStream_tbENKUlT_T0_E_clISt17integral_constantIbLb1EES11_EEDaSW_SX_EUlSW_E_NS1_11comp_targetILNS1_3genE0ELNS1_11target_archE4294967295ELNS1_3gpuE0ELNS1_3repE0EEENS1_30default_config_static_selectorELNS0_4arch9wavefront6targetE0EEEvT1_.has_dyn_sized_stack, 0
	.set _ZN7rocprim17ROCPRIM_400000_NS6detail17trampoline_kernelINS0_14default_configENS1_27scan_by_key_config_selectorIidEEZZNS1_16scan_by_key_implILNS1_25lookback_scan_determinismE0ELb0ES3_N6thrust23THRUST_200600_302600_NS6detail15normal_iteratorINS9_10device_ptrIiEEEENSB_INSC_IdEEEESG_dNS9_4plusIvEENS9_8equal_toIvEEdEE10hipError_tPvRmT2_T3_T4_T5_mT6_T7_P12ihipStream_tbENKUlT_T0_E_clISt17integral_constantIbLb1EES11_EEDaSW_SX_EUlSW_E_NS1_11comp_targetILNS1_3genE0ELNS1_11target_archE4294967295ELNS1_3gpuE0ELNS1_3repE0EEENS1_30default_config_static_selectorELNS0_4arch9wavefront6targetE0EEEvT1_.has_recursion, 0
	.set _ZN7rocprim17ROCPRIM_400000_NS6detail17trampoline_kernelINS0_14default_configENS1_27scan_by_key_config_selectorIidEEZZNS1_16scan_by_key_implILNS1_25lookback_scan_determinismE0ELb0ES3_N6thrust23THRUST_200600_302600_NS6detail15normal_iteratorINS9_10device_ptrIiEEEENSB_INSC_IdEEEESG_dNS9_4plusIvEENS9_8equal_toIvEEdEE10hipError_tPvRmT2_T3_T4_T5_mT6_T7_P12ihipStream_tbENKUlT_T0_E_clISt17integral_constantIbLb1EES11_EEDaSW_SX_EUlSW_E_NS1_11comp_targetILNS1_3genE0ELNS1_11target_archE4294967295ELNS1_3gpuE0ELNS1_3repE0EEENS1_30default_config_static_selectorELNS0_4arch9wavefront6targetE0EEEvT1_.has_indirect_call, 0
	.section	.AMDGPU.csdata,"",@progbits
; Kernel info:
; codeLenInByte = 0
; TotalNumSgprs: 0
; NumVgprs: 0
; ScratchSize: 0
; MemoryBound: 0
; FloatMode: 240
; IeeeMode: 1
; LDSByteSize: 0 bytes/workgroup (compile time only)
; SGPRBlocks: 0
; VGPRBlocks: 0
; NumSGPRsForWavesPerEU: 1
; NumVGPRsForWavesPerEU: 1
; Occupancy: 16
; WaveLimiterHint : 0
; COMPUTE_PGM_RSRC2:SCRATCH_EN: 0
; COMPUTE_PGM_RSRC2:USER_SGPR: 6
; COMPUTE_PGM_RSRC2:TRAP_HANDLER: 0
; COMPUTE_PGM_RSRC2:TGID_X_EN: 1
; COMPUTE_PGM_RSRC2:TGID_Y_EN: 0
; COMPUTE_PGM_RSRC2:TGID_Z_EN: 0
; COMPUTE_PGM_RSRC2:TIDIG_COMP_CNT: 0
	.section	.text._ZN7rocprim17ROCPRIM_400000_NS6detail17trampoline_kernelINS0_14default_configENS1_27scan_by_key_config_selectorIidEEZZNS1_16scan_by_key_implILNS1_25lookback_scan_determinismE0ELb0ES3_N6thrust23THRUST_200600_302600_NS6detail15normal_iteratorINS9_10device_ptrIiEEEENSB_INSC_IdEEEESG_dNS9_4plusIvEENS9_8equal_toIvEEdEE10hipError_tPvRmT2_T3_T4_T5_mT6_T7_P12ihipStream_tbENKUlT_T0_E_clISt17integral_constantIbLb1EES11_EEDaSW_SX_EUlSW_E_NS1_11comp_targetILNS1_3genE10ELNS1_11target_archE1201ELNS1_3gpuE5ELNS1_3repE0EEENS1_30default_config_static_selectorELNS0_4arch9wavefront6targetE0EEEvT1_,"axG",@progbits,_ZN7rocprim17ROCPRIM_400000_NS6detail17trampoline_kernelINS0_14default_configENS1_27scan_by_key_config_selectorIidEEZZNS1_16scan_by_key_implILNS1_25lookback_scan_determinismE0ELb0ES3_N6thrust23THRUST_200600_302600_NS6detail15normal_iteratorINS9_10device_ptrIiEEEENSB_INSC_IdEEEESG_dNS9_4plusIvEENS9_8equal_toIvEEdEE10hipError_tPvRmT2_T3_T4_T5_mT6_T7_P12ihipStream_tbENKUlT_T0_E_clISt17integral_constantIbLb1EES11_EEDaSW_SX_EUlSW_E_NS1_11comp_targetILNS1_3genE10ELNS1_11target_archE1201ELNS1_3gpuE5ELNS1_3repE0EEENS1_30default_config_static_selectorELNS0_4arch9wavefront6targetE0EEEvT1_,comdat
	.protected	_ZN7rocprim17ROCPRIM_400000_NS6detail17trampoline_kernelINS0_14default_configENS1_27scan_by_key_config_selectorIidEEZZNS1_16scan_by_key_implILNS1_25lookback_scan_determinismE0ELb0ES3_N6thrust23THRUST_200600_302600_NS6detail15normal_iteratorINS9_10device_ptrIiEEEENSB_INSC_IdEEEESG_dNS9_4plusIvEENS9_8equal_toIvEEdEE10hipError_tPvRmT2_T3_T4_T5_mT6_T7_P12ihipStream_tbENKUlT_T0_E_clISt17integral_constantIbLb1EES11_EEDaSW_SX_EUlSW_E_NS1_11comp_targetILNS1_3genE10ELNS1_11target_archE1201ELNS1_3gpuE5ELNS1_3repE0EEENS1_30default_config_static_selectorELNS0_4arch9wavefront6targetE0EEEvT1_ ; -- Begin function _ZN7rocprim17ROCPRIM_400000_NS6detail17trampoline_kernelINS0_14default_configENS1_27scan_by_key_config_selectorIidEEZZNS1_16scan_by_key_implILNS1_25lookback_scan_determinismE0ELb0ES3_N6thrust23THRUST_200600_302600_NS6detail15normal_iteratorINS9_10device_ptrIiEEEENSB_INSC_IdEEEESG_dNS9_4plusIvEENS9_8equal_toIvEEdEE10hipError_tPvRmT2_T3_T4_T5_mT6_T7_P12ihipStream_tbENKUlT_T0_E_clISt17integral_constantIbLb1EES11_EEDaSW_SX_EUlSW_E_NS1_11comp_targetILNS1_3genE10ELNS1_11target_archE1201ELNS1_3gpuE5ELNS1_3repE0EEENS1_30default_config_static_selectorELNS0_4arch9wavefront6targetE0EEEvT1_
	.globl	_ZN7rocprim17ROCPRIM_400000_NS6detail17trampoline_kernelINS0_14default_configENS1_27scan_by_key_config_selectorIidEEZZNS1_16scan_by_key_implILNS1_25lookback_scan_determinismE0ELb0ES3_N6thrust23THRUST_200600_302600_NS6detail15normal_iteratorINS9_10device_ptrIiEEEENSB_INSC_IdEEEESG_dNS9_4plusIvEENS9_8equal_toIvEEdEE10hipError_tPvRmT2_T3_T4_T5_mT6_T7_P12ihipStream_tbENKUlT_T0_E_clISt17integral_constantIbLb1EES11_EEDaSW_SX_EUlSW_E_NS1_11comp_targetILNS1_3genE10ELNS1_11target_archE1201ELNS1_3gpuE5ELNS1_3repE0EEENS1_30default_config_static_selectorELNS0_4arch9wavefront6targetE0EEEvT1_
	.p2align	8
	.type	_ZN7rocprim17ROCPRIM_400000_NS6detail17trampoline_kernelINS0_14default_configENS1_27scan_by_key_config_selectorIidEEZZNS1_16scan_by_key_implILNS1_25lookback_scan_determinismE0ELb0ES3_N6thrust23THRUST_200600_302600_NS6detail15normal_iteratorINS9_10device_ptrIiEEEENSB_INSC_IdEEEESG_dNS9_4plusIvEENS9_8equal_toIvEEdEE10hipError_tPvRmT2_T3_T4_T5_mT6_T7_P12ihipStream_tbENKUlT_T0_E_clISt17integral_constantIbLb1EES11_EEDaSW_SX_EUlSW_E_NS1_11comp_targetILNS1_3genE10ELNS1_11target_archE1201ELNS1_3gpuE5ELNS1_3repE0EEENS1_30default_config_static_selectorELNS0_4arch9wavefront6targetE0EEEvT1_,@function
_ZN7rocprim17ROCPRIM_400000_NS6detail17trampoline_kernelINS0_14default_configENS1_27scan_by_key_config_selectorIidEEZZNS1_16scan_by_key_implILNS1_25lookback_scan_determinismE0ELb0ES3_N6thrust23THRUST_200600_302600_NS6detail15normal_iteratorINS9_10device_ptrIiEEEENSB_INSC_IdEEEESG_dNS9_4plusIvEENS9_8equal_toIvEEdEE10hipError_tPvRmT2_T3_T4_T5_mT6_T7_P12ihipStream_tbENKUlT_T0_E_clISt17integral_constantIbLb1EES11_EEDaSW_SX_EUlSW_E_NS1_11comp_targetILNS1_3genE10ELNS1_11target_archE1201ELNS1_3gpuE5ELNS1_3repE0EEENS1_30default_config_static_selectorELNS0_4arch9wavefront6targetE0EEEvT1_: ; @_ZN7rocprim17ROCPRIM_400000_NS6detail17trampoline_kernelINS0_14default_configENS1_27scan_by_key_config_selectorIidEEZZNS1_16scan_by_key_implILNS1_25lookback_scan_determinismE0ELb0ES3_N6thrust23THRUST_200600_302600_NS6detail15normal_iteratorINS9_10device_ptrIiEEEENSB_INSC_IdEEEESG_dNS9_4plusIvEENS9_8equal_toIvEEdEE10hipError_tPvRmT2_T3_T4_T5_mT6_T7_P12ihipStream_tbENKUlT_T0_E_clISt17integral_constantIbLb1EES11_EEDaSW_SX_EUlSW_E_NS1_11comp_targetILNS1_3genE10ELNS1_11target_archE1201ELNS1_3gpuE5ELNS1_3repE0EEENS1_30default_config_static_selectorELNS0_4arch9wavefront6targetE0EEEvT1_
; %bb.0:
	.section	.rodata,"a",@progbits
	.p2align	6, 0x0
	.amdhsa_kernel _ZN7rocprim17ROCPRIM_400000_NS6detail17trampoline_kernelINS0_14default_configENS1_27scan_by_key_config_selectorIidEEZZNS1_16scan_by_key_implILNS1_25lookback_scan_determinismE0ELb0ES3_N6thrust23THRUST_200600_302600_NS6detail15normal_iteratorINS9_10device_ptrIiEEEENSB_INSC_IdEEEESG_dNS9_4plusIvEENS9_8equal_toIvEEdEE10hipError_tPvRmT2_T3_T4_T5_mT6_T7_P12ihipStream_tbENKUlT_T0_E_clISt17integral_constantIbLb1EES11_EEDaSW_SX_EUlSW_E_NS1_11comp_targetILNS1_3genE10ELNS1_11target_archE1201ELNS1_3gpuE5ELNS1_3repE0EEENS1_30default_config_static_selectorELNS0_4arch9wavefront6targetE0EEEvT1_
		.amdhsa_group_segment_fixed_size 0
		.amdhsa_private_segment_fixed_size 0
		.amdhsa_kernarg_size 136
		.amdhsa_user_sgpr_count 6
		.amdhsa_user_sgpr_private_segment_buffer 1
		.amdhsa_user_sgpr_dispatch_ptr 0
		.amdhsa_user_sgpr_queue_ptr 0
		.amdhsa_user_sgpr_kernarg_segment_ptr 1
		.amdhsa_user_sgpr_dispatch_id 0
		.amdhsa_user_sgpr_flat_scratch_init 0
		.amdhsa_user_sgpr_private_segment_size 0
		.amdhsa_wavefront_size32 1
		.amdhsa_uses_dynamic_stack 0
		.amdhsa_system_sgpr_private_segment_wavefront_offset 0
		.amdhsa_system_sgpr_workgroup_id_x 1
		.amdhsa_system_sgpr_workgroup_id_y 0
		.amdhsa_system_sgpr_workgroup_id_z 0
		.amdhsa_system_sgpr_workgroup_info 0
		.amdhsa_system_vgpr_workitem_id 0
		.amdhsa_next_free_vgpr 1
		.amdhsa_next_free_sgpr 1
		.amdhsa_reserve_vcc 0
		.amdhsa_reserve_flat_scratch 0
		.amdhsa_float_round_mode_32 0
		.amdhsa_float_round_mode_16_64 0
		.amdhsa_float_denorm_mode_32 3
		.amdhsa_float_denorm_mode_16_64 3
		.amdhsa_dx10_clamp 1
		.amdhsa_ieee_mode 1
		.amdhsa_fp16_overflow 0
		.amdhsa_workgroup_processor_mode 1
		.amdhsa_memory_ordered 1
		.amdhsa_forward_progress 1
		.amdhsa_shared_vgpr_count 0
		.amdhsa_exception_fp_ieee_invalid_op 0
		.amdhsa_exception_fp_denorm_src 0
		.amdhsa_exception_fp_ieee_div_zero 0
		.amdhsa_exception_fp_ieee_overflow 0
		.amdhsa_exception_fp_ieee_underflow 0
		.amdhsa_exception_fp_ieee_inexact 0
		.amdhsa_exception_int_div_zero 0
	.end_amdhsa_kernel
	.section	.text._ZN7rocprim17ROCPRIM_400000_NS6detail17trampoline_kernelINS0_14default_configENS1_27scan_by_key_config_selectorIidEEZZNS1_16scan_by_key_implILNS1_25lookback_scan_determinismE0ELb0ES3_N6thrust23THRUST_200600_302600_NS6detail15normal_iteratorINS9_10device_ptrIiEEEENSB_INSC_IdEEEESG_dNS9_4plusIvEENS9_8equal_toIvEEdEE10hipError_tPvRmT2_T3_T4_T5_mT6_T7_P12ihipStream_tbENKUlT_T0_E_clISt17integral_constantIbLb1EES11_EEDaSW_SX_EUlSW_E_NS1_11comp_targetILNS1_3genE10ELNS1_11target_archE1201ELNS1_3gpuE5ELNS1_3repE0EEENS1_30default_config_static_selectorELNS0_4arch9wavefront6targetE0EEEvT1_,"axG",@progbits,_ZN7rocprim17ROCPRIM_400000_NS6detail17trampoline_kernelINS0_14default_configENS1_27scan_by_key_config_selectorIidEEZZNS1_16scan_by_key_implILNS1_25lookback_scan_determinismE0ELb0ES3_N6thrust23THRUST_200600_302600_NS6detail15normal_iteratorINS9_10device_ptrIiEEEENSB_INSC_IdEEEESG_dNS9_4plusIvEENS9_8equal_toIvEEdEE10hipError_tPvRmT2_T3_T4_T5_mT6_T7_P12ihipStream_tbENKUlT_T0_E_clISt17integral_constantIbLb1EES11_EEDaSW_SX_EUlSW_E_NS1_11comp_targetILNS1_3genE10ELNS1_11target_archE1201ELNS1_3gpuE5ELNS1_3repE0EEENS1_30default_config_static_selectorELNS0_4arch9wavefront6targetE0EEEvT1_,comdat
.Lfunc_end1097:
	.size	_ZN7rocprim17ROCPRIM_400000_NS6detail17trampoline_kernelINS0_14default_configENS1_27scan_by_key_config_selectorIidEEZZNS1_16scan_by_key_implILNS1_25lookback_scan_determinismE0ELb0ES3_N6thrust23THRUST_200600_302600_NS6detail15normal_iteratorINS9_10device_ptrIiEEEENSB_INSC_IdEEEESG_dNS9_4plusIvEENS9_8equal_toIvEEdEE10hipError_tPvRmT2_T3_T4_T5_mT6_T7_P12ihipStream_tbENKUlT_T0_E_clISt17integral_constantIbLb1EES11_EEDaSW_SX_EUlSW_E_NS1_11comp_targetILNS1_3genE10ELNS1_11target_archE1201ELNS1_3gpuE5ELNS1_3repE0EEENS1_30default_config_static_selectorELNS0_4arch9wavefront6targetE0EEEvT1_, .Lfunc_end1097-_ZN7rocprim17ROCPRIM_400000_NS6detail17trampoline_kernelINS0_14default_configENS1_27scan_by_key_config_selectorIidEEZZNS1_16scan_by_key_implILNS1_25lookback_scan_determinismE0ELb0ES3_N6thrust23THRUST_200600_302600_NS6detail15normal_iteratorINS9_10device_ptrIiEEEENSB_INSC_IdEEEESG_dNS9_4plusIvEENS9_8equal_toIvEEdEE10hipError_tPvRmT2_T3_T4_T5_mT6_T7_P12ihipStream_tbENKUlT_T0_E_clISt17integral_constantIbLb1EES11_EEDaSW_SX_EUlSW_E_NS1_11comp_targetILNS1_3genE10ELNS1_11target_archE1201ELNS1_3gpuE5ELNS1_3repE0EEENS1_30default_config_static_selectorELNS0_4arch9wavefront6targetE0EEEvT1_
                                        ; -- End function
	.set _ZN7rocprim17ROCPRIM_400000_NS6detail17trampoline_kernelINS0_14default_configENS1_27scan_by_key_config_selectorIidEEZZNS1_16scan_by_key_implILNS1_25lookback_scan_determinismE0ELb0ES3_N6thrust23THRUST_200600_302600_NS6detail15normal_iteratorINS9_10device_ptrIiEEEENSB_INSC_IdEEEESG_dNS9_4plusIvEENS9_8equal_toIvEEdEE10hipError_tPvRmT2_T3_T4_T5_mT6_T7_P12ihipStream_tbENKUlT_T0_E_clISt17integral_constantIbLb1EES11_EEDaSW_SX_EUlSW_E_NS1_11comp_targetILNS1_3genE10ELNS1_11target_archE1201ELNS1_3gpuE5ELNS1_3repE0EEENS1_30default_config_static_selectorELNS0_4arch9wavefront6targetE0EEEvT1_.num_vgpr, 0
	.set _ZN7rocprim17ROCPRIM_400000_NS6detail17trampoline_kernelINS0_14default_configENS1_27scan_by_key_config_selectorIidEEZZNS1_16scan_by_key_implILNS1_25lookback_scan_determinismE0ELb0ES3_N6thrust23THRUST_200600_302600_NS6detail15normal_iteratorINS9_10device_ptrIiEEEENSB_INSC_IdEEEESG_dNS9_4plusIvEENS9_8equal_toIvEEdEE10hipError_tPvRmT2_T3_T4_T5_mT6_T7_P12ihipStream_tbENKUlT_T0_E_clISt17integral_constantIbLb1EES11_EEDaSW_SX_EUlSW_E_NS1_11comp_targetILNS1_3genE10ELNS1_11target_archE1201ELNS1_3gpuE5ELNS1_3repE0EEENS1_30default_config_static_selectorELNS0_4arch9wavefront6targetE0EEEvT1_.num_agpr, 0
	.set _ZN7rocprim17ROCPRIM_400000_NS6detail17trampoline_kernelINS0_14default_configENS1_27scan_by_key_config_selectorIidEEZZNS1_16scan_by_key_implILNS1_25lookback_scan_determinismE0ELb0ES3_N6thrust23THRUST_200600_302600_NS6detail15normal_iteratorINS9_10device_ptrIiEEEENSB_INSC_IdEEEESG_dNS9_4plusIvEENS9_8equal_toIvEEdEE10hipError_tPvRmT2_T3_T4_T5_mT6_T7_P12ihipStream_tbENKUlT_T0_E_clISt17integral_constantIbLb1EES11_EEDaSW_SX_EUlSW_E_NS1_11comp_targetILNS1_3genE10ELNS1_11target_archE1201ELNS1_3gpuE5ELNS1_3repE0EEENS1_30default_config_static_selectorELNS0_4arch9wavefront6targetE0EEEvT1_.numbered_sgpr, 0
	.set _ZN7rocprim17ROCPRIM_400000_NS6detail17trampoline_kernelINS0_14default_configENS1_27scan_by_key_config_selectorIidEEZZNS1_16scan_by_key_implILNS1_25lookback_scan_determinismE0ELb0ES3_N6thrust23THRUST_200600_302600_NS6detail15normal_iteratorINS9_10device_ptrIiEEEENSB_INSC_IdEEEESG_dNS9_4plusIvEENS9_8equal_toIvEEdEE10hipError_tPvRmT2_T3_T4_T5_mT6_T7_P12ihipStream_tbENKUlT_T0_E_clISt17integral_constantIbLb1EES11_EEDaSW_SX_EUlSW_E_NS1_11comp_targetILNS1_3genE10ELNS1_11target_archE1201ELNS1_3gpuE5ELNS1_3repE0EEENS1_30default_config_static_selectorELNS0_4arch9wavefront6targetE0EEEvT1_.num_named_barrier, 0
	.set _ZN7rocprim17ROCPRIM_400000_NS6detail17trampoline_kernelINS0_14default_configENS1_27scan_by_key_config_selectorIidEEZZNS1_16scan_by_key_implILNS1_25lookback_scan_determinismE0ELb0ES3_N6thrust23THRUST_200600_302600_NS6detail15normal_iteratorINS9_10device_ptrIiEEEENSB_INSC_IdEEEESG_dNS9_4plusIvEENS9_8equal_toIvEEdEE10hipError_tPvRmT2_T3_T4_T5_mT6_T7_P12ihipStream_tbENKUlT_T0_E_clISt17integral_constantIbLb1EES11_EEDaSW_SX_EUlSW_E_NS1_11comp_targetILNS1_3genE10ELNS1_11target_archE1201ELNS1_3gpuE5ELNS1_3repE0EEENS1_30default_config_static_selectorELNS0_4arch9wavefront6targetE0EEEvT1_.private_seg_size, 0
	.set _ZN7rocprim17ROCPRIM_400000_NS6detail17trampoline_kernelINS0_14default_configENS1_27scan_by_key_config_selectorIidEEZZNS1_16scan_by_key_implILNS1_25lookback_scan_determinismE0ELb0ES3_N6thrust23THRUST_200600_302600_NS6detail15normal_iteratorINS9_10device_ptrIiEEEENSB_INSC_IdEEEESG_dNS9_4plusIvEENS9_8equal_toIvEEdEE10hipError_tPvRmT2_T3_T4_T5_mT6_T7_P12ihipStream_tbENKUlT_T0_E_clISt17integral_constantIbLb1EES11_EEDaSW_SX_EUlSW_E_NS1_11comp_targetILNS1_3genE10ELNS1_11target_archE1201ELNS1_3gpuE5ELNS1_3repE0EEENS1_30default_config_static_selectorELNS0_4arch9wavefront6targetE0EEEvT1_.uses_vcc, 0
	.set _ZN7rocprim17ROCPRIM_400000_NS6detail17trampoline_kernelINS0_14default_configENS1_27scan_by_key_config_selectorIidEEZZNS1_16scan_by_key_implILNS1_25lookback_scan_determinismE0ELb0ES3_N6thrust23THRUST_200600_302600_NS6detail15normal_iteratorINS9_10device_ptrIiEEEENSB_INSC_IdEEEESG_dNS9_4plusIvEENS9_8equal_toIvEEdEE10hipError_tPvRmT2_T3_T4_T5_mT6_T7_P12ihipStream_tbENKUlT_T0_E_clISt17integral_constantIbLb1EES11_EEDaSW_SX_EUlSW_E_NS1_11comp_targetILNS1_3genE10ELNS1_11target_archE1201ELNS1_3gpuE5ELNS1_3repE0EEENS1_30default_config_static_selectorELNS0_4arch9wavefront6targetE0EEEvT1_.uses_flat_scratch, 0
	.set _ZN7rocprim17ROCPRIM_400000_NS6detail17trampoline_kernelINS0_14default_configENS1_27scan_by_key_config_selectorIidEEZZNS1_16scan_by_key_implILNS1_25lookback_scan_determinismE0ELb0ES3_N6thrust23THRUST_200600_302600_NS6detail15normal_iteratorINS9_10device_ptrIiEEEENSB_INSC_IdEEEESG_dNS9_4plusIvEENS9_8equal_toIvEEdEE10hipError_tPvRmT2_T3_T4_T5_mT6_T7_P12ihipStream_tbENKUlT_T0_E_clISt17integral_constantIbLb1EES11_EEDaSW_SX_EUlSW_E_NS1_11comp_targetILNS1_3genE10ELNS1_11target_archE1201ELNS1_3gpuE5ELNS1_3repE0EEENS1_30default_config_static_selectorELNS0_4arch9wavefront6targetE0EEEvT1_.has_dyn_sized_stack, 0
	.set _ZN7rocprim17ROCPRIM_400000_NS6detail17trampoline_kernelINS0_14default_configENS1_27scan_by_key_config_selectorIidEEZZNS1_16scan_by_key_implILNS1_25lookback_scan_determinismE0ELb0ES3_N6thrust23THRUST_200600_302600_NS6detail15normal_iteratorINS9_10device_ptrIiEEEENSB_INSC_IdEEEESG_dNS9_4plusIvEENS9_8equal_toIvEEdEE10hipError_tPvRmT2_T3_T4_T5_mT6_T7_P12ihipStream_tbENKUlT_T0_E_clISt17integral_constantIbLb1EES11_EEDaSW_SX_EUlSW_E_NS1_11comp_targetILNS1_3genE10ELNS1_11target_archE1201ELNS1_3gpuE5ELNS1_3repE0EEENS1_30default_config_static_selectorELNS0_4arch9wavefront6targetE0EEEvT1_.has_recursion, 0
	.set _ZN7rocprim17ROCPRIM_400000_NS6detail17trampoline_kernelINS0_14default_configENS1_27scan_by_key_config_selectorIidEEZZNS1_16scan_by_key_implILNS1_25lookback_scan_determinismE0ELb0ES3_N6thrust23THRUST_200600_302600_NS6detail15normal_iteratorINS9_10device_ptrIiEEEENSB_INSC_IdEEEESG_dNS9_4plusIvEENS9_8equal_toIvEEdEE10hipError_tPvRmT2_T3_T4_T5_mT6_T7_P12ihipStream_tbENKUlT_T0_E_clISt17integral_constantIbLb1EES11_EEDaSW_SX_EUlSW_E_NS1_11comp_targetILNS1_3genE10ELNS1_11target_archE1201ELNS1_3gpuE5ELNS1_3repE0EEENS1_30default_config_static_selectorELNS0_4arch9wavefront6targetE0EEEvT1_.has_indirect_call, 0
	.section	.AMDGPU.csdata,"",@progbits
; Kernel info:
; codeLenInByte = 0
; TotalNumSgprs: 0
; NumVgprs: 0
; ScratchSize: 0
; MemoryBound: 0
; FloatMode: 240
; IeeeMode: 1
; LDSByteSize: 0 bytes/workgroup (compile time only)
; SGPRBlocks: 0
; VGPRBlocks: 0
; NumSGPRsForWavesPerEU: 1
; NumVGPRsForWavesPerEU: 1
; Occupancy: 16
; WaveLimiterHint : 0
; COMPUTE_PGM_RSRC2:SCRATCH_EN: 0
; COMPUTE_PGM_RSRC2:USER_SGPR: 6
; COMPUTE_PGM_RSRC2:TRAP_HANDLER: 0
; COMPUTE_PGM_RSRC2:TGID_X_EN: 1
; COMPUTE_PGM_RSRC2:TGID_Y_EN: 0
; COMPUTE_PGM_RSRC2:TGID_Z_EN: 0
; COMPUTE_PGM_RSRC2:TIDIG_COMP_CNT: 0
	.section	.text._ZN7rocprim17ROCPRIM_400000_NS6detail17trampoline_kernelINS0_14default_configENS1_27scan_by_key_config_selectorIidEEZZNS1_16scan_by_key_implILNS1_25lookback_scan_determinismE0ELb0ES3_N6thrust23THRUST_200600_302600_NS6detail15normal_iteratorINS9_10device_ptrIiEEEENSB_INSC_IdEEEESG_dNS9_4plusIvEENS9_8equal_toIvEEdEE10hipError_tPvRmT2_T3_T4_T5_mT6_T7_P12ihipStream_tbENKUlT_T0_E_clISt17integral_constantIbLb1EES11_EEDaSW_SX_EUlSW_E_NS1_11comp_targetILNS1_3genE5ELNS1_11target_archE942ELNS1_3gpuE9ELNS1_3repE0EEENS1_30default_config_static_selectorELNS0_4arch9wavefront6targetE0EEEvT1_,"axG",@progbits,_ZN7rocprim17ROCPRIM_400000_NS6detail17trampoline_kernelINS0_14default_configENS1_27scan_by_key_config_selectorIidEEZZNS1_16scan_by_key_implILNS1_25lookback_scan_determinismE0ELb0ES3_N6thrust23THRUST_200600_302600_NS6detail15normal_iteratorINS9_10device_ptrIiEEEENSB_INSC_IdEEEESG_dNS9_4plusIvEENS9_8equal_toIvEEdEE10hipError_tPvRmT2_T3_T4_T5_mT6_T7_P12ihipStream_tbENKUlT_T0_E_clISt17integral_constantIbLb1EES11_EEDaSW_SX_EUlSW_E_NS1_11comp_targetILNS1_3genE5ELNS1_11target_archE942ELNS1_3gpuE9ELNS1_3repE0EEENS1_30default_config_static_selectorELNS0_4arch9wavefront6targetE0EEEvT1_,comdat
	.protected	_ZN7rocprim17ROCPRIM_400000_NS6detail17trampoline_kernelINS0_14default_configENS1_27scan_by_key_config_selectorIidEEZZNS1_16scan_by_key_implILNS1_25lookback_scan_determinismE0ELb0ES3_N6thrust23THRUST_200600_302600_NS6detail15normal_iteratorINS9_10device_ptrIiEEEENSB_INSC_IdEEEESG_dNS9_4plusIvEENS9_8equal_toIvEEdEE10hipError_tPvRmT2_T3_T4_T5_mT6_T7_P12ihipStream_tbENKUlT_T0_E_clISt17integral_constantIbLb1EES11_EEDaSW_SX_EUlSW_E_NS1_11comp_targetILNS1_3genE5ELNS1_11target_archE942ELNS1_3gpuE9ELNS1_3repE0EEENS1_30default_config_static_selectorELNS0_4arch9wavefront6targetE0EEEvT1_ ; -- Begin function _ZN7rocprim17ROCPRIM_400000_NS6detail17trampoline_kernelINS0_14default_configENS1_27scan_by_key_config_selectorIidEEZZNS1_16scan_by_key_implILNS1_25lookback_scan_determinismE0ELb0ES3_N6thrust23THRUST_200600_302600_NS6detail15normal_iteratorINS9_10device_ptrIiEEEENSB_INSC_IdEEEESG_dNS9_4plusIvEENS9_8equal_toIvEEdEE10hipError_tPvRmT2_T3_T4_T5_mT6_T7_P12ihipStream_tbENKUlT_T0_E_clISt17integral_constantIbLb1EES11_EEDaSW_SX_EUlSW_E_NS1_11comp_targetILNS1_3genE5ELNS1_11target_archE942ELNS1_3gpuE9ELNS1_3repE0EEENS1_30default_config_static_selectorELNS0_4arch9wavefront6targetE0EEEvT1_
	.globl	_ZN7rocprim17ROCPRIM_400000_NS6detail17trampoline_kernelINS0_14default_configENS1_27scan_by_key_config_selectorIidEEZZNS1_16scan_by_key_implILNS1_25lookback_scan_determinismE0ELb0ES3_N6thrust23THRUST_200600_302600_NS6detail15normal_iteratorINS9_10device_ptrIiEEEENSB_INSC_IdEEEESG_dNS9_4plusIvEENS9_8equal_toIvEEdEE10hipError_tPvRmT2_T3_T4_T5_mT6_T7_P12ihipStream_tbENKUlT_T0_E_clISt17integral_constantIbLb1EES11_EEDaSW_SX_EUlSW_E_NS1_11comp_targetILNS1_3genE5ELNS1_11target_archE942ELNS1_3gpuE9ELNS1_3repE0EEENS1_30default_config_static_selectorELNS0_4arch9wavefront6targetE0EEEvT1_
	.p2align	8
	.type	_ZN7rocprim17ROCPRIM_400000_NS6detail17trampoline_kernelINS0_14default_configENS1_27scan_by_key_config_selectorIidEEZZNS1_16scan_by_key_implILNS1_25lookback_scan_determinismE0ELb0ES3_N6thrust23THRUST_200600_302600_NS6detail15normal_iteratorINS9_10device_ptrIiEEEENSB_INSC_IdEEEESG_dNS9_4plusIvEENS9_8equal_toIvEEdEE10hipError_tPvRmT2_T3_T4_T5_mT6_T7_P12ihipStream_tbENKUlT_T0_E_clISt17integral_constantIbLb1EES11_EEDaSW_SX_EUlSW_E_NS1_11comp_targetILNS1_3genE5ELNS1_11target_archE942ELNS1_3gpuE9ELNS1_3repE0EEENS1_30default_config_static_selectorELNS0_4arch9wavefront6targetE0EEEvT1_,@function
_ZN7rocprim17ROCPRIM_400000_NS6detail17trampoline_kernelINS0_14default_configENS1_27scan_by_key_config_selectorIidEEZZNS1_16scan_by_key_implILNS1_25lookback_scan_determinismE0ELb0ES3_N6thrust23THRUST_200600_302600_NS6detail15normal_iteratorINS9_10device_ptrIiEEEENSB_INSC_IdEEEESG_dNS9_4plusIvEENS9_8equal_toIvEEdEE10hipError_tPvRmT2_T3_T4_T5_mT6_T7_P12ihipStream_tbENKUlT_T0_E_clISt17integral_constantIbLb1EES11_EEDaSW_SX_EUlSW_E_NS1_11comp_targetILNS1_3genE5ELNS1_11target_archE942ELNS1_3gpuE9ELNS1_3repE0EEENS1_30default_config_static_selectorELNS0_4arch9wavefront6targetE0EEEvT1_: ; @_ZN7rocprim17ROCPRIM_400000_NS6detail17trampoline_kernelINS0_14default_configENS1_27scan_by_key_config_selectorIidEEZZNS1_16scan_by_key_implILNS1_25lookback_scan_determinismE0ELb0ES3_N6thrust23THRUST_200600_302600_NS6detail15normal_iteratorINS9_10device_ptrIiEEEENSB_INSC_IdEEEESG_dNS9_4plusIvEENS9_8equal_toIvEEdEE10hipError_tPvRmT2_T3_T4_T5_mT6_T7_P12ihipStream_tbENKUlT_T0_E_clISt17integral_constantIbLb1EES11_EEDaSW_SX_EUlSW_E_NS1_11comp_targetILNS1_3genE5ELNS1_11target_archE942ELNS1_3gpuE9ELNS1_3repE0EEENS1_30default_config_static_selectorELNS0_4arch9wavefront6targetE0EEEvT1_
; %bb.0:
	.section	.rodata,"a",@progbits
	.p2align	6, 0x0
	.amdhsa_kernel _ZN7rocprim17ROCPRIM_400000_NS6detail17trampoline_kernelINS0_14default_configENS1_27scan_by_key_config_selectorIidEEZZNS1_16scan_by_key_implILNS1_25lookback_scan_determinismE0ELb0ES3_N6thrust23THRUST_200600_302600_NS6detail15normal_iteratorINS9_10device_ptrIiEEEENSB_INSC_IdEEEESG_dNS9_4plusIvEENS9_8equal_toIvEEdEE10hipError_tPvRmT2_T3_T4_T5_mT6_T7_P12ihipStream_tbENKUlT_T0_E_clISt17integral_constantIbLb1EES11_EEDaSW_SX_EUlSW_E_NS1_11comp_targetILNS1_3genE5ELNS1_11target_archE942ELNS1_3gpuE9ELNS1_3repE0EEENS1_30default_config_static_selectorELNS0_4arch9wavefront6targetE0EEEvT1_
		.amdhsa_group_segment_fixed_size 0
		.amdhsa_private_segment_fixed_size 0
		.amdhsa_kernarg_size 136
		.amdhsa_user_sgpr_count 6
		.amdhsa_user_sgpr_private_segment_buffer 1
		.amdhsa_user_sgpr_dispatch_ptr 0
		.amdhsa_user_sgpr_queue_ptr 0
		.amdhsa_user_sgpr_kernarg_segment_ptr 1
		.amdhsa_user_sgpr_dispatch_id 0
		.amdhsa_user_sgpr_flat_scratch_init 0
		.amdhsa_user_sgpr_private_segment_size 0
		.amdhsa_wavefront_size32 1
		.amdhsa_uses_dynamic_stack 0
		.amdhsa_system_sgpr_private_segment_wavefront_offset 0
		.amdhsa_system_sgpr_workgroup_id_x 1
		.amdhsa_system_sgpr_workgroup_id_y 0
		.amdhsa_system_sgpr_workgroup_id_z 0
		.amdhsa_system_sgpr_workgroup_info 0
		.amdhsa_system_vgpr_workitem_id 0
		.amdhsa_next_free_vgpr 1
		.amdhsa_next_free_sgpr 1
		.amdhsa_reserve_vcc 0
		.amdhsa_reserve_flat_scratch 0
		.amdhsa_float_round_mode_32 0
		.amdhsa_float_round_mode_16_64 0
		.amdhsa_float_denorm_mode_32 3
		.amdhsa_float_denorm_mode_16_64 3
		.amdhsa_dx10_clamp 1
		.amdhsa_ieee_mode 1
		.amdhsa_fp16_overflow 0
		.amdhsa_workgroup_processor_mode 1
		.amdhsa_memory_ordered 1
		.amdhsa_forward_progress 1
		.amdhsa_shared_vgpr_count 0
		.amdhsa_exception_fp_ieee_invalid_op 0
		.amdhsa_exception_fp_denorm_src 0
		.amdhsa_exception_fp_ieee_div_zero 0
		.amdhsa_exception_fp_ieee_overflow 0
		.amdhsa_exception_fp_ieee_underflow 0
		.amdhsa_exception_fp_ieee_inexact 0
		.amdhsa_exception_int_div_zero 0
	.end_amdhsa_kernel
	.section	.text._ZN7rocprim17ROCPRIM_400000_NS6detail17trampoline_kernelINS0_14default_configENS1_27scan_by_key_config_selectorIidEEZZNS1_16scan_by_key_implILNS1_25lookback_scan_determinismE0ELb0ES3_N6thrust23THRUST_200600_302600_NS6detail15normal_iteratorINS9_10device_ptrIiEEEENSB_INSC_IdEEEESG_dNS9_4plusIvEENS9_8equal_toIvEEdEE10hipError_tPvRmT2_T3_T4_T5_mT6_T7_P12ihipStream_tbENKUlT_T0_E_clISt17integral_constantIbLb1EES11_EEDaSW_SX_EUlSW_E_NS1_11comp_targetILNS1_3genE5ELNS1_11target_archE942ELNS1_3gpuE9ELNS1_3repE0EEENS1_30default_config_static_selectorELNS0_4arch9wavefront6targetE0EEEvT1_,"axG",@progbits,_ZN7rocprim17ROCPRIM_400000_NS6detail17trampoline_kernelINS0_14default_configENS1_27scan_by_key_config_selectorIidEEZZNS1_16scan_by_key_implILNS1_25lookback_scan_determinismE0ELb0ES3_N6thrust23THRUST_200600_302600_NS6detail15normal_iteratorINS9_10device_ptrIiEEEENSB_INSC_IdEEEESG_dNS9_4plusIvEENS9_8equal_toIvEEdEE10hipError_tPvRmT2_T3_T4_T5_mT6_T7_P12ihipStream_tbENKUlT_T0_E_clISt17integral_constantIbLb1EES11_EEDaSW_SX_EUlSW_E_NS1_11comp_targetILNS1_3genE5ELNS1_11target_archE942ELNS1_3gpuE9ELNS1_3repE0EEENS1_30default_config_static_selectorELNS0_4arch9wavefront6targetE0EEEvT1_,comdat
.Lfunc_end1098:
	.size	_ZN7rocprim17ROCPRIM_400000_NS6detail17trampoline_kernelINS0_14default_configENS1_27scan_by_key_config_selectorIidEEZZNS1_16scan_by_key_implILNS1_25lookback_scan_determinismE0ELb0ES3_N6thrust23THRUST_200600_302600_NS6detail15normal_iteratorINS9_10device_ptrIiEEEENSB_INSC_IdEEEESG_dNS9_4plusIvEENS9_8equal_toIvEEdEE10hipError_tPvRmT2_T3_T4_T5_mT6_T7_P12ihipStream_tbENKUlT_T0_E_clISt17integral_constantIbLb1EES11_EEDaSW_SX_EUlSW_E_NS1_11comp_targetILNS1_3genE5ELNS1_11target_archE942ELNS1_3gpuE9ELNS1_3repE0EEENS1_30default_config_static_selectorELNS0_4arch9wavefront6targetE0EEEvT1_, .Lfunc_end1098-_ZN7rocprim17ROCPRIM_400000_NS6detail17trampoline_kernelINS0_14default_configENS1_27scan_by_key_config_selectorIidEEZZNS1_16scan_by_key_implILNS1_25lookback_scan_determinismE0ELb0ES3_N6thrust23THRUST_200600_302600_NS6detail15normal_iteratorINS9_10device_ptrIiEEEENSB_INSC_IdEEEESG_dNS9_4plusIvEENS9_8equal_toIvEEdEE10hipError_tPvRmT2_T3_T4_T5_mT6_T7_P12ihipStream_tbENKUlT_T0_E_clISt17integral_constantIbLb1EES11_EEDaSW_SX_EUlSW_E_NS1_11comp_targetILNS1_3genE5ELNS1_11target_archE942ELNS1_3gpuE9ELNS1_3repE0EEENS1_30default_config_static_selectorELNS0_4arch9wavefront6targetE0EEEvT1_
                                        ; -- End function
	.set _ZN7rocprim17ROCPRIM_400000_NS6detail17trampoline_kernelINS0_14default_configENS1_27scan_by_key_config_selectorIidEEZZNS1_16scan_by_key_implILNS1_25lookback_scan_determinismE0ELb0ES3_N6thrust23THRUST_200600_302600_NS6detail15normal_iteratorINS9_10device_ptrIiEEEENSB_INSC_IdEEEESG_dNS9_4plusIvEENS9_8equal_toIvEEdEE10hipError_tPvRmT2_T3_T4_T5_mT6_T7_P12ihipStream_tbENKUlT_T0_E_clISt17integral_constantIbLb1EES11_EEDaSW_SX_EUlSW_E_NS1_11comp_targetILNS1_3genE5ELNS1_11target_archE942ELNS1_3gpuE9ELNS1_3repE0EEENS1_30default_config_static_selectorELNS0_4arch9wavefront6targetE0EEEvT1_.num_vgpr, 0
	.set _ZN7rocprim17ROCPRIM_400000_NS6detail17trampoline_kernelINS0_14default_configENS1_27scan_by_key_config_selectorIidEEZZNS1_16scan_by_key_implILNS1_25lookback_scan_determinismE0ELb0ES3_N6thrust23THRUST_200600_302600_NS6detail15normal_iteratorINS9_10device_ptrIiEEEENSB_INSC_IdEEEESG_dNS9_4plusIvEENS9_8equal_toIvEEdEE10hipError_tPvRmT2_T3_T4_T5_mT6_T7_P12ihipStream_tbENKUlT_T0_E_clISt17integral_constantIbLb1EES11_EEDaSW_SX_EUlSW_E_NS1_11comp_targetILNS1_3genE5ELNS1_11target_archE942ELNS1_3gpuE9ELNS1_3repE0EEENS1_30default_config_static_selectorELNS0_4arch9wavefront6targetE0EEEvT1_.num_agpr, 0
	.set _ZN7rocprim17ROCPRIM_400000_NS6detail17trampoline_kernelINS0_14default_configENS1_27scan_by_key_config_selectorIidEEZZNS1_16scan_by_key_implILNS1_25lookback_scan_determinismE0ELb0ES3_N6thrust23THRUST_200600_302600_NS6detail15normal_iteratorINS9_10device_ptrIiEEEENSB_INSC_IdEEEESG_dNS9_4plusIvEENS9_8equal_toIvEEdEE10hipError_tPvRmT2_T3_T4_T5_mT6_T7_P12ihipStream_tbENKUlT_T0_E_clISt17integral_constantIbLb1EES11_EEDaSW_SX_EUlSW_E_NS1_11comp_targetILNS1_3genE5ELNS1_11target_archE942ELNS1_3gpuE9ELNS1_3repE0EEENS1_30default_config_static_selectorELNS0_4arch9wavefront6targetE0EEEvT1_.numbered_sgpr, 0
	.set _ZN7rocprim17ROCPRIM_400000_NS6detail17trampoline_kernelINS0_14default_configENS1_27scan_by_key_config_selectorIidEEZZNS1_16scan_by_key_implILNS1_25lookback_scan_determinismE0ELb0ES3_N6thrust23THRUST_200600_302600_NS6detail15normal_iteratorINS9_10device_ptrIiEEEENSB_INSC_IdEEEESG_dNS9_4plusIvEENS9_8equal_toIvEEdEE10hipError_tPvRmT2_T3_T4_T5_mT6_T7_P12ihipStream_tbENKUlT_T0_E_clISt17integral_constantIbLb1EES11_EEDaSW_SX_EUlSW_E_NS1_11comp_targetILNS1_3genE5ELNS1_11target_archE942ELNS1_3gpuE9ELNS1_3repE0EEENS1_30default_config_static_selectorELNS0_4arch9wavefront6targetE0EEEvT1_.num_named_barrier, 0
	.set _ZN7rocprim17ROCPRIM_400000_NS6detail17trampoline_kernelINS0_14default_configENS1_27scan_by_key_config_selectorIidEEZZNS1_16scan_by_key_implILNS1_25lookback_scan_determinismE0ELb0ES3_N6thrust23THRUST_200600_302600_NS6detail15normal_iteratorINS9_10device_ptrIiEEEENSB_INSC_IdEEEESG_dNS9_4plusIvEENS9_8equal_toIvEEdEE10hipError_tPvRmT2_T3_T4_T5_mT6_T7_P12ihipStream_tbENKUlT_T0_E_clISt17integral_constantIbLb1EES11_EEDaSW_SX_EUlSW_E_NS1_11comp_targetILNS1_3genE5ELNS1_11target_archE942ELNS1_3gpuE9ELNS1_3repE0EEENS1_30default_config_static_selectorELNS0_4arch9wavefront6targetE0EEEvT1_.private_seg_size, 0
	.set _ZN7rocprim17ROCPRIM_400000_NS6detail17trampoline_kernelINS0_14default_configENS1_27scan_by_key_config_selectorIidEEZZNS1_16scan_by_key_implILNS1_25lookback_scan_determinismE0ELb0ES3_N6thrust23THRUST_200600_302600_NS6detail15normal_iteratorINS9_10device_ptrIiEEEENSB_INSC_IdEEEESG_dNS9_4plusIvEENS9_8equal_toIvEEdEE10hipError_tPvRmT2_T3_T4_T5_mT6_T7_P12ihipStream_tbENKUlT_T0_E_clISt17integral_constantIbLb1EES11_EEDaSW_SX_EUlSW_E_NS1_11comp_targetILNS1_3genE5ELNS1_11target_archE942ELNS1_3gpuE9ELNS1_3repE0EEENS1_30default_config_static_selectorELNS0_4arch9wavefront6targetE0EEEvT1_.uses_vcc, 0
	.set _ZN7rocprim17ROCPRIM_400000_NS6detail17trampoline_kernelINS0_14default_configENS1_27scan_by_key_config_selectorIidEEZZNS1_16scan_by_key_implILNS1_25lookback_scan_determinismE0ELb0ES3_N6thrust23THRUST_200600_302600_NS6detail15normal_iteratorINS9_10device_ptrIiEEEENSB_INSC_IdEEEESG_dNS9_4plusIvEENS9_8equal_toIvEEdEE10hipError_tPvRmT2_T3_T4_T5_mT6_T7_P12ihipStream_tbENKUlT_T0_E_clISt17integral_constantIbLb1EES11_EEDaSW_SX_EUlSW_E_NS1_11comp_targetILNS1_3genE5ELNS1_11target_archE942ELNS1_3gpuE9ELNS1_3repE0EEENS1_30default_config_static_selectorELNS0_4arch9wavefront6targetE0EEEvT1_.uses_flat_scratch, 0
	.set _ZN7rocprim17ROCPRIM_400000_NS6detail17trampoline_kernelINS0_14default_configENS1_27scan_by_key_config_selectorIidEEZZNS1_16scan_by_key_implILNS1_25lookback_scan_determinismE0ELb0ES3_N6thrust23THRUST_200600_302600_NS6detail15normal_iteratorINS9_10device_ptrIiEEEENSB_INSC_IdEEEESG_dNS9_4plusIvEENS9_8equal_toIvEEdEE10hipError_tPvRmT2_T3_T4_T5_mT6_T7_P12ihipStream_tbENKUlT_T0_E_clISt17integral_constantIbLb1EES11_EEDaSW_SX_EUlSW_E_NS1_11comp_targetILNS1_3genE5ELNS1_11target_archE942ELNS1_3gpuE9ELNS1_3repE0EEENS1_30default_config_static_selectorELNS0_4arch9wavefront6targetE0EEEvT1_.has_dyn_sized_stack, 0
	.set _ZN7rocprim17ROCPRIM_400000_NS6detail17trampoline_kernelINS0_14default_configENS1_27scan_by_key_config_selectorIidEEZZNS1_16scan_by_key_implILNS1_25lookback_scan_determinismE0ELb0ES3_N6thrust23THRUST_200600_302600_NS6detail15normal_iteratorINS9_10device_ptrIiEEEENSB_INSC_IdEEEESG_dNS9_4plusIvEENS9_8equal_toIvEEdEE10hipError_tPvRmT2_T3_T4_T5_mT6_T7_P12ihipStream_tbENKUlT_T0_E_clISt17integral_constantIbLb1EES11_EEDaSW_SX_EUlSW_E_NS1_11comp_targetILNS1_3genE5ELNS1_11target_archE942ELNS1_3gpuE9ELNS1_3repE0EEENS1_30default_config_static_selectorELNS0_4arch9wavefront6targetE0EEEvT1_.has_recursion, 0
	.set _ZN7rocprim17ROCPRIM_400000_NS6detail17trampoline_kernelINS0_14default_configENS1_27scan_by_key_config_selectorIidEEZZNS1_16scan_by_key_implILNS1_25lookback_scan_determinismE0ELb0ES3_N6thrust23THRUST_200600_302600_NS6detail15normal_iteratorINS9_10device_ptrIiEEEENSB_INSC_IdEEEESG_dNS9_4plusIvEENS9_8equal_toIvEEdEE10hipError_tPvRmT2_T3_T4_T5_mT6_T7_P12ihipStream_tbENKUlT_T0_E_clISt17integral_constantIbLb1EES11_EEDaSW_SX_EUlSW_E_NS1_11comp_targetILNS1_3genE5ELNS1_11target_archE942ELNS1_3gpuE9ELNS1_3repE0EEENS1_30default_config_static_selectorELNS0_4arch9wavefront6targetE0EEEvT1_.has_indirect_call, 0
	.section	.AMDGPU.csdata,"",@progbits
; Kernel info:
; codeLenInByte = 0
; TotalNumSgprs: 0
; NumVgprs: 0
; ScratchSize: 0
; MemoryBound: 0
; FloatMode: 240
; IeeeMode: 1
; LDSByteSize: 0 bytes/workgroup (compile time only)
; SGPRBlocks: 0
; VGPRBlocks: 0
; NumSGPRsForWavesPerEU: 1
; NumVGPRsForWavesPerEU: 1
; Occupancy: 16
; WaveLimiterHint : 0
; COMPUTE_PGM_RSRC2:SCRATCH_EN: 0
; COMPUTE_PGM_RSRC2:USER_SGPR: 6
; COMPUTE_PGM_RSRC2:TRAP_HANDLER: 0
; COMPUTE_PGM_RSRC2:TGID_X_EN: 1
; COMPUTE_PGM_RSRC2:TGID_Y_EN: 0
; COMPUTE_PGM_RSRC2:TGID_Z_EN: 0
; COMPUTE_PGM_RSRC2:TIDIG_COMP_CNT: 0
	.section	.text._ZN7rocprim17ROCPRIM_400000_NS6detail17trampoline_kernelINS0_14default_configENS1_27scan_by_key_config_selectorIidEEZZNS1_16scan_by_key_implILNS1_25lookback_scan_determinismE0ELb0ES3_N6thrust23THRUST_200600_302600_NS6detail15normal_iteratorINS9_10device_ptrIiEEEENSB_INSC_IdEEEESG_dNS9_4plusIvEENS9_8equal_toIvEEdEE10hipError_tPvRmT2_T3_T4_T5_mT6_T7_P12ihipStream_tbENKUlT_T0_E_clISt17integral_constantIbLb1EES11_EEDaSW_SX_EUlSW_E_NS1_11comp_targetILNS1_3genE4ELNS1_11target_archE910ELNS1_3gpuE8ELNS1_3repE0EEENS1_30default_config_static_selectorELNS0_4arch9wavefront6targetE0EEEvT1_,"axG",@progbits,_ZN7rocprim17ROCPRIM_400000_NS6detail17trampoline_kernelINS0_14default_configENS1_27scan_by_key_config_selectorIidEEZZNS1_16scan_by_key_implILNS1_25lookback_scan_determinismE0ELb0ES3_N6thrust23THRUST_200600_302600_NS6detail15normal_iteratorINS9_10device_ptrIiEEEENSB_INSC_IdEEEESG_dNS9_4plusIvEENS9_8equal_toIvEEdEE10hipError_tPvRmT2_T3_T4_T5_mT6_T7_P12ihipStream_tbENKUlT_T0_E_clISt17integral_constantIbLb1EES11_EEDaSW_SX_EUlSW_E_NS1_11comp_targetILNS1_3genE4ELNS1_11target_archE910ELNS1_3gpuE8ELNS1_3repE0EEENS1_30default_config_static_selectorELNS0_4arch9wavefront6targetE0EEEvT1_,comdat
	.protected	_ZN7rocprim17ROCPRIM_400000_NS6detail17trampoline_kernelINS0_14default_configENS1_27scan_by_key_config_selectorIidEEZZNS1_16scan_by_key_implILNS1_25lookback_scan_determinismE0ELb0ES3_N6thrust23THRUST_200600_302600_NS6detail15normal_iteratorINS9_10device_ptrIiEEEENSB_INSC_IdEEEESG_dNS9_4plusIvEENS9_8equal_toIvEEdEE10hipError_tPvRmT2_T3_T4_T5_mT6_T7_P12ihipStream_tbENKUlT_T0_E_clISt17integral_constantIbLb1EES11_EEDaSW_SX_EUlSW_E_NS1_11comp_targetILNS1_3genE4ELNS1_11target_archE910ELNS1_3gpuE8ELNS1_3repE0EEENS1_30default_config_static_selectorELNS0_4arch9wavefront6targetE0EEEvT1_ ; -- Begin function _ZN7rocprim17ROCPRIM_400000_NS6detail17trampoline_kernelINS0_14default_configENS1_27scan_by_key_config_selectorIidEEZZNS1_16scan_by_key_implILNS1_25lookback_scan_determinismE0ELb0ES3_N6thrust23THRUST_200600_302600_NS6detail15normal_iteratorINS9_10device_ptrIiEEEENSB_INSC_IdEEEESG_dNS9_4plusIvEENS9_8equal_toIvEEdEE10hipError_tPvRmT2_T3_T4_T5_mT6_T7_P12ihipStream_tbENKUlT_T0_E_clISt17integral_constantIbLb1EES11_EEDaSW_SX_EUlSW_E_NS1_11comp_targetILNS1_3genE4ELNS1_11target_archE910ELNS1_3gpuE8ELNS1_3repE0EEENS1_30default_config_static_selectorELNS0_4arch9wavefront6targetE0EEEvT1_
	.globl	_ZN7rocprim17ROCPRIM_400000_NS6detail17trampoline_kernelINS0_14default_configENS1_27scan_by_key_config_selectorIidEEZZNS1_16scan_by_key_implILNS1_25lookback_scan_determinismE0ELb0ES3_N6thrust23THRUST_200600_302600_NS6detail15normal_iteratorINS9_10device_ptrIiEEEENSB_INSC_IdEEEESG_dNS9_4plusIvEENS9_8equal_toIvEEdEE10hipError_tPvRmT2_T3_T4_T5_mT6_T7_P12ihipStream_tbENKUlT_T0_E_clISt17integral_constantIbLb1EES11_EEDaSW_SX_EUlSW_E_NS1_11comp_targetILNS1_3genE4ELNS1_11target_archE910ELNS1_3gpuE8ELNS1_3repE0EEENS1_30default_config_static_selectorELNS0_4arch9wavefront6targetE0EEEvT1_
	.p2align	8
	.type	_ZN7rocprim17ROCPRIM_400000_NS6detail17trampoline_kernelINS0_14default_configENS1_27scan_by_key_config_selectorIidEEZZNS1_16scan_by_key_implILNS1_25lookback_scan_determinismE0ELb0ES3_N6thrust23THRUST_200600_302600_NS6detail15normal_iteratorINS9_10device_ptrIiEEEENSB_INSC_IdEEEESG_dNS9_4plusIvEENS9_8equal_toIvEEdEE10hipError_tPvRmT2_T3_T4_T5_mT6_T7_P12ihipStream_tbENKUlT_T0_E_clISt17integral_constantIbLb1EES11_EEDaSW_SX_EUlSW_E_NS1_11comp_targetILNS1_3genE4ELNS1_11target_archE910ELNS1_3gpuE8ELNS1_3repE0EEENS1_30default_config_static_selectorELNS0_4arch9wavefront6targetE0EEEvT1_,@function
_ZN7rocprim17ROCPRIM_400000_NS6detail17trampoline_kernelINS0_14default_configENS1_27scan_by_key_config_selectorIidEEZZNS1_16scan_by_key_implILNS1_25lookback_scan_determinismE0ELb0ES3_N6thrust23THRUST_200600_302600_NS6detail15normal_iteratorINS9_10device_ptrIiEEEENSB_INSC_IdEEEESG_dNS9_4plusIvEENS9_8equal_toIvEEdEE10hipError_tPvRmT2_T3_T4_T5_mT6_T7_P12ihipStream_tbENKUlT_T0_E_clISt17integral_constantIbLb1EES11_EEDaSW_SX_EUlSW_E_NS1_11comp_targetILNS1_3genE4ELNS1_11target_archE910ELNS1_3gpuE8ELNS1_3repE0EEENS1_30default_config_static_selectorELNS0_4arch9wavefront6targetE0EEEvT1_: ; @_ZN7rocprim17ROCPRIM_400000_NS6detail17trampoline_kernelINS0_14default_configENS1_27scan_by_key_config_selectorIidEEZZNS1_16scan_by_key_implILNS1_25lookback_scan_determinismE0ELb0ES3_N6thrust23THRUST_200600_302600_NS6detail15normal_iteratorINS9_10device_ptrIiEEEENSB_INSC_IdEEEESG_dNS9_4plusIvEENS9_8equal_toIvEEdEE10hipError_tPvRmT2_T3_T4_T5_mT6_T7_P12ihipStream_tbENKUlT_T0_E_clISt17integral_constantIbLb1EES11_EEDaSW_SX_EUlSW_E_NS1_11comp_targetILNS1_3genE4ELNS1_11target_archE910ELNS1_3gpuE8ELNS1_3repE0EEENS1_30default_config_static_selectorELNS0_4arch9wavefront6targetE0EEEvT1_
; %bb.0:
	.section	.rodata,"a",@progbits
	.p2align	6, 0x0
	.amdhsa_kernel _ZN7rocprim17ROCPRIM_400000_NS6detail17trampoline_kernelINS0_14default_configENS1_27scan_by_key_config_selectorIidEEZZNS1_16scan_by_key_implILNS1_25lookback_scan_determinismE0ELb0ES3_N6thrust23THRUST_200600_302600_NS6detail15normal_iteratorINS9_10device_ptrIiEEEENSB_INSC_IdEEEESG_dNS9_4plusIvEENS9_8equal_toIvEEdEE10hipError_tPvRmT2_T3_T4_T5_mT6_T7_P12ihipStream_tbENKUlT_T0_E_clISt17integral_constantIbLb1EES11_EEDaSW_SX_EUlSW_E_NS1_11comp_targetILNS1_3genE4ELNS1_11target_archE910ELNS1_3gpuE8ELNS1_3repE0EEENS1_30default_config_static_selectorELNS0_4arch9wavefront6targetE0EEEvT1_
		.amdhsa_group_segment_fixed_size 0
		.amdhsa_private_segment_fixed_size 0
		.amdhsa_kernarg_size 136
		.amdhsa_user_sgpr_count 6
		.amdhsa_user_sgpr_private_segment_buffer 1
		.amdhsa_user_sgpr_dispatch_ptr 0
		.amdhsa_user_sgpr_queue_ptr 0
		.amdhsa_user_sgpr_kernarg_segment_ptr 1
		.amdhsa_user_sgpr_dispatch_id 0
		.amdhsa_user_sgpr_flat_scratch_init 0
		.amdhsa_user_sgpr_private_segment_size 0
		.amdhsa_wavefront_size32 1
		.amdhsa_uses_dynamic_stack 0
		.amdhsa_system_sgpr_private_segment_wavefront_offset 0
		.amdhsa_system_sgpr_workgroup_id_x 1
		.amdhsa_system_sgpr_workgroup_id_y 0
		.amdhsa_system_sgpr_workgroup_id_z 0
		.amdhsa_system_sgpr_workgroup_info 0
		.amdhsa_system_vgpr_workitem_id 0
		.amdhsa_next_free_vgpr 1
		.amdhsa_next_free_sgpr 1
		.amdhsa_reserve_vcc 0
		.amdhsa_reserve_flat_scratch 0
		.amdhsa_float_round_mode_32 0
		.amdhsa_float_round_mode_16_64 0
		.amdhsa_float_denorm_mode_32 3
		.amdhsa_float_denorm_mode_16_64 3
		.amdhsa_dx10_clamp 1
		.amdhsa_ieee_mode 1
		.amdhsa_fp16_overflow 0
		.amdhsa_workgroup_processor_mode 1
		.amdhsa_memory_ordered 1
		.amdhsa_forward_progress 1
		.amdhsa_shared_vgpr_count 0
		.amdhsa_exception_fp_ieee_invalid_op 0
		.amdhsa_exception_fp_denorm_src 0
		.amdhsa_exception_fp_ieee_div_zero 0
		.amdhsa_exception_fp_ieee_overflow 0
		.amdhsa_exception_fp_ieee_underflow 0
		.amdhsa_exception_fp_ieee_inexact 0
		.amdhsa_exception_int_div_zero 0
	.end_amdhsa_kernel
	.section	.text._ZN7rocprim17ROCPRIM_400000_NS6detail17trampoline_kernelINS0_14default_configENS1_27scan_by_key_config_selectorIidEEZZNS1_16scan_by_key_implILNS1_25lookback_scan_determinismE0ELb0ES3_N6thrust23THRUST_200600_302600_NS6detail15normal_iteratorINS9_10device_ptrIiEEEENSB_INSC_IdEEEESG_dNS9_4plusIvEENS9_8equal_toIvEEdEE10hipError_tPvRmT2_T3_T4_T5_mT6_T7_P12ihipStream_tbENKUlT_T0_E_clISt17integral_constantIbLb1EES11_EEDaSW_SX_EUlSW_E_NS1_11comp_targetILNS1_3genE4ELNS1_11target_archE910ELNS1_3gpuE8ELNS1_3repE0EEENS1_30default_config_static_selectorELNS0_4arch9wavefront6targetE0EEEvT1_,"axG",@progbits,_ZN7rocprim17ROCPRIM_400000_NS6detail17trampoline_kernelINS0_14default_configENS1_27scan_by_key_config_selectorIidEEZZNS1_16scan_by_key_implILNS1_25lookback_scan_determinismE0ELb0ES3_N6thrust23THRUST_200600_302600_NS6detail15normal_iteratorINS9_10device_ptrIiEEEENSB_INSC_IdEEEESG_dNS9_4plusIvEENS9_8equal_toIvEEdEE10hipError_tPvRmT2_T3_T4_T5_mT6_T7_P12ihipStream_tbENKUlT_T0_E_clISt17integral_constantIbLb1EES11_EEDaSW_SX_EUlSW_E_NS1_11comp_targetILNS1_3genE4ELNS1_11target_archE910ELNS1_3gpuE8ELNS1_3repE0EEENS1_30default_config_static_selectorELNS0_4arch9wavefront6targetE0EEEvT1_,comdat
.Lfunc_end1099:
	.size	_ZN7rocprim17ROCPRIM_400000_NS6detail17trampoline_kernelINS0_14default_configENS1_27scan_by_key_config_selectorIidEEZZNS1_16scan_by_key_implILNS1_25lookback_scan_determinismE0ELb0ES3_N6thrust23THRUST_200600_302600_NS6detail15normal_iteratorINS9_10device_ptrIiEEEENSB_INSC_IdEEEESG_dNS9_4plusIvEENS9_8equal_toIvEEdEE10hipError_tPvRmT2_T3_T4_T5_mT6_T7_P12ihipStream_tbENKUlT_T0_E_clISt17integral_constantIbLb1EES11_EEDaSW_SX_EUlSW_E_NS1_11comp_targetILNS1_3genE4ELNS1_11target_archE910ELNS1_3gpuE8ELNS1_3repE0EEENS1_30default_config_static_selectorELNS0_4arch9wavefront6targetE0EEEvT1_, .Lfunc_end1099-_ZN7rocprim17ROCPRIM_400000_NS6detail17trampoline_kernelINS0_14default_configENS1_27scan_by_key_config_selectorIidEEZZNS1_16scan_by_key_implILNS1_25lookback_scan_determinismE0ELb0ES3_N6thrust23THRUST_200600_302600_NS6detail15normal_iteratorINS9_10device_ptrIiEEEENSB_INSC_IdEEEESG_dNS9_4plusIvEENS9_8equal_toIvEEdEE10hipError_tPvRmT2_T3_T4_T5_mT6_T7_P12ihipStream_tbENKUlT_T0_E_clISt17integral_constantIbLb1EES11_EEDaSW_SX_EUlSW_E_NS1_11comp_targetILNS1_3genE4ELNS1_11target_archE910ELNS1_3gpuE8ELNS1_3repE0EEENS1_30default_config_static_selectorELNS0_4arch9wavefront6targetE0EEEvT1_
                                        ; -- End function
	.set _ZN7rocprim17ROCPRIM_400000_NS6detail17trampoline_kernelINS0_14default_configENS1_27scan_by_key_config_selectorIidEEZZNS1_16scan_by_key_implILNS1_25lookback_scan_determinismE0ELb0ES3_N6thrust23THRUST_200600_302600_NS6detail15normal_iteratorINS9_10device_ptrIiEEEENSB_INSC_IdEEEESG_dNS9_4plusIvEENS9_8equal_toIvEEdEE10hipError_tPvRmT2_T3_T4_T5_mT6_T7_P12ihipStream_tbENKUlT_T0_E_clISt17integral_constantIbLb1EES11_EEDaSW_SX_EUlSW_E_NS1_11comp_targetILNS1_3genE4ELNS1_11target_archE910ELNS1_3gpuE8ELNS1_3repE0EEENS1_30default_config_static_selectorELNS0_4arch9wavefront6targetE0EEEvT1_.num_vgpr, 0
	.set _ZN7rocprim17ROCPRIM_400000_NS6detail17trampoline_kernelINS0_14default_configENS1_27scan_by_key_config_selectorIidEEZZNS1_16scan_by_key_implILNS1_25lookback_scan_determinismE0ELb0ES3_N6thrust23THRUST_200600_302600_NS6detail15normal_iteratorINS9_10device_ptrIiEEEENSB_INSC_IdEEEESG_dNS9_4plusIvEENS9_8equal_toIvEEdEE10hipError_tPvRmT2_T3_T4_T5_mT6_T7_P12ihipStream_tbENKUlT_T0_E_clISt17integral_constantIbLb1EES11_EEDaSW_SX_EUlSW_E_NS1_11comp_targetILNS1_3genE4ELNS1_11target_archE910ELNS1_3gpuE8ELNS1_3repE0EEENS1_30default_config_static_selectorELNS0_4arch9wavefront6targetE0EEEvT1_.num_agpr, 0
	.set _ZN7rocprim17ROCPRIM_400000_NS6detail17trampoline_kernelINS0_14default_configENS1_27scan_by_key_config_selectorIidEEZZNS1_16scan_by_key_implILNS1_25lookback_scan_determinismE0ELb0ES3_N6thrust23THRUST_200600_302600_NS6detail15normal_iteratorINS9_10device_ptrIiEEEENSB_INSC_IdEEEESG_dNS9_4plusIvEENS9_8equal_toIvEEdEE10hipError_tPvRmT2_T3_T4_T5_mT6_T7_P12ihipStream_tbENKUlT_T0_E_clISt17integral_constantIbLb1EES11_EEDaSW_SX_EUlSW_E_NS1_11comp_targetILNS1_3genE4ELNS1_11target_archE910ELNS1_3gpuE8ELNS1_3repE0EEENS1_30default_config_static_selectorELNS0_4arch9wavefront6targetE0EEEvT1_.numbered_sgpr, 0
	.set _ZN7rocprim17ROCPRIM_400000_NS6detail17trampoline_kernelINS0_14default_configENS1_27scan_by_key_config_selectorIidEEZZNS1_16scan_by_key_implILNS1_25lookback_scan_determinismE0ELb0ES3_N6thrust23THRUST_200600_302600_NS6detail15normal_iteratorINS9_10device_ptrIiEEEENSB_INSC_IdEEEESG_dNS9_4plusIvEENS9_8equal_toIvEEdEE10hipError_tPvRmT2_T3_T4_T5_mT6_T7_P12ihipStream_tbENKUlT_T0_E_clISt17integral_constantIbLb1EES11_EEDaSW_SX_EUlSW_E_NS1_11comp_targetILNS1_3genE4ELNS1_11target_archE910ELNS1_3gpuE8ELNS1_3repE0EEENS1_30default_config_static_selectorELNS0_4arch9wavefront6targetE0EEEvT1_.num_named_barrier, 0
	.set _ZN7rocprim17ROCPRIM_400000_NS6detail17trampoline_kernelINS0_14default_configENS1_27scan_by_key_config_selectorIidEEZZNS1_16scan_by_key_implILNS1_25lookback_scan_determinismE0ELb0ES3_N6thrust23THRUST_200600_302600_NS6detail15normal_iteratorINS9_10device_ptrIiEEEENSB_INSC_IdEEEESG_dNS9_4plusIvEENS9_8equal_toIvEEdEE10hipError_tPvRmT2_T3_T4_T5_mT6_T7_P12ihipStream_tbENKUlT_T0_E_clISt17integral_constantIbLb1EES11_EEDaSW_SX_EUlSW_E_NS1_11comp_targetILNS1_3genE4ELNS1_11target_archE910ELNS1_3gpuE8ELNS1_3repE0EEENS1_30default_config_static_selectorELNS0_4arch9wavefront6targetE0EEEvT1_.private_seg_size, 0
	.set _ZN7rocprim17ROCPRIM_400000_NS6detail17trampoline_kernelINS0_14default_configENS1_27scan_by_key_config_selectorIidEEZZNS1_16scan_by_key_implILNS1_25lookback_scan_determinismE0ELb0ES3_N6thrust23THRUST_200600_302600_NS6detail15normal_iteratorINS9_10device_ptrIiEEEENSB_INSC_IdEEEESG_dNS9_4plusIvEENS9_8equal_toIvEEdEE10hipError_tPvRmT2_T3_T4_T5_mT6_T7_P12ihipStream_tbENKUlT_T0_E_clISt17integral_constantIbLb1EES11_EEDaSW_SX_EUlSW_E_NS1_11comp_targetILNS1_3genE4ELNS1_11target_archE910ELNS1_3gpuE8ELNS1_3repE0EEENS1_30default_config_static_selectorELNS0_4arch9wavefront6targetE0EEEvT1_.uses_vcc, 0
	.set _ZN7rocprim17ROCPRIM_400000_NS6detail17trampoline_kernelINS0_14default_configENS1_27scan_by_key_config_selectorIidEEZZNS1_16scan_by_key_implILNS1_25lookback_scan_determinismE0ELb0ES3_N6thrust23THRUST_200600_302600_NS6detail15normal_iteratorINS9_10device_ptrIiEEEENSB_INSC_IdEEEESG_dNS9_4plusIvEENS9_8equal_toIvEEdEE10hipError_tPvRmT2_T3_T4_T5_mT6_T7_P12ihipStream_tbENKUlT_T0_E_clISt17integral_constantIbLb1EES11_EEDaSW_SX_EUlSW_E_NS1_11comp_targetILNS1_3genE4ELNS1_11target_archE910ELNS1_3gpuE8ELNS1_3repE0EEENS1_30default_config_static_selectorELNS0_4arch9wavefront6targetE0EEEvT1_.uses_flat_scratch, 0
	.set _ZN7rocprim17ROCPRIM_400000_NS6detail17trampoline_kernelINS0_14default_configENS1_27scan_by_key_config_selectorIidEEZZNS1_16scan_by_key_implILNS1_25lookback_scan_determinismE0ELb0ES3_N6thrust23THRUST_200600_302600_NS6detail15normal_iteratorINS9_10device_ptrIiEEEENSB_INSC_IdEEEESG_dNS9_4plusIvEENS9_8equal_toIvEEdEE10hipError_tPvRmT2_T3_T4_T5_mT6_T7_P12ihipStream_tbENKUlT_T0_E_clISt17integral_constantIbLb1EES11_EEDaSW_SX_EUlSW_E_NS1_11comp_targetILNS1_3genE4ELNS1_11target_archE910ELNS1_3gpuE8ELNS1_3repE0EEENS1_30default_config_static_selectorELNS0_4arch9wavefront6targetE0EEEvT1_.has_dyn_sized_stack, 0
	.set _ZN7rocprim17ROCPRIM_400000_NS6detail17trampoline_kernelINS0_14default_configENS1_27scan_by_key_config_selectorIidEEZZNS1_16scan_by_key_implILNS1_25lookback_scan_determinismE0ELb0ES3_N6thrust23THRUST_200600_302600_NS6detail15normal_iteratorINS9_10device_ptrIiEEEENSB_INSC_IdEEEESG_dNS9_4plusIvEENS9_8equal_toIvEEdEE10hipError_tPvRmT2_T3_T4_T5_mT6_T7_P12ihipStream_tbENKUlT_T0_E_clISt17integral_constantIbLb1EES11_EEDaSW_SX_EUlSW_E_NS1_11comp_targetILNS1_3genE4ELNS1_11target_archE910ELNS1_3gpuE8ELNS1_3repE0EEENS1_30default_config_static_selectorELNS0_4arch9wavefront6targetE0EEEvT1_.has_recursion, 0
	.set _ZN7rocprim17ROCPRIM_400000_NS6detail17trampoline_kernelINS0_14default_configENS1_27scan_by_key_config_selectorIidEEZZNS1_16scan_by_key_implILNS1_25lookback_scan_determinismE0ELb0ES3_N6thrust23THRUST_200600_302600_NS6detail15normal_iteratorINS9_10device_ptrIiEEEENSB_INSC_IdEEEESG_dNS9_4plusIvEENS9_8equal_toIvEEdEE10hipError_tPvRmT2_T3_T4_T5_mT6_T7_P12ihipStream_tbENKUlT_T0_E_clISt17integral_constantIbLb1EES11_EEDaSW_SX_EUlSW_E_NS1_11comp_targetILNS1_3genE4ELNS1_11target_archE910ELNS1_3gpuE8ELNS1_3repE0EEENS1_30default_config_static_selectorELNS0_4arch9wavefront6targetE0EEEvT1_.has_indirect_call, 0
	.section	.AMDGPU.csdata,"",@progbits
; Kernel info:
; codeLenInByte = 0
; TotalNumSgprs: 0
; NumVgprs: 0
; ScratchSize: 0
; MemoryBound: 0
; FloatMode: 240
; IeeeMode: 1
; LDSByteSize: 0 bytes/workgroup (compile time only)
; SGPRBlocks: 0
; VGPRBlocks: 0
; NumSGPRsForWavesPerEU: 1
; NumVGPRsForWavesPerEU: 1
; Occupancy: 16
; WaveLimiterHint : 0
; COMPUTE_PGM_RSRC2:SCRATCH_EN: 0
; COMPUTE_PGM_RSRC2:USER_SGPR: 6
; COMPUTE_PGM_RSRC2:TRAP_HANDLER: 0
; COMPUTE_PGM_RSRC2:TGID_X_EN: 1
; COMPUTE_PGM_RSRC2:TGID_Y_EN: 0
; COMPUTE_PGM_RSRC2:TGID_Z_EN: 0
; COMPUTE_PGM_RSRC2:TIDIG_COMP_CNT: 0
	.section	.text._ZN7rocprim17ROCPRIM_400000_NS6detail17trampoline_kernelINS0_14default_configENS1_27scan_by_key_config_selectorIidEEZZNS1_16scan_by_key_implILNS1_25lookback_scan_determinismE0ELb0ES3_N6thrust23THRUST_200600_302600_NS6detail15normal_iteratorINS9_10device_ptrIiEEEENSB_INSC_IdEEEESG_dNS9_4plusIvEENS9_8equal_toIvEEdEE10hipError_tPvRmT2_T3_T4_T5_mT6_T7_P12ihipStream_tbENKUlT_T0_E_clISt17integral_constantIbLb1EES11_EEDaSW_SX_EUlSW_E_NS1_11comp_targetILNS1_3genE3ELNS1_11target_archE908ELNS1_3gpuE7ELNS1_3repE0EEENS1_30default_config_static_selectorELNS0_4arch9wavefront6targetE0EEEvT1_,"axG",@progbits,_ZN7rocprim17ROCPRIM_400000_NS6detail17trampoline_kernelINS0_14default_configENS1_27scan_by_key_config_selectorIidEEZZNS1_16scan_by_key_implILNS1_25lookback_scan_determinismE0ELb0ES3_N6thrust23THRUST_200600_302600_NS6detail15normal_iteratorINS9_10device_ptrIiEEEENSB_INSC_IdEEEESG_dNS9_4plusIvEENS9_8equal_toIvEEdEE10hipError_tPvRmT2_T3_T4_T5_mT6_T7_P12ihipStream_tbENKUlT_T0_E_clISt17integral_constantIbLb1EES11_EEDaSW_SX_EUlSW_E_NS1_11comp_targetILNS1_3genE3ELNS1_11target_archE908ELNS1_3gpuE7ELNS1_3repE0EEENS1_30default_config_static_selectorELNS0_4arch9wavefront6targetE0EEEvT1_,comdat
	.protected	_ZN7rocprim17ROCPRIM_400000_NS6detail17trampoline_kernelINS0_14default_configENS1_27scan_by_key_config_selectorIidEEZZNS1_16scan_by_key_implILNS1_25lookback_scan_determinismE0ELb0ES3_N6thrust23THRUST_200600_302600_NS6detail15normal_iteratorINS9_10device_ptrIiEEEENSB_INSC_IdEEEESG_dNS9_4plusIvEENS9_8equal_toIvEEdEE10hipError_tPvRmT2_T3_T4_T5_mT6_T7_P12ihipStream_tbENKUlT_T0_E_clISt17integral_constantIbLb1EES11_EEDaSW_SX_EUlSW_E_NS1_11comp_targetILNS1_3genE3ELNS1_11target_archE908ELNS1_3gpuE7ELNS1_3repE0EEENS1_30default_config_static_selectorELNS0_4arch9wavefront6targetE0EEEvT1_ ; -- Begin function _ZN7rocprim17ROCPRIM_400000_NS6detail17trampoline_kernelINS0_14default_configENS1_27scan_by_key_config_selectorIidEEZZNS1_16scan_by_key_implILNS1_25lookback_scan_determinismE0ELb0ES3_N6thrust23THRUST_200600_302600_NS6detail15normal_iteratorINS9_10device_ptrIiEEEENSB_INSC_IdEEEESG_dNS9_4plusIvEENS9_8equal_toIvEEdEE10hipError_tPvRmT2_T3_T4_T5_mT6_T7_P12ihipStream_tbENKUlT_T0_E_clISt17integral_constantIbLb1EES11_EEDaSW_SX_EUlSW_E_NS1_11comp_targetILNS1_3genE3ELNS1_11target_archE908ELNS1_3gpuE7ELNS1_3repE0EEENS1_30default_config_static_selectorELNS0_4arch9wavefront6targetE0EEEvT1_
	.globl	_ZN7rocprim17ROCPRIM_400000_NS6detail17trampoline_kernelINS0_14default_configENS1_27scan_by_key_config_selectorIidEEZZNS1_16scan_by_key_implILNS1_25lookback_scan_determinismE0ELb0ES3_N6thrust23THRUST_200600_302600_NS6detail15normal_iteratorINS9_10device_ptrIiEEEENSB_INSC_IdEEEESG_dNS9_4plusIvEENS9_8equal_toIvEEdEE10hipError_tPvRmT2_T3_T4_T5_mT6_T7_P12ihipStream_tbENKUlT_T0_E_clISt17integral_constantIbLb1EES11_EEDaSW_SX_EUlSW_E_NS1_11comp_targetILNS1_3genE3ELNS1_11target_archE908ELNS1_3gpuE7ELNS1_3repE0EEENS1_30default_config_static_selectorELNS0_4arch9wavefront6targetE0EEEvT1_
	.p2align	8
	.type	_ZN7rocprim17ROCPRIM_400000_NS6detail17trampoline_kernelINS0_14default_configENS1_27scan_by_key_config_selectorIidEEZZNS1_16scan_by_key_implILNS1_25lookback_scan_determinismE0ELb0ES3_N6thrust23THRUST_200600_302600_NS6detail15normal_iteratorINS9_10device_ptrIiEEEENSB_INSC_IdEEEESG_dNS9_4plusIvEENS9_8equal_toIvEEdEE10hipError_tPvRmT2_T3_T4_T5_mT6_T7_P12ihipStream_tbENKUlT_T0_E_clISt17integral_constantIbLb1EES11_EEDaSW_SX_EUlSW_E_NS1_11comp_targetILNS1_3genE3ELNS1_11target_archE908ELNS1_3gpuE7ELNS1_3repE0EEENS1_30default_config_static_selectorELNS0_4arch9wavefront6targetE0EEEvT1_,@function
_ZN7rocprim17ROCPRIM_400000_NS6detail17trampoline_kernelINS0_14default_configENS1_27scan_by_key_config_selectorIidEEZZNS1_16scan_by_key_implILNS1_25lookback_scan_determinismE0ELb0ES3_N6thrust23THRUST_200600_302600_NS6detail15normal_iteratorINS9_10device_ptrIiEEEENSB_INSC_IdEEEESG_dNS9_4plusIvEENS9_8equal_toIvEEdEE10hipError_tPvRmT2_T3_T4_T5_mT6_T7_P12ihipStream_tbENKUlT_T0_E_clISt17integral_constantIbLb1EES11_EEDaSW_SX_EUlSW_E_NS1_11comp_targetILNS1_3genE3ELNS1_11target_archE908ELNS1_3gpuE7ELNS1_3repE0EEENS1_30default_config_static_selectorELNS0_4arch9wavefront6targetE0EEEvT1_: ; @_ZN7rocprim17ROCPRIM_400000_NS6detail17trampoline_kernelINS0_14default_configENS1_27scan_by_key_config_selectorIidEEZZNS1_16scan_by_key_implILNS1_25lookback_scan_determinismE0ELb0ES3_N6thrust23THRUST_200600_302600_NS6detail15normal_iteratorINS9_10device_ptrIiEEEENSB_INSC_IdEEEESG_dNS9_4plusIvEENS9_8equal_toIvEEdEE10hipError_tPvRmT2_T3_T4_T5_mT6_T7_P12ihipStream_tbENKUlT_T0_E_clISt17integral_constantIbLb1EES11_EEDaSW_SX_EUlSW_E_NS1_11comp_targetILNS1_3genE3ELNS1_11target_archE908ELNS1_3gpuE7ELNS1_3repE0EEENS1_30default_config_static_selectorELNS0_4arch9wavefront6targetE0EEEvT1_
; %bb.0:
	.section	.rodata,"a",@progbits
	.p2align	6, 0x0
	.amdhsa_kernel _ZN7rocprim17ROCPRIM_400000_NS6detail17trampoline_kernelINS0_14default_configENS1_27scan_by_key_config_selectorIidEEZZNS1_16scan_by_key_implILNS1_25lookback_scan_determinismE0ELb0ES3_N6thrust23THRUST_200600_302600_NS6detail15normal_iteratorINS9_10device_ptrIiEEEENSB_INSC_IdEEEESG_dNS9_4plusIvEENS9_8equal_toIvEEdEE10hipError_tPvRmT2_T3_T4_T5_mT6_T7_P12ihipStream_tbENKUlT_T0_E_clISt17integral_constantIbLb1EES11_EEDaSW_SX_EUlSW_E_NS1_11comp_targetILNS1_3genE3ELNS1_11target_archE908ELNS1_3gpuE7ELNS1_3repE0EEENS1_30default_config_static_selectorELNS0_4arch9wavefront6targetE0EEEvT1_
		.amdhsa_group_segment_fixed_size 0
		.amdhsa_private_segment_fixed_size 0
		.amdhsa_kernarg_size 136
		.amdhsa_user_sgpr_count 6
		.amdhsa_user_sgpr_private_segment_buffer 1
		.amdhsa_user_sgpr_dispatch_ptr 0
		.amdhsa_user_sgpr_queue_ptr 0
		.amdhsa_user_sgpr_kernarg_segment_ptr 1
		.amdhsa_user_sgpr_dispatch_id 0
		.amdhsa_user_sgpr_flat_scratch_init 0
		.amdhsa_user_sgpr_private_segment_size 0
		.amdhsa_wavefront_size32 1
		.amdhsa_uses_dynamic_stack 0
		.amdhsa_system_sgpr_private_segment_wavefront_offset 0
		.amdhsa_system_sgpr_workgroup_id_x 1
		.amdhsa_system_sgpr_workgroup_id_y 0
		.amdhsa_system_sgpr_workgroup_id_z 0
		.amdhsa_system_sgpr_workgroup_info 0
		.amdhsa_system_vgpr_workitem_id 0
		.amdhsa_next_free_vgpr 1
		.amdhsa_next_free_sgpr 1
		.amdhsa_reserve_vcc 0
		.amdhsa_reserve_flat_scratch 0
		.amdhsa_float_round_mode_32 0
		.amdhsa_float_round_mode_16_64 0
		.amdhsa_float_denorm_mode_32 3
		.amdhsa_float_denorm_mode_16_64 3
		.amdhsa_dx10_clamp 1
		.amdhsa_ieee_mode 1
		.amdhsa_fp16_overflow 0
		.amdhsa_workgroup_processor_mode 1
		.amdhsa_memory_ordered 1
		.amdhsa_forward_progress 1
		.amdhsa_shared_vgpr_count 0
		.amdhsa_exception_fp_ieee_invalid_op 0
		.amdhsa_exception_fp_denorm_src 0
		.amdhsa_exception_fp_ieee_div_zero 0
		.amdhsa_exception_fp_ieee_overflow 0
		.amdhsa_exception_fp_ieee_underflow 0
		.amdhsa_exception_fp_ieee_inexact 0
		.amdhsa_exception_int_div_zero 0
	.end_amdhsa_kernel
	.section	.text._ZN7rocprim17ROCPRIM_400000_NS6detail17trampoline_kernelINS0_14default_configENS1_27scan_by_key_config_selectorIidEEZZNS1_16scan_by_key_implILNS1_25lookback_scan_determinismE0ELb0ES3_N6thrust23THRUST_200600_302600_NS6detail15normal_iteratorINS9_10device_ptrIiEEEENSB_INSC_IdEEEESG_dNS9_4plusIvEENS9_8equal_toIvEEdEE10hipError_tPvRmT2_T3_T4_T5_mT6_T7_P12ihipStream_tbENKUlT_T0_E_clISt17integral_constantIbLb1EES11_EEDaSW_SX_EUlSW_E_NS1_11comp_targetILNS1_3genE3ELNS1_11target_archE908ELNS1_3gpuE7ELNS1_3repE0EEENS1_30default_config_static_selectorELNS0_4arch9wavefront6targetE0EEEvT1_,"axG",@progbits,_ZN7rocprim17ROCPRIM_400000_NS6detail17trampoline_kernelINS0_14default_configENS1_27scan_by_key_config_selectorIidEEZZNS1_16scan_by_key_implILNS1_25lookback_scan_determinismE0ELb0ES3_N6thrust23THRUST_200600_302600_NS6detail15normal_iteratorINS9_10device_ptrIiEEEENSB_INSC_IdEEEESG_dNS9_4plusIvEENS9_8equal_toIvEEdEE10hipError_tPvRmT2_T3_T4_T5_mT6_T7_P12ihipStream_tbENKUlT_T0_E_clISt17integral_constantIbLb1EES11_EEDaSW_SX_EUlSW_E_NS1_11comp_targetILNS1_3genE3ELNS1_11target_archE908ELNS1_3gpuE7ELNS1_3repE0EEENS1_30default_config_static_selectorELNS0_4arch9wavefront6targetE0EEEvT1_,comdat
.Lfunc_end1100:
	.size	_ZN7rocprim17ROCPRIM_400000_NS6detail17trampoline_kernelINS0_14default_configENS1_27scan_by_key_config_selectorIidEEZZNS1_16scan_by_key_implILNS1_25lookback_scan_determinismE0ELb0ES3_N6thrust23THRUST_200600_302600_NS6detail15normal_iteratorINS9_10device_ptrIiEEEENSB_INSC_IdEEEESG_dNS9_4plusIvEENS9_8equal_toIvEEdEE10hipError_tPvRmT2_T3_T4_T5_mT6_T7_P12ihipStream_tbENKUlT_T0_E_clISt17integral_constantIbLb1EES11_EEDaSW_SX_EUlSW_E_NS1_11comp_targetILNS1_3genE3ELNS1_11target_archE908ELNS1_3gpuE7ELNS1_3repE0EEENS1_30default_config_static_selectorELNS0_4arch9wavefront6targetE0EEEvT1_, .Lfunc_end1100-_ZN7rocprim17ROCPRIM_400000_NS6detail17trampoline_kernelINS0_14default_configENS1_27scan_by_key_config_selectorIidEEZZNS1_16scan_by_key_implILNS1_25lookback_scan_determinismE0ELb0ES3_N6thrust23THRUST_200600_302600_NS6detail15normal_iteratorINS9_10device_ptrIiEEEENSB_INSC_IdEEEESG_dNS9_4plusIvEENS9_8equal_toIvEEdEE10hipError_tPvRmT2_T3_T4_T5_mT6_T7_P12ihipStream_tbENKUlT_T0_E_clISt17integral_constantIbLb1EES11_EEDaSW_SX_EUlSW_E_NS1_11comp_targetILNS1_3genE3ELNS1_11target_archE908ELNS1_3gpuE7ELNS1_3repE0EEENS1_30default_config_static_selectorELNS0_4arch9wavefront6targetE0EEEvT1_
                                        ; -- End function
	.set _ZN7rocprim17ROCPRIM_400000_NS6detail17trampoline_kernelINS0_14default_configENS1_27scan_by_key_config_selectorIidEEZZNS1_16scan_by_key_implILNS1_25lookback_scan_determinismE0ELb0ES3_N6thrust23THRUST_200600_302600_NS6detail15normal_iteratorINS9_10device_ptrIiEEEENSB_INSC_IdEEEESG_dNS9_4plusIvEENS9_8equal_toIvEEdEE10hipError_tPvRmT2_T3_T4_T5_mT6_T7_P12ihipStream_tbENKUlT_T0_E_clISt17integral_constantIbLb1EES11_EEDaSW_SX_EUlSW_E_NS1_11comp_targetILNS1_3genE3ELNS1_11target_archE908ELNS1_3gpuE7ELNS1_3repE0EEENS1_30default_config_static_selectorELNS0_4arch9wavefront6targetE0EEEvT1_.num_vgpr, 0
	.set _ZN7rocprim17ROCPRIM_400000_NS6detail17trampoline_kernelINS0_14default_configENS1_27scan_by_key_config_selectorIidEEZZNS1_16scan_by_key_implILNS1_25lookback_scan_determinismE0ELb0ES3_N6thrust23THRUST_200600_302600_NS6detail15normal_iteratorINS9_10device_ptrIiEEEENSB_INSC_IdEEEESG_dNS9_4plusIvEENS9_8equal_toIvEEdEE10hipError_tPvRmT2_T3_T4_T5_mT6_T7_P12ihipStream_tbENKUlT_T0_E_clISt17integral_constantIbLb1EES11_EEDaSW_SX_EUlSW_E_NS1_11comp_targetILNS1_3genE3ELNS1_11target_archE908ELNS1_3gpuE7ELNS1_3repE0EEENS1_30default_config_static_selectorELNS0_4arch9wavefront6targetE0EEEvT1_.num_agpr, 0
	.set _ZN7rocprim17ROCPRIM_400000_NS6detail17trampoline_kernelINS0_14default_configENS1_27scan_by_key_config_selectorIidEEZZNS1_16scan_by_key_implILNS1_25lookback_scan_determinismE0ELb0ES3_N6thrust23THRUST_200600_302600_NS6detail15normal_iteratorINS9_10device_ptrIiEEEENSB_INSC_IdEEEESG_dNS9_4plusIvEENS9_8equal_toIvEEdEE10hipError_tPvRmT2_T3_T4_T5_mT6_T7_P12ihipStream_tbENKUlT_T0_E_clISt17integral_constantIbLb1EES11_EEDaSW_SX_EUlSW_E_NS1_11comp_targetILNS1_3genE3ELNS1_11target_archE908ELNS1_3gpuE7ELNS1_3repE0EEENS1_30default_config_static_selectorELNS0_4arch9wavefront6targetE0EEEvT1_.numbered_sgpr, 0
	.set _ZN7rocprim17ROCPRIM_400000_NS6detail17trampoline_kernelINS0_14default_configENS1_27scan_by_key_config_selectorIidEEZZNS1_16scan_by_key_implILNS1_25lookback_scan_determinismE0ELb0ES3_N6thrust23THRUST_200600_302600_NS6detail15normal_iteratorINS9_10device_ptrIiEEEENSB_INSC_IdEEEESG_dNS9_4plusIvEENS9_8equal_toIvEEdEE10hipError_tPvRmT2_T3_T4_T5_mT6_T7_P12ihipStream_tbENKUlT_T0_E_clISt17integral_constantIbLb1EES11_EEDaSW_SX_EUlSW_E_NS1_11comp_targetILNS1_3genE3ELNS1_11target_archE908ELNS1_3gpuE7ELNS1_3repE0EEENS1_30default_config_static_selectorELNS0_4arch9wavefront6targetE0EEEvT1_.num_named_barrier, 0
	.set _ZN7rocprim17ROCPRIM_400000_NS6detail17trampoline_kernelINS0_14default_configENS1_27scan_by_key_config_selectorIidEEZZNS1_16scan_by_key_implILNS1_25lookback_scan_determinismE0ELb0ES3_N6thrust23THRUST_200600_302600_NS6detail15normal_iteratorINS9_10device_ptrIiEEEENSB_INSC_IdEEEESG_dNS9_4plusIvEENS9_8equal_toIvEEdEE10hipError_tPvRmT2_T3_T4_T5_mT6_T7_P12ihipStream_tbENKUlT_T0_E_clISt17integral_constantIbLb1EES11_EEDaSW_SX_EUlSW_E_NS1_11comp_targetILNS1_3genE3ELNS1_11target_archE908ELNS1_3gpuE7ELNS1_3repE0EEENS1_30default_config_static_selectorELNS0_4arch9wavefront6targetE0EEEvT1_.private_seg_size, 0
	.set _ZN7rocprim17ROCPRIM_400000_NS6detail17trampoline_kernelINS0_14default_configENS1_27scan_by_key_config_selectorIidEEZZNS1_16scan_by_key_implILNS1_25lookback_scan_determinismE0ELb0ES3_N6thrust23THRUST_200600_302600_NS6detail15normal_iteratorINS9_10device_ptrIiEEEENSB_INSC_IdEEEESG_dNS9_4plusIvEENS9_8equal_toIvEEdEE10hipError_tPvRmT2_T3_T4_T5_mT6_T7_P12ihipStream_tbENKUlT_T0_E_clISt17integral_constantIbLb1EES11_EEDaSW_SX_EUlSW_E_NS1_11comp_targetILNS1_3genE3ELNS1_11target_archE908ELNS1_3gpuE7ELNS1_3repE0EEENS1_30default_config_static_selectorELNS0_4arch9wavefront6targetE0EEEvT1_.uses_vcc, 0
	.set _ZN7rocprim17ROCPRIM_400000_NS6detail17trampoline_kernelINS0_14default_configENS1_27scan_by_key_config_selectorIidEEZZNS1_16scan_by_key_implILNS1_25lookback_scan_determinismE0ELb0ES3_N6thrust23THRUST_200600_302600_NS6detail15normal_iteratorINS9_10device_ptrIiEEEENSB_INSC_IdEEEESG_dNS9_4plusIvEENS9_8equal_toIvEEdEE10hipError_tPvRmT2_T3_T4_T5_mT6_T7_P12ihipStream_tbENKUlT_T0_E_clISt17integral_constantIbLb1EES11_EEDaSW_SX_EUlSW_E_NS1_11comp_targetILNS1_3genE3ELNS1_11target_archE908ELNS1_3gpuE7ELNS1_3repE0EEENS1_30default_config_static_selectorELNS0_4arch9wavefront6targetE0EEEvT1_.uses_flat_scratch, 0
	.set _ZN7rocprim17ROCPRIM_400000_NS6detail17trampoline_kernelINS0_14default_configENS1_27scan_by_key_config_selectorIidEEZZNS1_16scan_by_key_implILNS1_25lookback_scan_determinismE0ELb0ES3_N6thrust23THRUST_200600_302600_NS6detail15normal_iteratorINS9_10device_ptrIiEEEENSB_INSC_IdEEEESG_dNS9_4plusIvEENS9_8equal_toIvEEdEE10hipError_tPvRmT2_T3_T4_T5_mT6_T7_P12ihipStream_tbENKUlT_T0_E_clISt17integral_constantIbLb1EES11_EEDaSW_SX_EUlSW_E_NS1_11comp_targetILNS1_3genE3ELNS1_11target_archE908ELNS1_3gpuE7ELNS1_3repE0EEENS1_30default_config_static_selectorELNS0_4arch9wavefront6targetE0EEEvT1_.has_dyn_sized_stack, 0
	.set _ZN7rocprim17ROCPRIM_400000_NS6detail17trampoline_kernelINS0_14default_configENS1_27scan_by_key_config_selectorIidEEZZNS1_16scan_by_key_implILNS1_25lookback_scan_determinismE0ELb0ES3_N6thrust23THRUST_200600_302600_NS6detail15normal_iteratorINS9_10device_ptrIiEEEENSB_INSC_IdEEEESG_dNS9_4plusIvEENS9_8equal_toIvEEdEE10hipError_tPvRmT2_T3_T4_T5_mT6_T7_P12ihipStream_tbENKUlT_T0_E_clISt17integral_constantIbLb1EES11_EEDaSW_SX_EUlSW_E_NS1_11comp_targetILNS1_3genE3ELNS1_11target_archE908ELNS1_3gpuE7ELNS1_3repE0EEENS1_30default_config_static_selectorELNS0_4arch9wavefront6targetE0EEEvT1_.has_recursion, 0
	.set _ZN7rocprim17ROCPRIM_400000_NS6detail17trampoline_kernelINS0_14default_configENS1_27scan_by_key_config_selectorIidEEZZNS1_16scan_by_key_implILNS1_25lookback_scan_determinismE0ELb0ES3_N6thrust23THRUST_200600_302600_NS6detail15normal_iteratorINS9_10device_ptrIiEEEENSB_INSC_IdEEEESG_dNS9_4plusIvEENS9_8equal_toIvEEdEE10hipError_tPvRmT2_T3_T4_T5_mT6_T7_P12ihipStream_tbENKUlT_T0_E_clISt17integral_constantIbLb1EES11_EEDaSW_SX_EUlSW_E_NS1_11comp_targetILNS1_3genE3ELNS1_11target_archE908ELNS1_3gpuE7ELNS1_3repE0EEENS1_30default_config_static_selectorELNS0_4arch9wavefront6targetE0EEEvT1_.has_indirect_call, 0
	.section	.AMDGPU.csdata,"",@progbits
; Kernel info:
; codeLenInByte = 0
; TotalNumSgprs: 0
; NumVgprs: 0
; ScratchSize: 0
; MemoryBound: 0
; FloatMode: 240
; IeeeMode: 1
; LDSByteSize: 0 bytes/workgroup (compile time only)
; SGPRBlocks: 0
; VGPRBlocks: 0
; NumSGPRsForWavesPerEU: 1
; NumVGPRsForWavesPerEU: 1
; Occupancy: 16
; WaveLimiterHint : 0
; COMPUTE_PGM_RSRC2:SCRATCH_EN: 0
; COMPUTE_PGM_RSRC2:USER_SGPR: 6
; COMPUTE_PGM_RSRC2:TRAP_HANDLER: 0
; COMPUTE_PGM_RSRC2:TGID_X_EN: 1
; COMPUTE_PGM_RSRC2:TGID_Y_EN: 0
; COMPUTE_PGM_RSRC2:TGID_Z_EN: 0
; COMPUTE_PGM_RSRC2:TIDIG_COMP_CNT: 0
	.section	.text._ZN7rocprim17ROCPRIM_400000_NS6detail17trampoline_kernelINS0_14default_configENS1_27scan_by_key_config_selectorIidEEZZNS1_16scan_by_key_implILNS1_25lookback_scan_determinismE0ELb0ES3_N6thrust23THRUST_200600_302600_NS6detail15normal_iteratorINS9_10device_ptrIiEEEENSB_INSC_IdEEEESG_dNS9_4plusIvEENS9_8equal_toIvEEdEE10hipError_tPvRmT2_T3_T4_T5_mT6_T7_P12ihipStream_tbENKUlT_T0_E_clISt17integral_constantIbLb1EES11_EEDaSW_SX_EUlSW_E_NS1_11comp_targetILNS1_3genE2ELNS1_11target_archE906ELNS1_3gpuE6ELNS1_3repE0EEENS1_30default_config_static_selectorELNS0_4arch9wavefront6targetE0EEEvT1_,"axG",@progbits,_ZN7rocprim17ROCPRIM_400000_NS6detail17trampoline_kernelINS0_14default_configENS1_27scan_by_key_config_selectorIidEEZZNS1_16scan_by_key_implILNS1_25lookback_scan_determinismE0ELb0ES3_N6thrust23THRUST_200600_302600_NS6detail15normal_iteratorINS9_10device_ptrIiEEEENSB_INSC_IdEEEESG_dNS9_4plusIvEENS9_8equal_toIvEEdEE10hipError_tPvRmT2_T3_T4_T5_mT6_T7_P12ihipStream_tbENKUlT_T0_E_clISt17integral_constantIbLb1EES11_EEDaSW_SX_EUlSW_E_NS1_11comp_targetILNS1_3genE2ELNS1_11target_archE906ELNS1_3gpuE6ELNS1_3repE0EEENS1_30default_config_static_selectorELNS0_4arch9wavefront6targetE0EEEvT1_,comdat
	.protected	_ZN7rocprim17ROCPRIM_400000_NS6detail17trampoline_kernelINS0_14default_configENS1_27scan_by_key_config_selectorIidEEZZNS1_16scan_by_key_implILNS1_25lookback_scan_determinismE0ELb0ES3_N6thrust23THRUST_200600_302600_NS6detail15normal_iteratorINS9_10device_ptrIiEEEENSB_INSC_IdEEEESG_dNS9_4plusIvEENS9_8equal_toIvEEdEE10hipError_tPvRmT2_T3_T4_T5_mT6_T7_P12ihipStream_tbENKUlT_T0_E_clISt17integral_constantIbLb1EES11_EEDaSW_SX_EUlSW_E_NS1_11comp_targetILNS1_3genE2ELNS1_11target_archE906ELNS1_3gpuE6ELNS1_3repE0EEENS1_30default_config_static_selectorELNS0_4arch9wavefront6targetE0EEEvT1_ ; -- Begin function _ZN7rocprim17ROCPRIM_400000_NS6detail17trampoline_kernelINS0_14default_configENS1_27scan_by_key_config_selectorIidEEZZNS1_16scan_by_key_implILNS1_25lookback_scan_determinismE0ELb0ES3_N6thrust23THRUST_200600_302600_NS6detail15normal_iteratorINS9_10device_ptrIiEEEENSB_INSC_IdEEEESG_dNS9_4plusIvEENS9_8equal_toIvEEdEE10hipError_tPvRmT2_T3_T4_T5_mT6_T7_P12ihipStream_tbENKUlT_T0_E_clISt17integral_constantIbLb1EES11_EEDaSW_SX_EUlSW_E_NS1_11comp_targetILNS1_3genE2ELNS1_11target_archE906ELNS1_3gpuE6ELNS1_3repE0EEENS1_30default_config_static_selectorELNS0_4arch9wavefront6targetE0EEEvT1_
	.globl	_ZN7rocprim17ROCPRIM_400000_NS6detail17trampoline_kernelINS0_14default_configENS1_27scan_by_key_config_selectorIidEEZZNS1_16scan_by_key_implILNS1_25lookback_scan_determinismE0ELb0ES3_N6thrust23THRUST_200600_302600_NS6detail15normal_iteratorINS9_10device_ptrIiEEEENSB_INSC_IdEEEESG_dNS9_4plusIvEENS9_8equal_toIvEEdEE10hipError_tPvRmT2_T3_T4_T5_mT6_T7_P12ihipStream_tbENKUlT_T0_E_clISt17integral_constantIbLb1EES11_EEDaSW_SX_EUlSW_E_NS1_11comp_targetILNS1_3genE2ELNS1_11target_archE906ELNS1_3gpuE6ELNS1_3repE0EEENS1_30default_config_static_selectorELNS0_4arch9wavefront6targetE0EEEvT1_
	.p2align	8
	.type	_ZN7rocprim17ROCPRIM_400000_NS6detail17trampoline_kernelINS0_14default_configENS1_27scan_by_key_config_selectorIidEEZZNS1_16scan_by_key_implILNS1_25lookback_scan_determinismE0ELb0ES3_N6thrust23THRUST_200600_302600_NS6detail15normal_iteratorINS9_10device_ptrIiEEEENSB_INSC_IdEEEESG_dNS9_4plusIvEENS9_8equal_toIvEEdEE10hipError_tPvRmT2_T3_T4_T5_mT6_T7_P12ihipStream_tbENKUlT_T0_E_clISt17integral_constantIbLb1EES11_EEDaSW_SX_EUlSW_E_NS1_11comp_targetILNS1_3genE2ELNS1_11target_archE906ELNS1_3gpuE6ELNS1_3repE0EEENS1_30default_config_static_selectorELNS0_4arch9wavefront6targetE0EEEvT1_,@function
_ZN7rocprim17ROCPRIM_400000_NS6detail17trampoline_kernelINS0_14default_configENS1_27scan_by_key_config_selectorIidEEZZNS1_16scan_by_key_implILNS1_25lookback_scan_determinismE0ELb0ES3_N6thrust23THRUST_200600_302600_NS6detail15normal_iteratorINS9_10device_ptrIiEEEENSB_INSC_IdEEEESG_dNS9_4plusIvEENS9_8equal_toIvEEdEE10hipError_tPvRmT2_T3_T4_T5_mT6_T7_P12ihipStream_tbENKUlT_T0_E_clISt17integral_constantIbLb1EES11_EEDaSW_SX_EUlSW_E_NS1_11comp_targetILNS1_3genE2ELNS1_11target_archE906ELNS1_3gpuE6ELNS1_3repE0EEENS1_30default_config_static_selectorELNS0_4arch9wavefront6targetE0EEEvT1_: ; @_ZN7rocprim17ROCPRIM_400000_NS6detail17trampoline_kernelINS0_14default_configENS1_27scan_by_key_config_selectorIidEEZZNS1_16scan_by_key_implILNS1_25lookback_scan_determinismE0ELb0ES3_N6thrust23THRUST_200600_302600_NS6detail15normal_iteratorINS9_10device_ptrIiEEEENSB_INSC_IdEEEESG_dNS9_4plusIvEENS9_8equal_toIvEEdEE10hipError_tPvRmT2_T3_T4_T5_mT6_T7_P12ihipStream_tbENKUlT_T0_E_clISt17integral_constantIbLb1EES11_EEDaSW_SX_EUlSW_E_NS1_11comp_targetILNS1_3genE2ELNS1_11target_archE906ELNS1_3gpuE6ELNS1_3repE0EEENS1_30default_config_static_selectorELNS0_4arch9wavefront6targetE0EEEvT1_
; %bb.0:
	.section	.rodata,"a",@progbits
	.p2align	6, 0x0
	.amdhsa_kernel _ZN7rocprim17ROCPRIM_400000_NS6detail17trampoline_kernelINS0_14default_configENS1_27scan_by_key_config_selectorIidEEZZNS1_16scan_by_key_implILNS1_25lookback_scan_determinismE0ELb0ES3_N6thrust23THRUST_200600_302600_NS6detail15normal_iteratorINS9_10device_ptrIiEEEENSB_INSC_IdEEEESG_dNS9_4plusIvEENS9_8equal_toIvEEdEE10hipError_tPvRmT2_T3_T4_T5_mT6_T7_P12ihipStream_tbENKUlT_T0_E_clISt17integral_constantIbLb1EES11_EEDaSW_SX_EUlSW_E_NS1_11comp_targetILNS1_3genE2ELNS1_11target_archE906ELNS1_3gpuE6ELNS1_3repE0EEENS1_30default_config_static_selectorELNS0_4arch9wavefront6targetE0EEEvT1_
		.amdhsa_group_segment_fixed_size 0
		.amdhsa_private_segment_fixed_size 0
		.amdhsa_kernarg_size 136
		.amdhsa_user_sgpr_count 6
		.amdhsa_user_sgpr_private_segment_buffer 1
		.amdhsa_user_sgpr_dispatch_ptr 0
		.amdhsa_user_sgpr_queue_ptr 0
		.amdhsa_user_sgpr_kernarg_segment_ptr 1
		.amdhsa_user_sgpr_dispatch_id 0
		.amdhsa_user_sgpr_flat_scratch_init 0
		.amdhsa_user_sgpr_private_segment_size 0
		.amdhsa_wavefront_size32 1
		.amdhsa_uses_dynamic_stack 0
		.amdhsa_system_sgpr_private_segment_wavefront_offset 0
		.amdhsa_system_sgpr_workgroup_id_x 1
		.amdhsa_system_sgpr_workgroup_id_y 0
		.amdhsa_system_sgpr_workgroup_id_z 0
		.amdhsa_system_sgpr_workgroup_info 0
		.amdhsa_system_vgpr_workitem_id 0
		.amdhsa_next_free_vgpr 1
		.amdhsa_next_free_sgpr 1
		.amdhsa_reserve_vcc 0
		.amdhsa_reserve_flat_scratch 0
		.amdhsa_float_round_mode_32 0
		.amdhsa_float_round_mode_16_64 0
		.amdhsa_float_denorm_mode_32 3
		.amdhsa_float_denorm_mode_16_64 3
		.amdhsa_dx10_clamp 1
		.amdhsa_ieee_mode 1
		.amdhsa_fp16_overflow 0
		.amdhsa_workgroup_processor_mode 1
		.amdhsa_memory_ordered 1
		.amdhsa_forward_progress 1
		.amdhsa_shared_vgpr_count 0
		.amdhsa_exception_fp_ieee_invalid_op 0
		.amdhsa_exception_fp_denorm_src 0
		.amdhsa_exception_fp_ieee_div_zero 0
		.amdhsa_exception_fp_ieee_overflow 0
		.amdhsa_exception_fp_ieee_underflow 0
		.amdhsa_exception_fp_ieee_inexact 0
		.amdhsa_exception_int_div_zero 0
	.end_amdhsa_kernel
	.section	.text._ZN7rocprim17ROCPRIM_400000_NS6detail17trampoline_kernelINS0_14default_configENS1_27scan_by_key_config_selectorIidEEZZNS1_16scan_by_key_implILNS1_25lookback_scan_determinismE0ELb0ES3_N6thrust23THRUST_200600_302600_NS6detail15normal_iteratorINS9_10device_ptrIiEEEENSB_INSC_IdEEEESG_dNS9_4plusIvEENS9_8equal_toIvEEdEE10hipError_tPvRmT2_T3_T4_T5_mT6_T7_P12ihipStream_tbENKUlT_T0_E_clISt17integral_constantIbLb1EES11_EEDaSW_SX_EUlSW_E_NS1_11comp_targetILNS1_3genE2ELNS1_11target_archE906ELNS1_3gpuE6ELNS1_3repE0EEENS1_30default_config_static_selectorELNS0_4arch9wavefront6targetE0EEEvT1_,"axG",@progbits,_ZN7rocprim17ROCPRIM_400000_NS6detail17trampoline_kernelINS0_14default_configENS1_27scan_by_key_config_selectorIidEEZZNS1_16scan_by_key_implILNS1_25lookback_scan_determinismE0ELb0ES3_N6thrust23THRUST_200600_302600_NS6detail15normal_iteratorINS9_10device_ptrIiEEEENSB_INSC_IdEEEESG_dNS9_4plusIvEENS9_8equal_toIvEEdEE10hipError_tPvRmT2_T3_T4_T5_mT6_T7_P12ihipStream_tbENKUlT_T0_E_clISt17integral_constantIbLb1EES11_EEDaSW_SX_EUlSW_E_NS1_11comp_targetILNS1_3genE2ELNS1_11target_archE906ELNS1_3gpuE6ELNS1_3repE0EEENS1_30default_config_static_selectorELNS0_4arch9wavefront6targetE0EEEvT1_,comdat
.Lfunc_end1101:
	.size	_ZN7rocprim17ROCPRIM_400000_NS6detail17trampoline_kernelINS0_14default_configENS1_27scan_by_key_config_selectorIidEEZZNS1_16scan_by_key_implILNS1_25lookback_scan_determinismE0ELb0ES3_N6thrust23THRUST_200600_302600_NS6detail15normal_iteratorINS9_10device_ptrIiEEEENSB_INSC_IdEEEESG_dNS9_4plusIvEENS9_8equal_toIvEEdEE10hipError_tPvRmT2_T3_T4_T5_mT6_T7_P12ihipStream_tbENKUlT_T0_E_clISt17integral_constantIbLb1EES11_EEDaSW_SX_EUlSW_E_NS1_11comp_targetILNS1_3genE2ELNS1_11target_archE906ELNS1_3gpuE6ELNS1_3repE0EEENS1_30default_config_static_selectorELNS0_4arch9wavefront6targetE0EEEvT1_, .Lfunc_end1101-_ZN7rocprim17ROCPRIM_400000_NS6detail17trampoline_kernelINS0_14default_configENS1_27scan_by_key_config_selectorIidEEZZNS1_16scan_by_key_implILNS1_25lookback_scan_determinismE0ELb0ES3_N6thrust23THRUST_200600_302600_NS6detail15normal_iteratorINS9_10device_ptrIiEEEENSB_INSC_IdEEEESG_dNS9_4plusIvEENS9_8equal_toIvEEdEE10hipError_tPvRmT2_T3_T4_T5_mT6_T7_P12ihipStream_tbENKUlT_T0_E_clISt17integral_constantIbLb1EES11_EEDaSW_SX_EUlSW_E_NS1_11comp_targetILNS1_3genE2ELNS1_11target_archE906ELNS1_3gpuE6ELNS1_3repE0EEENS1_30default_config_static_selectorELNS0_4arch9wavefront6targetE0EEEvT1_
                                        ; -- End function
	.set _ZN7rocprim17ROCPRIM_400000_NS6detail17trampoline_kernelINS0_14default_configENS1_27scan_by_key_config_selectorIidEEZZNS1_16scan_by_key_implILNS1_25lookback_scan_determinismE0ELb0ES3_N6thrust23THRUST_200600_302600_NS6detail15normal_iteratorINS9_10device_ptrIiEEEENSB_INSC_IdEEEESG_dNS9_4plusIvEENS9_8equal_toIvEEdEE10hipError_tPvRmT2_T3_T4_T5_mT6_T7_P12ihipStream_tbENKUlT_T0_E_clISt17integral_constantIbLb1EES11_EEDaSW_SX_EUlSW_E_NS1_11comp_targetILNS1_3genE2ELNS1_11target_archE906ELNS1_3gpuE6ELNS1_3repE0EEENS1_30default_config_static_selectorELNS0_4arch9wavefront6targetE0EEEvT1_.num_vgpr, 0
	.set _ZN7rocprim17ROCPRIM_400000_NS6detail17trampoline_kernelINS0_14default_configENS1_27scan_by_key_config_selectorIidEEZZNS1_16scan_by_key_implILNS1_25lookback_scan_determinismE0ELb0ES3_N6thrust23THRUST_200600_302600_NS6detail15normal_iteratorINS9_10device_ptrIiEEEENSB_INSC_IdEEEESG_dNS9_4plusIvEENS9_8equal_toIvEEdEE10hipError_tPvRmT2_T3_T4_T5_mT6_T7_P12ihipStream_tbENKUlT_T0_E_clISt17integral_constantIbLb1EES11_EEDaSW_SX_EUlSW_E_NS1_11comp_targetILNS1_3genE2ELNS1_11target_archE906ELNS1_3gpuE6ELNS1_3repE0EEENS1_30default_config_static_selectorELNS0_4arch9wavefront6targetE0EEEvT1_.num_agpr, 0
	.set _ZN7rocprim17ROCPRIM_400000_NS6detail17trampoline_kernelINS0_14default_configENS1_27scan_by_key_config_selectorIidEEZZNS1_16scan_by_key_implILNS1_25lookback_scan_determinismE0ELb0ES3_N6thrust23THRUST_200600_302600_NS6detail15normal_iteratorINS9_10device_ptrIiEEEENSB_INSC_IdEEEESG_dNS9_4plusIvEENS9_8equal_toIvEEdEE10hipError_tPvRmT2_T3_T4_T5_mT6_T7_P12ihipStream_tbENKUlT_T0_E_clISt17integral_constantIbLb1EES11_EEDaSW_SX_EUlSW_E_NS1_11comp_targetILNS1_3genE2ELNS1_11target_archE906ELNS1_3gpuE6ELNS1_3repE0EEENS1_30default_config_static_selectorELNS0_4arch9wavefront6targetE0EEEvT1_.numbered_sgpr, 0
	.set _ZN7rocprim17ROCPRIM_400000_NS6detail17trampoline_kernelINS0_14default_configENS1_27scan_by_key_config_selectorIidEEZZNS1_16scan_by_key_implILNS1_25lookback_scan_determinismE0ELb0ES3_N6thrust23THRUST_200600_302600_NS6detail15normal_iteratorINS9_10device_ptrIiEEEENSB_INSC_IdEEEESG_dNS9_4plusIvEENS9_8equal_toIvEEdEE10hipError_tPvRmT2_T3_T4_T5_mT6_T7_P12ihipStream_tbENKUlT_T0_E_clISt17integral_constantIbLb1EES11_EEDaSW_SX_EUlSW_E_NS1_11comp_targetILNS1_3genE2ELNS1_11target_archE906ELNS1_3gpuE6ELNS1_3repE0EEENS1_30default_config_static_selectorELNS0_4arch9wavefront6targetE0EEEvT1_.num_named_barrier, 0
	.set _ZN7rocprim17ROCPRIM_400000_NS6detail17trampoline_kernelINS0_14default_configENS1_27scan_by_key_config_selectorIidEEZZNS1_16scan_by_key_implILNS1_25lookback_scan_determinismE0ELb0ES3_N6thrust23THRUST_200600_302600_NS6detail15normal_iteratorINS9_10device_ptrIiEEEENSB_INSC_IdEEEESG_dNS9_4plusIvEENS9_8equal_toIvEEdEE10hipError_tPvRmT2_T3_T4_T5_mT6_T7_P12ihipStream_tbENKUlT_T0_E_clISt17integral_constantIbLb1EES11_EEDaSW_SX_EUlSW_E_NS1_11comp_targetILNS1_3genE2ELNS1_11target_archE906ELNS1_3gpuE6ELNS1_3repE0EEENS1_30default_config_static_selectorELNS0_4arch9wavefront6targetE0EEEvT1_.private_seg_size, 0
	.set _ZN7rocprim17ROCPRIM_400000_NS6detail17trampoline_kernelINS0_14default_configENS1_27scan_by_key_config_selectorIidEEZZNS1_16scan_by_key_implILNS1_25lookback_scan_determinismE0ELb0ES3_N6thrust23THRUST_200600_302600_NS6detail15normal_iteratorINS9_10device_ptrIiEEEENSB_INSC_IdEEEESG_dNS9_4plusIvEENS9_8equal_toIvEEdEE10hipError_tPvRmT2_T3_T4_T5_mT6_T7_P12ihipStream_tbENKUlT_T0_E_clISt17integral_constantIbLb1EES11_EEDaSW_SX_EUlSW_E_NS1_11comp_targetILNS1_3genE2ELNS1_11target_archE906ELNS1_3gpuE6ELNS1_3repE0EEENS1_30default_config_static_selectorELNS0_4arch9wavefront6targetE0EEEvT1_.uses_vcc, 0
	.set _ZN7rocprim17ROCPRIM_400000_NS6detail17trampoline_kernelINS0_14default_configENS1_27scan_by_key_config_selectorIidEEZZNS1_16scan_by_key_implILNS1_25lookback_scan_determinismE0ELb0ES3_N6thrust23THRUST_200600_302600_NS6detail15normal_iteratorINS9_10device_ptrIiEEEENSB_INSC_IdEEEESG_dNS9_4plusIvEENS9_8equal_toIvEEdEE10hipError_tPvRmT2_T3_T4_T5_mT6_T7_P12ihipStream_tbENKUlT_T0_E_clISt17integral_constantIbLb1EES11_EEDaSW_SX_EUlSW_E_NS1_11comp_targetILNS1_3genE2ELNS1_11target_archE906ELNS1_3gpuE6ELNS1_3repE0EEENS1_30default_config_static_selectorELNS0_4arch9wavefront6targetE0EEEvT1_.uses_flat_scratch, 0
	.set _ZN7rocprim17ROCPRIM_400000_NS6detail17trampoline_kernelINS0_14default_configENS1_27scan_by_key_config_selectorIidEEZZNS1_16scan_by_key_implILNS1_25lookback_scan_determinismE0ELb0ES3_N6thrust23THRUST_200600_302600_NS6detail15normal_iteratorINS9_10device_ptrIiEEEENSB_INSC_IdEEEESG_dNS9_4plusIvEENS9_8equal_toIvEEdEE10hipError_tPvRmT2_T3_T4_T5_mT6_T7_P12ihipStream_tbENKUlT_T0_E_clISt17integral_constantIbLb1EES11_EEDaSW_SX_EUlSW_E_NS1_11comp_targetILNS1_3genE2ELNS1_11target_archE906ELNS1_3gpuE6ELNS1_3repE0EEENS1_30default_config_static_selectorELNS0_4arch9wavefront6targetE0EEEvT1_.has_dyn_sized_stack, 0
	.set _ZN7rocprim17ROCPRIM_400000_NS6detail17trampoline_kernelINS0_14default_configENS1_27scan_by_key_config_selectorIidEEZZNS1_16scan_by_key_implILNS1_25lookback_scan_determinismE0ELb0ES3_N6thrust23THRUST_200600_302600_NS6detail15normal_iteratorINS9_10device_ptrIiEEEENSB_INSC_IdEEEESG_dNS9_4plusIvEENS9_8equal_toIvEEdEE10hipError_tPvRmT2_T3_T4_T5_mT6_T7_P12ihipStream_tbENKUlT_T0_E_clISt17integral_constantIbLb1EES11_EEDaSW_SX_EUlSW_E_NS1_11comp_targetILNS1_3genE2ELNS1_11target_archE906ELNS1_3gpuE6ELNS1_3repE0EEENS1_30default_config_static_selectorELNS0_4arch9wavefront6targetE0EEEvT1_.has_recursion, 0
	.set _ZN7rocprim17ROCPRIM_400000_NS6detail17trampoline_kernelINS0_14default_configENS1_27scan_by_key_config_selectorIidEEZZNS1_16scan_by_key_implILNS1_25lookback_scan_determinismE0ELb0ES3_N6thrust23THRUST_200600_302600_NS6detail15normal_iteratorINS9_10device_ptrIiEEEENSB_INSC_IdEEEESG_dNS9_4plusIvEENS9_8equal_toIvEEdEE10hipError_tPvRmT2_T3_T4_T5_mT6_T7_P12ihipStream_tbENKUlT_T0_E_clISt17integral_constantIbLb1EES11_EEDaSW_SX_EUlSW_E_NS1_11comp_targetILNS1_3genE2ELNS1_11target_archE906ELNS1_3gpuE6ELNS1_3repE0EEENS1_30default_config_static_selectorELNS0_4arch9wavefront6targetE0EEEvT1_.has_indirect_call, 0
	.section	.AMDGPU.csdata,"",@progbits
; Kernel info:
; codeLenInByte = 0
; TotalNumSgprs: 0
; NumVgprs: 0
; ScratchSize: 0
; MemoryBound: 0
; FloatMode: 240
; IeeeMode: 1
; LDSByteSize: 0 bytes/workgroup (compile time only)
; SGPRBlocks: 0
; VGPRBlocks: 0
; NumSGPRsForWavesPerEU: 1
; NumVGPRsForWavesPerEU: 1
; Occupancy: 16
; WaveLimiterHint : 0
; COMPUTE_PGM_RSRC2:SCRATCH_EN: 0
; COMPUTE_PGM_RSRC2:USER_SGPR: 6
; COMPUTE_PGM_RSRC2:TRAP_HANDLER: 0
; COMPUTE_PGM_RSRC2:TGID_X_EN: 1
; COMPUTE_PGM_RSRC2:TGID_Y_EN: 0
; COMPUTE_PGM_RSRC2:TGID_Z_EN: 0
; COMPUTE_PGM_RSRC2:TIDIG_COMP_CNT: 0
	.section	.text._ZN7rocprim17ROCPRIM_400000_NS6detail17trampoline_kernelINS0_14default_configENS1_27scan_by_key_config_selectorIidEEZZNS1_16scan_by_key_implILNS1_25lookback_scan_determinismE0ELb0ES3_N6thrust23THRUST_200600_302600_NS6detail15normal_iteratorINS9_10device_ptrIiEEEENSB_INSC_IdEEEESG_dNS9_4plusIvEENS9_8equal_toIvEEdEE10hipError_tPvRmT2_T3_T4_T5_mT6_T7_P12ihipStream_tbENKUlT_T0_E_clISt17integral_constantIbLb1EES11_EEDaSW_SX_EUlSW_E_NS1_11comp_targetILNS1_3genE10ELNS1_11target_archE1200ELNS1_3gpuE4ELNS1_3repE0EEENS1_30default_config_static_selectorELNS0_4arch9wavefront6targetE0EEEvT1_,"axG",@progbits,_ZN7rocprim17ROCPRIM_400000_NS6detail17trampoline_kernelINS0_14default_configENS1_27scan_by_key_config_selectorIidEEZZNS1_16scan_by_key_implILNS1_25lookback_scan_determinismE0ELb0ES3_N6thrust23THRUST_200600_302600_NS6detail15normal_iteratorINS9_10device_ptrIiEEEENSB_INSC_IdEEEESG_dNS9_4plusIvEENS9_8equal_toIvEEdEE10hipError_tPvRmT2_T3_T4_T5_mT6_T7_P12ihipStream_tbENKUlT_T0_E_clISt17integral_constantIbLb1EES11_EEDaSW_SX_EUlSW_E_NS1_11comp_targetILNS1_3genE10ELNS1_11target_archE1200ELNS1_3gpuE4ELNS1_3repE0EEENS1_30default_config_static_selectorELNS0_4arch9wavefront6targetE0EEEvT1_,comdat
	.protected	_ZN7rocprim17ROCPRIM_400000_NS6detail17trampoline_kernelINS0_14default_configENS1_27scan_by_key_config_selectorIidEEZZNS1_16scan_by_key_implILNS1_25lookback_scan_determinismE0ELb0ES3_N6thrust23THRUST_200600_302600_NS6detail15normal_iteratorINS9_10device_ptrIiEEEENSB_INSC_IdEEEESG_dNS9_4plusIvEENS9_8equal_toIvEEdEE10hipError_tPvRmT2_T3_T4_T5_mT6_T7_P12ihipStream_tbENKUlT_T0_E_clISt17integral_constantIbLb1EES11_EEDaSW_SX_EUlSW_E_NS1_11comp_targetILNS1_3genE10ELNS1_11target_archE1200ELNS1_3gpuE4ELNS1_3repE0EEENS1_30default_config_static_selectorELNS0_4arch9wavefront6targetE0EEEvT1_ ; -- Begin function _ZN7rocprim17ROCPRIM_400000_NS6detail17trampoline_kernelINS0_14default_configENS1_27scan_by_key_config_selectorIidEEZZNS1_16scan_by_key_implILNS1_25lookback_scan_determinismE0ELb0ES3_N6thrust23THRUST_200600_302600_NS6detail15normal_iteratorINS9_10device_ptrIiEEEENSB_INSC_IdEEEESG_dNS9_4plusIvEENS9_8equal_toIvEEdEE10hipError_tPvRmT2_T3_T4_T5_mT6_T7_P12ihipStream_tbENKUlT_T0_E_clISt17integral_constantIbLb1EES11_EEDaSW_SX_EUlSW_E_NS1_11comp_targetILNS1_3genE10ELNS1_11target_archE1200ELNS1_3gpuE4ELNS1_3repE0EEENS1_30default_config_static_selectorELNS0_4arch9wavefront6targetE0EEEvT1_
	.globl	_ZN7rocprim17ROCPRIM_400000_NS6detail17trampoline_kernelINS0_14default_configENS1_27scan_by_key_config_selectorIidEEZZNS1_16scan_by_key_implILNS1_25lookback_scan_determinismE0ELb0ES3_N6thrust23THRUST_200600_302600_NS6detail15normal_iteratorINS9_10device_ptrIiEEEENSB_INSC_IdEEEESG_dNS9_4plusIvEENS9_8equal_toIvEEdEE10hipError_tPvRmT2_T3_T4_T5_mT6_T7_P12ihipStream_tbENKUlT_T0_E_clISt17integral_constantIbLb1EES11_EEDaSW_SX_EUlSW_E_NS1_11comp_targetILNS1_3genE10ELNS1_11target_archE1200ELNS1_3gpuE4ELNS1_3repE0EEENS1_30default_config_static_selectorELNS0_4arch9wavefront6targetE0EEEvT1_
	.p2align	8
	.type	_ZN7rocprim17ROCPRIM_400000_NS6detail17trampoline_kernelINS0_14default_configENS1_27scan_by_key_config_selectorIidEEZZNS1_16scan_by_key_implILNS1_25lookback_scan_determinismE0ELb0ES3_N6thrust23THRUST_200600_302600_NS6detail15normal_iteratorINS9_10device_ptrIiEEEENSB_INSC_IdEEEESG_dNS9_4plusIvEENS9_8equal_toIvEEdEE10hipError_tPvRmT2_T3_T4_T5_mT6_T7_P12ihipStream_tbENKUlT_T0_E_clISt17integral_constantIbLb1EES11_EEDaSW_SX_EUlSW_E_NS1_11comp_targetILNS1_3genE10ELNS1_11target_archE1200ELNS1_3gpuE4ELNS1_3repE0EEENS1_30default_config_static_selectorELNS0_4arch9wavefront6targetE0EEEvT1_,@function
_ZN7rocprim17ROCPRIM_400000_NS6detail17trampoline_kernelINS0_14default_configENS1_27scan_by_key_config_selectorIidEEZZNS1_16scan_by_key_implILNS1_25lookback_scan_determinismE0ELb0ES3_N6thrust23THRUST_200600_302600_NS6detail15normal_iteratorINS9_10device_ptrIiEEEENSB_INSC_IdEEEESG_dNS9_4plusIvEENS9_8equal_toIvEEdEE10hipError_tPvRmT2_T3_T4_T5_mT6_T7_P12ihipStream_tbENKUlT_T0_E_clISt17integral_constantIbLb1EES11_EEDaSW_SX_EUlSW_E_NS1_11comp_targetILNS1_3genE10ELNS1_11target_archE1200ELNS1_3gpuE4ELNS1_3repE0EEENS1_30default_config_static_selectorELNS0_4arch9wavefront6targetE0EEEvT1_: ; @_ZN7rocprim17ROCPRIM_400000_NS6detail17trampoline_kernelINS0_14default_configENS1_27scan_by_key_config_selectorIidEEZZNS1_16scan_by_key_implILNS1_25lookback_scan_determinismE0ELb0ES3_N6thrust23THRUST_200600_302600_NS6detail15normal_iteratorINS9_10device_ptrIiEEEENSB_INSC_IdEEEESG_dNS9_4plusIvEENS9_8equal_toIvEEdEE10hipError_tPvRmT2_T3_T4_T5_mT6_T7_P12ihipStream_tbENKUlT_T0_E_clISt17integral_constantIbLb1EES11_EEDaSW_SX_EUlSW_E_NS1_11comp_targetILNS1_3genE10ELNS1_11target_archE1200ELNS1_3gpuE4ELNS1_3repE0EEENS1_30default_config_static_selectorELNS0_4arch9wavefront6targetE0EEEvT1_
; %bb.0:
	.section	.rodata,"a",@progbits
	.p2align	6, 0x0
	.amdhsa_kernel _ZN7rocprim17ROCPRIM_400000_NS6detail17trampoline_kernelINS0_14default_configENS1_27scan_by_key_config_selectorIidEEZZNS1_16scan_by_key_implILNS1_25lookback_scan_determinismE0ELb0ES3_N6thrust23THRUST_200600_302600_NS6detail15normal_iteratorINS9_10device_ptrIiEEEENSB_INSC_IdEEEESG_dNS9_4plusIvEENS9_8equal_toIvEEdEE10hipError_tPvRmT2_T3_T4_T5_mT6_T7_P12ihipStream_tbENKUlT_T0_E_clISt17integral_constantIbLb1EES11_EEDaSW_SX_EUlSW_E_NS1_11comp_targetILNS1_3genE10ELNS1_11target_archE1200ELNS1_3gpuE4ELNS1_3repE0EEENS1_30default_config_static_selectorELNS0_4arch9wavefront6targetE0EEEvT1_
		.amdhsa_group_segment_fixed_size 0
		.amdhsa_private_segment_fixed_size 0
		.amdhsa_kernarg_size 136
		.amdhsa_user_sgpr_count 6
		.amdhsa_user_sgpr_private_segment_buffer 1
		.amdhsa_user_sgpr_dispatch_ptr 0
		.amdhsa_user_sgpr_queue_ptr 0
		.amdhsa_user_sgpr_kernarg_segment_ptr 1
		.amdhsa_user_sgpr_dispatch_id 0
		.amdhsa_user_sgpr_flat_scratch_init 0
		.amdhsa_user_sgpr_private_segment_size 0
		.amdhsa_wavefront_size32 1
		.amdhsa_uses_dynamic_stack 0
		.amdhsa_system_sgpr_private_segment_wavefront_offset 0
		.amdhsa_system_sgpr_workgroup_id_x 1
		.amdhsa_system_sgpr_workgroup_id_y 0
		.amdhsa_system_sgpr_workgroup_id_z 0
		.amdhsa_system_sgpr_workgroup_info 0
		.amdhsa_system_vgpr_workitem_id 0
		.amdhsa_next_free_vgpr 1
		.amdhsa_next_free_sgpr 1
		.amdhsa_reserve_vcc 0
		.amdhsa_reserve_flat_scratch 0
		.amdhsa_float_round_mode_32 0
		.amdhsa_float_round_mode_16_64 0
		.amdhsa_float_denorm_mode_32 3
		.amdhsa_float_denorm_mode_16_64 3
		.amdhsa_dx10_clamp 1
		.amdhsa_ieee_mode 1
		.amdhsa_fp16_overflow 0
		.amdhsa_workgroup_processor_mode 1
		.amdhsa_memory_ordered 1
		.amdhsa_forward_progress 1
		.amdhsa_shared_vgpr_count 0
		.amdhsa_exception_fp_ieee_invalid_op 0
		.amdhsa_exception_fp_denorm_src 0
		.amdhsa_exception_fp_ieee_div_zero 0
		.amdhsa_exception_fp_ieee_overflow 0
		.amdhsa_exception_fp_ieee_underflow 0
		.amdhsa_exception_fp_ieee_inexact 0
		.amdhsa_exception_int_div_zero 0
	.end_amdhsa_kernel
	.section	.text._ZN7rocprim17ROCPRIM_400000_NS6detail17trampoline_kernelINS0_14default_configENS1_27scan_by_key_config_selectorIidEEZZNS1_16scan_by_key_implILNS1_25lookback_scan_determinismE0ELb0ES3_N6thrust23THRUST_200600_302600_NS6detail15normal_iteratorINS9_10device_ptrIiEEEENSB_INSC_IdEEEESG_dNS9_4plusIvEENS9_8equal_toIvEEdEE10hipError_tPvRmT2_T3_T4_T5_mT6_T7_P12ihipStream_tbENKUlT_T0_E_clISt17integral_constantIbLb1EES11_EEDaSW_SX_EUlSW_E_NS1_11comp_targetILNS1_3genE10ELNS1_11target_archE1200ELNS1_3gpuE4ELNS1_3repE0EEENS1_30default_config_static_selectorELNS0_4arch9wavefront6targetE0EEEvT1_,"axG",@progbits,_ZN7rocprim17ROCPRIM_400000_NS6detail17trampoline_kernelINS0_14default_configENS1_27scan_by_key_config_selectorIidEEZZNS1_16scan_by_key_implILNS1_25lookback_scan_determinismE0ELb0ES3_N6thrust23THRUST_200600_302600_NS6detail15normal_iteratorINS9_10device_ptrIiEEEENSB_INSC_IdEEEESG_dNS9_4plusIvEENS9_8equal_toIvEEdEE10hipError_tPvRmT2_T3_T4_T5_mT6_T7_P12ihipStream_tbENKUlT_T0_E_clISt17integral_constantIbLb1EES11_EEDaSW_SX_EUlSW_E_NS1_11comp_targetILNS1_3genE10ELNS1_11target_archE1200ELNS1_3gpuE4ELNS1_3repE0EEENS1_30default_config_static_selectorELNS0_4arch9wavefront6targetE0EEEvT1_,comdat
.Lfunc_end1102:
	.size	_ZN7rocprim17ROCPRIM_400000_NS6detail17trampoline_kernelINS0_14default_configENS1_27scan_by_key_config_selectorIidEEZZNS1_16scan_by_key_implILNS1_25lookback_scan_determinismE0ELb0ES3_N6thrust23THRUST_200600_302600_NS6detail15normal_iteratorINS9_10device_ptrIiEEEENSB_INSC_IdEEEESG_dNS9_4plusIvEENS9_8equal_toIvEEdEE10hipError_tPvRmT2_T3_T4_T5_mT6_T7_P12ihipStream_tbENKUlT_T0_E_clISt17integral_constantIbLb1EES11_EEDaSW_SX_EUlSW_E_NS1_11comp_targetILNS1_3genE10ELNS1_11target_archE1200ELNS1_3gpuE4ELNS1_3repE0EEENS1_30default_config_static_selectorELNS0_4arch9wavefront6targetE0EEEvT1_, .Lfunc_end1102-_ZN7rocprim17ROCPRIM_400000_NS6detail17trampoline_kernelINS0_14default_configENS1_27scan_by_key_config_selectorIidEEZZNS1_16scan_by_key_implILNS1_25lookback_scan_determinismE0ELb0ES3_N6thrust23THRUST_200600_302600_NS6detail15normal_iteratorINS9_10device_ptrIiEEEENSB_INSC_IdEEEESG_dNS9_4plusIvEENS9_8equal_toIvEEdEE10hipError_tPvRmT2_T3_T4_T5_mT6_T7_P12ihipStream_tbENKUlT_T0_E_clISt17integral_constantIbLb1EES11_EEDaSW_SX_EUlSW_E_NS1_11comp_targetILNS1_3genE10ELNS1_11target_archE1200ELNS1_3gpuE4ELNS1_3repE0EEENS1_30default_config_static_selectorELNS0_4arch9wavefront6targetE0EEEvT1_
                                        ; -- End function
	.set _ZN7rocprim17ROCPRIM_400000_NS6detail17trampoline_kernelINS0_14default_configENS1_27scan_by_key_config_selectorIidEEZZNS1_16scan_by_key_implILNS1_25lookback_scan_determinismE0ELb0ES3_N6thrust23THRUST_200600_302600_NS6detail15normal_iteratorINS9_10device_ptrIiEEEENSB_INSC_IdEEEESG_dNS9_4plusIvEENS9_8equal_toIvEEdEE10hipError_tPvRmT2_T3_T4_T5_mT6_T7_P12ihipStream_tbENKUlT_T0_E_clISt17integral_constantIbLb1EES11_EEDaSW_SX_EUlSW_E_NS1_11comp_targetILNS1_3genE10ELNS1_11target_archE1200ELNS1_3gpuE4ELNS1_3repE0EEENS1_30default_config_static_selectorELNS0_4arch9wavefront6targetE0EEEvT1_.num_vgpr, 0
	.set _ZN7rocprim17ROCPRIM_400000_NS6detail17trampoline_kernelINS0_14default_configENS1_27scan_by_key_config_selectorIidEEZZNS1_16scan_by_key_implILNS1_25lookback_scan_determinismE0ELb0ES3_N6thrust23THRUST_200600_302600_NS6detail15normal_iteratorINS9_10device_ptrIiEEEENSB_INSC_IdEEEESG_dNS9_4plusIvEENS9_8equal_toIvEEdEE10hipError_tPvRmT2_T3_T4_T5_mT6_T7_P12ihipStream_tbENKUlT_T0_E_clISt17integral_constantIbLb1EES11_EEDaSW_SX_EUlSW_E_NS1_11comp_targetILNS1_3genE10ELNS1_11target_archE1200ELNS1_3gpuE4ELNS1_3repE0EEENS1_30default_config_static_selectorELNS0_4arch9wavefront6targetE0EEEvT1_.num_agpr, 0
	.set _ZN7rocprim17ROCPRIM_400000_NS6detail17trampoline_kernelINS0_14default_configENS1_27scan_by_key_config_selectorIidEEZZNS1_16scan_by_key_implILNS1_25lookback_scan_determinismE0ELb0ES3_N6thrust23THRUST_200600_302600_NS6detail15normal_iteratorINS9_10device_ptrIiEEEENSB_INSC_IdEEEESG_dNS9_4plusIvEENS9_8equal_toIvEEdEE10hipError_tPvRmT2_T3_T4_T5_mT6_T7_P12ihipStream_tbENKUlT_T0_E_clISt17integral_constantIbLb1EES11_EEDaSW_SX_EUlSW_E_NS1_11comp_targetILNS1_3genE10ELNS1_11target_archE1200ELNS1_3gpuE4ELNS1_3repE0EEENS1_30default_config_static_selectorELNS0_4arch9wavefront6targetE0EEEvT1_.numbered_sgpr, 0
	.set _ZN7rocprim17ROCPRIM_400000_NS6detail17trampoline_kernelINS0_14default_configENS1_27scan_by_key_config_selectorIidEEZZNS1_16scan_by_key_implILNS1_25lookback_scan_determinismE0ELb0ES3_N6thrust23THRUST_200600_302600_NS6detail15normal_iteratorINS9_10device_ptrIiEEEENSB_INSC_IdEEEESG_dNS9_4plusIvEENS9_8equal_toIvEEdEE10hipError_tPvRmT2_T3_T4_T5_mT6_T7_P12ihipStream_tbENKUlT_T0_E_clISt17integral_constantIbLb1EES11_EEDaSW_SX_EUlSW_E_NS1_11comp_targetILNS1_3genE10ELNS1_11target_archE1200ELNS1_3gpuE4ELNS1_3repE0EEENS1_30default_config_static_selectorELNS0_4arch9wavefront6targetE0EEEvT1_.num_named_barrier, 0
	.set _ZN7rocprim17ROCPRIM_400000_NS6detail17trampoline_kernelINS0_14default_configENS1_27scan_by_key_config_selectorIidEEZZNS1_16scan_by_key_implILNS1_25lookback_scan_determinismE0ELb0ES3_N6thrust23THRUST_200600_302600_NS6detail15normal_iteratorINS9_10device_ptrIiEEEENSB_INSC_IdEEEESG_dNS9_4plusIvEENS9_8equal_toIvEEdEE10hipError_tPvRmT2_T3_T4_T5_mT6_T7_P12ihipStream_tbENKUlT_T0_E_clISt17integral_constantIbLb1EES11_EEDaSW_SX_EUlSW_E_NS1_11comp_targetILNS1_3genE10ELNS1_11target_archE1200ELNS1_3gpuE4ELNS1_3repE0EEENS1_30default_config_static_selectorELNS0_4arch9wavefront6targetE0EEEvT1_.private_seg_size, 0
	.set _ZN7rocprim17ROCPRIM_400000_NS6detail17trampoline_kernelINS0_14default_configENS1_27scan_by_key_config_selectorIidEEZZNS1_16scan_by_key_implILNS1_25lookback_scan_determinismE0ELb0ES3_N6thrust23THRUST_200600_302600_NS6detail15normal_iteratorINS9_10device_ptrIiEEEENSB_INSC_IdEEEESG_dNS9_4plusIvEENS9_8equal_toIvEEdEE10hipError_tPvRmT2_T3_T4_T5_mT6_T7_P12ihipStream_tbENKUlT_T0_E_clISt17integral_constantIbLb1EES11_EEDaSW_SX_EUlSW_E_NS1_11comp_targetILNS1_3genE10ELNS1_11target_archE1200ELNS1_3gpuE4ELNS1_3repE0EEENS1_30default_config_static_selectorELNS0_4arch9wavefront6targetE0EEEvT1_.uses_vcc, 0
	.set _ZN7rocprim17ROCPRIM_400000_NS6detail17trampoline_kernelINS0_14default_configENS1_27scan_by_key_config_selectorIidEEZZNS1_16scan_by_key_implILNS1_25lookback_scan_determinismE0ELb0ES3_N6thrust23THRUST_200600_302600_NS6detail15normal_iteratorINS9_10device_ptrIiEEEENSB_INSC_IdEEEESG_dNS9_4plusIvEENS9_8equal_toIvEEdEE10hipError_tPvRmT2_T3_T4_T5_mT6_T7_P12ihipStream_tbENKUlT_T0_E_clISt17integral_constantIbLb1EES11_EEDaSW_SX_EUlSW_E_NS1_11comp_targetILNS1_3genE10ELNS1_11target_archE1200ELNS1_3gpuE4ELNS1_3repE0EEENS1_30default_config_static_selectorELNS0_4arch9wavefront6targetE0EEEvT1_.uses_flat_scratch, 0
	.set _ZN7rocprim17ROCPRIM_400000_NS6detail17trampoline_kernelINS0_14default_configENS1_27scan_by_key_config_selectorIidEEZZNS1_16scan_by_key_implILNS1_25lookback_scan_determinismE0ELb0ES3_N6thrust23THRUST_200600_302600_NS6detail15normal_iteratorINS9_10device_ptrIiEEEENSB_INSC_IdEEEESG_dNS9_4plusIvEENS9_8equal_toIvEEdEE10hipError_tPvRmT2_T3_T4_T5_mT6_T7_P12ihipStream_tbENKUlT_T0_E_clISt17integral_constantIbLb1EES11_EEDaSW_SX_EUlSW_E_NS1_11comp_targetILNS1_3genE10ELNS1_11target_archE1200ELNS1_3gpuE4ELNS1_3repE0EEENS1_30default_config_static_selectorELNS0_4arch9wavefront6targetE0EEEvT1_.has_dyn_sized_stack, 0
	.set _ZN7rocprim17ROCPRIM_400000_NS6detail17trampoline_kernelINS0_14default_configENS1_27scan_by_key_config_selectorIidEEZZNS1_16scan_by_key_implILNS1_25lookback_scan_determinismE0ELb0ES3_N6thrust23THRUST_200600_302600_NS6detail15normal_iteratorINS9_10device_ptrIiEEEENSB_INSC_IdEEEESG_dNS9_4plusIvEENS9_8equal_toIvEEdEE10hipError_tPvRmT2_T3_T4_T5_mT6_T7_P12ihipStream_tbENKUlT_T0_E_clISt17integral_constantIbLb1EES11_EEDaSW_SX_EUlSW_E_NS1_11comp_targetILNS1_3genE10ELNS1_11target_archE1200ELNS1_3gpuE4ELNS1_3repE0EEENS1_30default_config_static_selectorELNS0_4arch9wavefront6targetE0EEEvT1_.has_recursion, 0
	.set _ZN7rocprim17ROCPRIM_400000_NS6detail17trampoline_kernelINS0_14default_configENS1_27scan_by_key_config_selectorIidEEZZNS1_16scan_by_key_implILNS1_25lookback_scan_determinismE0ELb0ES3_N6thrust23THRUST_200600_302600_NS6detail15normal_iteratorINS9_10device_ptrIiEEEENSB_INSC_IdEEEESG_dNS9_4plusIvEENS9_8equal_toIvEEdEE10hipError_tPvRmT2_T3_T4_T5_mT6_T7_P12ihipStream_tbENKUlT_T0_E_clISt17integral_constantIbLb1EES11_EEDaSW_SX_EUlSW_E_NS1_11comp_targetILNS1_3genE10ELNS1_11target_archE1200ELNS1_3gpuE4ELNS1_3repE0EEENS1_30default_config_static_selectorELNS0_4arch9wavefront6targetE0EEEvT1_.has_indirect_call, 0
	.section	.AMDGPU.csdata,"",@progbits
; Kernel info:
; codeLenInByte = 0
; TotalNumSgprs: 0
; NumVgprs: 0
; ScratchSize: 0
; MemoryBound: 0
; FloatMode: 240
; IeeeMode: 1
; LDSByteSize: 0 bytes/workgroup (compile time only)
; SGPRBlocks: 0
; VGPRBlocks: 0
; NumSGPRsForWavesPerEU: 1
; NumVGPRsForWavesPerEU: 1
; Occupancy: 16
; WaveLimiterHint : 0
; COMPUTE_PGM_RSRC2:SCRATCH_EN: 0
; COMPUTE_PGM_RSRC2:USER_SGPR: 6
; COMPUTE_PGM_RSRC2:TRAP_HANDLER: 0
; COMPUTE_PGM_RSRC2:TGID_X_EN: 1
; COMPUTE_PGM_RSRC2:TGID_Y_EN: 0
; COMPUTE_PGM_RSRC2:TGID_Z_EN: 0
; COMPUTE_PGM_RSRC2:TIDIG_COMP_CNT: 0
	.section	.text._ZN7rocprim17ROCPRIM_400000_NS6detail17trampoline_kernelINS0_14default_configENS1_27scan_by_key_config_selectorIidEEZZNS1_16scan_by_key_implILNS1_25lookback_scan_determinismE0ELb0ES3_N6thrust23THRUST_200600_302600_NS6detail15normal_iteratorINS9_10device_ptrIiEEEENSB_INSC_IdEEEESG_dNS9_4plusIvEENS9_8equal_toIvEEdEE10hipError_tPvRmT2_T3_T4_T5_mT6_T7_P12ihipStream_tbENKUlT_T0_E_clISt17integral_constantIbLb1EES11_EEDaSW_SX_EUlSW_E_NS1_11comp_targetILNS1_3genE9ELNS1_11target_archE1100ELNS1_3gpuE3ELNS1_3repE0EEENS1_30default_config_static_selectorELNS0_4arch9wavefront6targetE0EEEvT1_,"axG",@progbits,_ZN7rocprim17ROCPRIM_400000_NS6detail17trampoline_kernelINS0_14default_configENS1_27scan_by_key_config_selectorIidEEZZNS1_16scan_by_key_implILNS1_25lookback_scan_determinismE0ELb0ES3_N6thrust23THRUST_200600_302600_NS6detail15normal_iteratorINS9_10device_ptrIiEEEENSB_INSC_IdEEEESG_dNS9_4plusIvEENS9_8equal_toIvEEdEE10hipError_tPvRmT2_T3_T4_T5_mT6_T7_P12ihipStream_tbENKUlT_T0_E_clISt17integral_constantIbLb1EES11_EEDaSW_SX_EUlSW_E_NS1_11comp_targetILNS1_3genE9ELNS1_11target_archE1100ELNS1_3gpuE3ELNS1_3repE0EEENS1_30default_config_static_selectorELNS0_4arch9wavefront6targetE0EEEvT1_,comdat
	.protected	_ZN7rocprim17ROCPRIM_400000_NS6detail17trampoline_kernelINS0_14default_configENS1_27scan_by_key_config_selectorIidEEZZNS1_16scan_by_key_implILNS1_25lookback_scan_determinismE0ELb0ES3_N6thrust23THRUST_200600_302600_NS6detail15normal_iteratorINS9_10device_ptrIiEEEENSB_INSC_IdEEEESG_dNS9_4plusIvEENS9_8equal_toIvEEdEE10hipError_tPvRmT2_T3_T4_T5_mT6_T7_P12ihipStream_tbENKUlT_T0_E_clISt17integral_constantIbLb1EES11_EEDaSW_SX_EUlSW_E_NS1_11comp_targetILNS1_3genE9ELNS1_11target_archE1100ELNS1_3gpuE3ELNS1_3repE0EEENS1_30default_config_static_selectorELNS0_4arch9wavefront6targetE0EEEvT1_ ; -- Begin function _ZN7rocprim17ROCPRIM_400000_NS6detail17trampoline_kernelINS0_14default_configENS1_27scan_by_key_config_selectorIidEEZZNS1_16scan_by_key_implILNS1_25lookback_scan_determinismE0ELb0ES3_N6thrust23THRUST_200600_302600_NS6detail15normal_iteratorINS9_10device_ptrIiEEEENSB_INSC_IdEEEESG_dNS9_4plusIvEENS9_8equal_toIvEEdEE10hipError_tPvRmT2_T3_T4_T5_mT6_T7_P12ihipStream_tbENKUlT_T0_E_clISt17integral_constantIbLb1EES11_EEDaSW_SX_EUlSW_E_NS1_11comp_targetILNS1_3genE9ELNS1_11target_archE1100ELNS1_3gpuE3ELNS1_3repE0EEENS1_30default_config_static_selectorELNS0_4arch9wavefront6targetE0EEEvT1_
	.globl	_ZN7rocprim17ROCPRIM_400000_NS6detail17trampoline_kernelINS0_14default_configENS1_27scan_by_key_config_selectorIidEEZZNS1_16scan_by_key_implILNS1_25lookback_scan_determinismE0ELb0ES3_N6thrust23THRUST_200600_302600_NS6detail15normal_iteratorINS9_10device_ptrIiEEEENSB_INSC_IdEEEESG_dNS9_4plusIvEENS9_8equal_toIvEEdEE10hipError_tPvRmT2_T3_T4_T5_mT6_T7_P12ihipStream_tbENKUlT_T0_E_clISt17integral_constantIbLb1EES11_EEDaSW_SX_EUlSW_E_NS1_11comp_targetILNS1_3genE9ELNS1_11target_archE1100ELNS1_3gpuE3ELNS1_3repE0EEENS1_30default_config_static_selectorELNS0_4arch9wavefront6targetE0EEEvT1_
	.p2align	8
	.type	_ZN7rocprim17ROCPRIM_400000_NS6detail17trampoline_kernelINS0_14default_configENS1_27scan_by_key_config_selectorIidEEZZNS1_16scan_by_key_implILNS1_25lookback_scan_determinismE0ELb0ES3_N6thrust23THRUST_200600_302600_NS6detail15normal_iteratorINS9_10device_ptrIiEEEENSB_INSC_IdEEEESG_dNS9_4plusIvEENS9_8equal_toIvEEdEE10hipError_tPvRmT2_T3_T4_T5_mT6_T7_P12ihipStream_tbENKUlT_T0_E_clISt17integral_constantIbLb1EES11_EEDaSW_SX_EUlSW_E_NS1_11comp_targetILNS1_3genE9ELNS1_11target_archE1100ELNS1_3gpuE3ELNS1_3repE0EEENS1_30default_config_static_selectorELNS0_4arch9wavefront6targetE0EEEvT1_,@function
_ZN7rocprim17ROCPRIM_400000_NS6detail17trampoline_kernelINS0_14default_configENS1_27scan_by_key_config_selectorIidEEZZNS1_16scan_by_key_implILNS1_25lookback_scan_determinismE0ELb0ES3_N6thrust23THRUST_200600_302600_NS6detail15normal_iteratorINS9_10device_ptrIiEEEENSB_INSC_IdEEEESG_dNS9_4plusIvEENS9_8equal_toIvEEdEE10hipError_tPvRmT2_T3_T4_T5_mT6_T7_P12ihipStream_tbENKUlT_T0_E_clISt17integral_constantIbLb1EES11_EEDaSW_SX_EUlSW_E_NS1_11comp_targetILNS1_3genE9ELNS1_11target_archE1100ELNS1_3gpuE3ELNS1_3repE0EEENS1_30default_config_static_selectorELNS0_4arch9wavefront6targetE0EEEvT1_: ; @_ZN7rocprim17ROCPRIM_400000_NS6detail17trampoline_kernelINS0_14default_configENS1_27scan_by_key_config_selectorIidEEZZNS1_16scan_by_key_implILNS1_25lookback_scan_determinismE0ELb0ES3_N6thrust23THRUST_200600_302600_NS6detail15normal_iteratorINS9_10device_ptrIiEEEENSB_INSC_IdEEEESG_dNS9_4plusIvEENS9_8equal_toIvEEdEE10hipError_tPvRmT2_T3_T4_T5_mT6_T7_P12ihipStream_tbENKUlT_T0_E_clISt17integral_constantIbLb1EES11_EEDaSW_SX_EUlSW_E_NS1_11comp_targetILNS1_3genE9ELNS1_11target_archE1100ELNS1_3gpuE3ELNS1_3repE0EEENS1_30default_config_static_selectorELNS0_4arch9wavefront6targetE0EEEvT1_
; %bb.0:
	.section	.rodata,"a",@progbits
	.p2align	6, 0x0
	.amdhsa_kernel _ZN7rocprim17ROCPRIM_400000_NS6detail17trampoline_kernelINS0_14default_configENS1_27scan_by_key_config_selectorIidEEZZNS1_16scan_by_key_implILNS1_25lookback_scan_determinismE0ELb0ES3_N6thrust23THRUST_200600_302600_NS6detail15normal_iteratorINS9_10device_ptrIiEEEENSB_INSC_IdEEEESG_dNS9_4plusIvEENS9_8equal_toIvEEdEE10hipError_tPvRmT2_T3_T4_T5_mT6_T7_P12ihipStream_tbENKUlT_T0_E_clISt17integral_constantIbLb1EES11_EEDaSW_SX_EUlSW_E_NS1_11comp_targetILNS1_3genE9ELNS1_11target_archE1100ELNS1_3gpuE3ELNS1_3repE0EEENS1_30default_config_static_selectorELNS0_4arch9wavefront6targetE0EEEvT1_
		.amdhsa_group_segment_fixed_size 0
		.amdhsa_private_segment_fixed_size 0
		.amdhsa_kernarg_size 136
		.amdhsa_user_sgpr_count 6
		.amdhsa_user_sgpr_private_segment_buffer 1
		.amdhsa_user_sgpr_dispatch_ptr 0
		.amdhsa_user_sgpr_queue_ptr 0
		.amdhsa_user_sgpr_kernarg_segment_ptr 1
		.amdhsa_user_sgpr_dispatch_id 0
		.amdhsa_user_sgpr_flat_scratch_init 0
		.amdhsa_user_sgpr_private_segment_size 0
		.amdhsa_wavefront_size32 1
		.amdhsa_uses_dynamic_stack 0
		.amdhsa_system_sgpr_private_segment_wavefront_offset 0
		.amdhsa_system_sgpr_workgroup_id_x 1
		.amdhsa_system_sgpr_workgroup_id_y 0
		.amdhsa_system_sgpr_workgroup_id_z 0
		.amdhsa_system_sgpr_workgroup_info 0
		.amdhsa_system_vgpr_workitem_id 0
		.amdhsa_next_free_vgpr 1
		.amdhsa_next_free_sgpr 1
		.amdhsa_reserve_vcc 0
		.amdhsa_reserve_flat_scratch 0
		.amdhsa_float_round_mode_32 0
		.amdhsa_float_round_mode_16_64 0
		.amdhsa_float_denorm_mode_32 3
		.amdhsa_float_denorm_mode_16_64 3
		.amdhsa_dx10_clamp 1
		.amdhsa_ieee_mode 1
		.amdhsa_fp16_overflow 0
		.amdhsa_workgroup_processor_mode 1
		.amdhsa_memory_ordered 1
		.amdhsa_forward_progress 1
		.amdhsa_shared_vgpr_count 0
		.amdhsa_exception_fp_ieee_invalid_op 0
		.amdhsa_exception_fp_denorm_src 0
		.amdhsa_exception_fp_ieee_div_zero 0
		.amdhsa_exception_fp_ieee_overflow 0
		.amdhsa_exception_fp_ieee_underflow 0
		.amdhsa_exception_fp_ieee_inexact 0
		.amdhsa_exception_int_div_zero 0
	.end_amdhsa_kernel
	.section	.text._ZN7rocprim17ROCPRIM_400000_NS6detail17trampoline_kernelINS0_14default_configENS1_27scan_by_key_config_selectorIidEEZZNS1_16scan_by_key_implILNS1_25lookback_scan_determinismE0ELb0ES3_N6thrust23THRUST_200600_302600_NS6detail15normal_iteratorINS9_10device_ptrIiEEEENSB_INSC_IdEEEESG_dNS9_4plusIvEENS9_8equal_toIvEEdEE10hipError_tPvRmT2_T3_T4_T5_mT6_T7_P12ihipStream_tbENKUlT_T0_E_clISt17integral_constantIbLb1EES11_EEDaSW_SX_EUlSW_E_NS1_11comp_targetILNS1_3genE9ELNS1_11target_archE1100ELNS1_3gpuE3ELNS1_3repE0EEENS1_30default_config_static_selectorELNS0_4arch9wavefront6targetE0EEEvT1_,"axG",@progbits,_ZN7rocprim17ROCPRIM_400000_NS6detail17trampoline_kernelINS0_14default_configENS1_27scan_by_key_config_selectorIidEEZZNS1_16scan_by_key_implILNS1_25lookback_scan_determinismE0ELb0ES3_N6thrust23THRUST_200600_302600_NS6detail15normal_iteratorINS9_10device_ptrIiEEEENSB_INSC_IdEEEESG_dNS9_4plusIvEENS9_8equal_toIvEEdEE10hipError_tPvRmT2_T3_T4_T5_mT6_T7_P12ihipStream_tbENKUlT_T0_E_clISt17integral_constantIbLb1EES11_EEDaSW_SX_EUlSW_E_NS1_11comp_targetILNS1_3genE9ELNS1_11target_archE1100ELNS1_3gpuE3ELNS1_3repE0EEENS1_30default_config_static_selectorELNS0_4arch9wavefront6targetE0EEEvT1_,comdat
.Lfunc_end1103:
	.size	_ZN7rocprim17ROCPRIM_400000_NS6detail17trampoline_kernelINS0_14default_configENS1_27scan_by_key_config_selectorIidEEZZNS1_16scan_by_key_implILNS1_25lookback_scan_determinismE0ELb0ES3_N6thrust23THRUST_200600_302600_NS6detail15normal_iteratorINS9_10device_ptrIiEEEENSB_INSC_IdEEEESG_dNS9_4plusIvEENS9_8equal_toIvEEdEE10hipError_tPvRmT2_T3_T4_T5_mT6_T7_P12ihipStream_tbENKUlT_T0_E_clISt17integral_constantIbLb1EES11_EEDaSW_SX_EUlSW_E_NS1_11comp_targetILNS1_3genE9ELNS1_11target_archE1100ELNS1_3gpuE3ELNS1_3repE0EEENS1_30default_config_static_selectorELNS0_4arch9wavefront6targetE0EEEvT1_, .Lfunc_end1103-_ZN7rocprim17ROCPRIM_400000_NS6detail17trampoline_kernelINS0_14default_configENS1_27scan_by_key_config_selectorIidEEZZNS1_16scan_by_key_implILNS1_25lookback_scan_determinismE0ELb0ES3_N6thrust23THRUST_200600_302600_NS6detail15normal_iteratorINS9_10device_ptrIiEEEENSB_INSC_IdEEEESG_dNS9_4plusIvEENS9_8equal_toIvEEdEE10hipError_tPvRmT2_T3_T4_T5_mT6_T7_P12ihipStream_tbENKUlT_T0_E_clISt17integral_constantIbLb1EES11_EEDaSW_SX_EUlSW_E_NS1_11comp_targetILNS1_3genE9ELNS1_11target_archE1100ELNS1_3gpuE3ELNS1_3repE0EEENS1_30default_config_static_selectorELNS0_4arch9wavefront6targetE0EEEvT1_
                                        ; -- End function
	.set _ZN7rocprim17ROCPRIM_400000_NS6detail17trampoline_kernelINS0_14default_configENS1_27scan_by_key_config_selectorIidEEZZNS1_16scan_by_key_implILNS1_25lookback_scan_determinismE0ELb0ES3_N6thrust23THRUST_200600_302600_NS6detail15normal_iteratorINS9_10device_ptrIiEEEENSB_INSC_IdEEEESG_dNS9_4plusIvEENS9_8equal_toIvEEdEE10hipError_tPvRmT2_T3_T4_T5_mT6_T7_P12ihipStream_tbENKUlT_T0_E_clISt17integral_constantIbLb1EES11_EEDaSW_SX_EUlSW_E_NS1_11comp_targetILNS1_3genE9ELNS1_11target_archE1100ELNS1_3gpuE3ELNS1_3repE0EEENS1_30default_config_static_selectorELNS0_4arch9wavefront6targetE0EEEvT1_.num_vgpr, 0
	.set _ZN7rocprim17ROCPRIM_400000_NS6detail17trampoline_kernelINS0_14default_configENS1_27scan_by_key_config_selectorIidEEZZNS1_16scan_by_key_implILNS1_25lookback_scan_determinismE0ELb0ES3_N6thrust23THRUST_200600_302600_NS6detail15normal_iteratorINS9_10device_ptrIiEEEENSB_INSC_IdEEEESG_dNS9_4plusIvEENS9_8equal_toIvEEdEE10hipError_tPvRmT2_T3_T4_T5_mT6_T7_P12ihipStream_tbENKUlT_T0_E_clISt17integral_constantIbLb1EES11_EEDaSW_SX_EUlSW_E_NS1_11comp_targetILNS1_3genE9ELNS1_11target_archE1100ELNS1_3gpuE3ELNS1_3repE0EEENS1_30default_config_static_selectorELNS0_4arch9wavefront6targetE0EEEvT1_.num_agpr, 0
	.set _ZN7rocprim17ROCPRIM_400000_NS6detail17trampoline_kernelINS0_14default_configENS1_27scan_by_key_config_selectorIidEEZZNS1_16scan_by_key_implILNS1_25lookback_scan_determinismE0ELb0ES3_N6thrust23THRUST_200600_302600_NS6detail15normal_iteratorINS9_10device_ptrIiEEEENSB_INSC_IdEEEESG_dNS9_4plusIvEENS9_8equal_toIvEEdEE10hipError_tPvRmT2_T3_T4_T5_mT6_T7_P12ihipStream_tbENKUlT_T0_E_clISt17integral_constantIbLb1EES11_EEDaSW_SX_EUlSW_E_NS1_11comp_targetILNS1_3genE9ELNS1_11target_archE1100ELNS1_3gpuE3ELNS1_3repE0EEENS1_30default_config_static_selectorELNS0_4arch9wavefront6targetE0EEEvT1_.numbered_sgpr, 0
	.set _ZN7rocprim17ROCPRIM_400000_NS6detail17trampoline_kernelINS0_14default_configENS1_27scan_by_key_config_selectorIidEEZZNS1_16scan_by_key_implILNS1_25lookback_scan_determinismE0ELb0ES3_N6thrust23THRUST_200600_302600_NS6detail15normal_iteratorINS9_10device_ptrIiEEEENSB_INSC_IdEEEESG_dNS9_4plusIvEENS9_8equal_toIvEEdEE10hipError_tPvRmT2_T3_T4_T5_mT6_T7_P12ihipStream_tbENKUlT_T0_E_clISt17integral_constantIbLb1EES11_EEDaSW_SX_EUlSW_E_NS1_11comp_targetILNS1_3genE9ELNS1_11target_archE1100ELNS1_3gpuE3ELNS1_3repE0EEENS1_30default_config_static_selectorELNS0_4arch9wavefront6targetE0EEEvT1_.num_named_barrier, 0
	.set _ZN7rocprim17ROCPRIM_400000_NS6detail17trampoline_kernelINS0_14default_configENS1_27scan_by_key_config_selectorIidEEZZNS1_16scan_by_key_implILNS1_25lookback_scan_determinismE0ELb0ES3_N6thrust23THRUST_200600_302600_NS6detail15normal_iteratorINS9_10device_ptrIiEEEENSB_INSC_IdEEEESG_dNS9_4plusIvEENS9_8equal_toIvEEdEE10hipError_tPvRmT2_T3_T4_T5_mT6_T7_P12ihipStream_tbENKUlT_T0_E_clISt17integral_constantIbLb1EES11_EEDaSW_SX_EUlSW_E_NS1_11comp_targetILNS1_3genE9ELNS1_11target_archE1100ELNS1_3gpuE3ELNS1_3repE0EEENS1_30default_config_static_selectorELNS0_4arch9wavefront6targetE0EEEvT1_.private_seg_size, 0
	.set _ZN7rocprim17ROCPRIM_400000_NS6detail17trampoline_kernelINS0_14default_configENS1_27scan_by_key_config_selectorIidEEZZNS1_16scan_by_key_implILNS1_25lookback_scan_determinismE0ELb0ES3_N6thrust23THRUST_200600_302600_NS6detail15normal_iteratorINS9_10device_ptrIiEEEENSB_INSC_IdEEEESG_dNS9_4plusIvEENS9_8equal_toIvEEdEE10hipError_tPvRmT2_T3_T4_T5_mT6_T7_P12ihipStream_tbENKUlT_T0_E_clISt17integral_constantIbLb1EES11_EEDaSW_SX_EUlSW_E_NS1_11comp_targetILNS1_3genE9ELNS1_11target_archE1100ELNS1_3gpuE3ELNS1_3repE0EEENS1_30default_config_static_selectorELNS0_4arch9wavefront6targetE0EEEvT1_.uses_vcc, 0
	.set _ZN7rocprim17ROCPRIM_400000_NS6detail17trampoline_kernelINS0_14default_configENS1_27scan_by_key_config_selectorIidEEZZNS1_16scan_by_key_implILNS1_25lookback_scan_determinismE0ELb0ES3_N6thrust23THRUST_200600_302600_NS6detail15normal_iteratorINS9_10device_ptrIiEEEENSB_INSC_IdEEEESG_dNS9_4plusIvEENS9_8equal_toIvEEdEE10hipError_tPvRmT2_T3_T4_T5_mT6_T7_P12ihipStream_tbENKUlT_T0_E_clISt17integral_constantIbLb1EES11_EEDaSW_SX_EUlSW_E_NS1_11comp_targetILNS1_3genE9ELNS1_11target_archE1100ELNS1_3gpuE3ELNS1_3repE0EEENS1_30default_config_static_selectorELNS0_4arch9wavefront6targetE0EEEvT1_.uses_flat_scratch, 0
	.set _ZN7rocprim17ROCPRIM_400000_NS6detail17trampoline_kernelINS0_14default_configENS1_27scan_by_key_config_selectorIidEEZZNS1_16scan_by_key_implILNS1_25lookback_scan_determinismE0ELb0ES3_N6thrust23THRUST_200600_302600_NS6detail15normal_iteratorINS9_10device_ptrIiEEEENSB_INSC_IdEEEESG_dNS9_4plusIvEENS9_8equal_toIvEEdEE10hipError_tPvRmT2_T3_T4_T5_mT6_T7_P12ihipStream_tbENKUlT_T0_E_clISt17integral_constantIbLb1EES11_EEDaSW_SX_EUlSW_E_NS1_11comp_targetILNS1_3genE9ELNS1_11target_archE1100ELNS1_3gpuE3ELNS1_3repE0EEENS1_30default_config_static_selectorELNS0_4arch9wavefront6targetE0EEEvT1_.has_dyn_sized_stack, 0
	.set _ZN7rocprim17ROCPRIM_400000_NS6detail17trampoline_kernelINS0_14default_configENS1_27scan_by_key_config_selectorIidEEZZNS1_16scan_by_key_implILNS1_25lookback_scan_determinismE0ELb0ES3_N6thrust23THRUST_200600_302600_NS6detail15normal_iteratorINS9_10device_ptrIiEEEENSB_INSC_IdEEEESG_dNS9_4plusIvEENS9_8equal_toIvEEdEE10hipError_tPvRmT2_T3_T4_T5_mT6_T7_P12ihipStream_tbENKUlT_T0_E_clISt17integral_constantIbLb1EES11_EEDaSW_SX_EUlSW_E_NS1_11comp_targetILNS1_3genE9ELNS1_11target_archE1100ELNS1_3gpuE3ELNS1_3repE0EEENS1_30default_config_static_selectorELNS0_4arch9wavefront6targetE0EEEvT1_.has_recursion, 0
	.set _ZN7rocprim17ROCPRIM_400000_NS6detail17trampoline_kernelINS0_14default_configENS1_27scan_by_key_config_selectorIidEEZZNS1_16scan_by_key_implILNS1_25lookback_scan_determinismE0ELb0ES3_N6thrust23THRUST_200600_302600_NS6detail15normal_iteratorINS9_10device_ptrIiEEEENSB_INSC_IdEEEESG_dNS9_4plusIvEENS9_8equal_toIvEEdEE10hipError_tPvRmT2_T3_T4_T5_mT6_T7_P12ihipStream_tbENKUlT_T0_E_clISt17integral_constantIbLb1EES11_EEDaSW_SX_EUlSW_E_NS1_11comp_targetILNS1_3genE9ELNS1_11target_archE1100ELNS1_3gpuE3ELNS1_3repE0EEENS1_30default_config_static_selectorELNS0_4arch9wavefront6targetE0EEEvT1_.has_indirect_call, 0
	.section	.AMDGPU.csdata,"",@progbits
; Kernel info:
; codeLenInByte = 0
; TotalNumSgprs: 0
; NumVgprs: 0
; ScratchSize: 0
; MemoryBound: 0
; FloatMode: 240
; IeeeMode: 1
; LDSByteSize: 0 bytes/workgroup (compile time only)
; SGPRBlocks: 0
; VGPRBlocks: 0
; NumSGPRsForWavesPerEU: 1
; NumVGPRsForWavesPerEU: 1
; Occupancy: 16
; WaveLimiterHint : 0
; COMPUTE_PGM_RSRC2:SCRATCH_EN: 0
; COMPUTE_PGM_RSRC2:USER_SGPR: 6
; COMPUTE_PGM_RSRC2:TRAP_HANDLER: 0
; COMPUTE_PGM_RSRC2:TGID_X_EN: 1
; COMPUTE_PGM_RSRC2:TGID_Y_EN: 0
; COMPUTE_PGM_RSRC2:TGID_Z_EN: 0
; COMPUTE_PGM_RSRC2:TIDIG_COMP_CNT: 0
	.section	.text._ZN7rocprim17ROCPRIM_400000_NS6detail17trampoline_kernelINS0_14default_configENS1_27scan_by_key_config_selectorIidEEZZNS1_16scan_by_key_implILNS1_25lookback_scan_determinismE0ELb0ES3_N6thrust23THRUST_200600_302600_NS6detail15normal_iteratorINS9_10device_ptrIiEEEENSB_INSC_IdEEEESG_dNS9_4plusIvEENS9_8equal_toIvEEdEE10hipError_tPvRmT2_T3_T4_T5_mT6_T7_P12ihipStream_tbENKUlT_T0_E_clISt17integral_constantIbLb1EES11_EEDaSW_SX_EUlSW_E_NS1_11comp_targetILNS1_3genE8ELNS1_11target_archE1030ELNS1_3gpuE2ELNS1_3repE0EEENS1_30default_config_static_selectorELNS0_4arch9wavefront6targetE0EEEvT1_,"axG",@progbits,_ZN7rocprim17ROCPRIM_400000_NS6detail17trampoline_kernelINS0_14default_configENS1_27scan_by_key_config_selectorIidEEZZNS1_16scan_by_key_implILNS1_25lookback_scan_determinismE0ELb0ES3_N6thrust23THRUST_200600_302600_NS6detail15normal_iteratorINS9_10device_ptrIiEEEENSB_INSC_IdEEEESG_dNS9_4plusIvEENS9_8equal_toIvEEdEE10hipError_tPvRmT2_T3_T4_T5_mT6_T7_P12ihipStream_tbENKUlT_T0_E_clISt17integral_constantIbLb1EES11_EEDaSW_SX_EUlSW_E_NS1_11comp_targetILNS1_3genE8ELNS1_11target_archE1030ELNS1_3gpuE2ELNS1_3repE0EEENS1_30default_config_static_selectorELNS0_4arch9wavefront6targetE0EEEvT1_,comdat
	.protected	_ZN7rocprim17ROCPRIM_400000_NS6detail17trampoline_kernelINS0_14default_configENS1_27scan_by_key_config_selectorIidEEZZNS1_16scan_by_key_implILNS1_25lookback_scan_determinismE0ELb0ES3_N6thrust23THRUST_200600_302600_NS6detail15normal_iteratorINS9_10device_ptrIiEEEENSB_INSC_IdEEEESG_dNS9_4plusIvEENS9_8equal_toIvEEdEE10hipError_tPvRmT2_T3_T4_T5_mT6_T7_P12ihipStream_tbENKUlT_T0_E_clISt17integral_constantIbLb1EES11_EEDaSW_SX_EUlSW_E_NS1_11comp_targetILNS1_3genE8ELNS1_11target_archE1030ELNS1_3gpuE2ELNS1_3repE0EEENS1_30default_config_static_selectorELNS0_4arch9wavefront6targetE0EEEvT1_ ; -- Begin function _ZN7rocprim17ROCPRIM_400000_NS6detail17trampoline_kernelINS0_14default_configENS1_27scan_by_key_config_selectorIidEEZZNS1_16scan_by_key_implILNS1_25lookback_scan_determinismE0ELb0ES3_N6thrust23THRUST_200600_302600_NS6detail15normal_iteratorINS9_10device_ptrIiEEEENSB_INSC_IdEEEESG_dNS9_4plusIvEENS9_8equal_toIvEEdEE10hipError_tPvRmT2_T3_T4_T5_mT6_T7_P12ihipStream_tbENKUlT_T0_E_clISt17integral_constantIbLb1EES11_EEDaSW_SX_EUlSW_E_NS1_11comp_targetILNS1_3genE8ELNS1_11target_archE1030ELNS1_3gpuE2ELNS1_3repE0EEENS1_30default_config_static_selectorELNS0_4arch9wavefront6targetE0EEEvT1_
	.globl	_ZN7rocprim17ROCPRIM_400000_NS6detail17trampoline_kernelINS0_14default_configENS1_27scan_by_key_config_selectorIidEEZZNS1_16scan_by_key_implILNS1_25lookback_scan_determinismE0ELb0ES3_N6thrust23THRUST_200600_302600_NS6detail15normal_iteratorINS9_10device_ptrIiEEEENSB_INSC_IdEEEESG_dNS9_4plusIvEENS9_8equal_toIvEEdEE10hipError_tPvRmT2_T3_T4_T5_mT6_T7_P12ihipStream_tbENKUlT_T0_E_clISt17integral_constantIbLb1EES11_EEDaSW_SX_EUlSW_E_NS1_11comp_targetILNS1_3genE8ELNS1_11target_archE1030ELNS1_3gpuE2ELNS1_3repE0EEENS1_30default_config_static_selectorELNS0_4arch9wavefront6targetE0EEEvT1_
	.p2align	8
	.type	_ZN7rocprim17ROCPRIM_400000_NS6detail17trampoline_kernelINS0_14default_configENS1_27scan_by_key_config_selectorIidEEZZNS1_16scan_by_key_implILNS1_25lookback_scan_determinismE0ELb0ES3_N6thrust23THRUST_200600_302600_NS6detail15normal_iteratorINS9_10device_ptrIiEEEENSB_INSC_IdEEEESG_dNS9_4plusIvEENS9_8equal_toIvEEdEE10hipError_tPvRmT2_T3_T4_T5_mT6_T7_P12ihipStream_tbENKUlT_T0_E_clISt17integral_constantIbLb1EES11_EEDaSW_SX_EUlSW_E_NS1_11comp_targetILNS1_3genE8ELNS1_11target_archE1030ELNS1_3gpuE2ELNS1_3repE0EEENS1_30default_config_static_selectorELNS0_4arch9wavefront6targetE0EEEvT1_,@function
_ZN7rocprim17ROCPRIM_400000_NS6detail17trampoline_kernelINS0_14default_configENS1_27scan_by_key_config_selectorIidEEZZNS1_16scan_by_key_implILNS1_25lookback_scan_determinismE0ELb0ES3_N6thrust23THRUST_200600_302600_NS6detail15normal_iteratorINS9_10device_ptrIiEEEENSB_INSC_IdEEEESG_dNS9_4plusIvEENS9_8equal_toIvEEdEE10hipError_tPvRmT2_T3_T4_T5_mT6_T7_P12ihipStream_tbENKUlT_T0_E_clISt17integral_constantIbLb1EES11_EEDaSW_SX_EUlSW_E_NS1_11comp_targetILNS1_3genE8ELNS1_11target_archE1030ELNS1_3gpuE2ELNS1_3repE0EEENS1_30default_config_static_selectorELNS0_4arch9wavefront6targetE0EEEvT1_: ; @_ZN7rocprim17ROCPRIM_400000_NS6detail17trampoline_kernelINS0_14default_configENS1_27scan_by_key_config_selectorIidEEZZNS1_16scan_by_key_implILNS1_25lookback_scan_determinismE0ELb0ES3_N6thrust23THRUST_200600_302600_NS6detail15normal_iteratorINS9_10device_ptrIiEEEENSB_INSC_IdEEEESG_dNS9_4plusIvEENS9_8equal_toIvEEdEE10hipError_tPvRmT2_T3_T4_T5_mT6_T7_P12ihipStream_tbENKUlT_T0_E_clISt17integral_constantIbLb1EES11_EEDaSW_SX_EUlSW_E_NS1_11comp_targetILNS1_3genE8ELNS1_11target_archE1030ELNS1_3gpuE2ELNS1_3repE0EEENS1_30default_config_static_selectorELNS0_4arch9wavefront6targetE0EEEvT1_
; %bb.0:
	s_endpgm
	.section	.rodata,"a",@progbits
	.p2align	6, 0x0
	.amdhsa_kernel _ZN7rocprim17ROCPRIM_400000_NS6detail17trampoline_kernelINS0_14default_configENS1_27scan_by_key_config_selectorIidEEZZNS1_16scan_by_key_implILNS1_25lookback_scan_determinismE0ELb0ES3_N6thrust23THRUST_200600_302600_NS6detail15normal_iteratorINS9_10device_ptrIiEEEENSB_INSC_IdEEEESG_dNS9_4plusIvEENS9_8equal_toIvEEdEE10hipError_tPvRmT2_T3_T4_T5_mT6_T7_P12ihipStream_tbENKUlT_T0_E_clISt17integral_constantIbLb1EES11_EEDaSW_SX_EUlSW_E_NS1_11comp_targetILNS1_3genE8ELNS1_11target_archE1030ELNS1_3gpuE2ELNS1_3repE0EEENS1_30default_config_static_selectorELNS0_4arch9wavefront6targetE0EEEvT1_
		.amdhsa_group_segment_fixed_size 0
		.amdhsa_private_segment_fixed_size 0
		.amdhsa_kernarg_size 136
		.amdhsa_user_sgpr_count 6
		.amdhsa_user_sgpr_private_segment_buffer 1
		.amdhsa_user_sgpr_dispatch_ptr 0
		.amdhsa_user_sgpr_queue_ptr 0
		.amdhsa_user_sgpr_kernarg_segment_ptr 1
		.amdhsa_user_sgpr_dispatch_id 0
		.amdhsa_user_sgpr_flat_scratch_init 0
		.amdhsa_user_sgpr_private_segment_size 0
		.amdhsa_wavefront_size32 1
		.amdhsa_uses_dynamic_stack 0
		.amdhsa_system_sgpr_private_segment_wavefront_offset 0
		.amdhsa_system_sgpr_workgroup_id_x 1
		.amdhsa_system_sgpr_workgroup_id_y 0
		.amdhsa_system_sgpr_workgroup_id_z 0
		.amdhsa_system_sgpr_workgroup_info 0
		.amdhsa_system_vgpr_workitem_id 0
		.amdhsa_next_free_vgpr 1
		.amdhsa_next_free_sgpr 1
		.amdhsa_reserve_vcc 0
		.amdhsa_reserve_flat_scratch 0
		.amdhsa_float_round_mode_32 0
		.amdhsa_float_round_mode_16_64 0
		.amdhsa_float_denorm_mode_32 3
		.amdhsa_float_denorm_mode_16_64 3
		.amdhsa_dx10_clamp 1
		.amdhsa_ieee_mode 1
		.amdhsa_fp16_overflow 0
		.amdhsa_workgroup_processor_mode 1
		.amdhsa_memory_ordered 1
		.amdhsa_forward_progress 1
		.amdhsa_shared_vgpr_count 0
		.amdhsa_exception_fp_ieee_invalid_op 0
		.amdhsa_exception_fp_denorm_src 0
		.amdhsa_exception_fp_ieee_div_zero 0
		.amdhsa_exception_fp_ieee_overflow 0
		.amdhsa_exception_fp_ieee_underflow 0
		.amdhsa_exception_fp_ieee_inexact 0
		.amdhsa_exception_int_div_zero 0
	.end_amdhsa_kernel
	.section	.text._ZN7rocprim17ROCPRIM_400000_NS6detail17trampoline_kernelINS0_14default_configENS1_27scan_by_key_config_selectorIidEEZZNS1_16scan_by_key_implILNS1_25lookback_scan_determinismE0ELb0ES3_N6thrust23THRUST_200600_302600_NS6detail15normal_iteratorINS9_10device_ptrIiEEEENSB_INSC_IdEEEESG_dNS9_4plusIvEENS9_8equal_toIvEEdEE10hipError_tPvRmT2_T3_T4_T5_mT6_T7_P12ihipStream_tbENKUlT_T0_E_clISt17integral_constantIbLb1EES11_EEDaSW_SX_EUlSW_E_NS1_11comp_targetILNS1_3genE8ELNS1_11target_archE1030ELNS1_3gpuE2ELNS1_3repE0EEENS1_30default_config_static_selectorELNS0_4arch9wavefront6targetE0EEEvT1_,"axG",@progbits,_ZN7rocprim17ROCPRIM_400000_NS6detail17trampoline_kernelINS0_14default_configENS1_27scan_by_key_config_selectorIidEEZZNS1_16scan_by_key_implILNS1_25lookback_scan_determinismE0ELb0ES3_N6thrust23THRUST_200600_302600_NS6detail15normal_iteratorINS9_10device_ptrIiEEEENSB_INSC_IdEEEESG_dNS9_4plusIvEENS9_8equal_toIvEEdEE10hipError_tPvRmT2_T3_T4_T5_mT6_T7_P12ihipStream_tbENKUlT_T0_E_clISt17integral_constantIbLb1EES11_EEDaSW_SX_EUlSW_E_NS1_11comp_targetILNS1_3genE8ELNS1_11target_archE1030ELNS1_3gpuE2ELNS1_3repE0EEENS1_30default_config_static_selectorELNS0_4arch9wavefront6targetE0EEEvT1_,comdat
.Lfunc_end1104:
	.size	_ZN7rocprim17ROCPRIM_400000_NS6detail17trampoline_kernelINS0_14default_configENS1_27scan_by_key_config_selectorIidEEZZNS1_16scan_by_key_implILNS1_25lookback_scan_determinismE0ELb0ES3_N6thrust23THRUST_200600_302600_NS6detail15normal_iteratorINS9_10device_ptrIiEEEENSB_INSC_IdEEEESG_dNS9_4plusIvEENS9_8equal_toIvEEdEE10hipError_tPvRmT2_T3_T4_T5_mT6_T7_P12ihipStream_tbENKUlT_T0_E_clISt17integral_constantIbLb1EES11_EEDaSW_SX_EUlSW_E_NS1_11comp_targetILNS1_3genE8ELNS1_11target_archE1030ELNS1_3gpuE2ELNS1_3repE0EEENS1_30default_config_static_selectorELNS0_4arch9wavefront6targetE0EEEvT1_, .Lfunc_end1104-_ZN7rocprim17ROCPRIM_400000_NS6detail17trampoline_kernelINS0_14default_configENS1_27scan_by_key_config_selectorIidEEZZNS1_16scan_by_key_implILNS1_25lookback_scan_determinismE0ELb0ES3_N6thrust23THRUST_200600_302600_NS6detail15normal_iteratorINS9_10device_ptrIiEEEENSB_INSC_IdEEEESG_dNS9_4plusIvEENS9_8equal_toIvEEdEE10hipError_tPvRmT2_T3_T4_T5_mT6_T7_P12ihipStream_tbENKUlT_T0_E_clISt17integral_constantIbLb1EES11_EEDaSW_SX_EUlSW_E_NS1_11comp_targetILNS1_3genE8ELNS1_11target_archE1030ELNS1_3gpuE2ELNS1_3repE0EEENS1_30default_config_static_selectorELNS0_4arch9wavefront6targetE0EEEvT1_
                                        ; -- End function
	.set _ZN7rocprim17ROCPRIM_400000_NS6detail17trampoline_kernelINS0_14default_configENS1_27scan_by_key_config_selectorIidEEZZNS1_16scan_by_key_implILNS1_25lookback_scan_determinismE0ELb0ES3_N6thrust23THRUST_200600_302600_NS6detail15normal_iteratorINS9_10device_ptrIiEEEENSB_INSC_IdEEEESG_dNS9_4plusIvEENS9_8equal_toIvEEdEE10hipError_tPvRmT2_T3_T4_T5_mT6_T7_P12ihipStream_tbENKUlT_T0_E_clISt17integral_constantIbLb1EES11_EEDaSW_SX_EUlSW_E_NS1_11comp_targetILNS1_3genE8ELNS1_11target_archE1030ELNS1_3gpuE2ELNS1_3repE0EEENS1_30default_config_static_selectorELNS0_4arch9wavefront6targetE0EEEvT1_.num_vgpr, 0
	.set _ZN7rocprim17ROCPRIM_400000_NS6detail17trampoline_kernelINS0_14default_configENS1_27scan_by_key_config_selectorIidEEZZNS1_16scan_by_key_implILNS1_25lookback_scan_determinismE0ELb0ES3_N6thrust23THRUST_200600_302600_NS6detail15normal_iteratorINS9_10device_ptrIiEEEENSB_INSC_IdEEEESG_dNS9_4plusIvEENS9_8equal_toIvEEdEE10hipError_tPvRmT2_T3_T4_T5_mT6_T7_P12ihipStream_tbENKUlT_T0_E_clISt17integral_constantIbLb1EES11_EEDaSW_SX_EUlSW_E_NS1_11comp_targetILNS1_3genE8ELNS1_11target_archE1030ELNS1_3gpuE2ELNS1_3repE0EEENS1_30default_config_static_selectorELNS0_4arch9wavefront6targetE0EEEvT1_.num_agpr, 0
	.set _ZN7rocprim17ROCPRIM_400000_NS6detail17trampoline_kernelINS0_14default_configENS1_27scan_by_key_config_selectorIidEEZZNS1_16scan_by_key_implILNS1_25lookback_scan_determinismE0ELb0ES3_N6thrust23THRUST_200600_302600_NS6detail15normal_iteratorINS9_10device_ptrIiEEEENSB_INSC_IdEEEESG_dNS9_4plusIvEENS9_8equal_toIvEEdEE10hipError_tPvRmT2_T3_T4_T5_mT6_T7_P12ihipStream_tbENKUlT_T0_E_clISt17integral_constantIbLb1EES11_EEDaSW_SX_EUlSW_E_NS1_11comp_targetILNS1_3genE8ELNS1_11target_archE1030ELNS1_3gpuE2ELNS1_3repE0EEENS1_30default_config_static_selectorELNS0_4arch9wavefront6targetE0EEEvT1_.numbered_sgpr, 0
	.set _ZN7rocprim17ROCPRIM_400000_NS6detail17trampoline_kernelINS0_14default_configENS1_27scan_by_key_config_selectorIidEEZZNS1_16scan_by_key_implILNS1_25lookback_scan_determinismE0ELb0ES3_N6thrust23THRUST_200600_302600_NS6detail15normal_iteratorINS9_10device_ptrIiEEEENSB_INSC_IdEEEESG_dNS9_4plusIvEENS9_8equal_toIvEEdEE10hipError_tPvRmT2_T3_T4_T5_mT6_T7_P12ihipStream_tbENKUlT_T0_E_clISt17integral_constantIbLb1EES11_EEDaSW_SX_EUlSW_E_NS1_11comp_targetILNS1_3genE8ELNS1_11target_archE1030ELNS1_3gpuE2ELNS1_3repE0EEENS1_30default_config_static_selectorELNS0_4arch9wavefront6targetE0EEEvT1_.num_named_barrier, 0
	.set _ZN7rocprim17ROCPRIM_400000_NS6detail17trampoline_kernelINS0_14default_configENS1_27scan_by_key_config_selectorIidEEZZNS1_16scan_by_key_implILNS1_25lookback_scan_determinismE0ELb0ES3_N6thrust23THRUST_200600_302600_NS6detail15normal_iteratorINS9_10device_ptrIiEEEENSB_INSC_IdEEEESG_dNS9_4plusIvEENS9_8equal_toIvEEdEE10hipError_tPvRmT2_T3_T4_T5_mT6_T7_P12ihipStream_tbENKUlT_T0_E_clISt17integral_constantIbLb1EES11_EEDaSW_SX_EUlSW_E_NS1_11comp_targetILNS1_3genE8ELNS1_11target_archE1030ELNS1_3gpuE2ELNS1_3repE0EEENS1_30default_config_static_selectorELNS0_4arch9wavefront6targetE0EEEvT1_.private_seg_size, 0
	.set _ZN7rocprim17ROCPRIM_400000_NS6detail17trampoline_kernelINS0_14default_configENS1_27scan_by_key_config_selectorIidEEZZNS1_16scan_by_key_implILNS1_25lookback_scan_determinismE0ELb0ES3_N6thrust23THRUST_200600_302600_NS6detail15normal_iteratorINS9_10device_ptrIiEEEENSB_INSC_IdEEEESG_dNS9_4plusIvEENS9_8equal_toIvEEdEE10hipError_tPvRmT2_T3_T4_T5_mT6_T7_P12ihipStream_tbENKUlT_T0_E_clISt17integral_constantIbLb1EES11_EEDaSW_SX_EUlSW_E_NS1_11comp_targetILNS1_3genE8ELNS1_11target_archE1030ELNS1_3gpuE2ELNS1_3repE0EEENS1_30default_config_static_selectorELNS0_4arch9wavefront6targetE0EEEvT1_.uses_vcc, 0
	.set _ZN7rocprim17ROCPRIM_400000_NS6detail17trampoline_kernelINS0_14default_configENS1_27scan_by_key_config_selectorIidEEZZNS1_16scan_by_key_implILNS1_25lookback_scan_determinismE0ELb0ES3_N6thrust23THRUST_200600_302600_NS6detail15normal_iteratorINS9_10device_ptrIiEEEENSB_INSC_IdEEEESG_dNS9_4plusIvEENS9_8equal_toIvEEdEE10hipError_tPvRmT2_T3_T4_T5_mT6_T7_P12ihipStream_tbENKUlT_T0_E_clISt17integral_constantIbLb1EES11_EEDaSW_SX_EUlSW_E_NS1_11comp_targetILNS1_3genE8ELNS1_11target_archE1030ELNS1_3gpuE2ELNS1_3repE0EEENS1_30default_config_static_selectorELNS0_4arch9wavefront6targetE0EEEvT1_.uses_flat_scratch, 0
	.set _ZN7rocprim17ROCPRIM_400000_NS6detail17trampoline_kernelINS0_14default_configENS1_27scan_by_key_config_selectorIidEEZZNS1_16scan_by_key_implILNS1_25lookback_scan_determinismE0ELb0ES3_N6thrust23THRUST_200600_302600_NS6detail15normal_iteratorINS9_10device_ptrIiEEEENSB_INSC_IdEEEESG_dNS9_4plusIvEENS9_8equal_toIvEEdEE10hipError_tPvRmT2_T3_T4_T5_mT6_T7_P12ihipStream_tbENKUlT_T0_E_clISt17integral_constantIbLb1EES11_EEDaSW_SX_EUlSW_E_NS1_11comp_targetILNS1_3genE8ELNS1_11target_archE1030ELNS1_3gpuE2ELNS1_3repE0EEENS1_30default_config_static_selectorELNS0_4arch9wavefront6targetE0EEEvT1_.has_dyn_sized_stack, 0
	.set _ZN7rocprim17ROCPRIM_400000_NS6detail17trampoline_kernelINS0_14default_configENS1_27scan_by_key_config_selectorIidEEZZNS1_16scan_by_key_implILNS1_25lookback_scan_determinismE0ELb0ES3_N6thrust23THRUST_200600_302600_NS6detail15normal_iteratorINS9_10device_ptrIiEEEENSB_INSC_IdEEEESG_dNS9_4plusIvEENS9_8equal_toIvEEdEE10hipError_tPvRmT2_T3_T4_T5_mT6_T7_P12ihipStream_tbENKUlT_T0_E_clISt17integral_constantIbLb1EES11_EEDaSW_SX_EUlSW_E_NS1_11comp_targetILNS1_3genE8ELNS1_11target_archE1030ELNS1_3gpuE2ELNS1_3repE0EEENS1_30default_config_static_selectorELNS0_4arch9wavefront6targetE0EEEvT1_.has_recursion, 0
	.set _ZN7rocprim17ROCPRIM_400000_NS6detail17trampoline_kernelINS0_14default_configENS1_27scan_by_key_config_selectorIidEEZZNS1_16scan_by_key_implILNS1_25lookback_scan_determinismE0ELb0ES3_N6thrust23THRUST_200600_302600_NS6detail15normal_iteratorINS9_10device_ptrIiEEEENSB_INSC_IdEEEESG_dNS9_4plusIvEENS9_8equal_toIvEEdEE10hipError_tPvRmT2_T3_T4_T5_mT6_T7_P12ihipStream_tbENKUlT_T0_E_clISt17integral_constantIbLb1EES11_EEDaSW_SX_EUlSW_E_NS1_11comp_targetILNS1_3genE8ELNS1_11target_archE1030ELNS1_3gpuE2ELNS1_3repE0EEENS1_30default_config_static_selectorELNS0_4arch9wavefront6targetE0EEEvT1_.has_indirect_call, 0
	.section	.AMDGPU.csdata,"",@progbits
; Kernel info:
; codeLenInByte = 4
; TotalNumSgprs: 0
; NumVgprs: 0
; ScratchSize: 0
; MemoryBound: 0
; FloatMode: 240
; IeeeMode: 1
; LDSByteSize: 0 bytes/workgroup (compile time only)
; SGPRBlocks: 0
; VGPRBlocks: 0
; NumSGPRsForWavesPerEU: 1
; NumVGPRsForWavesPerEU: 1
; Occupancy: 16
; WaveLimiterHint : 0
; COMPUTE_PGM_RSRC2:SCRATCH_EN: 0
; COMPUTE_PGM_RSRC2:USER_SGPR: 6
; COMPUTE_PGM_RSRC2:TRAP_HANDLER: 0
; COMPUTE_PGM_RSRC2:TGID_X_EN: 1
; COMPUTE_PGM_RSRC2:TGID_Y_EN: 0
; COMPUTE_PGM_RSRC2:TGID_Z_EN: 0
; COMPUTE_PGM_RSRC2:TIDIG_COMP_CNT: 0
	.section	.text._ZN7rocprim17ROCPRIM_400000_NS6detail30init_device_scan_by_key_kernelINS1_19lookback_scan_stateINS0_5tupleIJdbEEELb1ELb0EEEN6thrust23THRUST_200600_302600_NS6detail15normal_iteratorINS8_10device_ptrIiEEEEjNS1_16block_id_wrapperIjLb0EEEEEvT_jjPNSG_10value_typeET0_PNSt15iterator_traitsISJ_E10value_typeEmT1_T2_,"axG",@progbits,_ZN7rocprim17ROCPRIM_400000_NS6detail30init_device_scan_by_key_kernelINS1_19lookback_scan_stateINS0_5tupleIJdbEEELb1ELb0EEEN6thrust23THRUST_200600_302600_NS6detail15normal_iteratorINS8_10device_ptrIiEEEEjNS1_16block_id_wrapperIjLb0EEEEEvT_jjPNSG_10value_typeET0_PNSt15iterator_traitsISJ_E10value_typeEmT1_T2_,comdat
	.protected	_ZN7rocprim17ROCPRIM_400000_NS6detail30init_device_scan_by_key_kernelINS1_19lookback_scan_stateINS0_5tupleIJdbEEELb1ELb0EEEN6thrust23THRUST_200600_302600_NS6detail15normal_iteratorINS8_10device_ptrIiEEEEjNS1_16block_id_wrapperIjLb0EEEEEvT_jjPNSG_10value_typeET0_PNSt15iterator_traitsISJ_E10value_typeEmT1_T2_ ; -- Begin function _ZN7rocprim17ROCPRIM_400000_NS6detail30init_device_scan_by_key_kernelINS1_19lookback_scan_stateINS0_5tupleIJdbEEELb1ELb0EEEN6thrust23THRUST_200600_302600_NS6detail15normal_iteratorINS8_10device_ptrIiEEEEjNS1_16block_id_wrapperIjLb0EEEEEvT_jjPNSG_10value_typeET0_PNSt15iterator_traitsISJ_E10value_typeEmT1_T2_
	.globl	_ZN7rocprim17ROCPRIM_400000_NS6detail30init_device_scan_by_key_kernelINS1_19lookback_scan_stateINS0_5tupleIJdbEEELb1ELb0EEEN6thrust23THRUST_200600_302600_NS6detail15normal_iteratorINS8_10device_ptrIiEEEEjNS1_16block_id_wrapperIjLb0EEEEEvT_jjPNSG_10value_typeET0_PNSt15iterator_traitsISJ_E10value_typeEmT1_T2_
	.p2align	8
	.type	_ZN7rocprim17ROCPRIM_400000_NS6detail30init_device_scan_by_key_kernelINS1_19lookback_scan_stateINS0_5tupleIJdbEEELb1ELb0EEEN6thrust23THRUST_200600_302600_NS6detail15normal_iteratorINS8_10device_ptrIiEEEEjNS1_16block_id_wrapperIjLb0EEEEEvT_jjPNSG_10value_typeET0_PNSt15iterator_traitsISJ_E10value_typeEmT1_T2_,@function
_ZN7rocprim17ROCPRIM_400000_NS6detail30init_device_scan_by_key_kernelINS1_19lookback_scan_stateINS0_5tupleIJdbEEELb1ELb0EEEN6thrust23THRUST_200600_302600_NS6detail15normal_iteratorINS8_10device_ptrIiEEEEjNS1_16block_id_wrapperIjLb0EEEEEvT_jjPNSG_10value_typeET0_PNSt15iterator_traitsISJ_E10value_typeEmT1_T2_: ; @_ZN7rocprim17ROCPRIM_400000_NS6detail30init_device_scan_by_key_kernelINS1_19lookback_scan_stateINS0_5tupleIJdbEEELb1ELb0EEEN6thrust23THRUST_200600_302600_NS6detail15normal_iteratorINS8_10device_ptrIiEEEEjNS1_16block_id_wrapperIjLb0EEEEEvT_jjPNSG_10value_typeET0_PNSt15iterator_traitsISJ_E10value_typeEmT1_T2_
; %bb.0:
	s_clause 0x2
	s_load_dword s0, s[4:5], 0x54
	s_load_dwordx8 s[8:15], s[4:5], 0x10
	s_load_dword s18, s[4:5], 0x48
	s_waitcnt lgkmcnt(0)
	s_and_b32 s19, s0, 0xffff
	s_cmp_eq_u64 s[12:13], 0
	v_mad_u64_u32 v[0:1], null, s6, s19, v[0:1]
	s_cbranch_scc1 .LBB1105_9
; %bb.1:
	s_cmp_lt_u32 s11, s10
	s_mov_b32 s7, 0
	s_cselect_b32 s0, s11, 0
	s_mov_b32 s20, exec_lo
	v_cmpx_eq_u32_e64 s0, v0
	s_cbranch_execz .LBB1105_8
; %bb.2:
	s_add_i32 s6, s11, 32
	s_load_dwordx4 s[0:3], s[4:5], 0x0
	v_mov_b32_e32 v1, s6
	s_add_u32 s16, s8, s6
	s_addc_u32 s17, s9, 0
	global_load_ubyte v2, v1, s[8:9] glc dlc
	v_mov_b32_e32 v1, 0
	s_waitcnt vmcnt(0)
	v_cmp_ne_u32_sdwa s11, v2, v1 src0_sel:WORD_0 src1_sel:DWORD
	v_readfirstlane_b32 s21, v2
	s_and_b32 vcc_lo, exec_lo, s11
	s_cbranch_vccnz .LBB1105_7
; %bb.3:
	s_mov_b32 s11, 1
.LBB1105_4:                             ; =>This Loop Header: Depth=1
                                        ;     Child Loop BB1105_5 Depth 2
	s_mov_b32 s21, s11
.LBB1105_5:                             ;   Parent Loop BB1105_4 Depth=1
                                        ; =>  This Inner Loop Header: Depth=2
	s_add_i32 s21, s21, -1
	s_sleep 1
	s_cmp_eq_u32 s21, 0
	s_cbranch_scc0 .LBB1105_5
; %bb.6:                                ;   in Loop: Header=BB1105_4 Depth=1
	global_load_ubyte v2, v1, s[16:17] glc dlc
	s_cmp_lt_u32 s11, 32
	s_cselect_b32 s21, -1, 0
	s_cmp_lg_u32 s21, 0
	s_addc_u32 s11, s11, 0
	s_waitcnt vmcnt(0)
	v_cmp_ne_u32_sdwa s22, v2, v1 src0_sel:WORD_0 src1_sel:DWORD
	v_readfirstlane_b32 s21, v2
	s_and_b32 vcc_lo, exec_lo, s22
	s_cbranch_vccz .LBB1105_4
.LBB1105_7:
	s_and_b32 s11, 0xffff, s21
	v_mov_b32_e32 v3, 0
	s_cmp_eq_u32 s11, 1
	s_waitcnt lgkmcnt(0)
	buffer_gl1_inv
	buffer_gl0_inv
	s_cselect_b32 s3, s1, s3
	s_cselect_b32 s2, s0, s2
	s_lshl_b64 s[0:1], s[6:7], 4
	s_add_u32 s0, s2, s0
	s_addc_u32 s1, s3, s1
	s_clause 0x1
	global_load_dwordx2 v[1:2], v3, s[0:1]
	global_load_ubyte v4, v3, s[0:1] offset:8
	s_waitcnt vmcnt(1)
	global_store_dwordx2 v3, v[1:2], s[12:13]
	s_waitcnt vmcnt(0)
	global_store_byte v3, v4, s[12:13] offset:8
.LBB1105_8:
	s_or_b32 exec_lo, exec_lo, s20
.LBB1105_9:
	s_mov_b32 s0, exec_lo
	v_cmpx_gt_u32_e64 s10, v0
	s_cbranch_execz .LBB1105_11
; %bb.10:
	v_add_nc_u32_e32 v1, 32, v0
	v_mov_b32_e32 v2, 0
	global_store_byte v1, v2, s[8:9]
.LBB1105_11:
	s_or_b32 exec_lo, exec_lo, s0
	v_mov_b32_e32 v1, 0
	s_mov_b32 s0, exec_lo
	v_cmpx_gt_u32_e32 32, v0
	s_cbranch_execz .LBB1105_13
; %bb.12:
	v_add_co_u32 v2, s1, s8, v0
	v_add_co_ci_u32_e64 v3, null, s9, 0, s1
	v_mov_b32_e32 v4, 0xff
	global_store_byte v[2:3], v4, off
.LBB1105_13:
	s_or_b32 exec_lo, exec_lo, s0
	s_load_dwordx2 s[2:3], s[4:5], 0x38
	s_mov_b32 s0, exec_lo
	s_waitcnt lgkmcnt(0)
	v_cmpx_gt_u64_e64 s[2:3], v[0:1]
	s_cbranch_execz .LBB1105_16
; %bb.14:
	s_clause 0x1
	s_load_dword s8, s[4:5], 0x40
	s_load_dwordx2 s[6:7], s[4:5], 0x30
	s_mov_b32 s1, 0
	v_lshlrev_b64 v[4:5], 2, v[0:1]
	s_mul_i32 s4, s18, s19
	s_waitcnt lgkmcnt(0)
	v_mad_u64_u32 v[2:3], null, s8, v0, 0
	s_add_i32 s0, s8, -1
	s_mul_hi_u32 s9, s8, s4
	s_lshl_b64 s[10:11], s[0:1], 2
	s_mul_i32 s8, s8, s4
	s_add_u32 s0, s14, s10
	s_addc_u32 s5, s15, s11
	v_lshlrev_b64 v[2:3], 2, v[2:3]
	v_add_co_u32 v2, vcc_lo, s0, v2
	v_add_co_ci_u32_e64 v3, null, s5, v3, vcc_lo
	v_add_co_u32 v4, vcc_lo, s6, v4
	v_add_co_ci_u32_e64 v5, null, s7, v5, vcc_lo
	s_mov_b32 s5, s1
	s_lshl_b64 s[6:7], s[8:9], 2
	s_lshl_b64 s[8:9], s[4:5], 2
	.p2align	6
.LBB1105_15:                            ; =>This Inner Loop Header: Depth=1
	global_load_dword v6, v[2:3], off
	v_add_co_u32 v0, vcc_lo, v0, s4
	v_add_co_ci_u32_e64 v1, null, 0, v1, vcc_lo
	v_add_co_u32 v2, vcc_lo, v2, s6
	v_add_co_ci_u32_e64 v3, null, s7, v3, vcc_lo
	v_cmp_le_u64_e32 vcc_lo, s[2:3], v[0:1]
	s_or_b32 s1, vcc_lo, s1
	s_waitcnt vmcnt(0)
	global_store_dword v[4:5], v6, off
	v_add_co_u32 v4, s0, v4, s8
	v_add_co_ci_u32_e64 v5, null, s9, v5, s0
	s_andn2_b32 exec_lo, exec_lo, s1
	s_cbranch_execnz .LBB1105_15
.LBB1105_16:
	s_endpgm
	.section	.rodata,"a",@progbits
	.p2align	6, 0x0
	.amdhsa_kernel _ZN7rocprim17ROCPRIM_400000_NS6detail30init_device_scan_by_key_kernelINS1_19lookback_scan_stateINS0_5tupleIJdbEEELb1ELb0EEEN6thrust23THRUST_200600_302600_NS6detail15normal_iteratorINS8_10device_ptrIiEEEEjNS1_16block_id_wrapperIjLb0EEEEEvT_jjPNSG_10value_typeET0_PNSt15iterator_traitsISJ_E10value_typeEmT1_T2_
		.amdhsa_group_segment_fixed_size 0
		.amdhsa_private_segment_fixed_size 0
		.amdhsa_kernarg_size 328
		.amdhsa_user_sgpr_count 6
		.amdhsa_user_sgpr_private_segment_buffer 1
		.amdhsa_user_sgpr_dispatch_ptr 0
		.amdhsa_user_sgpr_queue_ptr 0
		.amdhsa_user_sgpr_kernarg_segment_ptr 1
		.amdhsa_user_sgpr_dispatch_id 0
		.amdhsa_user_sgpr_flat_scratch_init 0
		.amdhsa_user_sgpr_private_segment_size 0
		.amdhsa_wavefront_size32 1
		.amdhsa_uses_dynamic_stack 0
		.amdhsa_system_sgpr_private_segment_wavefront_offset 0
		.amdhsa_system_sgpr_workgroup_id_x 1
		.amdhsa_system_sgpr_workgroup_id_y 0
		.amdhsa_system_sgpr_workgroup_id_z 0
		.amdhsa_system_sgpr_workgroup_info 0
		.amdhsa_system_vgpr_workitem_id 0
		.amdhsa_next_free_vgpr 7
		.amdhsa_next_free_sgpr 23
		.amdhsa_reserve_vcc 1
		.amdhsa_reserve_flat_scratch 0
		.amdhsa_float_round_mode_32 0
		.amdhsa_float_round_mode_16_64 0
		.amdhsa_float_denorm_mode_32 3
		.amdhsa_float_denorm_mode_16_64 3
		.amdhsa_dx10_clamp 1
		.amdhsa_ieee_mode 1
		.amdhsa_fp16_overflow 0
		.amdhsa_workgroup_processor_mode 1
		.amdhsa_memory_ordered 1
		.amdhsa_forward_progress 1
		.amdhsa_shared_vgpr_count 0
		.amdhsa_exception_fp_ieee_invalid_op 0
		.amdhsa_exception_fp_denorm_src 0
		.amdhsa_exception_fp_ieee_div_zero 0
		.amdhsa_exception_fp_ieee_overflow 0
		.amdhsa_exception_fp_ieee_underflow 0
		.amdhsa_exception_fp_ieee_inexact 0
		.amdhsa_exception_int_div_zero 0
	.end_amdhsa_kernel
	.section	.text._ZN7rocprim17ROCPRIM_400000_NS6detail30init_device_scan_by_key_kernelINS1_19lookback_scan_stateINS0_5tupleIJdbEEELb1ELb0EEEN6thrust23THRUST_200600_302600_NS6detail15normal_iteratorINS8_10device_ptrIiEEEEjNS1_16block_id_wrapperIjLb0EEEEEvT_jjPNSG_10value_typeET0_PNSt15iterator_traitsISJ_E10value_typeEmT1_T2_,"axG",@progbits,_ZN7rocprim17ROCPRIM_400000_NS6detail30init_device_scan_by_key_kernelINS1_19lookback_scan_stateINS0_5tupleIJdbEEELb1ELb0EEEN6thrust23THRUST_200600_302600_NS6detail15normal_iteratorINS8_10device_ptrIiEEEEjNS1_16block_id_wrapperIjLb0EEEEEvT_jjPNSG_10value_typeET0_PNSt15iterator_traitsISJ_E10value_typeEmT1_T2_,comdat
.Lfunc_end1105:
	.size	_ZN7rocprim17ROCPRIM_400000_NS6detail30init_device_scan_by_key_kernelINS1_19lookback_scan_stateINS0_5tupleIJdbEEELb1ELb0EEEN6thrust23THRUST_200600_302600_NS6detail15normal_iteratorINS8_10device_ptrIiEEEEjNS1_16block_id_wrapperIjLb0EEEEEvT_jjPNSG_10value_typeET0_PNSt15iterator_traitsISJ_E10value_typeEmT1_T2_, .Lfunc_end1105-_ZN7rocprim17ROCPRIM_400000_NS6detail30init_device_scan_by_key_kernelINS1_19lookback_scan_stateINS0_5tupleIJdbEEELb1ELb0EEEN6thrust23THRUST_200600_302600_NS6detail15normal_iteratorINS8_10device_ptrIiEEEEjNS1_16block_id_wrapperIjLb0EEEEEvT_jjPNSG_10value_typeET0_PNSt15iterator_traitsISJ_E10value_typeEmT1_T2_
                                        ; -- End function
	.set _ZN7rocprim17ROCPRIM_400000_NS6detail30init_device_scan_by_key_kernelINS1_19lookback_scan_stateINS0_5tupleIJdbEEELb1ELb0EEEN6thrust23THRUST_200600_302600_NS6detail15normal_iteratorINS8_10device_ptrIiEEEEjNS1_16block_id_wrapperIjLb0EEEEEvT_jjPNSG_10value_typeET0_PNSt15iterator_traitsISJ_E10value_typeEmT1_T2_.num_vgpr, 7
	.set _ZN7rocprim17ROCPRIM_400000_NS6detail30init_device_scan_by_key_kernelINS1_19lookback_scan_stateINS0_5tupleIJdbEEELb1ELb0EEEN6thrust23THRUST_200600_302600_NS6detail15normal_iteratorINS8_10device_ptrIiEEEEjNS1_16block_id_wrapperIjLb0EEEEEvT_jjPNSG_10value_typeET0_PNSt15iterator_traitsISJ_E10value_typeEmT1_T2_.num_agpr, 0
	.set _ZN7rocprim17ROCPRIM_400000_NS6detail30init_device_scan_by_key_kernelINS1_19lookback_scan_stateINS0_5tupleIJdbEEELb1ELb0EEEN6thrust23THRUST_200600_302600_NS6detail15normal_iteratorINS8_10device_ptrIiEEEEjNS1_16block_id_wrapperIjLb0EEEEEvT_jjPNSG_10value_typeET0_PNSt15iterator_traitsISJ_E10value_typeEmT1_T2_.numbered_sgpr, 23
	.set _ZN7rocprim17ROCPRIM_400000_NS6detail30init_device_scan_by_key_kernelINS1_19lookback_scan_stateINS0_5tupleIJdbEEELb1ELb0EEEN6thrust23THRUST_200600_302600_NS6detail15normal_iteratorINS8_10device_ptrIiEEEEjNS1_16block_id_wrapperIjLb0EEEEEvT_jjPNSG_10value_typeET0_PNSt15iterator_traitsISJ_E10value_typeEmT1_T2_.num_named_barrier, 0
	.set _ZN7rocprim17ROCPRIM_400000_NS6detail30init_device_scan_by_key_kernelINS1_19lookback_scan_stateINS0_5tupleIJdbEEELb1ELb0EEEN6thrust23THRUST_200600_302600_NS6detail15normal_iteratorINS8_10device_ptrIiEEEEjNS1_16block_id_wrapperIjLb0EEEEEvT_jjPNSG_10value_typeET0_PNSt15iterator_traitsISJ_E10value_typeEmT1_T2_.private_seg_size, 0
	.set _ZN7rocprim17ROCPRIM_400000_NS6detail30init_device_scan_by_key_kernelINS1_19lookback_scan_stateINS0_5tupleIJdbEEELb1ELb0EEEN6thrust23THRUST_200600_302600_NS6detail15normal_iteratorINS8_10device_ptrIiEEEEjNS1_16block_id_wrapperIjLb0EEEEEvT_jjPNSG_10value_typeET0_PNSt15iterator_traitsISJ_E10value_typeEmT1_T2_.uses_vcc, 1
	.set _ZN7rocprim17ROCPRIM_400000_NS6detail30init_device_scan_by_key_kernelINS1_19lookback_scan_stateINS0_5tupleIJdbEEELb1ELb0EEEN6thrust23THRUST_200600_302600_NS6detail15normal_iteratorINS8_10device_ptrIiEEEEjNS1_16block_id_wrapperIjLb0EEEEEvT_jjPNSG_10value_typeET0_PNSt15iterator_traitsISJ_E10value_typeEmT1_T2_.uses_flat_scratch, 0
	.set _ZN7rocprim17ROCPRIM_400000_NS6detail30init_device_scan_by_key_kernelINS1_19lookback_scan_stateINS0_5tupleIJdbEEELb1ELb0EEEN6thrust23THRUST_200600_302600_NS6detail15normal_iteratorINS8_10device_ptrIiEEEEjNS1_16block_id_wrapperIjLb0EEEEEvT_jjPNSG_10value_typeET0_PNSt15iterator_traitsISJ_E10value_typeEmT1_T2_.has_dyn_sized_stack, 0
	.set _ZN7rocprim17ROCPRIM_400000_NS6detail30init_device_scan_by_key_kernelINS1_19lookback_scan_stateINS0_5tupleIJdbEEELb1ELb0EEEN6thrust23THRUST_200600_302600_NS6detail15normal_iteratorINS8_10device_ptrIiEEEEjNS1_16block_id_wrapperIjLb0EEEEEvT_jjPNSG_10value_typeET0_PNSt15iterator_traitsISJ_E10value_typeEmT1_T2_.has_recursion, 0
	.set _ZN7rocprim17ROCPRIM_400000_NS6detail30init_device_scan_by_key_kernelINS1_19lookback_scan_stateINS0_5tupleIJdbEEELb1ELb0EEEN6thrust23THRUST_200600_302600_NS6detail15normal_iteratorINS8_10device_ptrIiEEEEjNS1_16block_id_wrapperIjLb0EEEEEvT_jjPNSG_10value_typeET0_PNSt15iterator_traitsISJ_E10value_typeEmT1_T2_.has_indirect_call, 0
	.section	.AMDGPU.csdata,"",@progbits
; Kernel info:
; codeLenInByte = 664
; TotalNumSgprs: 25
; NumVgprs: 7
; ScratchSize: 0
; MemoryBound: 0
; FloatMode: 240
; IeeeMode: 1
; LDSByteSize: 0 bytes/workgroup (compile time only)
; SGPRBlocks: 0
; VGPRBlocks: 0
; NumSGPRsForWavesPerEU: 25
; NumVGPRsForWavesPerEU: 7
; Occupancy: 16
; WaveLimiterHint : 0
; COMPUTE_PGM_RSRC2:SCRATCH_EN: 0
; COMPUTE_PGM_RSRC2:USER_SGPR: 6
; COMPUTE_PGM_RSRC2:TRAP_HANDLER: 0
; COMPUTE_PGM_RSRC2:TGID_X_EN: 1
; COMPUTE_PGM_RSRC2:TGID_Y_EN: 0
; COMPUTE_PGM_RSRC2:TGID_Z_EN: 0
; COMPUTE_PGM_RSRC2:TIDIG_COMP_CNT: 0
	.section	.text._ZN7rocprim17ROCPRIM_400000_NS6detail30init_device_scan_by_key_kernelINS1_19lookback_scan_stateINS0_5tupleIJdbEEELb1ELb0EEENS1_16block_id_wrapperIjLb0EEEEEvT_jjPNS9_10value_typeET0_,"axG",@progbits,_ZN7rocprim17ROCPRIM_400000_NS6detail30init_device_scan_by_key_kernelINS1_19lookback_scan_stateINS0_5tupleIJdbEEELb1ELb0EEENS1_16block_id_wrapperIjLb0EEEEEvT_jjPNS9_10value_typeET0_,comdat
	.protected	_ZN7rocprim17ROCPRIM_400000_NS6detail30init_device_scan_by_key_kernelINS1_19lookback_scan_stateINS0_5tupleIJdbEEELb1ELb0EEENS1_16block_id_wrapperIjLb0EEEEEvT_jjPNS9_10value_typeET0_ ; -- Begin function _ZN7rocprim17ROCPRIM_400000_NS6detail30init_device_scan_by_key_kernelINS1_19lookback_scan_stateINS0_5tupleIJdbEEELb1ELb0EEENS1_16block_id_wrapperIjLb0EEEEEvT_jjPNS9_10value_typeET0_
	.globl	_ZN7rocprim17ROCPRIM_400000_NS6detail30init_device_scan_by_key_kernelINS1_19lookback_scan_stateINS0_5tupleIJdbEEELb1ELb0EEENS1_16block_id_wrapperIjLb0EEEEEvT_jjPNS9_10value_typeET0_
	.p2align	8
	.type	_ZN7rocprim17ROCPRIM_400000_NS6detail30init_device_scan_by_key_kernelINS1_19lookback_scan_stateINS0_5tupleIJdbEEELb1ELb0EEENS1_16block_id_wrapperIjLb0EEEEEvT_jjPNS9_10value_typeET0_,@function
_ZN7rocprim17ROCPRIM_400000_NS6detail30init_device_scan_by_key_kernelINS1_19lookback_scan_stateINS0_5tupleIJdbEEELb1ELb0EEENS1_16block_id_wrapperIjLb0EEEEEvT_jjPNS9_10value_typeET0_: ; @_ZN7rocprim17ROCPRIM_400000_NS6detail30init_device_scan_by_key_kernelINS1_19lookback_scan_stateINS0_5tupleIJdbEEELb1ELb0EEENS1_16block_id_wrapperIjLb0EEEEEvT_jjPNS9_10value_typeET0_
; %bb.0:
	s_clause 0x2
	s_load_dword s7, s[4:5], 0x3c
	s_load_dwordx2 s[8:9], s[4:5], 0x20
	s_load_dwordx4 s[0:3], s[4:5], 0x10
	s_waitcnt lgkmcnt(0)
	s_and_b32 s7, s7, 0xffff
	s_cmp_eq_u64 s[8:9], 0
	v_mad_u64_u32 v[0:1], null, s6, s7, v[0:1]
	s_cbranch_scc1 .LBB1106_9
; %bb.1:
	s_cmp_lt_u32 s3, s2
	s_mov_b32 s11, 0
	s_cselect_b32 s6, s3, 0
	s_mov_b32 s14, exec_lo
	v_cmpx_eq_u32_e64 s6, v0
	s_cbranch_execz .LBB1106_8
; %bb.2:
	s_add_i32 s10, s3, 32
	s_load_dwordx4 s[4:7], s[4:5], 0x0
	v_mov_b32_e32 v1, s10
	s_add_u32 s12, s0, s10
	s_addc_u32 s13, s1, 0
	global_load_ubyte v2, v1, s[0:1] glc dlc
	v_mov_b32_e32 v1, 0
	s_waitcnt vmcnt(0)
	v_cmp_ne_u32_sdwa s3, v2, v1 src0_sel:WORD_0 src1_sel:DWORD
	v_readfirstlane_b32 s15, v2
	s_and_b32 vcc_lo, exec_lo, s3
	s_cbranch_vccnz .LBB1106_7
; %bb.3:
	s_mov_b32 s3, 1
.LBB1106_4:                             ; =>This Loop Header: Depth=1
                                        ;     Child Loop BB1106_5 Depth 2
	s_mov_b32 s15, s3
.LBB1106_5:                             ;   Parent Loop BB1106_4 Depth=1
                                        ; =>  This Inner Loop Header: Depth=2
	s_add_i32 s15, s15, -1
	s_sleep 1
	s_cmp_eq_u32 s15, 0
	s_cbranch_scc0 .LBB1106_5
; %bb.6:                                ;   in Loop: Header=BB1106_4 Depth=1
	global_load_ubyte v2, v1, s[12:13] glc dlc
	s_cmp_lt_u32 s3, 32
	s_cselect_b32 s15, -1, 0
	s_cmp_lg_u32 s15, 0
	s_addc_u32 s3, s3, 0
	s_waitcnt vmcnt(0)
	v_cmp_ne_u32_sdwa s16, v2, v1 src0_sel:WORD_0 src1_sel:DWORD
	v_readfirstlane_b32 s15, v2
	s_and_b32 vcc_lo, exec_lo, s16
	s_cbranch_vccz .LBB1106_4
.LBB1106_7:
	s_and_b32 s3, 0xffff, s15
	v_mov_b32_e32 v3, 0
	s_cmp_eq_u32 s3, 1
	s_waitcnt lgkmcnt(0)
	buffer_gl1_inv
	buffer_gl0_inv
	s_cselect_b32 s3, s5, s7
	s_cselect_b32 s6, s4, s6
	s_lshl_b64 s[4:5], s[10:11], 4
	s_add_u32 s4, s6, s4
	s_addc_u32 s5, s3, s5
	s_clause 0x1
	global_load_dwordx2 v[1:2], v3, s[4:5]
	global_load_ubyte v4, v3, s[4:5] offset:8
	s_waitcnt vmcnt(1)
	global_store_dwordx2 v3, v[1:2], s[8:9]
	s_waitcnt vmcnt(0)
	global_store_byte v3, v4, s[8:9] offset:8
.LBB1106_8:
	s_or_b32 exec_lo, exec_lo, s14
.LBB1106_9:
	v_cmp_gt_u32_e32 vcc_lo, s2, v0
	s_and_saveexec_b32 s2, vcc_lo
	s_cbranch_execz .LBB1106_11
; %bb.10:
	v_add_nc_u32_e32 v1, 32, v0
	v_mov_b32_e32 v2, 0
	global_store_byte v1, v2, s[0:1]
.LBB1106_11:
	s_or_b32 exec_lo, exec_lo, s2
	s_mov_b32 s2, exec_lo
	v_cmpx_gt_u32_e32 32, v0
	s_cbranch_execz .LBB1106_13
; %bb.12:
	v_mov_b32_e32 v1, 0xff
	global_store_byte v0, v1, s[0:1]
.LBB1106_13:
	s_endpgm
	.section	.rodata,"a",@progbits
	.p2align	6, 0x0
	.amdhsa_kernel _ZN7rocprim17ROCPRIM_400000_NS6detail30init_device_scan_by_key_kernelINS1_19lookback_scan_stateINS0_5tupleIJdbEEELb1ELb0EEENS1_16block_id_wrapperIjLb0EEEEEvT_jjPNS9_10value_typeET0_
		.amdhsa_group_segment_fixed_size 0
		.amdhsa_private_segment_fixed_size 0
		.amdhsa_kernarg_size 304
		.amdhsa_user_sgpr_count 6
		.amdhsa_user_sgpr_private_segment_buffer 1
		.amdhsa_user_sgpr_dispatch_ptr 0
		.amdhsa_user_sgpr_queue_ptr 0
		.amdhsa_user_sgpr_kernarg_segment_ptr 1
		.amdhsa_user_sgpr_dispatch_id 0
		.amdhsa_user_sgpr_flat_scratch_init 0
		.amdhsa_user_sgpr_private_segment_size 0
		.amdhsa_wavefront_size32 1
		.amdhsa_uses_dynamic_stack 0
		.amdhsa_system_sgpr_private_segment_wavefront_offset 0
		.amdhsa_system_sgpr_workgroup_id_x 1
		.amdhsa_system_sgpr_workgroup_id_y 0
		.amdhsa_system_sgpr_workgroup_id_z 0
		.amdhsa_system_sgpr_workgroup_info 0
		.amdhsa_system_vgpr_workitem_id 0
		.amdhsa_next_free_vgpr 5
		.amdhsa_next_free_sgpr 17
		.amdhsa_reserve_vcc 1
		.amdhsa_reserve_flat_scratch 0
		.amdhsa_float_round_mode_32 0
		.amdhsa_float_round_mode_16_64 0
		.amdhsa_float_denorm_mode_32 3
		.amdhsa_float_denorm_mode_16_64 3
		.amdhsa_dx10_clamp 1
		.amdhsa_ieee_mode 1
		.amdhsa_fp16_overflow 0
		.amdhsa_workgroup_processor_mode 1
		.amdhsa_memory_ordered 1
		.amdhsa_forward_progress 1
		.amdhsa_shared_vgpr_count 0
		.amdhsa_exception_fp_ieee_invalid_op 0
		.amdhsa_exception_fp_denorm_src 0
		.amdhsa_exception_fp_ieee_div_zero 0
		.amdhsa_exception_fp_ieee_overflow 0
		.amdhsa_exception_fp_ieee_underflow 0
		.amdhsa_exception_fp_ieee_inexact 0
		.amdhsa_exception_int_div_zero 0
	.end_amdhsa_kernel
	.section	.text._ZN7rocprim17ROCPRIM_400000_NS6detail30init_device_scan_by_key_kernelINS1_19lookback_scan_stateINS0_5tupleIJdbEEELb1ELb0EEENS1_16block_id_wrapperIjLb0EEEEEvT_jjPNS9_10value_typeET0_,"axG",@progbits,_ZN7rocprim17ROCPRIM_400000_NS6detail30init_device_scan_by_key_kernelINS1_19lookback_scan_stateINS0_5tupleIJdbEEELb1ELb0EEENS1_16block_id_wrapperIjLb0EEEEEvT_jjPNS9_10value_typeET0_,comdat
.Lfunc_end1106:
	.size	_ZN7rocprim17ROCPRIM_400000_NS6detail30init_device_scan_by_key_kernelINS1_19lookback_scan_stateINS0_5tupleIJdbEEELb1ELb0EEENS1_16block_id_wrapperIjLb0EEEEEvT_jjPNS9_10value_typeET0_, .Lfunc_end1106-_ZN7rocprim17ROCPRIM_400000_NS6detail30init_device_scan_by_key_kernelINS1_19lookback_scan_stateINS0_5tupleIJdbEEELb1ELb0EEENS1_16block_id_wrapperIjLb0EEEEEvT_jjPNS9_10value_typeET0_
                                        ; -- End function
	.set _ZN7rocprim17ROCPRIM_400000_NS6detail30init_device_scan_by_key_kernelINS1_19lookback_scan_stateINS0_5tupleIJdbEEELb1ELb0EEENS1_16block_id_wrapperIjLb0EEEEEvT_jjPNS9_10value_typeET0_.num_vgpr, 5
	.set _ZN7rocprim17ROCPRIM_400000_NS6detail30init_device_scan_by_key_kernelINS1_19lookback_scan_stateINS0_5tupleIJdbEEELb1ELb0EEENS1_16block_id_wrapperIjLb0EEEEEvT_jjPNS9_10value_typeET0_.num_agpr, 0
	.set _ZN7rocprim17ROCPRIM_400000_NS6detail30init_device_scan_by_key_kernelINS1_19lookback_scan_stateINS0_5tupleIJdbEEELb1ELb0EEENS1_16block_id_wrapperIjLb0EEEEEvT_jjPNS9_10value_typeET0_.numbered_sgpr, 17
	.set _ZN7rocprim17ROCPRIM_400000_NS6detail30init_device_scan_by_key_kernelINS1_19lookback_scan_stateINS0_5tupleIJdbEEELb1ELb0EEENS1_16block_id_wrapperIjLb0EEEEEvT_jjPNS9_10value_typeET0_.num_named_barrier, 0
	.set _ZN7rocprim17ROCPRIM_400000_NS6detail30init_device_scan_by_key_kernelINS1_19lookback_scan_stateINS0_5tupleIJdbEEELb1ELb0EEENS1_16block_id_wrapperIjLb0EEEEEvT_jjPNS9_10value_typeET0_.private_seg_size, 0
	.set _ZN7rocprim17ROCPRIM_400000_NS6detail30init_device_scan_by_key_kernelINS1_19lookback_scan_stateINS0_5tupleIJdbEEELb1ELb0EEENS1_16block_id_wrapperIjLb0EEEEEvT_jjPNS9_10value_typeET0_.uses_vcc, 1
	.set _ZN7rocprim17ROCPRIM_400000_NS6detail30init_device_scan_by_key_kernelINS1_19lookback_scan_stateINS0_5tupleIJdbEEELb1ELb0EEENS1_16block_id_wrapperIjLb0EEEEEvT_jjPNS9_10value_typeET0_.uses_flat_scratch, 0
	.set _ZN7rocprim17ROCPRIM_400000_NS6detail30init_device_scan_by_key_kernelINS1_19lookback_scan_stateINS0_5tupleIJdbEEELb1ELb0EEENS1_16block_id_wrapperIjLb0EEEEEvT_jjPNS9_10value_typeET0_.has_dyn_sized_stack, 0
	.set _ZN7rocprim17ROCPRIM_400000_NS6detail30init_device_scan_by_key_kernelINS1_19lookback_scan_stateINS0_5tupleIJdbEEELb1ELb0EEENS1_16block_id_wrapperIjLb0EEEEEvT_jjPNS9_10value_typeET0_.has_recursion, 0
	.set _ZN7rocprim17ROCPRIM_400000_NS6detail30init_device_scan_by_key_kernelINS1_19lookback_scan_stateINS0_5tupleIJdbEEELb1ELb0EEENS1_16block_id_wrapperIjLb0EEEEEvT_jjPNS9_10value_typeET0_.has_indirect_call, 0
	.section	.AMDGPU.csdata,"",@progbits
; Kernel info:
; codeLenInByte = 384
; TotalNumSgprs: 19
; NumVgprs: 5
; ScratchSize: 0
; MemoryBound: 0
; FloatMode: 240
; IeeeMode: 1
; LDSByteSize: 0 bytes/workgroup (compile time only)
; SGPRBlocks: 0
; VGPRBlocks: 0
; NumSGPRsForWavesPerEU: 19
; NumVGPRsForWavesPerEU: 5
; Occupancy: 16
; WaveLimiterHint : 0
; COMPUTE_PGM_RSRC2:SCRATCH_EN: 0
; COMPUTE_PGM_RSRC2:USER_SGPR: 6
; COMPUTE_PGM_RSRC2:TRAP_HANDLER: 0
; COMPUTE_PGM_RSRC2:TGID_X_EN: 1
; COMPUTE_PGM_RSRC2:TGID_Y_EN: 0
; COMPUTE_PGM_RSRC2:TGID_Z_EN: 0
; COMPUTE_PGM_RSRC2:TIDIG_COMP_CNT: 0
	.section	.text._ZN7rocprim17ROCPRIM_400000_NS6detail17trampoline_kernelINS0_14default_configENS1_27scan_by_key_config_selectorIidEEZZNS1_16scan_by_key_implILNS1_25lookback_scan_determinismE0ELb0ES3_N6thrust23THRUST_200600_302600_NS6detail15normal_iteratorINS9_10device_ptrIiEEEENSB_INSC_IdEEEESG_dNS9_4plusIvEENS9_8equal_toIvEEdEE10hipError_tPvRmT2_T3_T4_T5_mT6_T7_P12ihipStream_tbENKUlT_T0_E_clISt17integral_constantIbLb1EES10_IbLb0EEEEDaSW_SX_EUlSW_E_NS1_11comp_targetILNS1_3genE0ELNS1_11target_archE4294967295ELNS1_3gpuE0ELNS1_3repE0EEENS1_30default_config_static_selectorELNS0_4arch9wavefront6targetE0EEEvT1_,"axG",@progbits,_ZN7rocprim17ROCPRIM_400000_NS6detail17trampoline_kernelINS0_14default_configENS1_27scan_by_key_config_selectorIidEEZZNS1_16scan_by_key_implILNS1_25lookback_scan_determinismE0ELb0ES3_N6thrust23THRUST_200600_302600_NS6detail15normal_iteratorINS9_10device_ptrIiEEEENSB_INSC_IdEEEESG_dNS9_4plusIvEENS9_8equal_toIvEEdEE10hipError_tPvRmT2_T3_T4_T5_mT6_T7_P12ihipStream_tbENKUlT_T0_E_clISt17integral_constantIbLb1EES10_IbLb0EEEEDaSW_SX_EUlSW_E_NS1_11comp_targetILNS1_3genE0ELNS1_11target_archE4294967295ELNS1_3gpuE0ELNS1_3repE0EEENS1_30default_config_static_selectorELNS0_4arch9wavefront6targetE0EEEvT1_,comdat
	.protected	_ZN7rocprim17ROCPRIM_400000_NS6detail17trampoline_kernelINS0_14default_configENS1_27scan_by_key_config_selectorIidEEZZNS1_16scan_by_key_implILNS1_25lookback_scan_determinismE0ELb0ES3_N6thrust23THRUST_200600_302600_NS6detail15normal_iteratorINS9_10device_ptrIiEEEENSB_INSC_IdEEEESG_dNS9_4plusIvEENS9_8equal_toIvEEdEE10hipError_tPvRmT2_T3_T4_T5_mT6_T7_P12ihipStream_tbENKUlT_T0_E_clISt17integral_constantIbLb1EES10_IbLb0EEEEDaSW_SX_EUlSW_E_NS1_11comp_targetILNS1_3genE0ELNS1_11target_archE4294967295ELNS1_3gpuE0ELNS1_3repE0EEENS1_30default_config_static_selectorELNS0_4arch9wavefront6targetE0EEEvT1_ ; -- Begin function _ZN7rocprim17ROCPRIM_400000_NS6detail17trampoline_kernelINS0_14default_configENS1_27scan_by_key_config_selectorIidEEZZNS1_16scan_by_key_implILNS1_25lookback_scan_determinismE0ELb0ES3_N6thrust23THRUST_200600_302600_NS6detail15normal_iteratorINS9_10device_ptrIiEEEENSB_INSC_IdEEEESG_dNS9_4plusIvEENS9_8equal_toIvEEdEE10hipError_tPvRmT2_T3_T4_T5_mT6_T7_P12ihipStream_tbENKUlT_T0_E_clISt17integral_constantIbLb1EES10_IbLb0EEEEDaSW_SX_EUlSW_E_NS1_11comp_targetILNS1_3genE0ELNS1_11target_archE4294967295ELNS1_3gpuE0ELNS1_3repE0EEENS1_30default_config_static_selectorELNS0_4arch9wavefront6targetE0EEEvT1_
	.globl	_ZN7rocprim17ROCPRIM_400000_NS6detail17trampoline_kernelINS0_14default_configENS1_27scan_by_key_config_selectorIidEEZZNS1_16scan_by_key_implILNS1_25lookback_scan_determinismE0ELb0ES3_N6thrust23THRUST_200600_302600_NS6detail15normal_iteratorINS9_10device_ptrIiEEEENSB_INSC_IdEEEESG_dNS9_4plusIvEENS9_8equal_toIvEEdEE10hipError_tPvRmT2_T3_T4_T5_mT6_T7_P12ihipStream_tbENKUlT_T0_E_clISt17integral_constantIbLb1EES10_IbLb0EEEEDaSW_SX_EUlSW_E_NS1_11comp_targetILNS1_3genE0ELNS1_11target_archE4294967295ELNS1_3gpuE0ELNS1_3repE0EEENS1_30default_config_static_selectorELNS0_4arch9wavefront6targetE0EEEvT1_
	.p2align	8
	.type	_ZN7rocprim17ROCPRIM_400000_NS6detail17trampoline_kernelINS0_14default_configENS1_27scan_by_key_config_selectorIidEEZZNS1_16scan_by_key_implILNS1_25lookback_scan_determinismE0ELb0ES3_N6thrust23THRUST_200600_302600_NS6detail15normal_iteratorINS9_10device_ptrIiEEEENSB_INSC_IdEEEESG_dNS9_4plusIvEENS9_8equal_toIvEEdEE10hipError_tPvRmT2_T3_T4_T5_mT6_T7_P12ihipStream_tbENKUlT_T0_E_clISt17integral_constantIbLb1EES10_IbLb0EEEEDaSW_SX_EUlSW_E_NS1_11comp_targetILNS1_3genE0ELNS1_11target_archE4294967295ELNS1_3gpuE0ELNS1_3repE0EEENS1_30default_config_static_selectorELNS0_4arch9wavefront6targetE0EEEvT1_,@function
_ZN7rocprim17ROCPRIM_400000_NS6detail17trampoline_kernelINS0_14default_configENS1_27scan_by_key_config_selectorIidEEZZNS1_16scan_by_key_implILNS1_25lookback_scan_determinismE0ELb0ES3_N6thrust23THRUST_200600_302600_NS6detail15normal_iteratorINS9_10device_ptrIiEEEENSB_INSC_IdEEEESG_dNS9_4plusIvEENS9_8equal_toIvEEdEE10hipError_tPvRmT2_T3_T4_T5_mT6_T7_P12ihipStream_tbENKUlT_T0_E_clISt17integral_constantIbLb1EES10_IbLb0EEEEDaSW_SX_EUlSW_E_NS1_11comp_targetILNS1_3genE0ELNS1_11target_archE4294967295ELNS1_3gpuE0ELNS1_3repE0EEENS1_30default_config_static_selectorELNS0_4arch9wavefront6targetE0EEEvT1_: ; @_ZN7rocprim17ROCPRIM_400000_NS6detail17trampoline_kernelINS0_14default_configENS1_27scan_by_key_config_selectorIidEEZZNS1_16scan_by_key_implILNS1_25lookback_scan_determinismE0ELb0ES3_N6thrust23THRUST_200600_302600_NS6detail15normal_iteratorINS9_10device_ptrIiEEEENSB_INSC_IdEEEESG_dNS9_4plusIvEENS9_8equal_toIvEEdEE10hipError_tPvRmT2_T3_T4_T5_mT6_T7_P12ihipStream_tbENKUlT_T0_E_clISt17integral_constantIbLb1EES10_IbLb0EEEEDaSW_SX_EUlSW_E_NS1_11comp_targetILNS1_3genE0ELNS1_11target_archE4294967295ELNS1_3gpuE0ELNS1_3repE0EEENS1_30default_config_static_selectorELNS0_4arch9wavefront6targetE0EEEvT1_
; %bb.0:
	.section	.rodata,"a",@progbits
	.p2align	6, 0x0
	.amdhsa_kernel _ZN7rocprim17ROCPRIM_400000_NS6detail17trampoline_kernelINS0_14default_configENS1_27scan_by_key_config_selectorIidEEZZNS1_16scan_by_key_implILNS1_25lookback_scan_determinismE0ELb0ES3_N6thrust23THRUST_200600_302600_NS6detail15normal_iteratorINS9_10device_ptrIiEEEENSB_INSC_IdEEEESG_dNS9_4plusIvEENS9_8equal_toIvEEdEE10hipError_tPvRmT2_T3_T4_T5_mT6_T7_P12ihipStream_tbENKUlT_T0_E_clISt17integral_constantIbLb1EES10_IbLb0EEEEDaSW_SX_EUlSW_E_NS1_11comp_targetILNS1_3genE0ELNS1_11target_archE4294967295ELNS1_3gpuE0ELNS1_3repE0EEENS1_30default_config_static_selectorELNS0_4arch9wavefront6targetE0EEEvT1_
		.amdhsa_group_segment_fixed_size 0
		.amdhsa_private_segment_fixed_size 0
		.amdhsa_kernarg_size 136
		.amdhsa_user_sgpr_count 6
		.amdhsa_user_sgpr_private_segment_buffer 1
		.amdhsa_user_sgpr_dispatch_ptr 0
		.amdhsa_user_sgpr_queue_ptr 0
		.amdhsa_user_sgpr_kernarg_segment_ptr 1
		.amdhsa_user_sgpr_dispatch_id 0
		.amdhsa_user_sgpr_flat_scratch_init 0
		.amdhsa_user_sgpr_private_segment_size 0
		.amdhsa_wavefront_size32 1
		.amdhsa_uses_dynamic_stack 0
		.amdhsa_system_sgpr_private_segment_wavefront_offset 0
		.amdhsa_system_sgpr_workgroup_id_x 1
		.amdhsa_system_sgpr_workgroup_id_y 0
		.amdhsa_system_sgpr_workgroup_id_z 0
		.amdhsa_system_sgpr_workgroup_info 0
		.amdhsa_system_vgpr_workitem_id 0
		.amdhsa_next_free_vgpr 1
		.amdhsa_next_free_sgpr 1
		.amdhsa_reserve_vcc 0
		.amdhsa_reserve_flat_scratch 0
		.amdhsa_float_round_mode_32 0
		.amdhsa_float_round_mode_16_64 0
		.amdhsa_float_denorm_mode_32 3
		.amdhsa_float_denorm_mode_16_64 3
		.amdhsa_dx10_clamp 1
		.amdhsa_ieee_mode 1
		.amdhsa_fp16_overflow 0
		.amdhsa_workgroup_processor_mode 1
		.amdhsa_memory_ordered 1
		.amdhsa_forward_progress 1
		.amdhsa_shared_vgpr_count 0
		.amdhsa_exception_fp_ieee_invalid_op 0
		.amdhsa_exception_fp_denorm_src 0
		.amdhsa_exception_fp_ieee_div_zero 0
		.amdhsa_exception_fp_ieee_overflow 0
		.amdhsa_exception_fp_ieee_underflow 0
		.amdhsa_exception_fp_ieee_inexact 0
		.amdhsa_exception_int_div_zero 0
	.end_amdhsa_kernel
	.section	.text._ZN7rocprim17ROCPRIM_400000_NS6detail17trampoline_kernelINS0_14default_configENS1_27scan_by_key_config_selectorIidEEZZNS1_16scan_by_key_implILNS1_25lookback_scan_determinismE0ELb0ES3_N6thrust23THRUST_200600_302600_NS6detail15normal_iteratorINS9_10device_ptrIiEEEENSB_INSC_IdEEEESG_dNS9_4plusIvEENS9_8equal_toIvEEdEE10hipError_tPvRmT2_T3_T4_T5_mT6_T7_P12ihipStream_tbENKUlT_T0_E_clISt17integral_constantIbLb1EES10_IbLb0EEEEDaSW_SX_EUlSW_E_NS1_11comp_targetILNS1_3genE0ELNS1_11target_archE4294967295ELNS1_3gpuE0ELNS1_3repE0EEENS1_30default_config_static_selectorELNS0_4arch9wavefront6targetE0EEEvT1_,"axG",@progbits,_ZN7rocprim17ROCPRIM_400000_NS6detail17trampoline_kernelINS0_14default_configENS1_27scan_by_key_config_selectorIidEEZZNS1_16scan_by_key_implILNS1_25lookback_scan_determinismE0ELb0ES3_N6thrust23THRUST_200600_302600_NS6detail15normal_iteratorINS9_10device_ptrIiEEEENSB_INSC_IdEEEESG_dNS9_4plusIvEENS9_8equal_toIvEEdEE10hipError_tPvRmT2_T3_T4_T5_mT6_T7_P12ihipStream_tbENKUlT_T0_E_clISt17integral_constantIbLb1EES10_IbLb0EEEEDaSW_SX_EUlSW_E_NS1_11comp_targetILNS1_3genE0ELNS1_11target_archE4294967295ELNS1_3gpuE0ELNS1_3repE0EEENS1_30default_config_static_selectorELNS0_4arch9wavefront6targetE0EEEvT1_,comdat
.Lfunc_end1107:
	.size	_ZN7rocprim17ROCPRIM_400000_NS6detail17trampoline_kernelINS0_14default_configENS1_27scan_by_key_config_selectorIidEEZZNS1_16scan_by_key_implILNS1_25lookback_scan_determinismE0ELb0ES3_N6thrust23THRUST_200600_302600_NS6detail15normal_iteratorINS9_10device_ptrIiEEEENSB_INSC_IdEEEESG_dNS9_4plusIvEENS9_8equal_toIvEEdEE10hipError_tPvRmT2_T3_T4_T5_mT6_T7_P12ihipStream_tbENKUlT_T0_E_clISt17integral_constantIbLb1EES10_IbLb0EEEEDaSW_SX_EUlSW_E_NS1_11comp_targetILNS1_3genE0ELNS1_11target_archE4294967295ELNS1_3gpuE0ELNS1_3repE0EEENS1_30default_config_static_selectorELNS0_4arch9wavefront6targetE0EEEvT1_, .Lfunc_end1107-_ZN7rocprim17ROCPRIM_400000_NS6detail17trampoline_kernelINS0_14default_configENS1_27scan_by_key_config_selectorIidEEZZNS1_16scan_by_key_implILNS1_25lookback_scan_determinismE0ELb0ES3_N6thrust23THRUST_200600_302600_NS6detail15normal_iteratorINS9_10device_ptrIiEEEENSB_INSC_IdEEEESG_dNS9_4plusIvEENS9_8equal_toIvEEdEE10hipError_tPvRmT2_T3_T4_T5_mT6_T7_P12ihipStream_tbENKUlT_T0_E_clISt17integral_constantIbLb1EES10_IbLb0EEEEDaSW_SX_EUlSW_E_NS1_11comp_targetILNS1_3genE0ELNS1_11target_archE4294967295ELNS1_3gpuE0ELNS1_3repE0EEENS1_30default_config_static_selectorELNS0_4arch9wavefront6targetE0EEEvT1_
                                        ; -- End function
	.set _ZN7rocprim17ROCPRIM_400000_NS6detail17trampoline_kernelINS0_14default_configENS1_27scan_by_key_config_selectorIidEEZZNS1_16scan_by_key_implILNS1_25lookback_scan_determinismE0ELb0ES3_N6thrust23THRUST_200600_302600_NS6detail15normal_iteratorINS9_10device_ptrIiEEEENSB_INSC_IdEEEESG_dNS9_4plusIvEENS9_8equal_toIvEEdEE10hipError_tPvRmT2_T3_T4_T5_mT6_T7_P12ihipStream_tbENKUlT_T0_E_clISt17integral_constantIbLb1EES10_IbLb0EEEEDaSW_SX_EUlSW_E_NS1_11comp_targetILNS1_3genE0ELNS1_11target_archE4294967295ELNS1_3gpuE0ELNS1_3repE0EEENS1_30default_config_static_selectorELNS0_4arch9wavefront6targetE0EEEvT1_.num_vgpr, 0
	.set _ZN7rocprim17ROCPRIM_400000_NS6detail17trampoline_kernelINS0_14default_configENS1_27scan_by_key_config_selectorIidEEZZNS1_16scan_by_key_implILNS1_25lookback_scan_determinismE0ELb0ES3_N6thrust23THRUST_200600_302600_NS6detail15normal_iteratorINS9_10device_ptrIiEEEENSB_INSC_IdEEEESG_dNS9_4plusIvEENS9_8equal_toIvEEdEE10hipError_tPvRmT2_T3_T4_T5_mT6_T7_P12ihipStream_tbENKUlT_T0_E_clISt17integral_constantIbLb1EES10_IbLb0EEEEDaSW_SX_EUlSW_E_NS1_11comp_targetILNS1_3genE0ELNS1_11target_archE4294967295ELNS1_3gpuE0ELNS1_3repE0EEENS1_30default_config_static_selectorELNS0_4arch9wavefront6targetE0EEEvT1_.num_agpr, 0
	.set _ZN7rocprim17ROCPRIM_400000_NS6detail17trampoline_kernelINS0_14default_configENS1_27scan_by_key_config_selectorIidEEZZNS1_16scan_by_key_implILNS1_25lookback_scan_determinismE0ELb0ES3_N6thrust23THRUST_200600_302600_NS6detail15normal_iteratorINS9_10device_ptrIiEEEENSB_INSC_IdEEEESG_dNS9_4plusIvEENS9_8equal_toIvEEdEE10hipError_tPvRmT2_T3_T4_T5_mT6_T7_P12ihipStream_tbENKUlT_T0_E_clISt17integral_constantIbLb1EES10_IbLb0EEEEDaSW_SX_EUlSW_E_NS1_11comp_targetILNS1_3genE0ELNS1_11target_archE4294967295ELNS1_3gpuE0ELNS1_3repE0EEENS1_30default_config_static_selectorELNS0_4arch9wavefront6targetE0EEEvT1_.numbered_sgpr, 0
	.set _ZN7rocprim17ROCPRIM_400000_NS6detail17trampoline_kernelINS0_14default_configENS1_27scan_by_key_config_selectorIidEEZZNS1_16scan_by_key_implILNS1_25lookback_scan_determinismE0ELb0ES3_N6thrust23THRUST_200600_302600_NS6detail15normal_iteratorINS9_10device_ptrIiEEEENSB_INSC_IdEEEESG_dNS9_4plusIvEENS9_8equal_toIvEEdEE10hipError_tPvRmT2_T3_T4_T5_mT6_T7_P12ihipStream_tbENKUlT_T0_E_clISt17integral_constantIbLb1EES10_IbLb0EEEEDaSW_SX_EUlSW_E_NS1_11comp_targetILNS1_3genE0ELNS1_11target_archE4294967295ELNS1_3gpuE0ELNS1_3repE0EEENS1_30default_config_static_selectorELNS0_4arch9wavefront6targetE0EEEvT1_.num_named_barrier, 0
	.set _ZN7rocprim17ROCPRIM_400000_NS6detail17trampoline_kernelINS0_14default_configENS1_27scan_by_key_config_selectorIidEEZZNS1_16scan_by_key_implILNS1_25lookback_scan_determinismE0ELb0ES3_N6thrust23THRUST_200600_302600_NS6detail15normal_iteratorINS9_10device_ptrIiEEEENSB_INSC_IdEEEESG_dNS9_4plusIvEENS9_8equal_toIvEEdEE10hipError_tPvRmT2_T3_T4_T5_mT6_T7_P12ihipStream_tbENKUlT_T0_E_clISt17integral_constantIbLb1EES10_IbLb0EEEEDaSW_SX_EUlSW_E_NS1_11comp_targetILNS1_3genE0ELNS1_11target_archE4294967295ELNS1_3gpuE0ELNS1_3repE0EEENS1_30default_config_static_selectorELNS0_4arch9wavefront6targetE0EEEvT1_.private_seg_size, 0
	.set _ZN7rocprim17ROCPRIM_400000_NS6detail17trampoline_kernelINS0_14default_configENS1_27scan_by_key_config_selectorIidEEZZNS1_16scan_by_key_implILNS1_25lookback_scan_determinismE0ELb0ES3_N6thrust23THRUST_200600_302600_NS6detail15normal_iteratorINS9_10device_ptrIiEEEENSB_INSC_IdEEEESG_dNS9_4plusIvEENS9_8equal_toIvEEdEE10hipError_tPvRmT2_T3_T4_T5_mT6_T7_P12ihipStream_tbENKUlT_T0_E_clISt17integral_constantIbLb1EES10_IbLb0EEEEDaSW_SX_EUlSW_E_NS1_11comp_targetILNS1_3genE0ELNS1_11target_archE4294967295ELNS1_3gpuE0ELNS1_3repE0EEENS1_30default_config_static_selectorELNS0_4arch9wavefront6targetE0EEEvT1_.uses_vcc, 0
	.set _ZN7rocprim17ROCPRIM_400000_NS6detail17trampoline_kernelINS0_14default_configENS1_27scan_by_key_config_selectorIidEEZZNS1_16scan_by_key_implILNS1_25lookback_scan_determinismE0ELb0ES3_N6thrust23THRUST_200600_302600_NS6detail15normal_iteratorINS9_10device_ptrIiEEEENSB_INSC_IdEEEESG_dNS9_4plusIvEENS9_8equal_toIvEEdEE10hipError_tPvRmT2_T3_T4_T5_mT6_T7_P12ihipStream_tbENKUlT_T0_E_clISt17integral_constantIbLb1EES10_IbLb0EEEEDaSW_SX_EUlSW_E_NS1_11comp_targetILNS1_3genE0ELNS1_11target_archE4294967295ELNS1_3gpuE0ELNS1_3repE0EEENS1_30default_config_static_selectorELNS0_4arch9wavefront6targetE0EEEvT1_.uses_flat_scratch, 0
	.set _ZN7rocprim17ROCPRIM_400000_NS6detail17trampoline_kernelINS0_14default_configENS1_27scan_by_key_config_selectorIidEEZZNS1_16scan_by_key_implILNS1_25lookback_scan_determinismE0ELb0ES3_N6thrust23THRUST_200600_302600_NS6detail15normal_iteratorINS9_10device_ptrIiEEEENSB_INSC_IdEEEESG_dNS9_4plusIvEENS9_8equal_toIvEEdEE10hipError_tPvRmT2_T3_T4_T5_mT6_T7_P12ihipStream_tbENKUlT_T0_E_clISt17integral_constantIbLb1EES10_IbLb0EEEEDaSW_SX_EUlSW_E_NS1_11comp_targetILNS1_3genE0ELNS1_11target_archE4294967295ELNS1_3gpuE0ELNS1_3repE0EEENS1_30default_config_static_selectorELNS0_4arch9wavefront6targetE0EEEvT1_.has_dyn_sized_stack, 0
	.set _ZN7rocprim17ROCPRIM_400000_NS6detail17trampoline_kernelINS0_14default_configENS1_27scan_by_key_config_selectorIidEEZZNS1_16scan_by_key_implILNS1_25lookback_scan_determinismE0ELb0ES3_N6thrust23THRUST_200600_302600_NS6detail15normal_iteratorINS9_10device_ptrIiEEEENSB_INSC_IdEEEESG_dNS9_4plusIvEENS9_8equal_toIvEEdEE10hipError_tPvRmT2_T3_T4_T5_mT6_T7_P12ihipStream_tbENKUlT_T0_E_clISt17integral_constantIbLb1EES10_IbLb0EEEEDaSW_SX_EUlSW_E_NS1_11comp_targetILNS1_3genE0ELNS1_11target_archE4294967295ELNS1_3gpuE0ELNS1_3repE0EEENS1_30default_config_static_selectorELNS0_4arch9wavefront6targetE0EEEvT1_.has_recursion, 0
	.set _ZN7rocprim17ROCPRIM_400000_NS6detail17trampoline_kernelINS0_14default_configENS1_27scan_by_key_config_selectorIidEEZZNS1_16scan_by_key_implILNS1_25lookback_scan_determinismE0ELb0ES3_N6thrust23THRUST_200600_302600_NS6detail15normal_iteratorINS9_10device_ptrIiEEEENSB_INSC_IdEEEESG_dNS9_4plusIvEENS9_8equal_toIvEEdEE10hipError_tPvRmT2_T3_T4_T5_mT6_T7_P12ihipStream_tbENKUlT_T0_E_clISt17integral_constantIbLb1EES10_IbLb0EEEEDaSW_SX_EUlSW_E_NS1_11comp_targetILNS1_3genE0ELNS1_11target_archE4294967295ELNS1_3gpuE0ELNS1_3repE0EEENS1_30default_config_static_selectorELNS0_4arch9wavefront6targetE0EEEvT1_.has_indirect_call, 0
	.section	.AMDGPU.csdata,"",@progbits
; Kernel info:
; codeLenInByte = 0
; TotalNumSgprs: 0
; NumVgprs: 0
; ScratchSize: 0
; MemoryBound: 0
; FloatMode: 240
; IeeeMode: 1
; LDSByteSize: 0 bytes/workgroup (compile time only)
; SGPRBlocks: 0
; VGPRBlocks: 0
; NumSGPRsForWavesPerEU: 1
; NumVGPRsForWavesPerEU: 1
; Occupancy: 16
; WaveLimiterHint : 0
; COMPUTE_PGM_RSRC2:SCRATCH_EN: 0
; COMPUTE_PGM_RSRC2:USER_SGPR: 6
; COMPUTE_PGM_RSRC2:TRAP_HANDLER: 0
; COMPUTE_PGM_RSRC2:TGID_X_EN: 1
; COMPUTE_PGM_RSRC2:TGID_Y_EN: 0
; COMPUTE_PGM_RSRC2:TGID_Z_EN: 0
; COMPUTE_PGM_RSRC2:TIDIG_COMP_CNT: 0
	.section	.text._ZN7rocprim17ROCPRIM_400000_NS6detail17trampoline_kernelINS0_14default_configENS1_27scan_by_key_config_selectorIidEEZZNS1_16scan_by_key_implILNS1_25lookback_scan_determinismE0ELb0ES3_N6thrust23THRUST_200600_302600_NS6detail15normal_iteratorINS9_10device_ptrIiEEEENSB_INSC_IdEEEESG_dNS9_4plusIvEENS9_8equal_toIvEEdEE10hipError_tPvRmT2_T3_T4_T5_mT6_T7_P12ihipStream_tbENKUlT_T0_E_clISt17integral_constantIbLb1EES10_IbLb0EEEEDaSW_SX_EUlSW_E_NS1_11comp_targetILNS1_3genE10ELNS1_11target_archE1201ELNS1_3gpuE5ELNS1_3repE0EEENS1_30default_config_static_selectorELNS0_4arch9wavefront6targetE0EEEvT1_,"axG",@progbits,_ZN7rocprim17ROCPRIM_400000_NS6detail17trampoline_kernelINS0_14default_configENS1_27scan_by_key_config_selectorIidEEZZNS1_16scan_by_key_implILNS1_25lookback_scan_determinismE0ELb0ES3_N6thrust23THRUST_200600_302600_NS6detail15normal_iteratorINS9_10device_ptrIiEEEENSB_INSC_IdEEEESG_dNS9_4plusIvEENS9_8equal_toIvEEdEE10hipError_tPvRmT2_T3_T4_T5_mT6_T7_P12ihipStream_tbENKUlT_T0_E_clISt17integral_constantIbLb1EES10_IbLb0EEEEDaSW_SX_EUlSW_E_NS1_11comp_targetILNS1_3genE10ELNS1_11target_archE1201ELNS1_3gpuE5ELNS1_3repE0EEENS1_30default_config_static_selectorELNS0_4arch9wavefront6targetE0EEEvT1_,comdat
	.protected	_ZN7rocprim17ROCPRIM_400000_NS6detail17trampoline_kernelINS0_14default_configENS1_27scan_by_key_config_selectorIidEEZZNS1_16scan_by_key_implILNS1_25lookback_scan_determinismE0ELb0ES3_N6thrust23THRUST_200600_302600_NS6detail15normal_iteratorINS9_10device_ptrIiEEEENSB_INSC_IdEEEESG_dNS9_4plusIvEENS9_8equal_toIvEEdEE10hipError_tPvRmT2_T3_T4_T5_mT6_T7_P12ihipStream_tbENKUlT_T0_E_clISt17integral_constantIbLb1EES10_IbLb0EEEEDaSW_SX_EUlSW_E_NS1_11comp_targetILNS1_3genE10ELNS1_11target_archE1201ELNS1_3gpuE5ELNS1_3repE0EEENS1_30default_config_static_selectorELNS0_4arch9wavefront6targetE0EEEvT1_ ; -- Begin function _ZN7rocprim17ROCPRIM_400000_NS6detail17trampoline_kernelINS0_14default_configENS1_27scan_by_key_config_selectorIidEEZZNS1_16scan_by_key_implILNS1_25lookback_scan_determinismE0ELb0ES3_N6thrust23THRUST_200600_302600_NS6detail15normal_iteratorINS9_10device_ptrIiEEEENSB_INSC_IdEEEESG_dNS9_4plusIvEENS9_8equal_toIvEEdEE10hipError_tPvRmT2_T3_T4_T5_mT6_T7_P12ihipStream_tbENKUlT_T0_E_clISt17integral_constantIbLb1EES10_IbLb0EEEEDaSW_SX_EUlSW_E_NS1_11comp_targetILNS1_3genE10ELNS1_11target_archE1201ELNS1_3gpuE5ELNS1_3repE0EEENS1_30default_config_static_selectorELNS0_4arch9wavefront6targetE0EEEvT1_
	.globl	_ZN7rocprim17ROCPRIM_400000_NS6detail17trampoline_kernelINS0_14default_configENS1_27scan_by_key_config_selectorIidEEZZNS1_16scan_by_key_implILNS1_25lookback_scan_determinismE0ELb0ES3_N6thrust23THRUST_200600_302600_NS6detail15normal_iteratorINS9_10device_ptrIiEEEENSB_INSC_IdEEEESG_dNS9_4plusIvEENS9_8equal_toIvEEdEE10hipError_tPvRmT2_T3_T4_T5_mT6_T7_P12ihipStream_tbENKUlT_T0_E_clISt17integral_constantIbLb1EES10_IbLb0EEEEDaSW_SX_EUlSW_E_NS1_11comp_targetILNS1_3genE10ELNS1_11target_archE1201ELNS1_3gpuE5ELNS1_3repE0EEENS1_30default_config_static_selectorELNS0_4arch9wavefront6targetE0EEEvT1_
	.p2align	8
	.type	_ZN7rocprim17ROCPRIM_400000_NS6detail17trampoline_kernelINS0_14default_configENS1_27scan_by_key_config_selectorIidEEZZNS1_16scan_by_key_implILNS1_25lookback_scan_determinismE0ELb0ES3_N6thrust23THRUST_200600_302600_NS6detail15normal_iteratorINS9_10device_ptrIiEEEENSB_INSC_IdEEEESG_dNS9_4plusIvEENS9_8equal_toIvEEdEE10hipError_tPvRmT2_T3_T4_T5_mT6_T7_P12ihipStream_tbENKUlT_T0_E_clISt17integral_constantIbLb1EES10_IbLb0EEEEDaSW_SX_EUlSW_E_NS1_11comp_targetILNS1_3genE10ELNS1_11target_archE1201ELNS1_3gpuE5ELNS1_3repE0EEENS1_30default_config_static_selectorELNS0_4arch9wavefront6targetE0EEEvT1_,@function
_ZN7rocprim17ROCPRIM_400000_NS6detail17trampoline_kernelINS0_14default_configENS1_27scan_by_key_config_selectorIidEEZZNS1_16scan_by_key_implILNS1_25lookback_scan_determinismE0ELb0ES3_N6thrust23THRUST_200600_302600_NS6detail15normal_iteratorINS9_10device_ptrIiEEEENSB_INSC_IdEEEESG_dNS9_4plusIvEENS9_8equal_toIvEEdEE10hipError_tPvRmT2_T3_T4_T5_mT6_T7_P12ihipStream_tbENKUlT_T0_E_clISt17integral_constantIbLb1EES10_IbLb0EEEEDaSW_SX_EUlSW_E_NS1_11comp_targetILNS1_3genE10ELNS1_11target_archE1201ELNS1_3gpuE5ELNS1_3repE0EEENS1_30default_config_static_selectorELNS0_4arch9wavefront6targetE0EEEvT1_: ; @_ZN7rocprim17ROCPRIM_400000_NS6detail17trampoline_kernelINS0_14default_configENS1_27scan_by_key_config_selectorIidEEZZNS1_16scan_by_key_implILNS1_25lookback_scan_determinismE0ELb0ES3_N6thrust23THRUST_200600_302600_NS6detail15normal_iteratorINS9_10device_ptrIiEEEENSB_INSC_IdEEEESG_dNS9_4plusIvEENS9_8equal_toIvEEdEE10hipError_tPvRmT2_T3_T4_T5_mT6_T7_P12ihipStream_tbENKUlT_T0_E_clISt17integral_constantIbLb1EES10_IbLb0EEEEDaSW_SX_EUlSW_E_NS1_11comp_targetILNS1_3genE10ELNS1_11target_archE1201ELNS1_3gpuE5ELNS1_3repE0EEENS1_30default_config_static_selectorELNS0_4arch9wavefront6targetE0EEEvT1_
; %bb.0:
	.section	.rodata,"a",@progbits
	.p2align	6, 0x0
	.amdhsa_kernel _ZN7rocprim17ROCPRIM_400000_NS6detail17trampoline_kernelINS0_14default_configENS1_27scan_by_key_config_selectorIidEEZZNS1_16scan_by_key_implILNS1_25lookback_scan_determinismE0ELb0ES3_N6thrust23THRUST_200600_302600_NS6detail15normal_iteratorINS9_10device_ptrIiEEEENSB_INSC_IdEEEESG_dNS9_4plusIvEENS9_8equal_toIvEEdEE10hipError_tPvRmT2_T3_T4_T5_mT6_T7_P12ihipStream_tbENKUlT_T0_E_clISt17integral_constantIbLb1EES10_IbLb0EEEEDaSW_SX_EUlSW_E_NS1_11comp_targetILNS1_3genE10ELNS1_11target_archE1201ELNS1_3gpuE5ELNS1_3repE0EEENS1_30default_config_static_selectorELNS0_4arch9wavefront6targetE0EEEvT1_
		.amdhsa_group_segment_fixed_size 0
		.amdhsa_private_segment_fixed_size 0
		.amdhsa_kernarg_size 136
		.amdhsa_user_sgpr_count 6
		.amdhsa_user_sgpr_private_segment_buffer 1
		.amdhsa_user_sgpr_dispatch_ptr 0
		.amdhsa_user_sgpr_queue_ptr 0
		.amdhsa_user_sgpr_kernarg_segment_ptr 1
		.amdhsa_user_sgpr_dispatch_id 0
		.amdhsa_user_sgpr_flat_scratch_init 0
		.amdhsa_user_sgpr_private_segment_size 0
		.amdhsa_wavefront_size32 1
		.amdhsa_uses_dynamic_stack 0
		.amdhsa_system_sgpr_private_segment_wavefront_offset 0
		.amdhsa_system_sgpr_workgroup_id_x 1
		.amdhsa_system_sgpr_workgroup_id_y 0
		.amdhsa_system_sgpr_workgroup_id_z 0
		.amdhsa_system_sgpr_workgroup_info 0
		.amdhsa_system_vgpr_workitem_id 0
		.amdhsa_next_free_vgpr 1
		.amdhsa_next_free_sgpr 1
		.amdhsa_reserve_vcc 0
		.amdhsa_reserve_flat_scratch 0
		.amdhsa_float_round_mode_32 0
		.amdhsa_float_round_mode_16_64 0
		.amdhsa_float_denorm_mode_32 3
		.amdhsa_float_denorm_mode_16_64 3
		.amdhsa_dx10_clamp 1
		.amdhsa_ieee_mode 1
		.amdhsa_fp16_overflow 0
		.amdhsa_workgroup_processor_mode 1
		.amdhsa_memory_ordered 1
		.amdhsa_forward_progress 1
		.amdhsa_shared_vgpr_count 0
		.amdhsa_exception_fp_ieee_invalid_op 0
		.amdhsa_exception_fp_denorm_src 0
		.amdhsa_exception_fp_ieee_div_zero 0
		.amdhsa_exception_fp_ieee_overflow 0
		.amdhsa_exception_fp_ieee_underflow 0
		.amdhsa_exception_fp_ieee_inexact 0
		.amdhsa_exception_int_div_zero 0
	.end_amdhsa_kernel
	.section	.text._ZN7rocprim17ROCPRIM_400000_NS6detail17trampoline_kernelINS0_14default_configENS1_27scan_by_key_config_selectorIidEEZZNS1_16scan_by_key_implILNS1_25lookback_scan_determinismE0ELb0ES3_N6thrust23THRUST_200600_302600_NS6detail15normal_iteratorINS9_10device_ptrIiEEEENSB_INSC_IdEEEESG_dNS9_4plusIvEENS9_8equal_toIvEEdEE10hipError_tPvRmT2_T3_T4_T5_mT6_T7_P12ihipStream_tbENKUlT_T0_E_clISt17integral_constantIbLb1EES10_IbLb0EEEEDaSW_SX_EUlSW_E_NS1_11comp_targetILNS1_3genE10ELNS1_11target_archE1201ELNS1_3gpuE5ELNS1_3repE0EEENS1_30default_config_static_selectorELNS0_4arch9wavefront6targetE0EEEvT1_,"axG",@progbits,_ZN7rocprim17ROCPRIM_400000_NS6detail17trampoline_kernelINS0_14default_configENS1_27scan_by_key_config_selectorIidEEZZNS1_16scan_by_key_implILNS1_25lookback_scan_determinismE0ELb0ES3_N6thrust23THRUST_200600_302600_NS6detail15normal_iteratorINS9_10device_ptrIiEEEENSB_INSC_IdEEEESG_dNS9_4plusIvEENS9_8equal_toIvEEdEE10hipError_tPvRmT2_T3_T4_T5_mT6_T7_P12ihipStream_tbENKUlT_T0_E_clISt17integral_constantIbLb1EES10_IbLb0EEEEDaSW_SX_EUlSW_E_NS1_11comp_targetILNS1_3genE10ELNS1_11target_archE1201ELNS1_3gpuE5ELNS1_3repE0EEENS1_30default_config_static_selectorELNS0_4arch9wavefront6targetE0EEEvT1_,comdat
.Lfunc_end1108:
	.size	_ZN7rocprim17ROCPRIM_400000_NS6detail17trampoline_kernelINS0_14default_configENS1_27scan_by_key_config_selectorIidEEZZNS1_16scan_by_key_implILNS1_25lookback_scan_determinismE0ELb0ES3_N6thrust23THRUST_200600_302600_NS6detail15normal_iteratorINS9_10device_ptrIiEEEENSB_INSC_IdEEEESG_dNS9_4plusIvEENS9_8equal_toIvEEdEE10hipError_tPvRmT2_T3_T4_T5_mT6_T7_P12ihipStream_tbENKUlT_T0_E_clISt17integral_constantIbLb1EES10_IbLb0EEEEDaSW_SX_EUlSW_E_NS1_11comp_targetILNS1_3genE10ELNS1_11target_archE1201ELNS1_3gpuE5ELNS1_3repE0EEENS1_30default_config_static_selectorELNS0_4arch9wavefront6targetE0EEEvT1_, .Lfunc_end1108-_ZN7rocprim17ROCPRIM_400000_NS6detail17trampoline_kernelINS0_14default_configENS1_27scan_by_key_config_selectorIidEEZZNS1_16scan_by_key_implILNS1_25lookback_scan_determinismE0ELb0ES3_N6thrust23THRUST_200600_302600_NS6detail15normal_iteratorINS9_10device_ptrIiEEEENSB_INSC_IdEEEESG_dNS9_4plusIvEENS9_8equal_toIvEEdEE10hipError_tPvRmT2_T3_T4_T5_mT6_T7_P12ihipStream_tbENKUlT_T0_E_clISt17integral_constantIbLb1EES10_IbLb0EEEEDaSW_SX_EUlSW_E_NS1_11comp_targetILNS1_3genE10ELNS1_11target_archE1201ELNS1_3gpuE5ELNS1_3repE0EEENS1_30default_config_static_selectorELNS0_4arch9wavefront6targetE0EEEvT1_
                                        ; -- End function
	.set _ZN7rocprim17ROCPRIM_400000_NS6detail17trampoline_kernelINS0_14default_configENS1_27scan_by_key_config_selectorIidEEZZNS1_16scan_by_key_implILNS1_25lookback_scan_determinismE0ELb0ES3_N6thrust23THRUST_200600_302600_NS6detail15normal_iteratorINS9_10device_ptrIiEEEENSB_INSC_IdEEEESG_dNS9_4plusIvEENS9_8equal_toIvEEdEE10hipError_tPvRmT2_T3_T4_T5_mT6_T7_P12ihipStream_tbENKUlT_T0_E_clISt17integral_constantIbLb1EES10_IbLb0EEEEDaSW_SX_EUlSW_E_NS1_11comp_targetILNS1_3genE10ELNS1_11target_archE1201ELNS1_3gpuE5ELNS1_3repE0EEENS1_30default_config_static_selectorELNS0_4arch9wavefront6targetE0EEEvT1_.num_vgpr, 0
	.set _ZN7rocprim17ROCPRIM_400000_NS6detail17trampoline_kernelINS0_14default_configENS1_27scan_by_key_config_selectorIidEEZZNS1_16scan_by_key_implILNS1_25lookback_scan_determinismE0ELb0ES3_N6thrust23THRUST_200600_302600_NS6detail15normal_iteratorINS9_10device_ptrIiEEEENSB_INSC_IdEEEESG_dNS9_4plusIvEENS9_8equal_toIvEEdEE10hipError_tPvRmT2_T3_T4_T5_mT6_T7_P12ihipStream_tbENKUlT_T0_E_clISt17integral_constantIbLb1EES10_IbLb0EEEEDaSW_SX_EUlSW_E_NS1_11comp_targetILNS1_3genE10ELNS1_11target_archE1201ELNS1_3gpuE5ELNS1_3repE0EEENS1_30default_config_static_selectorELNS0_4arch9wavefront6targetE0EEEvT1_.num_agpr, 0
	.set _ZN7rocprim17ROCPRIM_400000_NS6detail17trampoline_kernelINS0_14default_configENS1_27scan_by_key_config_selectorIidEEZZNS1_16scan_by_key_implILNS1_25lookback_scan_determinismE0ELb0ES3_N6thrust23THRUST_200600_302600_NS6detail15normal_iteratorINS9_10device_ptrIiEEEENSB_INSC_IdEEEESG_dNS9_4plusIvEENS9_8equal_toIvEEdEE10hipError_tPvRmT2_T3_T4_T5_mT6_T7_P12ihipStream_tbENKUlT_T0_E_clISt17integral_constantIbLb1EES10_IbLb0EEEEDaSW_SX_EUlSW_E_NS1_11comp_targetILNS1_3genE10ELNS1_11target_archE1201ELNS1_3gpuE5ELNS1_3repE0EEENS1_30default_config_static_selectorELNS0_4arch9wavefront6targetE0EEEvT1_.numbered_sgpr, 0
	.set _ZN7rocprim17ROCPRIM_400000_NS6detail17trampoline_kernelINS0_14default_configENS1_27scan_by_key_config_selectorIidEEZZNS1_16scan_by_key_implILNS1_25lookback_scan_determinismE0ELb0ES3_N6thrust23THRUST_200600_302600_NS6detail15normal_iteratorINS9_10device_ptrIiEEEENSB_INSC_IdEEEESG_dNS9_4plusIvEENS9_8equal_toIvEEdEE10hipError_tPvRmT2_T3_T4_T5_mT6_T7_P12ihipStream_tbENKUlT_T0_E_clISt17integral_constantIbLb1EES10_IbLb0EEEEDaSW_SX_EUlSW_E_NS1_11comp_targetILNS1_3genE10ELNS1_11target_archE1201ELNS1_3gpuE5ELNS1_3repE0EEENS1_30default_config_static_selectorELNS0_4arch9wavefront6targetE0EEEvT1_.num_named_barrier, 0
	.set _ZN7rocprim17ROCPRIM_400000_NS6detail17trampoline_kernelINS0_14default_configENS1_27scan_by_key_config_selectorIidEEZZNS1_16scan_by_key_implILNS1_25lookback_scan_determinismE0ELb0ES3_N6thrust23THRUST_200600_302600_NS6detail15normal_iteratorINS9_10device_ptrIiEEEENSB_INSC_IdEEEESG_dNS9_4plusIvEENS9_8equal_toIvEEdEE10hipError_tPvRmT2_T3_T4_T5_mT6_T7_P12ihipStream_tbENKUlT_T0_E_clISt17integral_constantIbLb1EES10_IbLb0EEEEDaSW_SX_EUlSW_E_NS1_11comp_targetILNS1_3genE10ELNS1_11target_archE1201ELNS1_3gpuE5ELNS1_3repE0EEENS1_30default_config_static_selectorELNS0_4arch9wavefront6targetE0EEEvT1_.private_seg_size, 0
	.set _ZN7rocprim17ROCPRIM_400000_NS6detail17trampoline_kernelINS0_14default_configENS1_27scan_by_key_config_selectorIidEEZZNS1_16scan_by_key_implILNS1_25lookback_scan_determinismE0ELb0ES3_N6thrust23THRUST_200600_302600_NS6detail15normal_iteratorINS9_10device_ptrIiEEEENSB_INSC_IdEEEESG_dNS9_4plusIvEENS9_8equal_toIvEEdEE10hipError_tPvRmT2_T3_T4_T5_mT6_T7_P12ihipStream_tbENKUlT_T0_E_clISt17integral_constantIbLb1EES10_IbLb0EEEEDaSW_SX_EUlSW_E_NS1_11comp_targetILNS1_3genE10ELNS1_11target_archE1201ELNS1_3gpuE5ELNS1_3repE0EEENS1_30default_config_static_selectorELNS0_4arch9wavefront6targetE0EEEvT1_.uses_vcc, 0
	.set _ZN7rocprim17ROCPRIM_400000_NS6detail17trampoline_kernelINS0_14default_configENS1_27scan_by_key_config_selectorIidEEZZNS1_16scan_by_key_implILNS1_25lookback_scan_determinismE0ELb0ES3_N6thrust23THRUST_200600_302600_NS6detail15normal_iteratorINS9_10device_ptrIiEEEENSB_INSC_IdEEEESG_dNS9_4plusIvEENS9_8equal_toIvEEdEE10hipError_tPvRmT2_T3_T4_T5_mT6_T7_P12ihipStream_tbENKUlT_T0_E_clISt17integral_constantIbLb1EES10_IbLb0EEEEDaSW_SX_EUlSW_E_NS1_11comp_targetILNS1_3genE10ELNS1_11target_archE1201ELNS1_3gpuE5ELNS1_3repE0EEENS1_30default_config_static_selectorELNS0_4arch9wavefront6targetE0EEEvT1_.uses_flat_scratch, 0
	.set _ZN7rocprim17ROCPRIM_400000_NS6detail17trampoline_kernelINS0_14default_configENS1_27scan_by_key_config_selectorIidEEZZNS1_16scan_by_key_implILNS1_25lookback_scan_determinismE0ELb0ES3_N6thrust23THRUST_200600_302600_NS6detail15normal_iteratorINS9_10device_ptrIiEEEENSB_INSC_IdEEEESG_dNS9_4plusIvEENS9_8equal_toIvEEdEE10hipError_tPvRmT2_T3_T4_T5_mT6_T7_P12ihipStream_tbENKUlT_T0_E_clISt17integral_constantIbLb1EES10_IbLb0EEEEDaSW_SX_EUlSW_E_NS1_11comp_targetILNS1_3genE10ELNS1_11target_archE1201ELNS1_3gpuE5ELNS1_3repE0EEENS1_30default_config_static_selectorELNS0_4arch9wavefront6targetE0EEEvT1_.has_dyn_sized_stack, 0
	.set _ZN7rocprim17ROCPRIM_400000_NS6detail17trampoline_kernelINS0_14default_configENS1_27scan_by_key_config_selectorIidEEZZNS1_16scan_by_key_implILNS1_25lookback_scan_determinismE0ELb0ES3_N6thrust23THRUST_200600_302600_NS6detail15normal_iteratorINS9_10device_ptrIiEEEENSB_INSC_IdEEEESG_dNS9_4plusIvEENS9_8equal_toIvEEdEE10hipError_tPvRmT2_T3_T4_T5_mT6_T7_P12ihipStream_tbENKUlT_T0_E_clISt17integral_constantIbLb1EES10_IbLb0EEEEDaSW_SX_EUlSW_E_NS1_11comp_targetILNS1_3genE10ELNS1_11target_archE1201ELNS1_3gpuE5ELNS1_3repE0EEENS1_30default_config_static_selectorELNS0_4arch9wavefront6targetE0EEEvT1_.has_recursion, 0
	.set _ZN7rocprim17ROCPRIM_400000_NS6detail17trampoline_kernelINS0_14default_configENS1_27scan_by_key_config_selectorIidEEZZNS1_16scan_by_key_implILNS1_25lookback_scan_determinismE0ELb0ES3_N6thrust23THRUST_200600_302600_NS6detail15normal_iteratorINS9_10device_ptrIiEEEENSB_INSC_IdEEEESG_dNS9_4plusIvEENS9_8equal_toIvEEdEE10hipError_tPvRmT2_T3_T4_T5_mT6_T7_P12ihipStream_tbENKUlT_T0_E_clISt17integral_constantIbLb1EES10_IbLb0EEEEDaSW_SX_EUlSW_E_NS1_11comp_targetILNS1_3genE10ELNS1_11target_archE1201ELNS1_3gpuE5ELNS1_3repE0EEENS1_30default_config_static_selectorELNS0_4arch9wavefront6targetE0EEEvT1_.has_indirect_call, 0
	.section	.AMDGPU.csdata,"",@progbits
; Kernel info:
; codeLenInByte = 0
; TotalNumSgprs: 0
; NumVgprs: 0
; ScratchSize: 0
; MemoryBound: 0
; FloatMode: 240
; IeeeMode: 1
; LDSByteSize: 0 bytes/workgroup (compile time only)
; SGPRBlocks: 0
; VGPRBlocks: 0
; NumSGPRsForWavesPerEU: 1
; NumVGPRsForWavesPerEU: 1
; Occupancy: 16
; WaveLimiterHint : 0
; COMPUTE_PGM_RSRC2:SCRATCH_EN: 0
; COMPUTE_PGM_RSRC2:USER_SGPR: 6
; COMPUTE_PGM_RSRC2:TRAP_HANDLER: 0
; COMPUTE_PGM_RSRC2:TGID_X_EN: 1
; COMPUTE_PGM_RSRC2:TGID_Y_EN: 0
; COMPUTE_PGM_RSRC2:TGID_Z_EN: 0
; COMPUTE_PGM_RSRC2:TIDIG_COMP_CNT: 0
	.section	.text._ZN7rocprim17ROCPRIM_400000_NS6detail17trampoline_kernelINS0_14default_configENS1_27scan_by_key_config_selectorIidEEZZNS1_16scan_by_key_implILNS1_25lookback_scan_determinismE0ELb0ES3_N6thrust23THRUST_200600_302600_NS6detail15normal_iteratorINS9_10device_ptrIiEEEENSB_INSC_IdEEEESG_dNS9_4plusIvEENS9_8equal_toIvEEdEE10hipError_tPvRmT2_T3_T4_T5_mT6_T7_P12ihipStream_tbENKUlT_T0_E_clISt17integral_constantIbLb1EES10_IbLb0EEEEDaSW_SX_EUlSW_E_NS1_11comp_targetILNS1_3genE5ELNS1_11target_archE942ELNS1_3gpuE9ELNS1_3repE0EEENS1_30default_config_static_selectorELNS0_4arch9wavefront6targetE0EEEvT1_,"axG",@progbits,_ZN7rocprim17ROCPRIM_400000_NS6detail17trampoline_kernelINS0_14default_configENS1_27scan_by_key_config_selectorIidEEZZNS1_16scan_by_key_implILNS1_25lookback_scan_determinismE0ELb0ES3_N6thrust23THRUST_200600_302600_NS6detail15normal_iteratorINS9_10device_ptrIiEEEENSB_INSC_IdEEEESG_dNS9_4plusIvEENS9_8equal_toIvEEdEE10hipError_tPvRmT2_T3_T4_T5_mT6_T7_P12ihipStream_tbENKUlT_T0_E_clISt17integral_constantIbLb1EES10_IbLb0EEEEDaSW_SX_EUlSW_E_NS1_11comp_targetILNS1_3genE5ELNS1_11target_archE942ELNS1_3gpuE9ELNS1_3repE0EEENS1_30default_config_static_selectorELNS0_4arch9wavefront6targetE0EEEvT1_,comdat
	.protected	_ZN7rocprim17ROCPRIM_400000_NS6detail17trampoline_kernelINS0_14default_configENS1_27scan_by_key_config_selectorIidEEZZNS1_16scan_by_key_implILNS1_25lookback_scan_determinismE0ELb0ES3_N6thrust23THRUST_200600_302600_NS6detail15normal_iteratorINS9_10device_ptrIiEEEENSB_INSC_IdEEEESG_dNS9_4plusIvEENS9_8equal_toIvEEdEE10hipError_tPvRmT2_T3_T4_T5_mT6_T7_P12ihipStream_tbENKUlT_T0_E_clISt17integral_constantIbLb1EES10_IbLb0EEEEDaSW_SX_EUlSW_E_NS1_11comp_targetILNS1_3genE5ELNS1_11target_archE942ELNS1_3gpuE9ELNS1_3repE0EEENS1_30default_config_static_selectorELNS0_4arch9wavefront6targetE0EEEvT1_ ; -- Begin function _ZN7rocprim17ROCPRIM_400000_NS6detail17trampoline_kernelINS0_14default_configENS1_27scan_by_key_config_selectorIidEEZZNS1_16scan_by_key_implILNS1_25lookback_scan_determinismE0ELb0ES3_N6thrust23THRUST_200600_302600_NS6detail15normal_iteratorINS9_10device_ptrIiEEEENSB_INSC_IdEEEESG_dNS9_4plusIvEENS9_8equal_toIvEEdEE10hipError_tPvRmT2_T3_T4_T5_mT6_T7_P12ihipStream_tbENKUlT_T0_E_clISt17integral_constantIbLb1EES10_IbLb0EEEEDaSW_SX_EUlSW_E_NS1_11comp_targetILNS1_3genE5ELNS1_11target_archE942ELNS1_3gpuE9ELNS1_3repE0EEENS1_30default_config_static_selectorELNS0_4arch9wavefront6targetE0EEEvT1_
	.globl	_ZN7rocprim17ROCPRIM_400000_NS6detail17trampoline_kernelINS0_14default_configENS1_27scan_by_key_config_selectorIidEEZZNS1_16scan_by_key_implILNS1_25lookback_scan_determinismE0ELb0ES3_N6thrust23THRUST_200600_302600_NS6detail15normal_iteratorINS9_10device_ptrIiEEEENSB_INSC_IdEEEESG_dNS9_4plusIvEENS9_8equal_toIvEEdEE10hipError_tPvRmT2_T3_T4_T5_mT6_T7_P12ihipStream_tbENKUlT_T0_E_clISt17integral_constantIbLb1EES10_IbLb0EEEEDaSW_SX_EUlSW_E_NS1_11comp_targetILNS1_3genE5ELNS1_11target_archE942ELNS1_3gpuE9ELNS1_3repE0EEENS1_30default_config_static_selectorELNS0_4arch9wavefront6targetE0EEEvT1_
	.p2align	8
	.type	_ZN7rocprim17ROCPRIM_400000_NS6detail17trampoline_kernelINS0_14default_configENS1_27scan_by_key_config_selectorIidEEZZNS1_16scan_by_key_implILNS1_25lookback_scan_determinismE0ELb0ES3_N6thrust23THRUST_200600_302600_NS6detail15normal_iteratorINS9_10device_ptrIiEEEENSB_INSC_IdEEEESG_dNS9_4plusIvEENS9_8equal_toIvEEdEE10hipError_tPvRmT2_T3_T4_T5_mT6_T7_P12ihipStream_tbENKUlT_T0_E_clISt17integral_constantIbLb1EES10_IbLb0EEEEDaSW_SX_EUlSW_E_NS1_11comp_targetILNS1_3genE5ELNS1_11target_archE942ELNS1_3gpuE9ELNS1_3repE0EEENS1_30default_config_static_selectorELNS0_4arch9wavefront6targetE0EEEvT1_,@function
_ZN7rocprim17ROCPRIM_400000_NS6detail17trampoline_kernelINS0_14default_configENS1_27scan_by_key_config_selectorIidEEZZNS1_16scan_by_key_implILNS1_25lookback_scan_determinismE0ELb0ES3_N6thrust23THRUST_200600_302600_NS6detail15normal_iteratorINS9_10device_ptrIiEEEENSB_INSC_IdEEEESG_dNS9_4plusIvEENS9_8equal_toIvEEdEE10hipError_tPvRmT2_T3_T4_T5_mT6_T7_P12ihipStream_tbENKUlT_T0_E_clISt17integral_constantIbLb1EES10_IbLb0EEEEDaSW_SX_EUlSW_E_NS1_11comp_targetILNS1_3genE5ELNS1_11target_archE942ELNS1_3gpuE9ELNS1_3repE0EEENS1_30default_config_static_selectorELNS0_4arch9wavefront6targetE0EEEvT1_: ; @_ZN7rocprim17ROCPRIM_400000_NS6detail17trampoline_kernelINS0_14default_configENS1_27scan_by_key_config_selectorIidEEZZNS1_16scan_by_key_implILNS1_25lookback_scan_determinismE0ELb0ES3_N6thrust23THRUST_200600_302600_NS6detail15normal_iteratorINS9_10device_ptrIiEEEENSB_INSC_IdEEEESG_dNS9_4plusIvEENS9_8equal_toIvEEdEE10hipError_tPvRmT2_T3_T4_T5_mT6_T7_P12ihipStream_tbENKUlT_T0_E_clISt17integral_constantIbLb1EES10_IbLb0EEEEDaSW_SX_EUlSW_E_NS1_11comp_targetILNS1_3genE5ELNS1_11target_archE942ELNS1_3gpuE9ELNS1_3repE0EEENS1_30default_config_static_selectorELNS0_4arch9wavefront6targetE0EEEvT1_
; %bb.0:
	.section	.rodata,"a",@progbits
	.p2align	6, 0x0
	.amdhsa_kernel _ZN7rocprim17ROCPRIM_400000_NS6detail17trampoline_kernelINS0_14default_configENS1_27scan_by_key_config_selectorIidEEZZNS1_16scan_by_key_implILNS1_25lookback_scan_determinismE0ELb0ES3_N6thrust23THRUST_200600_302600_NS6detail15normal_iteratorINS9_10device_ptrIiEEEENSB_INSC_IdEEEESG_dNS9_4plusIvEENS9_8equal_toIvEEdEE10hipError_tPvRmT2_T3_T4_T5_mT6_T7_P12ihipStream_tbENKUlT_T0_E_clISt17integral_constantIbLb1EES10_IbLb0EEEEDaSW_SX_EUlSW_E_NS1_11comp_targetILNS1_3genE5ELNS1_11target_archE942ELNS1_3gpuE9ELNS1_3repE0EEENS1_30default_config_static_selectorELNS0_4arch9wavefront6targetE0EEEvT1_
		.amdhsa_group_segment_fixed_size 0
		.amdhsa_private_segment_fixed_size 0
		.amdhsa_kernarg_size 136
		.amdhsa_user_sgpr_count 6
		.amdhsa_user_sgpr_private_segment_buffer 1
		.amdhsa_user_sgpr_dispatch_ptr 0
		.amdhsa_user_sgpr_queue_ptr 0
		.amdhsa_user_sgpr_kernarg_segment_ptr 1
		.amdhsa_user_sgpr_dispatch_id 0
		.amdhsa_user_sgpr_flat_scratch_init 0
		.amdhsa_user_sgpr_private_segment_size 0
		.amdhsa_wavefront_size32 1
		.amdhsa_uses_dynamic_stack 0
		.amdhsa_system_sgpr_private_segment_wavefront_offset 0
		.amdhsa_system_sgpr_workgroup_id_x 1
		.amdhsa_system_sgpr_workgroup_id_y 0
		.amdhsa_system_sgpr_workgroup_id_z 0
		.amdhsa_system_sgpr_workgroup_info 0
		.amdhsa_system_vgpr_workitem_id 0
		.amdhsa_next_free_vgpr 1
		.amdhsa_next_free_sgpr 1
		.amdhsa_reserve_vcc 0
		.amdhsa_reserve_flat_scratch 0
		.amdhsa_float_round_mode_32 0
		.amdhsa_float_round_mode_16_64 0
		.amdhsa_float_denorm_mode_32 3
		.amdhsa_float_denorm_mode_16_64 3
		.amdhsa_dx10_clamp 1
		.amdhsa_ieee_mode 1
		.amdhsa_fp16_overflow 0
		.amdhsa_workgroup_processor_mode 1
		.amdhsa_memory_ordered 1
		.amdhsa_forward_progress 1
		.amdhsa_shared_vgpr_count 0
		.amdhsa_exception_fp_ieee_invalid_op 0
		.amdhsa_exception_fp_denorm_src 0
		.amdhsa_exception_fp_ieee_div_zero 0
		.amdhsa_exception_fp_ieee_overflow 0
		.amdhsa_exception_fp_ieee_underflow 0
		.amdhsa_exception_fp_ieee_inexact 0
		.amdhsa_exception_int_div_zero 0
	.end_amdhsa_kernel
	.section	.text._ZN7rocprim17ROCPRIM_400000_NS6detail17trampoline_kernelINS0_14default_configENS1_27scan_by_key_config_selectorIidEEZZNS1_16scan_by_key_implILNS1_25lookback_scan_determinismE0ELb0ES3_N6thrust23THRUST_200600_302600_NS6detail15normal_iteratorINS9_10device_ptrIiEEEENSB_INSC_IdEEEESG_dNS9_4plusIvEENS9_8equal_toIvEEdEE10hipError_tPvRmT2_T3_T4_T5_mT6_T7_P12ihipStream_tbENKUlT_T0_E_clISt17integral_constantIbLb1EES10_IbLb0EEEEDaSW_SX_EUlSW_E_NS1_11comp_targetILNS1_3genE5ELNS1_11target_archE942ELNS1_3gpuE9ELNS1_3repE0EEENS1_30default_config_static_selectorELNS0_4arch9wavefront6targetE0EEEvT1_,"axG",@progbits,_ZN7rocprim17ROCPRIM_400000_NS6detail17trampoline_kernelINS0_14default_configENS1_27scan_by_key_config_selectorIidEEZZNS1_16scan_by_key_implILNS1_25lookback_scan_determinismE0ELb0ES3_N6thrust23THRUST_200600_302600_NS6detail15normal_iteratorINS9_10device_ptrIiEEEENSB_INSC_IdEEEESG_dNS9_4plusIvEENS9_8equal_toIvEEdEE10hipError_tPvRmT2_T3_T4_T5_mT6_T7_P12ihipStream_tbENKUlT_T0_E_clISt17integral_constantIbLb1EES10_IbLb0EEEEDaSW_SX_EUlSW_E_NS1_11comp_targetILNS1_3genE5ELNS1_11target_archE942ELNS1_3gpuE9ELNS1_3repE0EEENS1_30default_config_static_selectorELNS0_4arch9wavefront6targetE0EEEvT1_,comdat
.Lfunc_end1109:
	.size	_ZN7rocprim17ROCPRIM_400000_NS6detail17trampoline_kernelINS0_14default_configENS1_27scan_by_key_config_selectorIidEEZZNS1_16scan_by_key_implILNS1_25lookback_scan_determinismE0ELb0ES3_N6thrust23THRUST_200600_302600_NS6detail15normal_iteratorINS9_10device_ptrIiEEEENSB_INSC_IdEEEESG_dNS9_4plusIvEENS9_8equal_toIvEEdEE10hipError_tPvRmT2_T3_T4_T5_mT6_T7_P12ihipStream_tbENKUlT_T0_E_clISt17integral_constantIbLb1EES10_IbLb0EEEEDaSW_SX_EUlSW_E_NS1_11comp_targetILNS1_3genE5ELNS1_11target_archE942ELNS1_3gpuE9ELNS1_3repE0EEENS1_30default_config_static_selectorELNS0_4arch9wavefront6targetE0EEEvT1_, .Lfunc_end1109-_ZN7rocprim17ROCPRIM_400000_NS6detail17trampoline_kernelINS0_14default_configENS1_27scan_by_key_config_selectorIidEEZZNS1_16scan_by_key_implILNS1_25lookback_scan_determinismE0ELb0ES3_N6thrust23THRUST_200600_302600_NS6detail15normal_iteratorINS9_10device_ptrIiEEEENSB_INSC_IdEEEESG_dNS9_4plusIvEENS9_8equal_toIvEEdEE10hipError_tPvRmT2_T3_T4_T5_mT6_T7_P12ihipStream_tbENKUlT_T0_E_clISt17integral_constantIbLb1EES10_IbLb0EEEEDaSW_SX_EUlSW_E_NS1_11comp_targetILNS1_3genE5ELNS1_11target_archE942ELNS1_3gpuE9ELNS1_3repE0EEENS1_30default_config_static_selectorELNS0_4arch9wavefront6targetE0EEEvT1_
                                        ; -- End function
	.set _ZN7rocprim17ROCPRIM_400000_NS6detail17trampoline_kernelINS0_14default_configENS1_27scan_by_key_config_selectorIidEEZZNS1_16scan_by_key_implILNS1_25lookback_scan_determinismE0ELb0ES3_N6thrust23THRUST_200600_302600_NS6detail15normal_iteratorINS9_10device_ptrIiEEEENSB_INSC_IdEEEESG_dNS9_4plusIvEENS9_8equal_toIvEEdEE10hipError_tPvRmT2_T3_T4_T5_mT6_T7_P12ihipStream_tbENKUlT_T0_E_clISt17integral_constantIbLb1EES10_IbLb0EEEEDaSW_SX_EUlSW_E_NS1_11comp_targetILNS1_3genE5ELNS1_11target_archE942ELNS1_3gpuE9ELNS1_3repE0EEENS1_30default_config_static_selectorELNS0_4arch9wavefront6targetE0EEEvT1_.num_vgpr, 0
	.set _ZN7rocprim17ROCPRIM_400000_NS6detail17trampoline_kernelINS0_14default_configENS1_27scan_by_key_config_selectorIidEEZZNS1_16scan_by_key_implILNS1_25lookback_scan_determinismE0ELb0ES3_N6thrust23THRUST_200600_302600_NS6detail15normal_iteratorINS9_10device_ptrIiEEEENSB_INSC_IdEEEESG_dNS9_4plusIvEENS9_8equal_toIvEEdEE10hipError_tPvRmT2_T3_T4_T5_mT6_T7_P12ihipStream_tbENKUlT_T0_E_clISt17integral_constantIbLb1EES10_IbLb0EEEEDaSW_SX_EUlSW_E_NS1_11comp_targetILNS1_3genE5ELNS1_11target_archE942ELNS1_3gpuE9ELNS1_3repE0EEENS1_30default_config_static_selectorELNS0_4arch9wavefront6targetE0EEEvT1_.num_agpr, 0
	.set _ZN7rocprim17ROCPRIM_400000_NS6detail17trampoline_kernelINS0_14default_configENS1_27scan_by_key_config_selectorIidEEZZNS1_16scan_by_key_implILNS1_25lookback_scan_determinismE0ELb0ES3_N6thrust23THRUST_200600_302600_NS6detail15normal_iteratorINS9_10device_ptrIiEEEENSB_INSC_IdEEEESG_dNS9_4plusIvEENS9_8equal_toIvEEdEE10hipError_tPvRmT2_T3_T4_T5_mT6_T7_P12ihipStream_tbENKUlT_T0_E_clISt17integral_constantIbLb1EES10_IbLb0EEEEDaSW_SX_EUlSW_E_NS1_11comp_targetILNS1_3genE5ELNS1_11target_archE942ELNS1_3gpuE9ELNS1_3repE0EEENS1_30default_config_static_selectorELNS0_4arch9wavefront6targetE0EEEvT1_.numbered_sgpr, 0
	.set _ZN7rocprim17ROCPRIM_400000_NS6detail17trampoline_kernelINS0_14default_configENS1_27scan_by_key_config_selectorIidEEZZNS1_16scan_by_key_implILNS1_25lookback_scan_determinismE0ELb0ES3_N6thrust23THRUST_200600_302600_NS6detail15normal_iteratorINS9_10device_ptrIiEEEENSB_INSC_IdEEEESG_dNS9_4plusIvEENS9_8equal_toIvEEdEE10hipError_tPvRmT2_T3_T4_T5_mT6_T7_P12ihipStream_tbENKUlT_T0_E_clISt17integral_constantIbLb1EES10_IbLb0EEEEDaSW_SX_EUlSW_E_NS1_11comp_targetILNS1_3genE5ELNS1_11target_archE942ELNS1_3gpuE9ELNS1_3repE0EEENS1_30default_config_static_selectorELNS0_4arch9wavefront6targetE0EEEvT1_.num_named_barrier, 0
	.set _ZN7rocprim17ROCPRIM_400000_NS6detail17trampoline_kernelINS0_14default_configENS1_27scan_by_key_config_selectorIidEEZZNS1_16scan_by_key_implILNS1_25lookback_scan_determinismE0ELb0ES3_N6thrust23THRUST_200600_302600_NS6detail15normal_iteratorINS9_10device_ptrIiEEEENSB_INSC_IdEEEESG_dNS9_4plusIvEENS9_8equal_toIvEEdEE10hipError_tPvRmT2_T3_T4_T5_mT6_T7_P12ihipStream_tbENKUlT_T0_E_clISt17integral_constantIbLb1EES10_IbLb0EEEEDaSW_SX_EUlSW_E_NS1_11comp_targetILNS1_3genE5ELNS1_11target_archE942ELNS1_3gpuE9ELNS1_3repE0EEENS1_30default_config_static_selectorELNS0_4arch9wavefront6targetE0EEEvT1_.private_seg_size, 0
	.set _ZN7rocprim17ROCPRIM_400000_NS6detail17trampoline_kernelINS0_14default_configENS1_27scan_by_key_config_selectorIidEEZZNS1_16scan_by_key_implILNS1_25lookback_scan_determinismE0ELb0ES3_N6thrust23THRUST_200600_302600_NS6detail15normal_iteratorINS9_10device_ptrIiEEEENSB_INSC_IdEEEESG_dNS9_4plusIvEENS9_8equal_toIvEEdEE10hipError_tPvRmT2_T3_T4_T5_mT6_T7_P12ihipStream_tbENKUlT_T0_E_clISt17integral_constantIbLb1EES10_IbLb0EEEEDaSW_SX_EUlSW_E_NS1_11comp_targetILNS1_3genE5ELNS1_11target_archE942ELNS1_3gpuE9ELNS1_3repE0EEENS1_30default_config_static_selectorELNS0_4arch9wavefront6targetE0EEEvT1_.uses_vcc, 0
	.set _ZN7rocprim17ROCPRIM_400000_NS6detail17trampoline_kernelINS0_14default_configENS1_27scan_by_key_config_selectorIidEEZZNS1_16scan_by_key_implILNS1_25lookback_scan_determinismE0ELb0ES3_N6thrust23THRUST_200600_302600_NS6detail15normal_iteratorINS9_10device_ptrIiEEEENSB_INSC_IdEEEESG_dNS9_4plusIvEENS9_8equal_toIvEEdEE10hipError_tPvRmT2_T3_T4_T5_mT6_T7_P12ihipStream_tbENKUlT_T0_E_clISt17integral_constantIbLb1EES10_IbLb0EEEEDaSW_SX_EUlSW_E_NS1_11comp_targetILNS1_3genE5ELNS1_11target_archE942ELNS1_3gpuE9ELNS1_3repE0EEENS1_30default_config_static_selectorELNS0_4arch9wavefront6targetE0EEEvT1_.uses_flat_scratch, 0
	.set _ZN7rocprim17ROCPRIM_400000_NS6detail17trampoline_kernelINS0_14default_configENS1_27scan_by_key_config_selectorIidEEZZNS1_16scan_by_key_implILNS1_25lookback_scan_determinismE0ELb0ES3_N6thrust23THRUST_200600_302600_NS6detail15normal_iteratorINS9_10device_ptrIiEEEENSB_INSC_IdEEEESG_dNS9_4plusIvEENS9_8equal_toIvEEdEE10hipError_tPvRmT2_T3_T4_T5_mT6_T7_P12ihipStream_tbENKUlT_T0_E_clISt17integral_constantIbLb1EES10_IbLb0EEEEDaSW_SX_EUlSW_E_NS1_11comp_targetILNS1_3genE5ELNS1_11target_archE942ELNS1_3gpuE9ELNS1_3repE0EEENS1_30default_config_static_selectorELNS0_4arch9wavefront6targetE0EEEvT1_.has_dyn_sized_stack, 0
	.set _ZN7rocprim17ROCPRIM_400000_NS6detail17trampoline_kernelINS0_14default_configENS1_27scan_by_key_config_selectorIidEEZZNS1_16scan_by_key_implILNS1_25lookback_scan_determinismE0ELb0ES3_N6thrust23THRUST_200600_302600_NS6detail15normal_iteratorINS9_10device_ptrIiEEEENSB_INSC_IdEEEESG_dNS9_4plusIvEENS9_8equal_toIvEEdEE10hipError_tPvRmT2_T3_T4_T5_mT6_T7_P12ihipStream_tbENKUlT_T0_E_clISt17integral_constantIbLb1EES10_IbLb0EEEEDaSW_SX_EUlSW_E_NS1_11comp_targetILNS1_3genE5ELNS1_11target_archE942ELNS1_3gpuE9ELNS1_3repE0EEENS1_30default_config_static_selectorELNS0_4arch9wavefront6targetE0EEEvT1_.has_recursion, 0
	.set _ZN7rocprim17ROCPRIM_400000_NS6detail17trampoline_kernelINS0_14default_configENS1_27scan_by_key_config_selectorIidEEZZNS1_16scan_by_key_implILNS1_25lookback_scan_determinismE0ELb0ES3_N6thrust23THRUST_200600_302600_NS6detail15normal_iteratorINS9_10device_ptrIiEEEENSB_INSC_IdEEEESG_dNS9_4plusIvEENS9_8equal_toIvEEdEE10hipError_tPvRmT2_T3_T4_T5_mT6_T7_P12ihipStream_tbENKUlT_T0_E_clISt17integral_constantIbLb1EES10_IbLb0EEEEDaSW_SX_EUlSW_E_NS1_11comp_targetILNS1_3genE5ELNS1_11target_archE942ELNS1_3gpuE9ELNS1_3repE0EEENS1_30default_config_static_selectorELNS0_4arch9wavefront6targetE0EEEvT1_.has_indirect_call, 0
	.section	.AMDGPU.csdata,"",@progbits
; Kernel info:
; codeLenInByte = 0
; TotalNumSgprs: 0
; NumVgprs: 0
; ScratchSize: 0
; MemoryBound: 0
; FloatMode: 240
; IeeeMode: 1
; LDSByteSize: 0 bytes/workgroup (compile time only)
; SGPRBlocks: 0
; VGPRBlocks: 0
; NumSGPRsForWavesPerEU: 1
; NumVGPRsForWavesPerEU: 1
; Occupancy: 16
; WaveLimiterHint : 0
; COMPUTE_PGM_RSRC2:SCRATCH_EN: 0
; COMPUTE_PGM_RSRC2:USER_SGPR: 6
; COMPUTE_PGM_RSRC2:TRAP_HANDLER: 0
; COMPUTE_PGM_RSRC2:TGID_X_EN: 1
; COMPUTE_PGM_RSRC2:TGID_Y_EN: 0
; COMPUTE_PGM_RSRC2:TGID_Z_EN: 0
; COMPUTE_PGM_RSRC2:TIDIG_COMP_CNT: 0
	.section	.text._ZN7rocprim17ROCPRIM_400000_NS6detail17trampoline_kernelINS0_14default_configENS1_27scan_by_key_config_selectorIidEEZZNS1_16scan_by_key_implILNS1_25lookback_scan_determinismE0ELb0ES3_N6thrust23THRUST_200600_302600_NS6detail15normal_iteratorINS9_10device_ptrIiEEEENSB_INSC_IdEEEESG_dNS9_4plusIvEENS9_8equal_toIvEEdEE10hipError_tPvRmT2_T3_T4_T5_mT6_T7_P12ihipStream_tbENKUlT_T0_E_clISt17integral_constantIbLb1EES10_IbLb0EEEEDaSW_SX_EUlSW_E_NS1_11comp_targetILNS1_3genE4ELNS1_11target_archE910ELNS1_3gpuE8ELNS1_3repE0EEENS1_30default_config_static_selectorELNS0_4arch9wavefront6targetE0EEEvT1_,"axG",@progbits,_ZN7rocprim17ROCPRIM_400000_NS6detail17trampoline_kernelINS0_14default_configENS1_27scan_by_key_config_selectorIidEEZZNS1_16scan_by_key_implILNS1_25lookback_scan_determinismE0ELb0ES3_N6thrust23THRUST_200600_302600_NS6detail15normal_iteratorINS9_10device_ptrIiEEEENSB_INSC_IdEEEESG_dNS9_4plusIvEENS9_8equal_toIvEEdEE10hipError_tPvRmT2_T3_T4_T5_mT6_T7_P12ihipStream_tbENKUlT_T0_E_clISt17integral_constantIbLb1EES10_IbLb0EEEEDaSW_SX_EUlSW_E_NS1_11comp_targetILNS1_3genE4ELNS1_11target_archE910ELNS1_3gpuE8ELNS1_3repE0EEENS1_30default_config_static_selectorELNS0_4arch9wavefront6targetE0EEEvT1_,comdat
	.protected	_ZN7rocprim17ROCPRIM_400000_NS6detail17trampoline_kernelINS0_14default_configENS1_27scan_by_key_config_selectorIidEEZZNS1_16scan_by_key_implILNS1_25lookback_scan_determinismE0ELb0ES3_N6thrust23THRUST_200600_302600_NS6detail15normal_iteratorINS9_10device_ptrIiEEEENSB_INSC_IdEEEESG_dNS9_4plusIvEENS9_8equal_toIvEEdEE10hipError_tPvRmT2_T3_T4_T5_mT6_T7_P12ihipStream_tbENKUlT_T0_E_clISt17integral_constantIbLb1EES10_IbLb0EEEEDaSW_SX_EUlSW_E_NS1_11comp_targetILNS1_3genE4ELNS1_11target_archE910ELNS1_3gpuE8ELNS1_3repE0EEENS1_30default_config_static_selectorELNS0_4arch9wavefront6targetE0EEEvT1_ ; -- Begin function _ZN7rocprim17ROCPRIM_400000_NS6detail17trampoline_kernelINS0_14default_configENS1_27scan_by_key_config_selectorIidEEZZNS1_16scan_by_key_implILNS1_25lookback_scan_determinismE0ELb0ES3_N6thrust23THRUST_200600_302600_NS6detail15normal_iteratorINS9_10device_ptrIiEEEENSB_INSC_IdEEEESG_dNS9_4plusIvEENS9_8equal_toIvEEdEE10hipError_tPvRmT2_T3_T4_T5_mT6_T7_P12ihipStream_tbENKUlT_T0_E_clISt17integral_constantIbLb1EES10_IbLb0EEEEDaSW_SX_EUlSW_E_NS1_11comp_targetILNS1_3genE4ELNS1_11target_archE910ELNS1_3gpuE8ELNS1_3repE0EEENS1_30default_config_static_selectorELNS0_4arch9wavefront6targetE0EEEvT1_
	.globl	_ZN7rocprim17ROCPRIM_400000_NS6detail17trampoline_kernelINS0_14default_configENS1_27scan_by_key_config_selectorIidEEZZNS1_16scan_by_key_implILNS1_25lookback_scan_determinismE0ELb0ES3_N6thrust23THRUST_200600_302600_NS6detail15normal_iteratorINS9_10device_ptrIiEEEENSB_INSC_IdEEEESG_dNS9_4plusIvEENS9_8equal_toIvEEdEE10hipError_tPvRmT2_T3_T4_T5_mT6_T7_P12ihipStream_tbENKUlT_T0_E_clISt17integral_constantIbLb1EES10_IbLb0EEEEDaSW_SX_EUlSW_E_NS1_11comp_targetILNS1_3genE4ELNS1_11target_archE910ELNS1_3gpuE8ELNS1_3repE0EEENS1_30default_config_static_selectorELNS0_4arch9wavefront6targetE0EEEvT1_
	.p2align	8
	.type	_ZN7rocprim17ROCPRIM_400000_NS6detail17trampoline_kernelINS0_14default_configENS1_27scan_by_key_config_selectorIidEEZZNS1_16scan_by_key_implILNS1_25lookback_scan_determinismE0ELb0ES3_N6thrust23THRUST_200600_302600_NS6detail15normal_iteratorINS9_10device_ptrIiEEEENSB_INSC_IdEEEESG_dNS9_4plusIvEENS9_8equal_toIvEEdEE10hipError_tPvRmT2_T3_T4_T5_mT6_T7_P12ihipStream_tbENKUlT_T0_E_clISt17integral_constantIbLb1EES10_IbLb0EEEEDaSW_SX_EUlSW_E_NS1_11comp_targetILNS1_3genE4ELNS1_11target_archE910ELNS1_3gpuE8ELNS1_3repE0EEENS1_30default_config_static_selectorELNS0_4arch9wavefront6targetE0EEEvT1_,@function
_ZN7rocprim17ROCPRIM_400000_NS6detail17trampoline_kernelINS0_14default_configENS1_27scan_by_key_config_selectorIidEEZZNS1_16scan_by_key_implILNS1_25lookback_scan_determinismE0ELb0ES3_N6thrust23THRUST_200600_302600_NS6detail15normal_iteratorINS9_10device_ptrIiEEEENSB_INSC_IdEEEESG_dNS9_4plusIvEENS9_8equal_toIvEEdEE10hipError_tPvRmT2_T3_T4_T5_mT6_T7_P12ihipStream_tbENKUlT_T0_E_clISt17integral_constantIbLb1EES10_IbLb0EEEEDaSW_SX_EUlSW_E_NS1_11comp_targetILNS1_3genE4ELNS1_11target_archE910ELNS1_3gpuE8ELNS1_3repE0EEENS1_30default_config_static_selectorELNS0_4arch9wavefront6targetE0EEEvT1_: ; @_ZN7rocprim17ROCPRIM_400000_NS6detail17trampoline_kernelINS0_14default_configENS1_27scan_by_key_config_selectorIidEEZZNS1_16scan_by_key_implILNS1_25lookback_scan_determinismE0ELb0ES3_N6thrust23THRUST_200600_302600_NS6detail15normal_iteratorINS9_10device_ptrIiEEEENSB_INSC_IdEEEESG_dNS9_4plusIvEENS9_8equal_toIvEEdEE10hipError_tPvRmT2_T3_T4_T5_mT6_T7_P12ihipStream_tbENKUlT_T0_E_clISt17integral_constantIbLb1EES10_IbLb0EEEEDaSW_SX_EUlSW_E_NS1_11comp_targetILNS1_3genE4ELNS1_11target_archE910ELNS1_3gpuE8ELNS1_3repE0EEENS1_30default_config_static_selectorELNS0_4arch9wavefront6targetE0EEEvT1_
; %bb.0:
	.section	.rodata,"a",@progbits
	.p2align	6, 0x0
	.amdhsa_kernel _ZN7rocprim17ROCPRIM_400000_NS6detail17trampoline_kernelINS0_14default_configENS1_27scan_by_key_config_selectorIidEEZZNS1_16scan_by_key_implILNS1_25lookback_scan_determinismE0ELb0ES3_N6thrust23THRUST_200600_302600_NS6detail15normal_iteratorINS9_10device_ptrIiEEEENSB_INSC_IdEEEESG_dNS9_4plusIvEENS9_8equal_toIvEEdEE10hipError_tPvRmT2_T3_T4_T5_mT6_T7_P12ihipStream_tbENKUlT_T0_E_clISt17integral_constantIbLb1EES10_IbLb0EEEEDaSW_SX_EUlSW_E_NS1_11comp_targetILNS1_3genE4ELNS1_11target_archE910ELNS1_3gpuE8ELNS1_3repE0EEENS1_30default_config_static_selectorELNS0_4arch9wavefront6targetE0EEEvT1_
		.amdhsa_group_segment_fixed_size 0
		.amdhsa_private_segment_fixed_size 0
		.amdhsa_kernarg_size 136
		.amdhsa_user_sgpr_count 6
		.amdhsa_user_sgpr_private_segment_buffer 1
		.amdhsa_user_sgpr_dispatch_ptr 0
		.amdhsa_user_sgpr_queue_ptr 0
		.amdhsa_user_sgpr_kernarg_segment_ptr 1
		.amdhsa_user_sgpr_dispatch_id 0
		.amdhsa_user_sgpr_flat_scratch_init 0
		.amdhsa_user_sgpr_private_segment_size 0
		.amdhsa_wavefront_size32 1
		.amdhsa_uses_dynamic_stack 0
		.amdhsa_system_sgpr_private_segment_wavefront_offset 0
		.amdhsa_system_sgpr_workgroup_id_x 1
		.amdhsa_system_sgpr_workgroup_id_y 0
		.amdhsa_system_sgpr_workgroup_id_z 0
		.amdhsa_system_sgpr_workgroup_info 0
		.amdhsa_system_vgpr_workitem_id 0
		.amdhsa_next_free_vgpr 1
		.amdhsa_next_free_sgpr 1
		.amdhsa_reserve_vcc 0
		.amdhsa_reserve_flat_scratch 0
		.amdhsa_float_round_mode_32 0
		.amdhsa_float_round_mode_16_64 0
		.amdhsa_float_denorm_mode_32 3
		.amdhsa_float_denorm_mode_16_64 3
		.amdhsa_dx10_clamp 1
		.amdhsa_ieee_mode 1
		.amdhsa_fp16_overflow 0
		.amdhsa_workgroup_processor_mode 1
		.amdhsa_memory_ordered 1
		.amdhsa_forward_progress 1
		.amdhsa_shared_vgpr_count 0
		.amdhsa_exception_fp_ieee_invalid_op 0
		.amdhsa_exception_fp_denorm_src 0
		.amdhsa_exception_fp_ieee_div_zero 0
		.amdhsa_exception_fp_ieee_overflow 0
		.amdhsa_exception_fp_ieee_underflow 0
		.amdhsa_exception_fp_ieee_inexact 0
		.amdhsa_exception_int_div_zero 0
	.end_amdhsa_kernel
	.section	.text._ZN7rocprim17ROCPRIM_400000_NS6detail17trampoline_kernelINS0_14default_configENS1_27scan_by_key_config_selectorIidEEZZNS1_16scan_by_key_implILNS1_25lookback_scan_determinismE0ELb0ES3_N6thrust23THRUST_200600_302600_NS6detail15normal_iteratorINS9_10device_ptrIiEEEENSB_INSC_IdEEEESG_dNS9_4plusIvEENS9_8equal_toIvEEdEE10hipError_tPvRmT2_T3_T4_T5_mT6_T7_P12ihipStream_tbENKUlT_T0_E_clISt17integral_constantIbLb1EES10_IbLb0EEEEDaSW_SX_EUlSW_E_NS1_11comp_targetILNS1_3genE4ELNS1_11target_archE910ELNS1_3gpuE8ELNS1_3repE0EEENS1_30default_config_static_selectorELNS0_4arch9wavefront6targetE0EEEvT1_,"axG",@progbits,_ZN7rocprim17ROCPRIM_400000_NS6detail17trampoline_kernelINS0_14default_configENS1_27scan_by_key_config_selectorIidEEZZNS1_16scan_by_key_implILNS1_25lookback_scan_determinismE0ELb0ES3_N6thrust23THRUST_200600_302600_NS6detail15normal_iteratorINS9_10device_ptrIiEEEENSB_INSC_IdEEEESG_dNS9_4plusIvEENS9_8equal_toIvEEdEE10hipError_tPvRmT2_T3_T4_T5_mT6_T7_P12ihipStream_tbENKUlT_T0_E_clISt17integral_constantIbLb1EES10_IbLb0EEEEDaSW_SX_EUlSW_E_NS1_11comp_targetILNS1_3genE4ELNS1_11target_archE910ELNS1_3gpuE8ELNS1_3repE0EEENS1_30default_config_static_selectorELNS0_4arch9wavefront6targetE0EEEvT1_,comdat
.Lfunc_end1110:
	.size	_ZN7rocprim17ROCPRIM_400000_NS6detail17trampoline_kernelINS0_14default_configENS1_27scan_by_key_config_selectorIidEEZZNS1_16scan_by_key_implILNS1_25lookback_scan_determinismE0ELb0ES3_N6thrust23THRUST_200600_302600_NS6detail15normal_iteratorINS9_10device_ptrIiEEEENSB_INSC_IdEEEESG_dNS9_4plusIvEENS9_8equal_toIvEEdEE10hipError_tPvRmT2_T3_T4_T5_mT6_T7_P12ihipStream_tbENKUlT_T0_E_clISt17integral_constantIbLb1EES10_IbLb0EEEEDaSW_SX_EUlSW_E_NS1_11comp_targetILNS1_3genE4ELNS1_11target_archE910ELNS1_3gpuE8ELNS1_3repE0EEENS1_30default_config_static_selectorELNS0_4arch9wavefront6targetE0EEEvT1_, .Lfunc_end1110-_ZN7rocprim17ROCPRIM_400000_NS6detail17trampoline_kernelINS0_14default_configENS1_27scan_by_key_config_selectorIidEEZZNS1_16scan_by_key_implILNS1_25lookback_scan_determinismE0ELb0ES3_N6thrust23THRUST_200600_302600_NS6detail15normal_iteratorINS9_10device_ptrIiEEEENSB_INSC_IdEEEESG_dNS9_4plusIvEENS9_8equal_toIvEEdEE10hipError_tPvRmT2_T3_T4_T5_mT6_T7_P12ihipStream_tbENKUlT_T0_E_clISt17integral_constantIbLb1EES10_IbLb0EEEEDaSW_SX_EUlSW_E_NS1_11comp_targetILNS1_3genE4ELNS1_11target_archE910ELNS1_3gpuE8ELNS1_3repE0EEENS1_30default_config_static_selectorELNS0_4arch9wavefront6targetE0EEEvT1_
                                        ; -- End function
	.set _ZN7rocprim17ROCPRIM_400000_NS6detail17trampoline_kernelINS0_14default_configENS1_27scan_by_key_config_selectorIidEEZZNS1_16scan_by_key_implILNS1_25lookback_scan_determinismE0ELb0ES3_N6thrust23THRUST_200600_302600_NS6detail15normal_iteratorINS9_10device_ptrIiEEEENSB_INSC_IdEEEESG_dNS9_4plusIvEENS9_8equal_toIvEEdEE10hipError_tPvRmT2_T3_T4_T5_mT6_T7_P12ihipStream_tbENKUlT_T0_E_clISt17integral_constantIbLb1EES10_IbLb0EEEEDaSW_SX_EUlSW_E_NS1_11comp_targetILNS1_3genE4ELNS1_11target_archE910ELNS1_3gpuE8ELNS1_3repE0EEENS1_30default_config_static_selectorELNS0_4arch9wavefront6targetE0EEEvT1_.num_vgpr, 0
	.set _ZN7rocprim17ROCPRIM_400000_NS6detail17trampoline_kernelINS0_14default_configENS1_27scan_by_key_config_selectorIidEEZZNS1_16scan_by_key_implILNS1_25lookback_scan_determinismE0ELb0ES3_N6thrust23THRUST_200600_302600_NS6detail15normal_iteratorINS9_10device_ptrIiEEEENSB_INSC_IdEEEESG_dNS9_4plusIvEENS9_8equal_toIvEEdEE10hipError_tPvRmT2_T3_T4_T5_mT6_T7_P12ihipStream_tbENKUlT_T0_E_clISt17integral_constantIbLb1EES10_IbLb0EEEEDaSW_SX_EUlSW_E_NS1_11comp_targetILNS1_3genE4ELNS1_11target_archE910ELNS1_3gpuE8ELNS1_3repE0EEENS1_30default_config_static_selectorELNS0_4arch9wavefront6targetE0EEEvT1_.num_agpr, 0
	.set _ZN7rocprim17ROCPRIM_400000_NS6detail17trampoline_kernelINS0_14default_configENS1_27scan_by_key_config_selectorIidEEZZNS1_16scan_by_key_implILNS1_25lookback_scan_determinismE0ELb0ES3_N6thrust23THRUST_200600_302600_NS6detail15normal_iteratorINS9_10device_ptrIiEEEENSB_INSC_IdEEEESG_dNS9_4plusIvEENS9_8equal_toIvEEdEE10hipError_tPvRmT2_T3_T4_T5_mT6_T7_P12ihipStream_tbENKUlT_T0_E_clISt17integral_constantIbLb1EES10_IbLb0EEEEDaSW_SX_EUlSW_E_NS1_11comp_targetILNS1_3genE4ELNS1_11target_archE910ELNS1_3gpuE8ELNS1_3repE0EEENS1_30default_config_static_selectorELNS0_4arch9wavefront6targetE0EEEvT1_.numbered_sgpr, 0
	.set _ZN7rocprim17ROCPRIM_400000_NS6detail17trampoline_kernelINS0_14default_configENS1_27scan_by_key_config_selectorIidEEZZNS1_16scan_by_key_implILNS1_25lookback_scan_determinismE0ELb0ES3_N6thrust23THRUST_200600_302600_NS6detail15normal_iteratorINS9_10device_ptrIiEEEENSB_INSC_IdEEEESG_dNS9_4plusIvEENS9_8equal_toIvEEdEE10hipError_tPvRmT2_T3_T4_T5_mT6_T7_P12ihipStream_tbENKUlT_T0_E_clISt17integral_constantIbLb1EES10_IbLb0EEEEDaSW_SX_EUlSW_E_NS1_11comp_targetILNS1_3genE4ELNS1_11target_archE910ELNS1_3gpuE8ELNS1_3repE0EEENS1_30default_config_static_selectorELNS0_4arch9wavefront6targetE0EEEvT1_.num_named_barrier, 0
	.set _ZN7rocprim17ROCPRIM_400000_NS6detail17trampoline_kernelINS0_14default_configENS1_27scan_by_key_config_selectorIidEEZZNS1_16scan_by_key_implILNS1_25lookback_scan_determinismE0ELb0ES3_N6thrust23THRUST_200600_302600_NS6detail15normal_iteratorINS9_10device_ptrIiEEEENSB_INSC_IdEEEESG_dNS9_4plusIvEENS9_8equal_toIvEEdEE10hipError_tPvRmT2_T3_T4_T5_mT6_T7_P12ihipStream_tbENKUlT_T0_E_clISt17integral_constantIbLb1EES10_IbLb0EEEEDaSW_SX_EUlSW_E_NS1_11comp_targetILNS1_3genE4ELNS1_11target_archE910ELNS1_3gpuE8ELNS1_3repE0EEENS1_30default_config_static_selectorELNS0_4arch9wavefront6targetE0EEEvT1_.private_seg_size, 0
	.set _ZN7rocprim17ROCPRIM_400000_NS6detail17trampoline_kernelINS0_14default_configENS1_27scan_by_key_config_selectorIidEEZZNS1_16scan_by_key_implILNS1_25lookback_scan_determinismE0ELb0ES3_N6thrust23THRUST_200600_302600_NS6detail15normal_iteratorINS9_10device_ptrIiEEEENSB_INSC_IdEEEESG_dNS9_4plusIvEENS9_8equal_toIvEEdEE10hipError_tPvRmT2_T3_T4_T5_mT6_T7_P12ihipStream_tbENKUlT_T0_E_clISt17integral_constantIbLb1EES10_IbLb0EEEEDaSW_SX_EUlSW_E_NS1_11comp_targetILNS1_3genE4ELNS1_11target_archE910ELNS1_3gpuE8ELNS1_3repE0EEENS1_30default_config_static_selectorELNS0_4arch9wavefront6targetE0EEEvT1_.uses_vcc, 0
	.set _ZN7rocprim17ROCPRIM_400000_NS6detail17trampoline_kernelINS0_14default_configENS1_27scan_by_key_config_selectorIidEEZZNS1_16scan_by_key_implILNS1_25lookback_scan_determinismE0ELb0ES3_N6thrust23THRUST_200600_302600_NS6detail15normal_iteratorINS9_10device_ptrIiEEEENSB_INSC_IdEEEESG_dNS9_4plusIvEENS9_8equal_toIvEEdEE10hipError_tPvRmT2_T3_T4_T5_mT6_T7_P12ihipStream_tbENKUlT_T0_E_clISt17integral_constantIbLb1EES10_IbLb0EEEEDaSW_SX_EUlSW_E_NS1_11comp_targetILNS1_3genE4ELNS1_11target_archE910ELNS1_3gpuE8ELNS1_3repE0EEENS1_30default_config_static_selectorELNS0_4arch9wavefront6targetE0EEEvT1_.uses_flat_scratch, 0
	.set _ZN7rocprim17ROCPRIM_400000_NS6detail17trampoline_kernelINS0_14default_configENS1_27scan_by_key_config_selectorIidEEZZNS1_16scan_by_key_implILNS1_25lookback_scan_determinismE0ELb0ES3_N6thrust23THRUST_200600_302600_NS6detail15normal_iteratorINS9_10device_ptrIiEEEENSB_INSC_IdEEEESG_dNS9_4plusIvEENS9_8equal_toIvEEdEE10hipError_tPvRmT2_T3_T4_T5_mT6_T7_P12ihipStream_tbENKUlT_T0_E_clISt17integral_constantIbLb1EES10_IbLb0EEEEDaSW_SX_EUlSW_E_NS1_11comp_targetILNS1_3genE4ELNS1_11target_archE910ELNS1_3gpuE8ELNS1_3repE0EEENS1_30default_config_static_selectorELNS0_4arch9wavefront6targetE0EEEvT1_.has_dyn_sized_stack, 0
	.set _ZN7rocprim17ROCPRIM_400000_NS6detail17trampoline_kernelINS0_14default_configENS1_27scan_by_key_config_selectorIidEEZZNS1_16scan_by_key_implILNS1_25lookback_scan_determinismE0ELb0ES3_N6thrust23THRUST_200600_302600_NS6detail15normal_iteratorINS9_10device_ptrIiEEEENSB_INSC_IdEEEESG_dNS9_4plusIvEENS9_8equal_toIvEEdEE10hipError_tPvRmT2_T3_T4_T5_mT6_T7_P12ihipStream_tbENKUlT_T0_E_clISt17integral_constantIbLb1EES10_IbLb0EEEEDaSW_SX_EUlSW_E_NS1_11comp_targetILNS1_3genE4ELNS1_11target_archE910ELNS1_3gpuE8ELNS1_3repE0EEENS1_30default_config_static_selectorELNS0_4arch9wavefront6targetE0EEEvT1_.has_recursion, 0
	.set _ZN7rocprim17ROCPRIM_400000_NS6detail17trampoline_kernelINS0_14default_configENS1_27scan_by_key_config_selectorIidEEZZNS1_16scan_by_key_implILNS1_25lookback_scan_determinismE0ELb0ES3_N6thrust23THRUST_200600_302600_NS6detail15normal_iteratorINS9_10device_ptrIiEEEENSB_INSC_IdEEEESG_dNS9_4plusIvEENS9_8equal_toIvEEdEE10hipError_tPvRmT2_T3_T4_T5_mT6_T7_P12ihipStream_tbENKUlT_T0_E_clISt17integral_constantIbLb1EES10_IbLb0EEEEDaSW_SX_EUlSW_E_NS1_11comp_targetILNS1_3genE4ELNS1_11target_archE910ELNS1_3gpuE8ELNS1_3repE0EEENS1_30default_config_static_selectorELNS0_4arch9wavefront6targetE0EEEvT1_.has_indirect_call, 0
	.section	.AMDGPU.csdata,"",@progbits
; Kernel info:
; codeLenInByte = 0
; TotalNumSgprs: 0
; NumVgprs: 0
; ScratchSize: 0
; MemoryBound: 0
; FloatMode: 240
; IeeeMode: 1
; LDSByteSize: 0 bytes/workgroup (compile time only)
; SGPRBlocks: 0
; VGPRBlocks: 0
; NumSGPRsForWavesPerEU: 1
; NumVGPRsForWavesPerEU: 1
; Occupancy: 16
; WaveLimiterHint : 0
; COMPUTE_PGM_RSRC2:SCRATCH_EN: 0
; COMPUTE_PGM_RSRC2:USER_SGPR: 6
; COMPUTE_PGM_RSRC2:TRAP_HANDLER: 0
; COMPUTE_PGM_RSRC2:TGID_X_EN: 1
; COMPUTE_PGM_RSRC2:TGID_Y_EN: 0
; COMPUTE_PGM_RSRC2:TGID_Z_EN: 0
; COMPUTE_PGM_RSRC2:TIDIG_COMP_CNT: 0
	.section	.text._ZN7rocprim17ROCPRIM_400000_NS6detail17trampoline_kernelINS0_14default_configENS1_27scan_by_key_config_selectorIidEEZZNS1_16scan_by_key_implILNS1_25lookback_scan_determinismE0ELb0ES3_N6thrust23THRUST_200600_302600_NS6detail15normal_iteratorINS9_10device_ptrIiEEEENSB_INSC_IdEEEESG_dNS9_4plusIvEENS9_8equal_toIvEEdEE10hipError_tPvRmT2_T3_T4_T5_mT6_T7_P12ihipStream_tbENKUlT_T0_E_clISt17integral_constantIbLb1EES10_IbLb0EEEEDaSW_SX_EUlSW_E_NS1_11comp_targetILNS1_3genE3ELNS1_11target_archE908ELNS1_3gpuE7ELNS1_3repE0EEENS1_30default_config_static_selectorELNS0_4arch9wavefront6targetE0EEEvT1_,"axG",@progbits,_ZN7rocprim17ROCPRIM_400000_NS6detail17trampoline_kernelINS0_14default_configENS1_27scan_by_key_config_selectorIidEEZZNS1_16scan_by_key_implILNS1_25lookback_scan_determinismE0ELb0ES3_N6thrust23THRUST_200600_302600_NS6detail15normal_iteratorINS9_10device_ptrIiEEEENSB_INSC_IdEEEESG_dNS9_4plusIvEENS9_8equal_toIvEEdEE10hipError_tPvRmT2_T3_T4_T5_mT6_T7_P12ihipStream_tbENKUlT_T0_E_clISt17integral_constantIbLb1EES10_IbLb0EEEEDaSW_SX_EUlSW_E_NS1_11comp_targetILNS1_3genE3ELNS1_11target_archE908ELNS1_3gpuE7ELNS1_3repE0EEENS1_30default_config_static_selectorELNS0_4arch9wavefront6targetE0EEEvT1_,comdat
	.protected	_ZN7rocprim17ROCPRIM_400000_NS6detail17trampoline_kernelINS0_14default_configENS1_27scan_by_key_config_selectorIidEEZZNS1_16scan_by_key_implILNS1_25lookback_scan_determinismE0ELb0ES3_N6thrust23THRUST_200600_302600_NS6detail15normal_iteratorINS9_10device_ptrIiEEEENSB_INSC_IdEEEESG_dNS9_4plusIvEENS9_8equal_toIvEEdEE10hipError_tPvRmT2_T3_T4_T5_mT6_T7_P12ihipStream_tbENKUlT_T0_E_clISt17integral_constantIbLb1EES10_IbLb0EEEEDaSW_SX_EUlSW_E_NS1_11comp_targetILNS1_3genE3ELNS1_11target_archE908ELNS1_3gpuE7ELNS1_3repE0EEENS1_30default_config_static_selectorELNS0_4arch9wavefront6targetE0EEEvT1_ ; -- Begin function _ZN7rocprim17ROCPRIM_400000_NS6detail17trampoline_kernelINS0_14default_configENS1_27scan_by_key_config_selectorIidEEZZNS1_16scan_by_key_implILNS1_25lookback_scan_determinismE0ELb0ES3_N6thrust23THRUST_200600_302600_NS6detail15normal_iteratorINS9_10device_ptrIiEEEENSB_INSC_IdEEEESG_dNS9_4plusIvEENS9_8equal_toIvEEdEE10hipError_tPvRmT2_T3_T4_T5_mT6_T7_P12ihipStream_tbENKUlT_T0_E_clISt17integral_constantIbLb1EES10_IbLb0EEEEDaSW_SX_EUlSW_E_NS1_11comp_targetILNS1_3genE3ELNS1_11target_archE908ELNS1_3gpuE7ELNS1_3repE0EEENS1_30default_config_static_selectorELNS0_4arch9wavefront6targetE0EEEvT1_
	.globl	_ZN7rocprim17ROCPRIM_400000_NS6detail17trampoline_kernelINS0_14default_configENS1_27scan_by_key_config_selectorIidEEZZNS1_16scan_by_key_implILNS1_25lookback_scan_determinismE0ELb0ES3_N6thrust23THRUST_200600_302600_NS6detail15normal_iteratorINS9_10device_ptrIiEEEENSB_INSC_IdEEEESG_dNS9_4plusIvEENS9_8equal_toIvEEdEE10hipError_tPvRmT2_T3_T4_T5_mT6_T7_P12ihipStream_tbENKUlT_T0_E_clISt17integral_constantIbLb1EES10_IbLb0EEEEDaSW_SX_EUlSW_E_NS1_11comp_targetILNS1_3genE3ELNS1_11target_archE908ELNS1_3gpuE7ELNS1_3repE0EEENS1_30default_config_static_selectorELNS0_4arch9wavefront6targetE0EEEvT1_
	.p2align	8
	.type	_ZN7rocprim17ROCPRIM_400000_NS6detail17trampoline_kernelINS0_14default_configENS1_27scan_by_key_config_selectorIidEEZZNS1_16scan_by_key_implILNS1_25lookback_scan_determinismE0ELb0ES3_N6thrust23THRUST_200600_302600_NS6detail15normal_iteratorINS9_10device_ptrIiEEEENSB_INSC_IdEEEESG_dNS9_4plusIvEENS9_8equal_toIvEEdEE10hipError_tPvRmT2_T3_T4_T5_mT6_T7_P12ihipStream_tbENKUlT_T0_E_clISt17integral_constantIbLb1EES10_IbLb0EEEEDaSW_SX_EUlSW_E_NS1_11comp_targetILNS1_3genE3ELNS1_11target_archE908ELNS1_3gpuE7ELNS1_3repE0EEENS1_30default_config_static_selectorELNS0_4arch9wavefront6targetE0EEEvT1_,@function
_ZN7rocprim17ROCPRIM_400000_NS6detail17trampoline_kernelINS0_14default_configENS1_27scan_by_key_config_selectorIidEEZZNS1_16scan_by_key_implILNS1_25lookback_scan_determinismE0ELb0ES3_N6thrust23THRUST_200600_302600_NS6detail15normal_iteratorINS9_10device_ptrIiEEEENSB_INSC_IdEEEESG_dNS9_4plusIvEENS9_8equal_toIvEEdEE10hipError_tPvRmT2_T3_T4_T5_mT6_T7_P12ihipStream_tbENKUlT_T0_E_clISt17integral_constantIbLb1EES10_IbLb0EEEEDaSW_SX_EUlSW_E_NS1_11comp_targetILNS1_3genE3ELNS1_11target_archE908ELNS1_3gpuE7ELNS1_3repE0EEENS1_30default_config_static_selectorELNS0_4arch9wavefront6targetE0EEEvT1_: ; @_ZN7rocprim17ROCPRIM_400000_NS6detail17trampoline_kernelINS0_14default_configENS1_27scan_by_key_config_selectorIidEEZZNS1_16scan_by_key_implILNS1_25lookback_scan_determinismE0ELb0ES3_N6thrust23THRUST_200600_302600_NS6detail15normal_iteratorINS9_10device_ptrIiEEEENSB_INSC_IdEEEESG_dNS9_4plusIvEENS9_8equal_toIvEEdEE10hipError_tPvRmT2_T3_T4_T5_mT6_T7_P12ihipStream_tbENKUlT_T0_E_clISt17integral_constantIbLb1EES10_IbLb0EEEEDaSW_SX_EUlSW_E_NS1_11comp_targetILNS1_3genE3ELNS1_11target_archE908ELNS1_3gpuE7ELNS1_3repE0EEENS1_30default_config_static_selectorELNS0_4arch9wavefront6targetE0EEEvT1_
; %bb.0:
	.section	.rodata,"a",@progbits
	.p2align	6, 0x0
	.amdhsa_kernel _ZN7rocprim17ROCPRIM_400000_NS6detail17trampoline_kernelINS0_14default_configENS1_27scan_by_key_config_selectorIidEEZZNS1_16scan_by_key_implILNS1_25lookback_scan_determinismE0ELb0ES3_N6thrust23THRUST_200600_302600_NS6detail15normal_iteratorINS9_10device_ptrIiEEEENSB_INSC_IdEEEESG_dNS9_4plusIvEENS9_8equal_toIvEEdEE10hipError_tPvRmT2_T3_T4_T5_mT6_T7_P12ihipStream_tbENKUlT_T0_E_clISt17integral_constantIbLb1EES10_IbLb0EEEEDaSW_SX_EUlSW_E_NS1_11comp_targetILNS1_3genE3ELNS1_11target_archE908ELNS1_3gpuE7ELNS1_3repE0EEENS1_30default_config_static_selectorELNS0_4arch9wavefront6targetE0EEEvT1_
		.amdhsa_group_segment_fixed_size 0
		.amdhsa_private_segment_fixed_size 0
		.amdhsa_kernarg_size 136
		.amdhsa_user_sgpr_count 6
		.amdhsa_user_sgpr_private_segment_buffer 1
		.amdhsa_user_sgpr_dispatch_ptr 0
		.amdhsa_user_sgpr_queue_ptr 0
		.amdhsa_user_sgpr_kernarg_segment_ptr 1
		.amdhsa_user_sgpr_dispatch_id 0
		.amdhsa_user_sgpr_flat_scratch_init 0
		.amdhsa_user_sgpr_private_segment_size 0
		.amdhsa_wavefront_size32 1
		.amdhsa_uses_dynamic_stack 0
		.amdhsa_system_sgpr_private_segment_wavefront_offset 0
		.amdhsa_system_sgpr_workgroup_id_x 1
		.amdhsa_system_sgpr_workgroup_id_y 0
		.amdhsa_system_sgpr_workgroup_id_z 0
		.amdhsa_system_sgpr_workgroup_info 0
		.amdhsa_system_vgpr_workitem_id 0
		.amdhsa_next_free_vgpr 1
		.amdhsa_next_free_sgpr 1
		.amdhsa_reserve_vcc 0
		.amdhsa_reserve_flat_scratch 0
		.amdhsa_float_round_mode_32 0
		.amdhsa_float_round_mode_16_64 0
		.amdhsa_float_denorm_mode_32 3
		.amdhsa_float_denorm_mode_16_64 3
		.amdhsa_dx10_clamp 1
		.amdhsa_ieee_mode 1
		.amdhsa_fp16_overflow 0
		.amdhsa_workgroup_processor_mode 1
		.amdhsa_memory_ordered 1
		.amdhsa_forward_progress 1
		.amdhsa_shared_vgpr_count 0
		.amdhsa_exception_fp_ieee_invalid_op 0
		.amdhsa_exception_fp_denorm_src 0
		.amdhsa_exception_fp_ieee_div_zero 0
		.amdhsa_exception_fp_ieee_overflow 0
		.amdhsa_exception_fp_ieee_underflow 0
		.amdhsa_exception_fp_ieee_inexact 0
		.amdhsa_exception_int_div_zero 0
	.end_amdhsa_kernel
	.section	.text._ZN7rocprim17ROCPRIM_400000_NS6detail17trampoline_kernelINS0_14default_configENS1_27scan_by_key_config_selectorIidEEZZNS1_16scan_by_key_implILNS1_25lookback_scan_determinismE0ELb0ES3_N6thrust23THRUST_200600_302600_NS6detail15normal_iteratorINS9_10device_ptrIiEEEENSB_INSC_IdEEEESG_dNS9_4plusIvEENS9_8equal_toIvEEdEE10hipError_tPvRmT2_T3_T4_T5_mT6_T7_P12ihipStream_tbENKUlT_T0_E_clISt17integral_constantIbLb1EES10_IbLb0EEEEDaSW_SX_EUlSW_E_NS1_11comp_targetILNS1_3genE3ELNS1_11target_archE908ELNS1_3gpuE7ELNS1_3repE0EEENS1_30default_config_static_selectorELNS0_4arch9wavefront6targetE0EEEvT1_,"axG",@progbits,_ZN7rocprim17ROCPRIM_400000_NS6detail17trampoline_kernelINS0_14default_configENS1_27scan_by_key_config_selectorIidEEZZNS1_16scan_by_key_implILNS1_25lookback_scan_determinismE0ELb0ES3_N6thrust23THRUST_200600_302600_NS6detail15normal_iteratorINS9_10device_ptrIiEEEENSB_INSC_IdEEEESG_dNS9_4plusIvEENS9_8equal_toIvEEdEE10hipError_tPvRmT2_T3_T4_T5_mT6_T7_P12ihipStream_tbENKUlT_T0_E_clISt17integral_constantIbLb1EES10_IbLb0EEEEDaSW_SX_EUlSW_E_NS1_11comp_targetILNS1_3genE3ELNS1_11target_archE908ELNS1_3gpuE7ELNS1_3repE0EEENS1_30default_config_static_selectorELNS0_4arch9wavefront6targetE0EEEvT1_,comdat
.Lfunc_end1111:
	.size	_ZN7rocprim17ROCPRIM_400000_NS6detail17trampoline_kernelINS0_14default_configENS1_27scan_by_key_config_selectorIidEEZZNS1_16scan_by_key_implILNS1_25lookback_scan_determinismE0ELb0ES3_N6thrust23THRUST_200600_302600_NS6detail15normal_iteratorINS9_10device_ptrIiEEEENSB_INSC_IdEEEESG_dNS9_4plusIvEENS9_8equal_toIvEEdEE10hipError_tPvRmT2_T3_T4_T5_mT6_T7_P12ihipStream_tbENKUlT_T0_E_clISt17integral_constantIbLb1EES10_IbLb0EEEEDaSW_SX_EUlSW_E_NS1_11comp_targetILNS1_3genE3ELNS1_11target_archE908ELNS1_3gpuE7ELNS1_3repE0EEENS1_30default_config_static_selectorELNS0_4arch9wavefront6targetE0EEEvT1_, .Lfunc_end1111-_ZN7rocprim17ROCPRIM_400000_NS6detail17trampoline_kernelINS0_14default_configENS1_27scan_by_key_config_selectorIidEEZZNS1_16scan_by_key_implILNS1_25lookback_scan_determinismE0ELb0ES3_N6thrust23THRUST_200600_302600_NS6detail15normal_iteratorINS9_10device_ptrIiEEEENSB_INSC_IdEEEESG_dNS9_4plusIvEENS9_8equal_toIvEEdEE10hipError_tPvRmT2_T3_T4_T5_mT6_T7_P12ihipStream_tbENKUlT_T0_E_clISt17integral_constantIbLb1EES10_IbLb0EEEEDaSW_SX_EUlSW_E_NS1_11comp_targetILNS1_3genE3ELNS1_11target_archE908ELNS1_3gpuE7ELNS1_3repE0EEENS1_30default_config_static_selectorELNS0_4arch9wavefront6targetE0EEEvT1_
                                        ; -- End function
	.set _ZN7rocprim17ROCPRIM_400000_NS6detail17trampoline_kernelINS0_14default_configENS1_27scan_by_key_config_selectorIidEEZZNS1_16scan_by_key_implILNS1_25lookback_scan_determinismE0ELb0ES3_N6thrust23THRUST_200600_302600_NS6detail15normal_iteratorINS9_10device_ptrIiEEEENSB_INSC_IdEEEESG_dNS9_4plusIvEENS9_8equal_toIvEEdEE10hipError_tPvRmT2_T3_T4_T5_mT6_T7_P12ihipStream_tbENKUlT_T0_E_clISt17integral_constantIbLb1EES10_IbLb0EEEEDaSW_SX_EUlSW_E_NS1_11comp_targetILNS1_3genE3ELNS1_11target_archE908ELNS1_3gpuE7ELNS1_3repE0EEENS1_30default_config_static_selectorELNS0_4arch9wavefront6targetE0EEEvT1_.num_vgpr, 0
	.set _ZN7rocprim17ROCPRIM_400000_NS6detail17trampoline_kernelINS0_14default_configENS1_27scan_by_key_config_selectorIidEEZZNS1_16scan_by_key_implILNS1_25lookback_scan_determinismE0ELb0ES3_N6thrust23THRUST_200600_302600_NS6detail15normal_iteratorINS9_10device_ptrIiEEEENSB_INSC_IdEEEESG_dNS9_4plusIvEENS9_8equal_toIvEEdEE10hipError_tPvRmT2_T3_T4_T5_mT6_T7_P12ihipStream_tbENKUlT_T0_E_clISt17integral_constantIbLb1EES10_IbLb0EEEEDaSW_SX_EUlSW_E_NS1_11comp_targetILNS1_3genE3ELNS1_11target_archE908ELNS1_3gpuE7ELNS1_3repE0EEENS1_30default_config_static_selectorELNS0_4arch9wavefront6targetE0EEEvT1_.num_agpr, 0
	.set _ZN7rocprim17ROCPRIM_400000_NS6detail17trampoline_kernelINS0_14default_configENS1_27scan_by_key_config_selectorIidEEZZNS1_16scan_by_key_implILNS1_25lookback_scan_determinismE0ELb0ES3_N6thrust23THRUST_200600_302600_NS6detail15normal_iteratorINS9_10device_ptrIiEEEENSB_INSC_IdEEEESG_dNS9_4plusIvEENS9_8equal_toIvEEdEE10hipError_tPvRmT2_T3_T4_T5_mT6_T7_P12ihipStream_tbENKUlT_T0_E_clISt17integral_constantIbLb1EES10_IbLb0EEEEDaSW_SX_EUlSW_E_NS1_11comp_targetILNS1_3genE3ELNS1_11target_archE908ELNS1_3gpuE7ELNS1_3repE0EEENS1_30default_config_static_selectorELNS0_4arch9wavefront6targetE0EEEvT1_.numbered_sgpr, 0
	.set _ZN7rocprim17ROCPRIM_400000_NS6detail17trampoline_kernelINS0_14default_configENS1_27scan_by_key_config_selectorIidEEZZNS1_16scan_by_key_implILNS1_25lookback_scan_determinismE0ELb0ES3_N6thrust23THRUST_200600_302600_NS6detail15normal_iteratorINS9_10device_ptrIiEEEENSB_INSC_IdEEEESG_dNS9_4plusIvEENS9_8equal_toIvEEdEE10hipError_tPvRmT2_T3_T4_T5_mT6_T7_P12ihipStream_tbENKUlT_T0_E_clISt17integral_constantIbLb1EES10_IbLb0EEEEDaSW_SX_EUlSW_E_NS1_11comp_targetILNS1_3genE3ELNS1_11target_archE908ELNS1_3gpuE7ELNS1_3repE0EEENS1_30default_config_static_selectorELNS0_4arch9wavefront6targetE0EEEvT1_.num_named_barrier, 0
	.set _ZN7rocprim17ROCPRIM_400000_NS6detail17trampoline_kernelINS0_14default_configENS1_27scan_by_key_config_selectorIidEEZZNS1_16scan_by_key_implILNS1_25lookback_scan_determinismE0ELb0ES3_N6thrust23THRUST_200600_302600_NS6detail15normal_iteratorINS9_10device_ptrIiEEEENSB_INSC_IdEEEESG_dNS9_4plusIvEENS9_8equal_toIvEEdEE10hipError_tPvRmT2_T3_T4_T5_mT6_T7_P12ihipStream_tbENKUlT_T0_E_clISt17integral_constantIbLb1EES10_IbLb0EEEEDaSW_SX_EUlSW_E_NS1_11comp_targetILNS1_3genE3ELNS1_11target_archE908ELNS1_3gpuE7ELNS1_3repE0EEENS1_30default_config_static_selectorELNS0_4arch9wavefront6targetE0EEEvT1_.private_seg_size, 0
	.set _ZN7rocprim17ROCPRIM_400000_NS6detail17trampoline_kernelINS0_14default_configENS1_27scan_by_key_config_selectorIidEEZZNS1_16scan_by_key_implILNS1_25lookback_scan_determinismE0ELb0ES3_N6thrust23THRUST_200600_302600_NS6detail15normal_iteratorINS9_10device_ptrIiEEEENSB_INSC_IdEEEESG_dNS9_4plusIvEENS9_8equal_toIvEEdEE10hipError_tPvRmT2_T3_T4_T5_mT6_T7_P12ihipStream_tbENKUlT_T0_E_clISt17integral_constantIbLb1EES10_IbLb0EEEEDaSW_SX_EUlSW_E_NS1_11comp_targetILNS1_3genE3ELNS1_11target_archE908ELNS1_3gpuE7ELNS1_3repE0EEENS1_30default_config_static_selectorELNS0_4arch9wavefront6targetE0EEEvT1_.uses_vcc, 0
	.set _ZN7rocprim17ROCPRIM_400000_NS6detail17trampoline_kernelINS0_14default_configENS1_27scan_by_key_config_selectorIidEEZZNS1_16scan_by_key_implILNS1_25lookback_scan_determinismE0ELb0ES3_N6thrust23THRUST_200600_302600_NS6detail15normal_iteratorINS9_10device_ptrIiEEEENSB_INSC_IdEEEESG_dNS9_4plusIvEENS9_8equal_toIvEEdEE10hipError_tPvRmT2_T3_T4_T5_mT6_T7_P12ihipStream_tbENKUlT_T0_E_clISt17integral_constantIbLb1EES10_IbLb0EEEEDaSW_SX_EUlSW_E_NS1_11comp_targetILNS1_3genE3ELNS1_11target_archE908ELNS1_3gpuE7ELNS1_3repE0EEENS1_30default_config_static_selectorELNS0_4arch9wavefront6targetE0EEEvT1_.uses_flat_scratch, 0
	.set _ZN7rocprim17ROCPRIM_400000_NS6detail17trampoline_kernelINS0_14default_configENS1_27scan_by_key_config_selectorIidEEZZNS1_16scan_by_key_implILNS1_25lookback_scan_determinismE0ELb0ES3_N6thrust23THRUST_200600_302600_NS6detail15normal_iteratorINS9_10device_ptrIiEEEENSB_INSC_IdEEEESG_dNS9_4plusIvEENS9_8equal_toIvEEdEE10hipError_tPvRmT2_T3_T4_T5_mT6_T7_P12ihipStream_tbENKUlT_T0_E_clISt17integral_constantIbLb1EES10_IbLb0EEEEDaSW_SX_EUlSW_E_NS1_11comp_targetILNS1_3genE3ELNS1_11target_archE908ELNS1_3gpuE7ELNS1_3repE0EEENS1_30default_config_static_selectorELNS0_4arch9wavefront6targetE0EEEvT1_.has_dyn_sized_stack, 0
	.set _ZN7rocprim17ROCPRIM_400000_NS6detail17trampoline_kernelINS0_14default_configENS1_27scan_by_key_config_selectorIidEEZZNS1_16scan_by_key_implILNS1_25lookback_scan_determinismE0ELb0ES3_N6thrust23THRUST_200600_302600_NS6detail15normal_iteratorINS9_10device_ptrIiEEEENSB_INSC_IdEEEESG_dNS9_4plusIvEENS9_8equal_toIvEEdEE10hipError_tPvRmT2_T3_T4_T5_mT6_T7_P12ihipStream_tbENKUlT_T0_E_clISt17integral_constantIbLb1EES10_IbLb0EEEEDaSW_SX_EUlSW_E_NS1_11comp_targetILNS1_3genE3ELNS1_11target_archE908ELNS1_3gpuE7ELNS1_3repE0EEENS1_30default_config_static_selectorELNS0_4arch9wavefront6targetE0EEEvT1_.has_recursion, 0
	.set _ZN7rocprim17ROCPRIM_400000_NS6detail17trampoline_kernelINS0_14default_configENS1_27scan_by_key_config_selectorIidEEZZNS1_16scan_by_key_implILNS1_25lookback_scan_determinismE0ELb0ES3_N6thrust23THRUST_200600_302600_NS6detail15normal_iteratorINS9_10device_ptrIiEEEENSB_INSC_IdEEEESG_dNS9_4plusIvEENS9_8equal_toIvEEdEE10hipError_tPvRmT2_T3_T4_T5_mT6_T7_P12ihipStream_tbENKUlT_T0_E_clISt17integral_constantIbLb1EES10_IbLb0EEEEDaSW_SX_EUlSW_E_NS1_11comp_targetILNS1_3genE3ELNS1_11target_archE908ELNS1_3gpuE7ELNS1_3repE0EEENS1_30default_config_static_selectorELNS0_4arch9wavefront6targetE0EEEvT1_.has_indirect_call, 0
	.section	.AMDGPU.csdata,"",@progbits
; Kernel info:
; codeLenInByte = 0
; TotalNumSgprs: 0
; NumVgprs: 0
; ScratchSize: 0
; MemoryBound: 0
; FloatMode: 240
; IeeeMode: 1
; LDSByteSize: 0 bytes/workgroup (compile time only)
; SGPRBlocks: 0
; VGPRBlocks: 0
; NumSGPRsForWavesPerEU: 1
; NumVGPRsForWavesPerEU: 1
; Occupancy: 16
; WaveLimiterHint : 0
; COMPUTE_PGM_RSRC2:SCRATCH_EN: 0
; COMPUTE_PGM_RSRC2:USER_SGPR: 6
; COMPUTE_PGM_RSRC2:TRAP_HANDLER: 0
; COMPUTE_PGM_RSRC2:TGID_X_EN: 1
; COMPUTE_PGM_RSRC2:TGID_Y_EN: 0
; COMPUTE_PGM_RSRC2:TGID_Z_EN: 0
; COMPUTE_PGM_RSRC2:TIDIG_COMP_CNT: 0
	.section	.text._ZN7rocprim17ROCPRIM_400000_NS6detail17trampoline_kernelINS0_14default_configENS1_27scan_by_key_config_selectorIidEEZZNS1_16scan_by_key_implILNS1_25lookback_scan_determinismE0ELb0ES3_N6thrust23THRUST_200600_302600_NS6detail15normal_iteratorINS9_10device_ptrIiEEEENSB_INSC_IdEEEESG_dNS9_4plusIvEENS9_8equal_toIvEEdEE10hipError_tPvRmT2_T3_T4_T5_mT6_T7_P12ihipStream_tbENKUlT_T0_E_clISt17integral_constantIbLb1EES10_IbLb0EEEEDaSW_SX_EUlSW_E_NS1_11comp_targetILNS1_3genE2ELNS1_11target_archE906ELNS1_3gpuE6ELNS1_3repE0EEENS1_30default_config_static_selectorELNS0_4arch9wavefront6targetE0EEEvT1_,"axG",@progbits,_ZN7rocprim17ROCPRIM_400000_NS6detail17trampoline_kernelINS0_14default_configENS1_27scan_by_key_config_selectorIidEEZZNS1_16scan_by_key_implILNS1_25lookback_scan_determinismE0ELb0ES3_N6thrust23THRUST_200600_302600_NS6detail15normal_iteratorINS9_10device_ptrIiEEEENSB_INSC_IdEEEESG_dNS9_4plusIvEENS9_8equal_toIvEEdEE10hipError_tPvRmT2_T3_T4_T5_mT6_T7_P12ihipStream_tbENKUlT_T0_E_clISt17integral_constantIbLb1EES10_IbLb0EEEEDaSW_SX_EUlSW_E_NS1_11comp_targetILNS1_3genE2ELNS1_11target_archE906ELNS1_3gpuE6ELNS1_3repE0EEENS1_30default_config_static_selectorELNS0_4arch9wavefront6targetE0EEEvT1_,comdat
	.protected	_ZN7rocprim17ROCPRIM_400000_NS6detail17trampoline_kernelINS0_14default_configENS1_27scan_by_key_config_selectorIidEEZZNS1_16scan_by_key_implILNS1_25lookback_scan_determinismE0ELb0ES3_N6thrust23THRUST_200600_302600_NS6detail15normal_iteratorINS9_10device_ptrIiEEEENSB_INSC_IdEEEESG_dNS9_4plusIvEENS9_8equal_toIvEEdEE10hipError_tPvRmT2_T3_T4_T5_mT6_T7_P12ihipStream_tbENKUlT_T0_E_clISt17integral_constantIbLb1EES10_IbLb0EEEEDaSW_SX_EUlSW_E_NS1_11comp_targetILNS1_3genE2ELNS1_11target_archE906ELNS1_3gpuE6ELNS1_3repE0EEENS1_30default_config_static_selectorELNS0_4arch9wavefront6targetE0EEEvT1_ ; -- Begin function _ZN7rocprim17ROCPRIM_400000_NS6detail17trampoline_kernelINS0_14default_configENS1_27scan_by_key_config_selectorIidEEZZNS1_16scan_by_key_implILNS1_25lookback_scan_determinismE0ELb0ES3_N6thrust23THRUST_200600_302600_NS6detail15normal_iteratorINS9_10device_ptrIiEEEENSB_INSC_IdEEEESG_dNS9_4plusIvEENS9_8equal_toIvEEdEE10hipError_tPvRmT2_T3_T4_T5_mT6_T7_P12ihipStream_tbENKUlT_T0_E_clISt17integral_constantIbLb1EES10_IbLb0EEEEDaSW_SX_EUlSW_E_NS1_11comp_targetILNS1_3genE2ELNS1_11target_archE906ELNS1_3gpuE6ELNS1_3repE0EEENS1_30default_config_static_selectorELNS0_4arch9wavefront6targetE0EEEvT1_
	.globl	_ZN7rocprim17ROCPRIM_400000_NS6detail17trampoline_kernelINS0_14default_configENS1_27scan_by_key_config_selectorIidEEZZNS1_16scan_by_key_implILNS1_25lookback_scan_determinismE0ELb0ES3_N6thrust23THRUST_200600_302600_NS6detail15normal_iteratorINS9_10device_ptrIiEEEENSB_INSC_IdEEEESG_dNS9_4plusIvEENS9_8equal_toIvEEdEE10hipError_tPvRmT2_T3_T4_T5_mT6_T7_P12ihipStream_tbENKUlT_T0_E_clISt17integral_constantIbLb1EES10_IbLb0EEEEDaSW_SX_EUlSW_E_NS1_11comp_targetILNS1_3genE2ELNS1_11target_archE906ELNS1_3gpuE6ELNS1_3repE0EEENS1_30default_config_static_selectorELNS0_4arch9wavefront6targetE0EEEvT1_
	.p2align	8
	.type	_ZN7rocprim17ROCPRIM_400000_NS6detail17trampoline_kernelINS0_14default_configENS1_27scan_by_key_config_selectorIidEEZZNS1_16scan_by_key_implILNS1_25lookback_scan_determinismE0ELb0ES3_N6thrust23THRUST_200600_302600_NS6detail15normal_iteratorINS9_10device_ptrIiEEEENSB_INSC_IdEEEESG_dNS9_4plusIvEENS9_8equal_toIvEEdEE10hipError_tPvRmT2_T3_T4_T5_mT6_T7_P12ihipStream_tbENKUlT_T0_E_clISt17integral_constantIbLb1EES10_IbLb0EEEEDaSW_SX_EUlSW_E_NS1_11comp_targetILNS1_3genE2ELNS1_11target_archE906ELNS1_3gpuE6ELNS1_3repE0EEENS1_30default_config_static_selectorELNS0_4arch9wavefront6targetE0EEEvT1_,@function
_ZN7rocprim17ROCPRIM_400000_NS6detail17trampoline_kernelINS0_14default_configENS1_27scan_by_key_config_selectorIidEEZZNS1_16scan_by_key_implILNS1_25lookback_scan_determinismE0ELb0ES3_N6thrust23THRUST_200600_302600_NS6detail15normal_iteratorINS9_10device_ptrIiEEEENSB_INSC_IdEEEESG_dNS9_4plusIvEENS9_8equal_toIvEEdEE10hipError_tPvRmT2_T3_T4_T5_mT6_T7_P12ihipStream_tbENKUlT_T0_E_clISt17integral_constantIbLb1EES10_IbLb0EEEEDaSW_SX_EUlSW_E_NS1_11comp_targetILNS1_3genE2ELNS1_11target_archE906ELNS1_3gpuE6ELNS1_3repE0EEENS1_30default_config_static_selectorELNS0_4arch9wavefront6targetE0EEEvT1_: ; @_ZN7rocprim17ROCPRIM_400000_NS6detail17trampoline_kernelINS0_14default_configENS1_27scan_by_key_config_selectorIidEEZZNS1_16scan_by_key_implILNS1_25lookback_scan_determinismE0ELb0ES3_N6thrust23THRUST_200600_302600_NS6detail15normal_iteratorINS9_10device_ptrIiEEEENSB_INSC_IdEEEESG_dNS9_4plusIvEENS9_8equal_toIvEEdEE10hipError_tPvRmT2_T3_T4_T5_mT6_T7_P12ihipStream_tbENKUlT_T0_E_clISt17integral_constantIbLb1EES10_IbLb0EEEEDaSW_SX_EUlSW_E_NS1_11comp_targetILNS1_3genE2ELNS1_11target_archE906ELNS1_3gpuE6ELNS1_3repE0EEENS1_30default_config_static_selectorELNS0_4arch9wavefront6targetE0EEEvT1_
; %bb.0:
	.section	.rodata,"a",@progbits
	.p2align	6, 0x0
	.amdhsa_kernel _ZN7rocprim17ROCPRIM_400000_NS6detail17trampoline_kernelINS0_14default_configENS1_27scan_by_key_config_selectorIidEEZZNS1_16scan_by_key_implILNS1_25lookback_scan_determinismE0ELb0ES3_N6thrust23THRUST_200600_302600_NS6detail15normal_iteratorINS9_10device_ptrIiEEEENSB_INSC_IdEEEESG_dNS9_4plusIvEENS9_8equal_toIvEEdEE10hipError_tPvRmT2_T3_T4_T5_mT6_T7_P12ihipStream_tbENKUlT_T0_E_clISt17integral_constantIbLb1EES10_IbLb0EEEEDaSW_SX_EUlSW_E_NS1_11comp_targetILNS1_3genE2ELNS1_11target_archE906ELNS1_3gpuE6ELNS1_3repE0EEENS1_30default_config_static_selectorELNS0_4arch9wavefront6targetE0EEEvT1_
		.amdhsa_group_segment_fixed_size 0
		.amdhsa_private_segment_fixed_size 0
		.amdhsa_kernarg_size 136
		.amdhsa_user_sgpr_count 6
		.amdhsa_user_sgpr_private_segment_buffer 1
		.amdhsa_user_sgpr_dispatch_ptr 0
		.amdhsa_user_sgpr_queue_ptr 0
		.amdhsa_user_sgpr_kernarg_segment_ptr 1
		.amdhsa_user_sgpr_dispatch_id 0
		.amdhsa_user_sgpr_flat_scratch_init 0
		.amdhsa_user_sgpr_private_segment_size 0
		.amdhsa_wavefront_size32 1
		.amdhsa_uses_dynamic_stack 0
		.amdhsa_system_sgpr_private_segment_wavefront_offset 0
		.amdhsa_system_sgpr_workgroup_id_x 1
		.amdhsa_system_sgpr_workgroup_id_y 0
		.amdhsa_system_sgpr_workgroup_id_z 0
		.amdhsa_system_sgpr_workgroup_info 0
		.amdhsa_system_vgpr_workitem_id 0
		.amdhsa_next_free_vgpr 1
		.amdhsa_next_free_sgpr 1
		.amdhsa_reserve_vcc 0
		.amdhsa_reserve_flat_scratch 0
		.amdhsa_float_round_mode_32 0
		.amdhsa_float_round_mode_16_64 0
		.amdhsa_float_denorm_mode_32 3
		.amdhsa_float_denorm_mode_16_64 3
		.amdhsa_dx10_clamp 1
		.amdhsa_ieee_mode 1
		.amdhsa_fp16_overflow 0
		.amdhsa_workgroup_processor_mode 1
		.amdhsa_memory_ordered 1
		.amdhsa_forward_progress 1
		.amdhsa_shared_vgpr_count 0
		.amdhsa_exception_fp_ieee_invalid_op 0
		.amdhsa_exception_fp_denorm_src 0
		.amdhsa_exception_fp_ieee_div_zero 0
		.amdhsa_exception_fp_ieee_overflow 0
		.amdhsa_exception_fp_ieee_underflow 0
		.amdhsa_exception_fp_ieee_inexact 0
		.amdhsa_exception_int_div_zero 0
	.end_amdhsa_kernel
	.section	.text._ZN7rocprim17ROCPRIM_400000_NS6detail17trampoline_kernelINS0_14default_configENS1_27scan_by_key_config_selectorIidEEZZNS1_16scan_by_key_implILNS1_25lookback_scan_determinismE0ELb0ES3_N6thrust23THRUST_200600_302600_NS6detail15normal_iteratorINS9_10device_ptrIiEEEENSB_INSC_IdEEEESG_dNS9_4plusIvEENS9_8equal_toIvEEdEE10hipError_tPvRmT2_T3_T4_T5_mT6_T7_P12ihipStream_tbENKUlT_T0_E_clISt17integral_constantIbLb1EES10_IbLb0EEEEDaSW_SX_EUlSW_E_NS1_11comp_targetILNS1_3genE2ELNS1_11target_archE906ELNS1_3gpuE6ELNS1_3repE0EEENS1_30default_config_static_selectorELNS0_4arch9wavefront6targetE0EEEvT1_,"axG",@progbits,_ZN7rocprim17ROCPRIM_400000_NS6detail17trampoline_kernelINS0_14default_configENS1_27scan_by_key_config_selectorIidEEZZNS1_16scan_by_key_implILNS1_25lookback_scan_determinismE0ELb0ES3_N6thrust23THRUST_200600_302600_NS6detail15normal_iteratorINS9_10device_ptrIiEEEENSB_INSC_IdEEEESG_dNS9_4plusIvEENS9_8equal_toIvEEdEE10hipError_tPvRmT2_T3_T4_T5_mT6_T7_P12ihipStream_tbENKUlT_T0_E_clISt17integral_constantIbLb1EES10_IbLb0EEEEDaSW_SX_EUlSW_E_NS1_11comp_targetILNS1_3genE2ELNS1_11target_archE906ELNS1_3gpuE6ELNS1_3repE0EEENS1_30default_config_static_selectorELNS0_4arch9wavefront6targetE0EEEvT1_,comdat
.Lfunc_end1112:
	.size	_ZN7rocprim17ROCPRIM_400000_NS6detail17trampoline_kernelINS0_14default_configENS1_27scan_by_key_config_selectorIidEEZZNS1_16scan_by_key_implILNS1_25lookback_scan_determinismE0ELb0ES3_N6thrust23THRUST_200600_302600_NS6detail15normal_iteratorINS9_10device_ptrIiEEEENSB_INSC_IdEEEESG_dNS9_4plusIvEENS9_8equal_toIvEEdEE10hipError_tPvRmT2_T3_T4_T5_mT6_T7_P12ihipStream_tbENKUlT_T0_E_clISt17integral_constantIbLb1EES10_IbLb0EEEEDaSW_SX_EUlSW_E_NS1_11comp_targetILNS1_3genE2ELNS1_11target_archE906ELNS1_3gpuE6ELNS1_3repE0EEENS1_30default_config_static_selectorELNS0_4arch9wavefront6targetE0EEEvT1_, .Lfunc_end1112-_ZN7rocprim17ROCPRIM_400000_NS6detail17trampoline_kernelINS0_14default_configENS1_27scan_by_key_config_selectorIidEEZZNS1_16scan_by_key_implILNS1_25lookback_scan_determinismE0ELb0ES3_N6thrust23THRUST_200600_302600_NS6detail15normal_iteratorINS9_10device_ptrIiEEEENSB_INSC_IdEEEESG_dNS9_4plusIvEENS9_8equal_toIvEEdEE10hipError_tPvRmT2_T3_T4_T5_mT6_T7_P12ihipStream_tbENKUlT_T0_E_clISt17integral_constantIbLb1EES10_IbLb0EEEEDaSW_SX_EUlSW_E_NS1_11comp_targetILNS1_3genE2ELNS1_11target_archE906ELNS1_3gpuE6ELNS1_3repE0EEENS1_30default_config_static_selectorELNS0_4arch9wavefront6targetE0EEEvT1_
                                        ; -- End function
	.set _ZN7rocprim17ROCPRIM_400000_NS6detail17trampoline_kernelINS0_14default_configENS1_27scan_by_key_config_selectorIidEEZZNS1_16scan_by_key_implILNS1_25lookback_scan_determinismE0ELb0ES3_N6thrust23THRUST_200600_302600_NS6detail15normal_iteratorINS9_10device_ptrIiEEEENSB_INSC_IdEEEESG_dNS9_4plusIvEENS9_8equal_toIvEEdEE10hipError_tPvRmT2_T3_T4_T5_mT6_T7_P12ihipStream_tbENKUlT_T0_E_clISt17integral_constantIbLb1EES10_IbLb0EEEEDaSW_SX_EUlSW_E_NS1_11comp_targetILNS1_3genE2ELNS1_11target_archE906ELNS1_3gpuE6ELNS1_3repE0EEENS1_30default_config_static_selectorELNS0_4arch9wavefront6targetE0EEEvT1_.num_vgpr, 0
	.set _ZN7rocprim17ROCPRIM_400000_NS6detail17trampoline_kernelINS0_14default_configENS1_27scan_by_key_config_selectorIidEEZZNS1_16scan_by_key_implILNS1_25lookback_scan_determinismE0ELb0ES3_N6thrust23THRUST_200600_302600_NS6detail15normal_iteratorINS9_10device_ptrIiEEEENSB_INSC_IdEEEESG_dNS9_4plusIvEENS9_8equal_toIvEEdEE10hipError_tPvRmT2_T3_T4_T5_mT6_T7_P12ihipStream_tbENKUlT_T0_E_clISt17integral_constantIbLb1EES10_IbLb0EEEEDaSW_SX_EUlSW_E_NS1_11comp_targetILNS1_3genE2ELNS1_11target_archE906ELNS1_3gpuE6ELNS1_3repE0EEENS1_30default_config_static_selectorELNS0_4arch9wavefront6targetE0EEEvT1_.num_agpr, 0
	.set _ZN7rocprim17ROCPRIM_400000_NS6detail17trampoline_kernelINS0_14default_configENS1_27scan_by_key_config_selectorIidEEZZNS1_16scan_by_key_implILNS1_25lookback_scan_determinismE0ELb0ES3_N6thrust23THRUST_200600_302600_NS6detail15normal_iteratorINS9_10device_ptrIiEEEENSB_INSC_IdEEEESG_dNS9_4plusIvEENS9_8equal_toIvEEdEE10hipError_tPvRmT2_T3_T4_T5_mT6_T7_P12ihipStream_tbENKUlT_T0_E_clISt17integral_constantIbLb1EES10_IbLb0EEEEDaSW_SX_EUlSW_E_NS1_11comp_targetILNS1_3genE2ELNS1_11target_archE906ELNS1_3gpuE6ELNS1_3repE0EEENS1_30default_config_static_selectorELNS0_4arch9wavefront6targetE0EEEvT1_.numbered_sgpr, 0
	.set _ZN7rocprim17ROCPRIM_400000_NS6detail17trampoline_kernelINS0_14default_configENS1_27scan_by_key_config_selectorIidEEZZNS1_16scan_by_key_implILNS1_25lookback_scan_determinismE0ELb0ES3_N6thrust23THRUST_200600_302600_NS6detail15normal_iteratorINS9_10device_ptrIiEEEENSB_INSC_IdEEEESG_dNS9_4plusIvEENS9_8equal_toIvEEdEE10hipError_tPvRmT2_T3_T4_T5_mT6_T7_P12ihipStream_tbENKUlT_T0_E_clISt17integral_constantIbLb1EES10_IbLb0EEEEDaSW_SX_EUlSW_E_NS1_11comp_targetILNS1_3genE2ELNS1_11target_archE906ELNS1_3gpuE6ELNS1_3repE0EEENS1_30default_config_static_selectorELNS0_4arch9wavefront6targetE0EEEvT1_.num_named_barrier, 0
	.set _ZN7rocprim17ROCPRIM_400000_NS6detail17trampoline_kernelINS0_14default_configENS1_27scan_by_key_config_selectorIidEEZZNS1_16scan_by_key_implILNS1_25lookback_scan_determinismE0ELb0ES3_N6thrust23THRUST_200600_302600_NS6detail15normal_iteratorINS9_10device_ptrIiEEEENSB_INSC_IdEEEESG_dNS9_4plusIvEENS9_8equal_toIvEEdEE10hipError_tPvRmT2_T3_T4_T5_mT6_T7_P12ihipStream_tbENKUlT_T0_E_clISt17integral_constantIbLb1EES10_IbLb0EEEEDaSW_SX_EUlSW_E_NS1_11comp_targetILNS1_3genE2ELNS1_11target_archE906ELNS1_3gpuE6ELNS1_3repE0EEENS1_30default_config_static_selectorELNS0_4arch9wavefront6targetE0EEEvT1_.private_seg_size, 0
	.set _ZN7rocprim17ROCPRIM_400000_NS6detail17trampoline_kernelINS0_14default_configENS1_27scan_by_key_config_selectorIidEEZZNS1_16scan_by_key_implILNS1_25lookback_scan_determinismE0ELb0ES3_N6thrust23THRUST_200600_302600_NS6detail15normal_iteratorINS9_10device_ptrIiEEEENSB_INSC_IdEEEESG_dNS9_4plusIvEENS9_8equal_toIvEEdEE10hipError_tPvRmT2_T3_T4_T5_mT6_T7_P12ihipStream_tbENKUlT_T0_E_clISt17integral_constantIbLb1EES10_IbLb0EEEEDaSW_SX_EUlSW_E_NS1_11comp_targetILNS1_3genE2ELNS1_11target_archE906ELNS1_3gpuE6ELNS1_3repE0EEENS1_30default_config_static_selectorELNS0_4arch9wavefront6targetE0EEEvT1_.uses_vcc, 0
	.set _ZN7rocprim17ROCPRIM_400000_NS6detail17trampoline_kernelINS0_14default_configENS1_27scan_by_key_config_selectorIidEEZZNS1_16scan_by_key_implILNS1_25lookback_scan_determinismE0ELb0ES3_N6thrust23THRUST_200600_302600_NS6detail15normal_iteratorINS9_10device_ptrIiEEEENSB_INSC_IdEEEESG_dNS9_4plusIvEENS9_8equal_toIvEEdEE10hipError_tPvRmT2_T3_T4_T5_mT6_T7_P12ihipStream_tbENKUlT_T0_E_clISt17integral_constantIbLb1EES10_IbLb0EEEEDaSW_SX_EUlSW_E_NS1_11comp_targetILNS1_3genE2ELNS1_11target_archE906ELNS1_3gpuE6ELNS1_3repE0EEENS1_30default_config_static_selectorELNS0_4arch9wavefront6targetE0EEEvT1_.uses_flat_scratch, 0
	.set _ZN7rocprim17ROCPRIM_400000_NS6detail17trampoline_kernelINS0_14default_configENS1_27scan_by_key_config_selectorIidEEZZNS1_16scan_by_key_implILNS1_25lookback_scan_determinismE0ELb0ES3_N6thrust23THRUST_200600_302600_NS6detail15normal_iteratorINS9_10device_ptrIiEEEENSB_INSC_IdEEEESG_dNS9_4plusIvEENS9_8equal_toIvEEdEE10hipError_tPvRmT2_T3_T4_T5_mT6_T7_P12ihipStream_tbENKUlT_T0_E_clISt17integral_constantIbLb1EES10_IbLb0EEEEDaSW_SX_EUlSW_E_NS1_11comp_targetILNS1_3genE2ELNS1_11target_archE906ELNS1_3gpuE6ELNS1_3repE0EEENS1_30default_config_static_selectorELNS0_4arch9wavefront6targetE0EEEvT1_.has_dyn_sized_stack, 0
	.set _ZN7rocprim17ROCPRIM_400000_NS6detail17trampoline_kernelINS0_14default_configENS1_27scan_by_key_config_selectorIidEEZZNS1_16scan_by_key_implILNS1_25lookback_scan_determinismE0ELb0ES3_N6thrust23THRUST_200600_302600_NS6detail15normal_iteratorINS9_10device_ptrIiEEEENSB_INSC_IdEEEESG_dNS9_4plusIvEENS9_8equal_toIvEEdEE10hipError_tPvRmT2_T3_T4_T5_mT6_T7_P12ihipStream_tbENKUlT_T0_E_clISt17integral_constantIbLb1EES10_IbLb0EEEEDaSW_SX_EUlSW_E_NS1_11comp_targetILNS1_3genE2ELNS1_11target_archE906ELNS1_3gpuE6ELNS1_3repE0EEENS1_30default_config_static_selectorELNS0_4arch9wavefront6targetE0EEEvT1_.has_recursion, 0
	.set _ZN7rocprim17ROCPRIM_400000_NS6detail17trampoline_kernelINS0_14default_configENS1_27scan_by_key_config_selectorIidEEZZNS1_16scan_by_key_implILNS1_25lookback_scan_determinismE0ELb0ES3_N6thrust23THRUST_200600_302600_NS6detail15normal_iteratorINS9_10device_ptrIiEEEENSB_INSC_IdEEEESG_dNS9_4plusIvEENS9_8equal_toIvEEdEE10hipError_tPvRmT2_T3_T4_T5_mT6_T7_P12ihipStream_tbENKUlT_T0_E_clISt17integral_constantIbLb1EES10_IbLb0EEEEDaSW_SX_EUlSW_E_NS1_11comp_targetILNS1_3genE2ELNS1_11target_archE906ELNS1_3gpuE6ELNS1_3repE0EEENS1_30default_config_static_selectorELNS0_4arch9wavefront6targetE0EEEvT1_.has_indirect_call, 0
	.section	.AMDGPU.csdata,"",@progbits
; Kernel info:
; codeLenInByte = 0
; TotalNumSgprs: 0
; NumVgprs: 0
; ScratchSize: 0
; MemoryBound: 0
; FloatMode: 240
; IeeeMode: 1
; LDSByteSize: 0 bytes/workgroup (compile time only)
; SGPRBlocks: 0
; VGPRBlocks: 0
; NumSGPRsForWavesPerEU: 1
; NumVGPRsForWavesPerEU: 1
; Occupancy: 16
; WaveLimiterHint : 0
; COMPUTE_PGM_RSRC2:SCRATCH_EN: 0
; COMPUTE_PGM_RSRC2:USER_SGPR: 6
; COMPUTE_PGM_RSRC2:TRAP_HANDLER: 0
; COMPUTE_PGM_RSRC2:TGID_X_EN: 1
; COMPUTE_PGM_RSRC2:TGID_Y_EN: 0
; COMPUTE_PGM_RSRC2:TGID_Z_EN: 0
; COMPUTE_PGM_RSRC2:TIDIG_COMP_CNT: 0
	.section	.text._ZN7rocprim17ROCPRIM_400000_NS6detail17trampoline_kernelINS0_14default_configENS1_27scan_by_key_config_selectorIidEEZZNS1_16scan_by_key_implILNS1_25lookback_scan_determinismE0ELb0ES3_N6thrust23THRUST_200600_302600_NS6detail15normal_iteratorINS9_10device_ptrIiEEEENSB_INSC_IdEEEESG_dNS9_4plusIvEENS9_8equal_toIvEEdEE10hipError_tPvRmT2_T3_T4_T5_mT6_T7_P12ihipStream_tbENKUlT_T0_E_clISt17integral_constantIbLb1EES10_IbLb0EEEEDaSW_SX_EUlSW_E_NS1_11comp_targetILNS1_3genE10ELNS1_11target_archE1200ELNS1_3gpuE4ELNS1_3repE0EEENS1_30default_config_static_selectorELNS0_4arch9wavefront6targetE0EEEvT1_,"axG",@progbits,_ZN7rocprim17ROCPRIM_400000_NS6detail17trampoline_kernelINS0_14default_configENS1_27scan_by_key_config_selectorIidEEZZNS1_16scan_by_key_implILNS1_25lookback_scan_determinismE0ELb0ES3_N6thrust23THRUST_200600_302600_NS6detail15normal_iteratorINS9_10device_ptrIiEEEENSB_INSC_IdEEEESG_dNS9_4plusIvEENS9_8equal_toIvEEdEE10hipError_tPvRmT2_T3_T4_T5_mT6_T7_P12ihipStream_tbENKUlT_T0_E_clISt17integral_constantIbLb1EES10_IbLb0EEEEDaSW_SX_EUlSW_E_NS1_11comp_targetILNS1_3genE10ELNS1_11target_archE1200ELNS1_3gpuE4ELNS1_3repE0EEENS1_30default_config_static_selectorELNS0_4arch9wavefront6targetE0EEEvT1_,comdat
	.protected	_ZN7rocprim17ROCPRIM_400000_NS6detail17trampoline_kernelINS0_14default_configENS1_27scan_by_key_config_selectorIidEEZZNS1_16scan_by_key_implILNS1_25lookback_scan_determinismE0ELb0ES3_N6thrust23THRUST_200600_302600_NS6detail15normal_iteratorINS9_10device_ptrIiEEEENSB_INSC_IdEEEESG_dNS9_4plusIvEENS9_8equal_toIvEEdEE10hipError_tPvRmT2_T3_T4_T5_mT6_T7_P12ihipStream_tbENKUlT_T0_E_clISt17integral_constantIbLb1EES10_IbLb0EEEEDaSW_SX_EUlSW_E_NS1_11comp_targetILNS1_3genE10ELNS1_11target_archE1200ELNS1_3gpuE4ELNS1_3repE0EEENS1_30default_config_static_selectorELNS0_4arch9wavefront6targetE0EEEvT1_ ; -- Begin function _ZN7rocprim17ROCPRIM_400000_NS6detail17trampoline_kernelINS0_14default_configENS1_27scan_by_key_config_selectorIidEEZZNS1_16scan_by_key_implILNS1_25lookback_scan_determinismE0ELb0ES3_N6thrust23THRUST_200600_302600_NS6detail15normal_iteratorINS9_10device_ptrIiEEEENSB_INSC_IdEEEESG_dNS9_4plusIvEENS9_8equal_toIvEEdEE10hipError_tPvRmT2_T3_T4_T5_mT6_T7_P12ihipStream_tbENKUlT_T0_E_clISt17integral_constantIbLb1EES10_IbLb0EEEEDaSW_SX_EUlSW_E_NS1_11comp_targetILNS1_3genE10ELNS1_11target_archE1200ELNS1_3gpuE4ELNS1_3repE0EEENS1_30default_config_static_selectorELNS0_4arch9wavefront6targetE0EEEvT1_
	.globl	_ZN7rocprim17ROCPRIM_400000_NS6detail17trampoline_kernelINS0_14default_configENS1_27scan_by_key_config_selectorIidEEZZNS1_16scan_by_key_implILNS1_25lookback_scan_determinismE0ELb0ES3_N6thrust23THRUST_200600_302600_NS6detail15normal_iteratorINS9_10device_ptrIiEEEENSB_INSC_IdEEEESG_dNS9_4plusIvEENS9_8equal_toIvEEdEE10hipError_tPvRmT2_T3_T4_T5_mT6_T7_P12ihipStream_tbENKUlT_T0_E_clISt17integral_constantIbLb1EES10_IbLb0EEEEDaSW_SX_EUlSW_E_NS1_11comp_targetILNS1_3genE10ELNS1_11target_archE1200ELNS1_3gpuE4ELNS1_3repE0EEENS1_30default_config_static_selectorELNS0_4arch9wavefront6targetE0EEEvT1_
	.p2align	8
	.type	_ZN7rocprim17ROCPRIM_400000_NS6detail17trampoline_kernelINS0_14default_configENS1_27scan_by_key_config_selectorIidEEZZNS1_16scan_by_key_implILNS1_25lookback_scan_determinismE0ELb0ES3_N6thrust23THRUST_200600_302600_NS6detail15normal_iteratorINS9_10device_ptrIiEEEENSB_INSC_IdEEEESG_dNS9_4plusIvEENS9_8equal_toIvEEdEE10hipError_tPvRmT2_T3_T4_T5_mT6_T7_P12ihipStream_tbENKUlT_T0_E_clISt17integral_constantIbLb1EES10_IbLb0EEEEDaSW_SX_EUlSW_E_NS1_11comp_targetILNS1_3genE10ELNS1_11target_archE1200ELNS1_3gpuE4ELNS1_3repE0EEENS1_30default_config_static_selectorELNS0_4arch9wavefront6targetE0EEEvT1_,@function
_ZN7rocprim17ROCPRIM_400000_NS6detail17trampoline_kernelINS0_14default_configENS1_27scan_by_key_config_selectorIidEEZZNS1_16scan_by_key_implILNS1_25lookback_scan_determinismE0ELb0ES3_N6thrust23THRUST_200600_302600_NS6detail15normal_iteratorINS9_10device_ptrIiEEEENSB_INSC_IdEEEESG_dNS9_4plusIvEENS9_8equal_toIvEEdEE10hipError_tPvRmT2_T3_T4_T5_mT6_T7_P12ihipStream_tbENKUlT_T0_E_clISt17integral_constantIbLb1EES10_IbLb0EEEEDaSW_SX_EUlSW_E_NS1_11comp_targetILNS1_3genE10ELNS1_11target_archE1200ELNS1_3gpuE4ELNS1_3repE0EEENS1_30default_config_static_selectorELNS0_4arch9wavefront6targetE0EEEvT1_: ; @_ZN7rocprim17ROCPRIM_400000_NS6detail17trampoline_kernelINS0_14default_configENS1_27scan_by_key_config_selectorIidEEZZNS1_16scan_by_key_implILNS1_25lookback_scan_determinismE0ELb0ES3_N6thrust23THRUST_200600_302600_NS6detail15normal_iteratorINS9_10device_ptrIiEEEENSB_INSC_IdEEEESG_dNS9_4plusIvEENS9_8equal_toIvEEdEE10hipError_tPvRmT2_T3_T4_T5_mT6_T7_P12ihipStream_tbENKUlT_T0_E_clISt17integral_constantIbLb1EES10_IbLb0EEEEDaSW_SX_EUlSW_E_NS1_11comp_targetILNS1_3genE10ELNS1_11target_archE1200ELNS1_3gpuE4ELNS1_3repE0EEENS1_30default_config_static_selectorELNS0_4arch9wavefront6targetE0EEEvT1_
; %bb.0:
	.section	.rodata,"a",@progbits
	.p2align	6, 0x0
	.amdhsa_kernel _ZN7rocprim17ROCPRIM_400000_NS6detail17trampoline_kernelINS0_14default_configENS1_27scan_by_key_config_selectorIidEEZZNS1_16scan_by_key_implILNS1_25lookback_scan_determinismE0ELb0ES3_N6thrust23THRUST_200600_302600_NS6detail15normal_iteratorINS9_10device_ptrIiEEEENSB_INSC_IdEEEESG_dNS9_4plusIvEENS9_8equal_toIvEEdEE10hipError_tPvRmT2_T3_T4_T5_mT6_T7_P12ihipStream_tbENKUlT_T0_E_clISt17integral_constantIbLb1EES10_IbLb0EEEEDaSW_SX_EUlSW_E_NS1_11comp_targetILNS1_3genE10ELNS1_11target_archE1200ELNS1_3gpuE4ELNS1_3repE0EEENS1_30default_config_static_selectorELNS0_4arch9wavefront6targetE0EEEvT1_
		.amdhsa_group_segment_fixed_size 0
		.amdhsa_private_segment_fixed_size 0
		.amdhsa_kernarg_size 136
		.amdhsa_user_sgpr_count 6
		.amdhsa_user_sgpr_private_segment_buffer 1
		.amdhsa_user_sgpr_dispatch_ptr 0
		.amdhsa_user_sgpr_queue_ptr 0
		.amdhsa_user_sgpr_kernarg_segment_ptr 1
		.amdhsa_user_sgpr_dispatch_id 0
		.amdhsa_user_sgpr_flat_scratch_init 0
		.amdhsa_user_sgpr_private_segment_size 0
		.amdhsa_wavefront_size32 1
		.amdhsa_uses_dynamic_stack 0
		.amdhsa_system_sgpr_private_segment_wavefront_offset 0
		.amdhsa_system_sgpr_workgroup_id_x 1
		.amdhsa_system_sgpr_workgroup_id_y 0
		.amdhsa_system_sgpr_workgroup_id_z 0
		.amdhsa_system_sgpr_workgroup_info 0
		.amdhsa_system_vgpr_workitem_id 0
		.amdhsa_next_free_vgpr 1
		.amdhsa_next_free_sgpr 1
		.amdhsa_reserve_vcc 0
		.amdhsa_reserve_flat_scratch 0
		.amdhsa_float_round_mode_32 0
		.amdhsa_float_round_mode_16_64 0
		.amdhsa_float_denorm_mode_32 3
		.amdhsa_float_denorm_mode_16_64 3
		.amdhsa_dx10_clamp 1
		.amdhsa_ieee_mode 1
		.amdhsa_fp16_overflow 0
		.amdhsa_workgroup_processor_mode 1
		.amdhsa_memory_ordered 1
		.amdhsa_forward_progress 1
		.amdhsa_shared_vgpr_count 0
		.amdhsa_exception_fp_ieee_invalid_op 0
		.amdhsa_exception_fp_denorm_src 0
		.amdhsa_exception_fp_ieee_div_zero 0
		.amdhsa_exception_fp_ieee_overflow 0
		.amdhsa_exception_fp_ieee_underflow 0
		.amdhsa_exception_fp_ieee_inexact 0
		.amdhsa_exception_int_div_zero 0
	.end_amdhsa_kernel
	.section	.text._ZN7rocprim17ROCPRIM_400000_NS6detail17trampoline_kernelINS0_14default_configENS1_27scan_by_key_config_selectorIidEEZZNS1_16scan_by_key_implILNS1_25lookback_scan_determinismE0ELb0ES3_N6thrust23THRUST_200600_302600_NS6detail15normal_iteratorINS9_10device_ptrIiEEEENSB_INSC_IdEEEESG_dNS9_4plusIvEENS9_8equal_toIvEEdEE10hipError_tPvRmT2_T3_T4_T5_mT6_T7_P12ihipStream_tbENKUlT_T0_E_clISt17integral_constantIbLb1EES10_IbLb0EEEEDaSW_SX_EUlSW_E_NS1_11comp_targetILNS1_3genE10ELNS1_11target_archE1200ELNS1_3gpuE4ELNS1_3repE0EEENS1_30default_config_static_selectorELNS0_4arch9wavefront6targetE0EEEvT1_,"axG",@progbits,_ZN7rocprim17ROCPRIM_400000_NS6detail17trampoline_kernelINS0_14default_configENS1_27scan_by_key_config_selectorIidEEZZNS1_16scan_by_key_implILNS1_25lookback_scan_determinismE0ELb0ES3_N6thrust23THRUST_200600_302600_NS6detail15normal_iteratorINS9_10device_ptrIiEEEENSB_INSC_IdEEEESG_dNS9_4plusIvEENS9_8equal_toIvEEdEE10hipError_tPvRmT2_T3_T4_T5_mT6_T7_P12ihipStream_tbENKUlT_T0_E_clISt17integral_constantIbLb1EES10_IbLb0EEEEDaSW_SX_EUlSW_E_NS1_11comp_targetILNS1_3genE10ELNS1_11target_archE1200ELNS1_3gpuE4ELNS1_3repE0EEENS1_30default_config_static_selectorELNS0_4arch9wavefront6targetE0EEEvT1_,comdat
.Lfunc_end1113:
	.size	_ZN7rocprim17ROCPRIM_400000_NS6detail17trampoline_kernelINS0_14default_configENS1_27scan_by_key_config_selectorIidEEZZNS1_16scan_by_key_implILNS1_25lookback_scan_determinismE0ELb0ES3_N6thrust23THRUST_200600_302600_NS6detail15normal_iteratorINS9_10device_ptrIiEEEENSB_INSC_IdEEEESG_dNS9_4plusIvEENS9_8equal_toIvEEdEE10hipError_tPvRmT2_T3_T4_T5_mT6_T7_P12ihipStream_tbENKUlT_T0_E_clISt17integral_constantIbLb1EES10_IbLb0EEEEDaSW_SX_EUlSW_E_NS1_11comp_targetILNS1_3genE10ELNS1_11target_archE1200ELNS1_3gpuE4ELNS1_3repE0EEENS1_30default_config_static_selectorELNS0_4arch9wavefront6targetE0EEEvT1_, .Lfunc_end1113-_ZN7rocprim17ROCPRIM_400000_NS6detail17trampoline_kernelINS0_14default_configENS1_27scan_by_key_config_selectorIidEEZZNS1_16scan_by_key_implILNS1_25lookback_scan_determinismE0ELb0ES3_N6thrust23THRUST_200600_302600_NS6detail15normal_iteratorINS9_10device_ptrIiEEEENSB_INSC_IdEEEESG_dNS9_4plusIvEENS9_8equal_toIvEEdEE10hipError_tPvRmT2_T3_T4_T5_mT6_T7_P12ihipStream_tbENKUlT_T0_E_clISt17integral_constantIbLb1EES10_IbLb0EEEEDaSW_SX_EUlSW_E_NS1_11comp_targetILNS1_3genE10ELNS1_11target_archE1200ELNS1_3gpuE4ELNS1_3repE0EEENS1_30default_config_static_selectorELNS0_4arch9wavefront6targetE0EEEvT1_
                                        ; -- End function
	.set _ZN7rocprim17ROCPRIM_400000_NS6detail17trampoline_kernelINS0_14default_configENS1_27scan_by_key_config_selectorIidEEZZNS1_16scan_by_key_implILNS1_25lookback_scan_determinismE0ELb0ES3_N6thrust23THRUST_200600_302600_NS6detail15normal_iteratorINS9_10device_ptrIiEEEENSB_INSC_IdEEEESG_dNS9_4plusIvEENS9_8equal_toIvEEdEE10hipError_tPvRmT2_T3_T4_T5_mT6_T7_P12ihipStream_tbENKUlT_T0_E_clISt17integral_constantIbLb1EES10_IbLb0EEEEDaSW_SX_EUlSW_E_NS1_11comp_targetILNS1_3genE10ELNS1_11target_archE1200ELNS1_3gpuE4ELNS1_3repE0EEENS1_30default_config_static_selectorELNS0_4arch9wavefront6targetE0EEEvT1_.num_vgpr, 0
	.set _ZN7rocprim17ROCPRIM_400000_NS6detail17trampoline_kernelINS0_14default_configENS1_27scan_by_key_config_selectorIidEEZZNS1_16scan_by_key_implILNS1_25lookback_scan_determinismE0ELb0ES3_N6thrust23THRUST_200600_302600_NS6detail15normal_iteratorINS9_10device_ptrIiEEEENSB_INSC_IdEEEESG_dNS9_4plusIvEENS9_8equal_toIvEEdEE10hipError_tPvRmT2_T3_T4_T5_mT6_T7_P12ihipStream_tbENKUlT_T0_E_clISt17integral_constantIbLb1EES10_IbLb0EEEEDaSW_SX_EUlSW_E_NS1_11comp_targetILNS1_3genE10ELNS1_11target_archE1200ELNS1_3gpuE4ELNS1_3repE0EEENS1_30default_config_static_selectorELNS0_4arch9wavefront6targetE0EEEvT1_.num_agpr, 0
	.set _ZN7rocprim17ROCPRIM_400000_NS6detail17trampoline_kernelINS0_14default_configENS1_27scan_by_key_config_selectorIidEEZZNS1_16scan_by_key_implILNS1_25lookback_scan_determinismE0ELb0ES3_N6thrust23THRUST_200600_302600_NS6detail15normal_iteratorINS9_10device_ptrIiEEEENSB_INSC_IdEEEESG_dNS9_4plusIvEENS9_8equal_toIvEEdEE10hipError_tPvRmT2_T3_T4_T5_mT6_T7_P12ihipStream_tbENKUlT_T0_E_clISt17integral_constantIbLb1EES10_IbLb0EEEEDaSW_SX_EUlSW_E_NS1_11comp_targetILNS1_3genE10ELNS1_11target_archE1200ELNS1_3gpuE4ELNS1_3repE0EEENS1_30default_config_static_selectorELNS0_4arch9wavefront6targetE0EEEvT1_.numbered_sgpr, 0
	.set _ZN7rocprim17ROCPRIM_400000_NS6detail17trampoline_kernelINS0_14default_configENS1_27scan_by_key_config_selectorIidEEZZNS1_16scan_by_key_implILNS1_25lookback_scan_determinismE0ELb0ES3_N6thrust23THRUST_200600_302600_NS6detail15normal_iteratorINS9_10device_ptrIiEEEENSB_INSC_IdEEEESG_dNS9_4plusIvEENS9_8equal_toIvEEdEE10hipError_tPvRmT2_T3_T4_T5_mT6_T7_P12ihipStream_tbENKUlT_T0_E_clISt17integral_constantIbLb1EES10_IbLb0EEEEDaSW_SX_EUlSW_E_NS1_11comp_targetILNS1_3genE10ELNS1_11target_archE1200ELNS1_3gpuE4ELNS1_3repE0EEENS1_30default_config_static_selectorELNS0_4arch9wavefront6targetE0EEEvT1_.num_named_barrier, 0
	.set _ZN7rocprim17ROCPRIM_400000_NS6detail17trampoline_kernelINS0_14default_configENS1_27scan_by_key_config_selectorIidEEZZNS1_16scan_by_key_implILNS1_25lookback_scan_determinismE0ELb0ES3_N6thrust23THRUST_200600_302600_NS6detail15normal_iteratorINS9_10device_ptrIiEEEENSB_INSC_IdEEEESG_dNS9_4plusIvEENS9_8equal_toIvEEdEE10hipError_tPvRmT2_T3_T4_T5_mT6_T7_P12ihipStream_tbENKUlT_T0_E_clISt17integral_constantIbLb1EES10_IbLb0EEEEDaSW_SX_EUlSW_E_NS1_11comp_targetILNS1_3genE10ELNS1_11target_archE1200ELNS1_3gpuE4ELNS1_3repE0EEENS1_30default_config_static_selectorELNS0_4arch9wavefront6targetE0EEEvT1_.private_seg_size, 0
	.set _ZN7rocprim17ROCPRIM_400000_NS6detail17trampoline_kernelINS0_14default_configENS1_27scan_by_key_config_selectorIidEEZZNS1_16scan_by_key_implILNS1_25lookback_scan_determinismE0ELb0ES3_N6thrust23THRUST_200600_302600_NS6detail15normal_iteratorINS9_10device_ptrIiEEEENSB_INSC_IdEEEESG_dNS9_4plusIvEENS9_8equal_toIvEEdEE10hipError_tPvRmT2_T3_T4_T5_mT6_T7_P12ihipStream_tbENKUlT_T0_E_clISt17integral_constantIbLb1EES10_IbLb0EEEEDaSW_SX_EUlSW_E_NS1_11comp_targetILNS1_3genE10ELNS1_11target_archE1200ELNS1_3gpuE4ELNS1_3repE0EEENS1_30default_config_static_selectorELNS0_4arch9wavefront6targetE0EEEvT1_.uses_vcc, 0
	.set _ZN7rocprim17ROCPRIM_400000_NS6detail17trampoline_kernelINS0_14default_configENS1_27scan_by_key_config_selectorIidEEZZNS1_16scan_by_key_implILNS1_25lookback_scan_determinismE0ELb0ES3_N6thrust23THRUST_200600_302600_NS6detail15normal_iteratorINS9_10device_ptrIiEEEENSB_INSC_IdEEEESG_dNS9_4plusIvEENS9_8equal_toIvEEdEE10hipError_tPvRmT2_T3_T4_T5_mT6_T7_P12ihipStream_tbENKUlT_T0_E_clISt17integral_constantIbLb1EES10_IbLb0EEEEDaSW_SX_EUlSW_E_NS1_11comp_targetILNS1_3genE10ELNS1_11target_archE1200ELNS1_3gpuE4ELNS1_3repE0EEENS1_30default_config_static_selectorELNS0_4arch9wavefront6targetE0EEEvT1_.uses_flat_scratch, 0
	.set _ZN7rocprim17ROCPRIM_400000_NS6detail17trampoline_kernelINS0_14default_configENS1_27scan_by_key_config_selectorIidEEZZNS1_16scan_by_key_implILNS1_25lookback_scan_determinismE0ELb0ES3_N6thrust23THRUST_200600_302600_NS6detail15normal_iteratorINS9_10device_ptrIiEEEENSB_INSC_IdEEEESG_dNS9_4plusIvEENS9_8equal_toIvEEdEE10hipError_tPvRmT2_T3_T4_T5_mT6_T7_P12ihipStream_tbENKUlT_T0_E_clISt17integral_constantIbLb1EES10_IbLb0EEEEDaSW_SX_EUlSW_E_NS1_11comp_targetILNS1_3genE10ELNS1_11target_archE1200ELNS1_3gpuE4ELNS1_3repE0EEENS1_30default_config_static_selectorELNS0_4arch9wavefront6targetE0EEEvT1_.has_dyn_sized_stack, 0
	.set _ZN7rocprim17ROCPRIM_400000_NS6detail17trampoline_kernelINS0_14default_configENS1_27scan_by_key_config_selectorIidEEZZNS1_16scan_by_key_implILNS1_25lookback_scan_determinismE0ELb0ES3_N6thrust23THRUST_200600_302600_NS6detail15normal_iteratorINS9_10device_ptrIiEEEENSB_INSC_IdEEEESG_dNS9_4plusIvEENS9_8equal_toIvEEdEE10hipError_tPvRmT2_T3_T4_T5_mT6_T7_P12ihipStream_tbENKUlT_T0_E_clISt17integral_constantIbLb1EES10_IbLb0EEEEDaSW_SX_EUlSW_E_NS1_11comp_targetILNS1_3genE10ELNS1_11target_archE1200ELNS1_3gpuE4ELNS1_3repE0EEENS1_30default_config_static_selectorELNS0_4arch9wavefront6targetE0EEEvT1_.has_recursion, 0
	.set _ZN7rocprim17ROCPRIM_400000_NS6detail17trampoline_kernelINS0_14default_configENS1_27scan_by_key_config_selectorIidEEZZNS1_16scan_by_key_implILNS1_25lookback_scan_determinismE0ELb0ES3_N6thrust23THRUST_200600_302600_NS6detail15normal_iteratorINS9_10device_ptrIiEEEENSB_INSC_IdEEEESG_dNS9_4plusIvEENS9_8equal_toIvEEdEE10hipError_tPvRmT2_T3_T4_T5_mT6_T7_P12ihipStream_tbENKUlT_T0_E_clISt17integral_constantIbLb1EES10_IbLb0EEEEDaSW_SX_EUlSW_E_NS1_11comp_targetILNS1_3genE10ELNS1_11target_archE1200ELNS1_3gpuE4ELNS1_3repE0EEENS1_30default_config_static_selectorELNS0_4arch9wavefront6targetE0EEEvT1_.has_indirect_call, 0
	.section	.AMDGPU.csdata,"",@progbits
; Kernel info:
; codeLenInByte = 0
; TotalNumSgprs: 0
; NumVgprs: 0
; ScratchSize: 0
; MemoryBound: 0
; FloatMode: 240
; IeeeMode: 1
; LDSByteSize: 0 bytes/workgroup (compile time only)
; SGPRBlocks: 0
; VGPRBlocks: 0
; NumSGPRsForWavesPerEU: 1
; NumVGPRsForWavesPerEU: 1
; Occupancy: 16
; WaveLimiterHint : 0
; COMPUTE_PGM_RSRC2:SCRATCH_EN: 0
; COMPUTE_PGM_RSRC2:USER_SGPR: 6
; COMPUTE_PGM_RSRC2:TRAP_HANDLER: 0
; COMPUTE_PGM_RSRC2:TGID_X_EN: 1
; COMPUTE_PGM_RSRC2:TGID_Y_EN: 0
; COMPUTE_PGM_RSRC2:TGID_Z_EN: 0
; COMPUTE_PGM_RSRC2:TIDIG_COMP_CNT: 0
	.section	.text._ZN7rocprim17ROCPRIM_400000_NS6detail17trampoline_kernelINS0_14default_configENS1_27scan_by_key_config_selectorIidEEZZNS1_16scan_by_key_implILNS1_25lookback_scan_determinismE0ELb0ES3_N6thrust23THRUST_200600_302600_NS6detail15normal_iteratorINS9_10device_ptrIiEEEENSB_INSC_IdEEEESG_dNS9_4plusIvEENS9_8equal_toIvEEdEE10hipError_tPvRmT2_T3_T4_T5_mT6_T7_P12ihipStream_tbENKUlT_T0_E_clISt17integral_constantIbLb1EES10_IbLb0EEEEDaSW_SX_EUlSW_E_NS1_11comp_targetILNS1_3genE9ELNS1_11target_archE1100ELNS1_3gpuE3ELNS1_3repE0EEENS1_30default_config_static_selectorELNS0_4arch9wavefront6targetE0EEEvT1_,"axG",@progbits,_ZN7rocprim17ROCPRIM_400000_NS6detail17trampoline_kernelINS0_14default_configENS1_27scan_by_key_config_selectorIidEEZZNS1_16scan_by_key_implILNS1_25lookback_scan_determinismE0ELb0ES3_N6thrust23THRUST_200600_302600_NS6detail15normal_iteratorINS9_10device_ptrIiEEEENSB_INSC_IdEEEESG_dNS9_4plusIvEENS9_8equal_toIvEEdEE10hipError_tPvRmT2_T3_T4_T5_mT6_T7_P12ihipStream_tbENKUlT_T0_E_clISt17integral_constantIbLb1EES10_IbLb0EEEEDaSW_SX_EUlSW_E_NS1_11comp_targetILNS1_3genE9ELNS1_11target_archE1100ELNS1_3gpuE3ELNS1_3repE0EEENS1_30default_config_static_selectorELNS0_4arch9wavefront6targetE0EEEvT1_,comdat
	.protected	_ZN7rocprim17ROCPRIM_400000_NS6detail17trampoline_kernelINS0_14default_configENS1_27scan_by_key_config_selectorIidEEZZNS1_16scan_by_key_implILNS1_25lookback_scan_determinismE0ELb0ES3_N6thrust23THRUST_200600_302600_NS6detail15normal_iteratorINS9_10device_ptrIiEEEENSB_INSC_IdEEEESG_dNS9_4plusIvEENS9_8equal_toIvEEdEE10hipError_tPvRmT2_T3_T4_T5_mT6_T7_P12ihipStream_tbENKUlT_T0_E_clISt17integral_constantIbLb1EES10_IbLb0EEEEDaSW_SX_EUlSW_E_NS1_11comp_targetILNS1_3genE9ELNS1_11target_archE1100ELNS1_3gpuE3ELNS1_3repE0EEENS1_30default_config_static_selectorELNS0_4arch9wavefront6targetE0EEEvT1_ ; -- Begin function _ZN7rocprim17ROCPRIM_400000_NS6detail17trampoline_kernelINS0_14default_configENS1_27scan_by_key_config_selectorIidEEZZNS1_16scan_by_key_implILNS1_25lookback_scan_determinismE0ELb0ES3_N6thrust23THRUST_200600_302600_NS6detail15normal_iteratorINS9_10device_ptrIiEEEENSB_INSC_IdEEEESG_dNS9_4plusIvEENS9_8equal_toIvEEdEE10hipError_tPvRmT2_T3_T4_T5_mT6_T7_P12ihipStream_tbENKUlT_T0_E_clISt17integral_constantIbLb1EES10_IbLb0EEEEDaSW_SX_EUlSW_E_NS1_11comp_targetILNS1_3genE9ELNS1_11target_archE1100ELNS1_3gpuE3ELNS1_3repE0EEENS1_30default_config_static_selectorELNS0_4arch9wavefront6targetE0EEEvT1_
	.globl	_ZN7rocprim17ROCPRIM_400000_NS6detail17trampoline_kernelINS0_14default_configENS1_27scan_by_key_config_selectorIidEEZZNS1_16scan_by_key_implILNS1_25lookback_scan_determinismE0ELb0ES3_N6thrust23THRUST_200600_302600_NS6detail15normal_iteratorINS9_10device_ptrIiEEEENSB_INSC_IdEEEESG_dNS9_4plusIvEENS9_8equal_toIvEEdEE10hipError_tPvRmT2_T3_T4_T5_mT6_T7_P12ihipStream_tbENKUlT_T0_E_clISt17integral_constantIbLb1EES10_IbLb0EEEEDaSW_SX_EUlSW_E_NS1_11comp_targetILNS1_3genE9ELNS1_11target_archE1100ELNS1_3gpuE3ELNS1_3repE0EEENS1_30default_config_static_selectorELNS0_4arch9wavefront6targetE0EEEvT1_
	.p2align	8
	.type	_ZN7rocprim17ROCPRIM_400000_NS6detail17trampoline_kernelINS0_14default_configENS1_27scan_by_key_config_selectorIidEEZZNS1_16scan_by_key_implILNS1_25lookback_scan_determinismE0ELb0ES3_N6thrust23THRUST_200600_302600_NS6detail15normal_iteratorINS9_10device_ptrIiEEEENSB_INSC_IdEEEESG_dNS9_4plusIvEENS9_8equal_toIvEEdEE10hipError_tPvRmT2_T3_T4_T5_mT6_T7_P12ihipStream_tbENKUlT_T0_E_clISt17integral_constantIbLb1EES10_IbLb0EEEEDaSW_SX_EUlSW_E_NS1_11comp_targetILNS1_3genE9ELNS1_11target_archE1100ELNS1_3gpuE3ELNS1_3repE0EEENS1_30default_config_static_selectorELNS0_4arch9wavefront6targetE0EEEvT1_,@function
_ZN7rocprim17ROCPRIM_400000_NS6detail17trampoline_kernelINS0_14default_configENS1_27scan_by_key_config_selectorIidEEZZNS1_16scan_by_key_implILNS1_25lookback_scan_determinismE0ELb0ES3_N6thrust23THRUST_200600_302600_NS6detail15normal_iteratorINS9_10device_ptrIiEEEENSB_INSC_IdEEEESG_dNS9_4plusIvEENS9_8equal_toIvEEdEE10hipError_tPvRmT2_T3_T4_T5_mT6_T7_P12ihipStream_tbENKUlT_T0_E_clISt17integral_constantIbLb1EES10_IbLb0EEEEDaSW_SX_EUlSW_E_NS1_11comp_targetILNS1_3genE9ELNS1_11target_archE1100ELNS1_3gpuE3ELNS1_3repE0EEENS1_30default_config_static_selectorELNS0_4arch9wavefront6targetE0EEEvT1_: ; @_ZN7rocprim17ROCPRIM_400000_NS6detail17trampoline_kernelINS0_14default_configENS1_27scan_by_key_config_selectorIidEEZZNS1_16scan_by_key_implILNS1_25lookback_scan_determinismE0ELb0ES3_N6thrust23THRUST_200600_302600_NS6detail15normal_iteratorINS9_10device_ptrIiEEEENSB_INSC_IdEEEESG_dNS9_4plusIvEENS9_8equal_toIvEEdEE10hipError_tPvRmT2_T3_T4_T5_mT6_T7_P12ihipStream_tbENKUlT_T0_E_clISt17integral_constantIbLb1EES10_IbLb0EEEEDaSW_SX_EUlSW_E_NS1_11comp_targetILNS1_3genE9ELNS1_11target_archE1100ELNS1_3gpuE3ELNS1_3repE0EEENS1_30default_config_static_selectorELNS0_4arch9wavefront6targetE0EEEvT1_
; %bb.0:
	.section	.rodata,"a",@progbits
	.p2align	6, 0x0
	.amdhsa_kernel _ZN7rocprim17ROCPRIM_400000_NS6detail17trampoline_kernelINS0_14default_configENS1_27scan_by_key_config_selectorIidEEZZNS1_16scan_by_key_implILNS1_25lookback_scan_determinismE0ELb0ES3_N6thrust23THRUST_200600_302600_NS6detail15normal_iteratorINS9_10device_ptrIiEEEENSB_INSC_IdEEEESG_dNS9_4plusIvEENS9_8equal_toIvEEdEE10hipError_tPvRmT2_T3_T4_T5_mT6_T7_P12ihipStream_tbENKUlT_T0_E_clISt17integral_constantIbLb1EES10_IbLb0EEEEDaSW_SX_EUlSW_E_NS1_11comp_targetILNS1_3genE9ELNS1_11target_archE1100ELNS1_3gpuE3ELNS1_3repE0EEENS1_30default_config_static_selectorELNS0_4arch9wavefront6targetE0EEEvT1_
		.amdhsa_group_segment_fixed_size 0
		.amdhsa_private_segment_fixed_size 0
		.amdhsa_kernarg_size 136
		.amdhsa_user_sgpr_count 6
		.amdhsa_user_sgpr_private_segment_buffer 1
		.amdhsa_user_sgpr_dispatch_ptr 0
		.amdhsa_user_sgpr_queue_ptr 0
		.amdhsa_user_sgpr_kernarg_segment_ptr 1
		.amdhsa_user_sgpr_dispatch_id 0
		.amdhsa_user_sgpr_flat_scratch_init 0
		.amdhsa_user_sgpr_private_segment_size 0
		.amdhsa_wavefront_size32 1
		.amdhsa_uses_dynamic_stack 0
		.amdhsa_system_sgpr_private_segment_wavefront_offset 0
		.amdhsa_system_sgpr_workgroup_id_x 1
		.amdhsa_system_sgpr_workgroup_id_y 0
		.amdhsa_system_sgpr_workgroup_id_z 0
		.amdhsa_system_sgpr_workgroup_info 0
		.amdhsa_system_vgpr_workitem_id 0
		.amdhsa_next_free_vgpr 1
		.amdhsa_next_free_sgpr 1
		.amdhsa_reserve_vcc 0
		.amdhsa_reserve_flat_scratch 0
		.amdhsa_float_round_mode_32 0
		.amdhsa_float_round_mode_16_64 0
		.amdhsa_float_denorm_mode_32 3
		.amdhsa_float_denorm_mode_16_64 3
		.amdhsa_dx10_clamp 1
		.amdhsa_ieee_mode 1
		.amdhsa_fp16_overflow 0
		.amdhsa_workgroup_processor_mode 1
		.amdhsa_memory_ordered 1
		.amdhsa_forward_progress 1
		.amdhsa_shared_vgpr_count 0
		.amdhsa_exception_fp_ieee_invalid_op 0
		.amdhsa_exception_fp_denorm_src 0
		.amdhsa_exception_fp_ieee_div_zero 0
		.amdhsa_exception_fp_ieee_overflow 0
		.amdhsa_exception_fp_ieee_underflow 0
		.amdhsa_exception_fp_ieee_inexact 0
		.amdhsa_exception_int_div_zero 0
	.end_amdhsa_kernel
	.section	.text._ZN7rocprim17ROCPRIM_400000_NS6detail17trampoline_kernelINS0_14default_configENS1_27scan_by_key_config_selectorIidEEZZNS1_16scan_by_key_implILNS1_25lookback_scan_determinismE0ELb0ES3_N6thrust23THRUST_200600_302600_NS6detail15normal_iteratorINS9_10device_ptrIiEEEENSB_INSC_IdEEEESG_dNS9_4plusIvEENS9_8equal_toIvEEdEE10hipError_tPvRmT2_T3_T4_T5_mT6_T7_P12ihipStream_tbENKUlT_T0_E_clISt17integral_constantIbLb1EES10_IbLb0EEEEDaSW_SX_EUlSW_E_NS1_11comp_targetILNS1_3genE9ELNS1_11target_archE1100ELNS1_3gpuE3ELNS1_3repE0EEENS1_30default_config_static_selectorELNS0_4arch9wavefront6targetE0EEEvT1_,"axG",@progbits,_ZN7rocprim17ROCPRIM_400000_NS6detail17trampoline_kernelINS0_14default_configENS1_27scan_by_key_config_selectorIidEEZZNS1_16scan_by_key_implILNS1_25lookback_scan_determinismE0ELb0ES3_N6thrust23THRUST_200600_302600_NS6detail15normal_iteratorINS9_10device_ptrIiEEEENSB_INSC_IdEEEESG_dNS9_4plusIvEENS9_8equal_toIvEEdEE10hipError_tPvRmT2_T3_T4_T5_mT6_T7_P12ihipStream_tbENKUlT_T0_E_clISt17integral_constantIbLb1EES10_IbLb0EEEEDaSW_SX_EUlSW_E_NS1_11comp_targetILNS1_3genE9ELNS1_11target_archE1100ELNS1_3gpuE3ELNS1_3repE0EEENS1_30default_config_static_selectorELNS0_4arch9wavefront6targetE0EEEvT1_,comdat
.Lfunc_end1114:
	.size	_ZN7rocprim17ROCPRIM_400000_NS6detail17trampoline_kernelINS0_14default_configENS1_27scan_by_key_config_selectorIidEEZZNS1_16scan_by_key_implILNS1_25lookback_scan_determinismE0ELb0ES3_N6thrust23THRUST_200600_302600_NS6detail15normal_iteratorINS9_10device_ptrIiEEEENSB_INSC_IdEEEESG_dNS9_4plusIvEENS9_8equal_toIvEEdEE10hipError_tPvRmT2_T3_T4_T5_mT6_T7_P12ihipStream_tbENKUlT_T0_E_clISt17integral_constantIbLb1EES10_IbLb0EEEEDaSW_SX_EUlSW_E_NS1_11comp_targetILNS1_3genE9ELNS1_11target_archE1100ELNS1_3gpuE3ELNS1_3repE0EEENS1_30default_config_static_selectorELNS0_4arch9wavefront6targetE0EEEvT1_, .Lfunc_end1114-_ZN7rocprim17ROCPRIM_400000_NS6detail17trampoline_kernelINS0_14default_configENS1_27scan_by_key_config_selectorIidEEZZNS1_16scan_by_key_implILNS1_25lookback_scan_determinismE0ELb0ES3_N6thrust23THRUST_200600_302600_NS6detail15normal_iteratorINS9_10device_ptrIiEEEENSB_INSC_IdEEEESG_dNS9_4plusIvEENS9_8equal_toIvEEdEE10hipError_tPvRmT2_T3_T4_T5_mT6_T7_P12ihipStream_tbENKUlT_T0_E_clISt17integral_constantIbLb1EES10_IbLb0EEEEDaSW_SX_EUlSW_E_NS1_11comp_targetILNS1_3genE9ELNS1_11target_archE1100ELNS1_3gpuE3ELNS1_3repE0EEENS1_30default_config_static_selectorELNS0_4arch9wavefront6targetE0EEEvT1_
                                        ; -- End function
	.set _ZN7rocprim17ROCPRIM_400000_NS6detail17trampoline_kernelINS0_14default_configENS1_27scan_by_key_config_selectorIidEEZZNS1_16scan_by_key_implILNS1_25lookback_scan_determinismE0ELb0ES3_N6thrust23THRUST_200600_302600_NS6detail15normal_iteratorINS9_10device_ptrIiEEEENSB_INSC_IdEEEESG_dNS9_4plusIvEENS9_8equal_toIvEEdEE10hipError_tPvRmT2_T3_T4_T5_mT6_T7_P12ihipStream_tbENKUlT_T0_E_clISt17integral_constantIbLb1EES10_IbLb0EEEEDaSW_SX_EUlSW_E_NS1_11comp_targetILNS1_3genE9ELNS1_11target_archE1100ELNS1_3gpuE3ELNS1_3repE0EEENS1_30default_config_static_selectorELNS0_4arch9wavefront6targetE0EEEvT1_.num_vgpr, 0
	.set _ZN7rocprim17ROCPRIM_400000_NS6detail17trampoline_kernelINS0_14default_configENS1_27scan_by_key_config_selectorIidEEZZNS1_16scan_by_key_implILNS1_25lookback_scan_determinismE0ELb0ES3_N6thrust23THRUST_200600_302600_NS6detail15normal_iteratorINS9_10device_ptrIiEEEENSB_INSC_IdEEEESG_dNS9_4plusIvEENS9_8equal_toIvEEdEE10hipError_tPvRmT2_T3_T4_T5_mT6_T7_P12ihipStream_tbENKUlT_T0_E_clISt17integral_constantIbLb1EES10_IbLb0EEEEDaSW_SX_EUlSW_E_NS1_11comp_targetILNS1_3genE9ELNS1_11target_archE1100ELNS1_3gpuE3ELNS1_3repE0EEENS1_30default_config_static_selectorELNS0_4arch9wavefront6targetE0EEEvT1_.num_agpr, 0
	.set _ZN7rocprim17ROCPRIM_400000_NS6detail17trampoline_kernelINS0_14default_configENS1_27scan_by_key_config_selectorIidEEZZNS1_16scan_by_key_implILNS1_25lookback_scan_determinismE0ELb0ES3_N6thrust23THRUST_200600_302600_NS6detail15normal_iteratorINS9_10device_ptrIiEEEENSB_INSC_IdEEEESG_dNS9_4plusIvEENS9_8equal_toIvEEdEE10hipError_tPvRmT2_T3_T4_T5_mT6_T7_P12ihipStream_tbENKUlT_T0_E_clISt17integral_constantIbLb1EES10_IbLb0EEEEDaSW_SX_EUlSW_E_NS1_11comp_targetILNS1_3genE9ELNS1_11target_archE1100ELNS1_3gpuE3ELNS1_3repE0EEENS1_30default_config_static_selectorELNS0_4arch9wavefront6targetE0EEEvT1_.numbered_sgpr, 0
	.set _ZN7rocprim17ROCPRIM_400000_NS6detail17trampoline_kernelINS0_14default_configENS1_27scan_by_key_config_selectorIidEEZZNS1_16scan_by_key_implILNS1_25lookback_scan_determinismE0ELb0ES3_N6thrust23THRUST_200600_302600_NS6detail15normal_iteratorINS9_10device_ptrIiEEEENSB_INSC_IdEEEESG_dNS9_4plusIvEENS9_8equal_toIvEEdEE10hipError_tPvRmT2_T3_T4_T5_mT6_T7_P12ihipStream_tbENKUlT_T0_E_clISt17integral_constantIbLb1EES10_IbLb0EEEEDaSW_SX_EUlSW_E_NS1_11comp_targetILNS1_3genE9ELNS1_11target_archE1100ELNS1_3gpuE3ELNS1_3repE0EEENS1_30default_config_static_selectorELNS0_4arch9wavefront6targetE0EEEvT1_.num_named_barrier, 0
	.set _ZN7rocprim17ROCPRIM_400000_NS6detail17trampoline_kernelINS0_14default_configENS1_27scan_by_key_config_selectorIidEEZZNS1_16scan_by_key_implILNS1_25lookback_scan_determinismE0ELb0ES3_N6thrust23THRUST_200600_302600_NS6detail15normal_iteratorINS9_10device_ptrIiEEEENSB_INSC_IdEEEESG_dNS9_4plusIvEENS9_8equal_toIvEEdEE10hipError_tPvRmT2_T3_T4_T5_mT6_T7_P12ihipStream_tbENKUlT_T0_E_clISt17integral_constantIbLb1EES10_IbLb0EEEEDaSW_SX_EUlSW_E_NS1_11comp_targetILNS1_3genE9ELNS1_11target_archE1100ELNS1_3gpuE3ELNS1_3repE0EEENS1_30default_config_static_selectorELNS0_4arch9wavefront6targetE0EEEvT1_.private_seg_size, 0
	.set _ZN7rocprim17ROCPRIM_400000_NS6detail17trampoline_kernelINS0_14default_configENS1_27scan_by_key_config_selectorIidEEZZNS1_16scan_by_key_implILNS1_25lookback_scan_determinismE0ELb0ES3_N6thrust23THRUST_200600_302600_NS6detail15normal_iteratorINS9_10device_ptrIiEEEENSB_INSC_IdEEEESG_dNS9_4plusIvEENS9_8equal_toIvEEdEE10hipError_tPvRmT2_T3_T4_T5_mT6_T7_P12ihipStream_tbENKUlT_T0_E_clISt17integral_constantIbLb1EES10_IbLb0EEEEDaSW_SX_EUlSW_E_NS1_11comp_targetILNS1_3genE9ELNS1_11target_archE1100ELNS1_3gpuE3ELNS1_3repE0EEENS1_30default_config_static_selectorELNS0_4arch9wavefront6targetE0EEEvT1_.uses_vcc, 0
	.set _ZN7rocprim17ROCPRIM_400000_NS6detail17trampoline_kernelINS0_14default_configENS1_27scan_by_key_config_selectorIidEEZZNS1_16scan_by_key_implILNS1_25lookback_scan_determinismE0ELb0ES3_N6thrust23THRUST_200600_302600_NS6detail15normal_iteratorINS9_10device_ptrIiEEEENSB_INSC_IdEEEESG_dNS9_4plusIvEENS9_8equal_toIvEEdEE10hipError_tPvRmT2_T3_T4_T5_mT6_T7_P12ihipStream_tbENKUlT_T0_E_clISt17integral_constantIbLb1EES10_IbLb0EEEEDaSW_SX_EUlSW_E_NS1_11comp_targetILNS1_3genE9ELNS1_11target_archE1100ELNS1_3gpuE3ELNS1_3repE0EEENS1_30default_config_static_selectorELNS0_4arch9wavefront6targetE0EEEvT1_.uses_flat_scratch, 0
	.set _ZN7rocprim17ROCPRIM_400000_NS6detail17trampoline_kernelINS0_14default_configENS1_27scan_by_key_config_selectorIidEEZZNS1_16scan_by_key_implILNS1_25lookback_scan_determinismE0ELb0ES3_N6thrust23THRUST_200600_302600_NS6detail15normal_iteratorINS9_10device_ptrIiEEEENSB_INSC_IdEEEESG_dNS9_4plusIvEENS9_8equal_toIvEEdEE10hipError_tPvRmT2_T3_T4_T5_mT6_T7_P12ihipStream_tbENKUlT_T0_E_clISt17integral_constantIbLb1EES10_IbLb0EEEEDaSW_SX_EUlSW_E_NS1_11comp_targetILNS1_3genE9ELNS1_11target_archE1100ELNS1_3gpuE3ELNS1_3repE0EEENS1_30default_config_static_selectorELNS0_4arch9wavefront6targetE0EEEvT1_.has_dyn_sized_stack, 0
	.set _ZN7rocprim17ROCPRIM_400000_NS6detail17trampoline_kernelINS0_14default_configENS1_27scan_by_key_config_selectorIidEEZZNS1_16scan_by_key_implILNS1_25lookback_scan_determinismE0ELb0ES3_N6thrust23THRUST_200600_302600_NS6detail15normal_iteratorINS9_10device_ptrIiEEEENSB_INSC_IdEEEESG_dNS9_4plusIvEENS9_8equal_toIvEEdEE10hipError_tPvRmT2_T3_T4_T5_mT6_T7_P12ihipStream_tbENKUlT_T0_E_clISt17integral_constantIbLb1EES10_IbLb0EEEEDaSW_SX_EUlSW_E_NS1_11comp_targetILNS1_3genE9ELNS1_11target_archE1100ELNS1_3gpuE3ELNS1_3repE0EEENS1_30default_config_static_selectorELNS0_4arch9wavefront6targetE0EEEvT1_.has_recursion, 0
	.set _ZN7rocprim17ROCPRIM_400000_NS6detail17trampoline_kernelINS0_14default_configENS1_27scan_by_key_config_selectorIidEEZZNS1_16scan_by_key_implILNS1_25lookback_scan_determinismE0ELb0ES3_N6thrust23THRUST_200600_302600_NS6detail15normal_iteratorINS9_10device_ptrIiEEEENSB_INSC_IdEEEESG_dNS9_4plusIvEENS9_8equal_toIvEEdEE10hipError_tPvRmT2_T3_T4_T5_mT6_T7_P12ihipStream_tbENKUlT_T0_E_clISt17integral_constantIbLb1EES10_IbLb0EEEEDaSW_SX_EUlSW_E_NS1_11comp_targetILNS1_3genE9ELNS1_11target_archE1100ELNS1_3gpuE3ELNS1_3repE0EEENS1_30default_config_static_selectorELNS0_4arch9wavefront6targetE0EEEvT1_.has_indirect_call, 0
	.section	.AMDGPU.csdata,"",@progbits
; Kernel info:
; codeLenInByte = 0
; TotalNumSgprs: 0
; NumVgprs: 0
; ScratchSize: 0
; MemoryBound: 0
; FloatMode: 240
; IeeeMode: 1
; LDSByteSize: 0 bytes/workgroup (compile time only)
; SGPRBlocks: 0
; VGPRBlocks: 0
; NumSGPRsForWavesPerEU: 1
; NumVGPRsForWavesPerEU: 1
; Occupancy: 16
; WaveLimiterHint : 0
; COMPUTE_PGM_RSRC2:SCRATCH_EN: 0
; COMPUTE_PGM_RSRC2:USER_SGPR: 6
; COMPUTE_PGM_RSRC2:TRAP_HANDLER: 0
; COMPUTE_PGM_RSRC2:TGID_X_EN: 1
; COMPUTE_PGM_RSRC2:TGID_Y_EN: 0
; COMPUTE_PGM_RSRC2:TGID_Z_EN: 0
; COMPUTE_PGM_RSRC2:TIDIG_COMP_CNT: 0
	.section	.text._ZN7rocprim17ROCPRIM_400000_NS6detail17trampoline_kernelINS0_14default_configENS1_27scan_by_key_config_selectorIidEEZZNS1_16scan_by_key_implILNS1_25lookback_scan_determinismE0ELb0ES3_N6thrust23THRUST_200600_302600_NS6detail15normal_iteratorINS9_10device_ptrIiEEEENSB_INSC_IdEEEESG_dNS9_4plusIvEENS9_8equal_toIvEEdEE10hipError_tPvRmT2_T3_T4_T5_mT6_T7_P12ihipStream_tbENKUlT_T0_E_clISt17integral_constantIbLb1EES10_IbLb0EEEEDaSW_SX_EUlSW_E_NS1_11comp_targetILNS1_3genE8ELNS1_11target_archE1030ELNS1_3gpuE2ELNS1_3repE0EEENS1_30default_config_static_selectorELNS0_4arch9wavefront6targetE0EEEvT1_,"axG",@progbits,_ZN7rocprim17ROCPRIM_400000_NS6detail17trampoline_kernelINS0_14default_configENS1_27scan_by_key_config_selectorIidEEZZNS1_16scan_by_key_implILNS1_25lookback_scan_determinismE0ELb0ES3_N6thrust23THRUST_200600_302600_NS6detail15normal_iteratorINS9_10device_ptrIiEEEENSB_INSC_IdEEEESG_dNS9_4plusIvEENS9_8equal_toIvEEdEE10hipError_tPvRmT2_T3_T4_T5_mT6_T7_P12ihipStream_tbENKUlT_T0_E_clISt17integral_constantIbLb1EES10_IbLb0EEEEDaSW_SX_EUlSW_E_NS1_11comp_targetILNS1_3genE8ELNS1_11target_archE1030ELNS1_3gpuE2ELNS1_3repE0EEENS1_30default_config_static_selectorELNS0_4arch9wavefront6targetE0EEEvT1_,comdat
	.protected	_ZN7rocprim17ROCPRIM_400000_NS6detail17trampoline_kernelINS0_14default_configENS1_27scan_by_key_config_selectorIidEEZZNS1_16scan_by_key_implILNS1_25lookback_scan_determinismE0ELb0ES3_N6thrust23THRUST_200600_302600_NS6detail15normal_iteratorINS9_10device_ptrIiEEEENSB_INSC_IdEEEESG_dNS9_4plusIvEENS9_8equal_toIvEEdEE10hipError_tPvRmT2_T3_T4_T5_mT6_T7_P12ihipStream_tbENKUlT_T0_E_clISt17integral_constantIbLb1EES10_IbLb0EEEEDaSW_SX_EUlSW_E_NS1_11comp_targetILNS1_3genE8ELNS1_11target_archE1030ELNS1_3gpuE2ELNS1_3repE0EEENS1_30default_config_static_selectorELNS0_4arch9wavefront6targetE0EEEvT1_ ; -- Begin function _ZN7rocprim17ROCPRIM_400000_NS6detail17trampoline_kernelINS0_14default_configENS1_27scan_by_key_config_selectorIidEEZZNS1_16scan_by_key_implILNS1_25lookback_scan_determinismE0ELb0ES3_N6thrust23THRUST_200600_302600_NS6detail15normal_iteratorINS9_10device_ptrIiEEEENSB_INSC_IdEEEESG_dNS9_4plusIvEENS9_8equal_toIvEEdEE10hipError_tPvRmT2_T3_T4_T5_mT6_T7_P12ihipStream_tbENKUlT_T0_E_clISt17integral_constantIbLb1EES10_IbLb0EEEEDaSW_SX_EUlSW_E_NS1_11comp_targetILNS1_3genE8ELNS1_11target_archE1030ELNS1_3gpuE2ELNS1_3repE0EEENS1_30default_config_static_selectorELNS0_4arch9wavefront6targetE0EEEvT1_
	.globl	_ZN7rocprim17ROCPRIM_400000_NS6detail17trampoline_kernelINS0_14default_configENS1_27scan_by_key_config_selectorIidEEZZNS1_16scan_by_key_implILNS1_25lookback_scan_determinismE0ELb0ES3_N6thrust23THRUST_200600_302600_NS6detail15normal_iteratorINS9_10device_ptrIiEEEENSB_INSC_IdEEEESG_dNS9_4plusIvEENS9_8equal_toIvEEdEE10hipError_tPvRmT2_T3_T4_T5_mT6_T7_P12ihipStream_tbENKUlT_T0_E_clISt17integral_constantIbLb1EES10_IbLb0EEEEDaSW_SX_EUlSW_E_NS1_11comp_targetILNS1_3genE8ELNS1_11target_archE1030ELNS1_3gpuE2ELNS1_3repE0EEENS1_30default_config_static_selectorELNS0_4arch9wavefront6targetE0EEEvT1_
	.p2align	8
	.type	_ZN7rocprim17ROCPRIM_400000_NS6detail17trampoline_kernelINS0_14default_configENS1_27scan_by_key_config_selectorIidEEZZNS1_16scan_by_key_implILNS1_25lookback_scan_determinismE0ELb0ES3_N6thrust23THRUST_200600_302600_NS6detail15normal_iteratorINS9_10device_ptrIiEEEENSB_INSC_IdEEEESG_dNS9_4plusIvEENS9_8equal_toIvEEdEE10hipError_tPvRmT2_T3_T4_T5_mT6_T7_P12ihipStream_tbENKUlT_T0_E_clISt17integral_constantIbLb1EES10_IbLb0EEEEDaSW_SX_EUlSW_E_NS1_11comp_targetILNS1_3genE8ELNS1_11target_archE1030ELNS1_3gpuE2ELNS1_3repE0EEENS1_30default_config_static_selectorELNS0_4arch9wavefront6targetE0EEEvT1_,@function
_ZN7rocprim17ROCPRIM_400000_NS6detail17trampoline_kernelINS0_14default_configENS1_27scan_by_key_config_selectorIidEEZZNS1_16scan_by_key_implILNS1_25lookback_scan_determinismE0ELb0ES3_N6thrust23THRUST_200600_302600_NS6detail15normal_iteratorINS9_10device_ptrIiEEEENSB_INSC_IdEEEESG_dNS9_4plusIvEENS9_8equal_toIvEEdEE10hipError_tPvRmT2_T3_T4_T5_mT6_T7_P12ihipStream_tbENKUlT_T0_E_clISt17integral_constantIbLb1EES10_IbLb0EEEEDaSW_SX_EUlSW_E_NS1_11comp_targetILNS1_3genE8ELNS1_11target_archE1030ELNS1_3gpuE2ELNS1_3repE0EEENS1_30default_config_static_selectorELNS0_4arch9wavefront6targetE0EEEvT1_: ; @_ZN7rocprim17ROCPRIM_400000_NS6detail17trampoline_kernelINS0_14default_configENS1_27scan_by_key_config_selectorIidEEZZNS1_16scan_by_key_implILNS1_25lookback_scan_determinismE0ELb0ES3_N6thrust23THRUST_200600_302600_NS6detail15normal_iteratorINS9_10device_ptrIiEEEENSB_INSC_IdEEEESG_dNS9_4plusIvEENS9_8equal_toIvEEdEE10hipError_tPvRmT2_T3_T4_T5_mT6_T7_P12ihipStream_tbENKUlT_T0_E_clISt17integral_constantIbLb1EES10_IbLb0EEEEDaSW_SX_EUlSW_E_NS1_11comp_targetILNS1_3genE8ELNS1_11target_archE1030ELNS1_3gpuE2ELNS1_3repE0EEENS1_30default_config_static_selectorELNS0_4arch9wavefront6targetE0EEEvT1_
; %bb.0:
	s_endpgm
	.section	.rodata,"a",@progbits
	.p2align	6, 0x0
	.amdhsa_kernel _ZN7rocprim17ROCPRIM_400000_NS6detail17trampoline_kernelINS0_14default_configENS1_27scan_by_key_config_selectorIidEEZZNS1_16scan_by_key_implILNS1_25lookback_scan_determinismE0ELb0ES3_N6thrust23THRUST_200600_302600_NS6detail15normal_iteratorINS9_10device_ptrIiEEEENSB_INSC_IdEEEESG_dNS9_4plusIvEENS9_8equal_toIvEEdEE10hipError_tPvRmT2_T3_T4_T5_mT6_T7_P12ihipStream_tbENKUlT_T0_E_clISt17integral_constantIbLb1EES10_IbLb0EEEEDaSW_SX_EUlSW_E_NS1_11comp_targetILNS1_3genE8ELNS1_11target_archE1030ELNS1_3gpuE2ELNS1_3repE0EEENS1_30default_config_static_selectorELNS0_4arch9wavefront6targetE0EEEvT1_
		.amdhsa_group_segment_fixed_size 0
		.amdhsa_private_segment_fixed_size 0
		.amdhsa_kernarg_size 136
		.amdhsa_user_sgpr_count 6
		.amdhsa_user_sgpr_private_segment_buffer 1
		.amdhsa_user_sgpr_dispatch_ptr 0
		.amdhsa_user_sgpr_queue_ptr 0
		.amdhsa_user_sgpr_kernarg_segment_ptr 1
		.amdhsa_user_sgpr_dispatch_id 0
		.amdhsa_user_sgpr_flat_scratch_init 0
		.amdhsa_user_sgpr_private_segment_size 0
		.amdhsa_wavefront_size32 1
		.amdhsa_uses_dynamic_stack 0
		.amdhsa_system_sgpr_private_segment_wavefront_offset 0
		.amdhsa_system_sgpr_workgroup_id_x 1
		.amdhsa_system_sgpr_workgroup_id_y 0
		.amdhsa_system_sgpr_workgroup_id_z 0
		.amdhsa_system_sgpr_workgroup_info 0
		.amdhsa_system_vgpr_workitem_id 0
		.amdhsa_next_free_vgpr 1
		.amdhsa_next_free_sgpr 1
		.amdhsa_reserve_vcc 0
		.amdhsa_reserve_flat_scratch 0
		.amdhsa_float_round_mode_32 0
		.amdhsa_float_round_mode_16_64 0
		.amdhsa_float_denorm_mode_32 3
		.amdhsa_float_denorm_mode_16_64 3
		.amdhsa_dx10_clamp 1
		.amdhsa_ieee_mode 1
		.amdhsa_fp16_overflow 0
		.amdhsa_workgroup_processor_mode 1
		.amdhsa_memory_ordered 1
		.amdhsa_forward_progress 1
		.amdhsa_shared_vgpr_count 0
		.amdhsa_exception_fp_ieee_invalid_op 0
		.amdhsa_exception_fp_denorm_src 0
		.amdhsa_exception_fp_ieee_div_zero 0
		.amdhsa_exception_fp_ieee_overflow 0
		.amdhsa_exception_fp_ieee_underflow 0
		.amdhsa_exception_fp_ieee_inexact 0
		.amdhsa_exception_int_div_zero 0
	.end_amdhsa_kernel
	.section	.text._ZN7rocprim17ROCPRIM_400000_NS6detail17trampoline_kernelINS0_14default_configENS1_27scan_by_key_config_selectorIidEEZZNS1_16scan_by_key_implILNS1_25lookback_scan_determinismE0ELb0ES3_N6thrust23THRUST_200600_302600_NS6detail15normal_iteratorINS9_10device_ptrIiEEEENSB_INSC_IdEEEESG_dNS9_4plusIvEENS9_8equal_toIvEEdEE10hipError_tPvRmT2_T3_T4_T5_mT6_T7_P12ihipStream_tbENKUlT_T0_E_clISt17integral_constantIbLb1EES10_IbLb0EEEEDaSW_SX_EUlSW_E_NS1_11comp_targetILNS1_3genE8ELNS1_11target_archE1030ELNS1_3gpuE2ELNS1_3repE0EEENS1_30default_config_static_selectorELNS0_4arch9wavefront6targetE0EEEvT1_,"axG",@progbits,_ZN7rocprim17ROCPRIM_400000_NS6detail17trampoline_kernelINS0_14default_configENS1_27scan_by_key_config_selectorIidEEZZNS1_16scan_by_key_implILNS1_25lookback_scan_determinismE0ELb0ES3_N6thrust23THRUST_200600_302600_NS6detail15normal_iteratorINS9_10device_ptrIiEEEENSB_INSC_IdEEEESG_dNS9_4plusIvEENS9_8equal_toIvEEdEE10hipError_tPvRmT2_T3_T4_T5_mT6_T7_P12ihipStream_tbENKUlT_T0_E_clISt17integral_constantIbLb1EES10_IbLb0EEEEDaSW_SX_EUlSW_E_NS1_11comp_targetILNS1_3genE8ELNS1_11target_archE1030ELNS1_3gpuE2ELNS1_3repE0EEENS1_30default_config_static_selectorELNS0_4arch9wavefront6targetE0EEEvT1_,comdat
.Lfunc_end1115:
	.size	_ZN7rocprim17ROCPRIM_400000_NS6detail17trampoline_kernelINS0_14default_configENS1_27scan_by_key_config_selectorIidEEZZNS1_16scan_by_key_implILNS1_25lookback_scan_determinismE0ELb0ES3_N6thrust23THRUST_200600_302600_NS6detail15normal_iteratorINS9_10device_ptrIiEEEENSB_INSC_IdEEEESG_dNS9_4plusIvEENS9_8equal_toIvEEdEE10hipError_tPvRmT2_T3_T4_T5_mT6_T7_P12ihipStream_tbENKUlT_T0_E_clISt17integral_constantIbLb1EES10_IbLb0EEEEDaSW_SX_EUlSW_E_NS1_11comp_targetILNS1_3genE8ELNS1_11target_archE1030ELNS1_3gpuE2ELNS1_3repE0EEENS1_30default_config_static_selectorELNS0_4arch9wavefront6targetE0EEEvT1_, .Lfunc_end1115-_ZN7rocprim17ROCPRIM_400000_NS6detail17trampoline_kernelINS0_14default_configENS1_27scan_by_key_config_selectorIidEEZZNS1_16scan_by_key_implILNS1_25lookback_scan_determinismE0ELb0ES3_N6thrust23THRUST_200600_302600_NS6detail15normal_iteratorINS9_10device_ptrIiEEEENSB_INSC_IdEEEESG_dNS9_4plusIvEENS9_8equal_toIvEEdEE10hipError_tPvRmT2_T3_T4_T5_mT6_T7_P12ihipStream_tbENKUlT_T0_E_clISt17integral_constantIbLb1EES10_IbLb0EEEEDaSW_SX_EUlSW_E_NS1_11comp_targetILNS1_3genE8ELNS1_11target_archE1030ELNS1_3gpuE2ELNS1_3repE0EEENS1_30default_config_static_selectorELNS0_4arch9wavefront6targetE0EEEvT1_
                                        ; -- End function
	.set _ZN7rocprim17ROCPRIM_400000_NS6detail17trampoline_kernelINS0_14default_configENS1_27scan_by_key_config_selectorIidEEZZNS1_16scan_by_key_implILNS1_25lookback_scan_determinismE0ELb0ES3_N6thrust23THRUST_200600_302600_NS6detail15normal_iteratorINS9_10device_ptrIiEEEENSB_INSC_IdEEEESG_dNS9_4plusIvEENS9_8equal_toIvEEdEE10hipError_tPvRmT2_T3_T4_T5_mT6_T7_P12ihipStream_tbENKUlT_T0_E_clISt17integral_constantIbLb1EES10_IbLb0EEEEDaSW_SX_EUlSW_E_NS1_11comp_targetILNS1_3genE8ELNS1_11target_archE1030ELNS1_3gpuE2ELNS1_3repE0EEENS1_30default_config_static_selectorELNS0_4arch9wavefront6targetE0EEEvT1_.num_vgpr, 0
	.set _ZN7rocprim17ROCPRIM_400000_NS6detail17trampoline_kernelINS0_14default_configENS1_27scan_by_key_config_selectorIidEEZZNS1_16scan_by_key_implILNS1_25lookback_scan_determinismE0ELb0ES3_N6thrust23THRUST_200600_302600_NS6detail15normal_iteratorINS9_10device_ptrIiEEEENSB_INSC_IdEEEESG_dNS9_4plusIvEENS9_8equal_toIvEEdEE10hipError_tPvRmT2_T3_T4_T5_mT6_T7_P12ihipStream_tbENKUlT_T0_E_clISt17integral_constantIbLb1EES10_IbLb0EEEEDaSW_SX_EUlSW_E_NS1_11comp_targetILNS1_3genE8ELNS1_11target_archE1030ELNS1_3gpuE2ELNS1_3repE0EEENS1_30default_config_static_selectorELNS0_4arch9wavefront6targetE0EEEvT1_.num_agpr, 0
	.set _ZN7rocprim17ROCPRIM_400000_NS6detail17trampoline_kernelINS0_14default_configENS1_27scan_by_key_config_selectorIidEEZZNS1_16scan_by_key_implILNS1_25lookback_scan_determinismE0ELb0ES3_N6thrust23THRUST_200600_302600_NS6detail15normal_iteratorINS9_10device_ptrIiEEEENSB_INSC_IdEEEESG_dNS9_4plusIvEENS9_8equal_toIvEEdEE10hipError_tPvRmT2_T3_T4_T5_mT6_T7_P12ihipStream_tbENKUlT_T0_E_clISt17integral_constantIbLb1EES10_IbLb0EEEEDaSW_SX_EUlSW_E_NS1_11comp_targetILNS1_3genE8ELNS1_11target_archE1030ELNS1_3gpuE2ELNS1_3repE0EEENS1_30default_config_static_selectorELNS0_4arch9wavefront6targetE0EEEvT1_.numbered_sgpr, 0
	.set _ZN7rocprim17ROCPRIM_400000_NS6detail17trampoline_kernelINS0_14default_configENS1_27scan_by_key_config_selectorIidEEZZNS1_16scan_by_key_implILNS1_25lookback_scan_determinismE0ELb0ES3_N6thrust23THRUST_200600_302600_NS6detail15normal_iteratorINS9_10device_ptrIiEEEENSB_INSC_IdEEEESG_dNS9_4plusIvEENS9_8equal_toIvEEdEE10hipError_tPvRmT2_T3_T4_T5_mT6_T7_P12ihipStream_tbENKUlT_T0_E_clISt17integral_constantIbLb1EES10_IbLb0EEEEDaSW_SX_EUlSW_E_NS1_11comp_targetILNS1_3genE8ELNS1_11target_archE1030ELNS1_3gpuE2ELNS1_3repE0EEENS1_30default_config_static_selectorELNS0_4arch9wavefront6targetE0EEEvT1_.num_named_barrier, 0
	.set _ZN7rocprim17ROCPRIM_400000_NS6detail17trampoline_kernelINS0_14default_configENS1_27scan_by_key_config_selectorIidEEZZNS1_16scan_by_key_implILNS1_25lookback_scan_determinismE0ELb0ES3_N6thrust23THRUST_200600_302600_NS6detail15normal_iteratorINS9_10device_ptrIiEEEENSB_INSC_IdEEEESG_dNS9_4plusIvEENS9_8equal_toIvEEdEE10hipError_tPvRmT2_T3_T4_T5_mT6_T7_P12ihipStream_tbENKUlT_T0_E_clISt17integral_constantIbLb1EES10_IbLb0EEEEDaSW_SX_EUlSW_E_NS1_11comp_targetILNS1_3genE8ELNS1_11target_archE1030ELNS1_3gpuE2ELNS1_3repE0EEENS1_30default_config_static_selectorELNS0_4arch9wavefront6targetE0EEEvT1_.private_seg_size, 0
	.set _ZN7rocprim17ROCPRIM_400000_NS6detail17trampoline_kernelINS0_14default_configENS1_27scan_by_key_config_selectorIidEEZZNS1_16scan_by_key_implILNS1_25lookback_scan_determinismE0ELb0ES3_N6thrust23THRUST_200600_302600_NS6detail15normal_iteratorINS9_10device_ptrIiEEEENSB_INSC_IdEEEESG_dNS9_4plusIvEENS9_8equal_toIvEEdEE10hipError_tPvRmT2_T3_T4_T5_mT6_T7_P12ihipStream_tbENKUlT_T0_E_clISt17integral_constantIbLb1EES10_IbLb0EEEEDaSW_SX_EUlSW_E_NS1_11comp_targetILNS1_3genE8ELNS1_11target_archE1030ELNS1_3gpuE2ELNS1_3repE0EEENS1_30default_config_static_selectorELNS0_4arch9wavefront6targetE0EEEvT1_.uses_vcc, 0
	.set _ZN7rocprim17ROCPRIM_400000_NS6detail17trampoline_kernelINS0_14default_configENS1_27scan_by_key_config_selectorIidEEZZNS1_16scan_by_key_implILNS1_25lookback_scan_determinismE0ELb0ES3_N6thrust23THRUST_200600_302600_NS6detail15normal_iteratorINS9_10device_ptrIiEEEENSB_INSC_IdEEEESG_dNS9_4plusIvEENS9_8equal_toIvEEdEE10hipError_tPvRmT2_T3_T4_T5_mT6_T7_P12ihipStream_tbENKUlT_T0_E_clISt17integral_constantIbLb1EES10_IbLb0EEEEDaSW_SX_EUlSW_E_NS1_11comp_targetILNS1_3genE8ELNS1_11target_archE1030ELNS1_3gpuE2ELNS1_3repE0EEENS1_30default_config_static_selectorELNS0_4arch9wavefront6targetE0EEEvT1_.uses_flat_scratch, 0
	.set _ZN7rocprim17ROCPRIM_400000_NS6detail17trampoline_kernelINS0_14default_configENS1_27scan_by_key_config_selectorIidEEZZNS1_16scan_by_key_implILNS1_25lookback_scan_determinismE0ELb0ES3_N6thrust23THRUST_200600_302600_NS6detail15normal_iteratorINS9_10device_ptrIiEEEENSB_INSC_IdEEEESG_dNS9_4plusIvEENS9_8equal_toIvEEdEE10hipError_tPvRmT2_T3_T4_T5_mT6_T7_P12ihipStream_tbENKUlT_T0_E_clISt17integral_constantIbLb1EES10_IbLb0EEEEDaSW_SX_EUlSW_E_NS1_11comp_targetILNS1_3genE8ELNS1_11target_archE1030ELNS1_3gpuE2ELNS1_3repE0EEENS1_30default_config_static_selectorELNS0_4arch9wavefront6targetE0EEEvT1_.has_dyn_sized_stack, 0
	.set _ZN7rocprim17ROCPRIM_400000_NS6detail17trampoline_kernelINS0_14default_configENS1_27scan_by_key_config_selectorIidEEZZNS1_16scan_by_key_implILNS1_25lookback_scan_determinismE0ELb0ES3_N6thrust23THRUST_200600_302600_NS6detail15normal_iteratorINS9_10device_ptrIiEEEENSB_INSC_IdEEEESG_dNS9_4plusIvEENS9_8equal_toIvEEdEE10hipError_tPvRmT2_T3_T4_T5_mT6_T7_P12ihipStream_tbENKUlT_T0_E_clISt17integral_constantIbLb1EES10_IbLb0EEEEDaSW_SX_EUlSW_E_NS1_11comp_targetILNS1_3genE8ELNS1_11target_archE1030ELNS1_3gpuE2ELNS1_3repE0EEENS1_30default_config_static_selectorELNS0_4arch9wavefront6targetE0EEEvT1_.has_recursion, 0
	.set _ZN7rocprim17ROCPRIM_400000_NS6detail17trampoline_kernelINS0_14default_configENS1_27scan_by_key_config_selectorIidEEZZNS1_16scan_by_key_implILNS1_25lookback_scan_determinismE0ELb0ES3_N6thrust23THRUST_200600_302600_NS6detail15normal_iteratorINS9_10device_ptrIiEEEENSB_INSC_IdEEEESG_dNS9_4plusIvEENS9_8equal_toIvEEdEE10hipError_tPvRmT2_T3_T4_T5_mT6_T7_P12ihipStream_tbENKUlT_T0_E_clISt17integral_constantIbLb1EES10_IbLb0EEEEDaSW_SX_EUlSW_E_NS1_11comp_targetILNS1_3genE8ELNS1_11target_archE1030ELNS1_3gpuE2ELNS1_3repE0EEENS1_30default_config_static_selectorELNS0_4arch9wavefront6targetE0EEEvT1_.has_indirect_call, 0
	.section	.AMDGPU.csdata,"",@progbits
; Kernel info:
; codeLenInByte = 4
; TotalNumSgprs: 0
; NumVgprs: 0
; ScratchSize: 0
; MemoryBound: 0
; FloatMode: 240
; IeeeMode: 1
; LDSByteSize: 0 bytes/workgroup (compile time only)
; SGPRBlocks: 0
; VGPRBlocks: 0
; NumSGPRsForWavesPerEU: 1
; NumVGPRsForWavesPerEU: 1
; Occupancy: 16
; WaveLimiterHint : 0
; COMPUTE_PGM_RSRC2:SCRATCH_EN: 0
; COMPUTE_PGM_RSRC2:USER_SGPR: 6
; COMPUTE_PGM_RSRC2:TRAP_HANDLER: 0
; COMPUTE_PGM_RSRC2:TGID_X_EN: 1
; COMPUTE_PGM_RSRC2:TGID_Y_EN: 0
; COMPUTE_PGM_RSRC2:TGID_Z_EN: 0
; COMPUTE_PGM_RSRC2:TIDIG_COMP_CNT: 0
	.section	.text._ZN7rocprim17ROCPRIM_400000_NS6detail30init_device_scan_by_key_kernelINS1_19lookback_scan_stateINS0_5tupleIJdbEEELb0ELb0EEEN6thrust23THRUST_200600_302600_NS6detail15normal_iteratorINS8_10device_ptrIiEEEEjNS1_16block_id_wrapperIjLb1EEEEEvT_jjPNSG_10value_typeET0_PNSt15iterator_traitsISJ_E10value_typeEmT1_T2_,"axG",@progbits,_ZN7rocprim17ROCPRIM_400000_NS6detail30init_device_scan_by_key_kernelINS1_19lookback_scan_stateINS0_5tupleIJdbEEELb0ELb0EEEN6thrust23THRUST_200600_302600_NS6detail15normal_iteratorINS8_10device_ptrIiEEEEjNS1_16block_id_wrapperIjLb1EEEEEvT_jjPNSG_10value_typeET0_PNSt15iterator_traitsISJ_E10value_typeEmT1_T2_,comdat
	.protected	_ZN7rocprim17ROCPRIM_400000_NS6detail30init_device_scan_by_key_kernelINS1_19lookback_scan_stateINS0_5tupleIJdbEEELb0ELb0EEEN6thrust23THRUST_200600_302600_NS6detail15normal_iteratorINS8_10device_ptrIiEEEEjNS1_16block_id_wrapperIjLb1EEEEEvT_jjPNSG_10value_typeET0_PNSt15iterator_traitsISJ_E10value_typeEmT1_T2_ ; -- Begin function _ZN7rocprim17ROCPRIM_400000_NS6detail30init_device_scan_by_key_kernelINS1_19lookback_scan_stateINS0_5tupleIJdbEEELb0ELb0EEEN6thrust23THRUST_200600_302600_NS6detail15normal_iteratorINS8_10device_ptrIiEEEEjNS1_16block_id_wrapperIjLb1EEEEEvT_jjPNSG_10value_typeET0_PNSt15iterator_traitsISJ_E10value_typeEmT1_T2_
	.globl	_ZN7rocprim17ROCPRIM_400000_NS6detail30init_device_scan_by_key_kernelINS1_19lookback_scan_stateINS0_5tupleIJdbEEELb0ELb0EEEN6thrust23THRUST_200600_302600_NS6detail15normal_iteratorINS8_10device_ptrIiEEEEjNS1_16block_id_wrapperIjLb1EEEEEvT_jjPNSG_10value_typeET0_PNSt15iterator_traitsISJ_E10value_typeEmT1_T2_
	.p2align	8
	.type	_ZN7rocprim17ROCPRIM_400000_NS6detail30init_device_scan_by_key_kernelINS1_19lookback_scan_stateINS0_5tupleIJdbEEELb0ELb0EEEN6thrust23THRUST_200600_302600_NS6detail15normal_iteratorINS8_10device_ptrIiEEEEjNS1_16block_id_wrapperIjLb1EEEEEvT_jjPNSG_10value_typeET0_PNSt15iterator_traitsISJ_E10value_typeEmT1_T2_,@function
_ZN7rocprim17ROCPRIM_400000_NS6detail30init_device_scan_by_key_kernelINS1_19lookback_scan_stateINS0_5tupleIJdbEEELb0ELb0EEEN6thrust23THRUST_200600_302600_NS6detail15normal_iteratorINS8_10device_ptrIiEEEEjNS1_16block_id_wrapperIjLb1EEEEEvT_jjPNSG_10value_typeET0_PNSt15iterator_traitsISJ_E10value_typeEmT1_T2_: ; @_ZN7rocprim17ROCPRIM_400000_NS6detail30init_device_scan_by_key_kernelINS1_19lookback_scan_stateINS0_5tupleIJdbEEELb0ELb0EEEN6thrust23THRUST_200600_302600_NS6detail15normal_iteratorINS8_10device_ptrIiEEEEjNS1_16block_id_wrapperIjLb1EEEEEvT_jjPNSG_10value_typeET0_PNSt15iterator_traitsISJ_E10value_typeEmT1_T2_
; %bb.0:
	s_clause 0x2
	s_load_dword s0, s[4:5], 0x5c
	s_load_dwordx8 s[8:15], s[4:5], 0x10
	s_load_dword s18, s[4:5], 0x50
	s_waitcnt lgkmcnt(0)
	s_and_b32 s19, s0, 0xffff
	s_cmp_eq_u64 s[12:13], 0
	v_mad_u64_u32 v[0:1], null, s6, s19, v[0:1]
	s_cbranch_scc1 .LBB1116_6
; %bb.1:
	s_cmp_lt_u32 s11, s10
	s_mov_b32 s7, 0
	s_cselect_b32 s0, s11, 0
	s_mov_b32 s20, exec_lo
	v_cmpx_eq_u32_e64 s0, v0
	s_cbranch_execz .LBB1116_5
; %bb.2:
	s_add_i32 s6, s11, 32
	s_load_dwordx4 s[0:3], s[4:5], 0x0
	v_mov_b32_e32 v1, s6
	s_add_u32 s16, s8, s6
	s_addc_u32 s17, s9, 0
	global_load_ubyte v2, v1, s[8:9] glc dlc
	v_mov_b32_e32 v1, 0
	s_waitcnt vmcnt(0)
	v_cmp_ne_u32_sdwa s21, v2, v1 src0_sel:WORD_0 src1_sel:DWORD
	v_readfirstlane_b32 s11, v2
	s_and_b32 vcc_lo, exec_lo, s21
	s_cbranch_vccnz .LBB1116_4
.LBB1116_3:                             ; =>This Inner Loop Header: Depth=1
	global_load_ubyte v2, v1, s[16:17] glc dlc
	s_waitcnt vmcnt(0)
	v_cmp_eq_u32_sdwa s21, v2, v1 src0_sel:WORD_0 src1_sel:DWORD
	v_readfirstlane_b32 s11, v2
	s_and_b32 vcc_lo, exec_lo, s21
	s_cbranch_vccnz .LBB1116_3
.LBB1116_4:
	s_and_b32 s11, 0xffff, s11
	v_mov_b32_e32 v3, 0
	s_cmp_eq_u32 s11, 1
	s_waitcnt lgkmcnt(0)
	buffer_gl1_inv
	buffer_gl0_inv
	s_cselect_b32 s3, s1, s3
	s_cselect_b32 s2, s0, s2
	s_lshl_b64 s[0:1], s[6:7], 4
	s_add_u32 s0, s2, s0
	s_addc_u32 s1, s3, s1
	s_clause 0x1
	global_load_dwordx2 v[1:2], v3, s[0:1]
	global_load_ubyte v4, v3, s[0:1] offset:8
	s_waitcnt vmcnt(1)
	global_store_dwordx2 v3, v[1:2], s[12:13]
	s_waitcnt vmcnt(0)
	global_store_byte v3, v4, s[12:13] offset:8
.LBB1116_5:
	s_or_b32 exec_lo, exec_lo, s20
.LBB1116_6:
	s_mov_b32 s0, exec_lo
	v_cmpx_eq_u32_e32 0, v0
	s_cbranch_execz .LBB1116_8
; %bb.7:
	s_load_dwordx2 s[2:3], s[4:5], 0x48
	v_mov_b32_e32 v1, 0
	s_waitcnt lgkmcnt(0)
	global_store_dword v1, v1, s[2:3]
.LBB1116_8:
	s_or_b32 exec_lo, exec_lo, s0
	s_mov_b32 s0, exec_lo
	v_cmpx_gt_u32_e64 s10, v0
	s_cbranch_execz .LBB1116_10
; %bb.9:
	v_add_nc_u32_e32 v1, 32, v0
	v_mov_b32_e32 v2, 0
	global_store_byte v1, v2, s[8:9]
.LBB1116_10:
	s_or_b32 exec_lo, exec_lo, s0
	v_mov_b32_e32 v1, 0
	s_mov_b32 s0, exec_lo
	v_cmpx_gt_u32_e32 32, v0
	s_cbranch_execz .LBB1116_12
; %bb.11:
	v_add_co_u32 v2, s1, s8, v0
	v_add_co_ci_u32_e64 v3, null, s9, 0, s1
	v_mov_b32_e32 v4, 0xff
	global_store_byte v[2:3], v4, off
.LBB1116_12:
	s_or_b32 exec_lo, exec_lo, s0
	s_load_dwordx2 s[2:3], s[4:5], 0x38
	s_mov_b32 s0, exec_lo
	s_waitcnt lgkmcnt(0)
	v_cmpx_gt_u64_e64 s[2:3], v[0:1]
	s_cbranch_execz .LBB1116_15
; %bb.13:
	s_clause 0x1
	s_load_dword s8, s[4:5], 0x40
	s_load_dwordx2 s[6:7], s[4:5], 0x30
	s_mov_b32 s1, 0
	v_lshlrev_b64 v[4:5], 2, v[0:1]
	s_mul_i32 s4, s18, s19
	s_waitcnt lgkmcnt(0)
	v_mad_u64_u32 v[2:3], null, s8, v0, 0
	s_add_i32 s0, s8, -1
	s_mul_hi_u32 s9, s8, s4
	s_lshl_b64 s[10:11], s[0:1], 2
	s_mul_i32 s8, s8, s4
	s_add_u32 s0, s14, s10
	s_addc_u32 s5, s15, s11
	v_lshlrev_b64 v[2:3], 2, v[2:3]
	v_add_co_u32 v2, vcc_lo, s0, v2
	v_add_co_ci_u32_e64 v3, null, s5, v3, vcc_lo
	v_add_co_u32 v4, vcc_lo, s6, v4
	v_add_co_ci_u32_e64 v5, null, s7, v5, vcc_lo
	s_mov_b32 s5, s1
	s_lshl_b64 s[6:7], s[8:9], 2
	s_lshl_b64 s[8:9], s[4:5], 2
	.p2align	6
.LBB1116_14:                            ; =>This Inner Loop Header: Depth=1
	global_load_dword v6, v[2:3], off
	v_add_co_u32 v0, vcc_lo, v0, s4
	v_add_co_ci_u32_e64 v1, null, 0, v1, vcc_lo
	v_add_co_u32 v2, vcc_lo, v2, s6
	v_add_co_ci_u32_e64 v3, null, s7, v3, vcc_lo
	v_cmp_le_u64_e32 vcc_lo, s[2:3], v[0:1]
	s_or_b32 s1, vcc_lo, s1
	s_waitcnt vmcnt(0)
	global_store_dword v[4:5], v6, off
	v_add_co_u32 v4, s0, v4, s8
	v_add_co_ci_u32_e64 v5, null, s9, v5, s0
	s_andn2_b32 exec_lo, exec_lo, s1
	s_cbranch_execnz .LBB1116_14
.LBB1116_15:
	s_endpgm
	.section	.rodata,"a",@progbits
	.p2align	6, 0x0
	.amdhsa_kernel _ZN7rocprim17ROCPRIM_400000_NS6detail30init_device_scan_by_key_kernelINS1_19lookback_scan_stateINS0_5tupleIJdbEEELb0ELb0EEEN6thrust23THRUST_200600_302600_NS6detail15normal_iteratorINS8_10device_ptrIiEEEEjNS1_16block_id_wrapperIjLb1EEEEEvT_jjPNSG_10value_typeET0_PNSt15iterator_traitsISJ_E10value_typeEmT1_T2_
		.amdhsa_group_segment_fixed_size 0
		.amdhsa_private_segment_fixed_size 0
		.amdhsa_kernarg_size 336
		.amdhsa_user_sgpr_count 6
		.amdhsa_user_sgpr_private_segment_buffer 1
		.amdhsa_user_sgpr_dispatch_ptr 0
		.amdhsa_user_sgpr_queue_ptr 0
		.amdhsa_user_sgpr_kernarg_segment_ptr 1
		.amdhsa_user_sgpr_dispatch_id 0
		.amdhsa_user_sgpr_flat_scratch_init 0
		.amdhsa_user_sgpr_private_segment_size 0
		.amdhsa_wavefront_size32 1
		.amdhsa_uses_dynamic_stack 0
		.amdhsa_system_sgpr_private_segment_wavefront_offset 0
		.amdhsa_system_sgpr_workgroup_id_x 1
		.amdhsa_system_sgpr_workgroup_id_y 0
		.amdhsa_system_sgpr_workgroup_id_z 0
		.amdhsa_system_sgpr_workgroup_info 0
		.amdhsa_system_vgpr_workitem_id 0
		.amdhsa_next_free_vgpr 7
		.amdhsa_next_free_sgpr 22
		.amdhsa_reserve_vcc 1
		.amdhsa_reserve_flat_scratch 0
		.amdhsa_float_round_mode_32 0
		.amdhsa_float_round_mode_16_64 0
		.amdhsa_float_denorm_mode_32 3
		.amdhsa_float_denorm_mode_16_64 3
		.amdhsa_dx10_clamp 1
		.amdhsa_ieee_mode 1
		.amdhsa_fp16_overflow 0
		.amdhsa_workgroup_processor_mode 1
		.amdhsa_memory_ordered 1
		.amdhsa_forward_progress 1
		.amdhsa_shared_vgpr_count 0
		.amdhsa_exception_fp_ieee_invalid_op 0
		.amdhsa_exception_fp_denorm_src 0
		.amdhsa_exception_fp_ieee_div_zero 0
		.amdhsa_exception_fp_ieee_overflow 0
		.amdhsa_exception_fp_ieee_underflow 0
		.amdhsa_exception_fp_ieee_inexact 0
		.amdhsa_exception_int_div_zero 0
	.end_amdhsa_kernel
	.section	.text._ZN7rocprim17ROCPRIM_400000_NS6detail30init_device_scan_by_key_kernelINS1_19lookback_scan_stateINS0_5tupleIJdbEEELb0ELb0EEEN6thrust23THRUST_200600_302600_NS6detail15normal_iteratorINS8_10device_ptrIiEEEEjNS1_16block_id_wrapperIjLb1EEEEEvT_jjPNSG_10value_typeET0_PNSt15iterator_traitsISJ_E10value_typeEmT1_T2_,"axG",@progbits,_ZN7rocprim17ROCPRIM_400000_NS6detail30init_device_scan_by_key_kernelINS1_19lookback_scan_stateINS0_5tupleIJdbEEELb0ELb0EEEN6thrust23THRUST_200600_302600_NS6detail15normal_iteratorINS8_10device_ptrIiEEEEjNS1_16block_id_wrapperIjLb1EEEEEvT_jjPNSG_10value_typeET0_PNSt15iterator_traitsISJ_E10value_typeEmT1_T2_,comdat
.Lfunc_end1116:
	.size	_ZN7rocprim17ROCPRIM_400000_NS6detail30init_device_scan_by_key_kernelINS1_19lookback_scan_stateINS0_5tupleIJdbEEELb0ELb0EEEN6thrust23THRUST_200600_302600_NS6detail15normal_iteratorINS8_10device_ptrIiEEEEjNS1_16block_id_wrapperIjLb1EEEEEvT_jjPNSG_10value_typeET0_PNSt15iterator_traitsISJ_E10value_typeEmT1_T2_, .Lfunc_end1116-_ZN7rocprim17ROCPRIM_400000_NS6detail30init_device_scan_by_key_kernelINS1_19lookback_scan_stateINS0_5tupleIJdbEEELb0ELb0EEEN6thrust23THRUST_200600_302600_NS6detail15normal_iteratorINS8_10device_ptrIiEEEEjNS1_16block_id_wrapperIjLb1EEEEEvT_jjPNSG_10value_typeET0_PNSt15iterator_traitsISJ_E10value_typeEmT1_T2_
                                        ; -- End function
	.set _ZN7rocprim17ROCPRIM_400000_NS6detail30init_device_scan_by_key_kernelINS1_19lookback_scan_stateINS0_5tupleIJdbEEELb0ELb0EEEN6thrust23THRUST_200600_302600_NS6detail15normal_iteratorINS8_10device_ptrIiEEEEjNS1_16block_id_wrapperIjLb1EEEEEvT_jjPNSG_10value_typeET0_PNSt15iterator_traitsISJ_E10value_typeEmT1_T2_.num_vgpr, 7
	.set _ZN7rocprim17ROCPRIM_400000_NS6detail30init_device_scan_by_key_kernelINS1_19lookback_scan_stateINS0_5tupleIJdbEEELb0ELb0EEEN6thrust23THRUST_200600_302600_NS6detail15normal_iteratorINS8_10device_ptrIiEEEEjNS1_16block_id_wrapperIjLb1EEEEEvT_jjPNSG_10value_typeET0_PNSt15iterator_traitsISJ_E10value_typeEmT1_T2_.num_agpr, 0
	.set _ZN7rocprim17ROCPRIM_400000_NS6detail30init_device_scan_by_key_kernelINS1_19lookback_scan_stateINS0_5tupleIJdbEEELb0ELb0EEEN6thrust23THRUST_200600_302600_NS6detail15normal_iteratorINS8_10device_ptrIiEEEEjNS1_16block_id_wrapperIjLb1EEEEEvT_jjPNSG_10value_typeET0_PNSt15iterator_traitsISJ_E10value_typeEmT1_T2_.numbered_sgpr, 22
	.set _ZN7rocprim17ROCPRIM_400000_NS6detail30init_device_scan_by_key_kernelINS1_19lookback_scan_stateINS0_5tupleIJdbEEELb0ELb0EEEN6thrust23THRUST_200600_302600_NS6detail15normal_iteratorINS8_10device_ptrIiEEEEjNS1_16block_id_wrapperIjLb1EEEEEvT_jjPNSG_10value_typeET0_PNSt15iterator_traitsISJ_E10value_typeEmT1_T2_.num_named_barrier, 0
	.set _ZN7rocprim17ROCPRIM_400000_NS6detail30init_device_scan_by_key_kernelINS1_19lookback_scan_stateINS0_5tupleIJdbEEELb0ELb0EEEN6thrust23THRUST_200600_302600_NS6detail15normal_iteratorINS8_10device_ptrIiEEEEjNS1_16block_id_wrapperIjLb1EEEEEvT_jjPNSG_10value_typeET0_PNSt15iterator_traitsISJ_E10value_typeEmT1_T2_.private_seg_size, 0
	.set _ZN7rocprim17ROCPRIM_400000_NS6detail30init_device_scan_by_key_kernelINS1_19lookback_scan_stateINS0_5tupleIJdbEEELb0ELb0EEEN6thrust23THRUST_200600_302600_NS6detail15normal_iteratorINS8_10device_ptrIiEEEEjNS1_16block_id_wrapperIjLb1EEEEEvT_jjPNSG_10value_typeET0_PNSt15iterator_traitsISJ_E10value_typeEmT1_T2_.uses_vcc, 1
	.set _ZN7rocprim17ROCPRIM_400000_NS6detail30init_device_scan_by_key_kernelINS1_19lookback_scan_stateINS0_5tupleIJdbEEELb0ELb0EEEN6thrust23THRUST_200600_302600_NS6detail15normal_iteratorINS8_10device_ptrIiEEEEjNS1_16block_id_wrapperIjLb1EEEEEvT_jjPNSG_10value_typeET0_PNSt15iterator_traitsISJ_E10value_typeEmT1_T2_.uses_flat_scratch, 0
	.set _ZN7rocprim17ROCPRIM_400000_NS6detail30init_device_scan_by_key_kernelINS1_19lookback_scan_stateINS0_5tupleIJdbEEELb0ELb0EEEN6thrust23THRUST_200600_302600_NS6detail15normal_iteratorINS8_10device_ptrIiEEEEjNS1_16block_id_wrapperIjLb1EEEEEvT_jjPNSG_10value_typeET0_PNSt15iterator_traitsISJ_E10value_typeEmT1_T2_.has_dyn_sized_stack, 0
	.set _ZN7rocprim17ROCPRIM_400000_NS6detail30init_device_scan_by_key_kernelINS1_19lookback_scan_stateINS0_5tupleIJdbEEELb0ELb0EEEN6thrust23THRUST_200600_302600_NS6detail15normal_iteratorINS8_10device_ptrIiEEEEjNS1_16block_id_wrapperIjLb1EEEEEvT_jjPNSG_10value_typeET0_PNSt15iterator_traitsISJ_E10value_typeEmT1_T2_.has_recursion, 0
	.set _ZN7rocprim17ROCPRIM_400000_NS6detail30init_device_scan_by_key_kernelINS1_19lookback_scan_stateINS0_5tupleIJdbEEELb0ELb0EEEN6thrust23THRUST_200600_302600_NS6detail15normal_iteratorINS8_10device_ptrIiEEEEjNS1_16block_id_wrapperIjLb1EEEEEvT_jjPNSG_10value_typeET0_PNSt15iterator_traitsISJ_E10value_typeEmT1_T2_.has_indirect_call, 0
	.section	.AMDGPU.csdata,"",@progbits
; Kernel info:
; codeLenInByte = 664
; TotalNumSgprs: 24
; NumVgprs: 7
; ScratchSize: 0
; MemoryBound: 0
; FloatMode: 240
; IeeeMode: 1
; LDSByteSize: 0 bytes/workgroup (compile time only)
; SGPRBlocks: 0
; VGPRBlocks: 0
; NumSGPRsForWavesPerEU: 24
; NumVGPRsForWavesPerEU: 7
; Occupancy: 16
; WaveLimiterHint : 0
; COMPUTE_PGM_RSRC2:SCRATCH_EN: 0
; COMPUTE_PGM_RSRC2:USER_SGPR: 6
; COMPUTE_PGM_RSRC2:TRAP_HANDLER: 0
; COMPUTE_PGM_RSRC2:TGID_X_EN: 1
; COMPUTE_PGM_RSRC2:TGID_Y_EN: 0
; COMPUTE_PGM_RSRC2:TGID_Z_EN: 0
; COMPUTE_PGM_RSRC2:TIDIG_COMP_CNT: 0
	.section	.text._ZN7rocprim17ROCPRIM_400000_NS6detail30init_device_scan_by_key_kernelINS1_19lookback_scan_stateINS0_5tupleIJdbEEELb0ELb0EEENS1_16block_id_wrapperIjLb1EEEEEvT_jjPNS9_10value_typeET0_,"axG",@progbits,_ZN7rocprim17ROCPRIM_400000_NS6detail30init_device_scan_by_key_kernelINS1_19lookback_scan_stateINS0_5tupleIJdbEEELb0ELb0EEENS1_16block_id_wrapperIjLb1EEEEEvT_jjPNS9_10value_typeET0_,comdat
	.protected	_ZN7rocprim17ROCPRIM_400000_NS6detail30init_device_scan_by_key_kernelINS1_19lookback_scan_stateINS0_5tupleIJdbEEELb0ELb0EEENS1_16block_id_wrapperIjLb1EEEEEvT_jjPNS9_10value_typeET0_ ; -- Begin function _ZN7rocprim17ROCPRIM_400000_NS6detail30init_device_scan_by_key_kernelINS1_19lookback_scan_stateINS0_5tupleIJdbEEELb0ELb0EEENS1_16block_id_wrapperIjLb1EEEEEvT_jjPNS9_10value_typeET0_
	.globl	_ZN7rocprim17ROCPRIM_400000_NS6detail30init_device_scan_by_key_kernelINS1_19lookback_scan_stateINS0_5tupleIJdbEEELb0ELb0EEENS1_16block_id_wrapperIjLb1EEEEEvT_jjPNS9_10value_typeET0_
	.p2align	8
	.type	_ZN7rocprim17ROCPRIM_400000_NS6detail30init_device_scan_by_key_kernelINS1_19lookback_scan_stateINS0_5tupleIJdbEEELb0ELb0EEENS1_16block_id_wrapperIjLb1EEEEEvT_jjPNS9_10value_typeET0_,@function
_ZN7rocprim17ROCPRIM_400000_NS6detail30init_device_scan_by_key_kernelINS1_19lookback_scan_stateINS0_5tupleIJdbEEELb0ELb0EEENS1_16block_id_wrapperIjLb1EEEEEvT_jjPNS9_10value_typeET0_: ; @_ZN7rocprim17ROCPRIM_400000_NS6detail30init_device_scan_by_key_kernelINS1_19lookback_scan_stateINS0_5tupleIJdbEEELb0ELb0EEENS1_16block_id_wrapperIjLb1EEEEEvT_jjPNS9_10value_typeET0_
; %bb.0:
	s_clause 0x1
	s_load_dword s0, s[4:5], 0x3c
	s_load_dwordx8 s[8:15], s[4:5], 0x10
	s_waitcnt lgkmcnt(0)
	s_and_b32 s0, s0, 0xffff
	s_cmp_eq_u64 s[12:13], 0
	v_mad_u64_u32 v[0:1], null, s6, s0, v[0:1]
	s_cbranch_scc1 .LBB1117_6
; %bb.1:
	s_cmp_lt_u32 s11, s10
	s_mov_b32 s7, 0
	s_cselect_b32 s0, s11, 0
	s_mov_b32 s16, exec_lo
	v_cmpx_eq_u32_e64 s0, v0
	s_cbranch_execz .LBB1117_5
; %bb.2:
	s_add_i32 s6, s11, 32
	s_load_dwordx4 s[0:3], s[4:5], 0x0
	v_mov_b32_e32 v1, s6
	s_add_u32 s4, s8, s6
	s_addc_u32 s5, s9, 0
	global_load_ubyte v2, v1, s[8:9] glc dlc
	v_mov_b32_e32 v1, 0
	s_waitcnt vmcnt(0)
	v_cmp_ne_u32_sdwa s17, v2, v1 src0_sel:WORD_0 src1_sel:DWORD
	v_readfirstlane_b32 s11, v2
	s_and_b32 vcc_lo, exec_lo, s17
	s_cbranch_vccnz .LBB1117_4
.LBB1117_3:                             ; =>This Inner Loop Header: Depth=1
	global_load_ubyte v2, v1, s[4:5] glc dlc
	s_waitcnt vmcnt(0)
	v_cmp_eq_u32_sdwa s17, v2, v1 src0_sel:WORD_0 src1_sel:DWORD
	v_readfirstlane_b32 s11, v2
	s_and_b32 vcc_lo, exec_lo, s17
	s_cbranch_vccnz .LBB1117_3
.LBB1117_4:
	s_and_b32 s4, 0xffff, s11
	v_mov_b32_e32 v3, 0
	s_cmp_eq_u32 s4, 1
	s_waitcnt lgkmcnt(0)
	buffer_gl1_inv
	buffer_gl0_inv
	s_cselect_b32 s3, s1, s3
	s_cselect_b32 s2, s0, s2
	s_lshl_b64 s[0:1], s[6:7], 4
	s_add_u32 s0, s2, s0
	s_addc_u32 s1, s3, s1
	s_clause 0x1
	global_load_dwordx2 v[1:2], v3, s[0:1]
	global_load_ubyte v4, v3, s[0:1] offset:8
	s_waitcnt vmcnt(1)
	global_store_dwordx2 v3, v[1:2], s[12:13]
	s_waitcnt vmcnt(0)
	global_store_byte v3, v4, s[12:13] offset:8
.LBB1117_5:
	s_or_b32 exec_lo, exec_lo, s16
.LBB1117_6:
	s_mov_b32 s0, exec_lo
	v_cmpx_eq_u32_e32 0, v0
	s_cbranch_execz .LBB1117_8
; %bb.7:
	v_mov_b32_e32 v1, 0
	global_store_dword v1, v1, s[14:15]
.LBB1117_8:
	s_or_b32 exec_lo, exec_lo, s0
	s_mov_b32 s0, exec_lo
	v_cmpx_gt_u32_e64 s10, v0
	s_cbranch_execz .LBB1117_10
; %bb.9:
	v_add_nc_u32_e32 v1, 32, v0
	v_mov_b32_e32 v2, 0
	global_store_byte v1, v2, s[8:9]
.LBB1117_10:
	s_or_b32 exec_lo, exec_lo, s0
	s_mov_b32 s0, exec_lo
	v_cmpx_gt_u32_e32 32, v0
	s_cbranch_execz .LBB1117_12
; %bb.11:
	v_mov_b32_e32 v1, 0xff
	global_store_byte v0, v1, s[8:9]
.LBB1117_12:
	s_endpgm
	.section	.rodata,"a",@progbits
	.p2align	6, 0x0
	.amdhsa_kernel _ZN7rocprim17ROCPRIM_400000_NS6detail30init_device_scan_by_key_kernelINS1_19lookback_scan_stateINS0_5tupleIJdbEEELb0ELb0EEENS1_16block_id_wrapperIjLb1EEEEEvT_jjPNS9_10value_typeET0_
		.amdhsa_group_segment_fixed_size 0
		.amdhsa_private_segment_fixed_size 0
		.amdhsa_kernarg_size 304
		.amdhsa_user_sgpr_count 6
		.amdhsa_user_sgpr_private_segment_buffer 1
		.amdhsa_user_sgpr_dispatch_ptr 0
		.amdhsa_user_sgpr_queue_ptr 0
		.amdhsa_user_sgpr_kernarg_segment_ptr 1
		.amdhsa_user_sgpr_dispatch_id 0
		.amdhsa_user_sgpr_flat_scratch_init 0
		.amdhsa_user_sgpr_private_segment_size 0
		.amdhsa_wavefront_size32 1
		.amdhsa_uses_dynamic_stack 0
		.amdhsa_system_sgpr_private_segment_wavefront_offset 0
		.amdhsa_system_sgpr_workgroup_id_x 1
		.amdhsa_system_sgpr_workgroup_id_y 0
		.amdhsa_system_sgpr_workgroup_id_z 0
		.amdhsa_system_sgpr_workgroup_info 0
		.amdhsa_system_vgpr_workitem_id 0
		.amdhsa_next_free_vgpr 5
		.amdhsa_next_free_sgpr 18
		.amdhsa_reserve_vcc 1
		.amdhsa_reserve_flat_scratch 0
		.amdhsa_float_round_mode_32 0
		.amdhsa_float_round_mode_16_64 0
		.amdhsa_float_denorm_mode_32 3
		.amdhsa_float_denorm_mode_16_64 3
		.amdhsa_dx10_clamp 1
		.amdhsa_ieee_mode 1
		.amdhsa_fp16_overflow 0
		.amdhsa_workgroup_processor_mode 1
		.amdhsa_memory_ordered 1
		.amdhsa_forward_progress 1
		.amdhsa_shared_vgpr_count 0
		.amdhsa_exception_fp_ieee_invalid_op 0
		.amdhsa_exception_fp_denorm_src 0
		.amdhsa_exception_fp_ieee_div_zero 0
		.amdhsa_exception_fp_ieee_overflow 0
		.amdhsa_exception_fp_ieee_underflow 0
		.amdhsa_exception_fp_ieee_inexact 0
		.amdhsa_exception_int_div_zero 0
	.end_amdhsa_kernel
	.section	.text._ZN7rocprim17ROCPRIM_400000_NS6detail30init_device_scan_by_key_kernelINS1_19lookback_scan_stateINS0_5tupleIJdbEEELb0ELb0EEENS1_16block_id_wrapperIjLb1EEEEEvT_jjPNS9_10value_typeET0_,"axG",@progbits,_ZN7rocprim17ROCPRIM_400000_NS6detail30init_device_scan_by_key_kernelINS1_19lookback_scan_stateINS0_5tupleIJdbEEELb0ELb0EEENS1_16block_id_wrapperIjLb1EEEEEvT_jjPNS9_10value_typeET0_,comdat
.Lfunc_end1117:
	.size	_ZN7rocprim17ROCPRIM_400000_NS6detail30init_device_scan_by_key_kernelINS1_19lookback_scan_stateINS0_5tupleIJdbEEELb0ELb0EEENS1_16block_id_wrapperIjLb1EEEEEvT_jjPNS9_10value_typeET0_, .Lfunc_end1117-_ZN7rocprim17ROCPRIM_400000_NS6detail30init_device_scan_by_key_kernelINS1_19lookback_scan_stateINS0_5tupleIJdbEEELb0ELb0EEENS1_16block_id_wrapperIjLb1EEEEEvT_jjPNS9_10value_typeET0_
                                        ; -- End function
	.set _ZN7rocprim17ROCPRIM_400000_NS6detail30init_device_scan_by_key_kernelINS1_19lookback_scan_stateINS0_5tupleIJdbEEELb0ELb0EEENS1_16block_id_wrapperIjLb1EEEEEvT_jjPNS9_10value_typeET0_.num_vgpr, 5
	.set _ZN7rocprim17ROCPRIM_400000_NS6detail30init_device_scan_by_key_kernelINS1_19lookback_scan_stateINS0_5tupleIJdbEEELb0ELb0EEENS1_16block_id_wrapperIjLb1EEEEEvT_jjPNS9_10value_typeET0_.num_agpr, 0
	.set _ZN7rocprim17ROCPRIM_400000_NS6detail30init_device_scan_by_key_kernelINS1_19lookback_scan_stateINS0_5tupleIJdbEEELb0ELb0EEENS1_16block_id_wrapperIjLb1EEEEEvT_jjPNS9_10value_typeET0_.numbered_sgpr, 18
	.set _ZN7rocprim17ROCPRIM_400000_NS6detail30init_device_scan_by_key_kernelINS1_19lookback_scan_stateINS0_5tupleIJdbEEELb0ELb0EEENS1_16block_id_wrapperIjLb1EEEEEvT_jjPNS9_10value_typeET0_.num_named_barrier, 0
	.set _ZN7rocprim17ROCPRIM_400000_NS6detail30init_device_scan_by_key_kernelINS1_19lookback_scan_stateINS0_5tupleIJdbEEELb0ELb0EEENS1_16block_id_wrapperIjLb1EEEEEvT_jjPNS9_10value_typeET0_.private_seg_size, 0
	.set _ZN7rocprim17ROCPRIM_400000_NS6detail30init_device_scan_by_key_kernelINS1_19lookback_scan_stateINS0_5tupleIJdbEEELb0ELb0EEENS1_16block_id_wrapperIjLb1EEEEEvT_jjPNS9_10value_typeET0_.uses_vcc, 1
	.set _ZN7rocprim17ROCPRIM_400000_NS6detail30init_device_scan_by_key_kernelINS1_19lookback_scan_stateINS0_5tupleIJdbEEELb0ELb0EEENS1_16block_id_wrapperIjLb1EEEEEvT_jjPNS9_10value_typeET0_.uses_flat_scratch, 0
	.set _ZN7rocprim17ROCPRIM_400000_NS6detail30init_device_scan_by_key_kernelINS1_19lookback_scan_stateINS0_5tupleIJdbEEELb0ELb0EEENS1_16block_id_wrapperIjLb1EEEEEvT_jjPNS9_10value_typeET0_.has_dyn_sized_stack, 0
	.set _ZN7rocprim17ROCPRIM_400000_NS6detail30init_device_scan_by_key_kernelINS1_19lookback_scan_stateINS0_5tupleIJdbEEELb0ELb0EEENS1_16block_id_wrapperIjLb1EEEEEvT_jjPNS9_10value_typeET0_.has_recursion, 0
	.set _ZN7rocprim17ROCPRIM_400000_NS6detail30init_device_scan_by_key_kernelINS1_19lookback_scan_stateINS0_5tupleIJdbEEELb0ELb0EEENS1_16block_id_wrapperIjLb1EEEEEvT_jjPNS9_10value_typeET0_.has_indirect_call, 0
	.section	.AMDGPU.csdata,"",@progbits
; Kernel info:
; codeLenInByte = 368
; TotalNumSgprs: 20
; NumVgprs: 5
; ScratchSize: 0
; MemoryBound: 0
; FloatMode: 240
; IeeeMode: 1
; LDSByteSize: 0 bytes/workgroup (compile time only)
; SGPRBlocks: 0
; VGPRBlocks: 0
; NumSGPRsForWavesPerEU: 20
; NumVGPRsForWavesPerEU: 5
; Occupancy: 16
; WaveLimiterHint : 0
; COMPUTE_PGM_RSRC2:SCRATCH_EN: 0
; COMPUTE_PGM_RSRC2:USER_SGPR: 6
; COMPUTE_PGM_RSRC2:TRAP_HANDLER: 0
; COMPUTE_PGM_RSRC2:TGID_X_EN: 1
; COMPUTE_PGM_RSRC2:TGID_Y_EN: 0
; COMPUTE_PGM_RSRC2:TGID_Z_EN: 0
; COMPUTE_PGM_RSRC2:TIDIG_COMP_CNT: 0
	.section	.text._ZN7rocprim17ROCPRIM_400000_NS6detail17trampoline_kernelINS0_14default_configENS1_27scan_by_key_config_selectorIidEEZZNS1_16scan_by_key_implILNS1_25lookback_scan_determinismE0ELb0ES3_N6thrust23THRUST_200600_302600_NS6detail15normal_iteratorINS9_10device_ptrIiEEEENSB_INSC_IdEEEESG_dNS9_4plusIvEENS9_8equal_toIvEEdEE10hipError_tPvRmT2_T3_T4_T5_mT6_T7_P12ihipStream_tbENKUlT_T0_E_clISt17integral_constantIbLb0EES10_IbLb1EEEEDaSW_SX_EUlSW_E_NS1_11comp_targetILNS1_3genE0ELNS1_11target_archE4294967295ELNS1_3gpuE0ELNS1_3repE0EEENS1_30default_config_static_selectorELNS0_4arch9wavefront6targetE0EEEvT1_,"axG",@progbits,_ZN7rocprim17ROCPRIM_400000_NS6detail17trampoline_kernelINS0_14default_configENS1_27scan_by_key_config_selectorIidEEZZNS1_16scan_by_key_implILNS1_25lookback_scan_determinismE0ELb0ES3_N6thrust23THRUST_200600_302600_NS6detail15normal_iteratorINS9_10device_ptrIiEEEENSB_INSC_IdEEEESG_dNS9_4plusIvEENS9_8equal_toIvEEdEE10hipError_tPvRmT2_T3_T4_T5_mT6_T7_P12ihipStream_tbENKUlT_T0_E_clISt17integral_constantIbLb0EES10_IbLb1EEEEDaSW_SX_EUlSW_E_NS1_11comp_targetILNS1_3genE0ELNS1_11target_archE4294967295ELNS1_3gpuE0ELNS1_3repE0EEENS1_30default_config_static_selectorELNS0_4arch9wavefront6targetE0EEEvT1_,comdat
	.protected	_ZN7rocprim17ROCPRIM_400000_NS6detail17trampoline_kernelINS0_14default_configENS1_27scan_by_key_config_selectorIidEEZZNS1_16scan_by_key_implILNS1_25lookback_scan_determinismE0ELb0ES3_N6thrust23THRUST_200600_302600_NS6detail15normal_iteratorINS9_10device_ptrIiEEEENSB_INSC_IdEEEESG_dNS9_4plusIvEENS9_8equal_toIvEEdEE10hipError_tPvRmT2_T3_T4_T5_mT6_T7_P12ihipStream_tbENKUlT_T0_E_clISt17integral_constantIbLb0EES10_IbLb1EEEEDaSW_SX_EUlSW_E_NS1_11comp_targetILNS1_3genE0ELNS1_11target_archE4294967295ELNS1_3gpuE0ELNS1_3repE0EEENS1_30default_config_static_selectorELNS0_4arch9wavefront6targetE0EEEvT1_ ; -- Begin function _ZN7rocprim17ROCPRIM_400000_NS6detail17trampoline_kernelINS0_14default_configENS1_27scan_by_key_config_selectorIidEEZZNS1_16scan_by_key_implILNS1_25lookback_scan_determinismE0ELb0ES3_N6thrust23THRUST_200600_302600_NS6detail15normal_iteratorINS9_10device_ptrIiEEEENSB_INSC_IdEEEESG_dNS9_4plusIvEENS9_8equal_toIvEEdEE10hipError_tPvRmT2_T3_T4_T5_mT6_T7_P12ihipStream_tbENKUlT_T0_E_clISt17integral_constantIbLb0EES10_IbLb1EEEEDaSW_SX_EUlSW_E_NS1_11comp_targetILNS1_3genE0ELNS1_11target_archE4294967295ELNS1_3gpuE0ELNS1_3repE0EEENS1_30default_config_static_selectorELNS0_4arch9wavefront6targetE0EEEvT1_
	.globl	_ZN7rocprim17ROCPRIM_400000_NS6detail17trampoline_kernelINS0_14default_configENS1_27scan_by_key_config_selectorIidEEZZNS1_16scan_by_key_implILNS1_25lookback_scan_determinismE0ELb0ES3_N6thrust23THRUST_200600_302600_NS6detail15normal_iteratorINS9_10device_ptrIiEEEENSB_INSC_IdEEEESG_dNS9_4plusIvEENS9_8equal_toIvEEdEE10hipError_tPvRmT2_T3_T4_T5_mT6_T7_P12ihipStream_tbENKUlT_T0_E_clISt17integral_constantIbLb0EES10_IbLb1EEEEDaSW_SX_EUlSW_E_NS1_11comp_targetILNS1_3genE0ELNS1_11target_archE4294967295ELNS1_3gpuE0ELNS1_3repE0EEENS1_30default_config_static_selectorELNS0_4arch9wavefront6targetE0EEEvT1_
	.p2align	8
	.type	_ZN7rocprim17ROCPRIM_400000_NS6detail17trampoline_kernelINS0_14default_configENS1_27scan_by_key_config_selectorIidEEZZNS1_16scan_by_key_implILNS1_25lookback_scan_determinismE0ELb0ES3_N6thrust23THRUST_200600_302600_NS6detail15normal_iteratorINS9_10device_ptrIiEEEENSB_INSC_IdEEEESG_dNS9_4plusIvEENS9_8equal_toIvEEdEE10hipError_tPvRmT2_T3_T4_T5_mT6_T7_P12ihipStream_tbENKUlT_T0_E_clISt17integral_constantIbLb0EES10_IbLb1EEEEDaSW_SX_EUlSW_E_NS1_11comp_targetILNS1_3genE0ELNS1_11target_archE4294967295ELNS1_3gpuE0ELNS1_3repE0EEENS1_30default_config_static_selectorELNS0_4arch9wavefront6targetE0EEEvT1_,@function
_ZN7rocprim17ROCPRIM_400000_NS6detail17trampoline_kernelINS0_14default_configENS1_27scan_by_key_config_selectorIidEEZZNS1_16scan_by_key_implILNS1_25lookback_scan_determinismE0ELb0ES3_N6thrust23THRUST_200600_302600_NS6detail15normal_iteratorINS9_10device_ptrIiEEEENSB_INSC_IdEEEESG_dNS9_4plusIvEENS9_8equal_toIvEEdEE10hipError_tPvRmT2_T3_T4_T5_mT6_T7_P12ihipStream_tbENKUlT_T0_E_clISt17integral_constantIbLb0EES10_IbLb1EEEEDaSW_SX_EUlSW_E_NS1_11comp_targetILNS1_3genE0ELNS1_11target_archE4294967295ELNS1_3gpuE0ELNS1_3repE0EEENS1_30default_config_static_selectorELNS0_4arch9wavefront6targetE0EEEvT1_: ; @_ZN7rocprim17ROCPRIM_400000_NS6detail17trampoline_kernelINS0_14default_configENS1_27scan_by_key_config_selectorIidEEZZNS1_16scan_by_key_implILNS1_25lookback_scan_determinismE0ELb0ES3_N6thrust23THRUST_200600_302600_NS6detail15normal_iteratorINS9_10device_ptrIiEEEENSB_INSC_IdEEEESG_dNS9_4plusIvEENS9_8equal_toIvEEdEE10hipError_tPvRmT2_T3_T4_T5_mT6_T7_P12ihipStream_tbENKUlT_T0_E_clISt17integral_constantIbLb0EES10_IbLb1EEEEDaSW_SX_EUlSW_E_NS1_11comp_targetILNS1_3genE0ELNS1_11target_archE4294967295ELNS1_3gpuE0ELNS1_3repE0EEENS1_30default_config_static_selectorELNS0_4arch9wavefront6targetE0EEEvT1_
; %bb.0:
	.section	.rodata,"a",@progbits
	.p2align	6, 0x0
	.amdhsa_kernel _ZN7rocprim17ROCPRIM_400000_NS6detail17trampoline_kernelINS0_14default_configENS1_27scan_by_key_config_selectorIidEEZZNS1_16scan_by_key_implILNS1_25lookback_scan_determinismE0ELb0ES3_N6thrust23THRUST_200600_302600_NS6detail15normal_iteratorINS9_10device_ptrIiEEEENSB_INSC_IdEEEESG_dNS9_4plusIvEENS9_8equal_toIvEEdEE10hipError_tPvRmT2_T3_T4_T5_mT6_T7_P12ihipStream_tbENKUlT_T0_E_clISt17integral_constantIbLb0EES10_IbLb1EEEEDaSW_SX_EUlSW_E_NS1_11comp_targetILNS1_3genE0ELNS1_11target_archE4294967295ELNS1_3gpuE0ELNS1_3repE0EEENS1_30default_config_static_selectorELNS0_4arch9wavefront6targetE0EEEvT1_
		.amdhsa_group_segment_fixed_size 0
		.amdhsa_private_segment_fixed_size 0
		.amdhsa_kernarg_size 136
		.amdhsa_user_sgpr_count 6
		.amdhsa_user_sgpr_private_segment_buffer 1
		.amdhsa_user_sgpr_dispatch_ptr 0
		.amdhsa_user_sgpr_queue_ptr 0
		.amdhsa_user_sgpr_kernarg_segment_ptr 1
		.amdhsa_user_sgpr_dispatch_id 0
		.amdhsa_user_sgpr_flat_scratch_init 0
		.amdhsa_user_sgpr_private_segment_size 0
		.amdhsa_wavefront_size32 1
		.amdhsa_uses_dynamic_stack 0
		.amdhsa_system_sgpr_private_segment_wavefront_offset 0
		.amdhsa_system_sgpr_workgroup_id_x 1
		.amdhsa_system_sgpr_workgroup_id_y 0
		.amdhsa_system_sgpr_workgroup_id_z 0
		.amdhsa_system_sgpr_workgroup_info 0
		.amdhsa_system_vgpr_workitem_id 0
		.amdhsa_next_free_vgpr 1
		.amdhsa_next_free_sgpr 1
		.amdhsa_reserve_vcc 0
		.amdhsa_reserve_flat_scratch 0
		.amdhsa_float_round_mode_32 0
		.amdhsa_float_round_mode_16_64 0
		.amdhsa_float_denorm_mode_32 3
		.amdhsa_float_denorm_mode_16_64 3
		.amdhsa_dx10_clamp 1
		.amdhsa_ieee_mode 1
		.amdhsa_fp16_overflow 0
		.amdhsa_workgroup_processor_mode 1
		.amdhsa_memory_ordered 1
		.amdhsa_forward_progress 1
		.amdhsa_shared_vgpr_count 0
		.amdhsa_exception_fp_ieee_invalid_op 0
		.amdhsa_exception_fp_denorm_src 0
		.amdhsa_exception_fp_ieee_div_zero 0
		.amdhsa_exception_fp_ieee_overflow 0
		.amdhsa_exception_fp_ieee_underflow 0
		.amdhsa_exception_fp_ieee_inexact 0
		.amdhsa_exception_int_div_zero 0
	.end_amdhsa_kernel
	.section	.text._ZN7rocprim17ROCPRIM_400000_NS6detail17trampoline_kernelINS0_14default_configENS1_27scan_by_key_config_selectorIidEEZZNS1_16scan_by_key_implILNS1_25lookback_scan_determinismE0ELb0ES3_N6thrust23THRUST_200600_302600_NS6detail15normal_iteratorINS9_10device_ptrIiEEEENSB_INSC_IdEEEESG_dNS9_4plusIvEENS9_8equal_toIvEEdEE10hipError_tPvRmT2_T3_T4_T5_mT6_T7_P12ihipStream_tbENKUlT_T0_E_clISt17integral_constantIbLb0EES10_IbLb1EEEEDaSW_SX_EUlSW_E_NS1_11comp_targetILNS1_3genE0ELNS1_11target_archE4294967295ELNS1_3gpuE0ELNS1_3repE0EEENS1_30default_config_static_selectorELNS0_4arch9wavefront6targetE0EEEvT1_,"axG",@progbits,_ZN7rocprim17ROCPRIM_400000_NS6detail17trampoline_kernelINS0_14default_configENS1_27scan_by_key_config_selectorIidEEZZNS1_16scan_by_key_implILNS1_25lookback_scan_determinismE0ELb0ES3_N6thrust23THRUST_200600_302600_NS6detail15normal_iteratorINS9_10device_ptrIiEEEENSB_INSC_IdEEEESG_dNS9_4plusIvEENS9_8equal_toIvEEdEE10hipError_tPvRmT2_T3_T4_T5_mT6_T7_P12ihipStream_tbENKUlT_T0_E_clISt17integral_constantIbLb0EES10_IbLb1EEEEDaSW_SX_EUlSW_E_NS1_11comp_targetILNS1_3genE0ELNS1_11target_archE4294967295ELNS1_3gpuE0ELNS1_3repE0EEENS1_30default_config_static_selectorELNS0_4arch9wavefront6targetE0EEEvT1_,comdat
.Lfunc_end1118:
	.size	_ZN7rocprim17ROCPRIM_400000_NS6detail17trampoline_kernelINS0_14default_configENS1_27scan_by_key_config_selectorIidEEZZNS1_16scan_by_key_implILNS1_25lookback_scan_determinismE0ELb0ES3_N6thrust23THRUST_200600_302600_NS6detail15normal_iteratorINS9_10device_ptrIiEEEENSB_INSC_IdEEEESG_dNS9_4plusIvEENS9_8equal_toIvEEdEE10hipError_tPvRmT2_T3_T4_T5_mT6_T7_P12ihipStream_tbENKUlT_T0_E_clISt17integral_constantIbLb0EES10_IbLb1EEEEDaSW_SX_EUlSW_E_NS1_11comp_targetILNS1_3genE0ELNS1_11target_archE4294967295ELNS1_3gpuE0ELNS1_3repE0EEENS1_30default_config_static_selectorELNS0_4arch9wavefront6targetE0EEEvT1_, .Lfunc_end1118-_ZN7rocprim17ROCPRIM_400000_NS6detail17trampoline_kernelINS0_14default_configENS1_27scan_by_key_config_selectorIidEEZZNS1_16scan_by_key_implILNS1_25lookback_scan_determinismE0ELb0ES3_N6thrust23THRUST_200600_302600_NS6detail15normal_iteratorINS9_10device_ptrIiEEEENSB_INSC_IdEEEESG_dNS9_4plusIvEENS9_8equal_toIvEEdEE10hipError_tPvRmT2_T3_T4_T5_mT6_T7_P12ihipStream_tbENKUlT_T0_E_clISt17integral_constantIbLb0EES10_IbLb1EEEEDaSW_SX_EUlSW_E_NS1_11comp_targetILNS1_3genE0ELNS1_11target_archE4294967295ELNS1_3gpuE0ELNS1_3repE0EEENS1_30default_config_static_selectorELNS0_4arch9wavefront6targetE0EEEvT1_
                                        ; -- End function
	.set _ZN7rocprim17ROCPRIM_400000_NS6detail17trampoline_kernelINS0_14default_configENS1_27scan_by_key_config_selectorIidEEZZNS1_16scan_by_key_implILNS1_25lookback_scan_determinismE0ELb0ES3_N6thrust23THRUST_200600_302600_NS6detail15normal_iteratorINS9_10device_ptrIiEEEENSB_INSC_IdEEEESG_dNS9_4plusIvEENS9_8equal_toIvEEdEE10hipError_tPvRmT2_T3_T4_T5_mT6_T7_P12ihipStream_tbENKUlT_T0_E_clISt17integral_constantIbLb0EES10_IbLb1EEEEDaSW_SX_EUlSW_E_NS1_11comp_targetILNS1_3genE0ELNS1_11target_archE4294967295ELNS1_3gpuE0ELNS1_3repE0EEENS1_30default_config_static_selectorELNS0_4arch9wavefront6targetE0EEEvT1_.num_vgpr, 0
	.set _ZN7rocprim17ROCPRIM_400000_NS6detail17trampoline_kernelINS0_14default_configENS1_27scan_by_key_config_selectorIidEEZZNS1_16scan_by_key_implILNS1_25lookback_scan_determinismE0ELb0ES3_N6thrust23THRUST_200600_302600_NS6detail15normal_iteratorINS9_10device_ptrIiEEEENSB_INSC_IdEEEESG_dNS9_4plusIvEENS9_8equal_toIvEEdEE10hipError_tPvRmT2_T3_T4_T5_mT6_T7_P12ihipStream_tbENKUlT_T0_E_clISt17integral_constantIbLb0EES10_IbLb1EEEEDaSW_SX_EUlSW_E_NS1_11comp_targetILNS1_3genE0ELNS1_11target_archE4294967295ELNS1_3gpuE0ELNS1_3repE0EEENS1_30default_config_static_selectorELNS0_4arch9wavefront6targetE0EEEvT1_.num_agpr, 0
	.set _ZN7rocprim17ROCPRIM_400000_NS6detail17trampoline_kernelINS0_14default_configENS1_27scan_by_key_config_selectorIidEEZZNS1_16scan_by_key_implILNS1_25lookback_scan_determinismE0ELb0ES3_N6thrust23THRUST_200600_302600_NS6detail15normal_iteratorINS9_10device_ptrIiEEEENSB_INSC_IdEEEESG_dNS9_4plusIvEENS9_8equal_toIvEEdEE10hipError_tPvRmT2_T3_T4_T5_mT6_T7_P12ihipStream_tbENKUlT_T0_E_clISt17integral_constantIbLb0EES10_IbLb1EEEEDaSW_SX_EUlSW_E_NS1_11comp_targetILNS1_3genE0ELNS1_11target_archE4294967295ELNS1_3gpuE0ELNS1_3repE0EEENS1_30default_config_static_selectorELNS0_4arch9wavefront6targetE0EEEvT1_.numbered_sgpr, 0
	.set _ZN7rocprim17ROCPRIM_400000_NS6detail17trampoline_kernelINS0_14default_configENS1_27scan_by_key_config_selectorIidEEZZNS1_16scan_by_key_implILNS1_25lookback_scan_determinismE0ELb0ES3_N6thrust23THRUST_200600_302600_NS6detail15normal_iteratorINS9_10device_ptrIiEEEENSB_INSC_IdEEEESG_dNS9_4plusIvEENS9_8equal_toIvEEdEE10hipError_tPvRmT2_T3_T4_T5_mT6_T7_P12ihipStream_tbENKUlT_T0_E_clISt17integral_constantIbLb0EES10_IbLb1EEEEDaSW_SX_EUlSW_E_NS1_11comp_targetILNS1_3genE0ELNS1_11target_archE4294967295ELNS1_3gpuE0ELNS1_3repE0EEENS1_30default_config_static_selectorELNS0_4arch9wavefront6targetE0EEEvT1_.num_named_barrier, 0
	.set _ZN7rocprim17ROCPRIM_400000_NS6detail17trampoline_kernelINS0_14default_configENS1_27scan_by_key_config_selectorIidEEZZNS1_16scan_by_key_implILNS1_25lookback_scan_determinismE0ELb0ES3_N6thrust23THRUST_200600_302600_NS6detail15normal_iteratorINS9_10device_ptrIiEEEENSB_INSC_IdEEEESG_dNS9_4plusIvEENS9_8equal_toIvEEdEE10hipError_tPvRmT2_T3_T4_T5_mT6_T7_P12ihipStream_tbENKUlT_T0_E_clISt17integral_constantIbLb0EES10_IbLb1EEEEDaSW_SX_EUlSW_E_NS1_11comp_targetILNS1_3genE0ELNS1_11target_archE4294967295ELNS1_3gpuE0ELNS1_3repE0EEENS1_30default_config_static_selectorELNS0_4arch9wavefront6targetE0EEEvT1_.private_seg_size, 0
	.set _ZN7rocprim17ROCPRIM_400000_NS6detail17trampoline_kernelINS0_14default_configENS1_27scan_by_key_config_selectorIidEEZZNS1_16scan_by_key_implILNS1_25lookback_scan_determinismE0ELb0ES3_N6thrust23THRUST_200600_302600_NS6detail15normal_iteratorINS9_10device_ptrIiEEEENSB_INSC_IdEEEESG_dNS9_4plusIvEENS9_8equal_toIvEEdEE10hipError_tPvRmT2_T3_T4_T5_mT6_T7_P12ihipStream_tbENKUlT_T0_E_clISt17integral_constantIbLb0EES10_IbLb1EEEEDaSW_SX_EUlSW_E_NS1_11comp_targetILNS1_3genE0ELNS1_11target_archE4294967295ELNS1_3gpuE0ELNS1_3repE0EEENS1_30default_config_static_selectorELNS0_4arch9wavefront6targetE0EEEvT1_.uses_vcc, 0
	.set _ZN7rocprim17ROCPRIM_400000_NS6detail17trampoline_kernelINS0_14default_configENS1_27scan_by_key_config_selectorIidEEZZNS1_16scan_by_key_implILNS1_25lookback_scan_determinismE0ELb0ES3_N6thrust23THRUST_200600_302600_NS6detail15normal_iteratorINS9_10device_ptrIiEEEENSB_INSC_IdEEEESG_dNS9_4plusIvEENS9_8equal_toIvEEdEE10hipError_tPvRmT2_T3_T4_T5_mT6_T7_P12ihipStream_tbENKUlT_T0_E_clISt17integral_constantIbLb0EES10_IbLb1EEEEDaSW_SX_EUlSW_E_NS1_11comp_targetILNS1_3genE0ELNS1_11target_archE4294967295ELNS1_3gpuE0ELNS1_3repE0EEENS1_30default_config_static_selectorELNS0_4arch9wavefront6targetE0EEEvT1_.uses_flat_scratch, 0
	.set _ZN7rocprim17ROCPRIM_400000_NS6detail17trampoline_kernelINS0_14default_configENS1_27scan_by_key_config_selectorIidEEZZNS1_16scan_by_key_implILNS1_25lookback_scan_determinismE0ELb0ES3_N6thrust23THRUST_200600_302600_NS6detail15normal_iteratorINS9_10device_ptrIiEEEENSB_INSC_IdEEEESG_dNS9_4plusIvEENS9_8equal_toIvEEdEE10hipError_tPvRmT2_T3_T4_T5_mT6_T7_P12ihipStream_tbENKUlT_T0_E_clISt17integral_constantIbLb0EES10_IbLb1EEEEDaSW_SX_EUlSW_E_NS1_11comp_targetILNS1_3genE0ELNS1_11target_archE4294967295ELNS1_3gpuE0ELNS1_3repE0EEENS1_30default_config_static_selectorELNS0_4arch9wavefront6targetE0EEEvT1_.has_dyn_sized_stack, 0
	.set _ZN7rocprim17ROCPRIM_400000_NS6detail17trampoline_kernelINS0_14default_configENS1_27scan_by_key_config_selectorIidEEZZNS1_16scan_by_key_implILNS1_25lookback_scan_determinismE0ELb0ES3_N6thrust23THRUST_200600_302600_NS6detail15normal_iteratorINS9_10device_ptrIiEEEENSB_INSC_IdEEEESG_dNS9_4plusIvEENS9_8equal_toIvEEdEE10hipError_tPvRmT2_T3_T4_T5_mT6_T7_P12ihipStream_tbENKUlT_T0_E_clISt17integral_constantIbLb0EES10_IbLb1EEEEDaSW_SX_EUlSW_E_NS1_11comp_targetILNS1_3genE0ELNS1_11target_archE4294967295ELNS1_3gpuE0ELNS1_3repE0EEENS1_30default_config_static_selectorELNS0_4arch9wavefront6targetE0EEEvT1_.has_recursion, 0
	.set _ZN7rocprim17ROCPRIM_400000_NS6detail17trampoline_kernelINS0_14default_configENS1_27scan_by_key_config_selectorIidEEZZNS1_16scan_by_key_implILNS1_25lookback_scan_determinismE0ELb0ES3_N6thrust23THRUST_200600_302600_NS6detail15normal_iteratorINS9_10device_ptrIiEEEENSB_INSC_IdEEEESG_dNS9_4plusIvEENS9_8equal_toIvEEdEE10hipError_tPvRmT2_T3_T4_T5_mT6_T7_P12ihipStream_tbENKUlT_T0_E_clISt17integral_constantIbLb0EES10_IbLb1EEEEDaSW_SX_EUlSW_E_NS1_11comp_targetILNS1_3genE0ELNS1_11target_archE4294967295ELNS1_3gpuE0ELNS1_3repE0EEENS1_30default_config_static_selectorELNS0_4arch9wavefront6targetE0EEEvT1_.has_indirect_call, 0
	.section	.AMDGPU.csdata,"",@progbits
; Kernel info:
; codeLenInByte = 0
; TotalNumSgprs: 0
; NumVgprs: 0
; ScratchSize: 0
; MemoryBound: 0
; FloatMode: 240
; IeeeMode: 1
; LDSByteSize: 0 bytes/workgroup (compile time only)
; SGPRBlocks: 0
; VGPRBlocks: 0
; NumSGPRsForWavesPerEU: 1
; NumVGPRsForWavesPerEU: 1
; Occupancy: 16
; WaveLimiterHint : 0
; COMPUTE_PGM_RSRC2:SCRATCH_EN: 0
; COMPUTE_PGM_RSRC2:USER_SGPR: 6
; COMPUTE_PGM_RSRC2:TRAP_HANDLER: 0
; COMPUTE_PGM_RSRC2:TGID_X_EN: 1
; COMPUTE_PGM_RSRC2:TGID_Y_EN: 0
; COMPUTE_PGM_RSRC2:TGID_Z_EN: 0
; COMPUTE_PGM_RSRC2:TIDIG_COMP_CNT: 0
	.section	.text._ZN7rocprim17ROCPRIM_400000_NS6detail17trampoline_kernelINS0_14default_configENS1_27scan_by_key_config_selectorIidEEZZNS1_16scan_by_key_implILNS1_25lookback_scan_determinismE0ELb0ES3_N6thrust23THRUST_200600_302600_NS6detail15normal_iteratorINS9_10device_ptrIiEEEENSB_INSC_IdEEEESG_dNS9_4plusIvEENS9_8equal_toIvEEdEE10hipError_tPvRmT2_T3_T4_T5_mT6_T7_P12ihipStream_tbENKUlT_T0_E_clISt17integral_constantIbLb0EES10_IbLb1EEEEDaSW_SX_EUlSW_E_NS1_11comp_targetILNS1_3genE10ELNS1_11target_archE1201ELNS1_3gpuE5ELNS1_3repE0EEENS1_30default_config_static_selectorELNS0_4arch9wavefront6targetE0EEEvT1_,"axG",@progbits,_ZN7rocprim17ROCPRIM_400000_NS6detail17trampoline_kernelINS0_14default_configENS1_27scan_by_key_config_selectorIidEEZZNS1_16scan_by_key_implILNS1_25lookback_scan_determinismE0ELb0ES3_N6thrust23THRUST_200600_302600_NS6detail15normal_iteratorINS9_10device_ptrIiEEEENSB_INSC_IdEEEESG_dNS9_4plusIvEENS9_8equal_toIvEEdEE10hipError_tPvRmT2_T3_T4_T5_mT6_T7_P12ihipStream_tbENKUlT_T0_E_clISt17integral_constantIbLb0EES10_IbLb1EEEEDaSW_SX_EUlSW_E_NS1_11comp_targetILNS1_3genE10ELNS1_11target_archE1201ELNS1_3gpuE5ELNS1_3repE0EEENS1_30default_config_static_selectorELNS0_4arch9wavefront6targetE0EEEvT1_,comdat
	.protected	_ZN7rocprim17ROCPRIM_400000_NS6detail17trampoline_kernelINS0_14default_configENS1_27scan_by_key_config_selectorIidEEZZNS1_16scan_by_key_implILNS1_25lookback_scan_determinismE0ELb0ES3_N6thrust23THRUST_200600_302600_NS6detail15normal_iteratorINS9_10device_ptrIiEEEENSB_INSC_IdEEEESG_dNS9_4plusIvEENS9_8equal_toIvEEdEE10hipError_tPvRmT2_T3_T4_T5_mT6_T7_P12ihipStream_tbENKUlT_T0_E_clISt17integral_constantIbLb0EES10_IbLb1EEEEDaSW_SX_EUlSW_E_NS1_11comp_targetILNS1_3genE10ELNS1_11target_archE1201ELNS1_3gpuE5ELNS1_3repE0EEENS1_30default_config_static_selectorELNS0_4arch9wavefront6targetE0EEEvT1_ ; -- Begin function _ZN7rocprim17ROCPRIM_400000_NS6detail17trampoline_kernelINS0_14default_configENS1_27scan_by_key_config_selectorIidEEZZNS1_16scan_by_key_implILNS1_25lookback_scan_determinismE0ELb0ES3_N6thrust23THRUST_200600_302600_NS6detail15normal_iteratorINS9_10device_ptrIiEEEENSB_INSC_IdEEEESG_dNS9_4plusIvEENS9_8equal_toIvEEdEE10hipError_tPvRmT2_T3_T4_T5_mT6_T7_P12ihipStream_tbENKUlT_T0_E_clISt17integral_constantIbLb0EES10_IbLb1EEEEDaSW_SX_EUlSW_E_NS1_11comp_targetILNS1_3genE10ELNS1_11target_archE1201ELNS1_3gpuE5ELNS1_3repE0EEENS1_30default_config_static_selectorELNS0_4arch9wavefront6targetE0EEEvT1_
	.globl	_ZN7rocprim17ROCPRIM_400000_NS6detail17trampoline_kernelINS0_14default_configENS1_27scan_by_key_config_selectorIidEEZZNS1_16scan_by_key_implILNS1_25lookback_scan_determinismE0ELb0ES3_N6thrust23THRUST_200600_302600_NS6detail15normal_iteratorINS9_10device_ptrIiEEEENSB_INSC_IdEEEESG_dNS9_4plusIvEENS9_8equal_toIvEEdEE10hipError_tPvRmT2_T3_T4_T5_mT6_T7_P12ihipStream_tbENKUlT_T0_E_clISt17integral_constantIbLb0EES10_IbLb1EEEEDaSW_SX_EUlSW_E_NS1_11comp_targetILNS1_3genE10ELNS1_11target_archE1201ELNS1_3gpuE5ELNS1_3repE0EEENS1_30default_config_static_selectorELNS0_4arch9wavefront6targetE0EEEvT1_
	.p2align	8
	.type	_ZN7rocprim17ROCPRIM_400000_NS6detail17trampoline_kernelINS0_14default_configENS1_27scan_by_key_config_selectorIidEEZZNS1_16scan_by_key_implILNS1_25lookback_scan_determinismE0ELb0ES3_N6thrust23THRUST_200600_302600_NS6detail15normal_iteratorINS9_10device_ptrIiEEEENSB_INSC_IdEEEESG_dNS9_4plusIvEENS9_8equal_toIvEEdEE10hipError_tPvRmT2_T3_T4_T5_mT6_T7_P12ihipStream_tbENKUlT_T0_E_clISt17integral_constantIbLb0EES10_IbLb1EEEEDaSW_SX_EUlSW_E_NS1_11comp_targetILNS1_3genE10ELNS1_11target_archE1201ELNS1_3gpuE5ELNS1_3repE0EEENS1_30default_config_static_selectorELNS0_4arch9wavefront6targetE0EEEvT1_,@function
_ZN7rocprim17ROCPRIM_400000_NS6detail17trampoline_kernelINS0_14default_configENS1_27scan_by_key_config_selectorIidEEZZNS1_16scan_by_key_implILNS1_25lookback_scan_determinismE0ELb0ES3_N6thrust23THRUST_200600_302600_NS6detail15normal_iteratorINS9_10device_ptrIiEEEENSB_INSC_IdEEEESG_dNS9_4plusIvEENS9_8equal_toIvEEdEE10hipError_tPvRmT2_T3_T4_T5_mT6_T7_P12ihipStream_tbENKUlT_T0_E_clISt17integral_constantIbLb0EES10_IbLb1EEEEDaSW_SX_EUlSW_E_NS1_11comp_targetILNS1_3genE10ELNS1_11target_archE1201ELNS1_3gpuE5ELNS1_3repE0EEENS1_30default_config_static_selectorELNS0_4arch9wavefront6targetE0EEEvT1_: ; @_ZN7rocprim17ROCPRIM_400000_NS6detail17trampoline_kernelINS0_14default_configENS1_27scan_by_key_config_selectorIidEEZZNS1_16scan_by_key_implILNS1_25lookback_scan_determinismE0ELb0ES3_N6thrust23THRUST_200600_302600_NS6detail15normal_iteratorINS9_10device_ptrIiEEEENSB_INSC_IdEEEESG_dNS9_4plusIvEENS9_8equal_toIvEEdEE10hipError_tPvRmT2_T3_T4_T5_mT6_T7_P12ihipStream_tbENKUlT_T0_E_clISt17integral_constantIbLb0EES10_IbLb1EEEEDaSW_SX_EUlSW_E_NS1_11comp_targetILNS1_3genE10ELNS1_11target_archE1201ELNS1_3gpuE5ELNS1_3repE0EEENS1_30default_config_static_selectorELNS0_4arch9wavefront6targetE0EEEvT1_
; %bb.0:
	.section	.rodata,"a",@progbits
	.p2align	6, 0x0
	.amdhsa_kernel _ZN7rocprim17ROCPRIM_400000_NS6detail17trampoline_kernelINS0_14default_configENS1_27scan_by_key_config_selectorIidEEZZNS1_16scan_by_key_implILNS1_25lookback_scan_determinismE0ELb0ES3_N6thrust23THRUST_200600_302600_NS6detail15normal_iteratorINS9_10device_ptrIiEEEENSB_INSC_IdEEEESG_dNS9_4plusIvEENS9_8equal_toIvEEdEE10hipError_tPvRmT2_T3_T4_T5_mT6_T7_P12ihipStream_tbENKUlT_T0_E_clISt17integral_constantIbLb0EES10_IbLb1EEEEDaSW_SX_EUlSW_E_NS1_11comp_targetILNS1_3genE10ELNS1_11target_archE1201ELNS1_3gpuE5ELNS1_3repE0EEENS1_30default_config_static_selectorELNS0_4arch9wavefront6targetE0EEEvT1_
		.amdhsa_group_segment_fixed_size 0
		.amdhsa_private_segment_fixed_size 0
		.amdhsa_kernarg_size 136
		.amdhsa_user_sgpr_count 6
		.amdhsa_user_sgpr_private_segment_buffer 1
		.amdhsa_user_sgpr_dispatch_ptr 0
		.amdhsa_user_sgpr_queue_ptr 0
		.amdhsa_user_sgpr_kernarg_segment_ptr 1
		.amdhsa_user_sgpr_dispatch_id 0
		.amdhsa_user_sgpr_flat_scratch_init 0
		.amdhsa_user_sgpr_private_segment_size 0
		.amdhsa_wavefront_size32 1
		.amdhsa_uses_dynamic_stack 0
		.amdhsa_system_sgpr_private_segment_wavefront_offset 0
		.amdhsa_system_sgpr_workgroup_id_x 1
		.amdhsa_system_sgpr_workgroup_id_y 0
		.amdhsa_system_sgpr_workgroup_id_z 0
		.amdhsa_system_sgpr_workgroup_info 0
		.amdhsa_system_vgpr_workitem_id 0
		.amdhsa_next_free_vgpr 1
		.amdhsa_next_free_sgpr 1
		.amdhsa_reserve_vcc 0
		.amdhsa_reserve_flat_scratch 0
		.amdhsa_float_round_mode_32 0
		.amdhsa_float_round_mode_16_64 0
		.amdhsa_float_denorm_mode_32 3
		.amdhsa_float_denorm_mode_16_64 3
		.amdhsa_dx10_clamp 1
		.amdhsa_ieee_mode 1
		.amdhsa_fp16_overflow 0
		.amdhsa_workgroup_processor_mode 1
		.amdhsa_memory_ordered 1
		.amdhsa_forward_progress 1
		.amdhsa_shared_vgpr_count 0
		.amdhsa_exception_fp_ieee_invalid_op 0
		.amdhsa_exception_fp_denorm_src 0
		.amdhsa_exception_fp_ieee_div_zero 0
		.amdhsa_exception_fp_ieee_overflow 0
		.amdhsa_exception_fp_ieee_underflow 0
		.amdhsa_exception_fp_ieee_inexact 0
		.amdhsa_exception_int_div_zero 0
	.end_amdhsa_kernel
	.section	.text._ZN7rocprim17ROCPRIM_400000_NS6detail17trampoline_kernelINS0_14default_configENS1_27scan_by_key_config_selectorIidEEZZNS1_16scan_by_key_implILNS1_25lookback_scan_determinismE0ELb0ES3_N6thrust23THRUST_200600_302600_NS6detail15normal_iteratorINS9_10device_ptrIiEEEENSB_INSC_IdEEEESG_dNS9_4plusIvEENS9_8equal_toIvEEdEE10hipError_tPvRmT2_T3_T4_T5_mT6_T7_P12ihipStream_tbENKUlT_T0_E_clISt17integral_constantIbLb0EES10_IbLb1EEEEDaSW_SX_EUlSW_E_NS1_11comp_targetILNS1_3genE10ELNS1_11target_archE1201ELNS1_3gpuE5ELNS1_3repE0EEENS1_30default_config_static_selectorELNS0_4arch9wavefront6targetE0EEEvT1_,"axG",@progbits,_ZN7rocprim17ROCPRIM_400000_NS6detail17trampoline_kernelINS0_14default_configENS1_27scan_by_key_config_selectorIidEEZZNS1_16scan_by_key_implILNS1_25lookback_scan_determinismE0ELb0ES3_N6thrust23THRUST_200600_302600_NS6detail15normal_iteratorINS9_10device_ptrIiEEEENSB_INSC_IdEEEESG_dNS9_4plusIvEENS9_8equal_toIvEEdEE10hipError_tPvRmT2_T3_T4_T5_mT6_T7_P12ihipStream_tbENKUlT_T0_E_clISt17integral_constantIbLb0EES10_IbLb1EEEEDaSW_SX_EUlSW_E_NS1_11comp_targetILNS1_3genE10ELNS1_11target_archE1201ELNS1_3gpuE5ELNS1_3repE0EEENS1_30default_config_static_selectorELNS0_4arch9wavefront6targetE0EEEvT1_,comdat
.Lfunc_end1119:
	.size	_ZN7rocprim17ROCPRIM_400000_NS6detail17trampoline_kernelINS0_14default_configENS1_27scan_by_key_config_selectorIidEEZZNS1_16scan_by_key_implILNS1_25lookback_scan_determinismE0ELb0ES3_N6thrust23THRUST_200600_302600_NS6detail15normal_iteratorINS9_10device_ptrIiEEEENSB_INSC_IdEEEESG_dNS9_4plusIvEENS9_8equal_toIvEEdEE10hipError_tPvRmT2_T3_T4_T5_mT6_T7_P12ihipStream_tbENKUlT_T0_E_clISt17integral_constantIbLb0EES10_IbLb1EEEEDaSW_SX_EUlSW_E_NS1_11comp_targetILNS1_3genE10ELNS1_11target_archE1201ELNS1_3gpuE5ELNS1_3repE0EEENS1_30default_config_static_selectorELNS0_4arch9wavefront6targetE0EEEvT1_, .Lfunc_end1119-_ZN7rocprim17ROCPRIM_400000_NS6detail17trampoline_kernelINS0_14default_configENS1_27scan_by_key_config_selectorIidEEZZNS1_16scan_by_key_implILNS1_25lookback_scan_determinismE0ELb0ES3_N6thrust23THRUST_200600_302600_NS6detail15normal_iteratorINS9_10device_ptrIiEEEENSB_INSC_IdEEEESG_dNS9_4plusIvEENS9_8equal_toIvEEdEE10hipError_tPvRmT2_T3_T4_T5_mT6_T7_P12ihipStream_tbENKUlT_T0_E_clISt17integral_constantIbLb0EES10_IbLb1EEEEDaSW_SX_EUlSW_E_NS1_11comp_targetILNS1_3genE10ELNS1_11target_archE1201ELNS1_3gpuE5ELNS1_3repE0EEENS1_30default_config_static_selectorELNS0_4arch9wavefront6targetE0EEEvT1_
                                        ; -- End function
	.set _ZN7rocprim17ROCPRIM_400000_NS6detail17trampoline_kernelINS0_14default_configENS1_27scan_by_key_config_selectorIidEEZZNS1_16scan_by_key_implILNS1_25lookback_scan_determinismE0ELb0ES3_N6thrust23THRUST_200600_302600_NS6detail15normal_iteratorINS9_10device_ptrIiEEEENSB_INSC_IdEEEESG_dNS9_4plusIvEENS9_8equal_toIvEEdEE10hipError_tPvRmT2_T3_T4_T5_mT6_T7_P12ihipStream_tbENKUlT_T0_E_clISt17integral_constantIbLb0EES10_IbLb1EEEEDaSW_SX_EUlSW_E_NS1_11comp_targetILNS1_3genE10ELNS1_11target_archE1201ELNS1_3gpuE5ELNS1_3repE0EEENS1_30default_config_static_selectorELNS0_4arch9wavefront6targetE0EEEvT1_.num_vgpr, 0
	.set _ZN7rocprim17ROCPRIM_400000_NS6detail17trampoline_kernelINS0_14default_configENS1_27scan_by_key_config_selectorIidEEZZNS1_16scan_by_key_implILNS1_25lookback_scan_determinismE0ELb0ES3_N6thrust23THRUST_200600_302600_NS6detail15normal_iteratorINS9_10device_ptrIiEEEENSB_INSC_IdEEEESG_dNS9_4plusIvEENS9_8equal_toIvEEdEE10hipError_tPvRmT2_T3_T4_T5_mT6_T7_P12ihipStream_tbENKUlT_T0_E_clISt17integral_constantIbLb0EES10_IbLb1EEEEDaSW_SX_EUlSW_E_NS1_11comp_targetILNS1_3genE10ELNS1_11target_archE1201ELNS1_3gpuE5ELNS1_3repE0EEENS1_30default_config_static_selectorELNS0_4arch9wavefront6targetE0EEEvT1_.num_agpr, 0
	.set _ZN7rocprim17ROCPRIM_400000_NS6detail17trampoline_kernelINS0_14default_configENS1_27scan_by_key_config_selectorIidEEZZNS1_16scan_by_key_implILNS1_25lookback_scan_determinismE0ELb0ES3_N6thrust23THRUST_200600_302600_NS6detail15normal_iteratorINS9_10device_ptrIiEEEENSB_INSC_IdEEEESG_dNS9_4plusIvEENS9_8equal_toIvEEdEE10hipError_tPvRmT2_T3_T4_T5_mT6_T7_P12ihipStream_tbENKUlT_T0_E_clISt17integral_constantIbLb0EES10_IbLb1EEEEDaSW_SX_EUlSW_E_NS1_11comp_targetILNS1_3genE10ELNS1_11target_archE1201ELNS1_3gpuE5ELNS1_3repE0EEENS1_30default_config_static_selectorELNS0_4arch9wavefront6targetE0EEEvT1_.numbered_sgpr, 0
	.set _ZN7rocprim17ROCPRIM_400000_NS6detail17trampoline_kernelINS0_14default_configENS1_27scan_by_key_config_selectorIidEEZZNS1_16scan_by_key_implILNS1_25lookback_scan_determinismE0ELb0ES3_N6thrust23THRUST_200600_302600_NS6detail15normal_iteratorINS9_10device_ptrIiEEEENSB_INSC_IdEEEESG_dNS9_4plusIvEENS9_8equal_toIvEEdEE10hipError_tPvRmT2_T3_T4_T5_mT6_T7_P12ihipStream_tbENKUlT_T0_E_clISt17integral_constantIbLb0EES10_IbLb1EEEEDaSW_SX_EUlSW_E_NS1_11comp_targetILNS1_3genE10ELNS1_11target_archE1201ELNS1_3gpuE5ELNS1_3repE0EEENS1_30default_config_static_selectorELNS0_4arch9wavefront6targetE0EEEvT1_.num_named_barrier, 0
	.set _ZN7rocprim17ROCPRIM_400000_NS6detail17trampoline_kernelINS0_14default_configENS1_27scan_by_key_config_selectorIidEEZZNS1_16scan_by_key_implILNS1_25lookback_scan_determinismE0ELb0ES3_N6thrust23THRUST_200600_302600_NS6detail15normal_iteratorINS9_10device_ptrIiEEEENSB_INSC_IdEEEESG_dNS9_4plusIvEENS9_8equal_toIvEEdEE10hipError_tPvRmT2_T3_T4_T5_mT6_T7_P12ihipStream_tbENKUlT_T0_E_clISt17integral_constantIbLb0EES10_IbLb1EEEEDaSW_SX_EUlSW_E_NS1_11comp_targetILNS1_3genE10ELNS1_11target_archE1201ELNS1_3gpuE5ELNS1_3repE0EEENS1_30default_config_static_selectorELNS0_4arch9wavefront6targetE0EEEvT1_.private_seg_size, 0
	.set _ZN7rocprim17ROCPRIM_400000_NS6detail17trampoline_kernelINS0_14default_configENS1_27scan_by_key_config_selectorIidEEZZNS1_16scan_by_key_implILNS1_25lookback_scan_determinismE0ELb0ES3_N6thrust23THRUST_200600_302600_NS6detail15normal_iteratorINS9_10device_ptrIiEEEENSB_INSC_IdEEEESG_dNS9_4plusIvEENS9_8equal_toIvEEdEE10hipError_tPvRmT2_T3_T4_T5_mT6_T7_P12ihipStream_tbENKUlT_T0_E_clISt17integral_constantIbLb0EES10_IbLb1EEEEDaSW_SX_EUlSW_E_NS1_11comp_targetILNS1_3genE10ELNS1_11target_archE1201ELNS1_3gpuE5ELNS1_3repE0EEENS1_30default_config_static_selectorELNS0_4arch9wavefront6targetE0EEEvT1_.uses_vcc, 0
	.set _ZN7rocprim17ROCPRIM_400000_NS6detail17trampoline_kernelINS0_14default_configENS1_27scan_by_key_config_selectorIidEEZZNS1_16scan_by_key_implILNS1_25lookback_scan_determinismE0ELb0ES3_N6thrust23THRUST_200600_302600_NS6detail15normal_iteratorINS9_10device_ptrIiEEEENSB_INSC_IdEEEESG_dNS9_4plusIvEENS9_8equal_toIvEEdEE10hipError_tPvRmT2_T3_T4_T5_mT6_T7_P12ihipStream_tbENKUlT_T0_E_clISt17integral_constantIbLb0EES10_IbLb1EEEEDaSW_SX_EUlSW_E_NS1_11comp_targetILNS1_3genE10ELNS1_11target_archE1201ELNS1_3gpuE5ELNS1_3repE0EEENS1_30default_config_static_selectorELNS0_4arch9wavefront6targetE0EEEvT1_.uses_flat_scratch, 0
	.set _ZN7rocprim17ROCPRIM_400000_NS6detail17trampoline_kernelINS0_14default_configENS1_27scan_by_key_config_selectorIidEEZZNS1_16scan_by_key_implILNS1_25lookback_scan_determinismE0ELb0ES3_N6thrust23THRUST_200600_302600_NS6detail15normal_iteratorINS9_10device_ptrIiEEEENSB_INSC_IdEEEESG_dNS9_4plusIvEENS9_8equal_toIvEEdEE10hipError_tPvRmT2_T3_T4_T5_mT6_T7_P12ihipStream_tbENKUlT_T0_E_clISt17integral_constantIbLb0EES10_IbLb1EEEEDaSW_SX_EUlSW_E_NS1_11comp_targetILNS1_3genE10ELNS1_11target_archE1201ELNS1_3gpuE5ELNS1_3repE0EEENS1_30default_config_static_selectorELNS0_4arch9wavefront6targetE0EEEvT1_.has_dyn_sized_stack, 0
	.set _ZN7rocprim17ROCPRIM_400000_NS6detail17trampoline_kernelINS0_14default_configENS1_27scan_by_key_config_selectorIidEEZZNS1_16scan_by_key_implILNS1_25lookback_scan_determinismE0ELb0ES3_N6thrust23THRUST_200600_302600_NS6detail15normal_iteratorINS9_10device_ptrIiEEEENSB_INSC_IdEEEESG_dNS9_4plusIvEENS9_8equal_toIvEEdEE10hipError_tPvRmT2_T3_T4_T5_mT6_T7_P12ihipStream_tbENKUlT_T0_E_clISt17integral_constantIbLb0EES10_IbLb1EEEEDaSW_SX_EUlSW_E_NS1_11comp_targetILNS1_3genE10ELNS1_11target_archE1201ELNS1_3gpuE5ELNS1_3repE0EEENS1_30default_config_static_selectorELNS0_4arch9wavefront6targetE0EEEvT1_.has_recursion, 0
	.set _ZN7rocprim17ROCPRIM_400000_NS6detail17trampoline_kernelINS0_14default_configENS1_27scan_by_key_config_selectorIidEEZZNS1_16scan_by_key_implILNS1_25lookback_scan_determinismE0ELb0ES3_N6thrust23THRUST_200600_302600_NS6detail15normal_iteratorINS9_10device_ptrIiEEEENSB_INSC_IdEEEESG_dNS9_4plusIvEENS9_8equal_toIvEEdEE10hipError_tPvRmT2_T3_T4_T5_mT6_T7_P12ihipStream_tbENKUlT_T0_E_clISt17integral_constantIbLb0EES10_IbLb1EEEEDaSW_SX_EUlSW_E_NS1_11comp_targetILNS1_3genE10ELNS1_11target_archE1201ELNS1_3gpuE5ELNS1_3repE0EEENS1_30default_config_static_selectorELNS0_4arch9wavefront6targetE0EEEvT1_.has_indirect_call, 0
	.section	.AMDGPU.csdata,"",@progbits
; Kernel info:
; codeLenInByte = 0
; TotalNumSgprs: 0
; NumVgprs: 0
; ScratchSize: 0
; MemoryBound: 0
; FloatMode: 240
; IeeeMode: 1
; LDSByteSize: 0 bytes/workgroup (compile time only)
; SGPRBlocks: 0
; VGPRBlocks: 0
; NumSGPRsForWavesPerEU: 1
; NumVGPRsForWavesPerEU: 1
; Occupancy: 16
; WaveLimiterHint : 0
; COMPUTE_PGM_RSRC2:SCRATCH_EN: 0
; COMPUTE_PGM_RSRC2:USER_SGPR: 6
; COMPUTE_PGM_RSRC2:TRAP_HANDLER: 0
; COMPUTE_PGM_RSRC2:TGID_X_EN: 1
; COMPUTE_PGM_RSRC2:TGID_Y_EN: 0
; COMPUTE_PGM_RSRC2:TGID_Z_EN: 0
; COMPUTE_PGM_RSRC2:TIDIG_COMP_CNT: 0
	.section	.text._ZN7rocprim17ROCPRIM_400000_NS6detail17trampoline_kernelINS0_14default_configENS1_27scan_by_key_config_selectorIidEEZZNS1_16scan_by_key_implILNS1_25lookback_scan_determinismE0ELb0ES3_N6thrust23THRUST_200600_302600_NS6detail15normal_iteratorINS9_10device_ptrIiEEEENSB_INSC_IdEEEESG_dNS9_4plusIvEENS9_8equal_toIvEEdEE10hipError_tPvRmT2_T3_T4_T5_mT6_T7_P12ihipStream_tbENKUlT_T0_E_clISt17integral_constantIbLb0EES10_IbLb1EEEEDaSW_SX_EUlSW_E_NS1_11comp_targetILNS1_3genE5ELNS1_11target_archE942ELNS1_3gpuE9ELNS1_3repE0EEENS1_30default_config_static_selectorELNS0_4arch9wavefront6targetE0EEEvT1_,"axG",@progbits,_ZN7rocprim17ROCPRIM_400000_NS6detail17trampoline_kernelINS0_14default_configENS1_27scan_by_key_config_selectorIidEEZZNS1_16scan_by_key_implILNS1_25lookback_scan_determinismE0ELb0ES3_N6thrust23THRUST_200600_302600_NS6detail15normal_iteratorINS9_10device_ptrIiEEEENSB_INSC_IdEEEESG_dNS9_4plusIvEENS9_8equal_toIvEEdEE10hipError_tPvRmT2_T3_T4_T5_mT6_T7_P12ihipStream_tbENKUlT_T0_E_clISt17integral_constantIbLb0EES10_IbLb1EEEEDaSW_SX_EUlSW_E_NS1_11comp_targetILNS1_3genE5ELNS1_11target_archE942ELNS1_3gpuE9ELNS1_3repE0EEENS1_30default_config_static_selectorELNS0_4arch9wavefront6targetE0EEEvT1_,comdat
	.protected	_ZN7rocprim17ROCPRIM_400000_NS6detail17trampoline_kernelINS0_14default_configENS1_27scan_by_key_config_selectorIidEEZZNS1_16scan_by_key_implILNS1_25lookback_scan_determinismE0ELb0ES3_N6thrust23THRUST_200600_302600_NS6detail15normal_iteratorINS9_10device_ptrIiEEEENSB_INSC_IdEEEESG_dNS9_4plusIvEENS9_8equal_toIvEEdEE10hipError_tPvRmT2_T3_T4_T5_mT6_T7_P12ihipStream_tbENKUlT_T0_E_clISt17integral_constantIbLb0EES10_IbLb1EEEEDaSW_SX_EUlSW_E_NS1_11comp_targetILNS1_3genE5ELNS1_11target_archE942ELNS1_3gpuE9ELNS1_3repE0EEENS1_30default_config_static_selectorELNS0_4arch9wavefront6targetE0EEEvT1_ ; -- Begin function _ZN7rocprim17ROCPRIM_400000_NS6detail17trampoline_kernelINS0_14default_configENS1_27scan_by_key_config_selectorIidEEZZNS1_16scan_by_key_implILNS1_25lookback_scan_determinismE0ELb0ES3_N6thrust23THRUST_200600_302600_NS6detail15normal_iteratorINS9_10device_ptrIiEEEENSB_INSC_IdEEEESG_dNS9_4plusIvEENS9_8equal_toIvEEdEE10hipError_tPvRmT2_T3_T4_T5_mT6_T7_P12ihipStream_tbENKUlT_T0_E_clISt17integral_constantIbLb0EES10_IbLb1EEEEDaSW_SX_EUlSW_E_NS1_11comp_targetILNS1_3genE5ELNS1_11target_archE942ELNS1_3gpuE9ELNS1_3repE0EEENS1_30default_config_static_selectorELNS0_4arch9wavefront6targetE0EEEvT1_
	.globl	_ZN7rocprim17ROCPRIM_400000_NS6detail17trampoline_kernelINS0_14default_configENS1_27scan_by_key_config_selectorIidEEZZNS1_16scan_by_key_implILNS1_25lookback_scan_determinismE0ELb0ES3_N6thrust23THRUST_200600_302600_NS6detail15normal_iteratorINS9_10device_ptrIiEEEENSB_INSC_IdEEEESG_dNS9_4plusIvEENS9_8equal_toIvEEdEE10hipError_tPvRmT2_T3_T4_T5_mT6_T7_P12ihipStream_tbENKUlT_T0_E_clISt17integral_constantIbLb0EES10_IbLb1EEEEDaSW_SX_EUlSW_E_NS1_11comp_targetILNS1_3genE5ELNS1_11target_archE942ELNS1_3gpuE9ELNS1_3repE0EEENS1_30default_config_static_selectorELNS0_4arch9wavefront6targetE0EEEvT1_
	.p2align	8
	.type	_ZN7rocprim17ROCPRIM_400000_NS6detail17trampoline_kernelINS0_14default_configENS1_27scan_by_key_config_selectorIidEEZZNS1_16scan_by_key_implILNS1_25lookback_scan_determinismE0ELb0ES3_N6thrust23THRUST_200600_302600_NS6detail15normal_iteratorINS9_10device_ptrIiEEEENSB_INSC_IdEEEESG_dNS9_4plusIvEENS9_8equal_toIvEEdEE10hipError_tPvRmT2_T3_T4_T5_mT6_T7_P12ihipStream_tbENKUlT_T0_E_clISt17integral_constantIbLb0EES10_IbLb1EEEEDaSW_SX_EUlSW_E_NS1_11comp_targetILNS1_3genE5ELNS1_11target_archE942ELNS1_3gpuE9ELNS1_3repE0EEENS1_30default_config_static_selectorELNS0_4arch9wavefront6targetE0EEEvT1_,@function
_ZN7rocprim17ROCPRIM_400000_NS6detail17trampoline_kernelINS0_14default_configENS1_27scan_by_key_config_selectorIidEEZZNS1_16scan_by_key_implILNS1_25lookback_scan_determinismE0ELb0ES3_N6thrust23THRUST_200600_302600_NS6detail15normal_iteratorINS9_10device_ptrIiEEEENSB_INSC_IdEEEESG_dNS9_4plusIvEENS9_8equal_toIvEEdEE10hipError_tPvRmT2_T3_T4_T5_mT6_T7_P12ihipStream_tbENKUlT_T0_E_clISt17integral_constantIbLb0EES10_IbLb1EEEEDaSW_SX_EUlSW_E_NS1_11comp_targetILNS1_3genE5ELNS1_11target_archE942ELNS1_3gpuE9ELNS1_3repE0EEENS1_30default_config_static_selectorELNS0_4arch9wavefront6targetE0EEEvT1_: ; @_ZN7rocprim17ROCPRIM_400000_NS6detail17trampoline_kernelINS0_14default_configENS1_27scan_by_key_config_selectorIidEEZZNS1_16scan_by_key_implILNS1_25lookback_scan_determinismE0ELb0ES3_N6thrust23THRUST_200600_302600_NS6detail15normal_iteratorINS9_10device_ptrIiEEEENSB_INSC_IdEEEESG_dNS9_4plusIvEENS9_8equal_toIvEEdEE10hipError_tPvRmT2_T3_T4_T5_mT6_T7_P12ihipStream_tbENKUlT_T0_E_clISt17integral_constantIbLb0EES10_IbLb1EEEEDaSW_SX_EUlSW_E_NS1_11comp_targetILNS1_3genE5ELNS1_11target_archE942ELNS1_3gpuE9ELNS1_3repE0EEENS1_30default_config_static_selectorELNS0_4arch9wavefront6targetE0EEEvT1_
; %bb.0:
	.section	.rodata,"a",@progbits
	.p2align	6, 0x0
	.amdhsa_kernel _ZN7rocprim17ROCPRIM_400000_NS6detail17trampoline_kernelINS0_14default_configENS1_27scan_by_key_config_selectorIidEEZZNS1_16scan_by_key_implILNS1_25lookback_scan_determinismE0ELb0ES3_N6thrust23THRUST_200600_302600_NS6detail15normal_iteratorINS9_10device_ptrIiEEEENSB_INSC_IdEEEESG_dNS9_4plusIvEENS9_8equal_toIvEEdEE10hipError_tPvRmT2_T3_T4_T5_mT6_T7_P12ihipStream_tbENKUlT_T0_E_clISt17integral_constantIbLb0EES10_IbLb1EEEEDaSW_SX_EUlSW_E_NS1_11comp_targetILNS1_3genE5ELNS1_11target_archE942ELNS1_3gpuE9ELNS1_3repE0EEENS1_30default_config_static_selectorELNS0_4arch9wavefront6targetE0EEEvT1_
		.amdhsa_group_segment_fixed_size 0
		.amdhsa_private_segment_fixed_size 0
		.amdhsa_kernarg_size 136
		.amdhsa_user_sgpr_count 6
		.amdhsa_user_sgpr_private_segment_buffer 1
		.amdhsa_user_sgpr_dispatch_ptr 0
		.amdhsa_user_sgpr_queue_ptr 0
		.amdhsa_user_sgpr_kernarg_segment_ptr 1
		.amdhsa_user_sgpr_dispatch_id 0
		.amdhsa_user_sgpr_flat_scratch_init 0
		.amdhsa_user_sgpr_private_segment_size 0
		.amdhsa_wavefront_size32 1
		.amdhsa_uses_dynamic_stack 0
		.amdhsa_system_sgpr_private_segment_wavefront_offset 0
		.amdhsa_system_sgpr_workgroup_id_x 1
		.amdhsa_system_sgpr_workgroup_id_y 0
		.amdhsa_system_sgpr_workgroup_id_z 0
		.amdhsa_system_sgpr_workgroup_info 0
		.amdhsa_system_vgpr_workitem_id 0
		.amdhsa_next_free_vgpr 1
		.amdhsa_next_free_sgpr 1
		.amdhsa_reserve_vcc 0
		.amdhsa_reserve_flat_scratch 0
		.amdhsa_float_round_mode_32 0
		.amdhsa_float_round_mode_16_64 0
		.amdhsa_float_denorm_mode_32 3
		.amdhsa_float_denorm_mode_16_64 3
		.amdhsa_dx10_clamp 1
		.amdhsa_ieee_mode 1
		.amdhsa_fp16_overflow 0
		.amdhsa_workgroup_processor_mode 1
		.amdhsa_memory_ordered 1
		.amdhsa_forward_progress 1
		.amdhsa_shared_vgpr_count 0
		.amdhsa_exception_fp_ieee_invalid_op 0
		.amdhsa_exception_fp_denorm_src 0
		.amdhsa_exception_fp_ieee_div_zero 0
		.amdhsa_exception_fp_ieee_overflow 0
		.amdhsa_exception_fp_ieee_underflow 0
		.amdhsa_exception_fp_ieee_inexact 0
		.amdhsa_exception_int_div_zero 0
	.end_amdhsa_kernel
	.section	.text._ZN7rocprim17ROCPRIM_400000_NS6detail17trampoline_kernelINS0_14default_configENS1_27scan_by_key_config_selectorIidEEZZNS1_16scan_by_key_implILNS1_25lookback_scan_determinismE0ELb0ES3_N6thrust23THRUST_200600_302600_NS6detail15normal_iteratorINS9_10device_ptrIiEEEENSB_INSC_IdEEEESG_dNS9_4plusIvEENS9_8equal_toIvEEdEE10hipError_tPvRmT2_T3_T4_T5_mT6_T7_P12ihipStream_tbENKUlT_T0_E_clISt17integral_constantIbLb0EES10_IbLb1EEEEDaSW_SX_EUlSW_E_NS1_11comp_targetILNS1_3genE5ELNS1_11target_archE942ELNS1_3gpuE9ELNS1_3repE0EEENS1_30default_config_static_selectorELNS0_4arch9wavefront6targetE0EEEvT1_,"axG",@progbits,_ZN7rocprim17ROCPRIM_400000_NS6detail17trampoline_kernelINS0_14default_configENS1_27scan_by_key_config_selectorIidEEZZNS1_16scan_by_key_implILNS1_25lookback_scan_determinismE0ELb0ES3_N6thrust23THRUST_200600_302600_NS6detail15normal_iteratorINS9_10device_ptrIiEEEENSB_INSC_IdEEEESG_dNS9_4plusIvEENS9_8equal_toIvEEdEE10hipError_tPvRmT2_T3_T4_T5_mT6_T7_P12ihipStream_tbENKUlT_T0_E_clISt17integral_constantIbLb0EES10_IbLb1EEEEDaSW_SX_EUlSW_E_NS1_11comp_targetILNS1_3genE5ELNS1_11target_archE942ELNS1_3gpuE9ELNS1_3repE0EEENS1_30default_config_static_selectorELNS0_4arch9wavefront6targetE0EEEvT1_,comdat
.Lfunc_end1120:
	.size	_ZN7rocprim17ROCPRIM_400000_NS6detail17trampoline_kernelINS0_14default_configENS1_27scan_by_key_config_selectorIidEEZZNS1_16scan_by_key_implILNS1_25lookback_scan_determinismE0ELb0ES3_N6thrust23THRUST_200600_302600_NS6detail15normal_iteratorINS9_10device_ptrIiEEEENSB_INSC_IdEEEESG_dNS9_4plusIvEENS9_8equal_toIvEEdEE10hipError_tPvRmT2_T3_T4_T5_mT6_T7_P12ihipStream_tbENKUlT_T0_E_clISt17integral_constantIbLb0EES10_IbLb1EEEEDaSW_SX_EUlSW_E_NS1_11comp_targetILNS1_3genE5ELNS1_11target_archE942ELNS1_3gpuE9ELNS1_3repE0EEENS1_30default_config_static_selectorELNS0_4arch9wavefront6targetE0EEEvT1_, .Lfunc_end1120-_ZN7rocprim17ROCPRIM_400000_NS6detail17trampoline_kernelINS0_14default_configENS1_27scan_by_key_config_selectorIidEEZZNS1_16scan_by_key_implILNS1_25lookback_scan_determinismE0ELb0ES3_N6thrust23THRUST_200600_302600_NS6detail15normal_iteratorINS9_10device_ptrIiEEEENSB_INSC_IdEEEESG_dNS9_4plusIvEENS9_8equal_toIvEEdEE10hipError_tPvRmT2_T3_T4_T5_mT6_T7_P12ihipStream_tbENKUlT_T0_E_clISt17integral_constantIbLb0EES10_IbLb1EEEEDaSW_SX_EUlSW_E_NS1_11comp_targetILNS1_3genE5ELNS1_11target_archE942ELNS1_3gpuE9ELNS1_3repE0EEENS1_30default_config_static_selectorELNS0_4arch9wavefront6targetE0EEEvT1_
                                        ; -- End function
	.set _ZN7rocprim17ROCPRIM_400000_NS6detail17trampoline_kernelINS0_14default_configENS1_27scan_by_key_config_selectorIidEEZZNS1_16scan_by_key_implILNS1_25lookback_scan_determinismE0ELb0ES3_N6thrust23THRUST_200600_302600_NS6detail15normal_iteratorINS9_10device_ptrIiEEEENSB_INSC_IdEEEESG_dNS9_4plusIvEENS9_8equal_toIvEEdEE10hipError_tPvRmT2_T3_T4_T5_mT6_T7_P12ihipStream_tbENKUlT_T0_E_clISt17integral_constantIbLb0EES10_IbLb1EEEEDaSW_SX_EUlSW_E_NS1_11comp_targetILNS1_3genE5ELNS1_11target_archE942ELNS1_3gpuE9ELNS1_3repE0EEENS1_30default_config_static_selectorELNS0_4arch9wavefront6targetE0EEEvT1_.num_vgpr, 0
	.set _ZN7rocprim17ROCPRIM_400000_NS6detail17trampoline_kernelINS0_14default_configENS1_27scan_by_key_config_selectorIidEEZZNS1_16scan_by_key_implILNS1_25lookback_scan_determinismE0ELb0ES3_N6thrust23THRUST_200600_302600_NS6detail15normal_iteratorINS9_10device_ptrIiEEEENSB_INSC_IdEEEESG_dNS9_4plusIvEENS9_8equal_toIvEEdEE10hipError_tPvRmT2_T3_T4_T5_mT6_T7_P12ihipStream_tbENKUlT_T0_E_clISt17integral_constantIbLb0EES10_IbLb1EEEEDaSW_SX_EUlSW_E_NS1_11comp_targetILNS1_3genE5ELNS1_11target_archE942ELNS1_3gpuE9ELNS1_3repE0EEENS1_30default_config_static_selectorELNS0_4arch9wavefront6targetE0EEEvT1_.num_agpr, 0
	.set _ZN7rocprim17ROCPRIM_400000_NS6detail17trampoline_kernelINS0_14default_configENS1_27scan_by_key_config_selectorIidEEZZNS1_16scan_by_key_implILNS1_25lookback_scan_determinismE0ELb0ES3_N6thrust23THRUST_200600_302600_NS6detail15normal_iteratorINS9_10device_ptrIiEEEENSB_INSC_IdEEEESG_dNS9_4plusIvEENS9_8equal_toIvEEdEE10hipError_tPvRmT2_T3_T4_T5_mT6_T7_P12ihipStream_tbENKUlT_T0_E_clISt17integral_constantIbLb0EES10_IbLb1EEEEDaSW_SX_EUlSW_E_NS1_11comp_targetILNS1_3genE5ELNS1_11target_archE942ELNS1_3gpuE9ELNS1_3repE0EEENS1_30default_config_static_selectorELNS0_4arch9wavefront6targetE0EEEvT1_.numbered_sgpr, 0
	.set _ZN7rocprim17ROCPRIM_400000_NS6detail17trampoline_kernelINS0_14default_configENS1_27scan_by_key_config_selectorIidEEZZNS1_16scan_by_key_implILNS1_25lookback_scan_determinismE0ELb0ES3_N6thrust23THRUST_200600_302600_NS6detail15normal_iteratorINS9_10device_ptrIiEEEENSB_INSC_IdEEEESG_dNS9_4plusIvEENS9_8equal_toIvEEdEE10hipError_tPvRmT2_T3_T4_T5_mT6_T7_P12ihipStream_tbENKUlT_T0_E_clISt17integral_constantIbLb0EES10_IbLb1EEEEDaSW_SX_EUlSW_E_NS1_11comp_targetILNS1_3genE5ELNS1_11target_archE942ELNS1_3gpuE9ELNS1_3repE0EEENS1_30default_config_static_selectorELNS0_4arch9wavefront6targetE0EEEvT1_.num_named_barrier, 0
	.set _ZN7rocprim17ROCPRIM_400000_NS6detail17trampoline_kernelINS0_14default_configENS1_27scan_by_key_config_selectorIidEEZZNS1_16scan_by_key_implILNS1_25lookback_scan_determinismE0ELb0ES3_N6thrust23THRUST_200600_302600_NS6detail15normal_iteratorINS9_10device_ptrIiEEEENSB_INSC_IdEEEESG_dNS9_4plusIvEENS9_8equal_toIvEEdEE10hipError_tPvRmT2_T3_T4_T5_mT6_T7_P12ihipStream_tbENKUlT_T0_E_clISt17integral_constantIbLb0EES10_IbLb1EEEEDaSW_SX_EUlSW_E_NS1_11comp_targetILNS1_3genE5ELNS1_11target_archE942ELNS1_3gpuE9ELNS1_3repE0EEENS1_30default_config_static_selectorELNS0_4arch9wavefront6targetE0EEEvT1_.private_seg_size, 0
	.set _ZN7rocprim17ROCPRIM_400000_NS6detail17trampoline_kernelINS0_14default_configENS1_27scan_by_key_config_selectorIidEEZZNS1_16scan_by_key_implILNS1_25lookback_scan_determinismE0ELb0ES3_N6thrust23THRUST_200600_302600_NS6detail15normal_iteratorINS9_10device_ptrIiEEEENSB_INSC_IdEEEESG_dNS9_4plusIvEENS9_8equal_toIvEEdEE10hipError_tPvRmT2_T3_T4_T5_mT6_T7_P12ihipStream_tbENKUlT_T0_E_clISt17integral_constantIbLb0EES10_IbLb1EEEEDaSW_SX_EUlSW_E_NS1_11comp_targetILNS1_3genE5ELNS1_11target_archE942ELNS1_3gpuE9ELNS1_3repE0EEENS1_30default_config_static_selectorELNS0_4arch9wavefront6targetE0EEEvT1_.uses_vcc, 0
	.set _ZN7rocprim17ROCPRIM_400000_NS6detail17trampoline_kernelINS0_14default_configENS1_27scan_by_key_config_selectorIidEEZZNS1_16scan_by_key_implILNS1_25lookback_scan_determinismE0ELb0ES3_N6thrust23THRUST_200600_302600_NS6detail15normal_iteratorINS9_10device_ptrIiEEEENSB_INSC_IdEEEESG_dNS9_4plusIvEENS9_8equal_toIvEEdEE10hipError_tPvRmT2_T3_T4_T5_mT6_T7_P12ihipStream_tbENKUlT_T0_E_clISt17integral_constantIbLb0EES10_IbLb1EEEEDaSW_SX_EUlSW_E_NS1_11comp_targetILNS1_3genE5ELNS1_11target_archE942ELNS1_3gpuE9ELNS1_3repE0EEENS1_30default_config_static_selectorELNS0_4arch9wavefront6targetE0EEEvT1_.uses_flat_scratch, 0
	.set _ZN7rocprim17ROCPRIM_400000_NS6detail17trampoline_kernelINS0_14default_configENS1_27scan_by_key_config_selectorIidEEZZNS1_16scan_by_key_implILNS1_25lookback_scan_determinismE0ELb0ES3_N6thrust23THRUST_200600_302600_NS6detail15normal_iteratorINS9_10device_ptrIiEEEENSB_INSC_IdEEEESG_dNS9_4plusIvEENS9_8equal_toIvEEdEE10hipError_tPvRmT2_T3_T4_T5_mT6_T7_P12ihipStream_tbENKUlT_T0_E_clISt17integral_constantIbLb0EES10_IbLb1EEEEDaSW_SX_EUlSW_E_NS1_11comp_targetILNS1_3genE5ELNS1_11target_archE942ELNS1_3gpuE9ELNS1_3repE0EEENS1_30default_config_static_selectorELNS0_4arch9wavefront6targetE0EEEvT1_.has_dyn_sized_stack, 0
	.set _ZN7rocprim17ROCPRIM_400000_NS6detail17trampoline_kernelINS0_14default_configENS1_27scan_by_key_config_selectorIidEEZZNS1_16scan_by_key_implILNS1_25lookback_scan_determinismE0ELb0ES3_N6thrust23THRUST_200600_302600_NS6detail15normal_iteratorINS9_10device_ptrIiEEEENSB_INSC_IdEEEESG_dNS9_4plusIvEENS9_8equal_toIvEEdEE10hipError_tPvRmT2_T3_T4_T5_mT6_T7_P12ihipStream_tbENKUlT_T0_E_clISt17integral_constantIbLb0EES10_IbLb1EEEEDaSW_SX_EUlSW_E_NS1_11comp_targetILNS1_3genE5ELNS1_11target_archE942ELNS1_3gpuE9ELNS1_3repE0EEENS1_30default_config_static_selectorELNS0_4arch9wavefront6targetE0EEEvT1_.has_recursion, 0
	.set _ZN7rocprim17ROCPRIM_400000_NS6detail17trampoline_kernelINS0_14default_configENS1_27scan_by_key_config_selectorIidEEZZNS1_16scan_by_key_implILNS1_25lookback_scan_determinismE0ELb0ES3_N6thrust23THRUST_200600_302600_NS6detail15normal_iteratorINS9_10device_ptrIiEEEENSB_INSC_IdEEEESG_dNS9_4plusIvEENS9_8equal_toIvEEdEE10hipError_tPvRmT2_T3_T4_T5_mT6_T7_P12ihipStream_tbENKUlT_T0_E_clISt17integral_constantIbLb0EES10_IbLb1EEEEDaSW_SX_EUlSW_E_NS1_11comp_targetILNS1_3genE5ELNS1_11target_archE942ELNS1_3gpuE9ELNS1_3repE0EEENS1_30default_config_static_selectorELNS0_4arch9wavefront6targetE0EEEvT1_.has_indirect_call, 0
	.section	.AMDGPU.csdata,"",@progbits
; Kernel info:
; codeLenInByte = 0
; TotalNumSgprs: 0
; NumVgprs: 0
; ScratchSize: 0
; MemoryBound: 0
; FloatMode: 240
; IeeeMode: 1
; LDSByteSize: 0 bytes/workgroup (compile time only)
; SGPRBlocks: 0
; VGPRBlocks: 0
; NumSGPRsForWavesPerEU: 1
; NumVGPRsForWavesPerEU: 1
; Occupancy: 16
; WaveLimiterHint : 0
; COMPUTE_PGM_RSRC2:SCRATCH_EN: 0
; COMPUTE_PGM_RSRC2:USER_SGPR: 6
; COMPUTE_PGM_RSRC2:TRAP_HANDLER: 0
; COMPUTE_PGM_RSRC2:TGID_X_EN: 1
; COMPUTE_PGM_RSRC2:TGID_Y_EN: 0
; COMPUTE_PGM_RSRC2:TGID_Z_EN: 0
; COMPUTE_PGM_RSRC2:TIDIG_COMP_CNT: 0
	.section	.text._ZN7rocprim17ROCPRIM_400000_NS6detail17trampoline_kernelINS0_14default_configENS1_27scan_by_key_config_selectorIidEEZZNS1_16scan_by_key_implILNS1_25lookback_scan_determinismE0ELb0ES3_N6thrust23THRUST_200600_302600_NS6detail15normal_iteratorINS9_10device_ptrIiEEEENSB_INSC_IdEEEESG_dNS9_4plusIvEENS9_8equal_toIvEEdEE10hipError_tPvRmT2_T3_T4_T5_mT6_T7_P12ihipStream_tbENKUlT_T0_E_clISt17integral_constantIbLb0EES10_IbLb1EEEEDaSW_SX_EUlSW_E_NS1_11comp_targetILNS1_3genE4ELNS1_11target_archE910ELNS1_3gpuE8ELNS1_3repE0EEENS1_30default_config_static_selectorELNS0_4arch9wavefront6targetE0EEEvT1_,"axG",@progbits,_ZN7rocprim17ROCPRIM_400000_NS6detail17trampoline_kernelINS0_14default_configENS1_27scan_by_key_config_selectorIidEEZZNS1_16scan_by_key_implILNS1_25lookback_scan_determinismE0ELb0ES3_N6thrust23THRUST_200600_302600_NS6detail15normal_iteratorINS9_10device_ptrIiEEEENSB_INSC_IdEEEESG_dNS9_4plusIvEENS9_8equal_toIvEEdEE10hipError_tPvRmT2_T3_T4_T5_mT6_T7_P12ihipStream_tbENKUlT_T0_E_clISt17integral_constantIbLb0EES10_IbLb1EEEEDaSW_SX_EUlSW_E_NS1_11comp_targetILNS1_3genE4ELNS1_11target_archE910ELNS1_3gpuE8ELNS1_3repE0EEENS1_30default_config_static_selectorELNS0_4arch9wavefront6targetE0EEEvT1_,comdat
	.protected	_ZN7rocprim17ROCPRIM_400000_NS6detail17trampoline_kernelINS0_14default_configENS1_27scan_by_key_config_selectorIidEEZZNS1_16scan_by_key_implILNS1_25lookback_scan_determinismE0ELb0ES3_N6thrust23THRUST_200600_302600_NS6detail15normal_iteratorINS9_10device_ptrIiEEEENSB_INSC_IdEEEESG_dNS9_4plusIvEENS9_8equal_toIvEEdEE10hipError_tPvRmT2_T3_T4_T5_mT6_T7_P12ihipStream_tbENKUlT_T0_E_clISt17integral_constantIbLb0EES10_IbLb1EEEEDaSW_SX_EUlSW_E_NS1_11comp_targetILNS1_3genE4ELNS1_11target_archE910ELNS1_3gpuE8ELNS1_3repE0EEENS1_30default_config_static_selectorELNS0_4arch9wavefront6targetE0EEEvT1_ ; -- Begin function _ZN7rocprim17ROCPRIM_400000_NS6detail17trampoline_kernelINS0_14default_configENS1_27scan_by_key_config_selectorIidEEZZNS1_16scan_by_key_implILNS1_25lookback_scan_determinismE0ELb0ES3_N6thrust23THRUST_200600_302600_NS6detail15normal_iteratorINS9_10device_ptrIiEEEENSB_INSC_IdEEEESG_dNS9_4plusIvEENS9_8equal_toIvEEdEE10hipError_tPvRmT2_T3_T4_T5_mT6_T7_P12ihipStream_tbENKUlT_T0_E_clISt17integral_constantIbLb0EES10_IbLb1EEEEDaSW_SX_EUlSW_E_NS1_11comp_targetILNS1_3genE4ELNS1_11target_archE910ELNS1_3gpuE8ELNS1_3repE0EEENS1_30default_config_static_selectorELNS0_4arch9wavefront6targetE0EEEvT1_
	.globl	_ZN7rocprim17ROCPRIM_400000_NS6detail17trampoline_kernelINS0_14default_configENS1_27scan_by_key_config_selectorIidEEZZNS1_16scan_by_key_implILNS1_25lookback_scan_determinismE0ELb0ES3_N6thrust23THRUST_200600_302600_NS6detail15normal_iteratorINS9_10device_ptrIiEEEENSB_INSC_IdEEEESG_dNS9_4plusIvEENS9_8equal_toIvEEdEE10hipError_tPvRmT2_T3_T4_T5_mT6_T7_P12ihipStream_tbENKUlT_T0_E_clISt17integral_constantIbLb0EES10_IbLb1EEEEDaSW_SX_EUlSW_E_NS1_11comp_targetILNS1_3genE4ELNS1_11target_archE910ELNS1_3gpuE8ELNS1_3repE0EEENS1_30default_config_static_selectorELNS0_4arch9wavefront6targetE0EEEvT1_
	.p2align	8
	.type	_ZN7rocprim17ROCPRIM_400000_NS6detail17trampoline_kernelINS0_14default_configENS1_27scan_by_key_config_selectorIidEEZZNS1_16scan_by_key_implILNS1_25lookback_scan_determinismE0ELb0ES3_N6thrust23THRUST_200600_302600_NS6detail15normal_iteratorINS9_10device_ptrIiEEEENSB_INSC_IdEEEESG_dNS9_4plusIvEENS9_8equal_toIvEEdEE10hipError_tPvRmT2_T3_T4_T5_mT6_T7_P12ihipStream_tbENKUlT_T0_E_clISt17integral_constantIbLb0EES10_IbLb1EEEEDaSW_SX_EUlSW_E_NS1_11comp_targetILNS1_3genE4ELNS1_11target_archE910ELNS1_3gpuE8ELNS1_3repE0EEENS1_30default_config_static_selectorELNS0_4arch9wavefront6targetE0EEEvT1_,@function
_ZN7rocprim17ROCPRIM_400000_NS6detail17trampoline_kernelINS0_14default_configENS1_27scan_by_key_config_selectorIidEEZZNS1_16scan_by_key_implILNS1_25lookback_scan_determinismE0ELb0ES3_N6thrust23THRUST_200600_302600_NS6detail15normal_iteratorINS9_10device_ptrIiEEEENSB_INSC_IdEEEESG_dNS9_4plusIvEENS9_8equal_toIvEEdEE10hipError_tPvRmT2_T3_T4_T5_mT6_T7_P12ihipStream_tbENKUlT_T0_E_clISt17integral_constantIbLb0EES10_IbLb1EEEEDaSW_SX_EUlSW_E_NS1_11comp_targetILNS1_3genE4ELNS1_11target_archE910ELNS1_3gpuE8ELNS1_3repE0EEENS1_30default_config_static_selectorELNS0_4arch9wavefront6targetE0EEEvT1_: ; @_ZN7rocprim17ROCPRIM_400000_NS6detail17trampoline_kernelINS0_14default_configENS1_27scan_by_key_config_selectorIidEEZZNS1_16scan_by_key_implILNS1_25lookback_scan_determinismE0ELb0ES3_N6thrust23THRUST_200600_302600_NS6detail15normal_iteratorINS9_10device_ptrIiEEEENSB_INSC_IdEEEESG_dNS9_4plusIvEENS9_8equal_toIvEEdEE10hipError_tPvRmT2_T3_T4_T5_mT6_T7_P12ihipStream_tbENKUlT_T0_E_clISt17integral_constantIbLb0EES10_IbLb1EEEEDaSW_SX_EUlSW_E_NS1_11comp_targetILNS1_3genE4ELNS1_11target_archE910ELNS1_3gpuE8ELNS1_3repE0EEENS1_30default_config_static_selectorELNS0_4arch9wavefront6targetE0EEEvT1_
; %bb.0:
	.section	.rodata,"a",@progbits
	.p2align	6, 0x0
	.amdhsa_kernel _ZN7rocprim17ROCPRIM_400000_NS6detail17trampoline_kernelINS0_14default_configENS1_27scan_by_key_config_selectorIidEEZZNS1_16scan_by_key_implILNS1_25lookback_scan_determinismE0ELb0ES3_N6thrust23THRUST_200600_302600_NS6detail15normal_iteratorINS9_10device_ptrIiEEEENSB_INSC_IdEEEESG_dNS9_4plusIvEENS9_8equal_toIvEEdEE10hipError_tPvRmT2_T3_T4_T5_mT6_T7_P12ihipStream_tbENKUlT_T0_E_clISt17integral_constantIbLb0EES10_IbLb1EEEEDaSW_SX_EUlSW_E_NS1_11comp_targetILNS1_3genE4ELNS1_11target_archE910ELNS1_3gpuE8ELNS1_3repE0EEENS1_30default_config_static_selectorELNS0_4arch9wavefront6targetE0EEEvT1_
		.amdhsa_group_segment_fixed_size 0
		.amdhsa_private_segment_fixed_size 0
		.amdhsa_kernarg_size 136
		.amdhsa_user_sgpr_count 6
		.amdhsa_user_sgpr_private_segment_buffer 1
		.amdhsa_user_sgpr_dispatch_ptr 0
		.amdhsa_user_sgpr_queue_ptr 0
		.amdhsa_user_sgpr_kernarg_segment_ptr 1
		.amdhsa_user_sgpr_dispatch_id 0
		.amdhsa_user_sgpr_flat_scratch_init 0
		.amdhsa_user_sgpr_private_segment_size 0
		.amdhsa_wavefront_size32 1
		.amdhsa_uses_dynamic_stack 0
		.amdhsa_system_sgpr_private_segment_wavefront_offset 0
		.amdhsa_system_sgpr_workgroup_id_x 1
		.amdhsa_system_sgpr_workgroup_id_y 0
		.amdhsa_system_sgpr_workgroup_id_z 0
		.amdhsa_system_sgpr_workgroup_info 0
		.amdhsa_system_vgpr_workitem_id 0
		.amdhsa_next_free_vgpr 1
		.amdhsa_next_free_sgpr 1
		.amdhsa_reserve_vcc 0
		.amdhsa_reserve_flat_scratch 0
		.amdhsa_float_round_mode_32 0
		.amdhsa_float_round_mode_16_64 0
		.amdhsa_float_denorm_mode_32 3
		.amdhsa_float_denorm_mode_16_64 3
		.amdhsa_dx10_clamp 1
		.amdhsa_ieee_mode 1
		.amdhsa_fp16_overflow 0
		.amdhsa_workgroup_processor_mode 1
		.amdhsa_memory_ordered 1
		.amdhsa_forward_progress 1
		.amdhsa_shared_vgpr_count 0
		.amdhsa_exception_fp_ieee_invalid_op 0
		.amdhsa_exception_fp_denorm_src 0
		.amdhsa_exception_fp_ieee_div_zero 0
		.amdhsa_exception_fp_ieee_overflow 0
		.amdhsa_exception_fp_ieee_underflow 0
		.amdhsa_exception_fp_ieee_inexact 0
		.amdhsa_exception_int_div_zero 0
	.end_amdhsa_kernel
	.section	.text._ZN7rocprim17ROCPRIM_400000_NS6detail17trampoline_kernelINS0_14default_configENS1_27scan_by_key_config_selectorIidEEZZNS1_16scan_by_key_implILNS1_25lookback_scan_determinismE0ELb0ES3_N6thrust23THRUST_200600_302600_NS6detail15normal_iteratorINS9_10device_ptrIiEEEENSB_INSC_IdEEEESG_dNS9_4plusIvEENS9_8equal_toIvEEdEE10hipError_tPvRmT2_T3_T4_T5_mT6_T7_P12ihipStream_tbENKUlT_T0_E_clISt17integral_constantIbLb0EES10_IbLb1EEEEDaSW_SX_EUlSW_E_NS1_11comp_targetILNS1_3genE4ELNS1_11target_archE910ELNS1_3gpuE8ELNS1_3repE0EEENS1_30default_config_static_selectorELNS0_4arch9wavefront6targetE0EEEvT1_,"axG",@progbits,_ZN7rocprim17ROCPRIM_400000_NS6detail17trampoline_kernelINS0_14default_configENS1_27scan_by_key_config_selectorIidEEZZNS1_16scan_by_key_implILNS1_25lookback_scan_determinismE0ELb0ES3_N6thrust23THRUST_200600_302600_NS6detail15normal_iteratorINS9_10device_ptrIiEEEENSB_INSC_IdEEEESG_dNS9_4plusIvEENS9_8equal_toIvEEdEE10hipError_tPvRmT2_T3_T4_T5_mT6_T7_P12ihipStream_tbENKUlT_T0_E_clISt17integral_constantIbLb0EES10_IbLb1EEEEDaSW_SX_EUlSW_E_NS1_11comp_targetILNS1_3genE4ELNS1_11target_archE910ELNS1_3gpuE8ELNS1_3repE0EEENS1_30default_config_static_selectorELNS0_4arch9wavefront6targetE0EEEvT1_,comdat
.Lfunc_end1121:
	.size	_ZN7rocprim17ROCPRIM_400000_NS6detail17trampoline_kernelINS0_14default_configENS1_27scan_by_key_config_selectorIidEEZZNS1_16scan_by_key_implILNS1_25lookback_scan_determinismE0ELb0ES3_N6thrust23THRUST_200600_302600_NS6detail15normal_iteratorINS9_10device_ptrIiEEEENSB_INSC_IdEEEESG_dNS9_4plusIvEENS9_8equal_toIvEEdEE10hipError_tPvRmT2_T3_T4_T5_mT6_T7_P12ihipStream_tbENKUlT_T0_E_clISt17integral_constantIbLb0EES10_IbLb1EEEEDaSW_SX_EUlSW_E_NS1_11comp_targetILNS1_3genE4ELNS1_11target_archE910ELNS1_3gpuE8ELNS1_3repE0EEENS1_30default_config_static_selectorELNS0_4arch9wavefront6targetE0EEEvT1_, .Lfunc_end1121-_ZN7rocprim17ROCPRIM_400000_NS6detail17trampoline_kernelINS0_14default_configENS1_27scan_by_key_config_selectorIidEEZZNS1_16scan_by_key_implILNS1_25lookback_scan_determinismE0ELb0ES3_N6thrust23THRUST_200600_302600_NS6detail15normal_iteratorINS9_10device_ptrIiEEEENSB_INSC_IdEEEESG_dNS9_4plusIvEENS9_8equal_toIvEEdEE10hipError_tPvRmT2_T3_T4_T5_mT6_T7_P12ihipStream_tbENKUlT_T0_E_clISt17integral_constantIbLb0EES10_IbLb1EEEEDaSW_SX_EUlSW_E_NS1_11comp_targetILNS1_3genE4ELNS1_11target_archE910ELNS1_3gpuE8ELNS1_3repE0EEENS1_30default_config_static_selectorELNS0_4arch9wavefront6targetE0EEEvT1_
                                        ; -- End function
	.set _ZN7rocprim17ROCPRIM_400000_NS6detail17trampoline_kernelINS0_14default_configENS1_27scan_by_key_config_selectorIidEEZZNS1_16scan_by_key_implILNS1_25lookback_scan_determinismE0ELb0ES3_N6thrust23THRUST_200600_302600_NS6detail15normal_iteratorINS9_10device_ptrIiEEEENSB_INSC_IdEEEESG_dNS9_4plusIvEENS9_8equal_toIvEEdEE10hipError_tPvRmT2_T3_T4_T5_mT6_T7_P12ihipStream_tbENKUlT_T0_E_clISt17integral_constantIbLb0EES10_IbLb1EEEEDaSW_SX_EUlSW_E_NS1_11comp_targetILNS1_3genE4ELNS1_11target_archE910ELNS1_3gpuE8ELNS1_3repE0EEENS1_30default_config_static_selectorELNS0_4arch9wavefront6targetE0EEEvT1_.num_vgpr, 0
	.set _ZN7rocprim17ROCPRIM_400000_NS6detail17trampoline_kernelINS0_14default_configENS1_27scan_by_key_config_selectorIidEEZZNS1_16scan_by_key_implILNS1_25lookback_scan_determinismE0ELb0ES3_N6thrust23THRUST_200600_302600_NS6detail15normal_iteratorINS9_10device_ptrIiEEEENSB_INSC_IdEEEESG_dNS9_4plusIvEENS9_8equal_toIvEEdEE10hipError_tPvRmT2_T3_T4_T5_mT6_T7_P12ihipStream_tbENKUlT_T0_E_clISt17integral_constantIbLb0EES10_IbLb1EEEEDaSW_SX_EUlSW_E_NS1_11comp_targetILNS1_3genE4ELNS1_11target_archE910ELNS1_3gpuE8ELNS1_3repE0EEENS1_30default_config_static_selectorELNS0_4arch9wavefront6targetE0EEEvT1_.num_agpr, 0
	.set _ZN7rocprim17ROCPRIM_400000_NS6detail17trampoline_kernelINS0_14default_configENS1_27scan_by_key_config_selectorIidEEZZNS1_16scan_by_key_implILNS1_25lookback_scan_determinismE0ELb0ES3_N6thrust23THRUST_200600_302600_NS6detail15normal_iteratorINS9_10device_ptrIiEEEENSB_INSC_IdEEEESG_dNS9_4plusIvEENS9_8equal_toIvEEdEE10hipError_tPvRmT2_T3_T4_T5_mT6_T7_P12ihipStream_tbENKUlT_T0_E_clISt17integral_constantIbLb0EES10_IbLb1EEEEDaSW_SX_EUlSW_E_NS1_11comp_targetILNS1_3genE4ELNS1_11target_archE910ELNS1_3gpuE8ELNS1_3repE0EEENS1_30default_config_static_selectorELNS0_4arch9wavefront6targetE0EEEvT1_.numbered_sgpr, 0
	.set _ZN7rocprim17ROCPRIM_400000_NS6detail17trampoline_kernelINS0_14default_configENS1_27scan_by_key_config_selectorIidEEZZNS1_16scan_by_key_implILNS1_25lookback_scan_determinismE0ELb0ES3_N6thrust23THRUST_200600_302600_NS6detail15normal_iteratorINS9_10device_ptrIiEEEENSB_INSC_IdEEEESG_dNS9_4plusIvEENS9_8equal_toIvEEdEE10hipError_tPvRmT2_T3_T4_T5_mT6_T7_P12ihipStream_tbENKUlT_T0_E_clISt17integral_constantIbLb0EES10_IbLb1EEEEDaSW_SX_EUlSW_E_NS1_11comp_targetILNS1_3genE4ELNS1_11target_archE910ELNS1_3gpuE8ELNS1_3repE0EEENS1_30default_config_static_selectorELNS0_4arch9wavefront6targetE0EEEvT1_.num_named_barrier, 0
	.set _ZN7rocprim17ROCPRIM_400000_NS6detail17trampoline_kernelINS0_14default_configENS1_27scan_by_key_config_selectorIidEEZZNS1_16scan_by_key_implILNS1_25lookback_scan_determinismE0ELb0ES3_N6thrust23THRUST_200600_302600_NS6detail15normal_iteratorINS9_10device_ptrIiEEEENSB_INSC_IdEEEESG_dNS9_4plusIvEENS9_8equal_toIvEEdEE10hipError_tPvRmT2_T3_T4_T5_mT6_T7_P12ihipStream_tbENKUlT_T0_E_clISt17integral_constantIbLb0EES10_IbLb1EEEEDaSW_SX_EUlSW_E_NS1_11comp_targetILNS1_3genE4ELNS1_11target_archE910ELNS1_3gpuE8ELNS1_3repE0EEENS1_30default_config_static_selectorELNS0_4arch9wavefront6targetE0EEEvT1_.private_seg_size, 0
	.set _ZN7rocprim17ROCPRIM_400000_NS6detail17trampoline_kernelINS0_14default_configENS1_27scan_by_key_config_selectorIidEEZZNS1_16scan_by_key_implILNS1_25lookback_scan_determinismE0ELb0ES3_N6thrust23THRUST_200600_302600_NS6detail15normal_iteratorINS9_10device_ptrIiEEEENSB_INSC_IdEEEESG_dNS9_4plusIvEENS9_8equal_toIvEEdEE10hipError_tPvRmT2_T3_T4_T5_mT6_T7_P12ihipStream_tbENKUlT_T0_E_clISt17integral_constantIbLb0EES10_IbLb1EEEEDaSW_SX_EUlSW_E_NS1_11comp_targetILNS1_3genE4ELNS1_11target_archE910ELNS1_3gpuE8ELNS1_3repE0EEENS1_30default_config_static_selectorELNS0_4arch9wavefront6targetE0EEEvT1_.uses_vcc, 0
	.set _ZN7rocprim17ROCPRIM_400000_NS6detail17trampoline_kernelINS0_14default_configENS1_27scan_by_key_config_selectorIidEEZZNS1_16scan_by_key_implILNS1_25lookback_scan_determinismE0ELb0ES3_N6thrust23THRUST_200600_302600_NS6detail15normal_iteratorINS9_10device_ptrIiEEEENSB_INSC_IdEEEESG_dNS9_4plusIvEENS9_8equal_toIvEEdEE10hipError_tPvRmT2_T3_T4_T5_mT6_T7_P12ihipStream_tbENKUlT_T0_E_clISt17integral_constantIbLb0EES10_IbLb1EEEEDaSW_SX_EUlSW_E_NS1_11comp_targetILNS1_3genE4ELNS1_11target_archE910ELNS1_3gpuE8ELNS1_3repE0EEENS1_30default_config_static_selectorELNS0_4arch9wavefront6targetE0EEEvT1_.uses_flat_scratch, 0
	.set _ZN7rocprim17ROCPRIM_400000_NS6detail17trampoline_kernelINS0_14default_configENS1_27scan_by_key_config_selectorIidEEZZNS1_16scan_by_key_implILNS1_25lookback_scan_determinismE0ELb0ES3_N6thrust23THRUST_200600_302600_NS6detail15normal_iteratorINS9_10device_ptrIiEEEENSB_INSC_IdEEEESG_dNS9_4plusIvEENS9_8equal_toIvEEdEE10hipError_tPvRmT2_T3_T4_T5_mT6_T7_P12ihipStream_tbENKUlT_T0_E_clISt17integral_constantIbLb0EES10_IbLb1EEEEDaSW_SX_EUlSW_E_NS1_11comp_targetILNS1_3genE4ELNS1_11target_archE910ELNS1_3gpuE8ELNS1_3repE0EEENS1_30default_config_static_selectorELNS0_4arch9wavefront6targetE0EEEvT1_.has_dyn_sized_stack, 0
	.set _ZN7rocprim17ROCPRIM_400000_NS6detail17trampoline_kernelINS0_14default_configENS1_27scan_by_key_config_selectorIidEEZZNS1_16scan_by_key_implILNS1_25lookback_scan_determinismE0ELb0ES3_N6thrust23THRUST_200600_302600_NS6detail15normal_iteratorINS9_10device_ptrIiEEEENSB_INSC_IdEEEESG_dNS9_4plusIvEENS9_8equal_toIvEEdEE10hipError_tPvRmT2_T3_T4_T5_mT6_T7_P12ihipStream_tbENKUlT_T0_E_clISt17integral_constantIbLb0EES10_IbLb1EEEEDaSW_SX_EUlSW_E_NS1_11comp_targetILNS1_3genE4ELNS1_11target_archE910ELNS1_3gpuE8ELNS1_3repE0EEENS1_30default_config_static_selectorELNS0_4arch9wavefront6targetE0EEEvT1_.has_recursion, 0
	.set _ZN7rocprim17ROCPRIM_400000_NS6detail17trampoline_kernelINS0_14default_configENS1_27scan_by_key_config_selectorIidEEZZNS1_16scan_by_key_implILNS1_25lookback_scan_determinismE0ELb0ES3_N6thrust23THRUST_200600_302600_NS6detail15normal_iteratorINS9_10device_ptrIiEEEENSB_INSC_IdEEEESG_dNS9_4plusIvEENS9_8equal_toIvEEdEE10hipError_tPvRmT2_T3_T4_T5_mT6_T7_P12ihipStream_tbENKUlT_T0_E_clISt17integral_constantIbLb0EES10_IbLb1EEEEDaSW_SX_EUlSW_E_NS1_11comp_targetILNS1_3genE4ELNS1_11target_archE910ELNS1_3gpuE8ELNS1_3repE0EEENS1_30default_config_static_selectorELNS0_4arch9wavefront6targetE0EEEvT1_.has_indirect_call, 0
	.section	.AMDGPU.csdata,"",@progbits
; Kernel info:
; codeLenInByte = 0
; TotalNumSgprs: 0
; NumVgprs: 0
; ScratchSize: 0
; MemoryBound: 0
; FloatMode: 240
; IeeeMode: 1
; LDSByteSize: 0 bytes/workgroup (compile time only)
; SGPRBlocks: 0
; VGPRBlocks: 0
; NumSGPRsForWavesPerEU: 1
; NumVGPRsForWavesPerEU: 1
; Occupancy: 16
; WaveLimiterHint : 0
; COMPUTE_PGM_RSRC2:SCRATCH_EN: 0
; COMPUTE_PGM_RSRC2:USER_SGPR: 6
; COMPUTE_PGM_RSRC2:TRAP_HANDLER: 0
; COMPUTE_PGM_RSRC2:TGID_X_EN: 1
; COMPUTE_PGM_RSRC2:TGID_Y_EN: 0
; COMPUTE_PGM_RSRC2:TGID_Z_EN: 0
; COMPUTE_PGM_RSRC2:TIDIG_COMP_CNT: 0
	.section	.text._ZN7rocprim17ROCPRIM_400000_NS6detail17trampoline_kernelINS0_14default_configENS1_27scan_by_key_config_selectorIidEEZZNS1_16scan_by_key_implILNS1_25lookback_scan_determinismE0ELb0ES3_N6thrust23THRUST_200600_302600_NS6detail15normal_iteratorINS9_10device_ptrIiEEEENSB_INSC_IdEEEESG_dNS9_4plusIvEENS9_8equal_toIvEEdEE10hipError_tPvRmT2_T3_T4_T5_mT6_T7_P12ihipStream_tbENKUlT_T0_E_clISt17integral_constantIbLb0EES10_IbLb1EEEEDaSW_SX_EUlSW_E_NS1_11comp_targetILNS1_3genE3ELNS1_11target_archE908ELNS1_3gpuE7ELNS1_3repE0EEENS1_30default_config_static_selectorELNS0_4arch9wavefront6targetE0EEEvT1_,"axG",@progbits,_ZN7rocprim17ROCPRIM_400000_NS6detail17trampoline_kernelINS0_14default_configENS1_27scan_by_key_config_selectorIidEEZZNS1_16scan_by_key_implILNS1_25lookback_scan_determinismE0ELb0ES3_N6thrust23THRUST_200600_302600_NS6detail15normal_iteratorINS9_10device_ptrIiEEEENSB_INSC_IdEEEESG_dNS9_4plusIvEENS9_8equal_toIvEEdEE10hipError_tPvRmT2_T3_T4_T5_mT6_T7_P12ihipStream_tbENKUlT_T0_E_clISt17integral_constantIbLb0EES10_IbLb1EEEEDaSW_SX_EUlSW_E_NS1_11comp_targetILNS1_3genE3ELNS1_11target_archE908ELNS1_3gpuE7ELNS1_3repE0EEENS1_30default_config_static_selectorELNS0_4arch9wavefront6targetE0EEEvT1_,comdat
	.protected	_ZN7rocprim17ROCPRIM_400000_NS6detail17trampoline_kernelINS0_14default_configENS1_27scan_by_key_config_selectorIidEEZZNS1_16scan_by_key_implILNS1_25lookback_scan_determinismE0ELb0ES3_N6thrust23THRUST_200600_302600_NS6detail15normal_iteratorINS9_10device_ptrIiEEEENSB_INSC_IdEEEESG_dNS9_4plusIvEENS9_8equal_toIvEEdEE10hipError_tPvRmT2_T3_T4_T5_mT6_T7_P12ihipStream_tbENKUlT_T0_E_clISt17integral_constantIbLb0EES10_IbLb1EEEEDaSW_SX_EUlSW_E_NS1_11comp_targetILNS1_3genE3ELNS1_11target_archE908ELNS1_3gpuE7ELNS1_3repE0EEENS1_30default_config_static_selectorELNS0_4arch9wavefront6targetE0EEEvT1_ ; -- Begin function _ZN7rocprim17ROCPRIM_400000_NS6detail17trampoline_kernelINS0_14default_configENS1_27scan_by_key_config_selectorIidEEZZNS1_16scan_by_key_implILNS1_25lookback_scan_determinismE0ELb0ES3_N6thrust23THRUST_200600_302600_NS6detail15normal_iteratorINS9_10device_ptrIiEEEENSB_INSC_IdEEEESG_dNS9_4plusIvEENS9_8equal_toIvEEdEE10hipError_tPvRmT2_T3_T4_T5_mT6_T7_P12ihipStream_tbENKUlT_T0_E_clISt17integral_constantIbLb0EES10_IbLb1EEEEDaSW_SX_EUlSW_E_NS1_11comp_targetILNS1_3genE3ELNS1_11target_archE908ELNS1_3gpuE7ELNS1_3repE0EEENS1_30default_config_static_selectorELNS0_4arch9wavefront6targetE0EEEvT1_
	.globl	_ZN7rocprim17ROCPRIM_400000_NS6detail17trampoline_kernelINS0_14default_configENS1_27scan_by_key_config_selectorIidEEZZNS1_16scan_by_key_implILNS1_25lookback_scan_determinismE0ELb0ES3_N6thrust23THRUST_200600_302600_NS6detail15normal_iteratorINS9_10device_ptrIiEEEENSB_INSC_IdEEEESG_dNS9_4plusIvEENS9_8equal_toIvEEdEE10hipError_tPvRmT2_T3_T4_T5_mT6_T7_P12ihipStream_tbENKUlT_T0_E_clISt17integral_constantIbLb0EES10_IbLb1EEEEDaSW_SX_EUlSW_E_NS1_11comp_targetILNS1_3genE3ELNS1_11target_archE908ELNS1_3gpuE7ELNS1_3repE0EEENS1_30default_config_static_selectorELNS0_4arch9wavefront6targetE0EEEvT1_
	.p2align	8
	.type	_ZN7rocprim17ROCPRIM_400000_NS6detail17trampoline_kernelINS0_14default_configENS1_27scan_by_key_config_selectorIidEEZZNS1_16scan_by_key_implILNS1_25lookback_scan_determinismE0ELb0ES3_N6thrust23THRUST_200600_302600_NS6detail15normal_iteratorINS9_10device_ptrIiEEEENSB_INSC_IdEEEESG_dNS9_4plusIvEENS9_8equal_toIvEEdEE10hipError_tPvRmT2_T3_T4_T5_mT6_T7_P12ihipStream_tbENKUlT_T0_E_clISt17integral_constantIbLb0EES10_IbLb1EEEEDaSW_SX_EUlSW_E_NS1_11comp_targetILNS1_3genE3ELNS1_11target_archE908ELNS1_3gpuE7ELNS1_3repE0EEENS1_30default_config_static_selectorELNS0_4arch9wavefront6targetE0EEEvT1_,@function
_ZN7rocprim17ROCPRIM_400000_NS6detail17trampoline_kernelINS0_14default_configENS1_27scan_by_key_config_selectorIidEEZZNS1_16scan_by_key_implILNS1_25lookback_scan_determinismE0ELb0ES3_N6thrust23THRUST_200600_302600_NS6detail15normal_iteratorINS9_10device_ptrIiEEEENSB_INSC_IdEEEESG_dNS9_4plusIvEENS9_8equal_toIvEEdEE10hipError_tPvRmT2_T3_T4_T5_mT6_T7_P12ihipStream_tbENKUlT_T0_E_clISt17integral_constantIbLb0EES10_IbLb1EEEEDaSW_SX_EUlSW_E_NS1_11comp_targetILNS1_3genE3ELNS1_11target_archE908ELNS1_3gpuE7ELNS1_3repE0EEENS1_30default_config_static_selectorELNS0_4arch9wavefront6targetE0EEEvT1_: ; @_ZN7rocprim17ROCPRIM_400000_NS6detail17trampoline_kernelINS0_14default_configENS1_27scan_by_key_config_selectorIidEEZZNS1_16scan_by_key_implILNS1_25lookback_scan_determinismE0ELb0ES3_N6thrust23THRUST_200600_302600_NS6detail15normal_iteratorINS9_10device_ptrIiEEEENSB_INSC_IdEEEESG_dNS9_4plusIvEENS9_8equal_toIvEEdEE10hipError_tPvRmT2_T3_T4_T5_mT6_T7_P12ihipStream_tbENKUlT_T0_E_clISt17integral_constantIbLb0EES10_IbLb1EEEEDaSW_SX_EUlSW_E_NS1_11comp_targetILNS1_3genE3ELNS1_11target_archE908ELNS1_3gpuE7ELNS1_3repE0EEENS1_30default_config_static_selectorELNS0_4arch9wavefront6targetE0EEEvT1_
; %bb.0:
	.section	.rodata,"a",@progbits
	.p2align	6, 0x0
	.amdhsa_kernel _ZN7rocprim17ROCPRIM_400000_NS6detail17trampoline_kernelINS0_14default_configENS1_27scan_by_key_config_selectorIidEEZZNS1_16scan_by_key_implILNS1_25lookback_scan_determinismE0ELb0ES3_N6thrust23THRUST_200600_302600_NS6detail15normal_iteratorINS9_10device_ptrIiEEEENSB_INSC_IdEEEESG_dNS9_4plusIvEENS9_8equal_toIvEEdEE10hipError_tPvRmT2_T3_T4_T5_mT6_T7_P12ihipStream_tbENKUlT_T0_E_clISt17integral_constantIbLb0EES10_IbLb1EEEEDaSW_SX_EUlSW_E_NS1_11comp_targetILNS1_3genE3ELNS1_11target_archE908ELNS1_3gpuE7ELNS1_3repE0EEENS1_30default_config_static_selectorELNS0_4arch9wavefront6targetE0EEEvT1_
		.amdhsa_group_segment_fixed_size 0
		.amdhsa_private_segment_fixed_size 0
		.amdhsa_kernarg_size 136
		.amdhsa_user_sgpr_count 6
		.amdhsa_user_sgpr_private_segment_buffer 1
		.amdhsa_user_sgpr_dispatch_ptr 0
		.amdhsa_user_sgpr_queue_ptr 0
		.amdhsa_user_sgpr_kernarg_segment_ptr 1
		.amdhsa_user_sgpr_dispatch_id 0
		.amdhsa_user_sgpr_flat_scratch_init 0
		.amdhsa_user_sgpr_private_segment_size 0
		.amdhsa_wavefront_size32 1
		.amdhsa_uses_dynamic_stack 0
		.amdhsa_system_sgpr_private_segment_wavefront_offset 0
		.amdhsa_system_sgpr_workgroup_id_x 1
		.amdhsa_system_sgpr_workgroup_id_y 0
		.amdhsa_system_sgpr_workgroup_id_z 0
		.amdhsa_system_sgpr_workgroup_info 0
		.amdhsa_system_vgpr_workitem_id 0
		.amdhsa_next_free_vgpr 1
		.amdhsa_next_free_sgpr 1
		.amdhsa_reserve_vcc 0
		.amdhsa_reserve_flat_scratch 0
		.amdhsa_float_round_mode_32 0
		.amdhsa_float_round_mode_16_64 0
		.amdhsa_float_denorm_mode_32 3
		.amdhsa_float_denorm_mode_16_64 3
		.amdhsa_dx10_clamp 1
		.amdhsa_ieee_mode 1
		.amdhsa_fp16_overflow 0
		.amdhsa_workgroup_processor_mode 1
		.amdhsa_memory_ordered 1
		.amdhsa_forward_progress 1
		.amdhsa_shared_vgpr_count 0
		.amdhsa_exception_fp_ieee_invalid_op 0
		.amdhsa_exception_fp_denorm_src 0
		.amdhsa_exception_fp_ieee_div_zero 0
		.amdhsa_exception_fp_ieee_overflow 0
		.amdhsa_exception_fp_ieee_underflow 0
		.amdhsa_exception_fp_ieee_inexact 0
		.amdhsa_exception_int_div_zero 0
	.end_amdhsa_kernel
	.section	.text._ZN7rocprim17ROCPRIM_400000_NS6detail17trampoline_kernelINS0_14default_configENS1_27scan_by_key_config_selectorIidEEZZNS1_16scan_by_key_implILNS1_25lookback_scan_determinismE0ELb0ES3_N6thrust23THRUST_200600_302600_NS6detail15normal_iteratorINS9_10device_ptrIiEEEENSB_INSC_IdEEEESG_dNS9_4plusIvEENS9_8equal_toIvEEdEE10hipError_tPvRmT2_T3_T4_T5_mT6_T7_P12ihipStream_tbENKUlT_T0_E_clISt17integral_constantIbLb0EES10_IbLb1EEEEDaSW_SX_EUlSW_E_NS1_11comp_targetILNS1_3genE3ELNS1_11target_archE908ELNS1_3gpuE7ELNS1_3repE0EEENS1_30default_config_static_selectorELNS0_4arch9wavefront6targetE0EEEvT1_,"axG",@progbits,_ZN7rocprim17ROCPRIM_400000_NS6detail17trampoline_kernelINS0_14default_configENS1_27scan_by_key_config_selectorIidEEZZNS1_16scan_by_key_implILNS1_25lookback_scan_determinismE0ELb0ES3_N6thrust23THRUST_200600_302600_NS6detail15normal_iteratorINS9_10device_ptrIiEEEENSB_INSC_IdEEEESG_dNS9_4plusIvEENS9_8equal_toIvEEdEE10hipError_tPvRmT2_T3_T4_T5_mT6_T7_P12ihipStream_tbENKUlT_T0_E_clISt17integral_constantIbLb0EES10_IbLb1EEEEDaSW_SX_EUlSW_E_NS1_11comp_targetILNS1_3genE3ELNS1_11target_archE908ELNS1_3gpuE7ELNS1_3repE0EEENS1_30default_config_static_selectorELNS0_4arch9wavefront6targetE0EEEvT1_,comdat
.Lfunc_end1122:
	.size	_ZN7rocprim17ROCPRIM_400000_NS6detail17trampoline_kernelINS0_14default_configENS1_27scan_by_key_config_selectorIidEEZZNS1_16scan_by_key_implILNS1_25lookback_scan_determinismE0ELb0ES3_N6thrust23THRUST_200600_302600_NS6detail15normal_iteratorINS9_10device_ptrIiEEEENSB_INSC_IdEEEESG_dNS9_4plusIvEENS9_8equal_toIvEEdEE10hipError_tPvRmT2_T3_T4_T5_mT6_T7_P12ihipStream_tbENKUlT_T0_E_clISt17integral_constantIbLb0EES10_IbLb1EEEEDaSW_SX_EUlSW_E_NS1_11comp_targetILNS1_3genE3ELNS1_11target_archE908ELNS1_3gpuE7ELNS1_3repE0EEENS1_30default_config_static_selectorELNS0_4arch9wavefront6targetE0EEEvT1_, .Lfunc_end1122-_ZN7rocprim17ROCPRIM_400000_NS6detail17trampoline_kernelINS0_14default_configENS1_27scan_by_key_config_selectorIidEEZZNS1_16scan_by_key_implILNS1_25lookback_scan_determinismE0ELb0ES3_N6thrust23THRUST_200600_302600_NS6detail15normal_iteratorINS9_10device_ptrIiEEEENSB_INSC_IdEEEESG_dNS9_4plusIvEENS9_8equal_toIvEEdEE10hipError_tPvRmT2_T3_T4_T5_mT6_T7_P12ihipStream_tbENKUlT_T0_E_clISt17integral_constantIbLb0EES10_IbLb1EEEEDaSW_SX_EUlSW_E_NS1_11comp_targetILNS1_3genE3ELNS1_11target_archE908ELNS1_3gpuE7ELNS1_3repE0EEENS1_30default_config_static_selectorELNS0_4arch9wavefront6targetE0EEEvT1_
                                        ; -- End function
	.set _ZN7rocprim17ROCPRIM_400000_NS6detail17trampoline_kernelINS0_14default_configENS1_27scan_by_key_config_selectorIidEEZZNS1_16scan_by_key_implILNS1_25lookback_scan_determinismE0ELb0ES3_N6thrust23THRUST_200600_302600_NS6detail15normal_iteratorINS9_10device_ptrIiEEEENSB_INSC_IdEEEESG_dNS9_4plusIvEENS9_8equal_toIvEEdEE10hipError_tPvRmT2_T3_T4_T5_mT6_T7_P12ihipStream_tbENKUlT_T0_E_clISt17integral_constantIbLb0EES10_IbLb1EEEEDaSW_SX_EUlSW_E_NS1_11comp_targetILNS1_3genE3ELNS1_11target_archE908ELNS1_3gpuE7ELNS1_3repE0EEENS1_30default_config_static_selectorELNS0_4arch9wavefront6targetE0EEEvT1_.num_vgpr, 0
	.set _ZN7rocprim17ROCPRIM_400000_NS6detail17trampoline_kernelINS0_14default_configENS1_27scan_by_key_config_selectorIidEEZZNS1_16scan_by_key_implILNS1_25lookback_scan_determinismE0ELb0ES3_N6thrust23THRUST_200600_302600_NS6detail15normal_iteratorINS9_10device_ptrIiEEEENSB_INSC_IdEEEESG_dNS9_4plusIvEENS9_8equal_toIvEEdEE10hipError_tPvRmT2_T3_T4_T5_mT6_T7_P12ihipStream_tbENKUlT_T0_E_clISt17integral_constantIbLb0EES10_IbLb1EEEEDaSW_SX_EUlSW_E_NS1_11comp_targetILNS1_3genE3ELNS1_11target_archE908ELNS1_3gpuE7ELNS1_3repE0EEENS1_30default_config_static_selectorELNS0_4arch9wavefront6targetE0EEEvT1_.num_agpr, 0
	.set _ZN7rocprim17ROCPRIM_400000_NS6detail17trampoline_kernelINS0_14default_configENS1_27scan_by_key_config_selectorIidEEZZNS1_16scan_by_key_implILNS1_25lookback_scan_determinismE0ELb0ES3_N6thrust23THRUST_200600_302600_NS6detail15normal_iteratorINS9_10device_ptrIiEEEENSB_INSC_IdEEEESG_dNS9_4plusIvEENS9_8equal_toIvEEdEE10hipError_tPvRmT2_T3_T4_T5_mT6_T7_P12ihipStream_tbENKUlT_T0_E_clISt17integral_constantIbLb0EES10_IbLb1EEEEDaSW_SX_EUlSW_E_NS1_11comp_targetILNS1_3genE3ELNS1_11target_archE908ELNS1_3gpuE7ELNS1_3repE0EEENS1_30default_config_static_selectorELNS0_4arch9wavefront6targetE0EEEvT1_.numbered_sgpr, 0
	.set _ZN7rocprim17ROCPRIM_400000_NS6detail17trampoline_kernelINS0_14default_configENS1_27scan_by_key_config_selectorIidEEZZNS1_16scan_by_key_implILNS1_25lookback_scan_determinismE0ELb0ES3_N6thrust23THRUST_200600_302600_NS6detail15normal_iteratorINS9_10device_ptrIiEEEENSB_INSC_IdEEEESG_dNS9_4plusIvEENS9_8equal_toIvEEdEE10hipError_tPvRmT2_T3_T4_T5_mT6_T7_P12ihipStream_tbENKUlT_T0_E_clISt17integral_constantIbLb0EES10_IbLb1EEEEDaSW_SX_EUlSW_E_NS1_11comp_targetILNS1_3genE3ELNS1_11target_archE908ELNS1_3gpuE7ELNS1_3repE0EEENS1_30default_config_static_selectorELNS0_4arch9wavefront6targetE0EEEvT1_.num_named_barrier, 0
	.set _ZN7rocprim17ROCPRIM_400000_NS6detail17trampoline_kernelINS0_14default_configENS1_27scan_by_key_config_selectorIidEEZZNS1_16scan_by_key_implILNS1_25lookback_scan_determinismE0ELb0ES3_N6thrust23THRUST_200600_302600_NS6detail15normal_iteratorINS9_10device_ptrIiEEEENSB_INSC_IdEEEESG_dNS9_4plusIvEENS9_8equal_toIvEEdEE10hipError_tPvRmT2_T3_T4_T5_mT6_T7_P12ihipStream_tbENKUlT_T0_E_clISt17integral_constantIbLb0EES10_IbLb1EEEEDaSW_SX_EUlSW_E_NS1_11comp_targetILNS1_3genE3ELNS1_11target_archE908ELNS1_3gpuE7ELNS1_3repE0EEENS1_30default_config_static_selectorELNS0_4arch9wavefront6targetE0EEEvT1_.private_seg_size, 0
	.set _ZN7rocprim17ROCPRIM_400000_NS6detail17trampoline_kernelINS0_14default_configENS1_27scan_by_key_config_selectorIidEEZZNS1_16scan_by_key_implILNS1_25lookback_scan_determinismE0ELb0ES3_N6thrust23THRUST_200600_302600_NS6detail15normal_iteratorINS9_10device_ptrIiEEEENSB_INSC_IdEEEESG_dNS9_4plusIvEENS9_8equal_toIvEEdEE10hipError_tPvRmT2_T3_T4_T5_mT6_T7_P12ihipStream_tbENKUlT_T0_E_clISt17integral_constantIbLb0EES10_IbLb1EEEEDaSW_SX_EUlSW_E_NS1_11comp_targetILNS1_3genE3ELNS1_11target_archE908ELNS1_3gpuE7ELNS1_3repE0EEENS1_30default_config_static_selectorELNS0_4arch9wavefront6targetE0EEEvT1_.uses_vcc, 0
	.set _ZN7rocprim17ROCPRIM_400000_NS6detail17trampoline_kernelINS0_14default_configENS1_27scan_by_key_config_selectorIidEEZZNS1_16scan_by_key_implILNS1_25lookback_scan_determinismE0ELb0ES3_N6thrust23THRUST_200600_302600_NS6detail15normal_iteratorINS9_10device_ptrIiEEEENSB_INSC_IdEEEESG_dNS9_4plusIvEENS9_8equal_toIvEEdEE10hipError_tPvRmT2_T3_T4_T5_mT6_T7_P12ihipStream_tbENKUlT_T0_E_clISt17integral_constantIbLb0EES10_IbLb1EEEEDaSW_SX_EUlSW_E_NS1_11comp_targetILNS1_3genE3ELNS1_11target_archE908ELNS1_3gpuE7ELNS1_3repE0EEENS1_30default_config_static_selectorELNS0_4arch9wavefront6targetE0EEEvT1_.uses_flat_scratch, 0
	.set _ZN7rocprim17ROCPRIM_400000_NS6detail17trampoline_kernelINS0_14default_configENS1_27scan_by_key_config_selectorIidEEZZNS1_16scan_by_key_implILNS1_25lookback_scan_determinismE0ELb0ES3_N6thrust23THRUST_200600_302600_NS6detail15normal_iteratorINS9_10device_ptrIiEEEENSB_INSC_IdEEEESG_dNS9_4plusIvEENS9_8equal_toIvEEdEE10hipError_tPvRmT2_T3_T4_T5_mT6_T7_P12ihipStream_tbENKUlT_T0_E_clISt17integral_constantIbLb0EES10_IbLb1EEEEDaSW_SX_EUlSW_E_NS1_11comp_targetILNS1_3genE3ELNS1_11target_archE908ELNS1_3gpuE7ELNS1_3repE0EEENS1_30default_config_static_selectorELNS0_4arch9wavefront6targetE0EEEvT1_.has_dyn_sized_stack, 0
	.set _ZN7rocprim17ROCPRIM_400000_NS6detail17trampoline_kernelINS0_14default_configENS1_27scan_by_key_config_selectorIidEEZZNS1_16scan_by_key_implILNS1_25lookback_scan_determinismE0ELb0ES3_N6thrust23THRUST_200600_302600_NS6detail15normal_iteratorINS9_10device_ptrIiEEEENSB_INSC_IdEEEESG_dNS9_4plusIvEENS9_8equal_toIvEEdEE10hipError_tPvRmT2_T3_T4_T5_mT6_T7_P12ihipStream_tbENKUlT_T0_E_clISt17integral_constantIbLb0EES10_IbLb1EEEEDaSW_SX_EUlSW_E_NS1_11comp_targetILNS1_3genE3ELNS1_11target_archE908ELNS1_3gpuE7ELNS1_3repE0EEENS1_30default_config_static_selectorELNS0_4arch9wavefront6targetE0EEEvT1_.has_recursion, 0
	.set _ZN7rocprim17ROCPRIM_400000_NS6detail17trampoline_kernelINS0_14default_configENS1_27scan_by_key_config_selectorIidEEZZNS1_16scan_by_key_implILNS1_25lookback_scan_determinismE0ELb0ES3_N6thrust23THRUST_200600_302600_NS6detail15normal_iteratorINS9_10device_ptrIiEEEENSB_INSC_IdEEEESG_dNS9_4plusIvEENS9_8equal_toIvEEdEE10hipError_tPvRmT2_T3_T4_T5_mT6_T7_P12ihipStream_tbENKUlT_T0_E_clISt17integral_constantIbLb0EES10_IbLb1EEEEDaSW_SX_EUlSW_E_NS1_11comp_targetILNS1_3genE3ELNS1_11target_archE908ELNS1_3gpuE7ELNS1_3repE0EEENS1_30default_config_static_selectorELNS0_4arch9wavefront6targetE0EEEvT1_.has_indirect_call, 0
	.section	.AMDGPU.csdata,"",@progbits
; Kernel info:
; codeLenInByte = 0
; TotalNumSgprs: 0
; NumVgprs: 0
; ScratchSize: 0
; MemoryBound: 0
; FloatMode: 240
; IeeeMode: 1
; LDSByteSize: 0 bytes/workgroup (compile time only)
; SGPRBlocks: 0
; VGPRBlocks: 0
; NumSGPRsForWavesPerEU: 1
; NumVGPRsForWavesPerEU: 1
; Occupancy: 16
; WaveLimiterHint : 0
; COMPUTE_PGM_RSRC2:SCRATCH_EN: 0
; COMPUTE_PGM_RSRC2:USER_SGPR: 6
; COMPUTE_PGM_RSRC2:TRAP_HANDLER: 0
; COMPUTE_PGM_RSRC2:TGID_X_EN: 1
; COMPUTE_PGM_RSRC2:TGID_Y_EN: 0
; COMPUTE_PGM_RSRC2:TGID_Z_EN: 0
; COMPUTE_PGM_RSRC2:TIDIG_COMP_CNT: 0
	.section	.text._ZN7rocprim17ROCPRIM_400000_NS6detail17trampoline_kernelINS0_14default_configENS1_27scan_by_key_config_selectorIidEEZZNS1_16scan_by_key_implILNS1_25lookback_scan_determinismE0ELb0ES3_N6thrust23THRUST_200600_302600_NS6detail15normal_iteratorINS9_10device_ptrIiEEEENSB_INSC_IdEEEESG_dNS9_4plusIvEENS9_8equal_toIvEEdEE10hipError_tPvRmT2_T3_T4_T5_mT6_T7_P12ihipStream_tbENKUlT_T0_E_clISt17integral_constantIbLb0EES10_IbLb1EEEEDaSW_SX_EUlSW_E_NS1_11comp_targetILNS1_3genE2ELNS1_11target_archE906ELNS1_3gpuE6ELNS1_3repE0EEENS1_30default_config_static_selectorELNS0_4arch9wavefront6targetE0EEEvT1_,"axG",@progbits,_ZN7rocprim17ROCPRIM_400000_NS6detail17trampoline_kernelINS0_14default_configENS1_27scan_by_key_config_selectorIidEEZZNS1_16scan_by_key_implILNS1_25lookback_scan_determinismE0ELb0ES3_N6thrust23THRUST_200600_302600_NS6detail15normal_iteratorINS9_10device_ptrIiEEEENSB_INSC_IdEEEESG_dNS9_4plusIvEENS9_8equal_toIvEEdEE10hipError_tPvRmT2_T3_T4_T5_mT6_T7_P12ihipStream_tbENKUlT_T0_E_clISt17integral_constantIbLb0EES10_IbLb1EEEEDaSW_SX_EUlSW_E_NS1_11comp_targetILNS1_3genE2ELNS1_11target_archE906ELNS1_3gpuE6ELNS1_3repE0EEENS1_30default_config_static_selectorELNS0_4arch9wavefront6targetE0EEEvT1_,comdat
	.protected	_ZN7rocprim17ROCPRIM_400000_NS6detail17trampoline_kernelINS0_14default_configENS1_27scan_by_key_config_selectorIidEEZZNS1_16scan_by_key_implILNS1_25lookback_scan_determinismE0ELb0ES3_N6thrust23THRUST_200600_302600_NS6detail15normal_iteratorINS9_10device_ptrIiEEEENSB_INSC_IdEEEESG_dNS9_4plusIvEENS9_8equal_toIvEEdEE10hipError_tPvRmT2_T3_T4_T5_mT6_T7_P12ihipStream_tbENKUlT_T0_E_clISt17integral_constantIbLb0EES10_IbLb1EEEEDaSW_SX_EUlSW_E_NS1_11comp_targetILNS1_3genE2ELNS1_11target_archE906ELNS1_3gpuE6ELNS1_3repE0EEENS1_30default_config_static_selectorELNS0_4arch9wavefront6targetE0EEEvT1_ ; -- Begin function _ZN7rocprim17ROCPRIM_400000_NS6detail17trampoline_kernelINS0_14default_configENS1_27scan_by_key_config_selectorIidEEZZNS1_16scan_by_key_implILNS1_25lookback_scan_determinismE0ELb0ES3_N6thrust23THRUST_200600_302600_NS6detail15normal_iteratorINS9_10device_ptrIiEEEENSB_INSC_IdEEEESG_dNS9_4plusIvEENS9_8equal_toIvEEdEE10hipError_tPvRmT2_T3_T4_T5_mT6_T7_P12ihipStream_tbENKUlT_T0_E_clISt17integral_constantIbLb0EES10_IbLb1EEEEDaSW_SX_EUlSW_E_NS1_11comp_targetILNS1_3genE2ELNS1_11target_archE906ELNS1_3gpuE6ELNS1_3repE0EEENS1_30default_config_static_selectorELNS0_4arch9wavefront6targetE0EEEvT1_
	.globl	_ZN7rocprim17ROCPRIM_400000_NS6detail17trampoline_kernelINS0_14default_configENS1_27scan_by_key_config_selectorIidEEZZNS1_16scan_by_key_implILNS1_25lookback_scan_determinismE0ELb0ES3_N6thrust23THRUST_200600_302600_NS6detail15normal_iteratorINS9_10device_ptrIiEEEENSB_INSC_IdEEEESG_dNS9_4plusIvEENS9_8equal_toIvEEdEE10hipError_tPvRmT2_T3_T4_T5_mT6_T7_P12ihipStream_tbENKUlT_T0_E_clISt17integral_constantIbLb0EES10_IbLb1EEEEDaSW_SX_EUlSW_E_NS1_11comp_targetILNS1_3genE2ELNS1_11target_archE906ELNS1_3gpuE6ELNS1_3repE0EEENS1_30default_config_static_selectorELNS0_4arch9wavefront6targetE0EEEvT1_
	.p2align	8
	.type	_ZN7rocprim17ROCPRIM_400000_NS6detail17trampoline_kernelINS0_14default_configENS1_27scan_by_key_config_selectorIidEEZZNS1_16scan_by_key_implILNS1_25lookback_scan_determinismE0ELb0ES3_N6thrust23THRUST_200600_302600_NS6detail15normal_iteratorINS9_10device_ptrIiEEEENSB_INSC_IdEEEESG_dNS9_4plusIvEENS9_8equal_toIvEEdEE10hipError_tPvRmT2_T3_T4_T5_mT6_T7_P12ihipStream_tbENKUlT_T0_E_clISt17integral_constantIbLb0EES10_IbLb1EEEEDaSW_SX_EUlSW_E_NS1_11comp_targetILNS1_3genE2ELNS1_11target_archE906ELNS1_3gpuE6ELNS1_3repE0EEENS1_30default_config_static_selectorELNS0_4arch9wavefront6targetE0EEEvT1_,@function
_ZN7rocprim17ROCPRIM_400000_NS6detail17trampoline_kernelINS0_14default_configENS1_27scan_by_key_config_selectorIidEEZZNS1_16scan_by_key_implILNS1_25lookback_scan_determinismE0ELb0ES3_N6thrust23THRUST_200600_302600_NS6detail15normal_iteratorINS9_10device_ptrIiEEEENSB_INSC_IdEEEESG_dNS9_4plusIvEENS9_8equal_toIvEEdEE10hipError_tPvRmT2_T3_T4_T5_mT6_T7_P12ihipStream_tbENKUlT_T0_E_clISt17integral_constantIbLb0EES10_IbLb1EEEEDaSW_SX_EUlSW_E_NS1_11comp_targetILNS1_3genE2ELNS1_11target_archE906ELNS1_3gpuE6ELNS1_3repE0EEENS1_30default_config_static_selectorELNS0_4arch9wavefront6targetE0EEEvT1_: ; @_ZN7rocprim17ROCPRIM_400000_NS6detail17trampoline_kernelINS0_14default_configENS1_27scan_by_key_config_selectorIidEEZZNS1_16scan_by_key_implILNS1_25lookback_scan_determinismE0ELb0ES3_N6thrust23THRUST_200600_302600_NS6detail15normal_iteratorINS9_10device_ptrIiEEEENSB_INSC_IdEEEESG_dNS9_4plusIvEENS9_8equal_toIvEEdEE10hipError_tPvRmT2_T3_T4_T5_mT6_T7_P12ihipStream_tbENKUlT_T0_E_clISt17integral_constantIbLb0EES10_IbLb1EEEEDaSW_SX_EUlSW_E_NS1_11comp_targetILNS1_3genE2ELNS1_11target_archE906ELNS1_3gpuE6ELNS1_3repE0EEENS1_30default_config_static_selectorELNS0_4arch9wavefront6targetE0EEEvT1_
; %bb.0:
	.section	.rodata,"a",@progbits
	.p2align	6, 0x0
	.amdhsa_kernel _ZN7rocprim17ROCPRIM_400000_NS6detail17trampoline_kernelINS0_14default_configENS1_27scan_by_key_config_selectorIidEEZZNS1_16scan_by_key_implILNS1_25lookback_scan_determinismE0ELb0ES3_N6thrust23THRUST_200600_302600_NS6detail15normal_iteratorINS9_10device_ptrIiEEEENSB_INSC_IdEEEESG_dNS9_4plusIvEENS9_8equal_toIvEEdEE10hipError_tPvRmT2_T3_T4_T5_mT6_T7_P12ihipStream_tbENKUlT_T0_E_clISt17integral_constantIbLb0EES10_IbLb1EEEEDaSW_SX_EUlSW_E_NS1_11comp_targetILNS1_3genE2ELNS1_11target_archE906ELNS1_3gpuE6ELNS1_3repE0EEENS1_30default_config_static_selectorELNS0_4arch9wavefront6targetE0EEEvT1_
		.amdhsa_group_segment_fixed_size 0
		.amdhsa_private_segment_fixed_size 0
		.amdhsa_kernarg_size 136
		.amdhsa_user_sgpr_count 6
		.amdhsa_user_sgpr_private_segment_buffer 1
		.amdhsa_user_sgpr_dispatch_ptr 0
		.amdhsa_user_sgpr_queue_ptr 0
		.amdhsa_user_sgpr_kernarg_segment_ptr 1
		.amdhsa_user_sgpr_dispatch_id 0
		.amdhsa_user_sgpr_flat_scratch_init 0
		.amdhsa_user_sgpr_private_segment_size 0
		.amdhsa_wavefront_size32 1
		.amdhsa_uses_dynamic_stack 0
		.amdhsa_system_sgpr_private_segment_wavefront_offset 0
		.amdhsa_system_sgpr_workgroup_id_x 1
		.amdhsa_system_sgpr_workgroup_id_y 0
		.amdhsa_system_sgpr_workgroup_id_z 0
		.amdhsa_system_sgpr_workgroup_info 0
		.amdhsa_system_vgpr_workitem_id 0
		.amdhsa_next_free_vgpr 1
		.amdhsa_next_free_sgpr 1
		.amdhsa_reserve_vcc 0
		.amdhsa_reserve_flat_scratch 0
		.amdhsa_float_round_mode_32 0
		.amdhsa_float_round_mode_16_64 0
		.amdhsa_float_denorm_mode_32 3
		.amdhsa_float_denorm_mode_16_64 3
		.amdhsa_dx10_clamp 1
		.amdhsa_ieee_mode 1
		.amdhsa_fp16_overflow 0
		.amdhsa_workgroup_processor_mode 1
		.amdhsa_memory_ordered 1
		.amdhsa_forward_progress 1
		.amdhsa_shared_vgpr_count 0
		.amdhsa_exception_fp_ieee_invalid_op 0
		.amdhsa_exception_fp_denorm_src 0
		.amdhsa_exception_fp_ieee_div_zero 0
		.amdhsa_exception_fp_ieee_overflow 0
		.amdhsa_exception_fp_ieee_underflow 0
		.amdhsa_exception_fp_ieee_inexact 0
		.amdhsa_exception_int_div_zero 0
	.end_amdhsa_kernel
	.section	.text._ZN7rocprim17ROCPRIM_400000_NS6detail17trampoline_kernelINS0_14default_configENS1_27scan_by_key_config_selectorIidEEZZNS1_16scan_by_key_implILNS1_25lookback_scan_determinismE0ELb0ES3_N6thrust23THRUST_200600_302600_NS6detail15normal_iteratorINS9_10device_ptrIiEEEENSB_INSC_IdEEEESG_dNS9_4plusIvEENS9_8equal_toIvEEdEE10hipError_tPvRmT2_T3_T4_T5_mT6_T7_P12ihipStream_tbENKUlT_T0_E_clISt17integral_constantIbLb0EES10_IbLb1EEEEDaSW_SX_EUlSW_E_NS1_11comp_targetILNS1_3genE2ELNS1_11target_archE906ELNS1_3gpuE6ELNS1_3repE0EEENS1_30default_config_static_selectorELNS0_4arch9wavefront6targetE0EEEvT1_,"axG",@progbits,_ZN7rocprim17ROCPRIM_400000_NS6detail17trampoline_kernelINS0_14default_configENS1_27scan_by_key_config_selectorIidEEZZNS1_16scan_by_key_implILNS1_25lookback_scan_determinismE0ELb0ES3_N6thrust23THRUST_200600_302600_NS6detail15normal_iteratorINS9_10device_ptrIiEEEENSB_INSC_IdEEEESG_dNS9_4plusIvEENS9_8equal_toIvEEdEE10hipError_tPvRmT2_T3_T4_T5_mT6_T7_P12ihipStream_tbENKUlT_T0_E_clISt17integral_constantIbLb0EES10_IbLb1EEEEDaSW_SX_EUlSW_E_NS1_11comp_targetILNS1_3genE2ELNS1_11target_archE906ELNS1_3gpuE6ELNS1_3repE0EEENS1_30default_config_static_selectorELNS0_4arch9wavefront6targetE0EEEvT1_,comdat
.Lfunc_end1123:
	.size	_ZN7rocprim17ROCPRIM_400000_NS6detail17trampoline_kernelINS0_14default_configENS1_27scan_by_key_config_selectorIidEEZZNS1_16scan_by_key_implILNS1_25lookback_scan_determinismE0ELb0ES3_N6thrust23THRUST_200600_302600_NS6detail15normal_iteratorINS9_10device_ptrIiEEEENSB_INSC_IdEEEESG_dNS9_4plusIvEENS9_8equal_toIvEEdEE10hipError_tPvRmT2_T3_T4_T5_mT6_T7_P12ihipStream_tbENKUlT_T0_E_clISt17integral_constantIbLb0EES10_IbLb1EEEEDaSW_SX_EUlSW_E_NS1_11comp_targetILNS1_3genE2ELNS1_11target_archE906ELNS1_3gpuE6ELNS1_3repE0EEENS1_30default_config_static_selectorELNS0_4arch9wavefront6targetE0EEEvT1_, .Lfunc_end1123-_ZN7rocprim17ROCPRIM_400000_NS6detail17trampoline_kernelINS0_14default_configENS1_27scan_by_key_config_selectorIidEEZZNS1_16scan_by_key_implILNS1_25lookback_scan_determinismE0ELb0ES3_N6thrust23THRUST_200600_302600_NS6detail15normal_iteratorINS9_10device_ptrIiEEEENSB_INSC_IdEEEESG_dNS9_4plusIvEENS9_8equal_toIvEEdEE10hipError_tPvRmT2_T3_T4_T5_mT6_T7_P12ihipStream_tbENKUlT_T0_E_clISt17integral_constantIbLb0EES10_IbLb1EEEEDaSW_SX_EUlSW_E_NS1_11comp_targetILNS1_3genE2ELNS1_11target_archE906ELNS1_3gpuE6ELNS1_3repE0EEENS1_30default_config_static_selectorELNS0_4arch9wavefront6targetE0EEEvT1_
                                        ; -- End function
	.set _ZN7rocprim17ROCPRIM_400000_NS6detail17trampoline_kernelINS0_14default_configENS1_27scan_by_key_config_selectorIidEEZZNS1_16scan_by_key_implILNS1_25lookback_scan_determinismE0ELb0ES3_N6thrust23THRUST_200600_302600_NS6detail15normal_iteratorINS9_10device_ptrIiEEEENSB_INSC_IdEEEESG_dNS9_4plusIvEENS9_8equal_toIvEEdEE10hipError_tPvRmT2_T3_T4_T5_mT6_T7_P12ihipStream_tbENKUlT_T0_E_clISt17integral_constantIbLb0EES10_IbLb1EEEEDaSW_SX_EUlSW_E_NS1_11comp_targetILNS1_3genE2ELNS1_11target_archE906ELNS1_3gpuE6ELNS1_3repE0EEENS1_30default_config_static_selectorELNS0_4arch9wavefront6targetE0EEEvT1_.num_vgpr, 0
	.set _ZN7rocprim17ROCPRIM_400000_NS6detail17trampoline_kernelINS0_14default_configENS1_27scan_by_key_config_selectorIidEEZZNS1_16scan_by_key_implILNS1_25lookback_scan_determinismE0ELb0ES3_N6thrust23THRUST_200600_302600_NS6detail15normal_iteratorINS9_10device_ptrIiEEEENSB_INSC_IdEEEESG_dNS9_4plusIvEENS9_8equal_toIvEEdEE10hipError_tPvRmT2_T3_T4_T5_mT6_T7_P12ihipStream_tbENKUlT_T0_E_clISt17integral_constantIbLb0EES10_IbLb1EEEEDaSW_SX_EUlSW_E_NS1_11comp_targetILNS1_3genE2ELNS1_11target_archE906ELNS1_3gpuE6ELNS1_3repE0EEENS1_30default_config_static_selectorELNS0_4arch9wavefront6targetE0EEEvT1_.num_agpr, 0
	.set _ZN7rocprim17ROCPRIM_400000_NS6detail17trampoline_kernelINS0_14default_configENS1_27scan_by_key_config_selectorIidEEZZNS1_16scan_by_key_implILNS1_25lookback_scan_determinismE0ELb0ES3_N6thrust23THRUST_200600_302600_NS6detail15normal_iteratorINS9_10device_ptrIiEEEENSB_INSC_IdEEEESG_dNS9_4plusIvEENS9_8equal_toIvEEdEE10hipError_tPvRmT2_T3_T4_T5_mT6_T7_P12ihipStream_tbENKUlT_T0_E_clISt17integral_constantIbLb0EES10_IbLb1EEEEDaSW_SX_EUlSW_E_NS1_11comp_targetILNS1_3genE2ELNS1_11target_archE906ELNS1_3gpuE6ELNS1_3repE0EEENS1_30default_config_static_selectorELNS0_4arch9wavefront6targetE0EEEvT1_.numbered_sgpr, 0
	.set _ZN7rocprim17ROCPRIM_400000_NS6detail17trampoline_kernelINS0_14default_configENS1_27scan_by_key_config_selectorIidEEZZNS1_16scan_by_key_implILNS1_25lookback_scan_determinismE0ELb0ES3_N6thrust23THRUST_200600_302600_NS6detail15normal_iteratorINS9_10device_ptrIiEEEENSB_INSC_IdEEEESG_dNS9_4plusIvEENS9_8equal_toIvEEdEE10hipError_tPvRmT2_T3_T4_T5_mT6_T7_P12ihipStream_tbENKUlT_T0_E_clISt17integral_constantIbLb0EES10_IbLb1EEEEDaSW_SX_EUlSW_E_NS1_11comp_targetILNS1_3genE2ELNS1_11target_archE906ELNS1_3gpuE6ELNS1_3repE0EEENS1_30default_config_static_selectorELNS0_4arch9wavefront6targetE0EEEvT1_.num_named_barrier, 0
	.set _ZN7rocprim17ROCPRIM_400000_NS6detail17trampoline_kernelINS0_14default_configENS1_27scan_by_key_config_selectorIidEEZZNS1_16scan_by_key_implILNS1_25lookback_scan_determinismE0ELb0ES3_N6thrust23THRUST_200600_302600_NS6detail15normal_iteratorINS9_10device_ptrIiEEEENSB_INSC_IdEEEESG_dNS9_4plusIvEENS9_8equal_toIvEEdEE10hipError_tPvRmT2_T3_T4_T5_mT6_T7_P12ihipStream_tbENKUlT_T0_E_clISt17integral_constantIbLb0EES10_IbLb1EEEEDaSW_SX_EUlSW_E_NS1_11comp_targetILNS1_3genE2ELNS1_11target_archE906ELNS1_3gpuE6ELNS1_3repE0EEENS1_30default_config_static_selectorELNS0_4arch9wavefront6targetE0EEEvT1_.private_seg_size, 0
	.set _ZN7rocprim17ROCPRIM_400000_NS6detail17trampoline_kernelINS0_14default_configENS1_27scan_by_key_config_selectorIidEEZZNS1_16scan_by_key_implILNS1_25lookback_scan_determinismE0ELb0ES3_N6thrust23THRUST_200600_302600_NS6detail15normal_iteratorINS9_10device_ptrIiEEEENSB_INSC_IdEEEESG_dNS9_4plusIvEENS9_8equal_toIvEEdEE10hipError_tPvRmT2_T3_T4_T5_mT6_T7_P12ihipStream_tbENKUlT_T0_E_clISt17integral_constantIbLb0EES10_IbLb1EEEEDaSW_SX_EUlSW_E_NS1_11comp_targetILNS1_3genE2ELNS1_11target_archE906ELNS1_3gpuE6ELNS1_3repE0EEENS1_30default_config_static_selectorELNS0_4arch9wavefront6targetE0EEEvT1_.uses_vcc, 0
	.set _ZN7rocprim17ROCPRIM_400000_NS6detail17trampoline_kernelINS0_14default_configENS1_27scan_by_key_config_selectorIidEEZZNS1_16scan_by_key_implILNS1_25lookback_scan_determinismE0ELb0ES3_N6thrust23THRUST_200600_302600_NS6detail15normal_iteratorINS9_10device_ptrIiEEEENSB_INSC_IdEEEESG_dNS9_4plusIvEENS9_8equal_toIvEEdEE10hipError_tPvRmT2_T3_T4_T5_mT6_T7_P12ihipStream_tbENKUlT_T0_E_clISt17integral_constantIbLb0EES10_IbLb1EEEEDaSW_SX_EUlSW_E_NS1_11comp_targetILNS1_3genE2ELNS1_11target_archE906ELNS1_3gpuE6ELNS1_3repE0EEENS1_30default_config_static_selectorELNS0_4arch9wavefront6targetE0EEEvT1_.uses_flat_scratch, 0
	.set _ZN7rocprim17ROCPRIM_400000_NS6detail17trampoline_kernelINS0_14default_configENS1_27scan_by_key_config_selectorIidEEZZNS1_16scan_by_key_implILNS1_25lookback_scan_determinismE0ELb0ES3_N6thrust23THRUST_200600_302600_NS6detail15normal_iteratorINS9_10device_ptrIiEEEENSB_INSC_IdEEEESG_dNS9_4plusIvEENS9_8equal_toIvEEdEE10hipError_tPvRmT2_T3_T4_T5_mT6_T7_P12ihipStream_tbENKUlT_T0_E_clISt17integral_constantIbLb0EES10_IbLb1EEEEDaSW_SX_EUlSW_E_NS1_11comp_targetILNS1_3genE2ELNS1_11target_archE906ELNS1_3gpuE6ELNS1_3repE0EEENS1_30default_config_static_selectorELNS0_4arch9wavefront6targetE0EEEvT1_.has_dyn_sized_stack, 0
	.set _ZN7rocprim17ROCPRIM_400000_NS6detail17trampoline_kernelINS0_14default_configENS1_27scan_by_key_config_selectorIidEEZZNS1_16scan_by_key_implILNS1_25lookback_scan_determinismE0ELb0ES3_N6thrust23THRUST_200600_302600_NS6detail15normal_iteratorINS9_10device_ptrIiEEEENSB_INSC_IdEEEESG_dNS9_4plusIvEENS9_8equal_toIvEEdEE10hipError_tPvRmT2_T3_T4_T5_mT6_T7_P12ihipStream_tbENKUlT_T0_E_clISt17integral_constantIbLb0EES10_IbLb1EEEEDaSW_SX_EUlSW_E_NS1_11comp_targetILNS1_3genE2ELNS1_11target_archE906ELNS1_3gpuE6ELNS1_3repE0EEENS1_30default_config_static_selectorELNS0_4arch9wavefront6targetE0EEEvT1_.has_recursion, 0
	.set _ZN7rocprim17ROCPRIM_400000_NS6detail17trampoline_kernelINS0_14default_configENS1_27scan_by_key_config_selectorIidEEZZNS1_16scan_by_key_implILNS1_25lookback_scan_determinismE0ELb0ES3_N6thrust23THRUST_200600_302600_NS6detail15normal_iteratorINS9_10device_ptrIiEEEENSB_INSC_IdEEEESG_dNS9_4plusIvEENS9_8equal_toIvEEdEE10hipError_tPvRmT2_T3_T4_T5_mT6_T7_P12ihipStream_tbENKUlT_T0_E_clISt17integral_constantIbLb0EES10_IbLb1EEEEDaSW_SX_EUlSW_E_NS1_11comp_targetILNS1_3genE2ELNS1_11target_archE906ELNS1_3gpuE6ELNS1_3repE0EEENS1_30default_config_static_selectorELNS0_4arch9wavefront6targetE0EEEvT1_.has_indirect_call, 0
	.section	.AMDGPU.csdata,"",@progbits
; Kernel info:
; codeLenInByte = 0
; TotalNumSgprs: 0
; NumVgprs: 0
; ScratchSize: 0
; MemoryBound: 0
; FloatMode: 240
; IeeeMode: 1
; LDSByteSize: 0 bytes/workgroup (compile time only)
; SGPRBlocks: 0
; VGPRBlocks: 0
; NumSGPRsForWavesPerEU: 1
; NumVGPRsForWavesPerEU: 1
; Occupancy: 16
; WaveLimiterHint : 0
; COMPUTE_PGM_RSRC2:SCRATCH_EN: 0
; COMPUTE_PGM_RSRC2:USER_SGPR: 6
; COMPUTE_PGM_RSRC2:TRAP_HANDLER: 0
; COMPUTE_PGM_RSRC2:TGID_X_EN: 1
; COMPUTE_PGM_RSRC2:TGID_Y_EN: 0
; COMPUTE_PGM_RSRC2:TGID_Z_EN: 0
; COMPUTE_PGM_RSRC2:TIDIG_COMP_CNT: 0
	.section	.text._ZN7rocprim17ROCPRIM_400000_NS6detail17trampoline_kernelINS0_14default_configENS1_27scan_by_key_config_selectorIidEEZZNS1_16scan_by_key_implILNS1_25lookback_scan_determinismE0ELb0ES3_N6thrust23THRUST_200600_302600_NS6detail15normal_iteratorINS9_10device_ptrIiEEEENSB_INSC_IdEEEESG_dNS9_4plusIvEENS9_8equal_toIvEEdEE10hipError_tPvRmT2_T3_T4_T5_mT6_T7_P12ihipStream_tbENKUlT_T0_E_clISt17integral_constantIbLb0EES10_IbLb1EEEEDaSW_SX_EUlSW_E_NS1_11comp_targetILNS1_3genE10ELNS1_11target_archE1200ELNS1_3gpuE4ELNS1_3repE0EEENS1_30default_config_static_selectorELNS0_4arch9wavefront6targetE0EEEvT1_,"axG",@progbits,_ZN7rocprim17ROCPRIM_400000_NS6detail17trampoline_kernelINS0_14default_configENS1_27scan_by_key_config_selectorIidEEZZNS1_16scan_by_key_implILNS1_25lookback_scan_determinismE0ELb0ES3_N6thrust23THRUST_200600_302600_NS6detail15normal_iteratorINS9_10device_ptrIiEEEENSB_INSC_IdEEEESG_dNS9_4plusIvEENS9_8equal_toIvEEdEE10hipError_tPvRmT2_T3_T4_T5_mT6_T7_P12ihipStream_tbENKUlT_T0_E_clISt17integral_constantIbLb0EES10_IbLb1EEEEDaSW_SX_EUlSW_E_NS1_11comp_targetILNS1_3genE10ELNS1_11target_archE1200ELNS1_3gpuE4ELNS1_3repE0EEENS1_30default_config_static_selectorELNS0_4arch9wavefront6targetE0EEEvT1_,comdat
	.protected	_ZN7rocprim17ROCPRIM_400000_NS6detail17trampoline_kernelINS0_14default_configENS1_27scan_by_key_config_selectorIidEEZZNS1_16scan_by_key_implILNS1_25lookback_scan_determinismE0ELb0ES3_N6thrust23THRUST_200600_302600_NS6detail15normal_iteratorINS9_10device_ptrIiEEEENSB_INSC_IdEEEESG_dNS9_4plusIvEENS9_8equal_toIvEEdEE10hipError_tPvRmT2_T3_T4_T5_mT6_T7_P12ihipStream_tbENKUlT_T0_E_clISt17integral_constantIbLb0EES10_IbLb1EEEEDaSW_SX_EUlSW_E_NS1_11comp_targetILNS1_3genE10ELNS1_11target_archE1200ELNS1_3gpuE4ELNS1_3repE0EEENS1_30default_config_static_selectorELNS0_4arch9wavefront6targetE0EEEvT1_ ; -- Begin function _ZN7rocprim17ROCPRIM_400000_NS6detail17trampoline_kernelINS0_14default_configENS1_27scan_by_key_config_selectorIidEEZZNS1_16scan_by_key_implILNS1_25lookback_scan_determinismE0ELb0ES3_N6thrust23THRUST_200600_302600_NS6detail15normal_iteratorINS9_10device_ptrIiEEEENSB_INSC_IdEEEESG_dNS9_4plusIvEENS9_8equal_toIvEEdEE10hipError_tPvRmT2_T3_T4_T5_mT6_T7_P12ihipStream_tbENKUlT_T0_E_clISt17integral_constantIbLb0EES10_IbLb1EEEEDaSW_SX_EUlSW_E_NS1_11comp_targetILNS1_3genE10ELNS1_11target_archE1200ELNS1_3gpuE4ELNS1_3repE0EEENS1_30default_config_static_selectorELNS0_4arch9wavefront6targetE0EEEvT1_
	.globl	_ZN7rocprim17ROCPRIM_400000_NS6detail17trampoline_kernelINS0_14default_configENS1_27scan_by_key_config_selectorIidEEZZNS1_16scan_by_key_implILNS1_25lookback_scan_determinismE0ELb0ES3_N6thrust23THRUST_200600_302600_NS6detail15normal_iteratorINS9_10device_ptrIiEEEENSB_INSC_IdEEEESG_dNS9_4plusIvEENS9_8equal_toIvEEdEE10hipError_tPvRmT2_T3_T4_T5_mT6_T7_P12ihipStream_tbENKUlT_T0_E_clISt17integral_constantIbLb0EES10_IbLb1EEEEDaSW_SX_EUlSW_E_NS1_11comp_targetILNS1_3genE10ELNS1_11target_archE1200ELNS1_3gpuE4ELNS1_3repE0EEENS1_30default_config_static_selectorELNS0_4arch9wavefront6targetE0EEEvT1_
	.p2align	8
	.type	_ZN7rocprim17ROCPRIM_400000_NS6detail17trampoline_kernelINS0_14default_configENS1_27scan_by_key_config_selectorIidEEZZNS1_16scan_by_key_implILNS1_25lookback_scan_determinismE0ELb0ES3_N6thrust23THRUST_200600_302600_NS6detail15normal_iteratorINS9_10device_ptrIiEEEENSB_INSC_IdEEEESG_dNS9_4plusIvEENS9_8equal_toIvEEdEE10hipError_tPvRmT2_T3_T4_T5_mT6_T7_P12ihipStream_tbENKUlT_T0_E_clISt17integral_constantIbLb0EES10_IbLb1EEEEDaSW_SX_EUlSW_E_NS1_11comp_targetILNS1_3genE10ELNS1_11target_archE1200ELNS1_3gpuE4ELNS1_3repE0EEENS1_30default_config_static_selectorELNS0_4arch9wavefront6targetE0EEEvT1_,@function
_ZN7rocprim17ROCPRIM_400000_NS6detail17trampoline_kernelINS0_14default_configENS1_27scan_by_key_config_selectorIidEEZZNS1_16scan_by_key_implILNS1_25lookback_scan_determinismE0ELb0ES3_N6thrust23THRUST_200600_302600_NS6detail15normal_iteratorINS9_10device_ptrIiEEEENSB_INSC_IdEEEESG_dNS9_4plusIvEENS9_8equal_toIvEEdEE10hipError_tPvRmT2_T3_T4_T5_mT6_T7_P12ihipStream_tbENKUlT_T0_E_clISt17integral_constantIbLb0EES10_IbLb1EEEEDaSW_SX_EUlSW_E_NS1_11comp_targetILNS1_3genE10ELNS1_11target_archE1200ELNS1_3gpuE4ELNS1_3repE0EEENS1_30default_config_static_selectorELNS0_4arch9wavefront6targetE0EEEvT1_: ; @_ZN7rocprim17ROCPRIM_400000_NS6detail17trampoline_kernelINS0_14default_configENS1_27scan_by_key_config_selectorIidEEZZNS1_16scan_by_key_implILNS1_25lookback_scan_determinismE0ELb0ES3_N6thrust23THRUST_200600_302600_NS6detail15normal_iteratorINS9_10device_ptrIiEEEENSB_INSC_IdEEEESG_dNS9_4plusIvEENS9_8equal_toIvEEdEE10hipError_tPvRmT2_T3_T4_T5_mT6_T7_P12ihipStream_tbENKUlT_T0_E_clISt17integral_constantIbLb0EES10_IbLb1EEEEDaSW_SX_EUlSW_E_NS1_11comp_targetILNS1_3genE10ELNS1_11target_archE1200ELNS1_3gpuE4ELNS1_3repE0EEENS1_30default_config_static_selectorELNS0_4arch9wavefront6targetE0EEEvT1_
; %bb.0:
	.section	.rodata,"a",@progbits
	.p2align	6, 0x0
	.amdhsa_kernel _ZN7rocprim17ROCPRIM_400000_NS6detail17trampoline_kernelINS0_14default_configENS1_27scan_by_key_config_selectorIidEEZZNS1_16scan_by_key_implILNS1_25lookback_scan_determinismE0ELb0ES3_N6thrust23THRUST_200600_302600_NS6detail15normal_iteratorINS9_10device_ptrIiEEEENSB_INSC_IdEEEESG_dNS9_4plusIvEENS9_8equal_toIvEEdEE10hipError_tPvRmT2_T3_T4_T5_mT6_T7_P12ihipStream_tbENKUlT_T0_E_clISt17integral_constantIbLb0EES10_IbLb1EEEEDaSW_SX_EUlSW_E_NS1_11comp_targetILNS1_3genE10ELNS1_11target_archE1200ELNS1_3gpuE4ELNS1_3repE0EEENS1_30default_config_static_selectorELNS0_4arch9wavefront6targetE0EEEvT1_
		.amdhsa_group_segment_fixed_size 0
		.amdhsa_private_segment_fixed_size 0
		.amdhsa_kernarg_size 136
		.amdhsa_user_sgpr_count 6
		.amdhsa_user_sgpr_private_segment_buffer 1
		.amdhsa_user_sgpr_dispatch_ptr 0
		.amdhsa_user_sgpr_queue_ptr 0
		.amdhsa_user_sgpr_kernarg_segment_ptr 1
		.amdhsa_user_sgpr_dispatch_id 0
		.amdhsa_user_sgpr_flat_scratch_init 0
		.amdhsa_user_sgpr_private_segment_size 0
		.amdhsa_wavefront_size32 1
		.amdhsa_uses_dynamic_stack 0
		.amdhsa_system_sgpr_private_segment_wavefront_offset 0
		.amdhsa_system_sgpr_workgroup_id_x 1
		.amdhsa_system_sgpr_workgroup_id_y 0
		.amdhsa_system_sgpr_workgroup_id_z 0
		.amdhsa_system_sgpr_workgroup_info 0
		.amdhsa_system_vgpr_workitem_id 0
		.amdhsa_next_free_vgpr 1
		.amdhsa_next_free_sgpr 1
		.amdhsa_reserve_vcc 0
		.amdhsa_reserve_flat_scratch 0
		.amdhsa_float_round_mode_32 0
		.amdhsa_float_round_mode_16_64 0
		.amdhsa_float_denorm_mode_32 3
		.amdhsa_float_denorm_mode_16_64 3
		.amdhsa_dx10_clamp 1
		.amdhsa_ieee_mode 1
		.amdhsa_fp16_overflow 0
		.amdhsa_workgroup_processor_mode 1
		.amdhsa_memory_ordered 1
		.amdhsa_forward_progress 1
		.amdhsa_shared_vgpr_count 0
		.amdhsa_exception_fp_ieee_invalid_op 0
		.amdhsa_exception_fp_denorm_src 0
		.amdhsa_exception_fp_ieee_div_zero 0
		.amdhsa_exception_fp_ieee_overflow 0
		.amdhsa_exception_fp_ieee_underflow 0
		.amdhsa_exception_fp_ieee_inexact 0
		.amdhsa_exception_int_div_zero 0
	.end_amdhsa_kernel
	.section	.text._ZN7rocprim17ROCPRIM_400000_NS6detail17trampoline_kernelINS0_14default_configENS1_27scan_by_key_config_selectorIidEEZZNS1_16scan_by_key_implILNS1_25lookback_scan_determinismE0ELb0ES3_N6thrust23THRUST_200600_302600_NS6detail15normal_iteratorINS9_10device_ptrIiEEEENSB_INSC_IdEEEESG_dNS9_4plusIvEENS9_8equal_toIvEEdEE10hipError_tPvRmT2_T3_T4_T5_mT6_T7_P12ihipStream_tbENKUlT_T0_E_clISt17integral_constantIbLb0EES10_IbLb1EEEEDaSW_SX_EUlSW_E_NS1_11comp_targetILNS1_3genE10ELNS1_11target_archE1200ELNS1_3gpuE4ELNS1_3repE0EEENS1_30default_config_static_selectorELNS0_4arch9wavefront6targetE0EEEvT1_,"axG",@progbits,_ZN7rocprim17ROCPRIM_400000_NS6detail17trampoline_kernelINS0_14default_configENS1_27scan_by_key_config_selectorIidEEZZNS1_16scan_by_key_implILNS1_25lookback_scan_determinismE0ELb0ES3_N6thrust23THRUST_200600_302600_NS6detail15normal_iteratorINS9_10device_ptrIiEEEENSB_INSC_IdEEEESG_dNS9_4plusIvEENS9_8equal_toIvEEdEE10hipError_tPvRmT2_T3_T4_T5_mT6_T7_P12ihipStream_tbENKUlT_T0_E_clISt17integral_constantIbLb0EES10_IbLb1EEEEDaSW_SX_EUlSW_E_NS1_11comp_targetILNS1_3genE10ELNS1_11target_archE1200ELNS1_3gpuE4ELNS1_3repE0EEENS1_30default_config_static_selectorELNS0_4arch9wavefront6targetE0EEEvT1_,comdat
.Lfunc_end1124:
	.size	_ZN7rocprim17ROCPRIM_400000_NS6detail17trampoline_kernelINS0_14default_configENS1_27scan_by_key_config_selectorIidEEZZNS1_16scan_by_key_implILNS1_25lookback_scan_determinismE0ELb0ES3_N6thrust23THRUST_200600_302600_NS6detail15normal_iteratorINS9_10device_ptrIiEEEENSB_INSC_IdEEEESG_dNS9_4plusIvEENS9_8equal_toIvEEdEE10hipError_tPvRmT2_T3_T4_T5_mT6_T7_P12ihipStream_tbENKUlT_T0_E_clISt17integral_constantIbLb0EES10_IbLb1EEEEDaSW_SX_EUlSW_E_NS1_11comp_targetILNS1_3genE10ELNS1_11target_archE1200ELNS1_3gpuE4ELNS1_3repE0EEENS1_30default_config_static_selectorELNS0_4arch9wavefront6targetE0EEEvT1_, .Lfunc_end1124-_ZN7rocprim17ROCPRIM_400000_NS6detail17trampoline_kernelINS0_14default_configENS1_27scan_by_key_config_selectorIidEEZZNS1_16scan_by_key_implILNS1_25lookback_scan_determinismE0ELb0ES3_N6thrust23THRUST_200600_302600_NS6detail15normal_iteratorINS9_10device_ptrIiEEEENSB_INSC_IdEEEESG_dNS9_4plusIvEENS9_8equal_toIvEEdEE10hipError_tPvRmT2_T3_T4_T5_mT6_T7_P12ihipStream_tbENKUlT_T0_E_clISt17integral_constantIbLb0EES10_IbLb1EEEEDaSW_SX_EUlSW_E_NS1_11comp_targetILNS1_3genE10ELNS1_11target_archE1200ELNS1_3gpuE4ELNS1_3repE0EEENS1_30default_config_static_selectorELNS0_4arch9wavefront6targetE0EEEvT1_
                                        ; -- End function
	.set _ZN7rocprim17ROCPRIM_400000_NS6detail17trampoline_kernelINS0_14default_configENS1_27scan_by_key_config_selectorIidEEZZNS1_16scan_by_key_implILNS1_25lookback_scan_determinismE0ELb0ES3_N6thrust23THRUST_200600_302600_NS6detail15normal_iteratorINS9_10device_ptrIiEEEENSB_INSC_IdEEEESG_dNS9_4plusIvEENS9_8equal_toIvEEdEE10hipError_tPvRmT2_T3_T4_T5_mT6_T7_P12ihipStream_tbENKUlT_T0_E_clISt17integral_constantIbLb0EES10_IbLb1EEEEDaSW_SX_EUlSW_E_NS1_11comp_targetILNS1_3genE10ELNS1_11target_archE1200ELNS1_3gpuE4ELNS1_3repE0EEENS1_30default_config_static_selectorELNS0_4arch9wavefront6targetE0EEEvT1_.num_vgpr, 0
	.set _ZN7rocprim17ROCPRIM_400000_NS6detail17trampoline_kernelINS0_14default_configENS1_27scan_by_key_config_selectorIidEEZZNS1_16scan_by_key_implILNS1_25lookback_scan_determinismE0ELb0ES3_N6thrust23THRUST_200600_302600_NS6detail15normal_iteratorINS9_10device_ptrIiEEEENSB_INSC_IdEEEESG_dNS9_4plusIvEENS9_8equal_toIvEEdEE10hipError_tPvRmT2_T3_T4_T5_mT6_T7_P12ihipStream_tbENKUlT_T0_E_clISt17integral_constantIbLb0EES10_IbLb1EEEEDaSW_SX_EUlSW_E_NS1_11comp_targetILNS1_3genE10ELNS1_11target_archE1200ELNS1_3gpuE4ELNS1_3repE0EEENS1_30default_config_static_selectorELNS0_4arch9wavefront6targetE0EEEvT1_.num_agpr, 0
	.set _ZN7rocprim17ROCPRIM_400000_NS6detail17trampoline_kernelINS0_14default_configENS1_27scan_by_key_config_selectorIidEEZZNS1_16scan_by_key_implILNS1_25lookback_scan_determinismE0ELb0ES3_N6thrust23THRUST_200600_302600_NS6detail15normal_iteratorINS9_10device_ptrIiEEEENSB_INSC_IdEEEESG_dNS9_4plusIvEENS9_8equal_toIvEEdEE10hipError_tPvRmT2_T3_T4_T5_mT6_T7_P12ihipStream_tbENKUlT_T0_E_clISt17integral_constantIbLb0EES10_IbLb1EEEEDaSW_SX_EUlSW_E_NS1_11comp_targetILNS1_3genE10ELNS1_11target_archE1200ELNS1_3gpuE4ELNS1_3repE0EEENS1_30default_config_static_selectorELNS0_4arch9wavefront6targetE0EEEvT1_.numbered_sgpr, 0
	.set _ZN7rocprim17ROCPRIM_400000_NS6detail17trampoline_kernelINS0_14default_configENS1_27scan_by_key_config_selectorIidEEZZNS1_16scan_by_key_implILNS1_25lookback_scan_determinismE0ELb0ES3_N6thrust23THRUST_200600_302600_NS6detail15normal_iteratorINS9_10device_ptrIiEEEENSB_INSC_IdEEEESG_dNS9_4plusIvEENS9_8equal_toIvEEdEE10hipError_tPvRmT2_T3_T4_T5_mT6_T7_P12ihipStream_tbENKUlT_T0_E_clISt17integral_constantIbLb0EES10_IbLb1EEEEDaSW_SX_EUlSW_E_NS1_11comp_targetILNS1_3genE10ELNS1_11target_archE1200ELNS1_3gpuE4ELNS1_3repE0EEENS1_30default_config_static_selectorELNS0_4arch9wavefront6targetE0EEEvT1_.num_named_barrier, 0
	.set _ZN7rocprim17ROCPRIM_400000_NS6detail17trampoline_kernelINS0_14default_configENS1_27scan_by_key_config_selectorIidEEZZNS1_16scan_by_key_implILNS1_25lookback_scan_determinismE0ELb0ES3_N6thrust23THRUST_200600_302600_NS6detail15normal_iteratorINS9_10device_ptrIiEEEENSB_INSC_IdEEEESG_dNS9_4plusIvEENS9_8equal_toIvEEdEE10hipError_tPvRmT2_T3_T4_T5_mT6_T7_P12ihipStream_tbENKUlT_T0_E_clISt17integral_constantIbLb0EES10_IbLb1EEEEDaSW_SX_EUlSW_E_NS1_11comp_targetILNS1_3genE10ELNS1_11target_archE1200ELNS1_3gpuE4ELNS1_3repE0EEENS1_30default_config_static_selectorELNS0_4arch9wavefront6targetE0EEEvT1_.private_seg_size, 0
	.set _ZN7rocprim17ROCPRIM_400000_NS6detail17trampoline_kernelINS0_14default_configENS1_27scan_by_key_config_selectorIidEEZZNS1_16scan_by_key_implILNS1_25lookback_scan_determinismE0ELb0ES3_N6thrust23THRUST_200600_302600_NS6detail15normal_iteratorINS9_10device_ptrIiEEEENSB_INSC_IdEEEESG_dNS9_4plusIvEENS9_8equal_toIvEEdEE10hipError_tPvRmT2_T3_T4_T5_mT6_T7_P12ihipStream_tbENKUlT_T0_E_clISt17integral_constantIbLb0EES10_IbLb1EEEEDaSW_SX_EUlSW_E_NS1_11comp_targetILNS1_3genE10ELNS1_11target_archE1200ELNS1_3gpuE4ELNS1_3repE0EEENS1_30default_config_static_selectorELNS0_4arch9wavefront6targetE0EEEvT1_.uses_vcc, 0
	.set _ZN7rocprim17ROCPRIM_400000_NS6detail17trampoline_kernelINS0_14default_configENS1_27scan_by_key_config_selectorIidEEZZNS1_16scan_by_key_implILNS1_25lookback_scan_determinismE0ELb0ES3_N6thrust23THRUST_200600_302600_NS6detail15normal_iteratorINS9_10device_ptrIiEEEENSB_INSC_IdEEEESG_dNS9_4plusIvEENS9_8equal_toIvEEdEE10hipError_tPvRmT2_T3_T4_T5_mT6_T7_P12ihipStream_tbENKUlT_T0_E_clISt17integral_constantIbLb0EES10_IbLb1EEEEDaSW_SX_EUlSW_E_NS1_11comp_targetILNS1_3genE10ELNS1_11target_archE1200ELNS1_3gpuE4ELNS1_3repE0EEENS1_30default_config_static_selectorELNS0_4arch9wavefront6targetE0EEEvT1_.uses_flat_scratch, 0
	.set _ZN7rocprim17ROCPRIM_400000_NS6detail17trampoline_kernelINS0_14default_configENS1_27scan_by_key_config_selectorIidEEZZNS1_16scan_by_key_implILNS1_25lookback_scan_determinismE0ELb0ES3_N6thrust23THRUST_200600_302600_NS6detail15normal_iteratorINS9_10device_ptrIiEEEENSB_INSC_IdEEEESG_dNS9_4plusIvEENS9_8equal_toIvEEdEE10hipError_tPvRmT2_T3_T4_T5_mT6_T7_P12ihipStream_tbENKUlT_T0_E_clISt17integral_constantIbLb0EES10_IbLb1EEEEDaSW_SX_EUlSW_E_NS1_11comp_targetILNS1_3genE10ELNS1_11target_archE1200ELNS1_3gpuE4ELNS1_3repE0EEENS1_30default_config_static_selectorELNS0_4arch9wavefront6targetE0EEEvT1_.has_dyn_sized_stack, 0
	.set _ZN7rocprim17ROCPRIM_400000_NS6detail17trampoline_kernelINS0_14default_configENS1_27scan_by_key_config_selectorIidEEZZNS1_16scan_by_key_implILNS1_25lookback_scan_determinismE0ELb0ES3_N6thrust23THRUST_200600_302600_NS6detail15normal_iteratorINS9_10device_ptrIiEEEENSB_INSC_IdEEEESG_dNS9_4plusIvEENS9_8equal_toIvEEdEE10hipError_tPvRmT2_T3_T4_T5_mT6_T7_P12ihipStream_tbENKUlT_T0_E_clISt17integral_constantIbLb0EES10_IbLb1EEEEDaSW_SX_EUlSW_E_NS1_11comp_targetILNS1_3genE10ELNS1_11target_archE1200ELNS1_3gpuE4ELNS1_3repE0EEENS1_30default_config_static_selectorELNS0_4arch9wavefront6targetE0EEEvT1_.has_recursion, 0
	.set _ZN7rocprim17ROCPRIM_400000_NS6detail17trampoline_kernelINS0_14default_configENS1_27scan_by_key_config_selectorIidEEZZNS1_16scan_by_key_implILNS1_25lookback_scan_determinismE0ELb0ES3_N6thrust23THRUST_200600_302600_NS6detail15normal_iteratorINS9_10device_ptrIiEEEENSB_INSC_IdEEEESG_dNS9_4plusIvEENS9_8equal_toIvEEdEE10hipError_tPvRmT2_T3_T4_T5_mT6_T7_P12ihipStream_tbENKUlT_T0_E_clISt17integral_constantIbLb0EES10_IbLb1EEEEDaSW_SX_EUlSW_E_NS1_11comp_targetILNS1_3genE10ELNS1_11target_archE1200ELNS1_3gpuE4ELNS1_3repE0EEENS1_30default_config_static_selectorELNS0_4arch9wavefront6targetE0EEEvT1_.has_indirect_call, 0
	.section	.AMDGPU.csdata,"",@progbits
; Kernel info:
; codeLenInByte = 0
; TotalNumSgprs: 0
; NumVgprs: 0
; ScratchSize: 0
; MemoryBound: 0
; FloatMode: 240
; IeeeMode: 1
; LDSByteSize: 0 bytes/workgroup (compile time only)
; SGPRBlocks: 0
; VGPRBlocks: 0
; NumSGPRsForWavesPerEU: 1
; NumVGPRsForWavesPerEU: 1
; Occupancy: 16
; WaveLimiterHint : 0
; COMPUTE_PGM_RSRC2:SCRATCH_EN: 0
; COMPUTE_PGM_RSRC2:USER_SGPR: 6
; COMPUTE_PGM_RSRC2:TRAP_HANDLER: 0
; COMPUTE_PGM_RSRC2:TGID_X_EN: 1
; COMPUTE_PGM_RSRC2:TGID_Y_EN: 0
; COMPUTE_PGM_RSRC2:TGID_Z_EN: 0
; COMPUTE_PGM_RSRC2:TIDIG_COMP_CNT: 0
	.section	.text._ZN7rocprim17ROCPRIM_400000_NS6detail17trampoline_kernelINS0_14default_configENS1_27scan_by_key_config_selectorIidEEZZNS1_16scan_by_key_implILNS1_25lookback_scan_determinismE0ELb0ES3_N6thrust23THRUST_200600_302600_NS6detail15normal_iteratorINS9_10device_ptrIiEEEENSB_INSC_IdEEEESG_dNS9_4plusIvEENS9_8equal_toIvEEdEE10hipError_tPvRmT2_T3_T4_T5_mT6_T7_P12ihipStream_tbENKUlT_T0_E_clISt17integral_constantIbLb0EES10_IbLb1EEEEDaSW_SX_EUlSW_E_NS1_11comp_targetILNS1_3genE9ELNS1_11target_archE1100ELNS1_3gpuE3ELNS1_3repE0EEENS1_30default_config_static_selectorELNS0_4arch9wavefront6targetE0EEEvT1_,"axG",@progbits,_ZN7rocprim17ROCPRIM_400000_NS6detail17trampoline_kernelINS0_14default_configENS1_27scan_by_key_config_selectorIidEEZZNS1_16scan_by_key_implILNS1_25lookback_scan_determinismE0ELb0ES3_N6thrust23THRUST_200600_302600_NS6detail15normal_iteratorINS9_10device_ptrIiEEEENSB_INSC_IdEEEESG_dNS9_4plusIvEENS9_8equal_toIvEEdEE10hipError_tPvRmT2_T3_T4_T5_mT6_T7_P12ihipStream_tbENKUlT_T0_E_clISt17integral_constantIbLb0EES10_IbLb1EEEEDaSW_SX_EUlSW_E_NS1_11comp_targetILNS1_3genE9ELNS1_11target_archE1100ELNS1_3gpuE3ELNS1_3repE0EEENS1_30default_config_static_selectorELNS0_4arch9wavefront6targetE0EEEvT1_,comdat
	.protected	_ZN7rocprim17ROCPRIM_400000_NS6detail17trampoline_kernelINS0_14default_configENS1_27scan_by_key_config_selectorIidEEZZNS1_16scan_by_key_implILNS1_25lookback_scan_determinismE0ELb0ES3_N6thrust23THRUST_200600_302600_NS6detail15normal_iteratorINS9_10device_ptrIiEEEENSB_INSC_IdEEEESG_dNS9_4plusIvEENS9_8equal_toIvEEdEE10hipError_tPvRmT2_T3_T4_T5_mT6_T7_P12ihipStream_tbENKUlT_T0_E_clISt17integral_constantIbLb0EES10_IbLb1EEEEDaSW_SX_EUlSW_E_NS1_11comp_targetILNS1_3genE9ELNS1_11target_archE1100ELNS1_3gpuE3ELNS1_3repE0EEENS1_30default_config_static_selectorELNS0_4arch9wavefront6targetE0EEEvT1_ ; -- Begin function _ZN7rocprim17ROCPRIM_400000_NS6detail17trampoline_kernelINS0_14default_configENS1_27scan_by_key_config_selectorIidEEZZNS1_16scan_by_key_implILNS1_25lookback_scan_determinismE0ELb0ES3_N6thrust23THRUST_200600_302600_NS6detail15normal_iteratorINS9_10device_ptrIiEEEENSB_INSC_IdEEEESG_dNS9_4plusIvEENS9_8equal_toIvEEdEE10hipError_tPvRmT2_T3_T4_T5_mT6_T7_P12ihipStream_tbENKUlT_T0_E_clISt17integral_constantIbLb0EES10_IbLb1EEEEDaSW_SX_EUlSW_E_NS1_11comp_targetILNS1_3genE9ELNS1_11target_archE1100ELNS1_3gpuE3ELNS1_3repE0EEENS1_30default_config_static_selectorELNS0_4arch9wavefront6targetE0EEEvT1_
	.globl	_ZN7rocprim17ROCPRIM_400000_NS6detail17trampoline_kernelINS0_14default_configENS1_27scan_by_key_config_selectorIidEEZZNS1_16scan_by_key_implILNS1_25lookback_scan_determinismE0ELb0ES3_N6thrust23THRUST_200600_302600_NS6detail15normal_iteratorINS9_10device_ptrIiEEEENSB_INSC_IdEEEESG_dNS9_4plusIvEENS9_8equal_toIvEEdEE10hipError_tPvRmT2_T3_T4_T5_mT6_T7_P12ihipStream_tbENKUlT_T0_E_clISt17integral_constantIbLb0EES10_IbLb1EEEEDaSW_SX_EUlSW_E_NS1_11comp_targetILNS1_3genE9ELNS1_11target_archE1100ELNS1_3gpuE3ELNS1_3repE0EEENS1_30default_config_static_selectorELNS0_4arch9wavefront6targetE0EEEvT1_
	.p2align	8
	.type	_ZN7rocprim17ROCPRIM_400000_NS6detail17trampoline_kernelINS0_14default_configENS1_27scan_by_key_config_selectorIidEEZZNS1_16scan_by_key_implILNS1_25lookback_scan_determinismE0ELb0ES3_N6thrust23THRUST_200600_302600_NS6detail15normal_iteratorINS9_10device_ptrIiEEEENSB_INSC_IdEEEESG_dNS9_4plusIvEENS9_8equal_toIvEEdEE10hipError_tPvRmT2_T3_T4_T5_mT6_T7_P12ihipStream_tbENKUlT_T0_E_clISt17integral_constantIbLb0EES10_IbLb1EEEEDaSW_SX_EUlSW_E_NS1_11comp_targetILNS1_3genE9ELNS1_11target_archE1100ELNS1_3gpuE3ELNS1_3repE0EEENS1_30default_config_static_selectorELNS0_4arch9wavefront6targetE0EEEvT1_,@function
_ZN7rocprim17ROCPRIM_400000_NS6detail17trampoline_kernelINS0_14default_configENS1_27scan_by_key_config_selectorIidEEZZNS1_16scan_by_key_implILNS1_25lookback_scan_determinismE0ELb0ES3_N6thrust23THRUST_200600_302600_NS6detail15normal_iteratorINS9_10device_ptrIiEEEENSB_INSC_IdEEEESG_dNS9_4plusIvEENS9_8equal_toIvEEdEE10hipError_tPvRmT2_T3_T4_T5_mT6_T7_P12ihipStream_tbENKUlT_T0_E_clISt17integral_constantIbLb0EES10_IbLb1EEEEDaSW_SX_EUlSW_E_NS1_11comp_targetILNS1_3genE9ELNS1_11target_archE1100ELNS1_3gpuE3ELNS1_3repE0EEENS1_30default_config_static_selectorELNS0_4arch9wavefront6targetE0EEEvT1_: ; @_ZN7rocprim17ROCPRIM_400000_NS6detail17trampoline_kernelINS0_14default_configENS1_27scan_by_key_config_selectorIidEEZZNS1_16scan_by_key_implILNS1_25lookback_scan_determinismE0ELb0ES3_N6thrust23THRUST_200600_302600_NS6detail15normal_iteratorINS9_10device_ptrIiEEEENSB_INSC_IdEEEESG_dNS9_4plusIvEENS9_8equal_toIvEEdEE10hipError_tPvRmT2_T3_T4_T5_mT6_T7_P12ihipStream_tbENKUlT_T0_E_clISt17integral_constantIbLb0EES10_IbLb1EEEEDaSW_SX_EUlSW_E_NS1_11comp_targetILNS1_3genE9ELNS1_11target_archE1100ELNS1_3gpuE3ELNS1_3repE0EEENS1_30default_config_static_selectorELNS0_4arch9wavefront6targetE0EEEvT1_
; %bb.0:
	.section	.rodata,"a",@progbits
	.p2align	6, 0x0
	.amdhsa_kernel _ZN7rocprim17ROCPRIM_400000_NS6detail17trampoline_kernelINS0_14default_configENS1_27scan_by_key_config_selectorIidEEZZNS1_16scan_by_key_implILNS1_25lookback_scan_determinismE0ELb0ES3_N6thrust23THRUST_200600_302600_NS6detail15normal_iteratorINS9_10device_ptrIiEEEENSB_INSC_IdEEEESG_dNS9_4plusIvEENS9_8equal_toIvEEdEE10hipError_tPvRmT2_T3_T4_T5_mT6_T7_P12ihipStream_tbENKUlT_T0_E_clISt17integral_constantIbLb0EES10_IbLb1EEEEDaSW_SX_EUlSW_E_NS1_11comp_targetILNS1_3genE9ELNS1_11target_archE1100ELNS1_3gpuE3ELNS1_3repE0EEENS1_30default_config_static_selectorELNS0_4arch9wavefront6targetE0EEEvT1_
		.amdhsa_group_segment_fixed_size 0
		.amdhsa_private_segment_fixed_size 0
		.amdhsa_kernarg_size 136
		.amdhsa_user_sgpr_count 6
		.amdhsa_user_sgpr_private_segment_buffer 1
		.amdhsa_user_sgpr_dispatch_ptr 0
		.amdhsa_user_sgpr_queue_ptr 0
		.amdhsa_user_sgpr_kernarg_segment_ptr 1
		.amdhsa_user_sgpr_dispatch_id 0
		.amdhsa_user_sgpr_flat_scratch_init 0
		.amdhsa_user_sgpr_private_segment_size 0
		.amdhsa_wavefront_size32 1
		.amdhsa_uses_dynamic_stack 0
		.amdhsa_system_sgpr_private_segment_wavefront_offset 0
		.amdhsa_system_sgpr_workgroup_id_x 1
		.amdhsa_system_sgpr_workgroup_id_y 0
		.amdhsa_system_sgpr_workgroup_id_z 0
		.amdhsa_system_sgpr_workgroup_info 0
		.amdhsa_system_vgpr_workitem_id 0
		.amdhsa_next_free_vgpr 1
		.amdhsa_next_free_sgpr 1
		.amdhsa_reserve_vcc 0
		.amdhsa_reserve_flat_scratch 0
		.amdhsa_float_round_mode_32 0
		.amdhsa_float_round_mode_16_64 0
		.amdhsa_float_denorm_mode_32 3
		.amdhsa_float_denorm_mode_16_64 3
		.amdhsa_dx10_clamp 1
		.amdhsa_ieee_mode 1
		.amdhsa_fp16_overflow 0
		.amdhsa_workgroup_processor_mode 1
		.amdhsa_memory_ordered 1
		.amdhsa_forward_progress 1
		.amdhsa_shared_vgpr_count 0
		.amdhsa_exception_fp_ieee_invalid_op 0
		.amdhsa_exception_fp_denorm_src 0
		.amdhsa_exception_fp_ieee_div_zero 0
		.amdhsa_exception_fp_ieee_overflow 0
		.amdhsa_exception_fp_ieee_underflow 0
		.amdhsa_exception_fp_ieee_inexact 0
		.amdhsa_exception_int_div_zero 0
	.end_amdhsa_kernel
	.section	.text._ZN7rocprim17ROCPRIM_400000_NS6detail17trampoline_kernelINS0_14default_configENS1_27scan_by_key_config_selectorIidEEZZNS1_16scan_by_key_implILNS1_25lookback_scan_determinismE0ELb0ES3_N6thrust23THRUST_200600_302600_NS6detail15normal_iteratorINS9_10device_ptrIiEEEENSB_INSC_IdEEEESG_dNS9_4plusIvEENS9_8equal_toIvEEdEE10hipError_tPvRmT2_T3_T4_T5_mT6_T7_P12ihipStream_tbENKUlT_T0_E_clISt17integral_constantIbLb0EES10_IbLb1EEEEDaSW_SX_EUlSW_E_NS1_11comp_targetILNS1_3genE9ELNS1_11target_archE1100ELNS1_3gpuE3ELNS1_3repE0EEENS1_30default_config_static_selectorELNS0_4arch9wavefront6targetE0EEEvT1_,"axG",@progbits,_ZN7rocprim17ROCPRIM_400000_NS6detail17trampoline_kernelINS0_14default_configENS1_27scan_by_key_config_selectorIidEEZZNS1_16scan_by_key_implILNS1_25lookback_scan_determinismE0ELb0ES3_N6thrust23THRUST_200600_302600_NS6detail15normal_iteratorINS9_10device_ptrIiEEEENSB_INSC_IdEEEESG_dNS9_4plusIvEENS9_8equal_toIvEEdEE10hipError_tPvRmT2_T3_T4_T5_mT6_T7_P12ihipStream_tbENKUlT_T0_E_clISt17integral_constantIbLb0EES10_IbLb1EEEEDaSW_SX_EUlSW_E_NS1_11comp_targetILNS1_3genE9ELNS1_11target_archE1100ELNS1_3gpuE3ELNS1_3repE0EEENS1_30default_config_static_selectorELNS0_4arch9wavefront6targetE0EEEvT1_,comdat
.Lfunc_end1125:
	.size	_ZN7rocprim17ROCPRIM_400000_NS6detail17trampoline_kernelINS0_14default_configENS1_27scan_by_key_config_selectorIidEEZZNS1_16scan_by_key_implILNS1_25lookback_scan_determinismE0ELb0ES3_N6thrust23THRUST_200600_302600_NS6detail15normal_iteratorINS9_10device_ptrIiEEEENSB_INSC_IdEEEESG_dNS9_4plusIvEENS9_8equal_toIvEEdEE10hipError_tPvRmT2_T3_T4_T5_mT6_T7_P12ihipStream_tbENKUlT_T0_E_clISt17integral_constantIbLb0EES10_IbLb1EEEEDaSW_SX_EUlSW_E_NS1_11comp_targetILNS1_3genE9ELNS1_11target_archE1100ELNS1_3gpuE3ELNS1_3repE0EEENS1_30default_config_static_selectorELNS0_4arch9wavefront6targetE0EEEvT1_, .Lfunc_end1125-_ZN7rocprim17ROCPRIM_400000_NS6detail17trampoline_kernelINS0_14default_configENS1_27scan_by_key_config_selectorIidEEZZNS1_16scan_by_key_implILNS1_25lookback_scan_determinismE0ELb0ES3_N6thrust23THRUST_200600_302600_NS6detail15normal_iteratorINS9_10device_ptrIiEEEENSB_INSC_IdEEEESG_dNS9_4plusIvEENS9_8equal_toIvEEdEE10hipError_tPvRmT2_T3_T4_T5_mT6_T7_P12ihipStream_tbENKUlT_T0_E_clISt17integral_constantIbLb0EES10_IbLb1EEEEDaSW_SX_EUlSW_E_NS1_11comp_targetILNS1_3genE9ELNS1_11target_archE1100ELNS1_3gpuE3ELNS1_3repE0EEENS1_30default_config_static_selectorELNS0_4arch9wavefront6targetE0EEEvT1_
                                        ; -- End function
	.set _ZN7rocprim17ROCPRIM_400000_NS6detail17trampoline_kernelINS0_14default_configENS1_27scan_by_key_config_selectorIidEEZZNS1_16scan_by_key_implILNS1_25lookback_scan_determinismE0ELb0ES3_N6thrust23THRUST_200600_302600_NS6detail15normal_iteratorINS9_10device_ptrIiEEEENSB_INSC_IdEEEESG_dNS9_4plusIvEENS9_8equal_toIvEEdEE10hipError_tPvRmT2_T3_T4_T5_mT6_T7_P12ihipStream_tbENKUlT_T0_E_clISt17integral_constantIbLb0EES10_IbLb1EEEEDaSW_SX_EUlSW_E_NS1_11comp_targetILNS1_3genE9ELNS1_11target_archE1100ELNS1_3gpuE3ELNS1_3repE0EEENS1_30default_config_static_selectorELNS0_4arch9wavefront6targetE0EEEvT1_.num_vgpr, 0
	.set _ZN7rocprim17ROCPRIM_400000_NS6detail17trampoline_kernelINS0_14default_configENS1_27scan_by_key_config_selectorIidEEZZNS1_16scan_by_key_implILNS1_25lookback_scan_determinismE0ELb0ES3_N6thrust23THRUST_200600_302600_NS6detail15normal_iteratorINS9_10device_ptrIiEEEENSB_INSC_IdEEEESG_dNS9_4plusIvEENS9_8equal_toIvEEdEE10hipError_tPvRmT2_T3_T4_T5_mT6_T7_P12ihipStream_tbENKUlT_T0_E_clISt17integral_constantIbLb0EES10_IbLb1EEEEDaSW_SX_EUlSW_E_NS1_11comp_targetILNS1_3genE9ELNS1_11target_archE1100ELNS1_3gpuE3ELNS1_3repE0EEENS1_30default_config_static_selectorELNS0_4arch9wavefront6targetE0EEEvT1_.num_agpr, 0
	.set _ZN7rocprim17ROCPRIM_400000_NS6detail17trampoline_kernelINS0_14default_configENS1_27scan_by_key_config_selectorIidEEZZNS1_16scan_by_key_implILNS1_25lookback_scan_determinismE0ELb0ES3_N6thrust23THRUST_200600_302600_NS6detail15normal_iteratorINS9_10device_ptrIiEEEENSB_INSC_IdEEEESG_dNS9_4plusIvEENS9_8equal_toIvEEdEE10hipError_tPvRmT2_T3_T4_T5_mT6_T7_P12ihipStream_tbENKUlT_T0_E_clISt17integral_constantIbLb0EES10_IbLb1EEEEDaSW_SX_EUlSW_E_NS1_11comp_targetILNS1_3genE9ELNS1_11target_archE1100ELNS1_3gpuE3ELNS1_3repE0EEENS1_30default_config_static_selectorELNS0_4arch9wavefront6targetE0EEEvT1_.numbered_sgpr, 0
	.set _ZN7rocprim17ROCPRIM_400000_NS6detail17trampoline_kernelINS0_14default_configENS1_27scan_by_key_config_selectorIidEEZZNS1_16scan_by_key_implILNS1_25lookback_scan_determinismE0ELb0ES3_N6thrust23THRUST_200600_302600_NS6detail15normal_iteratorINS9_10device_ptrIiEEEENSB_INSC_IdEEEESG_dNS9_4plusIvEENS9_8equal_toIvEEdEE10hipError_tPvRmT2_T3_T4_T5_mT6_T7_P12ihipStream_tbENKUlT_T0_E_clISt17integral_constantIbLb0EES10_IbLb1EEEEDaSW_SX_EUlSW_E_NS1_11comp_targetILNS1_3genE9ELNS1_11target_archE1100ELNS1_3gpuE3ELNS1_3repE0EEENS1_30default_config_static_selectorELNS0_4arch9wavefront6targetE0EEEvT1_.num_named_barrier, 0
	.set _ZN7rocprim17ROCPRIM_400000_NS6detail17trampoline_kernelINS0_14default_configENS1_27scan_by_key_config_selectorIidEEZZNS1_16scan_by_key_implILNS1_25lookback_scan_determinismE0ELb0ES3_N6thrust23THRUST_200600_302600_NS6detail15normal_iteratorINS9_10device_ptrIiEEEENSB_INSC_IdEEEESG_dNS9_4plusIvEENS9_8equal_toIvEEdEE10hipError_tPvRmT2_T3_T4_T5_mT6_T7_P12ihipStream_tbENKUlT_T0_E_clISt17integral_constantIbLb0EES10_IbLb1EEEEDaSW_SX_EUlSW_E_NS1_11comp_targetILNS1_3genE9ELNS1_11target_archE1100ELNS1_3gpuE3ELNS1_3repE0EEENS1_30default_config_static_selectorELNS0_4arch9wavefront6targetE0EEEvT1_.private_seg_size, 0
	.set _ZN7rocprim17ROCPRIM_400000_NS6detail17trampoline_kernelINS0_14default_configENS1_27scan_by_key_config_selectorIidEEZZNS1_16scan_by_key_implILNS1_25lookback_scan_determinismE0ELb0ES3_N6thrust23THRUST_200600_302600_NS6detail15normal_iteratorINS9_10device_ptrIiEEEENSB_INSC_IdEEEESG_dNS9_4plusIvEENS9_8equal_toIvEEdEE10hipError_tPvRmT2_T3_T4_T5_mT6_T7_P12ihipStream_tbENKUlT_T0_E_clISt17integral_constantIbLb0EES10_IbLb1EEEEDaSW_SX_EUlSW_E_NS1_11comp_targetILNS1_3genE9ELNS1_11target_archE1100ELNS1_3gpuE3ELNS1_3repE0EEENS1_30default_config_static_selectorELNS0_4arch9wavefront6targetE0EEEvT1_.uses_vcc, 0
	.set _ZN7rocprim17ROCPRIM_400000_NS6detail17trampoline_kernelINS0_14default_configENS1_27scan_by_key_config_selectorIidEEZZNS1_16scan_by_key_implILNS1_25lookback_scan_determinismE0ELb0ES3_N6thrust23THRUST_200600_302600_NS6detail15normal_iteratorINS9_10device_ptrIiEEEENSB_INSC_IdEEEESG_dNS9_4plusIvEENS9_8equal_toIvEEdEE10hipError_tPvRmT2_T3_T4_T5_mT6_T7_P12ihipStream_tbENKUlT_T0_E_clISt17integral_constantIbLb0EES10_IbLb1EEEEDaSW_SX_EUlSW_E_NS1_11comp_targetILNS1_3genE9ELNS1_11target_archE1100ELNS1_3gpuE3ELNS1_3repE0EEENS1_30default_config_static_selectorELNS0_4arch9wavefront6targetE0EEEvT1_.uses_flat_scratch, 0
	.set _ZN7rocprim17ROCPRIM_400000_NS6detail17trampoline_kernelINS0_14default_configENS1_27scan_by_key_config_selectorIidEEZZNS1_16scan_by_key_implILNS1_25lookback_scan_determinismE0ELb0ES3_N6thrust23THRUST_200600_302600_NS6detail15normal_iteratorINS9_10device_ptrIiEEEENSB_INSC_IdEEEESG_dNS9_4plusIvEENS9_8equal_toIvEEdEE10hipError_tPvRmT2_T3_T4_T5_mT6_T7_P12ihipStream_tbENKUlT_T0_E_clISt17integral_constantIbLb0EES10_IbLb1EEEEDaSW_SX_EUlSW_E_NS1_11comp_targetILNS1_3genE9ELNS1_11target_archE1100ELNS1_3gpuE3ELNS1_3repE0EEENS1_30default_config_static_selectorELNS0_4arch9wavefront6targetE0EEEvT1_.has_dyn_sized_stack, 0
	.set _ZN7rocprim17ROCPRIM_400000_NS6detail17trampoline_kernelINS0_14default_configENS1_27scan_by_key_config_selectorIidEEZZNS1_16scan_by_key_implILNS1_25lookback_scan_determinismE0ELb0ES3_N6thrust23THRUST_200600_302600_NS6detail15normal_iteratorINS9_10device_ptrIiEEEENSB_INSC_IdEEEESG_dNS9_4plusIvEENS9_8equal_toIvEEdEE10hipError_tPvRmT2_T3_T4_T5_mT6_T7_P12ihipStream_tbENKUlT_T0_E_clISt17integral_constantIbLb0EES10_IbLb1EEEEDaSW_SX_EUlSW_E_NS1_11comp_targetILNS1_3genE9ELNS1_11target_archE1100ELNS1_3gpuE3ELNS1_3repE0EEENS1_30default_config_static_selectorELNS0_4arch9wavefront6targetE0EEEvT1_.has_recursion, 0
	.set _ZN7rocprim17ROCPRIM_400000_NS6detail17trampoline_kernelINS0_14default_configENS1_27scan_by_key_config_selectorIidEEZZNS1_16scan_by_key_implILNS1_25lookback_scan_determinismE0ELb0ES3_N6thrust23THRUST_200600_302600_NS6detail15normal_iteratorINS9_10device_ptrIiEEEENSB_INSC_IdEEEESG_dNS9_4plusIvEENS9_8equal_toIvEEdEE10hipError_tPvRmT2_T3_T4_T5_mT6_T7_P12ihipStream_tbENKUlT_T0_E_clISt17integral_constantIbLb0EES10_IbLb1EEEEDaSW_SX_EUlSW_E_NS1_11comp_targetILNS1_3genE9ELNS1_11target_archE1100ELNS1_3gpuE3ELNS1_3repE0EEENS1_30default_config_static_selectorELNS0_4arch9wavefront6targetE0EEEvT1_.has_indirect_call, 0
	.section	.AMDGPU.csdata,"",@progbits
; Kernel info:
; codeLenInByte = 0
; TotalNumSgprs: 0
; NumVgprs: 0
; ScratchSize: 0
; MemoryBound: 0
; FloatMode: 240
; IeeeMode: 1
; LDSByteSize: 0 bytes/workgroup (compile time only)
; SGPRBlocks: 0
; VGPRBlocks: 0
; NumSGPRsForWavesPerEU: 1
; NumVGPRsForWavesPerEU: 1
; Occupancy: 16
; WaveLimiterHint : 0
; COMPUTE_PGM_RSRC2:SCRATCH_EN: 0
; COMPUTE_PGM_RSRC2:USER_SGPR: 6
; COMPUTE_PGM_RSRC2:TRAP_HANDLER: 0
; COMPUTE_PGM_RSRC2:TGID_X_EN: 1
; COMPUTE_PGM_RSRC2:TGID_Y_EN: 0
; COMPUTE_PGM_RSRC2:TGID_Z_EN: 0
; COMPUTE_PGM_RSRC2:TIDIG_COMP_CNT: 0
	.section	.text._ZN7rocprim17ROCPRIM_400000_NS6detail17trampoline_kernelINS0_14default_configENS1_27scan_by_key_config_selectorIidEEZZNS1_16scan_by_key_implILNS1_25lookback_scan_determinismE0ELb0ES3_N6thrust23THRUST_200600_302600_NS6detail15normal_iteratorINS9_10device_ptrIiEEEENSB_INSC_IdEEEESG_dNS9_4plusIvEENS9_8equal_toIvEEdEE10hipError_tPvRmT2_T3_T4_T5_mT6_T7_P12ihipStream_tbENKUlT_T0_E_clISt17integral_constantIbLb0EES10_IbLb1EEEEDaSW_SX_EUlSW_E_NS1_11comp_targetILNS1_3genE8ELNS1_11target_archE1030ELNS1_3gpuE2ELNS1_3repE0EEENS1_30default_config_static_selectorELNS0_4arch9wavefront6targetE0EEEvT1_,"axG",@progbits,_ZN7rocprim17ROCPRIM_400000_NS6detail17trampoline_kernelINS0_14default_configENS1_27scan_by_key_config_selectorIidEEZZNS1_16scan_by_key_implILNS1_25lookback_scan_determinismE0ELb0ES3_N6thrust23THRUST_200600_302600_NS6detail15normal_iteratorINS9_10device_ptrIiEEEENSB_INSC_IdEEEESG_dNS9_4plusIvEENS9_8equal_toIvEEdEE10hipError_tPvRmT2_T3_T4_T5_mT6_T7_P12ihipStream_tbENKUlT_T0_E_clISt17integral_constantIbLb0EES10_IbLb1EEEEDaSW_SX_EUlSW_E_NS1_11comp_targetILNS1_3genE8ELNS1_11target_archE1030ELNS1_3gpuE2ELNS1_3repE0EEENS1_30default_config_static_selectorELNS0_4arch9wavefront6targetE0EEEvT1_,comdat
	.protected	_ZN7rocprim17ROCPRIM_400000_NS6detail17trampoline_kernelINS0_14default_configENS1_27scan_by_key_config_selectorIidEEZZNS1_16scan_by_key_implILNS1_25lookback_scan_determinismE0ELb0ES3_N6thrust23THRUST_200600_302600_NS6detail15normal_iteratorINS9_10device_ptrIiEEEENSB_INSC_IdEEEESG_dNS9_4plusIvEENS9_8equal_toIvEEdEE10hipError_tPvRmT2_T3_T4_T5_mT6_T7_P12ihipStream_tbENKUlT_T0_E_clISt17integral_constantIbLb0EES10_IbLb1EEEEDaSW_SX_EUlSW_E_NS1_11comp_targetILNS1_3genE8ELNS1_11target_archE1030ELNS1_3gpuE2ELNS1_3repE0EEENS1_30default_config_static_selectorELNS0_4arch9wavefront6targetE0EEEvT1_ ; -- Begin function _ZN7rocprim17ROCPRIM_400000_NS6detail17trampoline_kernelINS0_14default_configENS1_27scan_by_key_config_selectorIidEEZZNS1_16scan_by_key_implILNS1_25lookback_scan_determinismE0ELb0ES3_N6thrust23THRUST_200600_302600_NS6detail15normal_iteratorINS9_10device_ptrIiEEEENSB_INSC_IdEEEESG_dNS9_4plusIvEENS9_8equal_toIvEEdEE10hipError_tPvRmT2_T3_T4_T5_mT6_T7_P12ihipStream_tbENKUlT_T0_E_clISt17integral_constantIbLb0EES10_IbLb1EEEEDaSW_SX_EUlSW_E_NS1_11comp_targetILNS1_3genE8ELNS1_11target_archE1030ELNS1_3gpuE2ELNS1_3repE0EEENS1_30default_config_static_selectorELNS0_4arch9wavefront6targetE0EEEvT1_
	.globl	_ZN7rocprim17ROCPRIM_400000_NS6detail17trampoline_kernelINS0_14default_configENS1_27scan_by_key_config_selectorIidEEZZNS1_16scan_by_key_implILNS1_25lookback_scan_determinismE0ELb0ES3_N6thrust23THRUST_200600_302600_NS6detail15normal_iteratorINS9_10device_ptrIiEEEENSB_INSC_IdEEEESG_dNS9_4plusIvEENS9_8equal_toIvEEdEE10hipError_tPvRmT2_T3_T4_T5_mT6_T7_P12ihipStream_tbENKUlT_T0_E_clISt17integral_constantIbLb0EES10_IbLb1EEEEDaSW_SX_EUlSW_E_NS1_11comp_targetILNS1_3genE8ELNS1_11target_archE1030ELNS1_3gpuE2ELNS1_3repE0EEENS1_30default_config_static_selectorELNS0_4arch9wavefront6targetE0EEEvT1_
	.p2align	8
	.type	_ZN7rocprim17ROCPRIM_400000_NS6detail17trampoline_kernelINS0_14default_configENS1_27scan_by_key_config_selectorIidEEZZNS1_16scan_by_key_implILNS1_25lookback_scan_determinismE0ELb0ES3_N6thrust23THRUST_200600_302600_NS6detail15normal_iteratorINS9_10device_ptrIiEEEENSB_INSC_IdEEEESG_dNS9_4plusIvEENS9_8equal_toIvEEdEE10hipError_tPvRmT2_T3_T4_T5_mT6_T7_P12ihipStream_tbENKUlT_T0_E_clISt17integral_constantIbLb0EES10_IbLb1EEEEDaSW_SX_EUlSW_E_NS1_11comp_targetILNS1_3genE8ELNS1_11target_archE1030ELNS1_3gpuE2ELNS1_3repE0EEENS1_30default_config_static_selectorELNS0_4arch9wavefront6targetE0EEEvT1_,@function
_ZN7rocprim17ROCPRIM_400000_NS6detail17trampoline_kernelINS0_14default_configENS1_27scan_by_key_config_selectorIidEEZZNS1_16scan_by_key_implILNS1_25lookback_scan_determinismE0ELb0ES3_N6thrust23THRUST_200600_302600_NS6detail15normal_iteratorINS9_10device_ptrIiEEEENSB_INSC_IdEEEESG_dNS9_4plusIvEENS9_8equal_toIvEEdEE10hipError_tPvRmT2_T3_T4_T5_mT6_T7_P12ihipStream_tbENKUlT_T0_E_clISt17integral_constantIbLb0EES10_IbLb1EEEEDaSW_SX_EUlSW_E_NS1_11comp_targetILNS1_3genE8ELNS1_11target_archE1030ELNS1_3gpuE2ELNS1_3repE0EEENS1_30default_config_static_selectorELNS0_4arch9wavefront6targetE0EEEvT1_: ; @_ZN7rocprim17ROCPRIM_400000_NS6detail17trampoline_kernelINS0_14default_configENS1_27scan_by_key_config_selectorIidEEZZNS1_16scan_by_key_implILNS1_25lookback_scan_determinismE0ELb0ES3_N6thrust23THRUST_200600_302600_NS6detail15normal_iteratorINS9_10device_ptrIiEEEENSB_INSC_IdEEEESG_dNS9_4plusIvEENS9_8equal_toIvEEdEE10hipError_tPvRmT2_T3_T4_T5_mT6_T7_P12ihipStream_tbENKUlT_T0_E_clISt17integral_constantIbLb0EES10_IbLb1EEEEDaSW_SX_EUlSW_E_NS1_11comp_targetILNS1_3genE8ELNS1_11target_archE1030ELNS1_3gpuE2ELNS1_3repE0EEENS1_30default_config_static_selectorELNS0_4arch9wavefront6targetE0EEEvT1_
; %bb.0:
	s_clause 0x1
	s_load_dwordx8 s[8:15], s[4:5], 0x30
	s_load_dwordx2 s[34:35], s[4:5], 0x50
	v_cmp_ne_u32_e64 s1, 0, v0
	v_cmp_eq_u32_e64 s0, 0, v0
	s_and_saveexec_b32 s2, s0
	s_cbranch_execz .LBB1126_4
; %bb.1:
	s_mov_b32 s6, exec_lo
	s_mov_b32 s3, exec_lo
	v_mbcnt_lo_u32_b32 v1, s6, 0
                                        ; implicit-def: $vgpr2
	v_cmpx_eq_u32_e32 0, v1
	s_cbranch_execz .LBB1126_3
; %bb.2:
	s_load_dwordx2 s[16:17], s[4:5], 0x80
	s_bcnt1_i32_b32 s6, s6
	v_mov_b32_e32 v2, 0
	v_mov_b32_e32 v3, s6
	s_waitcnt lgkmcnt(0)
	global_atomic_add v2, v2, v3, s[16:17] glc
.LBB1126_3:
	s_or_b32 exec_lo, exec_lo, s3
	s_waitcnt vmcnt(0)
	v_readfirstlane_b32 s3, v2
	v_mov_b32_e32 v2, 0
	v_add_nc_u32_e32 v1, s3, v1
	ds_write_b32 v2, v1
.LBB1126_4:
	s_or_b32 exec_lo, exec_lo, s2
	v_mov_b32_e32 v1, 0
	s_load_dwordx8 s[16:23], s[4:5], 0x0
	s_waitcnt lgkmcnt(0)
	s_clause 0x1
	s_load_dword s15, s[4:5], 0x58
	s_load_dwordx8 s[24:31], s[4:5], 0x60
	s_waitcnt lgkmcnt(0)
	s_barrier
	buffer_gl0_inv
	ds_read_b32 v1, v1
	s_mov_b32 s3, 0
	s_waitcnt lgkmcnt(0)
	s_barrier
	buffer_gl0_inv
	s_barrier
	buffer_gl0_inv
	s_lshl_b64 s[4:5], s[18:19], 2
	s_mul_i32 s2, s35, s15
	s_add_u32 s7, s16, s4
	s_addc_u32 s37, s17, s5
	s_lshl_b64 s[16:17], s[18:19], 3
	s_mul_hi_u32 s6, s34, s15
	v_readfirstlane_b32 s33, v1
	s_add_u32 s20, s20, s16
	s_addc_u32 s21, s21, s17
	s_add_i32 s38, s6, s2
	s_cmp_lg_u64 s[28:29], 0
	s_mul_i32 s2, s33, 0x300
	s_cselect_b32 s36, -1, 0
	s_lshl_b64 s[4:5], s[2:3], 2
	s_add_u32 s6, s7, s4
	s_addc_u32 s7, s37, s5
	s_lshl_b64 s[18:19], s[2:3], 3
	s_mul_i32 s2, s34, s15
	s_add_u32 s5, s20, s18
	s_addc_u32 s29, s21, s19
	s_add_u32 s20, s2, s33
	s_addc_u32 s21, s38, 0
	s_add_u32 s24, s24, -1
	s_addc_u32 s25, s25, -1
	s_mul_i32 s15, s24, 0xfffffd00
	v_cmp_ge_u64_e64 s28, s[20:21], s[24:25]
	s_and_b32 vcc_lo, exec_lo, s28
	s_cbranch_vccz .LBB1126_26
; %bb.5:
	v_mov_b32_e32 v1, s6
	v_mov_b32_e32 v2, s7
	s_add_i32 s37, s15, s14
	v_cmp_gt_u32_e64 s4, s37, v0
	flat_load_dword v1, v[1:2]
	s_waitcnt vmcnt(0) lgkmcnt(0)
	v_mov_b32_e32 v2, v1
	s_and_saveexec_b32 s2, s4
	s_cbranch_execz .LBB1126_7
; %bb.6:
	v_lshlrev_b32_e32 v2, 2, v0
	v_add_co_u32 v2, s3, s6, v2
	v_add_co_ci_u32_e64 v3, null, s7, 0, s3
	flat_load_dword v2, v[2:3]
.LBB1126_7:
	s_or_b32 exec_lo, exec_lo, s2
	v_or_b32_e32 v11, 0x100, v0
	v_mov_b32_e32 v3, v1
	v_cmp_gt_u32_e64 s3, s37, v11
	s_and_saveexec_b32 s2, s3
	s_cbranch_execz .LBB1126_9
; %bb.8:
	v_lshlrev_b32_e32 v3, 2, v0
	v_add_co_u32 v3, s24, s6, v3
	v_add_co_ci_u32_e64 v4, null, s7, 0, s24
	flat_load_dword v3, v[3:4] offset:1024
.LBB1126_9:
	s_or_b32 exec_lo, exec_lo, s2
	v_or_b32_e32 v10, 0x200, v0
	v_cmp_gt_u32_e64 s2, s37, v10
	s_and_saveexec_b32 s24, s2
	s_cbranch_execz .LBB1126_11
; %bb.10:
	v_lshlrev_b32_e32 v1, 2, v10
	v_add_co_u32 v4, s25, s6, v1
	v_add_co_ci_u32_e64 v5, null, s7, 0, s25
	flat_load_dword v1, v[4:5]
.LBB1126_11:
	s_or_b32 exec_lo, exec_lo, s24
	v_lshlrev_b32_e32 v4, 2, v0
	v_lshlrev_b32_e32 v14, 3, v0
	s_cmp_eq_u64 s[20:21], 0
	s_mov_b64 s[24:25], s[6:7]
	s_waitcnt vmcnt(0) lgkmcnt(0)
	ds_write2st64_b32 v4, v2, v3 offset1:4
	v_add_nc_u32_e32 v2, v4, v14
	ds_write_b32 v4, v1 offset:2048
	s_waitcnt lgkmcnt(0)
	s_barrier
	buffer_gl0_inv
	ds_read2_b32 v[7:8], v2 offset1:1
	ds_read_b32 v9, v2 offset:8
	s_cbranch_scc1 .LBB1126_15
; %bb.12:
	s_andn2_b32 vcc_lo, exec_lo, s36
	s_cbranch_vccnz .LBB1126_151
; %bb.13:
	s_lshl_b64 s[24:25], s[20:21], 2
	s_add_u32 s24, s30, s24
	s_addc_u32 s25, s31, s25
	s_add_u32 s24, s24, -4
	s_addc_u32 s25, s25, -1
	s_cbranch_execnz .LBB1126_15
.LBB1126_14:
	s_add_u32 s24, s6, -4
	s_addc_u32 s25, s7, -1
.LBB1126_15:
	v_mov_b32_e32 v3, s24
	v_mov_b32_e32 v4, s25
	v_sub_nc_u32_e32 v13, v2, v14
	flat_load_dword v12, v[3:4]
	s_waitcnt lgkmcnt(1)
	ds_write_b32 v13, v9 offset:3072
	s_waitcnt vmcnt(0) lgkmcnt(0)
	s_barrier
	buffer_gl0_inv
	s_and_saveexec_b32 s24, s1
; %bb.16:
	ds_read_b32 v12, v13 offset:3068
; %bb.17:
	s_or_b32 exec_lo, exec_lo, s24
	v_mov_b32_e32 v1, 0
	s_waitcnt lgkmcnt(0)
	s_barrier
	buffer_gl0_inv
	v_mov_b32_e32 v2, v1
	v_mov_b32_e32 v3, v1
	;; [unrolled: 1-line block ×5, first 2 shown]
	s_and_saveexec_b32 s24, s4
	s_cbranch_execnz .LBB1126_149
; %bb.18:
	s_or_b32 exec_lo, exec_lo, s24
	s_and_saveexec_b32 s4, s3
	s_cbranch_execnz .LBB1126_150
.LBB1126_19:
	s_or_b32 exec_lo, exec_lo, s4
	s_and_saveexec_b32 s3, s2
	s_cbranch_execz .LBB1126_21
.LBB1126_20:
	v_lshlrev_b32_e32 v5, 3, v10
	v_add_co_u32 v5, s2, s5, v5
	v_add_co_ci_u32_e64 v6, null, s29, 0, s2
	flat_load_dwordx2 v[5:6], v[5:6]
.LBB1126_21:
	s_or_b32 exec_lo, exec_lo, s3
	v_lshl_add_u32 v11, v0, 2, v13
	v_mul_u32_u24_e32 v10, 3, v0
	v_mov_b32_e32 v20, 0
	v_mov_b32_e32 v22, 0
	s_mov_b32 s24, 0
	s_waitcnt vmcnt(0) lgkmcnt(0)
	ds_write2st64_b64 v11, v[1:2], v[3:4] offset1:4
	ds_write_b64 v11, v[5:6] offset:4096
	v_mov_b32_e32 v1, 0
	v_mov_b32_e32 v3, 0
	;; [unrolled: 1-line block ×4, first 2 shown]
	s_mov_b32 s3, 0
	s_mov_b32 s25, exec_lo
	s_waitcnt lgkmcnt(0)
	s_barrier
	buffer_gl0_inv
                                        ; implicit-def: $sgpr4
                                        ; implicit-def: $vgpr5_vgpr6
	v_cmpx_gt_u32_e64 s37, v10
	s_cbranch_execz .LBB1126_25
; %bb.22:
	v_lshlrev_b32_e32 v1, 4, v0
	v_add_nc_u32_e32 v3, 1, v10
	v_mov_b32_e32 v22, 0
	v_cmp_ne_u32_e32 vcc_lo, v12, v7
                                        ; implicit-def: $sgpr4
                                        ; implicit-def: $vgpr5_vgpr6
	v_add_nc_u32_e32 v11, v11, v1
	v_cmp_gt_u32_e64 s2, s37, v3
	v_mov_b32_e32 v3, 0
	v_mov_b32_e32 v4, 0
	ds_read_b64 v[1:2], v11
	s_and_saveexec_b32 s38, s2
	s_xor_b32 s38, exec_lo, s38
	s_cbranch_execz .LBB1126_24
; %bb.23:
	ds_read2_b64 v[3:6], v11 offset0:1 offset1:2
	v_add_nc_u32_e32 v10, 2, v10
	v_cmp_ne_u32_e64 s3, v7, v8
	v_cmp_ne_u32_e64 s4, v8, v9
	v_cmp_gt_u32_e64 s2, s37, v10
	v_cndmask_b32_e64 v22, 0, 1, s3
	s_and_b32 s3, s2, exec_lo
.LBB1126_24:
	s_or_b32 exec_lo, exec_lo, s38
	v_cndmask_b32_e64 v20, 0, 1, vcc_lo
	s_and_b32 s3, s3, exec_lo
.LBB1126_25:
	s_or_b32 exec_lo, exec_lo, s25
	v_lshlrev_b32_e32 v19, 3, v0
	s_and_b32 vcc_lo, exec_lo, s24
	s_cbranch_vccnz .LBB1126_27
	s_branch .LBB1126_35
.LBB1126_26:
                                        ; implicit-def: $sgpr4
                                        ; implicit-def: $vgpr5_vgpr6
                                        ; implicit-def: $vgpr20
                                        ; implicit-def: $vgpr1_vgpr2
                                        ; implicit-def: $vgpr22
	v_lshlrev_b32_e32 v19, 3, v0
	s_cbranch_execz .LBB1126_35
.LBB1126_27:
	s_waitcnt lgkmcnt(0)
	v_lshlrev_b32_e32 v5, 2, v0
	s_cmp_eq_u64 s[20:21], 0
	v_add_co_u32 v1, s2, s6, v5
	v_add_co_ci_u32_e64 v2, null, s7, 0, s2
	v_add_co_u32 v3, vcc_lo, 0x800, v1
	v_add_co_ci_u32_e64 v4, null, 0, v2, vcc_lo
	s_clause 0x2
	flat_load_dword v6, v[1:2]
	flat_load_dword v2, v[1:2] offset:1024
	flat_load_dword v3, v[3:4]
	v_add_nc_u32_e32 v1, v5, v19
	s_waitcnt vmcnt(1) lgkmcnt(1)
	ds_write2st64_b32 v5, v6, v2 offset1:4
	s_waitcnt vmcnt(0) lgkmcnt(1)
	ds_write_b32 v5, v3 offset:2048
	s_waitcnt lgkmcnt(0)
	s_barrier
	buffer_gl0_inv
	ds_read2_b32 v[7:8], v1 offset1:1
	ds_read_b32 v9, v1 offset:8
	s_cbranch_scc1 .LBB1126_32
; %bb.28:
	s_andn2_b32 vcc_lo, exec_lo, s36
	s_cbranch_vccnz .LBB1126_152
; %bb.29:
	s_lshl_b64 s[2:3], s[20:21], 2
	s_add_u32 s2, s30, s2
	s_addc_u32 s3, s31, s3
	s_add_u32 s2, s2, -4
	s_addc_u32 s3, s3, -1
	s_cbranch_execnz .LBB1126_31
.LBB1126_30:
	s_add_u32 s2, s6, -4
	s_addc_u32 s3, s7, -1
.LBB1126_31:
	s_mov_b64 s[6:7], s[2:3]
.LBB1126_32:
	v_mov_b32_e32 v2, s6
	v_mov_b32_e32 v3, s7
	v_sub_nc_u32_e32 v1, v1, v19
	flat_load_dword v10, v[2:3]
	s_waitcnt lgkmcnt(1)
	ds_write_b32 v1, v9 offset:3072
	s_waitcnt vmcnt(0) lgkmcnt(0)
	s_barrier
	buffer_gl0_inv
	s_and_saveexec_b32 s2, s1
; %bb.33:
	ds_read_b32 v10, v1 offset:3068
; %bb.34:
	s_or_b32 exec_lo, exec_lo, s2
	v_add_co_u32 v2, s2, s5, v19
	v_add_co_ci_u32_e64 v3, null, s29, 0, s2
	s_waitcnt lgkmcnt(0)
	v_add_co_u32 v4, vcc_lo, 0x800, v2
	v_add_co_ci_u32_e64 v5, null, 0, v3, vcc_lo
	v_add_co_u32 v11, vcc_lo, 0x1000, v2
	v_add_co_ci_u32_e64 v12, null, 0, v3, vcc_lo
	s_barrier
	buffer_gl0_inv
	s_clause 0x2
	flat_load_dwordx2 v[2:3], v[2:3]
	flat_load_dwordx2 v[4:5], v[4:5]
	;; [unrolled: 1-line block ×3, first 2 shown]
	v_lshl_add_u32 v1, v0, 2, v1
	v_cmp_ne_u32_e32 vcc_lo, v7, v8
	v_cmp_ne_u32_e64 s4, v8, v9
	s_mov_b32 s3, -1
	s_waitcnt vmcnt(1) lgkmcnt(1)
	ds_write2st64_b64 v1, v[2:3], v[4:5] offset1:4
	s_waitcnt vmcnt(0) lgkmcnt(1)
	ds_write_b64 v1, v[11:12] offset:4096
	v_lshl_add_u32 v6, v0, 4, v1
	s_waitcnt lgkmcnt(0)
	s_barrier
	buffer_gl0_inv
	ds_read2_b64 v[1:4], v6 offset1:1
	ds_read_b64 v[5:6], v6 offset:16
	v_cndmask_b32_e64 v22, 0, 1, vcc_lo
	v_cmp_ne_u32_e32 vcc_lo, v10, v7
	v_cndmask_b32_e64 v20, 0, 1, vcc_lo
.LBB1126_35:
	v_mov_b32_e32 v7, 0
	v_mov_b32_e32 v8, 0
	v_mov_b32_e32 v23, 0
	s_and_saveexec_b32 s2, s3
	s_cbranch_execz .LBB1126_37
; %bb.36:
	s_waitcnt lgkmcnt(0)
	v_mov_b32_e32 v8, v6
	v_cndmask_b32_e64 v23, 0, 1, s4
	v_mov_b32_e32 v7, v5
.LBB1126_37:
	s_or_b32 exec_lo, exec_lo, s2
	v_and_b32_e32 v24, 1, v23
	v_cmp_eq_u16_e64 s2, 0, v23
	v_mbcnt_lo_u32_b32 v21, -1, 0
	s_cmp_lg_u32 s33, 0
	s_waitcnt lgkmcnt(0)
	v_cmp_eq_u32_e32 vcc_lo, 1, v24
	s_barrier
	buffer_gl0_inv
	s_cbranch_scc0 .LBB1126_95
; %bb.38:
	v_add_f64 v[5:6], v[1:2], v[3:4]
	v_mov_b32_e32 v9, 0
	v_or_b32_e32 v10, v22, v20
	v_and_b32_e32 v12, 15, v21
	s_mov_b32 s5, exec_lo
	v_cmp_eq_u16_sdwa s3, v22, v9 src0_sel:BYTE_0 src1_sel:DWORD
	v_cmp_ne_u16_sdwa s4, v10, v9 src0_sel:BYTE_0 src1_sel:DWORD
	s_or_b32 vcc_lo, s4, vcc_lo
	v_cndmask_b32_e64 v11, 0, 1, vcc_lo
	v_mov_b32_dpp v13, v11 row_shr:1 row_mask:0xf bank_mask:0xf
	v_cndmask_b32_e64 v6, v4, v6, s3
	v_cndmask_b32_e64 v5, v3, v5, s3
	v_add_f64 v[5:6], v[7:8], v[5:6]
	v_cndmask_b32_e64 v9, v7, v5, s2
	v_cndmask_b32_e64 v10, v8, v6, s2
	v_mov_b32_dpp v5, v9 row_shr:1 row_mask:0xf bank_mask:0xf
	v_mov_b32_dpp v6, v10 row_shr:1 row_mask:0xf bank_mask:0xf
	v_cmpx_ne_u32_e32 0, v12
	s_cbranch_execz .LBB1126_40
; %bb.39:
	v_add_f64 v[5:6], v[9:10], v[5:6]
	v_and_or_b32 v11, v13, 1, v11
	v_cndmask_b32_e32 v10, v6, v10, vcc_lo
	v_cndmask_b32_e32 v9, v5, v9, vcc_lo
.LBB1126_40:
	s_or_b32 exec_lo, exec_lo, s5
	v_mov_b32_dpp v5, v9 row_shr:2 row_mask:0xf bank_mask:0xf
	v_mov_b32_dpp v6, v10 row_shr:2 row_mask:0xf bank_mask:0xf
	v_mov_b32_dpp v13, v11 row_shr:2 row_mask:0xf bank_mask:0xf
	s_mov_b32 s4, exec_lo
	v_cmpx_lt_u32_e32 1, v12
	s_cbranch_execz .LBB1126_42
; %bb.41:
	v_add_f64 v[5:6], v[9:10], v[5:6]
	v_cmp_eq_u16_e32 vcc_lo, 0, v11
	v_or_b32_e32 v11, v13, v11
	v_and_b32_e32 v11, 1, v11
	v_cndmask_b32_e32 v10, v10, v6, vcc_lo
	v_cndmask_b32_e32 v9, v9, v5, vcc_lo
.LBB1126_42:
	s_or_b32 exec_lo, exec_lo, s4
	v_mov_b32_dpp v5, v9 row_shr:4 row_mask:0xf bank_mask:0xf
	v_mov_b32_dpp v6, v10 row_shr:4 row_mask:0xf bank_mask:0xf
	v_mov_b32_dpp v13, v11 row_shr:4 row_mask:0xf bank_mask:0xf
	s_mov_b32 s4, exec_lo
	v_cmpx_lt_u32_e32 3, v12
	s_cbranch_execz .LBB1126_44
; %bb.43:
	v_add_f64 v[5:6], v[9:10], v[5:6]
	v_cmp_eq_u16_e32 vcc_lo, 0, v11
	v_or_b32_e32 v11, v13, v11
	v_and_b32_e32 v11, 1, v11
	v_cndmask_b32_e32 v10, v10, v6, vcc_lo
	v_cndmask_b32_e32 v9, v9, v5, vcc_lo
.LBB1126_44:
	;; [unrolled: 15-line block ×3, first 2 shown]
	s_or_b32 exec_lo, exec_lo, s4
	ds_swizzle_b32 v5, v9 offset:swizzle(BROADCAST,32,15)
	ds_swizzle_b32 v6, v10 offset:swizzle(BROADCAST,32,15)
	;; [unrolled: 1-line block ×3, first 2 shown]
	v_and_b32_e32 v13, 16, v21
	v_cmp_ne_u32_e32 vcc_lo, 0, v13
	v_mov_b32_e32 v13, v11
	s_and_saveexec_b32 s6, vcc_lo
	s_cbranch_execz .LBB1126_48
; %bb.47:
	s_waitcnt lgkmcnt(1)
	v_add_f64 v[5:6], v[9:10], v[5:6]
	v_and_b32_e32 v13, 1, v11
	s_waitcnt lgkmcnt(0)
	v_and_b32_e32 v12, 1, v12
	v_cmp_eq_u16_e64 s5, 0, v11
	v_cmp_eq_u32_e32 vcc_lo, 1, v13
	v_cmp_eq_u32_e64 s4, 1, v12
	s_or_b32 s4, vcc_lo, s4
	v_cndmask_b32_e64 v11, 0, 1, s4
	v_cndmask_b32_e64 v13, 0, 1, s4
	;; [unrolled: 1-line block ×4, first 2 shown]
.LBB1126_48:
	s_or_b32 exec_lo, exec_lo, s6
	s_waitcnt lgkmcnt(1)
	v_lshrrev_b32_e32 v6, 5, v0
	v_or_b32_e32 v5, 31, v0
	s_mov_b32 s4, exec_lo
	v_lshlrev_b32_e32 v14, 4, v6
	v_cmpx_eq_u32_e64 v0, v5
	s_cbranch_execz .LBB1126_50
; %bb.49:
	ds_write_b64 v14, v[9:10]
	ds_write_b8 v14, v11 offset:8
.LBB1126_50:
	s_or_b32 exec_lo, exec_lo, s4
	s_mov_b32 s6, exec_lo
	s_waitcnt lgkmcnt(0)
	s_barrier
	buffer_gl0_inv
	v_cmpx_gt_u32_e32 8, v0
	s_cbranch_execz .LBB1126_58
; %bb.51:
	v_lshlrev_b32_e32 v15, 4, v0
	v_and_b32_e32 v16, 7, v21
	s_mov_b32 s4, exec_lo
	ds_read_b64 v[5:6], v15
	ds_read_b32 v18, v15 offset:8
	s_waitcnt lgkmcnt(1)
	v_mov_b32_dpp v11, v5 row_shr:1 row_mask:0xf bank_mask:0xf
	v_mov_b32_dpp v12, v6 row_shr:1 row_mask:0xf bank_mask:0xf
	s_waitcnt lgkmcnt(0)
	v_and_b32_e32 v25, 0xffffff00, v18
	v_mov_b32_dpp v27, v18 row_shr:1 row_mask:0xf bank_mask:0xf
	v_mov_b32_e32 v26, v18
	v_mov_b32_e32 v17, v18
	v_cmpx_ne_u32_e32 0, v16
	s_cbranch_execz .LBB1126_53
; %bb.52:
	v_add_f64 v[11:12], v[5:6], v[11:12]
	v_mov_b32_e32 v17, 0
	v_or_b32_e32 v26, v27, v18
	v_cmp_eq_u16_sdwa vcc_lo, v18, v17 src0_sel:BYTE_0 src1_sel:DWORD
	v_and_b32_e32 v17, 1, v26
	v_and_b32_e32 v26, 1, v26
	v_or_b32_e32 v18, v17, v25
	v_cndmask_b32_e32 v6, v6, v12, vcc_lo
	v_cndmask_b32_e32 v5, v5, v11, vcc_lo
.LBB1126_53:
	s_or_b32 exec_lo, exec_lo, s4
	v_mov_b32_dpp v11, v5 row_shr:2 row_mask:0xf bank_mask:0xf
	v_mov_b32_dpp v12, v6 row_shr:2 row_mask:0xf bank_mask:0xf
	;; [unrolled: 1-line block ×3, first 2 shown]
	s_mov_b32 s5, exec_lo
	v_cmpx_lt_u32_e32 1, v16
	s_cbranch_execz .LBB1126_55
; %bb.54:
	v_add_f64 v[11:12], v[5:6], v[11:12]
	v_and_b32_e32 v18, 1, v17
	v_and_b32_e32 v26, 1, v27
	v_cmp_eq_u32_e32 vcc_lo, 1, v18
	v_cmp_eq_u32_e64 s4, 1, v26
	v_mov_b32_e32 v18, 0
	s_or_b32 s4, vcc_lo, s4
	v_cmp_eq_u16_sdwa vcc_lo, v17, v18 src0_sel:BYTE_0 src1_sel:DWORD
	v_cndmask_b32_e64 v26, 0, 1, s4
	v_cndmask_b32_e64 v27, 0, 1, s4
	v_mov_b32_e32 v17, v26
	v_or_b32_e32 v18, v25, v27
	v_cndmask_b32_e32 v6, v6, v12, vcc_lo
	v_cndmask_b32_e32 v5, v5, v11, vcc_lo
.LBB1126_55:
	s_or_b32 exec_lo, exec_lo, s5
	v_mov_b32_dpp v11, v5 row_shr:4 row_mask:0xf bank_mask:0xf
	v_mov_b32_dpp v12, v6 row_shr:4 row_mask:0xf bank_mask:0xf
	;; [unrolled: 1-line block ×3, first 2 shown]
	s_mov_b32 s7, exec_lo
	v_cmpx_lt_u32_e32 3, v16
	s_cbranch_execz .LBB1126_57
; %bb.56:
	v_add_f64 v[11:12], v[5:6], v[11:12]
	v_and_b32_e32 v25, 1, v17
	v_and_b32_e32 v18, 1, v18
	v_mov_b32_e32 v16, 0
	v_cmp_eq_u32_e64 s4, 1, v25
	v_cmp_eq_u32_e64 s5, 1, v18
	v_cmp_eq_u16_sdwa vcc_lo, v17, v16 src0_sel:BYTE_0 src1_sel:DWORD
	s_or_b32 s4, s4, s5
	v_cndmask_b32_e64 v26, 0, 1, s4
	v_cndmask_b32_e32 v6, v6, v12, vcc_lo
	v_cndmask_b32_e32 v5, v5, v11, vcc_lo
.LBB1126_57:
	s_or_b32 exec_lo, exec_lo, s7
	ds_write_b64 v15, v[5:6]
	ds_write_b8 v15, v26 offset:8
.LBB1126_58:
	s_or_b32 exec_lo, exec_lo, s6
	v_mov_b32_e32 v5, 0
	v_mov_b32_e32 v6, 0
	;; [unrolled: 1-line block ×3, first 2 shown]
	s_mov_b32 s5, exec_lo
	v_cmp_gt_u32_e32 vcc_lo, 32, v0
	s_waitcnt lgkmcnt(0)
	s_barrier
	buffer_gl0_inv
	v_cmpx_lt_u32_e32 31, v0
	s_cbranch_execz .LBB1126_60
; %bb.59:
	v_add_nc_u32_e32 v5, -16, v14
	v_add_nc_u32_e32 v11, -8, v14
	v_cmp_eq_u32_e64 s4, 0, v13
	ds_read_b64 v[5:6], v5
	ds_read_u8 v14, v11
	s_waitcnt lgkmcnt(1)
	v_add_f64 v[11:12], v[9:10], v[5:6]
	s_waitcnt lgkmcnt(0)
	v_or_b32_e32 v15, v14, v13
	v_and_b32_e32 v25, 1, v14
	v_and_b32_e32 v13, 1, v15
	v_cndmask_b32_e64 v10, v10, v12, s4
	v_cndmask_b32_e64 v9, v9, v11, s4
.LBB1126_60:
	s_or_b32 exec_lo, exec_lo, s5
	v_sub_co_u32 v11, s4, v21, 1
	v_cmp_gt_i32_e64 s5, 0, v11
	v_cndmask_b32_e64 v11, v11, v21, s5
	v_lshlrev_b32_e32 v11, 2, v11
	ds_bpermute_b32 v27, v11, v9
	ds_bpermute_b32 v28, v11, v10
	;; [unrolled: 1-line block ×3, first 2 shown]
	s_and_saveexec_b32 s7, vcc_lo
	s_cbranch_execz .LBB1126_100
; %bb.61:
	v_mov_b32_e32 v13, 0
	ds_read_b64 v[9:10], v13 offset:112
	ds_read_u8 v29, v13 offset:120
	s_and_saveexec_b32 s5, s4
	s_cbranch_execz .LBB1126_63
; %bb.62:
	s_add_i32 s20, s33, 32
	s_mov_b32 s21, 0
	v_mov_b32_e32 v11, 1
	s_lshl_b64 s[24:25], s[20:21], 4
	v_mov_b32_e32 v12, s20
	s_add_u32 s24, s8, s24
	s_addc_u32 s25, s9, s25
	s_waitcnt lgkmcnt(1)
	global_store_dwordx2 v13, v[9:10], s[24:25]
	s_waitcnt lgkmcnt(0)
	global_store_byte v13, v29, s[24:25] offset:8
	s_waitcnt_vscnt null, 0x0
	buffer_gl1_inv
	buffer_gl0_inv
	global_store_byte v12, v11, s[12:13]
.LBB1126_63:
	s_or_b32 exec_lo, exec_lo, s5
	v_xad_u32 v11, v21, -1, s33
	s_mov_b32 s6, 0
	s_mov_b32 s5, exec_lo
	v_add_nc_u32_e32 v12, 32, v11
	global_load_ubyte v30, v12, s[12:13] glc dlc
	s_waitcnt vmcnt(0)
	v_cmpx_eq_u16_e32 0, v30
	s_cbranch_execz .LBB1126_67
; %bb.64:
	v_add_co_u32 v14, s20, s12, v12
	v_add_co_ci_u32_e64 v15, null, s13, 0, s20
.LBB1126_65:                            ; =>This Inner Loop Header: Depth=1
	global_load_ubyte v30, v[14:15], off glc dlc
	s_waitcnt vmcnt(0)
	v_cmp_ne_u16_e32 vcc_lo, 0, v30
	s_or_b32 s6, vcc_lo, s6
	s_andn2_b32 exec_lo, exec_lo, s6
	s_cbranch_execnz .LBB1126_65
; %bb.66:
	s_or_b32 exec_lo, exec_lo, s6
.LBB1126_67:
	s_or_b32 exec_lo, exec_lo, s5
	v_cmp_eq_u16_e32 vcc_lo, 1, v30
	v_mov_b32_e32 v15, s8
	v_mov_b32_e32 v14, s9
	v_lshlrev_b64 v[12:13], 4, v[12:13]
	s_waitcnt lgkmcnt(0)
	s_waitcnt_vscnt null, 0x0
	buffer_gl1_inv
	buffer_gl0_inv
	v_lshlrev_b32_e64 v32, v21, -1
	v_cndmask_b32_e32 v15, s10, v15, vcc_lo
	v_cndmask_b32_e32 v14, s11, v14, vcc_lo
	s_mov_b32 s5, exec_lo
	v_add_co_u32 v12, vcc_lo, v15, v12
	v_add_co_ci_u32_e64 v13, null, v14, v13, vcc_lo
	v_cmp_ne_u32_e32 vcc_lo, 31, v21
	s_clause 0x1
	global_load_ubyte v17, v[12:13], off offset:8
	global_load_dwordx2 v[15:16], v[12:13], off
	v_add_co_ci_u32_e64 v12, null, 0, v21, vcc_lo
	v_cmp_eq_u16_e32 vcc_lo, 2, v30
	v_lshlrev_b32_e32 v31, 2, v12
	v_and_or_b32 v14, vcc_lo, v32, 0x80000000
	v_ffbl_b32_e32 v14, v14
	s_waitcnt vmcnt(1)
	v_and_b32_e32 v18, 1, v17
	s_waitcnt vmcnt(0)
	ds_bpermute_b32 v12, v31, v15
	ds_bpermute_b32 v13, v31, v16
	;; [unrolled: 1-line block ×3, first 2 shown]
	v_cmpx_lt_u32_e64 v21, v14
	s_cbranch_execz .LBB1126_69
; %bb.68:
	s_waitcnt lgkmcnt(1)
	v_add_f64 v[12:13], v[15:16], v[12:13]
	v_mov_b32_e32 v18, 0
	s_waitcnt lgkmcnt(0)
	v_and_b32_e32 v33, 1, v33
	v_cmp_eq_u16_sdwa vcc_lo, v17, v18 src0_sel:BYTE_0 src1_sel:DWORD
	v_or_b32_e32 v17, v33, v17
	v_and_b32_e32 v18, 0xff, v17
	v_cndmask_b32_e32 v16, v16, v13, vcc_lo
	v_cndmask_b32_e32 v15, v15, v12, vcc_lo
.LBB1126_69:
	s_or_b32 exec_lo, exec_lo, s5
	v_cmp_gt_u32_e32 vcc_lo, 30, v21
	v_add_nc_u32_e32 v34, 2, v21
	s_mov_b32 s20, exec_lo
	s_waitcnt lgkmcnt(2)
	v_cndmask_b32_e64 v12, 0, 2, vcc_lo
	s_waitcnt lgkmcnt(0)
	v_add_lshl_u32 v33, v12, v21, 2
	ds_bpermute_b32 v12, v33, v15
	ds_bpermute_b32 v13, v33, v16
	ds_bpermute_b32 v35, v33, v18
	v_cmpx_le_u32_e64 v34, v14
	s_cbranch_execz .LBB1126_71
; %bb.70:
	s_waitcnt lgkmcnt(1)
	v_add_f64 v[12:13], v[15:16], v[12:13]
	v_and_b32_e32 v18, 1, v17
	s_waitcnt lgkmcnt(0)
	v_and_b32_e32 v35, 1, v35
	v_mov_b32_e32 v36, 0
	v_cmp_eq_u32_e32 vcc_lo, 1, v18
	v_cmp_eq_u32_e64 s5, 1, v35
	v_cmp_eq_u16_sdwa s6, v17, v36 src0_sel:BYTE_0 src1_sel:DWORD
	s_or_b32 s5, vcc_lo, s5
	v_cndmask_b32_e64 v17, 0, 1, s5
	v_cndmask_b32_e64 v18, 0, 1, s5
	v_cndmask_b32_e64 v16, v16, v13, s6
	v_cndmask_b32_e64 v15, v15, v12, s6
.LBB1126_71:
	s_or_b32 exec_lo, exec_lo, s20
	v_cmp_gt_u32_e32 vcc_lo, 28, v21
	v_add_nc_u32_e32 v36, 4, v21
	s_mov_b32 s20, exec_lo
	s_waitcnt lgkmcnt(2)
	v_cndmask_b32_e64 v12, 0, 4, vcc_lo
	s_waitcnt lgkmcnt(0)
	v_add_lshl_u32 v35, v12, v21, 2
	ds_bpermute_b32 v12, v35, v15
	ds_bpermute_b32 v13, v35, v16
	ds_bpermute_b32 v37, v35, v18
	v_cmpx_le_u32_e64 v36, v14
	s_cbranch_execz .LBB1126_73
; %bb.72:
	s_waitcnt lgkmcnt(1)
	v_add_f64 v[12:13], v[15:16], v[12:13]
	v_and_b32_e32 v18, 1, v17
	s_waitcnt lgkmcnt(0)
	v_and_b32_e32 v37, 1, v37
	v_mov_b32_e32 v38, 0
	v_cmp_eq_u32_e32 vcc_lo, 1, v18
	v_cmp_eq_u32_e64 s5, 1, v37
	v_cmp_eq_u16_sdwa s6, v17, v38 src0_sel:BYTE_0 src1_sel:DWORD
	s_or_b32 s5, vcc_lo, s5
	v_cndmask_b32_e64 v17, 0, 1, s5
	v_cndmask_b32_e64 v18, 0, 1, s5
	v_cndmask_b32_e64 v16, v16, v13, s6
	v_cndmask_b32_e64 v15, v15, v12, s6
.LBB1126_73:
	;; [unrolled: 29-line block ×3, first 2 shown]
	s_or_b32 exec_lo, exec_lo, s20
	v_lshl_or_b32 v40, v21, 2, 64
	v_add_nc_u32_e32 v41, 16, v21
	s_mov_b32 s20, exec_lo
	s_waitcnt lgkmcnt(2)
	ds_bpermute_b32 v12, v40, v15
	s_waitcnt lgkmcnt(2)
	ds_bpermute_b32 v13, v40, v16
	ds_bpermute_b32 v18, v40, v18
	v_cmpx_le_u32_e64 v41, v14
	s_cbranch_execz .LBB1126_77
; %bb.76:
	s_waitcnt lgkmcnt(1)
	v_add_f64 v[12:13], v[15:16], v[12:13]
	v_and_b32_e32 v39, 1, v17
	s_waitcnt lgkmcnt(0)
	v_and_b32_e32 v18, 1, v18
	v_mov_b32_e32 v14, 0
	v_cmp_eq_u32_e64 s5, 1, v39
	v_cmp_eq_u32_e64 s6, 1, v18
	v_cmp_eq_u16_sdwa vcc_lo, v17, v14 src0_sel:BYTE_0 src1_sel:DWORD
	s_or_b32 s5, s5, s6
	v_cndmask_b32_e64 v17, 0, 1, s5
	v_cndmask_b32_e32 v16, v16, v13, vcc_lo
	v_cndmask_b32_e32 v15, v15, v12, vcc_lo
.LBB1126_77:
	s_or_b32 exec_lo, exec_lo, s20
	s_waitcnt lgkmcnt(2)
	v_mov_b32_e32 v12, 0
	v_mov_b32_e32 v42, 2
	s_branch .LBB1126_80
.LBB1126_78:                            ;   in Loop: Header=BB1126_80 Depth=1
	s_or_b32 exec_lo, exec_lo, s21
	v_add_f64 v[15:16], v[13:14], v[15:16]
	s_waitcnt lgkmcnt(2)
	v_and_b32_e32 v17, 1, v39
	v_cmp_eq_u16_sdwa vcc_lo, v39, v12 src0_sel:BYTE_0 src1_sel:DWORD
	v_subrev_nc_u32_e32 v11, 32, v11
	v_cmp_eq_u32_e64 s5, 1, v17
	s_or_b32 s5, s5, s20
	v_cndmask_b32_e64 v17, 0, 1, s5
	s_mov_b32 s5, 0
	v_cndmask_b32_e32 v16, v14, v16, vcc_lo
	v_cndmask_b32_e32 v15, v13, v15, vcc_lo
.LBB1126_79:                            ;   in Loop: Header=BB1126_80 Depth=1
	s_and_b32 vcc_lo, exec_lo, s5
	s_cbranch_vccnz .LBB1126_96
.LBB1126_80:                            ; =>This Loop Header: Depth=1
                                        ;     Child Loop BB1126_83 Depth 2
	v_cmp_ne_u16_sdwa s5, v30, v42 src0_sel:BYTE_0 src1_sel:DWORD
	s_waitcnt lgkmcnt(1)
	v_mov_b32_e32 v13, v15
	v_mov_b32_e32 v39, v17
	;; [unrolled: 1-line block ×3, first 2 shown]
                                        ; implicit-def: $vgpr17
                                        ; implicit-def: $vgpr15_vgpr16
                                        ; implicit-def: $vgpr30
	s_cmp_lg_u32 s5, exec_lo
	s_mov_b32 s5, -1
	s_cbranch_scc1 .LBB1126_79
; %bb.81:                               ;   in Loop: Header=BB1126_80 Depth=1
	global_load_ubyte v30, v11, s[12:13] glc dlc
	s_mov_b32 s5, exec_lo
	s_waitcnt vmcnt(0)
	v_cmpx_eq_u16_e32 0, v30
	s_cbranch_execz .LBB1126_85
; %bb.82:                               ;   in Loop: Header=BB1126_80 Depth=1
	v_add_co_u32 v15, s6, s12, v11
	v_add_co_ci_u32_e64 v16, null, s13, 0, s6
	s_mov_b32 s6, 0
.LBB1126_83:                            ;   Parent Loop BB1126_80 Depth=1
                                        ; =>  This Inner Loop Header: Depth=2
	global_load_ubyte v30, v[15:16], off glc dlc
	s_waitcnt vmcnt(0)
	v_cmp_ne_u16_e32 vcc_lo, 0, v30
	s_or_b32 s6, vcc_lo, s6
	s_andn2_b32 exec_lo, exec_lo, s6
	s_cbranch_execnz .LBB1126_83
; %bb.84:                               ;   in Loop: Header=BB1126_80 Depth=1
	s_or_b32 exec_lo, exec_lo, s6
.LBB1126_85:                            ;   in Loop: Header=BB1126_80 Depth=1
	s_or_b32 exec_lo, exec_lo, s5
	v_cmp_eq_u16_e32 vcc_lo, 1, v30
	s_waitcnt lgkmcnt(0)
	v_mov_b32_e32 v18, s8
	v_mov_b32_e32 v17, s9
	v_lshlrev_b64 v[15:16], 4, v[11:12]
	buffer_gl1_inv
	buffer_gl0_inv
	s_mov_b32 s5, exec_lo
	v_cndmask_b32_e32 v18, s10, v18, vcc_lo
	v_cndmask_b32_e32 v17, s11, v17, vcc_lo
	v_add_co_u32 v15, vcc_lo, v18, v15
	v_add_co_ci_u32_e64 v16, null, v17, v16, vcc_lo
	v_cmp_eq_u16_e32 vcc_lo, 2, v30
	s_clause 0x1
	global_load_ubyte v43, v[15:16], off offset:8
	global_load_dwordx2 v[15:16], v[15:16], off
	v_and_or_b32 v44, vcc_lo, v32, 0x80000000
	v_ffbl_b32_e32 v44, v44
	s_waitcnt vmcnt(1)
	v_and_b32_e32 v45, 1, v43
	s_waitcnt vmcnt(0)
	ds_bpermute_b32 v17, v31, v15
	ds_bpermute_b32 v18, v31, v16
	;; [unrolled: 1-line block ×3, first 2 shown]
	v_cmpx_lt_u32_e64 v21, v44
	s_cbranch_execz .LBB1126_87
; %bb.86:                               ;   in Loop: Header=BB1126_80 Depth=1
	s_waitcnt lgkmcnt(1)
	v_add_f64 v[17:18], v[15:16], v[17:18]
	s_waitcnt lgkmcnt(0)
	v_and_b32_e32 v45, 1, v46
	v_cmp_eq_u16_sdwa vcc_lo, v43, v12 src0_sel:BYTE_0 src1_sel:DWORD
	v_or_b32_e32 v43, v45, v43
	v_and_b32_e32 v45, 0xff, v43
	v_cndmask_b32_e32 v16, v16, v18, vcc_lo
	v_cndmask_b32_e32 v15, v15, v17, vcc_lo
.LBB1126_87:                            ;   in Loop: Header=BB1126_80 Depth=1
	s_or_b32 exec_lo, exec_lo, s5
	s_waitcnt lgkmcnt(2)
	ds_bpermute_b32 v17, v33, v15
	s_waitcnt lgkmcnt(2)
	ds_bpermute_b32 v18, v33, v16
	;; [unrolled: 2-line block ×3, first 2 shown]
	v_and_b32_e32 v47, 1, v43
	s_mov_b32 s6, exec_lo
	v_cmp_eq_u32_e64 s20, 1, v47
	v_cmpx_le_u32_e64 v34, v44
	s_cbranch_execz .LBB1126_89
; %bb.88:                               ;   in Loop: Header=BB1126_80 Depth=1
	s_waitcnt lgkmcnt(1)
	v_add_f64 v[17:18], v[15:16], v[17:18]
	s_waitcnt lgkmcnt(0)
	v_and_b32_e32 v45, 1, v46
	v_cmp_eq_u16_sdwa s5, v43, v12 src0_sel:BYTE_0 src1_sel:DWORD
	v_cmp_eq_u32_e32 vcc_lo, 1, v45
	s_or_b32 s21, s20, vcc_lo
	v_cndmask_b32_e64 v43, 0, 1, s21
	v_cndmask_b32_e64 v45, 0, 1, s21
	;; [unrolled: 1-line block ×4, first 2 shown]
	s_andn2_b32 s5, s20, exec_lo
	s_and_b32 s20, s21, exec_lo
	s_or_b32 s20, s5, s20
.LBB1126_89:                            ;   in Loop: Header=BB1126_80 Depth=1
	s_or_b32 exec_lo, exec_lo, s6
	s_waitcnt lgkmcnt(2)
	ds_bpermute_b32 v17, v35, v15
	s_waitcnt lgkmcnt(2)
	ds_bpermute_b32 v18, v35, v16
	;; [unrolled: 2-line block ×3, first 2 shown]
	s_mov_b32 s21, exec_lo
	v_cmpx_le_u32_e64 v36, v44
	s_cbranch_execz .LBB1126_91
; %bb.90:                               ;   in Loop: Header=BB1126_80 Depth=1
	s_waitcnt lgkmcnt(1)
	v_add_f64 v[17:18], v[15:16], v[17:18]
	v_and_b32_e32 v45, 1, v43
	s_waitcnt lgkmcnt(0)
	v_and_b32_e32 v46, 1, v46
	v_cmp_eq_u16_sdwa s6, v43, v12 src0_sel:BYTE_0 src1_sel:DWORD
	v_cmp_eq_u32_e32 vcc_lo, 1, v45
	v_cmp_eq_u32_e64 s5, 1, v46
	s_or_b32 s5, vcc_lo, s5
	v_cndmask_b32_e64 v43, 0, 1, s5
	v_cndmask_b32_e64 v45, 0, 1, s5
	s_and_b32 s5, s5, exec_lo
	v_cndmask_b32_e64 v16, v16, v18, s6
	v_cndmask_b32_e64 v15, v15, v17, s6
	s_andn2_b32 s6, s20, exec_lo
	s_or_b32 s20, s6, s5
.LBB1126_91:                            ;   in Loop: Header=BB1126_80 Depth=1
	s_or_b32 exec_lo, exec_lo, s21
	s_waitcnt lgkmcnt(2)
	ds_bpermute_b32 v17, v37, v15
	s_waitcnt lgkmcnt(2)
	ds_bpermute_b32 v18, v37, v16
	;; [unrolled: 2-line block ×3, first 2 shown]
	s_mov_b32 s21, exec_lo
	v_cmpx_le_u32_e64 v38, v44
	s_cbranch_execz .LBB1126_93
; %bb.92:                               ;   in Loop: Header=BB1126_80 Depth=1
	s_waitcnt lgkmcnt(1)
	v_add_f64 v[17:18], v[15:16], v[17:18]
	v_and_b32_e32 v45, 1, v43
	s_waitcnt lgkmcnt(0)
	v_and_b32_e32 v46, 1, v46
	v_cmp_eq_u16_sdwa s6, v43, v12 src0_sel:BYTE_0 src1_sel:DWORD
	v_cmp_eq_u32_e32 vcc_lo, 1, v45
	v_cmp_eq_u32_e64 s5, 1, v46
	s_or_b32 s5, vcc_lo, s5
	v_cndmask_b32_e64 v43, 0, 1, s5
	v_cndmask_b32_e64 v45, 0, 1, s5
	s_and_b32 s5, s5, exec_lo
	v_cndmask_b32_e64 v16, v16, v18, s6
	v_cndmask_b32_e64 v15, v15, v17, s6
	s_andn2_b32 s6, s20, exec_lo
	s_or_b32 s20, s6, s5
.LBB1126_93:                            ;   in Loop: Header=BB1126_80 Depth=1
	s_or_b32 exec_lo, exec_lo, s21
	s_waitcnt lgkmcnt(2)
	ds_bpermute_b32 v17, v40, v15
	s_waitcnt lgkmcnt(2)
	ds_bpermute_b32 v18, v40, v16
	ds_bpermute_b32 v45, v40, v45
	s_mov_b32 s21, exec_lo
	v_cmpx_le_u32_e64 v41, v44
	s_cbranch_execz .LBB1126_78
; %bb.94:                               ;   in Loop: Header=BB1126_80 Depth=1
	s_waitcnt lgkmcnt(1)
	v_add_f64 v[17:18], v[15:16], v[17:18]
	v_and_b32_e32 v44, 1, v43
	s_waitcnt lgkmcnt(0)
	v_and_b32_e32 v45, 1, v45
	v_cmp_eq_u16_sdwa s6, v43, v12 src0_sel:BYTE_0 src1_sel:DWORD
	v_cmp_eq_u32_e32 vcc_lo, 1, v44
	v_cmp_eq_u32_e64 s5, 1, v45
	s_or_b32 s5, vcc_lo, s5
	s_and_b32 s5, s5, exec_lo
	v_cndmask_b32_e64 v16, v16, v18, s6
	v_cndmask_b32_e64 v15, v15, v17, s6
	s_andn2_b32 s6, s20, exec_lo
	s_or_b32 s20, s6, s5
	s_branch .LBB1126_78
.LBB1126_95:
                                        ; implicit-def: $vgpr9_vgpr10
                                        ; implicit-def: $vgpr5_vgpr6
                                        ; implicit-def: $vgpr11_vgpr12
	s_cbranch_execnz .LBB1126_103
	s_branch .LBB1126_132
.LBB1126_96:
	s_and_saveexec_b32 s5, s4
	s_cbranch_execz .LBB1126_98
; %bb.97:
	v_add_f64 v[11:12], v[9:10], v[13:14]
	v_mov_b32_e32 v15, 0
	v_or_b32_e32 v16, v29, v39
	s_mov_b32 s9, 0
	s_add_i32 s8, s33, 32
	v_mov_b32_e32 v17, 2
	v_cmp_eq_u32_sdwa vcc_lo, v29, v15 src0_sel:BYTE_0 src1_sel:DWORD
	s_lshl_b64 s[20:21], s[8:9], 4
	s_waitcnt lgkmcnt(0)
	v_mov_b32_e32 v18, s8
	v_and_b32_e32 v16, 1, v16
	s_add_u32 s8, s10, s20
	s_addc_u32 s9, s11, s21
	v_cndmask_b32_e32 v10, v10, v12, vcc_lo
	v_cndmask_b32_e32 v9, v9, v11, vcc_lo
	global_store_byte v15, v16, s[8:9] offset:8
	global_store_dwordx2 v15, v[9:10], s[8:9]
	s_waitcnt_vscnt null, 0x0
	buffer_gl1_inv
	buffer_gl0_inv
	global_store_byte v18, v17, s[12:13]
.LBB1126_98:
	s_or_b32 exec_lo, exec_lo, s5
	s_and_b32 exec_lo, exec_lo, s0
	s_cbranch_execz .LBB1126_100
; %bb.99:
	v_mov_b32_e32 v9, 0
	ds_write_b64 v9, v[13:14] offset:112
	ds_write_b8 v9, v39 offset:120
.LBB1126_100:
	s_or_b32 exec_lo, exec_lo, s7
	v_mov_b32_e32 v13, 0
	s_waitcnt lgkmcnt(0)
	s_waitcnt_vscnt null, 0x0
	s_barrier
	buffer_gl0_inv
	v_mov_b32_e32 v12, v2
	ds_read_b64 v[9:10], v13 offset:112
	v_mov_b32_e32 v14, v20
	v_mov_b32_e32 v11, v1
	s_and_saveexec_b32 s6, s1
	s_cbranch_execz .LBB1126_102
; %bb.101:
	v_cndmask_b32_e64 v6, v28, v6, s4
	v_cndmask_b32_e64 v5, v27, v5, s4
	;; [unrolled: 1-line block ×3, first 2 shown]
	v_and_b32_e32 v12, 1, v20
	v_cmp_eq_u16_sdwa s5, v20, v13 src0_sel:BYTE_0 src1_sel:DWORD
	v_add_f64 v[5:6], v[1:2], v[5:6]
	v_and_b32_e32 v11, 1, v11
	v_cmp_eq_u32_e32 vcc_lo, 1, v12
	v_cmp_eq_u32_e64 s4, 1, v11
	s_or_b32 s4, vcc_lo, s4
	v_cndmask_b32_e64 v14, 0, 1, s4
	v_cndmask_b32_e64 v12, v2, v6, s5
	v_cndmask_b32_e64 v11, v1, v5, s5
.LBB1126_102:
	s_or_b32 exec_lo, exec_lo, s6
	s_waitcnt lgkmcnt(0)
	v_add_f64 v[5:6], v[9:10], v[11:12]
	v_cmp_eq_u16_sdwa vcc_lo, v14, v13 src0_sel:BYTE_0 src1_sel:DWORD
	v_cndmask_b32_e32 v12, v12, v6, vcc_lo
	v_cndmask_b32_e32 v11, v11, v5, vcc_lo
	v_add_f64 v[5:6], v[3:4], v[11:12]
	v_cndmask_b32_e64 v6, v4, v6, s3
	v_cndmask_b32_e64 v5, v3, v5, s3
	v_add_f64 v[9:10], v[7:8], v[5:6]
	v_cndmask_b32_e64 v10, v8, v10, s2
	v_cndmask_b32_e64 v9, v7, v9, s2
	s_branch .LBB1126_132
.LBB1126_103:
	s_cmp_lg_u64 s[34:35], 0
	s_cselect_b32 s2, -1, 0
	s_cmp_lg_u64 s[26:27], 0
	s_cselect_b32 s3, -1, 0
	s_and_b32 s2, s2, s3
	s_and_b32 s3, s0, s2
	s_and_saveexec_b32 s2, s3
	s_cbranch_execz .LBB1126_105
; %bb.104:
	v_mov_b32_e32 v9, 0
	s_clause 0x1
	global_load_dwordx2 v[5:6], v9, s[26:27]
	global_load_ubyte v10, v9, s[26:27] offset:8
	v_cmp_eq_u16_sdwa vcc_lo, v20, v9 src0_sel:BYTE_0 src1_sel:DWORD
	s_waitcnt vmcnt(1)
	v_add_f64 v[5:6], v[1:2], v[5:6]
	s_waitcnt vmcnt(0)
	v_or_b32_e32 v9, v20, v10
	v_and_b32_e32 v20, 1, v9
	v_cndmask_b32_e32 v2, v2, v6, vcc_lo
	v_cndmask_b32_e32 v1, v1, v5, vcc_lo
.LBB1126_105:
	s_or_b32 exec_lo, exec_lo, s2
	v_add_f64 v[5:6], v[3:4], v[1:2]
	v_mov_b32_e32 v11, 0
	v_or_b32_e32 v12, v20, v22
	v_cmp_eq_u32_e64 s3, 1, v24
	v_cmp_eq_u16_e64 s2, 0, v23
	v_and_b32_e32 v17, 15, v21
	v_cmp_eq_u16_sdwa vcc_lo, v22, v11 src0_sel:BYTE_0 src1_sel:DWORD
	v_cmp_ne_u16_sdwa s4, v12, v11 src0_sel:BYTE_0 src1_sel:DWORD
	s_mov_b32 s5, exec_lo
	s_or_b32 s3, s4, s3
	v_cndmask_b32_e64 v18, 0, 1, s3
	v_mov_b32_dpp v22, v18 row_shr:1 row_mask:0xf bank_mask:0xf
	v_cndmask_b32_e32 v6, v4, v6, vcc_lo
	v_cndmask_b32_e32 v5, v3, v5, vcc_lo
	v_add_f64 v[9:10], v[7:8], v[5:6]
	v_cndmask_b32_e64 v10, v8, v10, s2
	v_cndmask_b32_e64 v9, v7, v9, s2
	v_mov_b32_e32 v12, v10
	v_mov_b32_dpp v15, v9 row_shr:1 row_mask:0xf bank_mask:0xf
	v_mov_b32_dpp v16, v10 row_shr:1 row_mask:0xf bank_mask:0xf
	v_mov_b32_e32 v11, v9
	v_mov_b32_e32 v14, v10
	;; [unrolled: 1-line block ×3, first 2 shown]
	v_cmpx_ne_u32_e32 0, v17
	s_cbranch_execz .LBB1126_107
; %bb.106:
	v_add_f64 v[11:12], v[9:10], v[15:16]
	v_and_or_b32 v18, v22, 1, v18
	v_cndmask_b32_e64 v12, v12, v10, s3
	v_cndmask_b32_e64 v11, v11, v9, s3
	v_mov_b32_e32 v14, v12
	v_mov_b32_e32 v13, v11
.LBB1126_107:
	s_or_b32 exec_lo, exec_lo, s5
	v_mov_b32_dpp v15, v13 row_shr:2 row_mask:0xf bank_mask:0xf
	v_mov_b32_dpp v16, v14 row_shr:2 row_mask:0xf bank_mask:0xf
	v_mov_b32_dpp v22, v18 row_shr:2 row_mask:0xf bank_mask:0xf
	s_mov_b32 s4, exec_lo
	v_cmpx_lt_u32_e32 1, v17
	s_cbranch_execz .LBB1126_109
; %bb.108:
	v_add_f64 v[13:14], v[11:12], v[15:16]
	v_cmp_eq_u16_e64 s3, 0, v18
	v_or_b32_e32 v15, v22, v18
	v_and_b32_e32 v18, 1, v15
	v_cndmask_b32_e64 v13, v11, v13, s3
	v_cndmask_b32_e64 v14, v12, v14, s3
	v_mov_b32_e32 v11, v13
	v_mov_b32_e32 v12, v14
.LBB1126_109:
	s_or_b32 exec_lo, exec_lo, s4
	v_mov_b32_dpp v15, v13 row_shr:4 row_mask:0xf bank_mask:0xf
	v_mov_b32_dpp v16, v14 row_shr:4 row_mask:0xf bank_mask:0xf
	v_mov_b32_dpp v22, v18 row_shr:4 row_mask:0xf bank_mask:0xf
	s_mov_b32 s4, exec_lo
	v_cmpx_lt_u32_e32 3, v17
	s_cbranch_execz .LBB1126_111
; %bb.110:
	v_add_f64 v[13:14], v[11:12], v[15:16]
	v_cmp_eq_u16_e64 s3, 0, v18
	v_or_b32_e32 v15, v22, v18
	v_and_b32_e32 v18, 1, v15
	v_cndmask_b32_e64 v13, v11, v13, s3
	v_cndmask_b32_e64 v14, v12, v14, s3
	v_mov_b32_e32 v11, v13
	v_mov_b32_e32 v12, v14
.LBB1126_111:
	;; [unrolled: 17-line block ×3, first 2 shown]
	s_or_b32 exec_lo, exec_lo, s4
	ds_swizzle_b32 v13, v13 offset:swizzle(BROADCAST,32,15)
	ds_swizzle_b32 v14, v14 offset:swizzle(BROADCAST,32,15)
	ds_swizzle_b32 v15, v18 offset:swizzle(BROADCAST,32,15)
	v_and_b32_e32 v16, 16, v21
	v_mov_b32_e32 v17, v18
	s_mov_b32 s6, exec_lo
	v_cmpx_ne_u32_e32 0, v16
	s_cbranch_execz .LBB1126_115
; %bb.114:
	s_waitcnt lgkmcnt(1)
	v_add_f64 v[13:14], v[11:12], v[13:14]
	v_and_b32_e32 v16, 1, v18
	s_waitcnt lgkmcnt(0)
	v_and_b32_e32 v15, 1, v15
	v_cmp_eq_u16_e64 s5, 0, v18
	v_cmp_eq_u32_e64 s3, 1, v16
	v_cmp_eq_u32_e64 s4, 1, v15
	s_or_b32 s3, s3, s4
	v_cndmask_b32_e64 v18, 0, 1, s3
	v_cndmask_b32_e64 v17, 0, 1, s3
	;; [unrolled: 1-line block ×4, first 2 shown]
.LBB1126_115:
	s_or_b32 exec_lo, exec_lo, s6
	s_waitcnt lgkmcnt(2)
	v_or_b32_e32 v13, 31, v0
	v_lshrrev_b32_e32 v22, 5, v0
	s_mov_b32 s4, exec_lo
	v_cmpx_eq_u32_e64 v0, v13
	s_cbranch_execz .LBB1126_117
; %bb.116:
	v_lshlrev_b32_e32 v13, 4, v22
	ds_write_b64 v13, v[11:12]
	ds_write_b8 v13, v18 offset:8
.LBB1126_117:
	s_or_b32 exec_lo, exec_lo, s4
	s_mov_b32 s6, exec_lo
	s_waitcnt lgkmcnt(0)
	s_barrier
	buffer_gl0_inv
	v_cmpx_gt_u32_e32 8, v0
	s_cbranch_execz .LBB1126_125
; %bb.118:
	v_lshlrev_b32_e32 v18, 4, v0
	v_and_b32_e32 v23, 7, v21
	s_mov_b32 s4, exec_lo
	ds_read_b64 v[13:14], v18
	ds_read_b32 v25, v18 offset:8
	s_waitcnt lgkmcnt(1)
	v_mov_b32_dpp v15, v13 row_shr:1 row_mask:0xf bank_mask:0xf
	v_mov_b32_dpp v16, v14 row_shr:1 row_mask:0xf bank_mask:0xf
	s_waitcnt lgkmcnt(0)
	v_and_b32_e32 v26, 0xffffff00, v25
	v_mov_b32_dpp v28, v25 row_shr:1 row_mask:0xf bank_mask:0xf
	v_mov_b32_e32 v27, v25
	v_mov_b32_e32 v24, v25
	v_cmpx_ne_u32_e32 0, v23
	s_cbranch_execz .LBB1126_120
; %bb.119:
	v_add_f64 v[15:16], v[13:14], v[15:16]
	v_mov_b32_e32 v24, 0
	v_or_b32_e32 v27, v28, v25
	v_cmp_eq_u16_sdwa s3, v25, v24 src0_sel:BYTE_0 src1_sel:DWORD
	v_and_b32_e32 v24, 1, v27
	v_and_b32_e32 v27, 1, v27
	v_or_b32_e32 v25, v24, v26
	v_cndmask_b32_e64 v14, v14, v16, s3
	v_cndmask_b32_e64 v13, v13, v15, s3
.LBB1126_120:
	s_or_b32 exec_lo, exec_lo, s4
	v_mov_b32_dpp v15, v13 row_shr:2 row_mask:0xf bank_mask:0xf
	v_mov_b32_dpp v16, v14 row_shr:2 row_mask:0xf bank_mask:0xf
	;; [unrolled: 1-line block ×3, first 2 shown]
	s_mov_b32 s5, exec_lo
	v_cmpx_lt_u32_e32 1, v23
	s_cbranch_execz .LBB1126_122
; %bb.121:
	v_add_f64 v[15:16], v[13:14], v[15:16]
	v_and_b32_e32 v25, 1, v24
	v_and_b32_e32 v27, 1, v28
	v_cmp_eq_u32_e64 s3, 1, v25
	v_cmp_eq_u32_e64 s4, 1, v27
	v_mov_b32_e32 v25, 0
	s_or_b32 s3, s3, s4
	v_cndmask_b32_e64 v27, 0, 1, s3
	v_cndmask_b32_e64 v28, 0, 1, s3
	v_cmp_eq_u16_sdwa s3, v24, v25 src0_sel:BYTE_0 src1_sel:DWORD
	v_mov_b32_e32 v24, v27
	v_or_b32_e32 v25, v26, v28
	v_cndmask_b32_e64 v14, v14, v16, s3
	v_cndmask_b32_e64 v13, v13, v15, s3
.LBB1126_122:
	s_or_b32 exec_lo, exec_lo, s5
	v_mov_b32_dpp v15, v13 row_shr:4 row_mask:0xf bank_mask:0xf
	v_mov_b32_dpp v16, v14 row_shr:4 row_mask:0xf bank_mask:0xf
	;; [unrolled: 1-line block ×3, first 2 shown]
	s_mov_b32 s7, exec_lo
	v_cmpx_lt_u32_e32 3, v23
	s_cbranch_execz .LBB1126_124
; %bb.123:
	v_add_f64 v[15:16], v[13:14], v[15:16]
	v_mov_b32_e32 v23, 0
	v_and_b32_e32 v26, 1, v24
	v_and_b32_e32 v25, 1, v25
	v_cmp_eq_u16_sdwa s3, v24, v23 src0_sel:BYTE_0 src1_sel:DWORD
	v_cmp_eq_u32_e64 s4, 1, v26
	v_cmp_eq_u32_e64 s5, 1, v25
	v_cndmask_b32_e64 v14, v14, v16, s3
	v_cndmask_b32_e64 v13, v13, v15, s3
	s_or_b32 s3, s4, s5
	v_cndmask_b32_e64 v27, 0, 1, s3
.LBB1126_124:
	s_or_b32 exec_lo, exec_lo, s7
	ds_write_b64 v18, v[13:14]
	ds_write_b8 v18, v27 offset:8
.LBB1126_125:
	s_or_b32 exec_lo, exec_lo, s6
	v_mov_b32_e32 v13, 0
	v_mov_b32_e32 v14, 0
	s_mov_b32 s4, exec_lo
	s_waitcnt lgkmcnt(0)
	s_barrier
	buffer_gl0_inv
	v_cmpx_lt_u32_e32 31, v0
	s_cbranch_execz .LBB1126_127
; %bb.126:
	v_lshl_add_u32 v13, v22, 4, -16
	v_cmp_eq_u32_e64 s3, 0, v17
	ds_read_b64 v[13:14], v13
	s_waitcnt lgkmcnt(0)
	v_add_f64 v[15:16], v[11:12], v[13:14]
	v_cndmask_b32_e64 v12, v12, v16, s3
	v_cndmask_b32_e64 v11, v11, v15, s3
.LBB1126_127:
	s_or_b32 exec_lo, exec_lo, s4
	v_add_nc_u32_e32 v15, -1, v21
	v_cmp_gt_i32_e64 s3, 0, v15
	v_cndmask_b32_e64 v15, v15, v21, s3
	v_lshlrev_b32_e32 v15, 2, v15
	ds_bpermute_b32 v11, v15, v11
	ds_bpermute_b32 v12, v15, v12
	s_and_saveexec_b32 s3, s1
	s_cbranch_execz .LBB1126_129
; %bb.128:
	v_cmp_eq_u32_e64 s1, 0, v21
	v_mov_b32_e32 v9, 0
	;;#ASMSTART
	;;#ASMEND
	s_waitcnt lgkmcnt(0)
	v_cndmask_b32_e64 v6, v12, v14, s1
	v_cndmask_b32_e64 v5, v11, v13, s1
	v_cmp_eq_u16_sdwa s1, v20, v9 src0_sel:BYTE_0 src1_sel:DWORD
	v_add_f64 v[5:6], v[1:2], v[5:6]
	v_cndmask_b32_e64 v2, v2, v6, s1
	v_cndmask_b32_e64 v1, v1, v5, s1
	v_add_f64 v[5:6], v[3:4], v[1:2]
	v_cndmask_b32_e32 v6, v4, v6, vcc_lo
	v_cndmask_b32_e32 v5, v3, v5, vcc_lo
	v_add_f64 v[3:4], v[7:8], v[5:6]
	v_cndmask_b32_e64 v10, v8, v4, s2
	v_cndmask_b32_e64 v9, v7, v3, s2
.LBB1126_129:
	s_or_b32 exec_lo, exec_lo, s3
	s_and_saveexec_b32 s1, s0
	s_cbranch_execz .LBB1126_131
; %bb.130:
	v_mov_b32_e32 v7, 0
	s_waitcnt lgkmcnt(1)
	v_mov_b32_e32 v11, 2
	ds_read_b64 v[3:4], v7 offset:112
	ds_read_u8 v8, v7 offset:120
	s_waitcnt lgkmcnt(1)
	global_store_dwordx2 v7, v[3:4], s[10:11] offset:512
	s_waitcnt lgkmcnt(0)
	global_store_byte v7, v8, s[10:11] offset:520
	s_waitcnt_vscnt null, 0x0
	buffer_gl1_inv
	buffer_gl0_inv
	global_store_byte v7, v11, s[12:13] offset:32
.LBB1126_131:
	s_or_b32 exec_lo, exec_lo, s1
	s_waitcnt lgkmcnt(0)
	v_mov_b32_e32 v12, v2
	v_mov_b32_e32 v11, v1
.LBB1126_132:
	s_add_u32 s0, s22, s16
	s_addc_u32 s1, s23, s17
	s_add_u32 s0, s0, s18
	s_addc_u32 s1, s1, s19
	s_and_b32 vcc_lo, exec_lo, s28
	s_cbranch_vccz .LBB1126_144
; %bb.133:
	v_mov_b32_e32 v7, 0
	v_mov_b32_e32 v8, 0
	;; [unrolled: 1-line block ×4, first 2 shown]
	v_mul_u32_u24_e32 v13, 3, v0
	s_add_i32 s15, s15, s14
	v_mov_b32_e32 v4, v8
	v_mov_b32_e32 v2, v8
	s_mov_b32 s2, exec_lo
	v_cmpx_gt_u32_e64 s15, v13
	s_cbranch_execz .LBB1126_139
; %bb.134:
	v_mov_b32_e32 v1, 0
	v_mov_b32_e32 v3, 0
	v_add_nc_u32_e32 v7, 1, v13
	v_mov_b32_e32 v2, 0
	v_mov_b32_e32 v4, 0
	s_mov_b32 s3, exec_lo
	v_cmpx_gt_u32_e64 s15, v7
	s_cbranch_execz .LBB1126_138
; %bb.135:
	v_mov_b32_e32 v1, 0
	v_add_nc_u32_e32 v3, 2, v13
	v_mov_b32_e32 v2, 0
	s_mov_b32 s4, exec_lo
	v_cmpx_gt_u32_e64 s15, v3
; %bb.136:
	v_mov_b32_e32 v1, v9
	v_mov_b32_e32 v2, v10
; %bb.137:
	s_or_b32 exec_lo, exec_lo, s4
	v_mov_b32_e32 v3, v5
	v_mov_b32_e32 v4, v6
.LBB1126_138:
	s_or_b32 exec_lo, exec_lo, s3
	v_mov_b32_e32 v7, v11
	v_mov_b32_e32 v8, v12
.LBB1126_139:
	s_or_b32 exec_lo, exec_lo, s2
	v_lshlrev_b32_e32 v13, 3, v13
	v_lshlrev_b32_e32 v14, 4, v0
	s_waitcnt_vscnt null, 0x0
	s_barrier
	buffer_gl0_inv
	ds_write2_b64 v13, v[7:8], v[3:4] offset1:1
	v_sub_nc_u32_e32 v3, v13, v14
	ds_write_b64 v13, v[1:2] offset:16
	s_waitcnt lgkmcnt(0)
	s_barrier
	buffer_gl0_inv
	ds_read2st64_b64 v[1:4], v3 offset0:4 offset1:8
	v_add_co_u32 v7, s2, s0, v19
	v_add_co_ci_u32_e64 v8, null, s1, 0, s2
	s_mov_b32 s2, exec_lo
	v_cmpx_gt_u32_e64 s15, v0
	s_cbranch_execz .LBB1126_141
; %bb.140:
	v_sub_nc_u32_e32 v14, 0, v14
	v_add_nc_u32_e32 v13, v13, v14
	ds_read_b64 v[13:14], v13
	s_waitcnt lgkmcnt(0)
	flat_store_dwordx2 v[7:8], v[13:14]
.LBB1126_141:
	s_or_b32 exec_lo, exec_lo, s2
	v_or_b32_e32 v13, 0x100, v0
	s_mov_b32 s2, exec_lo
	v_cmpx_gt_u32_e64 s15, v13
	s_cbranch_execz .LBB1126_143
; %bb.142:
	v_add_co_u32 v7, vcc_lo, 0x800, v7
	v_add_co_ci_u32_e64 v8, null, 0, v8, vcc_lo
	s_waitcnt lgkmcnt(0)
	flat_store_dwordx2 v[7:8], v[1:2]
.LBB1126_143:
	s_or_b32 exec_lo, exec_lo, s2
	s_waitcnt lgkmcnt(0)
	v_or_b32_e32 v1, 0x200, v0
	v_cmp_gt_u32_e64 s2, s15, v1
	s_branch .LBB1126_146
.LBB1126_144:
	s_mov_b32 s2, 0
                                        ; implicit-def: $vgpr3_vgpr4
	s_cbranch_execz .LBB1126_146
; %bb.145:
	v_mul_u32_u24_e32 v1, 24, v0
	v_lshlrev_b32_e32 v2, 4, v0
	s_waitcnt_vscnt null, 0x0
	s_barrier
	buffer_gl0_inv
	ds_write2_b64 v1, v[11:12], v[5:6] offset1:1
	v_sub_nc_u32_e32 v2, v1, v2
	ds_write_b64 v1, v[9:10] offset:16
	s_waitcnt lgkmcnt(0)
	s_barrier
	buffer_gl0_inv
	ds_read2st64_b64 v[5:8], v2 offset1:4
	ds_read_b64 v[3:4], v2 offset:4096
	v_add_co_u32 v1, s3, s0, v19
	v_add_co_ci_u32_e64 v2, null, s1, 0, s3
	s_or_b32 s2, s2, exec_lo
	v_add_co_u32 v9, vcc_lo, 0x800, v1
	v_add_co_ci_u32_e64 v10, null, 0, v2, vcc_lo
	s_waitcnt lgkmcnt(1)
	flat_store_dwordx2 v[1:2], v[5:6]
	flat_store_dwordx2 v[9:10], v[7:8]
.LBB1126_146:
	s_and_saveexec_b32 s3, s2
	s_cbranch_execnz .LBB1126_148
; %bb.147:
	s_endpgm
.LBB1126_148:
	v_lshlrev_b32_e32 v0, 3, v0
	v_add_co_u32 v0, s0, s0, v0
	v_add_co_ci_u32_e64 v1, null, s1, 0, s0
	v_add_co_u32 v0, vcc_lo, 0x1000, v0
	v_add_co_ci_u32_e64 v1, null, 0, v1, vcc_lo
	s_waitcnt lgkmcnt(2)
	flat_store_dwordx2 v[0:1], v[3:4]
	s_endpgm
.LBB1126_149:
	v_add_co_u32 v2, s4, s5, v14
	v_add_co_ci_u32_e64 v3, null, s29, 0, s4
	v_mov_b32_e32 v16, v1
	v_mov_b32_e32 v17, v1
	;; [unrolled: 1-line block ×3, first 2 shown]
	flat_load_dwordx2 v[14:15], v[2:3]
	v_mov_b32_e32 v19, v1
	s_waitcnt vmcnt(0) lgkmcnt(0)
	v_mov_b32_e32 v1, v14
	v_mov_b32_e32 v2, v15
	v_mov_b32_e32 v3, v16
	v_mov_b32_e32 v4, v17
	v_mov_b32_e32 v5, v18
	v_mov_b32_e32 v6, v19
	s_or_b32 exec_lo, exec_lo, s24
	s_and_saveexec_b32 s4, s3
	s_cbranch_execz .LBB1126_19
.LBB1126_150:
	v_lshlrev_b32_e32 v3, 3, v11
	v_add_co_u32 v3, s3, s5, v3
	v_add_co_ci_u32_e64 v4, null, s29, 0, s3
	flat_load_dwordx2 v[3:4], v[3:4]
	s_or_b32 exec_lo, exec_lo, s4
	s_and_saveexec_b32 s3, s2
	s_cbranch_execnz .LBB1126_20
	s_branch .LBB1126_21
.LBB1126_151:
                                        ; implicit-def: $sgpr24_sgpr25
	s_branch .LBB1126_14
.LBB1126_152:
                                        ; implicit-def: $sgpr2_sgpr3
	s_branch .LBB1126_30
	.section	.rodata,"a",@progbits
	.p2align	6, 0x0
	.amdhsa_kernel _ZN7rocprim17ROCPRIM_400000_NS6detail17trampoline_kernelINS0_14default_configENS1_27scan_by_key_config_selectorIidEEZZNS1_16scan_by_key_implILNS1_25lookback_scan_determinismE0ELb0ES3_N6thrust23THRUST_200600_302600_NS6detail15normal_iteratorINS9_10device_ptrIiEEEENSB_INSC_IdEEEESG_dNS9_4plusIvEENS9_8equal_toIvEEdEE10hipError_tPvRmT2_T3_T4_T5_mT6_T7_P12ihipStream_tbENKUlT_T0_E_clISt17integral_constantIbLb0EES10_IbLb1EEEEDaSW_SX_EUlSW_E_NS1_11comp_targetILNS1_3genE8ELNS1_11target_archE1030ELNS1_3gpuE2ELNS1_3repE0EEENS1_30default_config_static_selectorELNS0_4arch9wavefront6targetE0EEEvT1_
		.amdhsa_group_segment_fixed_size 6144
		.amdhsa_private_segment_fixed_size 0
		.amdhsa_kernarg_size 136
		.amdhsa_user_sgpr_count 6
		.amdhsa_user_sgpr_private_segment_buffer 1
		.amdhsa_user_sgpr_dispatch_ptr 0
		.amdhsa_user_sgpr_queue_ptr 0
		.amdhsa_user_sgpr_kernarg_segment_ptr 1
		.amdhsa_user_sgpr_dispatch_id 0
		.amdhsa_user_sgpr_flat_scratch_init 0
		.amdhsa_user_sgpr_private_segment_size 0
		.amdhsa_wavefront_size32 1
		.amdhsa_uses_dynamic_stack 0
		.amdhsa_system_sgpr_private_segment_wavefront_offset 0
		.amdhsa_system_sgpr_workgroup_id_x 1
		.amdhsa_system_sgpr_workgroup_id_y 0
		.amdhsa_system_sgpr_workgroup_id_z 0
		.amdhsa_system_sgpr_workgroup_info 0
		.amdhsa_system_vgpr_workitem_id 0
		.amdhsa_next_free_vgpr 48
		.amdhsa_next_free_sgpr 39
		.amdhsa_reserve_vcc 1
		.amdhsa_reserve_flat_scratch 1
		.amdhsa_float_round_mode_32 0
		.amdhsa_float_round_mode_16_64 0
		.amdhsa_float_denorm_mode_32 3
		.amdhsa_float_denorm_mode_16_64 3
		.amdhsa_dx10_clamp 1
		.amdhsa_ieee_mode 1
		.amdhsa_fp16_overflow 0
		.amdhsa_workgroup_processor_mode 1
		.amdhsa_memory_ordered 1
		.amdhsa_forward_progress 1
		.amdhsa_shared_vgpr_count 0
		.amdhsa_exception_fp_ieee_invalid_op 0
		.amdhsa_exception_fp_denorm_src 0
		.amdhsa_exception_fp_ieee_div_zero 0
		.amdhsa_exception_fp_ieee_overflow 0
		.amdhsa_exception_fp_ieee_underflow 0
		.amdhsa_exception_fp_ieee_inexact 0
		.amdhsa_exception_int_div_zero 0
	.end_amdhsa_kernel
	.section	.text._ZN7rocprim17ROCPRIM_400000_NS6detail17trampoline_kernelINS0_14default_configENS1_27scan_by_key_config_selectorIidEEZZNS1_16scan_by_key_implILNS1_25lookback_scan_determinismE0ELb0ES3_N6thrust23THRUST_200600_302600_NS6detail15normal_iteratorINS9_10device_ptrIiEEEENSB_INSC_IdEEEESG_dNS9_4plusIvEENS9_8equal_toIvEEdEE10hipError_tPvRmT2_T3_T4_T5_mT6_T7_P12ihipStream_tbENKUlT_T0_E_clISt17integral_constantIbLb0EES10_IbLb1EEEEDaSW_SX_EUlSW_E_NS1_11comp_targetILNS1_3genE8ELNS1_11target_archE1030ELNS1_3gpuE2ELNS1_3repE0EEENS1_30default_config_static_selectorELNS0_4arch9wavefront6targetE0EEEvT1_,"axG",@progbits,_ZN7rocprim17ROCPRIM_400000_NS6detail17trampoline_kernelINS0_14default_configENS1_27scan_by_key_config_selectorIidEEZZNS1_16scan_by_key_implILNS1_25lookback_scan_determinismE0ELb0ES3_N6thrust23THRUST_200600_302600_NS6detail15normal_iteratorINS9_10device_ptrIiEEEENSB_INSC_IdEEEESG_dNS9_4plusIvEENS9_8equal_toIvEEdEE10hipError_tPvRmT2_T3_T4_T5_mT6_T7_P12ihipStream_tbENKUlT_T0_E_clISt17integral_constantIbLb0EES10_IbLb1EEEEDaSW_SX_EUlSW_E_NS1_11comp_targetILNS1_3genE8ELNS1_11target_archE1030ELNS1_3gpuE2ELNS1_3repE0EEENS1_30default_config_static_selectorELNS0_4arch9wavefront6targetE0EEEvT1_,comdat
.Lfunc_end1126:
	.size	_ZN7rocprim17ROCPRIM_400000_NS6detail17trampoline_kernelINS0_14default_configENS1_27scan_by_key_config_selectorIidEEZZNS1_16scan_by_key_implILNS1_25lookback_scan_determinismE0ELb0ES3_N6thrust23THRUST_200600_302600_NS6detail15normal_iteratorINS9_10device_ptrIiEEEENSB_INSC_IdEEEESG_dNS9_4plusIvEENS9_8equal_toIvEEdEE10hipError_tPvRmT2_T3_T4_T5_mT6_T7_P12ihipStream_tbENKUlT_T0_E_clISt17integral_constantIbLb0EES10_IbLb1EEEEDaSW_SX_EUlSW_E_NS1_11comp_targetILNS1_3genE8ELNS1_11target_archE1030ELNS1_3gpuE2ELNS1_3repE0EEENS1_30default_config_static_selectorELNS0_4arch9wavefront6targetE0EEEvT1_, .Lfunc_end1126-_ZN7rocprim17ROCPRIM_400000_NS6detail17trampoline_kernelINS0_14default_configENS1_27scan_by_key_config_selectorIidEEZZNS1_16scan_by_key_implILNS1_25lookback_scan_determinismE0ELb0ES3_N6thrust23THRUST_200600_302600_NS6detail15normal_iteratorINS9_10device_ptrIiEEEENSB_INSC_IdEEEESG_dNS9_4plusIvEENS9_8equal_toIvEEdEE10hipError_tPvRmT2_T3_T4_T5_mT6_T7_P12ihipStream_tbENKUlT_T0_E_clISt17integral_constantIbLb0EES10_IbLb1EEEEDaSW_SX_EUlSW_E_NS1_11comp_targetILNS1_3genE8ELNS1_11target_archE1030ELNS1_3gpuE2ELNS1_3repE0EEENS1_30default_config_static_selectorELNS0_4arch9wavefront6targetE0EEEvT1_
                                        ; -- End function
	.set _ZN7rocprim17ROCPRIM_400000_NS6detail17trampoline_kernelINS0_14default_configENS1_27scan_by_key_config_selectorIidEEZZNS1_16scan_by_key_implILNS1_25lookback_scan_determinismE0ELb0ES3_N6thrust23THRUST_200600_302600_NS6detail15normal_iteratorINS9_10device_ptrIiEEEENSB_INSC_IdEEEESG_dNS9_4plusIvEENS9_8equal_toIvEEdEE10hipError_tPvRmT2_T3_T4_T5_mT6_T7_P12ihipStream_tbENKUlT_T0_E_clISt17integral_constantIbLb0EES10_IbLb1EEEEDaSW_SX_EUlSW_E_NS1_11comp_targetILNS1_3genE8ELNS1_11target_archE1030ELNS1_3gpuE2ELNS1_3repE0EEENS1_30default_config_static_selectorELNS0_4arch9wavefront6targetE0EEEvT1_.num_vgpr, 48
	.set _ZN7rocprim17ROCPRIM_400000_NS6detail17trampoline_kernelINS0_14default_configENS1_27scan_by_key_config_selectorIidEEZZNS1_16scan_by_key_implILNS1_25lookback_scan_determinismE0ELb0ES3_N6thrust23THRUST_200600_302600_NS6detail15normal_iteratorINS9_10device_ptrIiEEEENSB_INSC_IdEEEESG_dNS9_4plusIvEENS9_8equal_toIvEEdEE10hipError_tPvRmT2_T3_T4_T5_mT6_T7_P12ihipStream_tbENKUlT_T0_E_clISt17integral_constantIbLb0EES10_IbLb1EEEEDaSW_SX_EUlSW_E_NS1_11comp_targetILNS1_3genE8ELNS1_11target_archE1030ELNS1_3gpuE2ELNS1_3repE0EEENS1_30default_config_static_selectorELNS0_4arch9wavefront6targetE0EEEvT1_.num_agpr, 0
	.set _ZN7rocprim17ROCPRIM_400000_NS6detail17trampoline_kernelINS0_14default_configENS1_27scan_by_key_config_selectorIidEEZZNS1_16scan_by_key_implILNS1_25lookback_scan_determinismE0ELb0ES3_N6thrust23THRUST_200600_302600_NS6detail15normal_iteratorINS9_10device_ptrIiEEEENSB_INSC_IdEEEESG_dNS9_4plusIvEENS9_8equal_toIvEEdEE10hipError_tPvRmT2_T3_T4_T5_mT6_T7_P12ihipStream_tbENKUlT_T0_E_clISt17integral_constantIbLb0EES10_IbLb1EEEEDaSW_SX_EUlSW_E_NS1_11comp_targetILNS1_3genE8ELNS1_11target_archE1030ELNS1_3gpuE2ELNS1_3repE0EEENS1_30default_config_static_selectorELNS0_4arch9wavefront6targetE0EEEvT1_.numbered_sgpr, 39
	.set _ZN7rocprim17ROCPRIM_400000_NS6detail17trampoline_kernelINS0_14default_configENS1_27scan_by_key_config_selectorIidEEZZNS1_16scan_by_key_implILNS1_25lookback_scan_determinismE0ELb0ES3_N6thrust23THRUST_200600_302600_NS6detail15normal_iteratorINS9_10device_ptrIiEEEENSB_INSC_IdEEEESG_dNS9_4plusIvEENS9_8equal_toIvEEdEE10hipError_tPvRmT2_T3_T4_T5_mT6_T7_P12ihipStream_tbENKUlT_T0_E_clISt17integral_constantIbLb0EES10_IbLb1EEEEDaSW_SX_EUlSW_E_NS1_11comp_targetILNS1_3genE8ELNS1_11target_archE1030ELNS1_3gpuE2ELNS1_3repE0EEENS1_30default_config_static_selectorELNS0_4arch9wavefront6targetE0EEEvT1_.num_named_barrier, 0
	.set _ZN7rocprim17ROCPRIM_400000_NS6detail17trampoline_kernelINS0_14default_configENS1_27scan_by_key_config_selectorIidEEZZNS1_16scan_by_key_implILNS1_25lookback_scan_determinismE0ELb0ES3_N6thrust23THRUST_200600_302600_NS6detail15normal_iteratorINS9_10device_ptrIiEEEENSB_INSC_IdEEEESG_dNS9_4plusIvEENS9_8equal_toIvEEdEE10hipError_tPvRmT2_T3_T4_T5_mT6_T7_P12ihipStream_tbENKUlT_T0_E_clISt17integral_constantIbLb0EES10_IbLb1EEEEDaSW_SX_EUlSW_E_NS1_11comp_targetILNS1_3genE8ELNS1_11target_archE1030ELNS1_3gpuE2ELNS1_3repE0EEENS1_30default_config_static_selectorELNS0_4arch9wavefront6targetE0EEEvT1_.private_seg_size, 0
	.set _ZN7rocprim17ROCPRIM_400000_NS6detail17trampoline_kernelINS0_14default_configENS1_27scan_by_key_config_selectorIidEEZZNS1_16scan_by_key_implILNS1_25lookback_scan_determinismE0ELb0ES3_N6thrust23THRUST_200600_302600_NS6detail15normal_iteratorINS9_10device_ptrIiEEEENSB_INSC_IdEEEESG_dNS9_4plusIvEENS9_8equal_toIvEEdEE10hipError_tPvRmT2_T3_T4_T5_mT6_T7_P12ihipStream_tbENKUlT_T0_E_clISt17integral_constantIbLb0EES10_IbLb1EEEEDaSW_SX_EUlSW_E_NS1_11comp_targetILNS1_3genE8ELNS1_11target_archE1030ELNS1_3gpuE2ELNS1_3repE0EEENS1_30default_config_static_selectorELNS0_4arch9wavefront6targetE0EEEvT1_.uses_vcc, 1
	.set _ZN7rocprim17ROCPRIM_400000_NS6detail17trampoline_kernelINS0_14default_configENS1_27scan_by_key_config_selectorIidEEZZNS1_16scan_by_key_implILNS1_25lookback_scan_determinismE0ELb0ES3_N6thrust23THRUST_200600_302600_NS6detail15normal_iteratorINS9_10device_ptrIiEEEENSB_INSC_IdEEEESG_dNS9_4plusIvEENS9_8equal_toIvEEdEE10hipError_tPvRmT2_T3_T4_T5_mT6_T7_P12ihipStream_tbENKUlT_T0_E_clISt17integral_constantIbLb0EES10_IbLb1EEEEDaSW_SX_EUlSW_E_NS1_11comp_targetILNS1_3genE8ELNS1_11target_archE1030ELNS1_3gpuE2ELNS1_3repE0EEENS1_30default_config_static_selectorELNS0_4arch9wavefront6targetE0EEEvT1_.uses_flat_scratch, 1
	.set _ZN7rocprim17ROCPRIM_400000_NS6detail17trampoline_kernelINS0_14default_configENS1_27scan_by_key_config_selectorIidEEZZNS1_16scan_by_key_implILNS1_25lookback_scan_determinismE0ELb0ES3_N6thrust23THRUST_200600_302600_NS6detail15normal_iteratorINS9_10device_ptrIiEEEENSB_INSC_IdEEEESG_dNS9_4plusIvEENS9_8equal_toIvEEdEE10hipError_tPvRmT2_T3_T4_T5_mT6_T7_P12ihipStream_tbENKUlT_T0_E_clISt17integral_constantIbLb0EES10_IbLb1EEEEDaSW_SX_EUlSW_E_NS1_11comp_targetILNS1_3genE8ELNS1_11target_archE1030ELNS1_3gpuE2ELNS1_3repE0EEENS1_30default_config_static_selectorELNS0_4arch9wavefront6targetE0EEEvT1_.has_dyn_sized_stack, 0
	.set _ZN7rocprim17ROCPRIM_400000_NS6detail17trampoline_kernelINS0_14default_configENS1_27scan_by_key_config_selectorIidEEZZNS1_16scan_by_key_implILNS1_25lookback_scan_determinismE0ELb0ES3_N6thrust23THRUST_200600_302600_NS6detail15normal_iteratorINS9_10device_ptrIiEEEENSB_INSC_IdEEEESG_dNS9_4plusIvEENS9_8equal_toIvEEdEE10hipError_tPvRmT2_T3_T4_T5_mT6_T7_P12ihipStream_tbENKUlT_T0_E_clISt17integral_constantIbLb0EES10_IbLb1EEEEDaSW_SX_EUlSW_E_NS1_11comp_targetILNS1_3genE8ELNS1_11target_archE1030ELNS1_3gpuE2ELNS1_3repE0EEENS1_30default_config_static_selectorELNS0_4arch9wavefront6targetE0EEEvT1_.has_recursion, 0
	.set _ZN7rocprim17ROCPRIM_400000_NS6detail17trampoline_kernelINS0_14default_configENS1_27scan_by_key_config_selectorIidEEZZNS1_16scan_by_key_implILNS1_25lookback_scan_determinismE0ELb0ES3_N6thrust23THRUST_200600_302600_NS6detail15normal_iteratorINS9_10device_ptrIiEEEENSB_INSC_IdEEEESG_dNS9_4plusIvEENS9_8equal_toIvEEdEE10hipError_tPvRmT2_T3_T4_T5_mT6_T7_P12ihipStream_tbENKUlT_T0_E_clISt17integral_constantIbLb0EES10_IbLb1EEEEDaSW_SX_EUlSW_E_NS1_11comp_targetILNS1_3genE8ELNS1_11target_archE1030ELNS1_3gpuE2ELNS1_3repE0EEENS1_30default_config_static_selectorELNS0_4arch9wavefront6targetE0EEEvT1_.has_indirect_call, 0
	.section	.AMDGPU.csdata,"",@progbits
; Kernel info:
; codeLenInByte = 7416
; TotalNumSgprs: 41
; NumVgprs: 48
; ScratchSize: 0
; MemoryBound: 0
; FloatMode: 240
; IeeeMode: 1
; LDSByteSize: 6144 bytes/workgroup (compile time only)
; SGPRBlocks: 0
; VGPRBlocks: 5
; NumSGPRsForWavesPerEU: 41
; NumVGPRsForWavesPerEU: 48
; Occupancy: 16
; WaveLimiterHint : 1
; COMPUTE_PGM_RSRC2:SCRATCH_EN: 0
; COMPUTE_PGM_RSRC2:USER_SGPR: 6
; COMPUTE_PGM_RSRC2:TRAP_HANDLER: 0
; COMPUTE_PGM_RSRC2:TGID_X_EN: 1
; COMPUTE_PGM_RSRC2:TGID_Y_EN: 0
; COMPUTE_PGM_RSRC2:TGID_Z_EN: 0
; COMPUTE_PGM_RSRC2:TIDIG_COMP_CNT: 0
	.section	.text._ZN6thrust23THRUST_200600_302600_NS11hip_rocprim14__parallel_for6kernelILj256ENS1_11__transform17unary_transform_fINS0_7pointerIiNS1_3tagENS0_11use_defaultES8_EENS0_10device_ptrIfEENS4_14no_stencil_tagENS0_8identityIiEENS4_21always_true_predicateEEElLj1EEEvT0_T1_SI_,"axG",@progbits,_ZN6thrust23THRUST_200600_302600_NS11hip_rocprim14__parallel_for6kernelILj256ENS1_11__transform17unary_transform_fINS0_7pointerIiNS1_3tagENS0_11use_defaultES8_EENS0_10device_ptrIfEENS4_14no_stencil_tagENS0_8identityIiEENS4_21always_true_predicateEEElLj1EEEvT0_T1_SI_,comdat
	.protected	_ZN6thrust23THRUST_200600_302600_NS11hip_rocprim14__parallel_for6kernelILj256ENS1_11__transform17unary_transform_fINS0_7pointerIiNS1_3tagENS0_11use_defaultES8_EENS0_10device_ptrIfEENS4_14no_stencil_tagENS0_8identityIiEENS4_21always_true_predicateEEElLj1EEEvT0_T1_SI_ ; -- Begin function _ZN6thrust23THRUST_200600_302600_NS11hip_rocprim14__parallel_for6kernelILj256ENS1_11__transform17unary_transform_fINS0_7pointerIiNS1_3tagENS0_11use_defaultES8_EENS0_10device_ptrIfEENS4_14no_stencil_tagENS0_8identityIiEENS4_21always_true_predicateEEElLj1EEEvT0_T1_SI_
	.globl	_ZN6thrust23THRUST_200600_302600_NS11hip_rocprim14__parallel_for6kernelILj256ENS1_11__transform17unary_transform_fINS0_7pointerIiNS1_3tagENS0_11use_defaultES8_EENS0_10device_ptrIfEENS4_14no_stencil_tagENS0_8identityIiEENS4_21always_true_predicateEEElLj1EEEvT0_T1_SI_
	.p2align	8
	.type	_ZN6thrust23THRUST_200600_302600_NS11hip_rocprim14__parallel_for6kernelILj256ENS1_11__transform17unary_transform_fINS0_7pointerIiNS1_3tagENS0_11use_defaultES8_EENS0_10device_ptrIfEENS4_14no_stencil_tagENS0_8identityIiEENS4_21always_true_predicateEEElLj1EEEvT0_T1_SI_,@function
_ZN6thrust23THRUST_200600_302600_NS11hip_rocprim14__parallel_for6kernelILj256ENS1_11__transform17unary_transform_fINS0_7pointerIiNS1_3tagENS0_11use_defaultES8_EENS0_10device_ptrIfEENS4_14no_stencil_tagENS0_8identityIiEENS4_21always_true_predicateEEElLj1EEEvT0_T1_SI_: ; @_ZN6thrust23THRUST_200600_302600_NS11hip_rocprim14__parallel_for6kernelILj256ENS1_11__transform17unary_transform_fINS0_7pointerIiNS1_3tagENS0_11use_defaultES8_EENS0_10device_ptrIfEENS4_14no_stencil_tagENS0_8identityIiEENS4_21always_true_predicateEEElLj1EEEvT0_T1_SI_
; %bb.0:
	s_clause 0x1
	s_load_dwordx4 s[8:11], s[4:5], 0x18
	s_load_dwordx4 s[0:3], s[4:5], 0x0
	s_lshl_b32 s4, s6, 8
	s_waitcnt lgkmcnt(0)
	s_add_u32 s4, s10, s4
	s_addc_u32 s5, s11, 0
	s_sub_u32 s6, s8, s4
	s_subb_u32 s7, s9, s5
	v_cmp_gt_i64_e64 s7, 0x100, s[6:7]
	s_and_b32 s7, s7, exec_lo
	s_cselect_b32 s7, s6, 0x100
	s_mov_b32 s6, -1
	s_cmpk_eq_i32 s7, 0x100
	s_cbranch_scc0 .LBB1127_3
; %bb.1:
	s_andn2_b32 vcc_lo, exec_lo, s6
	s_cbranch_vccz .LBB1127_6
.LBB1127_2:
	s_endpgm
.LBB1127_3:
	s_mov_b32 s6, exec_lo
	v_cmpx_gt_u32_e64 s7, v0
	s_cbranch_execz .LBB1127_5
; %bb.4:
	v_add_co_u32 v1, s7, s4, v0
	v_add_co_ci_u32_e64 v2, null, s5, 0, s7
	v_lshlrev_b64 v[1:2], 2, v[1:2]
	v_add_co_u32 v3, vcc_lo, s0, v1
	v_add_co_ci_u32_e64 v4, null, s1, v2, vcc_lo
	v_add_co_u32 v1, vcc_lo, s2, v1
	v_add_co_ci_u32_e64 v2, null, s3, v2, vcc_lo
	flat_load_dword v3, v[3:4]
	s_waitcnt vmcnt(0) lgkmcnt(0)
	v_cvt_f32_i32_e32 v3, v3
	flat_store_dword v[1:2], v3
.LBB1127_5:
	s_or_b32 exec_lo, exec_lo, s6
	s_cbranch_execnz .LBB1127_2
.LBB1127_6:
	v_add_co_u32 v0, s4, s4, v0
	v_add_co_ci_u32_e64 v1, null, s5, 0, s4
	v_lshlrev_b64 v[0:1], 2, v[0:1]
	v_add_co_u32 v2, vcc_lo, s0, v0
	v_add_co_ci_u32_e64 v3, null, s1, v1, vcc_lo
	v_add_co_u32 v0, vcc_lo, s2, v0
	v_add_co_ci_u32_e64 v1, null, s3, v1, vcc_lo
	flat_load_dword v2, v[2:3]
	s_waitcnt vmcnt(0) lgkmcnt(0)
	v_cvt_f32_i32_e32 v2, v2
	flat_store_dword v[0:1], v2
	s_endpgm
	.section	.rodata,"a",@progbits
	.p2align	6, 0x0
	.amdhsa_kernel _ZN6thrust23THRUST_200600_302600_NS11hip_rocprim14__parallel_for6kernelILj256ENS1_11__transform17unary_transform_fINS0_7pointerIiNS1_3tagENS0_11use_defaultES8_EENS0_10device_ptrIfEENS4_14no_stencil_tagENS0_8identityIiEENS4_21always_true_predicateEEElLj1EEEvT0_T1_SI_
		.amdhsa_group_segment_fixed_size 0
		.amdhsa_private_segment_fixed_size 0
		.amdhsa_kernarg_size 40
		.amdhsa_user_sgpr_count 6
		.amdhsa_user_sgpr_private_segment_buffer 1
		.amdhsa_user_sgpr_dispatch_ptr 0
		.amdhsa_user_sgpr_queue_ptr 0
		.amdhsa_user_sgpr_kernarg_segment_ptr 1
		.amdhsa_user_sgpr_dispatch_id 0
		.amdhsa_user_sgpr_flat_scratch_init 0
		.amdhsa_user_sgpr_private_segment_size 0
		.amdhsa_wavefront_size32 1
		.amdhsa_uses_dynamic_stack 0
		.amdhsa_system_sgpr_private_segment_wavefront_offset 0
		.amdhsa_system_sgpr_workgroup_id_x 1
		.amdhsa_system_sgpr_workgroup_id_y 0
		.amdhsa_system_sgpr_workgroup_id_z 0
		.amdhsa_system_sgpr_workgroup_info 0
		.amdhsa_system_vgpr_workitem_id 0
		.amdhsa_next_free_vgpr 5
		.amdhsa_next_free_sgpr 12
		.amdhsa_reserve_vcc 1
		.amdhsa_reserve_flat_scratch 0
		.amdhsa_float_round_mode_32 0
		.amdhsa_float_round_mode_16_64 0
		.amdhsa_float_denorm_mode_32 3
		.amdhsa_float_denorm_mode_16_64 3
		.amdhsa_dx10_clamp 1
		.amdhsa_ieee_mode 1
		.amdhsa_fp16_overflow 0
		.amdhsa_workgroup_processor_mode 1
		.amdhsa_memory_ordered 1
		.amdhsa_forward_progress 1
		.amdhsa_shared_vgpr_count 0
		.amdhsa_exception_fp_ieee_invalid_op 0
		.amdhsa_exception_fp_denorm_src 0
		.amdhsa_exception_fp_ieee_div_zero 0
		.amdhsa_exception_fp_ieee_overflow 0
		.amdhsa_exception_fp_ieee_underflow 0
		.amdhsa_exception_fp_ieee_inexact 0
		.amdhsa_exception_int_div_zero 0
	.end_amdhsa_kernel
	.section	.text._ZN6thrust23THRUST_200600_302600_NS11hip_rocprim14__parallel_for6kernelILj256ENS1_11__transform17unary_transform_fINS0_7pointerIiNS1_3tagENS0_11use_defaultES8_EENS0_10device_ptrIfEENS4_14no_stencil_tagENS0_8identityIiEENS4_21always_true_predicateEEElLj1EEEvT0_T1_SI_,"axG",@progbits,_ZN6thrust23THRUST_200600_302600_NS11hip_rocprim14__parallel_for6kernelILj256ENS1_11__transform17unary_transform_fINS0_7pointerIiNS1_3tagENS0_11use_defaultES8_EENS0_10device_ptrIfEENS4_14no_stencil_tagENS0_8identityIiEENS4_21always_true_predicateEEElLj1EEEvT0_T1_SI_,comdat
.Lfunc_end1127:
	.size	_ZN6thrust23THRUST_200600_302600_NS11hip_rocprim14__parallel_for6kernelILj256ENS1_11__transform17unary_transform_fINS0_7pointerIiNS1_3tagENS0_11use_defaultES8_EENS0_10device_ptrIfEENS4_14no_stencil_tagENS0_8identityIiEENS4_21always_true_predicateEEElLj1EEEvT0_T1_SI_, .Lfunc_end1127-_ZN6thrust23THRUST_200600_302600_NS11hip_rocprim14__parallel_for6kernelILj256ENS1_11__transform17unary_transform_fINS0_7pointerIiNS1_3tagENS0_11use_defaultES8_EENS0_10device_ptrIfEENS4_14no_stencil_tagENS0_8identityIiEENS4_21always_true_predicateEEElLj1EEEvT0_T1_SI_
                                        ; -- End function
	.set _ZN6thrust23THRUST_200600_302600_NS11hip_rocprim14__parallel_for6kernelILj256ENS1_11__transform17unary_transform_fINS0_7pointerIiNS1_3tagENS0_11use_defaultES8_EENS0_10device_ptrIfEENS4_14no_stencil_tagENS0_8identityIiEENS4_21always_true_predicateEEElLj1EEEvT0_T1_SI_.num_vgpr, 5
	.set _ZN6thrust23THRUST_200600_302600_NS11hip_rocprim14__parallel_for6kernelILj256ENS1_11__transform17unary_transform_fINS0_7pointerIiNS1_3tagENS0_11use_defaultES8_EENS0_10device_ptrIfEENS4_14no_stencil_tagENS0_8identityIiEENS4_21always_true_predicateEEElLj1EEEvT0_T1_SI_.num_agpr, 0
	.set _ZN6thrust23THRUST_200600_302600_NS11hip_rocprim14__parallel_for6kernelILj256ENS1_11__transform17unary_transform_fINS0_7pointerIiNS1_3tagENS0_11use_defaultES8_EENS0_10device_ptrIfEENS4_14no_stencil_tagENS0_8identityIiEENS4_21always_true_predicateEEElLj1EEEvT0_T1_SI_.numbered_sgpr, 12
	.set _ZN6thrust23THRUST_200600_302600_NS11hip_rocprim14__parallel_for6kernelILj256ENS1_11__transform17unary_transform_fINS0_7pointerIiNS1_3tagENS0_11use_defaultES8_EENS0_10device_ptrIfEENS4_14no_stencil_tagENS0_8identityIiEENS4_21always_true_predicateEEElLj1EEEvT0_T1_SI_.num_named_barrier, 0
	.set _ZN6thrust23THRUST_200600_302600_NS11hip_rocprim14__parallel_for6kernelILj256ENS1_11__transform17unary_transform_fINS0_7pointerIiNS1_3tagENS0_11use_defaultES8_EENS0_10device_ptrIfEENS4_14no_stencil_tagENS0_8identityIiEENS4_21always_true_predicateEEElLj1EEEvT0_T1_SI_.private_seg_size, 0
	.set _ZN6thrust23THRUST_200600_302600_NS11hip_rocprim14__parallel_for6kernelILj256ENS1_11__transform17unary_transform_fINS0_7pointerIiNS1_3tagENS0_11use_defaultES8_EENS0_10device_ptrIfEENS4_14no_stencil_tagENS0_8identityIiEENS4_21always_true_predicateEEElLj1EEEvT0_T1_SI_.uses_vcc, 1
	.set _ZN6thrust23THRUST_200600_302600_NS11hip_rocprim14__parallel_for6kernelILj256ENS1_11__transform17unary_transform_fINS0_7pointerIiNS1_3tagENS0_11use_defaultES8_EENS0_10device_ptrIfEENS4_14no_stencil_tagENS0_8identityIiEENS4_21always_true_predicateEEElLj1EEEvT0_T1_SI_.uses_flat_scratch, 0
	.set _ZN6thrust23THRUST_200600_302600_NS11hip_rocprim14__parallel_for6kernelILj256ENS1_11__transform17unary_transform_fINS0_7pointerIiNS1_3tagENS0_11use_defaultES8_EENS0_10device_ptrIfEENS4_14no_stencil_tagENS0_8identityIiEENS4_21always_true_predicateEEElLj1EEEvT0_T1_SI_.has_dyn_sized_stack, 0
	.set _ZN6thrust23THRUST_200600_302600_NS11hip_rocprim14__parallel_for6kernelILj256ENS1_11__transform17unary_transform_fINS0_7pointerIiNS1_3tagENS0_11use_defaultES8_EENS0_10device_ptrIfEENS4_14no_stencil_tagENS0_8identityIiEENS4_21always_true_predicateEEElLj1EEEvT0_T1_SI_.has_recursion, 0
	.set _ZN6thrust23THRUST_200600_302600_NS11hip_rocprim14__parallel_for6kernelILj256ENS1_11__transform17unary_transform_fINS0_7pointerIiNS1_3tagENS0_11use_defaultES8_EENS0_10device_ptrIfEENS4_14no_stencil_tagENS0_8identityIiEENS4_21always_true_predicateEEElLj1EEEvT0_T1_SI_.has_indirect_call, 0
	.section	.AMDGPU.csdata,"",@progbits
; Kernel info:
; codeLenInByte = 280
; TotalNumSgprs: 14
; NumVgprs: 5
; ScratchSize: 0
; MemoryBound: 0
; FloatMode: 240
; IeeeMode: 1
; LDSByteSize: 0 bytes/workgroup (compile time only)
; SGPRBlocks: 0
; VGPRBlocks: 0
; NumSGPRsForWavesPerEU: 14
; NumVGPRsForWavesPerEU: 5
; Occupancy: 16
; WaveLimiterHint : 0
; COMPUTE_PGM_RSRC2:SCRATCH_EN: 0
; COMPUTE_PGM_RSRC2:USER_SGPR: 6
; COMPUTE_PGM_RSRC2:TRAP_HANDLER: 0
; COMPUTE_PGM_RSRC2:TGID_X_EN: 1
; COMPUTE_PGM_RSRC2:TGID_Y_EN: 0
; COMPUTE_PGM_RSRC2:TGID_Z_EN: 0
; COMPUTE_PGM_RSRC2:TIDIG_COMP_CNT: 0
	.section	.text._ZN7rocprim17ROCPRIM_400000_NS6detail30init_device_scan_by_key_kernelINS1_19lookback_scan_stateINS0_5tupleIJfbEEELb0ELb1EEEN6thrust23THRUST_200600_302600_NS6detail15normal_iteratorINS8_10device_ptrIiEEEEjNS1_16block_id_wrapperIjLb0EEEEEvT_jjPNSG_10value_typeET0_PNSt15iterator_traitsISJ_E10value_typeEmT1_T2_,"axG",@progbits,_ZN7rocprim17ROCPRIM_400000_NS6detail30init_device_scan_by_key_kernelINS1_19lookback_scan_stateINS0_5tupleIJfbEEELb0ELb1EEEN6thrust23THRUST_200600_302600_NS6detail15normal_iteratorINS8_10device_ptrIiEEEEjNS1_16block_id_wrapperIjLb0EEEEEvT_jjPNSG_10value_typeET0_PNSt15iterator_traitsISJ_E10value_typeEmT1_T2_,comdat
	.protected	_ZN7rocprim17ROCPRIM_400000_NS6detail30init_device_scan_by_key_kernelINS1_19lookback_scan_stateINS0_5tupleIJfbEEELb0ELb1EEEN6thrust23THRUST_200600_302600_NS6detail15normal_iteratorINS8_10device_ptrIiEEEEjNS1_16block_id_wrapperIjLb0EEEEEvT_jjPNSG_10value_typeET0_PNSt15iterator_traitsISJ_E10value_typeEmT1_T2_ ; -- Begin function _ZN7rocprim17ROCPRIM_400000_NS6detail30init_device_scan_by_key_kernelINS1_19lookback_scan_stateINS0_5tupleIJfbEEELb0ELb1EEEN6thrust23THRUST_200600_302600_NS6detail15normal_iteratorINS8_10device_ptrIiEEEEjNS1_16block_id_wrapperIjLb0EEEEEvT_jjPNSG_10value_typeET0_PNSt15iterator_traitsISJ_E10value_typeEmT1_T2_
	.globl	_ZN7rocprim17ROCPRIM_400000_NS6detail30init_device_scan_by_key_kernelINS1_19lookback_scan_stateINS0_5tupleIJfbEEELb0ELb1EEEN6thrust23THRUST_200600_302600_NS6detail15normal_iteratorINS8_10device_ptrIiEEEEjNS1_16block_id_wrapperIjLb0EEEEEvT_jjPNSG_10value_typeET0_PNSt15iterator_traitsISJ_E10value_typeEmT1_T2_
	.p2align	8
	.type	_ZN7rocprim17ROCPRIM_400000_NS6detail30init_device_scan_by_key_kernelINS1_19lookback_scan_stateINS0_5tupleIJfbEEELb0ELb1EEEN6thrust23THRUST_200600_302600_NS6detail15normal_iteratorINS8_10device_ptrIiEEEEjNS1_16block_id_wrapperIjLb0EEEEEvT_jjPNSG_10value_typeET0_PNSt15iterator_traitsISJ_E10value_typeEmT1_T2_,@function
_ZN7rocprim17ROCPRIM_400000_NS6detail30init_device_scan_by_key_kernelINS1_19lookback_scan_stateINS0_5tupleIJfbEEELb0ELb1EEEN6thrust23THRUST_200600_302600_NS6detail15normal_iteratorINS8_10device_ptrIiEEEEjNS1_16block_id_wrapperIjLb0EEEEEvT_jjPNSG_10value_typeET0_PNSt15iterator_traitsISJ_E10value_typeEmT1_T2_: ; @_ZN7rocprim17ROCPRIM_400000_NS6detail30init_device_scan_by_key_kernelINS1_19lookback_scan_stateINS0_5tupleIJfbEEELb0ELb1EEEN6thrust23THRUST_200600_302600_NS6detail15normal_iteratorINS8_10device_ptrIiEEEEjNS1_16block_id_wrapperIjLb0EEEEEvT_jjPNSG_10value_typeET0_PNSt15iterator_traitsISJ_E10value_typeEmT1_T2_
; %bb.0:
	s_clause 0x2
	s_load_dword s0, s[4:5], 0x44
	s_load_dwordx8 s[8:15], s[4:5], 0x0
	s_load_dword s7, s[4:5], 0x38
	s_waitcnt lgkmcnt(0)
	s_and_b32 s16, s0, 0xffff
	s_cmp_eq_u64 s[12:13], 0
	v_mad_u64_u32 v[4:5], null, s6, s16, v[0:1]
	s_cbranch_scc1 .LBB1128_8
; %bb.1:
	s_cmp_lt_u32 s11, s10
	s_mov_b32 s1, 0
	s_cselect_b32 s0, s11, 0
	s_mov_b32 s2, exec_lo
	v_cmpx_eq_u32_e64 s0, v4
	s_cbranch_execz .LBB1128_7
; %bb.2:
	s_add_i32 s0, s11, 32
	v_mov_b32_e32 v6, 0
	s_lshl_b64 s[0:1], s[0:1], 4
	s_mov_b32 s3, exec_lo
	s_add_u32 s0, s8, s0
	s_addc_u32 s1, s9, s1
	v_mov_b32_e32 v0, s0
	v_mov_b32_e32 v1, s1
	;;#ASMSTART
	global_load_dwordx4 v[0:3], v[0:1] off glc dlc	
s_waitcnt vmcnt(0)
	;;#ASMEND
	v_and_b32_e32 v5, 0xff, v2
	v_cmpx_eq_u64_e32 0, v[5:6]
	s_cbranch_execz .LBB1128_6
; %bb.3:
	v_mov_b32_e32 v8, s1
	v_mov_b32_e32 v7, s0
	s_mov_b32 s0, 0
.LBB1128_4:                             ; =>This Inner Loop Header: Depth=1
	;;#ASMSTART
	global_load_dwordx4 v[0:3], v[7:8] off glc dlc	
s_waitcnt vmcnt(0)
	;;#ASMEND
	v_and_b32_e32 v5, 0xff, v2
	v_cmp_ne_u64_e32 vcc_lo, 0, v[5:6]
	s_or_b32 s0, vcc_lo, s0
	s_andn2_b32 exec_lo, exec_lo, s0
	s_cbranch_execnz .LBB1128_4
; %bb.5:
	s_or_b32 exec_lo, exec_lo, s0
.LBB1128_6:
	s_or_b32 exec_lo, exec_lo, s3
	v_mov_b32_e32 v2, 0
	global_store_dword v2, v0, s[12:13]
	global_store_byte v2, v1, s[12:13] offset:4
.LBB1128_7:
	s_or_b32 exec_lo, exec_lo, s2
.LBB1128_8:
	s_mov_b32 s0, exec_lo
	v_cmpx_gt_u32_e64 s10, v4
	s_cbranch_execz .LBB1128_10
; %bb.9:
	v_add_nc_u32_e32 v0, 32, v4
	v_mov_b32_e32 v1, 0
	v_lshlrev_b64 v[5:6], 4, v[0:1]
	v_mov_b32_e32 v0, v1
	v_mov_b32_e32 v2, v1
	;; [unrolled: 1-line block ×3, first 2 shown]
	v_add_co_u32 v5, vcc_lo, s8, v5
	v_add_co_ci_u32_e64 v6, null, s9, v6, vcc_lo
	global_store_dwordx4 v[5:6], v[0:3], off
.LBB1128_10:
	s_or_b32 exec_lo, exec_lo, s0
	v_mov_b32_e32 v5, 0
	s_mov_b32 s0, exec_lo
	v_cmpx_gt_u32_e32 32, v4
	s_cbranch_execz .LBB1128_12
; %bb.11:
	v_lshlrev_b64 v[6:7], 4, v[4:5]
	v_mov_b32_e32 v2, 0xff
	v_mov_b32_e32 v0, v5
	;; [unrolled: 1-line block ×4, first 2 shown]
	v_add_co_u32 v6, vcc_lo, s8, v6
	v_add_co_ci_u32_e64 v7, null, s9, v7, vcc_lo
	global_store_dwordx4 v[6:7], v[0:3], off
.LBB1128_12:
	s_or_b32 exec_lo, exec_lo, s0
	s_load_dwordx2 s[2:3], s[4:5], 0x28
	s_mov_b32 s0, exec_lo
	s_waitcnt lgkmcnt(0)
	v_cmpx_gt_u64_e64 s[2:3], v[4:5]
	s_cbranch_execz .LBB1128_15
; %bb.13:
	s_clause 0x1
	s_load_dword s6, s[4:5], 0x30
	s_load_dwordx2 s[8:9], s[4:5], 0x20
	s_mov_b32 s1, 0
	v_lshlrev_b64 v[2:3], 2, v[4:5]
	s_mul_i32 s4, s7, s16
	s_waitcnt lgkmcnt(0)
	v_mad_u64_u32 v[0:1], null, s6, v4, 0
	s_add_i32 s0, s6, -1
	s_mul_hi_u32 s7, s6, s4
	s_lshl_b64 s[10:11], s[0:1], 2
	s_mul_i32 s6, s6, s4
	s_add_u32 s0, s14, s10
	s_addc_u32 s5, s15, s11
	v_lshlrev_b64 v[0:1], 2, v[0:1]
	s_lshl_b64 s[6:7], s[6:7], 2
	v_add_co_u32 v0, vcc_lo, s0, v0
	v_add_co_ci_u32_e64 v1, null, s5, v1, vcc_lo
	v_add_co_u32 v2, vcc_lo, s8, v2
	v_add_co_ci_u32_e64 v3, null, s9, v3, vcc_lo
	s_mov_b32 s5, s1
	s_lshl_b64 s[8:9], s[4:5], 2
	.p2align	6
.LBB1128_14:                            ; =>This Inner Loop Header: Depth=1
	global_load_dword v6, v[0:1], off
	v_add_co_u32 v4, vcc_lo, v4, s4
	v_add_co_ci_u32_e64 v5, null, 0, v5, vcc_lo
	v_add_co_u32 v0, vcc_lo, v0, s6
	v_add_co_ci_u32_e64 v1, null, s7, v1, vcc_lo
	v_cmp_le_u64_e32 vcc_lo, s[2:3], v[4:5]
	s_or_b32 s1, vcc_lo, s1
	s_waitcnt vmcnt(0)
	global_store_dword v[2:3], v6, off
	v_add_co_u32 v2, s0, v2, s8
	v_add_co_ci_u32_e64 v3, null, s9, v3, s0
	s_andn2_b32 exec_lo, exec_lo, s1
	s_cbranch_execnz .LBB1128_14
.LBB1128_15:
	s_endpgm
	.section	.rodata,"a",@progbits
	.p2align	6, 0x0
	.amdhsa_kernel _ZN7rocprim17ROCPRIM_400000_NS6detail30init_device_scan_by_key_kernelINS1_19lookback_scan_stateINS0_5tupleIJfbEEELb0ELb1EEEN6thrust23THRUST_200600_302600_NS6detail15normal_iteratorINS8_10device_ptrIiEEEEjNS1_16block_id_wrapperIjLb0EEEEEvT_jjPNSG_10value_typeET0_PNSt15iterator_traitsISJ_E10value_typeEmT1_T2_
		.amdhsa_group_segment_fixed_size 0
		.amdhsa_private_segment_fixed_size 0
		.amdhsa_kernarg_size 312
		.amdhsa_user_sgpr_count 6
		.amdhsa_user_sgpr_private_segment_buffer 1
		.amdhsa_user_sgpr_dispatch_ptr 0
		.amdhsa_user_sgpr_queue_ptr 0
		.amdhsa_user_sgpr_kernarg_segment_ptr 1
		.amdhsa_user_sgpr_dispatch_id 0
		.amdhsa_user_sgpr_flat_scratch_init 0
		.amdhsa_user_sgpr_private_segment_size 0
		.amdhsa_wavefront_size32 1
		.amdhsa_uses_dynamic_stack 0
		.amdhsa_system_sgpr_private_segment_wavefront_offset 0
		.amdhsa_system_sgpr_workgroup_id_x 1
		.amdhsa_system_sgpr_workgroup_id_y 0
		.amdhsa_system_sgpr_workgroup_id_z 0
		.amdhsa_system_sgpr_workgroup_info 0
		.amdhsa_system_vgpr_workitem_id 0
		.amdhsa_next_free_vgpr 9
		.amdhsa_next_free_sgpr 17
		.amdhsa_reserve_vcc 1
		.amdhsa_reserve_flat_scratch 0
		.amdhsa_float_round_mode_32 0
		.amdhsa_float_round_mode_16_64 0
		.amdhsa_float_denorm_mode_32 3
		.amdhsa_float_denorm_mode_16_64 3
		.amdhsa_dx10_clamp 1
		.amdhsa_ieee_mode 1
		.amdhsa_fp16_overflow 0
		.amdhsa_workgroup_processor_mode 1
		.amdhsa_memory_ordered 1
		.amdhsa_forward_progress 1
		.amdhsa_shared_vgpr_count 0
		.amdhsa_exception_fp_ieee_invalid_op 0
		.amdhsa_exception_fp_denorm_src 0
		.amdhsa_exception_fp_ieee_div_zero 0
		.amdhsa_exception_fp_ieee_overflow 0
		.amdhsa_exception_fp_ieee_underflow 0
		.amdhsa_exception_fp_ieee_inexact 0
		.amdhsa_exception_int_div_zero 0
	.end_amdhsa_kernel
	.section	.text._ZN7rocprim17ROCPRIM_400000_NS6detail30init_device_scan_by_key_kernelINS1_19lookback_scan_stateINS0_5tupleIJfbEEELb0ELb1EEEN6thrust23THRUST_200600_302600_NS6detail15normal_iteratorINS8_10device_ptrIiEEEEjNS1_16block_id_wrapperIjLb0EEEEEvT_jjPNSG_10value_typeET0_PNSt15iterator_traitsISJ_E10value_typeEmT1_T2_,"axG",@progbits,_ZN7rocprim17ROCPRIM_400000_NS6detail30init_device_scan_by_key_kernelINS1_19lookback_scan_stateINS0_5tupleIJfbEEELb0ELb1EEEN6thrust23THRUST_200600_302600_NS6detail15normal_iteratorINS8_10device_ptrIiEEEEjNS1_16block_id_wrapperIjLb0EEEEEvT_jjPNSG_10value_typeET0_PNSt15iterator_traitsISJ_E10value_typeEmT1_T2_,comdat
.Lfunc_end1128:
	.size	_ZN7rocprim17ROCPRIM_400000_NS6detail30init_device_scan_by_key_kernelINS1_19lookback_scan_stateINS0_5tupleIJfbEEELb0ELb1EEEN6thrust23THRUST_200600_302600_NS6detail15normal_iteratorINS8_10device_ptrIiEEEEjNS1_16block_id_wrapperIjLb0EEEEEvT_jjPNSG_10value_typeET0_PNSt15iterator_traitsISJ_E10value_typeEmT1_T2_, .Lfunc_end1128-_ZN7rocprim17ROCPRIM_400000_NS6detail30init_device_scan_by_key_kernelINS1_19lookback_scan_stateINS0_5tupleIJfbEEELb0ELb1EEEN6thrust23THRUST_200600_302600_NS6detail15normal_iteratorINS8_10device_ptrIiEEEEjNS1_16block_id_wrapperIjLb0EEEEEvT_jjPNSG_10value_typeET0_PNSt15iterator_traitsISJ_E10value_typeEmT1_T2_
                                        ; -- End function
	.set _ZN7rocprim17ROCPRIM_400000_NS6detail30init_device_scan_by_key_kernelINS1_19lookback_scan_stateINS0_5tupleIJfbEEELb0ELb1EEEN6thrust23THRUST_200600_302600_NS6detail15normal_iteratorINS8_10device_ptrIiEEEEjNS1_16block_id_wrapperIjLb0EEEEEvT_jjPNSG_10value_typeET0_PNSt15iterator_traitsISJ_E10value_typeEmT1_T2_.num_vgpr, 9
	.set _ZN7rocprim17ROCPRIM_400000_NS6detail30init_device_scan_by_key_kernelINS1_19lookback_scan_stateINS0_5tupleIJfbEEELb0ELb1EEEN6thrust23THRUST_200600_302600_NS6detail15normal_iteratorINS8_10device_ptrIiEEEEjNS1_16block_id_wrapperIjLb0EEEEEvT_jjPNSG_10value_typeET0_PNSt15iterator_traitsISJ_E10value_typeEmT1_T2_.num_agpr, 0
	.set _ZN7rocprim17ROCPRIM_400000_NS6detail30init_device_scan_by_key_kernelINS1_19lookback_scan_stateINS0_5tupleIJfbEEELb0ELb1EEEN6thrust23THRUST_200600_302600_NS6detail15normal_iteratorINS8_10device_ptrIiEEEEjNS1_16block_id_wrapperIjLb0EEEEEvT_jjPNSG_10value_typeET0_PNSt15iterator_traitsISJ_E10value_typeEmT1_T2_.numbered_sgpr, 17
	.set _ZN7rocprim17ROCPRIM_400000_NS6detail30init_device_scan_by_key_kernelINS1_19lookback_scan_stateINS0_5tupleIJfbEEELb0ELb1EEEN6thrust23THRUST_200600_302600_NS6detail15normal_iteratorINS8_10device_ptrIiEEEEjNS1_16block_id_wrapperIjLb0EEEEEvT_jjPNSG_10value_typeET0_PNSt15iterator_traitsISJ_E10value_typeEmT1_T2_.num_named_barrier, 0
	.set _ZN7rocprim17ROCPRIM_400000_NS6detail30init_device_scan_by_key_kernelINS1_19lookback_scan_stateINS0_5tupleIJfbEEELb0ELb1EEEN6thrust23THRUST_200600_302600_NS6detail15normal_iteratorINS8_10device_ptrIiEEEEjNS1_16block_id_wrapperIjLb0EEEEEvT_jjPNSG_10value_typeET0_PNSt15iterator_traitsISJ_E10value_typeEmT1_T2_.private_seg_size, 0
	.set _ZN7rocprim17ROCPRIM_400000_NS6detail30init_device_scan_by_key_kernelINS1_19lookback_scan_stateINS0_5tupleIJfbEEELb0ELb1EEEN6thrust23THRUST_200600_302600_NS6detail15normal_iteratorINS8_10device_ptrIiEEEEjNS1_16block_id_wrapperIjLb0EEEEEvT_jjPNSG_10value_typeET0_PNSt15iterator_traitsISJ_E10value_typeEmT1_T2_.uses_vcc, 1
	.set _ZN7rocprim17ROCPRIM_400000_NS6detail30init_device_scan_by_key_kernelINS1_19lookback_scan_stateINS0_5tupleIJfbEEELb0ELb1EEEN6thrust23THRUST_200600_302600_NS6detail15normal_iteratorINS8_10device_ptrIiEEEEjNS1_16block_id_wrapperIjLb0EEEEEvT_jjPNSG_10value_typeET0_PNSt15iterator_traitsISJ_E10value_typeEmT1_T2_.uses_flat_scratch, 0
	.set _ZN7rocprim17ROCPRIM_400000_NS6detail30init_device_scan_by_key_kernelINS1_19lookback_scan_stateINS0_5tupleIJfbEEELb0ELb1EEEN6thrust23THRUST_200600_302600_NS6detail15normal_iteratorINS8_10device_ptrIiEEEEjNS1_16block_id_wrapperIjLb0EEEEEvT_jjPNSG_10value_typeET0_PNSt15iterator_traitsISJ_E10value_typeEmT1_T2_.has_dyn_sized_stack, 0
	.set _ZN7rocprim17ROCPRIM_400000_NS6detail30init_device_scan_by_key_kernelINS1_19lookback_scan_stateINS0_5tupleIJfbEEELb0ELb1EEEN6thrust23THRUST_200600_302600_NS6detail15normal_iteratorINS8_10device_ptrIiEEEEjNS1_16block_id_wrapperIjLb0EEEEEvT_jjPNSG_10value_typeET0_PNSt15iterator_traitsISJ_E10value_typeEmT1_T2_.has_recursion, 0
	.set _ZN7rocprim17ROCPRIM_400000_NS6detail30init_device_scan_by_key_kernelINS1_19lookback_scan_stateINS0_5tupleIJfbEEELb0ELb1EEEN6thrust23THRUST_200600_302600_NS6detail15normal_iteratorINS8_10device_ptrIiEEEEjNS1_16block_id_wrapperIjLb0EEEEEvT_jjPNSG_10value_typeET0_PNSt15iterator_traitsISJ_E10value_typeEmT1_T2_.has_indirect_call, 0
	.section	.AMDGPU.csdata,"",@progbits
; Kernel info:
; codeLenInByte = 664
; TotalNumSgprs: 19
; NumVgprs: 9
; ScratchSize: 0
; MemoryBound: 0
; FloatMode: 240
; IeeeMode: 1
; LDSByteSize: 0 bytes/workgroup (compile time only)
; SGPRBlocks: 0
; VGPRBlocks: 1
; NumSGPRsForWavesPerEU: 19
; NumVGPRsForWavesPerEU: 9
; Occupancy: 16
; WaveLimiterHint : 0
; COMPUTE_PGM_RSRC2:SCRATCH_EN: 0
; COMPUTE_PGM_RSRC2:USER_SGPR: 6
; COMPUTE_PGM_RSRC2:TRAP_HANDLER: 0
; COMPUTE_PGM_RSRC2:TGID_X_EN: 1
; COMPUTE_PGM_RSRC2:TGID_Y_EN: 0
; COMPUTE_PGM_RSRC2:TGID_Z_EN: 0
; COMPUTE_PGM_RSRC2:TIDIG_COMP_CNT: 0
	.section	.text._ZN7rocprim17ROCPRIM_400000_NS6detail30init_device_scan_by_key_kernelINS1_19lookback_scan_stateINS0_5tupleIJfbEEELb0ELb1EEENS1_16block_id_wrapperIjLb0EEEEEvT_jjPNS9_10value_typeET0_,"axG",@progbits,_ZN7rocprim17ROCPRIM_400000_NS6detail30init_device_scan_by_key_kernelINS1_19lookback_scan_stateINS0_5tupleIJfbEEELb0ELb1EEENS1_16block_id_wrapperIjLb0EEEEEvT_jjPNS9_10value_typeET0_,comdat
	.protected	_ZN7rocprim17ROCPRIM_400000_NS6detail30init_device_scan_by_key_kernelINS1_19lookback_scan_stateINS0_5tupleIJfbEEELb0ELb1EEENS1_16block_id_wrapperIjLb0EEEEEvT_jjPNS9_10value_typeET0_ ; -- Begin function _ZN7rocprim17ROCPRIM_400000_NS6detail30init_device_scan_by_key_kernelINS1_19lookback_scan_stateINS0_5tupleIJfbEEELb0ELb1EEENS1_16block_id_wrapperIjLb0EEEEEvT_jjPNS9_10value_typeET0_
	.globl	_ZN7rocprim17ROCPRIM_400000_NS6detail30init_device_scan_by_key_kernelINS1_19lookback_scan_stateINS0_5tupleIJfbEEELb0ELb1EEENS1_16block_id_wrapperIjLb0EEEEEvT_jjPNS9_10value_typeET0_
	.p2align	8
	.type	_ZN7rocprim17ROCPRIM_400000_NS6detail30init_device_scan_by_key_kernelINS1_19lookback_scan_stateINS0_5tupleIJfbEEELb0ELb1EEENS1_16block_id_wrapperIjLb0EEEEEvT_jjPNS9_10value_typeET0_,@function
_ZN7rocprim17ROCPRIM_400000_NS6detail30init_device_scan_by_key_kernelINS1_19lookback_scan_stateINS0_5tupleIJfbEEELb0ELb1EEENS1_16block_id_wrapperIjLb0EEEEEvT_jjPNS9_10value_typeET0_: ; @_ZN7rocprim17ROCPRIM_400000_NS6detail30init_device_scan_by_key_kernelINS1_19lookback_scan_stateINS0_5tupleIJfbEEELb0ELb1EEENS1_16block_id_wrapperIjLb0EEEEEvT_jjPNS9_10value_typeET0_
; %bb.0:
	s_clause 0x2
	s_load_dword s7, s[4:5], 0x2c
	s_load_dwordx2 s[8:9], s[4:5], 0x10
	s_load_dwordx4 s[0:3], s[4:5], 0x0
	s_waitcnt lgkmcnt(0)
	s_and_b32 s4, s7, 0xffff
	s_cmp_eq_u64 s[8:9], 0
	v_mad_u64_u32 v[0:1], null, s6, s4, v[0:1]
	s_cbranch_scc1 .LBB1129_8
; %bb.1:
	s_cmp_lt_u32 s3, s2
	s_mov_b32 s5, 0
	s_cselect_b32 s4, s3, 0
	s_mov_b32 s6, exec_lo
	v_cmpx_eq_u32_e64 s4, v0
	s_cbranch_execz .LBB1129_7
; %bb.2:
	s_add_i32 s4, s3, 32
	v_mov_b32_e32 v5, 0
	s_lshl_b64 s[4:5], s[4:5], 4
	s_mov_b32 s3, exec_lo
	s_add_u32 s4, s0, s4
	s_addc_u32 s5, s1, s5
	v_mov_b32_e32 v1, s4
	v_mov_b32_e32 v2, s5
	;;#ASMSTART
	global_load_dwordx4 v[1:4], v[1:2] off glc dlc	
s_waitcnt vmcnt(0)
	;;#ASMEND
	v_and_b32_e32 v4, 0xff, v3
	v_cmpx_eq_u64_e32 0, v[4:5]
	s_cbranch_execz .LBB1129_6
; %bb.3:
	v_mov_b32_e32 v7, s5
	v_mov_b32_e32 v6, s4
	s_mov_b32 s4, 0
.LBB1129_4:                             ; =>This Inner Loop Header: Depth=1
	;;#ASMSTART
	global_load_dwordx4 v[1:4], v[6:7] off glc dlc	
s_waitcnt vmcnt(0)
	;;#ASMEND
	v_and_b32_e32 v4, 0xff, v3
	v_cmp_ne_u64_e32 vcc_lo, 0, v[4:5]
	s_or_b32 s4, vcc_lo, s4
	s_andn2_b32 exec_lo, exec_lo, s4
	s_cbranch_execnz .LBB1129_4
; %bb.5:
	s_or_b32 exec_lo, exec_lo, s4
.LBB1129_6:
	s_or_b32 exec_lo, exec_lo, s3
	v_mov_b32_e32 v3, 0
	global_store_dword v3, v1, s[8:9]
	global_store_byte v3, v2, s[8:9] offset:4
.LBB1129_7:
	s_or_b32 exec_lo, exec_lo, s6
.LBB1129_8:
	v_cmp_gt_u32_e32 vcc_lo, s2, v0
	s_and_saveexec_b32 s2, vcc_lo
	s_cbranch_execz .LBB1129_10
; %bb.9:
	v_add_nc_u32_e32 v1, 32, v0
	v_mov_b32_e32 v2, 0
	v_lshlrev_b64 v[4:5], 4, v[1:2]
	v_mov_b32_e32 v1, v2
	v_mov_b32_e32 v3, v2
	v_add_co_u32 v6, vcc_lo, s0, v4
	v_add_co_ci_u32_e64 v7, null, s1, v5, vcc_lo
	v_mov_b32_e32 v4, v2
	global_store_dwordx4 v[6:7], v[1:4], off
.LBB1129_10:
	s_or_b32 exec_lo, exec_lo, s2
	s_mov_b32 s2, exec_lo
	v_cmpx_gt_u32_e32 32, v0
	s_cbranch_execz .LBB1129_12
; %bb.11:
	v_mov_b32_e32 v1, 0
	v_mov_b32_e32 v2, 0xff
	v_lshlrev_b64 v[3:4], 4, v[0:1]
	v_mov_b32_e32 v0, v1
	v_add_co_u32 v5, vcc_lo, s0, v3
	v_add_co_ci_u32_e64 v6, null, s1, v4, vcc_lo
	v_mov_b32_e32 v3, v1
	global_store_dwordx4 v[5:6], v[0:3], off
.LBB1129_12:
	s_endpgm
	.section	.rodata,"a",@progbits
	.p2align	6, 0x0
	.amdhsa_kernel _ZN7rocprim17ROCPRIM_400000_NS6detail30init_device_scan_by_key_kernelINS1_19lookback_scan_stateINS0_5tupleIJfbEEELb0ELb1EEENS1_16block_id_wrapperIjLb0EEEEEvT_jjPNS9_10value_typeET0_
		.amdhsa_group_segment_fixed_size 0
		.amdhsa_private_segment_fixed_size 0
		.amdhsa_kernarg_size 288
		.amdhsa_user_sgpr_count 6
		.amdhsa_user_sgpr_private_segment_buffer 1
		.amdhsa_user_sgpr_dispatch_ptr 0
		.amdhsa_user_sgpr_queue_ptr 0
		.amdhsa_user_sgpr_kernarg_segment_ptr 1
		.amdhsa_user_sgpr_dispatch_id 0
		.amdhsa_user_sgpr_flat_scratch_init 0
		.amdhsa_user_sgpr_private_segment_size 0
		.amdhsa_wavefront_size32 1
		.amdhsa_uses_dynamic_stack 0
		.amdhsa_system_sgpr_private_segment_wavefront_offset 0
		.amdhsa_system_sgpr_workgroup_id_x 1
		.amdhsa_system_sgpr_workgroup_id_y 0
		.amdhsa_system_sgpr_workgroup_id_z 0
		.amdhsa_system_sgpr_workgroup_info 0
		.amdhsa_system_vgpr_workitem_id 0
		.amdhsa_next_free_vgpr 8
		.amdhsa_next_free_sgpr 10
		.amdhsa_reserve_vcc 1
		.amdhsa_reserve_flat_scratch 0
		.amdhsa_float_round_mode_32 0
		.amdhsa_float_round_mode_16_64 0
		.amdhsa_float_denorm_mode_32 3
		.amdhsa_float_denorm_mode_16_64 3
		.amdhsa_dx10_clamp 1
		.amdhsa_ieee_mode 1
		.amdhsa_fp16_overflow 0
		.amdhsa_workgroup_processor_mode 1
		.amdhsa_memory_ordered 1
		.amdhsa_forward_progress 1
		.amdhsa_shared_vgpr_count 0
		.amdhsa_exception_fp_ieee_invalid_op 0
		.amdhsa_exception_fp_denorm_src 0
		.amdhsa_exception_fp_ieee_div_zero 0
		.amdhsa_exception_fp_ieee_overflow 0
		.amdhsa_exception_fp_ieee_underflow 0
		.amdhsa_exception_fp_ieee_inexact 0
		.amdhsa_exception_int_div_zero 0
	.end_amdhsa_kernel
	.section	.text._ZN7rocprim17ROCPRIM_400000_NS6detail30init_device_scan_by_key_kernelINS1_19lookback_scan_stateINS0_5tupleIJfbEEELb0ELb1EEENS1_16block_id_wrapperIjLb0EEEEEvT_jjPNS9_10value_typeET0_,"axG",@progbits,_ZN7rocprim17ROCPRIM_400000_NS6detail30init_device_scan_by_key_kernelINS1_19lookback_scan_stateINS0_5tupleIJfbEEELb0ELb1EEENS1_16block_id_wrapperIjLb0EEEEEvT_jjPNS9_10value_typeET0_,comdat
.Lfunc_end1129:
	.size	_ZN7rocprim17ROCPRIM_400000_NS6detail30init_device_scan_by_key_kernelINS1_19lookback_scan_stateINS0_5tupleIJfbEEELb0ELb1EEENS1_16block_id_wrapperIjLb0EEEEEvT_jjPNS9_10value_typeET0_, .Lfunc_end1129-_ZN7rocprim17ROCPRIM_400000_NS6detail30init_device_scan_by_key_kernelINS1_19lookback_scan_stateINS0_5tupleIJfbEEELb0ELb1EEENS1_16block_id_wrapperIjLb0EEEEEvT_jjPNS9_10value_typeET0_
                                        ; -- End function
	.set _ZN7rocprim17ROCPRIM_400000_NS6detail30init_device_scan_by_key_kernelINS1_19lookback_scan_stateINS0_5tupleIJfbEEELb0ELb1EEENS1_16block_id_wrapperIjLb0EEEEEvT_jjPNS9_10value_typeET0_.num_vgpr, 8
	.set _ZN7rocprim17ROCPRIM_400000_NS6detail30init_device_scan_by_key_kernelINS1_19lookback_scan_stateINS0_5tupleIJfbEEELb0ELb1EEENS1_16block_id_wrapperIjLb0EEEEEvT_jjPNS9_10value_typeET0_.num_agpr, 0
	.set _ZN7rocprim17ROCPRIM_400000_NS6detail30init_device_scan_by_key_kernelINS1_19lookback_scan_stateINS0_5tupleIJfbEEELb0ELb1EEENS1_16block_id_wrapperIjLb0EEEEEvT_jjPNS9_10value_typeET0_.numbered_sgpr, 10
	.set _ZN7rocprim17ROCPRIM_400000_NS6detail30init_device_scan_by_key_kernelINS1_19lookback_scan_stateINS0_5tupleIJfbEEELb0ELb1EEENS1_16block_id_wrapperIjLb0EEEEEvT_jjPNS9_10value_typeET0_.num_named_barrier, 0
	.set _ZN7rocprim17ROCPRIM_400000_NS6detail30init_device_scan_by_key_kernelINS1_19lookback_scan_stateINS0_5tupleIJfbEEELb0ELb1EEENS1_16block_id_wrapperIjLb0EEEEEvT_jjPNS9_10value_typeET0_.private_seg_size, 0
	.set _ZN7rocprim17ROCPRIM_400000_NS6detail30init_device_scan_by_key_kernelINS1_19lookback_scan_stateINS0_5tupleIJfbEEELb0ELb1EEENS1_16block_id_wrapperIjLb0EEEEEvT_jjPNS9_10value_typeET0_.uses_vcc, 1
	.set _ZN7rocprim17ROCPRIM_400000_NS6detail30init_device_scan_by_key_kernelINS1_19lookback_scan_stateINS0_5tupleIJfbEEELb0ELb1EEENS1_16block_id_wrapperIjLb0EEEEEvT_jjPNS9_10value_typeET0_.uses_flat_scratch, 0
	.set _ZN7rocprim17ROCPRIM_400000_NS6detail30init_device_scan_by_key_kernelINS1_19lookback_scan_stateINS0_5tupleIJfbEEELb0ELb1EEENS1_16block_id_wrapperIjLb0EEEEEvT_jjPNS9_10value_typeET0_.has_dyn_sized_stack, 0
	.set _ZN7rocprim17ROCPRIM_400000_NS6detail30init_device_scan_by_key_kernelINS1_19lookback_scan_stateINS0_5tupleIJfbEEELb0ELb1EEENS1_16block_id_wrapperIjLb0EEEEEvT_jjPNS9_10value_typeET0_.has_recursion, 0
	.set _ZN7rocprim17ROCPRIM_400000_NS6detail30init_device_scan_by_key_kernelINS1_19lookback_scan_stateINS0_5tupleIJfbEEELb0ELb1EEENS1_16block_id_wrapperIjLb0EEEEEvT_jjPNS9_10value_typeET0_.has_indirect_call, 0
	.section	.AMDGPU.csdata,"",@progbits
; Kernel info:
; codeLenInByte = 416
; TotalNumSgprs: 12
; NumVgprs: 8
; ScratchSize: 0
; MemoryBound: 0
; FloatMode: 240
; IeeeMode: 1
; LDSByteSize: 0 bytes/workgroup (compile time only)
; SGPRBlocks: 0
; VGPRBlocks: 0
; NumSGPRsForWavesPerEU: 12
; NumVGPRsForWavesPerEU: 8
; Occupancy: 16
; WaveLimiterHint : 0
; COMPUTE_PGM_RSRC2:SCRATCH_EN: 0
; COMPUTE_PGM_RSRC2:USER_SGPR: 6
; COMPUTE_PGM_RSRC2:TRAP_HANDLER: 0
; COMPUTE_PGM_RSRC2:TGID_X_EN: 1
; COMPUTE_PGM_RSRC2:TGID_Y_EN: 0
; COMPUTE_PGM_RSRC2:TGID_Z_EN: 0
; COMPUTE_PGM_RSRC2:TIDIG_COMP_CNT: 0
	.section	.text._ZN7rocprim17ROCPRIM_400000_NS6detail17trampoline_kernelINS0_14default_configENS1_27scan_by_key_config_selectorIifEEZZNS1_16scan_by_key_implILNS1_25lookback_scan_determinismE0ELb0ES3_N6thrust23THRUST_200600_302600_NS6detail15normal_iteratorINS9_10device_ptrIiEEEENSB_INSC_IfEEEESG_fNS9_4plusIvEENS9_8equal_toIvEEfEE10hipError_tPvRmT2_T3_T4_T5_mT6_T7_P12ihipStream_tbENKUlT_T0_E_clISt17integral_constantIbLb0EES11_EEDaSW_SX_EUlSW_E_NS1_11comp_targetILNS1_3genE0ELNS1_11target_archE4294967295ELNS1_3gpuE0ELNS1_3repE0EEENS1_30default_config_static_selectorELNS0_4arch9wavefront6targetE0EEEvT1_,"axG",@progbits,_ZN7rocprim17ROCPRIM_400000_NS6detail17trampoline_kernelINS0_14default_configENS1_27scan_by_key_config_selectorIifEEZZNS1_16scan_by_key_implILNS1_25lookback_scan_determinismE0ELb0ES3_N6thrust23THRUST_200600_302600_NS6detail15normal_iteratorINS9_10device_ptrIiEEEENSB_INSC_IfEEEESG_fNS9_4plusIvEENS9_8equal_toIvEEfEE10hipError_tPvRmT2_T3_T4_T5_mT6_T7_P12ihipStream_tbENKUlT_T0_E_clISt17integral_constantIbLb0EES11_EEDaSW_SX_EUlSW_E_NS1_11comp_targetILNS1_3genE0ELNS1_11target_archE4294967295ELNS1_3gpuE0ELNS1_3repE0EEENS1_30default_config_static_selectorELNS0_4arch9wavefront6targetE0EEEvT1_,comdat
	.protected	_ZN7rocprim17ROCPRIM_400000_NS6detail17trampoline_kernelINS0_14default_configENS1_27scan_by_key_config_selectorIifEEZZNS1_16scan_by_key_implILNS1_25lookback_scan_determinismE0ELb0ES3_N6thrust23THRUST_200600_302600_NS6detail15normal_iteratorINS9_10device_ptrIiEEEENSB_INSC_IfEEEESG_fNS9_4plusIvEENS9_8equal_toIvEEfEE10hipError_tPvRmT2_T3_T4_T5_mT6_T7_P12ihipStream_tbENKUlT_T0_E_clISt17integral_constantIbLb0EES11_EEDaSW_SX_EUlSW_E_NS1_11comp_targetILNS1_3genE0ELNS1_11target_archE4294967295ELNS1_3gpuE0ELNS1_3repE0EEENS1_30default_config_static_selectorELNS0_4arch9wavefront6targetE0EEEvT1_ ; -- Begin function _ZN7rocprim17ROCPRIM_400000_NS6detail17trampoline_kernelINS0_14default_configENS1_27scan_by_key_config_selectorIifEEZZNS1_16scan_by_key_implILNS1_25lookback_scan_determinismE0ELb0ES3_N6thrust23THRUST_200600_302600_NS6detail15normal_iteratorINS9_10device_ptrIiEEEENSB_INSC_IfEEEESG_fNS9_4plusIvEENS9_8equal_toIvEEfEE10hipError_tPvRmT2_T3_T4_T5_mT6_T7_P12ihipStream_tbENKUlT_T0_E_clISt17integral_constantIbLb0EES11_EEDaSW_SX_EUlSW_E_NS1_11comp_targetILNS1_3genE0ELNS1_11target_archE4294967295ELNS1_3gpuE0ELNS1_3repE0EEENS1_30default_config_static_selectorELNS0_4arch9wavefront6targetE0EEEvT1_
	.globl	_ZN7rocprim17ROCPRIM_400000_NS6detail17trampoline_kernelINS0_14default_configENS1_27scan_by_key_config_selectorIifEEZZNS1_16scan_by_key_implILNS1_25lookback_scan_determinismE0ELb0ES3_N6thrust23THRUST_200600_302600_NS6detail15normal_iteratorINS9_10device_ptrIiEEEENSB_INSC_IfEEEESG_fNS9_4plusIvEENS9_8equal_toIvEEfEE10hipError_tPvRmT2_T3_T4_T5_mT6_T7_P12ihipStream_tbENKUlT_T0_E_clISt17integral_constantIbLb0EES11_EEDaSW_SX_EUlSW_E_NS1_11comp_targetILNS1_3genE0ELNS1_11target_archE4294967295ELNS1_3gpuE0ELNS1_3repE0EEENS1_30default_config_static_selectorELNS0_4arch9wavefront6targetE0EEEvT1_
	.p2align	8
	.type	_ZN7rocprim17ROCPRIM_400000_NS6detail17trampoline_kernelINS0_14default_configENS1_27scan_by_key_config_selectorIifEEZZNS1_16scan_by_key_implILNS1_25lookback_scan_determinismE0ELb0ES3_N6thrust23THRUST_200600_302600_NS6detail15normal_iteratorINS9_10device_ptrIiEEEENSB_INSC_IfEEEESG_fNS9_4plusIvEENS9_8equal_toIvEEfEE10hipError_tPvRmT2_T3_T4_T5_mT6_T7_P12ihipStream_tbENKUlT_T0_E_clISt17integral_constantIbLb0EES11_EEDaSW_SX_EUlSW_E_NS1_11comp_targetILNS1_3genE0ELNS1_11target_archE4294967295ELNS1_3gpuE0ELNS1_3repE0EEENS1_30default_config_static_selectorELNS0_4arch9wavefront6targetE0EEEvT1_,@function
_ZN7rocprim17ROCPRIM_400000_NS6detail17trampoline_kernelINS0_14default_configENS1_27scan_by_key_config_selectorIifEEZZNS1_16scan_by_key_implILNS1_25lookback_scan_determinismE0ELb0ES3_N6thrust23THRUST_200600_302600_NS6detail15normal_iteratorINS9_10device_ptrIiEEEENSB_INSC_IfEEEESG_fNS9_4plusIvEENS9_8equal_toIvEEfEE10hipError_tPvRmT2_T3_T4_T5_mT6_T7_P12ihipStream_tbENKUlT_T0_E_clISt17integral_constantIbLb0EES11_EEDaSW_SX_EUlSW_E_NS1_11comp_targetILNS1_3genE0ELNS1_11target_archE4294967295ELNS1_3gpuE0ELNS1_3repE0EEENS1_30default_config_static_selectorELNS0_4arch9wavefront6targetE0EEEvT1_: ; @_ZN7rocprim17ROCPRIM_400000_NS6detail17trampoline_kernelINS0_14default_configENS1_27scan_by_key_config_selectorIifEEZZNS1_16scan_by_key_implILNS1_25lookback_scan_determinismE0ELb0ES3_N6thrust23THRUST_200600_302600_NS6detail15normal_iteratorINS9_10device_ptrIiEEEENSB_INSC_IfEEEESG_fNS9_4plusIvEENS9_8equal_toIvEEfEE10hipError_tPvRmT2_T3_T4_T5_mT6_T7_P12ihipStream_tbENKUlT_T0_E_clISt17integral_constantIbLb0EES11_EEDaSW_SX_EUlSW_E_NS1_11comp_targetILNS1_3genE0ELNS1_11target_archE4294967295ELNS1_3gpuE0ELNS1_3repE0EEENS1_30default_config_static_selectorELNS0_4arch9wavefront6targetE0EEEvT1_
; %bb.0:
	.section	.rodata,"a",@progbits
	.p2align	6, 0x0
	.amdhsa_kernel _ZN7rocprim17ROCPRIM_400000_NS6detail17trampoline_kernelINS0_14default_configENS1_27scan_by_key_config_selectorIifEEZZNS1_16scan_by_key_implILNS1_25lookback_scan_determinismE0ELb0ES3_N6thrust23THRUST_200600_302600_NS6detail15normal_iteratorINS9_10device_ptrIiEEEENSB_INSC_IfEEEESG_fNS9_4plusIvEENS9_8equal_toIvEEfEE10hipError_tPvRmT2_T3_T4_T5_mT6_T7_P12ihipStream_tbENKUlT_T0_E_clISt17integral_constantIbLb0EES11_EEDaSW_SX_EUlSW_E_NS1_11comp_targetILNS1_3genE0ELNS1_11target_archE4294967295ELNS1_3gpuE0ELNS1_3repE0EEENS1_30default_config_static_selectorELNS0_4arch9wavefront6targetE0EEEvT1_
		.amdhsa_group_segment_fixed_size 0
		.amdhsa_private_segment_fixed_size 0
		.amdhsa_kernarg_size 112
		.amdhsa_user_sgpr_count 6
		.amdhsa_user_sgpr_private_segment_buffer 1
		.amdhsa_user_sgpr_dispatch_ptr 0
		.amdhsa_user_sgpr_queue_ptr 0
		.amdhsa_user_sgpr_kernarg_segment_ptr 1
		.amdhsa_user_sgpr_dispatch_id 0
		.amdhsa_user_sgpr_flat_scratch_init 0
		.amdhsa_user_sgpr_private_segment_size 0
		.amdhsa_wavefront_size32 1
		.amdhsa_uses_dynamic_stack 0
		.amdhsa_system_sgpr_private_segment_wavefront_offset 0
		.amdhsa_system_sgpr_workgroup_id_x 1
		.amdhsa_system_sgpr_workgroup_id_y 0
		.amdhsa_system_sgpr_workgroup_id_z 0
		.amdhsa_system_sgpr_workgroup_info 0
		.amdhsa_system_vgpr_workitem_id 0
		.amdhsa_next_free_vgpr 1
		.amdhsa_next_free_sgpr 1
		.amdhsa_reserve_vcc 0
		.amdhsa_reserve_flat_scratch 0
		.amdhsa_float_round_mode_32 0
		.amdhsa_float_round_mode_16_64 0
		.amdhsa_float_denorm_mode_32 3
		.amdhsa_float_denorm_mode_16_64 3
		.amdhsa_dx10_clamp 1
		.amdhsa_ieee_mode 1
		.amdhsa_fp16_overflow 0
		.amdhsa_workgroup_processor_mode 1
		.amdhsa_memory_ordered 1
		.amdhsa_forward_progress 1
		.amdhsa_shared_vgpr_count 0
		.amdhsa_exception_fp_ieee_invalid_op 0
		.amdhsa_exception_fp_denorm_src 0
		.amdhsa_exception_fp_ieee_div_zero 0
		.amdhsa_exception_fp_ieee_overflow 0
		.amdhsa_exception_fp_ieee_underflow 0
		.amdhsa_exception_fp_ieee_inexact 0
		.amdhsa_exception_int_div_zero 0
	.end_amdhsa_kernel
	.section	.text._ZN7rocprim17ROCPRIM_400000_NS6detail17trampoline_kernelINS0_14default_configENS1_27scan_by_key_config_selectorIifEEZZNS1_16scan_by_key_implILNS1_25lookback_scan_determinismE0ELb0ES3_N6thrust23THRUST_200600_302600_NS6detail15normal_iteratorINS9_10device_ptrIiEEEENSB_INSC_IfEEEESG_fNS9_4plusIvEENS9_8equal_toIvEEfEE10hipError_tPvRmT2_T3_T4_T5_mT6_T7_P12ihipStream_tbENKUlT_T0_E_clISt17integral_constantIbLb0EES11_EEDaSW_SX_EUlSW_E_NS1_11comp_targetILNS1_3genE0ELNS1_11target_archE4294967295ELNS1_3gpuE0ELNS1_3repE0EEENS1_30default_config_static_selectorELNS0_4arch9wavefront6targetE0EEEvT1_,"axG",@progbits,_ZN7rocprim17ROCPRIM_400000_NS6detail17trampoline_kernelINS0_14default_configENS1_27scan_by_key_config_selectorIifEEZZNS1_16scan_by_key_implILNS1_25lookback_scan_determinismE0ELb0ES3_N6thrust23THRUST_200600_302600_NS6detail15normal_iteratorINS9_10device_ptrIiEEEENSB_INSC_IfEEEESG_fNS9_4plusIvEENS9_8equal_toIvEEfEE10hipError_tPvRmT2_T3_T4_T5_mT6_T7_P12ihipStream_tbENKUlT_T0_E_clISt17integral_constantIbLb0EES11_EEDaSW_SX_EUlSW_E_NS1_11comp_targetILNS1_3genE0ELNS1_11target_archE4294967295ELNS1_3gpuE0ELNS1_3repE0EEENS1_30default_config_static_selectorELNS0_4arch9wavefront6targetE0EEEvT1_,comdat
.Lfunc_end1130:
	.size	_ZN7rocprim17ROCPRIM_400000_NS6detail17trampoline_kernelINS0_14default_configENS1_27scan_by_key_config_selectorIifEEZZNS1_16scan_by_key_implILNS1_25lookback_scan_determinismE0ELb0ES3_N6thrust23THRUST_200600_302600_NS6detail15normal_iteratorINS9_10device_ptrIiEEEENSB_INSC_IfEEEESG_fNS9_4plusIvEENS9_8equal_toIvEEfEE10hipError_tPvRmT2_T3_T4_T5_mT6_T7_P12ihipStream_tbENKUlT_T0_E_clISt17integral_constantIbLb0EES11_EEDaSW_SX_EUlSW_E_NS1_11comp_targetILNS1_3genE0ELNS1_11target_archE4294967295ELNS1_3gpuE0ELNS1_3repE0EEENS1_30default_config_static_selectorELNS0_4arch9wavefront6targetE0EEEvT1_, .Lfunc_end1130-_ZN7rocprim17ROCPRIM_400000_NS6detail17trampoline_kernelINS0_14default_configENS1_27scan_by_key_config_selectorIifEEZZNS1_16scan_by_key_implILNS1_25lookback_scan_determinismE0ELb0ES3_N6thrust23THRUST_200600_302600_NS6detail15normal_iteratorINS9_10device_ptrIiEEEENSB_INSC_IfEEEESG_fNS9_4plusIvEENS9_8equal_toIvEEfEE10hipError_tPvRmT2_T3_T4_T5_mT6_T7_P12ihipStream_tbENKUlT_T0_E_clISt17integral_constantIbLb0EES11_EEDaSW_SX_EUlSW_E_NS1_11comp_targetILNS1_3genE0ELNS1_11target_archE4294967295ELNS1_3gpuE0ELNS1_3repE0EEENS1_30default_config_static_selectorELNS0_4arch9wavefront6targetE0EEEvT1_
                                        ; -- End function
	.set _ZN7rocprim17ROCPRIM_400000_NS6detail17trampoline_kernelINS0_14default_configENS1_27scan_by_key_config_selectorIifEEZZNS1_16scan_by_key_implILNS1_25lookback_scan_determinismE0ELb0ES3_N6thrust23THRUST_200600_302600_NS6detail15normal_iteratorINS9_10device_ptrIiEEEENSB_INSC_IfEEEESG_fNS9_4plusIvEENS9_8equal_toIvEEfEE10hipError_tPvRmT2_T3_T4_T5_mT6_T7_P12ihipStream_tbENKUlT_T0_E_clISt17integral_constantIbLb0EES11_EEDaSW_SX_EUlSW_E_NS1_11comp_targetILNS1_3genE0ELNS1_11target_archE4294967295ELNS1_3gpuE0ELNS1_3repE0EEENS1_30default_config_static_selectorELNS0_4arch9wavefront6targetE0EEEvT1_.num_vgpr, 0
	.set _ZN7rocprim17ROCPRIM_400000_NS6detail17trampoline_kernelINS0_14default_configENS1_27scan_by_key_config_selectorIifEEZZNS1_16scan_by_key_implILNS1_25lookback_scan_determinismE0ELb0ES3_N6thrust23THRUST_200600_302600_NS6detail15normal_iteratorINS9_10device_ptrIiEEEENSB_INSC_IfEEEESG_fNS9_4plusIvEENS9_8equal_toIvEEfEE10hipError_tPvRmT2_T3_T4_T5_mT6_T7_P12ihipStream_tbENKUlT_T0_E_clISt17integral_constantIbLb0EES11_EEDaSW_SX_EUlSW_E_NS1_11comp_targetILNS1_3genE0ELNS1_11target_archE4294967295ELNS1_3gpuE0ELNS1_3repE0EEENS1_30default_config_static_selectorELNS0_4arch9wavefront6targetE0EEEvT1_.num_agpr, 0
	.set _ZN7rocprim17ROCPRIM_400000_NS6detail17trampoline_kernelINS0_14default_configENS1_27scan_by_key_config_selectorIifEEZZNS1_16scan_by_key_implILNS1_25lookback_scan_determinismE0ELb0ES3_N6thrust23THRUST_200600_302600_NS6detail15normal_iteratorINS9_10device_ptrIiEEEENSB_INSC_IfEEEESG_fNS9_4plusIvEENS9_8equal_toIvEEfEE10hipError_tPvRmT2_T3_T4_T5_mT6_T7_P12ihipStream_tbENKUlT_T0_E_clISt17integral_constantIbLb0EES11_EEDaSW_SX_EUlSW_E_NS1_11comp_targetILNS1_3genE0ELNS1_11target_archE4294967295ELNS1_3gpuE0ELNS1_3repE0EEENS1_30default_config_static_selectorELNS0_4arch9wavefront6targetE0EEEvT1_.numbered_sgpr, 0
	.set _ZN7rocprim17ROCPRIM_400000_NS6detail17trampoline_kernelINS0_14default_configENS1_27scan_by_key_config_selectorIifEEZZNS1_16scan_by_key_implILNS1_25lookback_scan_determinismE0ELb0ES3_N6thrust23THRUST_200600_302600_NS6detail15normal_iteratorINS9_10device_ptrIiEEEENSB_INSC_IfEEEESG_fNS9_4plusIvEENS9_8equal_toIvEEfEE10hipError_tPvRmT2_T3_T4_T5_mT6_T7_P12ihipStream_tbENKUlT_T0_E_clISt17integral_constantIbLb0EES11_EEDaSW_SX_EUlSW_E_NS1_11comp_targetILNS1_3genE0ELNS1_11target_archE4294967295ELNS1_3gpuE0ELNS1_3repE0EEENS1_30default_config_static_selectorELNS0_4arch9wavefront6targetE0EEEvT1_.num_named_barrier, 0
	.set _ZN7rocprim17ROCPRIM_400000_NS6detail17trampoline_kernelINS0_14default_configENS1_27scan_by_key_config_selectorIifEEZZNS1_16scan_by_key_implILNS1_25lookback_scan_determinismE0ELb0ES3_N6thrust23THRUST_200600_302600_NS6detail15normal_iteratorINS9_10device_ptrIiEEEENSB_INSC_IfEEEESG_fNS9_4plusIvEENS9_8equal_toIvEEfEE10hipError_tPvRmT2_T3_T4_T5_mT6_T7_P12ihipStream_tbENKUlT_T0_E_clISt17integral_constantIbLb0EES11_EEDaSW_SX_EUlSW_E_NS1_11comp_targetILNS1_3genE0ELNS1_11target_archE4294967295ELNS1_3gpuE0ELNS1_3repE0EEENS1_30default_config_static_selectorELNS0_4arch9wavefront6targetE0EEEvT1_.private_seg_size, 0
	.set _ZN7rocprim17ROCPRIM_400000_NS6detail17trampoline_kernelINS0_14default_configENS1_27scan_by_key_config_selectorIifEEZZNS1_16scan_by_key_implILNS1_25lookback_scan_determinismE0ELb0ES3_N6thrust23THRUST_200600_302600_NS6detail15normal_iteratorINS9_10device_ptrIiEEEENSB_INSC_IfEEEESG_fNS9_4plusIvEENS9_8equal_toIvEEfEE10hipError_tPvRmT2_T3_T4_T5_mT6_T7_P12ihipStream_tbENKUlT_T0_E_clISt17integral_constantIbLb0EES11_EEDaSW_SX_EUlSW_E_NS1_11comp_targetILNS1_3genE0ELNS1_11target_archE4294967295ELNS1_3gpuE0ELNS1_3repE0EEENS1_30default_config_static_selectorELNS0_4arch9wavefront6targetE0EEEvT1_.uses_vcc, 0
	.set _ZN7rocprim17ROCPRIM_400000_NS6detail17trampoline_kernelINS0_14default_configENS1_27scan_by_key_config_selectorIifEEZZNS1_16scan_by_key_implILNS1_25lookback_scan_determinismE0ELb0ES3_N6thrust23THRUST_200600_302600_NS6detail15normal_iteratorINS9_10device_ptrIiEEEENSB_INSC_IfEEEESG_fNS9_4plusIvEENS9_8equal_toIvEEfEE10hipError_tPvRmT2_T3_T4_T5_mT6_T7_P12ihipStream_tbENKUlT_T0_E_clISt17integral_constantIbLb0EES11_EEDaSW_SX_EUlSW_E_NS1_11comp_targetILNS1_3genE0ELNS1_11target_archE4294967295ELNS1_3gpuE0ELNS1_3repE0EEENS1_30default_config_static_selectorELNS0_4arch9wavefront6targetE0EEEvT1_.uses_flat_scratch, 0
	.set _ZN7rocprim17ROCPRIM_400000_NS6detail17trampoline_kernelINS0_14default_configENS1_27scan_by_key_config_selectorIifEEZZNS1_16scan_by_key_implILNS1_25lookback_scan_determinismE0ELb0ES3_N6thrust23THRUST_200600_302600_NS6detail15normal_iteratorINS9_10device_ptrIiEEEENSB_INSC_IfEEEESG_fNS9_4plusIvEENS9_8equal_toIvEEfEE10hipError_tPvRmT2_T3_T4_T5_mT6_T7_P12ihipStream_tbENKUlT_T0_E_clISt17integral_constantIbLb0EES11_EEDaSW_SX_EUlSW_E_NS1_11comp_targetILNS1_3genE0ELNS1_11target_archE4294967295ELNS1_3gpuE0ELNS1_3repE0EEENS1_30default_config_static_selectorELNS0_4arch9wavefront6targetE0EEEvT1_.has_dyn_sized_stack, 0
	.set _ZN7rocprim17ROCPRIM_400000_NS6detail17trampoline_kernelINS0_14default_configENS1_27scan_by_key_config_selectorIifEEZZNS1_16scan_by_key_implILNS1_25lookback_scan_determinismE0ELb0ES3_N6thrust23THRUST_200600_302600_NS6detail15normal_iteratorINS9_10device_ptrIiEEEENSB_INSC_IfEEEESG_fNS9_4plusIvEENS9_8equal_toIvEEfEE10hipError_tPvRmT2_T3_T4_T5_mT6_T7_P12ihipStream_tbENKUlT_T0_E_clISt17integral_constantIbLb0EES11_EEDaSW_SX_EUlSW_E_NS1_11comp_targetILNS1_3genE0ELNS1_11target_archE4294967295ELNS1_3gpuE0ELNS1_3repE0EEENS1_30default_config_static_selectorELNS0_4arch9wavefront6targetE0EEEvT1_.has_recursion, 0
	.set _ZN7rocprim17ROCPRIM_400000_NS6detail17trampoline_kernelINS0_14default_configENS1_27scan_by_key_config_selectorIifEEZZNS1_16scan_by_key_implILNS1_25lookback_scan_determinismE0ELb0ES3_N6thrust23THRUST_200600_302600_NS6detail15normal_iteratorINS9_10device_ptrIiEEEENSB_INSC_IfEEEESG_fNS9_4plusIvEENS9_8equal_toIvEEfEE10hipError_tPvRmT2_T3_T4_T5_mT6_T7_P12ihipStream_tbENKUlT_T0_E_clISt17integral_constantIbLb0EES11_EEDaSW_SX_EUlSW_E_NS1_11comp_targetILNS1_3genE0ELNS1_11target_archE4294967295ELNS1_3gpuE0ELNS1_3repE0EEENS1_30default_config_static_selectorELNS0_4arch9wavefront6targetE0EEEvT1_.has_indirect_call, 0
	.section	.AMDGPU.csdata,"",@progbits
; Kernel info:
; codeLenInByte = 0
; TotalNumSgprs: 0
; NumVgprs: 0
; ScratchSize: 0
; MemoryBound: 0
; FloatMode: 240
; IeeeMode: 1
; LDSByteSize: 0 bytes/workgroup (compile time only)
; SGPRBlocks: 0
; VGPRBlocks: 0
; NumSGPRsForWavesPerEU: 1
; NumVGPRsForWavesPerEU: 1
; Occupancy: 16
; WaveLimiterHint : 0
; COMPUTE_PGM_RSRC2:SCRATCH_EN: 0
; COMPUTE_PGM_RSRC2:USER_SGPR: 6
; COMPUTE_PGM_RSRC2:TRAP_HANDLER: 0
; COMPUTE_PGM_RSRC2:TGID_X_EN: 1
; COMPUTE_PGM_RSRC2:TGID_Y_EN: 0
; COMPUTE_PGM_RSRC2:TGID_Z_EN: 0
; COMPUTE_PGM_RSRC2:TIDIG_COMP_CNT: 0
	.section	.text._ZN7rocprim17ROCPRIM_400000_NS6detail17trampoline_kernelINS0_14default_configENS1_27scan_by_key_config_selectorIifEEZZNS1_16scan_by_key_implILNS1_25lookback_scan_determinismE0ELb0ES3_N6thrust23THRUST_200600_302600_NS6detail15normal_iteratorINS9_10device_ptrIiEEEENSB_INSC_IfEEEESG_fNS9_4plusIvEENS9_8equal_toIvEEfEE10hipError_tPvRmT2_T3_T4_T5_mT6_T7_P12ihipStream_tbENKUlT_T0_E_clISt17integral_constantIbLb0EES11_EEDaSW_SX_EUlSW_E_NS1_11comp_targetILNS1_3genE10ELNS1_11target_archE1201ELNS1_3gpuE5ELNS1_3repE0EEENS1_30default_config_static_selectorELNS0_4arch9wavefront6targetE0EEEvT1_,"axG",@progbits,_ZN7rocprim17ROCPRIM_400000_NS6detail17trampoline_kernelINS0_14default_configENS1_27scan_by_key_config_selectorIifEEZZNS1_16scan_by_key_implILNS1_25lookback_scan_determinismE0ELb0ES3_N6thrust23THRUST_200600_302600_NS6detail15normal_iteratorINS9_10device_ptrIiEEEENSB_INSC_IfEEEESG_fNS9_4plusIvEENS9_8equal_toIvEEfEE10hipError_tPvRmT2_T3_T4_T5_mT6_T7_P12ihipStream_tbENKUlT_T0_E_clISt17integral_constantIbLb0EES11_EEDaSW_SX_EUlSW_E_NS1_11comp_targetILNS1_3genE10ELNS1_11target_archE1201ELNS1_3gpuE5ELNS1_3repE0EEENS1_30default_config_static_selectorELNS0_4arch9wavefront6targetE0EEEvT1_,comdat
	.protected	_ZN7rocprim17ROCPRIM_400000_NS6detail17trampoline_kernelINS0_14default_configENS1_27scan_by_key_config_selectorIifEEZZNS1_16scan_by_key_implILNS1_25lookback_scan_determinismE0ELb0ES3_N6thrust23THRUST_200600_302600_NS6detail15normal_iteratorINS9_10device_ptrIiEEEENSB_INSC_IfEEEESG_fNS9_4plusIvEENS9_8equal_toIvEEfEE10hipError_tPvRmT2_T3_T4_T5_mT6_T7_P12ihipStream_tbENKUlT_T0_E_clISt17integral_constantIbLb0EES11_EEDaSW_SX_EUlSW_E_NS1_11comp_targetILNS1_3genE10ELNS1_11target_archE1201ELNS1_3gpuE5ELNS1_3repE0EEENS1_30default_config_static_selectorELNS0_4arch9wavefront6targetE0EEEvT1_ ; -- Begin function _ZN7rocprim17ROCPRIM_400000_NS6detail17trampoline_kernelINS0_14default_configENS1_27scan_by_key_config_selectorIifEEZZNS1_16scan_by_key_implILNS1_25lookback_scan_determinismE0ELb0ES3_N6thrust23THRUST_200600_302600_NS6detail15normal_iteratorINS9_10device_ptrIiEEEENSB_INSC_IfEEEESG_fNS9_4plusIvEENS9_8equal_toIvEEfEE10hipError_tPvRmT2_T3_T4_T5_mT6_T7_P12ihipStream_tbENKUlT_T0_E_clISt17integral_constantIbLb0EES11_EEDaSW_SX_EUlSW_E_NS1_11comp_targetILNS1_3genE10ELNS1_11target_archE1201ELNS1_3gpuE5ELNS1_3repE0EEENS1_30default_config_static_selectorELNS0_4arch9wavefront6targetE0EEEvT1_
	.globl	_ZN7rocprim17ROCPRIM_400000_NS6detail17trampoline_kernelINS0_14default_configENS1_27scan_by_key_config_selectorIifEEZZNS1_16scan_by_key_implILNS1_25lookback_scan_determinismE0ELb0ES3_N6thrust23THRUST_200600_302600_NS6detail15normal_iteratorINS9_10device_ptrIiEEEENSB_INSC_IfEEEESG_fNS9_4plusIvEENS9_8equal_toIvEEfEE10hipError_tPvRmT2_T3_T4_T5_mT6_T7_P12ihipStream_tbENKUlT_T0_E_clISt17integral_constantIbLb0EES11_EEDaSW_SX_EUlSW_E_NS1_11comp_targetILNS1_3genE10ELNS1_11target_archE1201ELNS1_3gpuE5ELNS1_3repE0EEENS1_30default_config_static_selectorELNS0_4arch9wavefront6targetE0EEEvT1_
	.p2align	8
	.type	_ZN7rocprim17ROCPRIM_400000_NS6detail17trampoline_kernelINS0_14default_configENS1_27scan_by_key_config_selectorIifEEZZNS1_16scan_by_key_implILNS1_25lookback_scan_determinismE0ELb0ES3_N6thrust23THRUST_200600_302600_NS6detail15normal_iteratorINS9_10device_ptrIiEEEENSB_INSC_IfEEEESG_fNS9_4plusIvEENS9_8equal_toIvEEfEE10hipError_tPvRmT2_T3_T4_T5_mT6_T7_P12ihipStream_tbENKUlT_T0_E_clISt17integral_constantIbLb0EES11_EEDaSW_SX_EUlSW_E_NS1_11comp_targetILNS1_3genE10ELNS1_11target_archE1201ELNS1_3gpuE5ELNS1_3repE0EEENS1_30default_config_static_selectorELNS0_4arch9wavefront6targetE0EEEvT1_,@function
_ZN7rocprim17ROCPRIM_400000_NS6detail17trampoline_kernelINS0_14default_configENS1_27scan_by_key_config_selectorIifEEZZNS1_16scan_by_key_implILNS1_25lookback_scan_determinismE0ELb0ES3_N6thrust23THRUST_200600_302600_NS6detail15normal_iteratorINS9_10device_ptrIiEEEENSB_INSC_IfEEEESG_fNS9_4plusIvEENS9_8equal_toIvEEfEE10hipError_tPvRmT2_T3_T4_T5_mT6_T7_P12ihipStream_tbENKUlT_T0_E_clISt17integral_constantIbLb0EES11_EEDaSW_SX_EUlSW_E_NS1_11comp_targetILNS1_3genE10ELNS1_11target_archE1201ELNS1_3gpuE5ELNS1_3repE0EEENS1_30default_config_static_selectorELNS0_4arch9wavefront6targetE0EEEvT1_: ; @_ZN7rocprim17ROCPRIM_400000_NS6detail17trampoline_kernelINS0_14default_configENS1_27scan_by_key_config_selectorIifEEZZNS1_16scan_by_key_implILNS1_25lookback_scan_determinismE0ELb0ES3_N6thrust23THRUST_200600_302600_NS6detail15normal_iteratorINS9_10device_ptrIiEEEENSB_INSC_IfEEEESG_fNS9_4plusIvEENS9_8equal_toIvEEfEE10hipError_tPvRmT2_T3_T4_T5_mT6_T7_P12ihipStream_tbENKUlT_T0_E_clISt17integral_constantIbLb0EES11_EEDaSW_SX_EUlSW_E_NS1_11comp_targetILNS1_3genE10ELNS1_11target_archE1201ELNS1_3gpuE5ELNS1_3repE0EEENS1_30default_config_static_selectorELNS0_4arch9wavefront6targetE0EEEvT1_
; %bb.0:
	.section	.rodata,"a",@progbits
	.p2align	6, 0x0
	.amdhsa_kernel _ZN7rocprim17ROCPRIM_400000_NS6detail17trampoline_kernelINS0_14default_configENS1_27scan_by_key_config_selectorIifEEZZNS1_16scan_by_key_implILNS1_25lookback_scan_determinismE0ELb0ES3_N6thrust23THRUST_200600_302600_NS6detail15normal_iteratorINS9_10device_ptrIiEEEENSB_INSC_IfEEEESG_fNS9_4plusIvEENS9_8equal_toIvEEfEE10hipError_tPvRmT2_T3_T4_T5_mT6_T7_P12ihipStream_tbENKUlT_T0_E_clISt17integral_constantIbLb0EES11_EEDaSW_SX_EUlSW_E_NS1_11comp_targetILNS1_3genE10ELNS1_11target_archE1201ELNS1_3gpuE5ELNS1_3repE0EEENS1_30default_config_static_selectorELNS0_4arch9wavefront6targetE0EEEvT1_
		.amdhsa_group_segment_fixed_size 0
		.amdhsa_private_segment_fixed_size 0
		.amdhsa_kernarg_size 112
		.amdhsa_user_sgpr_count 6
		.amdhsa_user_sgpr_private_segment_buffer 1
		.amdhsa_user_sgpr_dispatch_ptr 0
		.amdhsa_user_sgpr_queue_ptr 0
		.amdhsa_user_sgpr_kernarg_segment_ptr 1
		.amdhsa_user_sgpr_dispatch_id 0
		.amdhsa_user_sgpr_flat_scratch_init 0
		.amdhsa_user_sgpr_private_segment_size 0
		.amdhsa_wavefront_size32 1
		.amdhsa_uses_dynamic_stack 0
		.amdhsa_system_sgpr_private_segment_wavefront_offset 0
		.amdhsa_system_sgpr_workgroup_id_x 1
		.amdhsa_system_sgpr_workgroup_id_y 0
		.amdhsa_system_sgpr_workgroup_id_z 0
		.amdhsa_system_sgpr_workgroup_info 0
		.amdhsa_system_vgpr_workitem_id 0
		.amdhsa_next_free_vgpr 1
		.amdhsa_next_free_sgpr 1
		.amdhsa_reserve_vcc 0
		.amdhsa_reserve_flat_scratch 0
		.amdhsa_float_round_mode_32 0
		.amdhsa_float_round_mode_16_64 0
		.amdhsa_float_denorm_mode_32 3
		.amdhsa_float_denorm_mode_16_64 3
		.amdhsa_dx10_clamp 1
		.amdhsa_ieee_mode 1
		.amdhsa_fp16_overflow 0
		.amdhsa_workgroup_processor_mode 1
		.amdhsa_memory_ordered 1
		.amdhsa_forward_progress 1
		.amdhsa_shared_vgpr_count 0
		.amdhsa_exception_fp_ieee_invalid_op 0
		.amdhsa_exception_fp_denorm_src 0
		.amdhsa_exception_fp_ieee_div_zero 0
		.amdhsa_exception_fp_ieee_overflow 0
		.amdhsa_exception_fp_ieee_underflow 0
		.amdhsa_exception_fp_ieee_inexact 0
		.amdhsa_exception_int_div_zero 0
	.end_amdhsa_kernel
	.section	.text._ZN7rocprim17ROCPRIM_400000_NS6detail17trampoline_kernelINS0_14default_configENS1_27scan_by_key_config_selectorIifEEZZNS1_16scan_by_key_implILNS1_25lookback_scan_determinismE0ELb0ES3_N6thrust23THRUST_200600_302600_NS6detail15normal_iteratorINS9_10device_ptrIiEEEENSB_INSC_IfEEEESG_fNS9_4plusIvEENS9_8equal_toIvEEfEE10hipError_tPvRmT2_T3_T4_T5_mT6_T7_P12ihipStream_tbENKUlT_T0_E_clISt17integral_constantIbLb0EES11_EEDaSW_SX_EUlSW_E_NS1_11comp_targetILNS1_3genE10ELNS1_11target_archE1201ELNS1_3gpuE5ELNS1_3repE0EEENS1_30default_config_static_selectorELNS0_4arch9wavefront6targetE0EEEvT1_,"axG",@progbits,_ZN7rocprim17ROCPRIM_400000_NS6detail17trampoline_kernelINS0_14default_configENS1_27scan_by_key_config_selectorIifEEZZNS1_16scan_by_key_implILNS1_25lookback_scan_determinismE0ELb0ES3_N6thrust23THRUST_200600_302600_NS6detail15normal_iteratorINS9_10device_ptrIiEEEENSB_INSC_IfEEEESG_fNS9_4plusIvEENS9_8equal_toIvEEfEE10hipError_tPvRmT2_T3_T4_T5_mT6_T7_P12ihipStream_tbENKUlT_T0_E_clISt17integral_constantIbLb0EES11_EEDaSW_SX_EUlSW_E_NS1_11comp_targetILNS1_3genE10ELNS1_11target_archE1201ELNS1_3gpuE5ELNS1_3repE0EEENS1_30default_config_static_selectorELNS0_4arch9wavefront6targetE0EEEvT1_,comdat
.Lfunc_end1131:
	.size	_ZN7rocprim17ROCPRIM_400000_NS6detail17trampoline_kernelINS0_14default_configENS1_27scan_by_key_config_selectorIifEEZZNS1_16scan_by_key_implILNS1_25lookback_scan_determinismE0ELb0ES3_N6thrust23THRUST_200600_302600_NS6detail15normal_iteratorINS9_10device_ptrIiEEEENSB_INSC_IfEEEESG_fNS9_4plusIvEENS9_8equal_toIvEEfEE10hipError_tPvRmT2_T3_T4_T5_mT6_T7_P12ihipStream_tbENKUlT_T0_E_clISt17integral_constantIbLb0EES11_EEDaSW_SX_EUlSW_E_NS1_11comp_targetILNS1_3genE10ELNS1_11target_archE1201ELNS1_3gpuE5ELNS1_3repE0EEENS1_30default_config_static_selectorELNS0_4arch9wavefront6targetE0EEEvT1_, .Lfunc_end1131-_ZN7rocprim17ROCPRIM_400000_NS6detail17trampoline_kernelINS0_14default_configENS1_27scan_by_key_config_selectorIifEEZZNS1_16scan_by_key_implILNS1_25lookback_scan_determinismE0ELb0ES3_N6thrust23THRUST_200600_302600_NS6detail15normal_iteratorINS9_10device_ptrIiEEEENSB_INSC_IfEEEESG_fNS9_4plusIvEENS9_8equal_toIvEEfEE10hipError_tPvRmT2_T3_T4_T5_mT6_T7_P12ihipStream_tbENKUlT_T0_E_clISt17integral_constantIbLb0EES11_EEDaSW_SX_EUlSW_E_NS1_11comp_targetILNS1_3genE10ELNS1_11target_archE1201ELNS1_3gpuE5ELNS1_3repE0EEENS1_30default_config_static_selectorELNS0_4arch9wavefront6targetE0EEEvT1_
                                        ; -- End function
	.set _ZN7rocprim17ROCPRIM_400000_NS6detail17trampoline_kernelINS0_14default_configENS1_27scan_by_key_config_selectorIifEEZZNS1_16scan_by_key_implILNS1_25lookback_scan_determinismE0ELb0ES3_N6thrust23THRUST_200600_302600_NS6detail15normal_iteratorINS9_10device_ptrIiEEEENSB_INSC_IfEEEESG_fNS9_4plusIvEENS9_8equal_toIvEEfEE10hipError_tPvRmT2_T3_T4_T5_mT6_T7_P12ihipStream_tbENKUlT_T0_E_clISt17integral_constantIbLb0EES11_EEDaSW_SX_EUlSW_E_NS1_11comp_targetILNS1_3genE10ELNS1_11target_archE1201ELNS1_3gpuE5ELNS1_3repE0EEENS1_30default_config_static_selectorELNS0_4arch9wavefront6targetE0EEEvT1_.num_vgpr, 0
	.set _ZN7rocprim17ROCPRIM_400000_NS6detail17trampoline_kernelINS0_14default_configENS1_27scan_by_key_config_selectorIifEEZZNS1_16scan_by_key_implILNS1_25lookback_scan_determinismE0ELb0ES3_N6thrust23THRUST_200600_302600_NS6detail15normal_iteratorINS9_10device_ptrIiEEEENSB_INSC_IfEEEESG_fNS9_4plusIvEENS9_8equal_toIvEEfEE10hipError_tPvRmT2_T3_T4_T5_mT6_T7_P12ihipStream_tbENKUlT_T0_E_clISt17integral_constantIbLb0EES11_EEDaSW_SX_EUlSW_E_NS1_11comp_targetILNS1_3genE10ELNS1_11target_archE1201ELNS1_3gpuE5ELNS1_3repE0EEENS1_30default_config_static_selectorELNS0_4arch9wavefront6targetE0EEEvT1_.num_agpr, 0
	.set _ZN7rocprim17ROCPRIM_400000_NS6detail17trampoline_kernelINS0_14default_configENS1_27scan_by_key_config_selectorIifEEZZNS1_16scan_by_key_implILNS1_25lookback_scan_determinismE0ELb0ES3_N6thrust23THRUST_200600_302600_NS6detail15normal_iteratorINS9_10device_ptrIiEEEENSB_INSC_IfEEEESG_fNS9_4plusIvEENS9_8equal_toIvEEfEE10hipError_tPvRmT2_T3_T4_T5_mT6_T7_P12ihipStream_tbENKUlT_T0_E_clISt17integral_constantIbLb0EES11_EEDaSW_SX_EUlSW_E_NS1_11comp_targetILNS1_3genE10ELNS1_11target_archE1201ELNS1_3gpuE5ELNS1_3repE0EEENS1_30default_config_static_selectorELNS0_4arch9wavefront6targetE0EEEvT1_.numbered_sgpr, 0
	.set _ZN7rocprim17ROCPRIM_400000_NS6detail17trampoline_kernelINS0_14default_configENS1_27scan_by_key_config_selectorIifEEZZNS1_16scan_by_key_implILNS1_25lookback_scan_determinismE0ELb0ES3_N6thrust23THRUST_200600_302600_NS6detail15normal_iteratorINS9_10device_ptrIiEEEENSB_INSC_IfEEEESG_fNS9_4plusIvEENS9_8equal_toIvEEfEE10hipError_tPvRmT2_T3_T4_T5_mT6_T7_P12ihipStream_tbENKUlT_T0_E_clISt17integral_constantIbLb0EES11_EEDaSW_SX_EUlSW_E_NS1_11comp_targetILNS1_3genE10ELNS1_11target_archE1201ELNS1_3gpuE5ELNS1_3repE0EEENS1_30default_config_static_selectorELNS0_4arch9wavefront6targetE0EEEvT1_.num_named_barrier, 0
	.set _ZN7rocprim17ROCPRIM_400000_NS6detail17trampoline_kernelINS0_14default_configENS1_27scan_by_key_config_selectorIifEEZZNS1_16scan_by_key_implILNS1_25lookback_scan_determinismE0ELb0ES3_N6thrust23THRUST_200600_302600_NS6detail15normal_iteratorINS9_10device_ptrIiEEEENSB_INSC_IfEEEESG_fNS9_4plusIvEENS9_8equal_toIvEEfEE10hipError_tPvRmT2_T3_T4_T5_mT6_T7_P12ihipStream_tbENKUlT_T0_E_clISt17integral_constantIbLb0EES11_EEDaSW_SX_EUlSW_E_NS1_11comp_targetILNS1_3genE10ELNS1_11target_archE1201ELNS1_3gpuE5ELNS1_3repE0EEENS1_30default_config_static_selectorELNS0_4arch9wavefront6targetE0EEEvT1_.private_seg_size, 0
	.set _ZN7rocprim17ROCPRIM_400000_NS6detail17trampoline_kernelINS0_14default_configENS1_27scan_by_key_config_selectorIifEEZZNS1_16scan_by_key_implILNS1_25lookback_scan_determinismE0ELb0ES3_N6thrust23THRUST_200600_302600_NS6detail15normal_iteratorINS9_10device_ptrIiEEEENSB_INSC_IfEEEESG_fNS9_4plusIvEENS9_8equal_toIvEEfEE10hipError_tPvRmT2_T3_T4_T5_mT6_T7_P12ihipStream_tbENKUlT_T0_E_clISt17integral_constantIbLb0EES11_EEDaSW_SX_EUlSW_E_NS1_11comp_targetILNS1_3genE10ELNS1_11target_archE1201ELNS1_3gpuE5ELNS1_3repE0EEENS1_30default_config_static_selectorELNS0_4arch9wavefront6targetE0EEEvT1_.uses_vcc, 0
	.set _ZN7rocprim17ROCPRIM_400000_NS6detail17trampoline_kernelINS0_14default_configENS1_27scan_by_key_config_selectorIifEEZZNS1_16scan_by_key_implILNS1_25lookback_scan_determinismE0ELb0ES3_N6thrust23THRUST_200600_302600_NS6detail15normal_iteratorINS9_10device_ptrIiEEEENSB_INSC_IfEEEESG_fNS9_4plusIvEENS9_8equal_toIvEEfEE10hipError_tPvRmT2_T3_T4_T5_mT6_T7_P12ihipStream_tbENKUlT_T0_E_clISt17integral_constantIbLb0EES11_EEDaSW_SX_EUlSW_E_NS1_11comp_targetILNS1_3genE10ELNS1_11target_archE1201ELNS1_3gpuE5ELNS1_3repE0EEENS1_30default_config_static_selectorELNS0_4arch9wavefront6targetE0EEEvT1_.uses_flat_scratch, 0
	.set _ZN7rocprim17ROCPRIM_400000_NS6detail17trampoline_kernelINS0_14default_configENS1_27scan_by_key_config_selectorIifEEZZNS1_16scan_by_key_implILNS1_25lookback_scan_determinismE0ELb0ES3_N6thrust23THRUST_200600_302600_NS6detail15normal_iteratorINS9_10device_ptrIiEEEENSB_INSC_IfEEEESG_fNS9_4plusIvEENS9_8equal_toIvEEfEE10hipError_tPvRmT2_T3_T4_T5_mT6_T7_P12ihipStream_tbENKUlT_T0_E_clISt17integral_constantIbLb0EES11_EEDaSW_SX_EUlSW_E_NS1_11comp_targetILNS1_3genE10ELNS1_11target_archE1201ELNS1_3gpuE5ELNS1_3repE0EEENS1_30default_config_static_selectorELNS0_4arch9wavefront6targetE0EEEvT1_.has_dyn_sized_stack, 0
	.set _ZN7rocprim17ROCPRIM_400000_NS6detail17trampoline_kernelINS0_14default_configENS1_27scan_by_key_config_selectorIifEEZZNS1_16scan_by_key_implILNS1_25lookback_scan_determinismE0ELb0ES3_N6thrust23THRUST_200600_302600_NS6detail15normal_iteratorINS9_10device_ptrIiEEEENSB_INSC_IfEEEESG_fNS9_4plusIvEENS9_8equal_toIvEEfEE10hipError_tPvRmT2_T3_T4_T5_mT6_T7_P12ihipStream_tbENKUlT_T0_E_clISt17integral_constantIbLb0EES11_EEDaSW_SX_EUlSW_E_NS1_11comp_targetILNS1_3genE10ELNS1_11target_archE1201ELNS1_3gpuE5ELNS1_3repE0EEENS1_30default_config_static_selectorELNS0_4arch9wavefront6targetE0EEEvT1_.has_recursion, 0
	.set _ZN7rocprim17ROCPRIM_400000_NS6detail17trampoline_kernelINS0_14default_configENS1_27scan_by_key_config_selectorIifEEZZNS1_16scan_by_key_implILNS1_25lookback_scan_determinismE0ELb0ES3_N6thrust23THRUST_200600_302600_NS6detail15normal_iteratorINS9_10device_ptrIiEEEENSB_INSC_IfEEEESG_fNS9_4plusIvEENS9_8equal_toIvEEfEE10hipError_tPvRmT2_T3_T4_T5_mT6_T7_P12ihipStream_tbENKUlT_T0_E_clISt17integral_constantIbLb0EES11_EEDaSW_SX_EUlSW_E_NS1_11comp_targetILNS1_3genE10ELNS1_11target_archE1201ELNS1_3gpuE5ELNS1_3repE0EEENS1_30default_config_static_selectorELNS0_4arch9wavefront6targetE0EEEvT1_.has_indirect_call, 0
	.section	.AMDGPU.csdata,"",@progbits
; Kernel info:
; codeLenInByte = 0
; TotalNumSgprs: 0
; NumVgprs: 0
; ScratchSize: 0
; MemoryBound: 0
; FloatMode: 240
; IeeeMode: 1
; LDSByteSize: 0 bytes/workgroup (compile time only)
; SGPRBlocks: 0
; VGPRBlocks: 0
; NumSGPRsForWavesPerEU: 1
; NumVGPRsForWavesPerEU: 1
; Occupancy: 16
; WaveLimiterHint : 0
; COMPUTE_PGM_RSRC2:SCRATCH_EN: 0
; COMPUTE_PGM_RSRC2:USER_SGPR: 6
; COMPUTE_PGM_RSRC2:TRAP_HANDLER: 0
; COMPUTE_PGM_RSRC2:TGID_X_EN: 1
; COMPUTE_PGM_RSRC2:TGID_Y_EN: 0
; COMPUTE_PGM_RSRC2:TGID_Z_EN: 0
; COMPUTE_PGM_RSRC2:TIDIG_COMP_CNT: 0
	.section	.text._ZN7rocprim17ROCPRIM_400000_NS6detail17trampoline_kernelINS0_14default_configENS1_27scan_by_key_config_selectorIifEEZZNS1_16scan_by_key_implILNS1_25lookback_scan_determinismE0ELb0ES3_N6thrust23THRUST_200600_302600_NS6detail15normal_iteratorINS9_10device_ptrIiEEEENSB_INSC_IfEEEESG_fNS9_4plusIvEENS9_8equal_toIvEEfEE10hipError_tPvRmT2_T3_T4_T5_mT6_T7_P12ihipStream_tbENKUlT_T0_E_clISt17integral_constantIbLb0EES11_EEDaSW_SX_EUlSW_E_NS1_11comp_targetILNS1_3genE5ELNS1_11target_archE942ELNS1_3gpuE9ELNS1_3repE0EEENS1_30default_config_static_selectorELNS0_4arch9wavefront6targetE0EEEvT1_,"axG",@progbits,_ZN7rocprim17ROCPRIM_400000_NS6detail17trampoline_kernelINS0_14default_configENS1_27scan_by_key_config_selectorIifEEZZNS1_16scan_by_key_implILNS1_25lookback_scan_determinismE0ELb0ES3_N6thrust23THRUST_200600_302600_NS6detail15normal_iteratorINS9_10device_ptrIiEEEENSB_INSC_IfEEEESG_fNS9_4plusIvEENS9_8equal_toIvEEfEE10hipError_tPvRmT2_T3_T4_T5_mT6_T7_P12ihipStream_tbENKUlT_T0_E_clISt17integral_constantIbLb0EES11_EEDaSW_SX_EUlSW_E_NS1_11comp_targetILNS1_3genE5ELNS1_11target_archE942ELNS1_3gpuE9ELNS1_3repE0EEENS1_30default_config_static_selectorELNS0_4arch9wavefront6targetE0EEEvT1_,comdat
	.protected	_ZN7rocprim17ROCPRIM_400000_NS6detail17trampoline_kernelINS0_14default_configENS1_27scan_by_key_config_selectorIifEEZZNS1_16scan_by_key_implILNS1_25lookback_scan_determinismE0ELb0ES3_N6thrust23THRUST_200600_302600_NS6detail15normal_iteratorINS9_10device_ptrIiEEEENSB_INSC_IfEEEESG_fNS9_4plusIvEENS9_8equal_toIvEEfEE10hipError_tPvRmT2_T3_T4_T5_mT6_T7_P12ihipStream_tbENKUlT_T0_E_clISt17integral_constantIbLb0EES11_EEDaSW_SX_EUlSW_E_NS1_11comp_targetILNS1_3genE5ELNS1_11target_archE942ELNS1_3gpuE9ELNS1_3repE0EEENS1_30default_config_static_selectorELNS0_4arch9wavefront6targetE0EEEvT1_ ; -- Begin function _ZN7rocprim17ROCPRIM_400000_NS6detail17trampoline_kernelINS0_14default_configENS1_27scan_by_key_config_selectorIifEEZZNS1_16scan_by_key_implILNS1_25lookback_scan_determinismE0ELb0ES3_N6thrust23THRUST_200600_302600_NS6detail15normal_iteratorINS9_10device_ptrIiEEEENSB_INSC_IfEEEESG_fNS9_4plusIvEENS9_8equal_toIvEEfEE10hipError_tPvRmT2_T3_T4_T5_mT6_T7_P12ihipStream_tbENKUlT_T0_E_clISt17integral_constantIbLb0EES11_EEDaSW_SX_EUlSW_E_NS1_11comp_targetILNS1_3genE5ELNS1_11target_archE942ELNS1_3gpuE9ELNS1_3repE0EEENS1_30default_config_static_selectorELNS0_4arch9wavefront6targetE0EEEvT1_
	.globl	_ZN7rocprim17ROCPRIM_400000_NS6detail17trampoline_kernelINS0_14default_configENS1_27scan_by_key_config_selectorIifEEZZNS1_16scan_by_key_implILNS1_25lookback_scan_determinismE0ELb0ES3_N6thrust23THRUST_200600_302600_NS6detail15normal_iteratorINS9_10device_ptrIiEEEENSB_INSC_IfEEEESG_fNS9_4plusIvEENS9_8equal_toIvEEfEE10hipError_tPvRmT2_T3_T4_T5_mT6_T7_P12ihipStream_tbENKUlT_T0_E_clISt17integral_constantIbLb0EES11_EEDaSW_SX_EUlSW_E_NS1_11comp_targetILNS1_3genE5ELNS1_11target_archE942ELNS1_3gpuE9ELNS1_3repE0EEENS1_30default_config_static_selectorELNS0_4arch9wavefront6targetE0EEEvT1_
	.p2align	8
	.type	_ZN7rocprim17ROCPRIM_400000_NS6detail17trampoline_kernelINS0_14default_configENS1_27scan_by_key_config_selectorIifEEZZNS1_16scan_by_key_implILNS1_25lookback_scan_determinismE0ELb0ES3_N6thrust23THRUST_200600_302600_NS6detail15normal_iteratorINS9_10device_ptrIiEEEENSB_INSC_IfEEEESG_fNS9_4plusIvEENS9_8equal_toIvEEfEE10hipError_tPvRmT2_T3_T4_T5_mT6_T7_P12ihipStream_tbENKUlT_T0_E_clISt17integral_constantIbLb0EES11_EEDaSW_SX_EUlSW_E_NS1_11comp_targetILNS1_3genE5ELNS1_11target_archE942ELNS1_3gpuE9ELNS1_3repE0EEENS1_30default_config_static_selectorELNS0_4arch9wavefront6targetE0EEEvT1_,@function
_ZN7rocprim17ROCPRIM_400000_NS6detail17trampoline_kernelINS0_14default_configENS1_27scan_by_key_config_selectorIifEEZZNS1_16scan_by_key_implILNS1_25lookback_scan_determinismE0ELb0ES3_N6thrust23THRUST_200600_302600_NS6detail15normal_iteratorINS9_10device_ptrIiEEEENSB_INSC_IfEEEESG_fNS9_4plusIvEENS9_8equal_toIvEEfEE10hipError_tPvRmT2_T3_T4_T5_mT6_T7_P12ihipStream_tbENKUlT_T0_E_clISt17integral_constantIbLb0EES11_EEDaSW_SX_EUlSW_E_NS1_11comp_targetILNS1_3genE5ELNS1_11target_archE942ELNS1_3gpuE9ELNS1_3repE0EEENS1_30default_config_static_selectorELNS0_4arch9wavefront6targetE0EEEvT1_: ; @_ZN7rocprim17ROCPRIM_400000_NS6detail17trampoline_kernelINS0_14default_configENS1_27scan_by_key_config_selectorIifEEZZNS1_16scan_by_key_implILNS1_25lookback_scan_determinismE0ELb0ES3_N6thrust23THRUST_200600_302600_NS6detail15normal_iteratorINS9_10device_ptrIiEEEENSB_INSC_IfEEEESG_fNS9_4plusIvEENS9_8equal_toIvEEfEE10hipError_tPvRmT2_T3_T4_T5_mT6_T7_P12ihipStream_tbENKUlT_T0_E_clISt17integral_constantIbLb0EES11_EEDaSW_SX_EUlSW_E_NS1_11comp_targetILNS1_3genE5ELNS1_11target_archE942ELNS1_3gpuE9ELNS1_3repE0EEENS1_30default_config_static_selectorELNS0_4arch9wavefront6targetE0EEEvT1_
; %bb.0:
	.section	.rodata,"a",@progbits
	.p2align	6, 0x0
	.amdhsa_kernel _ZN7rocprim17ROCPRIM_400000_NS6detail17trampoline_kernelINS0_14default_configENS1_27scan_by_key_config_selectorIifEEZZNS1_16scan_by_key_implILNS1_25lookback_scan_determinismE0ELb0ES3_N6thrust23THRUST_200600_302600_NS6detail15normal_iteratorINS9_10device_ptrIiEEEENSB_INSC_IfEEEESG_fNS9_4plusIvEENS9_8equal_toIvEEfEE10hipError_tPvRmT2_T3_T4_T5_mT6_T7_P12ihipStream_tbENKUlT_T0_E_clISt17integral_constantIbLb0EES11_EEDaSW_SX_EUlSW_E_NS1_11comp_targetILNS1_3genE5ELNS1_11target_archE942ELNS1_3gpuE9ELNS1_3repE0EEENS1_30default_config_static_selectorELNS0_4arch9wavefront6targetE0EEEvT1_
		.amdhsa_group_segment_fixed_size 0
		.amdhsa_private_segment_fixed_size 0
		.amdhsa_kernarg_size 112
		.amdhsa_user_sgpr_count 6
		.amdhsa_user_sgpr_private_segment_buffer 1
		.amdhsa_user_sgpr_dispatch_ptr 0
		.amdhsa_user_sgpr_queue_ptr 0
		.amdhsa_user_sgpr_kernarg_segment_ptr 1
		.amdhsa_user_sgpr_dispatch_id 0
		.amdhsa_user_sgpr_flat_scratch_init 0
		.amdhsa_user_sgpr_private_segment_size 0
		.amdhsa_wavefront_size32 1
		.amdhsa_uses_dynamic_stack 0
		.amdhsa_system_sgpr_private_segment_wavefront_offset 0
		.amdhsa_system_sgpr_workgroup_id_x 1
		.amdhsa_system_sgpr_workgroup_id_y 0
		.amdhsa_system_sgpr_workgroup_id_z 0
		.amdhsa_system_sgpr_workgroup_info 0
		.amdhsa_system_vgpr_workitem_id 0
		.amdhsa_next_free_vgpr 1
		.amdhsa_next_free_sgpr 1
		.amdhsa_reserve_vcc 0
		.amdhsa_reserve_flat_scratch 0
		.amdhsa_float_round_mode_32 0
		.amdhsa_float_round_mode_16_64 0
		.amdhsa_float_denorm_mode_32 3
		.amdhsa_float_denorm_mode_16_64 3
		.amdhsa_dx10_clamp 1
		.amdhsa_ieee_mode 1
		.amdhsa_fp16_overflow 0
		.amdhsa_workgroup_processor_mode 1
		.amdhsa_memory_ordered 1
		.amdhsa_forward_progress 1
		.amdhsa_shared_vgpr_count 0
		.amdhsa_exception_fp_ieee_invalid_op 0
		.amdhsa_exception_fp_denorm_src 0
		.amdhsa_exception_fp_ieee_div_zero 0
		.amdhsa_exception_fp_ieee_overflow 0
		.amdhsa_exception_fp_ieee_underflow 0
		.amdhsa_exception_fp_ieee_inexact 0
		.amdhsa_exception_int_div_zero 0
	.end_amdhsa_kernel
	.section	.text._ZN7rocprim17ROCPRIM_400000_NS6detail17trampoline_kernelINS0_14default_configENS1_27scan_by_key_config_selectorIifEEZZNS1_16scan_by_key_implILNS1_25lookback_scan_determinismE0ELb0ES3_N6thrust23THRUST_200600_302600_NS6detail15normal_iteratorINS9_10device_ptrIiEEEENSB_INSC_IfEEEESG_fNS9_4plusIvEENS9_8equal_toIvEEfEE10hipError_tPvRmT2_T3_T4_T5_mT6_T7_P12ihipStream_tbENKUlT_T0_E_clISt17integral_constantIbLb0EES11_EEDaSW_SX_EUlSW_E_NS1_11comp_targetILNS1_3genE5ELNS1_11target_archE942ELNS1_3gpuE9ELNS1_3repE0EEENS1_30default_config_static_selectorELNS0_4arch9wavefront6targetE0EEEvT1_,"axG",@progbits,_ZN7rocprim17ROCPRIM_400000_NS6detail17trampoline_kernelINS0_14default_configENS1_27scan_by_key_config_selectorIifEEZZNS1_16scan_by_key_implILNS1_25lookback_scan_determinismE0ELb0ES3_N6thrust23THRUST_200600_302600_NS6detail15normal_iteratorINS9_10device_ptrIiEEEENSB_INSC_IfEEEESG_fNS9_4plusIvEENS9_8equal_toIvEEfEE10hipError_tPvRmT2_T3_T4_T5_mT6_T7_P12ihipStream_tbENKUlT_T0_E_clISt17integral_constantIbLb0EES11_EEDaSW_SX_EUlSW_E_NS1_11comp_targetILNS1_3genE5ELNS1_11target_archE942ELNS1_3gpuE9ELNS1_3repE0EEENS1_30default_config_static_selectorELNS0_4arch9wavefront6targetE0EEEvT1_,comdat
.Lfunc_end1132:
	.size	_ZN7rocprim17ROCPRIM_400000_NS6detail17trampoline_kernelINS0_14default_configENS1_27scan_by_key_config_selectorIifEEZZNS1_16scan_by_key_implILNS1_25lookback_scan_determinismE0ELb0ES3_N6thrust23THRUST_200600_302600_NS6detail15normal_iteratorINS9_10device_ptrIiEEEENSB_INSC_IfEEEESG_fNS9_4plusIvEENS9_8equal_toIvEEfEE10hipError_tPvRmT2_T3_T4_T5_mT6_T7_P12ihipStream_tbENKUlT_T0_E_clISt17integral_constantIbLb0EES11_EEDaSW_SX_EUlSW_E_NS1_11comp_targetILNS1_3genE5ELNS1_11target_archE942ELNS1_3gpuE9ELNS1_3repE0EEENS1_30default_config_static_selectorELNS0_4arch9wavefront6targetE0EEEvT1_, .Lfunc_end1132-_ZN7rocprim17ROCPRIM_400000_NS6detail17trampoline_kernelINS0_14default_configENS1_27scan_by_key_config_selectorIifEEZZNS1_16scan_by_key_implILNS1_25lookback_scan_determinismE0ELb0ES3_N6thrust23THRUST_200600_302600_NS6detail15normal_iteratorINS9_10device_ptrIiEEEENSB_INSC_IfEEEESG_fNS9_4plusIvEENS9_8equal_toIvEEfEE10hipError_tPvRmT2_T3_T4_T5_mT6_T7_P12ihipStream_tbENKUlT_T0_E_clISt17integral_constantIbLb0EES11_EEDaSW_SX_EUlSW_E_NS1_11comp_targetILNS1_3genE5ELNS1_11target_archE942ELNS1_3gpuE9ELNS1_3repE0EEENS1_30default_config_static_selectorELNS0_4arch9wavefront6targetE0EEEvT1_
                                        ; -- End function
	.set _ZN7rocprim17ROCPRIM_400000_NS6detail17trampoline_kernelINS0_14default_configENS1_27scan_by_key_config_selectorIifEEZZNS1_16scan_by_key_implILNS1_25lookback_scan_determinismE0ELb0ES3_N6thrust23THRUST_200600_302600_NS6detail15normal_iteratorINS9_10device_ptrIiEEEENSB_INSC_IfEEEESG_fNS9_4plusIvEENS9_8equal_toIvEEfEE10hipError_tPvRmT2_T3_T4_T5_mT6_T7_P12ihipStream_tbENKUlT_T0_E_clISt17integral_constantIbLb0EES11_EEDaSW_SX_EUlSW_E_NS1_11comp_targetILNS1_3genE5ELNS1_11target_archE942ELNS1_3gpuE9ELNS1_3repE0EEENS1_30default_config_static_selectorELNS0_4arch9wavefront6targetE0EEEvT1_.num_vgpr, 0
	.set _ZN7rocprim17ROCPRIM_400000_NS6detail17trampoline_kernelINS0_14default_configENS1_27scan_by_key_config_selectorIifEEZZNS1_16scan_by_key_implILNS1_25lookback_scan_determinismE0ELb0ES3_N6thrust23THRUST_200600_302600_NS6detail15normal_iteratorINS9_10device_ptrIiEEEENSB_INSC_IfEEEESG_fNS9_4plusIvEENS9_8equal_toIvEEfEE10hipError_tPvRmT2_T3_T4_T5_mT6_T7_P12ihipStream_tbENKUlT_T0_E_clISt17integral_constantIbLb0EES11_EEDaSW_SX_EUlSW_E_NS1_11comp_targetILNS1_3genE5ELNS1_11target_archE942ELNS1_3gpuE9ELNS1_3repE0EEENS1_30default_config_static_selectorELNS0_4arch9wavefront6targetE0EEEvT1_.num_agpr, 0
	.set _ZN7rocprim17ROCPRIM_400000_NS6detail17trampoline_kernelINS0_14default_configENS1_27scan_by_key_config_selectorIifEEZZNS1_16scan_by_key_implILNS1_25lookback_scan_determinismE0ELb0ES3_N6thrust23THRUST_200600_302600_NS6detail15normal_iteratorINS9_10device_ptrIiEEEENSB_INSC_IfEEEESG_fNS9_4plusIvEENS9_8equal_toIvEEfEE10hipError_tPvRmT2_T3_T4_T5_mT6_T7_P12ihipStream_tbENKUlT_T0_E_clISt17integral_constantIbLb0EES11_EEDaSW_SX_EUlSW_E_NS1_11comp_targetILNS1_3genE5ELNS1_11target_archE942ELNS1_3gpuE9ELNS1_3repE0EEENS1_30default_config_static_selectorELNS0_4arch9wavefront6targetE0EEEvT1_.numbered_sgpr, 0
	.set _ZN7rocprim17ROCPRIM_400000_NS6detail17trampoline_kernelINS0_14default_configENS1_27scan_by_key_config_selectorIifEEZZNS1_16scan_by_key_implILNS1_25lookback_scan_determinismE0ELb0ES3_N6thrust23THRUST_200600_302600_NS6detail15normal_iteratorINS9_10device_ptrIiEEEENSB_INSC_IfEEEESG_fNS9_4plusIvEENS9_8equal_toIvEEfEE10hipError_tPvRmT2_T3_T4_T5_mT6_T7_P12ihipStream_tbENKUlT_T0_E_clISt17integral_constantIbLb0EES11_EEDaSW_SX_EUlSW_E_NS1_11comp_targetILNS1_3genE5ELNS1_11target_archE942ELNS1_3gpuE9ELNS1_3repE0EEENS1_30default_config_static_selectorELNS0_4arch9wavefront6targetE0EEEvT1_.num_named_barrier, 0
	.set _ZN7rocprim17ROCPRIM_400000_NS6detail17trampoline_kernelINS0_14default_configENS1_27scan_by_key_config_selectorIifEEZZNS1_16scan_by_key_implILNS1_25lookback_scan_determinismE0ELb0ES3_N6thrust23THRUST_200600_302600_NS6detail15normal_iteratorINS9_10device_ptrIiEEEENSB_INSC_IfEEEESG_fNS9_4plusIvEENS9_8equal_toIvEEfEE10hipError_tPvRmT2_T3_T4_T5_mT6_T7_P12ihipStream_tbENKUlT_T0_E_clISt17integral_constantIbLb0EES11_EEDaSW_SX_EUlSW_E_NS1_11comp_targetILNS1_3genE5ELNS1_11target_archE942ELNS1_3gpuE9ELNS1_3repE0EEENS1_30default_config_static_selectorELNS0_4arch9wavefront6targetE0EEEvT1_.private_seg_size, 0
	.set _ZN7rocprim17ROCPRIM_400000_NS6detail17trampoline_kernelINS0_14default_configENS1_27scan_by_key_config_selectorIifEEZZNS1_16scan_by_key_implILNS1_25lookback_scan_determinismE0ELb0ES3_N6thrust23THRUST_200600_302600_NS6detail15normal_iteratorINS9_10device_ptrIiEEEENSB_INSC_IfEEEESG_fNS9_4plusIvEENS9_8equal_toIvEEfEE10hipError_tPvRmT2_T3_T4_T5_mT6_T7_P12ihipStream_tbENKUlT_T0_E_clISt17integral_constantIbLb0EES11_EEDaSW_SX_EUlSW_E_NS1_11comp_targetILNS1_3genE5ELNS1_11target_archE942ELNS1_3gpuE9ELNS1_3repE0EEENS1_30default_config_static_selectorELNS0_4arch9wavefront6targetE0EEEvT1_.uses_vcc, 0
	.set _ZN7rocprim17ROCPRIM_400000_NS6detail17trampoline_kernelINS0_14default_configENS1_27scan_by_key_config_selectorIifEEZZNS1_16scan_by_key_implILNS1_25lookback_scan_determinismE0ELb0ES3_N6thrust23THRUST_200600_302600_NS6detail15normal_iteratorINS9_10device_ptrIiEEEENSB_INSC_IfEEEESG_fNS9_4plusIvEENS9_8equal_toIvEEfEE10hipError_tPvRmT2_T3_T4_T5_mT6_T7_P12ihipStream_tbENKUlT_T0_E_clISt17integral_constantIbLb0EES11_EEDaSW_SX_EUlSW_E_NS1_11comp_targetILNS1_3genE5ELNS1_11target_archE942ELNS1_3gpuE9ELNS1_3repE0EEENS1_30default_config_static_selectorELNS0_4arch9wavefront6targetE0EEEvT1_.uses_flat_scratch, 0
	.set _ZN7rocprim17ROCPRIM_400000_NS6detail17trampoline_kernelINS0_14default_configENS1_27scan_by_key_config_selectorIifEEZZNS1_16scan_by_key_implILNS1_25lookback_scan_determinismE0ELb0ES3_N6thrust23THRUST_200600_302600_NS6detail15normal_iteratorINS9_10device_ptrIiEEEENSB_INSC_IfEEEESG_fNS9_4plusIvEENS9_8equal_toIvEEfEE10hipError_tPvRmT2_T3_T4_T5_mT6_T7_P12ihipStream_tbENKUlT_T0_E_clISt17integral_constantIbLb0EES11_EEDaSW_SX_EUlSW_E_NS1_11comp_targetILNS1_3genE5ELNS1_11target_archE942ELNS1_3gpuE9ELNS1_3repE0EEENS1_30default_config_static_selectorELNS0_4arch9wavefront6targetE0EEEvT1_.has_dyn_sized_stack, 0
	.set _ZN7rocprim17ROCPRIM_400000_NS6detail17trampoline_kernelINS0_14default_configENS1_27scan_by_key_config_selectorIifEEZZNS1_16scan_by_key_implILNS1_25lookback_scan_determinismE0ELb0ES3_N6thrust23THRUST_200600_302600_NS6detail15normal_iteratorINS9_10device_ptrIiEEEENSB_INSC_IfEEEESG_fNS9_4plusIvEENS9_8equal_toIvEEfEE10hipError_tPvRmT2_T3_T4_T5_mT6_T7_P12ihipStream_tbENKUlT_T0_E_clISt17integral_constantIbLb0EES11_EEDaSW_SX_EUlSW_E_NS1_11comp_targetILNS1_3genE5ELNS1_11target_archE942ELNS1_3gpuE9ELNS1_3repE0EEENS1_30default_config_static_selectorELNS0_4arch9wavefront6targetE0EEEvT1_.has_recursion, 0
	.set _ZN7rocprim17ROCPRIM_400000_NS6detail17trampoline_kernelINS0_14default_configENS1_27scan_by_key_config_selectorIifEEZZNS1_16scan_by_key_implILNS1_25lookback_scan_determinismE0ELb0ES3_N6thrust23THRUST_200600_302600_NS6detail15normal_iteratorINS9_10device_ptrIiEEEENSB_INSC_IfEEEESG_fNS9_4plusIvEENS9_8equal_toIvEEfEE10hipError_tPvRmT2_T3_T4_T5_mT6_T7_P12ihipStream_tbENKUlT_T0_E_clISt17integral_constantIbLb0EES11_EEDaSW_SX_EUlSW_E_NS1_11comp_targetILNS1_3genE5ELNS1_11target_archE942ELNS1_3gpuE9ELNS1_3repE0EEENS1_30default_config_static_selectorELNS0_4arch9wavefront6targetE0EEEvT1_.has_indirect_call, 0
	.section	.AMDGPU.csdata,"",@progbits
; Kernel info:
; codeLenInByte = 0
; TotalNumSgprs: 0
; NumVgprs: 0
; ScratchSize: 0
; MemoryBound: 0
; FloatMode: 240
; IeeeMode: 1
; LDSByteSize: 0 bytes/workgroup (compile time only)
; SGPRBlocks: 0
; VGPRBlocks: 0
; NumSGPRsForWavesPerEU: 1
; NumVGPRsForWavesPerEU: 1
; Occupancy: 16
; WaveLimiterHint : 0
; COMPUTE_PGM_RSRC2:SCRATCH_EN: 0
; COMPUTE_PGM_RSRC2:USER_SGPR: 6
; COMPUTE_PGM_RSRC2:TRAP_HANDLER: 0
; COMPUTE_PGM_RSRC2:TGID_X_EN: 1
; COMPUTE_PGM_RSRC2:TGID_Y_EN: 0
; COMPUTE_PGM_RSRC2:TGID_Z_EN: 0
; COMPUTE_PGM_RSRC2:TIDIG_COMP_CNT: 0
	.section	.text._ZN7rocprim17ROCPRIM_400000_NS6detail17trampoline_kernelINS0_14default_configENS1_27scan_by_key_config_selectorIifEEZZNS1_16scan_by_key_implILNS1_25lookback_scan_determinismE0ELb0ES3_N6thrust23THRUST_200600_302600_NS6detail15normal_iteratorINS9_10device_ptrIiEEEENSB_INSC_IfEEEESG_fNS9_4plusIvEENS9_8equal_toIvEEfEE10hipError_tPvRmT2_T3_T4_T5_mT6_T7_P12ihipStream_tbENKUlT_T0_E_clISt17integral_constantIbLb0EES11_EEDaSW_SX_EUlSW_E_NS1_11comp_targetILNS1_3genE4ELNS1_11target_archE910ELNS1_3gpuE8ELNS1_3repE0EEENS1_30default_config_static_selectorELNS0_4arch9wavefront6targetE0EEEvT1_,"axG",@progbits,_ZN7rocprim17ROCPRIM_400000_NS6detail17trampoline_kernelINS0_14default_configENS1_27scan_by_key_config_selectorIifEEZZNS1_16scan_by_key_implILNS1_25lookback_scan_determinismE0ELb0ES3_N6thrust23THRUST_200600_302600_NS6detail15normal_iteratorINS9_10device_ptrIiEEEENSB_INSC_IfEEEESG_fNS9_4plusIvEENS9_8equal_toIvEEfEE10hipError_tPvRmT2_T3_T4_T5_mT6_T7_P12ihipStream_tbENKUlT_T0_E_clISt17integral_constantIbLb0EES11_EEDaSW_SX_EUlSW_E_NS1_11comp_targetILNS1_3genE4ELNS1_11target_archE910ELNS1_3gpuE8ELNS1_3repE0EEENS1_30default_config_static_selectorELNS0_4arch9wavefront6targetE0EEEvT1_,comdat
	.protected	_ZN7rocprim17ROCPRIM_400000_NS6detail17trampoline_kernelINS0_14default_configENS1_27scan_by_key_config_selectorIifEEZZNS1_16scan_by_key_implILNS1_25lookback_scan_determinismE0ELb0ES3_N6thrust23THRUST_200600_302600_NS6detail15normal_iteratorINS9_10device_ptrIiEEEENSB_INSC_IfEEEESG_fNS9_4plusIvEENS9_8equal_toIvEEfEE10hipError_tPvRmT2_T3_T4_T5_mT6_T7_P12ihipStream_tbENKUlT_T0_E_clISt17integral_constantIbLb0EES11_EEDaSW_SX_EUlSW_E_NS1_11comp_targetILNS1_3genE4ELNS1_11target_archE910ELNS1_3gpuE8ELNS1_3repE0EEENS1_30default_config_static_selectorELNS0_4arch9wavefront6targetE0EEEvT1_ ; -- Begin function _ZN7rocprim17ROCPRIM_400000_NS6detail17trampoline_kernelINS0_14default_configENS1_27scan_by_key_config_selectorIifEEZZNS1_16scan_by_key_implILNS1_25lookback_scan_determinismE0ELb0ES3_N6thrust23THRUST_200600_302600_NS6detail15normal_iteratorINS9_10device_ptrIiEEEENSB_INSC_IfEEEESG_fNS9_4plusIvEENS9_8equal_toIvEEfEE10hipError_tPvRmT2_T3_T4_T5_mT6_T7_P12ihipStream_tbENKUlT_T0_E_clISt17integral_constantIbLb0EES11_EEDaSW_SX_EUlSW_E_NS1_11comp_targetILNS1_3genE4ELNS1_11target_archE910ELNS1_3gpuE8ELNS1_3repE0EEENS1_30default_config_static_selectorELNS0_4arch9wavefront6targetE0EEEvT1_
	.globl	_ZN7rocprim17ROCPRIM_400000_NS6detail17trampoline_kernelINS0_14default_configENS1_27scan_by_key_config_selectorIifEEZZNS1_16scan_by_key_implILNS1_25lookback_scan_determinismE0ELb0ES3_N6thrust23THRUST_200600_302600_NS6detail15normal_iteratorINS9_10device_ptrIiEEEENSB_INSC_IfEEEESG_fNS9_4plusIvEENS9_8equal_toIvEEfEE10hipError_tPvRmT2_T3_T4_T5_mT6_T7_P12ihipStream_tbENKUlT_T0_E_clISt17integral_constantIbLb0EES11_EEDaSW_SX_EUlSW_E_NS1_11comp_targetILNS1_3genE4ELNS1_11target_archE910ELNS1_3gpuE8ELNS1_3repE0EEENS1_30default_config_static_selectorELNS0_4arch9wavefront6targetE0EEEvT1_
	.p2align	8
	.type	_ZN7rocprim17ROCPRIM_400000_NS6detail17trampoline_kernelINS0_14default_configENS1_27scan_by_key_config_selectorIifEEZZNS1_16scan_by_key_implILNS1_25lookback_scan_determinismE0ELb0ES3_N6thrust23THRUST_200600_302600_NS6detail15normal_iteratorINS9_10device_ptrIiEEEENSB_INSC_IfEEEESG_fNS9_4plusIvEENS9_8equal_toIvEEfEE10hipError_tPvRmT2_T3_T4_T5_mT6_T7_P12ihipStream_tbENKUlT_T0_E_clISt17integral_constantIbLb0EES11_EEDaSW_SX_EUlSW_E_NS1_11comp_targetILNS1_3genE4ELNS1_11target_archE910ELNS1_3gpuE8ELNS1_3repE0EEENS1_30default_config_static_selectorELNS0_4arch9wavefront6targetE0EEEvT1_,@function
_ZN7rocprim17ROCPRIM_400000_NS6detail17trampoline_kernelINS0_14default_configENS1_27scan_by_key_config_selectorIifEEZZNS1_16scan_by_key_implILNS1_25lookback_scan_determinismE0ELb0ES3_N6thrust23THRUST_200600_302600_NS6detail15normal_iteratorINS9_10device_ptrIiEEEENSB_INSC_IfEEEESG_fNS9_4plusIvEENS9_8equal_toIvEEfEE10hipError_tPvRmT2_T3_T4_T5_mT6_T7_P12ihipStream_tbENKUlT_T0_E_clISt17integral_constantIbLb0EES11_EEDaSW_SX_EUlSW_E_NS1_11comp_targetILNS1_3genE4ELNS1_11target_archE910ELNS1_3gpuE8ELNS1_3repE0EEENS1_30default_config_static_selectorELNS0_4arch9wavefront6targetE0EEEvT1_: ; @_ZN7rocprim17ROCPRIM_400000_NS6detail17trampoline_kernelINS0_14default_configENS1_27scan_by_key_config_selectorIifEEZZNS1_16scan_by_key_implILNS1_25lookback_scan_determinismE0ELb0ES3_N6thrust23THRUST_200600_302600_NS6detail15normal_iteratorINS9_10device_ptrIiEEEENSB_INSC_IfEEEESG_fNS9_4plusIvEENS9_8equal_toIvEEfEE10hipError_tPvRmT2_T3_T4_T5_mT6_T7_P12ihipStream_tbENKUlT_T0_E_clISt17integral_constantIbLb0EES11_EEDaSW_SX_EUlSW_E_NS1_11comp_targetILNS1_3genE4ELNS1_11target_archE910ELNS1_3gpuE8ELNS1_3repE0EEENS1_30default_config_static_selectorELNS0_4arch9wavefront6targetE0EEEvT1_
; %bb.0:
	.section	.rodata,"a",@progbits
	.p2align	6, 0x0
	.amdhsa_kernel _ZN7rocprim17ROCPRIM_400000_NS6detail17trampoline_kernelINS0_14default_configENS1_27scan_by_key_config_selectorIifEEZZNS1_16scan_by_key_implILNS1_25lookback_scan_determinismE0ELb0ES3_N6thrust23THRUST_200600_302600_NS6detail15normal_iteratorINS9_10device_ptrIiEEEENSB_INSC_IfEEEESG_fNS9_4plusIvEENS9_8equal_toIvEEfEE10hipError_tPvRmT2_T3_T4_T5_mT6_T7_P12ihipStream_tbENKUlT_T0_E_clISt17integral_constantIbLb0EES11_EEDaSW_SX_EUlSW_E_NS1_11comp_targetILNS1_3genE4ELNS1_11target_archE910ELNS1_3gpuE8ELNS1_3repE0EEENS1_30default_config_static_selectorELNS0_4arch9wavefront6targetE0EEEvT1_
		.amdhsa_group_segment_fixed_size 0
		.amdhsa_private_segment_fixed_size 0
		.amdhsa_kernarg_size 112
		.amdhsa_user_sgpr_count 6
		.amdhsa_user_sgpr_private_segment_buffer 1
		.amdhsa_user_sgpr_dispatch_ptr 0
		.amdhsa_user_sgpr_queue_ptr 0
		.amdhsa_user_sgpr_kernarg_segment_ptr 1
		.amdhsa_user_sgpr_dispatch_id 0
		.amdhsa_user_sgpr_flat_scratch_init 0
		.amdhsa_user_sgpr_private_segment_size 0
		.amdhsa_wavefront_size32 1
		.amdhsa_uses_dynamic_stack 0
		.amdhsa_system_sgpr_private_segment_wavefront_offset 0
		.amdhsa_system_sgpr_workgroup_id_x 1
		.amdhsa_system_sgpr_workgroup_id_y 0
		.amdhsa_system_sgpr_workgroup_id_z 0
		.amdhsa_system_sgpr_workgroup_info 0
		.amdhsa_system_vgpr_workitem_id 0
		.amdhsa_next_free_vgpr 1
		.amdhsa_next_free_sgpr 1
		.amdhsa_reserve_vcc 0
		.amdhsa_reserve_flat_scratch 0
		.amdhsa_float_round_mode_32 0
		.amdhsa_float_round_mode_16_64 0
		.amdhsa_float_denorm_mode_32 3
		.amdhsa_float_denorm_mode_16_64 3
		.amdhsa_dx10_clamp 1
		.amdhsa_ieee_mode 1
		.amdhsa_fp16_overflow 0
		.amdhsa_workgroup_processor_mode 1
		.amdhsa_memory_ordered 1
		.amdhsa_forward_progress 1
		.amdhsa_shared_vgpr_count 0
		.amdhsa_exception_fp_ieee_invalid_op 0
		.amdhsa_exception_fp_denorm_src 0
		.amdhsa_exception_fp_ieee_div_zero 0
		.amdhsa_exception_fp_ieee_overflow 0
		.amdhsa_exception_fp_ieee_underflow 0
		.amdhsa_exception_fp_ieee_inexact 0
		.amdhsa_exception_int_div_zero 0
	.end_amdhsa_kernel
	.section	.text._ZN7rocprim17ROCPRIM_400000_NS6detail17trampoline_kernelINS0_14default_configENS1_27scan_by_key_config_selectorIifEEZZNS1_16scan_by_key_implILNS1_25lookback_scan_determinismE0ELb0ES3_N6thrust23THRUST_200600_302600_NS6detail15normal_iteratorINS9_10device_ptrIiEEEENSB_INSC_IfEEEESG_fNS9_4plusIvEENS9_8equal_toIvEEfEE10hipError_tPvRmT2_T3_T4_T5_mT6_T7_P12ihipStream_tbENKUlT_T0_E_clISt17integral_constantIbLb0EES11_EEDaSW_SX_EUlSW_E_NS1_11comp_targetILNS1_3genE4ELNS1_11target_archE910ELNS1_3gpuE8ELNS1_3repE0EEENS1_30default_config_static_selectorELNS0_4arch9wavefront6targetE0EEEvT1_,"axG",@progbits,_ZN7rocprim17ROCPRIM_400000_NS6detail17trampoline_kernelINS0_14default_configENS1_27scan_by_key_config_selectorIifEEZZNS1_16scan_by_key_implILNS1_25lookback_scan_determinismE0ELb0ES3_N6thrust23THRUST_200600_302600_NS6detail15normal_iteratorINS9_10device_ptrIiEEEENSB_INSC_IfEEEESG_fNS9_4plusIvEENS9_8equal_toIvEEfEE10hipError_tPvRmT2_T3_T4_T5_mT6_T7_P12ihipStream_tbENKUlT_T0_E_clISt17integral_constantIbLb0EES11_EEDaSW_SX_EUlSW_E_NS1_11comp_targetILNS1_3genE4ELNS1_11target_archE910ELNS1_3gpuE8ELNS1_3repE0EEENS1_30default_config_static_selectorELNS0_4arch9wavefront6targetE0EEEvT1_,comdat
.Lfunc_end1133:
	.size	_ZN7rocprim17ROCPRIM_400000_NS6detail17trampoline_kernelINS0_14default_configENS1_27scan_by_key_config_selectorIifEEZZNS1_16scan_by_key_implILNS1_25lookback_scan_determinismE0ELb0ES3_N6thrust23THRUST_200600_302600_NS6detail15normal_iteratorINS9_10device_ptrIiEEEENSB_INSC_IfEEEESG_fNS9_4plusIvEENS9_8equal_toIvEEfEE10hipError_tPvRmT2_T3_T4_T5_mT6_T7_P12ihipStream_tbENKUlT_T0_E_clISt17integral_constantIbLb0EES11_EEDaSW_SX_EUlSW_E_NS1_11comp_targetILNS1_3genE4ELNS1_11target_archE910ELNS1_3gpuE8ELNS1_3repE0EEENS1_30default_config_static_selectorELNS0_4arch9wavefront6targetE0EEEvT1_, .Lfunc_end1133-_ZN7rocprim17ROCPRIM_400000_NS6detail17trampoline_kernelINS0_14default_configENS1_27scan_by_key_config_selectorIifEEZZNS1_16scan_by_key_implILNS1_25lookback_scan_determinismE0ELb0ES3_N6thrust23THRUST_200600_302600_NS6detail15normal_iteratorINS9_10device_ptrIiEEEENSB_INSC_IfEEEESG_fNS9_4plusIvEENS9_8equal_toIvEEfEE10hipError_tPvRmT2_T3_T4_T5_mT6_T7_P12ihipStream_tbENKUlT_T0_E_clISt17integral_constantIbLb0EES11_EEDaSW_SX_EUlSW_E_NS1_11comp_targetILNS1_3genE4ELNS1_11target_archE910ELNS1_3gpuE8ELNS1_3repE0EEENS1_30default_config_static_selectorELNS0_4arch9wavefront6targetE0EEEvT1_
                                        ; -- End function
	.set _ZN7rocprim17ROCPRIM_400000_NS6detail17trampoline_kernelINS0_14default_configENS1_27scan_by_key_config_selectorIifEEZZNS1_16scan_by_key_implILNS1_25lookback_scan_determinismE0ELb0ES3_N6thrust23THRUST_200600_302600_NS6detail15normal_iteratorINS9_10device_ptrIiEEEENSB_INSC_IfEEEESG_fNS9_4plusIvEENS9_8equal_toIvEEfEE10hipError_tPvRmT2_T3_T4_T5_mT6_T7_P12ihipStream_tbENKUlT_T0_E_clISt17integral_constantIbLb0EES11_EEDaSW_SX_EUlSW_E_NS1_11comp_targetILNS1_3genE4ELNS1_11target_archE910ELNS1_3gpuE8ELNS1_3repE0EEENS1_30default_config_static_selectorELNS0_4arch9wavefront6targetE0EEEvT1_.num_vgpr, 0
	.set _ZN7rocprim17ROCPRIM_400000_NS6detail17trampoline_kernelINS0_14default_configENS1_27scan_by_key_config_selectorIifEEZZNS1_16scan_by_key_implILNS1_25lookback_scan_determinismE0ELb0ES3_N6thrust23THRUST_200600_302600_NS6detail15normal_iteratorINS9_10device_ptrIiEEEENSB_INSC_IfEEEESG_fNS9_4plusIvEENS9_8equal_toIvEEfEE10hipError_tPvRmT2_T3_T4_T5_mT6_T7_P12ihipStream_tbENKUlT_T0_E_clISt17integral_constantIbLb0EES11_EEDaSW_SX_EUlSW_E_NS1_11comp_targetILNS1_3genE4ELNS1_11target_archE910ELNS1_3gpuE8ELNS1_3repE0EEENS1_30default_config_static_selectorELNS0_4arch9wavefront6targetE0EEEvT1_.num_agpr, 0
	.set _ZN7rocprim17ROCPRIM_400000_NS6detail17trampoline_kernelINS0_14default_configENS1_27scan_by_key_config_selectorIifEEZZNS1_16scan_by_key_implILNS1_25lookback_scan_determinismE0ELb0ES3_N6thrust23THRUST_200600_302600_NS6detail15normal_iteratorINS9_10device_ptrIiEEEENSB_INSC_IfEEEESG_fNS9_4plusIvEENS9_8equal_toIvEEfEE10hipError_tPvRmT2_T3_T4_T5_mT6_T7_P12ihipStream_tbENKUlT_T0_E_clISt17integral_constantIbLb0EES11_EEDaSW_SX_EUlSW_E_NS1_11comp_targetILNS1_3genE4ELNS1_11target_archE910ELNS1_3gpuE8ELNS1_3repE0EEENS1_30default_config_static_selectorELNS0_4arch9wavefront6targetE0EEEvT1_.numbered_sgpr, 0
	.set _ZN7rocprim17ROCPRIM_400000_NS6detail17trampoline_kernelINS0_14default_configENS1_27scan_by_key_config_selectorIifEEZZNS1_16scan_by_key_implILNS1_25lookback_scan_determinismE0ELb0ES3_N6thrust23THRUST_200600_302600_NS6detail15normal_iteratorINS9_10device_ptrIiEEEENSB_INSC_IfEEEESG_fNS9_4plusIvEENS9_8equal_toIvEEfEE10hipError_tPvRmT2_T3_T4_T5_mT6_T7_P12ihipStream_tbENKUlT_T0_E_clISt17integral_constantIbLb0EES11_EEDaSW_SX_EUlSW_E_NS1_11comp_targetILNS1_3genE4ELNS1_11target_archE910ELNS1_3gpuE8ELNS1_3repE0EEENS1_30default_config_static_selectorELNS0_4arch9wavefront6targetE0EEEvT1_.num_named_barrier, 0
	.set _ZN7rocprim17ROCPRIM_400000_NS6detail17trampoline_kernelINS0_14default_configENS1_27scan_by_key_config_selectorIifEEZZNS1_16scan_by_key_implILNS1_25lookback_scan_determinismE0ELb0ES3_N6thrust23THRUST_200600_302600_NS6detail15normal_iteratorINS9_10device_ptrIiEEEENSB_INSC_IfEEEESG_fNS9_4plusIvEENS9_8equal_toIvEEfEE10hipError_tPvRmT2_T3_T4_T5_mT6_T7_P12ihipStream_tbENKUlT_T0_E_clISt17integral_constantIbLb0EES11_EEDaSW_SX_EUlSW_E_NS1_11comp_targetILNS1_3genE4ELNS1_11target_archE910ELNS1_3gpuE8ELNS1_3repE0EEENS1_30default_config_static_selectorELNS0_4arch9wavefront6targetE0EEEvT1_.private_seg_size, 0
	.set _ZN7rocprim17ROCPRIM_400000_NS6detail17trampoline_kernelINS0_14default_configENS1_27scan_by_key_config_selectorIifEEZZNS1_16scan_by_key_implILNS1_25lookback_scan_determinismE0ELb0ES3_N6thrust23THRUST_200600_302600_NS6detail15normal_iteratorINS9_10device_ptrIiEEEENSB_INSC_IfEEEESG_fNS9_4plusIvEENS9_8equal_toIvEEfEE10hipError_tPvRmT2_T3_T4_T5_mT6_T7_P12ihipStream_tbENKUlT_T0_E_clISt17integral_constantIbLb0EES11_EEDaSW_SX_EUlSW_E_NS1_11comp_targetILNS1_3genE4ELNS1_11target_archE910ELNS1_3gpuE8ELNS1_3repE0EEENS1_30default_config_static_selectorELNS0_4arch9wavefront6targetE0EEEvT1_.uses_vcc, 0
	.set _ZN7rocprim17ROCPRIM_400000_NS6detail17trampoline_kernelINS0_14default_configENS1_27scan_by_key_config_selectorIifEEZZNS1_16scan_by_key_implILNS1_25lookback_scan_determinismE0ELb0ES3_N6thrust23THRUST_200600_302600_NS6detail15normal_iteratorINS9_10device_ptrIiEEEENSB_INSC_IfEEEESG_fNS9_4plusIvEENS9_8equal_toIvEEfEE10hipError_tPvRmT2_T3_T4_T5_mT6_T7_P12ihipStream_tbENKUlT_T0_E_clISt17integral_constantIbLb0EES11_EEDaSW_SX_EUlSW_E_NS1_11comp_targetILNS1_3genE4ELNS1_11target_archE910ELNS1_3gpuE8ELNS1_3repE0EEENS1_30default_config_static_selectorELNS0_4arch9wavefront6targetE0EEEvT1_.uses_flat_scratch, 0
	.set _ZN7rocprim17ROCPRIM_400000_NS6detail17trampoline_kernelINS0_14default_configENS1_27scan_by_key_config_selectorIifEEZZNS1_16scan_by_key_implILNS1_25lookback_scan_determinismE0ELb0ES3_N6thrust23THRUST_200600_302600_NS6detail15normal_iteratorINS9_10device_ptrIiEEEENSB_INSC_IfEEEESG_fNS9_4plusIvEENS9_8equal_toIvEEfEE10hipError_tPvRmT2_T3_T4_T5_mT6_T7_P12ihipStream_tbENKUlT_T0_E_clISt17integral_constantIbLb0EES11_EEDaSW_SX_EUlSW_E_NS1_11comp_targetILNS1_3genE4ELNS1_11target_archE910ELNS1_3gpuE8ELNS1_3repE0EEENS1_30default_config_static_selectorELNS0_4arch9wavefront6targetE0EEEvT1_.has_dyn_sized_stack, 0
	.set _ZN7rocprim17ROCPRIM_400000_NS6detail17trampoline_kernelINS0_14default_configENS1_27scan_by_key_config_selectorIifEEZZNS1_16scan_by_key_implILNS1_25lookback_scan_determinismE0ELb0ES3_N6thrust23THRUST_200600_302600_NS6detail15normal_iteratorINS9_10device_ptrIiEEEENSB_INSC_IfEEEESG_fNS9_4plusIvEENS9_8equal_toIvEEfEE10hipError_tPvRmT2_T3_T4_T5_mT6_T7_P12ihipStream_tbENKUlT_T0_E_clISt17integral_constantIbLb0EES11_EEDaSW_SX_EUlSW_E_NS1_11comp_targetILNS1_3genE4ELNS1_11target_archE910ELNS1_3gpuE8ELNS1_3repE0EEENS1_30default_config_static_selectorELNS0_4arch9wavefront6targetE0EEEvT1_.has_recursion, 0
	.set _ZN7rocprim17ROCPRIM_400000_NS6detail17trampoline_kernelINS0_14default_configENS1_27scan_by_key_config_selectorIifEEZZNS1_16scan_by_key_implILNS1_25lookback_scan_determinismE0ELb0ES3_N6thrust23THRUST_200600_302600_NS6detail15normal_iteratorINS9_10device_ptrIiEEEENSB_INSC_IfEEEESG_fNS9_4plusIvEENS9_8equal_toIvEEfEE10hipError_tPvRmT2_T3_T4_T5_mT6_T7_P12ihipStream_tbENKUlT_T0_E_clISt17integral_constantIbLb0EES11_EEDaSW_SX_EUlSW_E_NS1_11comp_targetILNS1_3genE4ELNS1_11target_archE910ELNS1_3gpuE8ELNS1_3repE0EEENS1_30default_config_static_selectorELNS0_4arch9wavefront6targetE0EEEvT1_.has_indirect_call, 0
	.section	.AMDGPU.csdata,"",@progbits
; Kernel info:
; codeLenInByte = 0
; TotalNumSgprs: 0
; NumVgprs: 0
; ScratchSize: 0
; MemoryBound: 0
; FloatMode: 240
; IeeeMode: 1
; LDSByteSize: 0 bytes/workgroup (compile time only)
; SGPRBlocks: 0
; VGPRBlocks: 0
; NumSGPRsForWavesPerEU: 1
; NumVGPRsForWavesPerEU: 1
; Occupancy: 16
; WaveLimiterHint : 0
; COMPUTE_PGM_RSRC2:SCRATCH_EN: 0
; COMPUTE_PGM_RSRC2:USER_SGPR: 6
; COMPUTE_PGM_RSRC2:TRAP_HANDLER: 0
; COMPUTE_PGM_RSRC2:TGID_X_EN: 1
; COMPUTE_PGM_RSRC2:TGID_Y_EN: 0
; COMPUTE_PGM_RSRC2:TGID_Z_EN: 0
; COMPUTE_PGM_RSRC2:TIDIG_COMP_CNT: 0
	.section	.text._ZN7rocprim17ROCPRIM_400000_NS6detail17trampoline_kernelINS0_14default_configENS1_27scan_by_key_config_selectorIifEEZZNS1_16scan_by_key_implILNS1_25lookback_scan_determinismE0ELb0ES3_N6thrust23THRUST_200600_302600_NS6detail15normal_iteratorINS9_10device_ptrIiEEEENSB_INSC_IfEEEESG_fNS9_4plusIvEENS9_8equal_toIvEEfEE10hipError_tPvRmT2_T3_T4_T5_mT6_T7_P12ihipStream_tbENKUlT_T0_E_clISt17integral_constantIbLb0EES11_EEDaSW_SX_EUlSW_E_NS1_11comp_targetILNS1_3genE3ELNS1_11target_archE908ELNS1_3gpuE7ELNS1_3repE0EEENS1_30default_config_static_selectorELNS0_4arch9wavefront6targetE0EEEvT1_,"axG",@progbits,_ZN7rocprim17ROCPRIM_400000_NS6detail17trampoline_kernelINS0_14default_configENS1_27scan_by_key_config_selectorIifEEZZNS1_16scan_by_key_implILNS1_25lookback_scan_determinismE0ELb0ES3_N6thrust23THRUST_200600_302600_NS6detail15normal_iteratorINS9_10device_ptrIiEEEENSB_INSC_IfEEEESG_fNS9_4plusIvEENS9_8equal_toIvEEfEE10hipError_tPvRmT2_T3_T4_T5_mT6_T7_P12ihipStream_tbENKUlT_T0_E_clISt17integral_constantIbLb0EES11_EEDaSW_SX_EUlSW_E_NS1_11comp_targetILNS1_3genE3ELNS1_11target_archE908ELNS1_3gpuE7ELNS1_3repE0EEENS1_30default_config_static_selectorELNS0_4arch9wavefront6targetE0EEEvT1_,comdat
	.protected	_ZN7rocprim17ROCPRIM_400000_NS6detail17trampoline_kernelINS0_14default_configENS1_27scan_by_key_config_selectorIifEEZZNS1_16scan_by_key_implILNS1_25lookback_scan_determinismE0ELb0ES3_N6thrust23THRUST_200600_302600_NS6detail15normal_iteratorINS9_10device_ptrIiEEEENSB_INSC_IfEEEESG_fNS9_4plusIvEENS9_8equal_toIvEEfEE10hipError_tPvRmT2_T3_T4_T5_mT6_T7_P12ihipStream_tbENKUlT_T0_E_clISt17integral_constantIbLb0EES11_EEDaSW_SX_EUlSW_E_NS1_11comp_targetILNS1_3genE3ELNS1_11target_archE908ELNS1_3gpuE7ELNS1_3repE0EEENS1_30default_config_static_selectorELNS0_4arch9wavefront6targetE0EEEvT1_ ; -- Begin function _ZN7rocprim17ROCPRIM_400000_NS6detail17trampoline_kernelINS0_14default_configENS1_27scan_by_key_config_selectorIifEEZZNS1_16scan_by_key_implILNS1_25lookback_scan_determinismE0ELb0ES3_N6thrust23THRUST_200600_302600_NS6detail15normal_iteratorINS9_10device_ptrIiEEEENSB_INSC_IfEEEESG_fNS9_4plusIvEENS9_8equal_toIvEEfEE10hipError_tPvRmT2_T3_T4_T5_mT6_T7_P12ihipStream_tbENKUlT_T0_E_clISt17integral_constantIbLb0EES11_EEDaSW_SX_EUlSW_E_NS1_11comp_targetILNS1_3genE3ELNS1_11target_archE908ELNS1_3gpuE7ELNS1_3repE0EEENS1_30default_config_static_selectorELNS0_4arch9wavefront6targetE0EEEvT1_
	.globl	_ZN7rocprim17ROCPRIM_400000_NS6detail17trampoline_kernelINS0_14default_configENS1_27scan_by_key_config_selectorIifEEZZNS1_16scan_by_key_implILNS1_25lookback_scan_determinismE0ELb0ES3_N6thrust23THRUST_200600_302600_NS6detail15normal_iteratorINS9_10device_ptrIiEEEENSB_INSC_IfEEEESG_fNS9_4plusIvEENS9_8equal_toIvEEfEE10hipError_tPvRmT2_T3_T4_T5_mT6_T7_P12ihipStream_tbENKUlT_T0_E_clISt17integral_constantIbLb0EES11_EEDaSW_SX_EUlSW_E_NS1_11comp_targetILNS1_3genE3ELNS1_11target_archE908ELNS1_3gpuE7ELNS1_3repE0EEENS1_30default_config_static_selectorELNS0_4arch9wavefront6targetE0EEEvT1_
	.p2align	8
	.type	_ZN7rocprim17ROCPRIM_400000_NS6detail17trampoline_kernelINS0_14default_configENS1_27scan_by_key_config_selectorIifEEZZNS1_16scan_by_key_implILNS1_25lookback_scan_determinismE0ELb0ES3_N6thrust23THRUST_200600_302600_NS6detail15normal_iteratorINS9_10device_ptrIiEEEENSB_INSC_IfEEEESG_fNS9_4plusIvEENS9_8equal_toIvEEfEE10hipError_tPvRmT2_T3_T4_T5_mT6_T7_P12ihipStream_tbENKUlT_T0_E_clISt17integral_constantIbLb0EES11_EEDaSW_SX_EUlSW_E_NS1_11comp_targetILNS1_3genE3ELNS1_11target_archE908ELNS1_3gpuE7ELNS1_3repE0EEENS1_30default_config_static_selectorELNS0_4arch9wavefront6targetE0EEEvT1_,@function
_ZN7rocprim17ROCPRIM_400000_NS6detail17trampoline_kernelINS0_14default_configENS1_27scan_by_key_config_selectorIifEEZZNS1_16scan_by_key_implILNS1_25lookback_scan_determinismE0ELb0ES3_N6thrust23THRUST_200600_302600_NS6detail15normal_iteratorINS9_10device_ptrIiEEEENSB_INSC_IfEEEESG_fNS9_4plusIvEENS9_8equal_toIvEEfEE10hipError_tPvRmT2_T3_T4_T5_mT6_T7_P12ihipStream_tbENKUlT_T0_E_clISt17integral_constantIbLb0EES11_EEDaSW_SX_EUlSW_E_NS1_11comp_targetILNS1_3genE3ELNS1_11target_archE908ELNS1_3gpuE7ELNS1_3repE0EEENS1_30default_config_static_selectorELNS0_4arch9wavefront6targetE0EEEvT1_: ; @_ZN7rocprim17ROCPRIM_400000_NS6detail17trampoline_kernelINS0_14default_configENS1_27scan_by_key_config_selectorIifEEZZNS1_16scan_by_key_implILNS1_25lookback_scan_determinismE0ELb0ES3_N6thrust23THRUST_200600_302600_NS6detail15normal_iteratorINS9_10device_ptrIiEEEENSB_INSC_IfEEEESG_fNS9_4plusIvEENS9_8equal_toIvEEfEE10hipError_tPvRmT2_T3_T4_T5_mT6_T7_P12ihipStream_tbENKUlT_T0_E_clISt17integral_constantIbLb0EES11_EEDaSW_SX_EUlSW_E_NS1_11comp_targetILNS1_3genE3ELNS1_11target_archE908ELNS1_3gpuE7ELNS1_3repE0EEENS1_30default_config_static_selectorELNS0_4arch9wavefront6targetE0EEEvT1_
; %bb.0:
	.section	.rodata,"a",@progbits
	.p2align	6, 0x0
	.amdhsa_kernel _ZN7rocprim17ROCPRIM_400000_NS6detail17trampoline_kernelINS0_14default_configENS1_27scan_by_key_config_selectorIifEEZZNS1_16scan_by_key_implILNS1_25lookback_scan_determinismE0ELb0ES3_N6thrust23THRUST_200600_302600_NS6detail15normal_iteratorINS9_10device_ptrIiEEEENSB_INSC_IfEEEESG_fNS9_4plusIvEENS9_8equal_toIvEEfEE10hipError_tPvRmT2_T3_T4_T5_mT6_T7_P12ihipStream_tbENKUlT_T0_E_clISt17integral_constantIbLb0EES11_EEDaSW_SX_EUlSW_E_NS1_11comp_targetILNS1_3genE3ELNS1_11target_archE908ELNS1_3gpuE7ELNS1_3repE0EEENS1_30default_config_static_selectorELNS0_4arch9wavefront6targetE0EEEvT1_
		.amdhsa_group_segment_fixed_size 0
		.amdhsa_private_segment_fixed_size 0
		.amdhsa_kernarg_size 112
		.amdhsa_user_sgpr_count 6
		.amdhsa_user_sgpr_private_segment_buffer 1
		.amdhsa_user_sgpr_dispatch_ptr 0
		.amdhsa_user_sgpr_queue_ptr 0
		.amdhsa_user_sgpr_kernarg_segment_ptr 1
		.amdhsa_user_sgpr_dispatch_id 0
		.amdhsa_user_sgpr_flat_scratch_init 0
		.amdhsa_user_sgpr_private_segment_size 0
		.amdhsa_wavefront_size32 1
		.amdhsa_uses_dynamic_stack 0
		.amdhsa_system_sgpr_private_segment_wavefront_offset 0
		.amdhsa_system_sgpr_workgroup_id_x 1
		.amdhsa_system_sgpr_workgroup_id_y 0
		.amdhsa_system_sgpr_workgroup_id_z 0
		.amdhsa_system_sgpr_workgroup_info 0
		.amdhsa_system_vgpr_workitem_id 0
		.amdhsa_next_free_vgpr 1
		.amdhsa_next_free_sgpr 1
		.amdhsa_reserve_vcc 0
		.amdhsa_reserve_flat_scratch 0
		.amdhsa_float_round_mode_32 0
		.amdhsa_float_round_mode_16_64 0
		.amdhsa_float_denorm_mode_32 3
		.amdhsa_float_denorm_mode_16_64 3
		.amdhsa_dx10_clamp 1
		.amdhsa_ieee_mode 1
		.amdhsa_fp16_overflow 0
		.amdhsa_workgroup_processor_mode 1
		.amdhsa_memory_ordered 1
		.amdhsa_forward_progress 1
		.amdhsa_shared_vgpr_count 0
		.amdhsa_exception_fp_ieee_invalid_op 0
		.amdhsa_exception_fp_denorm_src 0
		.amdhsa_exception_fp_ieee_div_zero 0
		.amdhsa_exception_fp_ieee_overflow 0
		.amdhsa_exception_fp_ieee_underflow 0
		.amdhsa_exception_fp_ieee_inexact 0
		.amdhsa_exception_int_div_zero 0
	.end_amdhsa_kernel
	.section	.text._ZN7rocprim17ROCPRIM_400000_NS6detail17trampoline_kernelINS0_14default_configENS1_27scan_by_key_config_selectorIifEEZZNS1_16scan_by_key_implILNS1_25lookback_scan_determinismE0ELb0ES3_N6thrust23THRUST_200600_302600_NS6detail15normal_iteratorINS9_10device_ptrIiEEEENSB_INSC_IfEEEESG_fNS9_4plusIvEENS9_8equal_toIvEEfEE10hipError_tPvRmT2_T3_T4_T5_mT6_T7_P12ihipStream_tbENKUlT_T0_E_clISt17integral_constantIbLb0EES11_EEDaSW_SX_EUlSW_E_NS1_11comp_targetILNS1_3genE3ELNS1_11target_archE908ELNS1_3gpuE7ELNS1_3repE0EEENS1_30default_config_static_selectorELNS0_4arch9wavefront6targetE0EEEvT1_,"axG",@progbits,_ZN7rocprim17ROCPRIM_400000_NS6detail17trampoline_kernelINS0_14default_configENS1_27scan_by_key_config_selectorIifEEZZNS1_16scan_by_key_implILNS1_25lookback_scan_determinismE0ELb0ES3_N6thrust23THRUST_200600_302600_NS6detail15normal_iteratorINS9_10device_ptrIiEEEENSB_INSC_IfEEEESG_fNS9_4plusIvEENS9_8equal_toIvEEfEE10hipError_tPvRmT2_T3_T4_T5_mT6_T7_P12ihipStream_tbENKUlT_T0_E_clISt17integral_constantIbLb0EES11_EEDaSW_SX_EUlSW_E_NS1_11comp_targetILNS1_3genE3ELNS1_11target_archE908ELNS1_3gpuE7ELNS1_3repE0EEENS1_30default_config_static_selectorELNS0_4arch9wavefront6targetE0EEEvT1_,comdat
.Lfunc_end1134:
	.size	_ZN7rocprim17ROCPRIM_400000_NS6detail17trampoline_kernelINS0_14default_configENS1_27scan_by_key_config_selectorIifEEZZNS1_16scan_by_key_implILNS1_25lookback_scan_determinismE0ELb0ES3_N6thrust23THRUST_200600_302600_NS6detail15normal_iteratorINS9_10device_ptrIiEEEENSB_INSC_IfEEEESG_fNS9_4plusIvEENS9_8equal_toIvEEfEE10hipError_tPvRmT2_T3_T4_T5_mT6_T7_P12ihipStream_tbENKUlT_T0_E_clISt17integral_constantIbLb0EES11_EEDaSW_SX_EUlSW_E_NS1_11comp_targetILNS1_3genE3ELNS1_11target_archE908ELNS1_3gpuE7ELNS1_3repE0EEENS1_30default_config_static_selectorELNS0_4arch9wavefront6targetE0EEEvT1_, .Lfunc_end1134-_ZN7rocprim17ROCPRIM_400000_NS6detail17trampoline_kernelINS0_14default_configENS1_27scan_by_key_config_selectorIifEEZZNS1_16scan_by_key_implILNS1_25lookback_scan_determinismE0ELb0ES3_N6thrust23THRUST_200600_302600_NS6detail15normal_iteratorINS9_10device_ptrIiEEEENSB_INSC_IfEEEESG_fNS9_4plusIvEENS9_8equal_toIvEEfEE10hipError_tPvRmT2_T3_T4_T5_mT6_T7_P12ihipStream_tbENKUlT_T0_E_clISt17integral_constantIbLb0EES11_EEDaSW_SX_EUlSW_E_NS1_11comp_targetILNS1_3genE3ELNS1_11target_archE908ELNS1_3gpuE7ELNS1_3repE0EEENS1_30default_config_static_selectorELNS0_4arch9wavefront6targetE0EEEvT1_
                                        ; -- End function
	.set _ZN7rocprim17ROCPRIM_400000_NS6detail17trampoline_kernelINS0_14default_configENS1_27scan_by_key_config_selectorIifEEZZNS1_16scan_by_key_implILNS1_25lookback_scan_determinismE0ELb0ES3_N6thrust23THRUST_200600_302600_NS6detail15normal_iteratorINS9_10device_ptrIiEEEENSB_INSC_IfEEEESG_fNS9_4plusIvEENS9_8equal_toIvEEfEE10hipError_tPvRmT2_T3_T4_T5_mT6_T7_P12ihipStream_tbENKUlT_T0_E_clISt17integral_constantIbLb0EES11_EEDaSW_SX_EUlSW_E_NS1_11comp_targetILNS1_3genE3ELNS1_11target_archE908ELNS1_3gpuE7ELNS1_3repE0EEENS1_30default_config_static_selectorELNS0_4arch9wavefront6targetE0EEEvT1_.num_vgpr, 0
	.set _ZN7rocprim17ROCPRIM_400000_NS6detail17trampoline_kernelINS0_14default_configENS1_27scan_by_key_config_selectorIifEEZZNS1_16scan_by_key_implILNS1_25lookback_scan_determinismE0ELb0ES3_N6thrust23THRUST_200600_302600_NS6detail15normal_iteratorINS9_10device_ptrIiEEEENSB_INSC_IfEEEESG_fNS9_4plusIvEENS9_8equal_toIvEEfEE10hipError_tPvRmT2_T3_T4_T5_mT6_T7_P12ihipStream_tbENKUlT_T0_E_clISt17integral_constantIbLb0EES11_EEDaSW_SX_EUlSW_E_NS1_11comp_targetILNS1_3genE3ELNS1_11target_archE908ELNS1_3gpuE7ELNS1_3repE0EEENS1_30default_config_static_selectorELNS0_4arch9wavefront6targetE0EEEvT1_.num_agpr, 0
	.set _ZN7rocprim17ROCPRIM_400000_NS6detail17trampoline_kernelINS0_14default_configENS1_27scan_by_key_config_selectorIifEEZZNS1_16scan_by_key_implILNS1_25lookback_scan_determinismE0ELb0ES3_N6thrust23THRUST_200600_302600_NS6detail15normal_iteratorINS9_10device_ptrIiEEEENSB_INSC_IfEEEESG_fNS9_4plusIvEENS9_8equal_toIvEEfEE10hipError_tPvRmT2_T3_T4_T5_mT6_T7_P12ihipStream_tbENKUlT_T0_E_clISt17integral_constantIbLb0EES11_EEDaSW_SX_EUlSW_E_NS1_11comp_targetILNS1_3genE3ELNS1_11target_archE908ELNS1_3gpuE7ELNS1_3repE0EEENS1_30default_config_static_selectorELNS0_4arch9wavefront6targetE0EEEvT1_.numbered_sgpr, 0
	.set _ZN7rocprim17ROCPRIM_400000_NS6detail17trampoline_kernelINS0_14default_configENS1_27scan_by_key_config_selectorIifEEZZNS1_16scan_by_key_implILNS1_25lookback_scan_determinismE0ELb0ES3_N6thrust23THRUST_200600_302600_NS6detail15normal_iteratorINS9_10device_ptrIiEEEENSB_INSC_IfEEEESG_fNS9_4plusIvEENS9_8equal_toIvEEfEE10hipError_tPvRmT2_T3_T4_T5_mT6_T7_P12ihipStream_tbENKUlT_T0_E_clISt17integral_constantIbLb0EES11_EEDaSW_SX_EUlSW_E_NS1_11comp_targetILNS1_3genE3ELNS1_11target_archE908ELNS1_3gpuE7ELNS1_3repE0EEENS1_30default_config_static_selectorELNS0_4arch9wavefront6targetE0EEEvT1_.num_named_barrier, 0
	.set _ZN7rocprim17ROCPRIM_400000_NS6detail17trampoline_kernelINS0_14default_configENS1_27scan_by_key_config_selectorIifEEZZNS1_16scan_by_key_implILNS1_25lookback_scan_determinismE0ELb0ES3_N6thrust23THRUST_200600_302600_NS6detail15normal_iteratorINS9_10device_ptrIiEEEENSB_INSC_IfEEEESG_fNS9_4plusIvEENS9_8equal_toIvEEfEE10hipError_tPvRmT2_T3_T4_T5_mT6_T7_P12ihipStream_tbENKUlT_T0_E_clISt17integral_constantIbLb0EES11_EEDaSW_SX_EUlSW_E_NS1_11comp_targetILNS1_3genE3ELNS1_11target_archE908ELNS1_3gpuE7ELNS1_3repE0EEENS1_30default_config_static_selectorELNS0_4arch9wavefront6targetE0EEEvT1_.private_seg_size, 0
	.set _ZN7rocprim17ROCPRIM_400000_NS6detail17trampoline_kernelINS0_14default_configENS1_27scan_by_key_config_selectorIifEEZZNS1_16scan_by_key_implILNS1_25lookback_scan_determinismE0ELb0ES3_N6thrust23THRUST_200600_302600_NS6detail15normal_iteratorINS9_10device_ptrIiEEEENSB_INSC_IfEEEESG_fNS9_4plusIvEENS9_8equal_toIvEEfEE10hipError_tPvRmT2_T3_T4_T5_mT6_T7_P12ihipStream_tbENKUlT_T0_E_clISt17integral_constantIbLb0EES11_EEDaSW_SX_EUlSW_E_NS1_11comp_targetILNS1_3genE3ELNS1_11target_archE908ELNS1_3gpuE7ELNS1_3repE0EEENS1_30default_config_static_selectorELNS0_4arch9wavefront6targetE0EEEvT1_.uses_vcc, 0
	.set _ZN7rocprim17ROCPRIM_400000_NS6detail17trampoline_kernelINS0_14default_configENS1_27scan_by_key_config_selectorIifEEZZNS1_16scan_by_key_implILNS1_25lookback_scan_determinismE0ELb0ES3_N6thrust23THRUST_200600_302600_NS6detail15normal_iteratorINS9_10device_ptrIiEEEENSB_INSC_IfEEEESG_fNS9_4plusIvEENS9_8equal_toIvEEfEE10hipError_tPvRmT2_T3_T4_T5_mT6_T7_P12ihipStream_tbENKUlT_T0_E_clISt17integral_constantIbLb0EES11_EEDaSW_SX_EUlSW_E_NS1_11comp_targetILNS1_3genE3ELNS1_11target_archE908ELNS1_3gpuE7ELNS1_3repE0EEENS1_30default_config_static_selectorELNS0_4arch9wavefront6targetE0EEEvT1_.uses_flat_scratch, 0
	.set _ZN7rocprim17ROCPRIM_400000_NS6detail17trampoline_kernelINS0_14default_configENS1_27scan_by_key_config_selectorIifEEZZNS1_16scan_by_key_implILNS1_25lookback_scan_determinismE0ELb0ES3_N6thrust23THRUST_200600_302600_NS6detail15normal_iteratorINS9_10device_ptrIiEEEENSB_INSC_IfEEEESG_fNS9_4plusIvEENS9_8equal_toIvEEfEE10hipError_tPvRmT2_T3_T4_T5_mT6_T7_P12ihipStream_tbENKUlT_T0_E_clISt17integral_constantIbLb0EES11_EEDaSW_SX_EUlSW_E_NS1_11comp_targetILNS1_3genE3ELNS1_11target_archE908ELNS1_3gpuE7ELNS1_3repE0EEENS1_30default_config_static_selectorELNS0_4arch9wavefront6targetE0EEEvT1_.has_dyn_sized_stack, 0
	.set _ZN7rocprim17ROCPRIM_400000_NS6detail17trampoline_kernelINS0_14default_configENS1_27scan_by_key_config_selectorIifEEZZNS1_16scan_by_key_implILNS1_25lookback_scan_determinismE0ELb0ES3_N6thrust23THRUST_200600_302600_NS6detail15normal_iteratorINS9_10device_ptrIiEEEENSB_INSC_IfEEEESG_fNS9_4plusIvEENS9_8equal_toIvEEfEE10hipError_tPvRmT2_T3_T4_T5_mT6_T7_P12ihipStream_tbENKUlT_T0_E_clISt17integral_constantIbLb0EES11_EEDaSW_SX_EUlSW_E_NS1_11comp_targetILNS1_3genE3ELNS1_11target_archE908ELNS1_3gpuE7ELNS1_3repE0EEENS1_30default_config_static_selectorELNS0_4arch9wavefront6targetE0EEEvT1_.has_recursion, 0
	.set _ZN7rocprim17ROCPRIM_400000_NS6detail17trampoline_kernelINS0_14default_configENS1_27scan_by_key_config_selectorIifEEZZNS1_16scan_by_key_implILNS1_25lookback_scan_determinismE0ELb0ES3_N6thrust23THRUST_200600_302600_NS6detail15normal_iteratorINS9_10device_ptrIiEEEENSB_INSC_IfEEEESG_fNS9_4plusIvEENS9_8equal_toIvEEfEE10hipError_tPvRmT2_T3_T4_T5_mT6_T7_P12ihipStream_tbENKUlT_T0_E_clISt17integral_constantIbLb0EES11_EEDaSW_SX_EUlSW_E_NS1_11comp_targetILNS1_3genE3ELNS1_11target_archE908ELNS1_3gpuE7ELNS1_3repE0EEENS1_30default_config_static_selectorELNS0_4arch9wavefront6targetE0EEEvT1_.has_indirect_call, 0
	.section	.AMDGPU.csdata,"",@progbits
; Kernel info:
; codeLenInByte = 0
; TotalNumSgprs: 0
; NumVgprs: 0
; ScratchSize: 0
; MemoryBound: 0
; FloatMode: 240
; IeeeMode: 1
; LDSByteSize: 0 bytes/workgroup (compile time only)
; SGPRBlocks: 0
; VGPRBlocks: 0
; NumSGPRsForWavesPerEU: 1
; NumVGPRsForWavesPerEU: 1
; Occupancy: 16
; WaveLimiterHint : 0
; COMPUTE_PGM_RSRC2:SCRATCH_EN: 0
; COMPUTE_PGM_RSRC2:USER_SGPR: 6
; COMPUTE_PGM_RSRC2:TRAP_HANDLER: 0
; COMPUTE_PGM_RSRC2:TGID_X_EN: 1
; COMPUTE_PGM_RSRC2:TGID_Y_EN: 0
; COMPUTE_PGM_RSRC2:TGID_Z_EN: 0
; COMPUTE_PGM_RSRC2:TIDIG_COMP_CNT: 0
	.section	.text._ZN7rocprim17ROCPRIM_400000_NS6detail17trampoline_kernelINS0_14default_configENS1_27scan_by_key_config_selectorIifEEZZNS1_16scan_by_key_implILNS1_25lookback_scan_determinismE0ELb0ES3_N6thrust23THRUST_200600_302600_NS6detail15normal_iteratorINS9_10device_ptrIiEEEENSB_INSC_IfEEEESG_fNS9_4plusIvEENS9_8equal_toIvEEfEE10hipError_tPvRmT2_T3_T4_T5_mT6_T7_P12ihipStream_tbENKUlT_T0_E_clISt17integral_constantIbLb0EES11_EEDaSW_SX_EUlSW_E_NS1_11comp_targetILNS1_3genE2ELNS1_11target_archE906ELNS1_3gpuE6ELNS1_3repE0EEENS1_30default_config_static_selectorELNS0_4arch9wavefront6targetE0EEEvT1_,"axG",@progbits,_ZN7rocprim17ROCPRIM_400000_NS6detail17trampoline_kernelINS0_14default_configENS1_27scan_by_key_config_selectorIifEEZZNS1_16scan_by_key_implILNS1_25lookback_scan_determinismE0ELb0ES3_N6thrust23THRUST_200600_302600_NS6detail15normal_iteratorINS9_10device_ptrIiEEEENSB_INSC_IfEEEESG_fNS9_4plusIvEENS9_8equal_toIvEEfEE10hipError_tPvRmT2_T3_T4_T5_mT6_T7_P12ihipStream_tbENKUlT_T0_E_clISt17integral_constantIbLb0EES11_EEDaSW_SX_EUlSW_E_NS1_11comp_targetILNS1_3genE2ELNS1_11target_archE906ELNS1_3gpuE6ELNS1_3repE0EEENS1_30default_config_static_selectorELNS0_4arch9wavefront6targetE0EEEvT1_,comdat
	.protected	_ZN7rocprim17ROCPRIM_400000_NS6detail17trampoline_kernelINS0_14default_configENS1_27scan_by_key_config_selectorIifEEZZNS1_16scan_by_key_implILNS1_25lookback_scan_determinismE0ELb0ES3_N6thrust23THRUST_200600_302600_NS6detail15normal_iteratorINS9_10device_ptrIiEEEENSB_INSC_IfEEEESG_fNS9_4plusIvEENS9_8equal_toIvEEfEE10hipError_tPvRmT2_T3_T4_T5_mT6_T7_P12ihipStream_tbENKUlT_T0_E_clISt17integral_constantIbLb0EES11_EEDaSW_SX_EUlSW_E_NS1_11comp_targetILNS1_3genE2ELNS1_11target_archE906ELNS1_3gpuE6ELNS1_3repE0EEENS1_30default_config_static_selectorELNS0_4arch9wavefront6targetE0EEEvT1_ ; -- Begin function _ZN7rocprim17ROCPRIM_400000_NS6detail17trampoline_kernelINS0_14default_configENS1_27scan_by_key_config_selectorIifEEZZNS1_16scan_by_key_implILNS1_25lookback_scan_determinismE0ELb0ES3_N6thrust23THRUST_200600_302600_NS6detail15normal_iteratorINS9_10device_ptrIiEEEENSB_INSC_IfEEEESG_fNS9_4plusIvEENS9_8equal_toIvEEfEE10hipError_tPvRmT2_T3_T4_T5_mT6_T7_P12ihipStream_tbENKUlT_T0_E_clISt17integral_constantIbLb0EES11_EEDaSW_SX_EUlSW_E_NS1_11comp_targetILNS1_3genE2ELNS1_11target_archE906ELNS1_3gpuE6ELNS1_3repE0EEENS1_30default_config_static_selectorELNS0_4arch9wavefront6targetE0EEEvT1_
	.globl	_ZN7rocprim17ROCPRIM_400000_NS6detail17trampoline_kernelINS0_14default_configENS1_27scan_by_key_config_selectorIifEEZZNS1_16scan_by_key_implILNS1_25lookback_scan_determinismE0ELb0ES3_N6thrust23THRUST_200600_302600_NS6detail15normal_iteratorINS9_10device_ptrIiEEEENSB_INSC_IfEEEESG_fNS9_4plusIvEENS9_8equal_toIvEEfEE10hipError_tPvRmT2_T3_T4_T5_mT6_T7_P12ihipStream_tbENKUlT_T0_E_clISt17integral_constantIbLb0EES11_EEDaSW_SX_EUlSW_E_NS1_11comp_targetILNS1_3genE2ELNS1_11target_archE906ELNS1_3gpuE6ELNS1_3repE0EEENS1_30default_config_static_selectorELNS0_4arch9wavefront6targetE0EEEvT1_
	.p2align	8
	.type	_ZN7rocprim17ROCPRIM_400000_NS6detail17trampoline_kernelINS0_14default_configENS1_27scan_by_key_config_selectorIifEEZZNS1_16scan_by_key_implILNS1_25lookback_scan_determinismE0ELb0ES3_N6thrust23THRUST_200600_302600_NS6detail15normal_iteratorINS9_10device_ptrIiEEEENSB_INSC_IfEEEESG_fNS9_4plusIvEENS9_8equal_toIvEEfEE10hipError_tPvRmT2_T3_T4_T5_mT6_T7_P12ihipStream_tbENKUlT_T0_E_clISt17integral_constantIbLb0EES11_EEDaSW_SX_EUlSW_E_NS1_11comp_targetILNS1_3genE2ELNS1_11target_archE906ELNS1_3gpuE6ELNS1_3repE0EEENS1_30default_config_static_selectorELNS0_4arch9wavefront6targetE0EEEvT1_,@function
_ZN7rocprim17ROCPRIM_400000_NS6detail17trampoline_kernelINS0_14default_configENS1_27scan_by_key_config_selectorIifEEZZNS1_16scan_by_key_implILNS1_25lookback_scan_determinismE0ELb0ES3_N6thrust23THRUST_200600_302600_NS6detail15normal_iteratorINS9_10device_ptrIiEEEENSB_INSC_IfEEEESG_fNS9_4plusIvEENS9_8equal_toIvEEfEE10hipError_tPvRmT2_T3_T4_T5_mT6_T7_P12ihipStream_tbENKUlT_T0_E_clISt17integral_constantIbLb0EES11_EEDaSW_SX_EUlSW_E_NS1_11comp_targetILNS1_3genE2ELNS1_11target_archE906ELNS1_3gpuE6ELNS1_3repE0EEENS1_30default_config_static_selectorELNS0_4arch9wavefront6targetE0EEEvT1_: ; @_ZN7rocprim17ROCPRIM_400000_NS6detail17trampoline_kernelINS0_14default_configENS1_27scan_by_key_config_selectorIifEEZZNS1_16scan_by_key_implILNS1_25lookback_scan_determinismE0ELb0ES3_N6thrust23THRUST_200600_302600_NS6detail15normal_iteratorINS9_10device_ptrIiEEEENSB_INSC_IfEEEESG_fNS9_4plusIvEENS9_8equal_toIvEEfEE10hipError_tPvRmT2_T3_T4_T5_mT6_T7_P12ihipStream_tbENKUlT_T0_E_clISt17integral_constantIbLb0EES11_EEDaSW_SX_EUlSW_E_NS1_11comp_targetILNS1_3genE2ELNS1_11target_archE906ELNS1_3gpuE6ELNS1_3repE0EEENS1_30default_config_static_selectorELNS0_4arch9wavefront6targetE0EEEvT1_
; %bb.0:
	.section	.rodata,"a",@progbits
	.p2align	6, 0x0
	.amdhsa_kernel _ZN7rocprim17ROCPRIM_400000_NS6detail17trampoline_kernelINS0_14default_configENS1_27scan_by_key_config_selectorIifEEZZNS1_16scan_by_key_implILNS1_25lookback_scan_determinismE0ELb0ES3_N6thrust23THRUST_200600_302600_NS6detail15normal_iteratorINS9_10device_ptrIiEEEENSB_INSC_IfEEEESG_fNS9_4plusIvEENS9_8equal_toIvEEfEE10hipError_tPvRmT2_T3_T4_T5_mT6_T7_P12ihipStream_tbENKUlT_T0_E_clISt17integral_constantIbLb0EES11_EEDaSW_SX_EUlSW_E_NS1_11comp_targetILNS1_3genE2ELNS1_11target_archE906ELNS1_3gpuE6ELNS1_3repE0EEENS1_30default_config_static_selectorELNS0_4arch9wavefront6targetE0EEEvT1_
		.amdhsa_group_segment_fixed_size 0
		.amdhsa_private_segment_fixed_size 0
		.amdhsa_kernarg_size 112
		.amdhsa_user_sgpr_count 6
		.amdhsa_user_sgpr_private_segment_buffer 1
		.amdhsa_user_sgpr_dispatch_ptr 0
		.amdhsa_user_sgpr_queue_ptr 0
		.amdhsa_user_sgpr_kernarg_segment_ptr 1
		.amdhsa_user_sgpr_dispatch_id 0
		.amdhsa_user_sgpr_flat_scratch_init 0
		.amdhsa_user_sgpr_private_segment_size 0
		.amdhsa_wavefront_size32 1
		.amdhsa_uses_dynamic_stack 0
		.amdhsa_system_sgpr_private_segment_wavefront_offset 0
		.amdhsa_system_sgpr_workgroup_id_x 1
		.amdhsa_system_sgpr_workgroup_id_y 0
		.amdhsa_system_sgpr_workgroup_id_z 0
		.amdhsa_system_sgpr_workgroup_info 0
		.amdhsa_system_vgpr_workitem_id 0
		.amdhsa_next_free_vgpr 1
		.amdhsa_next_free_sgpr 1
		.amdhsa_reserve_vcc 0
		.amdhsa_reserve_flat_scratch 0
		.amdhsa_float_round_mode_32 0
		.amdhsa_float_round_mode_16_64 0
		.amdhsa_float_denorm_mode_32 3
		.amdhsa_float_denorm_mode_16_64 3
		.amdhsa_dx10_clamp 1
		.amdhsa_ieee_mode 1
		.amdhsa_fp16_overflow 0
		.amdhsa_workgroup_processor_mode 1
		.amdhsa_memory_ordered 1
		.amdhsa_forward_progress 1
		.amdhsa_shared_vgpr_count 0
		.amdhsa_exception_fp_ieee_invalid_op 0
		.amdhsa_exception_fp_denorm_src 0
		.amdhsa_exception_fp_ieee_div_zero 0
		.amdhsa_exception_fp_ieee_overflow 0
		.amdhsa_exception_fp_ieee_underflow 0
		.amdhsa_exception_fp_ieee_inexact 0
		.amdhsa_exception_int_div_zero 0
	.end_amdhsa_kernel
	.section	.text._ZN7rocprim17ROCPRIM_400000_NS6detail17trampoline_kernelINS0_14default_configENS1_27scan_by_key_config_selectorIifEEZZNS1_16scan_by_key_implILNS1_25lookback_scan_determinismE0ELb0ES3_N6thrust23THRUST_200600_302600_NS6detail15normal_iteratorINS9_10device_ptrIiEEEENSB_INSC_IfEEEESG_fNS9_4plusIvEENS9_8equal_toIvEEfEE10hipError_tPvRmT2_T3_T4_T5_mT6_T7_P12ihipStream_tbENKUlT_T0_E_clISt17integral_constantIbLb0EES11_EEDaSW_SX_EUlSW_E_NS1_11comp_targetILNS1_3genE2ELNS1_11target_archE906ELNS1_3gpuE6ELNS1_3repE0EEENS1_30default_config_static_selectorELNS0_4arch9wavefront6targetE0EEEvT1_,"axG",@progbits,_ZN7rocprim17ROCPRIM_400000_NS6detail17trampoline_kernelINS0_14default_configENS1_27scan_by_key_config_selectorIifEEZZNS1_16scan_by_key_implILNS1_25lookback_scan_determinismE0ELb0ES3_N6thrust23THRUST_200600_302600_NS6detail15normal_iteratorINS9_10device_ptrIiEEEENSB_INSC_IfEEEESG_fNS9_4plusIvEENS9_8equal_toIvEEfEE10hipError_tPvRmT2_T3_T4_T5_mT6_T7_P12ihipStream_tbENKUlT_T0_E_clISt17integral_constantIbLb0EES11_EEDaSW_SX_EUlSW_E_NS1_11comp_targetILNS1_3genE2ELNS1_11target_archE906ELNS1_3gpuE6ELNS1_3repE0EEENS1_30default_config_static_selectorELNS0_4arch9wavefront6targetE0EEEvT1_,comdat
.Lfunc_end1135:
	.size	_ZN7rocprim17ROCPRIM_400000_NS6detail17trampoline_kernelINS0_14default_configENS1_27scan_by_key_config_selectorIifEEZZNS1_16scan_by_key_implILNS1_25lookback_scan_determinismE0ELb0ES3_N6thrust23THRUST_200600_302600_NS6detail15normal_iteratorINS9_10device_ptrIiEEEENSB_INSC_IfEEEESG_fNS9_4plusIvEENS9_8equal_toIvEEfEE10hipError_tPvRmT2_T3_T4_T5_mT6_T7_P12ihipStream_tbENKUlT_T0_E_clISt17integral_constantIbLb0EES11_EEDaSW_SX_EUlSW_E_NS1_11comp_targetILNS1_3genE2ELNS1_11target_archE906ELNS1_3gpuE6ELNS1_3repE0EEENS1_30default_config_static_selectorELNS0_4arch9wavefront6targetE0EEEvT1_, .Lfunc_end1135-_ZN7rocprim17ROCPRIM_400000_NS6detail17trampoline_kernelINS0_14default_configENS1_27scan_by_key_config_selectorIifEEZZNS1_16scan_by_key_implILNS1_25lookback_scan_determinismE0ELb0ES3_N6thrust23THRUST_200600_302600_NS6detail15normal_iteratorINS9_10device_ptrIiEEEENSB_INSC_IfEEEESG_fNS9_4plusIvEENS9_8equal_toIvEEfEE10hipError_tPvRmT2_T3_T4_T5_mT6_T7_P12ihipStream_tbENKUlT_T0_E_clISt17integral_constantIbLb0EES11_EEDaSW_SX_EUlSW_E_NS1_11comp_targetILNS1_3genE2ELNS1_11target_archE906ELNS1_3gpuE6ELNS1_3repE0EEENS1_30default_config_static_selectorELNS0_4arch9wavefront6targetE0EEEvT1_
                                        ; -- End function
	.set _ZN7rocprim17ROCPRIM_400000_NS6detail17trampoline_kernelINS0_14default_configENS1_27scan_by_key_config_selectorIifEEZZNS1_16scan_by_key_implILNS1_25lookback_scan_determinismE0ELb0ES3_N6thrust23THRUST_200600_302600_NS6detail15normal_iteratorINS9_10device_ptrIiEEEENSB_INSC_IfEEEESG_fNS9_4plusIvEENS9_8equal_toIvEEfEE10hipError_tPvRmT2_T3_T4_T5_mT6_T7_P12ihipStream_tbENKUlT_T0_E_clISt17integral_constantIbLb0EES11_EEDaSW_SX_EUlSW_E_NS1_11comp_targetILNS1_3genE2ELNS1_11target_archE906ELNS1_3gpuE6ELNS1_3repE0EEENS1_30default_config_static_selectorELNS0_4arch9wavefront6targetE0EEEvT1_.num_vgpr, 0
	.set _ZN7rocprim17ROCPRIM_400000_NS6detail17trampoline_kernelINS0_14default_configENS1_27scan_by_key_config_selectorIifEEZZNS1_16scan_by_key_implILNS1_25lookback_scan_determinismE0ELb0ES3_N6thrust23THRUST_200600_302600_NS6detail15normal_iteratorINS9_10device_ptrIiEEEENSB_INSC_IfEEEESG_fNS9_4plusIvEENS9_8equal_toIvEEfEE10hipError_tPvRmT2_T3_T4_T5_mT6_T7_P12ihipStream_tbENKUlT_T0_E_clISt17integral_constantIbLb0EES11_EEDaSW_SX_EUlSW_E_NS1_11comp_targetILNS1_3genE2ELNS1_11target_archE906ELNS1_3gpuE6ELNS1_3repE0EEENS1_30default_config_static_selectorELNS0_4arch9wavefront6targetE0EEEvT1_.num_agpr, 0
	.set _ZN7rocprim17ROCPRIM_400000_NS6detail17trampoline_kernelINS0_14default_configENS1_27scan_by_key_config_selectorIifEEZZNS1_16scan_by_key_implILNS1_25lookback_scan_determinismE0ELb0ES3_N6thrust23THRUST_200600_302600_NS6detail15normal_iteratorINS9_10device_ptrIiEEEENSB_INSC_IfEEEESG_fNS9_4plusIvEENS9_8equal_toIvEEfEE10hipError_tPvRmT2_T3_T4_T5_mT6_T7_P12ihipStream_tbENKUlT_T0_E_clISt17integral_constantIbLb0EES11_EEDaSW_SX_EUlSW_E_NS1_11comp_targetILNS1_3genE2ELNS1_11target_archE906ELNS1_3gpuE6ELNS1_3repE0EEENS1_30default_config_static_selectorELNS0_4arch9wavefront6targetE0EEEvT1_.numbered_sgpr, 0
	.set _ZN7rocprim17ROCPRIM_400000_NS6detail17trampoline_kernelINS0_14default_configENS1_27scan_by_key_config_selectorIifEEZZNS1_16scan_by_key_implILNS1_25lookback_scan_determinismE0ELb0ES3_N6thrust23THRUST_200600_302600_NS6detail15normal_iteratorINS9_10device_ptrIiEEEENSB_INSC_IfEEEESG_fNS9_4plusIvEENS9_8equal_toIvEEfEE10hipError_tPvRmT2_T3_T4_T5_mT6_T7_P12ihipStream_tbENKUlT_T0_E_clISt17integral_constantIbLb0EES11_EEDaSW_SX_EUlSW_E_NS1_11comp_targetILNS1_3genE2ELNS1_11target_archE906ELNS1_3gpuE6ELNS1_3repE0EEENS1_30default_config_static_selectorELNS0_4arch9wavefront6targetE0EEEvT1_.num_named_barrier, 0
	.set _ZN7rocprim17ROCPRIM_400000_NS6detail17trampoline_kernelINS0_14default_configENS1_27scan_by_key_config_selectorIifEEZZNS1_16scan_by_key_implILNS1_25lookback_scan_determinismE0ELb0ES3_N6thrust23THRUST_200600_302600_NS6detail15normal_iteratorINS9_10device_ptrIiEEEENSB_INSC_IfEEEESG_fNS9_4plusIvEENS9_8equal_toIvEEfEE10hipError_tPvRmT2_T3_T4_T5_mT6_T7_P12ihipStream_tbENKUlT_T0_E_clISt17integral_constantIbLb0EES11_EEDaSW_SX_EUlSW_E_NS1_11comp_targetILNS1_3genE2ELNS1_11target_archE906ELNS1_3gpuE6ELNS1_3repE0EEENS1_30default_config_static_selectorELNS0_4arch9wavefront6targetE0EEEvT1_.private_seg_size, 0
	.set _ZN7rocprim17ROCPRIM_400000_NS6detail17trampoline_kernelINS0_14default_configENS1_27scan_by_key_config_selectorIifEEZZNS1_16scan_by_key_implILNS1_25lookback_scan_determinismE0ELb0ES3_N6thrust23THRUST_200600_302600_NS6detail15normal_iteratorINS9_10device_ptrIiEEEENSB_INSC_IfEEEESG_fNS9_4plusIvEENS9_8equal_toIvEEfEE10hipError_tPvRmT2_T3_T4_T5_mT6_T7_P12ihipStream_tbENKUlT_T0_E_clISt17integral_constantIbLb0EES11_EEDaSW_SX_EUlSW_E_NS1_11comp_targetILNS1_3genE2ELNS1_11target_archE906ELNS1_3gpuE6ELNS1_3repE0EEENS1_30default_config_static_selectorELNS0_4arch9wavefront6targetE0EEEvT1_.uses_vcc, 0
	.set _ZN7rocprim17ROCPRIM_400000_NS6detail17trampoline_kernelINS0_14default_configENS1_27scan_by_key_config_selectorIifEEZZNS1_16scan_by_key_implILNS1_25lookback_scan_determinismE0ELb0ES3_N6thrust23THRUST_200600_302600_NS6detail15normal_iteratorINS9_10device_ptrIiEEEENSB_INSC_IfEEEESG_fNS9_4plusIvEENS9_8equal_toIvEEfEE10hipError_tPvRmT2_T3_T4_T5_mT6_T7_P12ihipStream_tbENKUlT_T0_E_clISt17integral_constantIbLb0EES11_EEDaSW_SX_EUlSW_E_NS1_11comp_targetILNS1_3genE2ELNS1_11target_archE906ELNS1_3gpuE6ELNS1_3repE0EEENS1_30default_config_static_selectorELNS0_4arch9wavefront6targetE0EEEvT1_.uses_flat_scratch, 0
	.set _ZN7rocprim17ROCPRIM_400000_NS6detail17trampoline_kernelINS0_14default_configENS1_27scan_by_key_config_selectorIifEEZZNS1_16scan_by_key_implILNS1_25lookback_scan_determinismE0ELb0ES3_N6thrust23THRUST_200600_302600_NS6detail15normal_iteratorINS9_10device_ptrIiEEEENSB_INSC_IfEEEESG_fNS9_4plusIvEENS9_8equal_toIvEEfEE10hipError_tPvRmT2_T3_T4_T5_mT6_T7_P12ihipStream_tbENKUlT_T0_E_clISt17integral_constantIbLb0EES11_EEDaSW_SX_EUlSW_E_NS1_11comp_targetILNS1_3genE2ELNS1_11target_archE906ELNS1_3gpuE6ELNS1_3repE0EEENS1_30default_config_static_selectorELNS0_4arch9wavefront6targetE0EEEvT1_.has_dyn_sized_stack, 0
	.set _ZN7rocprim17ROCPRIM_400000_NS6detail17trampoline_kernelINS0_14default_configENS1_27scan_by_key_config_selectorIifEEZZNS1_16scan_by_key_implILNS1_25lookback_scan_determinismE0ELb0ES3_N6thrust23THRUST_200600_302600_NS6detail15normal_iteratorINS9_10device_ptrIiEEEENSB_INSC_IfEEEESG_fNS9_4plusIvEENS9_8equal_toIvEEfEE10hipError_tPvRmT2_T3_T4_T5_mT6_T7_P12ihipStream_tbENKUlT_T0_E_clISt17integral_constantIbLb0EES11_EEDaSW_SX_EUlSW_E_NS1_11comp_targetILNS1_3genE2ELNS1_11target_archE906ELNS1_3gpuE6ELNS1_3repE0EEENS1_30default_config_static_selectorELNS0_4arch9wavefront6targetE0EEEvT1_.has_recursion, 0
	.set _ZN7rocprim17ROCPRIM_400000_NS6detail17trampoline_kernelINS0_14default_configENS1_27scan_by_key_config_selectorIifEEZZNS1_16scan_by_key_implILNS1_25lookback_scan_determinismE0ELb0ES3_N6thrust23THRUST_200600_302600_NS6detail15normal_iteratorINS9_10device_ptrIiEEEENSB_INSC_IfEEEESG_fNS9_4plusIvEENS9_8equal_toIvEEfEE10hipError_tPvRmT2_T3_T4_T5_mT6_T7_P12ihipStream_tbENKUlT_T0_E_clISt17integral_constantIbLb0EES11_EEDaSW_SX_EUlSW_E_NS1_11comp_targetILNS1_3genE2ELNS1_11target_archE906ELNS1_3gpuE6ELNS1_3repE0EEENS1_30default_config_static_selectorELNS0_4arch9wavefront6targetE0EEEvT1_.has_indirect_call, 0
	.section	.AMDGPU.csdata,"",@progbits
; Kernel info:
; codeLenInByte = 0
; TotalNumSgprs: 0
; NumVgprs: 0
; ScratchSize: 0
; MemoryBound: 0
; FloatMode: 240
; IeeeMode: 1
; LDSByteSize: 0 bytes/workgroup (compile time only)
; SGPRBlocks: 0
; VGPRBlocks: 0
; NumSGPRsForWavesPerEU: 1
; NumVGPRsForWavesPerEU: 1
; Occupancy: 16
; WaveLimiterHint : 0
; COMPUTE_PGM_RSRC2:SCRATCH_EN: 0
; COMPUTE_PGM_RSRC2:USER_SGPR: 6
; COMPUTE_PGM_RSRC2:TRAP_HANDLER: 0
; COMPUTE_PGM_RSRC2:TGID_X_EN: 1
; COMPUTE_PGM_RSRC2:TGID_Y_EN: 0
; COMPUTE_PGM_RSRC2:TGID_Z_EN: 0
; COMPUTE_PGM_RSRC2:TIDIG_COMP_CNT: 0
	.section	.text._ZN7rocprim17ROCPRIM_400000_NS6detail17trampoline_kernelINS0_14default_configENS1_27scan_by_key_config_selectorIifEEZZNS1_16scan_by_key_implILNS1_25lookback_scan_determinismE0ELb0ES3_N6thrust23THRUST_200600_302600_NS6detail15normal_iteratorINS9_10device_ptrIiEEEENSB_INSC_IfEEEESG_fNS9_4plusIvEENS9_8equal_toIvEEfEE10hipError_tPvRmT2_T3_T4_T5_mT6_T7_P12ihipStream_tbENKUlT_T0_E_clISt17integral_constantIbLb0EES11_EEDaSW_SX_EUlSW_E_NS1_11comp_targetILNS1_3genE10ELNS1_11target_archE1200ELNS1_3gpuE4ELNS1_3repE0EEENS1_30default_config_static_selectorELNS0_4arch9wavefront6targetE0EEEvT1_,"axG",@progbits,_ZN7rocprim17ROCPRIM_400000_NS6detail17trampoline_kernelINS0_14default_configENS1_27scan_by_key_config_selectorIifEEZZNS1_16scan_by_key_implILNS1_25lookback_scan_determinismE0ELb0ES3_N6thrust23THRUST_200600_302600_NS6detail15normal_iteratorINS9_10device_ptrIiEEEENSB_INSC_IfEEEESG_fNS9_4plusIvEENS9_8equal_toIvEEfEE10hipError_tPvRmT2_T3_T4_T5_mT6_T7_P12ihipStream_tbENKUlT_T0_E_clISt17integral_constantIbLb0EES11_EEDaSW_SX_EUlSW_E_NS1_11comp_targetILNS1_3genE10ELNS1_11target_archE1200ELNS1_3gpuE4ELNS1_3repE0EEENS1_30default_config_static_selectorELNS0_4arch9wavefront6targetE0EEEvT1_,comdat
	.protected	_ZN7rocprim17ROCPRIM_400000_NS6detail17trampoline_kernelINS0_14default_configENS1_27scan_by_key_config_selectorIifEEZZNS1_16scan_by_key_implILNS1_25lookback_scan_determinismE0ELb0ES3_N6thrust23THRUST_200600_302600_NS6detail15normal_iteratorINS9_10device_ptrIiEEEENSB_INSC_IfEEEESG_fNS9_4plusIvEENS9_8equal_toIvEEfEE10hipError_tPvRmT2_T3_T4_T5_mT6_T7_P12ihipStream_tbENKUlT_T0_E_clISt17integral_constantIbLb0EES11_EEDaSW_SX_EUlSW_E_NS1_11comp_targetILNS1_3genE10ELNS1_11target_archE1200ELNS1_3gpuE4ELNS1_3repE0EEENS1_30default_config_static_selectorELNS0_4arch9wavefront6targetE0EEEvT1_ ; -- Begin function _ZN7rocprim17ROCPRIM_400000_NS6detail17trampoline_kernelINS0_14default_configENS1_27scan_by_key_config_selectorIifEEZZNS1_16scan_by_key_implILNS1_25lookback_scan_determinismE0ELb0ES3_N6thrust23THRUST_200600_302600_NS6detail15normal_iteratorINS9_10device_ptrIiEEEENSB_INSC_IfEEEESG_fNS9_4plusIvEENS9_8equal_toIvEEfEE10hipError_tPvRmT2_T3_T4_T5_mT6_T7_P12ihipStream_tbENKUlT_T0_E_clISt17integral_constantIbLb0EES11_EEDaSW_SX_EUlSW_E_NS1_11comp_targetILNS1_3genE10ELNS1_11target_archE1200ELNS1_3gpuE4ELNS1_3repE0EEENS1_30default_config_static_selectorELNS0_4arch9wavefront6targetE0EEEvT1_
	.globl	_ZN7rocprim17ROCPRIM_400000_NS6detail17trampoline_kernelINS0_14default_configENS1_27scan_by_key_config_selectorIifEEZZNS1_16scan_by_key_implILNS1_25lookback_scan_determinismE0ELb0ES3_N6thrust23THRUST_200600_302600_NS6detail15normal_iteratorINS9_10device_ptrIiEEEENSB_INSC_IfEEEESG_fNS9_4plusIvEENS9_8equal_toIvEEfEE10hipError_tPvRmT2_T3_T4_T5_mT6_T7_P12ihipStream_tbENKUlT_T0_E_clISt17integral_constantIbLb0EES11_EEDaSW_SX_EUlSW_E_NS1_11comp_targetILNS1_3genE10ELNS1_11target_archE1200ELNS1_3gpuE4ELNS1_3repE0EEENS1_30default_config_static_selectorELNS0_4arch9wavefront6targetE0EEEvT1_
	.p2align	8
	.type	_ZN7rocprim17ROCPRIM_400000_NS6detail17trampoline_kernelINS0_14default_configENS1_27scan_by_key_config_selectorIifEEZZNS1_16scan_by_key_implILNS1_25lookback_scan_determinismE0ELb0ES3_N6thrust23THRUST_200600_302600_NS6detail15normal_iteratorINS9_10device_ptrIiEEEENSB_INSC_IfEEEESG_fNS9_4plusIvEENS9_8equal_toIvEEfEE10hipError_tPvRmT2_T3_T4_T5_mT6_T7_P12ihipStream_tbENKUlT_T0_E_clISt17integral_constantIbLb0EES11_EEDaSW_SX_EUlSW_E_NS1_11comp_targetILNS1_3genE10ELNS1_11target_archE1200ELNS1_3gpuE4ELNS1_3repE0EEENS1_30default_config_static_selectorELNS0_4arch9wavefront6targetE0EEEvT1_,@function
_ZN7rocprim17ROCPRIM_400000_NS6detail17trampoline_kernelINS0_14default_configENS1_27scan_by_key_config_selectorIifEEZZNS1_16scan_by_key_implILNS1_25lookback_scan_determinismE0ELb0ES3_N6thrust23THRUST_200600_302600_NS6detail15normal_iteratorINS9_10device_ptrIiEEEENSB_INSC_IfEEEESG_fNS9_4plusIvEENS9_8equal_toIvEEfEE10hipError_tPvRmT2_T3_T4_T5_mT6_T7_P12ihipStream_tbENKUlT_T0_E_clISt17integral_constantIbLb0EES11_EEDaSW_SX_EUlSW_E_NS1_11comp_targetILNS1_3genE10ELNS1_11target_archE1200ELNS1_3gpuE4ELNS1_3repE0EEENS1_30default_config_static_selectorELNS0_4arch9wavefront6targetE0EEEvT1_: ; @_ZN7rocprim17ROCPRIM_400000_NS6detail17trampoline_kernelINS0_14default_configENS1_27scan_by_key_config_selectorIifEEZZNS1_16scan_by_key_implILNS1_25lookback_scan_determinismE0ELb0ES3_N6thrust23THRUST_200600_302600_NS6detail15normal_iteratorINS9_10device_ptrIiEEEENSB_INSC_IfEEEESG_fNS9_4plusIvEENS9_8equal_toIvEEfEE10hipError_tPvRmT2_T3_T4_T5_mT6_T7_P12ihipStream_tbENKUlT_T0_E_clISt17integral_constantIbLb0EES11_EEDaSW_SX_EUlSW_E_NS1_11comp_targetILNS1_3genE10ELNS1_11target_archE1200ELNS1_3gpuE4ELNS1_3repE0EEENS1_30default_config_static_selectorELNS0_4arch9wavefront6targetE0EEEvT1_
; %bb.0:
	.section	.rodata,"a",@progbits
	.p2align	6, 0x0
	.amdhsa_kernel _ZN7rocprim17ROCPRIM_400000_NS6detail17trampoline_kernelINS0_14default_configENS1_27scan_by_key_config_selectorIifEEZZNS1_16scan_by_key_implILNS1_25lookback_scan_determinismE0ELb0ES3_N6thrust23THRUST_200600_302600_NS6detail15normal_iteratorINS9_10device_ptrIiEEEENSB_INSC_IfEEEESG_fNS9_4plusIvEENS9_8equal_toIvEEfEE10hipError_tPvRmT2_T3_T4_T5_mT6_T7_P12ihipStream_tbENKUlT_T0_E_clISt17integral_constantIbLb0EES11_EEDaSW_SX_EUlSW_E_NS1_11comp_targetILNS1_3genE10ELNS1_11target_archE1200ELNS1_3gpuE4ELNS1_3repE0EEENS1_30default_config_static_selectorELNS0_4arch9wavefront6targetE0EEEvT1_
		.amdhsa_group_segment_fixed_size 0
		.amdhsa_private_segment_fixed_size 0
		.amdhsa_kernarg_size 112
		.amdhsa_user_sgpr_count 6
		.amdhsa_user_sgpr_private_segment_buffer 1
		.amdhsa_user_sgpr_dispatch_ptr 0
		.amdhsa_user_sgpr_queue_ptr 0
		.amdhsa_user_sgpr_kernarg_segment_ptr 1
		.amdhsa_user_sgpr_dispatch_id 0
		.amdhsa_user_sgpr_flat_scratch_init 0
		.amdhsa_user_sgpr_private_segment_size 0
		.amdhsa_wavefront_size32 1
		.amdhsa_uses_dynamic_stack 0
		.amdhsa_system_sgpr_private_segment_wavefront_offset 0
		.amdhsa_system_sgpr_workgroup_id_x 1
		.amdhsa_system_sgpr_workgroup_id_y 0
		.amdhsa_system_sgpr_workgroup_id_z 0
		.amdhsa_system_sgpr_workgroup_info 0
		.amdhsa_system_vgpr_workitem_id 0
		.amdhsa_next_free_vgpr 1
		.amdhsa_next_free_sgpr 1
		.amdhsa_reserve_vcc 0
		.amdhsa_reserve_flat_scratch 0
		.amdhsa_float_round_mode_32 0
		.amdhsa_float_round_mode_16_64 0
		.amdhsa_float_denorm_mode_32 3
		.amdhsa_float_denorm_mode_16_64 3
		.amdhsa_dx10_clamp 1
		.amdhsa_ieee_mode 1
		.amdhsa_fp16_overflow 0
		.amdhsa_workgroup_processor_mode 1
		.amdhsa_memory_ordered 1
		.amdhsa_forward_progress 1
		.amdhsa_shared_vgpr_count 0
		.amdhsa_exception_fp_ieee_invalid_op 0
		.amdhsa_exception_fp_denorm_src 0
		.amdhsa_exception_fp_ieee_div_zero 0
		.amdhsa_exception_fp_ieee_overflow 0
		.amdhsa_exception_fp_ieee_underflow 0
		.amdhsa_exception_fp_ieee_inexact 0
		.amdhsa_exception_int_div_zero 0
	.end_amdhsa_kernel
	.section	.text._ZN7rocprim17ROCPRIM_400000_NS6detail17trampoline_kernelINS0_14default_configENS1_27scan_by_key_config_selectorIifEEZZNS1_16scan_by_key_implILNS1_25lookback_scan_determinismE0ELb0ES3_N6thrust23THRUST_200600_302600_NS6detail15normal_iteratorINS9_10device_ptrIiEEEENSB_INSC_IfEEEESG_fNS9_4plusIvEENS9_8equal_toIvEEfEE10hipError_tPvRmT2_T3_T4_T5_mT6_T7_P12ihipStream_tbENKUlT_T0_E_clISt17integral_constantIbLb0EES11_EEDaSW_SX_EUlSW_E_NS1_11comp_targetILNS1_3genE10ELNS1_11target_archE1200ELNS1_3gpuE4ELNS1_3repE0EEENS1_30default_config_static_selectorELNS0_4arch9wavefront6targetE0EEEvT1_,"axG",@progbits,_ZN7rocprim17ROCPRIM_400000_NS6detail17trampoline_kernelINS0_14default_configENS1_27scan_by_key_config_selectorIifEEZZNS1_16scan_by_key_implILNS1_25lookback_scan_determinismE0ELb0ES3_N6thrust23THRUST_200600_302600_NS6detail15normal_iteratorINS9_10device_ptrIiEEEENSB_INSC_IfEEEESG_fNS9_4plusIvEENS9_8equal_toIvEEfEE10hipError_tPvRmT2_T3_T4_T5_mT6_T7_P12ihipStream_tbENKUlT_T0_E_clISt17integral_constantIbLb0EES11_EEDaSW_SX_EUlSW_E_NS1_11comp_targetILNS1_3genE10ELNS1_11target_archE1200ELNS1_3gpuE4ELNS1_3repE0EEENS1_30default_config_static_selectorELNS0_4arch9wavefront6targetE0EEEvT1_,comdat
.Lfunc_end1136:
	.size	_ZN7rocprim17ROCPRIM_400000_NS6detail17trampoline_kernelINS0_14default_configENS1_27scan_by_key_config_selectorIifEEZZNS1_16scan_by_key_implILNS1_25lookback_scan_determinismE0ELb0ES3_N6thrust23THRUST_200600_302600_NS6detail15normal_iteratorINS9_10device_ptrIiEEEENSB_INSC_IfEEEESG_fNS9_4plusIvEENS9_8equal_toIvEEfEE10hipError_tPvRmT2_T3_T4_T5_mT6_T7_P12ihipStream_tbENKUlT_T0_E_clISt17integral_constantIbLb0EES11_EEDaSW_SX_EUlSW_E_NS1_11comp_targetILNS1_3genE10ELNS1_11target_archE1200ELNS1_3gpuE4ELNS1_3repE0EEENS1_30default_config_static_selectorELNS0_4arch9wavefront6targetE0EEEvT1_, .Lfunc_end1136-_ZN7rocprim17ROCPRIM_400000_NS6detail17trampoline_kernelINS0_14default_configENS1_27scan_by_key_config_selectorIifEEZZNS1_16scan_by_key_implILNS1_25lookback_scan_determinismE0ELb0ES3_N6thrust23THRUST_200600_302600_NS6detail15normal_iteratorINS9_10device_ptrIiEEEENSB_INSC_IfEEEESG_fNS9_4plusIvEENS9_8equal_toIvEEfEE10hipError_tPvRmT2_T3_T4_T5_mT6_T7_P12ihipStream_tbENKUlT_T0_E_clISt17integral_constantIbLb0EES11_EEDaSW_SX_EUlSW_E_NS1_11comp_targetILNS1_3genE10ELNS1_11target_archE1200ELNS1_3gpuE4ELNS1_3repE0EEENS1_30default_config_static_selectorELNS0_4arch9wavefront6targetE0EEEvT1_
                                        ; -- End function
	.set _ZN7rocprim17ROCPRIM_400000_NS6detail17trampoline_kernelINS0_14default_configENS1_27scan_by_key_config_selectorIifEEZZNS1_16scan_by_key_implILNS1_25lookback_scan_determinismE0ELb0ES3_N6thrust23THRUST_200600_302600_NS6detail15normal_iteratorINS9_10device_ptrIiEEEENSB_INSC_IfEEEESG_fNS9_4plusIvEENS9_8equal_toIvEEfEE10hipError_tPvRmT2_T3_T4_T5_mT6_T7_P12ihipStream_tbENKUlT_T0_E_clISt17integral_constantIbLb0EES11_EEDaSW_SX_EUlSW_E_NS1_11comp_targetILNS1_3genE10ELNS1_11target_archE1200ELNS1_3gpuE4ELNS1_3repE0EEENS1_30default_config_static_selectorELNS0_4arch9wavefront6targetE0EEEvT1_.num_vgpr, 0
	.set _ZN7rocprim17ROCPRIM_400000_NS6detail17trampoline_kernelINS0_14default_configENS1_27scan_by_key_config_selectorIifEEZZNS1_16scan_by_key_implILNS1_25lookback_scan_determinismE0ELb0ES3_N6thrust23THRUST_200600_302600_NS6detail15normal_iteratorINS9_10device_ptrIiEEEENSB_INSC_IfEEEESG_fNS9_4plusIvEENS9_8equal_toIvEEfEE10hipError_tPvRmT2_T3_T4_T5_mT6_T7_P12ihipStream_tbENKUlT_T0_E_clISt17integral_constantIbLb0EES11_EEDaSW_SX_EUlSW_E_NS1_11comp_targetILNS1_3genE10ELNS1_11target_archE1200ELNS1_3gpuE4ELNS1_3repE0EEENS1_30default_config_static_selectorELNS0_4arch9wavefront6targetE0EEEvT1_.num_agpr, 0
	.set _ZN7rocprim17ROCPRIM_400000_NS6detail17trampoline_kernelINS0_14default_configENS1_27scan_by_key_config_selectorIifEEZZNS1_16scan_by_key_implILNS1_25lookback_scan_determinismE0ELb0ES3_N6thrust23THRUST_200600_302600_NS6detail15normal_iteratorINS9_10device_ptrIiEEEENSB_INSC_IfEEEESG_fNS9_4plusIvEENS9_8equal_toIvEEfEE10hipError_tPvRmT2_T3_T4_T5_mT6_T7_P12ihipStream_tbENKUlT_T0_E_clISt17integral_constantIbLb0EES11_EEDaSW_SX_EUlSW_E_NS1_11comp_targetILNS1_3genE10ELNS1_11target_archE1200ELNS1_3gpuE4ELNS1_3repE0EEENS1_30default_config_static_selectorELNS0_4arch9wavefront6targetE0EEEvT1_.numbered_sgpr, 0
	.set _ZN7rocprim17ROCPRIM_400000_NS6detail17trampoline_kernelINS0_14default_configENS1_27scan_by_key_config_selectorIifEEZZNS1_16scan_by_key_implILNS1_25lookback_scan_determinismE0ELb0ES3_N6thrust23THRUST_200600_302600_NS6detail15normal_iteratorINS9_10device_ptrIiEEEENSB_INSC_IfEEEESG_fNS9_4plusIvEENS9_8equal_toIvEEfEE10hipError_tPvRmT2_T3_T4_T5_mT6_T7_P12ihipStream_tbENKUlT_T0_E_clISt17integral_constantIbLb0EES11_EEDaSW_SX_EUlSW_E_NS1_11comp_targetILNS1_3genE10ELNS1_11target_archE1200ELNS1_3gpuE4ELNS1_3repE0EEENS1_30default_config_static_selectorELNS0_4arch9wavefront6targetE0EEEvT1_.num_named_barrier, 0
	.set _ZN7rocprim17ROCPRIM_400000_NS6detail17trampoline_kernelINS0_14default_configENS1_27scan_by_key_config_selectorIifEEZZNS1_16scan_by_key_implILNS1_25lookback_scan_determinismE0ELb0ES3_N6thrust23THRUST_200600_302600_NS6detail15normal_iteratorINS9_10device_ptrIiEEEENSB_INSC_IfEEEESG_fNS9_4plusIvEENS9_8equal_toIvEEfEE10hipError_tPvRmT2_T3_T4_T5_mT6_T7_P12ihipStream_tbENKUlT_T0_E_clISt17integral_constantIbLb0EES11_EEDaSW_SX_EUlSW_E_NS1_11comp_targetILNS1_3genE10ELNS1_11target_archE1200ELNS1_3gpuE4ELNS1_3repE0EEENS1_30default_config_static_selectorELNS0_4arch9wavefront6targetE0EEEvT1_.private_seg_size, 0
	.set _ZN7rocprim17ROCPRIM_400000_NS6detail17trampoline_kernelINS0_14default_configENS1_27scan_by_key_config_selectorIifEEZZNS1_16scan_by_key_implILNS1_25lookback_scan_determinismE0ELb0ES3_N6thrust23THRUST_200600_302600_NS6detail15normal_iteratorINS9_10device_ptrIiEEEENSB_INSC_IfEEEESG_fNS9_4plusIvEENS9_8equal_toIvEEfEE10hipError_tPvRmT2_T3_T4_T5_mT6_T7_P12ihipStream_tbENKUlT_T0_E_clISt17integral_constantIbLb0EES11_EEDaSW_SX_EUlSW_E_NS1_11comp_targetILNS1_3genE10ELNS1_11target_archE1200ELNS1_3gpuE4ELNS1_3repE0EEENS1_30default_config_static_selectorELNS0_4arch9wavefront6targetE0EEEvT1_.uses_vcc, 0
	.set _ZN7rocprim17ROCPRIM_400000_NS6detail17trampoline_kernelINS0_14default_configENS1_27scan_by_key_config_selectorIifEEZZNS1_16scan_by_key_implILNS1_25lookback_scan_determinismE0ELb0ES3_N6thrust23THRUST_200600_302600_NS6detail15normal_iteratorINS9_10device_ptrIiEEEENSB_INSC_IfEEEESG_fNS9_4plusIvEENS9_8equal_toIvEEfEE10hipError_tPvRmT2_T3_T4_T5_mT6_T7_P12ihipStream_tbENKUlT_T0_E_clISt17integral_constantIbLb0EES11_EEDaSW_SX_EUlSW_E_NS1_11comp_targetILNS1_3genE10ELNS1_11target_archE1200ELNS1_3gpuE4ELNS1_3repE0EEENS1_30default_config_static_selectorELNS0_4arch9wavefront6targetE0EEEvT1_.uses_flat_scratch, 0
	.set _ZN7rocprim17ROCPRIM_400000_NS6detail17trampoline_kernelINS0_14default_configENS1_27scan_by_key_config_selectorIifEEZZNS1_16scan_by_key_implILNS1_25lookback_scan_determinismE0ELb0ES3_N6thrust23THRUST_200600_302600_NS6detail15normal_iteratorINS9_10device_ptrIiEEEENSB_INSC_IfEEEESG_fNS9_4plusIvEENS9_8equal_toIvEEfEE10hipError_tPvRmT2_T3_T4_T5_mT6_T7_P12ihipStream_tbENKUlT_T0_E_clISt17integral_constantIbLb0EES11_EEDaSW_SX_EUlSW_E_NS1_11comp_targetILNS1_3genE10ELNS1_11target_archE1200ELNS1_3gpuE4ELNS1_3repE0EEENS1_30default_config_static_selectorELNS0_4arch9wavefront6targetE0EEEvT1_.has_dyn_sized_stack, 0
	.set _ZN7rocprim17ROCPRIM_400000_NS6detail17trampoline_kernelINS0_14default_configENS1_27scan_by_key_config_selectorIifEEZZNS1_16scan_by_key_implILNS1_25lookback_scan_determinismE0ELb0ES3_N6thrust23THRUST_200600_302600_NS6detail15normal_iteratorINS9_10device_ptrIiEEEENSB_INSC_IfEEEESG_fNS9_4plusIvEENS9_8equal_toIvEEfEE10hipError_tPvRmT2_T3_T4_T5_mT6_T7_P12ihipStream_tbENKUlT_T0_E_clISt17integral_constantIbLb0EES11_EEDaSW_SX_EUlSW_E_NS1_11comp_targetILNS1_3genE10ELNS1_11target_archE1200ELNS1_3gpuE4ELNS1_3repE0EEENS1_30default_config_static_selectorELNS0_4arch9wavefront6targetE0EEEvT1_.has_recursion, 0
	.set _ZN7rocprim17ROCPRIM_400000_NS6detail17trampoline_kernelINS0_14default_configENS1_27scan_by_key_config_selectorIifEEZZNS1_16scan_by_key_implILNS1_25lookback_scan_determinismE0ELb0ES3_N6thrust23THRUST_200600_302600_NS6detail15normal_iteratorINS9_10device_ptrIiEEEENSB_INSC_IfEEEESG_fNS9_4plusIvEENS9_8equal_toIvEEfEE10hipError_tPvRmT2_T3_T4_T5_mT6_T7_P12ihipStream_tbENKUlT_T0_E_clISt17integral_constantIbLb0EES11_EEDaSW_SX_EUlSW_E_NS1_11comp_targetILNS1_3genE10ELNS1_11target_archE1200ELNS1_3gpuE4ELNS1_3repE0EEENS1_30default_config_static_selectorELNS0_4arch9wavefront6targetE0EEEvT1_.has_indirect_call, 0
	.section	.AMDGPU.csdata,"",@progbits
; Kernel info:
; codeLenInByte = 0
; TotalNumSgprs: 0
; NumVgprs: 0
; ScratchSize: 0
; MemoryBound: 0
; FloatMode: 240
; IeeeMode: 1
; LDSByteSize: 0 bytes/workgroup (compile time only)
; SGPRBlocks: 0
; VGPRBlocks: 0
; NumSGPRsForWavesPerEU: 1
; NumVGPRsForWavesPerEU: 1
; Occupancy: 16
; WaveLimiterHint : 0
; COMPUTE_PGM_RSRC2:SCRATCH_EN: 0
; COMPUTE_PGM_RSRC2:USER_SGPR: 6
; COMPUTE_PGM_RSRC2:TRAP_HANDLER: 0
; COMPUTE_PGM_RSRC2:TGID_X_EN: 1
; COMPUTE_PGM_RSRC2:TGID_Y_EN: 0
; COMPUTE_PGM_RSRC2:TGID_Z_EN: 0
; COMPUTE_PGM_RSRC2:TIDIG_COMP_CNT: 0
	.section	.text._ZN7rocprim17ROCPRIM_400000_NS6detail17trampoline_kernelINS0_14default_configENS1_27scan_by_key_config_selectorIifEEZZNS1_16scan_by_key_implILNS1_25lookback_scan_determinismE0ELb0ES3_N6thrust23THRUST_200600_302600_NS6detail15normal_iteratorINS9_10device_ptrIiEEEENSB_INSC_IfEEEESG_fNS9_4plusIvEENS9_8equal_toIvEEfEE10hipError_tPvRmT2_T3_T4_T5_mT6_T7_P12ihipStream_tbENKUlT_T0_E_clISt17integral_constantIbLb0EES11_EEDaSW_SX_EUlSW_E_NS1_11comp_targetILNS1_3genE9ELNS1_11target_archE1100ELNS1_3gpuE3ELNS1_3repE0EEENS1_30default_config_static_selectorELNS0_4arch9wavefront6targetE0EEEvT1_,"axG",@progbits,_ZN7rocprim17ROCPRIM_400000_NS6detail17trampoline_kernelINS0_14default_configENS1_27scan_by_key_config_selectorIifEEZZNS1_16scan_by_key_implILNS1_25lookback_scan_determinismE0ELb0ES3_N6thrust23THRUST_200600_302600_NS6detail15normal_iteratorINS9_10device_ptrIiEEEENSB_INSC_IfEEEESG_fNS9_4plusIvEENS9_8equal_toIvEEfEE10hipError_tPvRmT2_T3_T4_T5_mT6_T7_P12ihipStream_tbENKUlT_T0_E_clISt17integral_constantIbLb0EES11_EEDaSW_SX_EUlSW_E_NS1_11comp_targetILNS1_3genE9ELNS1_11target_archE1100ELNS1_3gpuE3ELNS1_3repE0EEENS1_30default_config_static_selectorELNS0_4arch9wavefront6targetE0EEEvT1_,comdat
	.protected	_ZN7rocprim17ROCPRIM_400000_NS6detail17trampoline_kernelINS0_14default_configENS1_27scan_by_key_config_selectorIifEEZZNS1_16scan_by_key_implILNS1_25lookback_scan_determinismE0ELb0ES3_N6thrust23THRUST_200600_302600_NS6detail15normal_iteratorINS9_10device_ptrIiEEEENSB_INSC_IfEEEESG_fNS9_4plusIvEENS9_8equal_toIvEEfEE10hipError_tPvRmT2_T3_T4_T5_mT6_T7_P12ihipStream_tbENKUlT_T0_E_clISt17integral_constantIbLb0EES11_EEDaSW_SX_EUlSW_E_NS1_11comp_targetILNS1_3genE9ELNS1_11target_archE1100ELNS1_3gpuE3ELNS1_3repE0EEENS1_30default_config_static_selectorELNS0_4arch9wavefront6targetE0EEEvT1_ ; -- Begin function _ZN7rocprim17ROCPRIM_400000_NS6detail17trampoline_kernelINS0_14default_configENS1_27scan_by_key_config_selectorIifEEZZNS1_16scan_by_key_implILNS1_25lookback_scan_determinismE0ELb0ES3_N6thrust23THRUST_200600_302600_NS6detail15normal_iteratorINS9_10device_ptrIiEEEENSB_INSC_IfEEEESG_fNS9_4plusIvEENS9_8equal_toIvEEfEE10hipError_tPvRmT2_T3_T4_T5_mT6_T7_P12ihipStream_tbENKUlT_T0_E_clISt17integral_constantIbLb0EES11_EEDaSW_SX_EUlSW_E_NS1_11comp_targetILNS1_3genE9ELNS1_11target_archE1100ELNS1_3gpuE3ELNS1_3repE0EEENS1_30default_config_static_selectorELNS0_4arch9wavefront6targetE0EEEvT1_
	.globl	_ZN7rocprim17ROCPRIM_400000_NS6detail17trampoline_kernelINS0_14default_configENS1_27scan_by_key_config_selectorIifEEZZNS1_16scan_by_key_implILNS1_25lookback_scan_determinismE0ELb0ES3_N6thrust23THRUST_200600_302600_NS6detail15normal_iteratorINS9_10device_ptrIiEEEENSB_INSC_IfEEEESG_fNS9_4plusIvEENS9_8equal_toIvEEfEE10hipError_tPvRmT2_T3_T4_T5_mT6_T7_P12ihipStream_tbENKUlT_T0_E_clISt17integral_constantIbLb0EES11_EEDaSW_SX_EUlSW_E_NS1_11comp_targetILNS1_3genE9ELNS1_11target_archE1100ELNS1_3gpuE3ELNS1_3repE0EEENS1_30default_config_static_selectorELNS0_4arch9wavefront6targetE0EEEvT1_
	.p2align	8
	.type	_ZN7rocprim17ROCPRIM_400000_NS6detail17trampoline_kernelINS0_14default_configENS1_27scan_by_key_config_selectorIifEEZZNS1_16scan_by_key_implILNS1_25lookback_scan_determinismE0ELb0ES3_N6thrust23THRUST_200600_302600_NS6detail15normal_iteratorINS9_10device_ptrIiEEEENSB_INSC_IfEEEESG_fNS9_4plusIvEENS9_8equal_toIvEEfEE10hipError_tPvRmT2_T3_T4_T5_mT6_T7_P12ihipStream_tbENKUlT_T0_E_clISt17integral_constantIbLb0EES11_EEDaSW_SX_EUlSW_E_NS1_11comp_targetILNS1_3genE9ELNS1_11target_archE1100ELNS1_3gpuE3ELNS1_3repE0EEENS1_30default_config_static_selectorELNS0_4arch9wavefront6targetE0EEEvT1_,@function
_ZN7rocprim17ROCPRIM_400000_NS6detail17trampoline_kernelINS0_14default_configENS1_27scan_by_key_config_selectorIifEEZZNS1_16scan_by_key_implILNS1_25lookback_scan_determinismE0ELb0ES3_N6thrust23THRUST_200600_302600_NS6detail15normal_iteratorINS9_10device_ptrIiEEEENSB_INSC_IfEEEESG_fNS9_4plusIvEENS9_8equal_toIvEEfEE10hipError_tPvRmT2_T3_T4_T5_mT6_T7_P12ihipStream_tbENKUlT_T0_E_clISt17integral_constantIbLb0EES11_EEDaSW_SX_EUlSW_E_NS1_11comp_targetILNS1_3genE9ELNS1_11target_archE1100ELNS1_3gpuE3ELNS1_3repE0EEENS1_30default_config_static_selectorELNS0_4arch9wavefront6targetE0EEEvT1_: ; @_ZN7rocprim17ROCPRIM_400000_NS6detail17trampoline_kernelINS0_14default_configENS1_27scan_by_key_config_selectorIifEEZZNS1_16scan_by_key_implILNS1_25lookback_scan_determinismE0ELb0ES3_N6thrust23THRUST_200600_302600_NS6detail15normal_iteratorINS9_10device_ptrIiEEEENSB_INSC_IfEEEESG_fNS9_4plusIvEENS9_8equal_toIvEEfEE10hipError_tPvRmT2_T3_T4_T5_mT6_T7_P12ihipStream_tbENKUlT_T0_E_clISt17integral_constantIbLb0EES11_EEDaSW_SX_EUlSW_E_NS1_11comp_targetILNS1_3genE9ELNS1_11target_archE1100ELNS1_3gpuE3ELNS1_3repE0EEENS1_30default_config_static_selectorELNS0_4arch9wavefront6targetE0EEEvT1_
; %bb.0:
	.section	.rodata,"a",@progbits
	.p2align	6, 0x0
	.amdhsa_kernel _ZN7rocprim17ROCPRIM_400000_NS6detail17trampoline_kernelINS0_14default_configENS1_27scan_by_key_config_selectorIifEEZZNS1_16scan_by_key_implILNS1_25lookback_scan_determinismE0ELb0ES3_N6thrust23THRUST_200600_302600_NS6detail15normal_iteratorINS9_10device_ptrIiEEEENSB_INSC_IfEEEESG_fNS9_4plusIvEENS9_8equal_toIvEEfEE10hipError_tPvRmT2_T3_T4_T5_mT6_T7_P12ihipStream_tbENKUlT_T0_E_clISt17integral_constantIbLb0EES11_EEDaSW_SX_EUlSW_E_NS1_11comp_targetILNS1_3genE9ELNS1_11target_archE1100ELNS1_3gpuE3ELNS1_3repE0EEENS1_30default_config_static_selectorELNS0_4arch9wavefront6targetE0EEEvT1_
		.amdhsa_group_segment_fixed_size 0
		.amdhsa_private_segment_fixed_size 0
		.amdhsa_kernarg_size 112
		.amdhsa_user_sgpr_count 6
		.amdhsa_user_sgpr_private_segment_buffer 1
		.amdhsa_user_sgpr_dispatch_ptr 0
		.amdhsa_user_sgpr_queue_ptr 0
		.amdhsa_user_sgpr_kernarg_segment_ptr 1
		.amdhsa_user_sgpr_dispatch_id 0
		.amdhsa_user_sgpr_flat_scratch_init 0
		.amdhsa_user_sgpr_private_segment_size 0
		.amdhsa_wavefront_size32 1
		.amdhsa_uses_dynamic_stack 0
		.amdhsa_system_sgpr_private_segment_wavefront_offset 0
		.amdhsa_system_sgpr_workgroup_id_x 1
		.amdhsa_system_sgpr_workgroup_id_y 0
		.amdhsa_system_sgpr_workgroup_id_z 0
		.amdhsa_system_sgpr_workgroup_info 0
		.amdhsa_system_vgpr_workitem_id 0
		.amdhsa_next_free_vgpr 1
		.amdhsa_next_free_sgpr 1
		.amdhsa_reserve_vcc 0
		.amdhsa_reserve_flat_scratch 0
		.amdhsa_float_round_mode_32 0
		.amdhsa_float_round_mode_16_64 0
		.amdhsa_float_denorm_mode_32 3
		.amdhsa_float_denorm_mode_16_64 3
		.amdhsa_dx10_clamp 1
		.amdhsa_ieee_mode 1
		.amdhsa_fp16_overflow 0
		.amdhsa_workgroup_processor_mode 1
		.amdhsa_memory_ordered 1
		.amdhsa_forward_progress 1
		.amdhsa_shared_vgpr_count 0
		.amdhsa_exception_fp_ieee_invalid_op 0
		.amdhsa_exception_fp_denorm_src 0
		.amdhsa_exception_fp_ieee_div_zero 0
		.amdhsa_exception_fp_ieee_overflow 0
		.amdhsa_exception_fp_ieee_underflow 0
		.amdhsa_exception_fp_ieee_inexact 0
		.amdhsa_exception_int_div_zero 0
	.end_amdhsa_kernel
	.section	.text._ZN7rocprim17ROCPRIM_400000_NS6detail17trampoline_kernelINS0_14default_configENS1_27scan_by_key_config_selectorIifEEZZNS1_16scan_by_key_implILNS1_25lookback_scan_determinismE0ELb0ES3_N6thrust23THRUST_200600_302600_NS6detail15normal_iteratorINS9_10device_ptrIiEEEENSB_INSC_IfEEEESG_fNS9_4plusIvEENS9_8equal_toIvEEfEE10hipError_tPvRmT2_T3_T4_T5_mT6_T7_P12ihipStream_tbENKUlT_T0_E_clISt17integral_constantIbLb0EES11_EEDaSW_SX_EUlSW_E_NS1_11comp_targetILNS1_3genE9ELNS1_11target_archE1100ELNS1_3gpuE3ELNS1_3repE0EEENS1_30default_config_static_selectorELNS0_4arch9wavefront6targetE0EEEvT1_,"axG",@progbits,_ZN7rocprim17ROCPRIM_400000_NS6detail17trampoline_kernelINS0_14default_configENS1_27scan_by_key_config_selectorIifEEZZNS1_16scan_by_key_implILNS1_25lookback_scan_determinismE0ELb0ES3_N6thrust23THRUST_200600_302600_NS6detail15normal_iteratorINS9_10device_ptrIiEEEENSB_INSC_IfEEEESG_fNS9_4plusIvEENS9_8equal_toIvEEfEE10hipError_tPvRmT2_T3_T4_T5_mT6_T7_P12ihipStream_tbENKUlT_T0_E_clISt17integral_constantIbLb0EES11_EEDaSW_SX_EUlSW_E_NS1_11comp_targetILNS1_3genE9ELNS1_11target_archE1100ELNS1_3gpuE3ELNS1_3repE0EEENS1_30default_config_static_selectorELNS0_4arch9wavefront6targetE0EEEvT1_,comdat
.Lfunc_end1137:
	.size	_ZN7rocprim17ROCPRIM_400000_NS6detail17trampoline_kernelINS0_14default_configENS1_27scan_by_key_config_selectorIifEEZZNS1_16scan_by_key_implILNS1_25lookback_scan_determinismE0ELb0ES3_N6thrust23THRUST_200600_302600_NS6detail15normal_iteratorINS9_10device_ptrIiEEEENSB_INSC_IfEEEESG_fNS9_4plusIvEENS9_8equal_toIvEEfEE10hipError_tPvRmT2_T3_T4_T5_mT6_T7_P12ihipStream_tbENKUlT_T0_E_clISt17integral_constantIbLb0EES11_EEDaSW_SX_EUlSW_E_NS1_11comp_targetILNS1_3genE9ELNS1_11target_archE1100ELNS1_3gpuE3ELNS1_3repE0EEENS1_30default_config_static_selectorELNS0_4arch9wavefront6targetE0EEEvT1_, .Lfunc_end1137-_ZN7rocprim17ROCPRIM_400000_NS6detail17trampoline_kernelINS0_14default_configENS1_27scan_by_key_config_selectorIifEEZZNS1_16scan_by_key_implILNS1_25lookback_scan_determinismE0ELb0ES3_N6thrust23THRUST_200600_302600_NS6detail15normal_iteratorINS9_10device_ptrIiEEEENSB_INSC_IfEEEESG_fNS9_4plusIvEENS9_8equal_toIvEEfEE10hipError_tPvRmT2_T3_T4_T5_mT6_T7_P12ihipStream_tbENKUlT_T0_E_clISt17integral_constantIbLb0EES11_EEDaSW_SX_EUlSW_E_NS1_11comp_targetILNS1_3genE9ELNS1_11target_archE1100ELNS1_3gpuE3ELNS1_3repE0EEENS1_30default_config_static_selectorELNS0_4arch9wavefront6targetE0EEEvT1_
                                        ; -- End function
	.set _ZN7rocprim17ROCPRIM_400000_NS6detail17trampoline_kernelINS0_14default_configENS1_27scan_by_key_config_selectorIifEEZZNS1_16scan_by_key_implILNS1_25lookback_scan_determinismE0ELb0ES3_N6thrust23THRUST_200600_302600_NS6detail15normal_iteratorINS9_10device_ptrIiEEEENSB_INSC_IfEEEESG_fNS9_4plusIvEENS9_8equal_toIvEEfEE10hipError_tPvRmT2_T3_T4_T5_mT6_T7_P12ihipStream_tbENKUlT_T0_E_clISt17integral_constantIbLb0EES11_EEDaSW_SX_EUlSW_E_NS1_11comp_targetILNS1_3genE9ELNS1_11target_archE1100ELNS1_3gpuE3ELNS1_3repE0EEENS1_30default_config_static_selectorELNS0_4arch9wavefront6targetE0EEEvT1_.num_vgpr, 0
	.set _ZN7rocprim17ROCPRIM_400000_NS6detail17trampoline_kernelINS0_14default_configENS1_27scan_by_key_config_selectorIifEEZZNS1_16scan_by_key_implILNS1_25lookback_scan_determinismE0ELb0ES3_N6thrust23THRUST_200600_302600_NS6detail15normal_iteratorINS9_10device_ptrIiEEEENSB_INSC_IfEEEESG_fNS9_4plusIvEENS9_8equal_toIvEEfEE10hipError_tPvRmT2_T3_T4_T5_mT6_T7_P12ihipStream_tbENKUlT_T0_E_clISt17integral_constantIbLb0EES11_EEDaSW_SX_EUlSW_E_NS1_11comp_targetILNS1_3genE9ELNS1_11target_archE1100ELNS1_3gpuE3ELNS1_3repE0EEENS1_30default_config_static_selectorELNS0_4arch9wavefront6targetE0EEEvT1_.num_agpr, 0
	.set _ZN7rocprim17ROCPRIM_400000_NS6detail17trampoline_kernelINS0_14default_configENS1_27scan_by_key_config_selectorIifEEZZNS1_16scan_by_key_implILNS1_25lookback_scan_determinismE0ELb0ES3_N6thrust23THRUST_200600_302600_NS6detail15normal_iteratorINS9_10device_ptrIiEEEENSB_INSC_IfEEEESG_fNS9_4plusIvEENS9_8equal_toIvEEfEE10hipError_tPvRmT2_T3_T4_T5_mT6_T7_P12ihipStream_tbENKUlT_T0_E_clISt17integral_constantIbLb0EES11_EEDaSW_SX_EUlSW_E_NS1_11comp_targetILNS1_3genE9ELNS1_11target_archE1100ELNS1_3gpuE3ELNS1_3repE0EEENS1_30default_config_static_selectorELNS0_4arch9wavefront6targetE0EEEvT1_.numbered_sgpr, 0
	.set _ZN7rocprim17ROCPRIM_400000_NS6detail17trampoline_kernelINS0_14default_configENS1_27scan_by_key_config_selectorIifEEZZNS1_16scan_by_key_implILNS1_25lookback_scan_determinismE0ELb0ES3_N6thrust23THRUST_200600_302600_NS6detail15normal_iteratorINS9_10device_ptrIiEEEENSB_INSC_IfEEEESG_fNS9_4plusIvEENS9_8equal_toIvEEfEE10hipError_tPvRmT2_T3_T4_T5_mT6_T7_P12ihipStream_tbENKUlT_T0_E_clISt17integral_constantIbLb0EES11_EEDaSW_SX_EUlSW_E_NS1_11comp_targetILNS1_3genE9ELNS1_11target_archE1100ELNS1_3gpuE3ELNS1_3repE0EEENS1_30default_config_static_selectorELNS0_4arch9wavefront6targetE0EEEvT1_.num_named_barrier, 0
	.set _ZN7rocprim17ROCPRIM_400000_NS6detail17trampoline_kernelINS0_14default_configENS1_27scan_by_key_config_selectorIifEEZZNS1_16scan_by_key_implILNS1_25lookback_scan_determinismE0ELb0ES3_N6thrust23THRUST_200600_302600_NS6detail15normal_iteratorINS9_10device_ptrIiEEEENSB_INSC_IfEEEESG_fNS9_4plusIvEENS9_8equal_toIvEEfEE10hipError_tPvRmT2_T3_T4_T5_mT6_T7_P12ihipStream_tbENKUlT_T0_E_clISt17integral_constantIbLb0EES11_EEDaSW_SX_EUlSW_E_NS1_11comp_targetILNS1_3genE9ELNS1_11target_archE1100ELNS1_3gpuE3ELNS1_3repE0EEENS1_30default_config_static_selectorELNS0_4arch9wavefront6targetE0EEEvT1_.private_seg_size, 0
	.set _ZN7rocprim17ROCPRIM_400000_NS6detail17trampoline_kernelINS0_14default_configENS1_27scan_by_key_config_selectorIifEEZZNS1_16scan_by_key_implILNS1_25lookback_scan_determinismE0ELb0ES3_N6thrust23THRUST_200600_302600_NS6detail15normal_iteratorINS9_10device_ptrIiEEEENSB_INSC_IfEEEESG_fNS9_4plusIvEENS9_8equal_toIvEEfEE10hipError_tPvRmT2_T3_T4_T5_mT6_T7_P12ihipStream_tbENKUlT_T0_E_clISt17integral_constantIbLb0EES11_EEDaSW_SX_EUlSW_E_NS1_11comp_targetILNS1_3genE9ELNS1_11target_archE1100ELNS1_3gpuE3ELNS1_3repE0EEENS1_30default_config_static_selectorELNS0_4arch9wavefront6targetE0EEEvT1_.uses_vcc, 0
	.set _ZN7rocprim17ROCPRIM_400000_NS6detail17trampoline_kernelINS0_14default_configENS1_27scan_by_key_config_selectorIifEEZZNS1_16scan_by_key_implILNS1_25lookback_scan_determinismE0ELb0ES3_N6thrust23THRUST_200600_302600_NS6detail15normal_iteratorINS9_10device_ptrIiEEEENSB_INSC_IfEEEESG_fNS9_4plusIvEENS9_8equal_toIvEEfEE10hipError_tPvRmT2_T3_T4_T5_mT6_T7_P12ihipStream_tbENKUlT_T0_E_clISt17integral_constantIbLb0EES11_EEDaSW_SX_EUlSW_E_NS1_11comp_targetILNS1_3genE9ELNS1_11target_archE1100ELNS1_3gpuE3ELNS1_3repE0EEENS1_30default_config_static_selectorELNS0_4arch9wavefront6targetE0EEEvT1_.uses_flat_scratch, 0
	.set _ZN7rocprim17ROCPRIM_400000_NS6detail17trampoline_kernelINS0_14default_configENS1_27scan_by_key_config_selectorIifEEZZNS1_16scan_by_key_implILNS1_25lookback_scan_determinismE0ELb0ES3_N6thrust23THRUST_200600_302600_NS6detail15normal_iteratorINS9_10device_ptrIiEEEENSB_INSC_IfEEEESG_fNS9_4plusIvEENS9_8equal_toIvEEfEE10hipError_tPvRmT2_T3_T4_T5_mT6_T7_P12ihipStream_tbENKUlT_T0_E_clISt17integral_constantIbLb0EES11_EEDaSW_SX_EUlSW_E_NS1_11comp_targetILNS1_3genE9ELNS1_11target_archE1100ELNS1_3gpuE3ELNS1_3repE0EEENS1_30default_config_static_selectorELNS0_4arch9wavefront6targetE0EEEvT1_.has_dyn_sized_stack, 0
	.set _ZN7rocprim17ROCPRIM_400000_NS6detail17trampoline_kernelINS0_14default_configENS1_27scan_by_key_config_selectorIifEEZZNS1_16scan_by_key_implILNS1_25lookback_scan_determinismE0ELb0ES3_N6thrust23THRUST_200600_302600_NS6detail15normal_iteratorINS9_10device_ptrIiEEEENSB_INSC_IfEEEESG_fNS9_4plusIvEENS9_8equal_toIvEEfEE10hipError_tPvRmT2_T3_T4_T5_mT6_T7_P12ihipStream_tbENKUlT_T0_E_clISt17integral_constantIbLb0EES11_EEDaSW_SX_EUlSW_E_NS1_11comp_targetILNS1_3genE9ELNS1_11target_archE1100ELNS1_3gpuE3ELNS1_3repE0EEENS1_30default_config_static_selectorELNS0_4arch9wavefront6targetE0EEEvT1_.has_recursion, 0
	.set _ZN7rocprim17ROCPRIM_400000_NS6detail17trampoline_kernelINS0_14default_configENS1_27scan_by_key_config_selectorIifEEZZNS1_16scan_by_key_implILNS1_25lookback_scan_determinismE0ELb0ES3_N6thrust23THRUST_200600_302600_NS6detail15normal_iteratorINS9_10device_ptrIiEEEENSB_INSC_IfEEEESG_fNS9_4plusIvEENS9_8equal_toIvEEfEE10hipError_tPvRmT2_T3_T4_T5_mT6_T7_P12ihipStream_tbENKUlT_T0_E_clISt17integral_constantIbLb0EES11_EEDaSW_SX_EUlSW_E_NS1_11comp_targetILNS1_3genE9ELNS1_11target_archE1100ELNS1_3gpuE3ELNS1_3repE0EEENS1_30default_config_static_selectorELNS0_4arch9wavefront6targetE0EEEvT1_.has_indirect_call, 0
	.section	.AMDGPU.csdata,"",@progbits
; Kernel info:
; codeLenInByte = 0
; TotalNumSgprs: 0
; NumVgprs: 0
; ScratchSize: 0
; MemoryBound: 0
; FloatMode: 240
; IeeeMode: 1
; LDSByteSize: 0 bytes/workgroup (compile time only)
; SGPRBlocks: 0
; VGPRBlocks: 0
; NumSGPRsForWavesPerEU: 1
; NumVGPRsForWavesPerEU: 1
; Occupancy: 16
; WaveLimiterHint : 0
; COMPUTE_PGM_RSRC2:SCRATCH_EN: 0
; COMPUTE_PGM_RSRC2:USER_SGPR: 6
; COMPUTE_PGM_RSRC2:TRAP_HANDLER: 0
; COMPUTE_PGM_RSRC2:TGID_X_EN: 1
; COMPUTE_PGM_RSRC2:TGID_Y_EN: 0
; COMPUTE_PGM_RSRC2:TGID_Z_EN: 0
; COMPUTE_PGM_RSRC2:TIDIG_COMP_CNT: 0
	.section	.text._ZN7rocprim17ROCPRIM_400000_NS6detail17trampoline_kernelINS0_14default_configENS1_27scan_by_key_config_selectorIifEEZZNS1_16scan_by_key_implILNS1_25lookback_scan_determinismE0ELb0ES3_N6thrust23THRUST_200600_302600_NS6detail15normal_iteratorINS9_10device_ptrIiEEEENSB_INSC_IfEEEESG_fNS9_4plusIvEENS9_8equal_toIvEEfEE10hipError_tPvRmT2_T3_T4_T5_mT6_T7_P12ihipStream_tbENKUlT_T0_E_clISt17integral_constantIbLb0EES11_EEDaSW_SX_EUlSW_E_NS1_11comp_targetILNS1_3genE8ELNS1_11target_archE1030ELNS1_3gpuE2ELNS1_3repE0EEENS1_30default_config_static_selectorELNS0_4arch9wavefront6targetE0EEEvT1_,"axG",@progbits,_ZN7rocprim17ROCPRIM_400000_NS6detail17trampoline_kernelINS0_14default_configENS1_27scan_by_key_config_selectorIifEEZZNS1_16scan_by_key_implILNS1_25lookback_scan_determinismE0ELb0ES3_N6thrust23THRUST_200600_302600_NS6detail15normal_iteratorINS9_10device_ptrIiEEEENSB_INSC_IfEEEESG_fNS9_4plusIvEENS9_8equal_toIvEEfEE10hipError_tPvRmT2_T3_T4_T5_mT6_T7_P12ihipStream_tbENKUlT_T0_E_clISt17integral_constantIbLb0EES11_EEDaSW_SX_EUlSW_E_NS1_11comp_targetILNS1_3genE8ELNS1_11target_archE1030ELNS1_3gpuE2ELNS1_3repE0EEENS1_30default_config_static_selectorELNS0_4arch9wavefront6targetE0EEEvT1_,comdat
	.protected	_ZN7rocprim17ROCPRIM_400000_NS6detail17trampoline_kernelINS0_14default_configENS1_27scan_by_key_config_selectorIifEEZZNS1_16scan_by_key_implILNS1_25lookback_scan_determinismE0ELb0ES3_N6thrust23THRUST_200600_302600_NS6detail15normal_iteratorINS9_10device_ptrIiEEEENSB_INSC_IfEEEESG_fNS9_4plusIvEENS9_8equal_toIvEEfEE10hipError_tPvRmT2_T3_T4_T5_mT6_T7_P12ihipStream_tbENKUlT_T0_E_clISt17integral_constantIbLb0EES11_EEDaSW_SX_EUlSW_E_NS1_11comp_targetILNS1_3genE8ELNS1_11target_archE1030ELNS1_3gpuE2ELNS1_3repE0EEENS1_30default_config_static_selectorELNS0_4arch9wavefront6targetE0EEEvT1_ ; -- Begin function _ZN7rocprim17ROCPRIM_400000_NS6detail17trampoline_kernelINS0_14default_configENS1_27scan_by_key_config_selectorIifEEZZNS1_16scan_by_key_implILNS1_25lookback_scan_determinismE0ELb0ES3_N6thrust23THRUST_200600_302600_NS6detail15normal_iteratorINS9_10device_ptrIiEEEENSB_INSC_IfEEEESG_fNS9_4plusIvEENS9_8equal_toIvEEfEE10hipError_tPvRmT2_T3_T4_T5_mT6_T7_P12ihipStream_tbENKUlT_T0_E_clISt17integral_constantIbLb0EES11_EEDaSW_SX_EUlSW_E_NS1_11comp_targetILNS1_3genE8ELNS1_11target_archE1030ELNS1_3gpuE2ELNS1_3repE0EEENS1_30default_config_static_selectorELNS0_4arch9wavefront6targetE0EEEvT1_
	.globl	_ZN7rocprim17ROCPRIM_400000_NS6detail17trampoline_kernelINS0_14default_configENS1_27scan_by_key_config_selectorIifEEZZNS1_16scan_by_key_implILNS1_25lookback_scan_determinismE0ELb0ES3_N6thrust23THRUST_200600_302600_NS6detail15normal_iteratorINS9_10device_ptrIiEEEENSB_INSC_IfEEEESG_fNS9_4plusIvEENS9_8equal_toIvEEfEE10hipError_tPvRmT2_T3_T4_T5_mT6_T7_P12ihipStream_tbENKUlT_T0_E_clISt17integral_constantIbLb0EES11_EEDaSW_SX_EUlSW_E_NS1_11comp_targetILNS1_3genE8ELNS1_11target_archE1030ELNS1_3gpuE2ELNS1_3repE0EEENS1_30default_config_static_selectorELNS0_4arch9wavefront6targetE0EEEvT1_
	.p2align	8
	.type	_ZN7rocprim17ROCPRIM_400000_NS6detail17trampoline_kernelINS0_14default_configENS1_27scan_by_key_config_selectorIifEEZZNS1_16scan_by_key_implILNS1_25lookback_scan_determinismE0ELb0ES3_N6thrust23THRUST_200600_302600_NS6detail15normal_iteratorINS9_10device_ptrIiEEEENSB_INSC_IfEEEESG_fNS9_4plusIvEENS9_8equal_toIvEEfEE10hipError_tPvRmT2_T3_T4_T5_mT6_T7_P12ihipStream_tbENKUlT_T0_E_clISt17integral_constantIbLb0EES11_EEDaSW_SX_EUlSW_E_NS1_11comp_targetILNS1_3genE8ELNS1_11target_archE1030ELNS1_3gpuE2ELNS1_3repE0EEENS1_30default_config_static_selectorELNS0_4arch9wavefront6targetE0EEEvT1_,@function
_ZN7rocprim17ROCPRIM_400000_NS6detail17trampoline_kernelINS0_14default_configENS1_27scan_by_key_config_selectorIifEEZZNS1_16scan_by_key_implILNS1_25lookback_scan_determinismE0ELb0ES3_N6thrust23THRUST_200600_302600_NS6detail15normal_iteratorINS9_10device_ptrIiEEEENSB_INSC_IfEEEESG_fNS9_4plusIvEENS9_8equal_toIvEEfEE10hipError_tPvRmT2_T3_T4_T5_mT6_T7_P12ihipStream_tbENKUlT_T0_E_clISt17integral_constantIbLb0EES11_EEDaSW_SX_EUlSW_E_NS1_11comp_targetILNS1_3genE8ELNS1_11target_archE1030ELNS1_3gpuE2ELNS1_3repE0EEENS1_30default_config_static_selectorELNS0_4arch9wavefront6targetE0EEEvT1_: ; @_ZN7rocprim17ROCPRIM_400000_NS6detail17trampoline_kernelINS0_14default_configENS1_27scan_by_key_config_selectorIifEEZZNS1_16scan_by_key_implILNS1_25lookback_scan_determinismE0ELb0ES3_N6thrust23THRUST_200600_302600_NS6detail15normal_iteratorINS9_10device_ptrIiEEEENSB_INSC_IfEEEESG_fNS9_4plusIvEENS9_8equal_toIvEEfEE10hipError_tPvRmT2_T3_T4_T5_mT6_T7_P12ihipStream_tbENKUlT_T0_E_clISt17integral_constantIbLb0EES11_EEDaSW_SX_EUlSW_E_NS1_11comp_targetILNS1_3genE8ELNS1_11target_archE1030ELNS1_3gpuE2ELNS1_3repE0EEENS1_30default_config_static_selectorELNS0_4arch9wavefront6targetE0EEEvT1_
; %bb.0:
	s_clause 0x4
	s_load_dwordx8 s[8:15], s[4:5], 0x0
	s_load_dwordx2 s[28:29], s[4:5], 0x38
	s_load_dword s2, s[4:5], 0x40
	s_load_dwordx8 s[16:23], s[4:5], 0x48
	s_load_dwordx4 s[24:27], s[4:5], 0x28
	s_mov_b32 s1, 0
	s_waitcnt lgkmcnt(0)
	s_barrier
	buffer_gl0_inv
	s_lshl_b64 s[10:11], s[10:11], 2
	s_add_u32 s4, s8, s10
	s_mul_i32 s0, s29, s2
	s_mul_hi_u32 s3, s28, s2
	s_addc_u32 s5, s9, s11
	s_add_u32 s7, s12, s10
	s_addc_u32 s12, s13, s11
	s_add_i32 s13, s3, s0
	s_cmp_lg_u64 s[20:21], 0
	s_mul_i32 s0, s6, 0x300
	s_cselect_b32 s27, -1, 0
	s_lshl_b64 s[8:9], s[0:1], 2
	s_mul_i32 s0, s28, s2
	s_add_u32 s4, s4, s8
	s_addc_u32 s5, s5, s9
	s_add_u32 s3, s7, s8
	s_addc_u32 s21, s12, s9
	;; [unrolled: 2-line block ×3, first 2 shown]
	s_add_u32 s16, s16, -1
	s_addc_u32 s17, s17, -1
	s_mul_i32 s20, s16, 0xfffffd00
	v_cmp_ge_u64_e64 s7, s[12:13], s[16:17]
	s_and_b32 vcc_lo, exec_lo, s7
	s_cbranch_vccz .LBB1138_22
; %bb.1:
	v_mov_b32_e32 v1, s4
	v_mov_b32_e32 v2, s5
	s_add_i32 s30, s20, s26
	v_cmp_gt_u32_e64 s0, s30, v0
	flat_load_dword v2, v[1:2]
	s_waitcnt vmcnt(0) lgkmcnt(0)
	v_mov_b32_e32 v3, v2
	s_and_saveexec_b32 s1, s0
	s_cbranch_execz .LBB1138_3
; %bb.2:
	v_lshlrev_b32_e32 v1, 2, v0
	v_add_co_u32 v3, s2, s4, v1
	v_add_co_ci_u32_e64 v4, null, s5, 0, s2
	flat_load_dword v3, v[3:4]
.LBB1138_3:
	s_or_b32 exec_lo, exec_lo, s1
	v_or_b32_e32 v1, 0x100, v0
	v_mov_b32_e32 v4, v2
	v_cmp_gt_u32_e64 s1, s30, v1
	s_and_saveexec_b32 s2, s1
	s_cbranch_execz .LBB1138_5
; %bb.4:
	v_lshlrev_b32_e32 v1, 2, v0
	v_add_co_u32 v4, s16, s4, v1
	v_add_co_ci_u32_e64 v5, null, s5, 0, s16
	flat_load_dword v4, v[4:5] offset:1024
.LBB1138_5:
	s_or_b32 exec_lo, exec_lo, s2
	v_or_b32_e32 v1, 0x200, v0
	v_cmp_gt_u32_e64 s2, s30, v1
	v_lshlrev_b32_e32 v8, 2, v1
	s_and_saveexec_b32 s16, s2
	s_cbranch_execz .LBB1138_7
; %bb.6:
	v_add_co_u32 v1, s17, s4, v8
	v_add_co_ci_u32_e64 v2, null, s5, 0, s17
	flat_load_dword v2, v[1:2]
.LBB1138_7:
	s_or_b32 exec_lo, exec_lo, s16
	v_lshlrev_b32_e32 v9, 2, v0
	v_lshlrev_b32_e32 v1, 3, v0
	s_cmp_eq_u64 s[12:13], 0
	s_mov_b64 s[16:17], s[4:5]
	s_waitcnt vmcnt(0) lgkmcnt(0)
	ds_write2st64_b32 v9, v3, v4 offset1:4
	v_add_nc_u32_e32 v7, v9, v1
	ds_write_b32 v9, v2 offset:2048
	s_waitcnt lgkmcnt(0)
	s_barrier
	buffer_gl0_inv
	ds_read2_b32 v[4:5], v7 offset1:1
	ds_read_b32 v6, v7 offset:8
	s_cbranch_scc1 .LBB1138_11
; %bb.8:
	s_andn2_b32 vcc_lo, exec_lo, s27
	s_cbranch_vccnz .LBB1138_139
; %bb.9:
	s_lshl_b64 s[16:17], s[12:13], 2
	s_add_u32 s16, s22, s16
	s_addc_u32 s17, s23, s17
	s_add_u32 s16, s16, -4
	s_addc_u32 s17, s17, -1
	s_cbranch_execnz .LBB1138_11
.LBB1138_10:
	s_add_u32 s16, s4, -4
	s_addc_u32 s17, s5, -1
.LBB1138_11:
	v_mov_b32_e32 v2, s16
	v_mov_b32_e32 v3, s17
	s_mov_b32 s16, exec_lo
	flat_load_dword v11, v[2:3]
	v_sub_nc_u32_e32 v2, v7, v1
	s_waitcnt lgkmcnt(1)
	ds_write_b32 v2, v6 offset:3072
	s_waitcnt vmcnt(0) lgkmcnt(0)
	s_barrier
	buffer_gl0_inv
	v_cmpx_ne_u32_e32 0, v0
; %bb.12:
	v_sub_nc_u32_e32 v1, 0, v1
	v_add_nc_u32_e32 v1, v7, v1
	ds_read_b32 v11, v1 offset:3068
; %bb.13:
	s_or_b32 exec_lo, exec_lo, s16
	v_mov_b32_e32 v1, 0
	s_waitcnt lgkmcnt(0)
	s_barrier
	buffer_gl0_inv
	v_mov_b32_e32 v2, v1
	v_mov_b32_e32 v3, v1
	s_and_saveexec_b32 s16, s0
	s_cbranch_execnz .LBB1138_137
; %bb.14:
	s_or_b32 exec_lo, exec_lo, s16
	s_and_saveexec_b32 s0, s1
	s_cbranch_execnz .LBB1138_138
.LBB1138_15:
	s_or_b32 exec_lo, exec_lo, s0
	s_and_saveexec_b32 s0, s2
	s_cbranch_execz .LBB1138_17
.LBB1138_16:
	v_add_co_u32 v12, s1, s3, v8
	v_add_co_ci_u32_e64 v13, null, s21, 0, s1
	flat_load_dword v3, v[12:13]
.LBB1138_17:
	s_or_b32 exec_lo, exec_lo, s0
	v_mul_u32_u24_e32 v8, 3, v0
	s_waitcnt vmcnt(0) lgkmcnt(0)
	ds_write2st64_b32 v9, v1, v2 offset1:4
	ds_write_b32 v9, v3 offset:2048
	v_mov_b32_e32 v9, 0
	v_mov_b32_e32 v16, 0
	;; [unrolled: 1-line block ×4, first 2 shown]
	s_mov_b32 s16, 0
	s_mov_b32 s1, 0
	s_mov_b32 s17, exec_lo
	s_waitcnt lgkmcnt(0)
	s_barrier
	buffer_gl0_inv
                                        ; implicit-def: $sgpr2
                                        ; implicit-def: $vgpr2
	v_cmpx_gt_u32_e64 s30, v8
	s_cbranch_execz .LBB1138_21
; %bb.18:
	ds_read_b32 v9, v7
	v_add_nc_u32_e32 v1, 1, v8
	v_mov_b32_e32 v19, 0
	v_mov_b32_e32 v10, 0
	s_mov_b32 s31, exec_lo
	v_cmp_ne_u32_e32 vcc_lo, v11, v4
                                        ; implicit-def: $sgpr2
                                        ; implicit-def: $vgpr2
	v_cmpx_gt_u32_e64 s30, v1
	s_xor_b32 s31, exec_lo, s31
	s_cbranch_execz .LBB1138_20
; %bb.19:
	ds_read2_b32 v[1:2], v7 offset0:1 offset1:2
	v_add_nc_u32_e32 v3, 2, v8
	v_cmp_ne_u32_e64 s1, v4, v5
	v_cmp_ne_u32_e64 s2, v5, v6
	v_cmp_gt_u32_e64 s0, s30, v3
	v_cndmask_b32_e64 v19, 0, 1, s1
	s_and_b32 s1, s0, exec_lo
	s_waitcnt lgkmcnt(0)
	v_mov_b32_e32 v10, v1
.LBB1138_20:
	s_or_b32 exec_lo, exec_lo, s31
	v_cndmask_b32_e64 v16, 0, 1, vcc_lo
	s_and_b32 s1, s1, exec_lo
.LBB1138_21:
	s_or_b32 exec_lo, exec_lo, s17
	v_lshlrev_b32_e32 v14, 2, v0
	v_lshlrev_b32_e32 v15, 3, v0
	s_and_b32 vcc_lo, exec_lo, s16
	s_cbranch_vccnz .LBB1138_23
	s_branch .LBB1138_31
.LBB1138_22:
                                        ; implicit-def: $sgpr2
                                        ; implicit-def: $vgpr2
                                        ; implicit-def: $vgpr16
                                        ; implicit-def: $vgpr9
                                        ; implicit-def: $vgpr19
	v_lshlrev_b32_e32 v14, 2, v0
	v_lshlrev_b32_e32 v15, 3, v0
	s_cbranch_execz .LBB1138_31
.LBB1138_23:
	v_add_co_u32 v1, s0, s4, v14
	v_add_co_ci_u32_e64 v2, null, s5, 0, s0
	s_cmp_eq_u64 s[12:13], 0
	v_add_co_u32 v3, vcc_lo, 0x800, v1
	v_add_co_ci_u32_e64 v4, null, 0, v2, vcc_lo
	s_clause 0x2
	flat_load_dword v5, v[1:2]
	flat_load_dword v2, v[1:2] offset:1024
	flat_load_dword v3, v[3:4]
	v_add_nc_u32_e32 v1, v14, v15
	s_waitcnt vmcnt(1) lgkmcnt(1)
	ds_write2st64_b32 v14, v5, v2 offset1:4
	s_waitcnt vmcnt(0) lgkmcnt(1)
	ds_write_b32 v14, v3 offset:2048
	s_waitcnt lgkmcnt(0)
	s_barrier
	buffer_gl0_inv
	ds_read2_b32 v[3:4], v1 offset1:1
	ds_read_b32 v5, v1 offset:8
	s_cbranch_scc1 .LBB1138_28
; %bb.24:
	s_andn2_b32 vcc_lo, exec_lo, s27
	s_cbranch_vccnz .LBB1138_140
; %bb.25:
	s_lshl_b64 s[0:1], s[12:13], 2
	s_add_u32 s0, s22, s0
	s_addc_u32 s1, s23, s1
	s_add_u32 s0, s0, -4
	s_addc_u32 s1, s1, -1
	s_cbranch_execnz .LBB1138_27
.LBB1138_26:
	s_add_u32 s0, s4, -4
	s_addc_u32 s1, s5, -1
.LBB1138_27:
	s_mov_b64 s[4:5], s[0:1]
.LBB1138_28:
	v_mov_b32_e32 v7, s5
	v_mov_b32_e32 v6, s4
	v_sub_nc_u32_e32 v2, v1, v15
	s_mov_b32 s0, exec_lo
	flat_load_dword v6, v[6:7]
	s_waitcnt lgkmcnt(1)
	ds_write_b32 v2, v5 offset:3072
	s_waitcnt vmcnt(0) lgkmcnt(0)
	s_barrier
	buffer_gl0_inv
	v_cmpx_ne_u32_e32 0, v0
; %bb.29:
	v_sub_nc_u32_e32 v2, 0, v15
	v_add_nc_u32_e32 v2, v1, v2
	ds_read_b32 v6, v2 offset:3068
; %bb.30:
	s_or_b32 exec_lo, exec_lo, s0
	v_add_co_u32 v7, s0, s3, v14
	v_add_co_ci_u32_e64 v8, null, s21, 0, s0
	s_waitcnt lgkmcnt(0)
	v_add_co_u32 v9, vcc_lo, 0x800, v7
	v_add_co_ci_u32_e64 v10, null, 0, v8, vcc_lo
	s_barrier
	buffer_gl0_inv
	s_clause 0x2
	flat_load_dword v2, v[7:8]
	flat_load_dword v7, v[7:8] offset:1024
	flat_load_dword v8, v[9:10]
	v_cmp_ne_u32_e32 vcc_lo, v3, v4
	v_cmp_ne_u32_e64 s2, v4, v5
	s_mov_b32 s1, -1
	s_waitcnt vmcnt(1) lgkmcnt(1)
	ds_write2st64_b32 v14, v2, v7 offset1:4
	s_waitcnt vmcnt(0) lgkmcnt(1)
	ds_write_b32 v14, v8 offset:2048
	s_waitcnt lgkmcnt(0)
	s_barrier
	buffer_gl0_inv
	ds_read2_b32 v[9:10], v1 offset1:1
	ds_read_b32 v2, v1 offset:8
	v_cndmask_b32_e64 v19, 0, 1, vcc_lo
	v_cmp_ne_u32_e32 vcc_lo, v6, v3
	v_cndmask_b32_e64 v16, 0, 1, vcc_lo
.LBB1138_31:
	v_mov_b32_e32 v17, 0
	v_mov_b32_e32 v20, 0
	s_and_saveexec_b32 s0, s1
	s_cbranch_execz .LBB1138_33
; %bb.32:
	v_cndmask_b32_e64 v20, 0, 1, s2
	s_waitcnt lgkmcnt(0)
	v_mov_b32_e32 v17, v2
.LBB1138_33:
	s_or_b32 exec_lo, exec_lo, s0
	v_or_b32_e32 v21, v20, v19
	v_cmp_eq_u16_e64 s0, 0, v20
	v_mbcnt_lo_u32_b32 v18, -1, 0
	s_cmp_lg_u32 s6, 0
	s_waitcnt lgkmcnt(0)
	s_barrier
	buffer_gl0_inv
	s_cbranch_scc0 .LBB1138_87
; %bb.34:
	v_mov_b32_e32 v5, 0
	v_add_f32_e32 v1, v9, v10
	s_mov_b32 s2, exec_lo
	v_cmp_eq_u16_sdwa s1, v19, v5 src0_sel:BYTE_0 src1_sel:DWORD
	v_cmp_eq_u16_sdwa vcc_lo, v21, v5 src0_sel:BYTE_0 src1_sel:DWORD
	v_cndmask_b32_e64 v2, v10, v1, s1
	v_cndmask_b32_e32 v1, 1, v16, vcc_lo
	v_add_f32_e32 v2, v2, v17
	v_and_b32_e32 v4, 0xff, v1
	v_cndmask_b32_e64 v3, v17, v2, s0
	v_and_b32_e32 v2, 15, v18
	v_mov_b32_dpp v7, v4 row_shr:1 row_mask:0xf bank_mask:0xf
	v_mov_b32_dpp v6, v3 row_shr:1 row_mask:0xf bank_mask:0xf
	v_cmpx_ne_u32_e32 0, v2
	s_cbranch_execz .LBB1138_36
; %bb.35:
	v_and_b32_e32 v4, 1, v1
	v_and_b32_e32 v7, 1, v7
	v_add_f32_e32 v6, v3, v6
	v_cmp_eq_u32_e32 vcc_lo, 1, v4
	v_cndmask_b32_e64 v4, v7, 1, vcc_lo
	v_cmp_eq_u16_sdwa vcc_lo, v1, v5 src0_sel:BYTE_0 src1_sel:DWORD
	v_mov_b32_e32 v1, v4
	v_cndmask_b32_e32 v3, v3, v6, vcc_lo
.LBB1138_36:
	s_or_b32 exec_lo, exec_lo, s2
	v_mov_b32_dpp v5, v3 row_shr:2 row_mask:0xf bank_mask:0xf
	v_mov_b32_dpp v6, v4 row_shr:2 row_mask:0xf bank_mask:0xf
	s_mov_b32 s3, exec_lo
	v_cmpx_lt_u32_e32 1, v2
	s_cbranch_execz .LBB1138_38
; %bb.37:
	v_and_b32_e32 v7, 1, v1
	v_mov_b32_e32 v4, 0
	v_and_b32_e32 v6, 1, v6
	v_add_f32_e32 v5, v3, v5
	v_cmp_eq_u32_e64 s2, 1, v7
	v_cmp_eq_u16_sdwa vcc_lo, v1, v4 src0_sel:BYTE_0 src1_sel:DWORD
	v_cndmask_b32_e64 v1, v6, 1, s2
	v_cndmask_b32_e32 v3, v3, v5, vcc_lo
	v_mov_b32_e32 v4, v1
.LBB1138_38:
	s_or_b32 exec_lo, exec_lo, s3
	v_mov_b32_dpp v5, v3 row_shr:4 row_mask:0xf bank_mask:0xf
	v_mov_b32_dpp v6, v4 row_shr:4 row_mask:0xf bank_mask:0xf
	s_mov_b32 s3, exec_lo
	v_cmpx_lt_u32_e32 3, v2
	s_cbranch_execz .LBB1138_40
; %bb.39:
	v_and_b32_e32 v7, 1, v1
	v_mov_b32_e32 v4, 0
	v_and_b32_e32 v6, 1, v6
	v_add_f32_e32 v5, v3, v5
	v_cmp_eq_u32_e64 s2, 1, v7
	v_cmp_eq_u16_sdwa vcc_lo, v1, v4 src0_sel:BYTE_0 src1_sel:DWORD
	v_cndmask_b32_e64 v1, v6, 1, s2
	v_cndmask_b32_e32 v3, v3, v5, vcc_lo
	v_mov_b32_e32 v4, v1
.LBB1138_40:
	;; [unrolled: 17-line block ×3, first 2 shown]
	s_or_b32 exec_lo, exec_lo, s3
	ds_swizzle_b32 v5, v3 offset:swizzle(BROADCAST,32,15)
	ds_swizzle_b32 v2, v4 offset:swizzle(BROADCAST,32,15)
	v_and_b32_e32 v6, 16, v18
	s_mov_b32 s2, exec_lo
	v_cmpx_ne_u32_e32 0, v6
	s_cbranch_execz .LBB1138_44
; %bb.43:
	v_mov_b32_e32 v4, 0
	s_waitcnt lgkmcnt(1)
	v_add_f32_e32 v5, v3, v5
	v_and_b32_e32 v6, 1, v1
	s_waitcnt lgkmcnt(0)
	v_and_b32_e32 v2, 1, v2
	v_cmp_eq_u16_sdwa vcc_lo, v1, v4 src0_sel:BYTE_0 src1_sel:DWORD
	v_cndmask_b32_e32 v3, v3, v5, vcc_lo
	v_cmp_eq_u32_e32 vcc_lo, 1, v6
	v_cndmask_b32_e64 v4, v2, 1, vcc_lo
.LBB1138_44:
	s_or_b32 exec_lo, exec_lo, s2
	s_waitcnt lgkmcnt(0)
	v_lshrrev_b32_e32 v2, 5, v0
	v_or_b32_e32 v1, 31, v0
	s_mov_b32 s2, exec_lo
	v_lshlrev_b32_e32 v5, 3, v2
	v_cmpx_eq_u32_e64 v0, v1
	s_cbranch_execz .LBB1138_46
; %bb.45:
	ds_write_b32 v5, v3
	ds_write_b8 v5, v4 offset:4
.LBB1138_46:
	s_or_b32 exec_lo, exec_lo, s2
	s_mov_b32 s3, exec_lo
	s_waitcnt lgkmcnt(0)
	s_barrier
	buffer_gl0_inv
	v_cmpx_gt_u32_e32 8, v0
	s_cbranch_execz .LBB1138_52
; %bb.47:
	ds_read_b64 v[1:2], v15
	v_and_b32_e32 v6, 7, v18
	s_mov_b32 s2, exec_lo
	s_waitcnt lgkmcnt(0)
	v_mov_b32_dpp v8, v1 row_shr:1 row_mask:0xf bank_mask:0xf
	v_mov_b32_dpp v11, v2 row_shr:1 row_mask:0xf bank_mask:0xf
	v_mov_b32_e32 v7, v2
	v_cmpx_ne_u32_e32 0, v6
	s_cbranch_execz .LBB1138_49
; %bb.48:
	v_and_b32_e32 v7, 1, v2
	v_and_b32_e32 v11, 1, v11
	v_mov_b32_e32 v12, 0
	v_add_f32_e32 v8, v1, v8
	v_cmp_eq_u32_e32 vcc_lo, 1, v7
	v_cndmask_b32_e64 v7, v11, 1, vcc_lo
	v_cmp_eq_u16_sdwa vcc_lo, v2, v12 src0_sel:BYTE_0 src1_sel:DWORD
	v_and_or_b32 v2, 0xffffff00, v2, v7
	v_cndmask_b32_e32 v1, v1, v8, vcc_lo
.LBB1138_49:
	s_or_b32 exec_lo, exec_lo, s2
	v_mov_b32_dpp v8, v1 row_shr:2 row_mask:0xf bank_mask:0xf
	v_mov_b32_dpp v11, v2 row_shr:2 row_mask:0xf bank_mask:0xf
	s_mov_b32 s4, exec_lo
	v_cmpx_lt_u32_e32 1, v6
	s_cbranch_execz .LBB1138_51
; %bb.50:
	v_and_b32_e32 v13, 1, v7
	v_mov_b32_e32 v12, 0
	v_and_b32_e32 v11, 1, v11
	v_add_f32_e32 v8, v1, v8
	v_cmp_eq_u32_e64 s2, 1, v13
	v_cmp_eq_u16_sdwa vcc_lo, v7, v12 src0_sel:BYTE_0 src1_sel:DWORD
	v_cndmask_b32_e64 v7, v11, 1, s2
	v_cndmask_b32_e32 v1, v1, v8, vcc_lo
	v_and_or_b32 v2, 0xffffff00, v2, v7
.LBB1138_51:
	s_or_b32 exec_lo, exec_lo, s4
	v_mov_b32_dpp v8, v2 row_shr:4 row_mask:0xf bank_mask:0xf
	v_and_b32_e32 v12, 1, v7
	v_mov_b32_e32 v11, 0
	v_mov_b32_dpp v13, v1 row_shr:4 row_mask:0xf bank_mask:0xf
	v_and_b32_e32 v8, 1, v8
	v_cmp_eq_u32_e32 vcc_lo, 1, v12
	v_cmp_eq_u16_sdwa s2, v7, v11 src0_sel:BYTE_0 src1_sel:DWORD
	v_cndmask_b32_e64 v7, v8, 1, vcc_lo
	v_cmp_lt_u32_e32 vcc_lo, 3, v6
	v_add_f32_e32 v6, v1, v13
	v_cndmask_b32_e32 v2, v2, v7, vcc_lo
	s_and_b32 vcc_lo, vcc_lo, s2
	v_cndmask_b32_e32 v1, v1, v6, vcc_lo
	ds_write_b32 v15, v1
	ds_write_b8 v15, v2 offset:4
.LBB1138_52:
	s_or_b32 exec_lo, exec_lo, s3
	v_mov_b32_e32 v23, 0
	v_mov_b32_e32 v22, 0
	s_mov_b32 s3, exec_lo
	v_cmp_gt_u32_e32 vcc_lo, 32, v0
	s_waitcnt lgkmcnt(0)
	s_barrier
	buffer_gl0_inv
	v_cmpx_lt_u32_e32 31, v0
	s_cbranch_execz .LBB1138_54
; %bb.53:
	v_add_nc_u32_e32 v1, -8, v5
	v_and_b32_e32 v2, 1, v4
	v_cmp_eq_u32_e64 s2, 0, v4
	ds_read_b32 v22, v1
	v_add_nc_u32_e32 v1, -4, v5
	ds_read_u8 v23, v1
	s_waitcnt lgkmcnt(1)
	v_add_f32_e32 v1, v3, v22
	v_cndmask_b32_e64 v3, v3, v1, s2
	v_cmp_eq_u32_e64 s2, 1, v2
	s_waitcnt lgkmcnt(0)
	v_cndmask_b32_e64 v4, v23, 1, s2
.LBB1138_54:
	s_or_b32 exec_lo, exec_lo, s3
	v_sub_co_u32 v1, s2, v18, 1
	v_cmp_gt_i32_e64 s3, 0, v1
	v_cndmask_b32_e64 v1, v1, v18, s3
	v_lshlrev_b32_e32 v1, 2, v1
	ds_bpermute_b32 v24, v1, v3
	ds_bpermute_b32 v25, v1, v4
	s_and_saveexec_b32 s4, vcc_lo
	s_cbranch_execz .LBB1138_92
; %bb.55:
	v_mov_b32_e32 v4, 0
	ds_read_b64 v[1:2], v4 offset:56
	s_and_saveexec_b32 s3, s2
	s_cbranch_execz .LBB1138_57
; %bb.56:
	s_add_i32 s12, s6, 32
	s_mov_b32 s13, 0
	v_mov_b32_e32 v3, 1
	s_lshl_b64 s[12:13], s[12:13], 4
	s_add_u32 s12, s24, s12
	s_addc_u32 s13, s25, s13
	v_mov_b32_e32 v5, s12
	v_mov_b32_e32 v6, s13
	s_waitcnt lgkmcnt(0)
	;;#ASMSTART
	global_store_dwordx4 v[5:6], v[1:4] off	
s_waitcnt vmcnt(0)
	;;#ASMEND
.LBB1138_57:
	s_or_b32 exec_lo, exec_lo, s3
	v_xad_u32 v11, v18, -1, s6
	s_mov_b32 s5, 0
	v_add_nc_u32_e32 v3, 32, v11
	v_lshlrev_b64 v[5:6], 4, v[3:4]
	v_add_co_u32 v12, vcc_lo, s24, v5
	v_add_co_ci_u32_e64 v13, null, s25, v6, vcc_lo
	;;#ASMSTART
	global_load_dwordx4 v[5:8], v[12:13] off glc dlc	
s_waitcnt vmcnt(0)
	;;#ASMEND
	v_cmp_eq_u16_sdwa s12, v7, v4 src0_sel:BYTE_0 src1_sel:DWORD
	s_and_saveexec_b32 s3, s12
	s_cbranch_execz .LBB1138_61
; %bb.58:
	v_mov_b32_e32 v3, 0
.LBB1138_59:                            ; =>This Inner Loop Header: Depth=1
	;;#ASMSTART
	global_load_dwordx4 v[5:8], v[12:13] off glc dlc	
s_waitcnt vmcnt(0)
	;;#ASMEND
	v_cmp_ne_u16_sdwa s12, v7, v3 src0_sel:BYTE_0 src1_sel:DWORD
	s_or_b32 s5, s12, s5
	s_andn2_b32 exec_lo, exec_lo, s5
	s_cbranch_execnz .LBB1138_59
; %bb.60:
	s_or_b32 exec_lo, exec_lo, s5
.LBB1138_61:
	s_or_b32 exec_lo, exec_lo, s3
	v_cmp_ne_u32_e32 vcc_lo, 31, v18
	v_mov_b32_e32 v8, 2
	v_and_b32_e32 v4, 0xff, v6
	v_lshlrev_b32_e64 v26, v18, -1
	s_mov_b32 s5, exec_lo
	v_add_co_ci_u32_e64 v3, null, 0, v18, vcc_lo
	v_cmp_eq_u16_sdwa s3, v7, v8 src0_sel:BYTE_0 src1_sel:DWORD
	v_lshlrev_b32_e32 v13, 2, v3
	v_and_or_b32 v3, s3, v26, 0x80000000
	ds_bpermute_b32 v8, v13, v5
	ds_bpermute_b32 v12, v13, v4
	v_ffbl_b32_e32 v3, v3
	v_cmpx_lt_u32_e64 v18, v3
	s_cbranch_execz .LBB1138_63
; %bb.62:
	v_and_b32_e32 v27, 1, v6
	v_mov_b32_e32 v4, 0
	s_waitcnt lgkmcnt(0)
	v_and_b32_e32 v12, 1, v12
	v_add_f32_e32 v8, v5, v8
	v_cmp_eq_u32_e64 s3, 1, v27
	v_cmp_eq_u16_sdwa vcc_lo, v6, v4 src0_sel:BYTE_0 src1_sel:DWORD
	v_cndmask_b32_e64 v6, v12, 1, s3
	v_cndmask_b32_e32 v5, v5, v8, vcc_lo
	v_and_b32_e32 v4, 0xffff, v6
.LBB1138_63:
	s_or_b32 exec_lo, exec_lo, s5
	v_cmp_gt_u32_e32 vcc_lo, 30, v18
	v_add_nc_u32_e32 v28, 2, v18
	s_mov_b32 s5, exec_lo
	s_waitcnt lgkmcnt(1)
	v_cndmask_b32_e64 v8, 0, 2, vcc_lo
	v_add_lshl_u32 v27, v8, v18, 2
	ds_bpermute_b32 v8, v27, v5
	s_waitcnt lgkmcnt(1)
	ds_bpermute_b32 v12, v27, v4
	v_cmpx_le_u32_e64 v28, v3
	s_cbranch_execz .LBB1138_65
; %bb.64:
	v_and_b32_e32 v29, 1, v6
	v_mov_b32_e32 v4, 0
	s_waitcnt lgkmcnt(0)
	v_and_b32_e32 v12, 1, v12
	v_add_f32_e32 v8, v5, v8
	v_cmp_eq_u32_e64 s3, 1, v29
	v_cmp_eq_u16_sdwa vcc_lo, v6, v4 src0_sel:BYTE_0 src1_sel:DWORD
	v_cndmask_b32_e64 v6, v12, 1, s3
	v_cndmask_b32_e32 v5, v5, v8, vcc_lo
	v_and_b32_e32 v4, 0xffff, v6
.LBB1138_65:
	s_or_b32 exec_lo, exec_lo, s5
	v_cmp_gt_u32_e32 vcc_lo, 28, v18
	v_add_nc_u32_e32 v30, 4, v18
	s_mov_b32 s5, exec_lo
	s_waitcnt lgkmcnt(1)
	v_cndmask_b32_e64 v8, 0, 4, vcc_lo
	v_add_lshl_u32 v29, v8, v18, 2
	ds_bpermute_b32 v8, v29, v5
	s_waitcnt lgkmcnt(1)
	ds_bpermute_b32 v12, v29, v4
	v_cmpx_le_u32_e64 v30, v3
	;; [unrolled: 24-line block ×3, first 2 shown]
	s_cbranch_execz .LBB1138_69
; %bb.68:
	v_and_b32_e32 v33, 1, v6
	v_mov_b32_e32 v4, 0
	s_waitcnt lgkmcnt(0)
	v_and_b32_e32 v12, 1, v12
	v_add_f32_e32 v8, v5, v8
	v_cmp_eq_u32_e64 s3, 1, v33
	v_cmp_eq_u16_sdwa vcc_lo, v6, v4 src0_sel:BYTE_0 src1_sel:DWORD
	v_cndmask_b32_e64 v6, v12, 1, s3
	v_cndmask_b32_e32 v5, v5, v8, vcc_lo
	v_and_b32_e32 v4, 0xffff, v6
.LBB1138_69:
	s_or_b32 exec_lo, exec_lo, s5
	v_lshl_or_b32 v35, v18, 2, 64
	v_add_nc_u32_e32 v36, 16, v18
	s_mov_b32 s3, exec_lo
	s_waitcnt lgkmcnt(1)
	ds_bpermute_b32 v8, v35, v5
	ds_bpermute_b32 v4, v35, v4
	v_cmpx_le_u32_e64 v36, v3
	s_cbranch_execz .LBB1138_71
; %bb.70:
	v_mov_b32_e32 v3, 0
	s_waitcnt lgkmcnt(1)
	v_add_f32_e32 v8, v5, v8
	v_and_b32_e32 v12, 1, v6
	s_waitcnt lgkmcnt(0)
	v_and_b32_e32 v4, 1, v4
	v_cmp_eq_u16_sdwa vcc_lo, v6, v3 src0_sel:BYTE_0 src1_sel:DWORD
	v_cndmask_b32_e32 v5, v5, v8, vcc_lo
	v_cmp_eq_u32_e32 vcc_lo, 1, v12
	v_cndmask_b32_e64 v6, v4, 1, vcc_lo
.LBB1138_71:
	s_or_b32 exec_lo, exec_lo, s3
	s_waitcnt lgkmcnt(2)
	v_mov_b32_e32 v12, 0
	v_mov_b32_e32 v37, 2
	s_branch .LBB1138_74
.LBB1138_72:                            ;   in Loop: Header=BB1138_74 Depth=1
	s_or_b32 exec_lo, exec_lo, s5
	s_waitcnt lgkmcnt(1)
	ds_bpermute_b32 v8, v35, v5
	ds_bpermute_b32 v4, v35, v4
	s_waitcnt lgkmcnt(2)
	v_and_b32_e32 v38, 1, v6
	v_subrev_nc_u32_e32 v11, 32, v11
	s_mov_b32 s3, 0
	v_cmp_eq_u32_e32 vcc_lo, 1, v38
	s_waitcnt lgkmcnt(1)
	v_add_f32_e32 v8, v5, v8
	s_waitcnt lgkmcnt(0)
	v_cndmask_b32_e64 v4, v4, 1, vcc_lo
	v_cmp_eq_u16_sdwa vcc_lo, v6, v12 src0_sel:BYTE_0 src1_sel:DWORD
	v_cndmask_b32_e32 v8, v5, v8, vcc_lo
	v_cmp_gt_u32_e32 vcc_lo, v36, v3
	v_cndmask_b32_e32 v3, v4, v6, vcc_lo
	v_cndmask_b32_e32 v4, v8, v5, vcc_lo
	v_and_b32_e32 v6, 1, v33
	v_cmp_eq_u16_sdwa vcc_lo, v33, v12 src0_sel:BYTE_0 src1_sel:DWORD
	v_and_b32_e32 v3, 1, v3
	v_add_f32_e32 v4, v34, v4
	v_cndmask_b32_e32 v5, v34, v4, vcc_lo
	v_cmp_eq_u32_e32 vcc_lo, 1, v6
	v_cndmask_b32_e64 v6, v3, 1, vcc_lo
.LBB1138_73:                            ;   in Loop: Header=BB1138_74 Depth=1
	s_and_b32 vcc_lo, exec_lo, s3
	s_cbranch_vccnz .LBB1138_88
.LBB1138_74:                            ; =>This Loop Header: Depth=1
                                        ;     Child Loop BB1138_77 Depth 2
	v_cmp_ne_u16_sdwa s3, v7, v37 src0_sel:BYTE_0 src1_sel:DWORD
	v_mov_b32_e32 v33, v6
	v_mov_b32_e32 v34, v5
                                        ; implicit-def: $vgpr6
	s_cmp_lg_u32 s3, exec_lo
	s_mov_b32 s3, -1
	s_cbranch_scc1 .LBB1138_73
; %bb.75:                               ;   in Loop: Header=BB1138_74 Depth=1
	s_waitcnt lgkmcnt(0)
	v_lshlrev_b64 v[3:4], 4, v[11:12]
	v_add_co_u32 v3, vcc_lo, s24, v3
	v_add_co_ci_u32_e64 v4, null, s25, v4, vcc_lo
	;;#ASMSTART
	global_load_dwordx4 v[5:8], v[3:4] off glc dlc	
s_waitcnt vmcnt(0)
	;;#ASMEND
	v_cmp_eq_u16_sdwa s5, v7, v12 src0_sel:BYTE_0 src1_sel:DWORD
	s_and_saveexec_b32 s3, s5
	s_cbranch_execz .LBB1138_79
; %bb.76:                               ;   in Loop: Header=BB1138_74 Depth=1
	s_mov_b32 s5, 0
.LBB1138_77:                            ;   Parent Loop BB1138_74 Depth=1
                                        ; =>  This Inner Loop Header: Depth=2
	;;#ASMSTART
	global_load_dwordx4 v[5:8], v[3:4] off glc dlc	
s_waitcnt vmcnt(0)
	;;#ASMEND
	v_cmp_ne_u16_sdwa s12, v7, v12 src0_sel:BYTE_0 src1_sel:DWORD
	s_or_b32 s5, s12, s5
	s_andn2_b32 exec_lo, exec_lo, s5
	s_cbranch_execnz .LBB1138_77
; %bb.78:                               ;   in Loop: Header=BB1138_74 Depth=1
	s_or_b32 exec_lo, exec_lo, s5
.LBB1138_79:                            ;   in Loop: Header=BB1138_74 Depth=1
	s_or_b32 exec_lo, exec_lo, s3
	v_and_b32_e32 v4, 0xff, v6
	ds_bpermute_b32 v8, v13, v5
	v_cmp_eq_u16_sdwa s3, v7, v37 src0_sel:BYTE_0 src1_sel:DWORD
	s_mov_b32 s5, exec_lo
	ds_bpermute_b32 v38, v13, v4
	v_and_or_b32 v3, s3, v26, 0x80000000
	v_ffbl_b32_e32 v3, v3
	v_cmpx_lt_u32_e64 v18, v3
	s_cbranch_execz .LBB1138_81
; %bb.80:                               ;   in Loop: Header=BB1138_74 Depth=1
	v_and_b32_e32 v4, 1, v6
	s_waitcnt lgkmcnt(0)
	v_and_b32_e32 v38, 1, v38
	v_add_f32_e32 v8, v5, v8
	v_cmp_eq_u16_sdwa vcc_lo, v6, v12 src0_sel:BYTE_0 src1_sel:DWORD
	v_cmp_eq_u32_e64 s3, 1, v4
	v_cndmask_b32_e32 v5, v5, v8, vcc_lo
	v_cndmask_b32_e64 v6, v38, 1, s3
	v_and_b32_e32 v4, 0xffff, v6
.LBB1138_81:                            ;   in Loop: Header=BB1138_74 Depth=1
	s_or_b32 exec_lo, exec_lo, s5
	s_waitcnt lgkmcnt(1)
	ds_bpermute_b32 v8, v27, v5
	s_waitcnt lgkmcnt(1)
	ds_bpermute_b32 v38, v27, v4
	s_mov_b32 s5, exec_lo
	v_cmpx_le_u32_e64 v28, v3
	s_cbranch_execz .LBB1138_83
; %bb.82:                               ;   in Loop: Header=BB1138_74 Depth=1
	v_and_b32_e32 v4, 1, v6
	s_waitcnt lgkmcnt(0)
	v_and_b32_e32 v38, 1, v38
	v_add_f32_e32 v8, v5, v8
	v_cmp_eq_u16_sdwa vcc_lo, v6, v12 src0_sel:BYTE_0 src1_sel:DWORD
	v_cmp_eq_u32_e64 s3, 1, v4
	v_cndmask_b32_e32 v5, v5, v8, vcc_lo
	v_cndmask_b32_e64 v6, v38, 1, s3
	v_and_b32_e32 v4, 0xffff, v6
.LBB1138_83:                            ;   in Loop: Header=BB1138_74 Depth=1
	s_or_b32 exec_lo, exec_lo, s5
	s_waitcnt lgkmcnt(1)
	ds_bpermute_b32 v8, v29, v5
	s_waitcnt lgkmcnt(1)
	ds_bpermute_b32 v38, v29, v4
	s_mov_b32 s5, exec_lo
	v_cmpx_le_u32_e64 v30, v3
	;; [unrolled: 19-line block ×3, first 2 shown]
	s_cbranch_execz .LBB1138_72
; %bb.86:                               ;   in Loop: Header=BB1138_74 Depth=1
	v_and_b32_e32 v4, 1, v6
	s_waitcnt lgkmcnt(0)
	v_and_b32_e32 v38, 1, v38
	v_add_f32_e32 v8, v5, v8
	v_cmp_eq_u16_sdwa vcc_lo, v6, v12 src0_sel:BYTE_0 src1_sel:DWORD
	v_cmp_eq_u32_e64 s3, 1, v4
	v_cndmask_b32_e32 v5, v5, v8, vcc_lo
	v_cndmask_b32_e64 v6, v38, 1, s3
	v_and_b32_e32 v4, 0xffff, v6
	s_branch .LBB1138_72
.LBB1138_87:
                                        ; implicit-def: $vgpr6
                                        ; implicit-def: $vgpr5
                                        ; implicit-def: $vgpr7
	s_cbranch_execnz .LBB1138_93
	s_branch .LBB1138_120
.LBB1138_88:
	s_and_saveexec_b32 s3, s2
	s_cbranch_execz .LBB1138_90
; %bb.89:
	s_waitcnt lgkmcnt(0)
	v_mov_b32_e32 v4, 0
	v_add_f32_e32 v3, v34, v1
	v_and_b32_e32 v5, 1, v2
	s_mov_b32 s13, 0
	s_add_i32 s12, s6, 32
	v_cmp_eq_u32_sdwa vcc_lo, v2, v4 src0_sel:BYTE_0 src1_sel:DWORD
	v_and_b32_e32 v6, 1, v33
	s_lshl_b64 s[12:13], s[12:13], 4
	s_add_u32 s12, s24, s12
	v_cndmask_b32_e32 v1, v1, v3, vcc_lo
	v_cmp_eq_u32_e32 vcc_lo, 1, v5
	s_addc_u32 s13, s25, s13
	v_mov_b32_e32 v3, 2
	v_cndmask_b32_e64 v2, v6, 1, vcc_lo
	v_mov_b32_e32 v5, s12
	v_mov_b32_e32 v6, s13
	;;#ASMSTART
	global_store_dwordx4 v[5:6], v[1:4] off	
s_waitcnt vmcnt(0)
	;;#ASMEND
.LBB1138_90:
	s_or_b32 exec_lo, exec_lo, s3
	v_cmp_eq_u32_e32 vcc_lo, 0, v0
	s_and_b32 exec_lo, exec_lo, vcc_lo
	s_cbranch_execz .LBB1138_92
; %bb.91:
	v_mov_b32_e32 v1, 0
	ds_write_b32 v1, v34 offset:56
	ds_write_b8 v1, v33 offset:60
.LBB1138_92:
	s_or_b32 exec_lo, exec_lo, s4
	s_waitcnt lgkmcnt(0)
	v_cndmask_b32_e64 v1, v25, v23, s2
	v_mov_b32_e32 v2, 0
	v_and_b32_e32 v5, 1, v16
	v_cndmask_b32_e64 v3, v24, v22, s2
	s_barrier
	buffer_gl0_inv
	ds_read_b32 v4, v2 offset:56
	v_and_b32_e32 v1, 1, v1
	v_cmp_eq_u32_e32 vcc_lo, 1, v5
	v_add_f32_e32 v3, v9, v3
	v_cndmask_b32_e64 v1, v1, 1, vcc_lo
	v_cmp_eq_u16_sdwa vcc_lo, v16, v2 src0_sel:BYTE_0 src1_sel:DWORD
	v_cndmask_b32_e32 v3, v9, v3, vcc_lo
	v_cmp_eq_u32_e32 vcc_lo, 0, v0
	v_cndmask_b32_e32 v1, v1, v16, vcc_lo
	v_cndmask_b32_e32 v3, v3, v9, vcc_lo
	v_cmp_eq_u16_sdwa vcc_lo, v1, v2 src0_sel:BYTE_0 src1_sel:DWORD
	s_waitcnt lgkmcnt(0)
	v_add_f32_e32 v4, v3, v4
	v_cndmask_b32_e32 v7, v3, v4, vcc_lo
	v_add_f32_e32 v1, v10, v7
	v_cndmask_b32_e64 v5, v10, v1, s1
	v_add_f32_e32 v1, v17, v5
	v_cndmask_b32_e64 v6, v17, v1, s0
	s_branch .LBB1138_120
.LBB1138_93:
	s_cmp_lg_u64 s[28:29], 0
	v_cmp_eq_u32_e32 vcc_lo, 0, v0
	s_cselect_b32 s1, -1, 0
	s_cmp_lg_u64 s[18:19], 0
	v_cmp_ne_u32_e64 s0, 0, v0
	s_cselect_b32 s2, -1, 0
	s_and_b32 s1, s1, s2
	s_and_b32 s1, vcc_lo, s1
	s_and_saveexec_b32 s2, s1
	s_cbranch_execz .LBB1138_95
; %bb.94:
	v_mov_b32_e32 v1, 0
	v_and_b32_e32 v4, 1, v16
	s_clause 0x1
	global_load_dword v2, v1, s[18:19]
	global_load_ubyte v3, v1, s[18:19] offset:4
	v_cmp_eq_u16_sdwa s1, v16, v1 src0_sel:BYTE_0 src1_sel:DWORD
	s_waitcnt vmcnt(1)
	v_add_f32_e32 v2, v9, v2
	s_waitcnt vmcnt(0)
	v_and_b32_e32 v3, 1, v3
	v_cndmask_b32_e64 v9, v9, v2, s1
	v_cmp_eq_u32_e64 s1, 1, v4
	v_cndmask_b32_e64 v16, v3, 1, s1
.LBB1138_95:
	s_or_b32 exec_lo, exec_lo, s2
	v_mov_b32_e32 v7, 0
	v_add_f32_e32 v1, v10, v9
	v_and_b32_e32 v2, 15, v18
	s_mov_b32 s4, exec_lo
	v_cmp_eq_u16_sdwa s1, v19, v7 src0_sel:BYTE_0 src1_sel:DWORD
	v_cmp_eq_u16_sdwa s2, v21, v7 src0_sel:BYTE_0 src1_sel:DWORD
	v_cndmask_b32_e64 v5, v10, v1, s1
	v_cndmask_b32_e64 v1, 1, v16, s2
	v_cmp_eq_u16_e64 s2, 0, v20
	v_add_f32_e32 v3, v17, v5
	v_and_b32_e32 v4, 0xff, v1
	v_cndmask_b32_e64 v6, v17, v3, s2
	v_mov_b32_dpp v11, v4 row_shr:1 row_mask:0xf bank_mask:0xf
	v_mov_b32_dpp v8, v6 row_shr:1 row_mask:0xf bank_mask:0xf
	v_mov_b32_e32 v3, v6
	v_cmpx_ne_u32_e32 0, v2
	s_cbranch_execz .LBB1138_97
; %bb.96:
	v_and_b32_e32 v3, 1, v1
	v_and_b32_e32 v4, 1, v11
	v_add_f32_e32 v8, v6, v8
	v_cmp_eq_u32_e64 s3, 1, v3
	v_cndmask_b32_e64 v4, v4, 1, s3
	v_cmp_eq_u16_sdwa s3, v1, v7 src0_sel:BYTE_0 src1_sel:DWORD
	v_mov_b32_e32 v1, v4
	v_cndmask_b32_e64 v3, v6, v8, s3
.LBB1138_97:
	s_or_b32 exec_lo, exec_lo, s4
	v_mov_b32_dpp v7, v3 row_shr:2 row_mask:0xf bank_mask:0xf
	v_mov_b32_dpp v8, v4 row_shr:2 row_mask:0xf bank_mask:0xf
	s_mov_b32 s5, exec_lo
	v_cmpx_lt_u32_e32 1, v2
	s_cbranch_execz .LBB1138_99
; %bb.98:
	v_and_b32_e32 v11, 1, v1
	v_mov_b32_e32 v4, 0
	v_and_b32_e32 v8, 1, v8
	v_add_f32_e32 v7, v3, v7
	v_cmp_eq_u32_e64 s4, 1, v11
	v_cmp_eq_u16_sdwa s3, v1, v4 src0_sel:BYTE_0 src1_sel:DWORD
	v_cndmask_b32_e64 v1, v8, 1, s4
	v_cndmask_b32_e64 v3, v3, v7, s3
	v_mov_b32_e32 v4, v1
.LBB1138_99:
	s_or_b32 exec_lo, exec_lo, s5
	v_mov_b32_dpp v7, v3 row_shr:4 row_mask:0xf bank_mask:0xf
	v_mov_b32_dpp v8, v4 row_shr:4 row_mask:0xf bank_mask:0xf
	s_mov_b32 s5, exec_lo
	v_cmpx_lt_u32_e32 3, v2
	s_cbranch_execz .LBB1138_101
; %bb.100:
	v_and_b32_e32 v11, 1, v1
	v_mov_b32_e32 v4, 0
	v_and_b32_e32 v8, 1, v8
	v_add_f32_e32 v7, v3, v7
	v_cmp_eq_u32_e64 s4, 1, v11
	v_cmp_eq_u16_sdwa s3, v1, v4 src0_sel:BYTE_0 src1_sel:DWORD
	v_cndmask_b32_e64 v1, v8, 1, s4
	v_cndmask_b32_e64 v3, v3, v7, s3
	v_mov_b32_e32 v4, v1
.LBB1138_101:
	;; [unrolled: 17-line block ×3, first 2 shown]
	s_or_b32 exec_lo, exec_lo, s5
	ds_swizzle_b32 v7, v3 offset:swizzle(BROADCAST,32,15)
	ds_swizzle_b32 v2, v4 offset:swizzle(BROADCAST,32,15)
	v_and_b32_e32 v8, 16, v18
	s_mov_b32 s4, exec_lo
	v_cmpx_ne_u32_e32 0, v8
	s_cbranch_execz .LBB1138_105
; %bb.104:
	v_mov_b32_e32 v4, 0
	s_waitcnt lgkmcnt(1)
	v_add_f32_e32 v7, v3, v7
	v_and_b32_e32 v8, 1, v1
	s_waitcnt lgkmcnt(0)
	v_and_b32_e32 v2, 1, v2
	v_cmp_eq_u16_sdwa s3, v1, v4 src0_sel:BYTE_0 src1_sel:DWORD
	v_cndmask_b32_e64 v3, v3, v7, s3
	v_cmp_eq_u32_e64 s3, 1, v8
	v_cndmask_b32_e64 v4, v2, 1, s3
.LBB1138_105:
	s_or_b32 exec_lo, exec_lo, s4
	v_or_b32_e32 v1, 31, v0
	s_waitcnt lgkmcnt(1)
	v_lshrrev_b32_e32 v7, 5, v0
	s_mov_b32 s4, exec_lo
	v_cmpx_eq_u32_e64 v0, v1
	s_cbranch_execz .LBB1138_107
; %bb.106:
	v_lshlrev_b32_e32 v1, 3, v7
	ds_write_b32 v1, v3
	ds_write_b8 v1, v4 offset:4
.LBB1138_107:
	s_or_b32 exec_lo, exec_lo, s4
	s_mov_b32 s5, exec_lo
	s_waitcnt lgkmcnt(0)
	s_barrier
	buffer_gl0_inv
	v_cmpx_gt_u32_e32 8, v0
	s_cbranch_execz .LBB1138_113
; %bb.108:
	ds_read_b64 v[1:2], v15
	v_and_b32_e32 v8, 7, v18
	s_mov_b32 s4, exec_lo
	s_waitcnt lgkmcnt(0)
	v_mov_b32_dpp v12, v1 row_shr:1 row_mask:0xf bank_mask:0xf
	v_mov_b32_dpp v13, v2 row_shr:1 row_mask:0xf bank_mask:0xf
	v_mov_b32_e32 v11, v2
	v_cmpx_ne_u32_e32 0, v8
	s_cbranch_execz .LBB1138_110
; %bb.109:
	v_and_b32_e32 v11, 1, v2
	v_and_b32_e32 v13, 1, v13
	v_mov_b32_e32 v19, 0
	v_add_f32_e32 v12, v1, v12
	v_cmp_eq_u32_e64 s3, 1, v11
	v_cndmask_b32_e64 v11, v13, 1, s3
	v_cmp_eq_u16_sdwa s3, v2, v19 src0_sel:BYTE_0 src1_sel:DWORD
	v_and_or_b32 v2, 0xffffff00, v2, v11
	v_cndmask_b32_e64 v1, v1, v12, s3
.LBB1138_110:
	s_or_b32 exec_lo, exec_lo, s4
	v_mov_b32_dpp v12, v1 row_shr:2 row_mask:0xf bank_mask:0xf
	v_mov_b32_dpp v13, v2 row_shr:2 row_mask:0xf bank_mask:0xf
	s_mov_b32 s6, exec_lo
	v_cmpx_lt_u32_e32 1, v8
	s_cbranch_execz .LBB1138_112
; %bb.111:
	v_and_b32_e32 v20, 1, v11
	v_mov_b32_e32 v19, 0
	v_and_b32_e32 v13, 1, v13
	v_add_f32_e32 v12, v1, v12
	v_cmp_eq_u32_e64 s4, 1, v20
	v_cmp_eq_u16_sdwa s3, v11, v19 src0_sel:BYTE_0 src1_sel:DWORD
	v_cndmask_b32_e64 v11, v13, 1, s4
	v_cndmask_b32_e64 v1, v1, v12, s3
	v_and_or_b32 v2, 0xffffff00, v2, v11
.LBB1138_112:
	s_or_b32 exec_lo, exec_lo, s6
	v_mov_b32_dpp v12, v2 row_shr:4 row_mask:0xf bank_mask:0xf
	v_and_b32_e32 v19, 1, v11
	v_mov_b32_e32 v13, 0
	v_mov_b32_dpp v20, v1 row_shr:4 row_mask:0xf bank_mask:0xf
	v_and_b32_e32 v12, 1, v12
	v_cmp_eq_u32_e64 s3, 1, v19
	v_cmp_eq_u16_sdwa s4, v11, v13 src0_sel:BYTE_0 src1_sel:DWORD
	v_cndmask_b32_e64 v11, v12, 1, s3
	v_cmp_lt_u32_e64 s3, 3, v8
	v_add_f32_e32 v8, v1, v20
	v_cndmask_b32_e64 v2, v2, v11, s3
	s_and_b32 s3, s3, s4
	v_cndmask_b32_e64 v1, v1, v8, s3
	ds_write_b32 v15, v1
	ds_write_b8 v15, v2 offset:4
.LBB1138_113:
	s_or_b32 exec_lo, exec_lo, s5
	v_mov_b32_e32 v1, 0
	s_mov_b32 s4, exec_lo
	s_waitcnt lgkmcnt(0)
	s_barrier
	buffer_gl0_inv
	v_cmpx_lt_u32_e32 31, v0
	s_cbranch_execz .LBB1138_115
; %bb.114:
	v_lshl_add_u32 v1, v7, 3, -8
	v_cmp_eq_u32_e64 s3, 0, v4
	ds_read_b32 v1, v1
	s_waitcnt lgkmcnt(0)
	v_add_f32_e32 v2, v3, v1
	v_cndmask_b32_e64 v3, v3, v2, s3
.LBB1138_115:
	s_or_b32 exec_lo, exec_lo, s4
	v_add_nc_u32_e32 v2, -1, v18
	v_cmp_gt_i32_e64 s3, 0, v2
	v_cndmask_b32_e64 v2, v2, v18, s3
	v_lshlrev_b32_e32 v2, 2, v2
	ds_bpermute_b32 v2, v2, v3
	s_and_saveexec_b32 s3, s0
	s_cbranch_execz .LBB1138_117
; %bb.116:
	v_cmp_eq_u32_e64 s0, 0, v18
	;;#ASMSTART
	;;#ASMEND
	s_waitcnt lgkmcnt(0)
	v_cndmask_b32_e64 v1, v2, v1, s0
	v_mov_b32_e32 v2, 0
	v_add_f32_e32 v1, v9, v1
	v_cmp_eq_u16_sdwa s0, v16, v2 src0_sel:BYTE_0 src1_sel:DWORD
	v_cndmask_b32_e64 v9, v9, v1, s0
	v_add_f32_e32 v1, v10, v9
	v_cndmask_b32_e64 v5, v10, v1, s1
	v_add_f32_e32 v1, v17, v5
	v_cndmask_b32_e64 v6, v17, v1, s2
.LBB1138_117:
	s_or_b32 exec_lo, exec_lo, s3
	s_and_saveexec_b32 s0, vcc_lo
	s_cbranch_execz .LBB1138_119
; %bb.118:
	v_mov_b32_e32 v4, 0
	s_add_u32 s2, s24, 0x200
	s_addc_u32 s3, s25, 0
	v_mov_b32_e32 v3, 2
	v_mov_b32_e32 v8, s3
	ds_read_b32 v1, v4 offset:56
	s_waitcnt lgkmcnt(1)
	ds_read_u8 v2, v4 offset:60
	v_mov_b32_e32 v7, s2
	s_waitcnt lgkmcnt(0)
	;;#ASMSTART
	global_store_dwordx4 v[7:8], v[1:4] off	
s_waitcnt vmcnt(0)
	;;#ASMEND
.LBB1138_119:
	s_or_b32 exec_lo, exec_lo, s0
	v_mov_b32_e32 v7, v9
.LBB1138_120:
	s_add_u32 s0, s14, s10
	v_mov_b32_e32 v3, 0
	s_addc_u32 s1, s15, s11
	s_add_u32 s0, s0, s8
	s_addc_u32 s1, s1, s9
	s_and_b32 vcc_lo, exec_lo, s7
	s_cbranch_vccz .LBB1138_132
; %bb.121:
	v_mul_u32_u24_e32 v1, 3, v0
	v_mov_b32_e32 v4, 0
	s_waitcnt lgkmcnt(0)
	v_mov_b32_e32 v2, 0
	s_add_i32 s20, s20, s26
	s_mov_b32 s2, exec_lo
	v_cmpx_gt_u32_e64 s20, v1
	s_cbranch_execz .LBB1138_127
; %bb.122:
	v_add_nc_u32_e32 v3, 1, v1
	v_mov_b32_e32 v2, 0
	v_mov_b32_e32 v4, 0
	s_mov_b32 s3, exec_lo
	v_cmpx_gt_u32_e64 s20, v3
	s_cbranch_execz .LBB1138_126
; %bb.123:
	v_add_nc_u32_e32 v2, 2, v1
	v_cmp_gt_u32_e32 vcc_lo, s20, v2
	v_mov_b32_e32 v2, 0
	s_and_saveexec_b32 s4, vcc_lo
; %bb.124:
	v_mov_b32_e32 v2, v6
; %bb.125:
	s_or_b32 exec_lo, exec_lo, s4
	v_mov_b32_e32 v4, v5
.LBB1138_126:
	s_or_b32 exec_lo, exec_lo, s3
	v_mov_b32_e32 v3, v7
.LBB1138_127:
	s_or_b32 exec_lo, exec_lo, s2
	v_lshlrev_b32_e32 v8, 2, v1
	s_barrier
	buffer_gl0_inv
	v_sub_nc_u32_e32 v1, v8, v15
	ds_write2_b32 v8, v3, v4 offset1:1
	ds_write_b32 v8, v2 offset:8
	s_waitcnt lgkmcnt(0)
	s_barrier
	buffer_gl0_inv
	ds_read2st64_b32 v[1:2], v1 offset0:4 offset1:8
	v_add_co_u32 v3, s2, s0, v14
	v_add_co_ci_u32_e64 v4, null, s1, 0, s2
	s_mov_b32 s2, exec_lo
	v_cmpx_gt_u32_e64 s20, v0
	s_cbranch_execz .LBB1138_129
; %bb.128:
	v_sub_nc_u32_e32 v9, 0, v15
	v_add_nc_u32_e32 v8, v8, v9
	ds_read_b32 v8, v8
	s_waitcnt lgkmcnt(0)
	flat_store_dword v[3:4], v8
.LBB1138_129:
	s_or_b32 exec_lo, exec_lo, s2
	v_or_b32_e32 v8, 0x100, v0
	s_mov_b32 s2, exec_lo
	v_cmpx_gt_u32_e64 s20, v8
	s_cbranch_execz .LBB1138_131
; %bb.130:
	s_waitcnt lgkmcnt(0)
	flat_store_dword v[3:4], v1 offset:1024
.LBB1138_131:
	s_or_b32 exec_lo, exec_lo, s2
	s_waitcnt lgkmcnt(0)
	v_or_b32_e32 v1, 0x200, v0
	v_cmp_gt_u32_e64 s2, s20, v1
	s_branch .LBB1138_134
.LBB1138_132:
	s_mov_b32 s2, 0
                                        ; implicit-def: $vgpr2
	s_cbranch_execz .LBB1138_134
; %bb.133:
	v_mul_u32_u24_e32 v1, 12, v0
	s_waitcnt lgkmcnt(0)
	s_waitcnt_vscnt null, 0x0
	s_barrier
	buffer_gl0_inv
	s_or_b32 s2, s2, exec_lo
	v_sub_nc_u32_e32 v2, v1, v15
	ds_write2_b32 v1, v7, v5 offset1:1
	ds_write_b32 v1, v6 offset:8
	s_waitcnt lgkmcnt(0)
	s_barrier
	buffer_gl0_inv
	ds_read2st64_b32 v[3:4], v2 offset1:4
	ds_read_b32 v2, v2 offset:2048
	v_add_co_u32 v5, s3, s0, v14
	v_add_co_ci_u32_e64 v6, null, s1, 0, s3
	s_waitcnt lgkmcnt(1)
	flat_store_dword v[5:6], v3
	flat_store_dword v[5:6], v4 offset:1024
.LBB1138_134:
	s_and_saveexec_b32 s3, s2
	s_cbranch_execnz .LBB1138_136
; %bb.135:
	s_endpgm
.LBB1138_136:
	v_lshlrev_b32_e32 v0, 2, v0
	v_add_co_u32 v0, s0, s0, v0
	v_add_co_ci_u32_e64 v1, null, s1, 0, s0
	v_add_co_u32 v0, vcc_lo, 0x800, v0
	v_add_co_ci_u32_e64 v1, null, 0, v1, vcc_lo
	s_waitcnt lgkmcnt(0)
	flat_store_dword v[0:1], v2
	s_endpgm
.LBB1138_137:
	v_add_co_u32 v2, s0, s3, v9
	v_add_co_ci_u32_e64 v3, null, s21, 0, s0
	v_mov_b32_e32 v13, v1
	v_mov_b32_e32 v14, v1
	flat_load_dword v12, v[2:3]
	s_waitcnt vmcnt(0) lgkmcnt(0)
	v_mov_b32_e32 v1, v12
	v_mov_b32_e32 v2, v13
	;; [unrolled: 1-line block ×3, first 2 shown]
	s_or_b32 exec_lo, exec_lo, s16
	s_and_saveexec_b32 s0, s1
	s_cbranch_execz .LBB1138_15
.LBB1138_138:
	v_add_co_u32 v12, s1, s3, v9
	v_add_co_ci_u32_e64 v13, null, s21, 0, s1
	flat_load_dword v2, v[12:13] offset:1024
	s_or_b32 exec_lo, exec_lo, s0
	s_and_saveexec_b32 s0, s2
	s_cbranch_execnz .LBB1138_16
	s_branch .LBB1138_17
.LBB1138_139:
                                        ; implicit-def: $sgpr16_sgpr17
	s_branch .LBB1138_10
.LBB1138_140:
                                        ; implicit-def: $sgpr0_sgpr1
	s_branch .LBB1138_26
	.section	.rodata,"a",@progbits
	.p2align	6, 0x0
	.amdhsa_kernel _ZN7rocprim17ROCPRIM_400000_NS6detail17trampoline_kernelINS0_14default_configENS1_27scan_by_key_config_selectorIifEEZZNS1_16scan_by_key_implILNS1_25lookback_scan_determinismE0ELb0ES3_N6thrust23THRUST_200600_302600_NS6detail15normal_iteratorINS9_10device_ptrIiEEEENSB_INSC_IfEEEESG_fNS9_4plusIvEENS9_8equal_toIvEEfEE10hipError_tPvRmT2_T3_T4_T5_mT6_T7_P12ihipStream_tbENKUlT_T0_E_clISt17integral_constantIbLb0EES11_EEDaSW_SX_EUlSW_E_NS1_11comp_targetILNS1_3genE8ELNS1_11target_archE1030ELNS1_3gpuE2ELNS1_3repE0EEENS1_30default_config_static_selectorELNS0_4arch9wavefront6targetE0EEEvT1_
		.amdhsa_group_segment_fixed_size 5120
		.amdhsa_private_segment_fixed_size 0
		.amdhsa_kernarg_size 112
		.amdhsa_user_sgpr_count 6
		.amdhsa_user_sgpr_private_segment_buffer 1
		.amdhsa_user_sgpr_dispatch_ptr 0
		.amdhsa_user_sgpr_queue_ptr 0
		.amdhsa_user_sgpr_kernarg_segment_ptr 1
		.amdhsa_user_sgpr_dispatch_id 0
		.amdhsa_user_sgpr_flat_scratch_init 0
		.amdhsa_user_sgpr_private_segment_size 0
		.amdhsa_wavefront_size32 1
		.amdhsa_uses_dynamic_stack 0
		.amdhsa_system_sgpr_private_segment_wavefront_offset 0
		.amdhsa_system_sgpr_workgroup_id_x 1
		.amdhsa_system_sgpr_workgroup_id_y 0
		.amdhsa_system_sgpr_workgroup_id_z 0
		.amdhsa_system_sgpr_workgroup_info 0
		.amdhsa_system_vgpr_workitem_id 0
		.amdhsa_next_free_vgpr 39
		.amdhsa_next_free_sgpr 32
		.amdhsa_reserve_vcc 1
		.amdhsa_reserve_flat_scratch 1
		.amdhsa_float_round_mode_32 0
		.amdhsa_float_round_mode_16_64 0
		.amdhsa_float_denorm_mode_32 3
		.amdhsa_float_denorm_mode_16_64 3
		.amdhsa_dx10_clamp 1
		.amdhsa_ieee_mode 1
		.amdhsa_fp16_overflow 0
		.amdhsa_workgroup_processor_mode 1
		.amdhsa_memory_ordered 1
		.amdhsa_forward_progress 1
		.amdhsa_shared_vgpr_count 0
		.amdhsa_exception_fp_ieee_invalid_op 0
		.amdhsa_exception_fp_denorm_src 0
		.amdhsa_exception_fp_ieee_div_zero 0
		.amdhsa_exception_fp_ieee_overflow 0
		.amdhsa_exception_fp_ieee_underflow 0
		.amdhsa_exception_fp_ieee_inexact 0
		.amdhsa_exception_int_div_zero 0
	.end_amdhsa_kernel
	.section	.text._ZN7rocprim17ROCPRIM_400000_NS6detail17trampoline_kernelINS0_14default_configENS1_27scan_by_key_config_selectorIifEEZZNS1_16scan_by_key_implILNS1_25lookback_scan_determinismE0ELb0ES3_N6thrust23THRUST_200600_302600_NS6detail15normal_iteratorINS9_10device_ptrIiEEEENSB_INSC_IfEEEESG_fNS9_4plusIvEENS9_8equal_toIvEEfEE10hipError_tPvRmT2_T3_T4_T5_mT6_T7_P12ihipStream_tbENKUlT_T0_E_clISt17integral_constantIbLb0EES11_EEDaSW_SX_EUlSW_E_NS1_11comp_targetILNS1_3genE8ELNS1_11target_archE1030ELNS1_3gpuE2ELNS1_3repE0EEENS1_30default_config_static_selectorELNS0_4arch9wavefront6targetE0EEEvT1_,"axG",@progbits,_ZN7rocprim17ROCPRIM_400000_NS6detail17trampoline_kernelINS0_14default_configENS1_27scan_by_key_config_selectorIifEEZZNS1_16scan_by_key_implILNS1_25lookback_scan_determinismE0ELb0ES3_N6thrust23THRUST_200600_302600_NS6detail15normal_iteratorINS9_10device_ptrIiEEEENSB_INSC_IfEEEESG_fNS9_4plusIvEENS9_8equal_toIvEEfEE10hipError_tPvRmT2_T3_T4_T5_mT6_T7_P12ihipStream_tbENKUlT_T0_E_clISt17integral_constantIbLb0EES11_EEDaSW_SX_EUlSW_E_NS1_11comp_targetILNS1_3genE8ELNS1_11target_archE1030ELNS1_3gpuE2ELNS1_3repE0EEENS1_30default_config_static_selectorELNS0_4arch9wavefront6targetE0EEEvT1_,comdat
.Lfunc_end1138:
	.size	_ZN7rocprim17ROCPRIM_400000_NS6detail17trampoline_kernelINS0_14default_configENS1_27scan_by_key_config_selectorIifEEZZNS1_16scan_by_key_implILNS1_25lookback_scan_determinismE0ELb0ES3_N6thrust23THRUST_200600_302600_NS6detail15normal_iteratorINS9_10device_ptrIiEEEENSB_INSC_IfEEEESG_fNS9_4plusIvEENS9_8equal_toIvEEfEE10hipError_tPvRmT2_T3_T4_T5_mT6_T7_P12ihipStream_tbENKUlT_T0_E_clISt17integral_constantIbLb0EES11_EEDaSW_SX_EUlSW_E_NS1_11comp_targetILNS1_3genE8ELNS1_11target_archE1030ELNS1_3gpuE2ELNS1_3repE0EEENS1_30default_config_static_selectorELNS0_4arch9wavefront6targetE0EEEvT1_, .Lfunc_end1138-_ZN7rocprim17ROCPRIM_400000_NS6detail17trampoline_kernelINS0_14default_configENS1_27scan_by_key_config_selectorIifEEZZNS1_16scan_by_key_implILNS1_25lookback_scan_determinismE0ELb0ES3_N6thrust23THRUST_200600_302600_NS6detail15normal_iteratorINS9_10device_ptrIiEEEENSB_INSC_IfEEEESG_fNS9_4plusIvEENS9_8equal_toIvEEfEE10hipError_tPvRmT2_T3_T4_T5_mT6_T7_P12ihipStream_tbENKUlT_T0_E_clISt17integral_constantIbLb0EES11_EEDaSW_SX_EUlSW_E_NS1_11comp_targetILNS1_3genE8ELNS1_11target_archE1030ELNS1_3gpuE2ELNS1_3repE0EEENS1_30default_config_static_selectorELNS0_4arch9wavefront6targetE0EEEvT1_
                                        ; -- End function
	.set _ZN7rocprim17ROCPRIM_400000_NS6detail17trampoline_kernelINS0_14default_configENS1_27scan_by_key_config_selectorIifEEZZNS1_16scan_by_key_implILNS1_25lookback_scan_determinismE0ELb0ES3_N6thrust23THRUST_200600_302600_NS6detail15normal_iteratorINS9_10device_ptrIiEEEENSB_INSC_IfEEEESG_fNS9_4plusIvEENS9_8equal_toIvEEfEE10hipError_tPvRmT2_T3_T4_T5_mT6_T7_P12ihipStream_tbENKUlT_T0_E_clISt17integral_constantIbLb0EES11_EEDaSW_SX_EUlSW_E_NS1_11comp_targetILNS1_3genE8ELNS1_11target_archE1030ELNS1_3gpuE2ELNS1_3repE0EEENS1_30default_config_static_selectorELNS0_4arch9wavefront6targetE0EEEvT1_.num_vgpr, 39
	.set _ZN7rocprim17ROCPRIM_400000_NS6detail17trampoline_kernelINS0_14default_configENS1_27scan_by_key_config_selectorIifEEZZNS1_16scan_by_key_implILNS1_25lookback_scan_determinismE0ELb0ES3_N6thrust23THRUST_200600_302600_NS6detail15normal_iteratorINS9_10device_ptrIiEEEENSB_INSC_IfEEEESG_fNS9_4plusIvEENS9_8equal_toIvEEfEE10hipError_tPvRmT2_T3_T4_T5_mT6_T7_P12ihipStream_tbENKUlT_T0_E_clISt17integral_constantIbLb0EES11_EEDaSW_SX_EUlSW_E_NS1_11comp_targetILNS1_3genE8ELNS1_11target_archE1030ELNS1_3gpuE2ELNS1_3repE0EEENS1_30default_config_static_selectorELNS0_4arch9wavefront6targetE0EEEvT1_.num_agpr, 0
	.set _ZN7rocprim17ROCPRIM_400000_NS6detail17trampoline_kernelINS0_14default_configENS1_27scan_by_key_config_selectorIifEEZZNS1_16scan_by_key_implILNS1_25lookback_scan_determinismE0ELb0ES3_N6thrust23THRUST_200600_302600_NS6detail15normal_iteratorINS9_10device_ptrIiEEEENSB_INSC_IfEEEESG_fNS9_4plusIvEENS9_8equal_toIvEEfEE10hipError_tPvRmT2_T3_T4_T5_mT6_T7_P12ihipStream_tbENKUlT_T0_E_clISt17integral_constantIbLb0EES11_EEDaSW_SX_EUlSW_E_NS1_11comp_targetILNS1_3genE8ELNS1_11target_archE1030ELNS1_3gpuE2ELNS1_3repE0EEENS1_30default_config_static_selectorELNS0_4arch9wavefront6targetE0EEEvT1_.numbered_sgpr, 32
	.set _ZN7rocprim17ROCPRIM_400000_NS6detail17trampoline_kernelINS0_14default_configENS1_27scan_by_key_config_selectorIifEEZZNS1_16scan_by_key_implILNS1_25lookback_scan_determinismE0ELb0ES3_N6thrust23THRUST_200600_302600_NS6detail15normal_iteratorINS9_10device_ptrIiEEEENSB_INSC_IfEEEESG_fNS9_4plusIvEENS9_8equal_toIvEEfEE10hipError_tPvRmT2_T3_T4_T5_mT6_T7_P12ihipStream_tbENKUlT_T0_E_clISt17integral_constantIbLb0EES11_EEDaSW_SX_EUlSW_E_NS1_11comp_targetILNS1_3genE8ELNS1_11target_archE1030ELNS1_3gpuE2ELNS1_3repE0EEENS1_30default_config_static_selectorELNS0_4arch9wavefront6targetE0EEEvT1_.num_named_barrier, 0
	.set _ZN7rocprim17ROCPRIM_400000_NS6detail17trampoline_kernelINS0_14default_configENS1_27scan_by_key_config_selectorIifEEZZNS1_16scan_by_key_implILNS1_25lookback_scan_determinismE0ELb0ES3_N6thrust23THRUST_200600_302600_NS6detail15normal_iteratorINS9_10device_ptrIiEEEENSB_INSC_IfEEEESG_fNS9_4plusIvEENS9_8equal_toIvEEfEE10hipError_tPvRmT2_T3_T4_T5_mT6_T7_P12ihipStream_tbENKUlT_T0_E_clISt17integral_constantIbLb0EES11_EEDaSW_SX_EUlSW_E_NS1_11comp_targetILNS1_3genE8ELNS1_11target_archE1030ELNS1_3gpuE2ELNS1_3repE0EEENS1_30default_config_static_selectorELNS0_4arch9wavefront6targetE0EEEvT1_.private_seg_size, 0
	.set _ZN7rocprim17ROCPRIM_400000_NS6detail17trampoline_kernelINS0_14default_configENS1_27scan_by_key_config_selectorIifEEZZNS1_16scan_by_key_implILNS1_25lookback_scan_determinismE0ELb0ES3_N6thrust23THRUST_200600_302600_NS6detail15normal_iteratorINS9_10device_ptrIiEEEENSB_INSC_IfEEEESG_fNS9_4plusIvEENS9_8equal_toIvEEfEE10hipError_tPvRmT2_T3_T4_T5_mT6_T7_P12ihipStream_tbENKUlT_T0_E_clISt17integral_constantIbLb0EES11_EEDaSW_SX_EUlSW_E_NS1_11comp_targetILNS1_3genE8ELNS1_11target_archE1030ELNS1_3gpuE2ELNS1_3repE0EEENS1_30default_config_static_selectorELNS0_4arch9wavefront6targetE0EEEvT1_.uses_vcc, 1
	.set _ZN7rocprim17ROCPRIM_400000_NS6detail17trampoline_kernelINS0_14default_configENS1_27scan_by_key_config_selectorIifEEZZNS1_16scan_by_key_implILNS1_25lookback_scan_determinismE0ELb0ES3_N6thrust23THRUST_200600_302600_NS6detail15normal_iteratorINS9_10device_ptrIiEEEENSB_INSC_IfEEEESG_fNS9_4plusIvEENS9_8equal_toIvEEfEE10hipError_tPvRmT2_T3_T4_T5_mT6_T7_P12ihipStream_tbENKUlT_T0_E_clISt17integral_constantIbLb0EES11_EEDaSW_SX_EUlSW_E_NS1_11comp_targetILNS1_3genE8ELNS1_11target_archE1030ELNS1_3gpuE2ELNS1_3repE0EEENS1_30default_config_static_selectorELNS0_4arch9wavefront6targetE0EEEvT1_.uses_flat_scratch, 1
	.set _ZN7rocprim17ROCPRIM_400000_NS6detail17trampoline_kernelINS0_14default_configENS1_27scan_by_key_config_selectorIifEEZZNS1_16scan_by_key_implILNS1_25lookback_scan_determinismE0ELb0ES3_N6thrust23THRUST_200600_302600_NS6detail15normal_iteratorINS9_10device_ptrIiEEEENSB_INSC_IfEEEESG_fNS9_4plusIvEENS9_8equal_toIvEEfEE10hipError_tPvRmT2_T3_T4_T5_mT6_T7_P12ihipStream_tbENKUlT_T0_E_clISt17integral_constantIbLb0EES11_EEDaSW_SX_EUlSW_E_NS1_11comp_targetILNS1_3genE8ELNS1_11target_archE1030ELNS1_3gpuE2ELNS1_3repE0EEENS1_30default_config_static_selectorELNS0_4arch9wavefront6targetE0EEEvT1_.has_dyn_sized_stack, 0
	.set _ZN7rocprim17ROCPRIM_400000_NS6detail17trampoline_kernelINS0_14default_configENS1_27scan_by_key_config_selectorIifEEZZNS1_16scan_by_key_implILNS1_25lookback_scan_determinismE0ELb0ES3_N6thrust23THRUST_200600_302600_NS6detail15normal_iteratorINS9_10device_ptrIiEEEENSB_INSC_IfEEEESG_fNS9_4plusIvEENS9_8equal_toIvEEfEE10hipError_tPvRmT2_T3_T4_T5_mT6_T7_P12ihipStream_tbENKUlT_T0_E_clISt17integral_constantIbLb0EES11_EEDaSW_SX_EUlSW_E_NS1_11comp_targetILNS1_3genE8ELNS1_11target_archE1030ELNS1_3gpuE2ELNS1_3repE0EEENS1_30default_config_static_selectorELNS0_4arch9wavefront6targetE0EEEvT1_.has_recursion, 0
	.set _ZN7rocprim17ROCPRIM_400000_NS6detail17trampoline_kernelINS0_14default_configENS1_27scan_by_key_config_selectorIifEEZZNS1_16scan_by_key_implILNS1_25lookback_scan_determinismE0ELb0ES3_N6thrust23THRUST_200600_302600_NS6detail15normal_iteratorINS9_10device_ptrIiEEEENSB_INSC_IfEEEESG_fNS9_4plusIvEENS9_8equal_toIvEEfEE10hipError_tPvRmT2_T3_T4_T5_mT6_T7_P12ihipStream_tbENKUlT_T0_E_clISt17integral_constantIbLb0EES11_EEDaSW_SX_EUlSW_E_NS1_11comp_targetILNS1_3genE8ELNS1_11target_archE1030ELNS1_3gpuE2ELNS1_3repE0EEENS1_30default_config_static_selectorELNS0_4arch9wavefront6targetE0EEEvT1_.has_indirect_call, 0
	.section	.AMDGPU.csdata,"",@progbits
; Kernel info:
; codeLenInByte = 6240
; TotalNumSgprs: 34
; NumVgprs: 39
; ScratchSize: 0
; MemoryBound: 0
; FloatMode: 240
; IeeeMode: 1
; LDSByteSize: 5120 bytes/workgroup (compile time only)
; SGPRBlocks: 0
; VGPRBlocks: 4
; NumSGPRsForWavesPerEU: 34
; NumVGPRsForWavesPerEU: 39
; Occupancy: 16
; WaveLimiterHint : 1
; COMPUTE_PGM_RSRC2:SCRATCH_EN: 0
; COMPUTE_PGM_RSRC2:USER_SGPR: 6
; COMPUTE_PGM_RSRC2:TRAP_HANDLER: 0
; COMPUTE_PGM_RSRC2:TGID_X_EN: 1
; COMPUTE_PGM_RSRC2:TGID_Y_EN: 0
; COMPUTE_PGM_RSRC2:TGID_Z_EN: 0
; COMPUTE_PGM_RSRC2:TIDIG_COMP_CNT: 0
	.section	.text._ZN7rocprim17ROCPRIM_400000_NS6detail30init_device_scan_by_key_kernelINS1_19lookback_scan_stateINS0_5tupleIJfbEEELb1ELb1EEEN6thrust23THRUST_200600_302600_NS6detail15normal_iteratorINS8_10device_ptrIiEEEEjNS1_16block_id_wrapperIjLb1EEEEEvT_jjPNSG_10value_typeET0_PNSt15iterator_traitsISJ_E10value_typeEmT1_T2_,"axG",@progbits,_ZN7rocprim17ROCPRIM_400000_NS6detail30init_device_scan_by_key_kernelINS1_19lookback_scan_stateINS0_5tupleIJfbEEELb1ELb1EEEN6thrust23THRUST_200600_302600_NS6detail15normal_iteratorINS8_10device_ptrIiEEEEjNS1_16block_id_wrapperIjLb1EEEEEvT_jjPNSG_10value_typeET0_PNSt15iterator_traitsISJ_E10value_typeEmT1_T2_,comdat
	.protected	_ZN7rocprim17ROCPRIM_400000_NS6detail30init_device_scan_by_key_kernelINS1_19lookback_scan_stateINS0_5tupleIJfbEEELb1ELb1EEEN6thrust23THRUST_200600_302600_NS6detail15normal_iteratorINS8_10device_ptrIiEEEEjNS1_16block_id_wrapperIjLb1EEEEEvT_jjPNSG_10value_typeET0_PNSt15iterator_traitsISJ_E10value_typeEmT1_T2_ ; -- Begin function _ZN7rocprim17ROCPRIM_400000_NS6detail30init_device_scan_by_key_kernelINS1_19lookback_scan_stateINS0_5tupleIJfbEEELb1ELb1EEEN6thrust23THRUST_200600_302600_NS6detail15normal_iteratorINS8_10device_ptrIiEEEEjNS1_16block_id_wrapperIjLb1EEEEEvT_jjPNSG_10value_typeET0_PNSt15iterator_traitsISJ_E10value_typeEmT1_T2_
	.globl	_ZN7rocprim17ROCPRIM_400000_NS6detail30init_device_scan_by_key_kernelINS1_19lookback_scan_stateINS0_5tupleIJfbEEELb1ELb1EEEN6thrust23THRUST_200600_302600_NS6detail15normal_iteratorINS8_10device_ptrIiEEEEjNS1_16block_id_wrapperIjLb1EEEEEvT_jjPNSG_10value_typeET0_PNSt15iterator_traitsISJ_E10value_typeEmT1_T2_
	.p2align	8
	.type	_ZN7rocprim17ROCPRIM_400000_NS6detail30init_device_scan_by_key_kernelINS1_19lookback_scan_stateINS0_5tupleIJfbEEELb1ELb1EEEN6thrust23THRUST_200600_302600_NS6detail15normal_iteratorINS8_10device_ptrIiEEEEjNS1_16block_id_wrapperIjLb1EEEEEvT_jjPNSG_10value_typeET0_PNSt15iterator_traitsISJ_E10value_typeEmT1_T2_,@function
_ZN7rocprim17ROCPRIM_400000_NS6detail30init_device_scan_by_key_kernelINS1_19lookback_scan_stateINS0_5tupleIJfbEEELb1ELb1EEEN6thrust23THRUST_200600_302600_NS6detail15normal_iteratorINS8_10device_ptrIiEEEEjNS1_16block_id_wrapperIjLb1EEEEEvT_jjPNSG_10value_typeET0_PNSt15iterator_traitsISJ_E10value_typeEmT1_T2_: ; @_ZN7rocprim17ROCPRIM_400000_NS6detail30init_device_scan_by_key_kernelINS1_19lookback_scan_stateINS0_5tupleIJfbEEELb1ELb1EEEN6thrust23THRUST_200600_302600_NS6detail15normal_iteratorINS8_10device_ptrIiEEEEjNS1_16block_id_wrapperIjLb1EEEEEvT_jjPNSG_10value_typeET0_PNSt15iterator_traitsISJ_E10value_typeEmT1_T2_
; %bb.0:
	s_clause 0x2
	s_load_dword s0, s[4:5], 0x4c
	s_load_dwordx8 s[8:15], s[4:5], 0x0
	s_load_dword s7, s[4:5], 0x40
	s_waitcnt lgkmcnt(0)
	s_and_b32 s16, s0, 0xffff
	s_cmp_eq_u64 s[12:13], 0
	v_mad_u64_u32 v[4:5], null, s6, s16, v[0:1]
	s_cbranch_scc1 .LBB1139_10
; %bb.1:
	s_cmp_lt_u32 s11, s10
	s_mov_b32 s1, 0
	s_cselect_b32 s0, s11, 0
	s_mov_b32 s2, exec_lo
	v_cmpx_eq_u32_e64 s0, v4
	s_cbranch_execz .LBB1139_9
; %bb.2:
	s_add_i32 s0, s11, 32
	v_mov_b32_e32 v6, 0
	s_lshl_b64 s[0:1], s[0:1], 4
	s_mov_b32 s3, exec_lo
	s_add_u32 s0, s8, s0
	s_addc_u32 s1, s9, s1
	v_mov_b32_e32 v0, s0
	v_mov_b32_e32 v1, s1
	;;#ASMSTART
	global_load_dwordx4 v[0:3], v[0:1] off glc dlc	
s_waitcnt vmcnt(0)
	;;#ASMEND
	v_and_b32_e32 v5, 0xff, v2
	v_cmpx_eq_u64_e32 0, v[5:6]
	s_cbranch_execz .LBB1139_8
; %bb.3:
	v_mov_b32_e32 v8, s1
	v_mov_b32_e32 v7, s0
	s_mov_b32 s1, 1
	s_mov_b32 s0, 0
	.p2align	6
.LBB1139_4:                             ; =>This Loop Header: Depth=1
                                        ;     Child Loop BB1139_5 Depth 2
	s_mov_b32 s6, s1
.LBB1139_5:                             ;   Parent Loop BB1139_4 Depth=1
                                        ; =>  This Inner Loop Header: Depth=2
	s_add_i32 s6, s6, -1
	s_sleep 1
	s_cmp_eq_u32 s6, 0
	s_cbranch_scc0 .LBB1139_5
; %bb.6:                                ;   in Loop: Header=BB1139_4 Depth=1
	;;#ASMSTART
	global_load_dwordx4 v[0:3], v[7:8] off glc dlc	
s_waitcnt vmcnt(0)
	;;#ASMEND
	v_and_b32_e32 v5, 0xff, v2
	s_cmp_lt_u32 s1, 32
	s_cselect_b32 s6, -1, 0
	v_cmp_ne_u64_e32 vcc_lo, 0, v[5:6]
	s_cmp_lg_u32 s6, 0
	s_addc_u32 s1, s1, 0
	s_or_b32 s0, vcc_lo, s0
	s_andn2_b32 exec_lo, exec_lo, s0
	s_cbranch_execnz .LBB1139_4
; %bb.7:
	s_or_b32 exec_lo, exec_lo, s0
.LBB1139_8:
	s_or_b32 exec_lo, exec_lo, s3
	v_mov_b32_e32 v2, 0
	global_store_dword v2, v0, s[12:13]
	global_store_byte v2, v1, s[12:13] offset:4
.LBB1139_9:
	s_or_b32 exec_lo, exec_lo, s2
.LBB1139_10:
	s_mov_b32 s0, exec_lo
	v_cmpx_eq_u32_e32 0, v4
	s_cbranch_execz .LBB1139_12
; %bb.11:
	s_load_dwordx2 s[2:3], s[4:5], 0x38
	v_mov_b32_e32 v0, 0
	s_waitcnt lgkmcnt(0)
	global_store_dword v0, v0, s[2:3]
.LBB1139_12:
	s_or_b32 exec_lo, exec_lo, s0
	s_mov_b32 s0, exec_lo
	v_cmpx_gt_u32_e64 s10, v4
	s_cbranch_execz .LBB1139_14
; %bb.13:
	v_add_nc_u32_e32 v0, 32, v4
	v_mov_b32_e32 v1, 0
	v_lshlrev_b64 v[5:6], 4, v[0:1]
	v_mov_b32_e32 v0, v1
	v_mov_b32_e32 v2, v1
	v_mov_b32_e32 v3, v1
	v_add_co_u32 v5, vcc_lo, s8, v5
	v_add_co_ci_u32_e64 v6, null, s9, v6, vcc_lo
	global_store_dwordx4 v[5:6], v[0:3], off
.LBB1139_14:
	s_or_b32 exec_lo, exec_lo, s0
	v_mov_b32_e32 v5, 0
	s_mov_b32 s0, exec_lo
	v_cmpx_gt_u32_e32 32, v4
	s_cbranch_execz .LBB1139_16
; %bb.15:
	v_lshlrev_b64 v[6:7], 4, v[4:5]
	v_mov_b32_e32 v2, 0xff
	v_mov_b32_e32 v0, v5
	;; [unrolled: 1-line block ×4, first 2 shown]
	v_add_co_u32 v6, vcc_lo, s8, v6
	v_add_co_ci_u32_e64 v7, null, s9, v7, vcc_lo
	global_store_dwordx4 v[6:7], v[0:3], off
.LBB1139_16:
	s_or_b32 exec_lo, exec_lo, s0
	s_load_dwordx2 s[2:3], s[4:5], 0x28
	s_mov_b32 s0, exec_lo
	s_waitcnt lgkmcnt(0)
	v_cmpx_gt_u64_e64 s[2:3], v[4:5]
	s_cbranch_execz .LBB1139_19
; %bb.17:
	s_clause 0x1
	s_load_dword s6, s[4:5], 0x30
	s_load_dwordx2 s[8:9], s[4:5], 0x20
	s_mov_b32 s1, 0
	v_lshlrev_b64 v[2:3], 2, v[4:5]
	s_mul_i32 s4, s7, s16
	s_waitcnt lgkmcnt(0)
	v_mad_u64_u32 v[0:1], null, s6, v4, 0
	s_add_i32 s0, s6, -1
	s_mul_hi_u32 s7, s6, s4
	s_lshl_b64 s[10:11], s[0:1], 2
	s_mul_i32 s6, s6, s4
	s_add_u32 s0, s14, s10
	s_addc_u32 s5, s15, s11
	v_lshlrev_b64 v[0:1], 2, v[0:1]
	s_lshl_b64 s[6:7], s[6:7], 2
	v_add_co_u32 v0, vcc_lo, s0, v0
	v_add_co_ci_u32_e64 v1, null, s5, v1, vcc_lo
	v_add_co_u32 v2, vcc_lo, s8, v2
	v_add_co_ci_u32_e64 v3, null, s9, v3, vcc_lo
	s_mov_b32 s5, s1
	s_lshl_b64 s[8:9], s[4:5], 2
	.p2align	6
.LBB1139_18:                            ; =>This Inner Loop Header: Depth=1
	global_load_dword v6, v[0:1], off
	v_add_co_u32 v4, vcc_lo, v4, s4
	v_add_co_ci_u32_e64 v5, null, 0, v5, vcc_lo
	v_add_co_u32 v0, vcc_lo, v0, s6
	v_add_co_ci_u32_e64 v1, null, s7, v1, vcc_lo
	v_cmp_le_u64_e32 vcc_lo, s[2:3], v[4:5]
	s_or_b32 s1, vcc_lo, s1
	s_waitcnt vmcnt(0)
	global_store_dword v[2:3], v6, off
	v_add_co_u32 v2, s0, v2, s8
	v_add_co_ci_u32_e64 v3, null, s9, v3, s0
	s_andn2_b32 exec_lo, exec_lo, s1
	s_cbranch_execnz .LBB1139_18
.LBB1139_19:
	s_endpgm
	.section	.rodata,"a",@progbits
	.p2align	6, 0x0
	.amdhsa_kernel _ZN7rocprim17ROCPRIM_400000_NS6detail30init_device_scan_by_key_kernelINS1_19lookback_scan_stateINS0_5tupleIJfbEEELb1ELb1EEEN6thrust23THRUST_200600_302600_NS6detail15normal_iteratorINS8_10device_ptrIiEEEEjNS1_16block_id_wrapperIjLb1EEEEEvT_jjPNSG_10value_typeET0_PNSt15iterator_traitsISJ_E10value_typeEmT1_T2_
		.amdhsa_group_segment_fixed_size 0
		.amdhsa_private_segment_fixed_size 0
		.amdhsa_kernarg_size 320
		.amdhsa_user_sgpr_count 6
		.amdhsa_user_sgpr_private_segment_buffer 1
		.amdhsa_user_sgpr_dispatch_ptr 0
		.amdhsa_user_sgpr_queue_ptr 0
		.amdhsa_user_sgpr_kernarg_segment_ptr 1
		.amdhsa_user_sgpr_dispatch_id 0
		.amdhsa_user_sgpr_flat_scratch_init 0
		.amdhsa_user_sgpr_private_segment_size 0
		.amdhsa_wavefront_size32 1
		.amdhsa_uses_dynamic_stack 0
		.amdhsa_system_sgpr_private_segment_wavefront_offset 0
		.amdhsa_system_sgpr_workgroup_id_x 1
		.amdhsa_system_sgpr_workgroup_id_y 0
		.amdhsa_system_sgpr_workgroup_id_z 0
		.amdhsa_system_sgpr_workgroup_info 0
		.amdhsa_system_vgpr_workitem_id 0
		.amdhsa_next_free_vgpr 9
		.amdhsa_next_free_sgpr 17
		.amdhsa_reserve_vcc 1
		.amdhsa_reserve_flat_scratch 0
		.amdhsa_float_round_mode_32 0
		.amdhsa_float_round_mode_16_64 0
		.amdhsa_float_denorm_mode_32 3
		.amdhsa_float_denorm_mode_16_64 3
		.amdhsa_dx10_clamp 1
		.amdhsa_ieee_mode 1
		.amdhsa_fp16_overflow 0
		.amdhsa_workgroup_processor_mode 1
		.amdhsa_memory_ordered 1
		.amdhsa_forward_progress 1
		.amdhsa_shared_vgpr_count 0
		.amdhsa_exception_fp_ieee_invalid_op 0
		.amdhsa_exception_fp_denorm_src 0
		.amdhsa_exception_fp_ieee_div_zero 0
		.amdhsa_exception_fp_ieee_overflow 0
		.amdhsa_exception_fp_ieee_underflow 0
		.amdhsa_exception_fp_ieee_inexact 0
		.amdhsa_exception_int_div_zero 0
	.end_amdhsa_kernel
	.section	.text._ZN7rocprim17ROCPRIM_400000_NS6detail30init_device_scan_by_key_kernelINS1_19lookback_scan_stateINS0_5tupleIJfbEEELb1ELb1EEEN6thrust23THRUST_200600_302600_NS6detail15normal_iteratorINS8_10device_ptrIiEEEEjNS1_16block_id_wrapperIjLb1EEEEEvT_jjPNSG_10value_typeET0_PNSt15iterator_traitsISJ_E10value_typeEmT1_T2_,"axG",@progbits,_ZN7rocprim17ROCPRIM_400000_NS6detail30init_device_scan_by_key_kernelINS1_19lookback_scan_stateINS0_5tupleIJfbEEELb1ELb1EEEN6thrust23THRUST_200600_302600_NS6detail15normal_iteratorINS8_10device_ptrIiEEEEjNS1_16block_id_wrapperIjLb1EEEEEvT_jjPNSG_10value_typeET0_PNSt15iterator_traitsISJ_E10value_typeEmT1_T2_,comdat
.Lfunc_end1139:
	.size	_ZN7rocprim17ROCPRIM_400000_NS6detail30init_device_scan_by_key_kernelINS1_19lookback_scan_stateINS0_5tupleIJfbEEELb1ELb1EEEN6thrust23THRUST_200600_302600_NS6detail15normal_iteratorINS8_10device_ptrIiEEEEjNS1_16block_id_wrapperIjLb1EEEEEvT_jjPNSG_10value_typeET0_PNSt15iterator_traitsISJ_E10value_typeEmT1_T2_, .Lfunc_end1139-_ZN7rocprim17ROCPRIM_400000_NS6detail30init_device_scan_by_key_kernelINS1_19lookback_scan_stateINS0_5tupleIJfbEEELb1ELb1EEEN6thrust23THRUST_200600_302600_NS6detail15normal_iteratorINS8_10device_ptrIiEEEEjNS1_16block_id_wrapperIjLb1EEEEEvT_jjPNSG_10value_typeET0_PNSt15iterator_traitsISJ_E10value_typeEmT1_T2_
                                        ; -- End function
	.set _ZN7rocprim17ROCPRIM_400000_NS6detail30init_device_scan_by_key_kernelINS1_19lookback_scan_stateINS0_5tupleIJfbEEELb1ELb1EEEN6thrust23THRUST_200600_302600_NS6detail15normal_iteratorINS8_10device_ptrIiEEEEjNS1_16block_id_wrapperIjLb1EEEEEvT_jjPNSG_10value_typeET0_PNSt15iterator_traitsISJ_E10value_typeEmT1_T2_.num_vgpr, 9
	.set _ZN7rocprim17ROCPRIM_400000_NS6detail30init_device_scan_by_key_kernelINS1_19lookback_scan_stateINS0_5tupleIJfbEEELb1ELb1EEEN6thrust23THRUST_200600_302600_NS6detail15normal_iteratorINS8_10device_ptrIiEEEEjNS1_16block_id_wrapperIjLb1EEEEEvT_jjPNSG_10value_typeET0_PNSt15iterator_traitsISJ_E10value_typeEmT1_T2_.num_agpr, 0
	.set _ZN7rocprim17ROCPRIM_400000_NS6detail30init_device_scan_by_key_kernelINS1_19lookback_scan_stateINS0_5tupleIJfbEEELb1ELb1EEEN6thrust23THRUST_200600_302600_NS6detail15normal_iteratorINS8_10device_ptrIiEEEEjNS1_16block_id_wrapperIjLb1EEEEEvT_jjPNSG_10value_typeET0_PNSt15iterator_traitsISJ_E10value_typeEmT1_T2_.numbered_sgpr, 17
	.set _ZN7rocprim17ROCPRIM_400000_NS6detail30init_device_scan_by_key_kernelINS1_19lookback_scan_stateINS0_5tupleIJfbEEELb1ELb1EEEN6thrust23THRUST_200600_302600_NS6detail15normal_iteratorINS8_10device_ptrIiEEEEjNS1_16block_id_wrapperIjLb1EEEEEvT_jjPNSG_10value_typeET0_PNSt15iterator_traitsISJ_E10value_typeEmT1_T2_.num_named_barrier, 0
	.set _ZN7rocprim17ROCPRIM_400000_NS6detail30init_device_scan_by_key_kernelINS1_19lookback_scan_stateINS0_5tupleIJfbEEELb1ELb1EEEN6thrust23THRUST_200600_302600_NS6detail15normal_iteratorINS8_10device_ptrIiEEEEjNS1_16block_id_wrapperIjLb1EEEEEvT_jjPNSG_10value_typeET0_PNSt15iterator_traitsISJ_E10value_typeEmT1_T2_.private_seg_size, 0
	.set _ZN7rocprim17ROCPRIM_400000_NS6detail30init_device_scan_by_key_kernelINS1_19lookback_scan_stateINS0_5tupleIJfbEEELb1ELb1EEEN6thrust23THRUST_200600_302600_NS6detail15normal_iteratorINS8_10device_ptrIiEEEEjNS1_16block_id_wrapperIjLb1EEEEEvT_jjPNSG_10value_typeET0_PNSt15iterator_traitsISJ_E10value_typeEmT1_T2_.uses_vcc, 1
	.set _ZN7rocprim17ROCPRIM_400000_NS6detail30init_device_scan_by_key_kernelINS1_19lookback_scan_stateINS0_5tupleIJfbEEELb1ELb1EEEN6thrust23THRUST_200600_302600_NS6detail15normal_iteratorINS8_10device_ptrIiEEEEjNS1_16block_id_wrapperIjLb1EEEEEvT_jjPNSG_10value_typeET0_PNSt15iterator_traitsISJ_E10value_typeEmT1_T2_.uses_flat_scratch, 0
	.set _ZN7rocprim17ROCPRIM_400000_NS6detail30init_device_scan_by_key_kernelINS1_19lookback_scan_stateINS0_5tupleIJfbEEELb1ELb1EEEN6thrust23THRUST_200600_302600_NS6detail15normal_iteratorINS8_10device_ptrIiEEEEjNS1_16block_id_wrapperIjLb1EEEEEvT_jjPNSG_10value_typeET0_PNSt15iterator_traitsISJ_E10value_typeEmT1_T2_.has_dyn_sized_stack, 0
	.set _ZN7rocprim17ROCPRIM_400000_NS6detail30init_device_scan_by_key_kernelINS1_19lookback_scan_stateINS0_5tupleIJfbEEELb1ELb1EEEN6thrust23THRUST_200600_302600_NS6detail15normal_iteratorINS8_10device_ptrIiEEEEjNS1_16block_id_wrapperIjLb1EEEEEvT_jjPNSG_10value_typeET0_PNSt15iterator_traitsISJ_E10value_typeEmT1_T2_.has_recursion, 0
	.set _ZN7rocprim17ROCPRIM_400000_NS6detail30init_device_scan_by_key_kernelINS1_19lookback_scan_stateINS0_5tupleIJfbEEELb1ELb1EEEN6thrust23THRUST_200600_302600_NS6detail15normal_iteratorINS8_10device_ptrIiEEEEjNS1_16block_id_wrapperIjLb1EEEEEvT_jjPNSG_10value_typeET0_PNSt15iterator_traitsISJ_E10value_typeEmT1_T2_.has_indirect_call, 0
	.section	.AMDGPU.csdata,"",@progbits
; Kernel info:
; codeLenInByte = 792
; TotalNumSgprs: 19
; NumVgprs: 9
; ScratchSize: 0
; MemoryBound: 0
; FloatMode: 240
; IeeeMode: 1
; LDSByteSize: 0 bytes/workgroup (compile time only)
; SGPRBlocks: 0
; VGPRBlocks: 1
; NumSGPRsForWavesPerEU: 19
; NumVGPRsForWavesPerEU: 9
; Occupancy: 16
; WaveLimiterHint : 0
; COMPUTE_PGM_RSRC2:SCRATCH_EN: 0
; COMPUTE_PGM_RSRC2:USER_SGPR: 6
; COMPUTE_PGM_RSRC2:TRAP_HANDLER: 0
; COMPUTE_PGM_RSRC2:TGID_X_EN: 1
; COMPUTE_PGM_RSRC2:TGID_Y_EN: 0
; COMPUTE_PGM_RSRC2:TGID_Z_EN: 0
; COMPUTE_PGM_RSRC2:TIDIG_COMP_CNT: 0
	.section	.text._ZN7rocprim17ROCPRIM_400000_NS6detail30init_device_scan_by_key_kernelINS1_19lookback_scan_stateINS0_5tupleIJfbEEELb1ELb1EEENS1_16block_id_wrapperIjLb1EEEEEvT_jjPNS9_10value_typeET0_,"axG",@progbits,_ZN7rocprim17ROCPRIM_400000_NS6detail30init_device_scan_by_key_kernelINS1_19lookback_scan_stateINS0_5tupleIJfbEEELb1ELb1EEENS1_16block_id_wrapperIjLb1EEEEEvT_jjPNS9_10value_typeET0_,comdat
	.protected	_ZN7rocprim17ROCPRIM_400000_NS6detail30init_device_scan_by_key_kernelINS1_19lookback_scan_stateINS0_5tupleIJfbEEELb1ELb1EEENS1_16block_id_wrapperIjLb1EEEEEvT_jjPNS9_10value_typeET0_ ; -- Begin function _ZN7rocprim17ROCPRIM_400000_NS6detail30init_device_scan_by_key_kernelINS1_19lookback_scan_stateINS0_5tupleIJfbEEELb1ELb1EEENS1_16block_id_wrapperIjLb1EEEEEvT_jjPNS9_10value_typeET0_
	.globl	_ZN7rocprim17ROCPRIM_400000_NS6detail30init_device_scan_by_key_kernelINS1_19lookback_scan_stateINS0_5tupleIJfbEEELb1ELb1EEENS1_16block_id_wrapperIjLb1EEEEEvT_jjPNS9_10value_typeET0_
	.p2align	8
	.type	_ZN7rocprim17ROCPRIM_400000_NS6detail30init_device_scan_by_key_kernelINS1_19lookback_scan_stateINS0_5tupleIJfbEEELb1ELb1EEENS1_16block_id_wrapperIjLb1EEEEEvT_jjPNS9_10value_typeET0_,@function
_ZN7rocprim17ROCPRIM_400000_NS6detail30init_device_scan_by_key_kernelINS1_19lookback_scan_stateINS0_5tupleIJfbEEELb1ELb1EEENS1_16block_id_wrapperIjLb1EEEEEvT_jjPNS9_10value_typeET0_: ; @_ZN7rocprim17ROCPRIM_400000_NS6detail30init_device_scan_by_key_kernelINS1_19lookback_scan_stateINS0_5tupleIJfbEEELb1ELb1EEENS1_16block_id_wrapperIjLb1EEEEEvT_jjPNS9_10value_typeET0_
; %bb.0:
	s_clause 0x1
	s_load_dword s0, s[4:5], 0x2c
	s_load_dwordx8 s[8:15], s[4:5], 0x0
	s_waitcnt lgkmcnt(0)
	s_and_b32 s0, s0, 0xffff
	s_cmp_eq_u64 s[12:13], 0
	v_mad_u64_u32 v[0:1], null, s6, s0, v[0:1]
	s_cbranch_scc1 .LBB1140_10
; %bb.1:
	s_cmp_lt_u32 s11, s10
	s_mov_b32 s1, 0
	s_cselect_b32 s0, s11, 0
	s_mov_b32 s2, exec_lo
	v_cmpx_eq_u32_e64 s0, v0
	s_cbranch_execz .LBB1140_9
; %bb.2:
	s_add_i32 s0, s11, 32
	v_mov_b32_e32 v5, 0
	s_lshl_b64 s[0:1], s[0:1], 4
	s_mov_b32 s3, exec_lo
	s_add_u32 s0, s8, s0
	s_addc_u32 s1, s9, s1
	v_mov_b32_e32 v2, s1
	v_mov_b32_e32 v1, s0
	;;#ASMSTART
	global_load_dwordx4 v[1:4], v[1:2] off glc dlc	
s_waitcnt vmcnt(0)
	;;#ASMEND
	v_and_b32_e32 v4, 0xff, v3
	v_cmpx_eq_u64_e32 0, v[4:5]
	s_cbranch_execz .LBB1140_8
; %bb.3:
	v_mov_b32_e32 v7, s1
	v_mov_b32_e32 v6, s0
	s_mov_b32 s1, 1
	s_mov_b32 s0, 0
	.p2align	6
.LBB1140_4:                             ; =>This Loop Header: Depth=1
                                        ;     Child Loop BB1140_5 Depth 2
	s_mov_b32 s4, s1
.LBB1140_5:                             ;   Parent Loop BB1140_4 Depth=1
                                        ; =>  This Inner Loop Header: Depth=2
	s_add_i32 s4, s4, -1
	s_sleep 1
	s_cmp_eq_u32 s4, 0
	s_cbranch_scc0 .LBB1140_5
; %bb.6:                                ;   in Loop: Header=BB1140_4 Depth=1
	;;#ASMSTART
	global_load_dwordx4 v[1:4], v[6:7] off glc dlc	
s_waitcnt vmcnt(0)
	;;#ASMEND
	v_and_b32_e32 v4, 0xff, v3
	s_cmp_lt_u32 s1, 32
	s_cselect_b32 s4, -1, 0
	s_cmp_lg_u32 s4, 0
	v_cmp_ne_u64_e32 vcc_lo, 0, v[4:5]
	s_addc_u32 s1, s1, 0
	s_or_b32 s0, vcc_lo, s0
	s_andn2_b32 exec_lo, exec_lo, s0
	s_cbranch_execnz .LBB1140_4
; %bb.7:
	s_or_b32 exec_lo, exec_lo, s0
.LBB1140_8:
	s_or_b32 exec_lo, exec_lo, s3
	v_mov_b32_e32 v3, 0
	global_store_dword v3, v1, s[12:13]
	global_store_byte v3, v2, s[12:13] offset:4
.LBB1140_9:
	s_or_b32 exec_lo, exec_lo, s2
.LBB1140_10:
	s_mov_b32 s0, exec_lo
	v_cmpx_eq_u32_e32 0, v0
	s_cbranch_execz .LBB1140_12
; %bb.11:
	v_mov_b32_e32 v1, 0
	global_store_dword v1, v1, s[14:15]
.LBB1140_12:
	s_or_b32 exec_lo, exec_lo, s0
	s_mov_b32 s0, exec_lo
	v_cmpx_gt_u32_e64 s10, v0
	s_cbranch_execz .LBB1140_14
; %bb.13:
	v_add_nc_u32_e32 v1, 32, v0
	v_mov_b32_e32 v2, 0
	v_lshlrev_b64 v[4:5], 4, v[1:2]
	v_mov_b32_e32 v1, v2
	v_mov_b32_e32 v3, v2
	v_add_co_u32 v6, vcc_lo, s8, v4
	v_add_co_ci_u32_e64 v7, null, s9, v5, vcc_lo
	v_mov_b32_e32 v4, v2
	global_store_dwordx4 v[6:7], v[1:4], off
.LBB1140_14:
	s_or_b32 exec_lo, exec_lo, s0
	s_mov_b32 s0, exec_lo
	v_cmpx_gt_u32_e32 32, v0
	s_cbranch_execz .LBB1140_16
; %bb.15:
	v_mov_b32_e32 v1, 0
	v_mov_b32_e32 v2, 0xff
	v_lshlrev_b64 v[3:4], 4, v[0:1]
	v_mov_b32_e32 v0, v1
	v_add_co_u32 v5, vcc_lo, s8, v3
	v_add_co_ci_u32_e64 v6, null, s9, v4, vcc_lo
	v_mov_b32_e32 v3, v1
	global_store_dwordx4 v[5:6], v[0:3], off
.LBB1140_16:
	s_endpgm
	.section	.rodata,"a",@progbits
	.p2align	6, 0x0
	.amdhsa_kernel _ZN7rocprim17ROCPRIM_400000_NS6detail30init_device_scan_by_key_kernelINS1_19lookback_scan_stateINS0_5tupleIJfbEEELb1ELb1EEENS1_16block_id_wrapperIjLb1EEEEEvT_jjPNS9_10value_typeET0_
		.amdhsa_group_segment_fixed_size 0
		.amdhsa_private_segment_fixed_size 0
		.amdhsa_kernarg_size 288
		.amdhsa_user_sgpr_count 6
		.amdhsa_user_sgpr_private_segment_buffer 1
		.amdhsa_user_sgpr_dispatch_ptr 0
		.amdhsa_user_sgpr_queue_ptr 0
		.amdhsa_user_sgpr_kernarg_segment_ptr 1
		.amdhsa_user_sgpr_dispatch_id 0
		.amdhsa_user_sgpr_flat_scratch_init 0
		.amdhsa_user_sgpr_private_segment_size 0
		.amdhsa_wavefront_size32 1
		.amdhsa_uses_dynamic_stack 0
		.amdhsa_system_sgpr_private_segment_wavefront_offset 0
		.amdhsa_system_sgpr_workgroup_id_x 1
		.amdhsa_system_sgpr_workgroup_id_y 0
		.amdhsa_system_sgpr_workgroup_id_z 0
		.amdhsa_system_sgpr_workgroup_info 0
		.amdhsa_system_vgpr_workitem_id 0
		.amdhsa_next_free_vgpr 8
		.amdhsa_next_free_sgpr 16
		.amdhsa_reserve_vcc 1
		.amdhsa_reserve_flat_scratch 0
		.amdhsa_float_round_mode_32 0
		.amdhsa_float_round_mode_16_64 0
		.amdhsa_float_denorm_mode_32 3
		.amdhsa_float_denorm_mode_16_64 3
		.amdhsa_dx10_clamp 1
		.amdhsa_ieee_mode 1
		.amdhsa_fp16_overflow 0
		.amdhsa_workgroup_processor_mode 1
		.amdhsa_memory_ordered 1
		.amdhsa_forward_progress 1
		.amdhsa_shared_vgpr_count 0
		.amdhsa_exception_fp_ieee_invalid_op 0
		.amdhsa_exception_fp_denorm_src 0
		.amdhsa_exception_fp_ieee_div_zero 0
		.amdhsa_exception_fp_ieee_overflow 0
		.amdhsa_exception_fp_ieee_underflow 0
		.amdhsa_exception_fp_ieee_inexact 0
		.amdhsa_exception_int_div_zero 0
	.end_amdhsa_kernel
	.section	.text._ZN7rocprim17ROCPRIM_400000_NS6detail30init_device_scan_by_key_kernelINS1_19lookback_scan_stateINS0_5tupleIJfbEEELb1ELb1EEENS1_16block_id_wrapperIjLb1EEEEEvT_jjPNS9_10value_typeET0_,"axG",@progbits,_ZN7rocprim17ROCPRIM_400000_NS6detail30init_device_scan_by_key_kernelINS1_19lookback_scan_stateINS0_5tupleIJfbEEELb1ELb1EEENS1_16block_id_wrapperIjLb1EEEEEvT_jjPNS9_10value_typeET0_,comdat
.Lfunc_end1140:
	.size	_ZN7rocprim17ROCPRIM_400000_NS6detail30init_device_scan_by_key_kernelINS1_19lookback_scan_stateINS0_5tupleIJfbEEELb1ELb1EEENS1_16block_id_wrapperIjLb1EEEEEvT_jjPNS9_10value_typeET0_, .Lfunc_end1140-_ZN7rocprim17ROCPRIM_400000_NS6detail30init_device_scan_by_key_kernelINS1_19lookback_scan_stateINS0_5tupleIJfbEEELb1ELb1EEENS1_16block_id_wrapperIjLb1EEEEEvT_jjPNS9_10value_typeET0_
                                        ; -- End function
	.set _ZN7rocprim17ROCPRIM_400000_NS6detail30init_device_scan_by_key_kernelINS1_19lookback_scan_stateINS0_5tupleIJfbEEELb1ELb1EEENS1_16block_id_wrapperIjLb1EEEEEvT_jjPNS9_10value_typeET0_.num_vgpr, 8
	.set _ZN7rocprim17ROCPRIM_400000_NS6detail30init_device_scan_by_key_kernelINS1_19lookback_scan_stateINS0_5tupleIJfbEEELb1ELb1EEENS1_16block_id_wrapperIjLb1EEEEEvT_jjPNS9_10value_typeET0_.num_agpr, 0
	.set _ZN7rocprim17ROCPRIM_400000_NS6detail30init_device_scan_by_key_kernelINS1_19lookback_scan_stateINS0_5tupleIJfbEEELb1ELb1EEENS1_16block_id_wrapperIjLb1EEEEEvT_jjPNS9_10value_typeET0_.numbered_sgpr, 16
	.set _ZN7rocprim17ROCPRIM_400000_NS6detail30init_device_scan_by_key_kernelINS1_19lookback_scan_stateINS0_5tupleIJfbEEELb1ELb1EEENS1_16block_id_wrapperIjLb1EEEEEvT_jjPNS9_10value_typeET0_.num_named_barrier, 0
	.set _ZN7rocprim17ROCPRIM_400000_NS6detail30init_device_scan_by_key_kernelINS1_19lookback_scan_stateINS0_5tupleIJfbEEELb1ELb1EEENS1_16block_id_wrapperIjLb1EEEEEvT_jjPNS9_10value_typeET0_.private_seg_size, 0
	.set _ZN7rocprim17ROCPRIM_400000_NS6detail30init_device_scan_by_key_kernelINS1_19lookback_scan_stateINS0_5tupleIJfbEEELb1ELb1EEENS1_16block_id_wrapperIjLb1EEEEEvT_jjPNS9_10value_typeET0_.uses_vcc, 1
	.set _ZN7rocprim17ROCPRIM_400000_NS6detail30init_device_scan_by_key_kernelINS1_19lookback_scan_stateINS0_5tupleIJfbEEELb1ELb1EEENS1_16block_id_wrapperIjLb1EEEEEvT_jjPNS9_10value_typeET0_.uses_flat_scratch, 0
	.set _ZN7rocprim17ROCPRIM_400000_NS6detail30init_device_scan_by_key_kernelINS1_19lookback_scan_stateINS0_5tupleIJfbEEELb1ELb1EEENS1_16block_id_wrapperIjLb1EEEEEvT_jjPNS9_10value_typeET0_.has_dyn_sized_stack, 0
	.set _ZN7rocprim17ROCPRIM_400000_NS6detail30init_device_scan_by_key_kernelINS1_19lookback_scan_stateINS0_5tupleIJfbEEELb1ELb1EEENS1_16block_id_wrapperIjLb1EEEEEvT_jjPNS9_10value_typeET0_.has_recursion, 0
	.set _ZN7rocprim17ROCPRIM_400000_NS6detail30init_device_scan_by_key_kernelINS1_19lookback_scan_stateINS0_5tupleIJfbEEELb1ELb1EEENS1_16block_id_wrapperIjLb1EEEEEvT_jjPNS9_10value_typeET0_.has_indirect_call, 0
	.section	.AMDGPU.csdata,"",@progbits
; Kernel info:
; codeLenInByte = 492
; TotalNumSgprs: 18
; NumVgprs: 8
; ScratchSize: 0
; MemoryBound: 0
; FloatMode: 240
; IeeeMode: 1
; LDSByteSize: 0 bytes/workgroup (compile time only)
; SGPRBlocks: 0
; VGPRBlocks: 0
; NumSGPRsForWavesPerEU: 18
; NumVGPRsForWavesPerEU: 8
; Occupancy: 16
; WaveLimiterHint : 0
; COMPUTE_PGM_RSRC2:SCRATCH_EN: 0
; COMPUTE_PGM_RSRC2:USER_SGPR: 6
; COMPUTE_PGM_RSRC2:TRAP_HANDLER: 0
; COMPUTE_PGM_RSRC2:TGID_X_EN: 1
; COMPUTE_PGM_RSRC2:TGID_Y_EN: 0
; COMPUTE_PGM_RSRC2:TGID_Z_EN: 0
; COMPUTE_PGM_RSRC2:TIDIG_COMP_CNT: 0
	.section	.text._ZN7rocprim17ROCPRIM_400000_NS6detail17trampoline_kernelINS0_14default_configENS1_27scan_by_key_config_selectorIifEEZZNS1_16scan_by_key_implILNS1_25lookback_scan_determinismE0ELb0ES3_N6thrust23THRUST_200600_302600_NS6detail15normal_iteratorINS9_10device_ptrIiEEEENSB_INSC_IfEEEESG_fNS9_4plusIvEENS9_8equal_toIvEEfEE10hipError_tPvRmT2_T3_T4_T5_mT6_T7_P12ihipStream_tbENKUlT_T0_E_clISt17integral_constantIbLb1EES11_EEDaSW_SX_EUlSW_E_NS1_11comp_targetILNS1_3genE0ELNS1_11target_archE4294967295ELNS1_3gpuE0ELNS1_3repE0EEENS1_30default_config_static_selectorELNS0_4arch9wavefront6targetE0EEEvT1_,"axG",@progbits,_ZN7rocprim17ROCPRIM_400000_NS6detail17trampoline_kernelINS0_14default_configENS1_27scan_by_key_config_selectorIifEEZZNS1_16scan_by_key_implILNS1_25lookback_scan_determinismE0ELb0ES3_N6thrust23THRUST_200600_302600_NS6detail15normal_iteratorINS9_10device_ptrIiEEEENSB_INSC_IfEEEESG_fNS9_4plusIvEENS9_8equal_toIvEEfEE10hipError_tPvRmT2_T3_T4_T5_mT6_T7_P12ihipStream_tbENKUlT_T0_E_clISt17integral_constantIbLb1EES11_EEDaSW_SX_EUlSW_E_NS1_11comp_targetILNS1_3genE0ELNS1_11target_archE4294967295ELNS1_3gpuE0ELNS1_3repE0EEENS1_30default_config_static_selectorELNS0_4arch9wavefront6targetE0EEEvT1_,comdat
	.protected	_ZN7rocprim17ROCPRIM_400000_NS6detail17trampoline_kernelINS0_14default_configENS1_27scan_by_key_config_selectorIifEEZZNS1_16scan_by_key_implILNS1_25lookback_scan_determinismE0ELb0ES3_N6thrust23THRUST_200600_302600_NS6detail15normal_iteratorINS9_10device_ptrIiEEEENSB_INSC_IfEEEESG_fNS9_4plusIvEENS9_8equal_toIvEEfEE10hipError_tPvRmT2_T3_T4_T5_mT6_T7_P12ihipStream_tbENKUlT_T0_E_clISt17integral_constantIbLb1EES11_EEDaSW_SX_EUlSW_E_NS1_11comp_targetILNS1_3genE0ELNS1_11target_archE4294967295ELNS1_3gpuE0ELNS1_3repE0EEENS1_30default_config_static_selectorELNS0_4arch9wavefront6targetE0EEEvT1_ ; -- Begin function _ZN7rocprim17ROCPRIM_400000_NS6detail17trampoline_kernelINS0_14default_configENS1_27scan_by_key_config_selectorIifEEZZNS1_16scan_by_key_implILNS1_25lookback_scan_determinismE0ELb0ES3_N6thrust23THRUST_200600_302600_NS6detail15normal_iteratorINS9_10device_ptrIiEEEENSB_INSC_IfEEEESG_fNS9_4plusIvEENS9_8equal_toIvEEfEE10hipError_tPvRmT2_T3_T4_T5_mT6_T7_P12ihipStream_tbENKUlT_T0_E_clISt17integral_constantIbLb1EES11_EEDaSW_SX_EUlSW_E_NS1_11comp_targetILNS1_3genE0ELNS1_11target_archE4294967295ELNS1_3gpuE0ELNS1_3repE0EEENS1_30default_config_static_selectorELNS0_4arch9wavefront6targetE0EEEvT1_
	.globl	_ZN7rocprim17ROCPRIM_400000_NS6detail17trampoline_kernelINS0_14default_configENS1_27scan_by_key_config_selectorIifEEZZNS1_16scan_by_key_implILNS1_25lookback_scan_determinismE0ELb0ES3_N6thrust23THRUST_200600_302600_NS6detail15normal_iteratorINS9_10device_ptrIiEEEENSB_INSC_IfEEEESG_fNS9_4plusIvEENS9_8equal_toIvEEfEE10hipError_tPvRmT2_T3_T4_T5_mT6_T7_P12ihipStream_tbENKUlT_T0_E_clISt17integral_constantIbLb1EES11_EEDaSW_SX_EUlSW_E_NS1_11comp_targetILNS1_3genE0ELNS1_11target_archE4294967295ELNS1_3gpuE0ELNS1_3repE0EEENS1_30default_config_static_selectorELNS0_4arch9wavefront6targetE0EEEvT1_
	.p2align	8
	.type	_ZN7rocprim17ROCPRIM_400000_NS6detail17trampoline_kernelINS0_14default_configENS1_27scan_by_key_config_selectorIifEEZZNS1_16scan_by_key_implILNS1_25lookback_scan_determinismE0ELb0ES3_N6thrust23THRUST_200600_302600_NS6detail15normal_iteratorINS9_10device_ptrIiEEEENSB_INSC_IfEEEESG_fNS9_4plusIvEENS9_8equal_toIvEEfEE10hipError_tPvRmT2_T3_T4_T5_mT6_T7_P12ihipStream_tbENKUlT_T0_E_clISt17integral_constantIbLb1EES11_EEDaSW_SX_EUlSW_E_NS1_11comp_targetILNS1_3genE0ELNS1_11target_archE4294967295ELNS1_3gpuE0ELNS1_3repE0EEENS1_30default_config_static_selectorELNS0_4arch9wavefront6targetE0EEEvT1_,@function
_ZN7rocprim17ROCPRIM_400000_NS6detail17trampoline_kernelINS0_14default_configENS1_27scan_by_key_config_selectorIifEEZZNS1_16scan_by_key_implILNS1_25lookback_scan_determinismE0ELb0ES3_N6thrust23THRUST_200600_302600_NS6detail15normal_iteratorINS9_10device_ptrIiEEEENSB_INSC_IfEEEESG_fNS9_4plusIvEENS9_8equal_toIvEEfEE10hipError_tPvRmT2_T3_T4_T5_mT6_T7_P12ihipStream_tbENKUlT_T0_E_clISt17integral_constantIbLb1EES11_EEDaSW_SX_EUlSW_E_NS1_11comp_targetILNS1_3genE0ELNS1_11target_archE4294967295ELNS1_3gpuE0ELNS1_3repE0EEENS1_30default_config_static_selectorELNS0_4arch9wavefront6targetE0EEEvT1_: ; @_ZN7rocprim17ROCPRIM_400000_NS6detail17trampoline_kernelINS0_14default_configENS1_27scan_by_key_config_selectorIifEEZZNS1_16scan_by_key_implILNS1_25lookback_scan_determinismE0ELb0ES3_N6thrust23THRUST_200600_302600_NS6detail15normal_iteratorINS9_10device_ptrIiEEEENSB_INSC_IfEEEESG_fNS9_4plusIvEENS9_8equal_toIvEEfEE10hipError_tPvRmT2_T3_T4_T5_mT6_T7_P12ihipStream_tbENKUlT_T0_E_clISt17integral_constantIbLb1EES11_EEDaSW_SX_EUlSW_E_NS1_11comp_targetILNS1_3genE0ELNS1_11target_archE4294967295ELNS1_3gpuE0ELNS1_3repE0EEENS1_30default_config_static_selectorELNS0_4arch9wavefront6targetE0EEEvT1_
; %bb.0:
	.section	.rodata,"a",@progbits
	.p2align	6, 0x0
	.amdhsa_kernel _ZN7rocprim17ROCPRIM_400000_NS6detail17trampoline_kernelINS0_14default_configENS1_27scan_by_key_config_selectorIifEEZZNS1_16scan_by_key_implILNS1_25lookback_scan_determinismE0ELb0ES3_N6thrust23THRUST_200600_302600_NS6detail15normal_iteratorINS9_10device_ptrIiEEEENSB_INSC_IfEEEESG_fNS9_4plusIvEENS9_8equal_toIvEEfEE10hipError_tPvRmT2_T3_T4_T5_mT6_T7_P12ihipStream_tbENKUlT_T0_E_clISt17integral_constantIbLb1EES11_EEDaSW_SX_EUlSW_E_NS1_11comp_targetILNS1_3genE0ELNS1_11target_archE4294967295ELNS1_3gpuE0ELNS1_3repE0EEENS1_30default_config_static_selectorELNS0_4arch9wavefront6targetE0EEEvT1_
		.amdhsa_group_segment_fixed_size 0
		.amdhsa_private_segment_fixed_size 0
		.amdhsa_kernarg_size 112
		.amdhsa_user_sgpr_count 6
		.amdhsa_user_sgpr_private_segment_buffer 1
		.amdhsa_user_sgpr_dispatch_ptr 0
		.amdhsa_user_sgpr_queue_ptr 0
		.amdhsa_user_sgpr_kernarg_segment_ptr 1
		.amdhsa_user_sgpr_dispatch_id 0
		.amdhsa_user_sgpr_flat_scratch_init 0
		.amdhsa_user_sgpr_private_segment_size 0
		.amdhsa_wavefront_size32 1
		.amdhsa_uses_dynamic_stack 0
		.amdhsa_system_sgpr_private_segment_wavefront_offset 0
		.amdhsa_system_sgpr_workgroup_id_x 1
		.amdhsa_system_sgpr_workgroup_id_y 0
		.amdhsa_system_sgpr_workgroup_id_z 0
		.amdhsa_system_sgpr_workgroup_info 0
		.amdhsa_system_vgpr_workitem_id 0
		.amdhsa_next_free_vgpr 1
		.amdhsa_next_free_sgpr 1
		.amdhsa_reserve_vcc 0
		.amdhsa_reserve_flat_scratch 0
		.amdhsa_float_round_mode_32 0
		.amdhsa_float_round_mode_16_64 0
		.amdhsa_float_denorm_mode_32 3
		.amdhsa_float_denorm_mode_16_64 3
		.amdhsa_dx10_clamp 1
		.amdhsa_ieee_mode 1
		.amdhsa_fp16_overflow 0
		.amdhsa_workgroup_processor_mode 1
		.amdhsa_memory_ordered 1
		.amdhsa_forward_progress 1
		.amdhsa_shared_vgpr_count 0
		.amdhsa_exception_fp_ieee_invalid_op 0
		.amdhsa_exception_fp_denorm_src 0
		.amdhsa_exception_fp_ieee_div_zero 0
		.amdhsa_exception_fp_ieee_overflow 0
		.amdhsa_exception_fp_ieee_underflow 0
		.amdhsa_exception_fp_ieee_inexact 0
		.amdhsa_exception_int_div_zero 0
	.end_amdhsa_kernel
	.section	.text._ZN7rocprim17ROCPRIM_400000_NS6detail17trampoline_kernelINS0_14default_configENS1_27scan_by_key_config_selectorIifEEZZNS1_16scan_by_key_implILNS1_25lookback_scan_determinismE0ELb0ES3_N6thrust23THRUST_200600_302600_NS6detail15normal_iteratorINS9_10device_ptrIiEEEENSB_INSC_IfEEEESG_fNS9_4plusIvEENS9_8equal_toIvEEfEE10hipError_tPvRmT2_T3_T4_T5_mT6_T7_P12ihipStream_tbENKUlT_T0_E_clISt17integral_constantIbLb1EES11_EEDaSW_SX_EUlSW_E_NS1_11comp_targetILNS1_3genE0ELNS1_11target_archE4294967295ELNS1_3gpuE0ELNS1_3repE0EEENS1_30default_config_static_selectorELNS0_4arch9wavefront6targetE0EEEvT1_,"axG",@progbits,_ZN7rocprim17ROCPRIM_400000_NS6detail17trampoline_kernelINS0_14default_configENS1_27scan_by_key_config_selectorIifEEZZNS1_16scan_by_key_implILNS1_25lookback_scan_determinismE0ELb0ES3_N6thrust23THRUST_200600_302600_NS6detail15normal_iteratorINS9_10device_ptrIiEEEENSB_INSC_IfEEEESG_fNS9_4plusIvEENS9_8equal_toIvEEfEE10hipError_tPvRmT2_T3_T4_T5_mT6_T7_P12ihipStream_tbENKUlT_T0_E_clISt17integral_constantIbLb1EES11_EEDaSW_SX_EUlSW_E_NS1_11comp_targetILNS1_3genE0ELNS1_11target_archE4294967295ELNS1_3gpuE0ELNS1_3repE0EEENS1_30default_config_static_selectorELNS0_4arch9wavefront6targetE0EEEvT1_,comdat
.Lfunc_end1141:
	.size	_ZN7rocprim17ROCPRIM_400000_NS6detail17trampoline_kernelINS0_14default_configENS1_27scan_by_key_config_selectorIifEEZZNS1_16scan_by_key_implILNS1_25lookback_scan_determinismE0ELb0ES3_N6thrust23THRUST_200600_302600_NS6detail15normal_iteratorINS9_10device_ptrIiEEEENSB_INSC_IfEEEESG_fNS9_4plusIvEENS9_8equal_toIvEEfEE10hipError_tPvRmT2_T3_T4_T5_mT6_T7_P12ihipStream_tbENKUlT_T0_E_clISt17integral_constantIbLb1EES11_EEDaSW_SX_EUlSW_E_NS1_11comp_targetILNS1_3genE0ELNS1_11target_archE4294967295ELNS1_3gpuE0ELNS1_3repE0EEENS1_30default_config_static_selectorELNS0_4arch9wavefront6targetE0EEEvT1_, .Lfunc_end1141-_ZN7rocprim17ROCPRIM_400000_NS6detail17trampoline_kernelINS0_14default_configENS1_27scan_by_key_config_selectorIifEEZZNS1_16scan_by_key_implILNS1_25lookback_scan_determinismE0ELb0ES3_N6thrust23THRUST_200600_302600_NS6detail15normal_iteratorINS9_10device_ptrIiEEEENSB_INSC_IfEEEESG_fNS9_4plusIvEENS9_8equal_toIvEEfEE10hipError_tPvRmT2_T3_T4_T5_mT6_T7_P12ihipStream_tbENKUlT_T0_E_clISt17integral_constantIbLb1EES11_EEDaSW_SX_EUlSW_E_NS1_11comp_targetILNS1_3genE0ELNS1_11target_archE4294967295ELNS1_3gpuE0ELNS1_3repE0EEENS1_30default_config_static_selectorELNS0_4arch9wavefront6targetE0EEEvT1_
                                        ; -- End function
	.set _ZN7rocprim17ROCPRIM_400000_NS6detail17trampoline_kernelINS0_14default_configENS1_27scan_by_key_config_selectorIifEEZZNS1_16scan_by_key_implILNS1_25lookback_scan_determinismE0ELb0ES3_N6thrust23THRUST_200600_302600_NS6detail15normal_iteratorINS9_10device_ptrIiEEEENSB_INSC_IfEEEESG_fNS9_4plusIvEENS9_8equal_toIvEEfEE10hipError_tPvRmT2_T3_T4_T5_mT6_T7_P12ihipStream_tbENKUlT_T0_E_clISt17integral_constantIbLb1EES11_EEDaSW_SX_EUlSW_E_NS1_11comp_targetILNS1_3genE0ELNS1_11target_archE4294967295ELNS1_3gpuE0ELNS1_3repE0EEENS1_30default_config_static_selectorELNS0_4arch9wavefront6targetE0EEEvT1_.num_vgpr, 0
	.set _ZN7rocprim17ROCPRIM_400000_NS6detail17trampoline_kernelINS0_14default_configENS1_27scan_by_key_config_selectorIifEEZZNS1_16scan_by_key_implILNS1_25lookback_scan_determinismE0ELb0ES3_N6thrust23THRUST_200600_302600_NS6detail15normal_iteratorINS9_10device_ptrIiEEEENSB_INSC_IfEEEESG_fNS9_4plusIvEENS9_8equal_toIvEEfEE10hipError_tPvRmT2_T3_T4_T5_mT6_T7_P12ihipStream_tbENKUlT_T0_E_clISt17integral_constantIbLb1EES11_EEDaSW_SX_EUlSW_E_NS1_11comp_targetILNS1_3genE0ELNS1_11target_archE4294967295ELNS1_3gpuE0ELNS1_3repE0EEENS1_30default_config_static_selectorELNS0_4arch9wavefront6targetE0EEEvT1_.num_agpr, 0
	.set _ZN7rocprim17ROCPRIM_400000_NS6detail17trampoline_kernelINS0_14default_configENS1_27scan_by_key_config_selectorIifEEZZNS1_16scan_by_key_implILNS1_25lookback_scan_determinismE0ELb0ES3_N6thrust23THRUST_200600_302600_NS6detail15normal_iteratorINS9_10device_ptrIiEEEENSB_INSC_IfEEEESG_fNS9_4plusIvEENS9_8equal_toIvEEfEE10hipError_tPvRmT2_T3_T4_T5_mT6_T7_P12ihipStream_tbENKUlT_T0_E_clISt17integral_constantIbLb1EES11_EEDaSW_SX_EUlSW_E_NS1_11comp_targetILNS1_3genE0ELNS1_11target_archE4294967295ELNS1_3gpuE0ELNS1_3repE0EEENS1_30default_config_static_selectorELNS0_4arch9wavefront6targetE0EEEvT1_.numbered_sgpr, 0
	.set _ZN7rocprim17ROCPRIM_400000_NS6detail17trampoline_kernelINS0_14default_configENS1_27scan_by_key_config_selectorIifEEZZNS1_16scan_by_key_implILNS1_25lookback_scan_determinismE0ELb0ES3_N6thrust23THRUST_200600_302600_NS6detail15normal_iteratorINS9_10device_ptrIiEEEENSB_INSC_IfEEEESG_fNS9_4plusIvEENS9_8equal_toIvEEfEE10hipError_tPvRmT2_T3_T4_T5_mT6_T7_P12ihipStream_tbENKUlT_T0_E_clISt17integral_constantIbLb1EES11_EEDaSW_SX_EUlSW_E_NS1_11comp_targetILNS1_3genE0ELNS1_11target_archE4294967295ELNS1_3gpuE0ELNS1_3repE0EEENS1_30default_config_static_selectorELNS0_4arch9wavefront6targetE0EEEvT1_.num_named_barrier, 0
	.set _ZN7rocprim17ROCPRIM_400000_NS6detail17trampoline_kernelINS0_14default_configENS1_27scan_by_key_config_selectorIifEEZZNS1_16scan_by_key_implILNS1_25lookback_scan_determinismE0ELb0ES3_N6thrust23THRUST_200600_302600_NS6detail15normal_iteratorINS9_10device_ptrIiEEEENSB_INSC_IfEEEESG_fNS9_4plusIvEENS9_8equal_toIvEEfEE10hipError_tPvRmT2_T3_T4_T5_mT6_T7_P12ihipStream_tbENKUlT_T0_E_clISt17integral_constantIbLb1EES11_EEDaSW_SX_EUlSW_E_NS1_11comp_targetILNS1_3genE0ELNS1_11target_archE4294967295ELNS1_3gpuE0ELNS1_3repE0EEENS1_30default_config_static_selectorELNS0_4arch9wavefront6targetE0EEEvT1_.private_seg_size, 0
	.set _ZN7rocprim17ROCPRIM_400000_NS6detail17trampoline_kernelINS0_14default_configENS1_27scan_by_key_config_selectorIifEEZZNS1_16scan_by_key_implILNS1_25lookback_scan_determinismE0ELb0ES3_N6thrust23THRUST_200600_302600_NS6detail15normal_iteratorINS9_10device_ptrIiEEEENSB_INSC_IfEEEESG_fNS9_4plusIvEENS9_8equal_toIvEEfEE10hipError_tPvRmT2_T3_T4_T5_mT6_T7_P12ihipStream_tbENKUlT_T0_E_clISt17integral_constantIbLb1EES11_EEDaSW_SX_EUlSW_E_NS1_11comp_targetILNS1_3genE0ELNS1_11target_archE4294967295ELNS1_3gpuE0ELNS1_3repE0EEENS1_30default_config_static_selectorELNS0_4arch9wavefront6targetE0EEEvT1_.uses_vcc, 0
	.set _ZN7rocprim17ROCPRIM_400000_NS6detail17trampoline_kernelINS0_14default_configENS1_27scan_by_key_config_selectorIifEEZZNS1_16scan_by_key_implILNS1_25lookback_scan_determinismE0ELb0ES3_N6thrust23THRUST_200600_302600_NS6detail15normal_iteratorINS9_10device_ptrIiEEEENSB_INSC_IfEEEESG_fNS9_4plusIvEENS9_8equal_toIvEEfEE10hipError_tPvRmT2_T3_T4_T5_mT6_T7_P12ihipStream_tbENKUlT_T0_E_clISt17integral_constantIbLb1EES11_EEDaSW_SX_EUlSW_E_NS1_11comp_targetILNS1_3genE0ELNS1_11target_archE4294967295ELNS1_3gpuE0ELNS1_3repE0EEENS1_30default_config_static_selectorELNS0_4arch9wavefront6targetE0EEEvT1_.uses_flat_scratch, 0
	.set _ZN7rocprim17ROCPRIM_400000_NS6detail17trampoline_kernelINS0_14default_configENS1_27scan_by_key_config_selectorIifEEZZNS1_16scan_by_key_implILNS1_25lookback_scan_determinismE0ELb0ES3_N6thrust23THRUST_200600_302600_NS6detail15normal_iteratorINS9_10device_ptrIiEEEENSB_INSC_IfEEEESG_fNS9_4plusIvEENS9_8equal_toIvEEfEE10hipError_tPvRmT2_T3_T4_T5_mT6_T7_P12ihipStream_tbENKUlT_T0_E_clISt17integral_constantIbLb1EES11_EEDaSW_SX_EUlSW_E_NS1_11comp_targetILNS1_3genE0ELNS1_11target_archE4294967295ELNS1_3gpuE0ELNS1_3repE0EEENS1_30default_config_static_selectorELNS0_4arch9wavefront6targetE0EEEvT1_.has_dyn_sized_stack, 0
	.set _ZN7rocprim17ROCPRIM_400000_NS6detail17trampoline_kernelINS0_14default_configENS1_27scan_by_key_config_selectorIifEEZZNS1_16scan_by_key_implILNS1_25lookback_scan_determinismE0ELb0ES3_N6thrust23THRUST_200600_302600_NS6detail15normal_iteratorINS9_10device_ptrIiEEEENSB_INSC_IfEEEESG_fNS9_4plusIvEENS9_8equal_toIvEEfEE10hipError_tPvRmT2_T3_T4_T5_mT6_T7_P12ihipStream_tbENKUlT_T0_E_clISt17integral_constantIbLb1EES11_EEDaSW_SX_EUlSW_E_NS1_11comp_targetILNS1_3genE0ELNS1_11target_archE4294967295ELNS1_3gpuE0ELNS1_3repE0EEENS1_30default_config_static_selectorELNS0_4arch9wavefront6targetE0EEEvT1_.has_recursion, 0
	.set _ZN7rocprim17ROCPRIM_400000_NS6detail17trampoline_kernelINS0_14default_configENS1_27scan_by_key_config_selectorIifEEZZNS1_16scan_by_key_implILNS1_25lookback_scan_determinismE0ELb0ES3_N6thrust23THRUST_200600_302600_NS6detail15normal_iteratorINS9_10device_ptrIiEEEENSB_INSC_IfEEEESG_fNS9_4plusIvEENS9_8equal_toIvEEfEE10hipError_tPvRmT2_T3_T4_T5_mT6_T7_P12ihipStream_tbENKUlT_T0_E_clISt17integral_constantIbLb1EES11_EEDaSW_SX_EUlSW_E_NS1_11comp_targetILNS1_3genE0ELNS1_11target_archE4294967295ELNS1_3gpuE0ELNS1_3repE0EEENS1_30default_config_static_selectorELNS0_4arch9wavefront6targetE0EEEvT1_.has_indirect_call, 0
	.section	.AMDGPU.csdata,"",@progbits
; Kernel info:
; codeLenInByte = 0
; TotalNumSgprs: 0
; NumVgprs: 0
; ScratchSize: 0
; MemoryBound: 0
; FloatMode: 240
; IeeeMode: 1
; LDSByteSize: 0 bytes/workgroup (compile time only)
; SGPRBlocks: 0
; VGPRBlocks: 0
; NumSGPRsForWavesPerEU: 1
; NumVGPRsForWavesPerEU: 1
; Occupancy: 16
; WaveLimiterHint : 0
; COMPUTE_PGM_RSRC2:SCRATCH_EN: 0
; COMPUTE_PGM_RSRC2:USER_SGPR: 6
; COMPUTE_PGM_RSRC2:TRAP_HANDLER: 0
; COMPUTE_PGM_RSRC2:TGID_X_EN: 1
; COMPUTE_PGM_RSRC2:TGID_Y_EN: 0
; COMPUTE_PGM_RSRC2:TGID_Z_EN: 0
; COMPUTE_PGM_RSRC2:TIDIG_COMP_CNT: 0
	.section	.text._ZN7rocprim17ROCPRIM_400000_NS6detail17trampoline_kernelINS0_14default_configENS1_27scan_by_key_config_selectorIifEEZZNS1_16scan_by_key_implILNS1_25lookback_scan_determinismE0ELb0ES3_N6thrust23THRUST_200600_302600_NS6detail15normal_iteratorINS9_10device_ptrIiEEEENSB_INSC_IfEEEESG_fNS9_4plusIvEENS9_8equal_toIvEEfEE10hipError_tPvRmT2_T3_T4_T5_mT6_T7_P12ihipStream_tbENKUlT_T0_E_clISt17integral_constantIbLb1EES11_EEDaSW_SX_EUlSW_E_NS1_11comp_targetILNS1_3genE10ELNS1_11target_archE1201ELNS1_3gpuE5ELNS1_3repE0EEENS1_30default_config_static_selectorELNS0_4arch9wavefront6targetE0EEEvT1_,"axG",@progbits,_ZN7rocprim17ROCPRIM_400000_NS6detail17trampoline_kernelINS0_14default_configENS1_27scan_by_key_config_selectorIifEEZZNS1_16scan_by_key_implILNS1_25lookback_scan_determinismE0ELb0ES3_N6thrust23THRUST_200600_302600_NS6detail15normal_iteratorINS9_10device_ptrIiEEEENSB_INSC_IfEEEESG_fNS9_4plusIvEENS9_8equal_toIvEEfEE10hipError_tPvRmT2_T3_T4_T5_mT6_T7_P12ihipStream_tbENKUlT_T0_E_clISt17integral_constantIbLb1EES11_EEDaSW_SX_EUlSW_E_NS1_11comp_targetILNS1_3genE10ELNS1_11target_archE1201ELNS1_3gpuE5ELNS1_3repE0EEENS1_30default_config_static_selectorELNS0_4arch9wavefront6targetE0EEEvT1_,comdat
	.protected	_ZN7rocprim17ROCPRIM_400000_NS6detail17trampoline_kernelINS0_14default_configENS1_27scan_by_key_config_selectorIifEEZZNS1_16scan_by_key_implILNS1_25lookback_scan_determinismE0ELb0ES3_N6thrust23THRUST_200600_302600_NS6detail15normal_iteratorINS9_10device_ptrIiEEEENSB_INSC_IfEEEESG_fNS9_4plusIvEENS9_8equal_toIvEEfEE10hipError_tPvRmT2_T3_T4_T5_mT6_T7_P12ihipStream_tbENKUlT_T0_E_clISt17integral_constantIbLb1EES11_EEDaSW_SX_EUlSW_E_NS1_11comp_targetILNS1_3genE10ELNS1_11target_archE1201ELNS1_3gpuE5ELNS1_3repE0EEENS1_30default_config_static_selectorELNS0_4arch9wavefront6targetE0EEEvT1_ ; -- Begin function _ZN7rocprim17ROCPRIM_400000_NS6detail17trampoline_kernelINS0_14default_configENS1_27scan_by_key_config_selectorIifEEZZNS1_16scan_by_key_implILNS1_25lookback_scan_determinismE0ELb0ES3_N6thrust23THRUST_200600_302600_NS6detail15normal_iteratorINS9_10device_ptrIiEEEENSB_INSC_IfEEEESG_fNS9_4plusIvEENS9_8equal_toIvEEfEE10hipError_tPvRmT2_T3_T4_T5_mT6_T7_P12ihipStream_tbENKUlT_T0_E_clISt17integral_constantIbLb1EES11_EEDaSW_SX_EUlSW_E_NS1_11comp_targetILNS1_3genE10ELNS1_11target_archE1201ELNS1_3gpuE5ELNS1_3repE0EEENS1_30default_config_static_selectorELNS0_4arch9wavefront6targetE0EEEvT1_
	.globl	_ZN7rocprim17ROCPRIM_400000_NS6detail17trampoline_kernelINS0_14default_configENS1_27scan_by_key_config_selectorIifEEZZNS1_16scan_by_key_implILNS1_25lookback_scan_determinismE0ELb0ES3_N6thrust23THRUST_200600_302600_NS6detail15normal_iteratorINS9_10device_ptrIiEEEENSB_INSC_IfEEEESG_fNS9_4plusIvEENS9_8equal_toIvEEfEE10hipError_tPvRmT2_T3_T4_T5_mT6_T7_P12ihipStream_tbENKUlT_T0_E_clISt17integral_constantIbLb1EES11_EEDaSW_SX_EUlSW_E_NS1_11comp_targetILNS1_3genE10ELNS1_11target_archE1201ELNS1_3gpuE5ELNS1_3repE0EEENS1_30default_config_static_selectorELNS0_4arch9wavefront6targetE0EEEvT1_
	.p2align	8
	.type	_ZN7rocprim17ROCPRIM_400000_NS6detail17trampoline_kernelINS0_14default_configENS1_27scan_by_key_config_selectorIifEEZZNS1_16scan_by_key_implILNS1_25lookback_scan_determinismE0ELb0ES3_N6thrust23THRUST_200600_302600_NS6detail15normal_iteratorINS9_10device_ptrIiEEEENSB_INSC_IfEEEESG_fNS9_4plusIvEENS9_8equal_toIvEEfEE10hipError_tPvRmT2_T3_T4_T5_mT6_T7_P12ihipStream_tbENKUlT_T0_E_clISt17integral_constantIbLb1EES11_EEDaSW_SX_EUlSW_E_NS1_11comp_targetILNS1_3genE10ELNS1_11target_archE1201ELNS1_3gpuE5ELNS1_3repE0EEENS1_30default_config_static_selectorELNS0_4arch9wavefront6targetE0EEEvT1_,@function
_ZN7rocprim17ROCPRIM_400000_NS6detail17trampoline_kernelINS0_14default_configENS1_27scan_by_key_config_selectorIifEEZZNS1_16scan_by_key_implILNS1_25lookback_scan_determinismE0ELb0ES3_N6thrust23THRUST_200600_302600_NS6detail15normal_iteratorINS9_10device_ptrIiEEEENSB_INSC_IfEEEESG_fNS9_4plusIvEENS9_8equal_toIvEEfEE10hipError_tPvRmT2_T3_T4_T5_mT6_T7_P12ihipStream_tbENKUlT_T0_E_clISt17integral_constantIbLb1EES11_EEDaSW_SX_EUlSW_E_NS1_11comp_targetILNS1_3genE10ELNS1_11target_archE1201ELNS1_3gpuE5ELNS1_3repE0EEENS1_30default_config_static_selectorELNS0_4arch9wavefront6targetE0EEEvT1_: ; @_ZN7rocprim17ROCPRIM_400000_NS6detail17trampoline_kernelINS0_14default_configENS1_27scan_by_key_config_selectorIifEEZZNS1_16scan_by_key_implILNS1_25lookback_scan_determinismE0ELb0ES3_N6thrust23THRUST_200600_302600_NS6detail15normal_iteratorINS9_10device_ptrIiEEEENSB_INSC_IfEEEESG_fNS9_4plusIvEENS9_8equal_toIvEEfEE10hipError_tPvRmT2_T3_T4_T5_mT6_T7_P12ihipStream_tbENKUlT_T0_E_clISt17integral_constantIbLb1EES11_EEDaSW_SX_EUlSW_E_NS1_11comp_targetILNS1_3genE10ELNS1_11target_archE1201ELNS1_3gpuE5ELNS1_3repE0EEENS1_30default_config_static_selectorELNS0_4arch9wavefront6targetE0EEEvT1_
; %bb.0:
	.section	.rodata,"a",@progbits
	.p2align	6, 0x0
	.amdhsa_kernel _ZN7rocprim17ROCPRIM_400000_NS6detail17trampoline_kernelINS0_14default_configENS1_27scan_by_key_config_selectorIifEEZZNS1_16scan_by_key_implILNS1_25lookback_scan_determinismE0ELb0ES3_N6thrust23THRUST_200600_302600_NS6detail15normal_iteratorINS9_10device_ptrIiEEEENSB_INSC_IfEEEESG_fNS9_4plusIvEENS9_8equal_toIvEEfEE10hipError_tPvRmT2_T3_T4_T5_mT6_T7_P12ihipStream_tbENKUlT_T0_E_clISt17integral_constantIbLb1EES11_EEDaSW_SX_EUlSW_E_NS1_11comp_targetILNS1_3genE10ELNS1_11target_archE1201ELNS1_3gpuE5ELNS1_3repE0EEENS1_30default_config_static_selectorELNS0_4arch9wavefront6targetE0EEEvT1_
		.amdhsa_group_segment_fixed_size 0
		.amdhsa_private_segment_fixed_size 0
		.amdhsa_kernarg_size 112
		.amdhsa_user_sgpr_count 6
		.amdhsa_user_sgpr_private_segment_buffer 1
		.amdhsa_user_sgpr_dispatch_ptr 0
		.amdhsa_user_sgpr_queue_ptr 0
		.amdhsa_user_sgpr_kernarg_segment_ptr 1
		.amdhsa_user_sgpr_dispatch_id 0
		.amdhsa_user_sgpr_flat_scratch_init 0
		.amdhsa_user_sgpr_private_segment_size 0
		.amdhsa_wavefront_size32 1
		.amdhsa_uses_dynamic_stack 0
		.amdhsa_system_sgpr_private_segment_wavefront_offset 0
		.amdhsa_system_sgpr_workgroup_id_x 1
		.amdhsa_system_sgpr_workgroup_id_y 0
		.amdhsa_system_sgpr_workgroup_id_z 0
		.amdhsa_system_sgpr_workgroup_info 0
		.amdhsa_system_vgpr_workitem_id 0
		.amdhsa_next_free_vgpr 1
		.amdhsa_next_free_sgpr 1
		.amdhsa_reserve_vcc 0
		.amdhsa_reserve_flat_scratch 0
		.amdhsa_float_round_mode_32 0
		.amdhsa_float_round_mode_16_64 0
		.amdhsa_float_denorm_mode_32 3
		.amdhsa_float_denorm_mode_16_64 3
		.amdhsa_dx10_clamp 1
		.amdhsa_ieee_mode 1
		.amdhsa_fp16_overflow 0
		.amdhsa_workgroup_processor_mode 1
		.amdhsa_memory_ordered 1
		.amdhsa_forward_progress 1
		.amdhsa_shared_vgpr_count 0
		.amdhsa_exception_fp_ieee_invalid_op 0
		.amdhsa_exception_fp_denorm_src 0
		.amdhsa_exception_fp_ieee_div_zero 0
		.amdhsa_exception_fp_ieee_overflow 0
		.amdhsa_exception_fp_ieee_underflow 0
		.amdhsa_exception_fp_ieee_inexact 0
		.amdhsa_exception_int_div_zero 0
	.end_amdhsa_kernel
	.section	.text._ZN7rocprim17ROCPRIM_400000_NS6detail17trampoline_kernelINS0_14default_configENS1_27scan_by_key_config_selectorIifEEZZNS1_16scan_by_key_implILNS1_25lookback_scan_determinismE0ELb0ES3_N6thrust23THRUST_200600_302600_NS6detail15normal_iteratorINS9_10device_ptrIiEEEENSB_INSC_IfEEEESG_fNS9_4plusIvEENS9_8equal_toIvEEfEE10hipError_tPvRmT2_T3_T4_T5_mT6_T7_P12ihipStream_tbENKUlT_T0_E_clISt17integral_constantIbLb1EES11_EEDaSW_SX_EUlSW_E_NS1_11comp_targetILNS1_3genE10ELNS1_11target_archE1201ELNS1_3gpuE5ELNS1_3repE0EEENS1_30default_config_static_selectorELNS0_4arch9wavefront6targetE0EEEvT1_,"axG",@progbits,_ZN7rocprim17ROCPRIM_400000_NS6detail17trampoline_kernelINS0_14default_configENS1_27scan_by_key_config_selectorIifEEZZNS1_16scan_by_key_implILNS1_25lookback_scan_determinismE0ELb0ES3_N6thrust23THRUST_200600_302600_NS6detail15normal_iteratorINS9_10device_ptrIiEEEENSB_INSC_IfEEEESG_fNS9_4plusIvEENS9_8equal_toIvEEfEE10hipError_tPvRmT2_T3_T4_T5_mT6_T7_P12ihipStream_tbENKUlT_T0_E_clISt17integral_constantIbLb1EES11_EEDaSW_SX_EUlSW_E_NS1_11comp_targetILNS1_3genE10ELNS1_11target_archE1201ELNS1_3gpuE5ELNS1_3repE0EEENS1_30default_config_static_selectorELNS0_4arch9wavefront6targetE0EEEvT1_,comdat
.Lfunc_end1142:
	.size	_ZN7rocprim17ROCPRIM_400000_NS6detail17trampoline_kernelINS0_14default_configENS1_27scan_by_key_config_selectorIifEEZZNS1_16scan_by_key_implILNS1_25lookback_scan_determinismE0ELb0ES3_N6thrust23THRUST_200600_302600_NS6detail15normal_iteratorINS9_10device_ptrIiEEEENSB_INSC_IfEEEESG_fNS9_4plusIvEENS9_8equal_toIvEEfEE10hipError_tPvRmT2_T3_T4_T5_mT6_T7_P12ihipStream_tbENKUlT_T0_E_clISt17integral_constantIbLb1EES11_EEDaSW_SX_EUlSW_E_NS1_11comp_targetILNS1_3genE10ELNS1_11target_archE1201ELNS1_3gpuE5ELNS1_3repE0EEENS1_30default_config_static_selectorELNS0_4arch9wavefront6targetE0EEEvT1_, .Lfunc_end1142-_ZN7rocprim17ROCPRIM_400000_NS6detail17trampoline_kernelINS0_14default_configENS1_27scan_by_key_config_selectorIifEEZZNS1_16scan_by_key_implILNS1_25lookback_scan_determinismE0ELb0ES3_N6thrust23THRUST_200600_302600_NS6detail15normal_iteratorINS9_10device_ptrIiEEEENSB_INSC_IfEEEESG_fNS9_4plusIvEENS9_8equal_toIvEEfEE10hipError_tPvRmT2_T3_T4_T5_mT6_T7_P12ihipStream_tbENKUlT_T0_E_clISt17integral_constantIbLb1EES11_EEDaSW_SX_EUlSW_E_NS1_11comp_targetILNS1_3genE10ELNS1_11target_archE1201ELNS1_3gpuE5ELNS1_3repE0EEENS1_30default_config_static_selectorELNS0_4arch9wavefront6targetE0EEEvT1_
                                        ; -- End function
	.set _ZN7rocprim17ROCPRIM_400000_NS6detail17trampoline_kernelINS0_14default_configENS1_27scan_by_key_config_selectorIifEEZZNS1_16scan_by_key_implILNS1_25lookback_scan_determinismE0ELb0ES3_N6thrust23THRUST_200600_302600_NS6detail15normal_iteratorINS9_10device_ptrIiEEEENSB_INSC_IfEEEESG_fNS9_4plusIvEENS9_8equal_toIvEEfEE10hipError_tPvRmT2_T3_T4_T5_mT6_T7_P12ihipStream_tbENKUlT_T0_E_clISt17integral_constantIbLb1EES11_EEDaSW_SX_EUlSW_E_NS1_11comp_targetILNS1_3genE10ELNS1_11target_archE1201ELNS1_3gpuE5ELNS1_3repE0EEENS1_30default_config_static_selectorELNS0_4arch9wavefront6targetE0EEEvT1_.num_vgpr, 0
	.set _ZN7rocprim17ROCPRIM_400000_NS6detail17trampoline_kernelINS0_14default_configENS1_27scan_by_key_config_selectorIifEEZZNS1_16scan_by_key_implILNS1_25lookback_scan_determinismE0ELb0ES3_N6thrust23THRUST_200600_302600_NS6detail15normal_iteratorINS9_10device_ptrIiEEEENSB_INSC_IfEEEESG_fNS9_4plusIvEENS9_8equal_toIvEEfEE10hipError_tPvRmT2_T3_T4_T5_mT6_T7_P12ihipStream_tbENKUlT_T0_E_clISt17integral_constantIbLb1EES11_EEDaSW_SX_EUlSW_E_NS1_11comp_targetILNS1_3genE10ELNS1_11target_archE1201ELNS1_3gpuE5ELNS1_3repE0EEENS1_30default_config_static_selectorELNS0_4arch9wavefront6targetE0EEEvT1_.num_agpr, 0
	.set _ZN7rocprim17ROCPRIM_400000_NS6detail17trampoline_kernelINS0_14default_configENS1_27scan_by_key_config_selectorIifEEZZNS1_16scan_by_key_implILNS1_25lookback_scan_determinismE0ELb0ES3_N6thrust23THRUST_200600_302600_NS6detail15normal_iteratorINS9_10device_ptrIiEEEENSB_INSC_IfEEEESG_fNS9_4plusIvEENS9_8equal_toIvEEfEE10hipError_tPvRmT2_T3_T4_T5_mT6_T7_P12ihipStream_tbENKUlT_T0_E_clISt17integral_constantIbLb1EES11_EEDaSW_SX_EUlSW_E_NS1_11comp_targetILNS1_3genE10ELNS1_11target_archE1201ELNS1_3gpuE5ELNS1_3repE0EEENS1_30default_config_static_selectorELNS0_4arch9wavefront6targetE0EEEvT1_.numbered_sgpr, 0
	.set _ZN7rocprim17ROCPRIM_400000_NS6detail17trampoline_kernelINS0_14default_configENS1_27scan_by_key_config_selectorIifEEZZNS1_16scan_by_key_implILNS1_25lookback_scan_determinismE0ELb0ES3_N6thrust23THRUST_200600_302600_NS6detail15normal_iteratorINS9_10device_ptrIiEEEENSB_INSC_IfEEEESG_fNS9_4plusIvEENS9_8equal_toIvEEfEE10hipError_tPvRmT2_T3_T4_T5_mT6_T7_P12ihipStream_tbENKUlT_T0_E_clISt17integral_constantIbLb1EES11_EEDaSW_SX_EUlSW_E_NS1_11comp_targetILNS1_3genE10ELNS1_11target_archE1201ELNS1_3gpuE5ELNS1_3repE0EEENS1_30default_config_static_selectorELNS0_4arch9wavefront6targetE0EEEvT1_.num_named_barrier, 0
	.set _ZN7rocprim17ROCPRIM_400000_NS6detail17trampoline_kernelINS0_14default_configENS1_27scan_by_key_config_selectorIifEEZZNS1_16scan_by_key_implILNS1_25lookback_scan_determinismE0ELb0ES3_N6thrust23THRUST_200600_302600_NS6detail15normal_iteratorINS9_10device_ptrIiEEEENSB_INSC_IfEEEESG_fNS9_4plusIvEENS9_8equal_toIvEEfEE10hipError_tPvRmT2_T3_T4_T5_mT6_T7_P12ihipStream_tbENKUlT_T0_E_clISt17integral_constantIbLb1EES11_EEDaSW_SX_EUlSW_E_NS1_11comp_targetILNS1_3genE10ELNS1_11target_archE1201ELNS1_3gpuE5ELNS1_3repE0EEENS1_30default_config_static_selectorELNS0_4arch9wavefront6targetE0EEEvT1_.private_seg_size, 0
	.set _ZN7rocprim17ROCPRIM_400000_NS6detail17trampoline_kernelINS0_14default_configENS1_27scan_by_key_config_selectorIifEEZZNS1_16scan_by_key_implILNS1_25lookback_scan_determinismE0ELb0ES3_N6thrust23THRUST_200600_302600_NS6detail15normal_iteratorINS9_10device_ptrIiEEEENSB_INSC_IfEEEESG_fNS9_4plusIvEENS9_8equal_toIvEEfEE10hipError_tPvRmT2_T3_T4_T5_mT6_T7_P12ihipStream_tbENKUlT_T0_E_clISt17integral_constantIbLb1EES11_EEDaSW_SX_EUlSW_E_NS1_11comp_targetILNS1_3genE10ELNS1_11target_archE1201ELNS1_3gpuE5ELNS1_3repE0EEENS1_30default_config_static_selectorELNS0_4arch9wavefront6targetE0EEEvT1_.uses_vcc, 0
	.set _ZN7rocprim17ROCPRIM_400000_NS6detail17trampoline_kernelINS0_14default_configENS1_27scan_by_key_config_selectorIifEEZZNS1_16scan_by_key_implILNS1_25lookback_scan_determinismE0ELb0ES3_N6thrust23THRUST_200600_302600_NS6detail15normal_iteratorINS9_10device_ptrIiEEEENSB_INSC_IfEEEESG_fNS9_4plusIvEENS9_8equal_toIvEEfEE10hipError_tPvRmT2_T3_T4_T5_mT6_T7_P12ihipStream_tbENKUlT_T0_E_clISt17integral_constantIbLb1EES11_EEDaSW_SX_EUlSW_E_NS1_11comp_targetILNS1_3genE10ELNS1_11target_archE1201ELNS1_3gpuE5ELNS1_3repE0EEENS1_30default_config_static_selectorELNS0_4arch9wavefront6targetE0EEEvT1_.uses_flat_scratch, 0
	.set _ZN7rocprim17ROCPRIM_400000_NS6detail17trampoline_kernelINS0_14default_configENS1_27scan_by_key_config_selectorIifEEZZNS1_16scan_by_key_implILNS1_25lookback_scan_determinismE0ELb0ES3_N6thrust23THRUST_200600_302600_NS6detail15normal_iteratorINS9_10device_ptrIiEEEENSB_INSC_IfEEEESG_fNS9_4plusIvEENS9_8equal_toIvEEfEE10hipError_tPvRmT2_T3_T4_T5_mT6_T7_P12ihipStream_tbENKUlT_T0_E_clISt17integral_constantIbLb1EES11_EEDaSW_SX_EUlSW_E_NS1_11comp_targetILNS1_3genE10ELNS1_11target_archE1201ELNS1_3gpuE5ELNS1_3repE0EEENS1_30default_config_static_selectorELNS0_4arch9wavefront6targetE0EEEvT1_.has_dyn_sized_stack, 0
	.set _ZN7rocprim17ROCPRIM_400000_NS6detail17trampoline_kernelINS0_14default_configENS1_27scan_by_key_config_selectorIifEEZZNS1_16scan_by_key_implILNS1_25lookback_scan_determinismE0ELb0ES3_N6thrust23THRUST_200600_302600_NS6detail15normal_iteratorINS9_10device_ptrIiEEEENSB_INSC_IfEEEESG_fNS9_4plusIvEENS9_8equal_toIvEEfEE10hipError_tPvRmT2_T3_T4_T5_mT6_T7_P12ihipStream_tbENKUlT_T0_E_clISt17integral_constantIbLb1EES11_EEDaSW_SX_EUlSW_E_NS1_11comp_targetILNS1_3genE10ELNS1_11target_archE1201ELNS1_3gpuE5ELNS1_3repE0EEENS1_30default_config_static_selectorELNS0_4arch9wavefront6targetE0EEEvT1_.has_recursion, 0
	.set _ZN7rocprim17ROCPRIM_400000_NS6detail17trampoline_kernelINS0_14default_configENS1_27scan_by_key_config_selectorIifEEZZNS1_16scan_by_key_implILNS1_25lookback_scan_determinismE0ELb0ES3_N6thrust23THRUST_200600_302600_NS6detail15normal_iteratorINS9_10device_ptrIiEEEENSB_INSC_IfEEEESG_fNS9_4plusIvEENS9_8equal_toIvEEfEE10hipError_tPvRmT2_T3_T4_T5_mT6_T7_P12ihipStream_tbENKUlT_T0_E_clISt17integral_constantIbLb1EES11_EEDaSW_SX_EUlSW_E_NS1_11comp_targetILNS1_3genE10ELNS1_11target_archE1201ELNS1_3gpuE5ELNS1_3repE0EEENS1_30default_config_static_selectorELNS0_4arch9wavefront6targetE0EEEvT1_.has_indirect_call, 0
	.section	.AMDGPU.csdata,"",@progbits
; Kernel info:
; codeLenInByte = 0
; TotalNumSgprs: 0
; NumVgprs: 0
; ScratchSize: 0
; MemoryBound: 0
; FloatMode: 240
; IeeeMode: 1
; LDSByteSize: 0 bytes/workgroup (compile time only)
; SGPRBlocks: 0
; VGPRBlocks: 0
; NumSGPRsForWavesPerEU: 1
; NumVGPRsForWavesPerEU: 1
; Occupancy: 16
; WaveLimiterHint : 0
; COMPUTE_PGM_RSRC2:SCRATCH_EN: 0
; COMPUTE_PGM_RSRC2:USER_SGPR: 6
; COMPUTE_PGM_RSRC2:TRAP_HANDLER: 0
; COMPUTE_PGM_RSRC2:TGID_X_EN: 1
; COMPUTE_PGM_RSRC2:TGID_Y_EN: 0
; COMPUTE_PGM_RSRC2:TGID_Z_EN: 0
; COMPUTE_PGM_RSRC2:TIDIG_COMP_CNT: 0
	.section	.text._ZN7rocprim17ROCPRIM_400000_NS6detail17trampoline_kernelINS0_14default_configENS1_27scan_by_key_config_selectorIifEEZZNS1_16scan_by_key_implILNS1_25lookback_scan_determinismE0ELb0ES3_N6thrust23THRUST_200600_302600_NS6detail15normal_iteratorINS9_10device_ptrIiEEEENSB_INSC_IfEEEESG_fNS9_4plusIvEENS9_8equal_toIvEEfEE10hipError_tPvRmT2_T3_T4_T5_mT6_T7_P12ihipStream_tbENKUlT_T0_E_clISt17integral_constantIbLb1EES11_EEDaSW_SX_EUlSW_E_NS1_11comp_targetILNS1_3genE5ELNS1_11target_archE942ELNS1_3gpuE9ELNS1_3repE0EEENS1_30default_config_static_selectorELNS0_4arch9wavefront6targetE0EEEvT1_,"axG",@progbits,_ZN7rocprim17ROCPRIM_400000_NS6detail17trampoline_kernelINS0_14default_configENS1_27scan_by_key_config_selectorIifEEZZNS1_16scan_by_key_implILNS1_25lookback_scan_determinismE0ELb0ES3_N6thrust23THRUST_200600_302600_NS6detail15normal_iteratorINS9_10device_ptrIiEEEENSB_INSC_IfEEEESG_fNS9_4plusIvEENS9_8equal_toIvEEfEE10hipError_tPvRmT2_T3_T4_T5_mT6_T7_P12ihipStream_tbENKUlT_T0_E_clISt17integral_constantIbLb1EES11_EEDaSW_SX_EUlSW_E_NS1_11comp_targetILNS1_3genE5ELNS1_11target_archE942ELNS1_3gpuE9ELNS1_3repE0EEENS1_30default_config_static_selectorELNS0_4arch9wavefront6targetE0EEEvT1_,comdat
	.protected	_ZN7rocprim17ROCPRIM_400000_NS6detail17trampoline_kernelINS0_14default_configENS1_27scan_by_key_config_selectorIifEEZZNS1_16scan_by_key_implILNS1_25lookback_scan_determinismE0ELb0ES3_N6thrust23THRUST_200600_302600_NS6detail15normal_iteratorINS9_10device_ptrIiEEEENSB_INSC_IfEEEESG_fNS9_4plusIvEENS9_8equal_toIvEEfEE10hipError_tPvRmT2_T3_T4_T5_mT6_T7_P12ihipStream_tbENKUlT_T0_E_clISt17integral_constantIbLb1EES11_EEDaSW_SX_EUlSW_E_NS1_11comp_targetILNS1_3genE5ELNS1_11target_archE942ELNS1_3gpuE9ELNS1_3repE0EEENS1_30default_config_static_selectorELNS0_4arch9wavefront6targetE0EEEvT1_ ; -- Begin function _ZN7rocprim17ROCPRIM_400000_NS6detail17trampoline_kernelINS0_14default_configENS1_27scan_by_key_config_selectorIifEEZZNS1_16scan_by_key_implILNS1_25lookback_scan_determinismE0ELb0ES3_N6thrust23THRUST_200600_302600_NS6detail15normal_iteratorINS9_10device_ptrIiEEEENSB_INSC_IfEEEESG_fNS9_4plusIvEENS9_8equal_toIvEEfEE10hipError_tPvRmT2_T3_T4_T5_mT6_T7_P12ihipStream_tbENKUlT_T0_E_clISt17integral_constantIbLb1EES11_EEDaSW_SX_EUlSW_E_NS1_11comp_targetILNS1_3genE5ELNS1_11target_archE942ELNS1_3gpuE9ELNS1_3repE0EEENS1_30default_config_static_selectorELNS0_4arch9wavefront6targetE0EEEvT1_
	.globl	_ZN7rocprim17ROCPRIM_400000_NS6detail17trampoline_kernelINS0_14default_configENS1_27scan_by_key_config_selectorIifEEZZNS1_16scan_by_key_implILNS1_25lookback_scan_determinismE0ELb0ES3_N6thrust23THRUST_200600_302600_NS6detail15normal_iteratorINS9_10device_ptrIiEEEENSB_INSC_IfEEEESG_fNS9_4plusIvEENS9_8equal_toIvEEfEE10hipError_tPvRmT2_T3_T4_T5_mT6_T7_P12ihipStream_tbENKUlT_T0_E_clISt17integral_constantIbLb1EES11_EEDaSW_SX_EUlSW_E_NS1_11comp_targetILNS1_3genE5ELNS1_11target_archE942ELNS1_3gpuE9ELNS1_3repE0EEENS1_30default_config_static_selectorELNS0_4arch9wavefront6targetE0EEEvT1_
	.p2align	8
	.type	_ZN7rocprim17ROCPRIM_400000_NS6detail17trampoline_kernelINS0_14default_configENS1_27scan_by_key_config_selectorIifEEZZNS1_16scan_by_key_implILNS1_25lookback_scan_determinismE0ELb0ES3_N6thrust23THRUST_200600_302600_NS6detail15normal_iteratorINS9_10device_ptrIiEEEENSB_INSC_IfEEEESG_fNS9_4plusIvEENS9_8equal_toIvEEfEE10hipError_tPvRmT2_T3_T4_T5_mT6_T7_P12ihipStream_tbENKUlT_T0_E_clISt17integral_constantIbLb1EES11_EEDaSW_SX_EUlSW_E_NS1_11comp_targetILNS1_3genE5ELNS1_11target_archE942ELNS1_3gpuE9ELNS1_3repE0EEENS1_30default_config_static_selectorELNS0_4arch9wavefront6targetE0EEEvT1_,@function
_ZN7rocprim17ROCPRIM_400000_NS6detail17trampoline_kernelINS0_14default_configENS1_27scan_by_key_config_selectorIifEEZZNS1_16scan_by_key_implILNS1_25lookback_scan_determinismE0ELb0ES3_N6thrust23THRUST_200600_302600_NS6detail15normal_iteratorINS9_10device_ptrIiEEEENSB_INSC_IfEEEESG_fNS9_4plusIvEENS9_8equal_toIvEEfEE10hipError_tPvRmT2_T3_T4_T5_mT6_T7_P12ihipStream_tbENKUlT_T0_E_clISt17integral_constantIbLb1EES11_EEDaSW_SX_EUlSW_E_NS1_11comp_targetILNS1_3genE5ELNS1_11target_archE942ELNS1_3gpuE9ELNS1_3repE0EEENS1_30default_config_static_selectorELNS0_4arch9wavefront6targetE0EEEvT1_: ; @_ZN7rocprim17ROCPRIM_400000_NS6detail17trampoline_kernelINS0_14default_configENS1_27scan_by_key_config_selectorIifEEZZNS1_16scan_by_key_implILNS1_25lookback_scan_determinismE0ELb0ES3_N6thrust23THRUST_200600_302600_NS6detail15normal_iteratorINS9_10device_ptrIiEEEENSB_INSC_IfEEEESG_fNS9_4plusIvEENS9_8equal_toIvEEfEE10hipError_tPvRmT2_T3_T4_T5_mT6_T7_P12ihipStream_tbENKUlT_T0_E_clISt17integral_constantIbLb1EES11_EEDaSW_SX_EUlSW_E_NS1_11comp_targetILNS1_3genE5ELNS1_11target_archE942ELNS1_3gpuE9ELNS1_3repE0EEENS1_30default_config_static_selectorELNS0_4arch9wavefront6targetE0EEEvT1_
; %bb.0:
	.section	.rodata,"a",@progbits
	.p2align	6, 0x0
	.amdhsa_kernel _ZN7rocprim17ROCPRIM_400000_NS6detail17trampoline_kernelINS0_14default_configENS1_27scan_by_key_config_selectorIifEEZZNS1_16scan_by_key_implILNS1_25lookback_scan_determinismE0ELb0ES3_N6thrust23THRUST_200600_302600_NS6detail15normal_iteratorINS9_10device_ptrIiEEEENSB_INSC_IfEEEESG_fNS9_4plusIvEENS9_8equal_toIvEEfEE10hipError_tPvRmT2_T3_T4_T5_mT6_T7_P12ihipStream_tbENKUlT_T0_E_clISt17integral_constantIbLb1EES11_EEDaSW_SX_EUlSW_E_NS1_11comp_targetILNS1_3genE5ELNS1_11target_archE942ELNS1_3gpuE9ELNS1_3repE0EEENS1_30default_config_static_selectorELNS0_4arch9wavefront6targetE0EEEvT1_
		.amdhsa_group_segment_fixed_size 0
		.amdhsa_private_segment_fixed_size 0
		.amdhsa_kernarg_size 112
		.amdhsa_user_sgpr_count 6
		.amdhsa_user_sgpr_private_segment_buffer 1
		.amdhsa_user_sgpr_dispatch_ptr 0
		.amdhsa_user_sgpr_queue_ptr 0
		.amdhsa_user_sgpr_kernarg_segment_ptr 1
		.amdhsa_user_sgpr_dispatch_id 0
		.amdhsa_user_sgpr_flat_scratch_init 0
		.amdhsa_user_sgpr_private_segment_size 0
		.amdhsa_wavefront_size32 1
		.amdhsa_uses_dynamic_stack 0
		.amdhsa_system_sgpr_private_segment_wavefront_offset 0
		.amdhsa_system_sgpr_workgroup_id_x 1
		.amdhsa_system_sgpr_workgroup_id_y 0
		.amdhsa_system_sgpr_workgroup_id_z 0
		.amdhsa_system_sgpr_workgroup_info 0
		.amdhsa_system_vgpr_workitem_id 0
		.amdhsa_next_free_vgpr 1
		.amdhsa_next_free_sgpr 1
		.amdhsa_reserve_vcc 0
		.amdhsa_reserve_flat_scratch 0
		.amdhsa_float_round_mode_32 0
		.amdhsa_float_round_mode_16_64 0
		.amdhsa_float_denorm_mode_32 3
		.amdhsa_float_denorm_mode_16_64 3
		.amdhsa_dx10_clamp 1
		.amdhsa_ieee_mode 1
		.amdhsa_fp16_overflow 0
		.amdhsa_workgroup_processor_mode 1
		.amdhsa_memory_ordered 1
		.amdhsa_forward_progress 1
		.amdhsa_shared_vgpr_count 0
		.amdhsa_exception_fp_ieee_invalid_op 0
		.amdhsa_exception_fp_denorm_src 0
		.amdhsa_exception_fp_ieee_div_zero 0
		.amdhsa_exception_fp_ieee_overflow 0
		.amdhsa_exception_fp_ieee_underflow 0
		.amdhsa_exception_fp_ieee_inexact 0
		.amdhsa_exception_int_div_zero 0
	.end_amdhsa_kernel
	.section	.text._ZN7rocprim17ROCPRIM_400000_NS6detail17trampoline_kernelINS0_14default_configENS1_27scan_by_key_config_selectorIifEEZZNS1_16scan_by_key_implILNS1_25lookback_scan_determinismE0ELb0ES3_N6thrust23THRUST_200600_302600_NS6detail15normal_iteratorINS9_10device_ptrIiEEEENSB_INSC_IfEEEESG_fNS9_4plusIvEENS9_8equal_toIvEEfEE10hipError_tPvRmT2_T3_T4_T5_mT6_T7_P12ihipStream_tbENKUlT_T0_E_clISt17integral_constantIbLb1EES11_EEDaSW_SX_EUlSW_E_NS1_11comp_targetILNS1_3genE5ELNS1_11target_archE942ELNS1_3gpuE9ELNS1_3repE0EEENS1_30default_config_static_selectorELNS0_4arch9wavefront6targetE0EEEvT1_,"axG",@progbits,_ZN7rocprim17ROCPRIM_400000_NS6detail17trampoline_kernelINS0_14default_configENS1_27scan_by_key_config_selectorIifEEZZNS1_16scan_by_key_implILNS1_25lookback_scan_determinismE0ELb0ES3_N6thrust23THRUST_200600_302600_NS6detail15normal_iteratorINS9_10device_ptrIiEEEENSB_INSC_IfEEEESG_fNS9_4plusIvEENS9_8equal_toIvEEfEE10hipError_tPvRmT2_T3_T4_T5_mT6_T7_P12ihipStream_tbENKUlT_T0_E_clISt17integral_constantIbLb1EES11_EEDaSW_SX_EUlSW_E_NS1_11comp_targetILNS1_3genE5ELNS1_11target_archE942ELNS1_3gpuE9ELNS1_3repE0EEENS1_30default_config_static_selectorELNS0_4arch9wavefront6targetE0EEEvT1_,comdat
.Lfunc_end1143:
	.size	_ZN7rocprim17ROCPRIM_400000_NS6detail17trampoline_kernelINS0_14default_configENS1_27scan_by_key_config_selectorIifEEZZNS1_16scan_by_key_implILNS1_25lookback_scan_determinismE0ELb0ES3_N6thrust23THRUST_200600_302600_NS6detail15normal_iteratorINS9_10device_ptrIiEEEENSB_INSC_IfEEEESG_fNS9_4plusIvEENS9_8equal_toIvEEfEE10hipError_tPvRmT2_T3_T4_T5_mT6_T7_P12ihipStream_tbENKUlT_T0_E_clISt17integral_constantIbLb1EES11_EEDaSW_SX_EUlSW_E_NS1_11comp_targetILNS1_3genE5ELNS1_11target_archE942ELNS1_3gpuE9ELNS1_3repE0EEENS1_30default_config_static_selectorELNS0_4arch9wavefront6targetE0EEEvT1_, .Lfunc_end1143-_ZN7rocprim17ROCPRIM_400000_NS6detail17trampoline_kernelINS0_14default_configENS1_27scan_by_key_config_selectorIifEEZZNS1_16scan_by_key_implILNS1_25lookback_scan_determinismE0ELb0ES3_N6thrust23THRUST_200600_302600_NS6detail15normal_iteratorINS9_10device_ptrIiEEEENSB_INSC_IfEEEESG_fNS9_4plusIvEENS9_8equal_toIvEEfEE10hipError_tPvRmT2_T3_T4_T5_mT6_T7_P12ihipStream_tbENKUlT_T0_E_clISt17integral_constantIbLb1EES11_EEDaSW_SX_EUlSW_E_NS1_11comp_targetILNS1_3genE5ELNS1_11target_archE942ELNS1_3gpuE9ELNS1_3repE0EEENS1_30default_config_static_selectorELNS0_4arch9wavefront6targetE0EEEvT1_
                                        ; -- End function
	.set _ZN7rocprim17ROCPRIM_400000_NS6detail17trampoline_kernelINS0_14default_configENS1_27scan_by_key_config_selectorIifEEZZNS1_16scan_by_key_implILNS1_25lookback_scan_determinismE0ELb0ES3_N6thrust23THRUST_200600_302600_NS6detail15normal_iteratorINS9_10device_ptrIiEEEENSB_INSC_IfEEEESG_fNS9_4plusIvEENS9_8equal_toIvEEfEE10hipError_tPvRmT2_T3_T4_T5_mT6_T7_P12ihipStream_tbENKUlT_T0_E_clISt17integral_constantIbLb1EES11_EEDaSW_SX_EUlSW_E_NS1_11comp_targetILNS1_3genE5ELNS1_11target_archE942ELNS1_3gpuE9ELNS1_3repE0EEENS1_30default_config_static_selectorELNS0_4arch9wavefront6targetE0EEEvT1_.num_vgpr, 0
	.set _ZN7rocprim17ROCPRIM_400000_NS6detail17trampoline_kernelINS0_14default_configENS1_27scan_by_key_config_selectorIifEEZZNS1_16scan_by_key_implILNS1_25lookback_scan_determinismE0ELb0ES3_N6thrust23THRUST_200600_302600_NS6detail15normal_iteratorINS9_10device_ptrIiEEEENSB_INSC_IfEEEESG_fNS9_4plusIvEENS9_8equal_toIvEEfEE10hipError_tPvRmT2_T3_T4_T5_mT6_T7_P12ihipStream_tbENKUlT_T0_E_clISt17integral_constantIbLb1EES11_EEDaSW_SX_EUlSW_E_NS1_11comp_targetILNS1_3genE5ELNS1_11target_archE942ELNS1_3gpuE9ELNS1_3repE0EEENS1_30default_config_static_selectorELNS0_4arch9wavefront6targetE0EEEvT1_.num_agpr, 0
	.set _ZN7rocprim17ROCPRIM_400000_NS6detail17trampoline_kernelINS0_14default_configENS1_27scan_by_key_config_selectorIifEEZZNS1_16scan_by_key_implILNS1_25lookback_scan_determinismE0ELb0ES3_N6thrust23THRUST_200600_302600_NS6detail15normal_iteratorINS9_10device_ptrIiEEEENSB_INSC_IfEEEESG_fNS9_4plusIvEENS9_8equal_toIvEEfEE10hipError_tPvRmT2_T3_T4_T5_mT6_T7_P12ihipStream_tbENKUlT_T0_E_clISt17integral_constantIbLb1EES11_EEDaSW_SX_EUlSW_E_NS1_11comp_targetILNS1_3genE5ELNS1_11target_archE942ELNS1_3gpuE9ELNS1_3repE0EEENS1_30default_config_static_selectorELNS0_4arch9wavefront6targetE0EEEvT1_.numbered_sgpr, 0
	.set _ZN7rocprim17ROCPRIM_400000_NS6detail17trampoline_kernelINS0_14default_configENS1_27scan_by_key_config_selectorIifEEZZNS1_16scan_by_key_implILNS1_25lookback_scan_determinismE0ELb0ES3_N6thrust23THRUST_200600_302600_NS6detail15normal_iteratorINS9_10device_ptrIiEEEENSB_INSC_IfEEEESG_fNS9_4plusIvEENS9_8equal_toIvEEfEE10hipError_tPvRmT2_T3_T4_T5_mT6_T7_P12ihipStream_tbENKUlT_T0_E_clISt17integral_constantIbLb1EES11_EEDaSW_SX_EUlSW_E_NS1_11comp_targetILNS1_3genE5ELNS1_11target_archE942ELNS1_3gpuE9ELNS1_3repE0EEENS1_30default_config_static_selectorELNS0_4arch9wavefront6targetE0EEEvT1_.num_named_barrier, 0
	.set _ZN7rocprim17ROCPRIM_400000_NS6detail17trampoline_kernelINS0_14default_configENS1_27scan_by_key_config_selectorIifEEZZNS1_16scan_by_key_implILNS1_25lookback_scan_determinismE0ELb0ES3_N6thrust23THRUST_200600_302600_NS6detail15normal_iteratorINS9_10device_ptrIiEEEENSB_INSC_IfEEEESG_fNS9_4plusIvEENS9_8equal_toIvEEfEE10hipError_tPvRmT2_T3_T4_T5_mT6_T7_P12ihipStream_tbENKUlT_T0_E_clISt17integral_constantIbLb1EES11_EEDaSW_SX_EUlSW_E_NS1_11comp_targetILNS1_3genE5ELNS1_11target_archE942ELNS1_3gpuE9ELNS1_3repE0EEENS1_30default_config_static_selectorELNS0_4arch9wavefront6targetE0EEEvT1_.private_seg_size, 0
	.set _ZN7rocprim17ROCPRIM_400000_NS6detail17trampoline_kernelINS0_14default_configENS1_27scan_by_key_config_selectorIifEEZZNS1_16scan_by_key_implILNS1_25lookback_scan_determinismE0ELb0ES3_N6thrust23THRUST_200600_302600_NS6detail15normal_iteratorINS9_10device_ptrIiEEEENSB_INSC_IfEEEESG_fNS9_4plusIvEENS9_8equal_toIvEEfEE10hipError_tPvRmT2_T3_T4_T5_mT6_T7_P12ihipStream_tbENKUlT_T0_E_clISt17integral_constantIbLb1EES11_EEDaSW_SX_EUlSW_E_NS1_11comp_targetILNS1_3genE5ELNS1_11target_archE942ELNS1_3gpuE9ELNS1_3repE0EEENS1_30default_config_static_selectorELNS0_4arch9wavefront6targetE0EEEvT1_.uses_vcc, 0
	.set _ZN7rocprim17ROCPRIM_400000_NS6detail17trampoline_kernelINS0_14default_configENS1_27scan_by_key_config_selectorIifEEZZNS1_16scan_by_key_implILNS1_25lookback_scan_determinismE0ELb0ES3_N6thrust23THRUST_200600_302600_NS6detail15normal_iteratorINS9_10device_ptrIiEEEENSB_INSC_IfEEEESG_fNS9_4plusIvEENS9_8equal_toIvEEfEE10hipError_tPvRmT2_T3_T4_T5_mT6_T7_P12ihipStream_tbENKUlT_T0_E_clISt17integral_constantIbLb1EES11_EEDaSW_SX_EUlSW_E_NS1_11comp_targetILNS1_3genE5ELNS1_11target_archE942ELNS1_3gpuE9ELNS1_3repE0EEENS1_30default_config_static_selectorELNS0_4arch9wavefront6targetE0EEEvT1_.uses_flat_scratch, 0
	.set _ZN7rocprim17ROCPRIM_400000_NS6detail17trampoline_kernelINS0_14default_configENS1_27scan_by_key_config_selectorIifEEZZNS1_16scan_by_key_implILNS1_25lookback_scan_determinismE0ELb0ES3_N6thrust23THRUST_200600_302600_NS6detail15normal_iteratorINS9_10device_ptrIiEEEENSB_INSC_IfEEEESG_fNS9_4plusIvEENS9_8equal_toIvEEfEE10hipError_tPvRmT2_T3_T4_T5_mT6_T7_P12ihipStream_tbENKUlT_T0_E_clISt17integral_constantIbLb1EES11_EEDaSW_SX_EUlSW_E_NS1_11comp_targetILNS1_3genE5ELNS1_11target_archE942ELNS1_3gpuE9ELNS1_3repE0EEENS1_30default_config_static_selectorELNS0_4arch9wavefront6targetE0EEEvT1_.has_dyn_sized_stack, 0
	.set _ZN7rocprim17ROCPRIM_400000_NS6detail17trampoline_kernelINS0_14default_configENS1_27scan_by_key_config_selectorIifEEZZNS1_16scan_by_key_implILNS1_25lookback_scan_determinismE0ELb0ES3_N6thrust23THRUST_200600_302600_NS6detail15normal_iteratorINS9_10device_ptrIiEEEENSB_INSC_IfEEEESG_fNS9_4plusIvEENS9_8equal_toIvEEfEE10hipError_tPvRmT2_T3_T4_T5_mT6_T7_P12ihipStream_tbENKUlT_T0_E_clISt17integral_constantIbLb1EES11_EEDaSW_SX_EUlSW_E_NS1_11comp_targetILNS1_3genE5ELNS1_11target_archE942ELNS1_3gpuE9ELNS1_3repE0EEENS1_30default_config_static_selectorELNS0_4arch9wavefront6targetE0EEEvT1_.has_recursion, 0
	.set _ZN7rocprim17ROCPRIM_400000_NS6detail17trampoline_kernelINS0_14default_configENS1_27scan_by_key_config_selectorIifEEZZNS1_16scan_by_key_implILNS1_25lookback_scan_determinismE0ELb0ES3_N6thrust23THRUST_200600_302600_NS6detail15normal_iteratorINS9_10device_ptrIiEEEENSB_INSC_IfEEEESG_fNS9_4plusIvEENS9_8equal_toIvEEfEE10hipError_tPvRmT2_T3_T4_T5_mT6_T7_P12ihipStream_tbENKUlT_T0_E_clISt17integral_constantIbLb1EES11_EEDaSW_SX_EUlSW_E_NS1_11comp_targetILNS1_3genE5ELNS1_11target_archE942ELNS1_3gpuE9ELNS1_3repE0EEENS1_30default_config_static_selectorELNS0_4arch9wavefront6targetE0EEEvT1_.has_indirect_call, 0
	.section	.AMDGPU.csdata,"",@progbits
; Kernel info:
; codeLenInByte = 0
; TotalNumSgprs: 0
; NumVgprs: 0
; ScratchSize: 0
; MemoryBound: 0
; FloatMode: 240
; IeeeMode: 1
; LDSByteSize: 0 bytes/workgroup (compile time only)
; SGPRBlocks: 0
; VGPRBlocks: 0
; NumSGPRsForWavesPerEU: 1
; NumVGPRsForWavesPerEU: 1
; Occupancy: 16
; WaveLimiterHint : 0
; COMPUTE_PGM_RSRC2:SCRATCH_EN: 0
; COMPUTE_PGM_RSRC2:USER_SGPR: 6
; COMPUTE_PGM_RSRC2:TRAP_HANDLER: 0
; COMPUTE_PGM_RSRC2:TGID_X_EN: 1
; COMPUTE_PGM_RSRC2:TGID_Y_EN: 0
; COMPUTE_PGM_RSRC2:TGID_Z_EN: 0
; COMPUTE_PGM_RSRC2:TIDIG_COMP_CNT: 0
	.section	.text._ZN7rocprim17ROCPRIM_400000_NS6detail17trampoline_kernelINS0_14default_configENS1_27scan_by_key_config_selectorIifEEZZNS1_16scan_by_key_implILNS1_25lookback_scan_determinismE0ELb0ES3_N6thrust23THRUST_200600_302600_NS6detail15normal_iteratorINS9_10device_ptrIiEEEENSB_INSC_IfEEEESG_fNS9_4plusIvEENS9_8equal_toIvEEfEE10hipError_tPvRmT2_T3_T4_T5_mT6_T7_P12ihipStream_tbENKUlT_T0_E_clISt17integral_constantIbLb1EES11_EEDaSW_SX_EUlSW_E_NS1_11comp_targetILNS1_3genE4ELNS1_11target_archE910ELNS1_3gpuE8ELNS1_3repE0EEENS1_30default_config_static_selectorELNS0_4arch9wavefront6targetE0EEEvT1_,"axG",@progbits,_ZN7rocprim17ROCPRIM_400000_NS6detail17trampoline_kernelINS0_14default_configENS1_27scan_by_key_config_selectorIifEEZZNS1_16scan_by_key_implILNS1_25lookback_scan_determinismE0ELb0ES3_N6thrust23THRUST_200600_302600_NS6detail15normal_iteratorINS9_10device_ptrIiEEEENSB_INSC_IfEEEESG_fNS9_4plusIvEENS9_8equal_toIvEEfEE10hipError_tPvRmT2_T3_T4_T5_mT6_T7_P12ihipStream_tbENKUlT_T0_E_clISt17integral_constantIbLb1EES11_EEDaSW_SX_EUlSW_E_NS1_11comp_targetILNS1_3genE4ELNS1_11target_archE910ELNS1_3gpuE8ELNS1_3repE0EEENS1_30default_config_static_selectorELNS0_4arch9wavefront6targetE0EEEvT1_,comdat
	.protected	_ZN7rocprim17ROCPRIM_400000_NS6detail17trampoline_kernelINS0_14default_configENS1_27scan_by_key_config_selectorIifEEZZNS1_16scan_by_key_implILNS1_25lookback_scan_determinismE0ELb0ES3_N6thrust23THRUST_200600_302600_NS6detail15normal_iteratorINS9_10device_ptrIiEEEENSB_INSC_IfEEEESG_fNS9_4plusIvEENS9_8equal_toIvEEfEE10hipError_tPvRmT2_T3_T4_T5_mT6_T7_P12ihipStream_tbENKUlT_T0_E_clISt17integral_constantIbLb1EES11_EEDaSW_SX_EUlSW_E_NS1_11comp_targetILNS1_3genE4ELNS1_11target_archE910ELNS1_3gpuE8ELNS1_3repE0EEENS1_30default_config_static_selectorELNS0_4arch9wavefront6targetE0EEEvT1_ ; -- Begin function _ZN7rocprim17ROCPRIM_400000_NS6detail17trampoline_kernelINS0_14default_configENS1_27scan_by_key_config_selectorIifEEZZNS1_16scan_by_key_implILNS1_25lookback_scan_determinismE0ELb0ES3_N6thrust23THRUST_200600_302600_NS6detail15normal_iteratorINS9_10device_ptrIiEEEENSB_INSC_IfEEEESG_fNS9_4plusIvEENS9_8equal_toIvEEfEE10hipError_tPvRmT2_T3_T4_T5_mT6_T7_P12ihipStream_tbENKUlT_T0_E_clISt17integral_constantIbLb1EES11_EEDaSW_SX_EUlSW_E_NS1_11comp_targetILNS1_3genE4ELNS1_11target_archE910ELNS1_3gpuE8ELNS1_3repE0EEENS1_30default_config_static_selectorELNS0_4arch9wavefront6targetE0EEEvT1_
	.globl	_ZN7rocprim17ROCPRIM_400000_NS6detail17trampoline_kernelINS0_14default_configENS1_27scan_by_key_config_selectorIifEEZZNS1_16scan_by_key_implILNS1_25lookback_scan_determinismE0ELb0ES3_N6thrust23THRUST_200600_302600_NS6detail15normal_iteratorINS9_10device_ptrIiEEEENSB_INSC_IfEEEESG_fNS9_4plusIvEENS9_8equal_toIvEEfEE10hipError_tPvRmT2_T3_T4_T5_mT6_T7_P12ihipStream_tbENKUlT_T0_E_clISt17integral_constantIbLb1EES11_EEDaSW_SX_EUlSW_E_NS1_11comp_targetILNS1_3genE4ELNS1_11target_archE910ELNS1_3gpuE8ELNS1_3repE0EEENS1_30default_config_static_selectorELNS0_4arch9wavefront6targetE0EEEvT1_
	.p2align	8
	.type	_ZN7rocprim17ROCPRIM_400000_NS6detail17trampoline_kernelINS0_14default_configENS1_27scan_by_key_config_selectorIifEEZZNS1_16scan_by_key_implILNS1_25lookback_scan_determinismE0ELb0ES3_N6thrust23THRUST_200600_302600_NS6detail15normal_iteratorINS9_10device_ptrIiEEEENSB_INSC_IfEEEESG_fNS9_4plusIvEENS9_8equal_toIvEEfEE10hipError_tPvRmT2_T3_T4_T5_mT6_T7_P12ihipStream_tbENKUlT_T0_E_clISt17integral_constantIbLb1EES11_EEDaSW_SX_EUlSW_E_NS1_11comp_targetILNS1_3genE4ELNS1_11target_archE910ELNS1_3gpuE8ELNS1_3repE0EEENS1_30default_config_static_selectorELNS0_4arch9wavefront6targetE0EEEvT1_,@function
_ZN7rocprim17ROCPRIM_400000_NS6detail17trampoline_kernelINS0_14default_configENS1_27scan_by_key_config_selectorIifEEZZNS1_16scan_by_key_implILNS1_25lookback_scan_determinismE0ELb0ES3_N6thrust23THRUST_200600_302600_NS6detail15normal_iteratorINS9_10device_ptrIiEEEENSB_INSC_IfEEEESG_fNS9_4plusIvEENS9_8equal_toIvEEfEE10hipError_tPvRmT2_T3_T4_T5_mT6_T7_P12ihipStream_tbENKUlT_T0_E_clISt17integral_constantIbLb1EES11_EEDaSW_SX_EUlSW_E_NS1_11comp_targetILNS1_3genE4ELNS1_11target_archE910ELNS1_3gpuE8ELNS1_3repE0EEENS1_30default_config_static_selectorELNS0_4arch9wavefront6targetE0EEEvT1_: ; @_ZN7rocprim17ROCPRIM_400000_NS6detail17trampoline_kernelINS0_14default_configENS1_27scan_by_key_config_selectorIifEEZZNS1_16scan_by_key_implILNS1_25lookback_scan_determinismE0ELb0ES3_N6thrust23THRUST_200600_302600_NS6detail15normal_iteratorINS9_10device_ptrIiEEEENSB_INSC_IfEEEESG_fNS9_4plusIvEENS9_8equal_toIvEEfEE10hipError_tPvRmT2_T3_T4_T5_mT6_T7_P12ihipStream_tbENKUlT_T0_E_clISt17integral_constantIbLb1EES11_EEDaSW_SX_EUlSW_E_NS1_11comp_targetILNS1_3genE4ELNS1_11target_archE910ELNS1_3gpuE8ELNS1_3repE0EEENS1_30default_config_static_selectorELNS0_4arch9wavefront6targetE0EEEvT1_
; %bb.0:
	.section	.rodata,"a",@progbits
	.p2align	6, 0x0
	.amdhsa_kernel _ZN7rocprim17ROCPRIM_400000_NS6detail17trampoline_kernelINS0_14default_configENS1_27scan_by_key_config_selectorIifEEZZNS1_16scan_by_key_implILNS1_25lookback_scan_determinismE0ELb0ES3_N6thrust23THRUST_200600_302600_NS6detail15normal_iteratorINS9_10device_ptrIiEEEENSB_INSC_IfEEEESG_fNS9_4plusIvEENS9_8equal_toIvEEfEE10hipError_tPvRmT2_T3_T4_T5_mT6_T7_P12ihipStream_tbENKUlT_T0_E_clISt17integral_constantIbLb1EES11_EEDaSW_SX_EUlSW_E_NS1_11comp_targetILNS1_3genE4ELNS1_11target_archE910ELNS1_3gpuE8ELNS1_3repE0EEENS1_30default_config_static_selectorELNS0_4arch9wavefront6targetE0EEEvT1_
		.amdhsa_group_segment_fixed_size 0
		.amdhsa_private_segment_fixed_size 0
		.amdhsa_kernarg_size 112
		.amdhsa_user_sgpr_count 6
		.amdhsa_user_sgpr_private_segment_buffer 1
		.amdhsa_user_sgpr_dispatch_ptr 0
		.amdhsa_user_sgpr_queue_ptr 0
		.amdhsa_user_sgpr_kernarg_segment_ptr 1
		.amdhsa_user_sgpr_dispatch_id 0
		.amdhsa_user_sgpr_flat_scratch_init 0
		.amdhsa_user_sgpr_private_segment_size 0
		.amdhsa_wavefront_size32 1
		.amdhsa_uses_dynamic_stack 0
		.amdhsa_system_sgpr_private_segment_wavefront_offset 0
		.amdhsa_system_sgpr_workgroup_id_x 1
		.amdhsa_system_sgpr_workgroup_id_y 0
		.amdhsa_system_sgpr_workgroup_id_z 0
		.amdhsa_system_sgpr_workgroup_info 0
		.amdhsa_system_vgpr_workitem_id 0
		.amdhsa_next_free_vgpr 1
		.amdhsa_next_free_sgpr 1
		.amdhsa_reserve_vcc 0
		.amdhsa_reserve_flat_scratch 0
		.amdhsa_float_round_mode_32 0
		.amdhsa_float_round_mode_16_64 0
		.amdhsa_float_denorm_mode_32 3
		.amdhsa_float_denorm_mode_16_64 3
		.amdhsa_dx10_clamp 1
		.amdhsa_ieee_mode 1
		.amdhsa_fp16_overflow 0
		.amdhsa_workgroup_processor_mode 1
		.amdhsa_memory_ordered 1
		.amdhsa_forward_progress 1
		.amdhsa_shared_vgpr_count 0
		.amdhsa_exception_fp_ieee_invalid_op 0
		.amdhsa_exception_fp_denorm_src 0
		.amdhsa_exception_fp_ieee_div_zero 0
		.amdhsa_exception_fp_ieee_overflow 0
		.amdhsa_exception_fp_ieee_underflow 0
		.amdhsa_exception_fp_ieee_inexact 0
		.amdhsa_exception_int_div_zero 0
	.end_amdhsa_kernel
	.section	.text._ZN7rocprim17ROCPRIM_400000_NS6detail17trampoline_kernelINS0_14default_configENS1_27scan_by_key_config_selectorIifEEZZNS1_16scan_by_key_implILNS1_25lookback_scan_determinismE0ELb0ES3_N6thrust23THRUST_200600_302600_NS6detail15normal_iteratorINS9_10device_ptrIiEEEENSB_INSC_IfEEEESG_fNS9_4plusIvEENS9_8equal_toIvEEfEE10hipError_tPvRmT2_T3_T4_T5_mT6_T7_P12ihipStream_tbENKUlT_T0_E_clISt17integral_constantIbLb1EES11_EEDaSW_SX_EUlSW_E_NS1_11comp_targetILNS1_3genE4ELNS1_11target_archE910ELNS1_3gpuE8ELNS1_3repE0EEENS1_30default_config_static_selectorELNS0_4arch9wavefront6targetE0EEEvT1_,"axG",@progbits,_ZN7rocprim17ROCPRIM_400000_NS6detail17trampoline_kernelINS0_14default_configENS1_27scan_by_key_config_selectorIifEEZZNS1_16scan_by_key_implILNS1_25lookback_scan_determinismE0ELb0ES3_N6thrust23THRUST_200600_302600_NS6detail15normal_iteratorINS9_10device_ptrIiEEEENSB_INSC_IfEEEESG_fNS9_4plusIvEENS9_8equal_toIvEEfEE10hipError_tPvRmT2_T3_T4_T5_mT6_T7_P12ihipStream_tbENKUlT_T0_E_clISt17integral_constantIbLb1EES11_EEDaSW_SX_EUlSW_E_NS1_11comp_targetILNS1_3genE4ELNS1_11target_archE910ELNS1_3gpuE8ELNS1_3repE0EEENS1_30default_config_static_selectorELNS0_4arch9wavefront6targetE0EEEvT1_,comdat
.Lfunc_end1144:
	.size	_ZN7rocprim17ROCPRIM_400000_NS6detail17trampoline_kernelINS0_14default_configENS1_27scan_by_key_config_selectorIifEEZZNS1_16scan_by_key_implILNS1_25lookback_scan_determinismE0ELb0ES3_N6thrust23THRUST_200600_302600_NS6detail15normal_iteratorINS9_10device_ptrIiEEEENSB_INSC_IfEEEESG_fNS9_4plusIvEENS9_8equal_toIvEEfEE10hipError_tPvRmT2_T3_T4_T5_mT6_T7_P12ihipStream_tbENKUlT_T0_E_clISt17integral_constantIbLb1EES11_EEDaSW_SX_EUlSW_E_NS1_11comp_targetILNS1_3genE4ELNS1_11target_archE910ELNS1_3gpuE8ELNS1_3repE0EEENS1_30default_config_static_selectorELNS0_4arch9wavefront6targetE0EEEvT1_, .Lfunc_end1144-_ZN7rocprim17ROCPRIM_400000_NS6detail17trampoline_kernelINS0_14default_configENS1_27scan_by_key_config_selectorIifEEZZNS1_16scan_by_key_implILNS1_25lookback_scan_determinismE0ELb0ES3_N6thrust23THRUST_200600_302600_NS6detail15normal_iteratorINS9_10device_ptrIiEEEENSB_INSC_IfEEEESG_fNS9_4plusIvEENS9_8equal_toIvEEfEE10hipError_tPvRmT2_T3_T4_T5_mT6_T7_P12ihipStream_tbENKUlT_T0_E_clISt17integral_constantIbLb1EES11_EEDaSW_SX_EUlSW_E_NS1_11comp_targetILNS1_3genE4ELNS1_11target_archE910ELNS1_3gpuE8ELNS1_3repE0EEENS1_30default_config_static_selectorELNS0_4arch9wavefront6targetE0EEEvT1_
                                        ; -- End function
	.set _ZN7rocprim17ROCPRIM_400000_NS6detail17trampoline_kernelINS0_14default_configENS1_27scan_by_key_config_selectorIifEEZZNS1_16scan_by_key_implILNS1_25lookback_scan_determinismE0ELb0ES3_N6thrust23THRUST_200600_302600_NS6detail15normal_iteratorINS9_10device_ptrIiEEEENSB_INSC_IfEEEESG_fNS9_4plusIvEENS9_8equal_toIvEEfEE10hipError_tPvRmT2_T3_T4_T5_mT6_T7_P12ihipStream_tbENKUlT_T0_E_clISt17integral_constantIbLb1EES11_EEDaSW_SX_EUlSW_E_NS1_11comp_targetILNS1_3genE4ELNS1_11target_archE910ELNS1_3gpuE8ELNS1_3repE0EEENS1_30default_config_static_selectorELNS0_4arch9wavefront6targetE0EEEvT1_.num_vgpr, 0
	.set _ZN7rocprim17ROCPRIM_400000_NS6detail17trampoline_kernelINS0_14default_configENS1_27scan_by_key_config_selectorIifEEZZNS1_16scan_by_key_implILNS1_25lookback_scan_determinismE0ELb0ES3_N6thrust23THRUST_200600_302600_NS6detail15normal_iteratorINS9_10device_ptrIiEEEENSB_INSC_IfEEEESG_fNS9_4plusIvEENS9_8equal_toIvEEfEE10hipError_tPvRmT2_T3_T4_T5_mT6_T7_P12ihipStream_tbENKUlT_T0_E_clISt17integral_constantIbLb1EES11_EEDaSW_SX_EUlSW_E_NS1_11comp_targetILNS1_3genE4ELNS1_11target_archE910ELNS1_3gpuE8ELNS1_3repE0EEENS1_30default_config_static_selectorELNS0_4arch9wavefront6targetE0EEEvT1_.num_agpr, 0
	.set _ZN7rocprim17ROCPRIM_400000_NS6detail17trampoline_kernelINS0_14default_configENS1_27scan_by_key_config_selectorIifEEZZNS1_16scan_by_key_implILNS1_25lookback_scan_determinismE0ELb0ES3_N6thrust23THRUST_200600_302600_NS6detail15normal_iteratorINS9_10device_ptrIiEEEENSB_INSC_IfEEEESG_fNS9_4plusIvEENS9_8equal_toIvEEfEE10hipError_tPvRmT2_T3_T4_T5_mT6_T7_P12ihipStream_tbENKUlT_T0_E_clISt17integral_constantIbLb1EES11_EEDaSW_SX_EUlSW_E_NS1_11comp_targetILNS1_3genE4ELNS1_11target_archE910ELNS1_3gpuE8ELNS1_3repE0EEENS1_30default_config_static_selectorELNS0_4arch9wavefront6targetE0EEEvT1_.numbered_sgpr, 0
	.set _ZN7rocprim17ROCPRIM_400000_NS6detail17trampoline_kernelINS0_14default_configENS1_27scan_by_key_config_selectorIifEEZZNS1_16scan_by_key_implILNS1_25lookback_scan_determinismE0ELb0ES3_N6thrust23THRUST_200600_302600_NS6detail15normal_iteratorINS9_10device_ptrIiEEEENSB_INSC_IfEEEESG_fNS9_4plusIvEENS9_8equal_toIvEEfEE10hipError_tPvRmT2_T3_T4_T5_mT6_T7_P12ihipStream_tbENKUlT_T0_E_clISt17integral_constantIbLb1EES11_EEDaSW_SX_EUlSW_E_NS1_11comp_targetILNS1_3genE4ELNS1_11target_archE910ELNS1_3gpuE8ELNS1_3repE0EEENS1_30default_config_static_selectorELNS0_4arch9wavefront6targetE0EEEvT1_.num_named_barrier, 0
	.set _ZN7rocprim17ROCPRIM_400000_NS6detail17trampoline_kernelINS0_14default_configENS1_27scan_by_key_config_selectorIifEEZZNS1_16scan_by_key_implILNS1_25lookback_scan_determinismE0ELb0ES3_N6thrust23THRUST_200600_302600_NS6detail15normal_iteratorINS9_10device_ptrIiEEEENSB_INSC_IfEEEESG_fNS9_4plusIvEENS9_8equal_toIvEEfEE10hipError_tPvRmT2_T3_T4_T5_mT6_T7_P12ihipStream_tbENKUlT_T0_E_clISt17integral_constantIbLb1EES11_EEDaSW_SX_EUlSW_E_NS1_11comp_targetILNS1_3genE4ELNS1_11target_archE910ELNS1_3gpuE8ELNS1_3repE0EEENS1_30default_config_static_selectorELNS0_4arch9wavefront6targetE0EEEvT1_.private_seg_size, 0
	.set _ZN7rocprim17ROCPRIM_400000_NS6detail17trampoline_kernelINS0_14default_configENS1_27scan_by_key_config_selectorIifEEZZNS1_16scan_by_key_implILNS1_25lookback_scan_determinismE0ELb0ES3_N6thrust23THRUST_200600_302600_NS6detail15normal_iteratorINS9_10device_ptrIiEEEENSB_INSC_IfEEEESG_fNS9_4plusIvEENS9_8equal_toIvEEfEE10hipError_tPvRmT2_T3_T4_T5_mT6_T7_P12ihipStream_tbENKUlT_T0_E_clISt17integral_constantIbLb1EES11_EEDaSW_SX_EUlSW_E_NS1_11comp_targetILNS1_3genE4ELNS1_11target_archE910ELNS1_3gpuE8ELNS1_3repE0EEENS1_30default_config_static_selectorELNS0_4arch9wavefront6targetE0EEEvT1_.uses_vcc, 0
	.set _ZN7rocprim17ROCPRIM_400000_NS6detail17trampoline_kernelINS0_14default_configENS1_27scan_by_key_config_selectorIifEEZZNS1_16scan_by_key_implILNS1_25lookback_scan_determinismE0ELb0ES3_N6thrust23THRUST_200600_302600_NS6detail15normal_iteratorINS9_10device_ptrIiEEEENSB_INSC_IfEEEESG_fNS9_4plusIvEENS9_8equal_toIvEEfEE10hipError_tPvRmT2_T3_T4_T5_mT6_T7_P12ihipStream_tbENKUlT_T0_E_clISt17integral_constantIbLb1EES11_EEDaSW_SX_EUlSW_E_NS1_11comp_targetILNS1_3genE4ELNS1_11target_archE910ELNS1_3gpuE8ELNS1_3repE0EEENS1_30default_config_static_selectorELNS0_4arch9wavefront6targetE0EEEvT1_.uses_flat_scratch, 0
	.set _ZN7rocprim17ROCPRIM_400000_NS6detail17trampoline_kernelINS0_14default_configENS1_27scan_by_key_config_selectorIifEEZZNS1_16scan_by_key_implILNS1_25lookback_scan_determinismE0ELb0ES3_N6thrust23THRUST_200600_302600_NS6detail15normal_iteratorINS9_10device_ptrIiEEEENSB_INSC_IfEEEESG_fNS9_4plusIvEENS9_8equal_toIvEEfEE10hipError_tPvRmT2_T3_T4_T5_mT6_T7_P12ihipStream_tbENKUlT_T0_E_clISt17integral_constantIbLb1EES11_EEDaSW_SX_EUlSW_E_NS1_11comp_targetILNS1_3genE4ELNS1_11target_archE910ELNS1_3gpuE8ELNS1_3repE0EEENS1_30default_config_static_selectorELNS0_4arch9wavefront6targetE0EEEvT1_.has_dyn_sized_stack, 0
	.set _ZN7rocprim17ROCPRIM_400000_NS6detail17trampoline_kernelINS0_14default_configENS1_27scan_by_key_config_selectorIifEEZZNS1_16scan_by_key_implILNS1_25lookback_scan_determinismE0ELb0ES3_N6thrust23THRUST_200600_302600_NS6detail15normal_iteratorINS9_10device_ptrIiEEEENSB_INSC_IfEEEESG_fNS9_4plusIvEENS9_8equal_toIvEEfEE10hipError_tPvRmT2_T3_T4_T5_mT6_T7_P12ihipStream_tbENKUlT_T0_E_clISt17integral_constantIbLb1EES11_EEDaSW_SX_EUlSW_E_NS1_11comp_targetILNS1_3genE4ELNS1_11target_archE910ELNS1_3gpuE8ELNS1_3repE0EEENS1_30default_config_static_selectorELNS0_4arch9wavefront6targetE0EEEvT1_.has_recursion, 0
	.set _ZN7rocprim17ROCPRIM_400000_NS6detail17trampoline_kernelINS0_14default_configENS1_27scan_by_key_config_selectorIifEEZZNS1_16scan_by_key_implILNS1_25lookback_scan_determinismE0ELb0ES3_N6thrust23THRUST_200600_302600_NS6detail15normal_iteratorINS9_10device_ptrIiEEEENSB_INSC_IfEEEESG_fNS9_4plusIvEENS9_8equal_toIvEEfEE10hipError_tPvRmT2_T3_T4_T5_mT6_T7_P12ihipStream_tbENKUlT_T0_E_clISt17integral_constantIbLb1EES11_EEDaSW_SX_EUlSW_E_NS1_11comp_targetILNS1_3genE4ELNS1_11target_archE910ELNS1_3gpuE8ELNS1_3repE0EEENS1_30default_config_static_selectorELNS0_4arch9wavefront6targetE0EEEvT1_.has_indirect_call, 0
	.section	.AMDGPU.csdata,"",@progbits
; Kernel info:
; codeLenInByte = 0
; TotalNumSgprs: 0
; NumVgprs: 0
; ScratchSize: 0
; MemoryBound: 0
; FloatMode: 240
; IeeeMode: 1
; LDSByteSize: 0 bytes/workgroup (compile time only)
; SGPRBlocks: 0
; VGPRBlocks: 0
; NumSGPRsForWavesPerEU: 1
; NumVGPRsForWavesPerEU: 1
; Occupancy: 16
; WaveLimiterHint : 0
; COMPUTE_PGM_RSRC2:SCRATCH_EN: 0
; COMPUTE_PGM_RSRC2:USER_SGPR: 6
; COMPUTE_PGM_RSRC2:TRAP_HANDLER: 0
; COMPUTE_PGM_RSRC2:TGID_X_EN: 1
; COMPUTE_PGM_RSRC2:TGID_Y_EN: 0
; COMPUTE_PGM_RSRC2:TGID_Z_EN: 0
; COMPUTE_PGM_RSRC2:TIDIG_COMP_CNT: 0
	.section	.text._ZN7rocprim17ROCPRIM_400000_NS6detail17trampoline_kernelINS0_14default_configENS1_27scan_by_key_config_selectorIifEEZZNS1_16scan_by_key_implILNS1_25lookback_scan_determinismE0ELb0ES3_N6thrust23THRUST_200600_302600_NS6detail15normal_iteratorINS9_10device_ptrIiEEEENSB_INSC_IfEEEESG_fNS9_4plusIvEENS9_8equal_toIvEEfEE10hipError_tPvRmT2_T3_T4_T5_mT6_T7_P12ihipStream_tbENKUlT_T0_E_clISt17integral_constantIbLb1EES11_EEDaSW_SX_EUlSW_E_NS1_11comp_targetILNS1_3genE3ELNS1_11target_archE908ELNS1_3gpuE7ELNS1_3repE0EEENS1_30default_config_static_selectorELNS0_4arch9wavefront6targetE0EEEvT1_,"axG",@progbits,_ZN7rocprim17ROCPRIM_400000_NS6detail17trampoline_kernelINS0_14default_configENS1_27scan_by_key_config_selectorIifEEZZNS1_16scan_by_key_implILNS1_25lookback_scan_determinismE0ELb0ES3_N6thrust23THRUST_200600_302600_NS6detail15normal_iteratorINS9_10device_ptrIiEEEENSB_INSC_IfEEEESG_fNS9_4plusIvEENS9_8equal_toIvEEfEE10hipError_tPvRmT2_T3_T4_T5_mT6_T7_P12ihipStream_tbENKUlT_T0_E_clISt17integral_constantIbLb1EES11_EEDaSW_SX_EUlSW_E_NS1_11comp_targetILNS1_3genE3ELNS1_11target_archE908ELNS1_3gpuE7ELNS1_3repE0EEENS1_30default_config_static_selectorELNS0_4arch9wavefront6targetE0EEEvT1_,comdat
	.protected	_ZN7rocprim17ROCPRIM_400000_NS6detail17trampoline_kernelINS0_14default_configENS1_27scan_by_key_config_selectorIifEEZZNS1_16scan_by_key_implILNS1_25lookback_scan_determinismE0ELb0ES3_N6thrust23THRUST_200600_302600_NS6detail15normal_iteratorINS9_10device_ptrIiEEEENSB_INSC_IfEEEESG_fNS9_4plusIvEENS9_8equal_toIvEEfEE10hipError_tPvRmT2_T3_T4_T5_mT6_T7_P12ihipStream_tbENKUlT_T0_E_clISt17integral_constantIbLb1EES11_EEDaSW_SX_EUlSW_E_NS1_11comp_targetILNS1_3genE3ELNS1_11target_archE908ELNS1_3gpuE7ELNS1_3repE0EEENS1_30default_config_static_selectorELNS0_4arch9wavefront6targetE0EEEvT1_ ; -- Begin function _ZN7rocprim17ROCPRIM_400000_NS6detail17trampoline_kernelINS0_14default_configENS1_27scan_by_key_config_selectorIifEEZZNS1_16scan_by_key_implILNS1_25lookback_scan_determinismE0ELb0ES3_N6thrust23THRUST_200600_302600_NS6detail15normal_iteratorINS9_10device_ptrIiEEEENSB_INSC_IfEEEESG_fNS9_4plusIvEENS9_8equal_toIvEEfEE10hipError_tPvRmT2_T3_T4_T5_mT6_T7_P12ihipStream_tbENKUlT_T0_E_clISt17integral_constantIbLb1EES11_EEDaSW_SX_EUlSW_E_NS1_11comp_targetILNS1_3genE3ELNS1_11target_archE908ELNS1_3gpuE7ELNS1_3repE0EEENS1_30default_config_static_selectorELNS0_4arch9wavefront6targetE0EEEvT1_
	.globl	_ZN7rocprim17ROCPRIM_400000_NS6detail17trampoline_kernelINS0_14default_configENS1_27scan_by_key_config_selectorIifEEZZNS1_16scan_by_key_implILNS1_25lookback_scan_determinismE0ELb0ES3_N6thrust23THRUST_200600_302600_NS6detail15normal_iteratorINS9_10device_ptrIiEEEENSB_INSC_IfEEEESG_fNS9_4plusIvEENS9_8equal_toIvEEfEE10hipError_tPvRmT2_T3_T4_T5_mT6_T7_P12ihipStream_tbENKUlT_T0_E_clISt17integral_constantIbLb1EES11_EEDaSW_SX_EUlSW_E_NS1_11comp_targetILNS1_3genE3ELNS1_11target_archE908ELNS1_3gpuE7ELNS1_3repE0EEENS1_30default_config_static_selectorELNS0_4arch9wavefront6targetE0EEEvT1_
	.p2align	8
	.type	_ZN7rocprim17ROCPRIM_400000_NS6detail17trampoline_kernelINS0_14default_configENS1_27scan_by_key_config_selectorIifEEZZNS1_16scan_by_key_implILNS1_25lookback_scan_determinismE0ELb0ES3_N6thrust23THRUST_200600_302600_NS6detail15normal_iteratorINS9_10device_ptrIiEEEENSB_INSC_IfEEEESG_fNS9_4plusIvEENS9_8equal_toIvEEfEE10hipError_tPvRmT2_T3_T4_T5_mT6_T7_P12ihipStream_tbENKUlT_T0_E_clISt17integral_constantIbLb1EES11_EEDaSW_SX_EUlSW_E_NS1_11comp_targetILNS1_3genE3ELNS1_11target_archE908ELNS1_3gpuE7ELNS1_3repE0EEENS1_30default_config_static_selectorELNS0_4arch9wavefront6targetE0EEEvT1_,@function
_ZN7rocprim17ROCPRIM_400000_NS6detail17trampoline_kernelINS0_14default_configENS1_27scan_by_key_config_selectorIifEEZZNS1_16scan_by_key_implILNS1_25lookback_scan_determinismE0ELb0ES3_N6thrust23THRUST_200600_302600_NS6detail15normal_iteratorINS9_10device_ptrIiEEEENSB_INSC_IfEEEESG_fNS9_4plusIvEENS9_8equal_toIvEEfEE10hipError_tPvRmT2_T3_T4_T5_mT6_T7_P12ihipStream_tbENKUlT_T0_E_clISt17integral_constantIbLb1EES11_EEDaSW_SX_EUlSW_E_NS1_11comp_targetILNS1_3genE3ELNS1_11target_archE908ELNS1_3gpuE7ELNS1_3repE0EEENS1_30default_config_static_selectorELNS0_4arch9wavefront6targetE0EEEvT1_: ; @_ZN7rocprim17ROCPRIM_400000_NS6detail17trampoline_kernelINS0_14default_configENS1_27scan_by_key_config_selectorIifEEZZNS1_16scan_by_key_implILNS1_25lookback_scan_determinismE0ELb0ES3_N6thrust23THRUST_200600_302600_NS6detail15normal_iteratorINS9_10device_ptrIiEEEENSB_INSC_IfEEEESG_fNS9_4plusIvEENS9_8equal_toIvEEfEE10hipError_tPvRmT2_T3_T4_T5_mT6_T7_P12ihipStream_tbENKUlT_T0_E_clISt17integral_constantIbLb1EES11_EEDaSW_SX_EUlSW_E_NS1_11comp_targetILNS1_3genE3ELNS1_11target_archE908ELNS1_3gpuE7ELNS1_3repE0EEENS1_30default_config_static_selectorELNS0_4arch9wavefront6targetE0EEEvT1_
; %bb.0:
	.section	.rodata,"a",@progbits
	.p2align	6, 0x0
	.amdhsa_kernel _ZN7rocprim17ROCPRIM_400000_NS6detail17trampoline_kernelINS0_14default_configENS1_27scan_by_key_config_selectorIifEEZZNS1_16scan_by_key_implILNS1_25lookback_scan_determinismE0ELb0ES3_N6thrust23THRUST_200600_302600_NS6detail15normal_iteratorINS9_10device_ptrIiEEEENSB_INSC_IfEEEESG_fNS9_4plusIvEENS9_8equal_toIvEEfEE10hipError_tPvRmT2_T3_T4_T5_mT6_T7_P12ihipStream_tbENKUlT_T0_E_clISt17integral_constantIbLb1EES11_EEDaSW_SX_EUlSW_E_NS1_11comp_targetILNS1_3genE3ELNS1_11target_archE908ELNS1_3gpuE7ELNS1_3repE0EEENS1_30default_config_static_selectorELNS0_4arch9wavefront6targetE0EEEvT1_
		.amdhsa_group_segment_fixed_size 0
		.amdhsa_private_segment_fixed_size 0
		.amdhsa_kernarg_size 112
		.amdhsa_user_sgpr_count 6
		.amdhsa_user_sgpr_private_segment_buffer 1
		.amdhsa_user_sgpr_dispatch_ptr 0
		.amdhsa_user_sgpr_queue_ptr 0
		.amdhsa_user_sgpr_kernarg_segment_ptr 1
		.amdhsa_user_sgpr_dispatch_id 0
		.amdhsa_user_sgpr_flat_scratch_init 0
		.amdhsa_user_sgpr_private_segment_size 0
		.amdhsa_wavefront_size32 1
		.amdhsa_uses_dynamic_stack 0
		.amdhsa_system_sgpr_private_segment_wavefront_offset 0
		.amdhsa_system_sgpr_workgroup_id_x 1
		.amdhsa_system_sgpr_workgroup_id_y 0
		.amdhsa_system_sgpr_workgroup_id_z 0
		.amdhsa_system_sgpr_workgroup_info 0
		.amdhsa_system_vgpr_workitem_id 0
		.amdhsa_next_free_vgpr 1
		.amdhsa_next_free_sgpr 1
		.amdhsa_reserve_vcc 0
		.amdhsa_reserve_flat_scratch 0
		.amdhsa_float_round_mode_32 0
		.amdhsa_float_round_mode_16_64 0
		.amdhsa_float_denorm_mode_32 3
		.amdhsa_float_denorm_mode_16_64 3
		.amdhsa_dx10_clamp 1
		.amdhsa_ieee_mode 1
		.amdhsa_fp16_overflow 0
		.amdhsa_workgroup_processor_mode 1
		.amdhsa_memory_ordered 1
		.amdhsa_forward_progress 1
		.amdhsa_shared_vgpr_count 0
		.amdhsa_exception_fp_ieee_invalid_op 0
		.amdhsa_exception_fp_denorm_src 0
		.amdhsa_exception_fp_ieee_div_zero 0
		.amdhsa_exception_fp_ieee_overflow 0
		.amdhsa_exception_fp_ieee_underflow 0
		.amdhsa_exception_fp_ieee_inexact 0
		.amdhsa_exception_int_div_zero 0
	.end_amdhsa_kernel
	.section	.text._ZN7rocprim17ROCPRIM_400000_NS6detail17trampoline_kernelINS0_14default_configENS1_27scan_by_key_config_selectorIifEEZZNS1_16scan_by_key_implILNS1_25lookback_scan_determinismE0ELb0ES3_N6thrust23THRUST_200600_302600_NS6detail15normal_iteratorINS9_10device_ptrIiEEEENSB_INSC_IfEEEESG_fNS9_4plusIvEENS9_8equal_toIvEEfEE10hipError_tPvRmT2_T3_T4_T5_mT6_T7_P12ihipStream_tbENKUlT_T0_E_clISt17integral_constantIbLb1EES11_EEDaSW_SX_EUlSW_E_NS1_11comp_targetILNS1_3genE3ELNS1_11target_archE908ELNS1_3gpuE7ELNS1_3repE0EEENS1_30default_config_static_selectorELNS0_4arch9wavefront6targetE0EEEvT1_,"axG",@progbits,_ZN7rocprim17ROCPRIM_400000_NS6detail17trampoline_kernelINS0_14default_configENS1_27scan_by_key_config_selectorIifEEZZNS1_16scan_by_key_implILNS1_25lookback_scan_determinismE0ELb0ES3_N6thrust23THRUST_200600_302600_NS6detail15normal_iteratorINS9_10device_ptrIiEEEENSB_INSC_IfEEEESG_fNS9_4plusIvEENS9_8equal_toIvEEfEE10hipError_tPvRmT2_T3_T4_T5_mT6_T7_P12ihipStream_tbENKUlT_T0_E_clISt17integral_constantIbLb1EES11_EEDaSW_SX_EUlSW_E_NS1_11comp_targetILNS1_3genE3ELNS1_11target_archE908ELNS1_3gpuE7ELNS1_3repE0EEENS1_30default_config_static_selectorELNS0_4arch9wavefront6targetE0EEEvT1_,comdat
.Lfunc_end1145:
	.size	_ZN7rocprim17ROCPRIM_400000_NS6detail17trampoline_kernelINS0_14default_configENS1_27scan_by_key_config_selectorIifEEZZNS1_16scan_by_key_implILNS1_25lookback_scan_determinismE0ELb0ES3_N6thrust23THRUST_200600_302600_NS6detail15normal_iteratorINS9_10device_ptrIiEEEENSB_INSC_IfEEEESG_fNS9_4plusIvEENS9_8equal_toIvEEfEE10hipError_tPvRmT2_T3_T4_T5_mT6_T7_P12ihipStream_tbENKUlT_T0_E_clISt17integral_constantIbLb1EES11_EEDaSW_SX_EUlSW_E_NS1_11comp_targetILNS1_3genE3ELNS1_11target_archE908ELNS1_3gpuE7ELNS1_3repE0EEENS1_30default_config_static_selectorELNS0_4arch9wavefront6targetE0EEEvT1_, .Lfunc_end1145-_ZN7rocprim17ROCPRIM_400000_NS6detail17trampoline_kernelINS0_14default_configENS1_27scan_by_key_config_selectorIifEEZZNS1_16scan_by_key_implILNS1_25lookback_scan_determinismE0ELb0ES3_N6thrust23THRUST_200600_302600_NS6detail15normal_iteratorINS9_10device_ptrIiEEEENSB_INSC_IfEEEESG_fNS9_4plusIvEENS9_8equal_toIvEEfEE10hipError_tPvRmT2_T3_T4_T5_mT6_T7_P12ihipStream_tbENKUlT_T0_E_clISt17integral_constantIbLb1EES11_EEDaSW_SX_EUlSW_E_NS1_11comp_targetILNS1_3genE3ELNS1_11target_archE908ELNS1_3gpuE7ELNS1_3repE0EEENS1_30default_config_static_selectorELNS0_4arch9wavefront6targetE0EEEvT1_
                                        ; -- End function
	.set _ZN7rocprim17ROCPRIM_400000_NS6detail17trampoline_kernelINS0_14default_configENS1_27scan_by_key_config_selectorIifEEZZNS1_16scan_by_key_implILNS1_25lookback_scan_determinismE0ELb0ES3_N6thrust23THRUST_200600_302600_NS6detail15normal_iteratorINS9_10device_ptrIiEEEENSB_INSC_IfEEEESG_fNS9_4plusIvEENS9_8equal_toIvEEfEE10hipError_tPvRmT2_T3_T4_T5_mT6_T7_P12ihipStream_tbENKUlT_T0_E_clISt17integral_constantIbLb1EES11_EEDaSW_SX_EUlSW_E_NS1_11comp_targetILNS1_3genE3ELNS1_11target_archE908ELNS1_3gpuE7ELNS1_3repE0EEENS1_30default_config_static_selectorELNS0_4arch9wavefront6targetE0EEEvT1_.num_vgpr, 0
	.set _ZN7rocprim17ROCPRIM_400000_NS6detail17trampoline_kernelINS0_14default_configENS1_27scan_by_key_config_selectorIifEEZZNS1_16scan_by_key_implILNS1_25lookback_scan_determinismE0ELb0ES3_N6thrust23THRUST_200600_302600_NS6detail15normal_iteratorINS9_10device_ptrIiEEEENSB_INSC_IfEEEESG_fNS9_4plusIvEENS9_8equal_toIvEEfEE10hipError_tPvRmT2_T3_T4_T5_mT6_T7_P12ihipStream_tbENKUlT_T0_E_clISt17integral_constantIbLb1EES11_EEDaSW_SX_EUlSW_E_NS1_11comp_targetILNS1_3genE3ELNS1_11target_archE908ELNS1_3gpuE7ELNS1_3repE0EEENS1_30default_config_static_selectorELNS0_4arch9wavefront6targetE0EEEvT1_.num_agpr, 0
	.set _ZN7rocprim17ROCPRIM_400000_NS6detail17trampoline_kernelINS0_14default_configENS1_27scan_by_key_config_selectorIifEEZZNS1_16scan_by_key_implILNS1_25lookback_scan_determinismE0ELb0ES3_N6thrust23THRUST_200600_302600_NS6detail15normal_iteratorINS9_10device_ptrIiEEEENSB_INSC_IfEEEESG_fNS9_4plusIvEENS9_8equal_toIvEEfEE10hipError_tPvRmT2_T3_T4_T5_mT6_T7_P12ihipStream_tbENKUlT_T0_E_clISt17integral_constantIbLb1EES11_EEDaSW_SX_EUlSW_E_NS1_11comp_targetILNS1_3genE3ELNS1_11target_archE908ELNS1_3gpuE7ELNS1_3repE0EEENS1_30default_config_static_selectorELNS0_4arch9wavefront6targetE0EEEvT1_.numbered_sgpr, 0
	.set _ZN7rocprim17ROCPRIM_400000_NS6detail17trampoline_kernelINS0_14default_configENS1_27scan_by_key_config_selectorIifEEZZNS1_16scan_by_key_implILNS1_25lookback_scan_determinismE0ELb0ES3_N6thrust23THRUST_200600_302600_NS6detail15normal_iteratorINS9_10device_ptrIiEEEENSB_INSC_IfEEEESG_fNS9_4plusIvEENS9_8equal_toIvEEfEE10hipError_tPvRmT2_T3_T4_T5_mT6_T7_P12ihipStream_tbENKUlT_T0_E_clISt17integral_constantIbLb1EES11_EEDaSW_SX_EUlSW_E_NS1_11comp_targetILNS1_3genE3ELNS1_11target_archE908ELNS1_3gpuE7ELNS1_3repE0EEENS1_30default_config_static_selectorELNS0_4arch9wavefront6targetE0EEEvT1_.num_named_barrier, 0
	.set _ZN7rocprim17ROCPRIM_400000_NS6detail17trampoline_kernelINS0_14default_configENS1_27scan_by_key_config_selectorIifEEZZNS1_16scan_by_key_implILNS1_25lookback_scan_determinismE0ELb0ES3_N6thrust23THRUST_200600_302600_NS6detail15normal_iteratorINS9_10device_ptrIiEEEENSB_INSC_IfEEEESG_fNS9_4plusIvEENS9_8equal_toIvEEfEE10hipError_tPvRmT2_T3_T4_T5_mT6_T7_P12ihipStream_tbENKUlT_T0_E_clISt17integral_constantIbLb1EES11_EEDaSW_SX_EUlSW_E_NS1_11comp_targetILNS1_3genE3ELNS1_11target_archE908ELNS1_3gpuE7ELNS1_3repE0EEENS1_30default_config_static_selectorELNS0_4arch9wavefront6targetE0EEEvT1_.private_seg_size, 0
	.set _ZN7rocprim17ROCPRIM_400000_NS6detail17trampoline_kernelINS0_14default_configENS1_27scan_by_key_config_selectorIifEEZZNS1_16scan_by_key_implILNS1_25lookback_scan_determinismE0ELb0ES3_N6thrust23THRUST_200600_302600_NS6detail15normal_iteratorINS9_10device_ptrIiEEEENSB_INSC_IfEEEESG_fNS9_4plusIvEENS9_8equal_toIvEEfEE10hipError_tPvRmT2_T3_T4_T5_mT6_T7_P12ihipStream_tbENKUlT_T0_E_clISt17integral_constantIbLb1EES11_EEDaSW_SX_EUlSW_E_NS1_11comp_targetILNS1_3genE3ELNS1_11target_archE908ELNS1_3gpuE7ELNS1_3repE0EEENS1_30default_config_static_selectorELNS0_4arch9wavefront6targetE0EEEvT1_.uses_vcc, 0
	.set _ZN7rocprim17ROCPRIM_400000_NS6detail17trampoline_kernelINS0_14default_configENS1_27scan_by_key_config_selectorIifEEZZNS1_16scan_by_key_implILNS1_25lookback_scan_determinismE0ELb0ES3_N6thrust23THRUST_200600_302600_NS6detail15normal_iteratorINS9_10device_ptrIiEEEENSB_INSC_IfEEEESG_fNS9_4plusIvEENS9_8equal_toIvEEfEE10hipError_tPvRmT2_T3_T4_T5_mT6_T7_P12ihipStream_tbENKUlT_T0_E_clISt17integral_constantIbLb1EES11_EEDaSW_SX_EUlSW_E_NS1_11comp_targetILNS1_3genE3ELNS1_11target_archE908ELNS1_3gpuE7ELNS1_3repE0EEENS1_30default_config_static_selectorELNS0_4arch9wavefront6targetE0EEEvT1_.uses_flat_scratch, 0
	.set _ZN7rocprim17ROCPRIM_400000_NS6detail17trampoline_kernelINS0_14default_configENS1_27scan_by_key_config_selectorIifEEZZNS1_16scan_by_key_implILNS1_25lookback_scan_determinismE0ELb0ES3_N6thrust23THRUST_200600_302600_NS6detail15normal_iteratorINS9_10device_ptrIiEEEENSB_INSC_IfEEEESG_fNS9_4plusIvEENS9_8equal_toIvEEfEE10hipError_tPvRmT2_T3_T4_T5_mT6_T7_P12ihipStream_tbENKUlT_T0_E_clISt17integral_constantIbLb1EES11_EEDaSW_SX_EUlSW_E_NS1_11comp_targetILNS1_3genE3ELNS1_11target_archE908ELNS1_3gpuE7ELNS1_3repE0EEENS1_30default_config_static_selectorELNS0_4arch9wavefront6targetE0EEEvT1_.has_dyn_sized_stack, 0
	.set _ZN7rocprim17ROCPRIM_400000_NS6detail17trampoline_kernelINS0_14default_configENS1_27scan_by_key_config_selectorIifEEZZNS1_16scan_by_key_implILNS1_25lookback_scan_determinismE0ELb0ES3_N6thrust23THRUST_200600_302600_NS6detail15normal_iteratorINS9_10device_ptrIiEEEENSB_INSC_IfEEEESG_fNS9_4plusIvEENS9_8equal_toIvEEfEE10hipError_tPvRmT2_T3_T4_T5_mT6_T7_P12ihipStream_tbENKUlT_T0_E_clISt17integral_constantIbLb1EES11_EEDaSW_SX_EUlSW_E_NS1_11comp_targetILNS1_3genE3ELNS1_11target_archE908ELNS1_3gpuE7ELNS1_3repE0EEENS1_30default_config_static_selectorELNS0_4arch9wavefront6targetE0EEEvT1_.has_recursion, 0
	.set _ZN7rocprim17ROCPRIM_400000_NS6detail17trampoline_kernelINS0_14default_configENS1_27scan_by_key_config_selectorIifEEZZNS1_16scan_by_key_implILNS1_25lookback_scan_determinismE0ELb0ES3_N6thrust23THRUST_200600_302600_NS6detail15normal_iteratorINS9_10device_ptrIiEEEENSB_INSC_IfEEEESG_fNS9_4plusIvEENS9_8equal_toIvEEfEE10hipError_tPvRmT2_T3_T4_T5_mT6_T7_P12ihipStream_tbENKUlT_T0_E_clISt17integral_constantIbLb1EES11_EEDaSW_SX_EUlSW_E_NS1_11comp_targetILNS1_3genE3ELNS1_11target_archE908ELNS1_3gpuE7ELNS1_3repE0EEENS1_30default_config_static_selectorELNS0_4arch9wavefront6targetE0EEEvT1_.has_indirect_call, 0
	.section	.AMDGPU.csdata,"",@progbits
; Kernel info:
; codeLenInByte = 0
; TotalNumSgprs: 0
; NumVgprs: 0
; ScratchSize: 0
; MemoryBound: 0
; FloatMode: 240
; IeeeMode: 1
; LDSByteSize: 0 bytes/workgroup (compile time only)
; SGPRBlocks: 0
; VGPRBlocks: 0
; NumSGPRsForWavesPerEU: 1
; NumVGPRsForWavesPerEU: 1
; Occupancy: 16
; WaveLimiterHint : 0
; COMPUTE_PGM_RSRC2:SCRATCH_EN: 0
; COMPUTE_PGM_RSRC2:USER_SGPR: 6
; COMPUTE_PGM_RSRC2:TRAP_HANDLER: 0
; COMPUTE_PGM_RSRC2:TGID_X_EN: 1
; COMPUTE_PGM_RSRC2:TGID_Y_EN: 0
; COMPUTE_PGM_RSRC2:TGID_Z_EN: 0
; COMPUTE_PGM_RSRC2:TIDIG_COMP_CNT: 0
	.section	.text._ZN7rocprim17ROCPRIM_400000_NS6detail17trampoline_kernelINS0_14default_configENS1_27scan_by_key_config_selectorIifEEZZNS1_16scan_by_key_implILNS1_25lookback_scan_determinismE0ELb0ES3_N6thrust23THRUST_200600_302600_NS6detail15normal_iteratorINS9_10device_ptrIiEEEENSB_INSC_IfEEEESG_fNS9_4plusIvEENS9_8equal_toIvEEfEE10hipError_tPvRmT2_T3_T4_T5_mT6_T7_P12ihipStream_tbENKUlT_T0_E_clISt17integral_constantIbLb1EES11_EEDaSW_SX_EUlSW_E_NS1_11comp_targetILNS1_3genE2ELNS1_11target_archE906ELNS1_3gpuE6ELNS1_3repE0EEENS1_30default_config_static_selectorELNS0_4arch9wavefront6targetE0EEEvT1_,"axG",@progbits,_ZN7rocprim17ROCPRIM_400000_NS6detail17trampoline_kernelINS0_14default_configENS1_27scan_by_key_config_selectorIifEEZZNS1_16scan_by_key_implILNS1_25lookback_scan_determinismE0ELb0ES3_N6thrust23THRUST_200600_302600_NS6detail15normal_iteratorINS9_10device_ptrIiEEEENSB_INSC_IfEEEESG_fNS9_4plusIvEENS9_8equal_toIvEEfEE10hipError_tPvRmT2_T3_T4_T5_mT6_T7_P12ihipStream_tbENKUlT_T0_E_clISt17integral_constantIbLb1EES11_EEDaSW_SX_EUlSW_E_NS1_11comp_targetILNS1_3genE2ELNS1_11target_archE906ELNS1_3gpuE6ELNS1_3repE0EEENS1_30default_config_static_selectorELNS0_4arch9wavefront6targetE0EEEvT1_,comdat
	.protected	_ZN7rocprim17ROCPRIM_400000_NS6detail17trampoline_kernelINS0_14default_configENS1_27scan_by_key_config_selectorIifEEZZNS1_16scan_by_key_implILNS1_25lookback_scan_determinismE0ELb0ES3_N6thrust23THRUST_200600_302600_NS6detail15normal_iteratorINS9_10device_ptrIiEEEENSB_INSC_IfEEEESG_fNS9_4plusIvEENS9_8equal_toIvEEfEE10hipError_tPvRmT2_T3_T4_T5_mT6_T7_P12ihipStream_tbENKUlT_T0_E_clISt17integral_constantIbLb1EES11_EEDaSW_SX_EUlSW_E_NS1_11comp_targetILNS1_3genE2ELNS1_11target_archE906ELNS1_3gpuE6ELNS1_3repE0EEENS1_30default_config_static_selectorELNS0_4arch9wavefront6targetE0EEEvT1_ ; -- Begin function _ZN7rocprim17ROCPRIM_400000_NS6detail17trampoline_kernelINS0_14default_configENS1_27scan_by_key_config_selectorIifEEZZNS1_16scan_by_key_implILNS1_25lookback_scan_determinismE0ELb0ES3_N6thrust23THRUST_200600_302600_NS6detail15normal_iteratorINS9_10device_ptrIiEEEENSB_INSC_IfEEEESG_fNS9_4plusIvEENS9_8equal_toIvEEfEE10hipError_tPvRmT2_T3_T4_T5_mT6_T7_P12ihipStream_tbENKUlT_T0_E_clISt17integral_constantIbLb1EES11_EEDaSW_SX_EUlSW_E_NS1_11comp_targetILNS1_3genE2ELNS1_11target_archE906ELNS1_3gpuE6ELNS1_3repE0EEENS1_30default_config_static_selectorELNS0_4arch9wavefront6targetE0EEEvT1_
	.globl	_ZN7rocprim17ROCPRIM_400000_NS6detail17trampoline_kernelINS0_14default_configENS1_27scan_by_key_config_selectorIifEEZZNS1_16scan_by_key_implILNS1_25lookback_scan_determinismE0ELb0ES3_N6thrust23THRUST_200600_302600_NS6detail15normal_iteratorINS9_10device_ptrIiEEEENSB_INSC_IfEEEESG_fNS9_4plusIvEENS9_8equal_toIvEEfEE10hipError_tPvRmT2_T3_T4_T5_mT6_T7_P12ihipStream_tbENKUlT_T0_E_clISt17integral_constantIbLb1EES11_EEDaSW_SX_EUlSW_E_NS1_11comp_targetILNS1_3genE2ELNS1_11target_archE906ELNS1_3gpuE6ELNS1_3repE0EEENS1_30default_config_static_selectorELNS0_4arch9wavefront6targetE0EEEvT1_
	.p2align	8
	.type	_ZN7rocprim17ROCPRIM_400000_NS6detail17trampoline_kernelINS0_14default_configENS1_27scan_by_key_config_selectorIifEEZZNS1_16scan_by_key_implILNS1_25lookback_scan_determinismE0ELb0ES3_N6thrust23THRUST_200600_302600_NS6detail15normal_iteratorINS9_10device_ptrIiEEEENSB_INSC_IfEEEESG_fNS9_4plusIvEENS9_8equal_toIvEEfEE10hipError_tPvRmT2_T3_T4_T5_mT6_T7_P12ihipStream_tbENKUlT_T0_E_clISt17integral_constantIbLb1EES11_EEDaSW_SX_EUlSW_E_NS1_11comp_targetILNS1_3genE2ELNS1_11target_archE906ELNS1_3gpuE6ELNS1_3repE0EEENS1_30default_config_static_selectorELNS0_4arch9wavefront6targetE0EEEvT1_,@function
_ZN7rocprim17ROCPRIM_400000_NS6detail17trampoline_kernelINS0_14default_configENS1_27scan_by_key_config_selectorIifEEZZNS1_16scan_by_key_implILNS1_25lookback_scan_determinismE0ELb0ES3_N6thrust23THRUST_200600_302600_NS6detail15normal_iteratorINS9_10device_ptrIiEEEENSB_INSC_IfEEEESG_fNS9_4plusIvEENS9_8equal_toIvEEfEE10hipError_tPvRmT2_T3_T4_T5_mT6_T7_P12ihipStream_tbENKUlT_T0_E_clISt17integral_constantIbLb1EES11_EEDaSW_SX_EUlSW_E_NS1_11comp_targetILNS1_3genE2ELNS1_11target_archE906ELNS1_3gpuE6ELNS1_3repE0EEENS1_30default_config_static_selectorELNS0_4arch9wavefront6targetE0EEEvT1_: ; @_ZN7rocprim17ROCPRIM_400000_NS6detail17trampoline_kernelINS0_14default_configENS1_27scan_by_key_config_selectorIifEEZZNS1_16scan_by_key_implILNS1_25lookback_scan_determinismE0ELb0ES3_N6thrust23THRUST_200600_302600_NS6detail15normal_iteratorINS9_10device_ptrIiEEEENSB_INSC_IfEEEESG_fNS9_4plusIvEENS9_8equal_toIvEEfEE10hipError_tPvRmT2_T3_T4_T5_mT6_T7_P12ihipStream_tbENKUlT_T0_E_clISt17integral_constantIbLb1EES11_EEDaSW_SX_EUlSW_E_NS1_11comp_targetILNS1_3genE2ELNS1_11target_archE906ELNS1_3gpuE6ELNS1_3repE0EEENS1_30default_config_static_selectorELNS0_4arch9wavefront6targetE0EEEvT1_
; %bb.0:
	.section	.rodata,"a",@progbits
	.p2align	6, 0x0
	.amdhsa_kernel _ZN7rocprim17ROCPRIM_400000_NS6detail17trampoline_kernelINS0_14default_configENS1_27scan_by_key_config_selectorIifEEZZNS1_16scan_by_key_implILNS1_25lookback_scan_determinismE0ELb0ES3_N6thrust23THRUST_200600_302600_NS6detail15normal_iteratorINS9_10device_ptrIiEEEENSB_INSC_IfEEEESG_fNS9_4plusIvEENS9_8equal_toIvEEfEE10hipError_tPvRmT2_T3_T4_T5_mT6_T7_P12ihipStream_tbENKUlT_T0_E_clISt17integral_constantIbLb1EES11_EEDaSW_SX_EUlSW_E_NS1_11comp_targetILNS1_3genE2ELNS1_11target_archE906ELNS1_3gpuE6ELNS1_3repE0EEENS1_30default_config_static_selectorELNS0_4arch9wavefront6targetE0EEEvT1_
		.amdhsa_group_segment_fixed_size 0
		.amdhsa_private_segment_fixed_size 0
		.amdhsa_kernarg_size 112
		.amdhsa_user_sgpr_count 6
		.amdhsa_user_sgpr_private_segment_buffer 1
		.amdhsa_user_sgpr_dispatch_ptr 0
		.amdhsa_user_sgpr_queue_ptr 0
		.amdhsa_user_sgpr_kernarg_segment_ptr 1
		.amdhsa_user_sgpr_dispatch_id 0
		.amdhsa_user_sgpr_flat_scratch_init 0
		.amdhsa_user_sgpr_private_segment_size 0
		.amdhsa_wavefront_size32 1
		.amdhsa_uses_dynamic_stack 0
		.amdhsa_system_sgpr_private_segment_wavefront_offset 0
		.amdhsa_system_sgpr_workgroup_id_x 1
		.amdhsa_system_sgpr_workgroup_id_y 0
		.amdhsa_system_sgpr_workgroup_id_z 0
		.amdhsa_system_sgpr_workgroup_info 0
		.amdhsa_system_vgpr_workitem_id 0
		.amdhsa_next_free_vgpr 1
		.amdhsa_next_free_sgpr 1
		.amdhsa_reserve_vcc 0
		.amdhsa_reserve_flat_scratch 0
		.amdhsa_float_round_mode_32 0
		.amdhsa_float_round_mode_16_64 0
		.amdhsa_float_denorm_mode_32 3
		.amdhsa_float_denorm_mode_16_64 3
		.amdhsa_dx10_clamp 1
		.amdhsa_ieee_mode 1
		.amdhsa_fp16_overflow 0
		.amdhsa_workgroup_processor_mode 1
		.amdhsa_memory_ordered 1
		.amdhsa_forward_progress 1
		.amdhsa_shared_vgpr_count 0
		.amdhsa_exception_fp_ieee_invalid_op 0
		.amdhsa_exception_fp_denorm_src 0
		.amdhsa_exception_fp_ieee_div_zero 0
		.amdhsa_exception_fp_ieee_overflow 0
		.amdhsa_exception_fp_ieee_underflow 0
		.amdhsa_exception_fp_ieee_inexact 0
		.amdhsa_exception_int_div_zero 0
	.end_amdhsa_kernel
	.section	.text._ZN7rocprim17ROCPRIM_400000_NS6detail17trampoline_kernelINS0_14default_configENS1_27scan_by_key_config_selectorIifEEZZNS1_16scan_by_key_implILNS1_25lookback_scan_determinismE0ELb0ES3_N6thrust23THRUST_200600_302600_NS6detail15normal_iteratorINS9_10device_ptrIiEEEENSB_INSC_IfEEEESG_fNS9_4plusIvEENS9_8equal_toIvEEfEE10hipError_tPvRmT2_T3_T4_T5_mT6_T7_P12ihipStream_tbENKUlT_T0_E_clISt17integral_constantIbLb1EES11_EEDaSW_SX_EUlSW_E_NS1_11comp_targetILNS1_3genE2ELNS1_11target_archE906ELNS1_3gpuE6ELNS1_3repE0EEENS1_30default_config_static_selectorELNS0_4arch9wavefront6targetE0EEEvT1_,"axG",@progbits,_ZN7rocprim17ROCPRIM_400000_NS6detail17trampoline_kernelINS0_14default_configENS1_27scan_by_key_config_selectorIifEEZZNS1_16scan_by_key_implILNS1_25lookback_scan_determinismE0ELb0ES3_N6thrust23THRUST_200600_302600_NS6detail15normal_iteratorINS9_10device_ptrIiEEEENSB_INSC_IfEEEESG_fNS9_4plusIvEENS9_8equal_toIvEEfEE10hipError_tPvRmT2_T3_T4_T5_mT6_T7_P12ihipStream_tbENKUlT_T0_E_clISt17integral_constantIbLb1EES11_EEDaSW_SX_EUlSW_E_NS1_11comp_targetILNS1_3genE2ELNS1_11target_archE906ELNS1_3gpuE6ELNS1_3repE0EEENS1_30default_config_static_selectorELNS0_4arch9wavefront6targetE0EEEvT1_,comdat
.Lfunc_end1146:
	.size	_ZN7rocprim17ROCPRIM_400000_NS6detail17trampoline_kernelINS0_14default_configENS1_27scan_by_key_config_selectorIifEEZZNS1_16scan_by_key_implILNS1_25lookback_scan_determinismE0ELb0ES3_N6thrust23THRUST_200600_302600_NS6detail15normal_iteratorINS9_10device_ptrIiEEEENSB_INSC_IfEEEESG_fNS9_4plusIvEENS9_8equal_toIvEEfEE10hipError_tPvRmT2_T3_T4_T5_mT6_T7_P12ihipStream_tbENKUlT_T0_E_clISt17integral_constantIbLb1EES11_EEDaSW_SX_EUlSW_E_NS1_11comp_targetILNS1_3genE2ELNS1_11target_archE906ELNS1_3gpuE6ELNS1_3repE0EEENS1_30default_config_static_selectorELNS0_4arch9wavefront6targetE0EEEvT1_, .Lfunc_end1146-_ZN7rocprim17ROCPRIM_400000_NS6detail17trampoline_kernelINS0_14default_configENS1_27scan_by_key_config_selectorIifEEZZNS1_16scan_by_key_implILNS1_25lookback_scan_determinismE0ELb0ES3_N6thrust23THRUST_200600_302600_NS6detail15normal_iteratorINS9_10device_ptrIiEEEENSB_INSC_IfEEEESG_fNS9_4plusIvEENS9_8equal_toIvEEfEE10hipError_tPvRmT2_T3_T4_T5_mT6_T7_P12ihipStream_tbENKUlT_T0_E_clISt17integral_constantIbLb1EES11_EEDaSW_SX_EUlSW_E_NS1_11comp_targetILNS1_3genE2ELNS1_11target_archE906ELNS1_3gpuE6ELNS1_3repE0EEENS1_30default_config_static_selectorELNS0_4arch9wavefront6targetE0EEEvT1_
                                        ; -- End function
	.set _ZN7rocprim17ROCPRIM_400000_NS6detail17trampoline_kernelINS0_14default_configENS1_27scan_by_key_config_selectorIifEEZZNS1_16scan_by_key_implILNS1_25lookback_scan_determinismE0ELb0ES3_N6thrust23THRUST_200600_302600_NS6detail15normal_iteratorINS9_10device_ptrIiEEEENSB_INSC_IfEEEESG_fNS9_4plusIvEENS9_8equal_toIvEEfEE10hipError_tPvRmT2_T3_T4_T5_mT6_T7_P12ihipStream_tbENKUlT_T0_E_clISt17integral_constantIbLb1EES11_EEDaSW_SX_EUlSW_E_NS1_11comp_targetILNS1_3genE2ELNS1_11target_archE906ELNS1_3gpuE6ELNS1_3repE0EEENS1_30default_config_static_selectorELNS0_4arch9wavefront6targetE0EEEvT1_.num_vgpr, 0
	.set _ZN7rocprim17ROCPRIM_400000_NS6detail17trampoline_kernelINS0_14default_configENS1_27scan_by_key_config_selectorIifEEZZNS1_16scan_by_key_implILNS1_25lookback_scan_determinismE0ELb0ES3_N6thrust23THRUST_200600_302600_NS6detail15normal_iteratorINS9_10device_ptrIiEEEENSB_INSC_IfEEEESG_fNS9_4plusIvEENS9_8equal_toIvEEfEE10hipError_tPvRmT2_T3_T4_T5_mT6_T7_P12ihipStream_tbENKUlT_T0_E_clISt17integral_constantIbLb1EES11_EEDaSW_SX_EUlSW_E_NS1_11comp_targetILNS1_3genE2ELNS1_11target_archE906ELNS1_3gpuE6ELNS1_3repE0EEENS1_30default_config_static_selectorELNS0_4arch9wavefront6targetE0EEEvT1_.num_agpr, 0
	.set _ZN7rocprim17ROCPRIM_400000_NS6detail17trampoline_kernelINS0_14default_configENS1_27scan_by_key_config_selectorIifEEZZNS1_16scan_by_key_implILNS1_25lookback_scan_determinismE0ELb0ES3_N6thrust23THRUST_200600_302600_NS6detail15normal_iteratorINS9_10device_ptrIiEEEENSB_INSC_IfEEEESG_fNS9_4plusIvEENS9_8equal_toIvEEfEE10hipError_tPvRmT2_T3_T4_T5_mT6_T7_P12ihipStream_tbENKUlT_T0_E_clISt17integral_constantIbLb1EES11_EEDaSW_SX_EUlSW_E_NS1_11comp_targetILNS1_3genE2ELNS1_11target_archE906ELNS1_3gpuE6ELNS1_3repE0EEENS1_30default_config_static_selectorELNS0_4arch9wavefront6targetE0EEEvT1_.numbered_sgpr, 0
	.set _ZN7rocprim17ROCPRIM_400000_NS6detail17trampoline_kernelINS0_14default_configENS1_27scan_by_key_config_selectorIifEEZZNS1_16scan_by_key_implILNS1_25lookback_scan_determinismE0ELb0ES3_N6thrust23THRUST_200600_302600_NS6detail15normal_iteratorINS9_10device_ptrIiEEEENSB_INSC_IfEEEESG_fNS9_4plusIvEENS9_8equal_toIvEEfEE10hipError_tPvRmT2_T3_T4_T5_mT6_T7_P12ihipStream_tbENKUlT_T0_E_clISt17integral_constantIbLb1EES11_EEDaSW_SX_EUlSW_E_NS1_11comp_targetILNS1_3genE2ELNS1_11target_archE906ELNS1_3gpuE6ELNS1_3repE0EEENS1_30default_config_static_selectorELNS0_4arch9wavefront6targetE0EEEvT1_.num_named_barrier, 0
	.set _ZN7rocprim17ROCPRIM_400000_NS6detail17trampoline_kernelINS0_14default_configENS1_27scan_by_key_config_selectorIifEEZZNS1_16scan_by_key_implILNS1_25lookback_scan_determinismE0ELb0ES3_N6thrust23THRUST_200600_302600_NS6detail15normal_iteratorINS9_10device_ptrIiEEEENSB_INSC_IfEEEESG_fNS9_4plusIvEENS9_8equal_toIvEEfEE10hipError_tPvRmT2_T3_T4_T5_mT6_T7_P12ihipStream_tbENKUlT_T0_E_clISt17integral_constantIbLb1EES11_EEDaSW_SX_EUlSW_E_NS1_11comp_targetILNS1_3genE2ELNS1_11target_archE906ELNS1_3gpuE6ELNS1_3repE0EEENS1_30default_config_static_selectorELNS0_4arch9wavefront6targetE0EEEvT1_.private_seg_size, 0
	.set _ZN7rocprim17ROCPRIM_400000_NS6detail17trampoline_kernelINS0_14default_configENS1_27scan_by_key_config_selectorIifEEZZNS1_16scan_by_key_implILNS1_25lookback_scan_determinismE0ELb0ES3_N6thrust23THRUST_200600_302600_NS6detail15normal_iteratorINS9_10device_ptrIiEEEENSB_INSC_IfEEEESG_fNS9_4plusIvEENS9_8equal_toIvEEfEE10hipError_tPvRmT2_T3_T4_T5_mT6_T7_P12ihipStream_tbENKUlT_T0_E_clISt17integral_constantIbLb1EES11_EEDaSW_SX_EUlSW_E_NS1_11comp_targetILNS1_3genE2ELNS1_11target_archE906ELNS1_3gpuE6ELNS1_3repE0EEENS1_30default_config_static_selectorELNS0_4arch9wavefront6targetE0EEEvT1_.uses_vcc, 0
	.set _ZN7rocprim17ROCPRIM_400000_NS6detail17trampoline_kernelINS0_14default_configENS1_27scan_by_key_config_selectorIifEEZZNS1_16scan_by_key_implILNS1_25lookback_scan_determinismE0ELb0ES3_N6thrust23THRUST_200600_302600_NS6detail15normal_iteratorINS9_10device_ptrIiEEEENSB_INSC_IfEEEESG_fNS9_4plusIvEENS9_8equal_toIvEEfEE10hipError_tPvRmT2_T3_T4_T5_mT6_T7_P12ihipStream_tbENKUlT_T0_E_clISt17integral_constantIbLb1EES11_EEDaSW_SX_EUlSW_E_NS1_11comp_targetILNS1_3genE2ELNS1_11target_archE906ELNS1_3gpuE6ELNS1_3repE0EEENS1_30default_config_static_selectorELNS0_4arch9wavefront6targetE0EEEvT1_.uses_flat_scratch, 0
	.set _ZN7rocprim17ROCPRIM_400000_NS6detail17trampoline_kernelINS0_14default_configENS1_27scan_by_key_config_selectorIifEEZZNS1_16scan_by_key_implILNS1_25lookback_scan_determinismE0ELb0ES3_N6thrust23THRUST_200600_302600_NS6detail15normal_iteratorINS9_10device_ptrIiEEEENSB_INSC_IfEEEESG_fNS9_4plusIvEENS9_8equal_toIvEEfEE10hipError_tPvRmT2_T3_T4_T5_mT6_T7_P12ihipStream_tbENKUlT_T0_E_clISt17integral_constantIbLb1EES11_EEDaSW_SX_EUlSW_E_NS1_11comp_targetILNS1_3genE2ELNS1_11target_archE906ELNS1_3gpuE6ELNS1_3repE0EEENS1_30default_config_static_selectorELNS0_4arch9wavefront6targetE0EEEvT1_.has_dyn_sized_stack, 0
	.set _ZN7rocprim17ROCPRIM_400000_NS6detail17trampoline_kernelINS0_14default_configENS1_27scan_by_key_config_selectorIifEEZZNS1_16scan_by_key_implILNS1_25lookback_scan_determinismE0ELb0ES3_N6thrust23THRUST_200600_302600_NS6detail15normal_iteratorINS9_10device_ptrIiEEEENSB_INSC_IfEEEESG_fNS9_4plusIvEENS9_8equal_toIvEEfEE10hipError_tPvRmT2_T3_T4_T5_mT6_T7_P12ihipStream_tbENKUlT_T0_E_clISt17integral_constantIbLb1EES11_EEDaSW_SX_EUlSW_E_NS1_11comp_targetILNS1_3genE2ELNS1_11target_archE906ELNS1_3gpuE6ELNS1_3repE0EEENS1_30default_config_static_selectorELNS0_4arch9wavefront6targetE0EEEvT1_.has_recursion, 0
	.set _ZN7rocprim17ROCPRIM_400000_NS6detail17trampoline_kernelINS0_14default_configENS1_27scan_by_key_config_selectorIifEEZZNS1_16scan_by_key_implILNS1_25lookback_scan_determinismE0ELb0ES3_N6thrust23THRUST_200600_302600_NS6detail15normal_iteratorINS9_10device_ptrIiEEEENSB_INSC_IfEEEESG_fNS9_4plusIvEENS9_8equal_toIvEEfEE10hipError_tPvRmT2_T3_T4_T5_mT6_T7_P12ihipStream_tbENKUlT_T0_E_clISt17integral_constantIbLb1EES11_EEDaSW_SX_EUlSW_E_NS1_11comp_targetILNS1_3genE2ELNS1_11target_archE906ELNS1_3gpuE6ELNS1_3repE0EEENS1_30default_config_static_selectorELNS0_4arch9wavefront6targetE0EEEvT1_.has_indirect_call, 0
	.section	.AMDGPU.csdata,"",@progbits
; Kernel info:
; codeLenInByte = 0
; TotalNumSgprs: 0
; NumVgprs: 0
; ScratchSize: 0
; MemoryBound: 0
; FloatMode: 240
; IeeeMode: 1
; LDSByteSize: 0 bytes/workgroup (compile time only)
; SGPRBlocks: 0
; VGPRBlocks: 0
; NumSGPRsForWavesPerEU: 1
; NumVGPRsForWavesPerEU: 1
; Occupancy: 16
; WaveLimiterHint : 0
; COMPUTE_PGM_RSRC2:SCRATCH_EN: 0
; COMPUTE_PGM_RSRC2:USER_SGPR: 6
; COMPUTE_PGM_RSRC2:TRAP_HANDLER: 0
; COMPUTE_PGM_RSRC2:TGID_X_EN: 1
; COMPUTE_PGM_RSRC2:TGID_Y_EN: 0
; COMPUTE_PGM_RSRC2:TGID_Z_EN: 0
; COMPUTE_PGM_RSRC2:TIDIG_COMP_CNT: 0
	.section	.text._ZN7rocprim17ROCPRIM_400000_NS6detail17trampoline_kernelINS0_14default_configENS1_27scan_by_key_config_selectorIifEEZZNS1_16scan_by_key_implILNS1_25lookback_scan_determinismE0ELb0ES3_N6thrust23THRUST_200600_302600_NS6detail15normal_iteratorINS9_10device_ptrIiEEEENSB_INSC_IfEEEESG_fNS9_4plusIvEENS9_8equal_toIvEEfEE10hipError_tPvRmT2_T3_T4_T5_mT6_T7_P12ihipStream_tbENKUlT_T0_E_clISt17integral_constantIbLb1EES11_EEDaSW_SX_EUlSW_E_NS1_11comp_targetILNS1_3genE10ELNS1_11target_archE1200ELNS1_3gpuE4ELNS1_3repE0EEENS1_30default_config_static_selectorELNS0_4arch9wavefront6targetE0EEEvT1_,"axG",@progbits,_ZN7rocprim17ROCPRIM_400000_NS6detail17trampoline_kernelINS0_14default_configENS1_27scan_by_key_config_selectorIifEEZZNS1_16scan_by_key_implILNS1_25lookback_scan_determinismE0ELb0ES3_N6thrust23THRUST_200600_302600_NS6detail15normal_iteratorINS9_10device_ptrIiEEEENSB_INSC_IfEEEESG_fNS9_4plusIvEENS9_8equal_toIvEEfEE10hipError_tPvRmT2_T3_T4_T5_mT6_T7_P12ihipStream_tbENKUlT_T0_E_clISt17integral_constantIbLb1EES11_EEDaSW_SX_EUlSW_E_NS1_11comp_targetILNS1_3genE10ELNS1_11target_archE1200ELNS1_3gpuE4ELNS1_3repE0EEENS1_30default_config_static_selectorELNS0_4arch9wavefront6targetE0EEEvT1_,comdat
	.protected	_ZN7rocprim17ROCPRIM_400000_NS6detail17trampoline_kernelINS0_14default_configENS1_27scan_by_key_config_selectorIifEEZZNS1_16scan_by_key_implILNS1_25lookback_scan_determinismE0ELb0ES3_N6thrust23THRUST_200600_302600_NS6detail15normal_iteratorINS9_10device_ptrIiEEEENSB_INSC_IfEEEESG_fNS9_4plusIvEENS9_8equal_toIvEEfEE10hipError_tPvRmT2_T3_T4_T5_mT6_T7_P12ihipStream_tbENKUlT_T0_E_clISt17integral_constantIbLb1EES11_EEDaSW_SX_EUlSW_E_NS1_11comp_targetILNS1_3genE10ELNS1_11target_archE1200ELNS1_3gpuE4ELNS1_3repE0EEENS1_30default_config_static_selectorELNS0_4arch9wavefront6targetE0EEEvT1_ ; -- Begin function _ZN7rocprim17ROCPRIM_400000_NS6detail17trampoline_kernelINS0_14default_configENS1_27scan_by_key_config_selectorIifEEZZNS1_16scan_by_key_implILNS1_25lookback_scan_determinismE0ELb0ES3_N6thrust23THRUST_200600_302600_NS6detail15normal_iteratorINS9_10device_ptrIiEEEENSB_INSC_IfEEEESG_fNS9_4plusIvEENS9_8equal_toIvEEfEE10hipError_tPvRmT2_T3_T4_T5_mT6_T7_P12ihipStream_tbENKUlT_T0_E_clISt17integral_constantIbLb1EES11_EEDaSW_SX_EUlSW_E_NS1_11comp_targetILNS1_3genE10ELNS1_11target_archE1200ELNS1_3gpuE4ELNS1_3repE0EEENS1_30default_config_static_selectorELNS0_4arch9wavefront6targetE0EEEvT1_
	.globl	_ZN7rocprim17ROCPRIM_400000_NS6detail17trampoline_kernelINS0_14default_configENS1_27scan_by_key_config_selectorIifEEZZNS1_16scan_by_key_implILNS1_25lookback_scan_determinismE0ELb0ES3_N6thrust23THRUST_200600_302600_NS6detail15normal_iteratorINS9_10device_ptrIiEEEENSB_INSC_IfEEEESG_fNS9_4plusIvEENS9_8equal_toIvEEfEE10hipError_tPvRmT2_T3_T4_T5_mT6_T7_P12ihipStream_tbENKUlT_T0_E_clISt17integral_constantIbLb1EES11_EEDaSW_SX_EUlSW_E_NS1_11comp_targetILNS1_3genE10ELNS1_11target_archE1200ELNS1_3gpuE4ELNS1_3repE0EEENS1_30default_config_static_selectorELNS0_4arch9wavefront6targetE0EEEvT1_
	.p2align	8
	.type	_ZN7rocprim17ROCPRIM_400000_NS6detail17trampoline_kernelINS0_14default_configENS1_27scan_by_key_config_selectorIifEEZZNS1_16scan_by_key_implILNS1_25lookback_scan_determinismE0ELb0ES3_N6thrust23THRUST_200600_302600_NS6detail15normal_iteratorINS9_10device_ptrIiEEEENSB_INSC_IfEEEESG_fNS9_4plusIvEENS9_8equal_toIvEEfEE10hipError_tPvRmT2_T3_T4_T5_mT6_T7_P12ihipStream_tbENKUlT_T0_E_clISt17integral_constantIbLb1EES11_EEDaSW_SX_EUlSW_E_NS1_11comp_targetILNS1_3genE10ELNS1_11target_archE1200ELNS1_3gpuE4ELNS1_3repE0EEENS1_30default_config_static_selectorELNS0_4arch9wavefront6targetE0EEEvT1_,@function
_ZN7rocprim17ROCPRIM_400000_NS6detail17trampoline_kernelINS0_14default_configENS1_27scan_by_key_config_selectorIifEEZZNS1_16scan_by_key_implILNS1_25lookback_scan_determinismE0ELb0ES3_N6thrust23THRUST_200600_302600_NS6detail15normal_iteratorINS9_10device_ptrIiEEEENSB_INSC_IfEEEESG_fNS9_4plusIvEENS9_8equal_toIvEEfEE10hipError_tPvRmT2_T3_T4_T5_mT6_T7_P12ihipStream_tbENKUlT_T0_E_clISt17integral_constantIbLb1EES11_EEDaSW_SX_EUlSW_E_NS1_11comp_targetILNS1_3genE10ELNS1_11target_archE1200ELNS1_3gpuE4ELNS1_3repE0EEENS1_30default_config_static_selectorELNS0_4arch9wavefront6targetE0EEEvT1_: ; @_ZN7rocprim17ROCPRIM_400000_NS6detail17trampoline_kernelINS0_14default_configENS1_27scan_by_key_config_selectorIifEEZZNS1_16scan_by_key_implILNS1_25lookback_scan_determinismE0ELb0ES3_N6thrust23THRUST_200600_302600_NS6detail15normal_iteratorINS9_10device_ptrIiEEEENSB_INSC_IfEEEESG_fNS9_4plusIvEENS9_8equal_toIvEEfEE10hipError_tPvRmT2_T3_T4_T5_mT6_T7_P12ihipStream_tbENKUlT_T0_E_clISt17integral_constantIbLb1EES11_EEDaSW_SX_EUlSW_E_NS1_11comp_targetILNS1_3genE10ELNS1_11target_archE1200ELNS1_3gpuE4ELNS1_3repE0EEENS1_30default_config_static_selectorELNS0_4arch9wavefront6targetE0EEEvT1_
; %bb.0:
	.section	.rodata,"a",@progbits
	.p2align	6, 0x0
	.amdhsa_kernel _ZN7rocprim17ROCPRIM_400000_NS6detail17trampoline_kernelINS0_14default_configENS1_27scan_by_key_config_selectorIifEEZZNS1_16scan_by_key_implILNS1_25lookback_scan_determinismE0ELb0ES3_N6thrust23THRUST_200600_302600_NS6detail15normal_iteratorINS9_10device_ptrIiEEEENSB_INSC_IfEEEESG_fNS9_4plusIvEENS9_8equal_toIvEEfEE10hipError_tPvRmT2_T3_T4_T5_mT6_T7_P12ihipStream_tbENKUlT_T0_E_clISt17integral_constantIbLb1EES11_EEDaSW_SX_EUlSW_E_NS1_11comp_targetILNS1_3genE10ELNS1_11target_archE1200ELNS1_3gpuE4ELNS1_3repE0EEENS1_30default_config_static_selectorELNS0_4arch9wavefront6targetE0EEEvT1_
		.amdhsa_group_segment_fixed_size 0
		.amdhsa_private_segment_fixed_size 0
		.amdhsa_kernarg_size 112
		.amdhsa_user_sgpr_count 6
		.amdhsa_user_sgpr_private_segment_buffer 1
		.amdhsa_user_sgpr_dispatch_ptr 0
		.amdhsa_user_sgpr_queue_ptr 0
		.amdhsa_user_sgpr_kernarg_segment_ptr 1
		.amdhsa_user_sgpr_dispatch_id 0
		.amdhsa_user_sgpr_flat_scratch_init 0
		.amdhsa_user_sgpr_private_segment_size 0
		.amdhsa_wavefront_size32 1
		.amdhsa_uses_dynamic_stack 0
		.amdhsa_system_sgpr_private_segment_wavefront_offset 0
		.amdhsa_system_sgpr_workgroup_id_x 1
		.amdhsa_system_sgpr_workgroup_id_y 0
		.amdhsa_system_sgpr_workgroup_id_z 0
		.amdhsa_system_sgpr_workgroup_info 0
		.amdhsa_system_vgpr_workitem_id 0
		.amdhsa_next_free_vgpr 1
		.amdhsa_next_free_sgpr 1
		.amdhsa_reserve_vcc 0
		.amdhsa_reserve_flat_scratch 0
		.amdhsa_float_round_mode_32 0
		.amdhsa_float_round_mode_16_64 0
		.amdhsa_float_denorm_mode_32 3
		.amdhsa_float_denorm_mode_16_64 3
		.amdhsa_dx10_clamp 1
		.amdhsa_ieee_mode 1
		.amdhsa_fp16_overflow 0
		.amdhsa_workgroup_processor_mode 1
		.amdhsa_memory_ordered 1
		.amdhsa_forward_progress 1
		.amdhsa_shared_vgpr_count 0
		.amdhsa_exception_fp_ieee_invalid_op 0
		.amdhsa_exception_fp_denorm_src 0
		.amdhsa_exception_fp_ieee_div_zero 0
		.amdhsa_exception_fp_ieee_overflow 0
		.amdhsa_exception_fp_ieee_underflow 0
		.amdhsa_exception_fp_ieee_inexact 0
		.amdhsa_exception_int_div_zero 0
	.end_amdhsa_kernel
	.section	.text._ZN7rocprim17ROCPRIM_400000_NS6detail17trampoline_kernelINS0_14default_configENS1_27scan_by_key_config_selectorIifEEZZNS1_16scan_by_key_implILNS1_25lookback_scan_determinismE0ELb0ES3_N6thrust23THRUST_200600_302600_NS6detail15normal_iteratorINS9_10device_ptrIiEEEENSB_INSC_IfEEEESG_fNS9_4plusIvEENS9_8equal_toIvEEfEE10hipError_tPvRmT2_T3_T4_T5_mT6_T7_P12ihipStream_tbENKUlT_T0_E_clISt17integral_constantIbLb1EES11_EEDaSW_SX_EUlSW_E_NS1_11comp_targetILNS1_3genE10ELNS1_11target_archE1200ELNS1_3gpuE4ELNS1_3repE0EEENS1_30default_config_static_selectorELNS0_4arch9wavefront6targetE0EEEvT1_,"axG",@progbits,_ZN7rocprim17ROCPRIM_400000_NS6detail17trampoline_kernelINS0_14default_configENS1_27scan_by_key_config_selectorIifEEZZNS1_16scan_by_key_implILNS1_25lookback_scan_determinismE0ELb0ES3_N6thrust23THRUST_200600_302600_NS6detail15normal_iteratorINS9_10device_ptrIiEEEENSB_INSC_IfEEEESG_fNS9_4plusIvEENS9_8equal_toIvEEfEE10hipError_tPvRmT2_T3_T4_T5_mT6_T7_P12ihipStream_tbENKUlT_T0_E_clISt17integral_constantIbLb1EES11_EEDaSW_SX_EUlSW_E_NS1_11comp_targetILNS1_3genE10ELNS1_11target_archE1200ELNS1_3gpuE4ELNS1_3repE0EEENS1_30default_config_static_selectorELNS0_4arch9wavefront6targetE0EEEvT1_,comdat
.Lfunc_end1147:
	.size	_ZN7rocprim17ROCPRIM_400000_NS6detail17trampoline_kernelINS0_14default_configENS1_27scan_by_key_config_selectorIifEEZZNS1_16scan_by_key_implILNS1_25lookback_scan_determinismE0ELb0ES3_N6thrust23THRUST_200600_302600_NS6detail15normal_iteratorINS9_10device_ptrIiEEEENSB_INSC_IfEEEESG_fNS9_4plusIvEENS9_8equal_toIvEEfEE10hipError_tPvRmT2_T3_T4_T5_mT6_T7_P12ihipStream_tbENKUlT_T0_E_clISt17integral_constantIbLb1EES11_EEDaSW_SX_EUlSW_E_NS1_11comp_targetILNS1_3genE10ELNS1_11target_archE1200ELNS1_3gpuE4ELNS1_3repE0EEENS1_30default_config_static_selectorELNS0_4arch9wavefront6targetE0EEEvT1_, .Lfunc_end1147-_ZN7rocprim17ROCPRIM_400000_NS6detail17trampoline_kernelINS0_14default_configENS1_27scan_by_key_config_selectorIifEEZZNS1_16scan_by_key_implILNS1_25lookback_scan_determinismE0ELb0ES3_N6thrust23THRUST_200600_302600_NS6detail15normal_iteratorINS9_10device_ptrIiEEEENSB_INSC_IfEEEESG_fNS9_4plusIvEENS9_8equal_toIvEEfEE10hipError_tPvRmT2_T3_T4_T5_mT6_T7_P12ihipStream_tbENKUlT_T0_E_clISt17integral_constantIbLb1EES11_EEDaSW_SX_EUlSW_E_NS1_11comp_targetILNS1_3genE10ELNS1_11target_archE1200ELNS1_3gpuE4ELNS1_3repE0EEENS1_30default_config_static_selectorELNS0_4arch9wavefront6targetE0EEEvT1_
                                        ; -- End function
	.set _ZN7rocprim17ROCPRIM_400000_NS6detail17trampoline_kernelINS0_14default_configENS1_27scan_by_key_config_selectorIifEEZZNS1_16scan_by_key_implILNS1_25lookback_scan_determinismE0ELb0ES3_N6thrust23THRUST_200600_302600_NS6detail15normal_iteratorINS9_10device_ptrIiEEEENSB_INSC_IfEEEESG_fNS9_4plusIvEENS9_8equal_toIvEEfEE10hipError_tPvRmT2_T3_T4_T5_mT6_T7_P12ihipStream_tbENKUlT_T0_E_clISt17integral_constantIbLb1EES11_EEDaSW_SX_EUlSW_E_NS1_11comp_targetILNS1_3genE10ELNS1_11target_archE1200ELNS1_3gpuE4ELNS1_3repE0EEENS1_30default_config_static_selectorELNS0_4arch9wavefront6targetE0EEEvT1_.num_vgpr, 0
	.set _ZN7rocprim17ROCPRIM_400000_NS6detail17trampoline_kernelINS0_14default_configENS1_27scan_by_key_config_selectorIifEEZZNS1_16scan_by_key_implILNS1_25lookback_scan_determinismE0ELb0ES3_N6thrust23THRUST_200600_302600_NS6detail15normal_iteratorINS9_10device_ptrIiEEEENSB_INSC_IfEEEESG_fNS9_4plusIvEENS9_8equal_toIvEEfEE10hipError_tPvRmT2_T3_T4_T5_mT6_T7_P12ihipStream_tbENKUlT_T0_E_clISt17integral_constantIbLb1EES11_EEDaSW_SX_EUlSW_E_NS1_11comp_targetILNS1_3genE10ELNS1_11target_archE1200ELNS1_3gpuE4ELNS1_3repE0EEENS1_30default_config_static_selectorELNS0_4arch9wavefront6targetE0EEEvT1_.num_agpr, 0
	.set _ZN7rocprim17ROCPRIM_400000_NS6detail17trampoline_kernelINS0_14default_configENS1_27scan_by_key_config_selectorIifEEZZNS1_16scan_by_key_implILNS1_25lookback_scan_determinismE0ELb0ES3_N6thrust23THRUST_200600_302600_NS6detail15normal_iteratorINS9_10device_ptrIiEEEENSB_INSC_IfEEEESG_fNS9_4plusIvEENS9_8equal_toIvEEfEE10hipError_tPvRmT2_T3_T4_T5_mT6_T7_P12ihipStream_tbENKUlT_T0_E_clISt17integral_constantIbLb1EES11_EEDaSW_SX_EUlSW_E_NS1_11comp_targetILNS1_3genE10ELNS1_11target_archE1200ELNS1_3gpuE4ELNS1_3repE0EEENS1_30default_config_static_selectorELNS0_4arch9wavefront6targetE0EEEvT1_.numbered_sgpr, 0
	.set _ZN7rocprim17ROCPRIM_400000_NS6detail17trampoline_kernelINS0_14default_configENS1_27scan_by_key_config_selectorIifEEZZNS1_16scan_by_key_implILNS1_25lookback_scan_determinismE0ELb0ES3_N6thrust23THRUST_200600_302600_NS6detail15normal_iteratorINS9_10device_ptrIiEEEENSB_INSC_IfEEEESG_fNS9_4plusIvEENS9_8equal_toIvEEfEE10hipError_tPvRmT2_T3_T4_T5_mT6_T7_P12ihipStream_tbENKUlT_T0_E_clISt17integral_constantIbLb1EES11_EEDaSW_SX_EUlSW_E_NS1_11comp_targetILNS1_3genE10ELNS1_11target_archE1200ELNS1_3gpuE4ELNS1_3repE0EEENS1_30default_config_static_selectorELNS0_4arch9wavefront6targetE0EEEvT1_.num_named_barrier, 0
	.set _ZN7rocprim17ROCPRIM_400000_NS6detail17trampoline_kernelINS0_14default_configENS1_27scan_by_key_config_selectorIifEEZZNS1_16scan_by_key_implILNS1_25lookback_scan_determinismE0ELb0ES3_N6thrust23THRUST_200600_302600_NS6detail15normal_iteratorINS9_10device_ptrIiEEEENSB_INSC_IfEEEESG_fNS9_4plusIvEENS9_8equal_toIvEEfEE10hipError_tPvRmT2_T3_T4_T5_mT6_T7_P12ihipStream_tbENKUlT_T0_E_clISt17integral_constantIbLb1EES11_EEDaSW_SX_EUlSW_E_NS1_11comp_targetILNS1_3genE10ELNS1_11target_archE1200ELNS1_3gpuE4ELNS1_3repE0EEENS1_30default_config_static_selectorELNS0_4arch9wavefront6targetE0EEEvT1_.private_seg_size, 0
	.set _ZN7rocprim17ROCPRIM_400000_NS6detail17trampoline_kernelINS0_14default_configENS1_27scan_by_key_config_selectorIifEEZZNS1_16scan_by_key_implILNS1_25lookback_scan_determinismE0ELb0ES3_N6thrust23THRUST_200600_302600_NS6detail15normal_iteratorINS9_10device_ptrIiEEEENSB_INSC_IfEEEESG_fNS9_4plusIvEENS9_8equal_toIvEEfEE10hipError_tPvRmT2_T3_T4_T5_mT6_T7_P12ihipStream_tbENKUlT_T0_E_clISt17integral_constantIbLb1EES11_EEDaSW_SX_EUlSW_E_NS1_11comp_targetILNS1_3genE10ELNS1_11target_archE1200ELNS1_3gpuE4ELNS1_3repE0EEENS1_30default_config_static_selectorELNS0_4arch9wavefront6targetE0EEEvT1_.uses_vcc, 0
	.set _ZN7rocprim17ROCPRIM_400000_NS6detail17trampoline_kernelINS0_14default_configENS1_27scan_by_key_config_selectorIifEEZZNS1_16scan_by_key_implILNS1_25lookback_scan_determinismE0ELb0ES3_N6thrust23THRUST_200600_302600_NS6detail15normal_iteratorINS9_10device_ptrIiEEEENSB_INSC_IfEEEESG_fNS9_4plusIvEENS9_8equal_toIvEEfEE10hipError_tPvRmT2_T3_T4_T5_mT6_T7_P12ihipStream_tbENKUlT_T0_E_clISt17integral_constantIbLb1EES11_EEDaSW_SX_EUlSW_E_NS1_11comp_targetILNS1_3genE10ELNS1_11target_archE1200ELNS1_3gpuE4ELNS1_3repE0EEENS1_30default_config_static_selectorELNS0_4arch9wavefront6targetE0EEEvT1_.uses_flat_scratch, 0
	.set _ZN7rocprim17ROCPRIM_400000_NS6detail17trampoline_kernelINS0_14default_configENS1_27scan_by_key_config_selectorIifEEZZNS1_16scan_by_key_implILNS1_25lookback_scan_determinismE0ELb0ES3_N6thrust23THRUST_200600_302600_NS6detail15normal_iteratorINS9_10device_ptrIiEEEENSB_INSC_IfEEEESG_fNS9_4plusIvEENS9_8equal_toIvEEfEE10hipError_tPvRmT2_T3_T4_T5_mT6_T7_P12ihipStream_tbENKUlT_T0_E_clISt17integral_constantIbLb1EES11_EEDaSW_SX_EUlSW_E_NS1_11comp_targetILNS1_3genE10ELNS1_11target_archE1200ELNS1_3gpuE4ELNS1_3repE0EEENS1_30default_config_static_selectorELNS0_4arch9wavefront6targetE0EEEvT1_.has_dyn_sized_stack, 0
	.set _ZN7rocprim17ROCPRIM_400000_NS6detail17trampoline_kernelINS0_14default_configENS1_27scan_by_key_config_selectorIifEEZZNS1_16scan_by_key_implILNS1_25lookback_scan_determinismE0ELb0ES3_N6thrust23THRUST_200600_302600_NS6detail15normal_iteratorINS9_10device_ptrIiEEEENSB_INSC_IfEEEESG_fNS9_4plusIvEENS9_8equal_toIvEEfEE10hipError_tPvRmT2_T3_T4_T5_mT6_T7_P12ihipStream_tbENKUlT_T0_E_clISt17integral_constantIbLb1EES11_EEDaSW_SX_EUlSW_E_NS1_11comp_targetILNS1_3genE10ELNS1_11target_archE1200ELNS1_3gpuE4ELNS1_3repE0EEENS1_30default_config_static_selectorELNS0_4arch9wavefront6targetE0EEEvT1_.has_recursion, 0
	.set _ZN7rocprim17ROCPRIM_400000_NS6detail17trampoline_kernelINS0_14default_configENS1_27scan_by_key_config_selectorIifEEZZNS1_16scan_by_key_implILNS1_25lookback_scan_determinismE0ELb0ES3_N6thrust23THRUST_200600_302600_NS6detail15normal_iteratorINS9_10device_ptrIiEEEENSB_INSC_IfEEEESG_fNS9_4plusIvEENS9_8equal_toIvEEfEE10hipError_tPvRmT2_T3_T4_T5_mT6_T7_P12ihipStream_tbENKUlT_T0_E_clISt17integral_constantIbLb1EES11_EEDaSW_SX_EUlSW_E_NS1_11comp_targetILNS1_3genE10ELNS1_11target_archE1200ELNS1_3gpuE4ELNS1_3repE0EEENS1_30default_config_static_selectorELNS0_4arch9wavefront6targetE0EEEvT1_.has_indirect_call, 0
	.section	.AMDGPU.csdata,"",@progbits
; Kernel info:
; codeLenInByte = 0
; TotalNumSgprs: 0
; NumVgprs: 0
; ScratchSize: 0
; MemoryBound: 0
; FloatMode: 240
; IeeeMode: 1
; LDSByteSize: 0 bytes/workgroup (compile time only)
; SGPRBlocks: 0
; VGPRBlocks: 0
; NumSGPRsForWavesPerEU: 1
; NumVGPRsForWavesPerEU: 1
; Occupancy: 16
; WaveLimiterHint : 0
; COMPUTE_PGM_RSRC2:SCRATCH_EN: 0
; COMPUTE_PGM_RSRC2:USER_SGPR: 6
; COMPUTE_PGM_RSRC2:TRAP_HANDLER: 0
; COMPUTE_PGM_RSRC2:TGID_X_EN: 1
; COMPUTE_PGM_RSRC2:TGID_Y_EN: 0
; COMPUTE_PGM_RSRC2:TGID_Z_EN: 0
; COMPUTE_PGM_RSRC2:TIDIG_COMP_CNT: 0
	.section	.text._ZN7rocprim17ROCPRIM_400000_NS6detail17trampoline_kernelINS0_14default_configENS1_27scan_by_key_config_selectorIifEEZZNS1_16scan_by_key_implILNS1_25lookback_scan_determinismE0ELb0ES3_N6thrust23THRUST_200600_302600_NS6detail15normal_iteratorINS9_10device_ptrIiEEEENSB_INSC_IfEEEESG_fNS9_4plusIvEENS9_8equal_toIvEEfEE10hipError_tPvRmT2_T3_T4_T5_mT6_T7_P12ihipStream_tbENKUlT_T0_E_clISt17integral_constantIbLb1EES11_EEDaSW_SX_EUlSW_E_NS1_11comp_targetILNS1_3genE9ELNS1_11target_archE1100ELNS1_3gpuE3ELNS1_3repE0EEENS1_30default_config_static_selectorELNS0_4arch9wavefront6targetE0EEEvT1_,"axG",@progbits,_ZN7rocprim17ROCPRIM_400000_NS6detail17trampoline_kernelINS0_14default_configENS1_27scan_by_key_config_selectorIifEEZZNS1_16scan_by_key_implILNS1_25lookback_scan_determinismE0ELb0ES3_N6thrust23THRUST_200600_302600_NS6detail15normal_iteratorINS9_10device_ptrIiEEEENSB_INSC_IfEEEESG_fNS9_4plusIvEENS9_8equal_toIvEEfEE10hipError_tPvRmT2_T3_T4_T5_mT6_T7_P12ihipStream_tbENKUlT_T0_E_clISt17integral_constantIbLb1EES11_EEDaSW_SX_EUlSW_E_NS1_11comp_targetILNS1_3genE9ELNS1_11target_archE1100ELNS1_3gpuE3ELNS1_3repE0EEENS1_30default_config_static_selectorELNS0_4arch9wavefront6targetE0EEEvT1_,comdat
	.protected	_ZN7rocprim17ROCPRIM_400000_NS6detail17trampoline_kernelINS0_14default_configENS1_27scan_by_key_config_selectorIifEEZZNS1_16scan_by_key_implILNS1_25lookback_scan_determinismE0ELb0ES3_N6thrust23THRUST_200600_302600_NS6detail15normal_iteratorINS9_10device_ptrIiEEEENSB_INSC_IfEEEESG_fNS9_4plusIvEENS9_8equal_toIvEEfEE10hipError_tPvRmT2_T3_T4_T5_mT6_T7_P12ihipStream_tbENKUlT_T0_E_clISt17integral_constantIbLb1EES11_EEDaSW_SX_EUlSW_E_NS1_11comp_targetILNS1_3genE9ELNS1_11target_archE1100ELNS1_3gpuE3ELNS1_3repE0EEENS1_30default_config_static_selectorELNS0_4arch9wavefront6targetE0EEEvT1_ ; -- Begin function _ZN7rocprim17ROCPRIM_400000_NS6detail17trampoline_kernelINS0_14default_configENS1_27scan_by_key_config_selectorIifEEZZNS1_16scan_by_key_implILNS1_25lookback_scan_determinismE0ELb0ES3_N6thrust23THRUST_200600_302600_NS6detail15normal_iteratorINS9_10device_ptrIiEEEENSB_INSC_IfEEEESG_fNS9_4plusIvEENS9_8equal_toIvEEfEE10hipError_tPvRmT2_T3_T4_T5_mT6_T7_P12ihipStream_tbENKUlT_T0_E_clISt17integral_constantIbLb1EES11_EEDaSW_SX_EUlSW_E_NS1_11comp_targetILNS1_3genE9ELNS1_11target_archE1100ELNS1_3gpuE3ELNS1_3repE0EEENS1_30default_config_static_selectorELNS0_4arch9wavefront6targetE0EEEvT1_
	.globl	_ZN7rocprim17ROCPRIM_400000_NS6detail17trampoline_kernelINS0_14default_configENS1_27scan_by_key_config_selectorIifEEZZNS1_16scan_by_key_implILNS1_25lookback_scan_determinismE0ELb0ES3_N6thrust23THRUST_200600_302600_NS6detail15normal_iteratorINS9_10device_ptrIiEEEENSB_INSC_IfEEEESG_fNS9_4plusIvEENS9_8equal_toIvEEfEE10hipError_tPvRmT2_T3_T4_T5_mT6_T7_P12ihipStream_tbENKUlT_T0_E_clISt17integral_constantIbLb1EES11_EEDaSW_SX_EUlSW_E_NS1_11comp_targetILNS1_3genE9ELNS1_11target_archE1100ELNS1_3gpuE3ELNS1_3repE0EEENS1_30default_config_static_selectorELNS0_4arch9wavefront6targetE0EEEvT1_
	.p2align	8
	.type	_ZN7rocprim17ROCPRIM_400000_NS6detail17trampoline_kernelINS0_14default_configENS1_27scan_by_key_config_selectorIifEEZZNS1_16scan_by_key_implILNS1_25lookback_scan_determinismE0ELb0ES3_N6thrust23THRUST_200600_302600_NS6detail15normal_iteratorINS9_10device_ptrIiEEEENSB_INSC_IfEEEESG_fNS9_4plusIvEENS9_8equal_toIvEEfEE10hipError_tPvRmT2_T3_T4_T5_mT6_T7_P12ihipStream_tbENKUlT_T0_E_clISt17integral_constantIbLb1EES11_EEDaSW_SX_EUlSW_E_NS1_11comp_targetILNS1_3genE9ELNS1_11target_archE1100ELNS1_3gpuE3ELNS1_3repE0EEENS1_30default_config_static_selectorELNS0_4arch9wavefront6targetE0EEEvT1_,@function
_ZN7rocprim17ROCPRIM_400000_NS6detail17trampoline_kernelINS0_14default_configENS1_27scan_by_key_config_selectorIifEEZZNS1_16scan_by_key_implILNS1_25lookback_scan_determinismE0ELb0ES3_N6thrust23THRUST_200600_302600_NS6detail15normal_iteratorINS9_10device_ptrIiEEEENSB_INSC_IfEEEESG_fNS9_4plusIvEENS9_8equal_toIvEEfEE10hipError_tPvRmT2_T3_T4_T5_mT6_T7_P12ihipStream_tbENKUlT_T0_E_clISt17integral_constantIbLb1EES11_EEDaSW_SX_EUlSW_E_NS1_11comp_targetILNS1_3genE9ELNS1_11target_archE1100ELNS1_3gpuE3ELNS1_3repE0EEENS1_30default_config_static_selectorELNS0_4arch9wavefront6targetE0EEEvT1_: ; @_ZN7rocprim17ROCPRIM_400000_NS6detail17trampoline_kernelINS0_14default_configENS1_27scan_by_key_config_selectorIifEEZZNS1_16scan_by_key_implILNS1_25lookback_scan_determinismE0ELb0ES3_N6thrust23THRUST_200600_302600_NS6detail15normal_iteratorINS9_10device_ptrIiEEEENSB_INSC_IfEEEESG_fNS9_4plusIvEENS9_8equal_toIvEEfEE10hipError_tPvRmT2_T3_T4_T5_mT6_T7_P12ihipStream_tbENKUlT_T0_E_clISt17integral_constantIbLb1EES11_EEDaSW_SX_EUlSW_E_NS1_11comp_targetILNS1_3genE9ELNS1_11target_archE1100ELNS1_3gpuE3ELNS1_3repE0EEENS1_30default_config_static_selectorELNS0_4arch9wavefront6targetE0EEEvT1_
; %bb.0:
	.section	.rodata,"a",@progbits
	.p2align	6, 0x0
	.amdhsa_kernel _ZN7rocprim17ROCPRIM_400000_NS6detail17trampoline_kernelINS0_14default_configENS1_27scan_by_key_config_selectorIifEEZZNS1_16scan_by_key_implILNS1_25lookback_scan_determinismE0ELb0ES3_N6thrust23THRUST_200600_302600_NS6detail15normal_iteratorINS9_10device_ptrIiEEEENSB_INSC_IfEEEESG_fNS9_4plusIvEENS9_8equal_toIvEEfEE10hipError_tPvRmT2_T3_T4_T5_mT6_T7_P12ihipStream_tbENKUlT_T0_E_clISt17integral_constantIbLb1EES11_EEDaSW_SX_EUlSW_E_NS1_11comp_targetILNS1_3genE9ELNS1_11target_archE1100ELNS1_3gpuE3ELNS1_3repE0EEENS1_30default_config_static_selectorELNS0_4arch9wavefront6targetE0EEEvT1_
		.amdhsa_group_segment_fixed_size 0
		.amdhsa_private_segment_fixed_size 0
		.amdhsa_kernarg_size 112
		.amdhsa_user_sgpr_count 6
		.amdhsa_user_sgpr_private_segment_buffer 1
		.amdhsa_user_sgpr_dispatch_ptr 0
		.amdhsa_user_sgpr_queue_ptr 0
		.amdhsa_user_sgpr_kernarg_segment_ptr 1
		.amdhsa_user_sgpr_dispatch_id 0
		.amdhsa_user_sgpr_flat_scratch_init 0
		.amdhsa_user_sgpr_private_segment_size 0
		.amdhsa_wavefront_size32 1
		.amdhsa_uses_dynamic_stack 0
		.amdhsa_system_sgpr_private_segment_wavefront_offset 0
		.amdhsa_system_sgpr_workgroup_id_x 1
		.amdhsa_system_sgpr_workgroup_id_y 0
		.amdhsa_system_sgpr_workgroup_id_z 0
		.amdhsa_system_sgpr_workgroup_info 0
		.amdhsa_system_vgpr_workitem_id 0
		.amdhsa_next_free_vgpr 1
		.amdhsa_next_free_sgpr 1
		.amdhsa_reserve_vcc 0
		.amdhsa_reserve_flat_scratch 0
		.amdhsa_float_round_mode_32 0
		.amdhsa_float_round_mode_16_64 0
		.amdhsa_float_denorm_mode_32 3
		.amdhsa_float_denorm_mode_16_64 3
		.amdhsa_dx10_clamp 1
		.amdhsa_ieee_mode 1
		.amdhsa_fp16_overflow 0
		.amdhsa_workgroup_processor_mode 1
		.amdhsa_memory_ordered 1
		.amdhsa_forward_progress 1
		.amdhsa_shared_vgpr_count 0
		.amdhsa_exception_fp_ieee_invalid_op 0
		.amdhsa_exception_fp_denorm_src 0
		.amdhsa_exception_fp_ieee_div_zero 0
		.amdhsa_exception_fp_ieee_overflow 0
		.amdhsa_exception_fp_ieee_underflow 0
		.amdhsa_exception_fp_ieee_inexact 0
		.amdhsa_exception_int_div_zero 0
	.end_amdhsa_kernel
	.section	.text._ZN7rocprim17ROCPRIM_400000_NS6detail17trampoline_kernelINS0_14default_configENS1_27scan_by_key_config_selectorIifEEZZNS1_16scan_by_key_implILNS1_25lookback_scan_determinismE0ELb0ES3_N6thrust23THRUST_200600_302600_NS6detail15normal_iteratorINS9_10device_ptrIiEEEENSB_INSC_IfEEEESG_fNS9_4plusIvEENS9_8equal_toIvEEfEE10hipError_tPvRmT2_T3_T4_T5_mT6_T7_P12ihipStream_tbENKUlT_T0_E_clISt17integral_constantIbLb1EES11_EEDaSW_SX_EUlSW_E_NS1_11comp_targetILNS1_3genE9ELNS1_11target_archE1100ELNS1_3gpuE3ELNS1_3repE0EEENS1_30default_config_static_selectorELNS0_4arch9wavefront6targetE0EEEvT1_,"axG",@progbits,_ZN7rocprim17ROCPRIM_400000_NS6detail17trampoline_kernelINS0_14default_configENS1_27scan_by_key_config_selectorIifEEZZNS1_16scan_by_key_implILNS1_25lookback_scan_determinismE0ELb0ES3_N6thrust23THRUST_200600_302600_NS6detail15normal_iteratorINS9_10device_ptrIiEEEENSB_INSC_IfEEEESG_fNS9_4plusIvEENS9_8equal_toIvEEfEE10hipError_tPvRmT2_T3_T4_T5_mT6_T7_P12ihipStream_tbENKUlT_T0_E_clISt17integral_constantIbLb1EES11_EEDaSW_SX_EUlSW_E_NS1_11comp_targetILNS1_3genE9ELNS1_11target_archE1100ELNS1_3gpuE3ELNS1_3repE0EEENS1_30default_config_static_selectorELNS0_4arch9wavefront6targetE0EEEvT1_,comdat
.Lfunc_end1148:
	.size	_ZN7rocprim17ROCPRIM_400000_NS6detail17trampoline_kernelINS0_14default_configENS1_27scan_by_key_config_selectorIifEEZZNS1_16scan_by_key_implILNS1_25lookback_scan_determinismE0ELb0ES3_N6thrust23THRUST_200600_302600_NS6detail15normal_iteratorINS9_10device_ptrIiEEEENSB_INSC_IfEEEESG_fNS9_4plusIvEENS9_8equal_toIvEEfEE10hipError_tPvRmT2_T3_T4_T5_mT6_T7_P12ihipStream_tbENKUlT_T0_E_clISt17integral_constantIbLb1EES11_EEDaSW_SX_EUlSW_E_NS1_11comp_targetILNS1_3genE9ELNS1_11target_archE1100ELNS1_3gpuE3ELNS1_3repE0EEENS1_30default_config_static_selectorELNS0_4arch9wavefront6targetE0EEEvT1_, .Lfunc_end1148-_ZN7rocprim17ROCPRIM_400000_NS6detail17trampoline_kernelINS0_14default_configENS1_27scan_by_key_config_selectorIifEEZZNS1_16scan_by_key_implILNS1_25lookback_scan_determinismE0ELb0ES3_N6thrust23THRUST_200600_302600_NS6detail15normal_iteratorINS9_10device_ptrIiEEEENSB_INSC_IfEEEESG_fNS9_4plusIvEENS9_8equal_toIvEEfEE10hipError_tPvRmT2_T3_T4_T5_mT6_T7_P12ihipStream_tbENKUlT_T0_E_clISt17integral_constantIbLb1EES11_EEDaSW_SX_EUlSW_E_NS1_11comp_targetILNS1_3genE9ELNS1_11target_archE1100ELNS1_3gpuE3ELNS1_3repE0EEENS1_30default_config_static_selectorELNS0_4arch9wavefront6targetE0EEEvT1_
                                        ; -- End function
	.set _ZN7rocprim17ROCPRIM_400000_NS6detail17trampoline_kernelINS0_14default_configENS1_27scan_by_key_config_selectorIifEEZZNS1_16scan_by_key_implILNS1_25lookback_scan_determinismE0ELb0ES3_N6thrust23THRUST_200600_302600_NS6detail15normal_iteratorINS9_10device_ptrIiEEEENSB_INSC_IfEEEESG_fNS9_4plusIvEENS9_8equal_toIvEEfEE10hipError_tPvRmT2_T3_T4_T5_mT6_T7_P12ihipStream_tbENKUlT_T0_E_clISt17integral_constantIbLb1EES11_EEDaSW_SX_EUlSW_E_NS1_11comp_targetILNS1_3genE9ELNS1_11target_archE1100ELNS1_3gpuE3ELNS1_3repE0EEENS1_30default_config_static_selectorELNS0_4arch9wavefront6targetE0EEEvT1_.num_vgpr, 0
	.set _ZN7rocprim17ROCPRIM_400000_NS6detail17trampoline_kernelINS0_14default_configENS1_27scan_by_key_config_selectorIifEEZZNS1_16scan_by_key_implILNS1_25lookback_scan_determinismE0ELb0ES3_N6thrust23THRUST_200600_302600_NS6detail15normal_iteratorINS9_10device_ptrIiEEEENSB_INSC_IfEEEESG_fNS9_4plusIvEENS9_8equal_toIvEEfEE10hipError_tPvRmT2_T3_T4_T5_mT6_T7_P12ihipStream_tbENKUlT_T0_E_clISt17integral_constantIbLb1EES11_EEDaSW_SX_EUlSW_E_NS1_11comp_targetILNS1_3genE9ELNS1_11target_archE1100ELNS1_3gpuE3ELNS1_3repE0EEENS1_30default_config_static_selectorELNS0_4arch9wavefront6targetE0EEEvT1_.num_agpr, 0
	.set _ZN7rocprim17ROCPRIM_400000_NS6detail17trampoline_kernelINS0_14default_configENS1_27scan_by_key_config_selectorIifEEZZNS1_16scan_by_key_implILNS1_25lookback_scan_determinismE0ELb0ES3_N6thrust23THRUST_200600_302600_NS6detail15normal_iteratorINS9_10device_ptrIiEEEENSB_INSC_IfEEEESG_fNS9_4plusIvEENS9_8equal_toIvEEfEE10hipError_tPvRmT2_T3_T4_T5_mT6_T7_P12ihipStream_tbENKUlT_T0_E_clISt17integral_constantIbLb1EES11_EEDaSW_SX_EUlSW_E_NS1_11comp_targetILNS1_3genE9ELNS1_11target_archE1100ELNS1_3gpuE3ELNS1_3repE0EEENS1_30default_config_static_selectorELNS0_4arch9wavefront6targetE0EEEvT1_.numbered_sgpr, 0
	.set _ZN7rocprim17ROCPRIM_400000_NS6detail17trampoline_kernelINS0_14default_configENS1_27scan_by_key_config_selectorIifEEZZNS1_16scan_by_key_implILNS1_25lookback_scan_determinismE0ELb0ES3_N6thrust23THRUST_200600_302600_NS6detail15normal_iteratorINS9_10device_ptrIiEEEENSB_INSC_IfEEEESG_fNS9_4plusIvEENS9_8equal_toIvEEfEE10hipError_tPvRmT2_T3_T4_T5_mT6_T7_P12ihipStream_tbENKUlT_T0_E_clISt17integral_constantIbLb1EES11_EEDaSW_SX_EUlSW_E_NS1_11comp_targetILNS1_3genE9ELNS1_11target_archE1100ELNS1_3gpuE3ELNS1_3repE0EEENS1_30default_config_static_selectorELNS0_4arch9wavefront6targetE0EEEvT1_.num_named_barrier, 0
	.set _ZN7rocprim17ROCPRIM_400000_NS6detail17trampoline_kernelINS0_14default_configENS1_27scan_by_key_config_selectorIifEEZZNS1_16scan_by_key_implILNS1_25lookback_scan_determinismE0ELb0ES3_N6thrust23THRUST_200600_302600_NS6detail15normal_iteratorINS9_10device_ptrIiEEEENSB_INSC_IfEEEESG_fNS9_4plusIvEENS9_8equal_toIvEEfEE10hipError_tPvRmT2_T3_T4_T5_mT6_T7_P12ihipStream_tbENKUlT_T0_E_clISt17integral_constantIbLb1EES11_EEDaSW_SX_EUlSW_E_NS1_11comp_targetILNS1_3genE9ELNS1_11target_archE1100ELNS1_3gpuE3ELNS1_3repE0EEENS1_30default_config_static_selectorELNS0_4arch9wavefront6targetE0EEEvT1_.private_seg_size, 0
	.set _ZN7rocprim17ROCPRIM_400000_NS6detail17trampoline_kernelINS0_14default_configENS1_27scan_by_key_config_selectorIifEEZZNS1_16scan_by_key_implILNS1_25lookback_scan_determinismE0ELb0ES3_N6thrust23THRUST_200600_302600_NS6detail15normal_iteratorINS9_10device_ptrIiEEEENSB_INSC_IfEEEESG_fNS9_4plusIvEENS9_8equal_toIvEEfEE10hipError_tPvRmT2_T3_T4_T5_mT6_T7_P12ihipStream_tbENKUlT_T0_E_clISt17integral_constantIbLb1EES11_EEDaSW_SX_EUlSW_E_NS1_11comp_targetILNS1_3genE9ELNS1_11target_archE1100ELNS1_3gpuE3ELNS1_3repE0EEENS1_30default_config_static_selectorELNS0_4arch9wavefront6targetE0EEEvT1_.uses_vcc, 0
	.set _ZN7rocprim17ROCPRIM_400000_NS6detail17trampoline_kernelINS0_14default_configENS1_27scan_by_key_config_selectorIifEEZZNS1_16scan_by_key_implILNS1_25lookback_scan_determinismE0ELb0ES3_N6thrust23THRUST_200600_302600_NS6detail15normal_iteratorINS9_10device_ptrIiEEEENSB_INSC_IfEEEESG_fNS9_4plusIvEENS9_8equal_toIvEEfEE10hipError_tPvRmT2_T3_T4_T5_mT6_T7_P12ihipStream_tbENKUlT_T0_E_clISt17integral_constantIbLb1EES11_EEDaSW_SX_EUlSW_E_NS1_11comp_targetILNS1_3genE9ELNS1_11target_archE1100ELNS1_3gpuE3ELNS1_3repE0EEENS1_30default_config_static_selectorELNS0_4arch9wavefront6targetE0EEEvT1_.uses_flat_scratch, 0
	.set _ZN7rocprim17ROCPRIM_400000_NS6detail17trampoline_kernelINS0_14default_configENS1_27scan_by_key_config_selectorIifEEZZNS1_16scan_by_key_implILNS1_25lookback_scan_determinismE0ELb0ES3_N6thrust23THRUST_200600_302600_NS6detail15normal_iteratorINS9_10device_ptrIiEEEENSB_INSC_IfEEEESG_fNS9_4plusIvEENS9_8equal_toIvEEfEE10hipError_tPvRmT2_T3_T4_T5_mT6_T7_P12ihipStream_tbENKUlT_T0_E_clISt17integral_constantIbLb1EES11_EEDaSW_SX_EUlSW_E_NS1_11comp_targetILNS1_3genE9ELNS1_11target_archE1100ELNS1_3gpuE3ELNS1_3repE0EEENS1_30default_config_static_selectorELNS0_4arch9wavefront6targetE0EEEvT1_.has_dyn_sized_stack, 0
	.set _ZN7rocprim17ROCPRIM_400000_NS6detail17trampoline_kernelINS0_14default_configENS1_27scan_by_key_config_selectorIifEEZZNS1_16scan_by_key_implILNS1_25lookback_scan_determinismE0ELb0ES3_N6thrust23THRUST_200600_302600_NS6detail15normal_iteratorINS9_10device_ptrIiEEEENSB_INSC_IfEEEESG_fNS9_4plusIvEENS9_8equal_toIvEEfEE10hipError_tPvRmT2_T3_T4_T5_mT6_T7_P12ihipStream_tbENKUlT_T0_E_clISt17integral_constantIbLb1EES11_EEDaSW_SX_EUlSW_E_NS1_11comp_targetILNS1_3genE9ELNS1_11target_archE1100ELNS1_3gpuE3ELNS1_3repE0EEENS1_30default_config_static_selectorELNS0_4arch9wavefront6targetE0EEEvT1_.has_recursion, 0
	.set _ZN7rocprim17ROCPRIM_400000_NS6detail17trampoline_kernelINS0_14default_configENS1_27scan_by_key_config_selectorIifEEZZNS1_16scan_by_key_implILNS1_25lookback_scan_determinismE0ELb0ES3_N6thrust23THRUST_200600_302600_NS6detail15normal_iteratorINS9_10device_ptrIiEEEENSB_INSC_IfEEEESG_fNS9_4plusIvEENS9_8equal_toIvEEfEE10hipError_tPvRmT2_T3_T4_T5_mT6_T7_P12ihipStream_tbENKUlT_T0_E_clISt17integral_constantIbLb1EES11_EEDaSW_SX_EUlSW_E_NS1_11comp_targetILNS1_3genE9ELNS1_11target_archE1100ELNS1_3gpuE3ELNS1_3repE0EEENS1_30default_config_static_selectorELNS0_4arch9wavefront6targetE0EEEvT1_.has_indirect_call, 0
	.section	.AMDGPU.csdata,"",@progbits
; Kernel info:
; codeLenInByte = 0
; TotalNumSgprs: 0
; NumVgprs: 0
; ScratchSize: 0
; MemoryBound: 0
; FloatMode: 240
; IeeeMode: 1
; LDSByteSize: 0 bytes/workgroup (compile time only)
; SGPRBlocks: 0
; VGPRBlocks: 0
; NumSGPRsForWavesPerEU: 1
; NumVGPRsForWavesPerEU: 1
; Occupancy: 16
; WaveLimiterHint : 0
; COMPUTE_PGM_RSRC2:SCRATCH_EN: 0
; COMPUTE_PGM_RSRC2:USER_SGPR: 6
; COMPUTE_PGM_RSRC2:TRAP_HANDLER: 0
; COMPUTE_PGM_RSRC2:TGID_X_EN: 1
; COMPUTE_PGM_RSRC2:TGID_Y_EN: 0
; COMPUTE_PGM_RSRC2:TGID_Z_EN: 0
; COMPUTE_PGM_RSRC2:TIDIG_COMP_CNT: 0
	.section	.text._ZN7rocprim17ROCPRIM_400000_NS6detail17trampoline_kernelINS0_14default_configENS1_27scan_by_key_config_selectorIifEEZZNS1_16scan_by_key_implILNS1_25lookback_scan_determinismE0ELb0ES3_N6thrust23THRUST_200600_302600_NS6detail15normal_iteratorINS9_10device_ptrIiEEEENSB_INSC_IfEEEESG_fNS9_4plusIvEENS9_8equal_toIvEEfEE10hipError_tPvRmT2_T3_T4_T5_mT6_T7_P12ihipStream_tbENKUlT_T0_E_clISt17integral_constantIbLb1EES11_EEDaSW_SX_EUlSW_E_NS1_11comp_targetILNS1_3genE8ELNS1_11target_archE1030ELNS1_3gpuE2ELNS1_3repE0EEENS1_30default_config_static_selectorELNS0_4arch9wavefront6targetE0EEEvT1_,"axG",@progbits,_ZN7rocprim17ROCPRIM_400000_NS6detail17trampoline_kernelINS0_14default_configENS1_27scan_by_key_config_selectorIifEEZZNS1_16scan_by_key_implILNS1_25lookback_scan_determinismE0ELb0ES3_N6thrust23THRUST_200600_302600_NS6detail15normal_iteratorINS9_10device_ptrIiEEEENSB_INSC_IfEEEESG_fNS9_4plusIvEENS9_8equal_toIvEEfEE10hipError_tPvRmT2_T3_T4_T5_mT6_T7_P12ihipStream_tbENKUlT_T0_E_clISt17integral_constantIbLb1EES11_EEDaSW_SX_EUlSW_E_NS1_11comp_targetILNS1_3genE8ELNS1_11target_archE1030ELNS1_3gpuE2ELNS1_3repE0EEENS1_30default_config_static_selectorELNS0_4arch9wavefront6targetE0EEEvT1_,comdat
	.protected	_ZN7rocprim17ROCPRIM_400000_NS6detail17trampoline_kernelINS0_14default_configENS1_27scan_by_key_config_selectorIifEEZZNS1_16scan_by_key_implILNS1_25lookback_scan_determinismE0ELb0ES3_N6thrust23THRUST_200600_302600_NS6detail15normal_iteratorINS9_10device_ptrIiEEEENSB_INSC_IfEEEESG_fNS9_4plusIvEENS9_8equal_toIvEEfEE10hipError_tPvRmT2_T3_T4_T5_mT6_T7_P12ihipStream_tbENKUlT_T0_E_clISt17integral_constantIbLb1EES11_EEDaSW_SX_EUlSW_E_NS1_11comp_targetILNS1_3genE8ELNS1_11target_archE1030ELNS1_3gpuE2ELNS1_3repE0EEENS1_30default_config_static_selectorELNS0_4arch9wavefront6targetE0EEEvT1_ ; -- Begin function _ZN7rocprim17ROCPRIM_400000_NS6detail17trampoline_kernelINS0_14default_configENS1_27scan_by_key_config_selectorIifEEZZNS1_16scan_by_key_implILNS1_25lookback_scan_determinismE0ELb0ES3_N6thrust23THRUST_200600_302600_NS6detail15normal_iteratorINS9_10device_ptrIiEEEENSB_INSC_IfEEEESG_fNS9_4plusIvEENS9_8equal_toIvEEfEE10hipError_tPvRmT2_T3_T4_T5_mT6_T7_P12ihipStream_tbENKUlT_T0_E_clISt17integral_constantIbLb1EES11_EEDaSW_SX_EUlSW_E_NS1_11comp_targetILNS1_3genE8ELNS1_11target_archE1030ELNS1_3gpuE2ELNS1_3repE0EEENS1_30default_config_static_selectorELNS0_4arch9wavefront6targetE0EEEvT1_
	.globl	_ZN7rocprim17ROCPRIM_400000_NS6detail17trampoline_kernelINS0_14default_configENS1_27scan_by_key_config_selectorIifEEZZNS1_16scan_by_key_implILNS1_25lookback_scan_determinismE0ELb0ES3_N6thrust23THRUST_200600_302600_NS6detail15normal_iteratorINS9_10device_ptrIiEEEENSB_INSC_IfEEEESG_fNS9_4plusIvEENS9_8equal_toIvEEfEE10hipError_tPvRmT2_T3_T4_T5_mT6_T7_P12ihipStream_tbENKUlT_T0_E_clISt17integral_constantIbLb1EES11_EEDaSW_SX_EUlSW_E_NS1_11comp_targetILNS1_3genE8ELNS1_11target_archE1030ELNS1_3gpuE2ELNS1_3repE0EEENS1_30default_config_static_selectorELNS0_4arch9wavefront6targetE0EEEvT1_
	.p2align	8
	.type	_ZN7rocprim17ROCPRIM_400000_NS6detail17trampoline_kernelINS0_14default_configENS1_27scan_by_key_config_selectorIifEEZZNS1_16scan_by_key_implILNS1_25lookback_scan_determinismE0ELb0ES3_N6thrust23THRUST_200600_302600_NS6detail15normal_iteratorINS9_10device_ptrIiEEEENSB_INSC_IfEEEESG_fNS9_4plusIvEENS9_8equal_toIvEEfEE10hipError_tPvRmT2_T3_T4_T5_mT6_T7_P12ihipStream_tbENKUlT_T0_E_clISt17integral_constantIbLb1EES11_EEDaSW_SX_EUlSW_E_NS1_11comp_targetILNS1_3genE8ELNS1_11target_archE1030ELNS1_3gpuE2ELNS1_3repE0EEENS1_30default_config_static_selectorELNS0_4arch9wavefront6targetE0EEEvT1_,@function
_ZN7rocprim17ROCPRIM_400000_NS6detail17trampoline_kernelINS0_14default_configENS1_27scan_by_key_config_selectorIifEEZZNS1_16scan_by_key_implILNS1_25lookback_scan_determinismE0ELb0ES3_N6thrust23THRUST_200600_302600_NS6detail15normal_iteratorINS9_10device_ptrIiEEEENSB_INSC_IfEEEESG_fNS9_4plusIvEENS9_8equal_toIvEEfEE10hipError_tPvRmT2_T3_T4_T5_mT6_T7_P12ihipStream_tbENKUlT_T0_E_clISt17integral_constantIbLb1EES11_EEDaSW_SX_EUlSW_E_NS1_11comp_targetILNS1_3genE8ELNS1_11target_archE1030ELNS1_3gpuE2ELNS1_3repE0EEENS1_30default_config_static_selectorELNS0_4arch9wavefront6targetE0EEEvT1_: ; @_ZN7rocprim17ROCPRIM_400000_NS6detail17trampoline_kernelINS0_14default_configENS1_27scan_by_key_config_selectorIifEEZZNS1_16scan_by_key_implILNS1_25lookback_scan_determinismE0ELb0ES3_N6thrust23THRUST_200600_302600_NS6detail15normal_iteratorINS9_10device_ptrIiEEEENSB_INSC_IfEEEESG_fNS9_4plusIvEENS9_8equal_toIvEEfEE10hipError_tPvRmT2_T3_T4_T5_mT6_T7_P12ihipStream_tbENKUlT_T0_E_clISt17integral_constantIbLb1EES11_EEDaSW_SX_EUlSW_E_NS1_11comp_targetILNS1_3genE8ELNS1_11target_archE1030ELNS1_3gpuE2ELNS1_3repE0EEENS1_30default_config_static_selectorELNS0_4arch9wavefront6targetE0EEEvT1_
; %bb.0:
	s_endpgm
	.section	.rodata,"a",@progbits
	.p2align	6, 0x0
	.amdhsa_kernel _ZN7rocprim17ROCPRIM_400000_NS6detail17trampoline_kernelINS0_14default_configENS1_27scan_by_key_config_selectorIifEEZZNS1_16scan_by_key_implILNS1_25lookback_scan_determinismE0ELb0ES3_N6thrust23THRUST_200600_302600_NS6detail15normal_iteratorINS9_10device_ptrIiEEEENSB_INSC_IfEEEESG_fNS9_4plusIvEENS9_8equal_toIvEEfEE10hipError_tPvRmT2_T3_T4_T5_mT6_T7_P12ihipStream_tbENKUlT_T0_E_clISt17integral_constantIbLb1EES11_EEDaSW_SX_EUlSW_E_NS1_11comp_targetILNS1_3genE8ELNS1_11target_archE1030ELNS1_3gpuE2ELNS1_3repE0EEENS1_30default_config_static_selectorELNS0_4arch9wavefront6targetE0EEEvT1_
		.amdhsa_group_segment_fixed_size 0
		.amdhsa_private_segment_fixed_size 0
		.amdhsa_kernarg_size 112
		.amdhsa_user_sgpr_count 6
		.amdhsa_user_sgpr_private_segment_buffer 1
		.amdhsa_user_sgpr_dispatch_ptr 0
		.amdhsa_user_sgpr_queue_ptr 0
		.amdhsa_user_sgpr_kernarg_segment_ptr 1
		.amdhsa_user_sgpr_dispatch_id 0
		.amdhsa_user_sgpr_flat_scratch_init 0
		.amdhsa_user_sgpr_private_segment_size 0
		.amdhsa_wavefront_size32 1
		.amdhsa_uses_dynamic_stack 0
		.amdhsa_system_sgpr_private_segment_wavefront_offset 0
		.amdhsa_system_sgpr_workgroup_id_x 1
		.amdhsa_system_sgpr_workgroup_id_y 0
		.amdhsa_system_sgpr_workgroup_id_z 0
		.amdhsa_system_sgpr_workgroup_info 0
		.amdhsa_system_vgpr_workitem_id 0
		.amdhsa_next_free_vgpr 1
		.amdhsa_next_free_sgpr 1
		.amdhsa_reserve_vcc 0
		.amdhsa_reserve_flat_scratch 0
		.amdhsa_float_round_mode_32 0
		.amdhsa_float_round_mode_16_64 0
		.amdhsa_float_denorm_mode_32 3
		.amdhsa_float_denorm_mode_16_64 3
		.amdhsa_dx10_clamp 1
		.amdhsa_ieee_mode 1
		.amdhsa_fp16_overflow 0
		.amdhsa_workgroup_processor_mode 1
		.amdhsa_memory_ordered 1
		.amdhsa_forward_progress 1
		.amdhsa_shared_vgpr_count 0
		.amdhsa_exception_fp_ieee_invalid_op 0
		.amdhsa_exception_fp_denorm_src 0
		.amdhsa_exception_fp_ieee_div_zero 0
		.amdhsa_exception_fp_ieee_overflow 0
		.amdhsa_exception_fp_ieee_underflow 0
		.amdhsa_exception_fp_ieee_inexact 0
		.amdhsa_exception_int_div_zero 0
	.end_amdhsa_kernel
	.section	.text._ZN7rocprim17ROCPRIM_400000_NS6detail17trampoline_kernelINS0_14default_configENS1_27scan_by_key_config_selectorIifEEZZNS1_16scan_by_key_implILNS1_25lookback_scan_determinismE0ELb0ES3_N6thrust23THRUST_200600_302600_NS6detail15normal_iteratorINS9_10device_ptrIiEEEENSB_INSC_IfEEEESG_fNS9_4plusIvEENS9_8equal_toIvEEfEE10hipError_tPvRmT2_T3_T4_T5_mT6_T7_P12ihipStream_tbENKUlT_T0_E_clISt17integral_constantIbLb1EES11_EEDaSW_SX_EUlSW_E_NS1_11comp_targetILNS1_3genE8ELNS1_11target_archE1030ELNS1_3gpuE2ELNS1_3repE0EEENS1_30default_config_static_selectorELNS0_4arch9wavefront6targetE0EEEvT1_,"axG",@progbits,_ZN7rocprim17ROCPRIM_400000_NS6detail17trampoline_kernelINS0_14default_configENS1_27scan_by_key_config_selectorIifEEZZNS1_16scan_by_key_implILNS1_25lookback_scan_determinismE0ELb0ES3_N6thrust23THRUST_200600_302600_NS6detail15normal_iteratorINS9_10device_ptrIiEEEENSB_INSC_IfEEEESG_fNS9_4plusIvEENS9_8equal_toIvEEfEE10hipError_tPvRmT2_T3_T4_T5_mT6_T7_P12ihipStream_tbENKUlT_T0_E_clISt17integral_constantIbLb1EES11_EEDaSW_SX_EUlSW_E_NS1_11comp_targetILNS1_3genE8ELNS1_11target_archE1030ELNS1_3gpuE2ELNS1_3repE0EEENS1_30default_config_static_selectorELNS0_4arch9wavefront6targetE0EEEvT1_,comdat
.Lfunc_end1149:
	.size	_ZN7rocprim17ROCPRIM_400000_NS6detail17trampoline_kernelINS0_14default_configENS1_27scan_by_key_config_selectorIifEEZZNS1_16scan_by_key_implILNS1_25lookback_scan_determinismE0ELb0ES3_N6thrust23THRUST_200600_302600_NS6detail15normal_iteratorINS9_10device_ptrIiEEEENSB_INSC_IfEEEESG_fNS9_4plusIvEENS9_8equal_toIvEEfEE10hipError_tPvRmT2_T3_T4_T5_mT6_T7_P12ihipStream_tbENKUlT_T0_E_clISt17integral_constantIbLb1EES11_EEDaSW_SX_EUlSW_E_NS1_11comp_targetILNS1_3genE8ELNS1_11target_archE1030ELNS1_3gpuE2ELNS1_3repE0EEENS1_30default_config_static_selectorELNS0_4arch9wavefront6targetE0EEEvT1_, .Lfunc_end1149-_ZN7rocprim17ROCPRIM_400000_NS6detail17trampoline_kernelINS0_14default_configENS1_27scan_by_key_config_selectorIifEEZZNS1_16scan_by_key_implILNS1_25lookback_scan_determinismE0ELb0ES3_N6thrust23THRUST_200600_302600_NS6detail15normal_iteratorINS9_10device_ptrIiEEEENSB_INSC_IfEEEESG_fNS9_4plusIvEENS9_8equal_toIvEEfEE10hipError_tPvRmT2_T3_T4_T5_mT6_T7_P12ihipStream_tbENKUlT_T0_E_clISt17integral_constantIbLb1EES11_EEDaSW_SX_EUlSW_E_NS1_11comp_targetILNS1_3genE8ELNS1_11target_archE1030ELNS1_3gpuE2ELNS1_3repE0EEENS1_30default_config_static_selectorELNS0_4arch9wavefront6targetE0EEEvT1_
                                        ; -- End function
	.set _ZN7rocprim17ROCPRIM_400000_NS6detail17trampoline_kernelINS0_14default_configENS1_27scan_by_key_config_selectorIifEEZZNS1_16scan_by_key_implILNS1_25lookback_scan_determinismE0ELb0ES3_N6thrust23THRUST_200600_302600_NS6detail15normal_iteratorINS9_10device_ptrIiEEEENSB_INSC_IfEEEESG_fNS9_4plusIvEENS9_8equal_toIvEEfEE10hipError_tPvRmT2_T3_T4_T5_mT6_T7_P12ihipStream_tbENKUlT_T0_E_clISt17integral_constantIbLb1EES11_EEDaSW_SX_EUlSW_E_NS1_11comp_targetILNS1_3genE8ELNS1_11target_archE1030ELNS1_3gpuE2ELNS1_3repE0EEENS1_30default_config_static_selectorELNS0_4arch9wavefront6targetE0EEEvT1_.num_vgpr, 0
	.set _ZN7rocprim17ROCPRIM_400000_NS6detail17trampoline_kernelINS0_14default_configENS1_27scan_by_key_config_selectorIifEEZZNS1_16scan_by_key_implILNS1_25lookback_scan_determinismE0ELb0ES3_N6thrust23THRUST_200600_302600_NS6detail15normal_iteratorINS9_10device_ptrIiEEEENSB_INSC_IfEEEESG_fNS9_4plusIvEENS9_8equal_toIvEEfEE10hipError_tPvRmT2_T3_T4_T5_mT6_T7_P12ihipStream_tbENKUlT_T0_E_clISt17integral_constantIbLb1EES11_EEDaSW_SX_EUlSW_E_NS1_11comp_targetILNS1_3genE8ELNS1_11target_archE1030ELNS1_3gpuE2ELNS1_3repE0EEENS1_30default_config_static_selectorELNS0_4arch9wavefront6targetE0EEEvT1_.num_agpr, 0
	.set _ZN7rocprim17ROCPRIM_400000_NS6detail17trampoline_kernelINS0_14default_configENS1_27scan_by_key_config_selectorIifEEZZNS1_16scan_by_key_implILNS1_25lookback_scan_determinismE0ELb0ES3_N6thrust23THRUST_200600_302600_NS6detail15normal_iteratorINS9_10device_ptrIiEEEENSB_INSC_IfEEEESG_fNS9_4plusIvEENS9_8equal_toIvEEfEE10hipError_tPvRmT2_T3_T4_T5_mT6_T7_P12ihipStream_tbENKUlT_T0_E_clISt17integral_constantIbLb1EES11_EEDaSW_SX_EUlSW_E_NS1_11comp_targetILNS1_3genE8ELNS1_11target_archE1030ELNS1_3gpuE2ELNS1_3repE0EEENS1_30default_config_static_selectorELNS0_4arch9wavefront6targetE0EEEvT1_.numbered_sgpr, 0
	.set _ZN7rocprim17ROCPRIM_400000_NS6detail17trampoline_kernelINS0_14default_configENS1_27scan_by_key_config_selectorIifEEZZNS1_16scan_by_key_implILNS1_25lookback_scan_determinismE0ELb0ES3_N6thrust23THRUST_200600_302600_NS6detail15normal_iteratorINS9_10device_ptrIiEEEENSB_INSC_IfEEEESG_fNS9_4plusIvEENS9_8equal_toIvEEfEE10hipError_tPvRmT2_T3_T4_T5_mT6_T7_P12ihipStream_tbENKUlT_T0_E_clISt17integral_constantIbLb1EES11_EEDaSW_SX_EUlSW_E_NS1_11comp_targetILNS1_3genE8ELNS1_11target_archE1030ELNS1_3gpuE2ELNS1_3repE0EEENS1_30default_config_static_selectorELNS0_4arch9wavefront6targetE0EEEvT1_.num_named_barrier, 0
	.set _ZN7rocprim17ROCPRIM_400000_NS6detail17trampoline_kernelINS0_14default_configENS1_27scan_by_key_config_selectorIifEEZZNS1_16scan_by_key_implILNS1_25lookback_scan_determinismE0ELb0ES3_N6thrust23THRUST_200600_302600_NS6detail15normal_iteratorINS9_10device_ptrIiEEEENSB_INSC_IfEEEESG_fNS9_4plusIvEENS9_8equal_toIvEEfEE10hipError_tPvRmT2_T3_T4_T5_mT6_T7_P12ihipStream_tbENKUlT_T0_E_clISt17integral_constantIbLb1EES11_EEDaSW_SX_EUlSW_E_NS1_11comp_targetILNS1_3genE8ELNS1_11target_archE1030ELNS1_3gpuE2ELNS1_3repE0EEENS1_30default_config_static_selectorELNS0_4arch9wavefront6targetE0EEEvT1_.private_seg_size, 0
	.set _ZN7rocprim17ROCPRIM_400000_NS6detail17trampoline_kernelINS0_14default_configENS1_27scan_by_key_config_selectorIifEEZZNS1_16scan_by_key_implILNS1_25lookback_scan_determinismE0ELb0ES3_N6thrust23THRUST_200600_302600_NS6detail15normal_iteratorINS9_10device_ptrIiEEEENSB_INSC_IfEEEESG_fNS9_4plusIvEENS9_8equal_toIvEEfEE10hipError_tPvRmT2_T3_T4_T5_mT6_T7_P12ihipStream_tbENKUlT_T0_E_clISt17integral_constantIbLb1EES11_EEDaSW_SX_EUlSW_E_NS1_11comp_targetILNS1_3genE8ELNS1_11target_archE1030ELNS1_3gpuE2ELNS1_3repE0EEENS1_30default_config_static_selectorELNS0_4arch9wavefront6targetE0EEEvT1_.uses_vcc, 0
	.set _ZN7rocprim17ROCPRIM_400000_NS6detail17trampoline_kernelINS0_14default_configENS1_27scan_by_key_config_selectorIifEEZZNS1_16scan_by_key_implILNS1_25lookback_scan_determinismE0ELb0ES3_N6thrust23THRUST_200600_302600_NS6detail15normal_iteratorINS9_10device_ptrIiEEEENSB_INSC_IfEEEESG_fNS9_4plusIvEENS9_8equal_toIvEEfEE10hipError_tPvRmT2_T3_T4_T5_mT6_T7_P12ihipStream_tbENKUlT_T0_E_clISt17integral_constantIbLb1EES11_EEDaSW_SX_EUlSW_E_NS1_11comp_targetILNS1_3genE8ELNS1_11target_archE1030ELNS1_3gpuE2ELNS1_3repE0EEENS1_30default_config_static_selectorELNS0_4arch9wavefront6targetE0EEEvT1_.uses_flat_scratch, 0
	.set _ZN7rocprim17ROCPRIM_400000_NS6detail17trampoline_kernelINS0_14default_configENS1_27scan_by_key_config_selectorIifEEZZNS1_16scan_by_key_implILNS1_25lookback_scan_determinismE0ELb0ES3_N6thrust23THRUST_200600_302600_NS6detail15normal_iteratorINS9_10device_ptrIiEEEENSB_INSC_IfEEEESG_fNS9_4plusIvEENS9_8equal_toIvEEfEE10hipError_tPvRmT2_T3_T4_T5_mT6_T7_P12ihipStream_tbENKUlT_T0_E_clISt17integral_constantIbLb1EES11_EEDaSW_SX_EUlSW_E_NS1_11comp_targetILNS1_3genE8ELNS1_11target_archE1030ELNS1_3gpuE2ELNS1_3repE0EEENS1_30default_config_static_selectorELNS0_4arch9wavefront6targetE0EEEvT1_.has_dyn_sized_stack, 0
	.set _ZN7rocprim17ROCPRIM_400000_NS6detail17trampoline_kernelINS0_14default_configENS1_27scan_by_key_config_selectorIifEEZZNS1_16scan_by_key_implILNS1_25lookback_scan_determinismE0ELb0ES3_N6thrust23THRUST_200600_302600_NS6detail15normal_iteratorINS9_10device_ptrIiEEEENSB_INSC_IfEEEESG_fNS9_4plusIvEENS9_8equal_toIvEEfEE10hipError_tPvRmT2_T3_T4_T5_mT6_T7_P12ihipStream_tbENKUlT_T0_E_clISt17integral_constantIbLb1EES11_EEDaSW_SX_EUlSW_E_NS1_11comp_targetILNS1_3genE8ELNS1_11target_archE1030ELNS1_3gpuE2ELNS1_3repE0EEENS1_30default_config_static_selectorELNS0_4arch9wavefront6targetE0EEEvT1_.has_recursion, 0
	.set _ZN7rocprim17ROCPRIM_400000_NS6detail17trampoline_kernelINS0_14default_configENS1_27scan_by_key_config_selectorIifEEZZNS1_16scan_by_key_implILNS1_25lookback_scan_determinismE0ELb0ES3_N6thrust23THRUST_200600_302600_NS6detail15normal_iteratorINS9_10device_ptrIiEEEENSB_INSC_IfEEEESG_fNS9_4plusIvEENS9_8equal_toIvEEfEE10hipError_tPvRmT2_T3_T4_T5_mT6_T7_P12ihipStream_tbENKUlT_T0_E_clISt17integral_constantIbLb1EES11_EEDaSW_SX_EUlSW_E_NS1_11comp_targetILNS1_3genE8ELNS1_11target_archE1030ELNS1_3gpuE2ELNS1_3repE0EEENS1_30default_config_static_selectorELNS0_4arch9wavefront6targetE0EEEvT1_.has_indirect_call, 0
	.section	.AMDGPU.csdata,"",@progbits
; Kernel info:
; codeLenInByte = 4
; TotalNumSgprs: 0
; NumVgprs: 0
; ScratchSize: 0
; MemoryBound: 0
; FloatMode: 240
; IeeeMode: 1
; LDSByteSize: 0 bytes/workgroup (compile time only)
; SGPRBlocks: 0
; VGPRBlocks: 0
; NumSGPRsForWavesPerEU: 1
; NumVGPRsForWavesPerEU: 1
; Occupancy: 16
; WaveLimiterHint : 0
; COMPUTE_PGM_RSRC2:SCRATCH_EN: 0
; COMPUTE_PGM_RSRC2:USER_SGPR: 6
; COMPUTE_PGM_RSRC2:TRAP_HANDLER: 0
; COMPUTE_PGM_RSRC2:TGID_X_EN: 1
; COMPUTE_PGM_RSRC2:TGID_Y_EN: 0
; COMPUTE_PGM_RSRC2:TGID_Z_EN: 0
; COMPUTE_PGM_RSRC2:TIDIG_COMP_CNT: 0
	.section	.text._ZN7rocprim17ROCPRIM_400000_NS6detail30init_device_scan_by_key_kernelINS1_19lookback_scan_stateINS0_5tupleIJfbEEELb1ELb1EEEN6thrust23THRUST_200600_302600_NS6detail15normal_iteratorINS8_10device_ptrIiEEEEjNS1_16block_id_wrapperIjLb0EEEEEvT_jjPNSG_10value_typeET0_PNSt15iterator_traitsISJ_E10value_typeEmT1_T2_,"axG",@progbits,_ZN7rocprim17ROCPRIM_400000_NS6detail30init_device_scan_by_key_kernelINS1_19lookback_scan_stateINS0_5tupleIJfbEEELb1ELb1EEEN6thrust23THRUST_200600_302600_NS6detail15normal_iteratorINS8_10device_ptrIiEEEEjNS1_16block_id_wrapperIjLb0EEEEEvT_jjPNSG_10value_typeET0_PNSt15iterator_traitsISJ_E10value_typeEmT1_T2_,comdat
	.protected	_ZN7rocprim17ROCPRIM_400000_NS6detail30init_device_scan_by_key_kernelINS1_19lookback_scan_stateINS0_5tupleIJfbEEELb1ELb1EEEN6thrust23THRUST_200600_302600_NS6detail15normal_iteratorINS8_10device_ptrIiEEEEjNS1_16block_id_wrapperIjLb0EEEEEvT_jjPNSG_10value_typeET0_PNSt15iterator_traitsISJ_E10value_typeEmT1_T2_ ; -- Begin function _ZN7rocprim17ROCPRIM_400000_NS6detail30init_device_scan_by_key_kernelINS1_19lookback_scan_stateINS0_5tupleIJfbEEELb1ELb1EEEN6thrust23THRUST_200600_302600_NS6detail15normal_iteratorINS8_10device_ptrIiEEEEjNS1_16block_id_wrapperIjLb0EEEEEvT_jjPNSG_10value_typeET0_PNSt15iterator_traitsISJ_E10value_typeEmT1_T2_
	.globl	_ZN7rocprim17ROCPRIM_400000_NS6detail30init_device_scan_by_key_kernelINS1_19lookback_scan_stateINS0_5tupleIJfbEEELb1ELb1EEEN6thrust23THRUST_200600_302600_NS6detail15normal_iteratorINS8_10device_ptrIiEEEEjNS1_16block_id_wrapperIjLb0EEEEEvT_jjPNSG_10value_typeET0_PNSt15iterator_traitsISJ_E10value_typeEmT1_T2_
	.p2align	8
	.type	_ZN7rocprim17ROCPRIM_400000_NS6detail30init_device_scan_by_key_kernelINS1_19lookback_scan_stateINS0_5tupleIJfbEEELb1ELb1EEEN6thrust23THRUST_200600_302600_NS6detail15normal_iteratorINS8_10device_ptrIiEEEEjNS1_16block_id_wrapperIjLb0EEEEEvT_jjPNSG_10value_typeET0_PNSt15iterator_traitsISJ_E10value_typeEmT1_T2_,@function
_ZN7rocprim17ROCPRIM_400000_NS6detail30init_device_scan_by_key_kernelINS1_19lookback_scan_stateINS0_5tupleIJfbEEELb1ELb1EEEN6thrust23THRUST_200600_302600_NS6detail15normal_iteratorINS8_10device_ptrIiEEEEjNS1_16block_id_wrapperIjLb0EEEEEvT_jjPNSG_10value_typeET0_PNSt15iterator_traitsISJ_E10value_typeEmT1_T2_: ; @_ZN7rocprim17ROCPRIM_400000_NS6detail30init_device_scan_by_key_kernelINS1_19lookback_scan_stateINS0_5tupleIJfbEEELb1ELb1EEEN6thrust23THRUST_200600_302600_NS6detail15normal_iteratorINS8_10device_ptrIiEEEEjNS1_16block_id_wrapperIjLb0EEEEEvT_jjPNSG_10value_typeET0_PNSt15iterator_traitsISJ_E10value_typeEmT1_T2_
; %bb.0:
	s_clause 0x2
	s_load_dword s0, s[4:5], 0x44
	s_load_dwordx8 s[8:15], s[4:5], 0x0
	s_load_dword s7, s[4:5], 0x38
	s_waitcnt lgkmcnt(0)
	s_and_b32 s16, s0, 0xffff
	s_cmp_eq_u64 s[12:13], 0
	v_mad_u64_u32 v[4:5], null, s6, s16, v[0:1]
	s_cbranch_scc1 .LBB1150_10
; %bb.1:
	s_cmp_lt_u32 s11, s10
	s_mov_b32 s1, 0
	s_cselect_b32 s0, s11, 0
	s_mov_b32 s2, exec_lo
	v_cmpx_eq_u32_e64 s0, v4
	s_cbranch_execz .LBB1150_9
; %bb.2:
	s_add_i32 s0, s11, 32
	v_mov_b32_e32 v6, 0
	s_lshl_b64 s[0:1], s[0:1], 4
	s_mov_b32 s3, exec_lo
	s_add_u32 s0, s8, s0
	s_addc_u32 s1, s9, s1
	v_mov_b32_e32 v0, s0
	v_mov_b32_e32 v1, s1
	;;#ASMSTART
	global_load_dwordx4 v[0:3], v[0:1] off glc dlc	
s_waitcnt vmcnt(0)
	;;#ASMEND
	v_and_b32_e32 v5, 0xff, v2
	v_cmpx_eq_u64_e32 0, v[5:6]
	s_cbranch_execz .LBB1150_8
; %bb.3:
	v_mov_b32_e32 v8, s1
	v_mov_b32_e32 v7, s0
	s_mov_b32 s1, 1
	s_mov_b32 s0, 0
	.p2align	6
.LBB1150_4:                             ; =>This Loop Header: Depth=1
                                        ;     Child Loop BB1150_5 Depth 2
	s_mov_b32 s6, s1
.LBB1150_5:                             ;   Parent Loop BB1150_4 Depth=1
                                        ; =>  This Inner Loop Header: Depth=2
	s_add_i32 s6, s6, -1
	s_sleep 1
	s_cmp_eq_u32 s6, 0
	s_cbranch_scc0 .LBB1150_5
; %bb.6:                                ;   in Loop: Header=BB1150_4 Depth=1
	;;#ASMSTART
	global_load_dwordx4 v[0:3], v[7:8] off glc dlc	
s_waitcnt vmcnt(0)
	;;#ASMEND
	v_and_b32_e32 v5, 0xff, v2
	s_cmp_lt_u32 s1, 32
	s_cselect_b32 s6, -1, 0
	v_cmp_ne_u64_e32 vcc_lo, 0, v[5:6]
	s_cmp_lg_u32 s6, 0
	s_addc_u32 s1, s1, 0
	s_or_b32 s0, vcc_lo, s0
	s_andn2_b32 exec_lo, exec_lo, s0
	s_cbranch_execnz .LBB1150_4
; %bb.7:
	s_or_b32 exec_lo, exec_lo, s0
.LBB1150_8:
	s_or_b32 exec_lo, exec_lo, s3
	v_mov_b32_e32 v2, 0
	global_store_dword v2, v0, s[12:13]
	global_store_byte v2, v1, s[12:13] offset:4
.LBB1150_9:
	s_or_b32 exec_lo, exec_lo, s2
.LBB1150_10:
	s_mov_b32 s0, exec_lo
	v_cmpx_gt_u32_e64 s10, v4
	s_cbranch_execz .LBB1150_12
; %bb.11:
	v_add_nc_u32_e32 v0, 32, v4
	v_mov_b32_e32 v1, 0
	v_lshlrev_b64 v[5:6], 4, v[0:1]
	v_mov_b32_e32 v0, v1
	v_mov_b32_e32 v2, v1
	;; [unrolled: 1-line block ×3, first 2 shown]
	v_add_co_u32 v5, vcc_lo, s8, v5
	v_add_co_ci_u32_e64 v6, null, s9, v6, vcc_lo
	global_store_dwordx4 v[5:6], v[0:3], off
.LBB1150_12:
	s_or_b32 exec_lo, exec_lo, s0
	v_mov_b32_e32 v5, 0
	s_mov_b32 s0, exec_lo
	v_cmpx_gt_u32_e32 32, v4
	s_cbranch_execz .LBB1150_14
; %bb.13:
	v_lshlrev_b64 v[6:7], 4, v[4:5]
	v_mov_b32_e32 v2, 0xff
	v_mov_b32_e32 v0, v5
	v_mov_b32_e32 v1, v5
	v_mov_b32_e32 v3, v5
	v_add_co_u32 v6, vcc_lo, s8, v6
	v_add_co_ci_u32_e64 v7, null, s9, v7, vcc_lo
	global_store_dwordx4 v[6:7], v[0:3], off
.LBB1150_14:
	s_or_b32 exec_lo, exec_lo, s0
	s_load_dwordx2 s[2:3], s[4:5], 0x28
	s_mov_b32 s0, exec_lo
	s_waitcnt lgkmcnt(0)
	v_cmpx_gt_u64_e64 s[2:3], v[4:5]
	s_cbranch_execz .LBB1150_17
; %bb.15:
	s_clause 0x1
	s_load_dword s6, s[4:5], 0x30
	s_load_dwordx2 s[8:9], s[4:5], 0x20
	s_mov_b32 s1, 0
	v_lshlrev_b64 v[2:3], 2, v[4:5]
	s_mul_i32 s4, s7, s16
	s_waitcnt lgkmcnt(0)
	v_mad_u64_u32 v[0:1], null, s6, v4, 0
	s_add_i32 s0, s6, -1
	s_mul_hi_u32 s7, s6, s4
	s_lshl_b64 s[10:11], s[0:1], 2
	s_mul_i32 s6, s6, s4
	s_add_u32 s0, s14, s10
	s_addc_u32 s5, s15, s11
	v_lshlrev_b64 v[0:1], 2, v[0:1]
	s_lshl_b64 s[6:7], s[6:7], 2
	v_add_co_u32 v0, vcc_lo, s0, v0
	v_add_co_ci_u32_e64 v1, null, s5, v1, vcc_lo
	v_add_co_u32 v2, vcc_lo, s8, v2
	v_add_co_ci_u32_e64 v3, null, s9, v3, vcc_lo
	s_mov_b32 s5, s1
	s_lshl_b64 s[8:9], s[4:5], 2
	.p2align	6
.LBB1150_16:                            ; =>This Inner Loop Header: Depth=1
	global_load_dword v6, v[0:1], off
	v_add_co_u32 v4, vcc_lo, v4, s4
	v_add_co_ci_u32_e64 v5, null, 0, v5, vcc_lo
	v_add_co_u32 v0, vcc_lo, v0, s6
	v_add_co_ci_u32_e64 v1, null, s7, v1, vcc_lo
	v_cmp_le_u64_e32 vcc_lo, s[2:3], v[4:5]
	s_or_b32 s1, vcc_lo, s1
	s_waitcnt vmcnt(0)
	global_store_dword v[2:3], v6, off
	v_add_co_u32 v2, s0, v2, s8
	v_add_co_ci_u32_e64 v3, null, s9, v3, s0
	s_andn2_b32 exec_lo, exec_lo, s1
	s_cbranch_execnz .LBB1150_16
.LBB1150_17:
	s_endpgm
	.section	.rodata,"a",@progbits
	.p2align	6, 0x0
	.amdhsa_kernel _ZN7rocprim17ROCPRIM_400000_NS6detail30init_device_scan_by_key_kernelINS1_19lookback_scan_stateINS0_5tupleIJfbEEELb1ELb1EEEN6thrust23THRUST_200600_302600_NS6detail15normal_iteratorINS8_10device_ptrIiEEEEjNS1_16block_id_wrapperIjLb0EEEEEvT_jjPNSG_10value_typeET0_PNSt15iterator_traitsISJ_E10value_typeEmT1_T2_
		.amdhsa_group_segment_fixed_size 0
		.amdhsa_private_segment_fixed_size 0
		.amdhsa_kernarg_size 312
		.amdhsa_user_sgpr_count 6
		.amdhsa_user_sgpr_private_segment_buffer 1
		.amdhsa_user_sgpr_dispatch_ptr 0
		.amdhsa_user_sgpr_queue_ptr 0
		.amdhsa_user_sgpr_kernarg_segment_ptr 1
		.amdhsa_user_sgpr_dispatch_id 0
		.amdhsa_user_sgpr_flat_scratch_init 0
		.amdhsa_user_sgpr_private_segment_size 0
		.amdhsa_wavefront_size32 1
		.amdhsa_uses_dynamic_stack 0
		.amdhsa_system_sgpr_private_segment_wavefront_offset 0
		.amdhsa_system_sgpr_workgroup_id_x 1
		.amdhsa_system_sgpr_workgroup_id_y 0
		.amdhsa_system_sgpr_workgroup_id_z 0
		.amdhsa_system_sgpr_workgroup_info 0
		.amdhsa_system_vgpr_workitem_id 0
		.amdhsa_next_free_vgpr 9
		.amdhsa_next_free_sgpr 17
		.amdhsa_reserve_vcc 1
		.amdhsa_reserve_flat_scratch 0
		.amdhsa_float_round_mode_32 0
		.amdhsa_float_round_mode_16_64 0
		.amdhsa_float_denorm_mode_32 3
		.amdhsa_float_denorm_mode_16_64 3
		.amdhsa_dx10_clamp 1
		.amdhsa_ieee_mode 1
		.amdhsa_fp16_overflow 0
		.amdhsa_workgroup_processor_mode 1
		.amdhsa_memory_ordered 1
		.amdhsa_forward_progress 1
		.amdhsa_shared_vgpr_count 0
		.amdhsa_exception_fp_ieee_invalid_op 0
		.amdhsa_exception_fp_denorm_src 0
		.amdhsa_exception_fp_ieee_div_zero 0
		.amdhsa_exception_fp_ieee_overflow 0
		.amdhsa_exception_fp_ieee_underflow 0
		.amdhsa_exception_fp_ieee_inexact 0
		.amdhsa_exception_int_div_zero 0
	.end_amdhsa_kernel
	.section	.text._ZN7rocprim17ROCPRIM_400000_NS6detail30init_device_scan_by_key_kernelINS1_19lookback_scan_stateINS0_5tupleIJfbEEELb1ELb1EEEN6thrust23THRUST_200600_302600_NS6detail15normal_iteratorINS8_10device_ptrIiEEEEjNS1_16block_id_wrapperIjLb0EEEEEvT_jjPNSG_10value_typeET0_PNSt15iterator_traitsISJ_E10value_typeEmT1_T2_,"axG",@progbits,_ZN7rocprim17ROCPRIM_400000_NS6detail30init_device_scan_by_key_kernelINS1_19lookback_scan_stateINS0_5tupleIJfbEEELb1ELb1EEEN6thrust23THRUST_200600_302600_NS6detail15normal_iteratorINS8_10device_ptrIiEEEEjNS1_16block_id_wrapperIjLb0EEEEEvT_jjPNSG_10value_typeET0_PNSt15iterator_traitsISJ_E10value_typeEmT1_T2_,comdat
.Lfunc_end1150:
	.size	_ZN7rocprim17ROCPRIM_400000_NS6detail30init_device_scan_by_key_kernelINS1_19lookback_scan_stateINS0_5tupleIJfbEEELb1ELb1EEEN6thrust23THRUST_200600_302600_NS6detail15normal_iteratorINS8_10device_ptrIiEEEEjNS1_16block_id_wrapperIjLb0EEEEEvT_jjPNSG_10value_typeET0_PNSt15iterator_traitsISJ_E10value_typeEmT1_T2_, .Lfunc_end1150-_ZN7rocprim17ROCPRIM_400000_NS6detail30init_device_scan_by_key_kernelINS1_19lookback_scan_stateINS0_5tupleIJfbEEELb1ELb1EEEN6thrust23THRUST_200600_302600_NS6detail15normal_iteratorINS8_10device_ptrIiEEEEjNS1_16block_id_wrapperIjLb0EEEEEvT_jjPNSG_10value_typeET0_PNSt15iterator_traitsISJ_E10value_typeEmT1_T2_
                                        ; -- End function
	.set _ZN7rocprim17ROCPRIM_400000_NS6detail30init_device_scan_by_key_kernelINS1_19lookback_scan_stateINS0_5tupleIJfbEEELb1ELb1EEEN6thrust23THRUST_200600_302600_NS6detail15normal_iteratorINS8_10device_ptrIiEEEEjNS1_16block_id_wrapperIjLb0EEEEEvT_jjPNSG_10value_typeET0_PNSt15iterator_traitsISJ_E10value_typeEmT1_T2_.num_vgpr, 9
	.set _ZN7rocprim17ROCPRIM_400000_NS6detail30init_device_scan_by_key_kernelINS1_19lookback_scan_stateINS0_5tupleIJfbEEELb1ELb1EEEN6thrust23THRUST_200600_302600_NS6detail15normal_iteratorINS8_10device_ptrIiEEEEjNS1_16block_id_wrapperIjLb0EEEEEvT_jjPNSG_10value_typeET0_PNSt15iterator_traitsISJ_E10value_typeEmT1_T2_.num_agpr, 0
	.set _ZN7rocprim17ROCPRIM_400000_NS6detail30init_device_scan_by_key_kernelINS1_19lookback_scan_stateINS0_5tupleIJfbEEELb1ELb1EEEN6thrust23THRUST_200600_302600_NS6detail15normal_iteratorINS8_10device_ptrIiEEEEjNS1_16block_id_wrapperIjLb0EEEEEvT_jjPNSG_10value_typeET0_PNSt15iterator_traitsISJ_E10value_typeEmT1_T2_.numbered_sgpr, 17
	.set _ZN7rocprim17ROCPRIM_400000_NS6detail30init_device_scan_by_key_kernelINS1_19lookback_scan_stateINS0_5tupleIJfbEEELb1ELb1EEEN6thrust23THRUST_200600_302600_NS6detail15normal_iteratorINS8_10device_ptrIiEEEEjNS1_16block_id_wrapperIjLb0EEEEEvT_jjPNSG_10value_typeET0_PNSt15iterator_traitsISJ_E10value_typeEmT1_T2_.num_named_barrier, 0
	.set _ZN7rocprim17ROCPRIM_400000_NS6detail30init_device_scan_by_key_kernelINS1_19lookback_scan_stateINS0_5tupleIJfbEEELb1ELb1EEEN6thrust23THRUST_200600_302600_NS6detail15normal_iteratorINS8_10device_ptrIiEEEEjNS1_16block_id_wrapperIjLb0EEEEEvT_jjPNSG_10value_typeET0_PNSt15iterator_traitsISJ_E10value_typeEmT1_T2_.private_seg_size, 0
	.set _ZN7rocprim17ROCPRIM_400000_NS6detail30init_device_scan_by_key_kernelINS1_19lookback_scan_stateINS0_5tupleIJfbEEELb1ELb1EEEN6thrust23THRUST_200600_302600_NS6detail15normal_iteratorINS8_10device_ptrIiEEEEjNS1_16block_id_wrapperIjLb0EEEEEvT_jjPNSG_10value_typeET0_PNSt15iterator_traitsISJ_E10value_typeEmT1_T2_.uses_vcc, 1
	.set _ZN7rocprim17ROCPRIM_400000_NS6detail30init_device_scan_by_key_kernelINS1_19lookback_scan_stateINS0_5tupleIJfbEEELb1ELb1EEEN6thrust23THRUST_200600_302600_NS6detail15normal_iteratorINS8_10device_ptrIiEEEEjNS1_16block_id_wrapperIjLb0EEEEEvT_jjPNSG_10value_typeET0_PNSt15iterator_traitsISJ_E10value_typeEmT1_T2_.uses_flat_scratch, 0
	.set _ZN7rocprim17ROCPRIM_400000_NS6detail30init_device_scan_by_key_kernelINS1_19lookback_scan_stateINS0_5tupleIJfbEEELb1ELb1EEEN6thrust23THRUST_200600_302600_NS6detail15normal_iteratorINS8_10device_ptrIiEEEEjNS1_16block_id_wrapperIjLb0EEEEEvT_jjPNSG_10value_typeET0_PNSt15iterator_traitsISJ_E10value_typeEmT1_T2_.has_dyn_sized_stack, 0
	.set _ZN7rocprim17ROCPRIM_400000_NS6detail30init_device_scan_by_key_kernelINS1_19lookback_scan_stateINS0_5tupleIJfbEEELb1ELb1EEEN6thrust23THRUST_200600_302600_NS6detail15normal_iteratorINS8_10device_ptrIiEEEEjNS1_16block_id_wrapperIjLb0EEEEEvT_jjPNSG_10value_typeET0_PNSt15iterator_traitsISJ_E10value_typeEmT1_T2_.has_recursion, 0
	.set _ZN7rocprim17ROCPRIM_400000_NS6detail30init_device_scan_by_key_kernelINS1_19lookback_scan_stateINS0_5tupleIJfbEEELb1ELb1EEEN6thrust23THRUST_200600_302600_NS6detail15normal_iteratorINS8_10device_ptrIiEEEEjNS1_16block_id_wrapperIjLb0EEEEEvT_jjPNSG_10value_typeET0_PNSt15iterator_traitsISJ_E10value_typeEmT1_T2_.has_indirect_call, 0
	.section	.AMDGPU.csdata,"",@progbits
; Kernel info:
; codeLenInByte = 728
; TotalNumSgprs: 19
; NumVgprs: 9
; ScratchSize: 0
; MemoryBound: 0
; FloatMode: 240
; IeeeMode: 1
; LDSByteSize: 0 bytes/workgroup (compile time only)
; SGPRBlocks: 0
; VGPRBlocks: 1
; NumSGPRsForWavesPerEU: 19
; NumVGPRsForWavesPerEU: 9
; Occupancy: 16
; WaveLimiterHint : 0
; COMPUTE_PGM_RSRC2:SCRATCH_EN: 0
; COMPUTE_PGM_RSRC2:USER_SGPR: 6
; COMPUTE_PGM_RSRC2:TRAP_HANDLER: 0
; COMPUTE_PGM_RSRC2:TGID_X_EN: 1
; COMPUTE_PGM_RSRC2:TGID_Y_EN: 0
; COMPUTE_PGM_RSRC2:TGID_Z_EN: 0
; COMPUTE_PGM_RSRC2:TIDIG_COMP_CNT: 0
	.section	.text._ZN7rocprim17ROCPRIM_400000_NS6detail30init_device_scan_by_key_kernelINS1_19lookback_scan_stateINS0_5tupleIJfbEEELb1ELb1EEENS1_16block_id_wrapperIjLb0EEEEEvT_jjPNS9_10value_typeET0_,"axG",@progbits,_ZN7rocprim17ROCPRIM_400000_NS6detail30init_device_scan_by_key_kernelINS1_19lookback_scan_stateINS0_5tupleIJfbEEELb1ELb1EEENS1_16block_id_wrapperIjLb0EEEEEvT_jjPNS9_10value_typeET0_,comdat
	.protected	_ZN7rocprim17ROCPRIM_400000_NS6detail30init_device_scan_by_key_kernelINS1_19lookback_scan_stateINS0_5tupleIJfbEEELb1ELb1EEENS1_16block_id_wrapperIjLb0EEEEEvT_jjPNS9_10value_typeET0_ ; -- Begin function _ZN7rocprim17ROCPRIM_400000_NS6detail30init_device_scan_by_key_kernelINS1_19lookback_scan_stateINS0_5tupleIJfbEEELb1ELb1EEENS1_16block_id_wrapperIjLb0EEEEEvT_jjPNS9_10value_typeET0_
	.globl	_ZN7rocprim17ROCPRIM_400000_NS6detail30init_device_scan_by_key_kernelINS1_19lookback_scan_stateINS0_5tupleIJfbEEELb1ELb1EEENS1_16block_id_wrapperIjLb0EEEEEvT_jjPNS9_10value_typeET0_
	.p2align	8
	.type	_ZN7rocprim17ROCPRIM_400000_NS6detail30init_device_scan_by_key_kernelINS1_19lookback_scan_stateINS0_5tupleIJfbEEELb1ELb1EEENS1_16block_id_wrapperIjLb0EEEEEvT_jjPNS9_10value_typeET0_,@function
_ZN7rocprim17ROCPRIM_400000_NS6detail30init_device_scan_by_key_kernelINS1_19lookback_scan_stateINS0_5tupleIJfbEEELb1ELb1EEENS1_16block_id_wrapperIjLb0EEEEEvT_jjPNS9_10value_typeET0_: ; @_ZN7rocprim17ROCPRIM_400000_NS6detail30init_device_scan_by_key_kernelINS1_19lookback_scan_stateINS0_5tupleIJfbEEELb1ELb1EEENS1_16block_id_wrapperIjLb0EEEEEvT_jjPNS9_10value_typeET0_
; %bb.0:
	s_clause 0x2
	s_load_dword s7, s[4:5], 0x2c
	s_load_dwordx2 s[8:9], s[4:5], 0x10
	s_load_dwordx4 s[0:3], s[4:5], 0x0
	s_waitcnt lgkmcnt(0)
	s_and_b32 s4, s7, 0xffff
	s_cmp_eq_u64 s[8:9], 0
	v_mad_u64_u32 v[0:1], null, s6, s4, v[0:1]
	s_cbranch_scc1 .LBB1151_10
; %bb.1:
	s_cmp_lt_u32 s3, s2
	s_mov_b32 s5, 0
	s_cselect_b32 s4, s3, 0
	s_mov_b32 s6, exec_lo
	v_cmpx_eq_u32_e64 s4, v0
	s_cbranch_execz .LBB1151_9
; %bb.2:
	s_add_i32 s4, s3, 32
	v_mov_b32_e32 v5, 0
	s_lshl_b64 s[4:5], s[4:5], 4
	s_mov_b32 s3, exec_lo
	s_add_u32 s4, s0, s4
	s_addc_u32 s5, s1, s5
	v_mov_b32_e32 v1, s4
	v_mov_b32_e32 v2, s5
	;;#ASMSTART
	global_load_dwordx4 v[1:4], v[1:2] off glc dlc	
s_waitcnt vmcnt(0)
	;;#ASMEND
	v_and_b32_e32 v4, 0xff, v3
	v_cmpx_eq_u64_e32 0, v[4:5]
	s_cbranch_execz .LBB1151_8
; %bb.3:
	v_mov_b32_e32 v7, s5
	v_mov_b32_e32 v6, s4
	s_mov_b32 s5, 1
	s_mov_b32 s4, 0
	.p2align	6
.LBB1151_4:                             ; =>This Loop Header: Depth=1
                                        ;     Child Loop BB1151_5 Depth 2
	s_mov_b32 s7, s5
.LBB1151_5:                             ;   Parent Loop BB1151_4 Depth=1
                                        ; =>  This Inner Loop Header: Depth=2
	s_add_i32 s7, s7, -1
	s_sleep 1
	s_cmp_eq_u32 s7, 0
	s_cbranch_scc0 .LBB1151_5
; %bb.6:                                ;   in Loop: Header=BB1151_4 Depth=1
	;;#ASMSTART
	global_load_dwordx4 v[1:4], v[6:7] off glc dlc	
s_waitcnt vmcnt(0)
	;;#ASMEND
	v_and_b32_e32 v4, 0xff, v3
	s_cmp_lt_u32 s5, 32
	s_cselect_b32 s7, -1, 0
	s_cmp_lg_u32 s7, 0
	v_cmp_ne_u64_e32 vcc_lo, 0, v[4:5]
	s_addc_u32 s5, s5, 0
	s_or_b32 s4, vcc_lo, s4
	s_andn2_b32 exec_lo, exec_lo, s4
	s_cbranch_execnz .LBB1151_4
; %bb.7:
	s_or_b32 exec_lo, exec_lo, s4
.LBB1151_8:
	s_or_b32 exec_lo, exec_lo, s3
	v_mov_b32_e32 v3, 0
	global_store_dword v3, v1, s[8:9]
	global_store_byte v3, v2, s[8:9] offset:4
.LBB1151_9:
	s_or_b32 exec_lo, exec_lo, s6
.LBB1151_10:
	v_cmp_gt_u32_e32 vcc_lo, s2, v0
	s_and_saveexec_b32 s2, vcc_lo
	s_cbranch_execz .LBB1151_12
; %bb.11:
	v_add_nc_u32_e32 v1, 32, v0
	v_mov_b32_e32 v2, 0
	v_lshlrev_b64 v[4:5], 4, v[1:2]
	v_mov_b32_e32 v1, v2
	v_mov_b32_e32 v3, v2
	v_add_co_u32 v6, vcc_lo, s0, v4
	v_add_co_ci_u32_e64 v7, null, s1, v5, vcc_lo
	v_mov_b32_e32 v4, v2
	global_store_dwordx4 v[6:7], v[1:4], off
.LBB1151_12:
	s_or_b32 exec_lo, exec_lo, s2
	s_mov_b32 s2, exec_lo
	v_cmpx_gt_u32_e32 32, v0
	s_cbranch_execz .LBB1151_14
; %bb.13:
	v_mov_b32_e32 v1, 0
	v_mov_b32_e32 v2, 0xff
	v_lshlrev_b64 v[3:4], 4, v[0:1]
	v_mov_b32_e32 v0, v1
	v_add_co_u32 v5, vcc_lo, s0, v3
	v_add_co_ci_u32_e64 v6, null, s1, v4, vcc_lo
	v_mov_b32_e32 v3, v1
	global_store_dwordx4 v[5:6], v[0:3], off
.LBB1151_14:
	s_endpgm
	.section	.rodata,"a",@progbits
	.p2align	6, 0x0
	.amdhsa_kernel _ZN7rocprim17ROCPRIM_400000_NS6detail30init_device_scan_by_key_kernelINS1_19lookback_scan_stateINS0_5tupleIJfbEEELb1ELb1EEENS1_16block_id_wrapperIjLb0EEEEEvT_jjPNS9_10value_typeET0_
		.amdhsa_group_segment_fixed_size 0
		.amdhsa_private_segment_fixed_size 0
		.amdhsa_kernarg_size 288
		.amdhsa_user_sgpr_count 6
		.amdhsa_user_sgpr_private_segment_buffer 1
		.amdhsa_user_sgpr_dispatch_ptr 0
		.amdhsa_user_sgpr_queue_ptr 0
		.amdhsa_user_sgpr_kernarg_segment_ptr 1
		.amdhsa_user_sgpr_dispatch_id 0
		.amdhsa_user_sgpr_flat_scratch_init 0
		.amdhsa_user_sgpr_private_segment_size 0
		.amdhsa_wavefront_size32 1
		.amdhsa_uses_dynamic_stack 0
		.amdhsa_system_sgpr_private_segment_wavefront_offset 0
		.amdhsa_system_sgpr_workgroup_id_x 1
		.amdhsa_system_sgpr_workgroup_id_y 0
		.amdhsa_system_sgpr_workgroup_id_z 0
		.amdhsa_system_sgpr_workgroup_info 0
		.amdhsa_system_vgpr_workitem_id 0
		.amdhsa_next_free_vgpr 8
		.amdhsa_next_free_sgpr 10
		.amdhsa_reserve_vcc 1
		.amdhsa_reserve_flat_scratch 0
		.amdhsa_float_round_mode_32 0
		.amdhsa_float_round_mode_16_64 0
		.amdhsa_float_denorm_mode_32 3
		.amdhsa_float_denorm_mode_16_64 3
		.amdhsa_dx10_clamp 1
		.amdhsa_ieee_mode 1
		.amdhsa_fp16_overflow 0
		.amdhsa_workgroup_processor_mode 1
		.amdhsa_memory_ordered 1
		.amdhsa_forward_progress 1
		.amdhsa_shared_vgpr_count 0
		.amdhsa_exception_fp_ieee_invalid_op 0
		.amdhsa_exception_fp_denorm_src 0
		.amdhsa_exception_fp_ieee_div_zero 0
		.amdhsa_exception_fp_ieee_overflow 0
		.amdhsa_exception_fp_ieee_underflow 0
		.amdhsa_exception_fp_ieee_inexact 0
		.amdhsa_exception_int_div_zero 0
	.end_amdhsa_kernel
	.section	.text._ZN7rocprim17ROCPRIM_400000_NS6detail30init_device_scan_by_key_kernelINS1_19lookback_scan_stateINS0_5tupleIJfbEEELb1ELb1EEENS1_16block_id_wrapperIjLb0EEEEEvT_jjPNS9_10value_typeET0_,"axG",@progbits,_ZN7rocprim17ROCPRIM_400000_NS6detail30init_device_scan_by_key_kernelINS1_19lookback_scan_stateINS0_5tupleIJfbEEELb1ELb1EEENS1_16block_id_wrapperIjLb0EEEEEvT_jjPNS9_10value_typeET0_,comdat
.Lfunc_end1151:
	.size	_ZN7rocprim17ROCPRIM_400000_NS6detail30init_device_scan_by_key_kernelINS1_19lookback_scan_stateINS0_5tupleIJfbEEELb1ELb1EEENS1_16block_id_wrapperIjLb0EEEEEvT_jjPNS9_10value_typeET0_, .Lfunc_end1151-_ZN7rocprim17ROCPRIM_400000_NS6detail30init_device_scan_by_key_kernelINS1_19lookback_scan_stateINS0_5tupleIJfbEEELb1ELb1EEENS1_16block_id_wrapperIjLb0EEEEEvT_jjPNS9_10value_typeET0_
                                        ; -- End function
	.set _ZN7rocprim17ROCPRIM_400000_NS6detail30init_device_scan_by_key_kernelINS1_19lookback_scan_stateINS0_5tupleIJfbEEELb1ELb1EEENS1_16block_id_wrapperIjLb0EEEEEvT_jjPNS9_10value_typeET0_.num_vgpr, 8
	.set _ZN7rocprim17ROCPRIM_400000_NS6detail30init_device_scan_by_key_kernelINS1_19lookback_scan_stateINS0_5tupleIJfbEEELb1ELb1EEENS1_16block_id_wrapperIjLb0EEEEEvT_jjPNS9_10value_typeET0_.num_agpr, 0
	.set _ZN7rocprim17ROCPRIM_400000_NS6detail30init_device_scan_by_key_kernelINS1_19lookback_scan_stateINS0_5tupleIJfbEEELb1ELb1EEENS1_16block_id_wrapperIjLb0EEEEEvT_jjPNS9_10value_typeET0_.numbered_sgpr, 10
	.set _ZN7rocprim17ROCPRIM_400000_NS6detail30init_device_scan_by_key_kernelINS1_19lookback_scan_stateINS0_5tupleIJfbEEELb1ELb1EEENS1_16block_id_wrapperIjLb0EEEEEvT_jjPNS9_10value_typeET0_.num_named_barrier, 0
	.set _ZN7rocprim17ROCPRIM_400000_NS6detail30init_device_scan_by_key_kernelINS1_19lookback_scan_stateINS0_5tupleIJfbEEELb1ELb1EEENS1_16block_id_wrapperIjLb0EEEEEvT_jjPNS9_10value_typeET0_.private_seg_size, 0
	.set _ZN7rocprim17ROCPRIM_400000_NS6detail30init_device_scan_by_key_kernelINS1_19lookback_scan_stateINS0_5tupleIJfbEEELb1ELb1EEENS1_16block_id_wrapperIjLb0EEEEEvT_jjPNS9_10value_typeET0_.uses_vcc, 1
	.set _ZN7rocprim17ROCPRIM_400000_NS6detail30init_device_scan_by_key_kernelINS1_19lookback_scan_stateINS0_5tupleIJfbEEELb1ELb1EEENS1_16block_id_wrapperIjLb0EEEEEvT_jjPNS9_10value_typeET0_.uses_flat_scratch, 0
	.set _ZN7rocprim17ROCPRIM_400000_NS6detail30init_device_scan_by_key_kernelINS1_19lookback_scan_stateINS0_5tupleIJfbEEELb1ELb1EEENS1_16block_id_wrapperIjLb0EEEEEvT_jjPNS9_10value_typeET0_.has_dyn_sized_stack, 0
	.set _ZN7rocprim17ROCPRIM_400000_NS6detail30init_device_scan_by_key_kernelINS1_19lookback_scan_stateINS0_5tupleIJfbEEELb1ELb1EEENS1_16block_id_wrapperIjLb0EEEEEvT_jjPNS9_10value_typeET0_.has_recursion, 0
	.set _ZN7rocprim17ROCPRIM_400000_NS6detail30init_device_scan_by_key_kernelINS1_19lookback_scan_stateINS0_5tupleIJfbEEELb1ELb1EEENS1_16block_id_wrapperIjLb0EEEEEvT_jjPNS9_10value_typeET0_.has_indirect_call, 0
	.section	.AMDGPU.csdata,"",@progbits
; Kernel info:
; codeLenInByte = 460
; TotalNumSgprs: 12
; NumVgprs: 8
; ScratchSize: 0
; MemoryBound: 0
; FloatMode: 240
; IeeeMode: 1
; LDSByteSize: 0 bytes/workgroup (compile time only)
; SGPRBlocks: 0
; VGPRBlocks: 0
; NumSGPRsForWavesPerEU: 12
; NumVGPRsForWavesPerEU: 8
; Occupancy: 16
; WaveLimiterHint : 0
; COMPUTE_PGM_RSRC2:SCRATCH_EN: 0
; COMPUTE_PGM_RSRC2:USER_SGPR: 6
; COMPUTE_PGM_RSRC2:TRAP_HANDLER: 0
; COMPUTE_PGM_RSRC2:TGID_X_EN: 1
; COMPUTE_PGM_RSRC2:TGID_Y_EN: 0
; COMPUTE_PGM_RSRC2:TGID_Z_EN: 0
; COMPUTE_PGM_RSRC2:TIDIG_COMP_CNT: 0
	.section	.text._ZN7rocprim17ROCPRIM_400000_NS6detail17trampoline_kernelINS0_14default_configENS1_27scan_by_key_config_selectorIifEEZZNS1_16scan_by_key_implILNS1_25lookback_scan_determinismE0ELb0ES3_N6thrust23THRUST_200600_302600_NS6detail15normal_iteratorINS9_10device_ptrIiEEEENSB_INSC_IfEEEESG_fNS9_4plusIvEENS9_8equal_toIvEEfEE10hipError_tPvRmT2_T3_T4_T5_mT6_T7_P12ihipStream_tbENKUlT_T0_E_clISt17integral_constantIbLb1EES10_IbLb0EEEEDaSW_SX_EUlSW_E_NS1_11comp_targetILNS1_3genE0ELNS1_11target_archE4294967295ELNS1_3gpuE0ELNS1_3repE0EEENS1_30default_config_static_selectorELNS0_4arch9wavefront6targetE0EEEvT1_,"axG",@progbits,_ZN7rocprim17ROCPRIM_400000_NS6detail17trampoline_kernelINS0_14default_configENS1_27scan_by_key_config_selectorIifEEZZNS1_16scan_by_key_implILNS1_25lookback_scan_determinismE0ELb0ES3_N6thrust23THRUST_200600_302600_NS6detail15normal_iteratorINS9_10device_ptrIiEEEENSB_INSC_IfEEEESG_fNS9_4plusIvEENS9_8equal_toIvEEfEE10hipError_tPvRmT2_T3_T4_T5_mT6_T7_P12ihipStream_tbENKUlT_T0_E_clISt17integral_constantIbLb1EES10_IbLb0EEEEDaSW_SX_EUlSW_E_NS1_11comp_targetILNS1_3genE0ELNS1_11target_archE4294967295ELNS1_3gpuE0ELNS1_3repE0EEENS1_30default_config_static_selectorELNS0_4arch9wavefront6targetE0EEEvT1_,comdat
	.protected	_ZN7rocprim17ROCPRIM_400000_NS6detail17trampoline_kernelINS0_14default_configENS1_27scan_by_key_config_selectorIifEEZZNS1_16scan_by_key_implILNS1_25lookback_scan_determinismE0ELb0ES3_N6thrust23THRUST_200600_302600_NS6detail15normal_iteratorINS9_10device_ptrIiEEEENSB_INSC_IfEEEESG_fNS9_4plusIvEENS9_8equal_toIvEEfEE10hipError_tPvRmT2_T3_T4_T5_mT6_T7_P12ihipStream_tbENKUlT_T0_E_clISt17integral_constantIbLb1EES10_IbLb0EEEEDaSW_SX_EUlSW_E_NS1_11comp_targetILNS1_3genE0ELNS1_11target_archE4294967295ELNS1_3gpuE0ELNS1_3repE0EEENS1_30default_config_static_selectorELNS0_4arch9wavefront6targetE0EEEvT1_ ; -- Begin function _ZN7rocprim17ROCPRIM_400000_NS6detail17trampoline_kernelINS0_14default_configENS1_27scan_by_key_config_selectorIifEEZZNS1_16scan_by_key_implILNS1_25lookback_scan_determinismE0ELb0ES3_N6thrust23THRUST_200600_302600_NS6detail15normal_iteratorINS9_10device_ptrIiEEEENSB_INSC_IfEEEESG_fNS9_4plusIvEENS9_8equal_toIvEEfEE10hipError_tPvRmT2_T3_T4_T5_mT6_T7_P12ihipStream_tbENKUlT_T0_E_clISt17integral_constantIbLb1EES10_IbLb0EEEEDaSW_SX_EUlSW_E_NS1_11comp_targetILNS1_3genE0ELNS1_11target_archE4294967295ELNS1_3gpuE0ELNS1_3repE0EEENS1_30default_config_static_selectorELNS0_4arch9wavefront6targetE0EEEvT1_
	.globl	_ZN7rocprim17ROCPRIM_400000_NS6detail17trampoline_kernelINS0_14default_configENS1_27scan_by_key_config_selectorIifEEZZNS1_16scan_by_key_implILNS1_25lookback_scan_determinismE0ELb0ES3_N6thrust23THRUST_200600_302600_NS6detail15normal_iteratorINS9_10device_ptrIiEEEENSB_INSC_IfEEEESG_fNS9_4plusIvEENS9_8equal_toIvEEfEE10hipError_tPvRmT2_T3_T4_T5_mT6_T7_P12ihipStream_tbENKUlT_T0_E_clISt17integral_constantIbLb1EES10_IbLb0EEEEDaSW_SX_EUlSW_E_NS1_11comp_targetILNS1_3genE0ELNS1_11target_archE4294967295ELNS1_3gpuE0ELNS1_3repE0EEENS1_30default_config_static_selectorELNS0_4arch9wavefront6targetE0EEEvT1_
	.p2align	8
	.type	_ZN7rocprim17ROCPRIM_400000_NS6detail17trampoline_kernelINS0_14default_configENS1_27scan_by_key_config_selectorIifEEZZNS1_16scan_by_key_implILNS1_25lookback_scan_determinismE0ELb0ES3_N6thrust23THRUST_200600_302600_NS6detail15normal_iteratorINS9_10device_ptrIiEEEENSB_INSC_IfEEEESG_fNS9_4plusIvEENS9_8equal_toIvEEfEE10hipError_tPvRmT2_T3_T4_T5_mT6_T7_P12ihipStream_tbENKUlT_T0_E_clISt17integral_constantIbLb1EES10_IbLb0EEEEDaSW_SX_EUlSW_E_NS1_11comp_targetILNS1_3genE0ELNS1_11target_archE4294967295ELNS1_3gpuE0ELNS1_3repE0EEENS1_30default_config_static_selectorELNS0_4arch9wavefront6targetE0EEEvT1_,@function
_ZN7rocprim17ROCPRIM_400000_NS6detail17trampoline_kernelINS0_14default_configENS1_27scan_by_key_config_selectorIifEEZZNS1_16scan_by_key_implILNS1_25lookback_scan_determinismE0ELb0ES3_N6thrust23THRUST_200600_302600_NS6detail15normal_iteratorINS9_10device_ptrIiEEEENSB_INSC_IfEEEESG_fNS9_4plusIvEENS9_8equal_toIvEEfEE10hipError_tPvRmT2_T3_T4_T5_mT6_T7_P12ihipStream_tbENKUlT_T0_E_clISt17integral_constantIbLb1EES10_IbLb0EEEEDaSW_SX_EUlSW_E_NS1_11comp_targetILNS1_3genE0ELNS1_11target_archE4294967295ELNS1_3gpuE0ELNS1_3repE0EEENS1_30default_config_static_selectorELNS0_4arch9wavefront6targetE0EEEvT1_: ; @_ZN7rocprim17ROCPRIM_400000_NS6detail17trampoline_kernelINS0_14default_configENS1_27scan_by_key_config_selectorIifEEZZNS1_16scan_by_key_implILNS1_25lookback_scan_determinismE0ELb0ES3_N6thrust23THRUST_200600_302600_NS6detail15normal_iteratorINS9_10device_ptrIiEEEENSB_INSC_IfEEEESG_fNS9_4plusIvEENS9_8equal_toIvEEfEE10hipError_tPvRmT2_T3_T4_T5_mT6_T7_P12ihipStream_tbENKUlT_T0_E_clISt17integral_constantIbLb1EES10_IbLb0EEEEDaSW_SX_EUlSW_E_NS1_11comp_targetILNS1_3genE0ELNS1_11target_archE4294967295ELNS1_3gpuE0ELNS1_3repE0EEENS1_30default_config_static_selectorELNS0_4arch9wavefront6targetE0EEEvT1_
; %bb.0:
	.section	.rodata,"a",@progbits
	.p2align	6, 0x0
	.amdhsa_kernel _ZN7rocprim17ROCPRIM_400000_NS6detail17trampoline_kernelINS0_14default_configENS1_27scan_by_key_config_selectorIifEEZZNS1_16scan_by_key_implILNS1_25lookback_scan_determinismE0ELb0ES3_N6thrust23THRUST_200600_302600_NS6detail15normal_iteratorINS9_10device_ptrIiEEEENSB_INSC_IfEEEESG_fNS9_4plusIvEENS9_8equal_toIvEEfEE10hipError_tPvRmT2_T3_T4_T5_mT6_T7_P12ihipStream_tbENKUlT_T0_E_clISt17integral_constantIbLb1EES10_IbLb0EEEEDaSW_SX_EUlSW_E_NS1_11comp_targetILNS1_3genE0ELNS1_11target_archE4294967295ELNS1_3gpuE0ELNS1_3repE0EEENS1_30default_config_static_selectorELNS0_4arch9wavefront6targetE0EEEvT1_
		.amdhsa_group_segment_fixed_size 0
		.amdhsa_private_segment_fixed_size 0
		.amdhsa_kernarg_size 112
		.amdhsa_user_sgpr_count 6
		.amdhsa_user_sgpr_private_segment_buffer 1
		.amdhsa_user_sgpr_dispatch_ptr 0
		.amdhsa_user_sgpr_queue_ptr 0
		.amdhsa_user_sgpr_kernarg_segment_ptr 1
		.amdhsa_user_sgpr_dispatch_id 0
		.amdhsa_user_sgpr_flat_scratch_init 0
		.amdhsa_user_sgpr_private_segment_size 0
		.amdhsa_wavefront_size32 1
		.amdhsa_uses_dynamic_stack 0
		.amdhsa_system_sgpr_private_segment_wavefront_offset 0
		.amdhsa_system_sgpr_workgroup_id_x 1
		.amdhsa_system_sgpr_workgroup_id_y 0
		.amdhsa_system_sgpr_workgroup_id_z 0
		.amdhsa_system_sgpr_workgroup_info 0
		.amdhsa_system_vgpr_workitem_id 0
		.amdhsa_next_free_vgpr 1
		.amdhsa_next_free_sgpr 1
		.amdhsa_reserve_vcc 0
		.amdhsa_reserve_flat_scratch 0
		.amdhsa_float_round_mode_32 0
		.amdhsa_float_round_mode_16_64 0
		.amdhsa_float_denorm_mode_32 3
		.amdhsa_float_denorm_mode_16_64 3
		.amdhsa_dx10_clamp 1
		.amdhsa_ieee_mode 1
		.amdhsa_fp16_overflow 0
		.amdhsa_workgroup_processor_mode 1
		.amdhsa_memory_ordered 1
		.amdhsa_forward_progress 1
		.amdhsa_shared_vgpr_count 0
		.amdhsa_exception_fp_ieee_invalid_op 0
		.amdhsa_exception_fp_denorm_src 0
		.amdhsa_exception_fp_ieee_div_zero 0
		.amdhsa_exception_fp_ieee_overflow 0
		.amdhsa_exception_fp_ieee_underflow 0
		.amdhsa_exception_fp_ieee_inexact 0
		.amdhsa_exception_int_div_zero 0
	.end_amdhsa_kernel
	.section	.text._ZN7rocprim17ROCPRIM_400000_NS6detail17trampoline_kernelINS0_14default_configENS1_27scan_by_key_config_selectorIifEEZZNS1_16scan_by_key_implILNS1_25lookback_scan_determinismE0ELb0ES3_N6thrust23THRUST_200600_302600_NS6detail15normal_iteratorINS9_10device_ptrIiEEEENSB_INSC_IfEEEESG_fNS9_4plusIvEENS9_8equal_toIvEEfEE10hipError_tPvRmT2_T3_T4_T5_mT6_T7_P12ihipStream_tbENKUlT_T0_E_clISt17integral_constantIbLb1EES10_IbLb0EEEEDaSW_SX_EUlSW_E_NS1_11comp_targetILNS1_3genE0ELNS1_11target_archE4294967295ELNS1_3gpuE0ELNS1_3repE0EEENS1_30default_config_static_selectorELNS0_4arch9wavefront6targetE0EEEvT1_,"axG",@progbits,_ZN7rocprim17ROCPRIM_400000_NS6detail17trampoline_kernelINS0_14default_configENS1_27scan_by_key_config_selectorIifEEZZNS1_16scan_by_key_implILNS1_25lookback_scan_determinismE0ELb0ES3_N6thrust23THRUST_200600_302600_NS6detail15normal_iteratorINS9_10device_ptrIiEEEENSB_INSC_IfEEEESG_fNS9_4plusIvEENS9_8equal_toIvEEfEE10hipError_tPvRmT2_T3_T4_T5_mT6_T7_P12ihipStream_tbENKUlT_T0_E_clISt17integral_constantIbLb1EES10_IbLb0EEEEDaSW_SX_EUlSW_E_NS1_11comp_targetILNS1_3genE0ELNS1_11target_archE4294967295ELNS1_3gpuE0ELNS1_3repE0EEENS1_30default_config_static_selectorELNS0_4arch9wavefront6targetE0EEEvT1_,comdat
.Lfunc_end1152:
	.size	_ZN7rocprim17ROCPRIM_400000_NS6detail17trampoline_kernelINS0_14default_configENS1_27scan_by_key_config_selectorIifEEZZNS1_16scan_by_key_implILNS1_25lookback_scan_determinismE0ELb0ES3_N6thrust23THRUST_200600_302600_NS6detail15normal_iteratorINS9_10device_ptrIiEEEENSB_INSC_IfEEEESG_fNS9_4plusIvEENS9_8equal_toIvEEfEE10hipError_tPvRmT2_T3_T4_T5_mT6_T7_P12ihipStream_tbENKUlT_T0_E_clISt17integral_constantIbLb1EES10_IbLb0EEEEDaSW_SX_EUlSW_E_NS1_11comp_targetILNS1_3genE0ELNS1_11target_archE4294967295ELNS1_3gpuE0ELNS1_3repE0EEENS1_30default_config_static_selectorELNS0_4arch9wavefront6targetE0EEEvT1_, .Lfunc_end1152-_ZN7rocprim17ROCPRIM_400000_NS6detail17trampoline_kernelINS0_14default_configENS1_27scan_by_key_config_selectorIifEEZZNS1_16scan_by_key_implILNS1_25lookback_scan_determinismE0ELb0ES3_N6thrust23THRUST_200600_302600_NS6detail15normal_iteratorINS9_10device_ptrIiEEEENSB_INSC_IfEEEESG_fNS9_4plusIvEENS9_8equal_toIvEEfEE10hipError_tPvRmT2_T3_T4_T5_mT6_T7_P12ihipStream_tbENKUlT_T0_E_clISt17integral_constantIbLb1EES10_IbLb0EEEEDaSW_SX_EUlSW_E_NS1_11comp_targetILNS1_3genE0ELNS1_11target_archE4294967295ELNS1_3gpuE0ELNS1_3repE0EEENS1_30default_config_static_selectorELNS0_4arch9wavefront6targetE0EEEvT1_
                                        ; -- End function
	.set _ZN7rocprim17ROCPRIM_400000_NS6detail17trampoline_kernelINS0_14default_configENS1_27scan_by_key_config_selectorIifEEZZNS1_16scan_by_key_implILNS1_25lookback_scan_determinismE0ELb0ES3_N6thrust23THRUST_200600_302600_NS6detail15normal_iteratorINS9_10device_ptrIiEEEENSB_INSC_IfEEEESG_fNS9_4plusIvEENS9_8equal_toIvEEfEE10hipError_tPvRmT2_T3_T4_T5_mT6_T7_P12ihipStream_tbENKUlT_T0_E_clISt17integral_constantIbLb1EES10_IbLb0EEEEDaSW_SX_EUlSW_E_NS1_11comp_targetILNS1_3genE0ELNS1_11target_archE4294967295ELNS1_3gpuE0ELNS1_3repE0EEENS1_30default_config_static_selectorELNS0_4arch9wavefront6targetE0EEEvT1_.num_vgpr, 0
	.set _ZN7rocprim17ROCPRIM_400000_NS6detail17trampoline_kernelINS0_14default_configENS1_27scan_by_key_config_selectorIifEEZZNS1_16scan_by_key_implILNS1_25lookback_scan_determinismE0ELb0ES3_N6thrust23THRUST_200600_302600_NS6detail15normal_iteratorINS9_10device_ptrIiEEEENSB_INSC_IfEEEESG_fNS9_4plusIvEENS9_8equal_toIvEEfEE10hipError_tPvRmT2_T3_T4_T5_mT6_T7_P12ihipStream_tbENKUlT_T0_E_clISt17integral_constantIbLb1EES10_IbLb0EEEEDaSW_SX_EUlSW_E_NS1_11comp_targetILNS1_3genE0ELNS1_11target_archE4294967295ELNS1_3gpuE0ELNS1_3repE0EEENS1_30default_config_static_selectorELNS0_4arch9wavefront6targetE0EEEvT1_.num_agpr, 0
	.set _ZN7rocprim17ROCPRIM_400000_NS6detail17trampoline_kernelINS0_14default_configENS1_27scan_by_key_config_selectorIifEEZZNS1_16scan_by_key_implILNS1_25lookback_scan_determinismE0ELb0ES3_N6thrust23THRUST_200600_302600_NS6detail15normal_iteratorINS9_10device_ptrIiEEEENSB_INSC_IfEEEESG_fNS9_4plusIvEENS9_8equal_toIvEEfEE10hipError_tPvRmT2_T3_T4_T5_mT6_T7_P12ihipStream_tbENKUlT_T0_E_clISt17integral_constantIbLb1EES10_IbLb0EEEEDaSW_SX_EUlSW_E_NS1_11comp_targetILNS1_3genE0ELNS1_11target_archE4294967295ELNS1_3gpuE0ELNS1_3repE0EEENS1_30default_config_static_selectorELNS0_4arch9wavefront6targetE0EEEvT1_.numbered_sgpr, 0
	.set _ZN7rocprim17ROCPRIM_400000_NS6detail17trampoline_kernelINS0_14default_configENS1_27scan_by_key_config_selectorIifEEZZNS1_16scan_by_key_implILNS1_25lookback_scan_determinismE0ELb0ES3_N6thrust23THRUST_200600_302600_NS6detail15normal_iteratorINS9_10device_ptrIiEEEENSB_INSC_IfEEEESG_fNS9_4plusIvEENS9_8equal_toIvEEfEE10hipError_tPvRmT2_T3_T4_T5_mT6_T7_P12ihipStream_tbENKUlT_T0_E_clISt17integral_constantIbLb1EES10_IbLb0EEEEDaSW_SX_EUlSW_E_NS1_11comp_targetILNS1_3genE0ELNS1_11target_archE4294967295ELNS1_3gpuE0ELNS1_3repE0EEENS1_30default_config_static_selectorELNS0_4arch9wavefront6targetE0EEEvT1_.num_named_barrier, 0
	.set _ZN7rocprim17ROCPRIM_400000_NS6detail17trampoline_kernelINS0_14default_configENS1_27scan_by_key_config_selectorIifEEZZNS1_16scan_by_key_implILNS1_25lookback_scan_determinismE0ELb0ES3_N6thrust23THRUST_200600_302600_NS6detail15normal_iteratorINS9_10device_ptrIiEEEENSB_INSC_IfEEEESG_fNS9_4plusIvEENS9_8equal_toIvEEfEE10hipError_tPvRmT2_T3_T4_T5_mT6_T7_P12ihipStream_tbENKUlT_T0_E_clISt17integral_constantIbLb1EES10_IbLb0EEEEDaSW_SX_EUlSW_E_NS1_11comp_targetILNS1_3genE0ELNS1_11target_archE4294967295ELNS1_3gpuE0ELNS1_3repE0EEENS1_30default_config_static_selectorELNS0_4arch9wavefront6targetE0EEEvT1_.private_seg_size, 0
	.set _ZN7rocprim17ROCPRIM_400000_NS6detail17trampoline_kernelINS0_14default_configENS1_27scan_by_key_config_selectorIifEEZZNS1_16scan_by_key_implILNS1_25lookback_scan_determinismE0ELb0ES3_N6thrust23THRUST_200600_302600_NS6detail15normal_iteratorINS9_10device_ptrIiEEEENSB_INSC_IfEEEESG_fNS9_4plusIvEENS9_8equal_toIvEEfEE10hipError_tPvRmT2_T3_T4_T5_mT6_T7_P12ihipStream_tbENKUlT_T0_E_clISt17integral_constantIbLb1EES10_IbLb0EEEEDaSW_SX_EUlSW_E_NS1_11comp_targetILNS1_3genE0ELNS1_11target_archE4294967295ELNS1_3gpuE0ELNS1_3repE0EEENS1_30default_config_static_selectorELNS0_4arch9wavefront6targetE0EEEvT1_.uses_vcc, 0
	.set _ZN7rocprim17ROCPRIM_400000_NS6detail17trampoline_kernelINS0_14default_configENS1_27scan_by_key_config_selectorIifEEZZNS1_16scan_by_key_implILNS1_25lookback_scan_determinismE0ELb0ES3_N6thrust23THRUST_200600_302600_NS6detail15normal_iteratorINS9_10device_ptrIiEEEENSB_INSC_IfEEEESG_fNS9_4plusIvEENS9_8equal_toIvEEfEE10hipError_tPvRmT2_T3_T4_T5_mT6_T7_P12ihipStream_tbENKUlT_T0_E_clISt17integral_constantIbLb1EES10_IbLb0EEEEDaSW_SX_EUlSW_E_NS1_11comp_targetILNS1_3genE0ELNS1_11target_archE4294967295ELNS1_3gpuE0ELNS1_3repE0EEENS1_30default_config_static_selectorELNS0_4arch9wavefront6targetE0EEEvT1_.uses_flat_scratch, 0
	.set _ZN7rocprim17ROCPRIM_400000_NS6detail17trampoline_kernelINS0_14default_configENS1_27scan_by_key_config_selectorIifEEZZNS1_16scan_by_key_implILNS1_25lookback_scan_determinismE0ELb0ES3_N6thrust23THRUST_200600_302600_NS6detail15normal_iteratorINS9_10device_ptrIiEEEENSB_INSC_IfEEEESG_fNS9_4plusIvEENS9_8equal_toIvEEfEE10hipError_tPvRmT2_T3_T4_T5_mT6_T7_P12ihipStream_tbENKUlT_T0_E_clISt17integral_constantIbLb1EES10_IbLb0EEEEDaSW_SX_EUlSW_E_NS1_11comp_targetILNS1_3genE0ELNS1_11target_archE4294967295ELNS1_3gpuE0ELNS1_3repE0EEENS1_30default_config_static_selectorELNS0_4arch9wavefront6targetE0EEEvT1_.has_dyn_sized_stack, 0
	.set _ZN7rocprim17ROCPRIM_400000_NS6detail17trampoline_kernelINS0_14default_configENS1_27scan_by_key_config_selectorIifEEZZNS1_16scan_by_key_implILNS1_25lookback_scan_determinismE0ELb0ES3_N6thrust23THRUST_200600_302600_NS6detail15normal_iteratorINS9_10device_ptrIiEEEENSB_INSC_IfEEEESG_fNS9_4plusIvEENS9_8equal_toIvEEfEE10hipError_tPvRmT2_T3_T4_T5_mT6_T7_P12ihipStream_tbENKUlT_T0_E_clISt17integral_constantIbLb1EES10_IbLb0EEEEDaSW_SX_EUlSW_E_NS1_11comp_targetILNS1_3genE0ELNS1_11target_archE4294967295ELNS1_3gpuE0ELNS1_3repE0EEENS1_30default_config_static_selectorELNS0_4arch9wavefront6targetE0EEEvT1_.has_recursion, 0
	.set _ZN7rocprim17ROCPRIM_400000_NS6detail17trampoline_kernelINS0_14default_configENS1_27scan_by_key_config_selectorIifEEZZNS1_16scan_by_key_implILNS1_25lookback_scan_determinismE0ELb0ES3_N6thrust23THRUST_200600_302600_NS6detail15normal_iteratorINS9_10device_ptrIiEEEENSB_INSC_IfEEEESG_fNS9_4plusIvEENS9_8equal_toIvEEfEE10hipError_tPvRmT2_T3_T4_T5_mT6_T7_P12ihipStream_tbENKUlT_T0_E_clISt17integral_constantIbLb1EES10_IbLb0EEEEDaSW_SX_EUlSW_E_NS1_11comp_targetILNS1_3genE0ELNS1_11target_archE4294967295ELNS1_3gpuE0ELNS1_3repE0EEENS1_30default_config_static_selectorELNS0_4arch9wavefront6targetE0EEEvT1_.has_indirect_call, 0
	.section	.AMDGPU.csdata,"",@progbits
; Kernel info:
; codeLenInByte = 0
; TotalNumSgprs: 0
; NumVgprs: 0
; ScratchSize: 0
; MemoryBound: 0
; FloatMode: 240
; IeeeMode: 1
; LDSByteSize: 0 bytes/workgroup (compile time only)
; SGPRBlocks: 0
; VGPRBlocks: 0
; NumSGPRsForWavesPerEU: 1
; NumVGPRsForWavesPerEU: 1
; Occupancy: 16
; WaveLimiterHint : 0
; COMPUTE_PGM_RSRC2:SCRATCH_EN: 0
; COMPUTE_PGM_RSRC2:USER_SGPR: 6
; COMPUTE_PGM_RSRC2:TRAP_HANDLER: 0
; COMPUTE_PGM_RSRC2:TGID_X_EN: 1
; COMPUTE_PGM_RSRC2:TGID_Y_EN: 0
; COMPUTE_PGM_RSRC2:TGID_Z_EN: 0
; COMPUTE_PGM_RSRC2:TIDIG_COMP_CNT: 0
	.section	.text._ZN7rocprim17ROCPRIM_400000_NS6detail17trampoline_kernelINS0_14default_configENS1_27scan_by_key_config_selectorIifEEZZNS1_16scan_by_key_implILNS1_25lookback_scan_determinismE0ELb0ES3_N6thrust23THRUST_200600_302600_NS6detail15normal_iteratorINS9_10device_ptrIiEEEENSB_INSC_IfEEEESG_fNS9_4plusIvEENS9_8equal_toIvEEfEE10hipError_tPvRmT2_T3_T4_T5_mT6_T7_P12ihipStream_tbENKUlT_T0_E_clISt17integral_constantIbLb1EES10_IbLb0EEEEDaSW_SX_EUlSW_E_NS1_11comp_targetILNS1_3genE10ELNS1_11target_archE1201ELNS1_3gpuE5ELNS1_3repE0EEENS1_30default_config_static_selectorELNS0_4arch9wavefront6targetE0EEEvT1_,"axG",@progbits,_ZN7rocprim17ROCPRIM_400000_NS6detail17trampoline_kernelINS0_14default_configENS1_27scan_by_key_config_selectorIifEEZZNS1_16scan_by_key_implILNS1_25lookback_scan_determinismE0ELb0ES3_N6thrust23THRUST_200600_302600_NS6detail15normal_iteratorINS9_10device_ptrIiEEEENSB_INSC_IfEEEESG_fNS9_4plusIvEENS9_8equal_toIvEEfEE10hipError_tPvRmT2_T3_T4_T5_mT6_T7_P12ihipStream_tbENKUlT_T0_E_clISt17integral_constantIbLb1EES10_IbLb0EEEEDaSW_SX_EUlSW_E_NS1_11comp_targetILNS1_3genE10ELNS1_11target_archE1201ELNS1_3gpuE5ELNS1_3repE0EEENS1_30default_config_static_selectorELNS0_4arch9wavefront6targetE0EEEvT1_,comdat
	.protected	_ZN7rocprim17ROCPRIM_400000_NS6detail17trampoline_kernelINS0_14default_configENS1_27scan_by_key_config_selectorIifEEZZNS1_16scan_by_key_implILNS1_25lookback_scan_determinismE0ELb0ES3_N6thrust23THRUST_200600_302600_NS6detail15normal_iteratorINS9_10device_ptrIiEEEENSB_INSC_IfEEEESG_fNS9_4plusIvEENS9_8equal_toIvEEfEE10hipError_tPvRmT2_T3_T4_T5_mT6_T7_P12ihipStream_tbENKUlT_T0_E_clISt17integral_constantIbLb1EES10_IbLb0EEEEDaSW_SX_EUlSW_E_NS1_11comp_targetILNS1_3genE10ELNS1_11target_archE1201ELNS1_3gpuE5ELNS1_3repE0EEENS1_30default_config_static_selectorELNS0_4arch9wavefront6targetE0EEEvT1_ ; -- Begin function _ZN7rocprim17ROCPRIM_400000_NS6detail17trampoline_kernelINS0_14default_configENS1_27scan_by_key_config_selectorIifEEZZNS1_16scan_by_key_implILNS1_25lookback_scan_determinismE0ELb0ES3_N6thrust23THRUST_200600_302600_NS6detail15normal_iteratorINS9_10device_ptrIiEEEENSB_INSC_IfEEEESG_fNS9_4plusIvEENS9_8equal_toIvEEfEE10hipError_tPvRmT2_T3_T4_T5_mT6_T7_P12ihipStream_tbENKUlT_T0_E_clISt17integral_constantIbLb1EES10_IbLb0EEEEDaSW_SX_EUlSW_E_NS1_11comp_targetILNS1_3genE10ELNS1_11target_archE1201ELNS1_3gpuE5ELNS1_3repE0EEENS1_30default_config_static_selectorELNS0_4arch9wavefront6targetE0EEEvT1_
	.globl	_ZN7rocprim17ROCPRIM_400000_NS6detail17trampoline_kernelINS0_14default_configENS1_27scan_by_key_config_selectorIifEEZZNS1_16scan_by_key_implILNS1_25lookback_scan_determinismE0ELb0ES3_N6thrust23THRUST_200600_302600_NS6detail15normal_iteratorINS9_10device_ptrIiEEEENSB_INSC_IfEEEESG_fNS9_4plusIvEENS9_8equal_toIvEEfEE10hipError_tPvRmT2_T3_T4_T5_mT6_T7_P12ihipStream_tbENKUlT_T0_E_clISt17integral_constantIbLb1EES10_IbLb0EEEEDaSW_SX_EUlSW_E_NS1_11comp_targetILNS1_3genE10ELNS1_11target_archE1201ELNS1_3gpuE5ELNS1_3repE0EEENS1_30default_config_static_selectorELNS0_4arch9wavefront6targetE0EEEvT1_
	.p2align	8
	.type	_ZN7rocprim17ROCPRIM_400000_NS6detail17trampoline_kernelINS0_14default_configENS1_27scan_by_key_config_selectorIifEEZZNS1_16scan_by_key_implILNS1_25lookback_scan_determinismE0ELb0ES3_N6thrust23THRUST_200600_302600_NS6detail15normal_iteratorINS9_10device_ptrIiEEEENSB_INSC_IfEEEESG_fNS9_4plusIvEENS9_8equal_toIvEEfEE10hipError_tPvRmT2_T3_T4_T5_mT6_T7_P12ihipStream_tbENKUlT_T0_E_clISt17integral_constantIbLb1EES10_IbLb0EEEEDaSW_SX_EUlSW_E_NS1_11comp_targetILNS1_3genE10ELNS1_11target_archE1201ELNS1_3gpuE5ELNS1_3repE0EEENS1_30default_config_static_selectorELNS0_4arch9wavefront6targetE0EEEvT1_,@function
_ZN7rocprim17ROCPRIM_400000_NS6detail17trampoline_kernelINS0_14default_configENS1_27scan_by_key_config_selectorIifEEZZNS1_16scan_by_key_implILNS1_25lookback_scan_determinismE0ELb0ES3_N6thrust23THRUST_200600_302600_NS6detail15normal_iteratorINS9_10device_ptrIiEEEENSB_INSC_IfEEEESG_fNS9_4plusIvEENS9_8equal_toIvEEfEE10hipError_tPvRmT2_T3_T4_T5_mT6_T7_P12ihipStream_tbENKUlT_T0_E_clISt17integral_constantIbLb1EES10_IbLb0EEEEDaSW_SX_EUlSW_E_NS1_11comp_targetILNS1_3genE10ELNS1_11target_archE1201ELNS1_3gpuE5ELNS1_3repE0EEENS1_30default_config_static_selectorELNS0_4arch9wavefront6targetE0EEEvT1_: ; @_ZN7rocprim17ROCPRIM_400000_NS6detail17trampoline_kernelINS0_14default_configENS1_27scan_by_key_config_selectorIifEEZZNS1_16scan_by_key_implILNS1_25lookback_scan_determinismE0ELb0ES3_N6thrust23THRUST_200600_302600_NS6detail15normal_iteratorINS9_10device_ptrIiEEEENSB_INSC_IfEEEESG_fNS9_4plusIvEENS9_8equal_toIvEEfEE10hipError_tPvRmT2_T3_T4_T5_mT6_T7_P12ihipStream_tbENKUlT_T0_E_clISt17integral_constantIbLb1EES10_IbLb0EEEEDaSW_SX_EUlSW_E_NS1_11comp_targetILNS1_3genE10ELNS1_11target_archE1201ELNS1_3gpuE5ELNS1_3repE0EEENS1_30default_config_static_selectorELNS0_4arch9wavefront6targetE0EEEvT1_
; %bb.0:
	.section	.rodata,"a",@progbits
	.p2align	6, 0x0
	.amdhsa_kernel _ZN7rocprim17ROCPRIM_400000_NS6detail17trampoline_kernelINS0_14default_configENS1_27scan_by_key_config_selectorIifEEZZNS1_16scan_by_key_implILNS1_25lookback_scan_determinismE0ELb0ES3_N6thrust23THRUST_200600_302600_NS6detail15normal_iteratorINS9_10device_ptrIiEEEENSB_INSC_IfEEEESG_fNS9_4plusIvEENS9_8equal_toIvEEfEE10hipError_tPvRmT2_T3_T4_T5_mT6_T7_P12ihipStream_tbENKUlT_T0_E_clISt17integral_constantIbLb1EES10_IbLb0EEEEDaSW_SX_EUlSW_E_NS1_11comp_targetILNS1_3genE10ELNS1_11target_archE1201ELNS1_3gpuE5ELNS1_3repE0EEENS1_30default_config_static_selectorELNS0_4arch9wavefront6targetE0EEEvT1_
		.amdhsa_group_segment_fixed_size 0
		.amdhsa_private_segment_fixed_size 0
		.amdhsa_kernarg_size 112
		.amdhsa_user_sgpr_count 6
		.amdhsa_user_sgpr_private_segment_buffer 1
		.amdhsa_user_sgpr_dispatch_ptr 0
		.amdhsa_user_sgpr_queue_ptr 0
		.amdhsa_user_sgpr_kernarg_segment_ptr 1
		.amdhsa_user_sgpr_dispatch_id 0
		.amdhsa_user_sgpr_flat_scratch_init 0
		.amdhsa_user_sgpr_private_segment_size 0
		.amdhsa_wavefront_size32 1
		.amdhsa_uses_dynamic_stack 0
		.amdhsa_system_sgpr_private_segment_wavefront_offset 0
		.amdhsa_system_sgpr_workgroup_id_x 1
		.amdhsa_system_sgpr_workgroup_id_y 0
		.amdhsa_system_sgpr_workgroup_id_z 0
		.amdhsa_system_sgpr_workgroup_info 0
		.amdhsa_system_vgpr_workitem_id 0
		.amdhsa_next_free_vgpr 1
		.amdhsa_next_free_sgpr 1
		.amdhsa_reserve_vcc 0
		.amdhsa_reserve_flat_scratch 0
		.amdhsa_float_round_mode_32 0
		.amdhsa_float_round_mode_16_64 0
		.amdhsa_float_denorm_mode_32 3
		.amdhsa_float_denorm_mode_16_64 3
		.amdhsa_dx10_clamp 1
		.amdhsa_ieee_mode 1
		.amdhsa_fp16_overflow 0
		.amdhsa_workgroup_processor_mode 1
		.amdhsa_memory_ordered 1
		.amdhsa_forward_progress 1
		.amdhsa_shared_vgpr_count 0
		.amdhsa_exception_fp_ieee_invalid_op 0
		.amdhsa_exception_fp_denorm_src 0
		.amdhsa_exception_fp_ieee_div_zero 0
		.amdhsa_exception_fp_ieee_overflow 0
		.amdhsa_exception_fp_ieee_underflow 0
		.amdhsa_exception_fp_ieee_inexact 0
		.amdhsa_exception_int_div_zero 0
	.end_amdhsa_kernel
	.section	.text._ZN7rocprim17ROCPRIM_400000_NS6detail17trampoline_kernelINS0_14default_configENS1_27scan_by_key_config_selectorIifEEZZNS1_16scan_by_key_implILNS1_25lookback_scan_determinismE0ELb0ES3_N6thrust23THRUST_200600_302600_NS6detail15normal_iteratorINS9_10device_ptrIiEEEENSB_INSC_IfEEEESG_fNS9_4plusIvEENS9_8equal_toIvEEfEE10hipError_tPvRmT2_T3_T4_T5_mT6_T7_P12ihipStream_tbENKUlT_T0_E_clISt17integral_constantIbLb1EES10_IbLb0EEEEDaSW_SX_EUlSW_E_NS1_11comp_targetILNS1_3genE10ELNS1_11target_archE1201ELNS1_3gpuE5ELNS1_3repE0EEENS1_30default_config_static_selectorELNS0_4arch9wavefront6targetE0EEEvT1_,"axG",@progbits,_ZN7rocprim17ROCPRIM_400000_NS6detail17trampoline_kernelINS0_14default_configENS1_27scan_by_key_config_selectorIifEEZZNS1_16scan_by_key_implILNS1_25lookback_scan_determinismE0ELb0ES3_N6thrust23THRUST_200600_302600_NS6detail15normal_iteratorINS9_10device_ptrIiEEEENSB_INSC_IfEEEESG_fNS9_4plusIvEENS9_8equal_toIvEEfEE10hipError_tPvRmT2_T3_T4_T5_mT6_T7_P12ihipStream_tbENKUlT_T0_E_clISt17integral_constantIbLb1EES10_IbLb0EEEEDaSW_SX_EUlSW_E_NS1_11comp_targetILNS1_3genE10ELNS1_11target_archE1201ELNS1_3gpuE5ELNS1_3repE0EEENS1_30default_config_static_selectorELNS0_4arch9wavefront6targetE0EEEvT1_,comdat
.Lfunc_end1153:
	.size	_ZN7rocprim17ROCPRIM_400000_NS6detail17trampoline_kernelINS0_14default_configENS1_27scan_by_key_config_selectorIifEEZZNS1_16scan_by_key_implILNS1_25lookback_scan_determinismE0ELb0ES3_N6thrust23THRUST_200600_302600_NS6detail15normal_iteratorINS9_10device_ptrIiEEEENSB_INSC_IfEEEESG_fNS9_4plusIvEENS9_8equal_toIvEEfEE10hipError_tPvRmT2_T3_T4_T5_mT6_T7_P12ihipStream_tbENKUlT_T0_E_clISt17integral_constantIbLb1EES10_IbLb0EEEEDaSW_SX_EUlSW_E_NS1_11comp_targetILNS1_3genE10ELNS1_11target_archE1201ELNS1_3gpuE5ELNS1_3repE0EEENS1_30default_config_static_selectorELNS0_4arch9wavefront6targetE0EEEvT1_, .Lfunc_end1153-_ZN7rocprim17ROCPRIM_400000_NS6detail17trampoline_kernelINS0_14default_configENS1_27scan_by_key_config_selectorIifEEZZNS1_16scan_by_key_implILNS1_25lookback_scan_determinismE0ELb0ES3_N6thrust23THRUST_200600_302600_NS6detail15normal_iteratorINS9_10device_ptrIiEEEENSB_INSC_IfEEEESG_fNS9_4plusIvEENS9_8equal_toIvEEfEE10hipError_tPvRmT2_T3_T4_T5_mT6_T7_P12ihipStream_tbENKUlT_T0_E_clISt17integral_constantIbLb1EES10_IbLb0EEEEDaSW_SX_EUlSW_E_NS1_11comp_targetILNS1_3genE10ELNS1_11target_archE1201ELNS1_3gpuE5ELNS1_3repE0EEENS1_30default_config_static_selectorELNS0_4arch9wavefront6targetE0EEEvT1_
                                        ; -- End function
	.set _ZN7rocprim17ROCPRIM_400000_NS6detail17trampoline_kernelINS0_14default_configENS1_27scan_by_key_config_selectorIifEEZZNS1_16scan_by_key_implILNS1_25lookback_scan_determinismE0ELb0ES3_N6thrust23THRUST_200600_302600_NS6detail15normal_iteratorINS9_10device_ptrIiEEEENSB_INSC_IfEEEESG_fNS9_4plusIvEENS9_8equal_toIvEEfEE10hipError_tPvRmT2_T3_T4_T5_mT6_T7_P12ihipStream_tbENKUlT_T0_E_clISt17integral_constantIbLb1EES10_IbLb0EEEEDaSW_SX_EUlSW_E_NS1_11comp_targetILNS1_3genE10ELNS1_11target_archE1201ELNS1_3gpuE5ELNS1_3repE0EEENS1_30default_config_static_selectorELNS0_4arch9wavefront6targetE0EEEvT1_.num_vgpr, 0
	.set _ZN7rocprim17ROCPRIM_400000_NS6detail17trampoline_kernelINS0_14default_configENS1_27scan_by_key_config_selectorIifEEZZNS1_16scan_by_key_implILNS1_25lookback_scan_determinismE0ELb0ES3_N6thrust23THRUST_200600_302600_NS6detail15normal_iteratorINS9_10device_ptrIiEEEENSB_INSC_IfEEEESG_fNS9_4plusIvEENS9_8equal_toIvEEfEE10hipError_tPvRmT2_T3_T4_T5_mT6_T7_P12ihipStream_tbENKUlT_T0_E_clISt17integral_constantIbLb1EES10_IbLb0EEEEDaSW_SX_EUlSW_E_NS1_11comp_targetILNS1_3genE10ELNS1_11target_archE1201ELNS1_3gpuE5ELNS1_3repE0EEENS1_30default_config_static_selectorELNS0_4arch9wavefront6targetE0EEEvT1_.num_agpr, 0
	.set _ZN7rocprim17ROCPRIM_400000_NS6detail17trampoline_kernelINS0_14default_configENS1_27scan_by_key_config_selectorIifEEZZNS1_16scan_by_key_implILNS1_25lookback_scan_determinismE0ELb0ES3_N6thrust23THRUST_200600_302600_NS6detail15normal_iteratorINS9_10device_ptrIiEEEENSB_INSC_IfEEEESG_fNS9_4plusIvEENS9_8equal_toIvEEfEE10hipError_tPvRmT2_T3_T4_T5_mT6_T7_P12ihipStream_tbENKUlT_T0_E_clISt17integral_constantIbLb1EES10_IbLb0EEEEDaSW_SX_EUlSW_E_NS1_11comp_targetILNS1_3genE10ELNS1_11target_archE1201ELNS1_3gpuE5ELNS1_3repE0EEENS1_30default_config_static_selectorELNS0_4arch9wavefront6targetE0EEEvT1_.numbered_sgpr, 0
	.set _ZN7rocprim17ROCPRIM_400000_NS6detail17trampoline_kernelINS0_14default_configENS1_27scan_by_key_config_selectorIifEEZZNS1_16scan_by_key_implILNS1_25lookback_scan_determinismE0ELb0ES3_N6thrust23THRUST_200600_302600_NS6detail15normal_iteratorINS9_10device_ptrIiEEEENSB_INSC_IfEEEESG_fNS9_4plusIvEENS9_8equal_toIvEEfEE10hipError_tPvRmT2_T3_T4_T5_mT6_T7_P12ihipStream_tbENKUlT_T0_E_clISt17integral_constantIbLb1EES10_IbLb0EEEEDaSW_SX_EUlSW_E_NS1_11comp_targetILNS1_3genE10ELNS1_11target_archE1201ELNS1_3gpuE5ELNS1_3repE0EEENS1_30default_config_static_selectorELNS0_4arch9wavefront6targetE0EEEvT1_.num_named_barrier, 0
	.set _ZN7rocprim17ROCPRIM_400000_NS6detail17trampoline_kernelINS0_14default_configENS1_27scan_by_key_config_selectorIifEEZZNS1_16scan_by_key_implILNS1_25lookback_scan_determinismE0ELb0ES3_N6thrust23THRUST_200600_302600_NS6detail15normal_iteratorINS9_10device_ptrIiEEEENSB_INSC_IfEEEESG_fNS9_4plusIvEENS9_8equal_toIvEEfEE10hipError_tPvRmT2_T3_T4_T5_mT6_T7_P12ihipStream_tbENKUlT_T0_E_clISt17integral_constantIbLb1EES10_IbLb0EEEEDaSW_SX_EUlSW_E_NS1_11comp_targetILNS1_3genE10ELNS1_11target_archE1201ELNS1_3gpuE5ELNS1_3repE0EEENS1_30default_config_static_selectorELNS0_4arch9wavefront6targetE0EEEvT1_.private_seg_size, 0
	.set _ZN7rocprim17ROCPRIM_400000_NS6detail17trampoline_kernelINS0_14default_configENS1_27scan_by_key_config_selectorIifEEZZNS1_16scan_by_key_implILNS1_25lookback_scan_determinismE0ELb0ES3_N6thrust23THRUST_200600_302600_NS6detail15normal_iteratorINS9_10device_ptrIiEEEENSB_INSC_IfEEEESG_fNS9_4plusIvEENS9_8equal_toIvEEfEE10hipError_tPvRmT2_T3_T4_T5_mT6_T7_P12ihipStream_tbENKUlT_T0_E_clISt17integral_constantIbLb1EES10_IbLb0EEEEDaSW_SX_EUlSW_E_NS1_11comp_targetILNS1_3genE10ELNS1_11target_archE1201ELNS1_3gpuE5ELNS1_3repE0EEENS1_30default_config_static_selectorELNS0_4arch9wavefront6targetE0EEEvT1_.uses_vcc, 0
	.set _ZN7rocprim17ROCPRIM_400000_NS6detail17trampoline_kernelINS0_14default_configENS1_27scan_by_key_config_selectorIifEEZZNS1_16scan_by_key_implILNS1_25lookback_scan_determinismE0ELb0ES3_N6thrust23THRUST_200600_302600_NS6detail15normal_iteratorINS9_10device_ptrIiEEEENSB_INSC_IfEEEESG_fNS9_4plusIvEENS9_8equal_toIvEEfEE10hipError_tPvRmT2_T3_T4_T5_mT6_T7_P12ihipStream_tbENKUlT_T0_E_clISt17integral_constantIbLb1EES10_IbLb0EEEEDaSW_SX_EUlSW_E_NS1_11comp_targetILNS1_3genE10ELNS1_11target_archE1201ELNS1_3gpuE5ELNS1_3repE0EEENS1_30default_config_static_selectorELNS0_4arch9wavefront6targetE0EEEvT1_.uses_flat_scratch, 0
	.set _ZN7rocprim17ROCPRIM_400000_NS6detail17trampoline_kernelINS0_14default_configENS1_27scan_by_key_config_selectorIifEEZZNS1_16scan_by_key_implILNS1_25lookback_scan_determinismE0ELb0ES3_N6thrust23THRUST_200600_302600_NS6detail15normal_iteratorINS9_10device_ptrIiEEEENSB_INSC_IfEEEESG_fNS9_4plusIvEENS9_8equal_toIvEEfEE10hipError_tPvRmT2_T3_T4_T5_mT6_T7_P12ihipStream_tbENKUlT_T0_E_clISt17integral_constantIbLb1EES10_IbLb0EEEEDaSW_SX_EUlSW_E_NS1_11comp_targetILNS1_3genE10ELNS1_11target_archE1201ELNS1_3gpuE5ELNS1_3repE0EEENS1_30default_config_static_selectorELNS0_4arch9wavefront6targetE0EEEvT1_.has_dyn_sized_stack, 0
	.set _ZN7rocprim17ROCPRIM_400000_NS6detail17trampoline_kernelINS0_14default_configENS1_27scan_by_key_config_selectorIifEEZZNS1_16scan_by_key_implILNS1_25lookback_scan_determinismE0ELb0ES3_N6thrust23THRUST_200600_302600_NS6detail15normal_iteratorINS9_10device_ptrIiEEEENSB_INSC_IfEEEESG_fNS9_4plusIvEENS9_8equal_toIvEEfEE10hipError_tPvRmT2_T3_T4_T5_mT6_T7_P12ihipStream_tbENKUlT_T0_E_clISt17integral_constantIbLb1EES10_IbLb0EEEEDaSW_SX_EUlSW_E_NS1_11comp_targetILNS1_3genE10ELNS1_11target_archE1201ELNS1_3gpuE5ELNS1_3repE0EEENS1_30default_config_static_selectorELNS0_4arch9wavefront6targetE0EEEvT1_.has_recursion, 0
	.set _ZN7rocprim17ROCPRIM_400000_NS6detail17trampoline_kernelINS0_14default_configENS1_27scan_by_key_config_selectorIifEEZZNS1_16scan_by_key_implILNS1_25lookback_scan_determinismE0ELb0ES3_N6thrust23THRUST_200600_302600_NS6detail15normal_iteratorINS9_10device_ptrIiEEEENSB_INSC_IfEEEESG_fNS9_4plusIvEENS9_8equal_toIvEEfEE10hipError_tPvRmT2_T3_T4_T5_mT6_T7_P12ihipStream_tbENKUlT_T0_E_clISt17integral_constantIbLb1EES10_IbLb0EEEEDaSW_SX_EUlSW_E_NS1_11comp_targetILNS1_3genE10ELNS1_11target_archE1201ELNS1_3gpuE5ELNS1_3repE0EEENS1_30default_config_static_selectorELNS0_4arch9wavefront6targetE0EEEvT1_.has_indirect_call, 0
	.section	.AMDGPU.csdata,"",@progbits
; Kernel info:
; codeLenInByte = 0
; TotalNumSgprs: 0
; NumVgprs: 0
; ScratchSize: 0
; MemoryBound: 0
; FloatMode: 240
; IeeeMode: 1
; LDSByteSize: 0 bytes/workgroup (compile time only)
; SGPRBlocks: 0
; VGPRBlocks: 0
; NumSGPRsForWavesPerEU: 1
; NumVGPRsForWavesPerEU: 1
; Occupancy: 16
; WaveLimiterHint : 0
; COMPUTE_PGM_RSRC2:SCRATCH_EN: 0
; COMPUTE_PGM_RSRC2:USER_SGPR: 6
; COMPUTE_PGM_RSRC2:TRAP_HANDLER: 0
; COMPUTE_PGM_RSRC2:TGID_X_EN: 1
; COMPUTE_PGM_RSRC2:TGID_Y_EN: 0
; COMPUTE_PGM_RSRC2:TGID_Z_EN: 0
; COMPUTE_PGM_RSRC2:TIDIG_COMP_CNT: 0
	.section	.text._ZN7rocprim17ROCPRIM_400000_NS6detail17trampoline_kernelINS0_14default_configENS1_27scan_by_key_config_selectorIifEEZZNS1_16scan_by_key_implILNS1_25lookback_scan_determinismE0ELb0ES3_N6thrust23THRUST_200600_302600_NS6detail15normal_iteratorINS9_10device_ptrIiEEEENSB_INSC_IfEEEESG_fNS9_4plusIvEENS9_8equal_toIvEEfEE10hipError_tPvRmT2_T3_T4_T5_mT6_T7_P12ihipStream_tbENKUlT_T0_E_clISt17integral_constantIbLb1EES10_IbLb0EEEEDaSW_SX_EUlSW_E_NS1_11comp_targetILNS1_3genE5ELNS1_11target_archE942ELNS1_3gpuE9ELNS1_3repE0EEENS1_30default_config_static_selectorELNS0_4arch9wavefront6targetE0EEEvT1_,"axG",@progbits,_ZN7rocprim17ROCPRIM_400000_NS6detail17trampoline_kernelINS0_14default_configENS1_27scan_by_key_config_selectorIifEEZZNS1_16scan_by_key_implILNS1_25lookback_scan_determinismE0ELb0ES3_N6thrust23THRUST_200600_302600_NS6detail15normal_iteratorINS9_10device_ptrIiEEEENSB_INSC_IfEEEESG_fNS9_4plusIvEENS9_8equal_toIvEEfEE10hipError_tPvRmT2_T3_T4_T5_mT6_T7_P12ihipStream_tbENKUlT_T0_E_clISt17integral_constantIbLb1EES10_IbLb0EEEEDaSW_SX_EUlSW_E_NS1_11comp_targetILNS1_3genE5ELNS1_11target_archE942ELNS1_3gpuE9ELNS1_3repE0EEENS1_30default_config_static_selectorELNS0_4arch9wavefront6targetE0EEEvT1_,comdat
	.protected	_ZN7rocprim17ROCPRIM_400000_NS6detail17trampoline_kernelINS0_14default_configENS1_27scan_by_key_config_selectorIifEEZZNS1_16scan_by_key_implILNS1_25lookback_scan_determinismE0ELb0ES3_N6thrust23THRUST_200600_302600_NS6detail15normal_iteratorINS9_10device_ptrIiEEEENSB_INSC_IfEEEESG_fNS9_4plusIvEENS9_8equal_toIvEEfEE10hipError_tPvRmT2_T3_T4_T5_mT6_T7_P12ihipStream_tbENKUlT_T0_E_clISt17integral_constantIbLb1EES10_IbLb0EEEEDaSW_SX_EUlSW_E_NS1_11comp_targetILNS1_3genE5ELNS1_11target_archE942ELNS1_3gpuE9ELNS1_3repE0EEENS1_30default_config_static_selectorELNS0_4arch9wavefront6targetE0EEEvT1_ ; -- Begin function _ZN7rocprim17ROCPRIM_400000_NS6detail17trampoline_kernelINS0_14default_configENS1_27scan_by_key_config_selectorIifEEZZNS1_16scan_by_key_implILNS1_25lookback_scan_determinismE0ELb0ES3_N6thrust23THRUST_200600_302600_NS6detail15normal_iteratorINS9_10device_ptrIiEEEENSB_INSC_IfEEEESG_fNS9_4plusIvEENS9_8equal_toIvEEfEE10hipError_tPvRmT2_T3_T4_T5_mT6_T7_P12ihipStream_tbENKUlT_T0_E_clISt17integral_constantIbLb1EES10_IbLb0EEEEDaSW_SX_EUlSW_E_NS1_11comp_targetILNS1_3genE5ELNS1_11target_archE942ELNS1_3gpuE9ELNS1_3repE0EEENS1_30default_config_static_selectorELNS0_4arch9wavefront6targetE0EEEvT1_
	.globl	_ZN7rocprim17ROCPRIM_400000_NS6detail17trampoline_kernelINS0_14default_configENS1_27scan_by_key_config_selectorIifEEZZNS1_16scan_by_key_implILNS1_25lookback_scan_determinismE0ELb0ES3_N6thrust23THRUST_200600_302600_NS6detail15normal_iteratorINS9_10device_ptrIiEEEENSB_INSC_IfEEEESG_fNS9_4plusIvEENS9_8equal_toIvEEfEE10hipError_tPvRmT2_T3_T4_T5_mT6_T7_P12ihipStream_tbENKUlT_T0_E_clISt17integral_constantIbLb1EES10_IbLb0EEEEDaSW_SX_EUlSW_E_NS1_11comp_targetILNS1_3genE5ELNS1_11target_archE942ELNS1_3gpuE9ELNS1_3repE0EEENS1_30default_config_static_selectorELNS0_4arch9wavefront6targetE0EEEvT1_
	.p2align	8
	.type	_ZN7rocprim17ROCPRIM_400000_NS6detail17trampoline_kernelINS0_14default_configENS1_27scan_by_key_config_selectorIifEEZZNS1_16scan_by_key_implILNS1_25lookback_scan_determinismE0ELb0ES3_N6thrust23THRUST_200600_302600_NS6detail15normal_iteratorINS9_10device_ptrIiEEEENSB_INSC_IfEEEESG_fNS9_4plusIvEENS9_8equal_toIvEEfEE10hipError_tPvRmT2_T3_T4_T5_mT6_T7_P12ihipStream_tbENKUlT_T0_E_clISt17integral_constantIbLb1EES10_IbLb0EEEEDaSW_SX_EUlSW_E_NS1_11comp_targetILNS1_3genE5ELNS1_11target_archE942ELNS1_3gpuE9ELNS1_3repE0EEENS1_30default_config_static_selectorELNS0_4arch9wavefront6targetE0EEEvT1_,@function
_ZN7rocprim17ROCPRIM_400000_NS6detail17trampoline_kernelINS0_14default_configENS1_27scan_by_key_config_selectorIifEEZZNS1_16scan_by_key_implILNS1_25lookback_scan_determinismE0ELb0ES3_N6thrust23THRUST_200600_302600_NS6detail15normal_iteratorINS9_10device_ptrIiEEEENSB_INSC_IfEEEESG_fNS9_4plusIvEENS9_8equal_toIvEEfEE10hipError_tPvRmT2_T3_T4_T5_mT6_T7_P12ihipStream_tbENKUlT_T0_E_clISt17integral_constantIbLb1EES10_IbLb0EEEEDaSW_SX_EUlSW_E_NS1_11comp_targetILNS1_3genE5ELNS1_11target_archE942ELNS1_3gpuE9ELNS1_3repE0EEENS1_30default_config_static_selectorELNS0_4arch9wavefront6targetE0EEEvT1_: ; @_ZN7rocprim17ROCPRIM_400000_NS6detail17trampoline_kernelINS0_14default_configENS1_27scan_by_key_config_selectorIifEEZZNS1_16scan_by_key_implILNS1_25lookback_scan_determinismE0ELb0ES3_N6thrust23THRUST_200600_302600_NS6detail15normal_iteratorINS9_10device_ptrIiEEEENSB_INSC_IfEEEESG_fNS9_4plusIvEENS9_8equal_toIvEEfEE10hipError_tPvRmT2_T3_T4_T5_mT6_T7_P12ihipStream_tbENKUlT_T0_E_clISt17integral_constantIbLb1EES10_IbLb0EEEEDaSW_SX_EUlSW_E_NS1_11comp_targetILNS1_3genE5ELNS1_11target_archE942ELNS1_3gpuE9ELNS1_3repE0EEENS1_30default_config_static_selectorELNS0_4arch9wavefront6targetE0EEEvT1_
; %bb.0:
	.section	.rodata,"a",@progbits
	.p2align	6, 0x0
	.amdhsa_kernel _ZN7rocprim17ROCPRIM_400000_NS6detail17trampoline_kernelINS0_14default_configENS1_27scan_by_key_config_selectorIifEEZZNS1_16scan_by_key_implILNS1_25lookback_scan_determinismE0ELb0ES3_N6thrust23THRUST_200600_302600_NS6detail15normal_iteratorINS9_10device_ptrIiEEEENSB_INSC_IfEEEESG_fNS9_4plusIvEENS9_8equal_toIvEEfEE10hipError_tPvRmT2_T3_T4_T5_mT6_T7_P12ihipStream_tbENKUlT_T0_E_clISt17integral_constantIbLb1EES10_IbLb0EEEEDaSW_SX_EUlSW_E_NS1_11comp_targetILNS1_3genE5ELNS1_11target_archE942ELNS1_3gpuE9ELNS1_3repE0EEENS1_30default_config_static_selectorELNS0_4arch9wavefront6targetE0EEEvT1_
		.amdhsa_group_segment_fixed_size 0
		.amdhsa_private_segment_fixed_size 0
		.amdhsa_kernarg_size 112
		.amdhsa_user_sgpr_count 6
		.amdhsa_user_sgpr_private_segment_buffer 1
		.amdhsa_user_sgpr_dispatch_ptr 0
		.amdhsa_user_sgpr_queue_ptr 0
		.amdhsa_user_sgpr_kernarg_segment_ptr 1
		.amdhsa_user_sgpr_dispatch_id 0
		.amdhsa_user_sgpr_flat_scratch_init 0
		.amdhsa_user_sgpr_private_segment_size 0
		.amdhsa_wavefront_size32 1
		.amdhsa_uses_dynamic_stack 0
		.amdhsa_system_sgpr_private_segment_wavefront_offset 0
		.amdhsa_system_sgpr_workgroup_id_x 1
		.amdhsa_system_sgpr_workgroup_id_y 0
		.amdhsa_system_sgpr_workgroup_id_z 0
		.amdhsa_system_sgpr_workgroup_info 0
		.amdhsa_system_vgpr_workitem_id 0
		.amdhsa_next_free_vgpr 1
		.amdhsa_next_free_sgpr 1
		.amdhsa_reserve_vcc 0
		.amdhsa_reserve_flat_scratch 0
		.amdhsa_float_round_mode_32 0
		.amdhsa_float_round_mode_16_64 0
		.amdhsa_float_denorm_mode_32 3
		.amdhsa_float_denorm_mode_16_64 3
		.amdhsa_dx10_clamp 1
		.amdhsa_ieee_mode 1
		.amdhsa_fp16_overflow 0
		.amdhsa_workgroup_processor_mode 1
		.amdhsa_memory_ordered 1
		.amdhsa_forward_progress 1
		.amdhsa_shared_vgpr_count 0
		.amdhsa_exception_fp_ieee_invalid_op 0
		.amdhsa_exception_fp_denorm_src 0
		.amdhsa_exception_fp_ieee_div_zero 0
		.amdhsa_exception_fp_ieee_overflow 0
		.amdhsa_exception_fp_ieee_underflow 0
		.amdhsa_exception_fp_ieee_inexact 0
		.amdhsa_exception_int_div_zero 0
	.end_amdhsa_kernel
	.section	.text._ZN7rocprim17ROCPRIM_400000_NS6detail17trampoline_kernelINS0_14default_configENS1_27scan_by_key_config_selectorIifEEZZNS1_16scan_by_key_implILNS1_25lookback_scan_determinismE0ELb0ES3_N6thrust23THRUST_200600_302600_NS6detail15normal_iteratorINS9_10device_ptrIiEEEENSB_INSC_IfEEEESG_fNS9_4plusIvEENS9_8equal_toIvEEfEE10hipError_tPvRmT2_T3_T4_T5_mT6_T7_P12ihipStream_tbENKUlT_T0_E_clISt17integral_constantIbLb1EES10_IbLb0EEEEDaSW_SX_EUlSW_E_NS1_11comp_targetILNS1_3genE5ELNS1_11target_archE942ELNS1_3gpuE9ELNS1_3repE0EEENS1_30default_config_static_selectorELNS0_4arch9wavefront6targetE0EEEvT1_,"axG",@progbits,_ZN7rocprim17ROCPRIM_400000_NS6detail17trampoline_kernelINS0_14default_configENS1_27scan_by_key_config_selectorIifEEZZNS1_16scan_by_key_implILNS1_25lookback_scan_determinismE0ELb0ES3_N6thrust23THRUST_200600_302600_NS6detail15normal_iteratorINS9_10device_ptrIiEEEENSB_INSC_IfEEEESG_fNS9_4plusIvEENS9_8equal_toIvEEfEE10hipError_tPvRmT2_T3_T4_T5_mT6_T7_P12ihipStream_tbENKUlT_T0_E_clISt17integral_constantIbLb1EES10_IbLb0EEEEDaSW_SX_EUlSW_E_NS1_11comp_targetILNS1_3genE5ELNS1_11target_archE942ELNS1_3gpuE9ELNS1_3repE0EEENS1_30default_config_static_selectorELNS0_4arch9wavefront6targetE0EEEvT1_,comdat
.Lfunc_end1154:
	.size	_ZN7rocprim17ROCPRIM_400000_NS6detail17trampoline_kernelINS0_14default_configENS1_27scan_by_key_config_selectorIifEEZZNS1_16scan_by_key_implILNS1_25lookback_scan_determinismE0ELb0ES3_N6thrust23THRUST_200600_302600_NS6detail15normal_iteratorINS9_10device_ptrIiEEEENSB_INSC_IfEEEESG_fNS9_4plusIvEENS9_8equal_toIvEEfEE10hipError_tPvRmT2_T3_T4_T5_mT6_T7_P12ihipStream_tbENKUlT_T0_E_clISt17integral_constantIbLb1EES10_IbLb0EEEEDaSW_SX_EUlSW_E_NS1_11comp_targetILNS1_3genE5ELNS1_11target_archE942ELNS1_3gpuE9ELNS1_3repE0EEENS1_30default_config_static_selectorELNS0_4arch9wavefront6targetE0EEEvT1_, .Lfunc_end1154-_ZN7rocprim17ROCPRIM_400000_NS6detail17trampoline_kernelINS0_14default_configENS1_27scan_by_key_config_selectorIifEEZZNS1_16scan_by_key_implILNS1_25lookback_scan_determinismE0ELb0ES3_N6thrust23THRUST_200600_302600_NS6detail15normal_iteratorINS9_10device_ptrIiEEEENSB_INSC_IfEEEESG_fNS9_4plusIvEENS9_8equal_toIvEEfEE10hipError_tPvRmT2_T3_T4_T5_mT6_T7_P12ihipStream_tbENKUlT_T0_E_clISt17integral_constantIbLb1EES10_IbLb0EEEEDaSW_SX_EUlSW_E_NS1_11comp_targetILNS1_3genE5ELNS1_11target_archE942ELNS1_3gpuE9ELNS1_3repE0EEENS1_30default_config_static_selectorELNS0_4arch9wavefront6targetE0EEEvT1_
                                        ; -- End function
	.set _ZN7rocprim17ROCPRIM_400000_NS6detail17trampoline_kernelINS0_14default_configENS1_27scan_by_key_config_selectorIifEEZZNS1_16scan_by_key_implILNS1_25lookback_scan_determinismE0ELb0ES3_N6thrust23THRUST_200600_302600_NS6detail15normal_iteratorINS9_10device_ptrIiEEEENSB_INSC_IfEEEESG_fNS9_4plusIvEENS9_8equal_toIvEEfEE10hipError_tPvRmT2_T3_T4_T5_mT6_T7_P12ihipStream_tbENKUlT_T0_E_clISt17integral_constantIbLb1EES10_IbLb0EEEEDaSW_SX_EUlSW_E_NS1_11comp_targetILNS1_3genE5ELNS1_11target_archE942ELNS1_3gpuE9ELNS1_3repE0EEENS1_30default_config_static_selectorELNS0_4arch9wavefront6targetE0EEEvT1_.num_vgpr, 0
	.set _ZN7rocprim17ROCPRIM_400000_NS6detail17trampoline_kernelINS0_14default_configENS1_27scan_by_key_config_selectorIifEEZZNS1_16scan_by_key_implILNS1_25lookback_scan_determinismE0ELb0ES3_N6thrust23THRUST_200600_302600_NS6detail15normal_iteratorINS9_10device_ptrIiEEEENSB_INSC_IfEEEESG_fNS9_4plusIvEENS9_8equal_toIvEEfEE10hipError_tPvRmT2_T3_T4_T5_mT6_T7_P12ihipStream_tbENKUlT_T0_E_clISt17integral_constantIbLb1EES10_IbLb0EEEEDaSW_SX_EUlSW_E_NS1_11comp_targetILNS1_3genE5ELNS1_11target_archE942ELNS1_3gpuE9ELNS1_3repE0EEENS1_30default_config_static_selectorELNS0_4arch9wavefront6targetE0EEEvT1_.num_agpr, 0
	.set _ZN7rocprim17ROCPRIM_400000_NS6detail17trampoline_kernelINS0_14default_configENS1_27scan_by_key_config_selectorIifEEZZNS1_16scan_by_key_implILNS1_25lookback_scan_determinismE0ELb0ES3_N6thrust23THRUST_200600_302600_NS6detail15normal_iteratorINS9_10device_ptrIiEEEENSB_INSC_IfEEEESG_fNS9_4plusIvEENS9_8equal_toIvEEfEE10hipError_tPvRmT2_T3_T4_T5_mT6_T7_P12ihipStream_tbENKUlT_T0_E_clISt17integral_constantIbLb1EES10_IbLb0EEEEDaSW_SX_EUlSW_E_NS1_11comp_targetILNS1_3genE5ELNS1_11target_archE942ELNS1_3gpuE9ELNS1_3repE0EEENS1_30default_config_static_selectorELNS0_4arch9wavefront6targetE0EEEvT1_.numbered_sgpr, 0
	.set _ZN7rocprim17ROCPRIM_400000_NS6detail17trampoline_kernelINS0_14default_configENS1_27scan_by_key_config_selectorIifEEZZNS1_16scan_by_key_implILNS1_25lookback_scan_determinismE0ELb0ES3_N6thrust23THRUST_200600_302600_NS6detail15normal_iteratorINS9_10device_ptrIiEEEENSB_INSC_IfEEEESG_fNS9_4plusIvEENS9_8equal_toIvEEfEE10hipError_tPvRmT2_T3_T4_T5_mT6_T7_P12ihipStream_tbENKUlT_T0_E_clISt17integral_constantIbLb1EES10_IbLb0EEEEDaSW_SX_EUlSW_E_NS1_11comp_targetILNS1_3genE5ELNS1_11target_archE942ELNS1_3gpuE9ELNS1_3repE0EEENS1_30default_config_static_selectorELNS0_4arch9wavefront6targetE0EEEvT1_.num_named_barrier, 0
	.set _ZN7rocprim17ROCPRIM_400000_NS6detail17trampoline_kernelINS0_14default_configENS1_27scan_by_key_config_selectorIifEEZZNS1_16scan_by_key_implILNS1_25lookback_scan_determinismE0ELb0ES3_N6thrust23THRUST_200600_302600_NS6detail15normal_iteratorINS9_10device_ptrIiEEEENSB_INSC_IfEEEESG_fNS9_4plusIvEENS9_8equal_toIvEEfEE10hipError_tPvRmT2_T3_T4_T5_mT6_T7_P12ihipStream_tbENKUlT_T0_E_clISt17integral_constantIbLb1EES10_IbLb0EEEEDaSW_SX_EUlSW_E_NS1_11comp_targetILNS1_3genE5ELNS1_11target_archE942ELNS1_3gpuE9ELNS1_3repE0EEENS1_30default_config_static_selectorELNS0_4arch9wavefront6targetE0EEEvT1_.private_seg_size, 0
	.set _ZN7rocprim17ROCPRIM_400000_NS6detail17trampoline_kernelINS0_14default_configENS1_27scan_by_key_config_selectorIifEEZZNS1_16scan_by_key_implILNS1_25lookback_scan_determinismE0ELb0ES3_N6thrust23THRUST_200600_302600_NS6detail15normal_iteratorINS9_10device_ptrIiEEEENSB_INSC_IfEEEESG_fNS9_4plusIvEENS9_8equal_toIvEEfEE10hipError_tPvRmT2_T3_T4_T5_mT6_T7_P12ihipStream_tbENKUlT_T0_E_clISt17integral_constantIbLb1EES10_IbLb0EEEEDaSW_SX_EUlSW_E_NS1_11comp_targetILNS1_3genE5ELNS1_11target_archE942ELNS1_3gpuE9ELNS1_3repE0EEENS1_30default_config_static_selectorELNS0_4arch9wavefront6targetE0EEEvT1_.uses_vcc, 0
	.set _ZN7rocprim17ROCPRIM_400000_NS6detail17trampoline_kernelINS0_14default_configENS1_27scan_by_key_config_selectorIifEEZZNS1_16scan_by_key_implILNS1_25lookback_scan_determinismE0ELb0ES3_N6thrust23THRUST_200600_302600_NS6detail15normal_iteratorINS9_10device_ptrIiEEEENSB_INSC_IfEEEESG_fNS9_4plusIvEENS9_8equal_toIvEEfEE10hipError_tPvRmT2_T3_T4_T5_mT6_T7_P12ihipStream_tbENKUlT_T0_E_clISt17integral_constantIbLb1EES10_IbLb0EEEEDaSW_SX_EUlSW_E_NS1_11comp_targetILNS1_3genE5ELNS1_11target_archE942ELNS1_3gpuE9ELNS1_3repE0EEENS1_30default_config_static_selectorELNS0_4arch9wavefront6targetE0EEEvT1_.uses_flat_scratch, 0
	.set _ZN7rocprim17ROCPRIM_400000_NS6detail17trampoline_kernelINS0_14default_configENS1_27scan_by_key_config_selectorIifEEZZNS1_16scan_by_key_implILNS1_25lookback_scan_determinismE0ELb0ES3_N6thrust23THRUST_200600_302600_NS6detail15normal_iteratorINS9_10device_ptrIiEEEENSB_INSC_IfEEEESG_fNS9_4plusIvEENS9_8equal_toIvEEfEE10hipError_tPvRmT2_T3_T4_T5_mT6_T7_P12ihipStream_tbENKUlT_T0_E_clISt17integral_constantIbLb1EES10_IbLb0EEEEDaSW_SX_EUlSW_E_NS1_11comp_targetILNS1_3genE5ELNS1_11target_archE942ELNS1_3gpuE9ELNS1_3repE0EEENS1_30default_config_static_selectorELNS0_4arch9wavefront6targetE0EEEvT1_.has_dyn_sized_stack, 0
	.set _ZN7rocprim17ROCPRIM_400000_NS6detail17trampoline_kernelINS0_14default_configENS1_27scan_by_key_config_selectorIifEEZZNS1_16scan_by_key_implILNS1_25lookback_scan_determinismE0ELb0ES3_N6thrust23THRUST_200600_302600_NS6detail15normal_iteratorINS9_10device_ptrIiEEEENSB_INSC_IfEEEESG_fNS9_4plusIvEENS9_8equal_toIvEEfEE10hipError_tPvRmT2_T3_T4_T5_mT6_T7_P12ihipStream_tbENKUlT_T0_E_clISt17integral_constantIbLb1EES10_IbLb0EEEEDaSW_SX_EUlSW_E_NS1_11comp_targetILNS1_3genE5ELNS1_11target_archE942ELNS1_3gpuE9ELNS1_3repE0EEENS1_30default_config_static_selectorELNS0_4arch9wavefront6targetE0EEEvT1_.has_recursion, 0
	.set _ZN7rocprim17ROCPRIM_400000_NS6detail17trampoline_kernelINS0_14default_configENS1_27scan_by_key_config_selectorIifEEZZNS1_16scan_by_key_implILNS1_25lookback_scan_determinismE0ELb0ES3_N6thrust23THRUST_200600_302600_NS6detail15normal_iteratorINS9_10device_ptrIiEEEENSB_INSC_IfEEEESG_fNS9_4plusIvEENS9_8equal_toIvEEfEE10hipError_tPvRmT2_T3_T4_T5_mT6_T7_P12ihipStream_tbENKUlT_T0_E_clISt17integral_constantIbLb1EES10_IbLb0EEEEDaSW_SX_EUlSW_E_NS1_11comp_targetILNS1_3genE5ELNS1_11target_archE942ELNS1_3gpuE9ELNS1_3repE0EEENS1_30default_config_static_selectorELNS0_4arch9wavefront6targetE0EEEvT1_.has_indirect_call, 0
	.section	.AMDGPU.csdata,"",@progbits
; Kernel info:
; codeLenInByte = 0
; TotalNumSgprs: 0
; NumVgprs: 0
; ScratchSize: 0
; MemoryBound: 0
; FloatMode: 240
; IeeeMode: 1
; LDSByteSize: 0 bytes/workgroup (compile time only)
; SGPRBlocks: 0
; VGPRBlocks: 0
; NumSGPRsForWavesPerEU: 1
; NumVGPRsForWavesPerEU: 1
; Occupancy: 16
; WaveLimiterHint : 0
; COMPUTE_PGM_RSRC2:SCRATCH_EN: 0
; COMPUTE_PGM_RSRC2:USER_SGPR: 6
; COMPUTE_PGM_RSRC2:TRAP_HANDLER: 0
; COMPUTE_PGM_RSRC2:TGID_X_EN: 1
; COMPUTE_PGM_RSRC2:TGID_Y_EN: 0
; COMPUTE_PGM_RSRC2:TGID_Z_EN: 0
; COMPUTE_PGM_RSRC2:TIDIG_COMP_CNT: 0
	.section	.text._ZN7rocprim17ROCPRIM_400000_NS6detail17trampoline_kernelINS0_14default_configENS1_27scan_by_key_config_selectorIifEEZZNS1_16scan_by_key_implILNS1_25lookback_scan_determinismE0ELb0ES3_N6thrust23THRUST_200600_302600_NS6detail15normal_iteratorINS9_10device_ptrIiEEEENSB_INSC_IfEEEESG_fNS9_4plusIvEENS9_8equal_toIvEEfEE10hipError_tPvRmT2_T3_T4_T5_mT6_T7_P12ihipStream_tbENKUlT_T0_E_clISt17integral_constantIbLb1EES10_IbLb0EEEEDaSW_SX_EUlSW_E_NS1_11comp_targetILNS1_3genE4ELNS1_11target_archE910ELNS1_3gpuE8ELNS1_3repE0EEENS1_30default_config_static_selectorELNS0_4arch9wavefront6targetE0EEEvT1_,"axG",@progbits,_ZN7rocprim17ROCPRIM_400000_NS6detail17trampoline_kernelINS0_14default_configENS1_27scan_by_key_config_selectorIifEEZZNS1_16scan_by_key_implILNS1_25lookback_scan_determinismE0ELb0ES3_N6thrust23THRUST_200600_302600_NS6detail15normal_iteratorINS9_10device_ptrIiEEEENSB_INSC_IfEEEESG_fNS9_4plusIvEENS9_8equal_toIvEEfEE10hipError_tPvRmT2_T3_T4_T5_mT6_T7_P12ihipStream_tbENKUlT_T0_E_clISt17integral_constantIbLb1EES10_IbLb0EEEEDaSW_SX_EUlSW_E_NS1_11comp_targetILNS1_3genE4ELNS1_11target_archE910ELNS1_3gpuE8ELNS1_3repE0EEENS1_30default_config_static_selectorELNS0_4arch9wavefront6targetE0EEEvT1_,comdat
	.protected	_ZN7rocprim17ROCPRIM_400000_NS6detail17trampoline_kernelINS0_14default_configENS1_27scan_by_key_config_selectorIifEEZZNS1_16scan_by_key_implILNS1_25lookback_scan_determinismE0ELb0ES3_N6thrust23THRUST_200600_302600_NS6detail15normal_iteratorINS9_10device_ptrIiEEEENSB_INSC_IfEEEESG_fNS9_4plusIvEENS9_8equal_toIvEEfEE10hipError_tPvRmT2_T3_T4_T5_mT6_T7_P12ihipStream_tbENKUlT_T0_E_clISt17integral_constantIbLb1EES10_IbLb0EEEEDaSW_SX_EUlSW_E_NS1_11comp_targetILNS1_3genE4ELNS1_11target_archE910ELNS1_3gpuE8ELNS1_3repE0EEENS1_30default_config_static_selectorELNS0_4arch9wavefront6targetE0EEEvT1_ ; -- Begin function _ZN7rocprim17ROCPRIM_400000_NS6detail17trampoline_kernelINS0_14default_configENS1_27scan_by_key_config_selectorIifEEZZNS1_16scan_by_key_implILNS1_25lookback_scan_determinismE0ELb0ES3_N6thrust23THRUST_200600_302600_NS6detail15normal_iteratorINS9_10device_ptrIiEEEENSB_INSC_IfEEEESG_fNS9_4plusIvEENS9_8equal_toIvEEfEE10hipError_tPvRmT2_T3_T4_T5_mT6_T7_P12ihipStream_tbENKUlT_T0_E_clISt17integral_constantIbLb1EES10_IbLb0EEEEDaSW_SX_EUlSW_E_NS1_11comp_targetILNS1_3genE4ELNS1_11target_archE910ELNS1_3gpuE8ELNS1_3repE0EEENS1_30default_config_static_selectorELNS0_4arch9wavefront6targetE0EEEvT1_
	.globl	_ZN7rocprim17ROCPRIM_400000_NS6detail17trampoline_kernelINS0_14default_configENS1_27scan_by_key_config_selectorIifEEZZNS1_16scan_by_key_implILNS1_25lookback_scan_determinismE0ELb0ES3_N6thrust23THRUST_200600_302600_NS6detail15normal_iteratorINS9_10device_ptrIiEEEENSB_INSC_IfEEEESG_fNS9_4plusIvEENS9_8equal_toIvEEfEE10hipError_tPvRmT2_T3_T4_T5_mT6_T7_P12ihipStream_tbENKUlT_T0_E_clISt17integral_constantIbLb1EES10_IbLb0EEEEDaSW_SX_EUlSW_E_NS1_11comp_targetILNS1_3genE4ELNS1_11target_archE910ELNS1_3gpuE8ELNS1_3repE0EEENS1_30default_config_static_selectorELNS0_4arch9wavefront6targetE0EEEvT1_
	.p2align	8
	.type	_ZN7rocprim17ROCPRIM_400000_NS6detail17trampoline_kernelINS0_14default_configENS1_27scan_by_key_config_selectorIifEEZZNS1_16scan_by_key_implILNS1_25lookback_scan_determinismE0ELb0ES3_N6thrust23THRUST_200600_302600_NS6detail15normal_iteratorINS9_10device_ptrIiEEEENSB_INSC_IfEEEESG_fNS9_4plusIvEENS9_8equal_toIvEEfEE10hipError_tPvRmT2_T3_T4_T5_mT6_T7_P12ihipStream_tbENKUlT_T0_E_clISt17integral_constantIbLb1EES10_IbLb0EEEEDaSW_SX_EUlSW_E_NS1_11comp_targetILNS1_3genE4ELNS1_11target_archE910ELNS1_3gpuE8ELNS1_3repE0EEENS1_30default_config_static_selectorELNS0_4arch9wavefront6targetE0EEEvT1_,@function
_ZN7rocprim17ROCPRIM_400000_NS6detail17trampoline_kernelINS0_14default_configENS1_27scan_by_key_config_selectorIifEEZZNS1_16scan_by_key_implILNS1_25lookback_scan_determinismE0ELb0ES3_N6thrust23THRUST_200600_302600_NS6detail15normal_iteratorINS9_10device_ptrIiEEEENSB_INSC_IfEEEESG_fNS9_4plusIvEENS9_8equal_toIvEEfEE10hipError_tPvRmT2_T3_T4_T5_mT6_T7_P12ihipStream_tbENKUlT_T0_E_clISt17integral_constantIbLb1EES10_IbLb0EEEEDaSW_SX_EUlSW_E_NS1_11comp_targetILNS1_3genE4ELNS1_11target_archE910ELNS1_3gpuE8ELNS1_3repE0EEENS1_30default_config_static_selectorELNS0_4arch9wavefront6targetE0EEEvT1_: ; @_ZN7rocprim17ROCPRIM_400000_NS6detail17trampoline_kernelINS0_14default_configENS1_27scan_by_key_config_selectorIifEEZZNS1_16scan_by_key_implILNS1_25lookback_scan_determinismE0ELb0ES3_N6thrust23THRUST_200600_302600_NS6detail15normal_iteratorINS9_10device_ptrIiEEEENSB_INSC_IfEEEESG_fNS9_4plusIvEENS9_8equal_toIvEEfEE10hipError_tPvRmT2_T3_T4_T5_mT6_T7_P12ihipStream_tbENKUlT_T0_E_clISt17integral_constantIbLb1EES10_IbLb0EEEEDaSW_SX_EUlSW_E_NS1_11comp_targetILNS1_3genE4ELNS1_11target_archE910ELNS1_3gpuE8ELNS1_3repE0EEENS1_30default_config_static_selectorELNS0_4arch9wavefront6targetE0EEEvT1_
; %bb.0:
	.section	.rodata,"a",@progbits
	.p2align	6, 0x0
	.amdhsa_kernel _ZN7rocprim17ROCPRIM_400000_NS6detail17trampoline_kernelINS0_14default_configENS1_27scan_by_key_config_selectorIifEEZZNS1_16scan_by_key_implILNS1_25lookback_scan_determinismE0ELb0ES3_N6thrust23THRUST_200600_302600_NS6detail15normal_iteratorINS9_10device_ptrIiEEEENSB_INSC_IfEEEESG_fNS9_4plusIvEENS9_8equal_toIvEEfEE10hipError_tPvRmT2_T3_T4_T5_mT6_T7_P12ihipStream_tbENKUlT_T0_E_clISt17integral_constantIbLb1EES10_IbLb0EEEEDaSW_SX_EUlSW_E_NS1_11comp_targetILNS1_3genE4ELNS1_11target_archE910ELNS1_3gpuE8ELNS1_3repE0EEENS1_30default_config_static_selectorELNS0_4arch9wavefront6targetE0EEEvT1_
		.amdhsa_group_segment_fixed_size 0
		.amdhsa_private_segment_fixed_size 0
		.amdhsa_kernarg_size 112
		.amdhsa_user_sgpr_count 6
		.amdhsa_user_sgpr_private_segment_buffer 1
		.amdhsa_user_sgpr_dispatch_ptr 0
		.amdhsa_user_sgpr_queue_ptr 0
		.amdhsa_user_sgpr_kernarg_segment_ptr 1
		.amdhsa_user_sgpr_dispatch_id 0
		.amdhsa_user_sgpr_flat_scratch_init 0
		.amdhsa_user_sgpr_private_segment_size 0
		.amdhsa_wavefront_size32 1
		.amdhsa_uses_dynamic_stack 0
		.amdhsa_system_sgpr_private_segment_wavefront_offset 0
		.amdhsa_system_sgpr_workgroup_id_x 1
		.amdhsa_system_sgpr_workgroup_id_y 0
		.amdhsa_system_sgpr_workgroup_id_z 0
		.amdhsa_system_sgpr_workgroup_info 0
		.amdhsa_system_vgpr_workitem_id 0
		.amdhsa_next_free_vgpr 1
		.amdhsa_next_free_sgpr 1
		.amdhsa_reserve_vcc 0
		.amdhsa_reserve_flat_scratch 0
		.amdhsa_float_round_mode_32 0
		.amdhsa_float_round_mode_16_64 0
		.amdhsa_float_denorm_mode_32 3
		.amdhsa_float_denorm_mode_16_64 3
		.amdhsa_dx10_clamp 1
		.amdhsa_ieee_mode 1
		.amdhsa_fp16_overflow 0
		.amdhsa_workgroup_processor_mode 1
		.amdhsa_memory_ordered 1
		.amdhsa_forward_progress 1
		.amdhsa_shared_vgpr_count 0
		.amdhsa_exception_fp_ieee_invalid_op 0
		.amdhsa_exception_fp_denorm_src 0
		.amdhsa_exception_fp_ieee_div_zero 0
		.amdhsa_exception_fp_ieee_overflow 0
		.amdhsa_exception_fp_ieee_underflow 0
		.amdhsa_exception_fp_ieee_inexact 0
		.amdhsa_exception_int_div_zero 0
	.end_amdhsa_kernel
	.section	.text._ZN7rocprim17ROCPRIM_400000_NS6detail17trampoline_kernelINS0_14default_configENS1_27scan_by_key_config_selectorIifEEZZNS1_16scan_by_key_implILNS1_25lookback_scan_determinismE0ELb0ES3_N6thrust23THRUST_200600_302600_NS6detail15normal_iteratorINS9_10device_ptrIiEEEENSB_INSC_IfEEEESG_fNS9_4plusIvEENS9_8equal_toIvEEfEE10hipError_tPvRmT2_T3_T4_T5_mT6_T7_P12ihipStream_tbENKUlT_T0_E_clISt17integral_constantIbLb1EES10_IbLb0EEEEDaSW_SX_EUlSW_E_NS1_11comp_targetILNS1_3genE4ELNS1_11target_archE910ELNS1_3gpuE8ELNS1_3repE0EEENS1_30default_config_static_selectorELNS0_4arch9wavefront6targetE0EEEvT1_,"axG",@progbits,_ZN7rocprim17ROCPRIM_400000_NS6detail17trampoline_kernelINS0_14default_configENS1_27scan_by_key_config_selectorIifEEZZNS1_16scan_by_key_implILNS1_25lookback_scan_determinismE0ELb0ES3_N6thrust23THRUST_200600_302600_NS6detail15normal_iteratorINS9_10device_ptrIiEEEENSB_INSC_IfEEEESG_fNS9_4plusIvEENS9_8equal_toIvEEfEE10hipError_tPvRmT2_T3_T4_T5_mT6_T7_P12ihipStream_tbENKUlT_T0_E_clISt17integral_constantIbLb1EES10_IbLb0EEEEDaSW_SX_EUlSW_E_NS1_11comp_targetILNS1_3genE4ELNS1_11target_archE910ELNS1_3gpuE8ELNS1_3repE0EEENS1_30default_config_static_selectorELNS0_4arch9wavefront6targetE0EEEvT1_,comdat
.Lfunc_end1155:
	.size	_ZN7rocprim17ROCPRIM_400000_NS6detail17trampoline_kernelINS0_14default_configENS1_27scan_by_key_config_selectorIifEEZZNS1_16scan_by_key_implILNS1_25lookback_scan_determinismE0ELb0ES3_N6thrust23THRUST_200600_302600_NS6detail15normal_iteratorINS9_10device_ptrIiEEEENSB_INSC_IfEEEESG_fNS9_4plusIvEENS9_8equal_toIvEEfEE10hipError_tPvRmT2_T3_T4_T5_mT6_T7_P12ihipStream_tbENKUlT_T0_E_clISt17integral_constantIbLb1EES10_IbLb0EEEEDaSW_SX_EUlSW_E_NS1_11comp_targetILNS1_3genE4ELNS1_11target_archE910ELNS1_3gpuE8ELNS1_3repE0EEENS1_30default_config_static_selectorELNS0_4arch9wavefront6targetE0EEEvT1_, .Lfunc_end1155-_ZN7rocprim17ROCPRIM_400000_NS6detail17trampoline_kernelINS0_14default_configENS1_27scan_by_key_config_selectorIifEEZZNS1_16scan_by_key_implILNS1_25lookback_scan_determinismE0ELb0ES3_N6thrust23THRUST_200600_302600_NS6detail15normal_iteratorINS9_10device_ptrIiEEEENSB_INSC_IfEEEESG_fNS9_4plusIvEENS9_8equal_toIvEEfEE10hipError_tPvRmT2_T3_T4_T5_mT6_T7_P12ihipStream_tbENKUlT_T0_E_clISt17integral_constantIbLb1EES10_IbLb0EEEEDaSW_SX_EUlSW_E_NS1_11comp_targetILNS1_3genE4ELNS1_11target_archE910ELNS1_3gpuE8ELNS1_3repE0EEENS1_30default_config_static_selectorELNS0_4arch9wavefront6targetE0EEEvT1_
                                        ; -- End function
	.set _ZN7rocprim17ROCPRIM_400000_NS6detail17trampoline_kernelINS0_14default_configENS1_27scan_by_key_config_selectorIifEEZZNS1_16scan_by_key_implILNS1_25lookback_scan_determinismE0ELb0ES3_N6thrust23THRUST_200600_302600_NS6detail15normal_iteratorINS9_10device_ptrIiEEEENSB_INSC_IfEEEESG_fNS9_4plusIvEENS9_8equal_toIvEEfEE10hipError_tPvRmT2_T3_T4_T5_mT6_T7_P12ihipStream_tbENKUlT_T0_E_clISt17integral_constantIbLb1EES10_IbLb0EEEEDaSW_SX_EUlSW_E_NS1_11comp_targetILNS1_3genE4ELNS1_11target_archE910ELNS1_3gpuE8ELNS1_3repE0EEENS1_30default_config_static_selectorELNS0_4arch9wavefront6targetE0EEEvT1_.num_vgpr, 0
	.set _ZN7rocprim17ROCPRIM_400000_NS6detail17trampoline_kernelINS0_14default_configENS1_27scan_by_key_config_selectorIifEEZZNS1_16scan_by_key_implILNS1_25lookback_scan_determinismE0ELb0ES3_N6thrust23THRUST_200600_302600_NS6detail15normal_iteratorINS9_10device_ptrIiEEEENSB_INSC_IfEEEESG_fNS9_4plusIvEENS9_8equal_toIvEEfEE10hipError_tPvRmT2_T3_T4_T5_mT6_T7_P12ihipStream_tbENKUlT_T0_E_clISt17integral_constantIbLb1EES10_IbLb0EEEEDaSW_SX_EUlSW_E_NS1_11comp_targetILNS1_3genE4ELNS1_11target_archE910ELNS1_3gpuE8ELNS1_3repE0EEENS1_30default_config_static_selectorELNS0_4arch9wavefront6targetE0EEEvT1_.num_agpr, 0
	.set _ZN7rocprim17ROCPRIM_400000_NS6detail17trampoline_kernelINS0_14default_configENS1_27scan_by_key_config_selectorIifEEZZNS1_16scan_by_key_implILNS1_25lookback_scan_determinismE0ELb0ES3_N6thrust23THRUST_200600_302600_NS6detail15normal_iteratorINS9_10device_ptrIiEEEENSB_INSC_IfEEEESG_fNS9_4plusIvEENS9_8equal_toIvEEfEE10hipError_tPvRmT2_T3_T4_T5_mT6_T7_P12ihipStream_tbENKUlT_T0_E_clISt17integral_constantIbLb1EES10_IbLb0EEEEDaSW_SX_EUlSW_E_NS1_11comp_targetILNS1_3genE4ELNS1_11target_archE910ELNS1_3gpuE8ELNS1_3repE0EEENS1_30default_config_static_selectorELNS0_4arch9wavefront6targetE0EEEvT1_.numbered_sgpr, 0
	.set _ZN7rocprim17ROCPRIM_400000_NS6detail17trampoline_kernelINS0_14default_configENS1_27scan_by_key_config_selectorIifEEZZNS1_16scan_by_key_implILNS1_25lookback_scan_determinismE0ELb0ES3_N6thrust23THRUST_200600_302600_NS6detail15normal_iteratorINS9_10device_ptrIiEEEENSB_INSC_IfEEEESG_fNS9_4plusIvEENS9_8equal_toIvEEfEE10hipError_tPvRmT2_T3_T4_T5_mT6_T7_P12ihipStream_tbENKUlT_T0_E_clISt17integral_constantIbLb1EES10_IbLb0EEEEDaSW_SX_EUlSW_E_NS1_11comp_targetILNS1_3genE4ELNS1_11target_archE910ELNS1_3gpuE8ELNS1_3repE0EEENS1_30default_config_static_selectorELNS0_4arch9wavefront6targetE0EEEvT1_.num_named_barrier, 0
	.set _ZN7rocprim17ROCPRIM_400000_NS6detail17trampoline_kernelINS0_14default_configENS1_27scan_by_key_config_selectorIifEEZZNS1_16scan_by_key_implILNS1_25lookback_scan_determinismE0ELb0ES3_N6thrust23THRUST_200600_302600_NS6detail15normal_iteratorINS9_10device_ptrIiEEEENSB_INSC_IfEEEESG_fNS9_4plusIvEENS9_8equal_toIvEEfEE10hipError_tPvRmT2_T3_T4_T5_mT6_T7_P12ihipStream_tbENKUlT_T0_E_clISt17integral_constantIbLb1EES10_IbLb0EEEEDaSW_SX_EUlSW_E_NS1_11comp_targetILNS1_3genE4ELNS1_11target_archE910ELNS1_3gpuE8ELNS1_3repE0EEENS1_30default_config_static_selectorELNS0_4arch9wavefront6targetE0EEEvT1_.private_seg_size, 0
	.set _ZN7rocprim17ROCPRIM_400000_NS6detail17trampoline_kernelINS0_14default_configENS1_27scan_by_key_config_selectorIifEEZZNS1_16scan_by_key_implILNS1_25lookback_scan_determinismE0ELb0ES3_N6thrust23THRUST_200600_302600_NS6detail15normal_iteratorINS9_10device_ptrIiEEEENSB_INSC_IfEEEESG_fNS9_4plusIvEENS9_8equal_toIvEEfEE10hipError_tPvRmT2_T3_T4_T5_mT6_T7_P12ihipStream_tbENKUlT_T0_E_clISt17integral_constantIbLb1EES10_IbLb0EEEEDaSW_SX_EUlSW_E_NS1_11comp_targetILNS1_3genE4ELNS1_11target_archE910ELNS1_3gpuE8ELNS1_3repE0EEENS1_30default_config_static_selectorELNS0_4arch9wavefront6targetE0EEEvT1_.uses_vcc, 0
	.set _ZN7rocprim17ROCPRIM_400000_NS6detail17trampoline_kernelINS0_14default_configENS1_27scan_by_key_config_selectorIifEEZZNS1_16scan_by_key_implILNS1_25lookback_scan_determinismE0ELb0ES3_N6thrust23THRUST_200600_302600_NS6detail15normal_iteratorINS9_10device_ptrIiEEEENSB_INSC_IfEEEESG_fNS9_4plusIvEENS9_8equal_toIvEEfEE10hipError_tPvRmT2_T3_T4_T5_mT6_T7_P12ihipStream_tbENKUlT_T0_E_clISt17integral_constantIbLb1EES10_IbLb0EEEEDaSW_SX_EUlSW_E_NS1_11comp_targetILNS1_3genE4ELNS1_11target_archE910ELNS1_3gpuE8ELNS1_3repE0EEENS1_30default_config_static_selectorELNS0_4arch9wavefront6targetE0EEEvT1_.uses_flat_scratch, 0
	.set _ZN7rocprim17ROCPRIM_400000_NS6detail17trampoline_kernelINS0_14default_configENS1_27scan_by_key_config_selectorIifEEZZNS1_16scan_by_key_implILNS1_25lookback_scan_determinismE0ELb0ES3_N6thrust23THRUST_200600_302600_NS6detail15normal_iteratorINS9_10device_ptrIiEEEENSB_INSC_IfEEEESG_fNS9_4plusIvEENS9_8equal_toIvEEfEE10hipError_tPvRmT2_T3_T4_T5_mT6_T7_P12ihipStream_tbENKUlT_T0_E_clISt17integral_constantIbLb1EES10_IbLb0EEEEDaSW_SX_EUlSW_E_NS1_11comp_targetILNS1_3genE4ELNS1_11target_archE910ELNS1_3gpuE8ELNS1_3repE0EEENS1_30default_config_static_selectorELNS0_4arch9wavefront6targetE0EEEvT1_.has_dyn_sized_stack, 0
	.set _ZN7rocprim17ROCPRIM_400000_NS6detail17trampoline_kernelINS0_14default_configENS1_27scan_by_key_config_selectorIifEEZZNS1_16scan_by_key_implILNS1_25lookback_scan_determinismE0ELb0ES3_N6thrust23THRUST_200600_302600_NS6detail15normal_iteratorINS9_10device_ptrIiEEEENSB_INSC_IfEEEESG_fNS9_4plusIvEENS9_8equal_toIvEEfEE10hipError_tPvRmT2_T3_T4_T5_mT6_T7_P12ihipStream_tbENKUlT_T0_E_clISt17integral_constantIbLb1EES10_IbLb0EEEEDaSW_SX_EUlSW_E_NS1_11comp_targetILNS1_3genE4ELNS1_11target_archE910ELNS1_3gpuE8ELNS1_3repE0EEENS1_30default_config_static_selectorELNS0_4arch9wavefront6targetE0EEEvT1_.has_recursion, 0
	.set _ZN7rocprim17ROCPRIM_400000_NS6detail17trampoline_kernelINS0_14default_configENS1_27scan_by_key_config_selectorIifEEZZNS1_16scan_by_key_implILNS1_25lookback_scan_determinismE0ELb0ES3_N6thrust23THRUST_200600_302600_NS6detail15normal_iteratorINS9_10device_ptrIiEEEENSB_INSC_IfEEEESG_fNS9_4plusIvEENS9_8equal_toIvEEfEE10hipError_tPvRmT2_T3_T4_T5_mT6_T7_P12ihipStream_tbENKUlT_T0_E_clISt17integral_constantIbLb1EES10_IbLb0EEEEDaSW_SX_EUlSW_E_NS1_11comp_targetILNS1_3genE4ELNS1_11target_archE910ELNS1_3gpuE8ELNS1_3repE0EEENS1_30default_config_static_selectorELNS0_4arch9wavefront6targetE0EEEvT1_.has_indirect_call, 0
	.section	.AMDGPU.csdata,"",@progbits
; Kernel info:
; codeLenInByte = 0
; TotalNumSgprs: 0
; NumVgprs: 0
; ScratchSize: 0
; MemoryBound: 0
; FloatMode: 240
; IeeeMode: 1
; LDSByteSize: 0 bytes/workgroup (compile time only)
; SGPRBlocks: 0
; VGPRBlocks: 0
; NumSGPRsForWavesPerEU: 1
; NumVGPRsForWavesPerEU: 1
; Occupancy: 16
; WaveLimiterHint : 0
; COMPUTE_PGM_RSRC2:SCRATCH_EN: 0
; COMPUTE_PGM_RSRC2:USER_SGPR: 6
; COMPUTE_PGM_RSRC2:TRAP_HANDLER: 0
; COMPUTE_PGM_RSRC2:TGID_X_EN: 1
; COMPUTE_PGM_RSRC2:TGID_Y_EN: 0
; COMPUTE_PGM_RSRC2:TGID_Z_EN: 0
; COMPUTE_PGM_RSRC2:TIDIG_COMP_CNT: 0
	.section	.text._ZN7rocprim17ROCPRIM_400000_NS6detail17trampoline_kernelINS0_14default_configENS1_27scan_by_key_config_selectorIifEEZZNS1_16scan_by_key_implILNS1_25lookback_scan_determinismE0ELb0ES3_N6thrust23THRUST_200600_302600_NS6detail15normal_iteratorINS9_10device_ptrIiEEEENSB_INSC_IfEEEESG_fNS9_4plusIvEENS9_8equal_toIvEEfEE10hipError_tPvRmT2_T3_T4_T5_mT6_T7_P12ihipStream_tbENKUlT_T0_E_clISt17integral_constantIbLb1EES10_IbLb0EEEEDaSW_SX_EUlSW_E_NS1_11comp_targetILNS1_3genE3ELNS1_11target_archE908ELNS1_3gpuE7ELNS1_3repE0EEENS1_30default_config_static_selectorELNS0_4arch9wavefront6targetE0EEEvT1_,"axG",@progbits,_ZN7rocprim17ROCPRIM_400000_NS6detail17trampoline_kernelINS0_14default_configENS1_27scan_by_key_config_selectorIifEEZZNS1_16scan_by_key_implILNS1_25lookback_scan_determinismE0ELb0ES3_N6thrust23THRUST_200600_302600_NS6detail15normal_iteratorINS9_10device_ptrIiEEEENSB_INSC_IfEEEESG_fNS9_4plusIvEENS9_8equal_toIvEEfEE10hipError_tPvRmT2_T3_T4_T5_mT6_T7_P12ihipStream_tbENKUlT_T0_E_clISt17integral_constantIbLb1EES10_IbLb0EEEEDaSW_SX_EUlSW_E_NS1_11comp_targetILNS1_3genE3ELNS1_11target_archE908ELNS1_3gpuE7ELNS1_3repE0EEENS1_30default_config_static_selectorELNS0_4arch9wavefront6targetE0EEEvT1_,comdat
	.protected	_ZN7rocprim17ROCPRIM_400000_NS6detail17trampoline_kernelINS0_14default_configENS1_27scan_by_key_config_selectorIifEEZZNS1_16scan_by_key_implILNS1_25lookback_scan_determinismE0ELb0ES3_N6thrust23THRUST_200600_302600_NS6detail15normal_iteratorINS9_10device_ptrIiEEEENSB_INSC_IfEEEESG_fNS9_4plusIvEENS9_8equal_toIvEEfEE10hipError_tPvRmT2_T3_T4_T5_mT6_T7_P12ihipStream_tbENKUlT_T0_E_clISt17integral_constantIbLb1EES10_IbLb0EEEEDaSW_SX_EUlSW_E_NS1_11comp_targetILNS1_3genE3ELNS1_11target_archE908ELNS1_3gpuE7ELNS1_3repE0EEENS1_30default_config_static_selectorELNS0_4arch9wavefront6targetE0EEEvT1_ ; -- Begin function _ZN7rocprim17ROCPRIM_400000_NS6detail17trampoline_kernelINS0_14default_configENS1_27scan_by_key_config_selectorIifEEZZNS1_16scan_by_key_implILNS1_25lookback_scan_determinismE0ELb0ES3_N6thrust23THRUST_200600_302600_NS6detail15normal_iteratorINS9_10device_ptrIiEEEENSB_INSC_IfEEEESG_fNS9_4plusIvEENS9_8equal_toIvEEfEE10hipError_tPvRmT2_T3_T4_T5_mT6_T7_P12ihipStream_tbENKUlT_T0_E_clISt17integral_constantIbLb1EES10_IbLb0EEEEDaSW_SX_EUlSW_E_NS1_11comp_targetILNS1_3genE3ELNS1_11target_archE908ELNS1_3gpuE7ELNS1_3repE0EEENS1_30default_config_static_selectorELNS0_4arch9wavefront6targetE0EEEvT1_
	.globl	_ZN7rocprim17ROCPRIM_400000_NS6detail17trampoline_kernelINS0_14default_configENS1_27scan_by_key_config_selectorIifEEZZNS1_16scan_by_key_implILNS1_25lookback_scan_determinismE0ELb0ES3_N6thrust23THRUST_200600_302600_NS6detail15normal_iteratorINS9_10device_ptrIiEEEENSB_INSC_IfEEEESG_fNS9_4plusIvEENS9_8equal_toIvEEfEE10hipError_tPvRmT2_T3_T4_T5_mT6_T7_P12ihipStream_tbENKUlT_T0_E_clISt17integral_constantIbLb1EES10_IbLb0EEEEDaSW_SX_EUlSW_E_NS1_11comp_targetILNS1_3genE3ELNS1_11target_archE908ELNS1_3gpuE7ELNS1_3repE0EEENS1_30default_config_static_selectorELNS0_4arch9wavefront6targetE0EEEvT1_
	.p2align	8
	.type	_ZN7rocprim17ROCPRIM_400000_NS6detail17trampoline_kernelINS0_14default_configENS1_27scan_by_key_config_selectorIifEEZZNS1_16scan_by_key_implILNS1_25lookback_scan_determinismE0ELb0ES3_N6thrust23THRUST_200600_302600_NS6detail15normal_iteratorINS9_10device_ptrIiEEEENSB_INSC_IfEEEESG_fNS9_4plusIvEENS9_8equal_toIvEEfEE10hipError_tPvRmT2_T3_T4_T5_mT6_T7_P12ihipStream_tbENKUlT_T0_E_clISt17integral_constantIbLb1EES10_IbLb0EEEEDaSW_SX_EUlSW_E_NS1_11comp_targetILNS1_3genE3ELNS1_11target_archE908ELNS1_3gpuE7ELNS1_3repE0EEENS1_30default_config_static_selectorELNS0_4arch9wavefront6targetE0EEEvT1_,@function
_ZN7rocprim17ROCPRIM_400000_NS6detail17trampoline_kernelINS0_14default_configENS1_27scan_by_key_config_selectorIifEEZZNS1_16scan_by_key_implILNS1_25lookback_scan_determinismE0ELb0ES3_N6thrust23THRUST_200600_302600_NS6detail15normal_iteratorINS9_10device_ptrIiEEEENSB_INSC_IfEEEESG_fNS9_4plusIvEENS9_8equal_toIvEEfEE10hipError_tPvRmT2_T3_T4_T5_mT6_T7_P12ihipStream_tbENKUlT_T0_E_clISt17integral_constantIbLb1EES10_IbLb0EEEEDaSW_SX_EUlSW_E_NS1_11comp_targetILNS1_3genE3ELNS1_11target_archE908ELNS1_3gpuE7ELNS1_3repE0EEENS1_30default_config_static_selectorELNS0_4arch9wavefront6targetE0EEEvT1_: ; @_ZN7rocprim17ROCPRIM_400000_NS6detail17trampoline_kernelINS0_14default_configENS1_27scan_by_key_config_selectorIifEEZZNS1_16scan_by_key_implILNS1_25lookback_scan_determinismE0ELb0ES3_N6thrust23THRUST_200600_302600_NS6detail15normal_iteratorINS9_10device_ptrIiEEEENSB_INSC_IfEEEESG_fNS9_4plusIvEENS9_8equal_toIvEEfEE10hipError_tPvRmT2_T3_T4_T5_mT6_T7_P12ihipStream_tbENKUlT_T0_E_clISt17integral_constantIbLb1EES10_IbLb0EEEEDaSW_SX_EUlSW_E_NS1_11comp_targetILNS1_3genE3ELNS1_11target_archE908ELNS1_3gpuE7ELNS1_3repE0EEENS1_30default_config_static_selectorELNS0_4arch9wavefront6targetE0EEEvT1_
; %bb.0:
	.section	.rodata,"a",@progbits
	.p2align	6, 0x0
	.amdhsa_kernel _ZN7rocprim17ROCPRIM_400000_NS6detail17trampoline_kernelINS0_14default_configENS1_27scan_by_key_config_selectorIifEEZZNS1_16scan_by_key_implILNS1_25lookback_scan_determinismE0ELb0ES3_N6thrust23THRUST_200600_302600_NS6detail15normal_iteratorINS9_10device_ptrIiEEEENSB_INSC_IfEEEESG_fNS9_4plusIvEENS9_8equal_toIvEEfEE10hipError_tPvRmT2_T3_T4_T5_mT6_T7_P12ihipStream_tbENKUlT_T0_E_clISt17integral_constantIbLb1EES10_IbLb0EEEEDaSW_SX_EUlSW_E_NS1_11comp_targetILNS1_3genE3ELNS1_11target_archE908ELNS1_3gpuE7ELNS1_3repE0EEENS1_30default_config_static_selectorELNS0_4arch9wavefront6targetE0EEEvT1_
		.amdhsa_group_segment_fixed_size 0
		.amdhsa_private_segment_fixed_size 0
		.amdhsa_kernarg_size 112
		.amdhsa_user_sgpr_count 6
		.amdhsa_user_sgpr_private_segment_buffer 1
		.amdhsa_user_sgpr_dispatch_ptr 0
		.amdhsa_user_sgpr_queue_ptr 0
		.amdhsa_user_sgpr_kernarg_segment_ptr 1
		.amdhsa_user_sgpr_dispatch_id 0
		.amdhsa_user_sgpr_flat_scratch_init 0
		.amdhsa_user_sgpr_private_segment_size 0
		.amdhsa_wavefront_size32 1
		.amdhsa_uses_dynamic_stack 0
		.amdhsa_system_sgpr_private_segment_wavefront_offset 0
		.amdhsa_system_sgpr_workgroup_id_x 1
		.amdhsa_system_sgpr_workgroup_id_y 0
		.amdhsa_system_sgpr_workgroup_id_z 0
		.amdhsa_system_sgpr_workgroup_info 0
		.amdhsa_system_vgpr_workitem_id 0
		.amdhsa_next_free_vgpr 1
		.amdhsa_next_free_sgpr 1
		.amdhsa_reserve_vcc 0
		.amdhsa_reserve_flat_scratch 0
		.amdhsa_float_round_mode_32 0
		.amdhsa_float_round_mode_16_64 0
		.amdhsa_float_denorm_mode_32 3
		.amdhsa_float_denorm_mode_16_64 3
		.amdhsa_dx10_clamp 1
		.amdhsa_ieee_mode 1
		.amdhsa_fp16_overflow 0
		.amdhsa_workgroup_processor_mode 1
		.amdhsa_memory_ordered 1
		.amdhsa_forward_progress 1
		.amdhsa_shared_vgpr_count 0
		.amdhsa_exception_fp_ieee_invalid_op 0
		.amdhsa_exception_fp_denorm_src 0
		.amdhsa_exception_fp_ieee_div_zero 0
		.amdhsa_exception_fp_ieee_overflow 0
		.amdhsa_exception_fp_ieee_underflow 0
		.amdhsa_exception_fp_ieee_inexact 0
		.amdhsa_exception_int_div_zero 0
	.end_amdhsa_kernel
	.section	.text._ZN7rocprim17ROCPRIM_400000_NS6detail17trampoline_kernelINS0_14default_configENS1_27scan_by_key_config_selectorIifEEZZNS1_16scan_by_key_implILNS1_25lookback_scan_determinismE0ELb0ES3_N6thrust23THRUST_200600_302600_NS6detail15normal_iteratorINS9_10device_ptrIiEEEENSB_INSC_IfEEEESG_fNS9_4plusIvEENS9_8equal_toIvEEfEE10hipError_tPvRmT2_T3_T4_T5_mT6_T7_P12ihipStream_tbENKUlT_T0_E_clISt17integral_constantIbLb1EES10_IbLb0EEEEDaSW_SX_EUlSW_E_NS1_11comp_targetILNS1_3genE3ELNS1_11target_archE908ELNS1_3gpuE7ELNS1_3repE0EEENS1_30default_config_static_selectorELNS0_4arch9wavefront6targetE0EEEvT1_,"axG",@progbits,_ZN7rocprim17ROCPRIM_400000_NS6detail17trampoline_kernelINS0_14default_configENS1_27scan_by_key_config_selectorIifEEZZNS1_16scan_by_key_implILNS1_25lookback_scan_determinismE0ELb0ES3_N6thrust23THRUST_200600_302600_NS6detail15normal_iteratorINS9_10device_ptrIiEEEENSB_INSC_IfEEEESG_fNS9_4plusIvEENS9_8equal_toIvEEfEE10hipError_tPvRmT2_T3_T4_T5_mT6_T7_P12ihipStream_tbENKUlT_T0_E_clISt17integral_constantIbLb1EES10_IbLb0EEEEDaSW_SX_EUlSW_E_NS1_11comp_targetILNS1_3genE3ELNS1_11target_archE908ELNS1_3gpuE7ELNS1_3repE0EEENS1_30default_config_static_selectorELNS0_4arch9wavefront6targetE0EEEvT1_,comdat
.Lfunc_end1156:
	.size	_ZN7rocprim17ROCPRIM_400000_NS6detail17trampoline_kernelINS0_14default_configENS1_27scan_by_key_config_selectorIifEEZZNS1_16scan_by_key_implILNS1_25lookback_scan_determinismE0ELb0ES3_N6thrust23THRUST_200600_302600_NS6detail15normal_iteratorINS9_10device_ptrIiEEEENSB_INSC_IfEEEESG_fNS9_4plusIvEENS9_8equal_toIvEEfEE10hipError_tPvRmT2_T3_T4_T5_mT6_T7_P12ihipStream_tbENKUlT_T0_E_clISt17integral_constantIbLb1EES10_IbLb0EEEEDaSW_SX_EUlSW_E_NS1_11comp_targetILNS1_3genE3ELNS1_11target_archE908ELNS1_3gpuE7ELNS1_3repE0EEENS1_30default_config_static_selectorELNS0_4arch9wavefront6targetE0EEEvT1_, .Lfunc_end1156-_ZN7rocprim17ROCPRIM_400000_NS6detail17trampoline_kernelINS0_14default_configENS1_27scan_by_key_config_selectorIifEEZZNS1_16scan_by_key_implILNS1_25lookback_scan_determinismE0ELb0ES3_N6thrust23THRUST_200600_302600_NS6detail15normal_iteratorINS9_10device_ptrIiEEEENSB_INSC_IfEEEESG_fNS9_4plusIvEENS9_8equal_toIvEEfEE10hipError_tPvRmT2_T3_T4_T5_mT6_T7_P12ihipStream_tbENKUlT_T0_E_clISt17integral_constantIbLb1EES10_IbLb0EEEEDaSW_SX_EUlSW_E_NS1_11comp_targetILNS1_3genE3ELNS1_11target_archE908ELNS1_3gpuE7ELNS1_3repE0EEENS1_30default_config_static_selectorELNS0_4arch9wavefront6targetE0EEEvT1_
                                        ; -- End function
	.set _ZN7rocprim17ROCPRIM_400000_NS6detail17trampoline_kernelINS0_14default_configENS1_27scan_by_key_config_selectorIifEEZZNS1_16scan_by_key_implILNS1_25lookback_scan_determinismE0ELb0ES3_N6thrust23THRUST_200600_302600_NS6detail15normal_iteratorINS9_10device_ptrIiEEEENSB_INSC_IfEEEESG_fNS9_4plusIvEENS9_8equal_toIvEEfEE10hipError_tPvRmT2_T3_T4_T5_mT6_T7_P12ihipStream_tbENKUlT_T0_E_clISt17integral_constantIbLb1EES10_IbLb0EEEEDaSW_SX_EUlSW_E_NS1_11comp_targetILNS1_3genE3ELNS1_11target_archE908ELNS1_3gpuE7ELNS1_3repE0EEENS1_30default_config_static_selectorELNS0_4arch9wavefront6targetE0EEEvT1_.num_vgpr, 0
	.set _ZN7rocprim17ROCPRIM_400000_NS6detail17trampoline_kernelINS0_14default_configENS1_27scan_by_key_config_selectorIifEEZZNS1_16scan_by_key_implILNS1_25lookback_scan_determinismE0ELb0ES3_N6thrust23THRUST_200600_302600_NS6detail15normal_iteratorINS9_10device_ptrIiEEEENSB_INSC_IfEEEESG_fNS9_4plusIvEENS9_8equal_toIvEEfEE10hipError_tPvRmT2_T3_T4_T5_mT6_T7_P12ihipStream_tbENKUlT_T0_E_clISt17integral_constantIbLb1EES10_IbLb0EEEEDaSW_SX_EUlSW_E_NS1_11comp_targetILNS1_3genE3ELNS1_11target_archE908ELNS1_3gpuE7ELNS1_3repE0EEENS1_30default_config_static_selectorELNS0_4arch9wavefront6targetE0EEEvT1_.num_agpr, 0
	.set _ZN7rocprim17ROCPRIM_400000_NS6detail17trampoline_kernelINS0_14default_configENS1_27scan_by_key_config_selectorIifEEZZNS1_16scan_by_key_implILNS1_25lookback_scan_determinismE0ELb0ES3_N6thrust23THRUST_200600_302600_NS6detail15normal_iteratorINS9_10device_ptrIiEEEENSB_INSC_IfEEEESG_fNS9_4plusIvEENS9_8equal_toIvEEfEE10hipError_tPvRmT2_T3_T4_T5_mT6_T7_P12ihipStream_tbENKUlT_T0_E_clISt17integral_constantIbLb1EES10_IbLb0EEEEDaSW_SX_EUlSW_E_NS1_11comp_targetILNS1_3genE3ELNS1_11target_archE908ELNS1_3gpuE7ELNS1_3repE0EEENS1_30default_config_static_selectorELNS0_4arch9wavefront6targetE0EEEvT1_.numbered_sgpr, 0
	.set _ZN7rocprim17ROCPRIM_400000_NS6detail17trampoline_kernelINS0_14default_configENS1_27scan_by_key_config_selectorIifEEZZNS1_16scan_by_key_implILNS1_25lookback_scan_determinismE0ELb0ES3_N6thrust23THRUST_200600_302600_NS6detail15normal_iteratorINS9_10device_ptrIiEEEENSB_INSC_IfEEEESG_fNS9_4plusIvEENS9_8equal_toIvEEfEE10hipError_tPvRmT2_T3_T4_T5_mT6_T7_P12ihipStream_tbENKUlT_T0_E_clISt17integral_constantIbLb1EES10_IbLb0EEEEDaSW_SX_EUlSW_E_NS1_11comp_targetILNS1_3genE3ELNS1_11target_archE908ELNS1_3gpuE7ELNS1_3repE0EEENS1_30default_config_static_selectorELNS0_4arch9wavefront6targetE0EEEvT1_.num_named_barrier, 0
	.set _ZN7rocprim17ROCPRIM_400000_NS6detail17trampoline_kernelINS0_14default_configENS1_27scan_by_key_config_selectorIifEEZZNS1_16scan_by_key_implILNS1_25lookback_scan_determinismE0ELb0ES3_N6thrust23THRUST_200600_302600_NS6detail15normal_iteratorINS9_10device_ptrIiEEEENSB_INSC_IfEEEESG_fNS9_4plusIvEENS9_8equal_toIvEEfEE10hipError_tPvRmT2_T3_T4_T5_mT6_T7_P12ihipStream_tbENKUlT_T0_E_clISt17integral_constantIbLb1EES10_IbLb0EEEEDaSW_SX_EUlSW_E_NS1_11comp_targetILNS1_3genE3ELNS1_11target_archE908ELNS1_3gpuE7ELNS1_3repE0EEENS1_30default_config_static_selectorELNS0_4arch9wavefront6targetE0EEEvT1_.private_seg_size, 0
	.set _ZN7rocprim17ROCPRIM_400000_NS6detail17trampoline_kernelINS0_14default_configENS1_27scan_by_key_config_selectorIifEEZZNS1_16scan_by_key_implILNS1_25lookback_scan_determinismE0ELb0ES3_N6thrust23THRUST_200600_302600_NS6detail15normal_iteratorINS9_10device_ptrIiEEEENSB_INSC_IfEEEESG_fNS9_4plusIvEENS9_8equal_toIvEEfEE10hipError_tPvRmT2_T3_T4_T5_mT6_T7_P12ihipStream_tbENKUlT_T0_E_clISt17integral_constantIbLb1EES10_IbLb0EEEEDaSW_SX_EUlSW_E_NS1_11comp_targetILNS1_3genE3ELNS1_11target_archE908ELNS1_3gpuE7ELNS1_3repE0EEENS1_30default_config_static_selectorELNS0_4arch9wavefront6targetE0EEEvT1_.uses_vcc, 0
	.set _ZN7rocprim17ROCPRIM_400000_NS6detail17trampoline_kernelINS0_14default_configENS1_27scan_by_key_config_selectorIifEEZZNS1_16scan_by_key_implILNS1_25lookback_scan_determinismE0ELb0ES3_N6thrust23THRUST_200600_302600_NS6detail15normal_iteratorINS9_10device_ptrIiEEEENSB_INSC_IfEEEESG_fNS9_4plusIvEENS9_8equal_toIvEEfEE10hipError_tPvRmT2_T3_T4_T5_mT6_T7_P12ihipStream_tbENKUlT_T0_E_clISt17integral_constantIbLb1EES10_IbLb0EEEEDaSW_SX_EUlSW_E_NS1_11comp_targetILNS1_3genE3ELNS1_11target_archE908ELNS1_3gpuE7ELNS1_3repE0EEENS1_30default_config_static_selectorELNS0_4arch9wavefront6targetE0EEEvT1_.uses_flat_scratch, 0
	.set _ZN7rocprim17ROCPRIM_400000_NS6detail17trampoline_kernelINS0_14default_configENS1_27scan_by_key_config_selectorIifEEZZNS1_16scan_by_key_implILNS1_25lookback_scan_determinismE0ELb0ES3_N6thrust23THRUST_200600_302600_NS6detail15normal_iteratorINS9_10device_ptrIiEEEENSB_INSC_IfEEEESG_fNS9_4plusIvEENS9_8equal_toIvEEfEE10hipError_tPvRmT2_T3_T4_T5_mT6_T7_P12ihipStream_tbENKUlT_T0_E_clISt17integral_constantIbLb1EES10_IbLb0EEEEDaSW_SX_EUlSW_E_NS1_11comp_targetILNS1_3genE3ELNS1_11target_archE908ELNS1_3gpuE7ELNS1_3repE0EEENS1_30default_config_static_selectorELNS0_4arch9wavefront6targetE0EEEvT1_.has_dyn_sized_stack, 0
	.set _ZN7rocprim17ROCPRIM_400000_NS6detail17trampoline_kernelINS0_14default_configENS1_27scan_by_key_config_selectorIifEEZZNS1_16scan_by_key_implILNS1_25lookback_scan_determinismE0ELb0ES3_N6thrust23THRUST_200600_302600_NS6detail15normal_iteratorINS9_10device_ptrIiEEEENSB_INSC_IfEEEESG_fNS9_4plusIvEENS9_8equal_toIvEEfEE10hipError_tPvRmT2_T3_T4_T5_mT6_T7_P12ihipStream_tbENKUlT_T0_E_clISt17integral_constantIbLb1EES10_IbLb0EEEEDaSW_SX_EUlSW_E_NS1_11comp_targetILNS1_3genE3ELNS1_11target_archE908ELNS1_3gpuE7ELNS1_3repE0EEENS1_30default_config_static_selectorELNS0_4arch9wavefront6targetE0EEEvT1_.has_recursion, 0
	.set _ZN7rocprim17ROCPRIM_400000_NS6detail17trampoline_kernelINS0_14default_configENS1_27scan_by_key_config_selectorIifEEZZNS1_16scan_by_key_implILNS1_25lookback_scan_determinismE0ELb0ES3_N6thrust23THRUST_200600_302600_NS6detail15normal_iteratorINS9_10device_ptrIiEEEENSB_INSC_IfEEEESG_fNS9_4plusIvEENS9_8equal_toIvEEfEE10hipError_tPvRmT2_T3_T4_T5_mT6_T7_P12ihipStream_tbENKUlT_T0_E_clISt17integral_constantIbLb1EES10_IbLb0EEEEDaSW_SX_EUlSW_E_NS1_11comp_targetILNS1_3genE3ELNS1_11target_archE908ELNS1_3gpuE7ELNS1_3repE0EEENS1_30default_config_static_selectorELNS0_4arch9wavefront6targetE0EEEvT1_.has_indirect_call, 0
	.section	.AMDGPU.csdata,"",@progbits
; Kernel info:
; codeLenInByte = 0
; TotalNumSgprs: 0
; NumVgprs: 0
; ScratchSize: 0
; MemoryBound: 0
; FloatMode: 240
; IeeeMode: 1
; LDSByteSize: 0 bytes/workgroup (compile time only)
; SGPRBlocks: 0
; VGPRBlocks: 0
; NumSGPRsForWavesPerEU: 1
; NumVGPRsForWavesPerEU: 1
; Occupancy: 16
; WaveLimiterHint : 0
; COMPUTE_PGM_RSRC2:SCRATCH_EN: 0
; COMPUTE_PGM_RSRC2:USER_SGPR: 6
; COMPUTE_PGM_RSRC2:TRAP_HANDLER: 0
; COMPUTE_PGM_RSRC2:TGID_X_EN: 1
; COMPUTE_PGM_RSRC2:TGID_Y_EN: 0
; COMPUTE_PGM_RSRC2:TGID_Z_EN: 0
; COMPUTE_PGM_RSRC2:TIDIG_COMP_CNT: 0
	.section	.text._ZN7rocprim17ROCPRIM_400000_NS6detail17trampoline_kernelINS0_14default_configENS1_27scan_by_key_config_selectorIifEEZZNS1_16scan_by_key_implILNS1_25lookback_scan_determinismE0ELb0ES3_N6thrust23THRUST_200600_302600_NS6detail15normal_iteratorINS9_10device_ptrIiEEEENSB_INSC_IfEEEESG_fNS9_4plusIvEENS9_8equal_toIvEEfEE10hipError_tPvRmT2_T3_T4_T5_mT6_T7_P12ihipStream_tbENKUlT_T0_E_clISt17integral_constantIbLb1EES10_IbLb0EEEEDaSW_SX_EUlSW_E_NS1_11comp_targetILNS1_3genE2ELNS1_11target_archE906ELNS1_3gpuE6ELNS1_3repE0EEENS1_30default_config_static_selectorELNS0_4arch9wavefront6targetE0EEEvT1_,"axG",@progbits,_ZN7rocprim17ROCPRIM_400000_NS6detail17trampoline_kernelINS0_14default_configENS1_27scan_by_key_config_selectorIifEEZZNS1_16scan_by_key_implILNS1_25lookback_scan_determinismE0ELb0ES3_N6thrust23THRUST_200600_302600_NS6detail15normal_iteratorINS9_10device_ptrIiEEEENSB_INSC_IfEEEESG_fNS9_4plusIvEENS9_8equal_toIvEEfEE10hipError_tPvRmT2_T3_T4_T5_mT6_T7_P12ihipStream_tbENKUlT_T0_E_clISt17integral_constantIbLb1EES10_IbLb0EEEEDaSW_SX_EUlSW_E_NS1_11comp_targetILNS1_3genE2ELNS1_11target_archE906ELNS1_3gpuE6ELNS1_3repE0EEENS1_30default_config_static_selectorELNS0_4arch9wavefront6targetE0EEEvT1_,comdat
	.protected	_ZN7rocprim17ROCPRIM_400000_NS6detail17trampoline_kernelINS0_14default_configENS1_27scan_by_key_config_selectorIifEEZZNS1_16scan_by_key_implILNS1_25lookback_scan_determinismE0ELb0ES3_N6thrust23THRUST_200600_302600_NS6detail15normal_iteratorINS9_10device_ptrIiEEEENSB_INSC_IfEEEESG_fNS9_4plusIvEENS9_8equal_toIvEEfEE10hipError_tPvRmT2_T3_T4_T5_mT6_T7_P12ihipStream_tbENKUlT_T0_E_clISt17integral_constantIbLb1EES10_IbLb0EEEEDaSW_SX_EUlSW_E_NS1_11comp_targetILNS1_3genE2ELNS1_11target_archE906ELNS1_3gpuE6ELNS1_3repE0EEENS1_30default_config_static_selectorELNS0_4arch9wavefront6targetE0EEEvT1_ ; -- Begin function _ZN7rocprim17ROCPRIM_400000_NS6detail17trampoline_kernelINS0_14default_configENS1_27scan_by_key_config_selectorIifEEZZNS1_16scan_by_key_implILNS1_25lookback_scan_determinismE0ELb0ES3_N6thrust23THRUST_200600_302600_NS6detail15normal_iteratorINS9_10device_ptrIiEEEENSB_INSC_IfEEEESG_fNS9_4plusIvEENS9_8equal_toIvEEfEE10hipError_tPvRmT2_T3_T4_T5_mT6_T7_P12ihipStream_tbENKUlT_T0_E_clISt17integral_constantIbLb1EES10_IbLb0EEEEDaSW_SX_EUlSW_E_NS1_11comp_targetILNS1_3genE2ELNS1_11target_archE906ELNS1_3gpuE6ELNS1_3repE0EEENS1_30default_config_static_selectorELNS0_4arch9wavefront6targetE0EEEvT1_
	.globl	_ZN7rocprim17ROCPRIM_400000_NS6detail17trampoline_kernelINS0_14default_configENS1_27scan_by_key_config_selectorIifEEZZNS1_16scan_by_key_implILNS1_25lookback_scan_determinismE0ELb0ES3_N6thrust23THRUST_200600_302600_NS6detail15normal_iteratorINS9_10device_ptrIiEEEENSB_INSC_IfEEEESG_fNS9_4plusIvEENS9_8equal_toIvEEfEE10hipError_tPvRmT2_T3_T4_T5_mT6_T7_P12ihipStream_tbENKUlT_T0_E_clISt17integral_constantIbLb1EES10_IbLb0EEEEDaSW_SX_EUlSW_E_NS1_11comp_targetILNS1_3genE2ELNS1_11target_archE906ELNS1_3gpuE6ELNS1_3repE0EEENS1_30default_config_static_selectorELNS0_4arch9wavefront6targetE0EEEvT1_
	.p2align	8
	.type	_ZN7rocprim17ROCPRIM_400000_NS6detail17trampoline_kernelINS0_14default_configENS1_27scan_by_key_config_selectorIifEEZZNS1_16scan_by_key_implILNS1_25lookback_scan_determinismE0ELb0ES3_N6thrust23THRUST_200600_302600_NS6detail15normal_iteratorINS9_10device_ptrIiEEEENSB_INSC_IfEEEESG_fNS9_4plusIvEENS9_8equal_toIvEEfEE10hipError_tPvRmT2_T3_T4_T5_mT6_T7_P12ihipStream_tbENKUlT_T0_E_clISt17integral_constantIbLb1EES10_IbLb0EEEEDaSW_SX_EUlSW_E_NS1_11comp_targetILNS1_3genE2ELNS1_11target_archE906ELNS1_3gpuE6ELNS1_3repE0EEENS1_30default_config_static_selectorELNS0_4arch9wavefront6targetE0EEEvT1_,@function
_ZN7rocprim17ROCPRIM_400000_NS6detail17trampoline_kernelINS0_14default_configENS1_27scan_by_key_config_selectorIifEEZZNS1_16scan_by_key_implILNS1_25lookback_scan_determinismE0ELb0ES3_N6thrust23THRUST_200600_302600_NS6detail15normal_iteratorINS9_10device_ptrIiEEEENSB_INSC_IfEEEESG_fNS9_4plusIvEENS9_8equal_toIvEEfEE10hipError_tPvRmT2_T3_T4_T5_mT6_T7_P12ihipStream_tbENKUlT_T0_E_clISt17integral_constantIbLb1EES10_IbLb0EEEEDaSW_SX_EUlSW_E_NS1_11comp_targetILNS1_3genE2ELNS1_11target_archE906ELNS1_3gpuE6ELNS1_3repE0EEENS1_30default_config_static_selectorELNS0_4arch9wavefront6targetE0EEEvT1_: ; @_ZN7rocprim17ROCPRIM_400000_NS6detail17trampoline_kernelINS0_14default_configENS1_27scan_by_key_config_selectorIifEEZZNS1_16scan_by_key_implILNS1_25lookback_scan_determinismE0ELb0ES3_N6thrust23THRUST_200600_302600_NS6detail15normal_iteratorINS9_10device_ptrIiEEEENSB_INSC_IfEEEESG_fNS9_4plusIvEENS9_8equal_toIvEEfEE10hipError_tPvRmT2_T3_T4_T5_mT6_T7_P12ihipStream_tbENKUlT_T0_E_clISt17integral_constantIbLb1EES10_IbLb0EEEEDaSW_SX_EUlSW_E_NS1_11comp_targetILNS1_3genE2ELNS1_11target_archE906ELNS1_3gpuE6ELNS1_3repE0EEENS1_30default_config_static_selectorELNS0_4arch9wavefront6targetE0EEEvT1_
; %bb.0:
	.section	.rodata,"a",@progbits
	.p2align	6, 0x0
	.amdhsa_kernel _ZN7rocprim17ROCPRIM_400000_NS6detail17trampoline_kernelINS0_14default_configENS1_27scan_by_key_config_selectorIifEEZZNS1_16scan_by_key_implILNS1_25lookback_scan_determinismE0ELb0ES3_N6thrust23THRUST_200600_302600_NS6detail15normal_iteratorINS9_10device_ptrIiEEEENSB_INSC_IfEEEESG_fNS9_4plusIvEENS9_8equal_toIvEEfEE10hipError_tPvRmT2_T3_T4_T5_mT6_T7_P12ihipStream_tbENKUlT_T0_E_clISt17integral_constantIbLb1EES10_IbLb0EEEEDaSW_SX_EUlSW_E_NS1_11comp_targetILNS1_3genE2ELNS1_11target_archE906ELNS1_3gpuE6ELNS1_3repE0EEENS1_30default_config_static_selectorELNS0_4arch9wavefront6targetE0EEEvT1_
		.amdhsa_group_segment_fixed_size 0
		.amdhsa_private_segment_fixed_size 0
		.amdhsa_kernarg_size 112
		.amdhsa_user_sgpr_count 6
		.amdhsa_user_sgpr_private_segment_buffer 1
		.amdhsa_user_sgpr_dispatch_ptr 0
		.amdhsa_user_sgpr_queue_ptr 0
		.amdhsa_user_sgpr_kernarg_segment_ptr 1
		.amdhsa_user_sgpr_dispatch_id 0
		.amdhsa_user_sgpr_flat_scratch_init 0
		.amdhsa_user_sgpr_private_segment_size 0
		.amdhsa_wavefront_size32 1
		.amdhsa_uses_dynamic_stack 0
		.amdhsa_system_sgpr_private_segment_wavefront_offset 0
		.amdhsa_system_sgpr_workgroup_id_x 1
		.amdhsa_system_sgpr_workgroup_id_y 0
		.amdhsa_system_sgpr_workgroup_id_z 0
		.amdhsa_system_sgpr_workgroup_info 0
		.amdhsa_system_vgpr_workitem_id 0
		.amdhsa_next_free_vgpr 1
		.amdhsa_next_free_sgpr 1
		.amdhsa_reserve_vcc 0
		.amdhsa_reserve_flat_scratch 0
		.amdhsa_float_round_mode_32 0
		.amdhsa_float_round_mode_16_64 0
		.amdhsa_float_denorm_mode_32 3
		.amdhsa_float_denorm_mode_16_64 3
		.amdhsa_dx10_clamp 1
		.amdhsa_ieee_mode 1
		.amdhsa_fp16_overflow 0
		.amdhsa_workgroup_processor_mode 1
		.amdhsa_memory_ordered 1
		.amdhsa_forward_progress 1
		.amdhsa_shared_vgpr_count 0
		.amdhsa_exception_fp_ieee_invalid_op 0
		.amdhsa_exception_fp_denorm_src 0
		.amdhsa_exception_fp_ieee_div_zero 0
		.amdhsa_exception_fp_ieee_overflow 0
		.amdhsa_exception_fp_ieee_underflow 0
		.amdhsa_exception_fp_ieee_inexact 0
		.amdhsa_exception_int_div_zero 0
	.end_amdhsa_kernel
	.section	.text._ZN7rocprim17ROCPRIM_400000_NS6detail17trampoline_kernelINS0_14default_configENS1_27scan_by_key_config_selectorIifEEZZNS1_16scan_by_key_implILNS1_25lookback_scan_determinismE0ELb0ES3_N6thrust23THRUST_200600_302600_NS6detail15normal_iteratorINS9_10device_ptrIiEEEENSB_INSC_IfEEEESG_fNS9_4plusIvEENS9_8equal_toIvEEfEE10hipError_tPvRmT2_T3_T4_T5_mT6_T7_P12ihipStream_tbENKUlT_T0_E_clISt17integral_constantIbLb1EES10_IbLb0EEEEDaSW_SX_EUlSW_E_NS1_11comp_targetILNS1_3genE2ELNS1_11target_archE906ELNS1_3gpuE6ELNS1_3repE0EEENS1_30default_config_static_selectorELNS0_4arch9wavefront6targetE0EEEvT1_,"axG",@progbits,_ZN7rocprim17ROCPRIM_400000_NS6detail17trampoline_kernelINS0_14default_configENS1_27scan_by_key_config_selectorIifEEZZNS1_16scan_by_key_implILNS1_25lookback_scan_determinismE0ELb0ES3_N6thrust23THRUST_200600_302600_NS6detail15normal_iteratorINS9_10device_ptrIiEEEENSB_INSC_IfEEEESG_fNS9_4plusIvEENS9_8equal_toIvEEfEE10hipError_tPvRmT2_T3_T4_T5_mT6_T7_P12ihipStream_tbENKUlT_T0_E_clISt17integral_constantIbLb1EES10_IbLb0EEEEDaSW_SX_EUlSW_E_NS1_11comp_targetILNS1_3genE2ELNS1_11target_archE906ELNS1_3gpuE6ELNS1_3repE0EEENS1_30default_config_static_selectorELNS0_4arch9wavefront6targetE0EEEvT1_,comdat
.Lfunc_end1157:
	.size	_ZN7rocprim17ROCPRIM_400000_NS6detail17trampoline_kernelINS0_14default_configENS1_27scan_by_key_config_selectorIifEEZZNS1_16scan_by_key_implILNS1_25lookback_scan_determinismE0ELb0ES3_N6thrust23THRUST_200600_302600_NS6detail15normal_iteratorINS9_10device_ptrIiEEEENSB_INSC_IfEEEESG_fNS9_4plusIvEENS9_8equal_toIvEEfEE10hipError_tPvRmT2_T3_T4_T5_mT6_T7_P12ihipStream_tbENKUlT_T0_E_clISt17integral_constantIbLb1EES10_IbLb0EEEEDaSW_SX_EUlSW_E_NS1_11comp_targetILNS1_3genE2ELNS1_11target_archE906ELNS1_3gpuE6ELNS1_3repE0EEENS1_30default_config_static_selectorELNS0_4arch9wavefront6targetE0EEEvT1_, .Lfunc_end1157-_ZN7rocprim17ROCPRIM_400000_NS6detail17trampoline_kernelINS0_14default_configENS1_27scan_by_key_config_selectorIifEEZZNS1_16scan_by_key_implILNS1_25lookback_scan_determinismE0ELb0ES3_N6thrust23THRUST_200600_302600_NS6detail15normal_iteratorINS9_10device_ptrIiEEEENSB_INSC_IfEEEESG_fNS9_4plusIvEENS9_8equal_toIvEEfEE10hipError_tPvRmT2_T3_T4_T5_mT6_T7_P12ihipStream_tbENKUlT_T0_E_clISt17integral_constantIbLb1EES10_IbLb0EEEEDaSW_SX_EUlSW_E_NS1_11comp_targetILNS1_3genE2ELNS1_11target_archE906ELNS1_3gpuE6ELNS1_3repE0EEENS1_30default_config_static_selectorELNS0_4arch9wavefront6targetE0EEEvT1_
                                        ; -- End function
	.set _ZN7rocprim17ROCPRIM_400000_NS6detail17trampoline_kernelINS0_14default_configENS1_27scan_by_key_config_selectorIifEEZZNS1_16scan_by_key_implILNS1_25lookback_scan_determinismE0ELb0ES3_N6thrust23THRUST_200600_302600_NS6detail15normal_iteratorINS9_10device_ptrIiEEEENSB_INSC_IfEEEESG_fNS9_4plusIvEENS9_8equal_toIvEEfEE10hipError_tPvRmT2_T3_T4_T5_mT6_T7_P12ihipStream_tbENKUlT_T0_E_clISt17integral_constantIbLb1EES10_IbLb0EEEEDaSW_SX_EUlSW_E_NS1_11comp_targetILNS1_3genE2ELNS1_11target_archE906ELNS1_3gpuE6ELNS1_3repE0EEENS1_30default_config_static_selectorELNS0_4arch9wavefront6targetE0EEEvT1_.num_vgpr, 0
	.set _ZN7rocprim17ROCPRIM_400000_NS6detail17trampoline_kernelINS0_14default_configENS1_27scan_by_key_config_selectorIifEEZZNS1_16scan_by_key_implILNS1_25lookback_scan_determinismE0ELb0ES3_N6thrust23THRUST_200600_302600_NS6detail15normal_iteratorINS9_10device_ptrIiEEEENSB_INSC_IfEEEESG_fNS9_4plusIvEENS9_8equal_toIvEEfEE10hipError_tPvRmT2_T3_T4_T5_mT6_T7_P12ihipStream_tbENKUlT_T0_E_clISt17integral_constantIbLb1EES10_IbLb0EEEEDaSW_SX_EUlSW_E_NS1_11comp_targetILNS1_3genE2ELNS1_11target_archE906ELNS1_3gpuE6ELNS1_3repE0EEENS1_30default_config_static_selectorELNS0_4arch9wavefront6targetE0EEEvT1_.num_agpr, 0
	.set _ZN7rocprim17ROCPRIM_400000_NS6detail17trampoline_kernelINS0_14default_configENS1_27scan_by_key_config_selectorIifEEZZNS1_16scan_by_key_implILNS1_25lookback_scan_determinismE0ELb0ES3_N6thrust23THRUST_200600_302600_NS6detail15normal_iteratorINS9_10device_ptrIiEEEENSB_INSC_IfEEEESG_fNS9_4plusIvEENS9_8equal_toIvEEfEE10hipError_tPvRmT2_T3_T4_T5_mT6_T7_P12ihipStream_tbENKUlT_T0_E_clISt17integral_constantIbLb1EES10_IbLb0EEEEDaSW_SX_EUlSW_E_NS1_11comp_targetILNS1_3genE2ELNS1_11target_archE906ELNS1_3gpuE6ELNS1_3repE0EEENS1_30default_config_static_selectorELNS0_4arch9wavefront6targetE0EEEvT1_.numbered_sgpr, 0
	.set _ZN7rocprim17ROCPRIM_400000_NS6detail17trampoline_kernelINS0_14default_configENS1_27scan_by_key_config_selectorIifEEZZNS1_16scan_by_key_implILNS1_25lookback_scan_determinismE0ELb0ES3_N6thrust23THRUST_200600_302600_NS6detail15normal_iteratorINS9_10device_ptrIiEEEENSB_INSC_IfEEEESG_fNS9_4plusIvEENS9_8equal_toIvEEfEE10hipError_tPvRmT2_T3_T4_T5_mT6_T7_P12ihipStream_tbENKUlT_T0_E_clISt17integral_constantIbLb1EES10_IbLb0EEEEDaSW_SX_EUlSW_E_NS1_11comp_targetILNS1_3genE2ELNS1_11target_archE906ELNS1_3gpuE6ELNS1_3repE0EEENS1_30default_config_static_selectorELNS0_4arch9wavefront6targetE0EEEvT1_.num_named_barrier, 0
	.set _ZN7rocprim17ROCPRIM_400000_NS6detail17trampoline_kernelINS0_14default_configENS1_27scan_by_key_config_selectorIifEEZZNS1_16scan_by_key_implILNS1_25lookback_scan_determinismE0ELb0ES3_N6thrust23THRUST_200600_302600_NS6detail15normal_iteratorINS9_10device_ptrIiEEEENSB_INSC_IfEEEESG_fNS9_4plusIvEENS9_8equal_toIvEEfEE10hipError_tPvRmT2_T3_T4_T5_mT6_T7_P12ihipStream_tbENKUlT_T0_E_clISt17integral_constantIbLb1EES10_IbLb0EEEEDaSW_SX_EUlSW_E_NS1_11comp_targetILNS1_3genE2ELNS1_11target_archE906ELNS1_3gpuE6ELNS1_3repE0EEENS1_30default_config_static_selectorELNS0_4arch9wavefront6targetE0EEEvT1_.private_seg_size, 0
	.set _ZN7rocprim17ROCPRIM_400000_NS6detail17trampoline_kernelINS0_14default_configENS1_27scan_by_key_config_selectorIifEEZZNS1_16scan_by_key_implILNS1_25lookback_scan_determinismE0ELb0ES3_N6thrust23THRUST_200600_302600_NS6detail15normal_iteratorINS9_10device_ptrIiEEEENSB_INSC_IfEEEESG_fNS9_4plusIvEENS9_8equal_toIvEEfEE10hipError_tPvRmT2_T3_T4_T5_mT6_T7_P12ihipStream_tbENKUlT_T0_E_clISt17integral_constantIbLb1EES10_IbLb0EEEEDaSW_SX_EUlSW_E_NS1_11comp_targetILNS1_3genE2ELNS1_11target_archE906ELNS1_3gpuE6ELNS1_3repE0EEENS1_30default_config_static_selectorELNS0_4arch9wavefront6targetE0EEEvT1_.uses_vcc, 0
	.set _ZN7rocprim17ROCPRIM_400000_NS6detail17trampoline_kernelINS0_14default_configENS1_27scan_by_key_config_selectorIifEEZZNS1_16scan_by_key_implILNS1_25lookback_scan_determinismE0ELb0ES3_N6thrust23THRUST_200600_302600_NS6detail15normal_iteratorINS9_10device_ptrIiEEEENSB_INSC_IfEEEESG_fNS9_4plusIvEENS9_8equal_toIvEEfEE10hipError_tPvRmT2_T3_T4_T5_mT6_T7_P12ihipStream_tbENKUlT_T0_E_clISt17integral_constantIbLb1EES10_IbLb0EEEEDaSW_SX_EUlSW_E_NS1_11comp_targetILNS1_3genE2ELNS1_11target_archE906ELNS1_3gpuE6ELNS1_3repE0EEENS1_30default_config_static_selectorELNS0_4arch9wavefront6targetE0EEEvT1_.uses_flat_scratch, 0
	.set _ZN7rocprim17ROCPRIM_400000_NS6detail17trampoline_kernelINS0_14default_configENS1_27scan_by_key_config_selectorIifEEZZNS1_16scan_by_key_implILNS1_25lookback_scan_determinismE0ELb0ES3_N6thrust23THRUST_200600_302600_NS6detail15normal_iteratorINS9_10device_ptrIiEEEENSB_INSC_IfEEEESG_fNS9_4plusIvEENS9_8equal_toIvEEfEE10hipError_tPvRmT2_T3_T4_T5_mT6_T7_P12ihipStream_tbENKUlT_T0_E_clISt17integral_constantIbLb1EES10_IbLb0EEEEDaSW_SX_EUlSW_E_NS1_11comp_targetILNS1_3genE2ELNS1_11target_archE906ELNS1_3gpuE6ELNS1_3repE0EEENS1_30default_config_static_selectorELNS0_4arch9wavefront6targetE0EEEvT1_.has_dyn_sized_stack, 0
	.set _ZN7rocprim17ROCPRIM_400000_NS6detail17trampoline_kernelINS0_14default_configENS1_27scan_by_key_config_selectorIifEEZZNS1_16scan_by_key_implILNS1_25lookback_scan_determinismE0ELb0ES3_N6thrust23THRUST_200600_302600_NS6detail15normal_iteratorINS9_10device_ptrIiEEEENSB_INSC_IfEEEESG_fNS9_4plusIvEENS9_8equal_toIvEEfEE10hipError_tPvRmT2_T3_T4_T5_mT6_T7_P12ihipStream_tbENKUlT_T0_E_clISt17integral_constantIbLb1EES10_IbLb0EEEEDaSW_SX_EUlSW_E_NS1_11comp_targetILNS1_3genE2ELNS1_11target_archE906ELNS1_3gpuE6ELNS1_3repE0EEENS1_30default_config_static_selectorELNS0_4arch9wavefront6targetE0EEEvT1_.has_recursion, 0
	.set _ZN7rocprim17ROCPRIM_400000_NS6detail17trampoline_kernelINS0_14default_configENS1_27scan_by_key_config_selectorIifEEZZNS1_16scan_by_key_implILNS1_25lookback_scan_determinismE0ELb0ES3_N6thrust23THRUST_200600_302600_NS6detail15normal_iteratorINS9_10device_ptrIiEEEENSB_INSC_IfEEEESG_fNS9_4plusIvEENS9_8equal_toIvEEfEE10hipError_tPvRmT2_T3_T4_T5_mT6_T7_P12ihipStream_tbENKUlT_T0_E_clISt17integral_constantIbLb1EES10_IbLb0EEEEDaSW_SX_EUlSW_E_NS1_11comp_targetILNS1_3genE2ELNS1_11target_archE906ELNS1_3gpuE6ELNS1_3repE0EEENS1_30default_config_static_selectorELNS0_4arch9wavefront6targetE0EEEvT1_.has_indirect_call, 0
	.section	.AMDGPU.csdata,"",@progbits
; Kernel info:
; codeLenInByte = 0
; TotalNumSgprs: 0
; NumVgprs: 0
; ScratchSize: 0
; MemoryBound: 0
; FloatMode: 240
; IeeeMode: 1
; LDSByteSize: 0 bytes/workgroup (compile time only)
; SGPRBlocks: 0
; VGPRBlocks: 0
; NumSGPRsForWavesPerEU: 1
; NumVGPRsForWavesPerEU: 1
; Occupancy: 16
; WaveLimiterHint : 0
; COMPUTE_PGM_RSRC2:SCRATCH_EN: 0
; COMPUTE_PGM_RSRC2:USER_SGPR: 6
; COMPUTE_PGM_RSRC2:TRAP_HANDLER: 0
; COMPUTE_PGM_RSRC2:TGID_X_EN: 1
; COMPUTE_PGM_RSRC2:TGID_Y_EN: 0
; COMPUTE_PGM_RSRC2:TGID_Z_EN: 0
; COMPUTE_PGM_RSRC2:TIDIG_COMP_CNT: 0
	.section	.text._ZN7rocprim17ROCPRIM_400000_NS6detail17trampoline_kernelINS0_14default_configENS1_27scan_by_key_config_selectorIifEEZZNS1_16scan_by_key_implILNS1_25lookback_scan_determinismE0ELb0ES3_N6thrust23THRUST_200600_302600_NS6detail15normal_iteratorINS9_10device_ptrIiEEEENSB_INSC_IfEEEESG_fNS9_4plusIvEENS9_8equal_toIvEEfEE10hipError_tPvRmT2_T3_T4_T5_mT6_T7_P12ihipStream_tbENKUlT_T0_E_clISt17integral_constantIbLb1EES10_IbLb0EEEEDaSW_SX_EUlSW_E_NS1_11comp_targetILNS1_3genE10ELNS1_11target_archE1200ELNS1_3gpuE4ELNS1_3repE0EEENS1_30default_config_static_selectorELNS0_4arch9wavefront6targetE0EEEvT1_,"axG",@progbits,_ZN7rocprim17ROCPRIM_400000_NS6detail17trampoline_kernelINS0_14default_configENS1_27scan_by_key_config_selectorIifEEZZNS1_16scan_by_key_implILNS1_25lookback_scan_determinismE0ELb0ES3_N6thrust23THRUST_200600_302600_NS6detail15normal_iteratorINS9_10device_ptrIiEEEENSB_INSC_IfEEEESG_fNS9_4plusIvEENS9_8equal_toIvEEfEE10hipError_tPvRmT2_T3_T4_T5_mT6_T7_P12ihipStream_tbENKUlT_T0_E_clISt17integral_constantIbLb1EES10_IbLb0EEEEDaSW_SX_EUlSW_E_NS1_11comp_targetILNS1_3genE10ELNS1_11target_archE1200ELNS1_3gpuE4ELNS1_3repE0EEENS1_30default_config_static_selectorELNS0_4arch9wavefront6targetE0EEEvT1_,comdat
	.protected	_ZN7rocprim17ROCPRIM_400000_NS6detail17trampoline_kernelINS0_14default_configENS1_27scan_by_key_config_selectorIifEEZZNS1_16scan_by_key_implILNS1_25lookback_scan_determinismE0ELb0ES3_N6thrust23THRUST_200600_302600_NS6detail15normal_iteratorINS9_10device_ptrIiEEEENSB_INSC_IfEEEESG_fNS9_4plusIvEENS9_8equal_toIvEEfEE10hipError_tPvRmT2_T3_T4_T5_mT6_T7_P12ihipStream_tbENKUlT_T0_E_clISt17integral_constantIbLb1EES10_IbLb0EEEEDaSW_SX_EUlSW_E_NS1_11comp_targetILNS1_3genE10ELNS1_11target_archE1200ELNS1_3gpuE4ELNS1_3repE0EEENS1_30default_config_static_selectorELNS0_4arch9wavefront6targetE0EEEvT1_ ; -- Begin function _ZN7rocprim17ROCPRIM_400000_NS6detail17trampoline_kernelINS0_14default_configENS1_27scan_by_key_config_selectorIifEEZZNS1_16scan_by_key_implILNS1_25lookback_scan_determinismE0ELb0ES3_N6thrust23THRUST_200600_302600_NS6detail15normal_iteratorINS9_10device_ptrIiEEEENSB_INSC_IfEEEESG_fNS9_4plusIvEENS9_8equal_toIvEEfEE10hipError_tPvRmT2_T3_T4_T5_mT6_T7_P12ihipStream_tbENKUlT_T0_E_clISt17integral_constantIbLb1EES10_IbLb0EEEEDaSW_SX_EUlSW_E_NS1_11comp_targetILNS1_3genE10ELNS1_11target_archE1200ELNS1_3gpuE4ELNS1_3repE0EEENS1_30default_config_static_selectorELNS0_4arch9wavefront6targetE0EEEvT1_
	.globl	_ZN7rocprim17ROCPRIM_400000_NS6detail17trampoline_kernelINS0_14default_configENS1_27scan_by_key_config_selectorIifEEZZNS1_16scan_by_key_implILNS1_25lookback_scan_determinismE0ELb0ES3_N6thrust23THRUST_200600_302600_NS6detail15normal_iteratorINS9_10device_ptrIiEEEENSB_INSC_IfEEEESG_fNS9_4plusIvEENS9_8equal_toIvEEfEE10hipError_tPvRmT2_T3_T4_T5_mT6_T7_P12ihipStream_tbENKUlT_T0_E_clISt17integral_constantIbLb1EES10_IbLb0EEEEDaSW_SX_EUlSW_E_NS1_11comp_targetILNS1_3genE10ELNS1_11target_archE1200ELNS1_3gpuE4ELNS1_3repE0EEENS1_30default_config_static_selectorELNS0_4arch9wavefront6targetE0EEEvT1_
	.p2align	8
	.type	_ZN7rocprim17ROCPRIM_400000_NS6detail17trampoline_kernelINS0_14default_configENS1_27scan_by_key_config_selectorIifEEZZNS1_16scan_by_key_implILNS1_25lookback_scan_determinismE0ELb0ES3_N6thrust23THRUST_200600_302600_NS6detail15normal_iteratorINS9_10device_ptrIiEEEENSB_INSC_IfEEEESG_fNS9_4plusIvEENS9_8equal_toIvEEfEE10hipError_tPvRmT2_T3_T4_T5_mT6_T7_P12ihipStream_tbENKUlT_T0_E_clISt17integral_constantIbLb1EES10_IbLb0EEEEDaSW_SX_EUlSW_E_NS1_11comp_targetILNS1_3genE10ELNS1_11target_archE1200ELNS1_3gpuE4ELNS1_3repE0EEENS1_30default_config_static_selectorELNS0_4arch9wavefront6targetE0EEEvT1_,@function
_ZN7rocprim17ROCPRIM_400000_NS6detail17trampoline_kernelINS0_14default_configENS1_27scan_by_key_config_selectorIifEEZZNS1_16scan_by_key_implILNS1_25lookback_scan_determinismE0ELb0ES3_N6thrust23THRUST_200600_302600_NS6detail15normal_iteratorINS9_10device_ptrIiEEEENSB_INSC_IfEEEESG_fNS9_4plusIvEENS9_8equal_toIvEEfEE10hipError_tPvRmT2_T3_T4_T5_mT6_T7_P12ihipStream_tbENKUlT_T0_E_clISt17integral_constantIbLb1EES10_IbLb0EEEEDaSW_SX_EUlSW_E_NS1_11comp_targetILNS1_3genE10ELNS1_11target_archE1200ELNS1_3gpuE4ELNS1_3repE0EEENS1_30default_config_static_selectorELNS0_4arch9wavefront6targetE0EEEvT1_: ; @_ZN7rocprim17ROCPRIM_400000_NS6detail17trampoline_kernelINS0_14default_configENS1_27scan_by_key_config_selectorIifEEZZNS1_16scan_by_key_implILNS1_25lookback_scan_determinismE0ELb0ES3_N6thrust23THRUST_200600_302600_NS6detail15normal_iteratorINS9_10device_ptrIiEEEENSB_INSC_IfEEEESG_fNS9_4plusIvEENS9_8equal_toIvEEfEE10hipError_tPvRmT2_T3_T4_T5_mT6_T7_P12ihipStream_tbENKUlT_T0_E_clISt17integral_constantIbLb1EES10_IbLb0EEEEDaSW_SX_EUlSW_E_NS1_11comp_targetILNS1_3genE10ELNS1_11target_archE1200ELNS1_3gpuE4ELNS1_3repE0EEENS1_30default_config_static_selectorELNS0_4arch9wavefront6targetE0EEEvT1_
; %bb.0:
	.section	.rodata,"a",@progbits
	.p2align	6, 0x0
	.amdhsa_kernel _ZN7rocprim17ROCPRIM_400000_NS6detail17trampoline_kernelINS0_14default_configENS1_27scan_by_key_config_selectorIifEEZZNS1_16scan_by_key_implILNS1_25lookback_scan_determinismE0ELb0ES3_N6thrust23THRUST_200600_302600_NS6detail15normal_iteratorINS9_10device_ptrIiEEEENSB_INSC_IfEEEESG_fNS9_4plusIvEENS9_8equal_toIvEEfEE10hipError_tPvRmT2_T3_T4_T5_mT6_T7_P12ihipStream_tbENKUlT_T0_E_clISt17integral_constantIbLb1EES10_IbLb0EEEEDaSW_SX_EUlSW_E_NS1_11comp_targetILNS1_3genE10ELNS1_11target_archE1200ELNS1_3gpuE4ELNS1_3repE0EEENS1_30default_config_static_selectorELNS0_4arch9wavefront6targetE0EEEvT1_
		.amdhsa_group_segment_fixed_size 0
		.amdhsa_private_segment_fixed_size 0
		.amdhsa_kernarg_size 112
		.amdhsa_user_sgpr_count 6
		.amdhsa_user_sgpr_private_segment_buffer 1
		.amdhsa_user_sgpr_dispatch_ptr 0
		.amdhsa_user_sgpr_queue_ptr 0
		.amdhsa_user_sgpr_kernarg_segment_ptr 1
		.amdhsa_user_sgpr_dispatch_id 0
		.amdhsa_user_sgpr_flat_scratch_init 0
		.amdhsa_user_sgpr_private_segment_size 0
		.amdhsa_wavefront_size32 1
		.amdhsa_uses_dynamic_stack 0
		.amdhsa_system_sgpr_private_segment_wavefront_offset 0
		.amdhsa_system_sgpr_workgroup_id_x 1
		.amdhsa_system_sgpr_workgroup_id_y 0
		.amdhsa_system_sgpr_workgroup_id_z 0
		.amdhsa_system_sgpr_workgroup_info 0
		.amdhsa_system_vgpr_workitem_id 0
		.amdhsa_next_free_vgpr 1
		.amdhsa_next_free_sgpr 1
		.amdhsa_reserve_vcc 0
		.amdhsa_reserve_flat_scratch 0
		.amdhsa_float_round_mode_32 0
		.amdhsa_float_round_mode_16_64 0
		.amdhsa_float_denorm_mode_32 3
		.amdhsa_float_denorm_mode_16_64 3
		.amdhsa_dx10_clamp 1
		.amdhsa_ieee_mode 1
		.amdhsa_fp16_overflow 0
		.amdhsa_workgroup_processor_mode 1
		.amdhsa_memory_ordered 1
		.amdhsa_forward_progress 1
		.amdhsa_shared_vgpr_count 0
		.amdhsa_exception_fp_ieee_invalid_op 0
		.amdhsa_exception_fp_denorm_src 0
		.amdhsa_exception_fp_ieee_div_zero 0
		.amdhsa_exception_fp_ieee_overflow 0
		.amdhsa_exception_fp_ieee_underflow 0
		.amdhsa_exception_fp_ieee_inexact 0
		.amdhsa_exception_int_div_zero 0
	.end_amdhsa_kernel
	.section	.text._ZN7rocprim17ROCPRIM_400000_NS6detail17trampoline_kernelINS0_14default_configENS1_27scan_by_key_config_selectorIifEEZZNS1_16scan_by_key_implILNS1_25lookback_scan_determinismE0ELb0ES3_N6thrust23THRUST_200600_302600_NS6detail15normal_iteratorINS9_10device_ptrIiEEEENSB_INSC_IfEEEESG_fNS9_4plusIvEENS9_8equal_toIvEEfEE10hipError_tPvRmT2_T3_T4_T5_mT6_T7_P12ihipStream_tbENKUlT_T0_E_clISt17integral_constantIbLb1EES10_IbLb0EEEEDaSW_SX_EUlSW_E_NS1_11comp_targetILNS1_3genE10ELNS1_11target_archE1200ELNS1_3gpuE4ELNS1_3repE0EEENS1_30default_config_static_selectorELNS0_4arch9wavefront6targetE0EEEvT1_,"axG",@progbits,_ZN7rocprim17ROCPRIM_400000_NS6detail17trampoline_kernelINS0_14default_configENS1_27scan_by_key_config_selectorIifEEZZNS1_16scan_by_key_implILNS1_25lookback_scan_determinismE0ELb0ES3_N6thrust23THRUST_200600_302600_NS6detail15normal_iteratorINS9_10device_ptrIiEEEENSB_INSC_IfEEEESG_fNS9_4plusIvEENS9_8equal_toIvEEfEE10hipError_tPvRmT2_T3_T4_T5_mT6_T7_P12ihipStream_tbENKUlT_T0_E_clISt17integral_constantIbLb1EES10_IbLb0EEEEDaSW_SX_EUlSW_E_NS1_11comp_targetILNS1_3genE10ELNS1_11target_archE1200ELNS1_3gpuE4ELNS1_3repE0EEENS1_30default_config_static_selectorELNS0_4arch9wavefront6targetE0EEEvT1_,comdat
.Lfunc_end1158:
	.size	_ZN7rocprim17ROCPRIM_400000_NS6detail17trampoline_kernelINS0_14default_configENS1_27scan_by_key_config_selectorIifEEZZNS1_16scan_by_key_implILNS1_25lookback_scan_determinismE0ELb0ES3_N6thrust23THRUST_200600_302600_NS6detail15normal_iteratorINS9_10device_ptrIiEEEENSB_INSC_IfEEEESG_fNS9_4plusIvEENS9_8equal_toIvEEfEE10hipError_tPvRmT2_T3_T4_T5_mT6_T7_P12ihipStream_tbENKUlT_T0_E_clISt17integral_constantIbLb1EES10_IbLb0EEEEDaSW_SX_EUlSW_E_NS1_11comp_targetILNS1_3genE10ELNS1_11target_archE1200ELNS1_3gpuE4ELNS1_3repE0EEENS1_30default_config_static_selectorELNS0_4arch9wavefront6targetE0EEEvT1_, .Lfunc_end1158-_ZN7rocprim17ROCPRIM_400000_NS6detail17trampoline_kernelINS0_14default_configENS1_27scan_by_key_config_selectorIifEEZZNS1_16scan_by_key_implILNS1_25lookback_scan_determinismE0ELb0ES3_N6thrust23THRUST_200600_302600_NS6detail15normal_iteratorINS9_10device_ptrIiEEEENSB_INSC_IfEEEESG_fNS9_4plusIvEENS9_8equal_toIvEEfEE10hipError_tPvRmT2_T3_T4_T5_mT6_T7_P12ihipStream_tbENKUlT_T0_E_clISt17integral_constantIbLb1EES10_IbLb0EEEEDaSW_SX_EUlSW_E_NS1_11comp_targetILNS1_3genE10ELNS1_11target_archE1200ELNS1_3gpuE4ELNS1_3repE0EEENS1_30default_config_static_selectorELNS0_4arch9wavefront6targetE0EEEvT1_
                                        ; -- End function
	.set _ZN7rocprim17ROCPRIM_400000_NS6detail17trampoline_kernelINS0_14default_configENS1_27scan_by_key_config_selectorIifEEZZNS1_16scan_by_key_implILNS1_25lookback_scan_determinismE0ELb0ES3_N6thrust23THRUST_200600_302600_NS6detail15normal_iteratorINS9_10device_ptrIiEEEENSB_INSC_IfEEEESG_fNS9_4plusIvEENS9_8equal_toIvEEfEE10hipError_tPvRmT2_T3_T4_T5_mT6_T7_P12ihipStream_tbENKUlT_T0_E_clISt17integral_constantIbLb1EES10_IbLb0EEEEDaSW_SX_EUlSW_E_NS1_11comp_targetILNS1_3genE10ELNS1_11target_archE1200ELNS1_3gpuE4ELNS1_3repE0EEENS1_30default_config_static_selectorELNS0_4arch9wavefront6targetE0EEEvT1_.num_vgpr, 0
	.set _ZN7rocprim17ROCPRIM_400000_NS6detail17trampoline_kernelINS0_14default_configENS1_27scan_by_key_config_selectorIifEEZZNS1_16scan_by_key_implILNS1_25lookback_scan_determinismE0ELb0ES3_N6thrust23THRUST_200600_302600_NS6detail15normal_iteratorINS9_10device_ptrIiEEEENSB_INSC_IfEEEESG_fNS9_4plusIvEENS9_8equal_toIvEEfEE10hipError_tPvRmT2_T3_T4_T5_mT6_T7_P12ihipStream_tbENKUlT_T0_E_clISt17integral_constantIbLb1EES10_IbLb0EEEEDaSW_SX_EUlSW_E_NS1_11comp_targetILNS1_3genE10ELNS1_11target_archE1200ELNS1_3gpuE4ELNS1_3repE0EEENS1_30default_config_static_selectorELNS0_4arch9wavefront6targetE0EEEvT1_.num_agpr, 0
	.set _ZN7rocprim17ROCPRIM_400000_NS6detail17trampoline_kernelINS0_14default_configENS1_27scan_by_key_config_selectorIifEEZZNS1_16scan_by_key_implILNS1_25lookback_scan_determinismE0ELb0ES3_N6thrust23THRUST_200600_302600_NS6detail15normal_iteratorINS9_10device_ptrIiEEEENSB_INSC_IfEEEESG_fNS9_4plusIvEENS9_8equal_toIvEEfEE10hipError_tPvRmT2_T3_T4_T5_mT6_T7_P12ihipStream_tbENKUlT_T0_E_clISt17integral_constantIbLb1EES10_IbLb0EEEEDaSW_SX_EUlSW_E_NS1_11comp_targetILNS1_3genE10ELNS1_11target_archE1200ELNS1_3gpuE4ELNS1_3repE0EEENS1_30default_config_static_selectorELNS0_4arch9wavefront6targetE0EEEvT1_.numbered_sgpr, 0
	.set _ZN7rocprim17ROCPRIM_400000_NS6detail17trampoline_kernelINS0_14default_configENS1_27scan_by_key_config_selectorIifEEZZNS1_16scan_by_key_implILNS1_25lookback_scan_determinismE0ELb0ES3_N6thrust23THRUST_200600_302600_NS6detail15normal_iteratorINS9_10device_ptrIiEEEENSB_INSC_IfEEEESG_fNS9_4plusIvEENS9_8equal_toIvEEfEE10hipError_tPvRmT2_T3_T4_T5_mT6_T7_P12ihipStream_tbENKUlT_T0_E_clISt17integral_constantIbLb1EES10_IbLb0EEEEDaSW_SX_EUlSW_E_NS1_11comp_targetILNS1_3genE10ELNS1_11target_archE1200ELNS1_3gpuE4ELNS1_3repE0EEENS1_30default_config_static_selectorELNS0_4arch9wavefront6targetE0EEEvT1_.num_named_barrier, 0
	.set _ZN7rocprim17ROCPRIM_400000_NS6detail17trampoline_kernelINS0_14default_configENS1_27scan_by_key_config_selectorIifEEZZNS1_16scan_by_key_implILNS1_25lookback_scan_determinismE0ELb0ES3_N6thrust23THRUST_200600_302600_NS6detail15normal_iteratorINS9_10device_ptrIiEEEENSB_INSC_IfEEEESG_fNS9_4plusIvEENS9_8equal_toIvEEfEE10hipError_tPvRmT2_T3_T4_T5_mT6_T7_P12ihipStream_tbENKUlT_T0_E_clISt17integral_constantIbLb1EES10_IbLb0EEEEDaSW_SX_EUlSW_E_NS1_11comp_targetILNS1_3genE10ELNS1_11target_archE1200ELNS1_3gpuE4ELNS1_3repE0EEENS1_30default_config_static_selectorELNS0_4arch9wavefront6targetE0EEEvT1_.private_seg_size, 0
	.set _ZN7rocprim17ROCPRIM_400000_NS6detail17trampoline_kernelINS0_14default_configENS1_27scan_by_key_config_selectorIifEEZZNS1_16scan_by_key_implILNS1_25lookback_scan_determinismE0ELb0ES3_N6thrust23THRUST_200600_302600_NS6detail15normal_iteratorINS9_10device_ptrIiEEEENSB_INSC_IfEEEESG_fNS9_4plusIvEENS9_8equal_toIvEEfEE10hipError_tPvRmT2_T3_T4_T5_mT6_T7_P12ihipStream_tbENKUlT_T0_E_clISt17integral_constantIbLb1EES10_IbLb0EEEEDaSW_SX_EUlSW_E_NS1_11comp_targetILNS1_3genE10ELNS1_11target_archE1200ELNS1_3gpuE4ELNS1_3repE0EEENS1_30default_config_static_selectorELNS0_4arch9wavefront6targetE0EEEvT1_.uses_vcc, 0
	.set _ZN7rocprim17ROCPRIM_400000_NS6detail17trampoline_kernelINS0_14default_configENS1_27scan_by_key_config_selectorIifEEZZNS1_16scan_by_key_implILNS1_25lookback_scan_determinismE0ELb0ES3_N6thrust23THRUST_200600_302600_NS6detail15normal_iteratorINS9_10device_ptrIiEEEENSB_INSC_IfEEEESG_fNS9_4plusIvEENS9_8equal_toIvEEfEE10hipError_tPvRmT2_T3_T4_T5_mT6_T7_P12ihipStream_tbENKUlT_T0_E_clISt17integral_constantIbLb1EES10_IbLb0EEEEDaSW_SX_EUlSW_E_NS1_11comp_targetILNS1_3genE10ELNS1_11target_archE1200ELNS1_3gpuE4ELNS1_3repE0EEENS1_30default_config_static_selectorELNS0_4arch9wavefront6targetE0EEEvT1_.uses_flat_scratch, 0
	.set _ZN7rocprim17ROCPRIM_400000_NS6detail17trampoline_kernelINS0_14default_configENS1_27scan_by_key_config_selectorIifEEZZNS1_16scan_by_key_implILNS1_25lookback_scan_determinismE0ELb0ES3_N6thrust23THRUST_200600_302600_NS6detail15normal_iteratorINS9_10device_ptrIiEEEENSB_INSC_IfEEEESG_fNS9_4plusIvEENS9_8equal_toIvEEfEE10hipError_tPvRmT2_T3_T4_T5_mT6_T7_P12ihipStream_tbENKUlT_T0_E_clISt17integral_constantIbLb1EES10_IbLb0EEEEDaSW_SX_EUlSW_E_NS1_11comp_targetILNS1_3genE10ELNS1_11target_archE1200ELNS1_3gpuE4ELNS1_3repE0EEENS1_30default_config_static_selectorELNS0_4arch9wavefront6targetE0EEEvT1_.has_dyn_sized_stack, 0
	.set _ZN7rocprim17ROCPRIM_400000_NS6detail17trampoline_kernelINS0_14default_configENS1_27scan_by_key_config_selectorIifEEZZNS1_16scan_by_key_implILNS1_25lookback_scan_determinismE0ELb0ES3_N6thrust23THRUST_200600_302600_NS6detail15normal_iteratorINS9_10device_ptrIiEEEENSB_INSC_IfEEEESG_fNS9_4plusIvEENS9_8equal_toIvEEfEE10hipError_tPvRmT2_T3_T4_T5_mT6_T7_P12ihipStream_tbENKUlT_T0_E_clISt17integral_constantIbLb1EES10_IbLb0EEEEDaSW_SX_EUlSW_E_NS1_11comp_targetILNS1_3genE10ELNS1_11target_archE1200ELNS1_3gpuE4ELNS1_3repE0EEENS1_30default_config_static_selectorELNS0_4arch9wavefront6targetE0EEEvT1_.has_recursion, 0
	.set _ZN7rocprim17ROCPRIM_400000_NS6detail17trampoline_kernelINS0_14default_configENS1_27scan_by_key_config_selectorIifEEZZNS1_16scan_by_key_implILNS1_25lookback_scan_determinismE0ELb0ES3_N6thrust23THRUST_200600_302600_NS6detail15normal_iteratorINS9_10device_ptrIiEEEENSB_INSC_IfEEEESG_fNS9_4plusIvEENS9_8equal_toIvEEfEE10hipError_tPvRmT2_T3_T4_T5_mT6_T7_P12ihipStream_tbENKUlT_T0_E_clISt17integral_constantIbLb1EES10_IbLb0EEEEDaSW_SX_EUlSW_E_NS1_11comp_targetILNS1_3genE10ELNS1_11target_archE1200ELNS1_3gpuE4ELNS1_3repE0EEENS1_30default_config_static_selectorELNS0_4arch9wavefront6targetE0EEEvT1_.has_indirect_call, 0
	.section	.AMDGPU.csdata,"",@progbits
; Kernel info:
; codeLenInByte = 0
; TotalNumSgprs: 0
; NumVgprs: 0
; ScratchSize: 0
; MemoryBound: 0
; FloatMode: 240
; IeeeMode: 1
; LDSByteSize: 0 bytes/workgroup (compile time only)
; SGPRBlocks: 0
; VGPRBlocks: 0
; NumSGPRsForWavesPerEU: 1
; NumVGPRsForWavesPerEU: 1
; Occupancy: 16
; WaveLimiterHint : 0
; COMPUTE_PGM_RSRC2:SCRATCH_EN: 0
; COMPUTE_PGM_RSRC2:USER_SGPR: 6
; COMPUTE_PGM_RSRC2:TRAP_HANDLER: 0
; COMPUTE_PGM_RSRC2:TGID_X_EN: 1
; COMPUTE_PGM_RSRC2:TGID_Y_EN: 0
; COMPUTE_PGM_RSRC2:TGID_Z_EN: 0
; COMPUTE_PGM_RSRC2:TIDIG_COMP_CNT: 0
	.section	.text._ZN7rocprim17ROCPRIM_400000_NS6detail17trampoline_kernelINS0_14default_configENS1_27scan_by_key_config_selectorIifEEZZNS1_16scan_by_key_implILNS1_25lookback_scan_determinismE0ELb0ES3_N6thrust23THRUST_200600_302600_NS6detail15normal_iteratorINS9_10device_ptrIiEEEENSB_INSC_IfEEEESG_fNS9_4plusIvEENS9_8equal_toIvEEfEE10hipError_tPvRmT2_T3_T4_T5_mT6_T7_P12ihipStream_tbENKUlT_T0_E_clISt17integral_constantIbLb1EES10_IbLb0EEEEDaSW_SX_EUlSW_E_NS1_11comp_targetILNS1_3genE9ELNS1_11target_archE1100ELNS1_3gpuE3ELNS1_3repE0EEENS1_30default_config_static_selectorELNS0_4arch9wavefront6targetE0EEEvT1_,"axG",@progbits,_ZN7rocprim17ROCPRIM_400000_NS6detail17trampoline_kernelINS0_14default_configENS1_27scan_by_key_config_selectorIifEEZZNS1_16scan_by_key_implILNS1_25lookback_scan_determinismE0ELb0ES3_N6thrust23THRUST_200600_302600_NS6detail15normal_iteratorINS9_10device_ptrIiEEEENSB_INSC_IfEEEESG_fNS9_4plusIvEENS9_8equal_toIvEEfEE10hipError_tPvRmT2_T3_T4_T5_mT6_T7_P12ihipStream_tbENKUlT_T0_E_clISt17integral_constantIbLb1EES10_IbLb0EEEEDaSW_SX_EUlSW_E_NS1_11comp_targetILNS1_3genE9ELNS1_11target_archE1100ELNS1_3gpuE3ELNS1_3repE0EEENS1_30default_config_static_selectorELNS0_4arch9wavefront6targetE0EEEvT1_,comdat
	.protected	_ZN7rocprim17ROCPRIM_400000_NS6detail17trampoline_kernelINS0_14default_configENS1_27scan_by_key_config_selectorIifEEZZNS1_16scan_by_key_implILNS1_25lookback_scan_determinismE0ELb0ES3_N6thrust23THRUST_200600_302600_NS6detail15normal_iteratorINS9_10device_ptrIiEEEENSB_INSC_IfEEEESG_fNS9_4plusIvEENS9_8equal_toIvEEfEE10hipError_tPvRmT2_T3_T4_T5_mT6_T7_P12ihipStream_tbENKUlT_T0_E_clISt17integral_constantIbLb1EES10_IbLb0EEEEDaSW_SX_EUlSW_E_NS1_11comp_targetILNS1_3genE9ELNS1_11target_archE1100ELNS1_3gpuE3ELNS1_3repE0EEENS1_30default_config_static_selectorELNS0_4arch9wavefront6targetE0EEEvT1_ ; -- Begin function _ZN7rocprim17ROCPRIM_400000_NS6detail17trampoline_kernelINS0_14default_configENS1_27scan_by_key_config_selectorIifEEZZNS1_16scan_by_key_implILNS1_25lookback_scan_determinismE0ELb0ES3_N6thrust23THRUST_200600_302600_NS6detail15normal_iteratorINS9_10device_ptrIiEEEENSB_INSC_IfEEEESG_fNS9_4plusIvEENS9_8equal_toIvEEfEE10hipError_tPvRmT2_T3_T4_T5_mT6_T7_P12ihipStream_tbENKUlT_T0_E_clISt17integral_constantIbLb1EES10_IbLb0EEEEDaSW_SX_EUlSW_E_NS1_11comp_targetILNS1_3genE9ELNS1_11target_archE1100ELNS1_3gpuE3ELNS1_3repE0EEENS1_30default_config_static_selectorELNS0_4arch9wavefront6targetE0EEEvT1_
	.globl	_ZN7rocprim17ROCPRIM_400000_NS6detail17trampoline_kernelINS0_14default_configENS1_27scan_by_key_config_selectorIifEEZZNS1_16scan_by_key_implILNS1_25lookback_scan_determinismE0ELb0ES3_N6thrust23THRUST_200600_302600_NS6detail15normal_iteratorINS9_10device_ptrIiEEEENSB_INSC_IfEEEESG_fNS9_4plusIvEENS9_8equal_toIvEEfEE10hipError_tPvRmT2_T3_T4_T5_mT6_T7_P12ihipStream_tbENKUlT_T0_E_clISt17integral_constantIbLb1EES10_IbLb0EEEEDaSW_SX_EUlSW_E_NS1_11comp_targetILNS1_3genE9ELNS1_11target_archE1100ELNS1_3gpuE3ELNS1_3repE0EEENS1_30default_config_static_selectorELNS0_4arch9wavefront6targetE0EEEvT1_
	.p2align	8
	.type	_ZN7rocprim17ROCPRIM_400000_NS6detail17trampoline_kernelINS0_14default_configENS1_27scan_by_key_config_selectorIifEEZZNS1_16scan_by_key_implILNS1_25lookback_scan_determinismE0ELb0ES3_N6thrust23THRUST_200600_302600_NS6detail15normal_iteratorINS9_10device_ptrIiEEEENSB_INSC_IfEEEESG_fNS9_4plusIvEENS9_8equal_toIvEEfEE10hipError_tPvRmT2_T3_T4_T5_mT6_T7_P12ihipStream_tbENKUlT_T0_E_clISt17integral_constantIbLb1EES10_IbLb0EEEEDaSW_SX_EUlSW_E_NS1_11comp_targetILNS1_3genE9ELNS1_11target_archE1100ELNS1_3gpuE3ELNS1_3repE0EEENS1_30default_config_static_selectorELNS0_4arch9wavefront6targetE0EEEvT1_,@function
_ZN7rocprim17ROCPRIM_400000_NS6detail17trampoline_kernelINS0_14default_configENS1_27scan_by_key_config_selectorIifEEZZNS1_16scan_by_key_implILNS1_25lookback_scan_determinismE0ELb0ES3_N6thrust23THRUST_200600_302600_NS6detail15normal_iteratorINS9_10device_ptrIiEEEENSB_INSC_IfEEEESG_fNS9_4plusIvEENS9_8equal_toIvEEfEE10hipError_tPvRmT2_T3_T4_T5_mT6_T7_P12ihipStream_tbENKUlT_T0_E_clISt17integral_constantIbLb1EES10_IbLb0EEEEDaSW_SX_EUlSW_E_NS1_11comp_targetILNS1_3genE9ELNS1_11target_archE1100ELNS1_3gpuE3ELNS1_3repE0EEENS1_30default_config_static_selectorELNS0_4arch9wavefront6targetE0EEEvT1_: ; @_ZN7rocprim17ROCPRIM_400000_NS6detail17trampoline_kernelINS0_14default_configENS1_27scan_by_key_config_selectorIifEEZZNS1_16scan_by_key_implILNS1_25lookback_scan_determinismE0ELb0ES3_N6thrust23THRUST_200600_302600_NS6detail15normal_iteratorINS9_10device_ptrIiEEEENSB_INSC_IfEEEESG_fNS9_4plusIvEENS9_8equal_toIvEEfEE10hipError_tPvRmT2_T3_T4_T5_mT6_T7_P12ihipStream_tbENKUlT_T0_E_clISt17integral_constantIbLb1EES10_IbLb0EEEEDaSW_SX_EUlSW_E_NS1_11comp_targetILNS1_3genE9ELNS1_11target_archE1100ELNS1_3gpuE3ELNS1_3repE0EEENS1_30default_config_static_selectorELNS0_4arch9wavefront6targetE0EEEvT1_
; %bb.0:
	.section	.rodata,"a",@progbits
	.p2align	6, 0x0
	.amdhsa_kernel _ZN7rocprim17ROCPRIM_400000_NS6detail17trampoline_kernelINS0_14default_configENS1_27scan_by_key_config_selectorIifEEZZNS1_16scan_by_key_implILNS1_25lookback_scan_determinismE0ELb0ES3_N6thrust23THRUST_200600_302600_NS6detail15normal_iteratorINS9_10device_ptrIiEEEENSB_INSC_IfEEEESG_fNS9_4plusIvEENS9_8equal_toIvEEfEE10hipError_tPvRmT2_T3_T4_T5_mT6_T7_P12ihipStream_tbENKUlT_T0_E_clISt17integral_constantIbLb1EES10_IbLb0EEEEDaSW_SX_EUlSW_E_NS1_11comp_targetILNS1_3genE9ELNS1_11target_archE1100ELNS1_3gpuE3ELNS1_3repE0EEENS1_30default_config_static_selectorELNS0_4arch9wavefront6targetE0EEEvT1_
		.amdhsa_group_segment_fixed_size 0
		.amdhsa_private_segment_fixed_size 0
		.amdhsa_kernarg_size 112
		.amdhsa_user_sgpr_count 6
		.amdhsa_user_sgpr_private_segment_buffer 1
		.amdhsa_user_sgpr_dispatch_ptr 0
		.amdhsa_user_sgpr_queue_ptr 0
		.amdhsa_user_sgpr_kernarg_segment_ptr 1
		.amdhsa_user_sgpr_dispatch_id 0
		.amdhsa_user_sgpr_flat_scratch_init 0
		.amdhsa_user_sgpr_private_segment_size 0
		.amdhsa_wavefront_size32 1
		.amdhsa_uses_dynamic_stack 0
		.amdhsa_system_sgpr_private_segment_wavefront_offset 0
		.amdhsa_system_sgpr_workgroup_id_x 1
		.amdhsa_system_sgpr_workgroup_id_y 0
		.amdhsa_system_sgpr_workgroup_id_z 0
		.amdhsa_system_sgpr_workgroup_info 0
		.amdhsa_system_vgpr_workitem_id 0
		.amdhsa_next_free_vgpr 1
		.amdhsa_next_free_sgpr 1
		.amdhsa_reserve_vcc 0
		.amdhsa_reserve_flat_scratch 0
		.amdhsa_float_round_mode_32 0
		.amdhsa_float_round_mode_16_64 0
		.amdhsa_float_denorm_mode_32 3
		.amdhsa_float_denorm_mode_16_64 3
		.amdhsa_dx10_clamp 1
		.amdhsa_ieee_mode 1
		.amdhsa_fp16_overflow 0
		.amdhsa_workgroup_processor_mode 1
		.amdhsa_memory_ordered 1
		.amdhsa_forward_progress 1
		.amdhsa_shared_vgpr_count 0
		.amdhsa_exception_fp_ieee_invalid_op 0
		.amdhsa_exception_fp_denorm_src 0
		.amdhsa_exception_fp_ieee_div_zero 0
		.amdhsa_exception_fp_ieee_overflow 0
		.amdhsa_exception_fp_ieee_underflow 0
		.amdhsa_exception_fp_ieee_inexact 0
		.amdhsa_exception_int_div_zero 0
	.end_amdhsa_kernel
	.section	.text._ZN7rocprim17ROCPRIM_400000_NS6detail17trampoline_kernelINS0_14default_configENS1_27scan_by_key_config_selectorIifEEZZNS1_16scan_by_key_implILNS1_25lookback_scan_determinismE0ELb0ES3_N6thrust23THRUST_200600_302600_NS6detail15normal_iteratorINS9_10device_ptrIiEEEENSB_INSC_IfEEEESG_fNS9_4plusIvEENS9_8equal_toIvEEfEE10hipError_tPvRmT2_T3_T4_T5_mT6_T7_P12ihipStream_tbENKUlT_T0_E_clISt17integral_constantIbLb1EES10_IbLb0EEEEDaSW_SX_EUlSW_E_NS1_11comp_targetILNS1_3genE9ELNS1_11target_archE1100ELNS1_3gpuE3ELNS1_3repE0EEENS1_30default_config_static_selectorELNS0_4arch9wavefront6targetE0EEEvT1_,"axG",@progbits,_ZN7rocprim17ROCPRIM_400000_NS6detail17trampoline_kernelINS0_14default_configENS1_27scan_by_key_config_selectorIifEEZZNS1_16scan_by_key_implILNS1_25lookback_scan_determinismE0ELb0ES3_N6thrust23THRUST_200600_302600_NS6detail15normal_iteratorINS9_10device_ptrIiEEEENSB_INSC_IfEEEESG_fNS9_4plusIvEENS9_8equal_toIvEEfEE10hipError_tPvRmT2_T3_T4_T5_mT6_T7_P12ihipStream_tbENKUlT_T0_E_clISt17integral_constantIbLb1EES10_IbLb0EEEEDaSW_SX_EUlSW_E_NS1_11comp_targetILNS1_3genE9ELNS1_11target_archE1100ELNS1_3gpuE3ELNS1_3repE0EEENS1_30default_config_static_selectorELNS0_4arch9wavefront6targetE0EEEvT1_,comdat
.Lfunc_end1159:
	.size	_ZN7rocprim17ROCPRIM_400000_NS6detail17trampoline_kernelINS0_14default_configENS1_27scan_by_key_config_selectorIifEEZZNS1_16scan_by_key_implILNS1_25lookback_scan_determinismE0ELb0ES3_N6thrust23THRUST_200600_302600_NS6detail15normal_iteratorINS9_10device_ptrIiEEEENSB_INSC_IfEEEESG_fNS9_4plusIvEENS9_8equal_toIvEEfEE10hipError_tPvRmT2_T3_T4_T5_mT6_T7_P12ihipStream_tbENKUlT_T0_E_clISt17integral_constantIbLb1EES10_IbLb0EEEEDaSW_SX_EUlSW_E_NS1_11comp_targetILNS1_3genE9ELNS1_11target_archE1100ELNS1_3gpuE3ELNS1_3repE0EEENS1_30default_config_static_selectorELNS0_4arch9wavefront6targetE0EEEvT1_, .Lfunc_end1159-_ZN7rocprim17ROCPRIM_400000_NS6detail17trampoline_kernelINS0_14default_configENS1_27scan_by_key_config_selectorIifEEZZNS1_16scan_by_key_implILNS1_25lookback_scan_determinismE0ELb0ES3_N6thrust23THRUST_200600_302600_NS6detail15normal_iteratorINS9_10device_ptrIiEEEENSB_INSC_IfEEEESG_fNS9_4plusIvEENS9_8equal_toIvEEfEE10hipError_tPvRmT2_T3_T4_T5_mT6_T7_P12ihipStream_tbENKUlT_T0_E_clISt17integral_constantIbLb1EES10_IbLb0EEEEDaSW_SX_EUlSW_E_NS1_11comp_targetILNS1_3genE9ELNS1_11target_archE1100ELNS1_3gpuE3ELNS1_3repE0EEENS1_30default_config_static_selectorELNS0_4arch9wavefront6targetE0EEEvT1_
                                        ; -- End function
	.set _ZN7rocprim17ROCPRIM_400000_NS6detail17trampoline_kernelINS0_14default_configENS1_27scan_by_key_config_selectorIifEEZZNS1_16scan_by_key_implILNS1_25lookback_scan_determinismE0ELb0ES3_N6thrust23THRUST_200600_302600_NS6detail15normal_iteratorINS9_10device_ptrIiEEEENSB_INSC_IfEEEESG_fNS9_4plusIvEENS9_8equal_toIvEEfEE10hipError_tPvRmT2_T3_T4_T5_mT6_T7_P12ihipStream_tbENKUlT_T0_E_clISt17integral_constantIbLb1EES10_IbLb0EEEEDaSW_SX_EUlSW_E_NS1_11comp_targetILNS1_3genE9ELNS1_11target_archE1100ELNS1_3gpuE3ELNS1_3repE0EEENS1_30default_config_static_selectorELNS0_4arch9wavefront6targetE0EEEvT1_.num_vgpr, 0
	.set _ZN7rocprim17ROCPRIM_400000_NS6detail17trampoline_kernelINS0_14default_configENS1_27scan_by_key_config_selectorIifEEZZNS1_16scan_by_key_implILNS1_25lookback_scan_determinismE0ELb0ES3_N6thrust23THRUST_200600_302600_NS6detail15normal_iteratorINS9_10device_ptrIiEEEENSB_INSC_IfEEEESG_fNS9_4plusIvEENS9_8equal_toIvEEfEE10hipError_tPvRmT2_T3_T4_T5_mT6_T7_P12ihipStream_tbENKUlT_T0_E_clISt17integral_constantIbLb1EES10_IbLb0EEEEDaSW_SX_EUlSW_E_NS1_11comp_targetILNS1_3genE9ELNS1_11target_archE1100ELNS1_3gpuE3ELNS1_3repE0EEENS1_30default_config_static_selectorELNS0_4arch9wavefront6targetE0EEEvT1_.num_agpr, 0
	.set _ZN7rocprim17ROCPRIM_400000_NS6detail17trampoline_kernelINS0_14default_configENS1_27scan_by_key_config_selectorIifEEZZNS1_16scan_by_key_implILNS1_25lookback_scan_determinismE0ELb0ES3_N6thrust23THRUST_200600_302600_NS6detail15normal_iteratorINS9_10device_ptrIiEEEENSB_INSC_IfEEEESG_fNS9_4plusIvEENS9_8equal_toIvEEfEE10hipError_tPvRmT2_T3_T4_T5_mT6_T7_P12ihipStream_tbENKUlT_T0_E_clISt17integral_constantIbLb1EES10_IbLb0EEEEDaSW_SX_EUlSW_E_NS1_11comp_targetILNS1_3genE9ELNS1_11target_archE1100ELNS1_3gpuE3ELNS1_3repE0EEENS1_30default_config_static_selectorELNS0_4arch9wavefront6targetE0EEEvT1_.numbered_sgpr, 0
	.set _ZN7rocprim17ROCPRIM_400000_NS6detail17trampoline_kernelINS0_14default_configENS1_27scan_by_key_config_selectorIifEEZZNS1_16scan_by_key_implILNS1_25lookback_scan_determinismE0ELb0ES3_N6thrust23THRUST_200600_302600_NS6detail15normal_iteratorINS9_10device_ptrIiEEEENSB_INSC_IfEEEESG_fNS9_4plusIvEENS9_8equal_toIvEEfEE10hipError_tPvRmT2_T3_T4_T5_mT6_T7_P12ihipStream_tbENKUlT_T0_E_clISt17integral_constantIbLb1EES10_IbLb0EEEEDaSW_SX_EUlSW_E_NS1_11comp_targetILNS1_3genE9ELNS1_11target_archE1100ELNS1_3gpuE3ELNS1_3repE0EEENS1_30default_config_static_selectorELNS0_4arch9wavefront6targetE0EEEvT1_.num_named_barrier, 0
	.set _ZN7rocprim17ROCPRIM_400000_NS6detail17trampoline_kernelINS0_14default_configENS1_27scan_by_key_config_selectorIifEEZZNS1_16scan_by_key_implILNS1_25lookback_scan_determinismE0ELb0ES3_N6thrust23THRUST_200600_302600_NS6detail15normal_iteratorINS9_10device_ptrIiEEEENSB_INSC_IfEEEESG_fNS9_4plusIvEENS9_8equal_toIvEEfEE10hipError_tPvRmT2_T3_T4_T5_mT6_T7_P12ihipStream_tbENKUlT_T0_E_clISt17integral_constantIbLb1EES10_IbLb0EEEEDaSW_SX_EUlSW_E_NS1_11comp_targetILNS1_3genE9ELNS1_11target_archE1100ELNS1_3gpuE3ELNS1_3repE0EEENS1_30default_config_static_selectorELNS0_4arch9wavefront6targetE0EEEvT1_.private_seg_size, 0
	.set _ZN7rocprim17ROCPRIM_400000_NS6detail17trampoline_kernelINS0_14default_configENS1_27scan_by_key_config_selectorIifEEZZNS1_16scan_by_key_implILNS1_25lookback_scan_determinismE0ELb0ES3_N6thrust23THRUST_200600_302600_NS6detail15normal_iteratorINS9_10device_ptrIiEEEENSB_INSC_IfEEEESG_fNS9_4plusIvEENS9_8equal_toIvEEfEE10hipError_tPvRmT2_T3_T4_T5_mT6_T7_P12ihipStream_tbENKUlT_T0_E_clISt17integral_constantIbLb1EES10_IbLb0EEEEDaSW_SX_EUlSW_E_NS1_11comp_targetILNS1_3genE9ELNS1_11target_archE1100ELNS1_3gpuE3ELNS1_3repE0EEENS1_30default_config_static_selectorELNS0_4arch9wavefront6targetE0EEEvT1_.uses_vcc, 0
	.set _ZN7rocprim17ROCPRIM_400000_NS6detail17trampoline_kernelINS0_14default_configENS1_27scan_by_key_config_selectorIifEEZZNS1_16scan_by_key_implILNS1_25lookback_scan_determinismE0ELb0ES3_N6thrust23THRUST_200600_302600_NS6detail15normal_iteratorINS9_10device_ptrIiEEEENSB_INSC_IfEEEESG_fNS9_4plusIvEENS9_8equal_toIvEEfEE10hipError_tPvRmT2_T3_T4_T5_mT6_T7_P12ihipStream_tbENKUlT_T0_E_clISt17integral_constantIbLb1EES10_IbLb0EEEEDaSW_SX_EUlSW_E_NS1_11comp_targetILNS1_3genE9ELNS1_11target_archE1100ELNS1_3gpuE3ELNS1_3repE0EEENS1_30default_config_static_selectorELNS0_4arch9wavefront6targetE0EEEvT1_.uses_flat_scratch, 0
	.set _ZN7rocprim17ROCPRIM_400000_NS6detail17trampoline_kernelINS0_14default_configENS1_27scan_by_key_config_selectorIifEEZZNS1_16scan_by_key_implILNS1_25lookback_scan_determinismE0ELb0ES3_N6thrust23THRUST_200600_302600_NS6detail15normal_iteratorINS9_10device_ptrIiEEEENSB_INSC_IfEEEESG_fNS9_4plusIvEENS9_8equal_toIvEEfEE10hipError_tPvRmT2_T3_T4_T5_mT6_T7_P12ihipStream_tbENKUlT_T0_E_clISt17integral_constantIbLb1EES10_IbLb0EEEEDaSW_SX_EUlSW_E_NS1_11comp_targetILNS1_3genE9ELNS1_11target_archE1100ELNS1_3gpuE3ELNS1_3repE0EEENS1_30default_config_static_selectorELNS0_4arch9wavefront6targetE0EEEvT1_.has_dyn_sized_stack, 0
	.set _ZN7rocprim17ROCPRIM_400000_NS6detail17trampoline_kernelINS0_14default_configENS1_27scan_by_key_config_selectorIifEEZZNS1_16scan_by_key_implILNS1_25lookback_scan_determinismE0ELb0ES3_N6thrust23THRUST_200600_302600_NS6detail15normal_iteratorINS9_10device_ptrIiEEEENSB_INSC_IfEEEESG_fNS9_4plusIvEENS9_8equal_toIvEEfEE10hipError_tPvRmT2_T3_T4_T5_mT6_T7_P12ihipStream_tbENKUlT_T0_E_clISt17integral_constantIbLb1EES10_IbLb0EEEEDaSW_SX_EUlSW_E_NS1_11comp_targetILNS1_3genE9ELNS1_11target_archE1100ELNS1_3gpuE3ELNS1_3repE0EEENS1_30default_config_static_selectorELNS0_4arch9wavefront6targetE0EEEvT1_.has_recursion, 0
	.set _ZN7rocprim17ROCPRIM_400000_NS6detail17trampoline_kernelINS0_14default_configENS1_27scan_by_key_config_selectorIifEEZZNS1_16scan_by_key_implILNS1_25lookback_scan_determinismE0ELb0ES3_N6thrust23THRUST_200600_302600_NS6detail15normal_iteratorINS9_10device_ptrIiEEEENSB_INSC_IfEEEESG_fNS9_4plusIvEENS9_8equal_toIvEEfEE10hipError_tPvRmT2_T3_T4_T5_mT6_T7_P12ihipStream_tbENKUlT_T0_E_clISt17integral_constantIbLb1EES10_IbLb0EEEEDaSW_SX_EUlSW_E_NS1_11comp_targetILNS1_3genE9ELNS1_11target_archE1100ELNS1_3gpuE3ELNS1_3repE0EEENS1_30default_config_static_selectorELNS0_4arch9wavefront6targetE0EEEvT1_.has_indirect_call, 0
	.section	.AMDGPU.csdata,"",@progbits
; Kernel info:
; codeLenInByte = 0
; TotalNumSgprs: 0
; NumVgprs: 0
; ScratchSize: 0
; MemoryBound: 0
; FloatMode: 240
; IeeeMode: 1
; LDSByteSize: 0 bytes/workgroup (compile time only)
; SGPRBlocks: 0
; VGPRBlocks: 0
; NumSGPRsForWavesPerEU: 1
; NumVGPRsForWavesPerEU: 1
; Occupancy: 16
; WaveLimiterHint : 0
; COMPUTE_PGM_RSRC2:SCRATCH_EN: 0
; COMPUTE_PGM_RSRC2:USER_SGPR: 6
; COMPUTE_PGM_RSRC2:TRAP_HANDLER: 0
; COMPUTE_PGM_RSRC2:TGID_X_EN: 1
; COMPUTE_PGM_RSRC2:TGID_Y_EN: 0
; COMPUTE_PGM_RSRC2:TGID_Z_EN: 0
; COMPUTE_PGM_RSRC2:TIDIG_COMP_CNT: 0
	.section	.text._ZN7rocprim17ROCPRIM_400000_NS6detail17trampoline_kernelINS0_14default_configENS1_27scan_by_key_config_selectorIifEEZZNS1_16scan_by_key_implILNS1_25lookback_scan_determinismE0ELb0ES3_N6thrust23THRUST_200600_302600_NS6detail15normal_iteratorINS9_10device_ptrIiEEEENSB_INSC_IfEEEESG_fNS9_4plusIvEENS9_8equal_toIvEEfEE10hipError_tPvRmT2_T3_T4_T5_mT6_T7_P12ihipStream_tbENKUlT_T0_E_clISt17integral_constantIbLb1EES10_IbLb0EEEEDaSW_SX_EUlSW_E_NS1_11comp_targetILNS1_3genE8ELNS1_11target_archE1030ELNS1_3gpuE2ELNS1_3repE0EEENS1_30default_config_static_selectorELNS0_4arch9wavefront6targetE0EEEvT1_,"axG",@progbits,_ZN7rocprim17ROCPRIM_400000_NS6detail17trampoline_kernelINS0_14default_configENS1_27scan_by_key_config_selectorIifEEZZNS1_16scan_by_key_implILNS1_25lookback_scan_determinismE0ELb0ES3_N6thrust23THRUST_200600_302600_NS6detail15normal_iteratorINS9_10device_ptrIiEEEENSB_INSC_IfEEEESG_fNS9_4plusIvEENS9_8equal_toIvEEfEE10hipError_tPvRmT2_T3_T4_T5_mT6_T7_P12ihipStream_tbENKUlT_T0_E_clISt17integral_constantIbLb1EES10_IbLb0EEEEDaSW_SX_EUlSW_E_NS1_11comp_targetILNS1_3genE8ELNS1_11target_archE1030ELNS1_3gpuE2ELNS1_3repE0EEENS1_30default_config_static_selectorELNS0_4arch9wavefront6targetE0EEEvT1_,comdat
	.protected	_ZN7rocprim17ROCPRIM_400000_NS6detail17trampoline_kernelINS0_14default_configENS1_27scan_by_key_config_selectorIifEEZZNS1_16scan_by_key_implILNS1_25lookback_scan_determinismE0ELb0ES3_N6thrust23THRUST_200600_302600_NS6detail15normal_iteratorINS9_10device_ptrIiEEEENSB_INSC_IfEEEESG_fNS9_4plusIvEENS9_8equal_toIvEEfEE10hipError_tPvRmT2_T3_T4_T5_mT6_T7_P12ihipStream_tbENKUlT_T0_E_clISt17integral_constantIbLb1EES10_IbLb0EEEEDaSW_SX_EUlSW_E_NS1_11comp_targetILNS1_3genE8ELNS1_11target_archE1030ELNS1_3gpuE2ELNS1_3repE0EEENS1_30default_config_static_selectorELNS0_4arch9wavefront6targetE0EEEvT1_ ; -- Begin function _ZN7rocprim17ROCPRIM_400000_NS6detail17trampoline_kernelINS0_14default_configENS1_27scan_by_key_config_selectorIifEEZZNS1_16scan_by_key_implILNS1_25lookback_scan_determinismE0ELb0ES3_N6thrust23THRUST_200600_302600_NS6detail15normal_iteratorINS9_10device_ptrIiEEEENSB_INSC_IfEEEESG_fNS9_4plusIvEENS9_8equal_toIvEEfEE10hipError_tPvRmT2_T3_T4_T5_mT6_T7_P12ihipStream_tbENKUlT_T0_E_clISt17integral_constantIbLb1EES10_IbLb0EEEEDaSW_SX_EUlSW_E_NS1_11comp_targetILNS1_3genE8ELNS1_11target_archE1030ELNS1_3gpuE2ELNS1_3repE0EEENS1_30default_config_static_selectorELNS0_4arch9wavefront6targetE0EEEvT1_
	.globl	_ZN7rocprim17ROCPRIM_400000_NS6detail17trampoline_kernelINS0_14default_configENS1_27scan_by_key_config_selectorIifEEZZNS1_16scan_by_key_implILNS1_25lookback_scan_determinismE0ELb0ES3_N6thrust23THRUST_200600_302600_NS6detail15normal_iteratorINS9_10device_ptrIiEEEENSB_INSC_IfEEEESG_fNS9_4plusIvEENS9_8equal_toIvEEfEE10hipError_tPvRmT2_T3_T4_T5_mT6_T7_P12ihipStream_tbENKUlT_T0_E_clISt17integral_constantIbLb1EES10_IbLb0EEEEDaSW_SX_EUlSW_E_NS1_11comp_targetILNS1_3genE8ELNS1_11target_archE1030ELNS1_3gpuE2ELNS1_3repE0EEENS1_30default_config_static_selectorELNS0_4arch9wavefront6targetE0EEEvT1_
	.p2align	8
	.type	_ZN7rocprim17ROCPRIM_400000_NS6detail17trampoline_kernelINS0_14default_configENS1_27scan_by_key_config_selectorIifEEZZNS1_16scan_by_key_implILNS1_25lookback_scan_determinismE0ELb0ES3_N6thrust23THRUST_200600_302600_NS6detail15normal_iteratorINS9_10device_ptrIiEEEENSB_INSC_IfEEEESG_fNS9_4plusIvEENS9_8equal_toIvEEfEE10hipError_tPvRmT2_T3_T4_T5_mT6_T7_P12ihipStream_tbENKUlT_T0_E_clISt17integral_constantIbLb1EES10_IbLb0EEEEDaSW_SX_EUlSW_E_NS1_11comp_targetILNS1_3genE8ELNS1_11target_archE1030ELNS1_3gpuE2ELNS1_3repE0EEENS1_30default_config_static_selectorELNS0_4arch9wavefront6targetE0EEEvT1_,@function
_ZN7rocprim17ROCPRIM_400000_NS6detail17trampoline_kernelINS0_14default_configENS1_27scan_by_key_config_selectorIifEEZZNS1_16scan_by_key_implILNS1_25lookback_scan_determinismE0ELb0ES3_N6thrust23THRUST_200600_302600_NS6detail15normal_iteratorINS9_10device_ptrIiEEEENSB_INSC_IfEEEESG_fNS9_4plusIvEENS9_8equal_toIvEEfEE10hipError_tPvRmT2_T3_T4_T5_mT6_T7_P12ihipStream_tbENKUlT_T0_E_clISt17integral_constantIbLb1EES10_IbLb0EEEEDaSW_SX_EUlSW_E_NS1_11comp_targetILNS1_3genE8ELNS1_11target_archE1030ELNS1_3gpuE2ELNS1_3repE0EEENS1_30default_config_static_selectorELNS0_4arch9wavefront6targetE0EEEvT1_: ; @_ZN7rocprim17ROCPRIM_400000_NS6detail17trampoline_kernelINS0_14default_configENS1_27scan_by_key_config_selectorIifEEZZNS1_16scan_by_key_implILNS1_25lookback_scan_determinismE0ELb0ES3_N6thrust23THRUST_200600_302600_NS6detail15normal_iteratorINS9_10device_ptrIiEEEENSB_INSC_IfEEEESG_fNS9_4plusIvEENS9_8equal_toIvEEfEE10hipError_tPvRmT2_T3_T4_T5_mT6_T7_P12ihipStream_tbENKUlT_T0_E_clISt17integral_constantIbLb1EES10_IbLb0EEEEDaSW_SX_EUlSW_E_NS1_11comp_targetILNS1_3genE8ELNS1_11target_archE1030ELNS1_3gpuE2ELNS1_3repE0EEENS1_30default_config_static_selectorELNS0_4arch9wavefront6targetE0EEEvT1_
; %bb.0:
	s_endpgm
	.section	.rodata,"a",@progbits
	.p2align	6, 0x0
	.amdhsa_kernel _ZN7rocprim17ROCPRIM_400000_NS6detail17trampoline_kernelINS0_14default_configENS1_27scan_by_key_config_selectorIifEEZZNS1_16scan_by_key_implILNS1_25lookback_scan_determinismE0ELb0ES3_N6thrust23THRUST_200600_302600_NS6detail15normal_iteratorINS9_10device_ptrIiEEEENSB_INSC_IfEEEESG_fNS9_4plusIvEENS9_8equal_toIvEEfEE10hipError_tPvRmT2_T3_T4_T5_mT6_T7_P12ihipStream_tbENKUlT_T0_E_clISt17integral_constantIbLb1EES10_IbLb0EEEEDaSW_SX_EUlSW_E_NS1_11comp_targetILNS1_3genE8ELNS1_11target_archE1030ELNS1_3gpuE2ELNS1_3repE0EEENS1_30default_config_static_selectorELNS0_4arch9wavefront6targetE0EEEvT1_
		.amdhsa_group_segment_fixed_size 0
		.amdhsa_private_segment_fixed_size 0
		.amdhsa_kernarg_size 112
		.amdhsa_user_sgpr_count 6
		.amdhsa_user_sgpr_private_segment_buffer 1
		.amdhsa_user_sgpr_dispatch_ptr 0
		.amdhsa_user_sgpr_queue_ptr 0
		.amdhsa_user_sgpr_kernarg_segment_ptr 1
		.amdhsa_user_sgpr_dispatch_id 0
		.amdhsa_user_sgpr_flat_scratch_init 0
		.amdhsa_user_sgpr_private_segment_size 0
		.amdhsa_wavefront_size32 1
		.amdhsa_uses_dynamic_stack 0
		.amdhsa_system_sgpr_private_segment_wavefront_offset 0
		.amdhsa_system_sgpr_workgroup_id_x 1
		.amdhsa_system_sgpr_workgroup_id_y 0
		.amdhsa_system_sgpr_workgroup_id_z 0
		.amdhsa_system_sgpr_workgroup_info 0
		.amdhsa_system_vgpr_workitem_id 0
		.amdhsa_next_free_vgpr 1
		.amdhsa_next_free_sgpr 1
		.amdhsa_reserve_vcc 0
		.amdhsa_reserve_flat_scratch 0
		.amdhsa_float_round_mode_32 0
		.amdhsa_float_round_mode_16_64 0
		.amdhsa_float_denorm_mode_32 3
		.amdhsa_float_denorm_mode_16_64 3
		.amdhsa_dx10_clamp 1
		.amdhsa_ieee_mode 1
		.amdhsa_fp16_overflow 0
		.amdhsa_workgroup_processor_mode 1
		.amdhsa_memory_ordered 1
		.amdhsa_forward_progress 1
		.amdhsa_shared_vgpr_count 0
		.amdhsa_exception_fp_ieee_invalid_op 0
		.amdhsa_exception_fp_denorm_src 0
		.amdhsa_exception_fp_ieee_div_zero 0
		.amdhsa_exception_fp_ieee_overflow 0
		.amdhsa_exception_fp_ieee_underflow 0
		.amdhsa_exception_fp_ieee_inexact 0
		.amdhsa_exception_int_div_zero 0
	.end_amdhsa_kernel
	.section	.text._ZN7rocprim17ROCPRIM_400000_NS6detail17trampoline_kernelINS0_14default_configENS1_27scan_by_key_config_selectorIifEEZZNS1_16scan_by_key_implILNS1_25lookback_scan_determinismE0ELb0ES3_N6thrust23THRUST_200600_302600_NS6detail15normal_iteratorINS9_10device_ptrIiEEEENSB_INSC_IfEEEESG_fNS9_4plusIvEENS9_8equal_toIvEEfEE10hipError_tPvRmT2_T3_T4_T5_mT6_T7_P12ihipStream_tbENKUlT_T0_E_clISt17integral_constantIbLb1EES10_IbLb0EEEEDaSW_SX_EUlSW_E_NS1_11comp_targetILNS1_3genE8ELNS1_11target_archE1030ELNS1_3gpuE2ELNS1_3repE0EEENS1_30default_config_static_selectorELNS0_4arch9wavefront6targetE0EEEvT1_,"axG",@progbits,_ZN7rocprim17ROCPRIM_400000_NS6detail17trampoline_kernelINS0_14default_configENS1_27scan_by_key_config_selectorIifEEZZNS1_16scan_by_key_implILNS1_25lookback_scan_determinismE0ELb0ES3_N6thrust23THRUST_200600_302600_NS6detail15normal_iteratorINS9_10device_ptrIiEEEENSB_INSC_IfEEEESG_fNS9_4plusIvEENS9_8equal_toIvEEfEE10hipError_tPvRmT2_T3_T4_T5_mT6_T7_P12ihipStream_tbENKUlT_T0_E_clISt17integral_constantIbLb1EES10_IbLb0EEEEDaSW_SX_EUlSW_E_NS1_11comp_targetILNS1_3genE8ELNS1_11target_archE1030ELNS1_3gpuE2ELNS1_3repE0EEENS1_30default_config_static_selectorELNS0_4arch9wavefront6targetE0EEEvT1_,comdat
.Lfunc_end1160:
	.size	_ZN7rocprim17ROCPRIM_400000_NS6detail17trampoline_kernelINS0_14default_configENS1_27scan_by_key_config_selectorIifEEZZNS1_16scan_by_key_implILNS1_25lookback_scan_determinismE0ELb0ES3_N6thrust23THRUST_200600_302600_NS6detail15normal_iteratorINS9_10device_ptrIiEEEENSB_INSC_IfEEEESG_fNS9_4plusIvEENS9_8equal_toIvEEfEE10hipError_tPvRmT2_T3_T4_T5_mT6_T7_P12ihipStream_tbENKUlT_T0_E_clISt17integral_constantIbLb1EES10_IbLb0EEEEDaSW_SX_EUlSW_E_NS1_11comp_targetILNS1_3genE8ELNS1_11target_archE1030ELNS1_3gpuE2ELNS1_3repE0EEENS1_30default_config_static_selectorELNS0_4arch9wavefront6targetE0EEEvT1_, .Lfunc_end1160-_ZN7rocprim17ROCPRIM_400000_NS6detail17trampoline_kernelINS0_14default_configENS1_27scan_by_key_config_selectorIifEEZZNS1_16scan_by_key_implILNS1_25lookback_scan_determinismE0ELb0ES3_N6thrust23THRUST_200600_302600_NS6detail15normal_iteratorINS9_10device_ptrIiEEEENSB_INSC_IfEEEESG_fNS9_4plusIvEENS9_8equal_toIvEEfEE10hipError_tPvRmT2_T3_T4_T5_mT6_T7_P12ihipStream_tbENKUlT_T0_E_clISt17integral_constantIbLb1EES10_IbLb0EEEEDaSW_SX_EUlSW_E_NS1_11comp_targetILNS1_3genE8ELNS1_11target_archE1030ELNS1_3gpuE2ELNS1_3repE0EEENS1_30default_config_static_selectorELNS0_4arch9wavefront6targetE0EEEvT1_
                                        ; -- End function
	.set _ZN7rocprim17ROCPRIM_400000_NS6detail17trampoline_kernelINS0_14default_configENS1_27scan_by_key_config_selectorIifEEZZNS1_16scan_by_key_implILNS1_25lookback_scan_determinismE0ELb0ES3_N6thrust23THRUST_200600_302600_NS6detail15normal_iteratorINS9_10device_ptrIiEEEENSB_INSC_IfEEEESG_fNS9_4plusIvEENS9_8equal_toIvEEfEE10hipError_tPvRmT2_T3_T4_T5_mT6_T7_P12ihipStream_tbENKUlT_T0_E_clISt17integral_constantIbLb1EES10_IbLb0EEEEDaSW_SX_EUlSW_E_NS1_11comp_targetILNS1_3genE8ELNS1_11target_archE1030ELNS1_3gpuE2ELNS1_3repE0EEENS1_30default_config_static_selectorELNS0_4arch9wavefront6targetE0EEEvT1_.num_vgpr, 0
	.set _ZN7rocprim17ROCPRIM_400000_NS6detail17trampoline_kernelINS0_14default_configENS1_27scan_by_key_config_selectorIifEEZZNS1_16scan_by_key_implILNS1_25lookback_scan_determinismE0ELb0ES3_N6thrust23THRUST_200600_302600_NS6detail15normal_iteratorINS9_10device_ptrIiEEEENSB_INSC_IfEEEESG_fNS9_4plusIvEENS9_8equal_toIvEEfEE10hipError_tPvRmT2_T3_T4_T5_mT6_T7_P12ihipStream_tbENKUlT_T0_E_clISt17integral_constantIbLb1EES10_IbLb0EEEEDaSW_SX_EUlSW_E_NS1_11comp_targetILNS1_3genE8ELNS1_11target_archE1030ELNS1_3gpuE2ELNS1_3repE0EEENS1_30default_config_static_selectorELNS0_4arch9wavefront6targetE0EEEvT1_.num_agpr, 0
	.set _ZN7rocprim17ROCPRIM_400000_NS6detail17trampoline_kernelINS0_14default_configENS1_27scan_by_key_config_selectorIifEEZZNS1_16scan_by_key_implILNS1_25lookback_scan_determinismE0ELb0ES3_N6thrust23THRUST_200600_302600_NS6detail15normal_iteratorINS9_10device_ptrIiEEEENSB_INSC_IfEEEESG_fNS9_4plusIvEENS9_8equal_toIvEEfEE10hipError_tPvRmT2_T3_T4_T5_mT6_T7_P12ihipStream_tbENKUlT_T0_E_clISt17integral_constantIbLb1EES10_IbLb0EEEEDaSW_SX_EUlSW_E_NS1_11comp_targetILNS1_3genE8ELNS1_11target_archE1030ELNS1_3gpuE2ELNS1_3repE0EEENS1_30default_config_static_selectorELNS0_4arch9wavefront6targetE0EEEvT1_.numbered_sgpr, 0
	.set _ZN7rocprim17ROCPRIM_400000_NS6detail17trampoline_kernelINS0_14default_configENS1_27scan_by_key_config_selectorIifEEZZNS1_16scan_by_key_implILNS1_25lookback_scan_determinismE0ELb0ES3_N6thrust23THRUST_200600_302600_NS6detail15normal_iteratorINS9_10device_ptrIiEEEENSB_INSC_IfEEEESG_fNS9_4plusIvEENS9_8equal_toIvEEfEE10hipError_tPvRmT2_T3_T4_T5_mT6_T7_P12ihipStream_tbENKUlT_T0_E_clISt17integral_constantIbLb1EES10_IbLb0EEEEDaSW_SX_EUlSW_E_NS1_11comp_targetILNS1_3genE8ELNS1_11target_archE1030ELNS1_3gpuE2ELNS1_3repE0EEENS1_30default_config_static_selectorELNS0_4arch9wavefront6targetE0EEEvT1_.num_named_barrier, 0
	.set _ZN7rocprim17ROCPRIM_400000_NS6detail17trampoline_kernelINS0_14default_configENS1_27scan_by_key_config_selectorIifEEZZNS1_16scan_by_key_implILNS1_25lookback_scan_determinismE0ELb0ES3_N6thrust23THRUST_200600_302600_NS6detail15normal_iteratorINS9_10device_ptrIiEEEENSB_INSC_IfEEEESG_fNS9_4plusIvEENS9_8equal_toIvEEfEE10hipError_tPvRmT2_T3_T4_T5_mT6_T7_P12ihipStream_tbENKUlT_T0_E_clISt17integral_constantIbLb1EES10_IbLb0EEEEDaSW_SX_EUlSW_E_NS1_11comp_targetILNS1_3genE8ELNS1_11target_archE1030ELNS1_3gpuE2ELNS1_3repE0EEENS1_30default_config_static_selectorELNS0_4arch9wavefront6targetE0EEEvT1_.private_seg_size, 0
	.set _ZN7rocprim17ROCPRIM_400000_NS6detail17trampoline_kernelINS0_14default_configENS1_27scan_by_key_config_selectorIifEEZZNS1_16scan_by_key_implILNS1_25lookback_scan_determinismE0ELb0ES3_N6thrust23THRUST_200600_302600_NS6detail15normal_iteratorINS9_10device_ptrIiEEEENSB_INSC_IfEEEESG_fNS9_4plusIvEENS9_8equal_toIvEEfEE10hipError_tPvRmT2_T3_T4_T5_mT6_T7_P12ihipStream_tbENKUlT_T0_E_clISt17integral_constantIbLb1EES10_IbLb0EEEEDaSW_SX_EUlSW_E_NS1_11comp_targetILNS1_3genE8ELNS1_11target_archE1030ELNS1_3gpuE2ELNS1_3repE0EEENS1_30default_config_static_selectorELNS0_4arch9wavefront6targetE0EEEvT1_.uses_vcc, 0
	.set _ZN7rocprim17ROCPRIM_400000_NS6detail17trampoline_kernelINS0_14default_configENS1_27scan_by_key_config_selectorIifEEZZNS1_16scan_by_key_implILNS1_25lookback_scan_determinismE0ELb0ES3_N6thrust23THRUST_200600_302600_NS6detail15normal_iteratorINS9_10device_ptrIiEEEENSB_INSC_IfEEEESG_fNS9_4plusIvEENS9_8equal_toIvEEfEE10hipError_tPvRmT2_T3_T4_T5_mT6_T7_P12ihipStream_tbENKUlT_T0_E_clISt17integral_constantIbLb1EES10_IbLb0EEEEDaSW_SX_EUlSW_E_NS1_11comp_targetILNS1_3genE8ELNS1_11target_archE1030ELNS1_3gpuE2ELNS1_3repE0EEENS1_30default_config_static_selectorELNS0_4arch9wavefront6targetE0EEEvT1_.uses_flat_scratch, 0
	.set _ZN7rocprim17ROCPRIM_400000_NS6detail17trampoline_kernelINS0_14default_configENS1_27scan_by_key_config_selectorIifEEZZNS1_16scan_by_key_implILNS1_25lookback_scan_determinismE0ELb0ES3_N6thrust23THRUST_200600_302600_NS6detail15normal_iteratorINS9_10device_ptrIiEEEENSB_INSC_IfEEEESG_fNS9_4plusIvEENS9_8equal_toIvEEfEE10hipError_tPvRmT2_T3_T4_T5_mT6_T7_P12ihipStream_tbENKUlT_T0_E_clISt17integral_constantIbLb1EES10_IbLb0EEEEDaSW_SX_EUlSW_E_NS1_11comp_targetILNS1_3genE8ELNS1_11target_archE1030ELNS1_3gpuE2ELNS1_3repE0EEENS1_30default_config_static_selectorELNS0_4arch9wavefront6targetE0EEEvT1_.has_dyn_sized_stack, 0
	.set _ZN7rocprim17ROCPRIM_400000_NS6detail17trampoline_kernelINS0_14default_configENS1_27scan_by_key_config_selectorIifEEZZNS1_16scan_by_key_implILNS1_25lookback_scan_determinismE0ELb0ES3_N6thrust23THRUST_200600_302600_NS6detail15normal_iteratorINS9_10device_ptrIiEEEENSB_INSC_IfEEEESG_fNS9_4plusIvEENS9_8equal_toIvEEfEE10hipError_tPvRmT2_T3_T4_T5_mT6_T7_P12ihipStream_tbENKUlT_T0_E_clISt17integral_constantIbLb1EES10_IbLb0EEEEDaSW_SX_EUlSW_E_NS1_11comp_targetILNS1_3genE8ELNS1_11target_archE1030ELNS1_3gpuE2ELNS1_3repE0EEENS1_30default_config_static_selectorELNS0_4arch9wavefront6targetE0EEEvT1_.has_recursion, 0
	.set _ZN7rocprim17ROCPRIM_400000_NS6detail17trampoline_kernelINS0_14default_configENS1_27scan_by_key_config_selectorIifEEZZNS1_16scan_by_key_implILNS1_25lookback_scan_determinismE0ELb0ES3_N6thrust23THRUST_200600_302600_NS6detail15normal_iteratorINS9_10device_ptrIiEEEENSB_INSC_IfEEEESG_fNS9_4plusIvEENS9_8equal_toIvEEfEE10hipError_tPvRmT2_T3_T4_T5_mT6_T7_P12ihipStream_tbENKUlT_T0_E_clISt17integral_constantIbLb1EES10_IbLb0EEEEDaSW_SX_EUlSW_E_NS1_11comp_targetILNS1_3genE8ELNS1_11target_archE1030ELNS1_3gpuE2ELNS1_3repE0EEENS1_30default_config_static_selectorELNS0_4arch9wavefront6targetE0EEEvT1_.has_indirect_call, 0
	.section	.AMDGPU.csdata,"",@progbits
; Kernel info:
; codeLenInByte = 4
; TotalNumSgprs: 0
; NumVgprs: 0
; ScratchSize: 0
; MemoryBound: 0
; FloatMode: 240
; IeeeMode: 1
; LDSByteSize: 0 bytes/workgroup (compile time only)
; SGPRBlocks: 0
; VGPRBlocks: 0
; NumSGPRsForWavesPerEU: 1
; NumVGPRsForWavesPerEU: 1
; Occupancy: 16
; WaveLimiterHint : 0
; COMPUTE_PGM_RSRC2:SCRATCH_EN: 0
; COMPUTE_PGM_RSRC2:USER_SGPR: 6
; COMPUTE_PGM_RSRC2:TRAP_HANDLER: 0
; COMPUTE_PGM_RSRC2:TGID_X_EN: 1
; COMPUTE_PGM_RSRC2:TGID_Y_EN: 0
; COMPUTE_PGM_RSRC2:TGID_Z_EN: 0
; COMPUTE_PGM_RSRC2:TIDIG_COMP_CNT: 0
	.section	.text._ZN7rocprim17ROCPRIM_400000_NS6detail30init_device_scan_by_key_kernelINS1_19lookback_scan_stateINS0_5tupleIJfbEEELb0ELb1EEEN6thrust23THRUST_200600_302600_NS6detail15normal_iteratorINS8_10device_ptrIiEEEEjNS1_16block_id_wrapperIjLb1EEEEEvT_jjPNSG_10value_typeET0_PNSt15iterator_traitsISJ_E10value_typeEmT1_T2_,"axG",@progbits,_ZN7rocprim17ROCPRIM_400000_NS6detail30init_device_scan_by_key_kernelINS1_19lookback_scan_stateINS0_5tupleIJfbEEELb0ELb1EEEN6thrust23THRUST_200600_302600_NS6detail15normal_iteratorINS8_10device_ptrIiEEEEjNS1_16block_id_wrapperIjLb1EEEEEvT_jjPNSG_10value_typeET0_PNSt15iterator_traitsISJ_E10value_typeEmT1_T2_,comdat
	.protected	_ZN7rocprim17ROCPRIM_400000_NS6detail30init_device_scan_by_key_kernelINS1_19lookback_scan_stateINS0_5tupleIJfbEEELb0ELb1EEEN6thrust23THRUST_200600_302600_NS6detail15normal_iteratorINS8_10device_ptrIiEEEEjNS1_16block_id_wrapperIjLb1EEEEEvT_jjPNSG_10value_typeET0_PNSt15iterator_traitsISJ_E10value_typeEmT1_T2_ ; -- Begin function _ZN7rocprim17ROCPRIM_400000_NS6detail30init_device_scan_by_key_kernelINS1_19lookback_scan_stateINS0_5tupleIJfbEEELb0ELb1EEEN6thrust23THRUST_200600_302600_NS6detail15normal_iteratorINS8_10device_ptrIiEEEEjNS1_16block_id_wrapperIjLb1EEEEEvT_jjPNSG_10value_typeET0_PNSt15iterator_traitsISJ_E10value_typeEmT1_T2_
	.globl	_ZN7rocprim17ROCPRIM_400000_NS6detail30init_device_scan_by_key_kernelINS1_19lookback_scan_stateINS0_5tupleIJfbEEELb0ELb1EEEN6thrust23THRUST_200600_302600_NS6detail15normal_iteratorINS8_10device_ptrIiEEEEjNS1_16block_id_wrapperIjLb1EEEEEvT_jjPNSG_10value_typeET0_PNSt15iterator_traitsISJ_E10value_typeEmT1_T2_
	.p2align	8
	.type	_ZN7rocprim17ROCPRIM_400000_NS6detail30init_device_scan_by_key_kernelINS1_19lookback_scan_stateINS0_5tupleIJfbEEELb0ELb1EEEN6thrust23THRUST_200600_302600_NS6detail15normal_iteratorINS8_10device_ptrIiEEEEjNS1_16block_id_wrapperIjLb1EEEEEvT_jjPNSG_10value_typeET0_PNSt15iterator_traitsISJ_E10value_typeEmT1_T2_,@function
_ZN7rocprim17ROCPRIM_400000_NS6detail30init_device_scan_by_key_kernelINS1_19lookback_scan_stateINS0_5tupleIJfbEEELb0ELb1EEEN6thrust23THRUST_200600_302600_NS6detail15normal_iteratorINS8_10device_ptrIiEEEEjNS1_16block_id_wrapperIjLb1EEEEEvT_jjPNSG_10value_typeET0_PNSt15iterator_traitsISJ_E10value_typeEmT1_T2_: ; @_ZN7rocprim17ROCPRIM_400000_NS6detail30init_device_scan_by_key_kernelINS1_19lookback_scan_stateINS0_5tupleIJfbEEELb0ELb1EEEN6thrust23THRUST_200600_302600_NS6detail15normal_iteratorINS8_10device_ptrIiEEEEjNS1_16block_id_wrapperIjLb1EEEEEvT_jjPNSG_10value_typeET0_PNSt15iterator_traitsISJ_E10value_typeEmT1_T2_
; %bb.0:
	s_clause 0x2
	s_load_dword s0, s[4:5], 0x4c
	s_load_dwordx8 s[8:15], s[4:5], 0x0
	s_load_dword s7, s[4:5], 0x40
	s_waitcnt lgkmcnt(0)
	s_and_b32 s16, s0, 0xffff
	s_cmp_eq_u64 s[12:13], 0
	v_mad_u64_u32 v[4:5], null, s6, s16, v[0:1]
	s_cbranch_scc1 .LBB1161_8
; %bb.1:
	s_cmp_lt_u32 s11, s10
	s_mov_b32 s1, 0
	s_cselect_b32 s0, s11, 0
	s_mov_b32 s2, exec_lo
	v_cmpx_eq_u32_e64 s0, v4
	s_cbranch_execz .LBB1161_7
; %bb.2:
	s_add_i32 s0, s11, 32
	v_mov_b32_e32 v6, 0
	s_lshl_b64 s[0:1], s[0:1], 4
	s_mov_b32 s3, exec_lo
	s_add_u32 s0, s8, s0
	s_addc_u32 s1, s9, s1
	v_mov_b32_e32 v0, s0
	v_mov_b32_e32 v1, s1
	;;#ASMSTART
	global_load_dwordx4 v[0:3], v[0:1] off glc dlc	
s_waitcnt vmcnt(0)
	;;#ASMEND
	v_and_b32_e32 v5, 0xff, v2
	v_cmpx_eq_u64_e32 0, v[5:6]
	s_cbranch_execz .LBB1161_6
; %bb.3:
	v_mov_b32_e32 v8, s1
	v_mov_b32_e32 v7, s0
	s_mov_b32 s0, 0
.LBB1161_4:                             ; =>This Inner Loop Header: Depth=1
	;;#ASMSTART
	global_load_dwordx4 v[0:3], v[7:8] off glc dlc	
s_waitcnt vmcnt(0)
	;;#ASMEND
	v_and_b32_e32 v5, 0xff, v2
	v_cmp_ne_u64_e32 vcc_lo, 0, v[5:6]
	s_or_b32 s0, vcc_lo, s0
	s_andn2_b32 exec_lo, exec_lo, s0
	s_cbranch_execnz .LBB1161_4
; %bb.5:
	s_or_b32 exec_lo, exec_lo, s0
.LBB1161_6:
	s_or_b32 exec_lo, exec_lo, s3
	v_mov_b32_e32 v2, 0
	global_store_dword v2, v0, s[12:13]
	global_store_byte v2, v1, s[12:13] offset:4
.LBB1161_7:
	s_or_b32 exec_lo, exec_lo, s2
.LBB1161_8:
	s_mov_b32 s0, exec_lo
	v_cmpx_eq_u32_e32 0, v4
	s_cbranch_execz .LBB1161_10
; %bb.9:
	s_load_dwordx2 s[2:3], s[4:5], 0x38
	v_mov_b32_e32 v0, 0
	s_waitcnt lgkmcnt(0)
	global_store_dword v0, v0, s[2:3]
.LBB1161_10:
	s_or_b32 exec_lo, exec_lo, s0
	s_mov_b32 s0, exec_lo
	v_cmpx_gt_u32_e64 s10, v4
	s_cbranch_execz .LBB1161_12
; %bb.11:
	v_add_nc_u32_e32 v0, 32, v4
	v_mov_b32_e32 v1, 0
	v_lshlrev_b64 v[5:6], 4, v[0:1]
	v_mov_b32_e32 v0, v1
	v_mov_b32_e32 v2, v1
	;; [unrolled: 1-line block ×3, first 2 shown]
	v_add_co_u32 v5, vcc_lo, s8, v5
	v_add_co_ci_u32_e64 v6, null, s9, v6, vcc_lo
	global_store_dwordx4 v[5:6], v[0:3], off
.LBB1161_12:
	s_or_b32 exec_lo, exec_lo, s0
	v_mov_b32_e32 v5, 0
	s_mov_b32 s0, exec_lo
	v_cmpx_gt_u32_e32 32, v4
	s_cbranch_execz .LBB1161_14
; %bb.13:
	v_lshlrev_b64 v[6:7], 4, v[4:5]
	v_mov_b32_e32 v2, 0xff
	v_mov_b32_e32 v0, v5
	;; [unrolled: 1-line block ×4, first 2 shown]
	v_add_co_u32 v6, vcc_lo, s8, v6
	v_add_co_ci_u32_e64 v7, null, s9, v7, vcc_lo
	global_store_dwordx4 v[6:7], v[0:3], off
.LBB1161_14:
	s_or_b32 exec_lo, exec_lo, s0
	s_load_dwordx2 s[2:3], s[4:5], 0x28
	s_mov_b32 s0, exec_lo
	s_waitcnt lgkmcnt(0)
	v_cmpx_gt_u64_e64 s[2:3], v[4:5]
	s_cbranch_execz .LBB1161_17
; %bb.15:
	s_clause 0x1
	s_load_dword s6, s[4:5], 0x30
	s_load_dwordx2 s[8:9], s[4:5], 0x20
	s_mov_b32 s1, 0
	v_lshlrev_b64 v[2:3], 2, v[4:5]
	s_mul_i32 s4, s7, s16
	s_waitcnt lgkmcnt(0)
	v_mad_u64_u32 v[0:1], null, s6, v4, 0
	s_add_i32 s0, s6, -1
	s_mul_hi_u32 s7, s6, s4
	s_lshl_b64 s[10:11], s[0:1], 2
	s_mul_i32 s6, s6, s4
	s_add_u32 s0, s14, s10
	s_addc_u32 s5, s15, s11
	v_lshlrev_b64 v[0:1], 2, v[0:1]
	s_lshl_b64 s[6:7], s[6:7], 2
	v_add_co_u32 v0, vcc_lo, s0, v0
	v_add_co_ci_u32_e64 v1, null, s5, v1, vcc_lo
	v_add_co_u32 v2, vcc_lo, s8, v2
	v_add_co_ci_u32_e64 v3, null, s9, v3, vcc_lo
	s_mov_b32 s5, s1
	s_lshl_b64 s[8:9], s[4:5], 2
	.p2align	6
.LBB1161_16:                            ; =>This Inner Loop Header: Depth=1
	global_load_dword v6, v[0:1], off
	v_add_co_u32 v4, vcc_lo, v4, s4
	v_add_co_ci_u32_e64 v5, null, 0, v5, vcc_lo
	v_add_co_u32 v0, vcc_lo, v0, s6
	v_add_co_ci_u32_e64 v1, null, s7, v1, vcc_lo
	v_cmp_le_u64_e32 vcc_lo, s[2:3], v[4:5]
	s_or_b32 s1, vcc_lo, s1
	s_waitcnt vmcnt(0)
	global_store_dword v[2:3], v6, off
	v_add_co_u32 v2, s0, v2, s8
	v_add_co_ci_u32_e64 v3, null, s9, v3, s0
	s_andn2_b32 exec_lo, exec_lo, s1
	s_cbranch_execnz .LBB1161_16
.LBB1161_17:
	s_endpgm
	.section	.rodata,"a",@progbits
	.p2align	6, 0x0
	.amdhsa_kernel _ZN7rocprim17ROCPRIM_400000_NS6detail30init_device_scan_by_key_kernelINS1_19lookback_scan_stateINS0_5tupleIJfbEEELb0ELb1EEEN6thrust23THRUST_200600_302600_NS6detail15normal_iteratorINS8_10device_ptrIiEEEEjNS1_16block_id_wrapperIjLb1EEEEEvT_jjPNSG_10value_typeET0_PNSt15iterator_traitsISJ_E10value_typeEmT1_T2_
		.amdhsa_group_segment_fixed_size 0
		.amdhsa_private_segment_fixed_size 0
		.amdhsa_kernarg_size 320
		.amdhsa_user_sgpr_count 6
		.amdhsa_user_sgpr_private_segment_buffer 1
		.amdhsa_user_sgpr_dispatch_ptr 0
		.amdhsa_user_sgpr_queue_ptr 0
		.amdhsa_user_sgpr_kernarg_segment_ptr 1
		.amdhsa_user_sgpr_dispatch_id 0
		.amdhsa_user_sgpr_flat_scratch_init 0
		.amdhsa_user_sgpr_private_segment_size 0
		.amdhsa_wavefront_size32 1
		.amdhsa_uses_dynamic_stack 0
		.amdhsa_system_sgpr_private_segment_wavefront_offset 0
		.amdhsa_system_sgpr_workgroup_id_x 1
		.amdhsa_system_sgpr_workgroup_id_y 0
		.amdhsa_system_sgpr_workgroup_id_z 0
		.amdhsa_system_sgpr_workgroup_info 0
		.amdhsa_system_vgpr_workitem_id 0
		.amdhsa_next_free_vgpr 9
		.amdhsa_next_free_sgpr 17
		.amdhsa_reserve_vcc 1
		.amdhsa_reserve_flat_scratch 0
		.amdhsa_float_round_mode_32 0
		.amdhsa_float_round_mode_16_64 0
		.amdhsa_float_denorm_mode_32 3
		.amdhsa_float_denorm_mode_16_64 3
		.amdhsa_dx10_clamp 1
		.amdhsa_ieee_mode 1
		.amdhsa_fp16_overflow 0
		.amdhsa_workgroup_processor_mode 1
		.amdhsa_memory_ordered 1
		.amdhsa_forward_progress 1
		.amdhsa_shared_vgpr_count 0
		.amdhsa_exception_fp_ieee_invalid_op 0
		.amdhsa_exception_fp_denorm_src 0
		.amdhsa_exception_fp_ieee_div_zero 0
		.amdhsa_exception_fp_ieee_overflow 0
		.amdhsa_exception_fp_ieee_underflow 0
		.amdhsa_exception_fp_ieee_inexact 0
		.amdhsa_exception_int_div_zero 0
	.end_amdhsa_kernel
	.section	.text._ZN7rocprim17ROCPRIM_400000_NS6detail30init_device_scan_by_key_kernelINS1_19lookback_scan_stateINS0_5tupleIJfbEEELb0ELb1EEEN6thrust23THRUST_200600_302600_NS6detail15normal_iteratorINS8_10device_ptrIiEEEEjNS1_16block_id_wrapperIjLb1EEEEEvT_jjPNSG_10value_typeET0_PNSt15iterator_traitsISJ_E10value_typeEmT1_T2_,"axG",@progbits,_ZN7rocprim17ROCPRIM_400000_NS6detail30init_device_scan_by_key_kernelINS1_19lookback_scan_stateINS0_5tupleIJfbEEELb0ELb1EEEN6thrust23THRUST_200600_302600_NS6detail15normal_iteratorINS8_10device_ptrIiEEEEjNS1_16block_id_wrapperIjLb1EEEEEvT_jjPNSG_10value_typeET0_PNSt15iterator_traitsISJ_E10value_typeEmT1_T2_,comdat
.Lfunc_end1161:
	.size	_ZN7rocprim17ROCPRIM_400000_NS6detail30init_device_scan_by_key_kernelINS1_19lookback_scan_stateINS0_5tupleIJfbEEELb0ELb1EEEN6thrust23THRUST_200600_302600_NS6detail15normal_iteratorINS8_10device_ptrIiEEEEjNS1_16block_id_wrapperIjLb1EEEEEvT_jjPNSG_10value_typeET0_PNSt15iterator_traitsISJ_E10value_typeEmT1_T2_, .Lfunc_end1161-_ZN7rocprim17ROCPRIM_400000_NS6detail30init_device_scan_by_key_kernelINS1_19lookback_scan_stateINS0_5tupleIJfbEEELb0ELb1EEEN6thrust23THRUST_200600_302600_NS6detail15normal_iteratorINS8_10device_ptrIiEEEEjNS1_16block_id_wrapperIjLb1EEEEEvT_jjPNSG_10value_typeET0_PNSt15iterator_traitsISJ_E10value_typeEmT1_T2_
                                        ; -- End function
	.set _ZN7rocprim17ROCPRIM_400000_NS6detail30init_device_scan_by_key_kernelINS1_19lookback_scan_stateINS0_5tupleIJfbEEELb0ELb1EEEN6thrust23THRUST_200600_302600_NS6detail15normal_iteratorINS8_10device_ptrIiEEEEjNS1_16block_id_wrapperIjLb1EEEEEvT_jjPNSG_10value_typeET0_PNSt15iterator_traitsISJ_E10value_typeEmT1_T2_.num_vgpr, 9
	.set _ZN7rocprim17ROCPRIM_400000_NS6detail30init_device_scan_by_key_kernelINS1_19lookback_scan_stateINS0_5tupleIJfbEEELb0ELb1EEEN6thrust23THRUST_200600_302600_NS6detail15normal_iteratorINS8_10device_ptrIiEEEEjNS1_16block_id_wrapperIjLb1EEEEEvT_jjPNSG_10value_typeET0_PNSt15iterator_traitsISJ_E10value_typeEmT1_T2_.num_agpr, 0
	.set _ZN7rocprim17ROCPRIM_400000_NS6detail30init_device_scan_by_key_kernelINS1_19lookback_scan_stateINS0_5tupleIJfbEEELb0ELb1EEEN6thrust23THRUST_200600_302600_NS6detail15normal_iteratorINS8_10device_ptrIiEEEEjNS1_16block_id_wrapperIjLb1EEEEEvT_jjPNSG_10value_typeET0_PNSt15iterator_traitsISJ_E10value_typeEmT1_T2_.numbered_sgpr, 17
	.set _ZN7rocprim17ROCPRIM_400000_NS6detail30init_device_scan_by_key_kernelINS1_19lookback_scan_stateINS0_5tupleIJfbEEELb0ELb1EEEN6thrust23THRUST_200600_302600_NS6detail15normal_iteratorINS8_10device_ptrIiEEEEjNS1_16block_id_wrapperIjLb1EEEEEvT_jjPNSG_10value_typeET0_PNSt15iterator_traitsISJ_E10value_typeEmT1_T2_.num_named_barrier, 0
	.set _ZN7rocprim17ROCPRIM_400000_NS6detail30init_device_scan_by_key_kernelINS1_19lookback_scan_stateINS0_5tupleIJfbEEELb0ELb1EEEN6thrust23THRUST_200600_302600_NS6detail15normal_iteratorINS8_10device_ptrIiEEEEjNS1_16block_id_wrapperIjLb1EEEEEvT_jjPNSG_10value_typeET0_PNSt15iterator_traitsISJ_E10value_typeEmT1_T2_.private_seg_size, 0
	.set _ZN7rocprim17ROCPRIM_400000_NS6detail30init_device_scan_by_key_kernelINS1_19lookback_scan_stateINS0_5tupleIJfbEEELb0ELb1EEEN6thrust23THRUST_200600_302600_NS6detail15normal_iteratorINS8_10device_ptrIiEEEEjNS1_16block_id_wrapperIjLb1EEEEEvT_jjPNSG_10value_typeET0_PNSt15iterator_traitsISJ_E10value_typeEmT1_T2_.uses_vcc, 1
	.set _ZN7rocprim17ROCPRIM_400000_NS6detail30init_device_scan_by_key_kernelINS1_19lookback_scan_stateINS0_5tupleIJfbEEELb0ELb1EEEN6thrust23THRUST_200600_302600_NS6detail15normal_iteratorINS8_10device_ptrIiEEEEjNS1_16block_id_wrapperIjLb1EEEEEvT_jjPNSG_10value_typeET0_PNSt15iterator_traitsISJ_E10value_typeEmT1_T2_.uses_flat_scratch, 0
	.set _ZN7rocprim17ROCPRIM_400000_NS6detail30init_device_scan_by_key_kernelINS1_19lookback_scan_stateINS0_5tupleIJfbEEELb0ELb1EEEN6thrust23THRUST_200600_302600_NS6detail15normal_iteratorINS8_10device_ptrIiEEEEjNS1_16block_id_wrapperIjLb1EEEEEvT_jjPNSG_10value_typeET0_PNSt15iterator_traitsISJ_E10value_typeEmT1_T2_.has_dyn_sized_stack, 0
	.set _ZN7rocprim17ROCPRIM_400000_NS6detail30init_device_scan_by_key_kernelINS1_19lookback_scan_stateINS0_5tupleIJfbEEELb0ELb1EEEN6thrust23THRUST_200600_302600_NS6detail15normal_iteratorINS8_10device_ptrIiEEEEjNS1_16block_id_wrapperIjLb1EEEEEvT_jjPNSG_10value_typeET0_PNSt15iterator_traitsISJ_E10value_typeEmT1_T2_.has_recursion, 0
	.set _ZN7rocprim17ROCPRIM_400000_NS6detail30init_device_scan_by_key_kernelINS1_19lookback_scan_stateINS0_5tupleIJfbEEELb0ELb1EEEN6thrust23THRUST_200600_302600_NS6detail15normal_iteratorINS8_10device_ptrIiEEEEjNS1_16block_id_wrapperIjLb1EEEEEvT_jjPNSG_10value_typeET0_PNSt15iterator_traitsISJ_E10value_typeEmT1_T2_.has_indirect_call, 0
	.section	.AMDGPU.csdata,"",@progbits
; Kernel info:
; codeLenInByte = 728
; TotalNumSgprs: 19
; NumVgprs: 9
; ScratchSize: 0
; MemoryBound: 0
; FloatMode: 240
; IeeeMode: 1
; LDSByteSize: 0 bytes/workgroup (compile time only)
; SGPRBlocks: 0
; VGPRBlocks: 1
; NumSGPRsForWavesPerEU: 19
; NumVGPRsForWavesPerEU: 9
; Occupancy: 16
; WaveLimiterHint : 0
; COMPUTE_PGM_RSRC2:SCRATCH_EN: 0
; COMPUTE_PGM_RSRC2:USER_SGPR: 6
; COMPUTE_PGM_RSRC2:TRAP_HANDLER: 0
; COMPUTE_PGM_RSRC2:TGID_X_EN: 1
; COMPUTE_PGM_RSRC2:TGID_Y_EN: 0
; COMPUTE_PGM_RSRC2:TGID_Z_EN: 0
; COMPUTE_PGM_RSRC2:TIDIG_COMP_CNT: 0
	.section	.text._ZN7rocprim17ROCPRIM_400000_NS6detail30init_device_scan_by_key_kernelINS1_19lookback_scan_stateINS0_5tupleIJfbEEELb0ELb1EEENS1_16block_id_wrapperIjLb1EEEEEvT_jjPNS9_10value_typeET0_,"axG",@progbits,_ZN7rocprim17ROCPRIM_400000_NS6detail30init_device_scan_by_key_kernelINS1_19lookback_scan_stateINS0_5tupleIJfbEEELb0ELb1EEENS1_16block_id_wrapperIjLb1EEEEEvT_jjPNS9_10value_typeET0_,comdat
	.protected	_ZN7rocprim17ROCPRIM_400000_NS6detail30init_device_scan_by_key_kernelINS1_19lookback_scan_stateINS0_5tupleIJfbEEELb0ELb1EEENS1_16block_id_wrapperIjLb1EEEEEvT_jjPNS9_10value_typeET0_ ; -- Begin function _ZN7rocprim17ROCPRIM_400000_NS6detail30init_device_scan_by_key_kernelINS1_19lookback_scan_stateINS0_5tupleIJfbEEELb0ELb1EEENS1_16block_id_wrapperIjLb1EEEEEvT_jjPNS9_10value_typeET0_
	.globl	_ZN7rocprim17ROCPRIM_400000_NS6detail30init_device_scan_by_key_kernelINS1_19lookback_scan_stateINS0_5tupleIJfbEEELb0ELb1EEENS1_16block_id_wrapperIjLb1EEEEEvT_jjPNS9_10value_typeET0_
	.p2align	8
	.type	_ZN7rocprim17ROCPRIM_400000_NS6detail30init_device_scan_by_key_kernelINS1_19lookback_scan_stateINS0_5tupleIJfbEEELb0ELb1EEENS1_16block_id_wrapperIjLb1EEEEEvT_jjPNS9_10value_typeET0_,@function
_ZN7rocprim17ROCPRIM_400000_NS6detail30init_device_scan_by_key_kernelINS1_19lookback_scan_stateINS0_5tupleIJfbEEELb0ELb1EEENS1_16block_id_wrapperIjLb1EEEEEvT_jjPNS9_10value_typeET0_: ; @_ZN7rocprim17ROCPRIM_400000_NS6detail30init_device_scan_by_key_kernelINS1_19lookback_scan_stateINS0_5tupleIJfbEEELb0ELb1EEENS1_16block_id_wrapperIjLb1EEEEEvT_jjPNS9_10value_typeET0_
; %bb.0:
	s_clause 0x1
	s_load_dword s0, s[4:5], 0x2c
	s_load_dwordx8 s[8:15], s[4:5], 0x0
	s_waitcnt lgkmcnt(0)
	s_and_b32 s0, s0, 0xffff
	s_cmp_eq_u64 s[12:13], 0
	v_mad_u64_u32 v[0:1], null, s6, s0, v[0:1]
	s_cbranch_scc1 .LBB1162_8
; %bb.1:
	s_cmp_lt_u32 s11, s10
	s_mov_b32 s1, 0
	s_cselect_b32 s0, s11, 0
	s_mov_b32 s2, exec_lo
	v_cmpx_eq_u32_e64 s0, v0
	s_cbranch_execz .LBB1162_7
; %bb.2:
	s_add_i32 s0, s11, 32
	v_mov_b32_e32 v5, 0
	s_lshl_b64 s[0:1], s[0:1], 4
	s_mov_b32 s3, exec_lo
	s_add_u32 s0, s8, s0
	s_addc_u32 s1, s9, s1
	v_mov_b32_e32 v2, s1
	v_mov_b32_e32 v1, s0
	;;#ASMSTART
	global_load_dwordx4 v[1:4], v[1:2] off glc dlc	
s_waitcnt vmcnt(0)
	;;#ASMEND
	v_and_b32_e32 v4, 0xff, v3
	v_cmpx_eq_u64_e32 0, v[4:5]
	s_cbranch_execz .LBB1162_6
; %bb.3:
	v_mov_b32_e32 v7, s1
	v_mov_b32_e32 v6, s0
	s_mov_b32 s0, 0
.LBB1162_4:                             ; =>This Inner Loop Header: Depth=1
	;;#ASMSTART
	global_load_dwordx4 v[1:4], v[6:7] off glc dlc	
s_waitcnt vmcnt(0)
	;;#ASMEND
	v_and_b32_e32 v4, 0xff, v3
	v_cmp_ne_u64_e32 vcc_lo, 0, v[4:5]
	s_or_b32 s0, vcc_lo, s0
	s_andn2_b32 exec_lo, exec_lo, s0
	s_cbranch_execnz .LBB1162_4
; %bb.5:
	s_or_b32 exec_lo, exec_lo, s0
.LBB1162_6:
	s_or_b32 exec_lo, exec_lo, s3
	v_mov_b32_e32 v3, 0
	global_store_dword v3, v1, s[12:13]
	global_store_byte v3, v2, s[12:13] offset:4
.LBB1162_7:
	s_or_b32 exec_lo, exec_lo, s2
.LBB1162_8:
	s_mov_b32 s0, exec_lo
	v_cmpx_eq_u32_e32 0, v0
	s_cbranch_execz .LBB1162_10
; %bb.9:
	v_mov_b32_e32 v1, 0
	global_store_dword v1, v1, s[14:15]
.LBB1162_10:
	s_or_b32 exec_lo, exec_lo, s0
	s_mov_b32 s0, exec_lo
	v_cmpx_gt_u32_e64 s10, v0
	s_cbranch_execz .LBB1162_12
; %bb.11:
	v_add_nc_u32_e32 v1, 32, v0
	v_mov_b32_e32 v2, 0
	v_lshlrev_b64 v[4:5], 4, v[1:2]
	v_mov_b32_e32 v1, v2
	v_mov_b32_e32 v3, v2
	v_add_co_u32 v6, vcc_lo, s8, v4
	v_add_co_ci_u32_e64 v7, null, s9, v5, vcc_lo
	v_mov_b32_e32 v4, v2
	global_store_dwordx4 v[6:7], v[1:4], off
.LBB1162_12:
	s_or_b32 exec_lo, exec_lo, s0
	s_mov_b32 s0, exec_lo
	v_cmpx_gt_u32_e32 32, v0
	s_cbranch_execz .LBB1162_14
; %bb.13:
	v_mov_b32_e32 v1, 0
	v_mov_b32_e32 v2, 0xff
	v_lshlrev_b64 v[3:4], 4, v[0:1]
	v_mov_b32_e32 v0, v1
	v_add_co_u32 v5, vcc_lo, s8, v3
	v_add_co_ci_u32_e64 v6, null, s9, v4, vcc_lo
	v_mov_b32_e32 v3, v1
	global_store_dwordx4 v[5:6], v[0:3], off
.LBB1162_14:
	s_endpgm
	.section	.rodata,"a",@progbits
	.p2align	6, 0x0
	.amdhsa_kernel _ZN7rocprim17ROCPRIM_400000_NS6detail30init_device_scan_by_key_kernelINS1_19lookback_scan_stateINS0_5tupleIJfbEEELb0ELb1EEENS1_16block_id_wrapperIjLb1EEEEEvT_jjPNS9_10value_typeET0_
		.amdhsa_group_segment_fixed_size 0
		.amdhsa_private_segment_fixed_size 0
		.amdhsa_kernarg_size 288
		.amdhsa_user_sgpr_count 6
		.amdhsa_user_sgpr_private_segment_buffer 1
		.amdhsa_user_sgpr_dispatch_ptr 0
		.amdhsa_user_sgpr_queue_ptr 0
		.amdhsa_user_sgpr_kernarg_segment_ptr 1
		.amdhsa_user_sgpr_dispatch_id 0
		.amdhsa_user_sgpr_flat_scratch_init 0
		.amdhsa_user_sgpr_private_segment_size 0
		.amdhsa_wavefront_size32 1
		.amdhsa_uses_dynamic_stack 0
		.amdhsa_system_sgpr_private_segment_wavefront_offset 0
		.amdhsa_system_sgpr_workgroup_id_x 1
		.amdhsa_system_sgpr_workgroup_id_y 0
		.amdhsa_system_sgpr_workgroup_id_z 0
		.amdhsa_system_sgpr_workgroup_info 0
		.amdhsa_system_vgpr_workitem_id 0
		.amdhsa_next_free_vgpr 8
		.amdhsa_next_free_sgpr 16
		.amdhsa_reserve_vcc 1
		.amdhsa_reserve_flat_scratch 0
		.amdhsa_float_round_mode_32 0
		.amdhsa_float_round_mode_16_64 0
		.amdhsa_float_denorm_mode_32 3
		.amdhsa_float_denorm_mode_16_64 3
		.amdhsa_dx10_clamp 1
		.amdhsa_ieee_mode 1
		.amdhsa_fp16_overflow 0
		.amdhsa_workgroup_processor_mode 1
		.amdhsa_memory_ordered 1
		.amdhsa_forward_progress 1
		.amdhsa_shared_vgpr_count 0
		.amdhsa_exception_fp_ieee_invalid_op 0
		.amdhsa_exception_fp_denorm_src 0
		.amdhsa_exception_fp_ieee_div_zero 0
		.amdhsa_exception_fp_ieee_overflow 0
		.amdhsa_exception_fp_ieee_underflow 0
		.amdhsa_exception_fp_ieee_inexact 0
		.amdhsa_exception_int_div_zero 0
	.end_amdhsa_kernel
	.section	.text._ZN7rocprim17ROCPRIM_400000_NS6detail30init_device_scan_by_key_kernelINS1_19lookback_scan_stateINS0_5tupleIJfbEEELb0ELb1EEENS1_16block_id_wrapperIjLb1EEEEEvT_jjPNS9_10value_typeET0_,"axG",@progbits,_ZN7rocprim17ROCPRIM_400000_NS6detail30init_device_scan_by_key_kernelINS1_19lookback_scan_stateINS0_5tupleIJfbEEELb0ELb1EEENS1_16block_id_wrapperIjLb1EEEEEvT_jjPNS9_10value_typeET0_,comdat
.Lfunc_end1162:
	.size	_ZN7rocprim17ROCPRIM_400000_NS6detail30init_device_scan_by_key_kernelINS1_19lookback_scan_stateINS0_5tupleIJfbEEELb0ELb1EEENS1_16block_id_wrapperIjLb1EEEEEvT_jjPNS9_10value_typeET0_, .Lfunc_end1162-_ZN7rocprim17ROCPRIM_400000_NS6detail30init_device_scan_by_key_kernelINS1_19lookback_scan_stateINS0_5tupleIJfbEEELb0ELb1EEENS1_16block_id_wrapperIjLb1EEEEEvT_jjPNS9_10value_typeET0_
                                        ; -- End function
	.set _ZN7rocprim17ROCPRIM_400000_NS6detail30init_device_scan_by_key_kernelINS1_19lookback_scan_stateINS0_5tupleIJfbEEELb0ELb1EEENS1_16block_id_wrapperIjLb1EEEEEvT_jjPNS9_10value_typeET0_.num_vgpr, 8
	.set _ZN7rocprim17ROCPRIM_400000_NS6detail30init_device_scan_by_key_kernelINS1_19lookback_scan_stateINS0_5tupleIJfbEEELb0ELb1EEENS1_16block_id_wrapperIjLb1EEEEEvT_jjPNS9_10value_typeET0_.num_agpr, 0
	.set _ZN7rocprim17ROCPRIM_400000_NS6detail30init_device_scan_by_key_kernelINS1_19lookback_scan_stateINS0_5tupleIJfbEEELb0ELb1EEENS1_16block_id_wrapperIjLb1EEEEEvT_jjPNS9_10value_typeET0_.numbered_sgpr, 16
	.set _ZN7rocprim17ROCPRIM_400000_NS6detail30init_device_scan_by_key_kernelINS1_19lookback_scan_stateINS0_5tupleIJfbEEELb0ELb1EEENS1_16block_id_wrapperIjLb1EEEEEvT_jjPNS9_10value_typeET0_.num_named_barrier, 0
	.set _ZN7rocprim17ROCPRIM_400000_NS6detail30init_device_scan_by_key_kernelINS1_19lookback_scan_stateINS0_5tupleIJfbEEELb0ELb1EEENS1_16block_id_wrapperIjLb1EEEEEvT_jjPNS9_10value_typeET0_.private_seg_size, 0
	.set _ZN7rocprim17ROCPRIM_400000_NS6detail30init_device_scan_by_key_kernelINS1_19lookback_scan_stateINS0_5tupleIJfbEEELb0ELb1EEENS1_16block_id_wrapperIjLb1EEEEEvT_jjPNS9_10value_typeET0_.uses_vcc, 1
	.set _ZN7rocprim17ROCPRIM_400000_NS6detail30init_device_scan_by_key_kernelINS1_19lookback_scan_stateINS0_5tupleIJfbEEELb0ELb1EEENS1_16block_id_wrapperIjLb1EEEEEvT_jjPNS9_10value_typeET0_.uses_flat_scratch, 0
	.set _ZN7rocprim17ROCPRIM_400000_NS6detail30init_device_scan_by_key_kernelINS1_19lookback_scan_stateINS0_5tupleIJfbEEELb0ELb1EEENS1_16block_id_wrapperIjLb1EEEEEvT_jjPNS9_10value_typeET0_.has_dyn_sized_stack, 0
	.set _ZN7rocprim17ROCPRIM_400000_NS6detail30init_device_scan_by_key_kernelINS1_19lookback_scan_stateINS0_5tupleIJfbEEELb0ELb1EEENS1_16block_id_wrapperIjLb1EEEEEvT_jjPNS9_10value_typeET0_.has_recursion, 0
	.set _ZN7rocprim17ROCPRIM_400000_NS6detail30init_device_scan_by_key_kernelINS1_19lookback_scan_stateINS0_5tupleIJfbEEELb0ELb1EEENS1_16block_id_wrapperIjLb1EEEEEvT_jjPNS9_10value_typeET0_.has_indirect_call, 0
	.section	.AMDGPU.csdata,"",@progbits
; Kernel info:
; codeLenInByte = 440
; TotalNumSgprs: 18
; NumVgprs: 8
; ScratchSize: 0
; MemoryBound: 0
; FloatMode: 240
; IeeeMode: 1
; LDSByteSize: 0 bytes/workgroup (compile time only)
; SGPRBlocks: 0
; VGPRBlocks: 0
; NumSGPRsForWavesPerEU: 18
; NumVGPRsForWavesPerEU: 8
; Occupancy: 16
; WaveLimiterHint : 0
; COMPUTE_PGM_RSRC2:SCRATCH_EN: 0
; COMPUTE_PGM_RSRC2:USER_SGPR: 6
; COMPUTE_PGM_RSRC2:TRAP_HANDLER: 0
; COMPUTE_PGM_RSRC2:TGID_X_EN: 1
; COMPUTE_PGM_RSRC2:TGID_Y_EN: 0
; COMPUTE_PGM_RSRC2:TGID_Z_EN: 0
; COMPUTE_PGM_RSRC2:TIDIG_COMP_CNT: 0
	.section	.text._ZN7rocprim17ROCPRIM_400000_NS6detail17trampoline_kernelINS0_14default_configENS1_27scan_by_key_config_selectorIifEEZZNS1_16scan_by_key_implILNS1_25lookback_scan_determinismE0ELb0ES3_N6thrust23THRUST_200600_302600_NS6detail15normal_iteratorINS9_10device_ptrIiEEEENSB_INSC_IfEEEESG_fNS9_4plusIvEENS9_8equal_toIvEEfEE10hipError_tPvRmT2_T3_T4_T5_mT6_T7_P12ihipStream_tbENKUlT_T0_E_clISt17integral_constantIbLb0EES10_IbLb1EEEEDaSW_SX_EUlSW_E_NS1_11comp_targetILNS1_3genE0ELNS1_11target_archE4294967295ELNS1_3gpuE0ELNS1_3repE0EEENS1_30default_config_static_selectorELNS0_4arch9wavefront6targetE0EEEvT1_,"axG",@progbits,_ZN7rocprim17ROCPRIM_400000_NS6detail17trampoline_kernelINS0_14default_configENS1_27scan_by_key_config_selectorIifEEZZNS1_16scan_by_key_implILNS1_25lookback_scan_determinismE0ELb0ES3_N6thrust23THRUST_200600_302600_NS6detail15normal_iteratorINS9_10device_ptrIiEEEENSB_INSC_IfEEEESG_fNS9_4plusIvEENS9_8equal_toIvEEfEE10hipError_tPvRmT2_T3_T4_T5_mT6_T7_P12ihipStream_tbENKUlT_T0_E_clISt17integral_constantIbLb0EES10_IbLb1EEEEDaSW_SX_EUlSW_E_NS1_11comp_targetILNS1_3genE0ELNS1_11target_archE4294967295ELNS1_3gpuE0ELNS1_3repE0EEENS1_30default_config_static_selectorELNS0_4arch9wavefront6targetE0EEEvT1_,comdat
	.protected	_ZN7rocprim17ROCPRIM_400000_NS6detail17trampoline_kernelINS0_14default_configENS1_27scan_by_key_config_selectorIifEEZZNS1_16scan_by_key_implILNS1_25lookback_scan_determinismE0ELb0ES3_N6thrust23THRUST_200600_302600_NS6detail15normal_iteratorINS9_10device_ptrIiEEEENSB_INSC_IfEEEESG_fNS9_4plusIvEENS9_8equal_toIvEEfEE10hipError_tPvRmT2_T3_T4_T5_mT6_T7_P12ihipStream_tbENKUlT_T0_E_clISt17integral_constantIbLb0EES10_IbLb1EEEEDaSW_SX_EUlSW_E_NS1_11comp_targetILNS1_3genE0ELNS1_11target_archE4294967295ELNS1_3gpuE0ELNS1_3repE0EEENS1_30default_config_static_selectorELNS0_4arch9wavefront6targetE0EEEvT1_ ; -- Begin function _ZN7rocprim17ROCPRIM_400000_NS6detail17trampoline_kernelINS0_14default_configENS1_27scan_by_key_config_selectorIifEEZZNS1_16scan_by_key_implILNS1_25lookback_scan_determinismE0ELb0ES3_N6thrust23THRUST_200600_302600_NS6detail15normal_iteratorINS9_10device_ptrIiEEEENSB_INSC_IfEEEESG_fNS9_4plusIvEENS9_8equal_toIvEEfEE10hipError_tPvRmT2_T3_T4_T5_mT6_T7_P12ihipStream_tbENKUlT_T0_E_clISt17integral_constantIbLb0EES10_IbLb1EEEEDaSW_SX_EUlSW_E_NS1_11comp_targetILNS1_3genE0ELNS1_11target_archE4294967295ELNS1_3gpuE0ELNS1_3repE0EEENS1_30default_config_static_selectorELNS0_4arch9wavefront6targetE0EEEvT1_
	.globl	_ZN7rocprim17ROCPRIM_400000_NS6detail17trampoline_kernelINS0_14default_configENS1_27scan_by_key_config_selectorIifEEZZNS1_16scan_by_key_implILNS1_25lookback_scan_determinismE0ELb0ES3_N6thrust23THRUST_200600_302600_NS6detail15normal_iteratorINS9_10device_ptrIiEEEENSB_INSC_IfEEEESG_fNS9_4plusIvEENS9_8equal_toIvEEfEE10hipError_tPvRmT2_T3_T4_T5_mT6_T7_P12ihipStream_tbENKUlT_T0_E_clISt17integral_constantIbLb0EES10_IbLb1EEEEDaSW_SX_EUlSW_E_NS1_11comp_targetILNS1_3genE0ELNS1_11target_archE4294967295ELNS1_3gpuE0ELNS1_3repE0EEENS1_30default_config_static_selectorELNS0_4arch9wavefront6targetE0EEEvT1_
	.p2align	8
	.type	_ZN7rocprim17ROCPRIM_400000_NS6detail17trampoline_kernelINS0_14default_configENS1_27scan_by_key_config_selectorIifEEZZNS1_16scan_by_key_implILNS1_25lookback_scan_determinismE0ELb0ES3_N6thrust23THRUST_200600_302600_NS6detail15normal_iteratorINS9_10device_ptrIiEEEENSB_INSC_IfEEEESG_fNS9_4plusIvEENS9_8equal_toIvEEfEE10hipError_tPvRmT2_T3_T4_T5_mT6_T7_P12ihipStream_tbENKUlT_T0_E_clISt17integral_constantIbLb0EES10_IbLb1EEEEDaSW_SX_EUlSW_E_NS1_11comp_targetILNS1_3genE0ELNS1_11target_archE4294967295ELNS1_3gpuE0ELNS1_3repE0EEENS1_30default_config_static_selectorELNS0_4arch9wavefront6targetE0EEEvT1_,@function
_ZN7rocprim17ROCPRIM_400000_NS6detail17trampoline_kernelINS0_14default_configENS1_27scan_by_key_config_selectorIifEEZZNS1_16scan_by_key_implILNS1_25lookback_scan_determinismE0ELb0ES3_N6thrust23THRUST_200600_302600_NS6detail15normal_iteratorINS9_10device_ptrIiEEEENSB_INSC_IfEEEESG_fNS9_4plusIvEENS9_8equal_toIvEEfEE10hipError_tPvRmT2_T3_T4_T5_mT6_T7_P12ihipStream_tbENKUlT_T0_E_clISt17integral_constantIbLb0EES10_IbLb1EEEEDaSW_SX_EUlSW_E_NS1_11comp_targetILNS1_3genE0ELNS1_11target_archE4294967295ELNS1_3gpuE0ELNS1_3repE0EEENS1_30default_config_static_selectorELNS0_4arch9wavefront6targetE0EEEvT1_: ; @_ZN7rocprim17ROCPRIM_400000_NS6detail17trampoline_kernelINS0_14default_configENS1_27scan_by_key_config_selectorIifEEZZNS1_16scan_by_key_implILNS1_25lookback_scan_determinismE0ELb0ES3_N6thrust23THRUST_200600_302600_NS6detail15normal_iteratorINS9_10device_ptrIiEEEENSB_INSC_IfEEEESG_fNS9_4plusIvEENS9_8equal_toIvEEfEE10hipError_tPvRmT2_T3_T4_T5_mT6_T7_P12ihipStream_tbENKUlT_T0_E_clISt17integral_constantIbLb0EES10_IbLb1EEEEDaSW_SX_EUlSW_E_NS1_11comp_targetILNS1_3genE0ELNS1_11target_archE4294967295ELNS1_3gpuE0ELNS1_3repE0EEENS1_30default_config_static_selectorELNS0_4arch9wavefront6targetE0EEEvT1_
; %bb.0:
	.section	.rodata,"a",@progbits
	.p2align	6, 0x0
	.amdhsa_kernel _ZN7rocprim17ROCPRIM_400000_NS6detail17trampoline_kernelINS0_14default_configENS1_27scan_by_key_config_selectorIifEEZZNS1_16scan_by_key_implILNS1_25lookback_scan_determinismE0ELb0ES3_N6thrust23THRUST_200600_302600_NS6detail15normal_iteratorINS9_10device_ptrIiEEEENSB_INSC_IfEEEESG_fNS9_4plusIvEENS9_8equal_toIvEEfEE10hipError_tPvRmT2_T3_T4_T5_mT6_T7_P12ihipStream_tbENKUlT_T0_E_clISt17integral_constantIbLb0EES10_IbLb1EEEEDaSW_SX_EUlSW_E_NS1_11comp_targetILNS1_3genE0ELNS1_11target_archE4294967295ELNS1_3gpuE0ELNS1_3repE0EEENS1_30default_config_static_selectorELNS0_4arch9wavefront6targetE0EEEvT1_
		.amdhsa_group_segment_fixed_size 0
		.amdhsa_private_segment_fixed_size 0
		.amdhsa_kernarg_size 112
		.amdhsa_user_sgpr_count 6
		.amdhsa_user_sgpr_private_segment_buffer 1
		.amdhsa_user_sgpr_dispatch_ptr 0
		.amdhsa_user_sgpr_queue_ptr 0
		.amdhsa_user_sgpr_kernarg_segment_ptr 1
		.amdhsa_user_sgpr_dispatch_id 0
		.amdhsa_user_sgpr_flat_scratch_init 0
		.amdhsa_user_sgpr_private_segment_size 0
		.amdhsa_wavefront_size32 1
		.amdhsa_uses_dynamic_stack 0
		.amdhsa_system_sgpr_private_segment_wavefront_offset 0
		.amdhsa_system_sgpr_workgroup_id_x 1
		.amdhsa_system_sgpr_workgroup_id_y 0
		.amdhsa_system_sgpr_workgroup_id_z 0
		.amdhsa_system_sgpr_workgroup_info 0
		.amdhsa_system_vgpr_workitem_id 0
		.amdhsa_next_free_vgpr 1
		.amdhsa_next_free_sgpr 1
		.amdhsa_reserve_vcc 0
		.amdhsa_reserve_flat_scratch 0
		.amdhsa_float_round_mode_32 0
		.amdhsa_float_round_mode_16_64 0
		.amdhsa_float_denorm_mode_32 3
		.amdhsa_float_denorm_mode_16_64 3
		.amdhsa_dx10_clamp 1
		.amdhsa_ieee_mode 1
		.amdhsa_fp16_overflow 0
		.amdhsa_workgroup_processor_mode 1
		.amdhsa_memory_ordered 1
		.amdhsa_forward_progress 1
		.amdhsa_shared_vgpr_count 0
		.amdhsa_exception_fp_ieee_invalid_op 0
		.amdhsa_exception_fp_denorm_src 0
		.amdhsa_exception_fp_ieee_div_zero 0
		.amdhsa_exception_fp_ieee_overflow 0
		.amdhsa_exception_fp_ieee_underflow 0
		.amdhsa_exception_fp_ieee_inexact 0
		.amdhsa_exception_int_div_zero 0
	.end_amdhsa_kernel
	.section	.text._ZN7rocprim17ROCPRIM_400000_NS6detail17trampoline_kernelINS0_14default_configENS1_27scan_by_key_config_selectorIifEEZZNS1_16scan_by_key_implILNS1_25lookback_scan_determinismE0ELb0ES3_N6thrust23THRUST_200600_302600_NS6detail15normal_iteratorINS9_10device_ptrIiEEEENSB_INSC_IfEEEESG_fNS9_4plusIvEENS9_8equal_toIvEEfEE10hipError_tPvRmT2_T3_T4_T5_mT6_T7_P12ihipStream_tbENKUlT_T0_E_clISt17integral_constantIbLb0EES10_IbLb1EEEEDaSW_SX_EUlSW_E_NS1_11comp_targetILNS1_3genE0ELNS1_11target_archE4294967295ELNS1_3gpuE0ELNS1_3repE0EEENS1_30default_config_static_selectorELNS0_4arch9wavefront6targetE0EEEvT1_,"axG",@progbits,_ZN7rocprim17ROCPRIM_400000_NS6detail17trampoline_kernelINS0_14default_configENS1_27scan_by_key_config_selectorIifEEZZNS1_16scan_by_key_implILNS1_25lookback_scan_determinismE0ELb0ES3_N6thrust23THRUST_200600_302600_NS6detail15normal_iteratorINS9_10device_ptrIiEEEENSB_INSC_IfEEEESG_fNS9_4plusIvEENS9_8equal_toIvEEfEE10hipError_tPvRmT2_T3_T4_T5_mT6_T7_P12ihipStream_tbENKUlT_T0_E_clISt17integral_constantIbLb0EES10_IbLb1EEEEDaSW_SX_EUlSW_E_NS1_11comp_targetILNS1_3genE0ELNS1_11target_archE4294967295ELNS1_3gpuE0ELNS1_3repE0EEENS1_30default_config_static_selectorELNS0_4arch9wavefront6targetE0EEEvT1_,comdat
.Lfunc_end1163:
	.size	_ZN7rocprim17ROCPRIM_400000_NS6detail17trampoline_kernelINS0_14default_configENS1_27scan_by_key_config_selectorIifEEZZNS1_16scan_by_key_implILNS1_25lookback_scan_determinismE0ELb0ES3_N6thrust23THRUST_200600_302600_NS6detail15normal_iteratorINS9_10device_ptrIiEEEENSB_INSC_IfEEEESG_fNS9_4plusIvEENS9_8equal_toIvEEfEE10hipError_tPvRmT2_T3_T4_T5_mT6_T7_P12ihipStream_tbENKUlT_T0_E_clISt17integral_constantIbLb0EES10_IbLb1EEEEDaSW_SX_EUlSW_E_NS1_11comp_targetILNS1_3genE0ELNS1_11target_archE4294967295ELNS1_3gpuE0ELNS1_3repE0EEENS1_30default_config_static_selectorELNS0_4arch9wavefront6targetE0EEEvT1_, .Lfunc_end1163-_ZN7rocprim17ROCPRIM_400000_NS6detail17trampoline_kernelINS0_14default_configENS1_27scan_by_key_config_selectorIifEEZZNS1_16scan_by_key_implILNS1_25lookback_scan_determinismE0ELb0ES3_N6thrust23THRUST_200600_302600_NS6detail15normal_iteratorINS9_10device_ptrIiEEEENSB_INSC_IfEEEESG_fNS9_4plusIvEENS9_8equal_toIvEEfEE10hipError_tPvRmT2_T3_T4_T5_mT6_T7_P12ihipStream_tbENKUlT_T0_E_clISt17integral_constantIbLb0EES10_IbLb1EEEEDaSW_SX_EUlSW_E_NS1_11comp_targetILNS1_3genE0ELNS1_11target_archE4294967295ELNS1_3gpuE0ELNS1_3repE0EEENS1_30default_config_static_selectorELNS0_4arch9wavefront6targetE0EEEvT1_
                                        ; -- End function
	.set _ZN7rocprim17ROCPRIM_400000_NS6detail17trampoline_kernelINS0_14default_configENS1_27scan_by_key_config_selectorIifEEZZNS1_16scan_by_key_implILNS1_25lookback_scan_determinismE0ELb0ES3_N6thrust23THRUST_200600_302600_NS6detail15normal_iteratorINS9_10device_ptrIiEEEENSB_INSC_IfEEEESG_fNS9_4plusIvEENS9_8equal_toIvEEfEE10hipError_tPvRmT2_T3_T4_T5_mT6_T7_P12ihipStream_tbENKUlT_T0_E_clISt17integral_constantIbLb0EES10_IbLb1EEEEDaSW_SX_EUlSW_E_NS1_11comp_targetILNS1_3genE0ELNS1_11target_archE4294967295ELNS1_3gpuE0ELNS1_3repE0EEENS1_30default_config_static_selectorELNS0_4arch9wavefront6targetE0EEEvT1_.num_vgpr, 0
	.set _ZN7rocprim17ROCPRIM_400000_NS6detail17trampoline_kernelINS0_14default_configENS1_27scan_by_key_config_selectorIifEEZZNS1_16scan_by_key_implILNS1_25lookback_scan_determinismE0ELb0ES3_N6thrust23THRUST_200600_302600_NS6detail15normal_iteratorINS9_10device_ptrIiEEEENSB_INSC_IfEEEESG_fNS9_4plusIvEENS9_8equal_toIvEEfEE10hipError_tPvRmT2_T3_T4_T5_mT6_T7_P12ihipStream_tbENKUlT_T0_E_clISt17integral_constantIbLb0EES10_IbLb1EEEEDaSW_SX_EUlSW_E_NS1_11comp_targetILNS1_3genE0ELNS1_11target_archE4294967295ELNS1_3gpuE0ELNS1_3repE0EEENS1_30default_config_static_selectorELNS0_4arch9wavefront6targetE0EEEvT1_.num_agpr, 0
	.set _ZN7rocprim17ROCPRIM_400000_NS6detail17trampoline_kernelINS0_14default_configENS1_27scan_by_key_config_selectorIifEEZZNS1_16scan_by_key_implILNS1_25lookback_scan_determinismE0ELb0ES3_N6thrust23THRUST_200600_302600_NS6detail15normal_iteratorINS9_10device_ptrIiEEEENSB_INSC_IfEEEESG_fNS9_4plusIvEENS9_8equal_toIvEEfEE10hipError_tPvRmT2_T3_T4_T5_mT6_T7_P12ihipStream_tbENKUlT_T0_E_clISt17integral_constantIbLb0EES10_IbLb1EEEEDaSW_SX_EUlSW_E_NS1_11comp_targetILNS1_3genE0ELNS1_11target_archE4294967295ELNS1_3gpuE0ELNS1_3repE0EEENS1_30default_config_static_selectorELNS0_4arch9wavefront6targetE0EEEvT1_.numbered_sgpr, 0
	.set _ZN7rocprim17ROCPRIM_400000_NS6detail17trampoline_kernelINS0_14default_configENS1_27scan_by_key_config_selectorIifEEZZNS1_16scan_by_key_implILNS1_25lookback_scan_determinismE0ELb0ES3_N6thrust23THRUST_200600_302600_NS6detail15normal_iteratorINS9_10device_ptrIiEEEENSB_INSC_IfEEEESG_fNS9_4plusIvEENS9_8equal_toIvEEfEE10hipError_tPvRmT2_T3_T4_T5_mT6_T7_P12ihipStream_tbENKUlT_T0_E_clISt17integral_constantIbLb0EES10_IbLb1EEEEDaSW_SX_EUlSW_E_NS1_11comp_targetILNS1_3genE0ELNS1_11target_archE4294967295ELNS1_3gpuE0ELNS1_3repE0EEENS1_30default_config_static_selectorELNS0_4arch9wavefront6targetE0EEEvT1_.num_named_barrier, 0
	.set _ZN7rocprim17ROCPRIM_400000_NS6detail17trampoline_kernelINS0_14default_configENS1_27scan_by_key_config_selectorIifEEZZNS1_16scan_by_key_implILNS1_25lookback_scan_determinismE0ELb0ES3_N6thrust23THRUST_200600_302600_NS6detail15normal_iteratorINS9_10device_ptrIiEEEENSB_INSC_IfEEEESG_fNS9_4plusIvEENS9_8equal_toIvEEfEE10hipError_tPvRmT2_T3_T4_T5_mT6_T7_P12ihipStream_tbENKUlT_T0_E_clISt17integral_constantIbLb0EES10_IbLb1EEEEDaSW_SX_EUlSW_E_NS1_11comp_targetILNS1_3genE0ELNS1_11target_archE4294967295ELNS1_3gpuE0ELNS1_3repE0EEENS1_30default_config_static_selectorELNS0_4arch9wavefront6targetE0EEEvT1_.private_seg_size, 0
	.set _ZN7rocprim17ROCPRIM_400000_NS6detail17trampoline_kernelINS0_14default_configENS1_27scan_by_key_config_selectorIifEEZZNS1_16scan_by_key_implILNS1_25lookback_scan_determinismE0ELb0ES3_N6thrust23THRUST_200600_302600_NS6detail15normal_iteratorINS9_10device_ptrIiEEEENSB_INSC_IfEEEESG_fNS9_4plusIvEENS9_8equal_toIvEEfEE10hipError_tPvRmT2_T3_T4_T5_mT6_T7_P12ihipStream_tbENKUlT_T0_E_clISt17integral_constantIbLb0EES10_IbLb1EEEEDaSW_SX_EUlSW_E_NS1_11comp_targetILNS1_3genE0ELNS1_11target_archE4294967295ELNS1_3gpuE0ELNS1_3repE0EEENS1_30default_config_static_selectorELNS0_4arch9wavefront6targetE0EEEvT1_.uses_vcc, 0
	.set _ZN7rocprim17ROCPRIM_400000_NS6detail17trampoline_kernelINS0_14default_configENS1_27scan_by_key_config_selectorIifEEZZNS1_16scan_by_key_implILNS1_25lookback_scan_determinismE0ELb0ES3_N6thrust23THRUST_200600_302600_NS6detail15normal_iteratorINS9_10device_ptrIiEEEENSB_INSC_IfEEEESG_fNS9_4plusIvEENS9_8equal_toIvEEfEE10hipError_tPvRmT2_T3_T4_T5_mT6_T7_P12ihipStream_tbENKUlT_T0_E_clISt17integral_constantIbLb0EES10_IbLb1EEEEDaSW_SX_EUlSW_E_NS1_11comp_targetILNS1_3genE0ELNS1_11target_archE4294967295ELNS1_3gpuE0ELNS1_3repE0EEENS1_30default_config_static_selectorELNS0_4arch9wavefront6targetE0EEEvT1_.uses_flat_scratch, 0
	.set _ZN7rocprim17ROCPRIM_400000_NS6detail17trampoline_kernelINS0_14default_configENS1_27scan_by_key_config_selectorIifEEZZNS1_16scan_by_key_implILNS1_25lookback_scan_determinismE0ELb0ES3_N6thrust23THRUST_200600_302600_NS6detail15normal_iteratorINS9_10device_ptrIiEEEENSB_INSC_IfEEEESG_fNS9_4plusIvEENS9_8equal_toIvEEfEE10hipError_tPvRmT2_T3_T4_T5_mT6_T7_P12ihipStream_tbENKUlT_T0_E_clISt17integral_constantIbLb0EES10_IbLb1EEEEDaSW_SX_EUlSW_E_NS1_11comp_targetILNS1_3genE0ELNS1_11target_archE4294967295ELNS1_3gpuE0ELNS1_3repE0EEENS1_30default_config_static_selectorELNS0_4arch9wavefront6targetE0EEEvT1_.has_dyn_sized_stack, 0
	.set _ZN7rocprim17ROCPRIM_400000_NS6detail17trampoline_kernelINS0_14default_configENS1_27scan_by_key_config_selectorIifEEZZNS1_16scan_by_key_implILNS1_25lookback_scan_determinismE0ELb0ES3_N6thrust23THRUST_200600_302600_NS6detail15normal_iteratorINS9_10device_ptrIiEEEENSB_INSC_IfEEEESG_fNS9_4plusIvEENS9_8equal_toIvEEfEE10hipError_tPvRmT2_T3_T4_T5_mT6_T7_P12ihipStream_tbENKUlT_T0_E_clISt17integral_constantIbLb0EES10_IbLb1EEEEDaSW_SX_EUlSW_E_NS1_11comp_targetILNS1_3genE0ELNS1_11target_archE4294967295ELNS1_3gpuE0ELNS1_3repE0EEENS1_30default_config_static_selectorELNS0_4arch9wavefront6targetE0EEEvT1_.has_recursion, 0
	.set _ZN7rocprim17ROCPRIM_400000_NS6detail17trampoline_kernelINS0_14default_configENS1_27scan_by_key_config_selectorIifEEZZNS1_16scan_by_key_implILNS1_25lookback_scan_determinismE0ELb0ES3_N6thrust23THRUST_200600_302600_NS6detail15normal_iteratorINS9_10device_ptrIiEEEENSB_INSC_IfEEEESG_fNS9_4plusIvEENS9_8equal_toIvEEfEE10hipError_tPvRmT2_T3_T4_T5_mT6_T7_P12ihipStream_tbENKUlT_T0_E_clISt17integral_constantIbLb0EES10_IbLb1EEEEDaSW_SX_EUlSW_E_NS1_11comp_targetILNS1_3genE0ELNS1_11target_archE4294967295ELNS1_3gpuE0ELNS1_3repE0EEENS1_30default_config_static_selectorELNS0_4arch9wavefront6targetE0EEEvT1_.has_indirect_call, 0
	.section	.AMDGPU.csdata,"",@progbits
; Kernel info:
; codeLenInByte = 0
; TotalNumSgprs: 0
; NumVgprs: 0
; ScratchSize: 0
; MemoryBound: 0
; FloatMode: 240
; IeeeMode: 1
; LDSByteSize: 0 bytes/workgroup (compile time only)
; SGPRBlocks: 0
; VGPRBlocks: 0
; NumSGPRsForWavesPerEU: 1
; NumVGPRsForWavesPerEU: 1
; Occupancy: 16
; WaveLimiterHint : 0
; COMPUTE_PGM_RSRC2:SCRATCH_EN: 0
; COMPUTE_PGM_RSRC2:USER_SGPR: 6
; COMPUTE_PGM_RSRC2:TRAP_HANDLER: 0
; COMPUTE_PGM_RSRC2:TGID_X_EN: 1
; COMPUTE_PGM_RSRC2:TGID_Y_EN: 0
; COMPUTE_PGM_RSRC2:TGID_Z_EN: 0
; COMPUTE_PGM_RSRC2:TIDIG_COMP_CNT: 0
	.section	.text._ZN7rocprim17ROCPRIM_400000_NS6detail17trampoline_kernelINS0_14default_configENS1_27scan_by_key_config_selectorIifEEZZNS1_16scan_by_key_implILNS1_25lookback_scan_determinismE0ELb0ES3_N6thrust23THRUST_200600_302600_NS6detail15normal_iteratorINS9_10device_ptrIiEEEENSB_INSC_IfEEEESG_fNS9_4plusIvEENS9_8equal_toIvEEfEE10hipError_tPvRmT2_T3_T4_T5_mT6_T7_P12ihipStream_tbENKUlT_T0_E_clISt17integral_constantIbLb0EES10_IbLb1EEEEDaSW_SX_EUlSW_E_NS1_11comp_targetILNS1_3genE10ELNS1_11target_archE1201ELNS1_3gpuE5ELNS1_3repE0EEENS1_30default_config_static_selectorELNS0_4arch9wavefront6targetE0EEEvT1_,"axG",@progbits,_ZN7rocprim17ROCPRIM_400000_NS6detail17trampoline_kernelINS0_14default_configENS1_27scan_by_key_config_selectorIifEEZZNS1_16scan_by_key_implILNS1_25lookback_scan_determinismE0ELb0ES3_N6thrust23THRUST_200600_302600_NS6detail15normal_iteratorINS9_10device_ptrIiEEEENSB_INSC_IfEEEESG_fNS9_4plusIvEENS9_8equal_toIvEEfEE10hipError_tPvRmT2_T3_T4_T5_mT6_T7_P12ihipStream_tbENKUlT_T0_E_clISt17integral_constantIbLb0EES10_IbLb1EEEEDaSW_SX_EUlSW_E_NS1_11comp_targetILNS1_3genE10ELNS1_11target_archE1201ELNS1_3gpuE5ELNS1_3repE0EEENS1_30default_config_static_selectorELNS0_4arch9wavefront6targetE0EEEvT1_,comdat
	.protected	_ZN7rocprim17ROCPRIM_400000_NS6detail17trampoline_kernelINS0_14default_configENS1_27scan_by_key_config_selectorIifEEZZNS1_16scan_by_key_implILNS1_25lookback_scan_determinismE0ELb0ES3_N6thrust23THRUST_200600_302600_NS6detail15normal_iteratorINS9_10device_ptrIiEEEENSB_INSC_IfEEEESG_fNS9_4plusIvEENS9_8equal_toIvEEfEE10hipError_tPvRmT2_T3_T4_T5_mT6_T7_P12ihipStream_tbENKUlT_T0_E_clISt17integral_constantIbLb0EES10_IbLb1EEEEDaSW_SX_EUlSW_E_NS1_11comp_targetILNS1_3genE10ELNS1_11target_archE1201ELNS1_3gpuE5ELNS1_3repE0EEENS1_30default_config_static_selectorELNS0_4arch9wavefront6targetE0EEEvT1_ ; -- Begin function _ZN7rocprim17ROCPRIM_400000_NS6detail17trampoline_kernelINS0_14default_configENS1_27scan_by_key_config_selectorIifEEZZNS1_16scan_by_key_implILNS1_25lookback_scan_determinismE0ELb0ES3_N6thrust23THRUST_200600_302600_NS6detail15normal_iteratorINS9_10device_ptrIiEEEENSB_INSC_IfEEEESG_fNS9_4plusIvEENS9_8equal_toIvEEfEE10hipError_tPvRmT2_T3_T4_T5_mT6_T7_P12ihipStream_tbENKUlT_T0_E_clISt17integral_constantIbLb0EES10_IbLb1EEEEDaSW_SX_EUlSW_E_NS1_11comp_targetILNS1_3genE10ELNS1_11target_archE1201ELNS1_3gpuE5ELNS1_3repE0EEENS1_30default_config_static_selectorELNS0_4arch9wavefront6targetE0EEEvT1_
	.globl	_ZN7rocprim17ROCPRIM_400000_NS6detail17trampoline_kernelINS0_14default_configENS1_27scan_by_key_config_selectorIifEEZZNS1_16scan_by_key_implILNS1_25lookback_scan_determinismE0ELb0ES3_N6thrust23THRUST_200600_302600_NS6detail15normal_iteratorINS9_10device_ptrIiEEEENSB_INSC_IfEEEESG_fNS9_4plusIvEENS9_8equal_toIvEEfEE10hipError_tPvRmT2_T3_T4_T5_mT6_T7_P12ihipStream_tbENKUlT_T0_E_clISt17integral_constantIbLb0EES10_IbLb1EEEEDaSW_SX_EUlSW_E_NS1_11comp_targetILNS1_3genE10ELNS1_11target_archE1201ELNS1_3gpuE5ELNS1_3repE0EEENS1_30default_config_static_selectorELNS0_4arch9wavefront6targetE0EEEvT1_
	.p2align	8
	.type	_ZN7rocprim17ROCPRIM_400000_NS6detail17trampoline_kernelINS0_14default_configENS1_27scan_by_key_config_selectorIifEEZZNS1_16scan_by_key_implILNS1_25lookback_scan_determinismE0ELb0ES3_N6thrust23THRUST_200600_302600_NS6detail15normal_iteratorINS9_10device_ptrIiEEEENSB_INSC_IfEEEESG_fNS9_4plusIvEENS9_8equal_toIvEEfEE10hipError_tPvRmT2_T3_T4_T5_mT6_T7_P12ihipStream_tbENKUlT_T0_E_clISt17integral_constantIbLb0EES10_IbLb1EEEEDaSW_SX_EUlSW_E_NS1_11comp_targetILNS1_3genE10ELNS1_11target_archE1201ELNS1_3gpuE5ELNS1_3repE0EEENS1_30default_config_static_selectorELNS0_4arch9wavefront6targetE0EEEvT1_,@function
_ZN7rocprim17ROCPRIM_400000_NS6detail17trampoline_kernelINS0_14default_configENS1_27scan_by_key_config_selectorIifEEZZNS1_16scan_by_key_implILNS1_25lookback_scan_determinismE0ELb0ES3_N6thrust23THRUST_200600_302600_NS6detail15normal_iteratorINS9_10device_ptrIiEEEENSB_INSC_IfEEEESG_fNS9_4plusIvEENS9_8equal_toIvEEfEE10hipError_tPvRmT2_T3_T4_T5_mT6_T7_P12ihipStream_tbENKUlT_T0_E_clISt17integral_constantIbLb0EES10_IbLb1EEEEDaSW_SX_EUlSW_E_NS1_11comp_targetILNS1_3genE10ELNS1_11target_archE1201ELNS1_3gpuE5ELNS1_3repE0EEENS1_30default_config_static_selectorELNS0_4arch9wavefront6targetE0EEEvT1_: ; @_ZN7rocprim17ROCPRIM_400000_NS6detail17trampoline_kernelINS0_14default_configENS1_27scan_by_key_config_selectorIifEEZZNS1_16scan_by_key_implILNS1_25lookback_scan_determinismE0ELb0ES3_N6thrust23THRUST_200600_302600_NS6detail15normal_iteratorINS9_10device_ptrIiEEEENSB_INSC_IfEEEESG_fNS9_4plusIvEENS9_8equal_toIvEEfEE10hipError_tPvRmT2_T3_T4_T5_mT6_T7_P12ihipStream_tbENKUlT_T0_E_clISt17integral_constantIbLb0EES10_IbLb1EEEEDaSW_SX_EUlSW_E_NS1_11comp_targetILNS1_3genE10ELNS1_11target_archE1201ELNS1_3gpuE5ELNS1_3repE0EEENS1_30default_config_static_selectorELNS0_4arch9wavefront6targetE0EEEvT1_
; %bb.0:
	.section	.rodata,"a",@progbits
	.p2align	6, 0x0
	.amdhsa_kernel _ZN7rocprim17ROCPRIM_400000_NS6detail17trampoline_kernelINS0_14default_configENS1_27scan_by_key_config_selectorIifEEZZNS1_16scan_by_key_implILNS1_25lookback_scan_determinismE0ELb0ES3_N6thrust23THRUST_200600_302600_NS6detail15normal_iteratorINS9_10device_ptrIiEEEENSB_INSC_IfEEEESG_fNS9_4plusIvEENS9_8equal_toIvEEfEE10hipError_tPvRmT2_T3_T4_T5_mT6_T7_P12ihipStream_tbENKUlT_T0_E_clISt17integral_constantIbLb0EES10_IbLb1EEEEDaSW_SX_EUlSW_E_NS1_11comp_targetILNS1_3genE10ELNS1_11target_archE1201ELNS1_3gpuE5ELNS1_3repE0EEENS1_30default_config_static_selectorELNS0_4arch9wavefront6targetE0EEEvT1_
		.amdhsa_group_segment_fixed_size 0
		.amdhsa_private_segment_fixed_size 0
		.amdhsa_kernarg_size 112
		.amdhsa_user_sgpr_count 6
		.amdhsa_user_sgpr_private_segment_buffer 1
		.amdhsa_user_sgpr_dispatch_ptr 0
		.amdhsa_user_sgpr_queue_ptr 0
		.amdhsa_user_sgpr_kernarg_segment_ptr 1
		.amdhsa_user_sgpr_dispatch_id 0
		.amdhsa_user_sgpr_flat_scratch_init 0
		.amdhsa_user_sgpr_private_segment_size 0
		.amdhsa_wavefront_size32 1
		.amdhsa_uses_dynamic_stack 0
		.amdhsa_system_sgpr_private_segment_wavefront_offset 0
		.amdhsa_system_sgpr_workgroup_id_x 1
		.amdhsa_system_sgpr_workgroup_id_y 0
		.amdhsa_system_sgpr_workgroup_id_z 0
		.amdhsa_system_sgpr_workgroup_info 0
		.amdhsa_system_vgpr_workitem_id 0
		.amdhsa_next_free_vgpr 1
		.amdhsa_next_free_sgpr 1
		.amdhsa_reserve_vcc 0
		.amdhsa_reserve_flat_scratch 0
		.amdhsa_float_round_mode_32 0
		.amdhsa_float_round_mode_16_64 0
		.amdhsa_float_denorm_mode_32 3
		.amdhsa_float_denorm_mode_16_64 3
		.amdhsa_dx10_clamp 1
		.amdhsa_ieee_mode 1
		.amdhsa_fp16_overflow 0
		.amdhsa_workgroup_processor_mode 1
		.amdhsa_memory_ordered 1
		.amdhsa_forward_progress 1
		.amdhsa_shared_vgpr_count 0
		.amdhsa_exception_fp_ieee_invalid_op 0
		.amdhsa_exception_fp_denorm_src 0
		.amdhsa_exception_fp_ieee_div_zero 0
		.amdhsa_exception_fp_ieee_overflow 0
		.amdhsa_exception_fp_ieee_underflow 0
		.amdhsa_exception_fp_ieee_inexact 0
		.amdhsa_exception_int_div_zero 0
	.end_amdhsa_kernel
	.section	.text._ZN7rocprim17ROCPRIM_400000_NS6detail17trampoline_kernelINS0_14default_configENS1_27scan_by_key_config_selectorIifEEZZNS1_16scan_by_key_implILNS1_25lookback_scan_determinismE0ELb0ES3_N6thrust23THRUST_200600_302600_NS6detail15normal_iteratorINS9_10device_ptrIiEEEENSB_INSC_IfEEEESG_fNS9_4plusIvEENS9_8equal_toIvEEfEE10hipError_tPvRmT2_T3_T4_T5_mT6_T7_P12ihipStream_tbENKUlT_T0_E_clISt17integral_constantIbLb0EES10_IbLb1EEEEDaSW_SX_EUlSW_E_NS1_11comp_targetILNS1_3genE10ELNS1_11target_archE1201ELNS1_3gpuE5ELNS1_3repE0EEENS1_30default_config_static_selectorELNS0_4arch9wavefront6targetE0EEEvT1_,"axG",@progbits,_ZN7rocprim17ROCPRIM_400000_NS6detail17trampoline_kernelINS0_14default_configENS1_27scan_by_key_config_selectorIifEEZZNS1_16scan_by_key_implILNS1_25lookback_scan_determinismE0ELb0ES3_N6thrust23THRUST_200600_302600_NS6detail15normal_iteratorINS9_10device_ptrIiEEEENSB_INSC_IfEEEESG_fNS9_4plusIvEENS9_8equal_toIvEEfEE10hipError_tPvRmT2_T3_T4_T5_mT6_T7_P12ihipStream_tbENKUlT_T0_E_clISt17integral_constantIbLb0EES10_IbLb1EEEEDaSW_SX_EUlSW_E_NS1_11comp_targetILNS1_3genE10ELNS1_11target_archE1201ELNS1_3gpuE5ELNS1_3repE0EEENS1_30default_config_static_selectorELNS0_4arch9wavefront6targetE0EEEvT1_,comdat
.Lfunc_end1164:
	.size	_ZN7rocprim17ROCPRIM_400000_NS6detail17trampoline_kernelINS0_14default_configENS1_27scan_by_key_config_selectorIifEEZZNS1_16scan_by_key_implILNS1_25lookback_scan_determinismE0ELb0ES3_N6thrust23THRUST_200600_302600_NS6detail15normal_iteratorINS9_10device_ptrIiEEEENSB_INSC_IfEEEESG_fNS9_4plusIvEENS9_8equal_toIvEEfEE10hipError_tPvRmT2_T3_T4_T5_mT6_T7_P12ihipStream_tbENKUlT_T0_E_clISt17integral_constantIbLb0EES10_IbLb1EEEEDaSW_SX_EUlSW_E_NS1_11comp_targetILNS1_3genE10ELNS1_11target_archE1201ELNS1_3gpuE5ELNS1_3repE0EEENS1_30default_config_static_selectorELNS0_4arch9wavefront6targetE0EEEvT1_, .Lfunc_end1164-_ZN7rocprim17ROCPRIM_400000_NS6detail17trampoline_kernelINS0_14default_configENS1_27scan_by_key_config_selectorIifEEZZNS1_16scan_by_key_implILNS1_25lookback_scan_determinismE0ELb0ES3_N6thrust23THRUST_200600_302600_NS6detail15normal_iteratorINS9_10device_ptrIiEEEENSB_INSC_IfEEEESG_fNS9_4plusIvEENS9_8equal_toIvEEfEE10hipError_tPvRmT2_T3_T4_T5_mT6_T7_P12ihipStream_tbENKUlT_T0_E_clISt17integral_constantIbLb0EES10_IbLb1EEEEDaSW_SX_EUlSW_E_NS1_11comp_targetILNS1_3genE10ELNS1_11target_archE1201ELNS1_3gpuE5ELNS1_3repE0EEENS1_30default_config_static_selectorELNS0_4arch9wavefront6targetE0EEEvT1_
                                        ; -- End function
	.set _ZN7rocprim17ROCPRIM_400000_NS6detail17trampoline_kernelINS0_14default_configENS1_27scan_by_key_config_selectorIifEEZZNS1_16scan_by_key_implILNS1_25lookback_scan_determinismE0ELb0ES3_N6thrust23THRUST_200600_302600_NS6detail15normal_iteratorINS9_10device_ptrIiEEEENSB_INSC_IfEEEESG_fNS9_4plusIvEENS9_8equal_toIvEEfEE10hipError_tPvRmT2_T3_T4_T5_mT6_T7_P12ihipStream_tbENKUlT_T0_E_clISt17integral_constantIbLb0EES10_IbLb1EEEEDaSW_SX_EUlSW_E_NS1_11comp_targetILNS1_3genE10ELNS1_11target_archE1201ELNS1_3gpuE5ELNS1_3repE0EEENS1_30default_config_static_selectorELNS0_4arch9wavefront6targetE0EEEvT1_.num_vgpr, 0
	.set _ZN7rocprim17ROCPRIM_400000_NS6detail17trampoline_kernelINS0_14default_configENS1_27scan_by_key_config_selectorIifEEZZNS1_16scan_by_key_implILNS1_25lookback_scan_determinismE0ELb0ES3_N6thrust23THRUST_200600_302600_NS6detail15normal_iteratorINS9_10device_ptrIiEEEENSB_INSC_IfEEEESG_fNS9_4plusIvEENS9_8equal_toIvEEfEE10hipError_tPvRmT2_T3_T4_T5_mT6_T7_P12ihipStream_tbENKUlT_T0_E_clISt17integral_constantIbLb0EES10_IbLb1EEEEDaSW_SX_EUlSW_E_NS1_11comp_targetILNS1_3genE10ELNS1_11target_archE1201ELNS1_3gpuE5ELNS1_3repE0EEENS1_30default_config_static_selectorELNS0_4arch9wavefront6targetE0EEEvT1_.num_agpr, 0
	.set _ZN7rocprim17ROCPRIM_400000_NS6detail17trampoline_kernelINS0_14default_configENS1_27scan_by_key_config_selectorIifEEZZNS1_16scan_by_key_implILNS1_25lookback_scan_determinismE0ELb0ES3_N6thrust23THRUST_200600_302600_NS6detail15normal_iteratorINS9_10device_ptrIiEEEENSB_INSC_IfEEEESG_fNS9_4plusIvEENS9_8equal_toIvEEfEE10hipError_tPvRmT2_T3_T4_T5_mT6_T7_P12ihipStream_tbENKUlT_T0_E_clISt17integral_constantIbLb0EES10_IbLb1EEEEDaSW_SX_EUlSW_E_NS1_11comp_targetILNS1_3genE10ELNS1_11target_archE1201ELNS1_3gpuE5ELNS1_3repE0EEENS1_30default_config_static_selectorELNS0_4arch9wavefront6targetE0EEEvT1_.numbered_sgpr, 0
	.set _ZN7rocprim17ROCPRIM_400000_NS6detail17trampoline_kernelINS0_14default_configENS1_27scan_by_key_config_selectorIifEEZZNS1_16scan_by_key_implILNS1_25lookback_scan_determinismE0ELb0ES3_N6thrust23THRUST_200600_302600_NS6detail15normal_iteratorINS9_10device_ptrIiEEEENSB_INSC_IfEEEESG_fNS9_4plusIvEENS9_8equal_toIvEEfEE10hipError_tPvRmT2_T3_T4_T5_mT6_T7_P12ihipStream_tbENKUlT_T0_E_clISt17integral_constantIbLb0EES10_IbLb1EEEEDaSW_SX_EUlSW_E_NS1_11comp_targetILNS1_3genE10ELNS1_11target_archE1201ELNS1_3gpuE5ELNS1_3repE0EEENS1_30default_config_static_selectorELNS0_4arch9wavefront6targetE0EEEvT1_.num_named_barrier, 0
	.set _ZN7rocprim17ROCPRIM_400000_NS6detail17trampoline_kernelINS0_14default_configENS1_27scan_by_key_config_selectorIifEEZZNS1_16scan_by_key_implILNS1_25lookback_scan_determinismE0ELb0ES3_N6thrust23THRUST_200600_302600_NS6detail15normal_iteratorINS9_10device_ptrIiEEEENSB_INSC_IfEEEESG_fNS9_4plusIvEENS9_8equal_toIvEEfEE10hipError_tPvRmT2_T3_T4_T5_mT6_T7_P12ihipStream_tbENKUlT_T0_E_clISt17integral_constantIbLb0EES10_IbLb1EEEEDaSW_SX_EUlSW_E_NS1_11comp_targetILNS1_3genE10ELNS1_11target_archE1201ELNS1_3gpuE5ELNS1_3repE0EEENS1_30default_config_static_selectorELNS0_4arch9wavefront6targetE0EEEvT1_.private_seg_size, 0
	.set _ZN7rocprim17ROCPRIM_400000_NS6detail17trampoline_kernelINS0_14default_configENS1_27scan_by_key_config_selectorIifEEZZNS1_16scan_by_key_implILNS1_25lookback_scan_determinismE0ELb0ES3_N6thrust23THRUST_200600_302600_NS6detail15normal_iteratorINS9_10device_ptrIiEEEENSB_INSC_IfEEEESG_fNS9_4plusIvEENS9_8equal_toIvEEfEE10hipError_tPvRmT2_T3_T4_T5_mT6_T7_P12ihipStream_tbENKUlT_T0_E_clISt17integral_constantIbLb0EES10_IbLb1EEEEDaSW_SX_EUlSW_E_NS1_11comp_targetILNS1_3genE10ELNS1_11target_archE1201ELNS1_3gpuE5ELNS1_3repE0EEENS1_30default_config_static_selectorELNS0_4arch9wavefront6targetE0EEEvT1_.uses_vcc, 0
	.set _ZN7rocprim17ROCPRIM_400000_NS6detail17trampoline_kernelINS0_14default_configENS1_27scan_by_key_config_selectorIifEEZZNS1_16scan_by_key_implILNS1_25lookback_scan_determinismE0ELb0ES3_N6thrust23THRUST_200600_302600_NS6detail15normal_iteratorINS9_10device_ptrIiEEEENSB_INSC_IfEEEESG_fNS9_4plusIvEENS9_8equal_toIvEEfEE10hipError_tPvRmT2_T3_T4_T5_mT6_T7_P12ihipStream_tbENKUlT_T0_E_clISt17integral_constantIbLb0EES10_IbLb1EEEEDaSW_SX_EUlSW_E_NS1_11comp_targetILNS1_3genE10ELNS1_11target_archE1201ELNS1_3gpuE5ELNS1_3repE0EEENS1_30default_config_static_selectorELNS0_4arch9wavefront6targetE0EEEvT1_.uses_flat_scratch, 0
	.set _ZN7rocprim17ROCPRIM_400000_NS6detail17trampoline_kernelINS0_14default_configENS1_27scan_by_key_config_selectorIifEEZZNS1_16scan_by_key_implILNS1_25lookback_scan_determinismE0ELb0ES3_N6thrust23THRUST_200600_302600_NS6detail15normal_iteratorINS9_10device_ptrIiEEEENSB_INSC_IfEEEESG_fNS9_4plusIvEENS9_8equal_toIvEEfEE10hipError_tPvRmT2_T3_T4_T5_mT6_T7_P12ihipStream_tbENKUlT_T0_E_clISt17integral_constantIbLb0EES10_IbLb1EEEEDaSW_SX_EUlSW_E_NS1_11comp_targetILNS1_3genE10ELNS1_11target_archE1201ELNS1_3gpuE5ELNS1_3repE0EEENS1_30default_config_static_selectorELNS0_4arch9wavefront6targetE0EEEvT1_.has_dyn_sized_stack, 0
	.set _ZN7rocprim17ROCPRIM_400000_NS6detail17trampoline_kernelINS0_14default_configENS1_27scan_by_key_config_selectorIifEEZZNS1_16scan_by_key_implILNS1_25lookback_scan_determinismE0ELb0ES3_N6thrust23THRUST_200600_302600_NS6detail15normal_iteratorINS9_10device_ptrIiEEEENSB_INSC_IfEEEESG_fNS9_4plusIvEENS9_8equal_toIvEEfEE10hipError_tPvRmT2_T3_T4_T5_mT6_T7_P12ihipStream_tbENKUlT_T0_E_clISt17integral_constantIbLb0EES10_IbLb1EEEEDaSW_SX_EUlSW_E_NS1_11comp_targetILNS1_3genE10ELNS1_11target_archE1201ELNS1_3gpuE5ELNS1_3repE0EEENS1_30default_config_static_selectorELNS0_4arch9wavefront6targetE0EEEvT1_.has_recursion, 0
	.set _ZN7rocprim17ROCPRIM_400000_NS6detail17trampoline_kernelINS0_14default_configENS1_27scan_by_key_config_selectorIifEEZZNS1_16scan_by_key_implILNS1_25lookback_scan_determinismE0ELb0ES3_N6thrust23THRUST_200600_302600_NS6detail15normal_iteratorINS9_10device_ptrIiEEEENSB_INSC_IfEEEESG_fNS9_4plusIvEENS9_8equal_toIvEEfEE10hipError_tPvRmT2_T3_T4_T5_mT6_T7_P12ihipStream_tbENKUlT_T0_E_clISt17integral_constantIbLb0EES10_IbLb1EEEEDaSW_SX_EUlSW_E_NS1_11comp_targetILNS1_3genE10ELNS1_11target_archE1201ELNS1_3gpuE5ELNS1_3repE0EEENS1_30default_config_static_selectorELNS0_4arch9wavefront6targetE0EEEvT1_.has_indirect_call, 0
	.section	.AMDGPU.csdata,"",@progbits
; Kernel info:
; codeLenInByte = 0
; TotalNumSgprs: 0
; NumVgprs: 0
; ScratchSize: 0
; MemoryBound: 0
; FloatMode: 240
; IeeeMode: 1
; LDSByteSize: 0 bytes/workgroup (compile time only)
; SGPRBlocks: 0
; VGPRBlocks: 0
; NumSGPRsForWavesPerEU: 1
; NumVGPRsForWavesPerEU: 1
; Occupancy: 16
; WaveLimiterHint : 0
; COMPUTE_PGM_RSRC2:SCRATCH_EN: 0
; COMPUTE_PGM_RSRC2:USER_SGPR: 6
; COMPUTE_PGM_RSRC2:TRAP_HANDLER: 0
; COMPUTE_PGM_RSRC2:TGID_X_EN: 1
; COMPUTE_PGM_RSRC2:TGID_Y_EN: 0
; COMPUTE_PGM_RSRC2:TGID_Z_EN: 0
; COMPUTE_PGM_RSRC2:TIDIG_COMP_CNT: 0
	.section	.text._ZN7rocprim17ROCPRIM_400000_NS6detail17trampoline_kernelINS0_14default_configENS1_27scan_by_key_config_selectorIifEEZZNS1_16scan_by_key_implILNS1_25lookback_scan_determinismE0ELb0ES3_N6thrust23THRUST_200600_302600_NS6detail15normal_iteratorINS9_10device_ptrIiEEEENSB_INSC_IfEEEESG_fNS9_4plusIvEENS9_8equal_toIvEEfEE10hipError_tPvRmT2_T3_T4_T5_mT6_T7_P12ihipStream_tbENKUlT_T0_E_clISt17integral_constantIbLb0EES10_IbLb1EEEEDaSW_SX_EUlSW_E_NS1_11comp_targetILNS1_3genE5ELNS1_11target_archE942ELNS1_3gpuE9ELNS1_3repE0EEENS1_30default_config_static_selectorELNS0_4arch9wavefront6targetE0EEEvT1_,"axG",@progbits,_ZN7rocprim17ROCPRIM_400000_NS6detail17trampoline_kernelINS0_14default_configENS1_27scan_by_key_config_selectorIifEEZZNS1_16scan_by_key_implILNS1_25lookback_scan_determinismE0ELb0ES3_N6thrust23THRUST_200600_302600_NS6detail15normal_iteratorINS9_10device_ptrIiEEEENSB_INSC_IfEEEESG_fNS9_4plusIvEENS9_8equal_toIvEEfEE10hipError_tPvRmT2_T3_T4_T5_mT6_T7_P12ihipStream_tbENKUlT_T0_E_clISt17integral_constantIbLb0EES10_IbLb1EEEEDaSW_SX_EUlSW_E_NS1_11comp_targetILNS1_3genE5ELNS1_11target_archE942ELNS1_3gpuE9ELNS1_3repE0EEENS1_30default_config_static_selectorELNS0_4arch9wavefront6targetE0EEEvT1_,comdat
	.protected	_ZN7rocprim17ROCPRIM_400000_NS6detail17trampoline_kernelINS0_14default_configENS1_27scan_by_key_config_selectorIifEEZZNS1_16scan_by_key_implILNS1_25lookback_scan_determinismE0ELb0ES3_N6thrust23THRUST_200600_302600_NS6detail15normal_iteratorINS9_10device_ptrIiEEEENSB_INSC_IfEEEESG_fNS9_4plusIvEENS9_8equal_toIvEEfEE10hipError_tPvRmT2_T3_T4_T5_mT6_T7_P12ihipStream_tbENKUlT_T0_E_clISt17integral_constantIbLb0EES10_IbLb1EEEEDaSW_SX_EUlSW_E_NS1_11comp_targetILNS1_3genE5ELNS1_11target_archE942ELNS1_3gpuE9ELNS1_3repE0EEENS1_30default_config_static_selectorELNS0_4arch9wavefront6targetE0EEEvT1_ ; -- Begin function _ZN7rocprim17ROCPRIM_400000_NS6detail17trampoline_kernelINS0_14default_configENS1_27scan_by_key_config_selectorIifEEZZNS1_16scan_by_key_implILNS1_25lookback_scan_determinismE0ELb0ES3_N6thrust23THRUST_200600_302600_NS6detail15normal_iteratorINS9_10device_ptrIiEEEENSB_INSC_IfEEEESG_fNS9_4plusIvEENS9_8equal_toIvEEfEE10hipError_tPvRmT2_T3_T4_T5_mT6_T7_P12ihipStream_tbENKUlT_T0_E_clISt17integral_constantIbLb0EES10_IbLb1EEEEDaSW_SX_EUlSW_E_NS1_11comp_targetILNS1_3genE5ELNS1_11target_archE942ELNS1_3gpuE9ELNS1_3repE0EEENS1_30default_config_static_selectorELNS0_4arch9wavefront6targetE0EEEvT1_
	.globl	_ZN7rocprim17ROCPRIM_400000_NS6detail17trampoline_kernelINS0_14default_configENS1_27scan_by_key_config_selectorIifEEZZNS1_16scan_by_key_implILNS1_25lookback_scan_determinismE0ELb0ES3_N6thrust23THRUST_200600_302600_NS6detail15normal_iteratorINS9_10device_ptrIiEEEENSB_INSC_IfEEEESG_fNS9_4plusIvEENS9_8equal_toIvEEfEE10hipError_tPvRmT2_T3_T4_T5_mT6_T7_P12ihipStream_tbENKUlT_T0_E_clISt17integral_constantIbLb0EES10_IbLb1EEEEDaSW_SX_EUlSW_E_NS1_11comp_targetILNS1_3genE5ELNS1_11target_archE942ELNS1_3gpuE9ELNS1_3repE0EEENS1_30default_config_static_selectorELNS0_4arch9wavefront6targetE0EEEvT1_
	.p2align	8
	.type	_ZN7rocprim17ROCPRIM_400000_NS6detail17trampoline_kernelINS0_14default_configENS1_27scan_by_key_config_selectorIifEEZZNS1_16scan_by_key_implILNS1_25lookback_scan_determinismE0ELb0ES3_N6thrust23THRUST_200600_302600_NS6detail15normal_iteratorINS9_10device_ptrIiEEEENSB_INSC_IfEEEESG_fNS9_4plusIvEENS9_8equal_toIvEEfEE10hipError_tPvRmT2_T3_T4_T5_mT6_T7_P12ihipStream_tbENKUlT_T0_E_clISt17integral_constantIbLb0EES10_IbLb1EEEEDaSW_SX_EUlSW_E_NS1_11comp_targetILNS1_3genE5ELNS1_11target_archE942ELNS1_3gpuE9ELNS1_3repE0EEENS1_30default_config_static_selectorELNS0_4arch9wavefront6targetE0EEEvT1_,@function
_ZN7rocprim17ROCPRIM_400000_NS6detail17trampoline_kernelINS0_14default_configENS1_27scan_by_key_config_selectorIifEEZZNS1_16scan_by_key_implILNS1_25lookback_scan_determinismE0ELb0ES3_N6thrust23THRUST_200600_302600_NS6detail15normal_iteratorINS9_10device_ptrIiEEEENSB_INSC_IfEEEESG_fNS9_4plusIvEENS9_8equal_toIvEEfEE10hipError_tPvRmT2_T3_T4_T5_mT6_T7_P12ihipStream_tbENKUlT_T0_E_clISt17integral_constantIbLb0EES10_IbLb1EEEEDaSW_SX_EUlSW_E_NS1_11comp_targetILNS1_3genE5ELNS1_11target_archE942ELNS1_3gpuE9ELNS1_3repE0EEENS1_30default_config_static_selectorELNS0_4arch9wavefront6targetE0EEEvT1_: ; @_ZN7rocprim17ROCPRIM_400000_NS6detail17trampoline_kernelINS0_14default_configENS1_27scan_by_key_config_selectorIifEEZZNS1_16scan_by_key_implILNS1_25lookback_scan_determinismE0ELb0ES3_N6thrust23THRUST_200600_302600_NS6detail15normal_iteratorINS9_10device_ptrIiEEEENSB_INSC_IfEEEESG_fNS9_4plusIvEENS9_8equal_toIvEEfEE10hipError_tPvRmT2_T3_T4_T5_mT6_T7_P12ihipStream_tbENKUlT_T0_E_clISt17integral_constantIbLb0EES10_IbLb1EEEEDaSW_SX_EUlSW_E_NS1_11comp_targetILNS1_3genE5ELNS1_11target_archE942ELNS1_3gpuE9ELNS1_3repE0EEENS1_30default_config_static_selectorELNS0_4arch9wavefront6targetE0EEEvT1_
; %bb.0:
	.section	.rodata,"a",@progbits
	.p2align	6, 0x0
	.amdhsa_kernel _ZN7rocprim17ROCPRIM_400000_NS6detail17trampoline_kernelINS0_14default_configENS1_27scan_by_key_config_selectorIifEEZZNS1_16scan_by_key_implILNS1_25lookback_scan_determinismE0ELb0ES3_N6thrust23THRUST_200600_302600_NS6detail15normal_iteratorINS9_10device_ptrIiEEEENSB_INSC_IfEEEESG_fNS9_4plusIvEENS9_8equal_toIvEEfEE10hipError_tPvRmT2_T3_T4_T5_mT6_T7_P12ihipStream_tbENKUlT_T0_E_clISt17integral_constantIbLb0EES10_IbLb1EEEEDaSW_SX_EUlSW_E_NS1_11comp_targetILNS1_3genE5ELNS1_11target_archE942ELNS1_3gpuE9ELNS1_3repE0EEENS1_30default_config_static_selectorELNS0_4arch9wavefront6targetE0EEEvT1_
		.amdhsa_group_segment_fixed_size 0
		.amdhsa_private_segment_fixed_size 0
		.amdhsa_kernarg_size 112
		.amdhsa_user_sgpr_count 6
		.amdhsa_user_sgpr_private_segment_buffer 1
		.amdhsa_user_sgpr_dispatch_ptr 0
		.amdhsa_user_sgpr_queue_ptr 0
		.amdhsa_user_sgpr_kernarg_segment_ptr 1
		.amdhsa_user_sgpr_dispatch_id 0
		.amdhsa_user_sgpr_flat_scratch_init 0
		.amdhsa_user_sgpr_private_segment_size 0
		.amdhsa_wavefront_size32 1
		.amdhsa_uses_dynamic_stack 0
		.amdhsa_system_sgpr_private_segment_wavefront_offset 0
		.amdhsa_system_sgpr_workgroup_id_x 1
		.amdhsa_system_sgpr_workgroup_id_y 0
		.amdhsa_system_sgpr_workgroup_id_z 0
		.amdhsa_system_sgpr_workgroup_info 0
		.amdhsa_system_vgpr_workitem_id 0
		.amdhsa_next_free_vgpr 1
		.amdhsa_next_free_sgpr 1
		.amdhsa_reserve_vcc 0
		.amdhsa_reserve_flat_scratch 0
		.amdhsa_float_round_mode_32 0
		.amdhsa_float_round_mode_16_64 0
		.amdhsa_float_denorm_mode_32 3
		.amdhsa_float_denorm_mode_16_64 3
		.amdhsa_dx10_clamp 1
		.amdhsa_ieee_mode 1
		.amdhsa_fp16_overflow 0
		.amdhsa_workgroup_processor_mode 1
		.amdhsa_memory_ordered 1
		.amdhsa_forward_progress 1
		.amdhsa_shared_vgpr_count 0
		.amdhsa_exception_fp_ieee_invalid_op 0
		.amdhsa_exception_fp_denorm_src 0
		.amdhsa_exception_fp_ieee_div_zero 0
		.amdhsa_exception_fp_ieee_overflow 0
		.amdhsa_exception_fp_ieee_underflow 0
		.amdhsa_exception_fp_ieee_inexact 0
		.amdhsa_exception_int_div_zero 0
	.end_amdhsa_kernel
	.section	.text._ZN7rocprim17ROCPRIM_400000_NS6detail17trampoline_kernelINS0_14default_configENS1_27scan_by_key_config_selectorIifEEZZNS1_16scan_by_key_implILNS1_25lookback_scan_determinismE0ELb0ES3_N6thrust23THRUST_200600_302600_NS6detail15normal_iteratorINS9_10device_ptrIiEEEENSB_INSC_IfEEEESG_fNS9_4plusIvEENS9_8equal_toIvEEfEE10hipError_tPvRmT2_T3_T4_T5_mT6_T7_P12ihipStream_tbENKUlT_T0_E_clISt17integral_constantIbLb0EES10_IbLb1EEEEDaSW_SX_EUlSW_E_NS1_11comp_targetILNS1_3genE5ELNS1_11target_archE942ELNS1_3gpuE9ELNS1_3repE0EEENS1_30default_config_static_selectorELNS0_4arch9wavefront6targetE0EEEvT1_,"axG",@progbits,_ZN7rocprim17ROCPRIM_400000_NS6detail17trampoline_kernelINS0_14default_configENS1_27scan_by_key_config_selectorIifEEZZNS1_16scan_by_key_implILNS1_25lookback_scan_determinismE0ELb0ES3_N6thrust23THRUST_200600_302600_NS6detail15normal_iteratorINS9_10device_ptrIiEEEENSB_INSC_IfEEEESG_fNS9_4plusIvEENS9_8equal_toIvEEfEE10hipError_tPvRmT2_T3_T4_T5_mT6_T7_P12ihipStream_tbENKUlT_T0_E_clISt17integral_constantIbLb0EES10_IbLb1EEEEDaSW_SX_EUlSW_E_NS1_11comp_targetILNS1_3genE5ELNS1_11target_archE942ELNS1_3gpuE9ELNS1_3repE0EEENS1_30default_config_static_selectorELNS0_4arch9wavefront6targetE0EEEvT1_,comdat
.Lfunc_end1165:
	.size	_ZN7rocprim17ROCPRIM_400000_NS6detail17trampoline_kernelINS0_14default_configENS1_27scan_by_key_config_selectorIifEEZZNS1_16scan_by_key_implILNS1_25lookback_scan_determinismE0ELb0ES3_N6thrust23THRUST_200600_302600_NS6detail15normal_iteratorINS9_10device_ptrIiEEEENSB_INSC_IfEEEESG_fNS9_4plusIvEENS9_8equal_toIvEEfEE10hipError_tPvRmT2_T3_T4_T5_mT6_T7_P12ihipStream_tbENKUlT_T0_E_clISt17integral_constantIbLb0EES10_IbLb1EEEEDaSW_SX_EUlSW_E_NS1_11comp_targetILNS1_3genE5ELNS1_11target_archE942ELNS1_3gpuE9ELNS1_3repE0EEENS1_30default_config_static_selectorELNS0_4arch9wavefront6targetE0EEEvT1_, .Lfunc_end1165-_ZN7rocprim17ROCPRIM_400000_NS6detail17trampoline_kernelINS0_14default_configENS1_27scan_by_key_config_selectorIifEEZZNS1_16scan_by_key_implILNS1_25lookback_scan_determinismE0ELb0ES3_N6thrust23THRUST_200600_302600_NS6detail15normal_iteratorINS9_10device_ptrIiEEEENSB_INSC_IfEEEESG_fNS9_4plusIvEENS9_8equal_toIvEEfEE10hipError_tPvRmT2_T3_T4_T5_mT6_T7_P12ihipStream_tbENKUlT_T0_E_clISt17integral_constantIbLb0EES10_IbLb1EEEEDaSW_SX_EUlSW_E_NS1_11comp_targetILNS1_3genE5ELNS1_11target_archE942ELNS1_3gpuE9ELNS1_3repE0EEENS1_30default_config_static_selectorELNS0_4arch9wavefront6targetE0EEEvT1_
                                        ; -- End function
	.set _ZN7rocprim17ROCPRIM_400000_NS6detail17trampoline_kernelINS0_14default_configENS1_27scan_by_key_config_selectorIifEEZZNS1_16scan_by_key_implILNS1_25lookback_scan_determinismE0ELb0ES3_N6thrust23THRUST_200600_302600_NS6detail15normal_iteratorINS9_10device_ptrIiEEEENSB_INSC_IfEEEESG_fNS9_4plusIvEENS9_8equal_toIvEEfEE10hipError_tPvRmT2_T3_T4_T5_mT6_T7_P12ihipStream_tbENKUlT_T0_E_clISt17integral_constantIbLb0EES10_IbLb1EEEEDaSW_SX_EUlSW_E_NS1_11comp_targetILNS1_3genE5ELNS1_11target_archE942ELNS1_3gpuE9ELNS1_3repE0EEENS1_30default_config_static_selectorELNS0_4arch9wavefront6targetE0EEEvT1_.num_vgpr, 0
	.set _ZN7rocprim17ROCPRIM_400000_NS6detail17trampoline_kernelINS0_14default_configENS1_27scan_by_key_config_selectorIifEEZZNS1_16scan_by_key_implILNS1_25lookback_scan_determinismE0ELb0ES3_N6thrust23THRUST_200600_302600_NS6detail15normal_iteratorINS9_10device_ptrIiEEEENSB_INSC_IfEEEESG_fNS9_4plusIvEENS9_8equal_toIvEEfEE10hipError_tPvRmT2_T3_T4_T5_mT6_T7_P12ihipStream_tbENKUlT_T0_E_clISt17integral_constantIbLb0EES10_IbLb1EEEEDaSW_SX_EUlSW_E_NS1_11comp_targetILNS1_3genE5ELNS1_11target_archE942ELNS1_3gpuE9ELNS1_3repE0EEENS1_30default_config_static_selectorELNS0_4arch9wavefront6targetE0EEEvT1_.num_agpr, 0
	.set _ZN7rocprim17ROCPRIM_400000_NS6detail17trampoline_kernelINS0_14default_configENS1_27scan_by_key_config_selectorIifEEZZNS1_16scan_by_key_implILNS1_25lookback_scan_determinismE0ELb0ES3_N6thrust23THRUST_200600_302600_NS6detail15normal_iteratorINS9_10device_ptrIiEEEENSB_INSC_IfEEEESG_fNS9_4plusIvEENS9_8equal_toIvEEfEE10hipError_tPvRmT2_T3_T4_T5_mT6_T7_P12ihipStream_tbENKUlT_T0_E_clISt17integral_constantIbLb0EES10_IbLb1EEEEDaSW_SX_EUlSW_E_NS1_11comp_targetILNS1_3genE5ELNS1_11target_archE942ELNS1_3gpuE9ELNS1_3repE0EEENS1_30default_config_static_selectorELNS0_4arch9wavefront6targetE0EEEvT1_.numbered_sgpr, 0
	.set _ZN7rocprim17ROCPRIM_400000_NS6detail17trampoline_kernelINS0_14default_configENS1_27scan_by_key_config_selectorIifEEZZNS1_16scan_by_key_implILNS1_25lookback_scan_determinismE0ELb0ES3_N6thrust23THRUST_200600_302600_NS6detail15normal_iteratorINS9_10device_ptrIiEEEENSB_INSC_IfEEEESG_fNS9_4plusIvEENS9_8equal_toIvEEfEE10hipError_tPvRmT2_T3_T4_T5_mT6_T7_P12ihipStream_tbENKUlT_T0_E_clISt17integral_constantIbLb0EES10_IbLb1EEEEDaSW_SX_EUlSW_E_NS1_11comp_targetILNS1_3genE5ELNS1_11target_archE942ELNS1_3gpuE9ELNS1_3repE0EEENS1_30default_config_static_selectorELNS0_4arch9wavefront6targetE0EEEvT1_.num_named_barrier, 0
	.set _ZN7rocprim17ROCPRIM_400000_NS6detail17trampoline_kernelINS0_14default_configENS1_27scan_by_key_config_selectorIifEEZZNS1_16scan_by_key_implILNS1_25lookback_scan_determinismE0ELb0ES3_N6thrust23THRUST_200600_302600_NS6detail15normal_iteratorINS9_10device_ptrIiEEEENSB_INSC_IfEEEESG_fNS9_4plusIvEENS9_8equal_toIvEEfEE10hipError_tPvRmT2_T3_T4_T5_mT6_T7_P12ihipStream_tbENKUlT_T0_E_clISt17integral_constantIbLb0EES10_IbLb1EEEEDaSW_SX_EUlSW_E_NS1_11comp_targetILNS1_3genE5ELNS1_11target_archE942ELNS1_3gpuE9ELNS1_3repE0EEENS1_30default_config_static_selectorELNS0_4arch9wavefront6targetE0EEEvT1_.private_seg_size, 0
	.set _ZN7rocprim17ROCPRIM_400000_NS6detail17trampoline_kernelINS0_14default_configENS1_27scan_by_key_config_selectorIifEEZZNS1_16scan_by_key_implILNS1_25lookback_scan_determinismE0ELb0ES3_N6thrust23THRUST_200600_302600_NS6detail15normal_iteratorINS9_10device_ptrIiEEEENSB_INSC_IfEEEESG_fNS9_4plusIvEENS9_8equal_toIvEEfEE10hipError_tPvRmT2_T3_T4_T5_mT6_T7_P12ihipStream_tbENKUlT_T0_E_clISt17integral_constantIbLb0EES10_IbLb1EEEEDaSW_SX_EUlSW_E_NS1_11comp_targetILNS1_3genE5ELNS1_11target_archE942ELNS1_3gpuE9ELNS1_3repE0EEENS1_30default_config_static_selectorELNS0_4arch9wavefront6targetE0EEEvT1_.uses_vcc, 0
	.set _ZN7rocprim17ROCPRIM_400000_NS6detail17trampoline_kernelINS0_14default_configENS1_27scan_by_key_config_selectorIifEEZZNS1_16scan_by_key_implILNS1_25lookback_scan_determinismE0ELb0ES3_N6thrust23THRUST_200600_302600_NS6detail15normal_iteratorINS9_10device_ptrIiEEEENSB_INSC_IfEEEESG_fNS9_4plusIvEENS9_8equal_toIvEEfEE10hipError_tPvRmT2_T3_T4_T5_mT6_T7_P12ihipStream_tbENKUlT_T0_E_clISt17integral_constantIbLb0EES10_IbLb1EEEEDaSW_SX_EUlSW_E_NS1_11comp_targetILNS1_3genE5ELNS1_11target_archE942ELNS1_3gpuE9ELNS1_3repE0EEENS1_30default_config_static_selectorELNS0_4arch9wavefront6targetE0EEEvT1_.uses_flat_scratch, 0
	.set _ZN7rocprim17ROCPRIM_400000_NS6detail17trampoline_kernelINS0_14default_configENS1_27scan_by_key_config_selectorIifEEZZNS1_16scan_by_key_implILNS1_25lookback_scan_determinismE0ELb0ES3_N6thrust23THRUST_200600_302600_NS6detail15normal_iteratorINS9_10device_ptrIiEEEENSB_INSC_IfEEEESG_fNS9_4plusIvEENS9_8equal_toIvEEfEE10hipError_tPvRmT2_T3_T4_T5_mT6_T7_P12ihipStream_tbENKUlT_T0_E_clISt17integral_constantIbLb0EES10_IbLb1EEEEDaSW_SX_EUlSW_E_NS1_11comp_targetILNS1_3genE5ELNS1_11target_archE942ELNS1_3gpuE9ELNS1_3repE0EEENS1_30default_config_static_selectorELNS0_4arch9wavefront6targetE0EEEvT1_.has_dyn_sized_stack, 0
	.set _ZN7rocprim17ROCPRIM_400000_NS6detail17trampoline_kernelINS0_14default_configENS1_27scan_by_key_config_selectorIifEEZZNS1_16scan_by_key_implILNS1_25lookback_scan_determinismE0ELb0ES3_N6thrust23THRUST_200600_302600_NS6detail15normal_iteratorINS9_10device_ptrIiEEEENSB_INSC_IfEEEESG_fNS9_4plusIvEENS9_8equal_toIvEEfEE10hipError_tPvRmT2_T3_T4_T5_mT6_T7_P12ihipStream_tbENKUlT_T0_E_clISt17integral_constantIbLb0EES10_IbLb1EEEEDaSW_SX_EUlSW_E_NS1_11comp_targetILNS1_3genE5ELNS1_11target_archE942ELNS1_3gpuE9ELNS1_3repE0EEENS1_30default_config_static_selectorELNS0_4arch9wavefront6targetE0EEEvT1_.has_recursion, 0
	.set _ZN7rocprim17ROCPRIM_400000_NS6detail17trampoline_kernelINS0_14default_configENS1_27scan_by_key_config_selectorIifEEZZNS1_16scan_by_key_implILNS1_25lookback_scan_determinismE0ELb0ES3_N6thrust23THRUST_200600_302600_NS6detail15normal_iteratorINS9_10device_ptrIiEEEENSB_INSC_IfEEEESG_fNS9_4plusIvEENS9_8equal_toIvEEfEE10hipError_tPvRmT2_T3_T4_T5_mT6_T7_P12ihipStream_tbENKUlT_T0_E_clISt17integral_constantIbLb0EES10_IbLb1EEEEDaSW_SX_EUlSW_E_NS1_11comp_targetILNS1_3genE5ELNS1_11target_archE942ELNS1_3gpuE9ELNS1_3repE0EEENS1_30default_config_static_selectorELNS0_4arch9wavefront6targetE0EEEvT1_.has_indirect_call, 0
	.section	.AMDGPU.csdata,"",@progbits
; Kernel info:
; codeLenInByte = 0
; TotalNumSgprs: 0
; NumVgprs: 0
; ScratchSize: 0
; MemoryBound: 0
; FloatMode: 240
; IeeeMode: 1
; LDSByteSize: 0 bytes/workgroup (compile time only)
; SGPRBlocks: 0
; VGPRBlocks: 0
; NumSGPRsForWavesPerEU: 1
; NumVGPRsForWavesPerEU: 1
; Occupancy: 16
; WaveLimiterHint : 0
; COMPUTE_PGM_RSRC2:SCRATCH_EN: 0
; COMPUTE_PGM_RSRC2:USER_SGPR: 6
; COMPUTE_PGM_RSRC2:TRAP_HANDLER: 0
; COMPUTE_PGM_RSRC2:TGID_X_EN: 1
; COMPUTE_PGM_RSRC2:TGID_Y_EN: 0
; COMPUTE_PGM_RSRC2:TGID_Z_EN: 0
; COMPUTE_PGM_RSRC2:TIDIG_COMP_CNT: 0
	.section	.text._ZN7rocprim17ROCPRIM_400000_NS6detail17trampoline_kernelINS0_14default_configENS1_27scan_by_key_config_selectorIifEEZZNS1_16scan_by_key_implILNS1_25lookback_scan_determinismE0ELb0ES3_N6thrust23THRUST_200600_302600_NS6detail15normal_iteratorINS9_10device_ptrIiEEEENSB_INSC_IfEEEESG_fNS9_4plusIvEENS9_8equal_toIvEEfEE10hipError_tPvRmT2_T3_T4_T5_mT6_T7_P12ihipStream_tbENKUlT_T0_E_clISt17integral_constantIbLb0EES10_IbLb1EEEEDaSW_SX_EUlSW_E_NS1_11comp_targetILNS1_3genE4ELNS1_11target_archE910ELNS1_3gpuE8ELNS1_3repE0EEENS1_30default_config_static_selectorELNS0_4arch9wavefront6targetE0EEEvT1_,"axG",@progbits,_ZN7rocprim17ROCPRIM_400000_NS6detail17trampoline_kernelINS0_14default_configENS1_27scan_by_key_config_selectorIifEEZZNS1_16scan_by_key_implILNS1_25lookback_scan_determinismE0ELb0ES3_N6thrust23THRUST_200600_302600_NS6detail15normal_iteratorINS9_10device_ptrIiEEEENSB_INSC_IfEEEESG_fNS9_4plusIvEENS9_8equal_toIvEEfEE10hipError_tPvRmT2_T3_T4_T5_mT6_T7_P12ihipStream_tbENKUlT_T0_E_clISt17integral_constantIbLb0EES10_IbLb1EEEEDaSW_SX_EUlSW_E_NS1_11comp_targetILNS1_3genE4ELNS1_11target_archE910ELNS1_3gpuE8ELNS1_3repE0EEENS1_30default_config_static_selectorELNS0_4arch9wavefront6targetE0EEEvT1_,comdat
	.protected	_ZN7rocprim17ROCPRIM_400000_NS6detail17trampoline_kernelINS0_14default_configENS1_27scan_by_key_config_selectorIifEEZZNS1_16scan_by_key_implILNS1_25lookback_scan_determinismE0ELb0ES3_N6thrust23THRUST_200600_302600_NS6detail15normal_iteratorINS9_10device_ptrIiEEEENSB_INSC_IfEEEESG_fNS9_4plusIvEENS9_8equal_toIvEEfEE10hipError_tPvRmT2_T3_T4_T5_mT6_T7_P12ihipStream_tbENKUlT_T0_E_clISt17integral_constantIbLb0EES10_IbLb1EEEEDaSW_SX_EUlSW_E_NS1_11comp_targetILNS1_3genE4ELNS1_11target_archE910ELNS1_3gpuE8ELNS1_3repE0EEENS1_30default_config_static_selectorELNS0_4arch9wavefront6targetE0EEEvT1_ ; -- Begin function _ZN7rocprim17ROCPRIM_400000_NS6detail17trampoline_kernelINS0_14default_configENS1_27scan_by_key_config_selectorIifEEZZNS1_16scan_by_key_implILNS1_25lookback_scan_determinismE0ELb0ES3_N6thrust23THRUST_200600_302600_NS6detail15normal_iteratorINS9_10device_ptrIiEEEENSB_INSC_IfEEEESG_fNS9_4plusIvEENS9_8equal_toIvEEfEE10hipError_tPvRmT2_T3_T4_T5_mT6_T7_P12ihipStream_tbENKUlT_T0_E_clISt17integral_constantIbLb0EES10_IbLb1EEEEDaSW_SX_EUlSW_E_NS1_11comp_targetILNS1_3genE4ELNS1_11target_archE910ELNS1_3gpuE8ELNS1_3repE0EEENS1_30default_config_static_selectorELNS0_4arch9wavefront6targetE0EEEvT1_
	.globl	_ZN7rocprim17ROCPRIM_400000_NS6detail17trampoline_kernelINS0_14default_configENS1_27scan_by_key_config_selectorIifEEZZNS1_16scan_by_key_implILNS1_25lookback_scan_determinismE0ELb0ES3_N6thrust23THRUST_200600_302600_NS6detail15normal_iteratorINS9_10device_ptrIiEEEENSB_INSC_IfEEEESG_fNS9_4plusIvEENS9_8equal_toIvEEfEE10hipError_tPvRmT2_T3_T4_T5_mT6_T7_P12ihipStream_tbENKUlT_T0_E_clISt17integral_constantIbLb0EES10_IbLb1EEEEDaSW_SX_EUlSW_E_NS1_11comp_targetILNS1_3genE4ELNS1_11target_archE910ELNS1_3gpuE8ELNS1_3repE0EEENS1_30default_config_static_selectorELNS0_4arch9wavefront6targetE0EEEvT1_
	.p2align	8
	.type	_ZN7rocprim17ROCPRIM_400000_NS6detail17trampoline_kernelINS0_14default_configENS1_27scan_by_key_config_selectorIifEEZZNS1_16scan_by_key_implILNS1_25lookback_scan_determinismE0ELb0ES3_N6thrust23THRUST_200600_302600_NS6detail15normal_iteratorINS9_10device_ptrIiEEEENSB_INSC_IfEEEESG_fNS9_4plusIvEENS9_8equal_toIvEEfEE10hipError_tPvRmT2_T3_T4_T5_mT6_T7_P12ihipStream_tbENKUlT_T0_E_clISt17integral_constantIbLb0EES10_IbLb1EEEEDaSW_SX_EUlSW_E_NS1_11comp_targetILNS1_3genE4ELNS1_11target_archE910ELNS1_3gpuE8ELNS1_3repE0EEENS1_30default_config_static_selectorELNS0_4arch9wavefront6targetE0EEEvT1_,@function
_ZN7rocprim17ROCPRIM_400000_NS6detail17trampoline_kernelINS0_14default_configENS1_27scan_by_key_config_selectorIifEEZZNS1_16scan_by_key_implILNS1_25lookback_scan_determinismE0ELb0ES3_N6thrust23THRUST_200600_302600_NS6detail15normal_iteratorINS9_10device_ptrIiEEEENSB_INSC_IfEEEESG_fNS9_4plusIvEENS9_8equal_toIvEEfEE10hipError_tPvRmT2_T3_T4_T5_mT6_T7_P12ihipStream_tbENKUlT_T0_E_clISt17integral_constantIbLb0EES10_IbLb1EEEEDaSW_SX_EUlSW_E_NS1_11comp_targetILNS1_3genE4ELNS1_11target_archE910ELNS1_3gpuE8ELNS1_3repE0EEENS1_30default_config_static_selectorELNS0_4arch9wavefront6targetE0EEEvT1_: ; @_ZN7rocprim17ROCPRIM_400000_NS6detail17trampoline_kernelINS0_14default_configENS1_27scan_by_key_config_selectorIifEEZZNS1_16scan_by_key_implILNS1_25lookback_scan_determinismE0ELb0ES3_N6thrust23THRUST_200600_302600_NS6detail15normal_iteratorINS9_10device_ptrIiEEEENSB_INSC_IfEEEESG_fNS9_4plusIvEENS9_8equal_toIvEEfEE10hipError_tPvRmT2_T3_T4_T5_mT6_T7_P12ihipStream_tbENKUlT_T0_E_clISt17integral_constantIbLb0EES10_IbLb1EEEEDaSW_SX_EUlSW_E_NS1_11comp_targetILNS1_3genE4ELNS1_11target_archE910ELNS1_3gpuE8ELNS1_3repE0EEENS1_30default_config_static_selectorELNS0_4arch9wavefront6targetE0EEEvT1_
; %bb.0:
	.section	.rodata,"a",@progbits
	.p2align	6, 0x0
	.amdhsa_kernel _ZN7rocprim17ROCPRIM_400000_NS6detail17trampoline_kernelINS0_14default_configENS1_27scan_by_key_config_selectorIifEEZZNS1_16scan_by_key_implILNS1_25lookback_scan_determinismE0ELb0ES3_N6thrust23THRUST_200600_302600_NS6detail15normal_iteratorINS9_10device_ptrIiEEEENSB_INSC_IfEEEESG_fNS9_4plusIvEENS9_8equal_toIvEEfEE10hipError_tPvRmT2_T3_T4_T5_mT6_T7_P12ihipStream_tbENKUlT_T0_E_clISt17integral_constantIbLb0EES10_IbLb1EEEEDaSW_SX_EUlSW_E_NS1_11comp_targetILNS1_3genE4ELNS1_11target_archE910ELNS1_3gpuE8ELNS1_3repE0EEENS1_30default_config_static_selectorELNS0_4arch9wavefront6targetE0EEEvT1_
		.amdhsa_group_segment_fixed_size 0
		.amdhsa_private_segment_fixed_size 0
		.amdhsa_kernarg_size 112
		.amdhsa_user_sgpr_count 6
		.amdhsa_user_sgpr_private_segment_buffer 1
		.amdhsa_user_sgpr_dispatch_ptr 0
		.amdhsa_user_sgpr_queue_ptr 0
		.amdhsa_user_sgpr_kernarg_segment_ptr 1
		.amdhsa_user_sgpr_dispatch_id 0
		.amdhsa_user_sgpr_flat_scratch_init 0
		.amdhsa_user_sgpr_private_segment_size 0
		.amdhsa_wavefront_size32 1
		.amdhsa_uses_dynamic_stack 0
		.amdhsa_system_sgpr_private_segment_wavefront_offset 0
		.amdhsa_system_sgpr_workgroup_id_x 1
		.amdhsa_system_sgpr_workgroup_id_y 0
		.amdhsa_system_sgpr_workgroup_id_z 0
		.amdhsa_system_sgpr_workgroup_info 0
		.amdhsa_system_vgpr_workitem_id 0
		.amdhsa_next_free_vgpr 1
		.amdhsa_next_free_sgpr 1
		.amdhsa_reserve_vcc 0
		.amdhsa_reserve_flat_scratch 0
		.amdhsa_float_round_mode_32 0
		.amdhsa_float_round_mode_16_64 0
		.amdhsa_float_denorm_mode_32 3
		.amdhsa_float_denorm_mode_16_64 3
		.amdhsa_dx10_clamp 1
		.amdhsa_ieee_mode 1
		.amdhsa_fp16_overflow 0
		.amdhsa_workgroup_processor_mode 1
		.amdhsa_memory_ordered 1
		.amdhsa_forward_progress 1
		.amdhsa_shared_vgpr_count 0
		.amdhsa_exception_fp_ieee_invalid_op 0
		.amdhsa_exception_fp_denorm_src 0
		.amdhsa_exception_fp_ieee_div_zero 0
		.amdhsa_exception_fp_ieee_overflow 0
		.amdhsa_exception_fp_ieee_underflow 0
		.amdhsa_exception_fp_ieee_inexact 0
		.amdhsa_exception_int_div_zero 0
	.end_amdhsa_kernel
	.section	.text._ZN7rocprim17ROCPRIM_400000_NS6detail17trampoline_kernelINS0_14default_configENS1_27scan_by_key_config_selectorIifEEZZNS1_16scan_by_key_implILNS1_25lookback_scan_determinismE0ELb0ES3_N6thrust23THRUST_200600_302600_NS6detail15normal_iteratorINS9_10device_ptrIiEEEENSB_INSC_IfEEEESG_fNS9_4plusIvEENS9_8equal_toIvEEfEE10hipError_tPvRmT2_T3_T4_T5_mT6_T7_P12ihipStream_tbENKUlT_T0_E_clISt17integral_constantIbLb0EES10_IbLb1EEEEDaSW_SX_EUlSW_E_NS1_11comp_targetILNS1_3genE4ELNS1_11target_archE910ELNS1_3gpuE8ELNS1_3repE0EEENS1_30default_config_static_selectorELNS0_4arch9wavefront6targetE0EEEvT1_,"axG",@progbits,_ZN7rocprim17ROCPRIM_400000_NS6detail17trampoline_kernelINS0_14default_configENS1_27scan_by_key_config_selectorIifEEZZNS1_16scan_by_key_implILNS1_25lookback_scan_determinismE0ELb0ES3_N6thrust23THRUST_200600_302600_NS6detail15normal_iteratorINS9_10device_ptrIiEEEENSB_INSC_IfEEEESG_fNS9_4plusIvEENS9_8equal_toIvEEfEE10hipError_tPvRmT2_T3_T4_T5_mT6_T7_P12ihipStream_tbENKUlT_T0_E_clISt17integral_constantIbLb0EES10_IbLb1EEEEDaSW_SX_EUlSW_E_NS1_11comp_targetILNS1_3genE4ELNS1_11target_archE910ELNS1_3gpuE8ELNS1_3repE0EEENS1_30default_config_static_selectorELNS0_4arch9wavefront6targetE0EEEvT1_,comdat
.Lfunc_end1166:
	.size	_ZN7rocprim17ROCPRIM_400000_NS6detail17trampoline_kernelINS0_14default_configENS1_27scan_by_key_config_selectorIifEEZZNS1_16scan_by_key_implILNS1_25lookback_scan_determinismE0ELb0ES3_N6thrust23THRUST_200600_302600_NS6detail15normal_iteratorINS9_10device_ptrIiEEEENSB_INSC_IfEEEESG_fNS9_4plusIvEENS9_8equal_toIvEEfEE10hipError_tPvRmT2_T3_T4_T5_mT6_T7_P12ihipStream_tbENKUlT_T0_E_clISt17integral_constantIbLb0EES10_IbLb1EEEEDaSW_SX_EUlSW_E_NS1_11comp_targetILNS1_3genE4ELNS1_11target_archE910ELNS1_3gpuE8ELNS1_3repE0EEENS1_30default_config_static_selectorELNS0_4arch9wavefront6targetE0EEEvT1_, .Lfunc_end1166-_ZN7rocprim17ROCPRIM_400000_NS6detail17trampoline_kernelINS0_14default_configENS1_27scan_by_key_config_selectorIifEEZZNS1_16scan_by_key_implILNS1_25lookback_scan_determinismE0ELb0ES3_N6thrust23THRUST_200600_302600_NS6detail15normal_iteratorINS9_10device_ptrIiEEEENSB_INSC_IfEEEESG_fNS9_4plusIvEENS9_8equal_toIvEEfEE10hipError_tPvRmT2_T3_T4_T5_mT6_T7_P12ihipStream_tbENKUlT_T0_E_clISt17integral_constantIbLb0EES10_IbLb1EEEEDaSW_SX_EUlSW_E_NS1_11comp_targetILNS1_3genE4ELNS1_11target_archE910ELNS1_3gpuE8ELNS1_3repE0EEENS1_30default_config_static_selectorELNS0_4arch9wavefront6targetE0EEEvT1_
                                        ; -- End function
	.set _ZN7rocprim17ROCPRIM_400000_NS6detail17trampoline_kernelINS0_14default_configENS1_27scan_by_key_config_selectorIifEEZZNS1_16scan_by_key_implILNS1_25lookback_scan_determinismE0ELb0ES3_N6thrust23THRUST_200600_302600_NS6detail15normal_iteratorINS9_10device_ptrIiEEEENSB_INSC_IfEEEESG_fNS9_4plusIvEENS9_8equal_toIvEEfEE10hipError_tPvRmT2_T3_T4_T5_mT6_T7_P12ihipStream_tbENKUlT_T0_E_clISt17integral_constantIbLb0EES10_IbLb1EEEEDaSW_SX_EUlSW_E_NS1_11comp_targetILNS1_3genE4ELNS1_11target_archE910ELNS1_3gpuE8ELNS1_3repE0EEENS1_30default_config_static_selectorELNS0_4arch9wavefront6targetE0EEEvT1_.num_vgpr, 0
	.set _ZN7rocprim17ROCPRIM_400000_NS6detail17trampoline_kernelINS0_14default_configENS1_27scan_by_key_config_selectorIifEEZZNS1_16scan_by_key_implILNS1_25lookback_scan_determinismE0ELb0ES3_N6thrust23THRUST_200600_302600_NS6detail15normal_iteratorINS9_10device_ptrIiEEEENSB_INSC_IfEEEESG_fNS9_4plusIvEENS9_8equal_toIvEEfEE10hipError_tPvRmT2_T3_T4_T5_mT6_T7_P12ihipStream_tbENKUlT_T0_E_clISt17integral_constantIbLb0EES10_IbLb1EEEEDaSW_SX_EUlSW_E_NS1_11comp_targetILNS1_3genE4ELNS1_11target_archE910ELNS1_3gpuE8ELNS1_3repE0EEENS1_30default_config_static_selectorELNS0_4arch9wavefront6targetE0EEEvT1_.num_agpr, 0
	.set _ZN7rocprim17ROCPRIM_400000_NS6detail17trampoline_kernelINS0_14default_configENS1_27scan_by_key_config_selectorIifEEZZNS1_16scan_by_key_implILNS1_25lookback_scan_determinismE0ELb0ES3_N6thrust23THRUST_200600_302600_NS6detail15normal_iteratorINS9_10device_ptrIiEEEENSB_INSC_IfEEEESG_fNS9_4plusIvEENS9_8equal_toIvEEfEE10hipError_tPvRmT2_T3_T4_T5_mT6_T7_P12ihipStream_tbENKUlT_T0_E_clISt17integral_constantIbLb0EES10_IbLb1EEEEDaSW_SX_EUlSW_E_NS1_11comp_targetILNS1_3genE4ELNS1_11target_archE910ELNS1_3gpuE8ELNS1_3repE0EEENS1_30default_config_static_selectorELNS0_4arch9wavefront6targetE0EEEvT1_.numbered_sgpr, 0
	.set _ZN7rocprim17ROCPRIM_400000_NS6detail17trampoline_kernelINS0_14default_configENS1_27scan_by_key_config_selectorIifEEZZNS1_16scan_by_key_implILNS1_25lookback_scan_determinismE0ELb0ES3_N6thrust23THRUST_200600_302600_NS6detail15normal_iteratorINS9_10device_ptrIiEEEENSB_INSC_IfEEEESG_fNS9_4plusIvEENS9_8equal_toIvEEfEE10hipError_tPvRmT2_T3_T4_T5_mT6_T7_P12ihipStream_tbENKUlT_T0_E_clISt17integral_constantIbLb0EES10_IbLb1EEEEDaSW_SX_EUlSW_E_NS1_11comp_targetILNS1_3genE4ELNS1_11target_archE910ELNS1_3gpuE8ELNS1_3repE0EEENS1_30default_config_static_selectorELNS0_4arch9wavefront6targetE0EEEvT1_.num_named_barrier, 0
	.set _ZN7rocprim17ROCPRIM_400000_NS6detail17trampoline_kernelINS0_14default_configENS1_27scan_by_key_config_selectorIifEEZZNS1_16scan_by_key_implILNS1_25lookback_scan_determinismE0ELb0ES3_N6thrust23THRUST_200600_302600_NS6detail15normal_iteratorINS9_10device_ptrIiEEEENSB_INSC_IfEEEESG_fNS9_4plusIvEENS9_8equal_toIvEEfEE10hipError_tPvRmT2_T3_T4_T5_mT6_T7_P12ihipStream_tbENKUlT_T0_E_clISt17integral_constantIbLb0EES10_IbLb1EEEEDaSW_SX_EUlSW_E_NS1_11comp_targetILNS1_3genE4ELNS1_11target_archE910ELNS1_3gpuE8ELNS1_3repE0EEENS1_30default_config_static_selectorELNS0_4arch9wavefront6targetE0EEEvT1_.private_seg_size, 0
	.set _ZN7rocprim17ROCPRIM_400000_NS6detail17trampoline_kernelINS0_14default_configENS1_27scan_by_key_config_selectorIifEEZZNS1_16scan_by_key_implILNS1_25lookback_scan_determinismE0ELb0ES3_N6thrust23THRUST_200600_302600_NS6detail15normal_iteratorINS9_10device_ptrIiEEEENSB_INSC_IfEEEESG_fNS9_4plusIvEENS9_8equal_toIvEEfEE10hipError_tPvRmT2_T3_T4_T5_mT6_T7_P12ihipStream_tbENKUlT_T0_E_clISt17integral_constantIbLb0EES10_IbLb1EEEEDaSW_SX_EUlSW_E_NS1_11comp_targetILNS1_3genE4ELNS1_11target_archE910ELNS1_3gpuE8ELNS1_3repE0EEENS1_30default_config_static_selectorELNS0_4arch9wavefront6targetE0EEEvT1_.uses_vcc, 0
	.set _ZN7rocprim17ROCPRIM_400000_NS6detail17trampoline_kernelINS0_14default_configENS1_27scan_by_key_config_selectorIifEEZZNS1_16scan_by_key_implILNS1_25lookback_scan_determinismE0ELb0ES3_N6thrust23THRUST_200600_302600_NS6detail15normal_iteratorINS9_10device_ptrIiEEEENSB_INSC_IfEEEESG_fNS9_4plusIvEENS9_8equal_toIvEEfEE10hipError_tPvRmT2_T3_T4_T5_mT6_T7_P12ihipStream_tbENKUlT_T0_E_clISt17integral_constantIbLb0EES10_IbLb1EEEEDaSW_SX_EUlSW_E_NS1_11comp_targetILNS1_3genE4ELNS1_11target_archE910ELNS1_3gpuE8ELNS1_3repE0EEENS1_30default_config_static_selectorELNS0_4arch9wavefront6targetE0EEEvT1_.uses_flat_scratch, 0
	.set _ZN7rocprim17ROCPRIM_400000_NS6detail17trampoline_kernelINS0_14default_configENS1_27scan_by_key_config_selectorIifEEZZNS1_16scan_by_key_implILNS1_25lookback_scan_determinismE0ELb0ES3_N6thrust23THRUST_200600_302600_NS6detail15normal_iteratorINS9_10device_ptrIiEEEENSB_INSC_IfEEEESG_fNS9_4plusIvEENS9_8equal_toIvEEfEE10hipError_tPvRmT2_T3_T4_T5_mT6_T7_P12ihipStream_tbENKUlT_T0_E_clISt17integral_constantIbLb0EES10_IbLb1EEEEDaSW_SX_EUlSW_E_NS1_11comp_targetILNS1_3genE4ELNS1_11target_archE910ELNS1_3gpuE8ELNS1_3repE0EEENS1_30default_config_static_selectorELNS0_4arch9wavefront6targetE0EEEvT1_.has_dyn_sized_stack, 0
	.set _ZN7rocprim17ROCPRIM_400000_NS6detail17trampoline_kernelINS0_14default_configENS1_27scan_by_key_config_selectorIifEEZZNS1_16scan_by_key_implILNS1_25lookback_scan_determinismE0ELb0ES3_N6thrust23THRUST_200600_302600_NS6detail15normal_iteratorINS9_10device_ptrIiEEEENSB_INSC_IfEEEESG_fNS9_4plusIvEENS9_8equal_toIvEEfEE10hipError_tPvRmT2_T3_T4_T5_mT6_T7_P12ihipStream_tbENKUlT_T0_E_clISt17integral_constantIbLb0EES10_IbLb1EEEEDaSW_SX_EUlSW_E_NS1_11comp_targetILNS1_3genE4ELNS1_11target_archE910ELNS1_3gpuE8ELNS1_3repE0EEENS1_30default_config_static_selectorELNS0_4arch9wavefront6targetE0EEEvT1_.has_recursion, 0
	.set _ZN7rocprim17ROCPRIM_400000_NS6detail17trampoline_kernelINS0_14default_configENS1_27scan_by_key_config_selectorIifEEZZNS1_16scan_by_key_implILNS1_25lookback_scan_determinismE0ELb0ES3_N6thrust23THRUST_200600_302600_NS6detail15normal_iteratorINS9_10device_ptrIiEEEENSB_INSC_IfEEEESG_fNS9_4plusIvEENS9_8equal_toIvEEfEE10hipError_tPvRmT2_T3_T4_T5_mT6_T7_P12ihipStream_tbENKUlT_T0_E_clISt17integral_constantIbLb0EES10_IbLb1EEEEDaSW_SX_EUlSW_E_NS1_11comp_targetILNS1_3genE4ELNS1_11target_archE910ELNS1_3gpuE8ELNS1_3repE0EEENS1_30default_config_static_selectorELNS0_4arch9wavefront6targetE0EEEvT1_.has_indirect_call, 0
	.section	.AMDGPU.csdata,"",@progbits
; Kernel info:
; codeLenInByte = 0
; TotalNumSgprs: 0
; NumVgprs: 0
; ScratchSize: 0
; MemoryBound: 0
; FloatMode: 240
; IeeeMode: 1
; LDSByteSize: 0 bytes/workgroup (compile time only)
; SGPRBlocks: 0
; VGPRBlocks: 0
; NumSGPRsForWavesPerEU: 1
; NumVGPRsForWavesPerEU: 1
; Occupancy: 16
; WaveLimiterHint : 0
; COMPUTE_PGM_RSRC2:SCRATCH_EN: 0
; COMPUTE_PGM_RSRC2:USER_SGPR: 6
; COMPUTE_PGM_RSRC2:TRAP_HANDLER: 0
; COMPUTE_PGM_RSRC2:TGID_X_EN: 1
; COMPUTE_PGM_RSRC2:TGID_Y_EN: 0
; COMPUTE_PGM_RSRC2:TGID_Z_EN: 0
; COMPUTE_PGM_RSRC2:TIDIG_COMP_CNT: 0
	.section	.text._ZN7rocprim17ROCPRIM_400000_NS6detail17trampoline_kernelINS0_14default_configENS1_27scan_by_key_config_selectorIifEEZZNS1_16scan_by_key_implILNS1_25lookback_scan_determinismE0ELb0ES3_N6thrust23THRUST_200600_302600_NS6detail15normal_iteratorINS9_10device_ptrIiEEEENSB_INSC_IfEEEESG_fNS9_4plusIvEENS9_8equal_toIvEEfEE10hipError_tPvRmT2_T3_T4_T5_mT6_T7_P12ihipStream_tbENKUlT_T0_E_clISt17integral_constantIbLb0EES10_IbLb1EEEEDaSW_SX_EUlSW_E_NS1_11comp_targetILNS1_3genE3ELNS1_11target_archE908ELNS1_3gpuE7ELNS1_3repE0EEENS1_30default_config_static_selectorELNS0_4arch9wavefront6targetE0EEEvT1_,"axG",@progbits,_ZN7rocprim17ROCPRIM_400000_NS6detail17trampoline_kernelINS0_14default_configENS1_27scan_by_key_config_selectorIifEEZZNS1_16scan_by_key_implILNS1_25lookback_scan_determinismE0ELb0ES3_N6thrust23THRUST_200600_302600_NS6detail15normal_iteratorINS9_10device_ptrIiEEEENSB_INSC_IfEEEESG_fNS9_4plusIvEENS9_8equal_toIvEEfEE10hipError_tPvRmT2_T3_T4_T5_mT6_T7_P12ihipStream_tbENKUlT_T0_E_clISt17integral_constantIbLb0EES10_IbLb1EEEEDaSW_SX_EUlSW_E_NS1_11comp_targetILNS1_3genE3ELNS1_11target_archE908ELNS1_3gpuE7ELNS1_3repE0EEENS1_30default_config_static_selectorELNS0_4arch9wavefront6targetE0EEEvT1_,comdat
	.protected	_ZN7rocprim17ROCPRIM_400000_NS6detail17trampoline_kernelINS0_14default_configENS1_27scan_by_key_config_selectorIifEEZZNS1_16scan_by_key_implILNS1_25lookback_scan_determinismE0ELb0ES3_N6thrust23THRUST_200600_302600_NS6detail15normal_iteratorINS9_10device_ptrIiEEEENSB_INSC_IfEEEESG_fNS9_4plusIvEENS9_8equal_toIvEEfEE10hipError_tPvRmT2_T3_T4_T5_mT6_T7_P12ihipStream_tbENKUlT_T0_E_clISt17integral_constantIbLb0EES10_IbLb1EEEEDaSW_SX_EUlSW_E_NS1_11comp_targetILNS1_3genE3ELNS1_11target_archE908ELNS1_3gpuE7ELNS1_3repE0EEENS1_30default_config_static_selectorELNS0_4arch9wavefront6targetE0EEEvT1_ ; -- Begin function _ZN7rocprim17ROCPRIM_400000_NS6detail17trampoline_kernelINS0_14default_configENS1_27scan_by_key_config_selectorIifEEZZNS1_16scan_by_key_implILNS1_25lookback_scan_determinismE0ELb0ES3_N6thrust23THRUST_200600_302600_NS6detail15normal_iteratorINS9_10device_ptrIiEEEENSB_INSC_IfEEEESG_fNS9_4plusIvEENS9_8equal_toIvEEfEE10hipError_tPvRmT2_T3_T4_T5_mT6_T7_P12ihipStream_tbENKUlT_T0_E_clISt17integral_constantIbLb0EES10_IbLb1EEEEDaSW_SX_EUlSW_E_NS1_11comp_targetILNS1_3genE3ELNS1_11target_archE908ELNS1_3gpuE7ELNS1_3repE0EEENS1_30default_config_static_selectorELNS0_4arch9wavefront6targetE0EEEvT1_
	.globl	_ZN7rocprim17ROCPRIM_400000_NS6detail17trampoline_kernelINS0_14default_configENS1_27scan_by_key_config_selectorIifEEZZNS1_16scan_by_key_implILNS1_25lookback_scan_determinismE0ELb0ES3_N6thrust23THRUST_200600_302600_NS6detail15normal_iteratorINS9_10device_ptrIiEEEENSB_INSC_IfEEEESG_fNS9_4plusIvEENS9_8equal_toIvEEfEE10hipError_tPvRmT2_T3_T4_T5_mT6_T7_P12ihipStream_tbENKUlT_T0_E_clISt17integral_constantIbLb0EES10_IbLb1EEEEDaSW_SX_EUlSW_E_NS1_11comp_targetILNS1_3genE3ELNS1_11target_archE908ELNS1_3gpuE7ELNS1_3repE0EEENS1_30default_config_static_selectorELNS0_4arch9wavefront6targetE0EEEvT1_
	.p2align	8
	.type	_ZN7rocprim17ROCPRIM_400000_NS6detail17trampoline_kernelINS0_14default_configENS1_27scan_by_key_config_selectorIifEEZZNS1_16scan_by_key_implILNS1_25lookback_scan_determinismE0ELb0ES3_N6thrust23THRUST_200600_302600_NS6detail15normal_iteratorINS9_10device_ptrIiEEEENSB_INSC_IfEEEESG_fNS9_4plusIvEENS9_8equal_toIvEEfEE10hipError_tPvRmT2_T3_T4_T5_mT6_T7_P12ihipStream_tbENKUlT_T0_E_clISt17integral_constantIbLb0EES10_IbLb1EEEEDaSW_SX_EUlSW_E_NS1_11comp_targetILNS1_3genE3ELNS1_11target_archE908ELNS1_3gpuE7ELNS1_3repE0EEENS1_30default_config_static_selectorELNS0_4arch9wavefront6targetE0EEEvT1_,@function
_ZN7rocprim17ROCPRIM_400000_NS6detail17trampoline_kernelINS0_14default_configENS1_27scan_by_key_config_selectorIifEEZZNS1_16scan_by_key_implILNS1_25lookback_scan_determinismE0ELb0ES3_N6thrust23THRUST_200600_302600_NS6detail15normal_iteratorINS9_10device_ptrIiEEEENSB_INSC_IfEEEESG_fNS9_4plusIvEENS9_8equal_toIvEEfEE10hipError_tPvRmT2_T3_T4_T5_mT6_T7_P12ihipStream_tbENKUlT_T0_E_clISt17integral_constantIbLb0EES10_IbLb1EEEEDaSW_SX_EUlSW_E_NS1_11comp_targetILNS1_3genE3ELNS1_11target_archE908ELNS1_3gpuE7ELNS1_3repE0EEENS1_30default_config_static_selectorELNS0_4arch9wavefront6targetE0EEEvT1_: ; @_ZN7rocprim17ROCPRIM_400000_NS6detail17trampoline_kernelINS0_14default_configENS1_27scan_by_key_config_selectorIifEEZZNS1_16scan_by_key_implILNS1_25lookback_scan_determinismE0ELb0ES3_N6thrust23THRUST_200600_302600_NS6detail15normal_iteratorINS9_10device_ptrIiEEEENSB_INSC_IfEEEESG_fNS9_4plusIvEENS9_8equal_toIvEEfEE10hipError_tPvRmT2_T3_T4_T5_mT6_T7_P12ihipStream_tbENKUlT_T0_E_clISt17integral_constantIbLb0EES10_IbLb1EEEEDaSW_SX_EUlSW_E_NS1_11comp_targetILNS1_3genE3ELNS1_11target_archE908ELNS1_3gpuE7ELNS1_3repE0EEENS1_30default_config_static_selectorELNS0_4arch9wavefront6targetE0EEEvT1_
; %bb.0:
	.section	.rodata,"a",@progbits
	.p2align	6, 0x0
	.amdhsa_kernel _ZN7rocprim17ROCPRIM_400000_NS6detail17trampoline_kernelINS0_14default_configENS1_27scan_by_key_config_selectorIifEEZZNS1_16scan_by_key_implILNS1_25lookback_scan_determinismE0ELb0ES3_N6thrust23THRUST_200600_302600_NS6detail15normal_iteratorINS9_10device_ptrIiEEEENSB_INSC_IfEEEESG_fNS9_4plusIvEENS9_8equal_toIvEEfEE10hipError_tPvRmT2_T3_T4_T5_mT6_T7_P12ihipStream_tbENKUlT_T0_E_clISt17integral_constantIbLb0EES10_IbLb1EEEEDaSW_SX_EUlSW_E_NS1_11comp_targetILNS1_3genE3ELNS1_11target_archE908ELNS1_3gpuE7ELNS1_3repE0EEENS1_30default_config_static_selectorELNS0_4arch9wavefront6targetE0EEEvT1_
		.amdhsa_group_segment_fixed_size 0
		.amdhsa_private_segment_fixed_size 0
		.amdhsa_kernarg_size 112
		.amdhsa_user_sgpr_count 6
		.amdhsa_user_sgpr_private_segment_buffer 1
		.amdhsa_user_sgpr_dispatch_ptr 0
		.amdhsa_user_sgpr_queue_ptr 0
		.amdhsa_user_sgpr_kernarg_segment_ptr 1
		.amdhsa_user_sgpr_dispatch_id 0
		.amdhsa_user_sgpr_flat_scratch_init 0
		.amdhsa_user_sgpr_private_segment_size 0
		.amdhsa_wavefront_size32 1
		.amdhsa_uses_dynamic_stack 0
		.amdhsa_system_sgpr_private_segment_wavefront_offset 0
		.amdhsa_system_sgpr_workgroup_id_x 1
		.amdhsa_system_sgpr_workgroup_id_y 0
		.amdhsa_system_sgpr_workgroup_id_z 0
		.amdhsa_system_sgpr_workgroup_info 0
		.amdhsa_system_vgpr_workitem_id 0
		.amdhsa_next_free_vgpr 1
		.amdhsa_next_free_sgpr 1
		.amdhsa_reserve_vcc 0
		.amdhsa_reserve_flat_scratch 0
		.amdhsa_float_round_mode_32 0
		.amdhsa_float_round_mode_16_64 0
		.amdhsa_float_denorm_mode_32 3
		.amdhsa_float_denorm_mode_16_64 3
		.amdhsa_dx10_clamp 1
		.amdhsa_ieee_mode 1
		.amdhsa_fp16_overflow 0
		.amdhsa_workgroup_processor_mode 1
		.amdhsa_memory_ordered 1
		.amdhsa_forward_progress 1
		.amdhsa_shared_vgpr_count 0
		.amdhsa_exception_fp_ieee_invalid_op 0
		.amdhsa_exception_fp_denorm_src 0
		.amdhsa_exception_fp_ieee_div_zero 0
		.amdhsa_exception_fp_ieee_overflow 0
		.amdhsa_exception_fp_ieee_underflow 0
		.amdhsa_exception_fp_ieee_inexact 0
		.amdhsa_exception_int_div_zero 0
	.end_amdhsa_kernel
	.section	.text._ZN7rocprim17ROCPRIM_400000_NS6detail17trampoline_kernelINS0_14default_configENS1_27scan_by_key_config_selectorIifEEZZNS1_16scan_by_key_implILNS1_25lookback_scan_determinismE0ELb0ES3_N6thrust23THRUST_200600_302600_NS6detail15normal_iteratorINS9_10device_ptrIiEEEENSB_INSC_IfEEEESG_fNS9_4plusIvEENS9_8equal_toIvEEfEE10hipError_tPvRmT2_T3_T4_T5_mT6_T7_P12ihipStream_tbENKUlT_T0_E_clISt17integral_constantIbLb0EES10_IbLb1EEEEDaSW_SX_EUlSW_E_NS1_11comp_targetILNS1_3genE3ELNS1_11target_archE908ELNS1_3gpuE7ELNS1_3repE0EEENS1_30default_config_static_selectorELNS0_4arch9wavefront6targetE0EEEvT1_,"axG",@progbits,_ZN7rocprim17ROCPRIM_400000_NS6detail17trampoline_kernelINS0_14default_configENS1_27scan_by_key_config_selectorIifEEZZNS1_16scan_by_key_implILNS1_25lookback_scan_determinismE0ELb0ES3_N6thrust23THRUST_200600_302600_NS6detail15normal_iteratorINS9_10device_ptrIiEEEENSB_INSC_IfEEEESG_fNS9_4plusIvEENS9_8equal_toIvEEfEE10hipError_tPvRmT2_T3_T4_T5_mT6_T7_P12ihipStream_tbENKUlT_T0_E_clISt17integral_constantIbLb0EES10_IbLb1EEEEDaSW_SX_EUlSW_E_NS1_11comp_targetILNS1_3genE3ELNS1_11target_archE908ELNS1_3gpuE7ELNS1_3repE0EEENS1_30default_config_static_selectorELNS0_4arch9wavefront6targetE0EEEvT1_,comdat
.Lfunc_end1167:
	.size	_ZN7rocprim17ROCPRIM_400000_NS6detail17trampoline_kernelINS0_14default_configENS1_27scan_by_key_config_selectorIifEEZZNS1_16scan_by_key_implILNS1_25lookback_scan_determinismE0ELb0ES3_N6thrust23THRUST_200600_302600_NS6detail15normal_iteratorINS9_10device_ptrIiEEEENSB_INSC_IfEEEESG_fNS9_4plusIvEENS9_8equal_toIvEEfEE10hipError_tPvRmT2_T3_T4_T5_mT6_T7_P12ihipStream_tbENKUlT_T0_E_clISt17integral_constantIbLb0EES10_IbLb1EEEEDaSW_SX_EUlSW_E_NS1_11comp_targetILNS1_3genE3ELNS1_11target_archE908ELNS1_3gpuE7ELNS1_3repE0EEENS1_30default_config_static_selectorELNS0_4arch9wavefront6targetE0EEEvT1_, .Lfunc_end1167-_ZN7rocprim17ROCPRIM_400000_NS6detail17trampoline_kernelINS0_14default_configENS1_27scan_by_key_config_selectorIifEEZZNS1_16scan_by_key_implILNS1_25lookback_scan_determinismE0ELb0ES3_N6thrust23THRUST_200600_302600_NS6detail15normal_iteratorINS9_10device_ptrIiEEEENSB_INSC_IfEEEESG_fNS9_4plusIvEENS9_8equal_toIvEEfEE10hipError_tPvRmT2_T3_T4_T5_mT6_T7_P12ihipStream_tbENKUlT_T0_E_clISt17integral_constantIbLb0EES10_IbLb1EEEEDaSW_SX_EUlSW_E_NS1_11comp_targetILNS1_3genE3ELNS1_11target_archE908ELNS1_3gpuE7ELNS1_3repE0EEENS1_30default_config_static_selectorELNS0_4arch9wavefront6targetE0EEEvT1_
                                        ; -- End function
	.set _ZN7rocprim17ROCPRIM_400000_NS6detail17trampoline_kernelINS0_14default_configENS1_27scan_by_key_config_selectorIifEEZZNS1_16scan_by_key_implILNS1_25lookback_scan_determinismE0ELb0ES3_N6thrust23THRUST_200600_302600_NS6detail15normal_iteratorINS9_10device_ptrIiEEEENSB_INSC_IfEEEESG_fNS9_4plusIvEENS9_8equal_toIvEEfEE10hipError_tPvRmT2_T3_T4_T5_mT6_T7_P12ihipStream_tbENKUlT_T0_E_clISt17integral_constantIbLb0EES10_IbLb1EEEEDaSW_SX_EUlSW_E_NS1_11comp_targetILNS1_3genE3ELNS1_11target_archE908ELNS1_3gpuE7ELNS1_3repE0EEENS1_30default_config_static_selectorELNS0_4arch9wavefront6targetE0EEEvT1_.num_vgpr, 0
	.set _ZN7rocprim17ROCPRIM_400000_NS6detail17trampoline_kernelINS0_14default_configENS1_27scan_by_key_config_selectorIifEEZZNS1_16scan_by_key_implILNS1_25lookback_scan_determinismE0ELb0ES3_N6thrust23THRUST_200600_302600_NS6detail15normal_iteratorINS9_10device_ptrIiEEEENSB_INSC_IfEEEESG_fNS9_4plusIvEENS9_8equal_toIvEEfEE10hipError_tPvRmT2_T3_T4_T5_mT6_T7_P12ihipStream_tbENKUlT_T0_E_clISt17integral_constantIbLb0EES10_IbLb1EEEEDaSW_SX_EUlSW_E_NS1_11comp_targetILNS1_3genE3ELNS1_11target_archE908ELNS1_3gpuE7ELNS1_3repE0EEENS1_30default_config_static_selectorELNS0_4arch9wavefront6targetE0EEEvT1_.num_agpr, 0
	.set _ZN7rocprim17ROCPRIM_400000_NS6detail17trampoline_kernelINS0_14default_configENS1_27scan_by_key_config_selectorIifEEZZNS1_16scan_by_key_implILNS1_25lookback_scan_determinismE0ELb0ES3_N6thrust23THRUST_200600_302600_NS6detail15normal_iteratorINS9_10device_ptrIiEEEENSB_INSC_IfEEEESG_fNS9_4plusIvEENS9_8equal_toIvEEfEE10hipError_tPvRmT2_T3_T4_T5_mT6_T7_P12ihipStream_tbENKUlT_T0_E_clISt17integral_constantIbLb0EES10_IbLb1EEEEDaSW_SX_EUlSW_E_NS1_11comp_targetILNS1_3genE3ELNS1_11target_archE908ELNS1_3gpuE7ELNS1_3repE0EEENS1_30default_config_static_selectorELNS0_4arch9wavefront6targetE0EEEvT1_.numbered_sgpr, 0
	.set _ZN7rocprim17ROCPRIM_400000_NS6detail17trampoline_kernelINS0_14default_configENS1_27scan_by_key_config_selectorIifEEZZNS1_16scan_by_key_implILNS1_25lookback_scan_determinismE0ELb0ES3_N6thrust23THRUST_200600_302600_NS6detail15normal_iteratorINS9_10device_ptrIiEEEENSB_INSC_IfEEEESG_fNS9_4plusIvEENS9_8equal_toIvEEfEE10hipError_tPvRmT2_T3_T4_T5_mT6_T7_P12ihipStream_tbENKUlT_T0_E_clISt17integral_constantIbLb0EES10_IbLb1EEEEDaSW_SX_EUlSW_E_NS1_11comp_targetILNS1_3genE3ELNS1_11target_archE908ELNS1_3gpuE7ELNS1_3repE0EEENS1_30default_config_static_selectorELNS0_4arch9wavefront6targetE0EEEvT1_.num_named_barrier, 0
	.set _ZN7rocprim17ROCPRIM_400000_NS6detail17trampoline_kernelINS0_14default_configENS1_27scan_by_key_config_selectorIifEEZZNS1_16scan_by_key_implILNS1_25lookback_scan_determinismE0ELb0ES3_N6thrust23THRUST_200600_302600_NS6detail15normal_iteratorINS9_10device_ptrIiEEEENSB_INSC_IfEEEESG_fNS9_4plusIvEENS9_8equal_toIvEEfEE10hipError_tPvRmT2_T3_T4_T5_mT6_T7_P12ihipStream_tbENKUlT_T0_E_clISt17integral_constantIbLb0EES10_IbLb1EEEEDaSW_SX_EUlSW_E_NS1_11comp_targetILNS1_3genE3ELNS1_11target_archE908ELNS1_3gpuE7ELNS1_3repE0EEENS1_30default_config_static_selectorELNS0_4arch9wavefront6targetE0EEEvT1_.private_seg_size, 0
	.set _ZN7rocprim17ROCPRIM_400000_NS6detail17trampoline_kernelINS0_14default_configENS1_27scan_by_key_config_selectorIifEEZZNS1_16scan_by_key_implILNS1_25lookback_scan_determinismE0ELb0ES3_N6thrust23THRUST_200600_302600_NS6detail15normal_iteratorINS9_10device_ptrIiEEEENSB_INSC_IfEEEESG_fNS9_4plusIvEENS9_8equal_toIvEEfEE10hipError_tPvRmT2_T3_T4_T5_mT6_T7_P12ihipStream_tbENKUlT_T0_E_clISt17integral_constantIbLb0EES10_IbLb1EEEEDaSW_SX_EUlSW_E_NS1_11comp_targetILNS1_3genE3ELNS1_11target_archE908ELNS1_3gpuE7ELNS1_3repE0EEENS1_30default_config_static_selectorELNS0_4arch9wavefront6targetE0EEEvT1_.uses_vcc, 0
	.set _ZN7rocprim17ROCPRIM_400000_NS6detail17trampoline_kernelINS0_14default_configENS1_27scan_by_key_config_selectorIifEEZZNS1_16scan_by_key_implILNS1_25lookback_scan_determinismE0ELb0ES3_N6thrust23THRUST_200600_302600_NS6detail15normal_iteratorINS9_10device_ptrIiEEEENSB_INSC_IfEEEESG_fNS9_4plusIvEENS9_8equal_toIvEEfEE10hipError_tPvRmT2_T3_T4_T5_mT6_T7_P12ihipStream_tbENKUlT_T0_E_clISt17integral_constantIbLb0EES10_IbLb1EEEEDaSW_SX_EUlSW_E_NS1_11comp_targetILNS1_3genE3ELNS1_11target_archE908ELNS1_3gpuE7ELNS1_3repE0EEENS1_30default_config_static_selectorELNS0_4arch9wavefront6targetE0EEEvT1_.uses_flat_scratch, 0
	.set _ZN7rocprim17ROCPRIM_400000_NS6detail17trampoline_kernelINS0_14default_configENS1_27scan_by_key_config_selectorIifEEZZNS1_16scan_by_key_implILNS1_25lookback_scan_determinismE0ELb0ES3_N6thrust23THRUST_200600_302600_NS6detail15normal_iteratorINS9_10device_ptrIiEEEENSB_INSC_IfEEEESG_fNS9_4plusIvEENS9_8equal_toIvEEfEE10hipError_tPvRmT2_T3_T4_T5_mT6_T7_P12ihipStream_tbENKUlT_T0_E_clISt17integral_constantIbLb0EES10_IbLb1EEEEDaSW_SX_EUlSW_E_NS1_11comp_targetILNS1_3genE3ELNS1_11target_archE908ELNS1_3gpuE7ELNS1_3repE0EEENS1_30default_config_static_selectorELNS0_4arch9wavefront6targetE0EEEvT1_.has_dyn_sized_stack, 0
	.set _ZN7rocprim17ROCPRIM_400000_NS6detail17trampoline_kernelINS0_14default_configENS1_27scan_by_key_config_selectorIifEEZZNS1_16scan_by_key_implILNS1_25lookback_scan_determinismE0ELb0ES3_N6thrust23THRUST_200600_302600_NS6detail15normal_iteratorINS9_10device_ptrIiEEEENSB_INSC_IfEEEESG_fNS9_4plusIvEENS9_8equal_toIvEEfEE10hipError_tPvRmT2_T3_T4_T5_mT6_T7_P12ihipStream_tbENKUlT_T0_E_clISt17integral_constantIbLb0EES10_IbLb1EEEEDaSW_SX_EUlSW_E_NS1_11comp_targetILNS1_3genE3ELNS1_11target_archE908ELNS1_3gpuE7ELNS1_3repE0EEENS1_30default_config_static_selectorELNS0_4arch9wavefront6targetE0EEEvT1_.has_recursion, 0
	.set _ZN7rocprim17ROCPRIM_400000_NS6detail17trampoline_kernelINS0_14default_configENS1_27scan_by_key_config_selectorIifEEZZNS1_16scan_by_key_implILNS1_25lookback_scan_determinismE0ELb0ES3_N6thrust23THRUST_200600_302600_NS6detail15normal_iteratorINS9_10device_ptrIiEEEENSB_INSC_IfEEEESG_fNS9_4plusIvEENS9_8equal_toIvEEfEE10hipError_tPvRmT2_T3_T4_T5_mT6_T7_P12ihipStream_tbENKUlT_T0_E_clISt17integral_constantIbLb0EES10_IbLb1EEEEDaSW_SX_EUlSW_E_NS1_11comp_targetILNS1_3genE3ELNS1_11target_archE908ELNS1_3gpuE7ELNS1_3repE0EEENS1_30default_config_static_selectorELNS0_4arch9wavefront6targetE0EEEvT1_.has_indirect_call, 0
	.section	.AMDGPU.csdata,"",@progbits
; Kernel info:
; codeLenInByte = 0
; TotalNumSgprs: 0
; NumVgprs: 0
; ScratchSize: 0
; MemoryBound: 0
; FloatMode: 240
; IeeeMode: 1
; LDSByteSize: 0 bytes/workgroup (compile time only)
; SGPRBlocks: 0
; VGPRBlocks: 0
; NumSGPRsForWavesPerEU: 1
; NumVGPRsForWavesPerEU: 1
; Occupancy: 16
; WaveLimiterHint : 0
; COMPUTE_PGM_RSRC2:SCRATCH_EN: 0
; COMPUTE_PGM_RSRC2:USER_SGPR: 6
; COMPUTE_PGM_RSRC2:TRAP_HANDLER: 0
; COMPUTE_PGM_RSRC2:TGID_X_EN: 1
; COMPUTE_PGM_RSRC2:TGID_Y_EN: 0
; COMPUTE_PGM_RSRC2:TGID_Z_EN: 0
; COMPUTE_PGM_RSRC2:TIDIG_COMP_CNT: 0
	.section	.text._ZN7rocprim17ROCPRIM_400000_NS6detail17trampoline_kernelINS0_14default_configENS1_27scan_by_key_config_selectorIifEEZZNS1_16scan_by_key_implILNS1_25lookback_scan_determinismE0ELb0ES3_N6thrust23THRUST_200600_302600_NS6detail15normal_iteratorINS9_10device_ptrIiEEEENSB_INSC_IfEEEESG_fNS9_4plusIvEENS9_8equal_toIvEEfEE10hipError_tPvRmT2_T3_T4_T5_mT6_T7_P12ihipStream_tbENKUlT_T0_E_clISt17integral_constantIbLb0EES10_IbLb1EEEEDaSW_SX_EUlSW_E_NS1_11comp_targetILNS1_3genE2ELNS1_11target_archE906ELNS1_3gpuE6ELNS1_3repE0EEENS1_30default_config_static_selectorELNS0_4arch9wavefront6targetE0EEEvT1_,"axG",@progbits,_ZN7rocprim17ROCPRIM_400000_NS6detail17trampoline_kernelINS0_14default_configENS1_27scan_by_key_config_selectorIifEEZZNS1_16scan_by_key_implILNS1_25lookback_scan_determinismE0ELb0ES3_N6thrust23THRUST_200600_302600_NS6detail15normal_iteratorINS9_10device_ptrIiEEEENSB_INSC_IfEEEESG_fNS9_4plusIvEENS9_8equal_toIvEEfEE10hipError_tPvRmT2_T3_T4_T5_mT6_T7_P12ihipStream_tbENKUlT_T0_E_clISt17integral_constantIbLb0EES10_IbLb1EEEEDaSW_SX_EUlSW_E_NS1_11comp_targetILNS1_3genE2ELNS1_11target_archE906ELNS1_3gpuE6ELNS1_3repE0EEENS1_30default_config_static_selectorELNS0_4arch9wavefront6targetE0EEEvT1_,comdat
	.protected	_ZN7rocprim17ROCPRIM_400000_NS6detail17trampoline_kernelINS0_14default_configENS1_27scan_by_key_config_selectorIifEEZZNS1_16scan_by_key_implILNS1_25lookback_scan_determinismE0ELb0ES3_N6thrust23THRUST_200600_302600_NS6detail15normal_iteratorINS9_10device_ptrIiEEEENSB_INSC_IfEEEESG_fNS9_4plusIvEENS9_8equal_toIvEEfEE10hipError_tPvRmT2_T3_T4_T5_mT6_T7_P12ihipStream_tbENKUlT_T0_E_clISt17integral_constantIbLb0EES10_IbLb1EEEEDaSW_SX_EUlSW_E_NS1_11comp_targetILNS1_3genE2ELNS1_11target_archE906ELNS1_3gpuE6ELNS1_3repE0EEENS1_30default_config_static_selectorELNS0_4arch9wavefront6targetE0EEEvT1_ ; -- Begin function _ZN7rocprim17ROCPRIM_400000_NS6detail17trampoline_kernelINS0_14default_configENS1_27scan_by_key_config_selectorIifEEZZNS1_16scan_by_key_implILNS1_25lookback_scan_determinismE0ELb0ES3_N6thrust23THRUST_200600_302600_NS6detail15normal_iteratorINS9_10device_ptrIiEEEENSB_INSC_IfEEEESG_fNS9_4plusIvEENS9_8equal_toIvEEfEE10hipError_tPvRmT2_T3_T4_T5_mT6_T7_P12ihipStream_tbENKUlT_T0_E_clISt17integral_constantIbLb0EES10_IbLb1EEEEDaSW_SX_EUlSW_E_NS1_11comp_targetILNS1_3genE2ELNS1_11target_archE906ELNS1_3gpuE6ELNS1_3repE0EEENS1_30default_config_static_selectorELNS0_4arch9wavefront6targetE0EEEvT1_
	.globl	_ZN7rocprim17ROCPRIM_400000_NS6detail17trampoline_kernelINS0_14default_configENS1_27scan_by_key_config_selectorIifEEZZNS1_16scan_by_key_implILNS1_25lookback_scan_determinismE0ELb0ES3_N6thrust23THRUST_200600_302600_NS6detail15normal_iteratorINS9_10device_ptrIiEEEENSB_INSC_IfEEEESG_fNS9_4plusIvEENS9_8equal_toIvEEfEE10hipError_tPvRmT2_T3_T4_T5_mT6_T7_P12ihipStream_tbENKUlT_T0_E_clISt17integral_constantIbLb0EES10_IbLb1EEEEDaSW_SX_EUlSW_E_NS1_11comp_targetILNS1_3genE2ELNS1_11target_archE906ELNS1_3gpuE6ELNS1_3repE0EEENS1_30default_config_static_selectorELNS0_4arch9wavefront6targetE0EEEvT1_
	.p2align	8
	.type	_ZN7rocprim17ROCPRIM_400000_NS6detail17trampoline_kernelINS0_14default_configENS1_27scan_by_key_config_selectorIifEEZZNS1_16scan_by_key_implILNS1_25lookback_scan_determinismE0ELb0ES3_N6thrust23THRUST_200600_302600_NS6detail15normal_iteratorINS9_10device_ptrIiEEEENSB_INSC_IfEEEESG_fNS9_4plusIvEENS9_8equal_toIvEEfEE10hipError_tPvRmT2_T3_T4_T5_mT6_T7_P12ihipStream_tbENKUlT_T0_E_clISt17integral_constantIbLb0EES10_IbLb1EEEEDaSW_SX_EUlSW_E_NS1_11comp_targetILNS1_3genE2ELNS1_11target_archE906ELNS1_3gpuE6ELNS1_3repE0EEENS1_30default_config_static_selectorELNS0_4arch9wavefront6targetE0EEEvT1_,@function
_ZN7rocprim17ROCPRIM_400000_NS6detail17trampoline_kernelINS0_14default_configENS1_27scan_by_key_config_selectorIifEEZZNS1_16scan_by_key_implILNS1_25lookback_scan_determinismE0ELb0ES3_N6thrust23THRUST_200600_302600_NS6detail15normal_iteratorINS9_10device_ptrIiEEEENSB_INSC_IfEEEESG_fNS9_4plusIvEENS9_8equal_toIvEEfEE10hipError_tPvRmT2_T3_T4_T5_mT6_T7_P12ihipStream_tbENKUlT_T0_E_clISt17integral_constantIbLb0EES10_IbLb1EEEEDaSW_SX_EUlSW_E_NS1_11comp_targetILNS1_3genE2ELNS1_11target_archE906ELNS1_3gpuE6ELNS1_3repE0EEENS1_30default_config_static_selectorELNS0_4arch9wavefront6targetE0EEEvT1_: ; @_ZN7rocprim17ROCPRIM_400000_NS6detail17trampoline_kernelINS0_14default_configENS1_27scan_by_key_config_selectorIifEEZZNS1_16scan_by_key_implILNS1_25lookback_scan_determinismE0ELb0ES3_N6thrust23THRUST_200600_302600_NS6detail15normal_iteratorINS9_10device_ptrIiEEEENSB_INSC_IfEEEESG_fNS9_4plusIvEENS9_8equal_toIvEEfEE10hipError_tPvRmT2_T3_T4_T5_mT6_T7_P12ihipStream_tbENKUlT_T0_E_clISt17integral_constantIbLb0EES10_IbLb1EEEEDaSW_SX_EUlSW_E_NS1_11comp_targetILNS1_3genE2ELNS1_11target_archE906ELNS1_3gpuE6ELNS1_3repE0EEENS1_30default_config_static_selectorELNS0_4arch9wavefront6targetE0EEEvT1_
; %bb.0:
	.section	.rodata,"a",@progbits
	.p2align	6, 0x0
	.amdhsa_kernel _ZN7rocprim17ROCPRIM_400000_NS6detail17trampoline_kernelINS0_14default_configENS1_27scan_by_key_config_selectorIifEEZZNS1_16scan_by_key_implILNS1_25lookback_scan_determinismE0ELb0ES3_N6thrust23THRUST_200600_302600_NS6detail15normal_iteratorINS9_10device_ptrIiEEEENSB_INSC_IfEEEESG_fNS9_4plusIvEENS9_8equal_toIvEEfEE10hipError_tPvRmT2_T3_T4_T5_mT6_T7_P12ihipStream_tbENKUlT_T0_E_clISt17integral_constantIbLb0EES10_IbLb1EEEEDaSW_SX_EUlSW_E_NS1_11comp_targetILNS1_3genE2ELNS1_11target_archE906ELNS1_3gpuE6ELNS1_3repE0EEENS1_30default_config_static_selectorELNS0_4arch9wavefront6targetE0EEEvT1_
		.amdhsa_group_segment_fixed_size 0
		.amdhsa_private_segment_fixed_size 0
		.amdhsa_kernarg_size 112
		.amdhsa_user_sgpr_count 6
		.amdhsa_user_sgpr_private_segment_buffer 1
		.amdhsa_user_sgpr_dispatch_ptr 0
		.amdhsa_user_sgpr_queue_ptr 0
		.amdhsa_user_sgpr_kernarg_segment_ptr 1
		.amdhsa_user_sgpr_dispatch_id 0
		.amdhsa_user_sgpr_flat_scratch_init 0
		.amdhsa_user_sgpr_private_segment_size 0
		.amdhsa_wavefront_size32 1
		.amdhsa_uses_dynamic_stack 0
		.amdhsa_system_sgpr_private_segment_wavefront_offset 0
		.amdhsa_system_sgpr_workgroup_id_x 1
		.amdhsa_system_sgpr_workgroup_id_y 0
		.amdhsa_system_sgpr_workgroup_id_z 0
		.amdhsa_system_sgpr_workgroup_info 0
		.amdhsa_system_vgpr_workitem_id 0
		.amdhsa_next_free_vgpr 1
		.amdhsa_next_free_sgpr 1
		.amdhsa_reserve_vcc 0
		.amdhsa_reserve_flat_scratch 0
		.amdhsa_float_round_mode_32 0
		.amdhsa_float_round_mode_16_64 0
		.amdhsa_float_denorm_mode_32 3
		.amdhsa_float_denorm_mode_16_64 3
		.amdhsa_dx10_clamp 1
		.amdhsa_ieee_mode 1
		.amdhsa_fp16_overflow 0
		.amdhsa_workgroup_processor_mode 1
		.amdhsa_memory_ordered 1
		.amdhsa_forward_progress 1
		.amdhsa_shared_vgpr_count 0
		.amdhsa_exception_fp_ieee_invalid_op 0
		.amdhsa_exception_fp_denorm_src 0
		.amdhsa_exception_fp_ieee_div_zero 0
		.amdhsa_exception_fp_ieee_overflow 0
		.amdhsa_exception_fp_ieee_underflow 0
		.amdhsa_exception_fp_ieee_inexact 0
		.amdhsa_exception_int_div_zero 0
	.end_amdhsa_kernel
	.section	.text._ZN7rocprim17ROCPRIM_400000_NS6detail17trampoline_kernelINS0_14default_configENS1_27scan_by_key_config_selectorIifEEZZNS1_16scan_by_key_implILNS1_25lookback_scan_determinismE0ELb0ES3_N6thrust23THRUST_200600_302600_NS6detail15normal_iteratorINS9_10device_ptrIiEEEENSB_INSC_IfEEEESG_fNS9_4plusIvEENS9_8equal_toIvEEfEE10hipError_tPvRmT2_T3_T4_T5_mT6_T7_P12ihipStream_tbENKUlT_T0_E_clISt17integral_constantIbLb0EES10_IbLb1EEEEDaSW_SX_EUlSW_E_NS1_11comp_targetILNS1_3genE2ELNS1_11target_archE906ELNS1_3gpuE6ELNS1_3repE0EEENS1_30default_config_static_selectorELNS0_4arch9wavefront6targetE0EEEvT1_,"axG",@progbits,_ZN7rocprim17ROCPRIM_400000_NS6detail17trampoline_kernelINS0_14default_configENS1_27scan_by_key_config_selectorIifEEZZNS1_16scan_by_key_implILNS1_25lookback_scan_determinismE0ELb0ES3_N6thrust23THRUST_200600_302600_NS6detail15normal_iteratorINS9_10device_ptrIiEEEENSB_INSC_IfEEEESG_fNS9_4plusIvEENS9_8equal_toIvEEfEE10hipError_tPvRmT2_T3_T4_T5_mT6_T7_P12ihipStream_tbENKUlT_T0_E_clISt17integral_constantIbLb0EES10_IbLb1EEEEDaSW_SX_EUlSW_E_NS1_11comp_targetILNS1_3genE2ELNS1_11target_archE906ELNS1_3gpuE6ELNS1_3repE0EEENS1_30default_config_static_selectorELNS0_4arch9wavefront6targetE0EEEvT1_,comdat
.Lfunc_end1168:
	.size	_ZN7rocprim17ROCPRIM_400000_NS6detail17trampoline_kernelINS0_14default_configENS1_27scan_by_key_config_selectorIifEEZZNS1_16scan_by_key_implILNS1_25lookback_scan_determinismE0ELb0ES3_N6thrust23THRUST_200600_302600_NS6detail15normal_iteratorINS9_10device_ptrIiEEEENSB_INSC_IfEEEESG_fNS9_4plusIvEENS9_8equal_toIvEEfEE10hipError_tPvRmT2_T3_T4_T5_mT6_T7_P12ihipStream_tbENKUlT_T0_E_clISt17integral_constantIbLb0EES10_IbLb1EEEEDaSW_SX_EUlSW_E_NS1_11comp_targetILNS1_3genE2ELNS1_11target_archE906ELNS1_3gpuE6ELNS1_3repE0EEENS1_30default_config_static_selectorELNS0_4arch9wavefront6targetE0EEEvT1_, .Lfunc_end1168-_ZN7rocprim17ROCPRIM_400000_NS6detail17trampoline_kernelINS0_14default_configENS1_27scan_by_key_config_selectorIifEEZZNS1_16scan_by_key_implILNS1_25lookback_scan_determinismE0ELb0ES3_N6thrust23THRUST_200600_302600_NS6detail15normal_iteratorINS9_10device_ptrIiEEEENSB_INSC_IfEEEESG_fNS9_4plusIvEENS9_8equal_toIvEEfEE10hipError_tPvRmT2_T3_T4_T5_mT6_T7_P12ihipStream_tbENKUlT_T0_E_clISt17integral_constantIbLb0EES10_IbLb1EEEEDaSW_SX_EUlSW_E_NS1_11comp_targetILNS1_3genE2ELNS1_11target_archE906ELNS1_3gpuE6ELNS1_3repE0EEENS1_30default_config_static_selectorELNS0_4arch9wavefront6targetE0EEEvT1_
                                        ; -- End function
	.set _ZN7rocprim17ROCPRIM_400000_NS6detail17trampoline_kernelINS0_14default_configENS1_27scan_by_key_config_selectorIifEEZZNS1_16scan_by_key_implILNS1_25lookback_scan_determinismE0ELb0ES3_N6thrust23THRUST_200600_302600_NS6detail15normal_iteratorINS9_10device_ptrIiEEEENSB_INSC_IfEEEESG_fNS9_4plusIvEENS9_8equal_toIvEEfEE10hipError_tPvRmT2_T3_T4_T5_mT6_T7_P12ihipStream_tbENKUlT_T0_E_clISt17integral_constantIbLb0EES10_IbLb1EEEEDaSW_SX_EUlSW_E_NS1_11comp_targetILNS1_3genE2ELNS1_11target_archE906ELNS1_3gpuE6ELNS1_3repE0EEENS1_30default_config_static_selectorELNS0_4arch9wavefront6targetE0EEEvT1_.num_vgpr, 0
	.set _ZN7rocprim17ROCPRIM_400000_NS6detail17trampoline_kernelINS0_14default_configENS1_27scan_by_key_config_selectorIifEEZZNS1_16scan_by_key_implILNS1_25lookback_scan_determinismE0ELb0ES3_N6thrust23THRUST_200600_302600_NS6detail15normal_iteratorINS9_10device_ptrIiEEEENSB_INSC_IfEEEESG_fNS9_4plusIvEENS9_8equal_toIvEEfEE10hipError_tPvRmT2_T3_T4_T5_mT6_T7_P12ihipStream_tbENKUlT_T0_E_clISt17integral_constantIbLb0EES10_IbLb1EEEEDaSW_SX_EUlSW_E_NS1_11comp_targetILNS1_3genE2ELNS1_11target_archE906ELNS1_3gpuE6ELNS1_3repE0EEENS1_30default_config_static_selectorELNS0_4arch9wavefront6targetE0EEEvT1_.num_agpr, 0
	.set _ZN7rocprim17ROCPRIM_400000_NS6detail17trampoline_kernelINS0_14default_configENS1_27scan_by_key_config_selectorIifEEZZNS1_16scan_by_key_implILNS1_25lookback_scan_determinismE0ELb0ES3_N6thrust23THRUST_200600_302600_NS6detail15normal_iteratorINS9_10device_ptrIiEEEENSB_INSC_IfEEEESG_fNS9_4plusIvEENS9_8equal_toIvEEfEE10hipError_tPvRmT2_T3_T4_T5_mT6_T7_P12ihipStream_tbENKUlT_T0_E_clISt17integral_constantIbLb0EES10_IbLb1EEEEDaSW_SX_EUlSW_E_NS1_11comp_targetILNS1_3genE2ELNS1_11target_archE906ELNS1_3gpuE6ELNS1_3repE0EEENS1_30default_config_static_selectorELNS0_4arch9wavefront6targetE0EEEvT1_.numbered_sgpr, 0
	.set _ZN7rocprim17ROCPRIM_400000_NS6detail17trampoline_kernelINS0_14default_configENS1_27scan_by_key_config_selectorIifEEZZNS1_16scan_by_key_implILNS1_25lookback_scan_determinismE0ELb0ES3_N6thrust23THRUST_200600_302600_NS6detail15normal_iteratorINS9_10device_ptrIiEEEENSB_INSC_IfEEEESG_fNS9_4plusIvEENS9_8equal_toIvEEfEE10hipError_tPvRmT2_T3_T4_T5_mT6_T7_P12ihipStream_tbENKUlT_T0_E_clISt17integral_constantIbLb0EES10_IbLb1EEEEDaSW_SX_EUlSW_E_NS1_11comp_targetILNS1_3genE2ELNS1_11target_archE906ELNS1_3gpuE6ELNS1_3repE0EEENS1_30default_config_static_selectorELNS0_4arch9wavefront6targetE0EEEvT1_.num_named_barrier, 0
	.set _ZN7rocprim17ROCPRIM_400000_NS6detail17trampoline_kernelINS0_14default_configENS1_27scan_by_key_config_selectorIifEEZZNS1_16scan_by_key_implILNS1_25lookback_scan_determinismE0ELb0ES3_N6thrust23THRUST_200600_302600_NS6detail15normal_iteratorINS9_10device_ptrIiEEEENSB_INSC_IfEEEESG_fNS9_4plusIvEENS9_8equal_toIvEEfEE10hipError_tPvRmT2_T3_T4_T5_mT6_T7_P12ihipStream_tbENKUlT_T0_E_clISt17integral_constantIbLb0EES10_IbLb1EEEEDaSW_SX_EUlSW_E_NS1_11comp_targetILNS1_3genE2ELNS1_11target_archE906ELNS1_3gpuE6ELNS1_3repE0EEENS1_30default_config_static_selectorELNS0_4arch9wavefront6targetE0EEEvT1_.private_seg_size, 0
	.set _ZN7rocprim17ROCPRIM_400000_NS6detail17trampoline_kernelINS0_14default_configENS1_27scan_by_key_config_selectorIifEEZZNS1_16scan_by_key_implILNS1_25lookback_scan_determinismE0ELb0ES3_N6thrust23THRUST_200600_302600_NS6detail15normal_iteratorINS9_10device_ptrIiEEEENSB_INSC_IfEEEESG_fNS9_4plusIvEENS9_8equal_toIvEEfEE10hipError_tPvRmT2_T3_T4_T5_mT6_T7_P12ihipStream_tbENKUlT_T0_E_clISt17integral_constantIbLb0EES10_IbLb1EEEEDaSW_SX_EUlSW_E_NS1_11comp_targetILNS1_3genE2ELNS1_11target_archE906ELNS1_3gpuE6ELNS1_3repE0EEENS1_30default_config_static_selectorELNS0_4arch9wavefront6targetE0EEEvT1_.uses_vcc, 0
	.set _ZN7rocprim17ROCPRIM_400000_NS6detail17trampoline_kernelINS0_14default_configENS1_27scan_by_key_config_selectorIifEEZZNS1_16scan_by_key_implILNS1_25lookback_scan_determinismE0ELb0ES3_N6thrust23THRUST_200600_302600_NS6detail15normal_iteratorINS9_10device_ptrIiEEEENSB_INSC_IfEEEESG_fNS9_4plusIvEENS9_8equal_toIvEEfEE10hipError_tPvRmT2_T3_T4_T5_mT6_T7_P12ihipStream_tbENKUlT_T0_E_clISt17integral_constantIbLb0EES10_IbLb1EEEEDaSW_SX_EUlSW_E_NS1_11comp_targetILNS1_3genE2ELNS1_11target_archE906ELNS1_3gpuE6ELNS1_3repE0EEENS1_30default_config_static_selectorELNS0_4arch9wavefront6targetE0EEEvT1_.uses_flat_scratch, 0
	.set _ZN7rocprim17ROCPRIM_400000_NS6detail17trampoline_kernelINS0_14default_configENS1_27scan_by_key_config_selectorIifEEZZNS1_16scan_by_key_implILNS1_25lookback_scan_determinismE0ELb0ES3_N6thrust23THRUST_200600_302600_NS6detail15normal_iteratorINS9_10device_ptrIiEEEENSB_INSC_IfEEEESG_fNS9_4plusIvEENS9_8equal_toIvEEfEE10hipError_tPvRmT2_T3_T4_T5_mT6_T7_P12ihipStream_tbENKUlT_T0_E_clISt17integral_constantIbLb0EES10_IbLb1EEEEDaSW_SX_EUlSW_E_NS1_11comp_targetILNS1_3genE2ELNS1_11target_archE906ELNS1_3gpuE6ELNS1_3repE0EEENS1_30default_config_static_selectorELNS0_4arch9wavefront6targetE0EEEvT1_.has_dyn_sized_stack, 0
	.set _ZN7rocprim17ROCPRIM_400000_NS6detail17trampoline_kernelINS0_14default_configENS1_27scan_by_key_config_selectorIifEEZZNS1_16scan_by_key_implILNS1_25lookback_scan_determinismE0ELb0ES3_N6thrust23THRUST_200600_302600_NS6detail15normal_iteratorINS9_10device_ptrIiEEEENSB_INSC_IfEEEESG_fNS9_4plusIvEENS9_8equal_toIvEEfEE10hipError_tPvRmT2_T3_T4_T5_mT6_T7_P12ihipStream_tbENKUlT_T0_E_clISt17integral_constantIbLb0EES10_IbLb1EEEEDaSW_SX_EUlSW_E_NS1_11comp_targetILNS1_3genE2ELNS1_11target_archE906ELNS1_3gpuE6ELNS1_3repE0EEENS1_30default_config_static_selectorELNS0_4arch9wavefront6targetE0EEEvT1_.has_recursion, 0
	.set _ZN7rocprim17ROCPRIM_400000_NS6detail17trampoline_kernelINS0_14default_configENS1_27scan_by_key_config_selectorIifEEZZNS1_16scan_by_key_implILNS1_25lookback_scan_determinismE0ELb0ES3_N6thrust23THRUST_200600_302600_NS6detail15normal_iteratorINS9_10device_ptrIiEEEENSB_INSC_IfEEEESG_fNS9_4plusIvEENS9_8equal_toIvEEfEE10hipError_tPvRmT2_T3_T4_T5_mT6_T7_P12ihipStream_tbENKUlT_T0_E_clISt17integral_constantIbLb0EES10_IbLb1EEEEDaSW_SX_EUlSW_E_NS1_11comp_targetILNS1_3genE2ELNS1_11target_archE906ELNS1_3gpuE6ELNS1_3repE0EEENS1_30default_config_static_selectorELNS0_4arch9wavefront6targetE0EEEvT1_.has_indirect_call, 0
	.section	.AMDGPU.csdata,"",@progbits
; Kernel info:
; codeLenInByte = 0
; TotalNumSgprs: 0
; NumVgprs: 0
; ScratchSize: 0
; MemoryBound: 0
; FloatMode: 240
; IeeeMode: 1
; LDSByteSize: 0 bytes/workgroup (compile time only)
; SGPRBlocks: 0
; VGPRBlocks: 0
; NumSGPRsForWavesPerEU: 1
; NumVGPRsForWavesPerEU: 1
; Occupancy: 16
; WaveLimiterHint : 0
; COMPUTE_PGM_RSRC2:SCRATCH_EN: 0
; COMPUTE_PGM_RSRC2:USER_SGPR: 6
; COMPUTE_PGM_RSRC2:TRAP_HANDLER: 0
; COMPUTE_PGM_RSRC2:TGID_X_EN: 1
; COMPUTE_PGM_RSRC2:TGID_Y_EN: 0
; COMPUTE_PGM_RSRC2:TGID_Z_EN: 0
; COMPUTE_PGM_RSRC2:TIDIG_COMP_CNT: 0
	.section	.text._ZN7rocprim17ROCPRIM_400000_NS6detail17trampoline_kernelINS0_14default_configENS1_27scan_by_key_config_selectorIifEEZZNS1_16scan_by_key_implILNS1_25lookback_scan_determinismE0ELb0ES3_N6thrust23THRUST_200600_302600_NS6detail15normal_iteratorINS9_10device_ptrIiEEEENSB_INSC_IfEEEESG_fNS9_4plusIvEENS9_8equal_toIvEEfEE10hipError_tPvRmT2_T3_T4_T5_mT6_T7_P12ihipStream_tbENKUlT_T0_E_clISt17integral_constantIbLb0EES10_IbLb1EEEEDaSW_SX_EUlSW_E_NS1_11comp_targetILNS1_3genE10ELNS1_11target_archE1200ELNS1_3gpuE4ELNS1_3repE0EEENS1_30default_config_static_selectorELNS0_4arch9wavefront6targetE0EEEvT1_,"axG",@progbits,_ZN7rocprim17ROCPRIM_400000_NS6detail17trampoline_kernelINS0_14default_configENS1_27scan_by_key_config_selectorIifEEZZNS1_16scan_by_key_implILNS1_25lookback_scan_determinismE0ELb0ES3_N6thrust23THRUST_200600_302600_NS6detail15normal_iteratorINS9_10device_ptrIiEEEENSB_INSC_IfEEEESG_fNS9_4plusIvEENS9_8equal_toIvEEfEE10hipError_tPvRmT2_T3_T4_T5_mT6_T7_P12ihipStream_tbENKUlT_T0_E_clISt17integral_constantIbLb0EES10_IbLb1EEEEDaSW_SX_EUlSW_E_NS1_11comp_targetILNS1_3genE10ELNS1_11target_archE1200ELNS1_3gpuE4ELNS1_3repE0EEENS1_30default_config_static_selectorELNS0_4arch9wavefront6targetE0EEEvT1_,comdat
	.protected	_ZN7rocprim17ROCPRIM_400000_NS6detail17trampoline_kernelINS0_14default_configENS1_27scan_by_key_config_selectorIifEEZZNS1_16scan_by_key_implILNS1_25lookback_scan_determinismE0ELb0ES3_N6thrust23THRUST_200600_302600_NS6detail15normal_iteratorINS9_10device_ptrIiEEEENSB_INSC_IfEEEESG_fNS9_4plusIvEENS9_8equal_toIvEEfEE10hipError_tPvRmT2_T3_T4_T5_mT6_T7_P12ihipStream_tbENKUlT_T0_E_clISt17integral_constantIbLb0EES10_IbLb1EEEEDaSW_SX_EUlSW_E_NS1_11comp_targetILNS1_3genE10ELNS1_11target_archE1200ELNS1_3gpuE4ELNS1_3repE0EEENS1_30default_config_static_selectorELNS0_4arch9wavefront6targetE0EEEvT1_ ; -- Begin function _ZN7rocprim17ROCPRIM_400000_NS6detail17trampoline_kernelINS0_14default_configENS1_27scan_by_key_config_selectorIifEEZZNS1_16scan_by_key_implILNS1_25lookback_scan_determinismE0ELb0ES3_N6thrust23THRUST_200600_302600_NS6detail15normal_iteratorINS9_10device_ptrIiEEEENSB_INSC_IfEEEESG_fNS9_4plusIvEENS9_8equal_toIvEEfEE10hipError_tPvRmT2_T3_T4_T5_mT6_T7_P12ihipStream_tbENKUlT_T0_E_clISt17integral_constantIbLb0EES10_IbLb1EEEEDaSW_SX_EUlSW_E_NS1_11comp_targetILNS1_3genE10ELNS1_11target_archE1200ELNS1_3gpuE4ELNS1_3repE0EEENS1_30default_config_static_selectorELNS0_4arch9wavefront6targetE0EEEvT1_
	.globl	_ZN7rocprim17ROCPRIM_400000_NS6detail17trampoline_kernelINS0_14default_configENS1_27scan_by_key_config_selectorIifEEZZNS1_16scan_by_key_implILNS1_25lookback_scan_determinismE0ELb0ES3_N6thrust23THRUST_200600_302600_NS6detail15normal_iteratorINS9_10device_ptrIiEEEENSB_INSC_IfEEEESG_fNS9_4plusIvEENS9_8equal_toIvEEfEE10hipError_tPvRmT2_T3_T4_T5_mT6_T7_P12ihipStream_tbENKUlT_T0_E_clISt17integral_constantIbLb0EES10_IbLb1EEEEDaSW_SX_EUlSW_E_NS1_11comp_targetILNS1_3genE10ELNS1_11target_archE1200ELNS1_3gpuE4ELNS1_3repE0EEENS1_30default_config_static_selectorELNS0_4arch9wavefront6targetE0EEEvT1_
	.p2align	8
	.type	_ZN7rocprim17ROCPRIM_400000_NS6detail17trampoline_kernelINS0_14default_configENS1_27scan_by_key_config_selectorIifEEZZNS1_16scan_by_key_implILNS1_25lookback_scan_determinismE0ELb0ES3_N6thrust23THRUST_200600_302600_NS6detail15normal_iteratorINS9_10device_ptrIiEEEENSB_INSC_IfEEEESG_fNS9_4plusIvEENS9_8equal_toIvEEfEE10hipError_tPvRmT2_T3_T4_T5_mT6_T7_P12ihipStream_tbENKUlT_T0_E_clISt17integral_constantIbLb0EES10_IbLb1EEEEDaSW_SX_EUlSW_E_NS1_11comp_targetILNS1_3genE10ELNS1_11target_archE1200ELNS1_3gpuE4ELNS1_3repE0EEENS1_30default_config_static_selectorELNS0_4arch9wavefront6targetE0EEEvT1_,@function
_ZN7rocprim17ROCPRIM_400000_NS6detail17trampoline_kernelINS0_14default_configENS1_27scan_by_key_config_selectorIifEEZZNS1_16scan_by_key_implILNS1_25lookback_scan_determinismE0ELb0ES3_N6thrust23THRUST_200600_302600_NS6detail15normal_iteratorINS9_10device_ptrIiEEEENSB_INSC_IfEEEESG_fNS9_4plusIvEENS9_8equal_toIvEEfEE10hipError_tPvRmT2_T3_T4_T5_mT6_T7_P12ihipStream_tbENKUlT_T0_E_clISt17integral_constantIbLb0EES10_IbLb1EEEEDaSW_SX_EUlSW_E_NS1_11comp_targetILNS1_3genE10ELNS1_11target_archE1200ELNS1_3gpuE4ELNS1_3repE0EEENS1_30default_config_static_selectorELNS0_4arch9wavefront6targetE0EEEvT1_: ; @_ZN7rocprim17ROCPRIM_400000_NS6detail17trampoline_kernelINS0_14default_configENS1_27scan_by_key_config_selectorIifEEZZNS1_16scan_by_key_implILNS1_25lookback_scan_determinismE0ELb0ES3_N6thrust23THRUST_200600_302600_NS6detail15normal_iteratorINS9_10device_ptrIiEEEENSB_INSC_IfEEEESG_fNS9_4plusIvEENS9_8equal_toIvEEfEE10hipError_tPvRmT2_T3_T4_T5_mT6_T7_P12ihipStream_tbENKUlT_T0_E_clISt17integral_constantIbLb0EES10_IbLb1EEEEDaSW_SX_EUlSW_E_NS1_11comp_targetILNS1_3genE10ELNS1_11target_archE1200ELNS1_3gpuE4ELNS1_3repE0EEENS1_30default_config_static_selectorELNS0_4arch9wavefront6targetE0EEEvT1_
; %bb.0:
	.section	.rodata,"a",@progbits
	.p2align	6, 0x0
	.amdhsa_kernel _ZN7rocprim17ROCPRIM_400000_NS6detail17trampoline_kernelINS0_14default_configENS1_27scan_by_key_config_selectorIifEEZZNS1_16scan_by_key_implILNS1_25lookback_scan_determinismE0ELb0ES3_N6thrust23THRUST_200600_302600_NS6detail15normal_iteratorINS9_10device_ptrIiEEEENSB_INSC_IfEEEESG_fNS9_4plusIvEENS9_8equal_toIvEEfEE10hipError_tPvRmT2_T3_T4_T5_mT6_T7_P12ihipStream_tbENKUlT_T0_E_clISt17integral_constantIbLb0EES10_IbLb1EEEEDaSW_SX_EUlSW_E_NS1_11comp_targetILNS1_3genE10ELNS1_11target_archE1200ELNS1_3gpuE4ELNS1_3repE0EEENS1_30default_config_static_selectorELNS0_4arch9wavefront6targetE0EEEvT1_
		.amdhsa_group_segment_fixed_size 0
		.amdhsa_private_segment_fixed_size 0
		.amdhsa_kernarg_size 112
		.amdhsa_user_sgpr_count 6
		.amdhsa_user_sgpr_private_segment_buffer 1
		.amdhsa_user_sgpr_dispatch_ptr 0
		.amdhsa_user_sgpr_queue_ptr 0
		.amdhsa_user_sgpr_kernarg_segment_ptr 1
		.amdhsa_user_sgpr_dispatch_id 0
		.amdhsa_user_sgpr_flat_scratch_init 0
		.amdhsa_user_sgpr_private_segment_size 0
		.amdhsa_wavefront_size32 1
		.amdhsa_uses_dynamic_stack 0
		.amdhsa_system_sgpr_private_segment_wavefront_offset 0
		.amdhsa_system_sgpr_workgroup_id_x 1
		.amdhsa_system_sgpr_workgroup_id_y 0
		.amdhsa_system_sgpr_workgroup_id_z 0
		.amdhsa_system_sgpr_workgroup_info 0
		.amdhsa_system_vgpr_workitem_id 0
		.amdhsa_next_free_vgpr 1
		.amdhsa_next_free_sgpr 1
		.amdhsa_reserve_vcc 0
		.amdhsa_reserve_flat_scratch 0
		.amdhsa_float_round_mode_32 0
		.amdhsa_float_round_mode_16_64 0
		.amdhsa_float_denorm_mode_32 3
		.amdhsa_float_denorm_mode_16_64 3
		.amdhsa_dx10_clamp 1
		.amdhsa_ieee_mode 1
		.amdhsa_fp16_overflow 0
		.amdhsa_workgroup_processor_mode 1
		.amdhsa_memory_ordered 1
		.amdhsa_forward_progress 1
		.amdhsa_shared_vgpr_count 0
		.amdhsa_exception_fp_ieee_invalid_op 0
		.amdhsa_exception_fp_denorm_src 0
		.amdhsa_exception_fp_ieee_div_zero 0
		.amdhsa_exception_fp_ieee_overflow 0
		.amdhsa_exception_fp_ieee_underflow 0
		.amdhsa_exception_fp_ieee_inexact 0
		.amdhsa_exception_int_div_zero 0
	.end_amdhsa_kernel
	.section	.text._ZN7rocprim17ROCPRIM_400000_NS6detail17trampoline_kernelINS0_14default_configENS1_27scan_by_key_config_selectorIifEEZZNS1_16scan_by_key_implILNS1_25lookback_scan_determinismE0ELb0ES3_N6thrust23THRUST_200600_302600_NS6detail15normal_iteratorINS9_10device_ptrIiEEEENSB_INSC_IfEEEESG_fNS9_4plusIvEENS9_8equal_toIvEEfEE10hipError_tPvRmT2_T3_T4_T5_mT6_T7_P12ihipStream_tbENKUlT_T0_E_clISt17integral_constantIbLb0EES10_IbLb1EEEEDaSW_SX_EUlSW_E_NS1_11comp_targetILNS1_3genE10ELNS1_11target_archE1200ELNS1_3gpuE4ELNS1_3repE0EEENS1_30default_config_static_selectorELNS0_4arch9wavefront6targetE0EEEvT1_,"axG",@progbits,_ZN7rocprim17ROCPRIM_400000_NS6detail17trampoline_kernelINS0_14default_configENS1_27scan_by_key_config_selectorIifEEZZNS1_16scan_by_key_implILNS1_25lookback_scan_determinismE0ELb0ES3_N6thrust23THRUST_200600_302600_NS6detail15normal_iteratorINS9_10device_ptrIiEEEENSB_INSC_IfEEEESG_fNS9_4plusIvEENS9_8equal_toIvEEfEE10hipError_tPvRmT2_T3_T4_T5_mT6_T7_P12ihipStream_tbENKUlT_T0_E_clISt17integral_constantIbLb0EES10_IbLb1EEEEDaSW_SX_EUlSW_E_NS1_11comp_targetILNS1_3genE10ELNS1_11target_archE1200ELNS1_3gpuE4ELNS1_3repE0EEENS1_30default_config_static_selectorELNS0_4arch9wavefront6targetE0EEEvT1_,comdat
.Lfunc_end1169:
	.size	_ZN7rocprim17ROCPRIM_400000_NS6detail17trampoline_kernelINS0_14default_configENS1_27scan_by_key_config_selectorIifEEZZNS1_16scan_by_key_implILNS1_25lookback_scan_determinismE0ELb0ES3_N6thrust23THRUST_200600_302600_NS6detail15normal_iteratorINS9_10device_ptrIiEEEENSB_INSC_IfEEEESG_fNS9_4plusIvEENS9_8equal_toIvEEfEE10hipError_tPvRmT2_T3_T4_T5_mT6_T7_P12ihipStream_tbENKUlT_T0_E_clISt17integral_constantIbLb0EES10_IbLb1EEEEDaSW_SX_EUlSW_E_NS1_11comp_targetILNS1_3genE10ELNS1_11target_archE1200ELNS1_3gpuE4ELNS1_3repE0EEENS1_30default_config_static_selectorELNS0_4arch9wavefront6targetE0EEEvT1_, .Lfunc_end1169-_ZN7rocprim17ROCPRIM_400000_NS6detail17trampoline_kernelINS0_14default_configENS1_27scan_by_key_config_selectorIifEEZZNS1_16scan_by_key_implILNS1_25lookback_scan_determinismE0ELb0ES3_N6thrust23THRUST_200600_302600_NS6detail15normal_iteratorINS9_10device_ptrIiEEEENSB_INSC_IfEEEESG_fNS9_4plusIvEENS9_8equal_toIvEEfEE10hipError_tPvRmT2_T3_T4_T5_mT6_T7_P12ihipStream_tbENKUlT_T0_E_clISt17integral_constantIbLb0EES10_IbLb1EEEEDaSW_SX_EUlSW_E_NS1_11comp_targetILNS1_3genE10ELNS1_11target_archE1200ELNS1_3gpuE4ELNS1_3repE0EEENS1_30default_config_static_selectorELNS0_4arch9wavefront6targetE0EEEvT1_
                                        ; -- End function
	.set _ZN7rocprim17ROCPRIM_400000_NS6detail17trampoline_kernelINS0_14default_configENS1_27scan_by_key_config_selectorIifEEZZNS1_16scan_by_key_implILNS1_25lookback_scan_determinismE0ELb0ES3_N6thrust23THRUST_200600_302600_NS6detail15normal_iteratorINS9_10device_ptrIiEEEENSB_INSC_IfEEEESG_fNS9_4plusIvEENS9_8equal_toIvEEfEE10hipError_tPvRmT2_T3_T4_T5_mT6_T7_P12ihipStream_tbENKUlT_T0_E_clISt17integral_constantIbLb0EES10_IbLb1EEEEDaSW_SX_EUlSW_E_NS1_11comp_targetILNS1_3genE10ELNS1_11target_archE1200ELNS1_3gpuE4ELNS1_3repE0EEENS1_30default_config_static_selectorELNS0_4arch9wavefront6targetE0EEEvT1_.num_vgpr, 0
	.set _ZN7rocprim17ROCPRIM_400000_NS6detail17trampoline_kernelINS0_14default_configENS1_27scan_by_key_config_selectorIifEEZZNS1_16scan_by_key_implILNS1_25lookback_scan_determinismE0ELb0ES3_N6thrust23THRUST_200600_302600_NS6detail15normal_iteratorINS9_10device_ptrIiEEEENSB_INSC_IfEEEESG_fNS9_4plusIvEENS9_8equal_toIvEEfEE10hipError_tPvRmT2_T3_T4_T5_mT6_T7_P12ihipStream_tbENKUlT_T0_E_clISt17integral_constantIbLb0EES10_IbLb1EEEEDaSW_SX_EUlSW_E_NS1_11comp_targetILNS1_3genE10ELNS1_11target_archE1200ELNS1_3gpuE4ELNS1_3repE0EEENS1_30default_config_static_selectorELNS0_4arch9wavefront6targetE0EEEvT1_.num_agpr, 0
	.set _ZN7rocprim17ROCPRIM_400000_NS6detail17trampoline_kernelINS0_14default_configENS1_27scan_by_key_config_selectorIifEEZZNS1_16scan_by_key_implILNS1_25lookback_scan_determinismE0ELb0ES3_N6thrust23THRUST_200600_302600_NS6detail15normal_iteratorINS9_10device_ptrIiEEEENSB_INSC_IfEEEESG_fNS9_4plusIvEENS9_8equal_toIvEEfEE10hipError_tPvRmT2_T3_T4_T5_mT6_T7_P12ihipStream_tbENKUlT_T0_E_clISt17integral_constantIbLb0EES10_IbLb1EEEEDaSW_SX_EUlSW_E_NS1_11comp_targetILNS1_3genE10ELNS1_11target_archE1200ELNS1_3gpuE4ELNS1_3repE0EEENS1_30default_config_static_selectorELNS0_4arch9wavefront6targetE0EEEvT1_.numbered_sgpr, 0
	.set _ZN7rocprim17ROCPRIM_400000_NS6detail17trampoline_kernelINS0_14default_configENS1_27scan_by_key_config_selectorIifEEZZNS1_16scan_by_key_implILNS1_25lookback_scan_determinismE0ELb0ES3_N6thrust23THRUST_200600_302600_NS6detail15normal_iteratorINS9_10device_ptrIiEEEENSB_INSC_IfEEEESG_fNS9_4plusIvEENS9_8equal_toIvEEfEE10hipError_tPvRmT2_T3_T4_T5_mT6_T7_P12ihipStream_tbENKUlT_T0_E_clISt17integral_constantIbLb0EES10_IbLb1EEEEDaSW_SX_EUlSW_E_NS1_11comp_targetILNS1_3genE10ELNS1_11target_archE1200ELNS1_3gpuE4ELNS1_3repE0EEENS1_30default_config_static_selectorELNS0_4arch9wavefront6targetE0EEEvT1_.num_named_barrier, 0
	.set _ZN7rocprim17ROCPRIM_400000_NS6detail17trampoline_kernelINS0_14default_configENS1_27scan_by_key_config_selectorIifEEZZNS1_16scan_by_key_implILNS1_25lookback_scan_determinismE0ELb0ES3_N6thrust23THRUST_200600_302600_NS6detail15normal_iteratorINS9_10device_ptrIiEEEENSB_INSC_IfEEEESG_fNS9_4plusIvEENS9_8equal_toIvEEfEE10hipError_tPvRmT2_T3_T4_T5_mT6_T7_P12ihipStream_tbENKUlT_T0_E_clISt17integral_constantIbLb0EES10_IbLb1EEEEDaSW_SX_EUlSW_E_NS1_11comp_targetILNS1_3genE10ELNS1_11target_archE1200ELNS1_3gpuE4ELNS1_3repE0EEENS1_30default_config_static_selectorELNS0_4arch9wavefront6targetE0EEEvT1_.private_seg_size, 0
	.set _ZN7rocprim17ROCPRIM_400000_NS6detail17trampoline_kernelINS0_14default_configENS1_27scan_by_key_config_selectorIifEEZZNS1_16scan_by_key_implILNS1_25lookback_scan_determinismE0ELb0ES3_N6thrust23THRUST_200600_302600_NS6detail15normal_iteratorINS9_10device_ptrIiEEEENSB_INSC_IfEEEESG_fNS9_4plusIvEENS9_8equal_toIvEEfEE10hipError_tPvRmT2_T3_T4_T5_mT6_T7_P12ihipStream_tbENKUlT_T0_E_clISt17integral_constantIbLb0EES10_IbLb1EEEEDaSW_SX_EUlSW_E_NS1_11comp_targetILNS1_3genE10ELNS1_11target_archE1200ELNS1_3gpuE4ELNS1_3repE0EEENS1_30default_config_static_selectorELNS0_4arch9wavefront6targetE0EEEvT1_.uses_vcc, 0
	.set _ZN7rocprim17ROCPRIM_400000_NS6detail17trampoline_kernelINS0_14default_configENS1_27scan_by_key_config_selectorIifEEZZNS1_16scan_by_key_implILNS1_25lookback_scan_determinismE0ELb0ES3_N6thrust23THRUST_200600_302600_NS6detail15normal_iteratorINS9_10device_ptrIiEEEENSB_INSC_IfEEEESG_fNS9_4plusIvEENS9_8equal_toIvEEfEE10hipError_tPvRmT2_T3_T4_T5_mT6_T7_P12ihipStream_tbENKUlT_T0_E_clISt17integral_constantIbLb0EES10_IbLb1EEEEDaSW_SX_EUlSW_E_NS1_11comp_targetILNS1_3genE10ELNS1_11target_archE1200ELNS1_3gpuE4ELNS1_3repE0EEENS1_30default_config_static_selectorELNS0_4arch9wavefront6targetE0EEEvT1_.uses_flat_scratch, 0
	.set _ZN7rocprim17ROCPRIM_400000_NS6detail17trampoline_kernelINS0_14default_configENS1_27scan_by_key_config_selectorIifEEZZNS1_16scan_by_key_implILNS1_25lookback_scan_determinismE0ELb0ES3_N6thrust23THRUST_200600_302600_NS6detail15normal_iteratorINS9_10device_ptrIiEEEENSB_INSC_IfEEEESG_fNS9_4plusIvEENS9_8equal_toIvEEfEE10hipError_tPvRmT2_T3_T4_T5_mT6_T7_P12ihipStream_tbENKUlT_T0_E_clISt17integral_constantIbLb0EES10_IbLb1EEEEDaSW_SX_EUlSW_E_NS1_11comp_targetILNS1_3genE10ELNS1_11target_archE1200ELNS1_3gpuE4ELNS1_3repE0EEENS1_30default_config_static_selectorELNS0_4arch9wavefront6targetE0EEEvT1_.has_dyn_sized_stack, 0
	.set _ZN7rocprim17ROCPRIM_400000_NS6detail17trampoline_kernelINS0_14default_configENS1_27scan_by_key_config_selectorIifEEZZNS1_16scan_by_key_implILNS1_25lookback_scan_determinismE0ELb0ES3_N6thrust23THRUST_200600_302600_NS6detail15normal_iteratorINS9_10device_ptrIiEEEENSB_INSC_IfEEEESG_fNS9_4plusIvEENS9_8equal_toIvEEfEE10hipError_tPvRmT2_T3_T4_T5_mT6_T7_P12ihipStream_tbENKUlT_T0_E_clISt17integral_constantIbLb0EES10_IbLb1EEEEDaSW_SX_EUlSW_E_NS1_11comp_targetILNS1_3genE10ELNS1_11target_archE1200ELNS1_3gpuE4ELNS1_3repE0EEENS1_30default_config_static_selectorELNS0_4arch9wavefront6targetE0EEEvT1_.has_recursion, 0
	.set _ZN7rocprim17ROCPRIM_400000_NS6detail17trampoline_kernelINS0_14default_configENS1_27scan_by_key_config_selectorIifEEZZNS1_16scan_by_key_implILNS1_25lookback_scan_determinismE0ELb0ES3_N6thrust23THRUST_200600_302600_NS6detail15normal_iteratorINS9_10device_ptrIiEEEENSB_INSC_IfEEEESG_fNS9_4plusIvEENS9_8equal_toIvEEfEE10hipError_tPvRmT2_T3_T4_T5_mT6_T7_P12ihipStream_tbENKUlT_T0_E_clISt17integral_constantIbLb0EES10_IbLb1EEEEDaSW_SX_EUlSW_E_NS1_11comp_targetILNS1_3genE10ELNS1_11target_archE1200ELNS1_3gpuE4ELNS1_3repE0EEENS1_30default_config_static_selectorELNS0_4arch9wavefront6targetE0EEEvT1_.has_indirect_call, 0
	.section	.AMDGPU.csdata,"",@progbits
; Kernel info:
; codeLenInByte = 0
; TotalNumSgprs: 0
; NumVgprs: 0
; ScratchSize: 0
; MemoryBound: 0
; FloatMode: 240
; IeeeMode: 1
; LDSByteSize: 0 bytes/workgroup (compile time only)
; SGPRBlocks: 0
; VGPRBlocks: 0
; NumSGPRsForWavesPerEU: 1
; NumVGPRsForWavesPerEU: 1
; Occupancy: 16
; WaveLimiterHint : 0
; COMPUTE_PGM_RSRC2:SCRATCH_EN: 0
; COMPUTE_PGM_RSRC2:USER_SGPR: 6
; COMPUTE_PGM_RSRC2:TRAP_HANDLER: 0
; COMPUTE_PGM_RSRC2:TGID_X_EN: 1
; COMPUTE_PGM_RSRC2:TGID_Y_EN: 0
; COMPUTE_PGM_RSRC2:TGID_Z_EN: 0
; COMPUTE_PGM_RSRC2:TIDIG_COMP_CNT: 0
	.section	.text._ZN7rocprim17ROCPRIM_400000_NS6detail17trampoline_kernelINS0_14default_configENS1_27scan_by_key_config_selectorIifEEZZNS1_16scan_by_key_implILNS1_25lookback_scan_determinismE0ELb0ES3_N6thrust23THRUST_200600_302600_NS6detail15normal_iteratorINS9_10device_ptrIiEEEENSB_INSC_IfEEEESG_fNS9_4plusIvEENS9_8equal_toIvEEfEE10hipError_tPvRmT2_T3_T4_T5_mT6_T7_P12ihipStream_tbENKUlT_T0_E_clISt17integral_constantIbLb0EES10_IbLb1EEEEDaSW_SX_EUlSW_E_NS1_11comp_targetILNS1_3genE9ELNS1_11target_archE1100ELNS1_3gpuE3ELNS1_3repE0EEENS1_30default_config_static_selectorELNS0_4arch9wavefront6targetE0EEEvT1_,"axG",@progbits,_ZN7rocprim17ROCPRIM_400000_NS6detail17trampoline_kernelINS0_14default_configENS1_27scan_by_key_config_selectorIifEEZZNS1_16scan_by_key_implILNS1_25lookback_scan_determinismE0ELb0ES3_N6thrust23THRUST_200600_302600_NS6detail15normal_iteratorINS9_10device_ptrIiEEEENSB_INSC_IfEEEESG_fNS9_4plusIvEENS9_8equal_toIvEEfEE10hipError_tPvRmT2_T3_T4_T5_mT6_T7_P12ihipStream_tbENKUlT_T0_E_clISt17integral_constantIbLb0EES10_IbLb1EEEEDaSW_SX_EUlSW_E_NS1_11comp_targetILNS1_3genE9ELNS1_11target_archE1100ELNS1_3gpuE3ELNS1_3repE0EEENS1_30default_config_static_selectorELNS0_4arch9wavefront6targetE0EEEvT1_,comdat
	.protected	_ZN7rocprim17ROCPRIM_400000_NS6detail17trampoline_kernelINS0_14default_configENS1_27scan_by_key_config_selectorIifEEZZNS1_16scan_by_key_implILNS1_25lookback_scan_determinismE0ELb0ES3_N6thrust23THRUST_200600_302600_NS6detail15normal_iteratorINS9_10device_ptrIiEEEENSB_INSC_IfEEEESG_fNS9_4plusIvEENS9_8equal_toIvEEfEE10hipError_tPvRmT2_T3_T4_T5_mT6_T7_P12ihipStream_tbENKUlT_T0_E_clISt17integral_constantIbLb0EES10_IbLb1EEEEDaSW_SX_EUlSW_E_NS1_11comp_targetILNS1_3genE9ELNS1_11target_archE1100ELNS1_3gpuE3ELNS1_3repE0EEENS1_30default_config_static_selectorELNS0_4arch9wavefront6targetE0EEEvT1_ ; -- Begin function _ZN7rocprim17ROCPRIM_400000_NS6detail17trampoline_kernelINS0_14default_configENS1_27scan_by_key_config_selectorIifEEZZNS1_16scan_by_key_implILNS1_25lookback_scan_determinismE0ELb0ES3_N6thrust23THRUST_200600_302600_NS6detail15normal_iteratorINS9_10device_ptrIiEEEENSB_INSC_IfEEEESG_fNS9_4plusIvEENS9_8equal_toIvEEfEE10hipError_tPvRmT2_T3_T4_T5_mT6_T7_P12ihipStream_tbENKUlT_T0_E_clISt17integral_constantIbLb0EES10_IbLb1EEEEDaSW_SX_EUlSW_E_NS1_11comp_targetILNS1_3genE9ELNS1_11target_archE1100ELNS1_3gpuE3ELNS1_3repE0EEENS1_30default_config_static_selectorELNS0_4arch9wavefront6targetE0EEEvT1_
	.globl	_ZN7rocprim17ROCPRIM_400000_NS6detail17trampoline_kernelINS0_14default_configENS1_27scan_by_key_config_selectorIifEEZZNS1_16scan_by_key_implILNS1_25lookback_scan_determinismE0ELb0ES3_N6thrust23THRUST_200600_302600_NS6detail15normal_iteratorINS9_10device_ptrIiEEEENSB_INSC_IfEEEESG_fNS9_4plusIvEENS9_8equal_toIvEEfEE10hipError_tPvRmT2_T3_T4_T5_mT6_T7_P12ihipStream_tbENKUlT_T0_E_clISt17integral_constantIbLb0EES10_IbLb1EEEEDaSW_SX_EUlSW_E_NS1_11comp_targetILNS1_3genE9ELNS1_11target_archE1100ELNS1_3gpuE3ELNS1_3repE0EEENS1_30default_config_static_selectorELNS0_4arch9wavefront6targetE0EEEvT1_
	.p2align	8
	.type	_ZN7rocprim17ROCPRIM_400000_NS6detail17trampoline_kernelINS0_14default_configENS1_27scan_by_key_config_selectorIifEEZZNS1_16scan_by_key_implILNS1_25lookback_scan_determinismE0ELb0ES3_N6thrust23THRUST_200600_302600_NS6detail15normal_iteratorINS9_10device_ptrIiEEEENSB_INSC_IfEEEESG_fNS9_4plusIvEENS9_8equal_toIvEEfEE10hipError_tPvRmT2_T3_T4_T5_mT6_T7_P12ihipStream_tbENKUlT_T0_E_clISt17integral_constantIbLb0EES10_IbLb1EEEEDaSW_SX_EUlSW_E_NS1_11comp_targetILNS1_3genE9ELNS1_11target_archE1100ELNS1_3gpuE3ELNS1_3repE0EEENS1_30default_config_static_selectorELNS0_4arch9wavefront6targetE0EEEvT1_,@function
_ZN7rocprim17ROCPRIM_400000_NS6detail17trampoline_kernelINS0_14default_configENS1_27scan_by_key_config_selectorIifEEZZNS1_16scan_by_key_implILNS1_25lookback_scan_determinismE0ELb0ES3_N6thrust23THRUST_200600_302600_NS6detail15normal_iteratorINS9_10device_ptrIiEEEENSB_INSC_IfEEEESG_fNS9_4plusIvEENS9_8equal_toIvEEfEE10hipError_tPvRmT2_T3_T4_T5_mT6_T7_P12ihipStream_tbENKUlT_T0_E_clISt17integral_constantIbLb0EES10_IbLb1EEEEDaSW_SX_EUlSW_E_NS1_11comp_targetILNS1_3genE9ELNS1_11target_archE1100ELNS1_3gpuE3ELNS1_3repE0EEENS1_30default_config_static_selectorELNS0_4arch9wavefront6targetE0EEEvT1_: ; @_ZN7rocprim17ROCPRIM_400000_NS6detail17trampoline_kernelINS0_14default_configENS1_27scan_by_key_config_selectorIifEEZZNS1_16scan_by_key_implILNS1_25lookback_scan_determinismE0ELb0ES3_N6thrust23THRUST_200600_302600_NS6detail15normal_iteratorINS9_10device_ptrIiEEEENSB_INSC_IfEEEESG_fNS9_4plusIvEENS9_8equal_toIvEEfEE10hipError_tPvRmT2_T3_T4_T5_mT6_T7_P12ihipStream_tbENKUlT_T0_E_clISt17integral_constantIbLb0EES10_IbLb1EEEEDaSW_SX_EUlSW_E_NS1_11comp_targetILNS1_3genE9ELNS1_11target_archE1100ELNS1_3gpuE3ELNS1_3repE0EEENS1_30default_config_static_selectorELNS0_4arch9wavefront6targetE0EEEvT1_
; %bb.0:
	.section	.rodata,"a",@progbits
	.p2align	6, 0x0
	.amdhsa_kernel _ZN7rocprim17ROCPRIM_400000_NS6detail17trampoline_kernelINS0_14default_configENS1_27scan_by_key_config_selectorIifEEZZNS1_16scan_by_key_implILNS1_25lookback_scan_determinismE0ELb0ES3_N6thrust23THRUST_200600_302600_NS6detail15normal_iteratorINS9_10device_ptrIiEEEENSB_INSC_IfEEEESG_fNS9_4plusIvEENS9_8equal_toIvEEfEE10hipError_tPvRmT2_T3_T4_T5_mT6_T7_P12ihipStream_tbENKUlT_T0_E_clISt17integral_constantIbLb0EES10_IbLb1EEEEDaSW_SX_EUlSW_E_NS1_11comp_targetILNS1_3genE9ELNS1_11target_archE1100ELNS1_3gpuE3ELNS1_3repE0EEENS1_30default_config_static_selectorELNS0_4arch9wavefront6targetE0EEEvT1_
		.amdhsa_group_segment_fixed_size 0
		.amdhsa_private_segment_fixed_size 0
		.amdhsa_kernarg_size 112
		.amdhsa_user_sgpr_count 6
		.amdhsa_user_sgpr_private_segment_buffer 1
		.amdhsa_user_sgpr_dispatch_ptr 0
		.amdhsa_user_sgpr_queue_ptr 0
		.amdhsa_user_sgpr_kernarg_segment_ptr 1
		.amdhsa_user_sgpr_dispatch_id 0
		.amdhsa_user_sgpr_flat_scratch_init 0
		.amdhsa_user_sgpr_private_segment_size 0
		.amdhsa_wavefront_size32 1
		.amdhsa_uses_dynamic_stack 0
		.amdhsa_system_sgpr_private_segment_wavefront_offset 0
		.amdhsa_system_sgpr_workgroup_id_x 1
		.amdhsa_system_sgpr_workgroup_id_y 0
		.amdhsa_system_sgpr_workgroup_id_z 0
		.amdhsa_system_sgpr_workgroup_info 0
		.amdhsa_system_vgpr_workitem_id 0
		.amdhsa_next_free_vgpr 1
		.amdhsa_next_free_sgpr 1
		.amdhsa_reserve_vcc 0
		.amdhsa_reserve_flat_scratch 0
		.amdhsa_float_round_mode_32 0
		.amdhsa_float_round_mode_16_64 0
		.amdhsa_float_denorm_mode_32 3
		.amdhsa_float_denorm_mode_16_64 3
		.amdhsa_dx10_clamp 1
		.amdhsa_ieee_mode 1
		.amdhsa_fp16_overflow 0
		.amdhsa_workgroup_processor_mode 1
		.amdhsa_memory_ordered 1
		.amdhsa_forward_progress 1
		.amdhsa_shared_vgpr_count 0
		.amdhsa_exception_fp_ieee_invalid_op 0
		.amdhsa_exception_fp_denorm_src 0
		.amdhsa_exception_fp_ieee_div_zero 0
		.amdhsa_exception_fp_ieee_overflow 0
		.amdhsa_exception_fp_ieee_underflow 0
		.amdhsa_exception_fp_ieee_inexact 0
		.amdhsa_exception_int_div_zero 0
	.end_amdhsa_kernel
	.section	.text._ZN7rocprim17ROCPRIM_400000_NS6detail17trampoline_kernelINS0_14default_configENS1_27scan_by_key_config_selectorIifEEZZNS1_16scan_by_key_implILNS1_25lookback_scan_determinismE0ELb0ES3_N6thrust23THRUST_200600_302600_NS6detail15normal_iteratorINS9_10device_ptrIiEEEENSB_INSC_IfEEEESG_fNS9_4plusIvEENS9_8equal_toIvEEfEE10hipError_tPvRmT2_T3_T4_T5_mT6_T7_P12ihipStream_tbENKUlT_T0_E_clISt17integral_constantIbLb0EES10_IbLb1EEEEDaSW_SX_EUlSW_E_NS1_11comp_targetILNS1_3genE9ELNS1_11target_archE1100ELNS1_3gpuE3ELNS1_3repE0EEENS1_30default_config_static_selectorELNS0_4arch9wavefront6targetE0EEEvT1_,"axG",@progbits,_ZN7rocprim17ROCPRIM_400000_NS6detail17trampoline_kernelINS0_14default_configENS1_27scan_by_key_config_selectorIifEEZZNS1_16scan_by_key_implILNS1_25lookback_scan_determinismE0ELb0ES3_N6thrust23THRUST_200600_302600_NS6detail15normal_iteratorINS9_10device_ptrIiEEEENSB_INSC_IfEEEESG_fNS9_4plusIvEENS9_8equal_toIvEEfEE10hipError_tPvRmT2_T3_T4_T5_mT6_T7_P12ihipStream_tbENKUlT_T0_E_clISt17integral_constantIbLb0EES10_IbLb1EEEEDaSW_SX_EUlSW_E_NS1_11comp_targetILNS1_3genE9ELNS1_11target_archE1100ELNS1_3gpuE3ELNS1_3repE0EEENS1_30default_config_static_selectorELNS0_4arch9wavefront6targetE0EEEvT1_,comdat
.Lfunc_end1170:
	.size	_ZN7rocprim17ROCPRIM_400000_NS6detail17trampoline_kernelINS0_14default_configENS1_27scan_by_key_config_selectorIifEEZZNS1_16scan_by_key_implILNS1_25lookback_scan_determinismE0ELb0ES3_N6thrust23THRUST_200600_302600_NS6detail15normal_iteratorINS9_10device_ptrIiEEEENSB_INSC_IfEEEESG_fNS9_4plusIvEENS9_8equal_toIvEEfEE10hipError_tPvRmT2_T3_T4_T5_mT6_T7_P12ihipStream_tbENKUlT_T0_E_clISt17integral_constantIbLb0EES10_IbLb1EEEEDaSW_SX_EUlSW_E_NS1_11comp_targetILNS1_3genE9ELNS1_11target_archE1100ELNS1_3gpuE3ELNS1_3repE0EEENS1_30default_config_static_selectorELNS0_4arch9wavefront6targetE0EEEvT1_, .Lfunc_end1170-_ZN7rocprim17ROCPRIM_400000_NS6detail17trampoline_kernelINS0_14default_configENS1_27scan_by_key_config_selectorIifEEZZNS1_16scan_by_key_implILNS1_25lookback_scan_determinismE0ELb0ES3_N6thrust23THRUST_200600_302600_NS6detail15normal_iteratorINS9_10device_ptrIiEEEENSB_INSC_IfEEEESG_fNS9_4plusIvEENS9_8equal_toIvEEfEE10hipError_tPvRmT2_T3_T4_T5_mT6_T7_P12ihipStream_tbENKUlT_T0_E_clISt17integral_constantIbLb0EES10_IbLb1EEEEDaSW_SX_EUlSW_E_NS1_11comp_targetILNS1_3genE9ELNS1_11target_archE1100ELNS1_3gpuE3ELNS1_3repE0EEENS1_30default_config_static_selectorELNS0_4arch9wavefront6targetE0EEEvT1_
                                        ; -- End function
	.set _ZN7rocprim17ROCPRIM_400000_NS6detail17trampoline_kernelINS0_14default_configENS1_27scan_by_key_config_selectorIifEEZZNS1_16scan_by_key_implILNS1_25lookback_scan_determinismE0ELb0ES3_N6thrust23THRUST_200600_302600_NS6detail15normal_iteratorINS9_10device_ptrIiEEEENSB_INSC_IfEEEESG_fNS9_4plusIvEENS9_8equal_toIvEEfEE10hipError_tPvRmT2_T3_T4_T5_mT6_T7_P12ihipStream_tbENKUlT_T0_E_clISt17integral_constantIbLb0EES10_IbLb1EEEEDaSW_SX_EUlSW_E_NS1_11comp_targetILNS1_3genE9ELNS1_11target_archE1100ELNS1_3gpuE3ELNS1_3repE0EEENS1_30default_config_static_selectorELNS0_4arch9wavefront6targetE0EEEvT1_.num_vgpr, 0
	.set _ZN7rocprim17ROCPRIM_400000_NS6detail17trampoline_kernelINS0_14default_configENS1_27scan_by_key_config_selectorIifEEZZNS1_16scan_by_key_implILNS1_25lookback_scan_determinismE0ELb0ES3_N6thrust23THRUST_200600_302600_NS6detail15normal_iteratorINS9_10device_ptrIiEEEENSB_INSC_IfEEEESG_fNS9_4plusIvEENS9_8equal_toIvEEfEE10hipError_tPvRmT2_T3_T4_T5_mT6_T7_P12ihipStream_tbENKUlT_T0_E_clISt17integral_constantIbLb0EES10_IbLb1EEEEDaSW_SX_EUlSW_E_NS1_11comp_targetILNS1_3genE9ELNS1_11target_archE1100ELNS1_3gpuE3ELNS1_3repE0EEENS1_30default_config_static_selectorELNS0_4arch9wavefront6targetE0EEEvT1_.num_agpr, 0
	.set _ZN7rocprim17ROCPRIM_400000_NS6detail17trampoline_kernelINS0_14default_configENS1_27scan_by_key_config_selectorIifEEZZNS1_16scan_by_key_implILNS1_25lookback_scan_determinismE0ELb0ES3_N6thrust23THRUST_200600_302600_NS6detail15normal_iteratorINS9_10device_ptrIiEEEENSB_INSC_IfEEEESG_fNS9_4plusIvEENS9_8equal_toIvEEfEE10hipError_tPvRmT2_T3_T4_T5_mT6_T7_P12ihipStream_tbENKUlT_T0_E_clISt17integral_constantIbLb0EES10_IbLb1EEEEDaSW_SX_EUlSW_E_NS1_11comp_targetILNS1_3genE9ELNS1_11target_archE1100ELNS1_3gpuE3ELNS1_3repE0EEENS1_30default_config_static_selectorELNS0_4arch9wavefront6targetE0EEEvT1_.numbered_sgpr, 0
	.set _ZN7rocprim17ROCPRIM_400000_NS6detail17trampoline_kernelINS0_14default_configENS1_27scan_by_key_config_selectorIifEEZZNS1_16scan_by_key_implILNS1_25lookback_scan_determinismE0ELb0ES3_N6thrust23THRUST_200600_302600_NS6detail15normal_iteratorINS9_10device_ptrIiEEEENSB_INSC_IfEEEESG_fNS9_4plusIvEENS9_8equal_toIvEEfEE10hipError_tPvRmT2_T3_T4_T5_mT6_T7_P12ihipStream_tbENKUlT_T0_E_clISt17integral_constantIbLb0EES10_IbLb1EEEEDaSW_SX_EUlSW_E_NS1_11comp_targetILNS1_3genE9ELNS1_11target_archE1100ELNS1_3gpuE3ELNS1_3repE0EEENS1_30default_config_static_selectorELNS0_4arch9wavefront6targetE0EEEvT1_.num_named_barrier, 0
	.set _ZN7rocprim17ROCPRIM_400000_NS6detail17trampoline_kernelINS0_14default_configENS1_27scan_by_key_config_selectorIifEEZZNS1_16scan_by_key_implILNS1_25lookback_scan_determinismE0ELb0ES3_N6thrust23THRUST_200600_302600_NS6detail15normal_iteratorINS9_10device_ptrIiEEEENSB_INSC_IfEEEESG_fNS9_4plusIvEENS9_8equal_toIvEEfEE10hipError_tPvRmT2_T3_T4_T5_mT6_T7_P12ihipStream_tbENKUlT_T0_E_clISt17integral_constantIbLb0EES10_IbLb1EEEEDaSW_SX_EUlSW_E_NS1_11comp_targetILNS1_3genE9ELNS1_11target_archE1100ELNS1_3gpuE3ELNS1_3repE0EEENS1_30default_config_static_selectorELNS0_4arch9wavefront6targetE0EEEvT1_.private_seg_size, 0
	.set _ZN7rocprim17ROCPRIM_400000_NS6detail17trampoline_kernelINS0_14default_configENS1_27scan_by_key_config_selectorIifEEZZNS1_16scan_by_key_implILNS1_25lookback_scan_determinismE0ELb0ES3_N6thrust23THRUST_200600_302600_NS6detail15normal_iteratorINS9_10device_ptrIiEEEENSB_INSC_IfEEEESG_fNS9_4plusIvEENS9_8equal_toIvEEfEE10hipError_tPvRmT2_T3_T4_T5_mT6_T7_P12ihipStream_tbENKUlT_T0_E_clISt17integral_constantIbLb0EES10_IbLb1EEEEDaSW_SX_EUlSW_E_NS1_11comp_targetILNS1_3genE9ELNS1_11target_archE1100ELNS1_3gpuE3ELNS1_3repE0EEENS1_30default_config_static_selectorELNS0_4arch9wavefront6targetE0EEEvT1_.uses_vcc, 0
	.set _ZN7rocprim17ROCPRIM_400000_NS6detail17trampoline_kernelINS0_14default_configENS1_27scan_by_key_config_selectorIifEEZZNS1_16scan_by_key_implILNS1_25lookback_scan_determinismE0ELb0ES3_N6thrust23THRUST_200600_302600_NS6detail15normal_iteratorINS9_10device_ptrIiEEEENSB_INSC_IfEEEESG_fNS9_4plusIvEENS9_8equal_toIvEEfEE10hipError_tPvRmT2_T3_T4_T5_mT6_T7_P12ihipStream_tbENKUlT_T0_E_clISt17integral_constantIbLb0EES10_IbLb1EEEEDaSW_SX_EUlSW_E_NS1_11comp_targetILNS1_3genE9ELNS1_11target_archE1100ELNS1_3gpuE3ELNS1_3repE0EEENS1_30default_config_static_selectorELNS0_4arch9wavefront6targetE0EEEvT1_.uses_flat_scratch, 0
	.set _ZN7rocprim17ROCPRIM_400000_NS6detail17trampoline_kernelINS0_14default_configENS1_27scan_by_key_config_selectorIifEEZZNS1_16scan_by_key_implILNS1_25lookback_scan_determinismE0ELb0ES3_N6thrust23THRUST_200600_302600_NS6detail15normal_iteratorINS9_10device_ptrIiEEEENSB_INSC_IfEEEESG_fNS9_4plusIvEENS9_8equal_toIvEEfEE10hipError_tPvRmT2_T3_T4_T5_mT6_T7_P12ihipStream_tbENKUlT_T0_E_clISt17integral_constantIbLb0EES10_IbLb1EEEEDaSW_SX_EUlSW_E_NS1_11comp_targetILNS1_3genE9ELNS1_11target_archE1100ELNS1_3gpuE3ELNS1_3repE0EEENS1_30default_config_static_selectorELNS0_4arch9wavefront6targetE0EEEvT1_.has_dyn_sized_stack, 0
	.set _ZN7rocprim17ROCPRIM_400000_NS6detail17trampoline_kernelINS0_14default_configENS1_27scan_by_key_config_selectorIifEEZZNS1_16scan_by_key_implILNS1_25lookback_scan_determinismE0ELb0ES3_N6thrust23THRUST_200600_302600_NS6detail15normal_iteratorINS9_10device_ptrIiEEEENSB_INSC_IfEEEESG_fNS9_4plusIvEENS9_8equal_toIvEEfEE10hipError_tPvRmT2_T3_T4_T5_mT6_T7_P12ihipStream_tbENKUlT_T0_E_clISt17integral_constantIbLb0EES10_IbLb1EEEEDaSW_SX_EUlSW_E_NS1_11comp_targetILNS1_3genE9ELNS1_11target_archE1100ELNS1_3gpuE3ELNS1_3repE0EEENS1_30default_config_static_selectorELNS0_4arch9wavefront6targetE0EEEvT1_.has_recursion, 0
	.set _ZN7rocprim17ROCPRIM_400000_NS6detail17trampoline_kernelINS0_14default_configENS1_27scan_by_key_config_selectorIifEEZZNS1_16scan_by_key_implILNS1_25lookback_scan_determinismE0ELb0ES3_N6thrust23THRUST_200600_302600_NS6detail15normal_iteratorINS9_10device_ptrIiEEEENSB_INSC_IfEEEESG_fNS9_4plusIvEENS9_8equal_toIvEEfEE10hipError_tPvRmT2_T3_T4_T5_mT6_T7_P12ihipStream_tbENKUlT_T0_E_clISt17integral_constantIbLb0EES10_IbLb1EEEEDaSW_SX_EUlSW_E_NS1_11comp_targetILNS1_3genE9ELNS1_11target_archE1100ELNS1_3gpuE3ELNS1_3repE0EEENS1_30default_config_static_selectorELNS0_4arch9wavefront6targetE0EEEvT1_.has_indirect_call, 0
	.section	.AMDGPU.csdata,"",@progbits
; Kernel info:
; codeLenInByte = 0
; TotalNumSgprs: 0
; NumVgprs: 0
; ScratchSize: 0
; MemoryBound: 0
; FloatMode: 240
; IeeeMode: 1
; LDSByteSize: 0 bytes/workgroup (compile time only)
; SGPRBlocks: 0
; VGPRBlocks: 0
; NumSGPRsForWavesPerEU: 1
; NumVGPRsForWavesPerEU: 1
; Occupancy: 16
; WaveLimiterHint : 0
; COMPUTE_PGM_RSRC2:SCRATCH_EN: 0
; COMPUTE_PGM_RSRC2:USER_SGPR: 6
; COMPUTE_PGM_RSRC2:TRAP_HANDLER: 0
; COMPUTE_PGM_RSRC2:TGID_X_EN: 1
; COMPUTE_PGM_RSRC2:TGID_Y_EN: 0
; COMPUTE_PGM_RSRC2:TGID_Z_EN: 0
; COMPUTE_PGM_RSRC2:TIDIG_COMP_CNT: 0
	.section	.text._ZN7rocprim17ROCPRIM_400000_NS6detail17trampoline_kernelINS0_14default_configENS1_27scan_by_key_config_selectorIifEEZZNS1_16scan_by_key_implILNS1_25lookback_scan_determinismE0ELb0ES3_N6thrust23THRUST_200600_302600_NS6detail15normal_iteratorINS9_10device_ptrIiEEEENSB_INSC_IfEEEESG_fNS9_4plusIvEENS9_8equal_toIvEEfEE10hipError_tPvRmT2_T3_T4_T5_mT6_T7_P12ihipStream_tbENKUlT_T0_E_clISt17integral_constantIbLb0EES10_IbLb1EEEEDaSW_SX_EUlSW_E_NS1_11comp_targetILNS1_3genE8ELNS1_11target_archE1030ELNS1_3gpuE2ELNS1_3repE0EEENS1_30default_config_static_selectorELNS0_4arch9wavefront6targetE0EEEvT1_,"axG",@progbits,_ZN7rocprim17ROCPRIM_400000_NS6detail17trampoline_kernelINS0_14default_configENS1_27scan_by_key_config_selectorIifEEZZNS1_16scan_by_key_implILNS1_25lookback_scan_determinismE0ELb0ES3_N6thrust23THRUST_200600_302600_NS6detail15normal_iteratorINS9_10device_ptrIiEEEENSB_INSC_IfEEEESG_fNS9_4plusIvEENS9_8equal_toIvEEfEE10hipError_tPvRmT2_T3_T4_T5_mT6_T7_P12ihipStream_tbENKUlT_T0_E_clISt17integral_constantIbLb0EES10_IbLb1EEEEDaSW_SX_EUlSW_E_NS1_11comp_targetILNS1_3genE8ELNS1_11target_archE1030ELNS1_3gpuE2ELNS1_3repE0EEENS1_30default_config_static_selectorELNS0_4arch9wavefront6targetE0EEEvT1_,comdat
	.protected	_ZN7rocprim17ROCPRIM_400000_NS6detail17trampoline_kernelINS0_14default_configENS1_27scan_by_key_config_selectorIifEEZZNS1_16scan_by_key_implILNS1_25lookback_scan_determinismE0ELb0ES3_N6thrust23THRUST_200600_302600_NS6detail15normal_iteratorINS9_10device_ptrIiEEEENSB_INSC_IfEEEESG_fNS9_4plusIvEENS9_8equal_toIvEEfEE10hipError_tPvRmT2_T3_T4_T5_mT6_T7_P12ihipStream_tbENKUlT_T0_E_clISt17integral_constantIbLb0EES10_IbLb1EEEEDaSW_SX_EUlSW_E_NS1_11comp_targetILNS1_3genE8ELNS1_11target_archE1030ELNS1_3gpuE2ELNS1_3repE0EEENS1_30default_config_static_selectorELNS0_4arch9wavefront6targetE0EEEvT1_ ; -- Begin function _ZN7rocprim17ROCPRIM_400000_NS6detail17trampoline_kernelINS0_14default_configENS1_27scan_by_key_config_selectorIifEEZZNS1_16scan_by_key_implILNS1_25lookback_scan_determinismE0ELb0ES3_N6thrust23THRUST_200600_302600_NS6detail15normal_iteratorINS9_10device_ptrIiEEEENSB_INSC_IfEEEESG_fNS9_4plusIvEENS9_8equal_toIvEEfEE10hipError_tPvRmT2_T3_T4_T5_mT6_T7_P12ihipStream_tbENKUlT_T0_E_clISt17integral_constantIbLb0EES10_IbLb1EEEEDaSW_SX_EUlSW_E_NS1_11comp_targetILNS1_3genE8ELNS1_11target_archE1030ELNS1_3gpuE2ELNS1_3repE0EEENS1_30default_config_static_selectorELNS0_4arch9wavefront6targetE0EEEvT1_
	.globl	_ZN7rocprim17ROCPRIM_400000_NS6detail17trampoline_kernelINS0_14default_configENS1_27scan_by_key_config_selectorIifEEZZNS1_16scan_by_key_implILNS1_25lookback_scan_determinismE0ELb0ES3_N6thrust23THRUST_200600_302600_NS6detail15normal_iteratorINS9_10device_ptrIiEEEENSB_INSC_IfEEEESG_fNS9_4plusIvEENS9_8equal_toIvEEfEE10hipError_tPvRmT2_T3_T4_T5_mT6_T7_P12ihipStream_tbENKUlT_T0_E_clISt17integral_constantIbLb0EES10_IbLb1EEEEDaSW_SX_EUlSW_E_NS1_11comp_targetILNS1_3genE8ELNS1_11target_archE1030ELNS1_3gpuE2ELNS1_3repE0EEENS1_30default_config_static_selectorELNS0_4arch9wavefront6targetE0EEEvT1_
	.p2align	8
	.type	_ZN7rocprim17ROCPRIM_400000_NS6detail17trampoline_kernelINS0_14default_configENS1_27scan_by_key_config_selectorIifEEZZNS1_16scan_by_key_implILNS1_25lookback_scan_determinismE0ELb0ES3_N6thrust23THRUST_200600_302600_NS6detail15normal_iteratorINS9_10device_ptrIiEEEENSB_INSC_IfEEEESG_fNS9_4plusIvEENS9_8equal_toIvEEfEE10hipError_tPvRmT2_T3_T4_T5_mT6_T7_P12ihipStream_tbENKUlT_T0_E_clISt17integral_constantIbLb0EES10_IbLb1EEEEDaSW_SX_EUlSW_E_NS1_11comp_targetILNS1_3genE8ELNS1_11target_archE1030ELNS1_3gpuE2ELNS1_3repE0EEENS1_30default_config_static_selectorELNS0_4arch9wavefront6targetE0EEEvT1_,@function
_ZN7rocprim17ROCPRIM_400000_NS6detail17trampoline_kernelINS0_14default_configENS1_27scan_by_key_config_selectorIifEEZZNS1_16scan_by_key_implILNS1_25lookback_scan_determinismE0ELb0ES3_N6thrust23THRUST_200600_302600_NS6detail15normal_iteratorINS9_10device_ptrIiEEEENSB_INSC_IfEEEESG_fNS9_4plusIvEENS9_8equal_toIvEEfEE10hipError_tPvRmT2_T3_T4_T5_mT6_T7_P12ihipStream_tbENKUlT_T0_E_clISt17integral_constantIbLb0EES10_IbLb1EEEEDaSW_SX_EUlSW_E_NS1_11comp_targetILNS1_3genE8ELNS1_11target_archE1030ELNS1_3gpuE2ELNS1_3repE0EEENS1_30default_config_static_selectorELNS0_4arch9wavefront6targetE0EEEvT1_: ; @_ZN7rocprim17ROCPRIM_400000_NS6detail17trampoline_kernelINS0_14default_configENS1_27scan_by_key_config_selectorIifEEZZNS1_16scan_by_key_implILNS1_25lookback_scan_determinismE0ELb0ES3_N6thrust23THRUST_200600_302600_NS6detail15normal_iteratorINS9_10device_ptrIiEEEENSB_INSC_IfEEEESG_fNS9_4plusIvEENS9_8equal_toIvEEfEE10hipError_tPvRmT2_T3_T4_T5_mT6_T7_P12ihipStream_tbENKUlT_T0_E_clISt17integral_constantIbLb0EES10_IbLb1EEEEDaSW_SX_EUlSW_E_NS1_11comp_targetILNS1_3genE8ELNS1_11target_archE1030ELNS1_3gpuE2ELNS1_3repE0EEENS1_30default_config_static_selectorELNS0_4arch9wavefront6targetE0EEEvT1_
; %bb.0:
	s_clause 0x1
	s_load_dwordx4 s[24:27], s[4:5], 0x28
	s_load_dwordx2 s[28:29], s[4:5], 0x38
	v_cmp_ne_u32_e64 s1, 0, v0
	v_cmp_eq_u32_e64 s0, 0, v0
	s_and_saveexec_b32 s2, s0
	s_cbranch_execz .LBB1171_4
; %bb.1:
	s_mov_b32 s6, exec_lo
	s_mov_b32 s3, exec_lo
	v_mbcnt_lo_u32_b32 v1, s6, 0
                                        ; implicit-def: $vgpr2
	v_cmpx_eq_u32_e32 0, v1
	s_cbranch_execz .LBB1171_3
; %bb.2:
	s_load_dwordx2 s[8:9], s[4:5], 0x68
	s_bcnt1_i32_b32 s6, s6
	v_mov_b32_e32 v2, 0
	v_mov_b32_e32 v3, s6
	s_waitcnt lgkmcnt(0)
	global_atomic_add v2, v2, v3, s[8:9] glc
.LBB1171_3:
	s_or_b32 exec_lo, exec_lo, s3
	s_waitcnt vmcnt(0)
	v_readfirstlane_b32 s3, v2
	v_mov_b32_e32 v2, 0
	v_add_nc_u32_e32 v1, s3, v1
	ds_write_b32 v2, v1
.LBB1171_4:
	s_or_b32 exec_lo, exec_lo, s2
	v_mov_b32_e32 v1, 0
	s_clause 0x2
	s_load_dwordx8 s[8:15], s[4:5], 0x0
	s_load_dword s30, s[4:5], 0x40
	s_load_dwordx8 s[16:23], s[4:5], 0x48
	s_waitcnt lgkmcnt(0)
	s_barrier
	buffer_gl0_inv
	ds_read_b32 v1, v1
	s_waitcnt lgkmcnt(0)
	s_barrier
	buffer_gl0_inv
	s_barrier
	buffer_gl0_inv
	s_lshl_b64 s[6:7], s[10:11], 2
	s_mul_i32 s2, s29, s30
	s_add_u32 s4, s8, s6
	s_addc_u32 s5, s9, s7
	s_mul_hi_u32 s3, s28, s30
	s_add_u32 s12, s12, s6
	v_readfirstlane_b32 s27, v1
	s_addc_u32 s13, s13, s7
	s_add_i32 s33, s3, s2
	s_cmp_lg_u64 s[20:21], 0
	s_mov_b32 s3, 0
	s_mul_i32 s2, s27, 0x300
	s_cselect_b32 s31, -1, 0
	s_lshl_b64 s[8:9], s[2:3], 2
	s_mul_i32 s2, s28, s30
	s_add_u32 s10, s4, s8
	s_addc_u32 s11, s5, s9
	s_add_u32 s5, s12, s8
	s_addc_u32 s30, s13, s9
	;; [unrolled: 2-line block ×3, first 2 shown]
	s_add_u32 s16, s16, -1
	s_addc_u32 s17, s17, -1
	s_mul_i32 s21, s16, 0xfffffd00
	v_cmp_ge_u64_e64 s20, s[12:13], s[16:17]
	s_and_b32 vcc_lo, exec_lo, s20
	s_cbranch_vccz .LBB1171_26
; %bb.5:
	v_mov_b32_e32 v1, s10
	v_mov_b32_e32 v2, s11
	s_add_i32 s33, s21, s26
	v_cmp_gt_u32_e64 s2, s33, v0
	flat_load_dword v2, v[1:2]
	s_waitcnt vmcnt(0) lgkmcnt(0)
	v_mov_b32_e32 v3, v2
	s_and_saveexec_b32 s3, s2
	s_cbranch_execz .LBB1171_7
; %bb.6:
	v_lshlrev_b32_e32 v1, 2, v0
	v_add_co_u32 v3, s4, s10, v1
	v_add_co_ci_u32_e64 v4, null, s11, 0, s4
	flat_load_dword v3, v[3:4]
.LBB1171_7:
	s_or_b32 exec_lo, exec_lo, s3
	v_or_b32_e32 v1, 0x100, v0
	v_mov_b32_e32 v4, v2
	v_cmp_gt_u32_e64 s3, s33, v1
	s_and_saveexec_b32 s4, s3
	s_cbranch_execz .LBB1171_9
; %bb.8:
	v_lshlrev_b32_e32 v1, 2, v0
	v_add_co_u32 v4, s16, s10, v1
	v_add_co_ci_u32_e64 v5, null, s11, 0, s16
	flat_load_dword v4, v[4:5] offset:1024
.LBB1171_9:
	s_or_b32 exec_lo, exec_lo, s4
	v_or_b32_e32 v1, 0x200, v0
	v_cmp_gt_u32_e64 s4, s33, v1
	v_lshlrev_b32_e32 v8, 2, v1
	s_and_saveexec_b32 s16, s4
	s_cbranch_execz .LBB1171_11
; %bb.10:
	v_add_co_u32 v1, s17, s10, v8
	v_add_co_ci_u32_e64 v2, null, s11, 0, s17
	flat_load_dword v2, v[1:2]
.LBB1171_11:
	s_or_b32 exec_lo, exec_lo, s16
	v_lshlrev_b32_e32 v9, 2, v0
	v_lshlrev_b32_e32 v1, 3, v0
	s_cmp_eq_u64 s[12:13], 0
	s_mov_b64 s[16:17], s[10:11]
	s_waitcnt vmcnt(0) lgkmcnt(0)
	ds_write2st64_b32 v9, v3, v4 offset1:4
	v_add_nc_u32_e32 v7, v9, v1
	ds_write_b32 v9, v2 offset:2048
	s_waitcnt lgkmcnt(0)
	s_barrier
	buffer_gl0_inv
	ds_read2_b32 v[4:5], v7 offset1:1
	ds_read_b32 v6, v7 offset:8
	s_cbranch_scc1 .LBB1171_15
; %bb.12:
	s_andn2_b32 vcc_lo, exec_lo, s31
	s_cbranch_vccnz .LBB1171_143
; %bb.13:
	s_lshl_b64 s[16:17], s[12:13], 2
	s_add_u32 s16, s22, s16
	s_addc_u32 s17, s23, s17
	s_add_u32 s16, s16, -4
	s_addc_u32 s17, s17, -1
	s_cbranch_execnz .LBB1171_15
.LBB1171_14:
	s_add_u32 s16, s10, -4
	s_addc_u32 s17, s11, -1
.LBB1171_15:
	v_mov_b32_e32 v2, s16
	v_mov_b32_e32 v3, s17
	flat_load_dword v11, v[2:3]
	v_sub_nc_u32_e32 v2, v7, v1
	s_waitcnt lgkmcnt(1)
	ds_write_b32 v2, v6 offset:3072
	s_waitcnt vmcnt(0) lgkmcnt(0)
	s_barrier
	buffer_gl0_inv
	s_and_saveexec_b32 s16, s1
; %bb.16:
	v_sub_nc_u32_e32 v1, 0, v1
	v_add_nc_u32_e32 v1, v7, v1
	ds_read_b32 v11, v1 offset:3068
; %bb.17:
	s_or_b32 exec_lo, exec_lo, s16
	v_mov_b32_e32 v1, 0
	s_waitcnt lgkmcnt(0)
	s_barrier
	buffer_gl0_inv
	v_mov_b32_e32 v2, v1
	v_mov_b32_e32 v3, v1
	s_and_saveexec_b32 s16, s2
	s_cbranch_execnz .LBB1171_141
; %bb.18:
	s_or_b32 exec_lo, exec_lo, s16
	s_and_saveexec_b32 s2, s3
	s_cbranch_execnz .LBB1171_142
.LBB1171_19:
	s_or_b32 exec_lo, exec_lo, s2
	s_and_saveexec_b32 s2, s4
	s_cbranch_execz .LBB1171_21
.LBB1171_20:
	v_add_co_u32 v12, s3, s5, v8
	v_add_co_ci_u32_e64 v13, null, s30, 0, s3
	flat_load_dword v3, v[12:13]
.LBB1171_21:
	s_or_b32 exec_lo, exec_lo, s2
	v_mul_u32_u24_e32 v8, 3, v0
	s_waitcnt vmcnt(0) lgkmcnt(0)
	ds_write2st64_b32 v9, v1, v2 offset1:4
	ds_write_b32 v9, v3 offset:2048
	v_mov_b32_e32 v9, 0
	v_mov_b32_e32 v16, 0
	;; [unrolled: 1-line block ×4, first 2 shown]
	s_mov_b32 s16, 0
	s_mov_b32 s3, 0
	s_mov_b32 s17, exec_lo
	s_waitcnt lgkmcnt(0)
	s_barrier
	buffer_gl0_inv
                                        ; implicit-def: $sgpr4
                                        ; implicit-def: $vgpr2
	v_cmpx_gt_u32_e64 s33, v8
	s_cbranch_execz .LBB1171_25
; %bb.22:
	ds_read_b32 v9, v7
	v_add_nc_u32_e32 v1, 1, v8
	v_mov_b32_e32 v19, 0
	v_mov_b32_e32 v10, 0
	s_mov_b32 s34, exec_lo
	v_cmp_ne_u32_e32 vcc_lo, v11, v4
                                        ; implicit-def: $sgpr4
                                        ; implicit-def: $vgpr2
	v_cmpx_gt_u32_e64 s33, v1
	s_xor_b32 s34, exec_lo, s34
	s_cbranch_execz .LBB1171_24
; %bb.23:
	ds_read2_b32 v[1:2], v7 offset0:1 offset1:2
	v_add_nc_u32_e32 v3, 2, v8
	v_cmp_ne_u32_e64 s3, v4, v5
	v_cmp_ne_u32_e64 s4, v5, v6
	v_cmp_gt_u32_e64 s2, s33, v3
	v_cndmask_b32_e64 v19, 0, 1, s3
	s_and_b32 s3, s2, exec_lo
	s_waitcnt lgkmcnt(0)
	v_mov_b32_e32 v10, v1
.LBB1171_24:
	s_or_b32 exec_lo, exec_lo, s34
	v_cndmask_b32_e64 v16, 0, 1, vcc_lo
	s_and_b32 s3, s3, exec_lo
.LBB1171_25:
	s_or_b32 exec_lo, exec_lo, s17
	v_lshlrev_b32_e32 v14, 2, v0
	v_lshlrev_b32_e32 v15, 3, v0
	s_and_b32 vcc_lo, exec_lo, s16
	s_cbranch_vccnz .LBB1171_27
	s_branch .LBB1171_35
.LBB1171_26:
                                        ; implicit-def: $sgpr4
                                        ; implicit-def: $vgpr2
                                        ; implicit-def: $vgpr16
                                        ; implicit-def: $vgpr9
                                        ; implicit-def: $vgpr19
	v_lshlrev_b32_e32 v14, 2, v0
	v_lshlrev_b32_e32 v15, 3, v0
	s_cbranch_execz .LBB1171_35
.LBB1171_27:
	v_add_co_u32 v1, s2, s10, v14
	v_add_co_ci_u32_e64 v2, null, s11, 0, s2
	s_cmp_eq_u64 s[12:13], 0
	v_add_co_u32 v3, vcc_lo, 0x800, v1
	v_add_co_ci_u32_e64 v4, null, 0, v2, vcc_lo
	s_clause 0x2
	flat_load_dword v5, v[1:2]
	flat_load_dword v2, v[1:2] offset:1024
	flat_load_dword v3, v[3:4]
	v_add_nc_u32_e32 v1, v14, v15
	s_waitcnt vmcnt(1) lgkmcnt(1)
	ds_write2st64_b32 v14, v5, v2 offset1:4
	s_waitcnt vmcnt(0) lgkmcnt(1)
	ds_write_b32 v14, v3 offset:2048
	s_waitcnt lgkmcnt(0)
	s_barrier
	buffer_gl0_inv
	ds_read2_b32 v[3:4], v1 offset1:1
	ds_read_b32 v5, v1 offset:8
	s_cbranch_scc1 .LBB1171_32
; %bb.28:
	s_andn2_b32 vcc_lo, exec_lo, s31
	s_cbranch_vccnz .LBB1171_144
; %bb.29:
	s_lshl_b64 s[2:3], s[12:13], 2
	s_add_u32 s2, s22, s2
	s_addc_u32 s3, s23, s3
	s_add_u32 s2, s2, -4
	s_addc_u32 s3, s3, -1
	s_cbranch_execnz .LBB1171_31
.LBB1171_30:
	s_add_u32 s2, s10, -4
	s_addc_u32 s3, s11, -1
.LBB1171_31:
	s_mov_b64 s[10:11], s[2:3]
.LBB1171_32:
	v_mov_b32_e32 v6, s10
	v_mov_b32_e32 v7, s11
	v_sub_nc_u32_e32 v2, v1, v15
	flat_load_dword v6, v[6:7]
	s_waitcnt lgkmcnt(1)
	ds_write_b32 v2, v5 offset:3072
	s_waitcnt vmcnt(0) lgkmcnt(0)
	s_barrier
	buffer_gl0_inv
	s_and_saveexec_b32 s2, s1
; %bb.33:
	v_sub_nc_u32_e32 v2, 0, v15
	v_add_nc_u32_e32 v2, v1, v2
	ds_read_b32 v6, v2 offset:3068
; %bb.34:
	s_or_b32 exec_lo, exec_lo, s2
	v_add_co_u32 v7, s2, s5, v14
	v_add_co_ci_u32_e64 v8, null, s30, 0, s2
	s_waitcnt lgkmcnt(0)
	v_add_co_u32 v9, vcc_lo, 0x800, v7
	v_add_co_ci_u32_e64 v10, null, 0, v8, vcc_lo
	s_barrier
	buffer_gl0_inv
	s_clause 0x2
	flat_load_dword v2, v[7:8]
	flat_load_dword v7, v[7:8] offset:1024
	flat_load_dword v8, v[9:10]
	v_cmp_ne_u32_e32 vcc_lo, v3, v4
	v_cmp_ne_u32_e64 s4, v4, v5
	s_mov_b32 s3, -1
	s_waitcnt vmcnt(1) lgkmcnt(1)
	ds_write2st64_b32 v14, v2, v7 offset1:4
	s_waitcnt vmcnt(0) lgkmcnt(1)
	ds_write_b32 v14, v8 offset:2048
	s_waitcnt lgkmcnt(0)
	s_barrier
	buffer_gl0_inv
	ds_read2_b32 v[9:10], v1 offset1:1
	ds_read_b32 v2, v1 offset:8
	v_cndmask_b32_e64 v19, 0, 1, vcc_lo
	v_cmp_ne_u32_e32 vcc_lo, v6, v3
	v_cndmask_b32_e64 v16, 0, 1, vcc_lo
.LBB1171_35:
	v_mov_b32_e32 v17, 0
	v_mov_b32_e32 v20, 0
	s_and_saveexec_b32 s2, s3
	s_cbranch_execz .LBB1171_37
; %bb.36:
	v_cndmask_b32_e64 v20, 0, 1, s4
	s_waitcnt lgkmcnt(0)
	v_mov_b32_e32 v17, v2
.LBB1171_37:
	s_or_b32 exec_lo, exec_lo, s2
	v_or_b32_e32 v21, v20, v19
	v_cmp_eq_u16_e64 s2, 0, v20
	v_mbcnt_lo_u32_b32 v18, -1, 0
	s_cmp_lg_u32 s27, 0
	s_waitcnt lgkmcnt(0)
	s_barrier
	buffer_gl0_inv
	s_cbranch_scc0 .LBB1171_91
; %bb.38:
	v_mov_b32_e32 v5, 0
	v_add_f32_e32 v1, v9, v10
	s_mov_b32 s4, exec_lo
	v_cmp_eq_u16_sdwa s3, v19, v5 src0_sel:BYTE_0 src1_sel:DWORD
	v_cmp_eq_u16_sdwa vcc_lo, v21, v5 src0_sel:BYTE_0 src1_sel:DWORD
	v_cndmask_b32_e64 v2, v10, v1, s3
	v_cndmask_b32_e32 v1, 1, v16, vcc_lo
	v_add_f32_e32 v2, v2, v17
	v_and_b32_e32 v4, 0xff, v1
	v_cndmask_b32_e64 v3, v17, v2, s2
	v_and_b32_e32 v2, 15, v18
	v_mov_b32_dpp v7, v4 row_shr:1 row_mask:0xf bank_mask:0xf
	v_mov_b32_dpp v6, v3 row_shr:1 row_mask:0xf bank_mask:0xf
	v_cmpx_ne_u32_e32 0, v2
	s_cbranch_execz .LBB1171_40
; %bb.39:
	v_and_b32_e32 v4, 1, v1
	v_and_b32_e32 v7, 1, v7
	v_add_f32_e32 v6, v3, v6
	v_cmp_eq_u32_e32 vcc_lo, 1, v4
	v_cndmask_b32_e64 v4, v7, 1, vcc_lo
	v_cmp_eq_u16_sdwa vcc_lo, v1, v5 src0_sel:BYTE_0 src1_sel:DWORD
	v_mov_b32_e32 v1, v4
	v_cndmask_b32_e32 v3, v3, v6, vcc_lo
.LBB1171_40:
	s_or_b32 exec_lo, exec_lo, s4
	v_mov_b32_dpp v5, v3 row_shr:2 row_mask:0xf bank_mask:0xf
	v_mov_b32_dpp v6, v4 row_shr:2 row_mask:0xf bank_mask:0xf
	s_mov_b32 s5, exec_lo
	v_cmpx_lt_u32_e32 1, v2
	s_cbranch_execz .LBB1171_42
; %bb.41:
	v_and_b32_e32 v7, 1, v1
	v_mov_b32_e32 v4, 0
	v_and_b32_e32 v6, 1, v6
	v_add_f32_e32 v5, v3, v5
	v_cmp_eq_u32_e64 s4, 1, v7
	v_cmp_eq_u16_sdwa vcc_lo, v1, v4 src0_sel:BYTE_0 src1_sel:DWORD
	v_cndmask_b32_e64 v1, v6, 1, s4
	v_cndmask_b32_e32 v3, v3, v5, vcc_lo
	v_mov_b32_e32 v4, v1
.LBB1171_42:
	s_or_b32 exec_lo, exec_lo, s5
	v_mov_b32_dpp v5, v3 row_shr:4 row_mask:0xf bank_mask:0xf
	v_mov_b32_dpp v6, v4 row_shr:4 row_mask:0xf bank_mask:0xf
	s_mov_b32 s5, exec_lo
	v_cmpx_lt_u32_e32 3, v2
	s_cbranch_execz .LBB1171_44
; %bb.43:
	v_and_b32_e32 v7, 1, v1
	v_mov_b32_e32 v4, 0
	v_and_b32_e32 v6, 1, v6
	v_add_f32_e32 v5, v3, v5
	v_cmp_eq_u32_e64 s4, 1, v7
	v_cmp_eq_u16_sdwa vcc_lo, v1, v4 src0_sel:BYTE_0 src1_sel:DWORD
	v_cndmask_b32_e64 v1, v6, 1, s4
	v_cndmask_b32_e32 v3, v3, v5, vcc_lo
	v_mov_b32_e32 v4, v1
.LBB1171_44:
	s_or_b32 exec_lo, exec_lo, s5
	v_mov_b32_dpp v5, v3 row_shr:8 row_mask:0xf bank_mask:0xf
	v_mov_b32_dpp v6, v4 row_shr:8 row_mask:0xf bank_mask:0xf
	s_mov_b32 s5, exec_lo
	v_cmpx_lt_u32_e32 7, v2
	s_cbranch_execz .LBB1171_46
; %bb.45:
	v_and_b32_e32 v4, 1, v1
	v_mov_b32_e32 v2, 0
	v_and_b32_e32 v6, 1, v6
	v_add_f32_e32 v5, v3, v5
	v_cmp_eq_u32_e64 s4, 1, v4
	v_cmp_eq_u16_sdwa vcc_lo, v1, v2 src0_sel:BYTE_0 src1_sel:DWORD
	v_cndmask_b32_e64 v1, v6, 1, s4
	v_cndmask_b32_e32 v3, v3, v5, vcc_lo
	v_mov_b32_e32 v4, v1
.LBB1171_46:
	s_or_b32 exec_lo, exec_lo, s5
	ds_swizzle_b32 v5, v3 offset:swizzle(BROADCAST,32,15)
	ds_swizzle_b32 v2, v4 offset:swizzle(BROADCAST,32,15)
	v_and_b32_e32 v6, 16, v18
	s_mov_b32 s4, exec_lo
	v_cmpx_ne_u32_e32 0, v6
	s_cbranch_execz .LBB1171_48
; %bb.47:
	v_mov_b32_e32 v4, 0
	s_waitcnt lgkmcnt(1)
	v_add_f32_e32 v5, v3, v5
	v_and_b32_e32 v6, 1, v1
	s_waitcnt lgkmcnt(0)
	v_and_b32_e32 v2, 1, v2
	v_cmp_eq_u16_sdwa vcc_lo, v1, v4 src0_sel:BYTE_0 src1_sel:DWORD
	v_cndmask_b32_e32 v3, v3, v5, vcc_lo
	v_cmp_eq_u32_e32 vcc_lo, 1, v6
	v_cndmask_b32_e64 v4, v2, 1, vcc_lo
.LBB1171_48:
	s_or_b32 exec_lo, exec_lo, s4
	s_waitcnt lgkmcnt(0)
	v_lshrrev_b32_e32 v2, 5, v0
	v_or_b32_e32 v1, 31, v0
	s_mov_b32 s4, exec_lo
	v_lshlrev_b32_e32 v5, 3, v2
	v_cmpx_eq_u32_e64 v0, v1
	s_cbranch_execz .LBB1171_50
; %bb.49:
	ds_write_b32 v5, v3
	ds_write_b8 v5, v4 offset:4
.LBB1171_50:
	s_or_b32 exec_lo, exec_lo, s4
	s_mov_b32 s5, exec_lo
	s_waitcnt lgkmcnt(0)
	s_barrier
	buffer_gl0_inv
	v_cmpx_gt_u32_e32 8, v0
	s_cbranch_execz .LBB1171_56
; %bb.51:
	ds_read_b64 v[1:2], v15
	v_and_b32_e32 v6, 7, v18
	s_mov_b32 s4, exec_lo
	s_waitcnt lgkmcnt(0)
	v_mov_b32_dpp v8, v1 row_shr:1 row_mask:0xf bank_mask:0xf
	v_mov_b32_dpp v11, v2 row_shr:1 row_mask:0xf bank_mask:0xf
	v_mov_b32_e32 v7, v2
	v_cmpx_ne_u32_e32 0, v6
	s_cbranch_execz .LBB1171_53
; %bb.52:
	v_and_b32_e32 v7, 1, v2
	v_and_b32_e32 v11, 1, v11
	v_mov_b32_e32 v12, 0
	v_add_f32_e32 v8, v1, v8
	v_cmp_eq_u32_e32 vcc_lo, 1, v7
	v_cndmask_b32_e64 v7, v11, 1, vcc_lo
	v_cmp_eq_u16_sdwa vcc_lo, v2, v12 src0_sel:BYTE_0 src1_sel:DWORD
	v_and_or_b32 v2, 0xffffff00, v2, v7
	v_cndmask_b32_e32 v1, v1, v8, vcc_lo
.LBB1171_53:
	s_or_b32 exec_lo, exec_lo, s4
	v_mov_b32_dpp v8, v1 row_shr:2 row_mask:0xf bank_mask:0xf
	v_mov_b32_dpp v11, v2 row_shr:2 row_mask:0xf bank_mask:0xf
	s_mov_b32 s10, exec_lo
	v_cmpx_lt_u32_e32 1, v6
	s_cbranch_execz .LBB1171_55
; %bb.54:
	v_and_b32_e32 v13, 1, v7
	v_mov_b32_e32 v12, 0
	v_and_b32_e32 v11, 1, v11
	v_add_f32_e32 v8, v1, v8
	v_cmp_eq_u32_e64 s4, 1, v13
	v_cmp_eq_u16_sdwa vcc_lo, v7, v12 src0_sel:BYTE_0 src1_sel:DWORD
	v_cndmask_b32_e64 v7, v11, 1, s4
	v_cndmask_b32_e32 v1, v1, v8, vcc_lo
	v_and_or_b32 v2, 0xffffff00, v2, v7
.LBB1171_55:
	s_or_b32 exec_lo, exec_lo, s10
	v_mov_b32_dpp v8, v2 row_shr:4 row_mask:0xf bank_mask:0xf
	v_and_b32_e32 v12, 1, v7
	v_mov_b32_e32 v11, 0
	v_mov_b32_dpp v13, v1 row_shr:4 row_mask:0xf bank_mask:0xf
	v_and_b32_e32 v8, 1, v8
	v_cmp_eq_u32_e32 vcc_lo, 1, v12
	v_cmp_eq_u16_sdwa s4, v7, v11 src0_sel:BYTE_0 src1_sel:DWORD
	v_cndmask_b32_e64 v7, v8, 1, vcc_lo
	v_cmp_lt_u32_e32 vcc_lo, 3, v6
	v_add_f32_e32 v6, v1, v13
	v_cndmask_b32_e32 v2, v2, v7, vcc_lo
	s_and_b32 vcc_lo, vcc_lo, s4
	v_cndmask_b32_e32 v1, v1, v6, vcc_lo
	ds_write_b32 v15, v1
	ds_write_b8 v15, v2 offset:4
.LBB1171_56:
	s_or_b32 exec_lo, exec_lo, s5
	v_mov_b32_e32 v22, 0
	v_mov_b32_e32 v23, 0
	s_mov_b32 s5, exec_lo
	v_cmp_gt_u32_e32 vcc_lo, 32, v0
	s_waitcnt lgkmcnt(0)
	s_barrier
	buffer_gl0_inv
	v_cmpx_lt_u32_e32 31, v0
	s_cbranch_execz .LBB1171_58
; %bb.57:
	v_add_nc_u32_e32 v1, -8, v5
	v_and_b32_e32 v2, 1, v4
	v_cmp_eq_u32_e64 s4, 0, v4
	ds_read_b32 v23, v1
	v_add_nc_u32_e32 v1, -4, v5
	ds_read_u8 v22, v1
	s_waitcnt lgkmcnt(1)
	v_add_f32_e32 v1, v3, v23
	v_cndmask_b32_e64 v3, v3, v1, s4
	v_cmp_eq_u32_e64 s4, 1, v2
	s_waitcnt lgkmcnt(0)
	v_cndmask_b32_e64 v4, v22, 1, s4
.LBB1171_58:
	s_or_b32 exec_lo, exec_lo, s5
	v_sub_co_u32 v1, s4, v18, 1
	v_cmp_gt_i32_e64 s5, 0, v1
	v_cndmask_b32_e64 v1, v1, v18, s5
	v_lshlrev_b32_e32 v1, 2, v1
	ds_bpermute_b32 v25, v1, v3
	ds_bpermute_b32 v24, v1, v4
	s_and_saveexec_b32 s10, vcc_lo
	s_cbranch_execz .LBB1171_96
; %bb.59:
	v_mov_b32_e32 v4, 0
	ds_read_b64 v[1:2], v4 offset:56
	s_and_saveexec_b32 s5, s4
	s_cbranch_execz .LBB1171_61
; %bb.60:
	s_add_i32 s12, s27, 32
	s_mov_b32 s13, 0
	v_mov_b32_e32 v3, 1
	s_lshl_b64 s[12:13], s[12:13], 4
	s_add_u32 s12, s24, s12
	s_addc_u32 s13, s25, s13
	v_mov_b32_e32 v5, s12
	v_mov_b32_e32 v6, s13
	s_waitcnt lgkmcnt(0)
	;;#ASMSTART
	global_store_dwordx4 v[5:6], v[1:4] off	
s_waitcnt vmcnt(0)
	;;#ASMEND
.LBB1171_61:
	s_or_b32 exec_lo, exec_lo, s5
	v_xad_u32 v11, v18, -1, s27
	s_mov_b32 s11, 0
	v_add_nc_u32_e32 v3, 32, v11
	v_lshlrev_b64 v[5:6], 4, v[3:4]
	v_add_co_u32 v12, vcc_lo, s24, v5
	v_add_co_ci_u32_e64 v13, null, s25, v6, vcc_lo
	;;#ASMSTART
	global_load_dwordx4 v[5:8], v[12:13] off glc dlc	
s_waitcnt vmcnt(0)
	;;#ASMEND
	v_cmp_eq_u16_sdwa s12, v7, v4 src0_sel:BYTE_0 src1_sel:DWORD
	s_and_saveexec_b32 s5, s12
	s_cbranch_execz .LBB1171_65
; %bb.62:
	v_mov_b32_e32 v3, 0
.LBB1171_63:                            ; =>This Inner Loop Header: Depth=1
	;;#ASMSTART
	global_load_dwordx4 v[5:8], v[12:13] off glc dlc	
s_waitcnt vmcnt(0)
	;;#ASMEND
	v_cmp_ne_u16_sdwa s12, v7, v3 src0_sel:BYTE_0 src1_sel:DWORD
	s_or_b32 s11, s12, s11
	s_andn2_b32 exec_lo, exec_lo, s11
	s_cbranch_execnz .LBB1171_63
; %bb.64:
	s_or_b32 exec_lo, exec_lo, s11
.LBB1171_65:
	s_or_b32 exec_lo, exec_lo, s5
	v_cmp_ne_u32_e32 vcc_lo, 31, v18
	v_mov_b32_e32 v8, 2
	v_and_b32_e32 v4, 0xff, v6
	v_lshlrev_b32_e64 v26, v18, -1
	s_mov_b32 s11, exec_lo
	v_add_co_ci_u32_e64 v3, null, 0, v18, vcc_lo
	v_cmp_eq_u16_sdwa s5, v7, v8 src0_sel:BYTE_0 src1_sel:DWORD
	v_lshlrev_b32_e32 v13, 2, v3
	v_and_or_b32 v3, s5, v26, 0x80000000
	ds_bpermute_b32 v8, v13, v5
	ds_bpermute_b32 v12, v13, v4
	v_ffbl_b32_e32 v3, v3
	v_cmpx_lt_u32_e64 v18, v3
	s_cbranch_execz .LBB1171_67
; %bb.66:
	v_and_b32_e32 v27, 1, v6
	v_mov_b32_e32 v4, 0
	s_waitcnt lgkmcnt(0)
	v_and_b32_e32 v12, 1, v12
	v_add_f32_e32 v8, v5, v8
	v_cmp_eq_u32_e64 s5, 1, v27
	v_cmp_eq_u16_sdwa vcc_lo, v6, v4 src0_sel:BYTE_0 src1_sel:DWORD
	v_cndmask_b32_e64 v6, v12, 1, s5
	v_cndmask_b32_e32 v5, v5, v8, vcc_lo
	v_and_b32_e32 v4, 0xffff, v6
.LBB1171_67:
	s_or_b32 exec_lo, exec_lo, s11
	v_cmp_gt_u32_e32 vcc_lo, 30, v18
	v_add_nc_u32_e32 v28, 2, v18
	s_mov_b32 s11, exec_lo
	s_waitcnt lgkmcnt(1)
	v_cndmask_b32_e64 v8, 0, 2, vcc_lo
	v_add_lshl_u32 v27, v8, v18, 2
	ds_bpermute_b32 v8, v27, v5
	s_waitcnt lgkmcnt(1)
	ds_bpermute_b32 v12, v27, v4
	v_cmpx_le_u32_e64 v28, v3
	s_cbranch_execz .LBB1171_69
; %bb.68:
	v_and_b32_e32 v29, 1, v6
	v_mov_b32_e32 v4, 0
	s_waitcnt lgkmcnt(0)
	v_and_b32_e32 v12, 1, v12
	v_add_f32_e32 v8, v5, v8
	v_cmp_eq_u32_e64 s5, 1, v29
	v_cmp_eq_u16_sdwa vcc_lo, v6, v4 src0_sel:BYTE_0 src1_sel:DWORD
	v_cndmask_b32_e64 v6, v12, 1, s5
	v_cndmask_b32_e32 v5, v5, v8, vcc_lo
	v_and_b32_e32 v4, 0xffff, v6
.LBB1171_69:
	s_or_b32 exec_lo, exec_lo, s11
	v_cmp_gt_u32_e32 vcc_lo, 28, v18
	v_add_nc_u32_e32 v30, 4, v18
	s_mov_b32 s11, exec_lo
	s_waitcnt lgkmcnt(1)
	v_cndmask_b32_e64 v8, 0, 4, vcc_lo
	v_add_lshl_u32 v29, v8, v18, 2
	ds_bpermute_b32 v8, v29, v5
	s_waitcnt lgkmcnt(1)
	ds_bpermute_b32 v12, v29, v4
	v_cmpx_le_u32_e64 v30, v3
	;; [unrolled: 24-line block ×3, first 2 shown]
	s_cbranch_execz .LBB1171_73
; %bb.72:
	v_and_b32_e32 v33, 1, v6
	v_mov_b32_e32 v4, 0
	s_waitcnt lgkmcnt(0)
	v_and_b32_e32 v12, 1, v12
	v_add_f32_e32 v8, v5, v8
	v_cmp_eq_u32_e64 s5, 1, v33
	v_cmp_eq_u16_sdwa vcc_lo, v6, v4 src0_sel:BYTE_0 src1_sel:DWORD
	v_cndmask_b32_e64 v6, v12, 1, s5
	v_cndmask_b32_e32 v5, v5, v8, vcc_lo
	v_and_b32_e32 v4, 0xffff, v6
.LBB1171_73:
	s_or_b32 exec_lo, exec_lo, s11
	v_lshl_or_b32 v35, v18, 2, 64
	v_add_nc_u32_e32 v36, 16, v18
	s_mov_b32 s5, exec_lo
	s_waitcnt lgkmcnt(1)
	ds_bpermute_b32 v8, v35, v5
	ds_bpermute_b32 v4, v35, v4
	v_cmpx_le_u32_e64 v36, v3
	s_cbranch_execz .LBB1171_75
; %bb.74:
	v_mov_b32_e32 v3, 0
	s_waitcnt lgkmcnt(1)
	v_add_f32_e32 v8, v5, v8
	v_and_b32_e32 v12, 1, v6
	s_waitcnt lgkmcnt(0)
	v_and_b32_e32 v4, 1, v4
	v_cmp_eq_u16_sdwa vcc_lo, v6, v3 src0_sel:BYTE_0 src1_sel:DWORD
	v_cndmask_b32_e32 v5, v5, v8, vcc_lo
	v_cmp_eq_u32_e32 vcc_lo, 1, v12
	v_cndmask_b32_e64 v6, v4, 1, vcc_lo
.LBB1171_75:
	s_or_b32 exec_lo, exec_lo, s5
	s_waitcnt lgkmcnt(2)
	v_mov_b32_e32 v12, 0
	v_mov_b32_e32 v37, 2
	s_branch .LBB1171_78
.LBB1171_76:                            ;   in Loop: Header=BB1171_78 Depth=1
	s_or_b32 exec_lo, exec_lo, s11
	s_waitcnt lgkmcnt(1)
	ds_bpermute_b32 v8, v35, v5
	ds_bpermute_b32 v4, v35, v4
	s_waitcnt lgkmcnt(2)
	v_and_b32_e32 v38, 1, v6
	v_subrev_nc_u32_e32 v11, 32, v11
	s_mov_b32 s5, 0
	v_cmp_eq_u32_e32 vcc_lo, 1, v38
	s_waitcnt lgkmcnt(1)
	v_add_f32_e32 v8, v5, v8
	s_waitcnt lgkmcnt(0)
	v_cndmask_b32_e64 v4, v4, 1, vcc_lo
	v_cmp_eq_u16_sdwa vcc_lo, v6, v12 src0_sel:BYTE_0 src1_sel:DWORD
	v_cndmask_b32_e32 v8, v5, v8, vcc_lo
	v_cmp_gt_u32_e32 vcc_lo, v36, v3
	v_cndmask_b32_e32 v3, v4, v6, vcc_lo
	v_cndmask_b32_e32 v4, v8, v5, vcc_lo
	v_and_b32_e32 v6, 1, v33
	v_cmp_eq_u16_sdwa vcc_lo, v33, v12 src0_sel:BYTE_0 src1_sel:DWORD
	v_and_b32_e32 v3, 1, v3
	v_add_f32_e32 v4, v34, v4
	v_cndmask_b32_e32 v5, v34, v4, vcc_lo
	v_cmp_eq_u32_e32 vcc_lo, 1, v6
	v_cndmask_b32_e64 v6, v3, 1, vcc_lo
.LBB1171_77:                            ;   in Loop: Header=BB1171_78 Depth=1
	s_and_b32 vcc_lo, exec_lo, s5
	s_cbranch_vccnz .LBB1171_92
.LBB1171_78:                            ; =>This Loop Header: Depth=1
                                        ;     Child Loop BB1171_81 Depth 2
	v_cmp_ne_u16_sdwa s5, v7, v37 src0_sel:BYTE_0 src1_sel:DWORD
	v_mov_b32_e32 v33, v6
	v_mov_b32_e32 v34, v5
                                        ; implicit-def: $vgpr6
	s_cmp_lg_u32 s5, exec_lo
	s_mov_b32 s5, -1
	s_cbranch_scc1 .LBB1171_77
; %bb.79:                               ;   in Loop: Header=BB1171_78 Depth=1
	s_waitcnt lgkmcnt(0)
	v_lshlrev_b64 v[3:4], 4, v[11:12]
	v_add_co_u32 v3, vcc_lo, s24, v3
	v_add_co_ci_u32_e64 v4, null, s25, v4, vcc_lo
	;;#ASMSTART
	global_load_dwordx4 v[5:8], v[3:4] off glc dlc	
s_waitcnt vmcnt(0)
	;;#ASMEND
	v_cmp_eq_u16_sdwa s11, v7, v12 src0_sel:BYTE_0 src1_sel:DWORD
	s_and_saveexec_b32 s5, s11
	s_cbranch_execz .LBB1171_83
; %bb.80:                               ;   in Loop: Header=BB1171_78 Depth=1
	s_mov_b32 s11, 0
.LBB1171_81:                            ;   Parent Loop BB1171_78 Depth=1
                                        ; =>  This Inner Loop Header: Depth=2
	;;#ASMSTART
	global_load_dwordx4 v[5:8], v[3:4] off glc dlc	
s_waitcnt vmcnt(0)
	;;#ASMEND
	v_cmp_ne_u16_sdwa s12, v7, v12 src0_sel:BYTE_0 src1_sel:DWORD
	s_or_b32 s11, s12, s11
	s_andn2_b32 exec_lo, exec_lo, s11
	s_cbranch_execnz .LBB1171_81
; %bb.82:                               ;   in Loop: Header=BB1171_78 Depth=1
	s_or_b32 exec_lo, exec_lo, s11
.LBB1171_83:                            ;   in Loop: Header=BB1171_78 Depth=1
	s_or_b32 exec_lo, exec_lo, s5
	v_and_b32_e32 v4, 0xff, v6
	ds_bpermute_b32 v8, v13, v5
	v_cmp_eq_u16_sdwa s5, v7, v37 src0_sel:BYTE_0 src1_sel:DWORD
	s_mov_b32 s11, exec_lo
	ds_bpermute_b32 v38, v13, v4
	v_and_or_b32 v3, s5, v26, 0x80000000
	v_ffbl_b32_e32 v3, v3
	v_cmpx_lt_u32_e64 v18, v3
	s_cbranch_execz .LBB1171_85
; %bb.84:                               ;   in Loop: Header=BB1171_78 Depth=1
	v_and_b32_e32 v4, 1, v6
	s_waitcnt lgkmcnt(0)
	v_and_b32_e32 v38, 1, v38
	v_add_f32_e32 v8, v5, v8
	v_cmp_eq_u16_sdwa vcc_lo, v6, v12 src0_sel:BYTE_0 src1_sel:DWORD
	v_cmp_eq_u32_e64 s5, 1, v4
	v_cndmask_b32_e32 v5, v5, v8, vcc_lo
	v_cndmask_b32_e64 v6, v38, 1, s5
	v_and_b32_e32 v4, 0xffff, v6
.LBB1171_85:                            ;   in Loop: Header=BB1171_78 Depth=1
	s_or_b32 exec_lo, exec_lo, s11
	s_waitcnt lgkmcnt(1)
	ds_bpermute_b32 v8, v27, v5
	s_waitcnt lgkmcnt(1)
	ds_bpermute_b32 v38, v27, v4
	s_mov_b32 s11, exec_lo
	v_cmpx_le_u32_e64 v28, v3
	s_cbranch_execz .LBB1171_87
; %bb.86:                               ;   in Loop: Header=BB1171_78 Depth=1
	v_and_b32_e32 v4, 1, v6
	s_waitcnt lgkmcnt(0)
	v_and_b32_e32 v38, 1, v38
	v_add_f32_e32 v8, v5, v8
	v_cmp_eq_u16_sdwa vcc_lo, v6, v12 src0_sel:BYTE_0 src1_sel:DWORD
	v_cmp_eq_u32_e64 s5, 1, v4
	v_cndmask_b32_e32 v5, v5, v8, vcc_lo
	v_cndmask_b32_e64 v6, v38, 1, s5
	v_and_b32_e32 v4, 0xffff, v6
.LBB1171_87:                            ;   in Loop: Header=BB1171_78 Depth=1
	s_or_b32 exec_lo, exec_lo, s11
	s_waitcnt lgkmcnt(1)
	ds_bpermute_b32 v8, v29, v5
	s_waitcnt lgkmcnt(1)
	ds_bpermute_b32 v38, v29, v4
	s_mov_b32 s11, exec_lo
	v_cmpx_le_u32_e64 v30, v3
	;; [unrolled: 19-line block ×3, first 2 shown]
	s_cbranch_execz .LBB1171_76
; %bb.90:                               ;   in Loop: Header=BB1171_78 Depth=1
	v_and_b32_e32 v4, 1, v6
	s_waitcnt lgkmcnt(0)
	v_and_b32_e32 v38, 1, v38
	v_add_f32_e32 v8, v5, v8
	v_cmp_eq_u16_sdwa vcc_lo, v6, v12 src0_sel:BYTE_0 src1_sel:DWORD
	v_cmp_eq_u32_e64 s5, 1, v4
	v_cndmask_b32_e32 v5, v5, v8, vcc_lo
	v_cndmask_b32_e64 v6, v38, 1, s5
	v_and_b32_e32 v4, 0xffff, v6
	s_branch .LBB1171_76
.LBB1171_91:
                                        ; implicit-def: $vgpr6
                                        ; implicit-def: $vgpr5
                                        ; implicit-def: $vgpr7
	s_cbranch_execnz .LBB1171_97
	s_branch .LBB1171_124
.LBB1171_92:
	s_and_saveexec_b32 s5, s4
	s_cbranch_execz .LBB1171_94
; %bb.93:
	s_waitcnt lgkmcnt(0)
	v_mov_b32_e32 v4, 0
	v_add_f32_e32 v3, v34, v1
	v_and_b32_e32 v5, 1, v2
	s_mov_b32 s13, 0
	s_add_i32 s12, s27, 32
	v_cmp_eq_u32_sdwa vcc_lo, v2, v4 src0_sel:BYTE_0 src1_sel:DWORD
	v_and_b32_e32 v6, 1, v33
	s_lshl_b64 s[12:13], s[12:13], 4
	s_add_u32 s12, s24, s12
	v_cndmask_b32_e32 v1, v1, v3, vcc_lo
	v_cmp_eq_u32_e32 vcc_lo, 1, v5
	s_addc_u32 s13, s25, s13
	v_mov_b32_e32 v3, 2
	v_cndmask_b32_e64 v2, v6, 1, vcc_lo
	v_mov_b32_e32 v5, s12
	v_mov_b32_e32 v6, s13
	;;#ASMSTART
	global_store_dwordx4 v[5:6], v[1:4] off	
s_waitcnt vmcnt(0)
	;;#ASMEND
.LBB1171_94:
	s_or_b32 exec_lo, exec_lo, s5
	s_and_b32 exec_lo, exec_lo, s0
	s_cbranch_execz .LBB1171_96
; %bb.95:
	v_mov_b32_e32 v1, 0
	ds_write_b32 v1, v34 offset:56
	ds_write_b8 v1, v33 offset:60
.LBB1171_96:
	s_or_b32 exec_lo, exec_lo, s10
	v_mov_b32_e32 v1, 0
	s_waitcnt lgkmcnt(1)
	v_cndmask_b32_e64 v2, v25, v23, s4
	s_waitcnt lgkmcnt(0)
	s_barrier
	buffer_gl0_inv
	ds_read_b32 v3, v1 offset:56
	v_cndmask_b32_e64 v4, v24, v22, s4
	v_add_f32_e32 v2, v9, v2
	v_and_b32_e32 v5, 1, v16
	v_cmp_eq_u16_sdwa vcc_lo, v16, v1 src0_sel:BYTE_0 src1_sel:DWORD
	v_and_b32_e32 v4, 1, v4
	v_cndmask_b32_e32 v2, v9, v2, vcc_lo
	v_cmp_eq_u32_e32 vcc_lo, 1, v5
	v_cndmask_b32_e64 v2, v2, v9, s0
	v_cndmask_b32_e64 v4, v4, 1, vcc_lo
	v_cndmask_b32_e64 v4, v4, v16, s0
	s_waitcnt lgkmcnt(0)
	v_add_f32_e32 v3, v2, v3
	v_cmp_eq_u16_sdwa vcc_lo, v4, v1 src0_sel:BYTE_0 src1_sel:DWORD
	v_cndmask_b32_e32 v7, v2, v3, vcc_lo
	v_add_f32_e32 v1, v10, v7
	v_cndmask_b32_e64 v5, v10, v1, s3
	v_add_f32_e32 v1, v17, v5
	v_cndmask_b32_e64 v6, v17, v1, s2
	s_branch .LBB1171_124
.LBB1171_97:
	s_cmp_lg_u64 s[28:29], 0
	s_cselect_b32 s2, -1, 0
	s_cmp_lg_u64 s[18:19], 0
	s_cselect_b32 s3, -1, 0
	s_and_b32 s2, s2, s3
	s_and_b32 s3, s0, s2
	s_and_saveexec_b32 s2, s3
	s_cbranch_execz .LBB1171_99
; %bb.98:
	v_mov_b32_e32 v1, 0
	v_and_b32_e32 v4, 1, v16
	s_clause 0x1
	global_load_dword v2, v1, s[18:19]
	global_load_ubyte v3, v1, s[18:19] offset:4
	v_cmp_eq_u16_sdwa vcc_lo, v16, v1 src0_sel:BYTE_0 src1_sel:DWORD
	s_waitcnt vmcnt(1)
	v_add_f32_e32 v2, v9, v2
	s_waitcnt vmcnt(0)
	v_and_b32_e32 v3, 1, v3
	v_cndmask_b32_e32 v9, v9, v2, vcc_lo
	v_cmp_eq_u32_e32 vcc_lo, 1, v4
	v_cndmask_b32_e64 v16, v3, 1, vcc_lo
.LBB1171_99:
	s_or_b32 exec_lo, exec_lo, s2
	v_mov_b32_e32 v7, 0
	v_add_f32_e32 v1, v10, v9
	v_and_b32_e32 v2, 15, v18
	s_mov_b32 s4, exec_lo
	v_cmp_eq_u16_sdwa vcc_lo, v19, v7 src0_sel:BYTE_0 src1_sel:DWORD
	v_cmp_eq_u16_sdwa s2, v21, v7 src0_sel:BYTE_0 src1_sel:DWORD
	v_cndmask_b32_e32 v5, v10, v1, vcc_lo
	v_cndmask_b32_e64 v1, 1, v16, s2
	v_cmp_eq_u16_e64 s2, 0, v20
	v_add_f32_e32 v3, v17, v5
	v_and_b32_e32 v4, 0xff, v1
	v_cndmask_b32_e64 v6, v17, v3, s2
	v_mov_b32_dpp v11, v4 row_shr:1 row_mask:0xf bank_mask:0xf
	v_mov_b32_dpp v8, v6 row_shr:1 row_mask:0xf bank_mask:0xf
	v_mov_b32_e32 v3, v6
	v_cmpx_ne_u32_e32 0, v2
	s_cbranch_execz .LBB1171_101
; %bb.100:
	v_and_b32_e32 v3, 1, v1
	v_and_b32_e32 v4, 1, v11
	v_add_f32_e32 v8, v6, v8
	v_cmp_eq_u32_e64 s3, 1, v3
	v_cndmask_b32_e64 v4, v4, 1, s3
	v_cmp_eq_u16_sdwa s3, v1, v7 src0_sel:BYTE_0 src1_sel:DWORD
	v_mov_b32_e32 v1, v4
	v_cndmask_b32_e64 v3, v6, v8, s3
.LBB1171_101:
	s_or_b32 exec_lo, exec_lo, s4
	v_mov_b32_dpp v7, v3 row_shr:2 row_mask:0xf bank_mask:0xf
	v_mov_b32_dpp v8, v4 row_shr:2 row_mask:0xf bank_mask:0xf
	s_mov_b32 s5, exec_lo
	v_cmpx_lt_u32_e32 1, v2
	s_cbranch_execz .LBB1171_103
; %bb.102:
	v_and_b32_e32 v11, 1, v1
	v_mov_b32_e32 v4, 0
	v_and_b32_e32 v8, 1, v8
	v_add_f32_e32 v7, v3, v7
	v_cmp_eq_u32_e64 s4, 1, v11
	v_cmp_eq_u16_sdwa s3, v1, v4 src0_sel:BYTE_0 src1_sel:DWORD
	v_cndmask_b32_e64 v1, v8, 1, s4
	v_cndmask_b32_e64 v3, v3, v7, s3
	v_mov_b32_e32 v4, v1
.LBB1171_103:
	s_or_b32 exec_lo, exec_lo, s5
	v_mov_b32_dpp v7, v3 row_shr:4 row_mask:0xf bank_mask:0xf
	v_mov_b32_dpp v8, v4 row_shr:4 row_mask:0xf bank_mask:0xf
	s_mov_b32 s5, exec_lo
	v_cmpx_lt_u32_e32 3, v2
	s_cbranch_execz .LBB1171_105
; %bb.104:
	v_and_b32_e32 v11, 1, v1
	v_mov_b32_e32 v4, 0
	v_and_b32_e32 v8, 1, v8
	v_add_f32_e32 v7, v3, v7
	v_cmp_eq_u32_e64 s4, 1, v11
	v_cmp_eq_u16_sdwa s3, v1, v4 src0_sel:BYTE_0 src1_sel:DWORD
	v_cndmask_b32_e64 v1, v8, 1, s4
	v_cndmask_b32_e64 v3, v3, v7, s3
	v_mov_b32_e32 v4, v1
.LBB1171_105:
	;; [unrolled: 17-line block ×3, first 2 shown]
	s_or_b32 exec_lo, exec_lo, s5
	ds_swizzle_b32 v7, v3 offset:swizzle(BROADCAST,32,15)
	ds_swizzle_b32 v2, v4 offset:swizzle(BROADCAST,32,15)
	v_and_b32_e32 v8, 16, v18
	s_mov_b32 s4, exec_lo
	v_cmpx_ne_u32_e32 0, v8
	s_cbranch_execz .LBB1171_109
; %bb.108:
	v_mov_b32_e32 v4, 0
	s_waitcnt lgkmcnt(1)
	v_add_f32_e32 v7, v3, v7
	v_and_b32_e32 v8, 1, v1
	s_waitcnt lgkmcnt(0)
	v_and_b32_e32 v2, 1, v2
	v_cmp_eq_u16_sdwa s3, v1, v4 src0_sel:BYTE_0 src1_sel:DWORD
	v_cndmask_b32_e64 v3, v3, v7, s3
	v_cmp_eq_u32_e64 s3, 1, v8
	v_cndmask_b32_e64 v4, v2, 1, s3
.LBB1171_109:
	s_or_b32 exec_lo, exec_lo, s4
	v_or_b32_e32 v1, 31, v0
	s_waitcnt lgkmcnt(1)
	v_lshrrev_b32_e32 v7, 5, v0
	s_mov_b32 s4, exec_lo
	v_cmpx_eq_u32_e64 v0, v1
	s_cbranch_execz .LBB1171_111
; %bb.110:
	v_lshlrev_b32_e32 v1, 3, v7
	ds_write_b32 v1, v3
	ds_write_b8 v1, v4 offset:4
.LBB1171_111:
	s_or_b32 exec_lo, exec_lo, s4
	s_mov_b32 s5, exec_lo
	s_waitcnt lgkmcnt(0)
	s_barrier
	buffer_gl0_inv
	v_cmpx_gt_u32_e32 8, v0
	s_cbranch_execz .LBB1171_117
; %bb.112:
	ds_read_b64 v[1:2], v15
	v_and_b32_e32 v8, 7, v18
	s_mov_b32 s4, exec_lo
	s_waitcnt lgkmcnt(0)
	v_mov_b32_dpp v12, v1 row_shr:1 row_mask:0xf bank_mask:0xf
	v_mov_b32_dpp v13, v2 row_shr:1 row_mask:0xf bank_mask:0xf
	v_mov_b32_e32 v11, v2
	v_cmpx_ne_u32_e32 0, v8
	s_cbranch_execz .LBB1171_114
; %bb.113:
	v_and_b32_e32 v11, 1, v2
	v_and_b32_e32 v13, 1, v13
	v_mov_b32_e32 v19, 0
	v_add_f32_e32 v12, v1, v12
	v_cmp_eq_u32_e64 s3, 1, v11
	v_cndmask_b32_e64 v11, v13, 1, s3
	v_cmp_eq_u16_sdwa s3, v2, v19 src0_sel:BYTE_0 src1_sel:DWORD
	v_and_or_b32 v2, 0xffffff00, v2, v11
	v_cndmask_b32_e64 v1, v1, v12, s3
.LBB1171_114:
	s_or_b32 exec_lo, exec_lo, s4
	v_mov_b32_dpp v12, v1 row_shr:2 row_mask:0xf bank_mask:0xf
	v_mov_b32_dpp v13, v2 row_shr:2 row_mask:0xf bank_mask:0xf
	s_mov_b32 s10, exec_lo
	v_cmpx_lt_u32_e32 1, v8
	s_cbranch_execz .LBB1171_116
; %bb.115:
	v_and_b32_e32 v20, 1, v11
	v_mov_b32_e32 v19, 0
	v_and_b32_e32 v13, 1, v13
	v_add_f32_e32 v12, v1, v12
	v_cmp_eq_u32_e64 s4, 1, v20
	v_cmp_eq_u16_sdwa s3, v11, v19 src0_sel:BYTE_0 src1_sel:DWORD
	v_cndmask_b32_e64 v11, v13, 1, s4
	v_cndmask_b32_e64 v1, v1, v12, s3
	v_and_or_b32 v2, 0xffffff00, v2, v11
.LBB1171_116:
	s_or_b32 exec_lo, exec_lo, s10
	v_mov_b32_dpp v12, v2 row_shr:4 row_mask:0xf bank_mask:0xf
	v_and_b32_e32 v19, 1, v11
	v_mov_b32_e32 v13, 0
	v_mov_b32_dpp v20, v1 row_shr:4 row_mask:0xf bank_mask:0xf
	v_and_b32_e32 v12, 1, v12
	v_cmp_eq_u32_e64 s3, 1, v19
	v_cmp_eq_u16_sdwa s4, v11, v13 src0_sel:BYTE_0 src1_sel:DWORD
	v_cndmask_b32_e64 v11, v12, 1, s3
	v_cmp_lt_u32_e64 s3, 3, v8
	v_add_f32_e32 v8, v1, v20
	v_cndmask_b32_e64 v2, v2, v11, s3
	s_and_b32 s3, s3, s4
	v_cndmask_b32_e64 v1, v1, v8, s3
	ds_write_b32 v15, v1
	ds_write_b8 v15, v2 offset:4
.LBB1171_117:
	s_or_b32 exec_lo, exec_lo, s5
	v_mov_b32_e32 v1, 0
	s_mov_b32 s4, exec_lo
	s_waitcnt lgkmcnt(0)
	s_barrier
	buffer_gl0_inv
	v_cmpx_lt_u32_e32 31, v0
	s_cbranch_execz .LBB1171_119
; %bb.118:
	v_lshl_add_u32 v1, v7, 3, -8
	v_cmp_eq_u32_e64 s3, 0, v4
	ds_read_b32 v1, v1
	s_waitcnt lgkmcnt(0)
	v_add_f32_e32 v2, v3, v1
	v_cndmask_b32_e64 v3, v3, v2, s3
.LBB1171_119:
	s_or_b32 exec_lo, exec_lo, s4
	v_add_nc_u32_e32 v2, -1, v18
	v_cmp_gt_i32_e64 s3, 0, v2
	v_cndmask_b32_e64 v2, v2, v18, s3
	v_lshlrev_b32_e32 v2, 2, v2
	ds_bpermute_b32 v2, v2, v3
	s_and_saveexec_b32 s3, s1
	s_cbranch_execz .LBB1171_121
; %bb.120:
	v_cmp_eq_u32_e64 s1, 0, v18
	;;#ASMSTART
	;;#ASMEND
	s_waitcnt lgkmcnt(0)
	v_cndmask_b32_e64 v1, v2, v1, s1
	v_mov_b32_e32 v2, 0
	v_add_f32_e32 v1, v9, v1
	v_cmp_eq_u16_sdwa s1, v16, v2 src0_sel:BYTE_0 src1_sel:DWORD
	v_cndmask_b32_e64 v9, v9, v1, s1
	v_add_f32_e32 v1, v10, v9
	v_cndmask_b32_e32 v5, v10, v1, vcc_lo
	v_add_f32_e32 v1, v17, v5
	v_cndmask_b32_e64 v6, v17, v1, s2
.LBB1171_121:
	s_or_b32 exec_lo, exec_lo, s3
	s_and_saveexec_b32 s1, s0
	s_cbranch_execz .LBB1171_123
; %bb.122:
	v_mov_b32_e32 v4, 0
	s_add_u32 s2, s24, 0x200
	s_addc_u32 s3, s25, 0
	v_mov_b32_e32 v3, 2
	v_mov_b32_e32 v8, s3
	ds_read_b32 v1, v4 offset:56
	s_waitcnt lgkmcnt(1)
	ds_read_u8 v2, v4 offset:60
	v_mov_b32_e32 v7, s2
	s_waitcnt lgkmcnt(0)
	;;#ASMSTART
	global_store_dwordx4 v[7:8], v[1:4] off	
s_waitcnt vmcnt(0)
	;;#ASMEND
.LBB1171_123:
	s_or_b32 exec_lo, exec_lo, s1
	v_mov_b32_e32 v7, v9
.LBB1171_124:
	s_add_u32 s0, s14, s6
	v_mov_b32_e32 v3, 0
	s_addc_u32 s1, s15, s7
	s_add_u32 s0, s0, s8
	s_addc_u32 s1, s1, s9
	s_and_b32 vcc_lo, exec_lo, s20
	s_cbranch_vccz .LBB1171_136
; %bb.125:
	v_mul_u32_u24_e32 v1, 3, v0
	v_mov_b32_e32 v4, 0
	s_waitcnt lgkmcnt(0)
	v_mov_b32_e32 v2, 0
	s_add_i32 s21, s21, s26
	s_mov_b32 s2, exec_lo
	v_cmpx_gt_u32_e64 s21, v1
	s_cbranch_execz .LBB1171_131
; %bb.126:
	v_add_nc_u32_e32 v3, 1, v1
	v_mov_b32_e32 v2, 0
	v_mov_b32_e32 v4, 0
	s_mov_b32 s3, exec_lo
	v_cmpx_gt_u32_e64 s21, v3
	s_cbranch_execz .LBB1171_130
; %bb.127:
	v_add_nc_u32_e32 v2, 2, v1
	v_cmp_gt_u32_e32 vcc_lo, s21, v2
	v_mov_b32_e32 v2, 0
	s_and_saveexec_b32 s4, vcc_lo
; %bb.128:
	v_mov_b32_e32 v2, v6
; %bb.129:
	s_or_b32 exec_lo, exec_lo, s4
	v_mov_b32_e32 v4, v5
.LBB1171_130:
	s_or_b32 exec_lo, exec_lo, s3
	v_mov_b32_e32 v3, v7
.LBB1171_131:
	s_or_b32 exec_lo, exec_lo, s2
	v_lshlrev_b32_e32 v8, 2, v1
	s_barrier
	buffer_gl0_inv
	v_sub_nc_u32_e32 v1, v8, v15
	ds_write2_b32 v8, v3, v4 offset1:1
	ds_write_b32 v8, v2 offset:8
	s_waitcnt lgkmcnt(0)
	s_barrier
	buffer_gl0_inv
	ds_read2st64_b32 v[1:2], v1 offset0:4 offset1:8
	v_add_co_u32 v3, s2, s0, v14
	v_add_co_ci_u32_e64 v4, null, s1, 0, s2
	s_mov_b32 s2, exec_lo
	v_cmpx_gt_u32_e64 s21, v0
	s_cbranch_execz .LBB1171_133
; %bb.132:
	v_sub_nc_u32_e32 v9, 0, v15
	v_add_nc_u32_e32 v8, v8, v9
	ds_read_b32 v8, v8
	s_waitcnt lgkmcnt(0)
	flat_store_dword v[3:4], v8
.LBB1171_133:
	s_or_b32 exec_lo, exec_lo, s2
	v_or_b32_e32 v8, 0x100, v0
	s_mov_b32 s2, exec_lo
	v_cmpx_gt_u32_e64 s21, v8
	s_cbranch_execz .LBB1171_135
; %bb.134:
	s_waitcnt lgkmcnt(0)
	flat_store_dword v[3:4], v1 offset:1024
.LBB1171_135:
	s_or_b32 exec_lo, exec_lo, s2
	s_waitcnt lgkmcnt(0)
	v_or_b32_e32 v1, 0x200, v0
	v_cmp_gt_u32_e64 s2, s21, v1
	s_branch .LBB1171_138
.LBB1171_136:
	s_mov_b32 s2, 0
                                        ; implicit-def: $vgpr2
	s_cbranch_execz .LBB1171_138
; %bb.137:
	v_mul_u32_u24_e32 v1, 12, v0
	s_waitcnt lgkmcnt(0)
	s_waitcnt_vscnt null, 0x0
	s_barrier
	buffer_gl0_inv
	s_or_b32 s2, s2, exec_lo
	v_sub_nc_u32_e32 v2, v1, v15
	ds_write2_b32 v1, v7, v5 offset1:1
	ds_write_b32 v1, v6 offset:8
	s_waitcnt lgkmcnt(0)
	s_barrier
	buffer_gl0_inv
	ds_read2st64_b32 v[3:4], v2 offset1:4
	ds_read_b32 v2, v2 offset:2048
	v_add_co_u32 v5, s3, s0, v14
	v_add_co_ci_u32_e64 v6, null, s1, 0, s3
	s_waitcnt lgkmcnt(1)
	flat_store_dword v[5:6], v3
	flat_store_dword v[5:6], v4 offset:1024
.LBB1171_138:
	s_and_saveexec_b32 s3, s2
	s_cbranch_execnz .LBB1171_140
; %bb.139:
	s_endpgm
.LBB1171_140:
	v_lshlrev_b32_e32 v0, 2, v0
	v_add_co_u32 v0, s0, s0, v0
	v_add_co_ci_u32_e64 v1, null, s1, 0, s0
	v_add_co_u32 v0, vcc_lo, 0x800, v0
	v_add_co_ci_u32_e64 v1, null, 0, v1, vcc_lo
	s_waitcnt lgkmcnt(0)
	flat_store_dword v[0:1], v2
	s_endpgm
.LBB1171_141:
	v_add_co_u32 v2, s2, s5, v9
	v_add_co_ci_u32_e64 v3, null, s30, 0, s2
	v_mov_b32_e32 v13, v1
	v_mov_b32_e32 v14, v1
	flat_load_dword v12, v[2:3]
	s_waitcnt vmcnt(0) lgkmcnt(0)
	v_mov_b32_e32 v1, v12
	v_mov_b32_e32 v2, v13
	;; [unrolled: 1-line block ×3, first 2 shown]
	s_or_b32 exec_lo, exec_lo, s16
	s_and_saveexec_b32 s2, s3
	s_cbranch_execz .LBB1171_19
.LBB1171_142:
	v_add_co_u32 v12, s3, s5, v9
	v_add_co_ci_u32_e64 v13, null, s30, 0, s3
	flat_load_dword v2, v[12:13] offset:1024
	s_or_b32 exec_lo, exec_lo, s2
	s_and_saveexec_b32 s2, s4
	s_cbranch_execnz .LBB1171_20
	s_branch .LBB1171_21
.LBB1171_143:
                                        ; implicit-def: $sgpr16_sgpr17
	s_branch .LBB1171_14
.LBB1171_144:
                                        ; implicit-def: $sgpr2_sgpr3
	s_branch .LBB1171_30
	.section	.rodata,"a",@progbits
	.p2align	6, 0x0
	.amdhsa_kernel _ZN7rocprim17ROCPRIM_400000_NS6detail17trampoline_kernelINS0_14default_configENS1_27scan_by_key_config_selectorIifEEZZNS1_16scan_by_key_implILNS1_25lookback_scan_determinismE0ELb0ES3_N6thrust23THRUST_200600_302600_NS6detail15normal_iteratorINS9_10device_ptrIiEEEENSB_INSC_IfEEEESG_fNS9_4plusIvEENS9_8equal_toIvEEfEE10hipError_tPvRmT2_T3_T4_T5_mT6_T7_P12ihipStream_tbENKUlT_T0_E_clISt17integral_constantIbLb0EES10_IbLb1EEEEDaSW_SX_EUlSW_E_NS1_11comp_targetILNS1_3genE8ELNS1_11target_archE1030ELNS1_3gpuE2ELNS1_3repE0EEENS1_30default_config_static_selectorELNS0_4arch9wavefront6targetE0EEEvT1_
		.amdhsa_group_segment_fixed_size 5120
		.amdhsa_private_segment_fixed_size 0
		.amdhsa_kernarg_size 112
		.amdhsa_user_sgpr_count 6
		.amdhsa_user_sgpr_private_segment_buffer 1
		.amdhsa_user_sgpr_dispatch_ptr 0
		.amdhsa_user_sgpr_queue_ptr 0
		.amdhsa_user_sgpr_kernarg_segment_ptr 1
		.amdhsa_user_sgpr_dispatch_id 0
		.amdhsa_user_sgpr_flat_scratch_init 0
		.amdhsa_user_sgpr_private_segment_size 0
		.amdhsa_wavefront_size32 1
		.amdhsa_uses_dynamic_stack 0
		.amdhsa_system_sgpr_private_segment_wavefront_offset 0
		.amdhsa_system_sgpr_workgroup_id_x 1
		.amdhsa_system_sgpr_workgroup_id_y 0
		.amdhsa_system_sgpr_workgroup_id_z 0
		.amdhsa_system_sgpr_workgroup_info 0
		.amdhsa_system_vgpr_workitem_id 0
		.amdhsa_next_free_vgpr 39
		.amdhsa_next_free_sgpr 35
		.amdhsa_reserve_vcc 1
		.amdhsa_reserve_flat_scratch 1
		.amdhsa_float_round_mode_32 0
		.amdhsa_float_round_mode_16_64 0
		.amdhsa_float_denorm_mode_32 3
		.amdhsa_float_denorm_mode_16_64 3
		.amdhsa_dx10_clamp 1
		.amdhsa_ieee_mode 1
		.amdhsa_fp16_overflow 0
		.amdhsa_workgroup_processor_mode 1
		.amdhsa_memory_ordered 1
		.amdhsa_forward_progress 1
		.amdhsa_shared_vgpr_count 0
		.amdhsa_exception_fp_ieee_invalid_op 0
		.amdhsa_exception_fp_denorm_src 0
		.amdhsa_exception_fp_ieee_div_zero 0
		.amdhsa_exception_fp_ieee_overflow 0
		.amdhsa_exception_fp_ieee_underflow 0
		.amdhsa_exception_fp_ieee_inexact 0
		.amdhsa_exception_int_div_zero 0
	.end_amdhsa_kernel
	.section	.text._ZN7rocprim17ROCPRIM_400000_NS6detail17trampoline_kernelINS0_14default_configENS1_27scan_by_key_config_selectorIifEEZZNS1_16scan_by_key_implILNS1_25lookback_scan_determinismE0ELb0ES3_N6thrust23THRUST_200600_302600_NS6detail15normal_iteratorINS9_10device_ptrIiEEEENSB_INSC_IfEEEESG_fNS9_4plusIvEENS9_8equal_toIvEEfEE10hipError_tPvRmT2_T3_T4_T5_mT6_T7_P12ihipStream_tbENKUlT_T0_E_clISt17integral_constantIbLb0EES10_IbLb1EEEEDaSW_SX_EUlSW_E_NS1_11comp_targetILNS1_3genE8ELNS1_11target_archE1030ELNS1_3gpuE2ELNS1_3repE0EEENS1_30default_config_static_selectorELNS0_4arch9wavefront6targetE0EEEvT1_,"axG",@progbits,_ZN7rocprim17ROCPRIM_400000_NS6detail17trampoline_kernelINS0_14default_configENS1_27scan_by_key_config_selectorIifEEZZNS1_16scan_by_key_implILNS1_25lookback_scan_determinismE0ELb0ES3_N6thrust23THRUST_200600_302600_NS6detail15normal_iteratorINS9_10device_ptrIiEEEENSB_INSC_IfEEEESG_fNS9_4plusIvEENS9_8equal_toIvEEfEE10hipError_tPvRmT2_T3_T4_T5_mT6_T7_P12ihipStream_tbENKUlT_T0_E_clISt17integral_constantIbLb0EES10_IbLb1EEEEDaSW_SX_EUlSW_E_NS1_11comp_targetILNS1_3genE8ELNS1_11target_archE1030ELNS1_3gpuE2ELNS1_3repE0EEENS1_30default_config_static_selectorELNS0_4arch9wavefront6targetE0EEEvT1_,comdat
.Lfunc_end1171:
	.size	_ZN7rocprim17ROCPRIM_400000_NS6detail17trampoline_kernelINS0_14default_configENS1_27scan_by_key_config_selectorIifEEZZNS1_16scan_by_key_implILNS1_25lookback_scan_determinismE0ELb0ES3_N6thrust23THRUST_200600_302600_NS6detail15normal_iteratorINS9_10device_ptrIiEEEENSB_INSC_IfEEEESG_fNS9_4plusIvEENS9_8equal_toIvEEfEE10hipError_tPvRmT2_T3_T4_T5_mT6_T7_P12ihipStream_tbENKUlT_T0_E_clISt17integral_constantIbLb0EES10_IbLb1EEEEDaSW_SX_EUlSW_E_NS1_11comp_targetILNS1_3genE8ELNS1_11target_archE1030ELNS1_3gpuE2ELNS1_3repE0EEENS1_30default_config_static_selectorELNS0_4arch9wavefront6targetE0EEEvT1_, .Lfunc_end1171-_ZN7rocprim17ROCPRIM_400000_NS6detail17trampoline_kernelINS0_14default_configENS1_27scan_by_key_config_selectorIifEEZZNS1_16scan_by_key_implILNS1_25lookback_scan_determinismE0ELb0ES3_N6thrust23THRUST_200600_302600_NS6detail15normal_iteratorINS9_10device_ptrIiEEEENSB_INSC_IfEEEESG_fNS9_4plusIvEENS9_8equal_toIvEEfEE10hipError_tPvRmT2_T3_T4_T5_mT6_T7_P12ihipStream_tbENKUlT_T0_E_clISt17integral_constantIbLb0EES10_IbLb1EEEEDaSW_SX_EUlSW_E_NS1_11comp_targetILNS1_3genE8ELNS1_11target_archE1030ELNS1_3gpuE2ELNS1_3repE0EEENS1_30default_config_static_selectorELNS0_4arch9wavefront6targetE0EEEvT1_
                                        ; -- End function
	.set _ZN7rocprim17ROCPRIM_400000_NS6detail17trampoline_kernelINS0_14default_configENS1_27scan_by_key_config_selectorIifEEZZNS1_16scan_by_key_implILNS1_25lookback_scan_determinismE0ELb0ES3_N6thrust23THRUST_200600_302600_NS6detail15normal_iteratorINS9_10device_ptrIiEEEENSB_INSC_IfEEEESG_fNS9_4plusIvEENS9_8equal_toIvEEfEE10hipError_tPvRmT2_T3_T4_T5_mT6_T7_P12ihipStream_tbENKUlT_T0_E_clISt17integral_constantIbLb0EES10_IbLb1EEEEDaSW_SX_EUlSW_E_NS1_11comp_targetILNS1_3genE8ELNS1_11target_archE1030ELNS1_3gpuE2ELNS1_3repE0EEENS1_30default_config_static_selectorELNS0_4arch9wavefront6targetE0EEEvT1_.num_vgpr, 39
	.set _ZN7rocprim17ROCPRIM_400000_NS6detail17trampoline_kernelINS0_14default_configENS1_27scan_by_key_config_selectorIifEEZZNS1_16scan_by_key_implILNS1_25lookback_scan_determinismE0ELb0ES3_N6thrust23THRUST_200600_302600_NS6detail15normal_iteratorINS9_10device_ptrIiEEEENSB_INSC_IfEEEESG_fNS9_4plusIvEENS9_8equal_toIvEEfEE10hipError_tPvRmT2_T3_T4_T5_mT6_T7_P12ihipStream_tbENKUlT_T0_E_clISt17integral_constantIbLb0EES10_IbLb1EEEEDaSW_SX_EUlSW_E_NS1_11comp_targetILNS1_3genE8ELNS1_11target_archE1030ELNS1_3gpuE2ELNS1_3repE0EEENS1_30default_config_static_selectorELNS0_4arch9wavefront6targetE0EEEvT1_.num_agpr, 0
	.set _ZN7rocprim17ROCPRIM_400000_NS6detail17trampoline_kernelINS0_14default_configENS1_27scan_by_key_config_selectorIifEEZZNS1_16scan_by_key_implILNS1_25lookback_scan_determinismE0ELb0ES3_N6thrust23THRUST_200600_302600_NS6detail15normal_iteratorINS9_10device_ptrIiEEEENSB_INSC_IfEEEESG_fNS9_4plusIvEENS9_8equal_toIvEEfEE10hipError_tPvRmT2_T3_T4_T5_mT6_T7_P12ihipStream_tbENKUlT_T0_E_clISt17integral_constantIbLb0EES10_IbLb1EEEEDaSW_SX_EUlSW_E_NS1_11comp_targetILNS1_3genE8ELNS1_11target_archE1030ELNS1_3gpuE2ELNS1_3repE0EEENS1_30default_config_static_selectorELNS0_4arch9wavefront6targetE0EEEvT1_.numbered_sgpr, 35
	.set _ZN7rocprim17ROCPRIM_400000_NS6detail17trampoline_kernelINS0_14default_configENS1_27scan_by_key_config_selectorIifEEZZNS1_16scan_by_key_implILNS1_25lookback_scan_determinismE0ELb0ES3_N6thrust23THRUST_200600_302600_NS6detail15normal_iteratorINS9_10device_ptrIiEEEENSB_INSC_IfEEEESG_fNS9_4plusIvEENS9_8equal_toIvEEfEE10hipError_tPvRmT2_T3_T4_T5_mT6_T7_P12ihipStream_tbENKUlT_T0_E_clISt17integral_constantIbLb0EES10_IbLb1EEEEDaSW_SX_EUlSW_E_NS1_11comp_targetILNS1_3genE8ELNS1_11target_archE1030ELNS1_3gpuE2ELNS1_3repE0EEENS1_30default_config_static_selectorELNS0_4arch9wavefront6targetE0EEEvT1_.num_named_barrier, 0
	.set _ZN7rocprim17ROCPRIM_400000_NS6detail17trampoline_kernelINS0_14default_configENS1_27scan_by_key_config_selectorIifEEZZNS1_16scan_by_key_implILNS1_25lookback_scan_determinismE0ELb0ES3_N6thrust23THRUST_200600_302600_NS6detail15normal_iteratorINS9_10device_ptrIiEEEENSB_INSC_IfEEEESG_fNS9_4plusIvEENS9_8equal_toIvEEfEE10hipError_tPvRmT2_T3_T4_T5_mT6_T7_P12ihipStream_tbENKUlT_T0_E_clISt17integral_constantIbLb0EES10_IbLb1EEEEDaSW_SX_EUlSW_E_NS1_11comp_targetILNS1_3genE8ELNS1_11target_archE1030ELNS1_3gpuE2ELNS1_3repE0EEENS1_30default_config_static_selectorELNS0_4arch9wavefront6targetE0EEEvT1_.private_seg_size, 0
	.set _ZN7rocprim17ROCPRIM_400000_NS6detail17trampoline_kernelINS0_14default_configENS1_27scan_by_key_config_selectorIifEEZZNS1_16scan_by_key_implILNS1_25lookback_scan_determinismE0ELb0ES3_N6thrust23THRUST_200600_302600_NS6detail15normal_iteratorINS9_10device_ptrIiEEEENSB_INSC_IfEEEESG_fNS9_4plusIvEENS9_8equal_toIvEEfEE10hipError_tPvRmT2_T3_T4_T5_mT6_T7_P12ihipStream_tbENKUlT_T0_E_clISt17integral_constantIbLb0EES10_IbLb1EEEEDaSW_SX_EUlSW_E_NS1_11comp_targetILNS1_3genE8ELNS1_11target_archE1030ELNS1_3gpuE2ELNS1_3repE0EEENS1_30default_config_static_selectorELNS0_4arch9wavefront6targetE0EEEvT1_.uses_vcc, 1
	.set _ZN7rocprim17ROCPRIM_400000_NS6detail17trampoline_kernelINS0_14default_configENS1_27scan_by_key_config_selectorIifEEZZNS1_16scan_by_key_implILNS1_25lookback_scan_determinismE0ELb0ES3_N6thrust23THRUST_200600_302600_NS6detail15normal_iteratorINS9_10device_ptrIiEEEENSB_INSC_IfEEEESG_fNS9_4plusIvEENS9_8equal_toIvEEfEE10hipError_tPvRmT2_T3_T4_T5_mT6_T7_P12ihipStream_tbENKUlT_T0_E_clISt17integral_constantIbLb0EES10_IbLb1EEEEDaSW_SX_EUlSW_E_NS1_11comp_targetILNS1_3genE8ELNS1_11target_archE1030ELNS1_3gpuE2ELNS1_3repE0EEENS1_30default_config_static_selectorELNS0_4arch9wavefront6targetE0EEEvT1_.uses_flat_scratch, 1
	.set _ZN7rocprim17ROCPRIM_400000_NS6detail17trampoline_kernelINS0_14default_configENS1_27scan_by_key_config_selectorIifEEZZNS1_16scan_by_key_implILNS1_25lookback_scan_determinismE0ELb0ES3_N6thrust23THRUST_200600_302600_NS6detail15normal_iteratorINS9_10device_ptrIiEEEENSB_INSC_IfEEEESG_fNS9_4plusIvEENS9_8equal_toIvEEfEE10hipError_tPvRmT2_T3_T4_T5_mT6_T7_P12ihipStream_tbENKUlT_T0_E_clISt17integral_constantIbLb0EES10_IbLb1EEEEDaSW_SX_EUlSW_E_NS1_11comp_targetILNS1_3genE8ELNS1_11target_archE1030ELNS1_3gpuE2ELNS1_3repE0EEENS1_30default_config_static_selectorELNS0_4arch9wavefront6targetE0EEEvT1_.has_dyn_sized_stack, 0
	.set _ZN7rocprim17ROCPRIM_400000_NS6detail17trampoline_kernelINS0_14default_configENS1_27scan_by_key_config_selectorIifEEZZNS1_16scan_by_key_implILNS1_25lookback_scan_determinismE0ELb0ES3_N6thrust23THRUST_200600_302600_NS6detail15normal_iteratorINS9_10device_ptrIiEEEENSB_INSC_IfEEEESG_fNS9_4plusIvEENS9_8equal_toIvEEfEE10hipError_tPvRmT2_T3_T4_T5_mT6_T7_P12ihipStream_tbENKUlT_T0_E_clISt17integral_constantIbLb0EES10_IbLb1EEEEDaSW_SX_EUlSW_E_NS1_11comp_targetILNS1_3genE8ELNS1_11target_archE1030ELNS1_3gpuE2ELNS1_3repE0EEENS1_30default_config_static_selectorELNS0_4arch9wavefront6targetE0EEEvT1_.has_recursion, 0
	.set _ZN7rocprim17ROCPRIM_400000_NS6detail17trampoline_kernelINS0_14default_configENS1_27scan_by_key_config_selectorIifEEZZNS1_16scan_by_key_implILNS1_25lookback_scan_determinismE0ELb0ES3_N6thrust23THRUST_200600_302600_NS6detail15normal_iteratorINS9_10device_ptrIiEEEENSB_INSC_IfEEEESG_fNS9_4plusIvEENS9_8equal_toIvEEfEE10hipError_tPvRmT2_T3_T4_T5_mT6_T7_P12ihipStream_tbENKUlT_T0_E_clISt17integral_constantIbLb0EES10_IbLb1EEEEDaSW_SX_EUlSW_E_NS1_11comp_targetILNS1_3genE8ELNS1_11target_archE1030ELNS1_3gpuE2ELNS1_3repE0EEENS1_30default_config_static_selectorELNS0_4arch9wavefront6targetE0EEEvT1_.has_indirect_call, 0
	.section	.AMDGPU.csdata,"",@progbits
; Kernel info:
; codeLenInByte = 6368
; TotalNumSgprs: 37
; NumVgprs: 39
; ScratchSize: 0
; MemoryBound: 0
; FloatMode: 240
; IeeeMode: 1
; LDSByteSize: 5120 bytes/workgroup (compile time only)
; SGPRBlocks: 0
; VGPRBlocks: 4
; NumSGPRsForWavesPerEU: 37
; NumVGPRsForWavesPerEU: 39
; Occupancy: 16
; WaveLimiterHint : 1
; COMPUTE_PGM_RSRC2:SCRATCH_EN: 0
; COMPUTE_PGM_RSRC2:USER_SGPR: 6
; COMPUTE_PGM_RSRC2:TRAP_HANDLER: 0
; COMPUTE_PGM_RSRC2:TGID_X_EN: 1
; COMPUTE_PGM_RSRC2:TGID_Y_EN: 0
; COMPUTE_PGM_RSRC2:TGID_Z_EN: 0
; COMPUTE_PGM_RSRC2:TIDIG_COMP_CNT: 0
	.section	.text._ZN6thrust23THRUST_200600_302600_NS11hip_rocprim14__parallel_for6kernelILj256ENS1_11__transform17unary_transform_fINS0_7pointerIiNS1_3tagENS0_11use_defaultES8_EENS0_10device_ptrIyEENS4_14no_stencil_tagENS0_8identityIiEENS4_21always_true_predicateEEElLj1EEEvT0_T1_SI_,"axG",@progbits,_ZN6thrust23THRUST_200600_302600_NS11hip_rocprim14__parallel_for6kernelILj256ENS1_11__transform17unary_transform_fINS0_7pointerIiNS1_3tagENS0_11use_defaultES8_EENS0_10device_ptrIyEENS4_14no_stencil_tagENS0_8identityIiEENS4_21always_true_predicateEEElLj1EEEvT0_T1_SI_,comdat
	.protected	_ZN6thrust23THRUST_200600_302600_NS11hip_rocprim14__parallel_for6kernelILj256ENS1_11__transform17unary_transform_fINS0_7pointerIiNS1_3tagENS0_11use_defaultES8_EENS0_10device_ptrIyEENS4_14no_stencil_tagENS0_8identityIiEENS4_21always_true_predicateEEElLj1EEEvT0_T1_SI_ ; -- Begin function _ZN6thrust23THRUST_200600_302600_NS11hip_rocprim14__parallel_for6kernelILj256ENS1_11__transform17unary_transform_fINS0_7pointerIiNS1_3tagENS0_11use_defaultES8_EENS0_10device_ptrIyEENS4_14no_stencil_tagENS0_8identityIiEENS4_21always_true_predicateEEElLj1EEEvT0_T1_SI_
	.globl	_ZN6thrust23THRUST_200600_302600_NS11hip_rocprim14__parallel_for6kernelILj256ENS1_11__transform17unary_transform_fINS0_7pointerIiNS1_3tagENS0_11use_defaultES8_EENS0_10device_ptrIyEENS4_14no_stencil_tagENS0_8identityIiEENS4_21always_true_predicateEEElLj1EEEvT0_T1_SI_
	.p2align	8
	.type	_ZN6thrust23THRUST_200600_302600_NS11hip_rocprim14__parallel_for6kernelILj256ENS1_11__transform17unary_transform_fINS0_7pointerIiNS1_3tagENS0_11use_defaultES8_EENS0_10device_ptrIyEENS4_14no_stencil_tagENS0_8identityIiEENS4_21always_true_predicateEEElLj1EEEvT0_T1_SI_,@function
_ZN6thrust23THRUST_200600_302600_NS11hip_rocprim14__parallel_for6kernelILj256ENS1_11__transform17unary_transform_fINS0_7pointerIiNS1_3tagENS0_11use_defaultES8_EENS0_10device_ptrIyEENS4_14no_stencil_tagENS0_8identityIiEENS4_21always_true_predicateEEElLj1EEEvT0_T1_SI_: ; @_ZN6thrust23THRUST_200600_302600_NS11hip_rocprim14__parallel_for6kernelILj256ENS1_11__transform17unary_transform_fINS0_7pointerIiNS1_3tagENS0_11use_defaultES8_EENS0_10device_ptrIyEENS4_14no_stencil_tagENS0_8identityIiEENS4_21always_true_predicateEEElLj1EEEvT0_T1_SI_
; %bb.0:
	s_clause 0x1
	s_load_dwordx4 s[8:11], s[4:5], 0x18
	s_load_dwordx4 s[0:3], s[4:5], 0x0
	s_lshl_b32 s4, s6, 8
	s_waitcnt lgkmcnt(0)
	s_add_u32 s4, s10, s4
	s_addc_u32 s5, s11, 0
	s_sub_u32 s6, s8, s4
	s_subb_u32 s7, s9, s5
	v_cmp_gt_i64_e64 s7, 0x100, s[6:7]
	s_and_b32 s7, s7, exec_lo
	s_cselect_b32 s7, s6, 0x100
	s_mov_b32 s6, -1
	s_cmpk_eq_i32 s7, 0x100
	s_cbranch_scc0 .LBB1172_3
; %bb.1:
	s_andn2_b32 vcc_lo, exec_lo, s6
	s_cbranch_vccz .LBB1172_6
.LBB1172_2:
	s_endpgm
.LBB1172_3:
	s_mov_b32 s6, exec_lo
	v_cmpx_gt_u32_e64 s7, v0
	s_cbranch_execz .LBB1172_5
; %bb.4:
	v_add_co_u32 v1, s7, s4, v0
	v_add_co_ci_u32_e64 v2, null, s5, 0, s7
	v_lshlrev_b64 v[3:4], 2, v[1:2]
	v_lshlrev_b64 v[1:2], 3, v[1:2]
	v_add_co_u32 v3, vcc_lo, s0, v3
	v_add_co_ci_u32_e64 v4, null, s1, v4, vcc_lo
	v_add_co_u32 v1, vcc_lo, s2, v1
	v_add_co_ci_u32_e64 v2, null, s3, v2, vcc_lo
	flat_load_dword v3, v[3:4]
	s_waitcnt vmcnt(0) lgkmcnt(0)
	v_ashrrev_i32_e32 v4, 31, v3
	flat_store_dwordx2 v[1:2], v[3:4]
.LBB1172_5:
	s_or_b32 exec_lo, exec_lo, s6
	s_cbranch_execnz .LBB1172_2
.LBB1172_6:
	v_add_co_u32 v0, s4, s4, v0
	v_add_co_ci_u32_e64 v1, null, s5, 0, s4
	v_lshlrev_b64 v[2:3], 2, v[0:1]
	v_lshlrev_b64 v[0:1], 3, v[0:1]
	v_add_co_u32 v2, vcc_lo, s0, v2
	v_add_co_ci_u32_e64 v3, null, s1, v3, vcc_lo
	v_add_co_u32 v0, vcc_lo, s2, v0
	v_add_co_ci_u32_e64 v1, null, s3, v1, vcc_lo
	flat_load_dword v2, v[2:3]
	s_waitcnt vmcnt(0) lgkmcnt(0)
	v_ashrrev_i32_e32 v3, 31, v2
	flat_store_dwordx2 v[0:1], v[2:3]
	s_endpgm
	.section	.rodata,"a",@progbits
	.p2align	6, 0x0
	.amdhsa_kernel _ZN6thrust23THRUST_200600_302600_NS11hip_rocprim14__parallel_for6kernelILj256ENS1_11__transform17unary_transform_fINS0_7pointerIiNS1_3tagENS0_11use_defaultES8_EENS0_10device_ptrIyEENS4_14no_stencil_tagENS0_8identityIiEENS4_21always_true_predicateEEElLj1EEEvT0_T1_SI_
		.amdhsa_group_segment_fixed_size 0
		.amdhsa_private_segment_fixed_size 0
		.amdhsa_kernarg_size 40
		.amdhsa_user_sgpr_count 6
		.amdhsa_user_sgpr_private_segment_buffer 1
		.amdhsa_user_sgpr_dispatch_ptr 0
		.amdhsa_user_sgpr_queue_ptr 0
		.amdhsa_user_sgpr_kernarg_segment_ptr 1
		.amdhsa_user_sgpr_dispatch_id 0
		.amdhsa_user_sgpr_flat_scratch_init 0
		.amdhsa_user_sgpr_private_segment_size 0
		.amdhsa_wavefront_size32 1
		.amdhsa_uses_dynamic_stack 0
		.amdhsa_system_sgpr_private_segment_wavefront_offset 0
		.amdhsa_system_sgpr_workgroup_id_x 1
		.amdhsa_system_sgpr_workgroup_id_y 0
		.amdhsa_system_sgpr_workgroup_id_z 0
		.amdhsa_system_sgpr_workgroup_info 0
		.amdhsa_system_vgpr_workitem_id 0
		.amdhsa_next_free_vgpr 5
		.amdhsa_next_free_sgpr 12
		.amdhsa_reserve_vcc 1
		.amdhsa_reserve_flat_scratch 0
		.amdhsa_float_round_mode_32 0
		.amdhsa_float_round_mode_16_64 0
		.amdhsa_float_denorm_mode_32 3
		.amdhsa_float_denorm_mode_16_64 3
		.amdhsa_dx10_clamp 1
		.amdhsa_ieee_mode 1
		.amdhsa_fp16_overflow 0
		.amdhsa_workgroup_processor_mode 1
		.amdhsa_memory_ordered 1
		.amdhsa_forward_progress 1
		.amdhsa_shared_vgpr_count 0
		.amdhsa_exception_fp_ieee_invalid_op 0
		.amdhsa_exception_fp_denorm_src 0
		.amdhsa_exception_fp_ieee_div_zero 0
		.amdhsa_exception_fp_ieee_overflow 0
		.amdhsa_exception_fp_ieee_underflow 0
		.amdhsa_exception_fp_ieee_inexact 0
		.amdhsa_exception_int_div_zero 0
	.end_amdhsa_kernel
	.section	.text._ZN6thrust23THRUST_200600_302600_NS11hip_rocprim14__parallel_for6kernelILj256ENS1_11__transform17unary_transform_fINS0_7pointerIiNS1_3tagENS0_11use_defaultES8_EENS0_10device_ptrIyEENS4_14no_stencil_tagENS0_8identityIiEENS4_21always_true_predicateEEElLj1EEEvT0_T1_SI_,"axG",@progbits,_ZN6thrust23THRUST_200600_302600_NS11hip_rocprim14__parallel_for6kernelILj256ENS1_11__transform17unary_transform_fINS0_7pointerIiNS1_3tagENS0_11use_defaultES8_EENS0_10device_ptrIyEENS4_14no_stencil_tagENS0_8identityIiEENS4_21always_true_predicateEEElLj1EEEvT0_T1_SI_,comdat
.Lfunc_end1172:
	.size	_ZN6thrust23THRUST_200600_302600_NS11hip_rocprim14__parallel_for6kernelILj256ENS1_11__transform17unary_transform_fINS0_7pointerIiNS1_3tagENS0_11use_defaultES8_EENS0_10device_ptrIyEENS4_14no_stencil_tagENS0_8identityIiEENS4_21always_true_predicateEEElLj1EEEvT0_T1_SI_, .Lfunc_end1172-_ZN6thrust23THRUST_200600_302600_NS11hip_rocprim14__parallel_for6kernelILj256ENS1_11__transform17unary_transform_fINS0_7pointerIiNS1_3tagENS0_11use_defaultES8_EENS0_10device_ptrIyEENS4_14no_stencil_tagENS0_8identityIiEENS4_21always_true_predicateEEElLj1EEEvT0_T1_SI_
                                        ; -- End function
	.set _ZN6thrust23THRUST_200600_302600_NS11hip_rocprim14__parallel_for6kernelILj256ENS1_11__transform17unary_transform_fINS0_7pointerIiNS1_3tagENS0_11use_defaultES8_EENS0_10device_ptrIyEENS4_14no_stencil_tagENS0_8identityIiEENS4_21always_true_predicateEEElLj1EEEvT0_T1_SI_.num_vgpr, 5
	.set _ZN6thrust23THRUST_200600_302600_NS11hip_rocprim14__parallel_for6kernelILj256ENS1_11__transform17unary_transform_fINS0_7pointerIiNS1_3tagENS0_11use_defaultES8_EENS0_10device_ptrIyEENS4_14no_stencil_tagENS0_8identityIiEENS4_21always_true_predicateEEElLj1EEEvT0_T1_SI_.num_agpr, 0
	.set _ZN6thrust23THRUST_200600_302600_NS11hip_rocprim14__parallel_for6kernelILj256ENS1_11__transform17unary_transform_fINS0_7pointerIiNS1_3tagENS0_11use_defaultES8_EENS0_10device_ptrIyEENS4_14no_stencil_tagENS0_8identityIiEENS4_21always_true_predicateEEElLj1EEEvT0_T1_SI_.numbered_sgpr, 12
	.set _ZN6thrust23THRUST_200600_302600_NS11hip_rocprim14__parallel_for6kernelILj256ENS1_11__transform17unary_transform_fINS0_7pointerIiNS1_3tagENS0_11use_defaultES8_EENS0_10device_ptrIyEENS4_14no_stencil_tagENS0_8identityIiEENS4_21always_true_predicateEEElLj1EEEvT0_T1_SI_.num_named_barrier, 0
	.set _ZN6thrust23THRUST_200600_302600_NS11hip_rocprim14__parallel_for6kernelILj256ENS1_11__transform17unary_transform_fINS0_7pointerIiNS1_3tagENS0_11use_defaultES8_EENS0_10device_ptrIyEENS4_14no_stencil_tagENS0_8identityIiEENS4_21always_true_predicateEEElLj1EEEvT0_T1_SI_.private_seg_size, 0
	.set _ZN6thrust23THRUST_200600_302600_NS11hip_rocprim14__parallel_for6kernelILj256ENS1_11__transform17unary_transform_fINS0_7pointerIiNS1_3tagENS0_11use_defaultES8_EENS0_10device_ptrIyEENS4_14no_stencil_tagENS0_8identityIiEENS4_21always_true_predicateEEElLj1EEEvT0_T1_SI_.uses_vcc, 1
	.set _ZN6thrust23THRUST_200600_302600_NS11hip_rocprim14__parallel_for6kernelILj256ENS1_11__transform17unary_transform_fINS0_7pointerIiNS1_3tagENS0_11use_defaultES8_EENS0_10device_ptrIyEENS4_14no_stencil_tagENS0_8identityIiEENS4_21always_true_predicateEEElLj1EEEvT0_T1_SI_.uses_flat_scratch, 0
	.set _ZN6thrust23THRUST_200600_302600_NS11hip_rocprim14__parallel_for6kernelILj256ENS1_11__transform17unary_transform_fINS0_7pointerIiNS1_3tagENS0_11use_defaultES8_EENS0_10device_ptrIyEENS4_14no_stencil_tagENS0_8identityIiEENS4_21always_true_predicateEEElLj1EEEvT0_T1_SI_.has_dyn_sized_stack, 0
	.set _ZN6thrust23THRUST_200600_302600_NS11hip_rocprim14__parallel_for6kernelILj256ENS1_11__transform17unary_transform_fINS0_7pointerIiNS1_3tagENS0_11use_defaultES8_EENS0_10device_ptrIyEENS4_14no_stencil_tagENS0_8identityIiEENS4_21always_true_predicateEEElLj1EEEvT0_T1_SI_.has_recursion, 0
	.set _ZN6thrust23THRUST_200600_302600_NS11hip_rocprim14__parallel_for6kernelILj256ENS1_11__transform17unary_transform_fINS0_7pointerIiNS1_3tagENS0_11use_defaultES8_EENS0_10device_ptrIyEENS4_14no_stencil_tagENS0_8identityIiEENS4_21always_true_predicateEEElLj1EEEvT0_T1_SI_.has_indirect_call, 0
	.section	.AMDGPU.csdata,"",@progbits
; Kernel info:
; codeLenInByte = 296
; TotalNumSgprs: 14
; NumVgprs: 5
; ScratchSize: 0
; MemoryBound: 0
; FloatMode: 240
; IeeeMode: 1
; LDSByteSize: 0 bytes/workgroup (compile time only)
; SGPRBlocks: 0
; VGPRBlocks: 0
; NumSGPRsForWavesPerEU: 14
; NumVGPRsForWavesPerEU: 5
; Occupancy: 16
; WaveLimiterHint : 0
; COMPUTE_PGM_RSRC2:SCRATCH_EN: 0
; COMPUTE_PGM_RSRC2:USER_SGPR: 6
; COMPUTE_PGM_RSRC2:TRAP_HANDLER: 0
; COMPUTE_PGM_RSRC2:TGID_X_EN: 1
; COMPUTE_PGM_RSRC2:TGID_Y_EN: 0
; COMPUTE_PGM_RSRC2:TGID_Z_EN: 0
; COMPUTE_PGM_RSRC2:TIDIG_COMP_CNT: 0
	.section	.text._ZN6thrust23THRUST_200600_302600_NS11hip_rocprim14__parallel_for6kernelILj256ENS1_20__uninitialized_fill7functorINS0_10device_ptrIyEEyEEmLj1EEEvT0_T1_SA_,"axG",@progbits,_ZN6thrust23THRUST_200600_302600_NS11hip_rocprim14__parallel_for6kernelILj256ENS1_20__uninitialized_fill7functorINS0_10device_ptrIyEEyEEmLj1EEEvT0_T1_SA_,comdat
	.protected	_ZN6thrust23THRUST_200600_302600_NS11hip_rocprim14__parallel_for6kernelILj256ENS1_20__uninitialized_fill7functorINS0_10device_ptrIyEEyEEmLj1EEEvT0_T1_SA_ ; -- Begin function _ZN6thrust23THRUST_200600_302600_NS11hip_rocprim14__parallel_for6kernelILj256ENS1_20__uninitialized_fill7functorINS0_10device_ptrIyEEyEEmLj1EEEvT0_T1_SA_
	.globl	_ZN6thrust23THRUST_200600_302600_NS11hip_rocprim14__parallel_for6kernelILj256ENS1_20__uninitialized_fill7functorINS0_10device_ptrIyEEyEEmLj1EEEvT0_T1_SA_
	.p2align	8
	.type	_ZN6thrust23THRUST_200600_302600_NS11hip_rocprim14__parallel_for6kernelILj256ENS1_20__uninitialized_fill7functorINS0_10device_ptrIyEEyEEmLj1EEEvT0_T1_SA_,@function
_ZN6thrust23THRUST_200600_302600_NS11hip_rocprim14__parallel_for6kernelILj256ENS1_20__uninitialized_fill7functorINS0_10device_ptrIyEEyEEmLj1EEEvT0_T1_SA_: ; @_ZN6thrust23THRUST_200600_302600_NS11hip_rocprim14__parallel_for6kernelILj256ENS1_20__uninitialized_fill7functorINS0_10device_ptrIyEEyEEmLj1EEEvT0_T1_SA_
; %bb.0:
	s_load_dwordx8 s[8:15], s[4:5], 0x0
	s_lshl_b32 s0, s6, 8
	s_waitcnt lgkmcnt(0)
	s_add_u32 s0, s14, s0
	s_addc_u32 s1, s15, 0
	s_sub_u32 s2, s12, s0
	s_subb_u32 s3, s13, s1
	v_cmp_lt_u64_e64 s3, 0xff, s[2:3]
	s_and_b32 vcc_lo, exec_lo, s3
	s_mov_b32 s3, -1
	s_cbranch_vccz .LBB1173_3
; %bb.1:
	s_andn2_b32 vcc_lo, exec_lo, s3
	s_cbranch_vccz .LBB1173_6
.LBB1173_2:
	s_endpgm
.LBB1173_3:
	v_cmp_gt_u32_e32 vcc_lo, s2, v0
	s_and_saveexec_b32 s2, vcc_lo
	s_cbranch_execz .LBB1173_5
; %bb.4:
	v_lshlrev_b32_e32 v1, 3, v0
	s_lshl_b64 s[4:5], s[0:1], 3
	v_mov_b32_e32 v3, s10
	s_add_u32 s3, s8, s4
	s_addc_u32 s4, s9, s5
	v_add_co_u32 v1, s3, s3, v1
	v_add_co_ci_u32_e64 v2, null, s4, 0, s3
	v_mov_b32_e32 v4, s11
	flat_store_dwordx2 v[1:2], v[3:4]
.LBB1173_5:
	s_or_b32 exec_lo, exec_lo, s2
	s_cbranch_execnz .LBB1173_2
.LBB1173_6:
	v_lshlrev_b32_e32 v0, 3, v0
	s_lshl_b64 s[0:1], s[0:1], 3
	v_mov_b32_e32 v2, s10
	s_add_u32 s0, s8, s0
	s_addc_u32 s1, s9, s1
	v_add_co_u32 v0, s0, s0, v0
	v_add_co_ci_u32_e64 v1, null, s1, 0, s0
	v_mov_b32_e32 v3, s11
	flat_store_dwordx2 v[0:1], v[2:3]
	s_endpgm
	.section	.rodata,"a",@progbits
	.p2align	6, 0x0
	.amdhsa_kernel _ZN6thrust23THRUST_200600_302600_NS11hip_rocprim14__parallel_for6kernelILj256ENS1_20__uninitialized_fill7functorINS0_10device_ptrIyEEyEEmLj1EEEvT0_T1_SA_
		.amdhsa_group_segment_fixed_size 0
		.amdhsa_private_segment_fixed_size 0
		.amdhsa_kernarg_size 32
		.amdhsa_user_sgpr_count 6
		.amdhsa_user_sgpr_private_segment_buffer 1
		.amdhsa_user_sgpr_dispatch_ptr 0
		.amdhsa_user_sgpr_queue_ptr 0
		.amdhsa_user_sgpr_kernarg_segment_ptr 1
		.amdhsa_user_sgpr_dispatch_id 0
		.amdhsa_user_sgpr_flat_scratch_init 0
		.amdhsa_user_sgpr_private_segment_size 0
		.amdhsa_wavefront_size32 1
		.amdhsa_uses_dynamic_stack 0
		.amdhsa_system_sgpr_private_segment_wavefront_offset 0
		.amdhsa_system_sgpr_workgroup_id_x 1
		.amdhsa_system_sgpr_workgroup_id_y 0
		.amdhsa_system_sgpr_workgroup_id_z 0
		.amdhsa_system_sgpr_workgroup_info 0
		.amdhsa_system_vgpr_workitem_id 0
		.amdhsa_next_free_vgpr 5
		.amdhsa_next_free_sgpr 16
		.amdhsa_reserve_vcc 1
		.amdhsa_reserve_flat_scratch 0
		.amdhsa_float_round_mode_32 0
		.amdhsa_float_round_mode_16_64 0
		.amdhsa_float_denorm_mode_32 3
		.amdhsa_float_denorm_mode_16_64 3
		.amdhsa_dx10_clamp 1
		.amdhsa_ieee_mode 1
		.amdhsa_fp16_overflow 0
		.amdhsa_workgroup_processor_mode 1
		.amdhsa_memory_ordered 1
		.amdhsa_forward_progress 1
		.amdhsa_shared_vgpr_count 0
		.amdhsa_exception_fp_ieee_invalid_op 0
		.amdhsa_exception_fp_denorm_src 0
		.amdhsa_exception_fp_ieee_div_zero 0
		.amdhsa_exception_fp_ieee_overflow 0
		.amdhsa_exception_fp_ieee_underflow 0
		.amdhsa_exception_fp_ieee_inexact 0
		.amdhsa_exception_int_div_zero 0
	.end_amdhsa_kernel
	.section	.text._ZN6thrust23THRUST_200600_302600_NS11hip_rocprim14__parallel_for6kernelILj256ENS1_20__uninitialized_fill7functorINS0_10device_ptrIyEEyEEmLj1EEEvT0_T1_SA_,"axG",@progbits,_ZN6thrust23THRUST_200600_302600_NS11hip_rocprim14__parallel_for6kernelILj256ENS1_20__uninitialized_fill7functorINS0_10device_ptrIyEEyEEmLj1EEEvT0_T1_SA_,comdat
.Lfunc_end1173:
	.size	_ZN6thrust23THRUST_200600_302600_NS11hip_rocprim14__parallel_for6kernelILj256ENS1_20__uninitialized_fill7functorINS0_10device_ptrIyEEyEEmLj1EEEvT0_T1_SA_, .Lfunc_end1173-_ZN6thrust23THRUST_200600_302600_NS11hip_rocprim14__parallel_for6kernelILj256ENS1_20__uninitialized_fill7functorINS0_10device_ptrIyEEyEEmLj1EEEvT0_T1_SA_
                                        ; -- End function
	.set _ZN6thrust23THRUST_200600_302600_NS11hip_rocprim14__parallel_for6kernelILj256ENS1_20__uninitialized_fill7functorINS0_10device_ptrIyEEyEEmLj1EEEvT0_T1_SA_.num_vgpr, 5
	.set _ZN6thrust23THRUST_200600_302600_NS11hip_rocprim14__parallel_for6kernelILj256ENS1_20__uninitialized_fill7functorINS0_10device_ptrIyEEyEEmLj1EEEvT0_T1_SA_.num_agpr, 0
	.set _ZN6thrust23THRUST_200600_302600_NS11hip_rocprim14__parallel_for6kernelILj256ENS1_20__uninitialized_fill7functorINS0_10device_ptrIyEEyEEmLj1EEEvT0_T1_SA_.numbered_sgpr, 16
	.set _ZN6thrust23THRUST_200600_302600_NS11hip_rocprim14__parallel_for6kernelILj256ENS1_20__uninitialized_fill7functorINS0_10device_ptrIyEEyEEmLj1EEEvT0_T1_SA_.num_named_barrier, 0
	.set _ZN6thrust23THRUST_200600_302600_NS11hip_rocprim14__parallel_for6kernelILj256ENS1_20__uninitialized_fill7functorINS0_10device_ptrIyEEyEEmLj1EEEvT0_T1_SA_.private_seg_size, 0
	.set _ZN6thrust23THRUST_200600_302600_NS11hip_rocprim14__parallel_for6kernelILj256ENS1_20__uninitialized_fill7functorINS0_10device_ptrIyEEyEEmLj1EEEvT0_T1_SA_.uses_vcc, 1
	.set _ZN6thrust23THRUST_200600_302600_NS11hip_rocprim14__parallel_for6kernelILj256ENS1_20__uninitialized_fill7functorINS0_10device_ptrIyEEyEEmLj1EEEvT0_T1_SA_.uses_flat_scratch, 0
	.set _ZN6thrust23THRUST_200600_302600_NS11hip_rocprim14__parallel_for6kernelILj256ENS1_20__uninitialized_fill7functorINS0_10device_ptrIyEEyEEmLj1EEEvT0_T1_SA_.has_dyn_sized_stack, 0
	.set _ZN6thrust23THRUST_200600_302600_NS11hip_rocprim14__parallel_for6kernelILj256ENS1_20__uninitialized_fill7functorINS0_10device_ptrIyEEyEEmLj1EEEvT0_T1_SA_.has_recursion, 0
	.set _ZN6thrust23THRUST_200600_302600_NS11hip_rocprim14__parallel_for6kernelILj256ENS1_20__uninitialized_fill7functorINS0_10device_ptrIyEEyEEmLj1EEEvT0_T1_SA_.has_indirect_call, 0
	.section	.AMDGPU.csdata,"",@progbits
; Kernel info:
; codeLenInByte = 188
; TotalNumSgprs: 18
; NumVgprs: 5
; ScratchSize: 0
; MemoryBound: 0
; FloatMode: 240
; IeeeMode: 1
; LDSByteSize: 0 bytes/workgroup (compile time only)
; SGPRBlocks: 0
; VGPRBlocks: 0
; NumSGPRsForWavesPerEU: 18
; NumVGPRsForWavesPerEU: 5
; Occupancy: 16
; WaveLimiterHint : 0
; COMPUTE_PGM_RSRC2:SCRATCH_EN: 0
; COMPUTE_PGM_RSRC2:USER_SGPR: 6
; COMPUTE_PGM_RSRC2:TRAP_HANDLER: 0
; COMPUTE_PGM_RSRC2:TGID_X_EN: 1
; COMPUTE_PGM_RSRC2:TGID_Y_EN: 0
; COMPUTE_PGM_RSRC2:TGID_Z_EN: 0
; COMPUTE_PGM_RSRC2:TIDIG_COMP_CNT: 0
	.section	.text._ZN7rocprim17ROCPRIM_400000_NS6detail30init_device_scan_by_key_kernelINS1_19lookback_scan_stateINS0_5tupleIJybEEELb0ELb0EEEN6thrust23THRUST_200600_302600_NS6detail15normal_iteratorINS8_10device_ptrIiEEEEjNS1_16block_id_wrapperIjLb0EEEEEvT_jjPNSG_10value_typeET0_PNSt15iterator_traitsISJ_E10value_typeEmT1_T2_,"axG",@progbits,_ZN7rocprim17ROCPRIM_400000_NS6detail30init_device_scan_by_key_kernelINS1_19lookback_scan_stateINS0_5tupleIJybEEELb0ELb0EEEN6thrust23THRUST_200600_302600_NS6detail15normal_iteratorINS8_10device_ptrIiEEEEjNS1_16block_id_wrapperIjLb0EEEEEvT_jjPNSG_10value_typeET0_PNSt15iterator_traitsISJ_E10value_typeEmT1_T2_,comdat
	.protected	_ZN7rocprim17ROCPRIM_400000_NS6detail30init_device_scan_by_key_kernelINS1_19lookback_scan_stateINS0_5tupleIJybEEELb0ELb0EEEN6thrust23THRUST_200600_302600_NS6detail15normal_iteratorINS8_10device_ptrIiEEEEjNS1_16block_id_wrapperIjLb0EEEEEvT_jjPNSG_10value_typeET0_PNSt15iterator_traitsISJ_E10value_typeEmT1_T2_ ; -- Begin function _ZN7rocprim17ROCPRIM_400000_NS6detail30init_device_scan_by_key_kernelINS1_19lookback_scan_stateINS0_5tupleIJybEEELb0ELb0EEEN6thrust23THRUST_200600_302600_NS6detail15normal_iteratorINS8_10device_ptrIiEEEEjNS1_16block_id_wrapperIjLb0EEEEEvT_jjPNSG_10value_typeET0_PNSt15iterator_traitsISJ_E10value_typeEmT1_T2_
	.globl	_ZN7rocprim17ROCPRIM_400000_NS6detail30init_device_scan_by_key_kernelINS1_19lookback_scan_stateINS0_5tupleIJybEEELb0ELb0EEEN6thrust23THRUST_200600_302600_NS6detail15normal_iteratorINS8_10device_ptrIiEEEEjNS1_16block_id_wrapperIjLb0EEEEEvT_jjPNSG_10value_typeET0_PNSt15iterator_traitsISJ_E10value_typeEmT1_T2_
	.p2align	8
	.type	_ZN7rocprim17ROCPRIM_400000_NS6detail30init_device_scan_by_key_kernelINS1_19lookback_scan_stateINS0_5tupleIJybEEELb0ELb0EEEN6thrust23THRUST_200600_302600_NS6detail15normal_iteratorINS8_10device_ptrIiEEEEjNS1_16block_id_wrapperIjLb0EEEEEvT_jjPNSG_10value_typeET0_PNSt15iterator_traitsISJ_E10value_typeEmT1_T2_,@function
_ZN7rocprim17ROCPRIM_400000_NS6detail30init_device_scan_by_key_kernelINS1_19lookback_scan_stateINS0_5tupleIJybEEELb0ELb0EEEN6thrust23THRUST_200600_302600_NS6detail15normal_iteratorINS8_10device_ptrIiEEEEjNS1_16block_id_wrapperIjLb0EEEEEvT_jjPNSG_10value_typeET0_PNSt15iterator_traitsISJ_E10value_typeEmT1_T2_: ; @_ZN7rocprim17ROCPRIM_400000_NS6detail30init_device_scan_by_key_kernelINS1_19lookback_scan_stateINS0_5tupleIJybEEELb0ELb0EEEN6thrust23THRUST_200600_302600_NS6detail15normal_iteratorINS8_10device_ptrIiEEEEjNS1_16block_id_wrapperIjLb0EEEEEvT_jjPNSG_10value_typeET0_PNSt15iterator_traitsISJ_E10value_typeEmT1_T2_
; %bb.0:
	s_clause 0x2
	s_load_dword s0, s[4:5], 0x54
	s_load_dwordx8 s[8:15], s[4:5], 0x10
	s_load_dword s18, s[4:5], 0x48
	s_waitcnt lgkmcnt(0)
	s_and_b32 s19, s0, 0xffff
	s_cmp_eq_u64 s[12:13], 0
	v_mad_u64_u32 v[0:1], null, s6, s19, v[0:1]
	s_cbranch_scc1 .LBB1174_6
; %bb.1:
	s_cmp_lt_u32 s11, s10
	s_mov_b32 s7, 0
	s_cselect_b32 s0, s11, 0
	s_mov_b32 s20, exec_lo
	v_cmpx_eq_u32_e64 s0, v0
	s_cbranch_execz .LBB1174_5
; %bb.2:
	s_add_i32 s6, s11, 32
	s_load_dwordx4 s[0:3], s[4:5], 0x0
	v_mov_b32_e32 v1, s6
	s_add_u32 s16, s8, s6
	s_addc_u32 s17, s9, 0
	global_load_ubyte v2, v1, s[8:9] glc dlc
	v_mov_b32_e32 v1, 0
	s_waitcnt vmcnt(0)
	v_cmp_ne_u32_sdwa s21, v2, v1 src0_sel:WORD_0 src1_sel:DWORD
	v_readfirstlane_b32 s11, v2
	s_and_b32 vcc_lo, exec_lo, s21
	s_cbranch_vccnz .LBB1174_4
.LBB1174_3:                             ; =>This Inner Loop Header: Depth=1
	global_load_ubyte v2, v1, s[16:17] glc dlc
	s_waitcnt vmcnt(0)
	v_cmp_eq_u32_sdwa s21, v2, v1 src0_sel:WORD_0 src1_sel:DWORD
	v_readfirstlane_b32 s11, v2
	s_and_b32 vcc_lo, exec_lo, s21
	s_cbranch_vccnz .LBB1174_3
.LBB1174_4:
	s_and_b32 s11, 0xffff, s11
	v_mov_b32_e32 v3, 0
	s_cmp_eq_u32 s11, 1
	s_waitcnt lgkmcnt(0)
	buffer_gl1_inv
	buffer_gl0_inv
	s_cselect_b32 s3, s1, s3
	s_cselect_b32 s2, s0, s2
	s_lshl_b64 s[0:1], s[6:7], 4
	s_add_u32 s0, s2, s0
	s_addc_u32 s1, s3, s1
	s_clause 0x1
	global_load_dwordx2 v[1:2], v3, s[0:1]
	global_load_ubyte v4, v3, s[0:1] offset:8
	s_waitcnt vmcnt(1)
	global_store_dwordx2 v3, v[1:2], s[12:13]
	s_waitcnt vmcnt(0)
	global_store_byte v3, v4, s[12:13] offset:8
.LBB1174_5:
	s_or_b32 exec_lo, exec_lo, s20
.LBB1174_6:
	s_mov_b32 s0, exec_lo
	v_cmpx_gt_u32_e64 s10, v0
	s_cbranch_execz .LBB1174_8
; %bb.7:
	v_add_nc_u32_e32 v1, 32, v0
	v_mov_b32_e32 v2, 0
	global_store_byte v1, v2, s[8:9]
.LBB1174_8:
	s_or_b32 exec_lo, exec_lo, s0
	v_mov_b32_e32 v1, 0
	s_mov_b32 s0, exec_lo
	v_cmpx_gt_u32_e32 32, v0
	s_cbranch_execz .LBB1174_10
; %bb.9:
	v_add_co_u32 v2, s1, s8, v0
	v_add_co_ci_u32_e64 v3, null, s9, 0, s1
	v_mov_b32_e32 v4, 0xff
	global_store_byte v[2:3], v4, off
.LBB1174_10:
	s_or_b32 exec_lo, exec_lo, s0
	s_load_dwordx2 s[2:3], s[4:5], 0x38
	s_mov_b32 s0, exec_lo
	s_waitcnt lgkmcnt(0)
	v_cmpx_gt_u64_e64 s[2:3], v[0:1]
	s_cbranch_execz .LBB1174_13
; %bb.11:
	s_clause 0x1
	s_load_dword s8, s[4:5], 0x40
	s_load_dwordx2 s[6:7], s[4:5], 0x30
	s_mov_b32 s1, 0
	v_lshlrev_b64 v[4:5], 2, v[0:1]
	s_mul_i32 s4, s18, s19
	s_waitcnt lgkmcnt(0)
	v_mad_u64_u32 v[2:3], null, s8, v0, 0
	s_add_i32 s0, s8, -1
	s_mul_hi_u32 s9, s8, s4
	s_lshl_b64 s[10:11], s[0:1], 2
	s_mul_i32 s8, s8, s4
	s_add_u32 s0, s14, s10
	s_addc_u32 s5, s15, s11
	v_lshlrev_b64 v[2:3], 2, v[2:3]
	v_add_co_u32 v2, vcc_lo, s0, v2
	v_add_co_ci_u32_e64 v3, null, s5, v3, vcc_lo
	v_add_co_u32 v4, vcc_lo, s6, v4
	v_add_co_ci_u32_e64 v5, null, s7, v5, vcc_lo
	s_mov_b32 s5, s1
	s_lshl_b64 s[6:7], s[8:9], 2
	s_lshl_b64 s[8:9], s[4:5], 2
	.p2align	6
.LBB1174_12:                            ; =>This Inner Loop Header: Depth=1
	global_load_dword v6, v[2:3], off
	v_add_co_u32 v0, vcc_lo, v0, s4
	v_add_co_ci_u32_e64 v1, null, 0, v1, vcc_lo
	v_add_co_u32 v2, vcc_lo, v2, s6
	v_add_co_ci_u32_e64 v3, null, s7, v3, vcc_lo
	v_cmp_le_u64_e32 vcc_lo, s[2:3], v[0:1]
	s_or_b32 s1, vcc_lo, s1
	s_waitcnt vmcnt(0)
	global_store_dword v[4:5], v6, off
	v_add_co_u32 v4, s0, v4, s8
	v_add_co_ci_u32_e64 v5, null, s9, v5, s0
	s_andn2_b32 exec_lo, exec_lo, s1
	s_cbranch_execnz .LBB1174_12
.LBB1174_13:
	s_endpgm
	.section	.rodata,"a",@progbits
	.p2align	6, 0x0
	.amdhsa_kernel _ZN7rocprim17ROCPRIM_400000_NS6detail30init_device_scan_by_key_kernelINS1_19lookback_scan_stateINS0_5tupleIJybEEELb0ELb0EEEN6thrust23THRUST_200600_302600_NS6detail15normal_iteratorINS8_10device_ptrIiEEEEjNS1_16block_id_wrapperIjLb0EEEEEvT_jjPNSG_10value_typeET0_PNSt15iterator_traitsISJ_E10value_typeEmT1_T2_
		.amdhsa_group_segment_fixed_size 0
		.amdhsa_private_segment_fixed_size 0
		.amdhsa_kernarg_size 328
		.amdhsa_user_sgpr_count 6
		.amdhsa_user_sgpr_private_segment_buffer 1
		.amdhsa_user_sgpr_dispatch_ptr 0
		.amdhsa_user_sgpr_queue_ptr 0
		.amdhsa_user_sgpr_kernarg_segment_ptr 1
		.amdhsa_user_sgpr_dispatch_id 0
		.amdhsa_user_sgpr_flat_scratch_init 0
		.amdhsa_user_sgpr_private_segment_size 0
		.amdhsa_wavefront_size32 1
		.amdhsa_uses_dynamic_stack 0
		.amdhsa_system_sgpr_private_segment_wavefront_offset 0
		.amdhsa_system_sgpr_workgroup_id_x 1
		.amdhsa_system_sgpr_workgroup_id_y 0
		.amdhsa_system_sgpr_workgroup_id_z 0
		.amdhsa_system_sgpr_workgroup_info 0
		.amdhsa_system_vgpr_workitem_id 0
		.amdhsa_next_free_vgpr 7
		.amdhsa_next_free_sgpr 22
		.amdhsa_reserve_vcc 1
		.amdhsa_reserve_flat_scratch 0
		.amdhsa_float_round_mode_32 0
		.amdhsa_float_round_mode_16_64 0
		.amdhsa_float_denorm_mode_32 3
		.amdhsa_float_denorm_mode_16_64 3
		.amdhsa_dx10_clamp 1
		.amdhsa_ieee_mode 1
		.amdhsa_fp16_overflow 0
		.amdhsa_workgroup_processor_mode 1
		.amdhsa_memory_ordered 1
		.amdhsa_forward_progress 1
		.amdhsa_shared_vgpr_count 0
		.amdhsa_exception_fp_ieee_invalid_op 0
		.amdhsa_exception_fp_denorm_src 0
		.amdhsa_exception_fp_ieee_div_zero 0
		.amdhsa_exception_fp_ieee_overflow 0
		.amdhsa_exception_fp_ieee_underflow 0
		.amdhsa_exception_fp_ieee_inexact 0
		.amdhsa_exception_int_div_zero 0
	.end_amdhsa_kernel
	.section	.text._ZN7rocprim17ROCPRIM_400000_NS6detail30init_device_scan_by_key_kernelINS1_19lookback_scan_stateINS0_5tupleIJybEEELb0ELb0EEEN6thrust23THRUST_200600_302600_NS6detail15normal_iteratorINS8_10device_ptrIiEEEEjNS1_16block_id_wrapperIjLb0EEEEEvT_jjPNSG_10value_typeET0_PNSt15iterator_traitsISJ_E10value_typeEmT1_T2_,"axG",@progbits,_ZN7rocprim17ROCPRIM_400000_NS6detail30init_device_scan_by_key_kernelINS1_19lookback_scan_stateINS0_5tupleIJybEEELb0ELb0EEEN6thrust23THRUST_200600_302600_NS6detail15normal_iteratorINS8_10device_ptrIiEEEEjNS1_16block_id_wrapperIjLb0EEEEEvT_jjPNSG_10value_typeET0_PNSt15iterator_traitsISJ_E10value_typeEmT1_T2_,comdat
.Lfunc_end1174:
	.size	_ZN7rocprim17ROCPRIM_400000_NS6detail30init_device_scan_by_key_kernelINS1_19lookback_scan_stateINS0_5tupleIJybEEELb0ELb0EEEN6thrust23THRUST_200600_302600_NS6detail15normal_iteratorINS8_10device_ptrIiEEEEjNS1_16block_id_wrapperIjLb0EEEEEvT_jjPNSG_10value_typeET0_PNSt15iterator_traitsISJ_E10value_typeEmT1_T2_, .Lfunc_end1174-_ZN7rocprim17ROCPRIM_400000_NS6detail30init_device_scan_by_key_kernelINS1_19lookback_scan_stateINS0_5tupleIJybEEELb0ELb0EEEN6thrust23THRUST_200600_302600_NS6detail15normal_iteratorINS8_10device_ptrIiEEEEjNS1_16block_id_wrapperIjLb0EEEEEvT_jjPNSG_10value_typeET0_PNSt15iterator_traitsISJ_E10value_typeEmT1_T2_
                                        ; -- End function
	.set _ZN7rocprim17ROCPRIM_400000_NS6detail30init_device_scan_by_key_kernelINS1_19lookback_scan_stateINS0_5tupleIJybEEELb0ELb0EEEN6thrust23THRUST_200600_302600_NS6detail15normal_iteratorINS8_10device_ptrIiEEEEjNS1_16block_id_wrapperIjLb0EEEEEvT_jjPNSG_10value_typeET0_PNSt15iterator_traitsISJ_E10value_typeEmT1_T2_.num_vgpr, 7
	.set _ZN7rocprim17ROCPRIM_400000_NS6detail30init_device_scan_by_key_kernelINS1_19lookback_scan_stateINS0_5tupleIJybEEELb0ELb0EEEN6thrust23THRUST_200600_302600_NS6detail15normal_iteratorINS8_10device_ptrIiEEEEjNS1_16block_id_wrapperIjLb0EEEEEvT_jjPNSG_10value_typeET0_PNSt15iterator_traitsISJ_E10value_typeEmT1_T2_.num_agpr, 0
	.set _ZN7rocprim17ROCPRIM_400000_NS6detail30init_device_scan_by_key_kernelINS1_19lookback_scan_stateINS0_5tupleIJybEEELb0ELb0EEEN6thrust23THRUST_200600_302600_NS6detail15normal_iteratorINS8_10device_ptrIiEEEEjNS1_16block_id_wrapperIjLb0EEEEEvT_jjPNSG_10value_typeET0_PNSt15iterator_traitsISJ_E10value_typeEmT1_T2_.numbered_sgpr, 22
	.set _ZN7rocprim17ROCPRIM_400000_NS6detail30init_device_scan_by_key_kernelINS1_19lookback_scan_stateINS0_5tupleIJybEEELb0ELb0EEEN6thrust23THRUST_200600_302600_NS6detail15normal_iteratorINS8_10device_ptrIiEEEEjNS1_16block_id_wrapperIjLb0EEEEEvT_jjPNSG_10value_typeET0_PNSt15iterator_traitsISJ_E10value_typeEmT1_T2_.num_named_barrier, 0
	.set _ZN7rocprim17ROCPRIM_400000_NS6detail30init_device_scan_by_key_kernelINS1_19lookback_scan_stateINS0_5tupleIJybEEELb0ELb0EEEN6thrust23THRUST_200600_302600_NS6detail15normal_iteratorINS8_10device_ptrIiEEEEjNS1_16block_id_wrapperIjLb0EEEEEvT_jjPNSG_10value_typeET0_PNSt15iterator_traitsISJ_E10value_typeEmT1_T2_.private_seg_size, 0
	.set _ZN7rocprim17ROCPRIM_400000_NS6detail30init_device_scan_by_key_kernelINS1_19lookback_scan_stateINS0_5tupleIJybEEELb0ELb0EEEN6thrust23THRUST_200600_302600_NS6detail15normal_iteratorINS8_10device_ptrIiEEEEjNS1_16block_id_wrapperIjLb0EEEEEvT_jjPNSG_10value_typeET0_PNSt15iterator_traitsISJ_E10value_typeEmT1_T2_.uses_vcc, 1
	.set _ZN7rocprim17ROCPRIM_400000_NS6detail30init_device_scan_by_key_kernelINS1_19lookback_scan_stateINS0_5tupleIJybEEELb0ELb0EEEN6thrust23THRUST_200600_302600_NS6detail15normal_iteratorINS8_10device_ptrIiEEEEjNS1_16block_id_wrapperIjLb0EEEEEvT_jjPNSG_10value_typeET0_PNSt15iterator_traitsISJ_E10value_typeEmT1_T2_.uses_flat_scratch, 0
	.set _ZN7rocprim17ROCPRIM_400000_NS6detail30init_device_scan_by_key_kernelINS1_19lookback_scan_stateINS0_5tupleIJybEEELb0ELb0EEEN6thrust23THRUST_200600_302600_NS6detail15normal_iteratorINS8_10device_ptrIiEEEEjNS1_16block_id_wrapperIjLb0EEEEEvT_jjPNSG_10value_typeET0_PNSt15iterator_traitsISJ_E10value_typeEmT1_T2_.has_dyn_sized_stack, 0
	.set _ZN7rocprim17ROCPRIM_400000_NS6detail30init_device_scan_by_key_kernelINS1_19lookback_scan_stateINS0_5tupleIJybEEELb0ELb0EEEN6thrust23THRUST_200600_302600_NS6detail15normal_iteratorINS8_10device_ptrIiEEEEjNS1_16block_id_wrapperIjLb0EEEEEvT_jjPNSG_10value_typeET0_PNSt15iterator_traitsISJ_E10value_typeEmT1_T2_.has_recursion, 0
	.set _ZN7rocprim17ROCPRIM_400000_NS6detail30init_device_scan_by_key_kernelINS1_19lookback_scan_stateINS0_5tupleIJybEEELb0ELb0EEEN6thrust23THRUST_200600_302600_NS6detail15normal_iteratorINS8_10device_ptrIiEEEEjNS1_16block_id_wrapperIjLb0EEEEEvT_jjPNSG_10value_typeET0_PNSt15iterator_traitsISJ_E10value_typeEmT1_T2_.has_indirect_call, 0
	.section	.AMDGPU.csdata,"",@progbits
; Kernel info:
; codeLenInByte = 664
; TotalNumSgprs: 24
; NumVgprs: 7
; ScratchSize: 0
; MemoryBound: 0
; FloatMode: 240
; IeeeMode: 1
; LDSByteSize: 0 bytes/workgroup (compile time only)
; SGPRBlocks: 0
; VGPRBlocks: 0
; NumSGPRsForWavesPerEU: 24
; NumVGPRsForWavesPerEU: 7
; Occupancy: 16
; WaveLimiterHint : 0
; COMPUTE_PGM_RSRC2:SCRATCH_EN: 0
; COMPUTE_PGM_RSRC2:USER_SGPR: 6
; COMPUTE_PGM_RSRC2:TRAP_HANDLER: 0
; COMPUTE_PGM_RSRC2:TGID_X_EN: 1
; COMPUTE_PGM_RSRC2:TGID_Y_EN: 0
; COMPUTE_PGM_RSRC2:TGID_Z_EN: 0
; COMPUTE_PGM_RSRC2:TIDIG_COMP_CNT: 0
	.section	.text._ZN7rocprim17ROCPRIM_400000_NS6detail30init_device_scan_by_key_kernelINS1_19lookback_scan_stateINS0_5tupleIJybEEELb0ELb0EEENS1_16block_id_wrapperIjLb0EEEEEvT_jjPNS9_10value_typeET0_,"axG",@progbits,_ZN7rocprim17ROCPRIM_400000_NS6detail30init_device_scan_by_key_kernelINS1_19lookback_scan_stateINS0_5tupleIJybEEELb0ELb0EEENS1_16block_id_wrapperIjLb0EEEEEvT_jjPNS9_10value_typeET0_,comdat
	.protected	_ZN7rocprim17ROCPRIM_400000_NS6detail30init_device_scan_by_key_kernelINS1_19lookback_scan_stateINS0_5tupleIJybEEELb0ELb0EEENS1_16block_id_wrapperIjLb0EEEEEvT_jjPNS9_10value_typeET0_ ; -- Begin function _ZN7rocprim17ROCPRIM_400000_NS6detail30init_device_scan_by_key_kernelINS1_19lookback_scan_stateINS0_5tupleIJybEEELb0ELb0EEENS1_16block_id_wrapperIjLb0EEEEEvT_jjPNS9_10value_typeET0_
	.globl	_ZN7rocprim17ROCPRIM_400000_NS6detail30init_device_scan_by_key_kernelINS1_19lookback_scan_stateINS0_5tupleIJybEEELb0ELb0EEENS1_16block_id_wrapperIjLb0EEEEEvT_jjPNS9_10value_typeET0_
	.p2align	8
	.type	_ZN7rocprim17ROCPRIM_400000_NS6detail30init_device_scan_by_key_kernelINS1_19lookback_scan_stateINS0_5tupleIJybEEELb0ELb0EEENS1_16block_id_wrapperIjLb0EEEEEvT_jjPNS9_10value_typeET0_,@function
_ZN7rocprim17ROCPRIM_400000_NS6detail30init_device_scan_by_key_kernelINS1_19lookback_scan_stateINS0_5tupleIJybEEELb0ELb0EEENS1_16block_id_wrapperIjLb0EEEEEvT_jjPNS9_10value_typeET0_: ; @_ZN7rocprim17ROCPRIM_400000_NS6detail30init_device_scan_by_key_kernelINS1_19lookback_scan_stateINS0_5tupleIJybEEELb0ELb0EEENS1_16block_id_wrapperIjLb0EEEEEvT_jjPNS9_10value_typeET0_
; %bb.0:
	s_clause 0x2
	s_load_dword s7, s[4:5], 0x3c
	s_load_dwordx2 s[8:9], s[4:5], 0x20
	s_load_dwordx4 s[0:3], s[4:5], 0x10
	s_waitcnt lgkmcnt(0)
	s_and_b32 s7, s7, 0xffff
	s_cmp_eq_u64 s[8:9], 0
	v_mad_u64_u32 v[0:1], null, s6, s7, v[0:1]
	s_cbranch_scc1 .LBB1175_6
; %bb.1:
	s_cmp_lt_u32 s3, s2
	s_mov_b32 s11, 0
	s_cselect_b32 s6, s3, 0
	s_mov_b32 s14, exec_lo
	v_cmpx_eq_u32_e64 s6, v0
	s_cbranch_execz .LBB1175_5
; %bb.2:
	s_add_i32 s10, s3, 32
	s_load_dwordx4 s[4:7], s[4:5], 0x0
	v_mov_b32_e32 v1, s10
	s_add_u32 s12, s0, s10
	s_addc_u32 s13, s1, 0
	global_load_ubyte v2, v1, s[0:1] glc dlc
	v_mov_b32_e32 v1, 0
	s_waitcnt vmcnt(0)
	v_cmp_ne_u32_sdwa s15, v2, v1 src0_sel:WORD_0 src1_sel:DWORD
	v_readfirstlane_b32 s3, v2
	s_and_b32 vcc_lo, exec_lo, s15
	s_cbranch_vccnz .LBB1175_4
.LBB1175_3:                             ; =>This Inner Loop Header: Depth=1
	global_load_ubyte v2, v1, s[12:13] glc dlc
	s_waitcnt vmcnt(0)
	v_cmp_eq_u32_sdwa s15, v2, v1 src0_sel:WORD_0 src1_sel:DWORD
	v_readfirstlane_b32 s3, v2
	s_and_b32 vcc_lo, exec_lo, s15
	s_cbranch_vccnz .LBB1175_3
.LBB1175_4:
	s_and_b32 s3, 0xffff, s3
	v_mov_b32_e32 v3, 0
	s_cmp_eq_u32 s3, 1
	s_waitcnt lgkmcnt(0)
	buffer_gl1_inv
	buffer_gl0_inv
	s_cselect_b32 s3, s5, s7
	s_cselect_b32 s6, s4, s6
	s_lshl_b64 s[4:5], s[10:11], 4
	s_add_u32 s4, s6, s4
	s_addc_u32 s5, s3, s5
	s_clause 0x1
	global_load_dwordx2 v[1:2], v3, s[4:5]
	global_load_ubyte v4, v3, s[4:5] offset:8
	s_waitcnt vmcnt(1)
	global_store_dwordx2 v3, v[1:2], s[8:9]
	s_waitcnt vmcnt(0)
	global_store_byte v3, v4, s[8:9] offset:8
.LBB1175_5:
	s_or_b32 exec_lo, exec_lo, s14
.LBB1175_6:
	v_cmp_gt_u32_e32 vcc_lo, s2, v0
	s_and_saveexec_b32 s2, vcc_lo
	s_cbranch_execz .LBB1175_8
; %bb.7:
	v_add_nc_u32_e32 v1, 32, v0
	v_mov_b32_e32 v2, 0
	global_store_byte v1, v2, s[0:1]
.LBB1175_8:
	s_or_b32 exec_lo, exec_lo, s2
	s_mov_b32 s2, exec_lo
	v_cmpx_gt_u32_e32 32, v0
	s_cbranch_execz .LBB1175_10
; %bb.9:
	v_mov_b32_e32 v1, 0xff
	global_store_byte v0, v1, s[0:1]
.LBB1175_10:
	s_endpgm
	.section	.rodata,"a",@progbits
	.p2align	6, 0x0
	.amdhsa_kernel _ZN7rocprim17ROCPRIM_400000_NS6detail30init_device_scan_by_key_kernelINS1_19lookback_scan_stateINS0_5tupleIJybEEELb0ELb0EEENS1_16block_id_wrapperIjLb0EEEEEvT_jjPNS9_10value_typeET0_
		.amdhsa_group_segment_fixed_size 0
		.amdhsa_private_segment_fixed_size 0
		.amdhsa_kernarg_size 304
		.amdhsa_user_sgpr_count 6
		.amdhsa_user_sgpr_private_segment_buffer 1
		.amdhsa_user_sgpr_dispatch_ptr 0
		.amdhsa_user_sgpr_queue_ptr 0
		.amdhsa_user_sgpr_kernarg_segment_ptr 1
		.amdhsa_user_sgpr_dispatch_id 0
		.amdhsa_user_sgpr_flat_scratch_init 0
		.amdhsa_user_sgpr_private_segment_size 0
		.amdhsa_wavefront_size32 1
		.amdhsa_uses_dynamic_stack 0
		.amdhsa_system_sgpr_private_segment_wavefront_offset 0
		.amdhsa_system_sgpr_workgroup_id_x 1
		.amdhsa_system_sgpr_workgroup_id_y 0
		.amdhsa_system_sgpr_workgroup_id_z 0
		.amdhsa_system_sgpr_workgroup_info 0
		.amdhsa_system_vgpr_workitem_id 0
		.amdhsa_next_free_vgpr 5
		.amdhsa_next_free_sgpr 16
		.amdhsa_reserve_vcc 1
		.amdhsa_reserve_flat_scratch 0
		.amdhsa_float_round_mode_32 0
		.amdhsa_float_round_mode_16_64 0
		.amdhsa_float_denorm_mode_32 3
		.amdhsa_float_denorm_mode_16_64 3
		.amdhsa_dx10_clamp 1
		.amdhsa_ieee_mode 1
		.amdhsa_fp16_overflow 0
		.amdhsa_workgroup_processor_mode 1
		.amdhsa_memory_ordered 1
		.amdhsa_forward_progress 1
		.amdhsa_shared_vgpr_count 0
		.amdhsa_exception_fp_ieee_invalid_op 0
		.amdhsa_exception_fp_denorm_src 0
		.amdhsa_exception_fp_ieee_div_zero 0
		.amdhsa_exception_fp_ieee_overflow 0
		.amdhsa_exception_fp_ieee_underflow 0
		.amdhsa_exception_fp_ieee_inexact 0
		.amdhsa_exception_int_div_zero 0
	.end_amdhsa_kernel
	.section	.text._ZN7rocprim17ROCPRIM_400000_NS6detail30init_device_scan_by_key_kernelINS1_19lookback_scan_stateINS0_5tupleIJybEEELb0ELb0EEENS1_16block_id_wrapperIjLb0EEEEEvT_jjPNS9_10value_typeET0_,"axG",@progbits,_ZN7rocprim17ROCPRIM_400000_NS6detail30init_device_scan_by_key_kernelINS1_19lookback_scan_stateINS0_5tupleIJybEEELb0ELb0EEENS1_16block_id_wrapperIjLb0EEEEEvT_jjPNS9_10value_typeET0_,comdat
.Lfunc_end1175:
	.size	_ZN7rocprim17ROCPRIM_400000_NS6detail30init_device_scan_by_key_kernelINS1_19lookback_scan_stateINS0_5tupleIJybEEELb0ELb0EEENS1_16block_id_wrapperIjLb0EEEEEvT_jjPNS9_10value_typeET0_, .Lfunc_end1175-_ZN7rocprim17ROCPRIM_400000_NS6detail30init_device_scan_by_key_kernelINS1_19lookback_scan_stateINS0_5tupleIJybEEELb0ELb0EEENS1_16block_id_wrapperIjLb0EEEEEvT_jjPNS9_10value_typeET0_
                                        ; -- End function
	.set _ZN7rocprim17ROCPRIM_400000_NS6detail30init_device_scan_by_key_kernelINS1_19lookback_scan_stateINS0_5tupleIJybEEELb0ELb0EEENS1_16block_id_wrapperIjLb0EEEEEvT_jjPNS9_10value_typeET0_.num_vgpr, 5
	.set _ZN7rocprim17ROCPRIM_400000_NS6detail30init_device_scan_by_key_kernelINS1_19lookback_scan_stateINS0_5tupleIJybEEELb0ELb0EEENS1_16block_id_wrapperIjLb0EEEEEvT_jjPNS9_10value_typeET0_.num_agpr, 0
	.set _ZN7rocprim17ROCPRIM_400000_NS6detail30init_device_scan_by_key_kernelINS1_19lookback_scan_stateINS0_5tupleIJybEEELb0ELb0EEENS1_16block_id_wrapperIjLb0EEEEEvT_jjPNS9_10value_typeET0_.numbered_sgpr, 16
	.set _ZN7rocprim17ROCPRIM_400000_NS6detail30init_device_scan_by_key_kernelINS1_19lookback_scan_stateINS0_5tupleIJybEEELb0ELb0EEENS1_16block_id_wrapperIjLb0EEEEEvT_jjPNS9_10value_typeET0_.num_named_barrier, 0
	.set _ZN7rocprim17ROCPRIM_400000_NS6detail30init_device_scan_by_key_kernelINS1_19lookback_scan_stateINS0_5tupleIJybEEELb0ELb0EEENS1_16block_id_wrapperIjLb0EEEEEvT_jjPNS9_10value_typeET0_.private_seg_size, 0
	.set _ZN7rocprim17ROCPRIM_400000_NS6detail30init_device_scan_by_key_kernelINS1_19lookback_scan_stateINS0_5tupleIJybEEELb0ELb0EEENS1_16block_id_wrapperIjLb0EEEEEvT_jjPNS9_10value_typeET0_.uses_vcc, 1
	.set _ZN7rocprim17ROCPRIM_400000_NS6detail30init_device_scan_by_key_kernelINS1_19lookback_scan_stateINS0_5tupleIJybEEELb0ELb0EEENS1_16block_id_wrapperIjLb0EEEEEvT_jjPNS9_10value_typeET0_.uses_flat_scratch, 0
	.set _ZN7rocprim17ROCPRIM_400000_NS6detail30init_device_scan_by_key_kernelINS1_19lookback_scan_stateINS0_5tupleIJybEEELb0ELb0EEENS1_16block_id_wrapperIjLb0EEEEEvT_jjPNS9_10value_typeET0_.has_dyn_sized_stack, 0
	.set _ZN7rocprim17ROCPRIM_400000_NS6detail30init_device_scan_by_key_kernelINS1_19lookback_scan_stateINS0_5tupleIJybEEELb0ELb0EEENS1_16block_id_wrapperIjLb0EEEEEvT_jjPNS9_10value_typeET0_.has_recursion, 0
	.set _ZN7rocprim17ROCPRIM_400000_NS6detail30init_device_scan_by_key_kernelINS1_19lookback_scan_stateINS0_5tupleIJybEEELb0ELb0EEENS1_16block_id_wrapperIjLb0EEEEEvT_jjPNS9_10value_typeET0_.has_indirect_call, 0
	.section	.AMDGPU.csdata,"",@progbits
; Kernel info:
; codeLenInByte = 344
; TotalNumSgprs: 18
; NumVgprs: 5
; ScratchSize: 0
; MemoryBound: 0
; FloatMode: 240
; IeeeMode: 1
; LDSByteSize: 0 bytes/workgroup (compile time only)
; SGPRBlocks: 0
; VGPRBlocks: 0
; NumSGPRsForWavesPerEU: 18
; NumVGPRsForWavesPerEU: 5
; Occupancy: 16
; WaveLimiterHint : 0
; COMPUTE_PGM_RSRC2:SCRATCH_EN: 0
; COMPUTE_PGM_RSRC2:USER_SGPR: 6
; COMPUTE_PGM_RSRC2:TRAP_HANDLER: 0
; COMPUTE_PGM_RSRC2:TGID_X_EN: 1
; COMPUTE_PGM_RSRC2:TGID_Y_EN: 0
; COMPUTE_PGM_RSRC2:TGID_Z_EN: 0
; COMPUTE_PGM_RSRC2:TIDIG_COMP_CNT: 0
	.section	.text._ZN7rocprim17ROCPRIM_400000_NS6detail17trampoline_kernelINS0_14default_configENS1_27scan_by_key_config_selectorIiyEEZZNS1_16scan_by_key_implILNS1_25lookback_scan_determinismE0ELb0ES3_N6thrust23THRUST_200600_302600_NS6detail15normal_iteratorINS9_10device_ptrIiEEEENSB_INSC_IyEEEESG_yNS9_4plusIvEENS9_8equal_toIvEEyEE10hipError_tPvRmT2_T3_T4_T5_mT6_T7_P12ihipStream_tbENKUlT_T0_E_clISt17integral_constantIbLb0EES11_EEDaSW_SX_EUlSW_E_NS1_11comp_targetILNS1_3genE0ELNS1_11target_archE4294967295ELNS1_3gpuE0ELNS1_3repE0EEENS1_30default_config_static_selectorELNS0_4arch9wavefront6targetE0EEEvT1_,"axG",@progbits,_ZN7rocprim17ROCPRIM_400000_NS6detail17trampoline_kernelINS0_14default_configENS1_27scan_by_key_config_selectorIiyEEZZNS1_16scan_by_key_implILNS1_25lookback_scan_determinismE0ELb0ES3_N6thrust23THRUST_200600_302600_NS6detail15normal_iteratorINS9_10device_ptrIiEEEENSB_INSC_IyEEEESG_yNS9_4plusIvEENS9_8equal_toIvEEyEE10hipError_tPvRmT2_T3_T4_T5_mT6_T7_P12ihipStream_tbENKUlT_T0_E_clISt17integral_constantIbLb0EES11_EEDaSW_SX_EUlSW_E_NS1_11comp_targetILNS1_3genE0ELNS1_11target_archE4294967295ELNS1_3gpuE0ELNS1_3repE0EEENS1_30default_config_static_selectorELNS0_4arch9wavefront6targetE0EEEvT1_,comdat
	.protected	_ZN7rocprim17ROCPRIM_400000_NS6detail17trampoline_kernelINS0_14default_configENS1_27scan_by_key_config_selectorIiyEEZZNS1_16scan_by_key_implILNS1_25lookback_scan_determinismE0ELb0ES3_N6thrust23THRUST_200600_302600_NS6detail15normal_iteratorINS9_10device_ptrIiEEEENSB_INSC_IyEEEESG_yNS9_4plusIvEENS9_8equal_toIvEEyEE10hipError_tPvRmT2_T3_T4_T5_mT6_T7_P12ihipStream_tbENKUlT_T0_E_clISt17integral_constantIbLb0EES11_EEDaSW_SX_EUlSW_E_NS1_11comp_targetILNS1_3genE0ELNS1_11target_archE4294967295ELNS1_3gpuE0ELNS1_3repE0EEENS1_30default_config_static_selectorELNS0_4arch9wavefront6targetE0EEEvT1_ ; -- Begin function _ZN7rocprim17ROCPRIM_400000_NS6detail17trampoline_kernelINS0_14default_configENS1_27scan_by_key_config_selectorIiyEEZZNS1_16scan_by_key_implILNS1_25lookback_scan_determinismE0ELb0ES3_N6thrust23THRUST_200600_302600_NS6detail15normal_iteratorINS9_10device_ptrIiEEEENSB_INSC_IyEEEESG_yNS9_4plusIvEENS9_8equal_toIvEEyEE10hipError_tPvRmT2_T3_T4_T5_mT6_T7_P12ihipStream_tbENKUlT_T0_E_clISt17integral_constantIbLb0EES11_EEDaSW_SX_EUlSW_E_NS1_11comp_targetILNS1_3genE0ELNS1_11target_archE4294967295ELNS1_3gpuE0ELNS1_3repE0EEENS1_30default_config_static_selectorELNS0_4arch9wavefront6targetE0EEEvT1_
	.globl	_ZN7rocprim17ROCPRIM_400000_NS6detail17trampoline_kernelINS0_14default_configENS1_27scan_by_key_config_selectorIiyEEZZNS1_16scan_by_key_implILNS1_25lookback_scan_determinismE0ELb0ES3_N6thrust23THRUST_200600_302600_NS6detail15normal_iteratorINS9_10device_ptrIiEEEENSB_INSC_IyEEEESG_yNS9_4plusIvEENS9_8equal_toIvEEyEE10hipError_tPvRmT2_T3_T4_T5_mT6_T7_P12ihipStream_tbENKUlT_T0_E_clISt17integral_constantIbLb0EES11_EEDaSW_SX_EUlSW_E_NS1_11comp_targetILNS1_3genE0ELNS1_11target_archE4294967295ELNS1_3gpuE0ELNS1_3repE0EEENS1_30default_config_static_selectorELNS0_4arch9wavefront6targetE0EEEvT1_
	.p2align	8
	.type	_ZN7rocprim17ROCPRIM_400000_NS6detail17trampoline_kernelINS0_14default_configENS1_27scan_by_key_config_selectorIiyEEZZNS1_16scan_by_key_implILNS1_25lookback_scan_determinismE0ELb0ES3_N6thrust23THRUST_200600_302600_NS6detail15normal_iteratorINS9_10device_ptrIiEEEENSB_INSC_IyEEEESG_yNS9_4plusIvEENS9_8equal_toIvEEyEE10hipError_tPvRmT2_T3_T4_T5_mT6_T7_P12ihipStream_tbENKUlT_T0_E_clISt17integral_constantIbLb0EES11_EEDaSW_SX_EUlSW_E_NS1_11comp_targetILNS1_3genE0ELNS1_11target_archE4294967295ELNS1_3gpuE0ELNS1_3repE0EEENS1_30default_config_static_selectorELNS0_4arch9wavefront6targetE0EEEvT1_,@function
_ZN7rocprim17ROCPRIM_400000_NS6detail17trampoline_kernelINS0_14default_configENS1_27scan_by_key_config_selectorIiyEEZZNS1_16scan_by_key_implILNS1_25lookback_scan_determinismE0ELb0ES3_N6thrust23THRUST_200600_302600_NS6detail15normal_iteratorINS9_10device_ptrIiEEEENSB_INSC_IyEEEESG_yNS9_4plusIvEENS9_8equal_toIvEEyEE10hipError_tPvRmT2_T3_T4_T5_mT6_T7_P12ihipStream_tbENKUlT_T0_E_clISt17integral_constantIbLb0EES11_EEDaSW_SX_EUlSW_E_NS1_11comp_targetILNS1_3genE0ELNS1_11target_archE4294967295ELNS1_3gpuE0ELNS1_3repE0EEENS1_30default_config_static_selectorELNS0_4arch9wavefront6targetE0EEEvT1_: ; @_ZN7rocprim17ROCPRIM_400000_NS6detail17trampoline_kernelINS0_14default_configENS1_27scan_by_key_config_selectorIiyEEZZNS1_16scan_by_key_implILNS1_25lookback_scan_determinismE0ELb0ES3_N6thrust23THRUST_200600_302600_NS6detail15normal_iteratorINS9_10device_ptrIiEEEENSB_INSC_IyEEEESG_yNS9_4plusIvEENS9_8equal_toIvEEyEE10hipError_tPvRmT2_T3_T4_T5_mT6_T7_P12ihipStream_tbENKUlT_T0_E_clISt17integral_constantIbLb0EES11_EEDaSW_SX_EUlSW_E_NS1_11comp_targetILNS1_3genE0ELNS1_11target_archE4294967295ELNS1_3gpuE0ELNS1_3repE0EEENS1_30default_config_static_selectorELNS0_4arch9wavefront6targetE0EEEvT1_
; %bb.0:
	.section	.rodata,"a",@progbits
	.p2align	6, 0x0
	.amdhsa_kernel _ZN7rocprim17ROCPRIM_400000_NS6detail17trampoline_kernelINS0_14default_configENS1_27scan_by_key_config_selectorIiyEEZZNS1_16scan_by_key_implILNS1_25lookback_scan_determinismE0ELb0ES3_N6thrust23THRUST_200600_302600_NS6detail15normal_iteratorINS9_10device_ptrIiEEEENSB_INSC_IyEEEESG_yNS9_4plusIvEENS9_8equal_toIvEEyEE10hipError_tPvRmT2_T3_T4_T5_mT6_T7_P12ihipStream_tbENKUlT_T0_E_clISt17integral_constantIbLb0EES11_EEDaSW_SX_EUlSW_E_NS1_11comp_targetILNS1_3genE0ELNS1_11target_archE4294967295ELNS1_3gpuE0ELNS1_3repE0EEENS1_30default_config_static_selectorELNS0_4arch9wavefront6targetE0EEEvT1_
		.amdhsa_group_segment_fixed_size 0
		.amdhsa_private_segment_fixed_size 0
		.amdhsa_kernarg_size 136
		.amdhsa_user_sgpr_count 6
		.amdhsa_user_sgpr_private_segment_buffer 1
		.amdhsa_user_sgpr_dispatch_ptr 0
		.amdhsa_user_sgpr_queue_ptr 0
		.amdhsa_user_sgpr_kernarg_segment_ptr 1
		.amdhsa_user_sgpr_dispatch_id 0
		.amdhsa_user_sgpr_flat_scratch_init 0
		.amdhsa_user_sgpr_private_segment_size 0
		.amdhsa_wavefront_size32 1
		.amdhsa_uses_dynamic_stack 0
		.amdhsa_system_sgpr_private_segment_wavefront_offset 0
		.amdhsa_system_sgpr_workgroup_id_x 1
		.amdhsa_system_sgpr_workgroup_id_y 0
		.amdhsa_system_sgpr_workgroup_id_z 0
		.amdhsa_system_sgpr_workgroup_info 0
		.amdhsa_system_vgpr_workitem_id 0
		.amdhsa_next_free_vgpr 1
		.amdhsa_next_free_sgpr 1
		.amdhsa_reserve_vcc 0
		.amdhsa_reserve_flat_scratch 0
		.amdhsa_float_round_mode_32 0
		.amdhsa_float_round_mode_16_64 0
		.amdhsa_float_denorm_mode_32 3
		.amdhsa_float_denorm_mode_16_64 3
		.amdhsa_dx10_clamp 1
		.amdhsa_ieee_mode 1
		.amdhsa_fp16_overflow 0
		.amdhsa_workgroup_processor_mode 1
		.amdhsa_memory_ordered 1
		.amdhsa_forward_progress 1
		.amdhsa_shared_vgpr_count 0
		.amdhsa_exception_fp_ieee_invalid_op 0
		.amdhsa_exception_fp_denorm_src 0
		.amdhsa_exception_fp_ieee_div_zero 0
		.amdhsa_exception_fp_ieee_overflow 0
		.amdhsa_exception_fp_ieee_underflow 0
		.amdhsa_exception_fp_ieee_inexact 0
		.amdhsa_exception_int_div_zero 0
	.end_amdhsa_kernel
	.section	.text._ZN7rocprim17ROCPRIM_400000_NS6detail17trampoline_kernelINS0_14default_configENS1_27scan_by_key_config_selectorIiyEEZZNS1_16scan_by_key_implILNS1_25lookback_scan_determinismE0ELb0ES3_N6thrust23THRUST_200600_302600_NS6detail15normal_iteratorINS9_10device_ptrIiEEEENSB_INSC_IyEEEESG_yNS9_4plusIvEENS9_8equal_toIvEEyEE10hipError_tPvRmT2_T3_T4_T5_mT6_T7_P12ihipStream_tbENKUlT_T0_E_clISt17integral_constantIbLb0EES11_EEDaSW_SX_EUlSW_E_NS1_11comp_targetILNS1_3genE0ELNS1_11target_archE4294967295ELNS1_3gpuE0ELNS1_3repE0EEENS1_30default_config_static_selectorELNS0_4arch9wavefront6targetE0EEEvT1_,"axG",@progbits,_ZN7rocprim17ROCPRIM_400000_NS6detail17trampoline_kernelINS0_14default_configENS1_27scan_by_key_config_selectorIiyEEZZNS1_16scan_by_key_implILNS1_25lookback_scan_determinismE0ELb0ES3_N6thrust23THRUST_200600_302600_NS6detail15normal_iteratorINS9_10device_ptrIiEEEENSB_INSC_IyEEEESG_yNS9_4plusIvEENS9_8equal_toIvEEyEE10hipError_tPvRmT2_T3_T4_T5_mT6_T7_P12ihipStream_tbENKUlT_T0_E_clISt17integral_constantIbLb0EES11_EEDaSW_SX_EUlSW_E_NS1_11comp_targetILNS1_3genE0ELNS1_11target_archE4294967295ELNS1_3gpuE0ELNS1_3repE0EEENS1_30default_config_static_selectorELNS0_4arch9wavefront6targetE0EEEvT1_,comdat
.Lfunc_end1176:
	.size	_ZN7rocprim17ROCPRIM_400000_NS6detail17trampoline_kernelINS0_14default_configENS1_27scan_by_key_config_selectorIiyEEZZNS1_16scan_by_key_implILNS1_25lookback_scan_determinismE0ELb0ES3_N6thrust23THRUST_200600_302600_NS6detail15normal_iteratorINS9_10device_ptrIiEEEENSB_INSC_IyEEEESG_yNS9_4plusIvEENS9_8equal_toIvEEyEE10hipError_tPvRmT2_T3_T4_T5_mT6_T7_P12ihipStream_tbENKUlT_T0_E_clISt17integral_constantIbLb0EES11_EEDaSW_SX_EUlSW_E_NS1_11comp_targetILNS1_3genE0ELNS1_11target_archE4294967295ELNS1_3gpuE0ELNS1_3repE0EEENS1_30default_config_static_selectorELNS0_4arch9wavefront6targetE0EEEvT1_, .Lfunc_end1176-_ZN7rocprim17ROCPRIM_400000_NS6detail17trampoline_kernelINS0_14default_configENS1_27scan_by_key_config_selectorIiyEEZZNS1_16scan_by_key_implILNS1_25lookback_scan_determinismE0ELb0ES3_N6thrust23THRUST_200600_302600_NS6detail15normal_iteratorINS9_10device_ptrIiEEEENSB_INSC_IyEEEESG_yNS9_4plusIvEENS9_8equal_toIvEEyEE10hipError_tPvRmT2_T3_T4_T5_mT6_T7_P12ihipStream_tbENKUlT_T0_E_clISt17integral_constantIbLb0EES11_EEDaSW_SX_EUlSW_E_NS1_11comp_targetILNS1_3genE0ELNS1_11target_archE4294967295ELNS1_3gpuE0ELNS1_3repE0EEENS1_30default_config_static_selectorELNS0_4arch9wavefront6targetE0EEEvT1_
                                        ; -- End function
	.set _ZN7rocprim17ROCPRIM_400000_NS6detail17trampoline_kernelINS0_14default_configENS1_27scan_by_key_config_selectorIiyEEZZNS1_16scan_by_key_implILNS1_25lookback_scan_determinismE0ELb0ES3_N6thrust23THRUST_200600_302600_NS6detail15normal_iteratorINS9_10device_ptrIiEEEENSB_INSC_IyEEEESG_yNS9_4plusIvEENS9_8equal_toIvEEyEE10hipError_tPvRmT2_T3_T4_T5_mT6_T7_P12ihipStream_tbENKUlT_T0_E_clISt17integral_constantIbLb0EES11_EEDaSW_SX_EUlSW_E_NS1_11comp_targetILNS1_3genE0ELNS1_11target_archE4294967295ELNS1_3gpuE0ELNS1_3repE0EEENS1_30default_config_static_selectorELNS0_4arch9wavefront6targetE0EEEvT1_.num_vgpr, 0
	.set _ZN7rocprim17ROCPRIM_400000_NS6detail17trampoline_kernelINS0_14default_configENS1_27scan_by_key_config_selectorIiyEEZZNS1_16scan_by_key_implILNS1_25lookback_scan_determinismE0ELb0ES3_N6thrust23THRUST_200600_302600_NS6detail15normal_iteratorINS9_10device_ptrIiEEEENSB_INSC_IyEEEESG_yNS9_4plusIvEENS9_8equal_toIvEEyEE10hipError_tPvRmT2_T3_T4_T5_mT6_T7_P12ihipStream_tbENKUlT_T0_E_clISt17integral_constantIbLb0EES11_EEDaSW_SX_EUlSW_E_NS1_11comp_targetILNS1_3genE0ELNS1_11target_archE4294967295ELNS1_3gpuE0ELNS1_3repE0EEENS1_30default_config_static_selectorELNS0_4arch9wavefront6targetE0EEEvT1_.num_agpr, 0
	.set _ZN7rocprim17ROCPRIM_400000_NS6detail17trampoline_kernelINS0_14default_configENS1_27scan_by_key_config_selectorIiyEEZZNS1_16scan_by_key_implILNS1_25lookback_scan_determinismE0ELb0ES3_N6thrust23THRUST_200600_302600_NS6detail15normal_iteratorINS9_10device_ptrIiEEEENSB_INSC_IyEEEESG_yNS9_4plusIvEENS9_8equal_toIvEEyEE10hipError_tPvRmT2_T3_T4_T5_mT6_T7_P12ihipStream_tbENKUlT_T0_E_clISt17integral_constantIbLb0EES11_EEDaSW_SX_EUlSW_E_NS1_11comp_targetILNS1_3genE0ELNS1_11target_archE4294967295ELNS1_3gpuE0ELNS1_3repE0EEENS1_30default_config_static_selectorELNS0_4arch9wavefront6targetE0EEEvT1_.numbered_sgpr, 0
	.set _ZN7rocprim17ROCPRIM_400000_NS6detail17trampoline_kernelINS0_14default_configENS1_27scan_by_key_config_selectorIiyEEZZNS1_16scan_by_key_implILNS1_25lookback_scan_determinismE0ELb0ES3_N6thrust23THRUST_200600_302600_NS6detail15normal_iteratorINS9_10device_ptrIiEEEENSB_INSC_IyEEEESG_yNS9_4plusIvEENS9_8equal_toIvEEyEE10hipError_tPvRmT2_T3_T4_T5_mT6_T7_P12ihipStream_tbENKUlT_T0_E_clISt17integral_constantIbLb0EES11_EEDaSW_SX_EUlSW_E_NS1_11comp_targetILNS1_3genE0ELNS1_11target_archE4294967295ELNS1_3gpuE0ELNS1_3repE0EEENS1_30default_config_static_selectorELNS0_4arch9wavefront6targetE0EEEvT1_.num_named_barrier, 0
	.set _ZN7rocprim17ROCPRIM_400000_NS6detail17trampoline_kernelINS0_14default_configENS1_27scan_by_key_config_selectorIiyEEZZNS1_16scan_by_key_implILNS1_25lookback_scan_determinismE0ELb0ES3_N6thrust23THRUST_200600_302600_NS6detail15normal_iteratorINS9_10device_ptrIiEEEENSB_INSC_IyEEEESG_yNS9_4plusIvEENS9_8equal_toIvEEyEE10hipError_tPvRmT2_T3_T4_T5_mT6_T7_P12ihipStream_tbENKUlT_T0_E_clISt17integral_constantIbLb0EES11_EEDaSW_SX_EUlSW_E_NS1_11comp_targetILNS1_3genE0ELNS1_11target_archE4294967295ELNS1_3gpuE0ELNS1_3repE0EEENS1_30default_config_static_selectorELNS0_4arch9wavefront6targetE0EEEvT1_.private_seg_size, 0
	.set _ZN7rocprim17ROCPRIM_400000_NS6detail17trampoline_kernelINS0_14default_configENS1_27scan_by_key_config_selectorIiyEEZZNS1_16scan_by_key_implILNS1_25lookback_scan_determinismE0ELb0ES3_N6thrust23THRUST_200600_302600_NS6detail15normal_iteratorINS9_10device_ptrIiEEEENSB_INSC_IyEEEESG_yNS9_4plusIvEENS9_8equal_toIvEEyEE10hipError_tPvRmT2_T3_T4_T5_mT6_T7_P12ihipStream_tbENKUlT_T0_E_clISt17integral_constantIbLb0EES11_EEDaSW_SX_EUlSW_E_NS1_11comp_targetILNS1_3genE0ELNS1_11target_archE4294967295ELNS1_3gpuE0ELNS1_3repE0EEENS1_30default_config_static_selectorELNS0_4arch9wavefront6targetE0EEEvT1_.uses_vcc, 0
	.set _ZN7rocprim17ROCPRIM_400000_NS6detail17trampoline_kernelINS0_14default_configENS1_27scan_by_key_config_selectorIiyEEZZNS1_16scan_by_key_implILNS1_25lookback_scan_determinismE0ELb0ES3_N6thrust23THRUST_200600_302600_NS6detail15normal_iteratorINS9_10device_ptrIiEEEENSB_INSC_IyEEEESG_yNS9_4plusIvEENS9_8equal_toIvEEyEE10hipError_tPvRmT2_T3_T4_T5_mT6_T7_P12ihipStream_tbENKUlT_T0_E_clISt17integral_constantIbLb0EES11_EEDaSW_SX_EUlSW_E_NS1_11comp_targetILNS1_3genE0ELNS1_11target_archE4294967295ELNS1_3gpuE0ELNS1_3repE0EEENS1_30default_config_static_selectorELNS0_4arch9wavefront6targetE0EEEvT1_.uses_flat_scratch, 0
	.set _ZN7rocprim17ROCPRIM_400000_NS6detail17trampoline_kernelINS0_14default_configENS1_27scan_by_key_config_selectorIiyEEZZNS1_16scan_by_key_implILNS1_25lookback_scan_determinismE0ELb0ES3_N6thrust23THRUST_200600_302600_NS6detail15normal_iteratorINS9_10device_ptrIiEEEENSB_INSC_IyEEEESG_yNS9_4plusIvEENS9_8equal_toIvEEyEE10hipError_tPvRmT2_T3_T4_T5_mT6_T7_P12ihipStream_tbENKUlT_T0_E_clISt17integral_constantIbLb0EES11_EEDaSW_SX_EUlSW_E_NS1_11comp_targetILNS1_3genE0ELNS1_11target_archE4294967295ELNS1_3gpuE0ELNS1_3repE0EEENS1_30default_config_static_selectorELNS0_4arch9wavefront6targetE0EEEvT1_.has_dyn_sized_stack, 0
	.set _ZN7rocprim17ROCPRIM_400000_NS6detail17trampoline_kernelINS0_14default_configENS1_27scan_by_key_config_selectorIiyEEZZNS1_16scan_by_key_implILNS1_25lookback_scan_determinismE0ELb0ES3_N6thrust23THRUST_200600_302600_NS6detail15normal_iteratorINS9_10device_ptrIiEEEENSB_INSC_IyEEEESG_yNS9_4plusIvEENS9_8equal_toIvEEyEE10hipError_tPvRmT2_T3_T4_T5_mT6_T7_P12ihipStream_tbENKUlT_T0_E_clISt17integral_constantIbLb0EES11_EEDaSW_SX_EUlSW_E_NS1_11comp_targetILNS1_3genE0ELNS1_11target_archE4294967295ELNS1_3gpuE0ELNS1_3repE0EEENS1_30default_config_static_selectorELNS0_4arch9wavefront6targetE0EEEvT1_.has_recursion, 0
	.set _ZN7rocprim17ROCPRIM_400000_NS6detail17trampoline_kernelINS0_14default_configENS1_27scan_by_key_config_selectorIiyEEZZNS1_16scan_by_key_implILNS1_25lookback_scan_determinismE0ELb0ES3_N6thrust23THRUST_200600_302600_NS6detail15normal_iteratorINS9_10device_ptrIiEEEENSB_INSC_IyEEEESG_yNS9_4plusIvEENS9_8equal_toIvEEyEE10hipError_tPvRmT2_T3_T4_T5_mT6_T7_P12ihipStream_tbENKUlT_T0_E_clISt17integral_constantIbLb0EES11_EEDaSW_SX_EUlSW_E_NS1_11comp_targetILNS1_3genE0ELNS1_11target_archE4294967295ELNS1_3gpuE0ELNS1_3repE0EEENS1_30default_config_static_selectorELNS0_4arch9wavefront6targetE0EEEvT1_.has_indirect_call, 0
	.section	.AMDGPU.csdata,"",@progbits
; Kernel info:
; codeLenInByte = 0
; TotalNumSgprs: 0
; NumVgprs: 0
; ScratchSize: 0
; MemoryBound: 0
; FloatMode: 240
; IeeeMode: 1
; LDSByteSize: 0 bytes/workgroup (compile time only)
; SGPRBlocks: 0
; VGPRBlocks: 0
; NumSGPRsForWavesPerEU: 1
; NumVGPRsForWavesPerEU: 1
; Occupancy: 16
; WaveLimiterHint : 0
; COMPUTE_PGM_RSRC2:SCRATCH_EN: 0
; COMPUTE_PGM_RSRC2:USER_SGPR: 6
; COMPUTE_PGM_RSRC2:TRAP_HANDLER: 0
; COMPUTE_PGM_RSRC2:TGID_X_EN: 1
; COMPUTE_PGM_RSRC2:TGID_Y_EN: 0
; COMPUTE_PGM_RSRC2:TGID_Z_EN: 0
; COMPUTE_PGM_RSRC2:TIDIG_COMP_CNT: 0
	.section	.text._ZN7rocprim17ROCPRIM_400000_NS6detail17trampoline_kernelINS0_14default_configENS1_27scan_by_key_config_selectorIiyEEZZNS1_16scan_by_key_implILNS1_25lookback_scan_determinismE0ELb0ES3_N6thrust23THRUST_200600_302600_NS6detail15normal_iteratorINS9_10device_ptrIiEEEENSB_INSC_IyEEEESG_yNS9_4plusIvEENS9_8equal_toIvEEyEE10hipError_tPvRmT2_T3_T4_T5_mT6_T7_P12ihipStream_tbENKUlT_T0_E_clISt17integral_constantIbLb0EES11_EEDaSW_SX_EUlSW_E_NS1_11comp_targetILNS1_3genE10ELNS1_11target_archE1201ELNS1_3gpuE5ELNS1_3repE0EEENS1_30default_config_static_selectorELNS0_4arch9wavefront6targetE0EEEvT1_,"axG",@progbits,_ZN7rocprim17ROCPRIM_400000_NS6detail17trampoline_kernelINS0_14default_configENS1_27scan_by_key_config_selectorIiyEEZZNS1_16scan_by_key_implILNS1_25lookback_scan_determinismE0ELb0ES3_N6thrust23THRUST_200600_302600_NS6detail15normal_iteratorINS9_10device_ptrIiEEEENSB_INSC_IyEEEESG_yNS9_4plusIvEENS9_8equal_toIvEEyEE10hipError_tPvRmT2_T3_T4_T5_mT6_T7_P12ihipStream_tbENKUlT_T0_E_clISt17integral_constantIbLb0EES11_EEDaSW_SX_EUlSW_E_NS1_11comp_targetILNS1_3genE10ELNS1_11target_archE1201ELNS1_3gpuE5ELNS1_3repE0EEENS1_30default_config_static_selectorELNS0_4arch9wavefront6targetE0EEEvT1_,comdat
	.protected	_ZN7rocprim17ROCPRIM_400000_NS6detail17trampoline_kernelINS0_14default_configENS1_27scan_by_key_config_selectorIiyEEZZNS1_16scan_by_key_implILNS1_25lookback_scan_determinismE0ELb0ES3_N6thrust23THRUST_200600_302600_NS6detail15normal_iteratorINS9_10device_ptrIiEEEENSB_INSC_IyEEEESG_yNS9_4plusIvEENS9_8equal_toIvEEyEE10hipError_tPvRmT2_T3_T4_T5_mT6_T7_P12ihipStream_tbENKUlT_T0_E_clISt17integral_constantIbLb0EES11_EEDaSW_SX_EUlSW_E_NS1_11comp_targetILNS1_3genE10ELNS1_11target_archE1201ELNS1_3gpuE5ELNS1_3repE0EEENS1_30default_config_static_selectorELNS0_4arch9wavefront6targetE0EEEvT1_ ; -- Begin function _ZN7rocprim17ROCPRIM_400000_NS6detail17trampoline_kernelINS0_14default_configENS1_27scan_by_key_config_selectorIiyEEZZNS1_16scan_by_key_implILNS1_25lookback_scan_determinismE0ELb0ES3_N6thrust23THRUST_200600_302600_NS6detail15normal_iteratorINS9_10device_ptrIiEEEENSB_INSC_IyEEEESG_yNS9_4plusIvEENS9_8equal_toIvEEyEE10hipError_tPvRmT2_T3_T4_T5_mT6_T7_P12ihipStream_tbENKUlT_T0_E_clISt17integral_constantIbLb0EES11_EEDaSW_SX_EUlSW_E_NS1_11comp_targetILNS1_3genE10ELNS1_11target_archE1201ELNS1_3gpuE5ELNS1_3repE0EEENS1_30default_config_static_selectorELNS0_4arch9wavefront6targetE0EEEvT1_
	.globl	_ZN7rocprim17ROCPRIM_400000_NS6detail17trampoline_kernelINS0_14default_configENS1_27scan_by_key_config_selectorIiyEEZZNS1_16scan_by_key_implILNS1_25lookback_scan_determinismE0ELb0ES3_N6thrust23THRUST_200600_302600_NS6detail15normal_iteratorINS9_10device_ptrIiEEEENSB_INSC_IyEEEESG_yNS9_4plusIvEENS9_8equal_toIvEEyEE10hipError_tPvRmT2_T3_T4_T5_mT6_T7_P12ihipStream_tbENKUlT_T0_E_clISt17integral_constantIbLb0EES11_EEDaSW_SX_EUlSW_E_NS1_11comp_targetILNS1_3genE10ELNS1_11target_archE1201ELNS1_3gpuE5ELNS1_3repE0EEENS1_30default_config_static_selectorELNS0_4arch9wavefront6targetE0EEEvT1_
	.p2align	8
	.type	_ZN7rocprim17ROCPRIM_400000_NS6detail17trampoline_kernelINS0_14default_configENS1_27scan_by_key_config_selectorIiyEEZZNS1_16scan_by_key_implILNS1_25lookback_scan_determinismE0ELb0ES3_N6thrust23THRUST_200600_302600_NS6detail15normal_iteratorINS9_10device_ptrIiEEEENSB_INSC_IyEEEESG_yNS9_4plusIvEENS9_8equal_toIvEEyEE10hipError_tPvRmT2_T3_T4_T5_mT6_T7_P12ihipStream_tbENKUlT_T0_E_clISt17integral_constantIbLb0EES11_EEDaSW_SX_EUlSW_E_NS1_11comp_targetILNS1_3genE10ELNS1_11target_archE1201ELNS1_3gpuE5ELNS1_3repE0EEENS1_30default_config_static_selectorELNS0_4arch9wavefront6targetE0EEEvT1_,@function
_ZN7rocprim17ROCPRIM_400000_NS6detail17trampoline_kernelINS0_14default_configENS1_27scan_by_key_config_selectorIiyEEZZNS1_16scan_by_key_implILNS1_25lookback_scan_determinismE0ELb0ES3_N6thrust23THRUST_200600_302600_NS6detail15normal_iteratorINS9_10device_ptrIiEEEENSB_INSC_IyEEEESG_yNS9_4plusIvEENS9_8equal_toIvEEyEE10hipError_tPvRmT2_T3_T4_T5_mT6_T7_P12ihipStream_tbENKUlT_T0_E_clISt17integral_constantIbLb0EES11_EEDaSW_SX_EUlSW_E_NS1_11comp_targetILNS1_3genE10ELNS1_11target_archE1201ELNS1_3gpuE5ELNS1_3repE0EEENS1_30default_config_static_selectorELNS0_4arch9wavefront6targetE0EEEvT1_: ; @_ZN7rocprim17ROCPRIM_400000_NS6detail17trampoline_kernelINS0_14default_configENS1_27scan_by_key_config_selectorIiyEEZZNS1_16scan_by_key_implILNS1_25lookback_scan_determinismE0ELb0ES3_N6thrust23THRUST_200600_302600_NS6detail15normal_iteratorINS9_10device_ptrIiEEEENSB_INSC_IyEEEESG_yNS9_4plusIvEENS9_8equal_toIvEEyEE10hipError_tPvRmT2_T3_T4_T5_mT6_T7_P12ihipStream_tbENKUlT_T0_E_clISt17integral_constantIbLb0EES11_EEDaSW_SX_EUlSW_E_NS1_11comp_targetILNS1_3genE10ELNS1_11target_archE1201ELNS1_3gpuE5ELNS1_3repE0EEENS1_30default_config_static_selectorELNS0_4arch9wavefront6targetE0EEEvT1_
; %bb.0:
	.section	.rodata,"a",@progbits
	.p2align	6, 0x0
	.amdhsa_kernel _ZN7rocprim17ROCPRIM_400000_NS6detail17trampoline_kernelINS0_14default_configENS1_27scan_by_key_config_selectorIiyEEZZNS1_16scan_by_key_implILNS1_25lookback_scan_determinismE0ELb0ES3_N6thrust23THRUST_200600_302600_NS6detail15normal_iteratorINS9_10device_ptrIiEEEENSB_INSC_IyEEEESG_yNS9_4plusIvEENS9_8equal_toIvEEyEE10hipError_tPvRmT2_T3_T4_T5_mT6_T7_P12ihipStream_tbENKUlT_T0_E_clISt17integral_constantIbLb0EES11_EEDaSW_SX_EUlSW_E_NS1_11comp_targetILNS1_3genE10ELNS1_11target_archE1201ELNS1_3gpuE5ELNS1_3repE0EEENS1_30default_config_static_selectorELNS0_4arch9wavefront6targetE0EEEvT1_
		.amdhsa_group_segment_fixed_size 0
		.amdhsa_private_segment_fixed_size 0
		.amdhsa_kernarg_size 136
		.amdhsa_user_sgpr_count 6
		.amdhsa_user_sgpr_private_segment_buffer 1
		.amdhsa_user_sgpr_dispatch_ptr 0
		.amdhsa_user_sgpr_queue_ptr 0
		.amdhsa_user_sgpr_kernarg_segment_ptr 1
		.amdhsa_user_sgpr_dispatch_id 0
		.amdhsa_user_sgpr_flat_scratch_init 0
		.amdhsa_user_sgpr_private_segment_size 0
		.amdhsa_wavefront_size32 1
		.amdhsa_uses_dynamic_stack 0
		.amdhsa_system_sgpr_private_segment_wavefront_offset 0
		.amdhsa_system_sgpr_workgroup_id_x 1
		.amdhsa_system_sgpr_workgroup_id_y 0
		.amdhsa_system_sgpr_workgroup_id_z 0
		.amdhsa_system_sgpr_workgroup_info 0
		.amdhsa_system_vgpr_workitem_id 0
		.amdhsa_next_free_vgpr 1
		.amdhsa_next_free_sgpr 1
		.amdhsa_reserve_vcc 0
		.amdhsa_reserve_flat_scratch 0
		.amdhsa_float_round_mode_32 0
		.amdhsa_float_round_mode_16_64 0
		.amdhsa_float_denorm_mode_32 3
		.amdhsa_float_denorm_mode_16_64 3
		.amdhsa_dx10_clamp 1
		.amdhsa_ieee_mode 1
		.amdhsa_fp16_overflow 0
		.amdhsa_workgroup_processor_mode 1
		.amdhsa_memory_ordered 1
		.amdhsa_forward_progress 1
		.amdhsa_shared_vgpr_count 0
		.amdhsa_exception_fp_ieee_invalid_op 0
		.amdhsa_exception_fp_denorm_src 0
		.amdhsa_exception_fp_ieee_div_zero 0
		.amdhsa_exception_fp_ieee_overflow 0
		.amdhsa_exception_fp_ieee_underflow 0
		.amdhsa_exception_fp_ieee_inexact 0
		.amdhsa_exception_int_div_zero 0
	.end_amdhsa_kernel
	.section	.text._ZN7rocprim17ROCPRIM_400000_NS6detail17trampoline_kernelINS0_14default_configENS1_27scan_by_key_config_selectorIiyEEZZNS1_16scan_by_key_implILNS1_25lookback_scan_determinismE0ELb0ES3_N6thrust23THRUST_200600_302600_NS6detail15normal_iteratorINS9_10device_ptrIiEEEENSB_INSC_IyEEEESG_yNS9_4plusIvEENS9_8equal_toIvEEyEE10hipError_tPvRmT2_T3_T4_T5_mT6_T7_P12ihipStream_tbENKUlT_T0_E_clISt17integral_constantIbLb0EES11_EEDaSW_SX_EUlSW_E_NS1_11comp_targetILNS1_3genE10ELNS1_11target_archE1201ELNS1_3gpuE5ELNS1_3repE0EEENS1_30default_config_static_selectorELNS0_4arch9wavefront6targetE0EEEvT1_,"axG",@progbits,_ZN7rocprim17ROCPRIM_400000_NS6detail17trampoline_kernelINS0_14default_configENS1_27scan_by_key_config_selectorIiyEEZZNS1_16scan_by_key_implILNS1_25lookback_scan_determinismE0ELb0ES3_N6thrust23THRUST_200600_302600_NS6detail15normal_iteratorINS9_10device_ptrIiEEEENSB_INSC_IyEEEESG_yNS9_4plusIvEENS9_8equal_toIvEEyEE10hipError_tPvRmT2_T3_T4_T5_mT6_T7_P12ihipStream_tbENKUlT_T0_E_clISt17integral_constantIbLb0EES11_EEDaSW_SX_EUlSW_E_NS1_11comp_targetILNS1_3genE10ELNS1_11target_archE1201ELNS1_3gpuE5ELNS1_3repE0EEENS1_30default_config_static_selectorELNS0_4arch9wavefront6targetE0EEEvT1_,comdat
.Lfunc_end1177:
	.size	_ZN7rocprim17ROCPRIM_400000_NS6detail17trampoline_kernelINS0_14default_configENS1_27scan_by_key_config_selectorIiyEEZZNS1_16scan_by_key_implILNS1_25lookback_scan_determinismE0ELb0ES3_N6thrust23THRUST_200600_302600_NS6detail15normal_iteratorINS9_10device_ptrIiEEEENSB_INSC_IyEEEESG_yNS9_4plusIvEENS9_8equal_toIvEEyEE10hipError_tPvRmT2_T3_T4_T5_mT6_T7_P12ihipStream_tbENKUlT_T0_E_clISt17integral_constantIbLb0EES11_EEDaSW_SX_EUlSW_E_NS1_11comp_targetILNS1_3genE10ELNS1_11target_archE1201ELNS1_3gpuE5ELNS1_3repE0EEENS1_30default_config_static_selectorELNS0_4arch9wavefront6targetE0EEEvT1_, .Lfunc_end1177-_ZN7rocprim17ROCPRIM_400000_NS6detail17trampoline_kernelINS0_14default_configENS1_27scan_by_key_config_selectorIiyEEZZNS1_16scan_by_key_implILNS1_25lookback_scan_determinismE0ELb0ES3_N6thrust23THRUST_200600_302600_NS6detail15normal_iteratorINS9_10device_ptrIiEEEENSB_INSC_IyEEEESG_yNS9_4plusIvEENS9_8equal_toIvEEyEE10hipError_tPvRmT2_T3_T4_T5_mT6_T7_P12ihipStream_tbENKUlT_T0_E_clISt17integral_constantIbLb0EES11_EEDaSW_SX_EUlSW_E_NS1_11comp_targetILNS1_3genE10ELNS1_11target_archE1201ELNS1_3gpuE5ELNS1_3repE0EEENS1_30default_config_static_selectorELNS0_4arch9wavefront6targetE0EEEvT1_
                                        ; -- End function
	.set _ZN7rocprim17ROCPRIM_400000_NS6detail17trampoline_kernelINS0_14default_configENS1_27scan_by_key_config_selectorIiyEEZZNS1_16scan_by_key_implILNS1_25lookback_scan_determinismE0ELb0ES3_N6thrust23THRUST_200600_302600_NS6detail15normal_iteratorINS9_10device_ptrIiEEEENSB_INSC_IyEEEESG_yNS9_4plusIvEENS9_8equal_toIvEEyEE10hipError_tPvRmT2_T3_T4_T5_mT6_T7_P12ihipStream_tbENKUlT_T0_E_clISt17integral_constantIbLb0EES11_EEDaSW_SX_EUlSW_E_NS1_11comp_targetILNS1_3genE10ELNS1_11target_archE1201ELNS1_3gpuE5ELNS1_3repE0EEENS1_30default_config_static_selectorELNS0_4arch9wavefront6targetE0EEEvT1_.num_vgpr, 0
	.set _ZN7rocprim17ROCPRIM_400000_NS6detail17trampoline_kernelINS0_14default_configENS1_27scan_by_key_config_selectorIiyEEZZNS1_16scan_by_key_implILNS1_25lookback_scan_determinismE0ELb0ES3_N6thrust23THRUST_200600_302600_NS6detail15normal_iteratorINS9_10device_ptrIiEEEENSB_INSC_IyEEEESG_yNS9_4plusIvEENS9_8equal_toIvEEyEE10hipError_tPvRmT2_T3_T4_T5_mT6_T7_P12ihipStream_tbENKUlT_T0_E_clISt17integral_constantIbLb0EES11_EEDaSW_SX_EUlSW_E_NS1_11comp_targetILNS1_3genE10ELNS1_11target_archE1201ELNS1_3gpuE5ELNS1_3repE0EEENS1_30default_config_static_selectorELNS0_4arch9wavefront6targetE0EEEvT1_.num_agpr, 0
	.set _ZN7rocprim17ROCPRIM_400000_NS6detail17trampoline_kernelINS0_14default_configENS1_27scan_by_key_config_selectorIiyEEZZNS1_16scan_by_key_implILNS1_25lookback_scan_determinismE0ELb0ES3_N6thrust23THRUST_200600_302600_NS6detail15normal_iteratorINS9_10device_ptrIiEEEENSB_INSC_IyEEEESG_yNS9_4plusIvEENS9_8equal_toIvEEyEE10hipError_tPvRmT2_T3_T4_T5_mT6_T7_P12ihipStream_tbENKUlT_T0_E_clISt17integral_constantIbLb0EES11_EEDaSW_SX_EUlSW_E_NS1_11comp_targetILNS1_3genE10ELNS1_11target_archE1201ELNS1_3gpuE5ELNS1_3repE0EEENS1_30default_config_static_selectorELNS0_4arch9wavefront6targetE0EEEvT1_.numbered_sgpr, 0
	.set _ZN7rocprim17ROCPRIM_400000_NS6detail17trampoline_kernelINS0_14default_configENS1_27scan_by_key_config_selectorIiyEEZZNS1_16scan_by_key_implILNS1_25lookback_scan_determinismE0ELb0ES3_N6thrust23THRUST_200600_302600_NS6detail15normal_iteratorINS9_10device_ptrIiEEEENSB_INSC_IyEEEESG_yNS9_4plusIvEENS9_8equal_toIvEEyEE10hipError_tPvRmT2_T3_T4_T5_mT6_T7_P12ihipStream_tbENKUlT_T0_E_clISt17integral_constantIbLb0EES11_EEDaSW_SX_EUlSW_E_NS1_11comp_targetILNS1_3genE10ELNS1_11target_archE1201ELNS1_3gpuE5ELNS1_3repE0EEENS1_30default_config_static_selectorELNS0_4arch9wavefront6targetE0EEEvT1_.num_named_barrier, 0
	.set _ZN7rocprim17ROCPRIM_400000_NS6detail17trampoline_kernelINS0_14default_configENS1_27scan_by_key_config_selectorIiyEEZZNS1_16scan_by_key_implILNS1_25lookback_scan_determinismE0ELb0ES3_N6thrust23THRUST_200600_302600_NS6detail15normal_iteratorINS9_10device_ptrIiEEEENSB_INSC_IyEEEESG_yNS9_4plusIvEENS9_8equal_toIvEEyEE10hipError_tPvRmT2_T3_T4_T5_mT6_T7_P12ihipStream_tbENKUlT_T0_E_clISt17integral_constantIbLb0EES11_EEDaSW_SX_EUlSW_E_NS1_11comp_targetILNS1_3genE10ELNS1_11target_archE1201ELNS1_3gpuE5ELNS1_3repE0EEENS1_30default_config_static_selectorELNS0_4arch9wavefront6targetE0EEEvT1_.private_seg_size, 0
	.set _ZN7rocprim17ROCPRIM_400000_NS6detail17trampoline_kernelINS0_14default_configENS1_27scan_by_key_config_selectorIiyEEZZNS1_16scan_by_key_implILNS1_25lookback_scan_determinismE0ELb0ES3_N6thrust23THRUST_200600_302600_NS6detail15normal_iteratorINS9_10device_ptrIiEEEENSB_INSC_IyEEEESG_yNS9_4plusIvEENS9_8equal_toIvEEyEE10hipError_tPvRmT2_T3_T4_T5_mT6_T7_P12ihipStream_tbENKUlT_T0_E_clISt17integral_constantIbLb0EES11_EEDaSW_SX_EUlSW_E_NS1_11comp_targetILNS1_3genE10ELNS1_11target_archE1201ELNS1_3gpuE5ELNS1_3repE0EEENS1_30default_config_static_selectorELNS0_4arch9wavefront6targetE0EEEvT1_.uses_vcc, 0
	.set _ZN7rocprim17ROCPRIM_400000_NS6detail17trampoline_kernelINS0_14default_configENS1_27scan_by_key_config_selectorIiyEEZZNS1_16scan_by_key_implILNS1_25lookback_scan_determinismE0ELb0ES3_N6thrust23THRUST_200600_302600_NS6detail15normal_iteratorINS9_10device_ptrIiEEEENSB_INSC_IyEEEESG_yNS9_4plusIvEENS9_8equal_toIvEEyEE10hipError_tPvRmT2_T3_T4_T5_mT6_T7_P12ihipStream_tbENKUlT_T0_E_clISt17integral_constantIbLb0EES11_EEDaSW_SX_EUlSW_E_NS1_11comp_targetILNS1_3genE10ELNS1_11target_archE1201ELNS1_3gpuE5ELNS1_3repE0EEENS1_30default_config_static_selectorELNS0_4arch9wavefront6targetE0EEEvT1_.uses_flat_scratch, 0
	.set _ZN7rocprim17ROCPRIM_400000_NS6detail17trampoline_kernelINS0_14default_configENS1_27scan_by_key_config_selectorIiyEEZZNS1_16scan_by_key_implILNS1_25lookback_scan_determinismE0ELb0ES3_N6thrust23THRUST_200600_302600_NS6detail15normal_iteratorINS9_10device_ptrIiEEEENSB_INSC_IyEEEESG_yNS9_4plusIvEENS9_8equal_toIvEEyEE10hipError_tPvRmT2_T3_T4_T5_mT6_T7_P12ihipStream_tbENKUlT_T0_E_clISt17integral_constantIbLb0EES11_EEDaSW_SX_EUlSW_E_NS1_11comp_targetILNS1_3genE10ELNS1_11target_archE1201ELNS1_3gpuE5ELNS1_3repE0EEENS1_30default_config_static_selectorELNS0_4arch9wavefront6targetE0EEEvT1_.has_dyn_sized_stack, 0
	.set _ZN7rocprim17ROCPRIM_400000_NS6detail17trampoline_kernelINS0_14default_configENS1_27scan_by_key_config_selectorIiyEEZZNS1_16scan_by_key_implILNS1_25lookback_scan_determinismE0ELb0ES3_N6thrust23THRUST_200600_302600_NS6detail15normal_iteratorINS9_10device_ptrIiEEEENSB_INSC_IyEEEESG_yNS9_4plusIvEENS9_8equal_toIvEEyEE10hipError_tPvRmT2_T3_T4_T5_mT6_T7_P12ihipStream_tbENKUlT_T0_E_clISt17integral_constantIbLb0EES11_EEDaSW_SX_EUlSW_E_NS1_11comp_targetILNS1_3genE10ELNS1_11target_archE1201ELNS1_3gpuE5ELNS1_3repE0EEENS1_30default_config_static_selectorELNS0_4arch9wavefront6targetE0EEEvT1_.has_recursion, 0
	.set _ZN7rocprim17ROCPRIM_400000_NS6detail17trampoline_kernelINS0_14default_configENS1_27scan_by_key_config_selectorIiyEEZZNS1_16scan_by_key_implILNS1_25lookback_scan_determinismE0ELb0ES3_N6thrust23THRUST_200600_302600_NS6detail15normal_iteratorINS9_10device_ptrIiEEEENSB_INSC_IyEEEESG_yNS9_4plusIvEENS9_8equal_toIvEEyEE10hipError_tPvRmT2_T3_T4_T5_mT6_T7_P12ihipStream_tbENKUlT_T0_E_clISt17integral_constantIbLb0EES11_EEDaSW_SX_EUlSW_E_NS1_11comp_targetILNS1_3genE10ELNS1_11target_archE1201ELNS1_3gpuE5ELNS1_3repE0EEENS1_30default_config_static_selectorELNS0_4arch9wavefront6targetE0EEEvT1_.has_indirect_call, 0
	.section	.AMDGPU.csdata,"",@progbits
; Kernel info:
; codeLenInByte = 0
; TotalNumSgprs: 0
; NumVgprs: 0
; ScratchSize: 0
; MemoryBound: 0
; FloatMode: 240
; IeeeMode: 1
; LDSByteSize: 0 bytes/workgroup (compile time only)
; SGPRBlocks: 0
; VGPRBlocks: 0
; NumSGPRsForWavesPerEU: 1
; NumVGPRsForWavesPerEU: 1
; Occupancy: 16
; WaveLimiterHint : 0
; COMPUTE_PGM_RSRC2:SCRATCH_EN: 0
; COMPUTE_PGM_RSRC2:USER_SGPR: 6
; COMPUTE_PGM_RSRC2:TRAP_HANDLER: 0
; COMPUTE_PGM_RSRC2:TGID_X_EN: 1
; COMPUTE_PGM_RSRC2:TGID_Y_EN: 0
; COMPUTE_PGM_RSRC2:TGID_Z_EN: 0
; COMPUTE_PGM_RSRC2:TIDIG_COMP_CNT: 0
	.section	.text._ZN7rocprim17ROCPRIM_400000_NS6detail17trampoline_kernelINS0_14default_configENS1_27scan_by_key_config_selectorIiyEEZZNS1_16scan_by_key_implILNS1_25lookback_scan_determinismE0ELb0ES3_N6thrust23THRUST_200600_302600_NS6detail15normal_iteratorINS9_10device_ptrIiEEEENSB_INSC_IyEEEESG_yNS9_4plusIvEENS9_8equal_toIvEEyEE10hipError_tPvRmT2_T3_T4_T5_mT6_T7_P12ihipStream_tbENKUlT_T0_E_clISt17integral_constantIbLb0EES11_EEDaSW_SX_EUlSW_E_NS1_11comp_targetILNS1_3genE5ELNS1_11target_archE942ELNS1_3gpuE9ELNS1_3repE0EEENS1_30default_config_static_selectorELNS0_4arch9wavefront6targetE0EEEvT1_,"axG",@progbits,_ZN7rocprim17ROCPRIM_400000_NS6detail17trampoline_kernelINS0_14default_configENS1_27scan_by_key_config_selectorIiyEEZZNS1_16scan_by_key_implILNS1_25lookback_scan_determinismE0ELb0ES3_N6thrust23THRUST_200600_302600_NS6detail15normal_iteratorINS9_10device_ptrIiEEEENSB_INSC_IyEEEESG_yNS9_4plusIvEENS9_8equal_toIvEEyEE10hipError_tPvRmT2_T3_T4_T5_mT6_T7_P12ihipStream_tbENKUlT_T0_E_clISt17integral_constantIbLb0EES11_EEDaSW_SX_EUlSW_E_NS1_11comp_targetILNS1_3genE5ELNS1_11target_archE942ELNS1_3gpuE9ELNS1_3repE0EEENS1_30default_config_static_selectorELNS0_4arch9wavefront6targetE0EEEvT1_,comdat
	.protected	_ZN7rocprim17ROCPRIM_400000_NS6detail17trampoline_kernelINS0_14default_configENS1_27scan_by_key_config_selectorIiyEEZZNS1_16scan_by_key_implILNS1_25lookback_scan_determinismE0ELb0ES3_N6thrust23THRUST_200600_302600_NS6detail15normal_iteratorINS9_10device_ptrIiEEEENSB_INSC_IyEEEESG_yNS9_4plusIvEENS9_8equal_toIvEEyEE10hipError_tPvRmT2_T3_T4_T5_mT6_T7_P12ihipStream_tbENKUlT_T0_E_clISt17integral_constantIbLb0EES11_EEDaSW_SX_EUlSW_E_NS1_11comp_targetILNS1_3genE5ELNS1_11target_archE942ELNS1_3gpuE9ELNS1_3repE0EEENS1_30default_config_static_selectorELNS0_4arch9wavefront6targetE0EEEvT1_ ; -- Begin function _ZN7rocprim17ROCPRIM_400000_NS6detail17trampoline_kernelINS0_14default_configENS1_27scan_by_key_config_selectorIiyEEZZNS1_16scan_by_key_implILNS1_25lookback_scan_determinismE0ELb0ES3_N6thrust23THRUST_200600_302600_NS6detail15normal_iteratorINS9_10device_ptrIiEEEENSB_INSC_IyEEEESG_yNS9_4plusIvEENS9_8equal_toIvEEyEE10hipError_tPvRmT2_T3_T4_T5_mT6_T7_P12ihipStream_tbENKUlT_T0_E_clISt17integral_constantIbLb0EES11_EEDaSW_SX_EUlSW_E_NS1_11comp_targetILNS1_3genE5ELNS1_11target_archE942ELNS1_3gpuE9ELNS1_3repE0EEENS1_30default_config_static_selectorELNS0_4arch9wavefront6targetE0EEEvT1_
	.globl	_ZN7rocprim17ROCPRIM_400000_NS6detail17trampoline_kernelINS0_14default_configENS1_27scan_by_key_config_selectorIiyEEZZNS1_16scan_by_key_implILNS1_25lookback_scan_determinismE0ELb0ES3_N6thrust23THRUST_200600_302600_NS6detail15normal_iteratorINS9_10device_ptrIiEEEENSB_INSC_IyEEEESG_yNS9_4plusIvEENS9_8equal_toIvEEyEE10hipError_tPvRmT2_T3_T4_T5_mT6_T7_P12ihipStream_tbENKUlT_T0_E_clISt17integral_constantIbLb0EES11_EEDaSW_SX_EUlSW_E_NS1_11comp_targetILNS1_3genE5ELNS1_11target_archE942ELNS1_3gpuE9ELNS1_3repE0EEENS1_30default_config_static_selectorELNS0_4arch9wavefront6targetE0EEEvT1_
	.p2align	8
	.type	_ZN7rocprim17ROCPRIM_400000_NS6detail17trampoline_kernelINS0_14default_configENS1_27scan_by_key_config_selectorIiyEEZZNS1_16scan_by_key_implILNS1_25lookback_scan_determinismE0ELb0ES3_N6thrust23THRUST_200600_302600_NS6detail15normal_iteratorINS9_10device_ptrIiEEEENSB_INSC_IyEEEESG_yNS9_4plusIvEENS9_8equal_toIvEEyEE10hipError_tPvRmT2_T3_T4_T5_mT6_T7_P12ihipStream_tbENKUlT_T0_E_clISt17integral_constantIbLb0EES11_EEDaSW_SX_EUlSW_E_NS1_11comp_targetILNS1_3genE5ELNS1_11target_archE942ELNS1_3gpuE9ELNS1_3repE0EEENS1_30default_config_static_selectorELNS0_4arch9wavefront6targetE0EEEvT1_,@function
_ZN7rocprim17ROCPRIM_400000_NS6detail17trampoline_kernelINS0_14default_configENS1_27scan_by_key_config_selectorIiyEEZZNS1_16scan_by_key_implILNS1_25lookback_scan_determinismE0ELb0ES3_N6thrust23THRUST_200600_302600_NS6detail15normal_iteratorINS9_10device_ptrIiEEEENSB_INSC_IyEEEESG_yNS9_4plusIvEENS9_8equal_toIvEEyEE10hipError_tPvRmT2_T3_T4_T5_mT6_T7_P12ihipStream_tbENKUlT_T0_E_clISt17integral_constantIbLb0EES11_EEDaSW_SX_EUlSW_E_NS1_11comp_targetILNS1_3genE5ELNS1_11target_archE942ELNS1_3gpuE9ELNS1_3repE0EEENS1_30default_config_static_selectorELNS0_4arch9wavefront6targetE0EEEvT1_: ; @_ZN7rocprim17ROCPRIM_400000_NS6detail17trampoline_kernelINS0_14default_configENS1_27scan_by_key_config_selectorIiyEEZZNS1_16scan_by_key_implILNS1_25lookback_scan_determinismE0ELb0ES3_N6thrust23THRUST_200600_302600_NS6detail15normal_iteratorINS9_10device_ptrIiEEEENSB_INSC_IyEEEESG_yNS9_4plusIvEENS9_8equal_toIvEEyEE10hipError_tPvRmT2_T3_T4_T5_mT6_T7_P12ihipStream_tbENKUlT_T0_E_clISt17integral_constantIbLb0EES11_EEDaSW_SX_EUlSW_E_NS1_11comp_targetILNS1_3genE5ELNS1_11target_archE942ELNS1_3gpuE9ELNS1_3repE0EEENS1_30default_config_static_selectorELNS0_4arch9wavefront6targetE0EEEvT1_
; %bb.0:
	.section	.rodata,"a",@progbits
	.p2align	6, 0x0
	.amdhsa_kernel _ZN7rocprim17ROCPRIM_400000_NS6detail17trampoline_kernelINS0_14default_configENS1_27scan_by_key_config_selectorIiyEEZZNS1_16scan_by_key_implILNS1_25lookback_scan_determinismE0ELb0ES3_N6thrust23THRUST_200600_302600_NS6detail15normal_iteratorINS9_10device_ptrIiEEEENSB_INSC_IyEEEESG_yNS9_4plusIvEENS9_8equal_toIvEEyEE10hipError_tPvRmT2_T3_T4_T5_mT6_T7_P12ihipStream_tbENKUlT_T0_E_clISt17integral_constantIbLb0EES11_EEDaSW_SX_EUlSW_E_NS1_11comp_targetILNS1_3genE5ELNS1_11target_archE942ELNS1_3gpuE9ELNS1_3repE0EEENS1_30default_config_static_selectorELNS0_4arch9wavefront6targetE0EEEvT1_
		.amdhsa_group_segment_fixed_size 0
		.amdhsa_private_segment_fixed_size 0
		.amdhsa_kernarg_size 136
		.amdhsa_user_sgpr_count 6
		.amdhsa_user_sgpr_private_segment_buffer 1
		.amdhsa_user_sgpr_dispatch_ptr 0
		.amdhsa_user_sgpr_queue_ptr 0
		.amdhsa_user_sgpr_kernarg_segment_ptr 1
		.amdhsa_user_sgpr_dispatch_id 0
		.amdhsa_user_sgpr_flat_scratch_init 0
		.amdhsa_user_sgpr_private_segment_size 0
		.amdhsa_wavefront_size32 1
		.amdhsa_uses_dynamic_stack 0
		.amdhsa_system_sgpr_private_segment_wavefront_offset 0
		.amdhsa_system_sgpr_workgroup_id_x 1
		.amdhsa_system_sgpr_workgroup_id_y 0
		.amdhsa_system_sgpr_workgroup_id_z 0
		.amdhsa_system_sgpr_workgroup_info 0
		.amdhsa_system_vgpr_workitem_id 0
		.amdhsa_next_free_vgpr 1
		.amdhsa_next_free_sgpr 1
		.amdhsa_reserve_vcc 0
		.amdhsa_reserve_flat_scratch 0
		.amdhsa_float_round_mode_32 0
		.amdhsa_float_round_mode_16_64 0
		.amdhsa_float_denorm_mode_32 3
		.amdhsa_float_denorm_mode_16_64 3
		.amdhsa_dx10_clamp 1
		.amdhsa_ieee_mode 1
		.amdhsa_fp16_overflow 0
		.amdhsa_workgroup_processor_mode 1
		.amdhsa_memory_ordered 1
		.amdhsa_forward_progress 1
		.amdhsa_shared_vgpr_count 0
		.amdhsa_exception_fp_ieee_invalid_op 0
		.amdhsa_exception_fp_denorm_src 0
		.amdhsa_exception_fp_ieee_div_zero 0
		.amdhsa_exception_fp_ieee_overflow 0
		.amdhsa_exception_fp_ieee_underflow 0
		.amdhsa_exception_fp_ieee_inexact 0
		.amdhsa_exception_int_div_zero 0
	.end_amdhsa_kernel
	.section	.text._ZN7rocprim17ROCPRIM_400000_NS6detail17trampoline_kernelINS0_14default_configENS1_27scan_by_key_config_selectorIiyEEZZNS1_16scan_by_key_implILNS1_25lookback_scan_determinismE0ELb0ES3_N6thrust23THRUST_200600_302600_NS6detail15normal_iteratorINS9_10device_ptrIiEEEENSB_INSC_IyEEEESG_yNS9_4plusIvEENS9_8equal_toIvEEyEE10hipError_tPvRmT2_T3_T4_T5_mT6_T7_P12ihipStream_tbENKUlT_T0_E_clISt17integral_constantIbLb0EES11_EEDaSW_SX_EUlSW_E_NS1_11comp_targetILNS1_3genE5ELNS1_11target_archE942ELNS1_3gpuE9ELNS1_3repE0EEENS1_30default_config_static_selectorELNS0_4arch9wavefront6targetE0EEEvT1_,"axG",@progbits,_ZN7rocprim17ROCPRIM_400000_NS6detail17trampoline_kernelINS0_14default_configENS1_27scan_by_key_config_selectorIiyEEZZNS1_16scan_by_key_implILNS1_25lookback_scan_determinismE0ELb0ES3_N6thrust23THRUST_200600_302600_NS6detail15normal_iteratorINS9_10device_ptrIiEEEENSB_INSC_IyEEEESG_yNS9_4plusIvEENS9_8equal_toIvEEyEE10hipError_tPvRmT2_T3_T4_T5_mT6_T7_P12ihipStream_tbENKUlT_T0_E_clISt17integral_constantIbLb0EES11_EEDaSW_SX_EUlSW_E_NS1_11comp_targetILNS1_3genE5ELNS1_11target_archE942ELNS1_3gpuE9ELNS1_3repE0EEENS1_30default_config_static_selectorELNS0_4arch9wavefront6targetE0EEEvT1_,comdat
.Lfunc_end1178:
	.size	_ZN7rocprim17ROCPRIM_400000_NS6detail17trampoline_kernelINS0_14default_configENS1_27scan_by_key_config_selectorIiyEEZZNS1_16scan_by_key_implILNS1_25lookback_scan_determinismE0ELb0ES3_N6thrust23THRUST_200600_302600_NS6detail15normal_iteratorINS9_10device_ptrIiEEEENSB_INSC_IyEEEESG_yNS9_4plusIvEENS9_8equal_toIvEEyEE10hipError_tPvRmT2_T3_T4_T5_mT6_T7_P12ihipStream_tbENKUlT_T0_E_clISt17integral_constantIbLb0EES11_EEDaSW_SX_EUlSW_E_NS1_11comp_targetILNS1_3genE5ELNS1_11target_archE942ELNS1_3gpuE9ELNS1_3repE0EEENS1_30default_config_static_selectorELNS0_4arch9wavefront6targetE0EEEvT1_, .Lfunc_end1178-_ZN7rocprim17ROCPRIM_400000_NS6detail17trampoline_kernelINS0_14default_configENS1_27scan_by_key_config_selectorIiyEEZZNS1_16scan_by_key_implILNS1_25lookback_scan_determinismE0ELb0ES3_N6thrust23THRUST_200600_302600_NS6detail15normal_iteratorINS9_10device_ptrIiEEEENSB_INSC_IyEEEESG_yNS9_4plusIvEENS9_8equal_toIvEEyEE10hipError_tPvRmT2_T3_T4_T5_mT6_T7_P12ihipStream_tbENKUlT_T0_E_clISt17integral_constantIbLb0EES11_EEDaSW_SX_EUlSW_E_NS1_11comp_targetILNS1_3genE5ELNS1_11target_archE942ELNS1_3gpuE9ELNS1_3repE0EEENS1_30default_config_static_selectorELNS0_4arch9wavefront6targetE0EEEvT1_
                                        ; -- End function
	.set _ZN7rocprim17ROCPRIM_400000_NS6detail17trampoline_kernelINS0_14default_configENS1_27scan_by_key_config_selectorIiyEEZZNS1_16scan_by_key_implILNS1_25lookback_scan_determinismE0ELb0ES3_N6thrust23THRUST_200600_302600_NS6detail15normal_iteratorINS9_10device_ptrIiEEEENSB_INSC_IyEEEESG_yNS9_4plusIvEENS9_8equal_toIvEEyEE10hipError_tPvRmT2_T3_T4_T5_mT6_T7_P12ihipStream_tbENKUlT_T0_E_clISt17integral_constantIbLb0EES11_EEDaSW_SX_EUlSW_E_NS1_11comp_targetILNS1_3genE5ELNS1_11target_archE942ELNS1_3gpuE9ELNS1_3repE0EEENS1_30default_config_static_selectorELNS0_4arch9wavefront6targetE0EEEvT1_.num_vgpr, 0
	.set _ZN7rocprim17ROCPRIM_400000_NS6detail17trampoline_kernelINS0_14default_configENS1_27scan_by_key_config_selectorIiyEEZZNS1_16scan_by_key_implILNS1_25lookback_scan_determinismE0ELb0ES3_N6thrust23THRUST_200600_302600_NS6detail15normal_iteratorINS9_10device_ptrIiEEEENSB_INSC_IyEEEESG_yNS9_4plusIvEENS9_8equal_toIvEEyEE10hipError_tPvRmT2_T3_T4_T5_mT6_T7_P12ihipStream_tbENKUlT_T0_E_clISt17integral_constantIbLb0EES11_EEDaSW_SX_EUlSW_E_NS1_11comp_targetILNS1_3genE5ELNS1_11target_archE942ELNS1_3gpuE9ELNS1_3repE0EEENS1_30default_config_static_selectorELNS0_4arch9wavefront6targetE0EEEvT1_.num_agpr, 0
	.set _ZN7rocprim17ROCPRIM_400000_NS6detail17trampoline_kernelINS0_14default_configENS1_27scan_by_key_config_selectorIiyEEZZNS1_16scan_by_key_implILNS1_25lookback_scan_determinismE0ELb0ES3_N6thrust23THRUST_200600_302600_NS6detail15normal_iteratorINS9_10device_ptrIiEEEENSB_INSC_IyEEEESG_yNS9_4plusIvEENS9_8equal_toIvEEyEE10hipError_tPvRmT2_T3_T4_T5_mT6_T7_P12ihipStream_tbENKUlT_T0_E_clISt17integral_constantIbLb0EES11_EEDaSW_SX_EUlSW_E_NS1_11comp_targetILNS1_3genE5ELNS1_11target_archE942ELNS1_3gpuE9ELNS1_3repE0EEENS1_30default_config_static_selectorELNS0_4arch9wavefront6targetE0EEEvT1_.numbered_sgpr, 0
	.set _ZN7rocprim17ROCPRIM_400000_NS6detail17trampoline_kernelINS0_14default_configENS1_27scan_by_key_config_selectorIiyEEZZNS1_16scan_by_key_implILNS1_25lookback_scan_determinismE0ELb0ES3_N6thrust23THRUST_200600_302600_NS6detail15normal_iteratorINS9_10device_ptrIiEEEENSB_INSC_IyEEEESG_yNS9_4plusIvEENS9_8equal_toIvEEyEE10hipError_tPvRmT2_T3_T4_T5_mT6_T7_P12ihipStream_tbENKUlT_T0_E_clISt17integral_constantIbLb0EES11_EEDaSW_SX_EUlSW_E_NS1_11comp_targetILNS1_3genE5ELNS1_11target_archE942ELNS1_3gpuE9ELNS1_3repE0EEENS1_30default_config_static_selectorELNS0_4arch9wavefront6targetE0EEEvT1_.num_named_barrier, 0
	.set _ZN7rocprim17ROCPRIM_400000_NS6detail17trampoline_kernelINS0_14default_configENS1_27scan_by_key_config_selectorIiyEEZZNS1_16scan_by_key_implILNS1_25lookback_scan_determinismE0ELb0ES3_N6thrust23THRUST_200600_302600_NS6detail15normal_iteratorINS9_10device_ptrIiEEEENSB_INSC_IyEEEESG_yNS9_4plusIvEENS9_8equal_toIvEEyEE10hipError_tPvRmT2_T3_T4_T5_mT6_T7_P12ihipStream_tbENKUlT_T0_E_clISt17integral_constantIbLb0EES11_EEDaSW_SX_EUlSW_E_NS1_11comp_targetILNS1_3genE5ELNS1_11target_archE942ELNS1_3gpuE9ELNS1_3repE0EEENS1_30default_config_static_selectorELNS0_4arch9wavefront6targetE0EEEvT1_.private_seg_size, 0
	.set _ZN7rocprim17ROCPRIM_400000_NS6detail17trampoline_kernelINS0_14default_configENS1_27scan_by_key_config_selectorIiyEEZZNS1_16scan_by_key_implILNS1_25lookback_scan_determinismE0ELb0ES3_N6thrust23THRUST_200600_302600_NS6detail15normal_iteratorINS9_10device_ptrIiEEEENSB_INSC_IyEEEESG_yNS9_4plusIvEENS9_8equal_toIvEEyEE10hipError_tPvRmT2_T3_T4_T5_mT6_T7_P12ihipStream_tbENKUlT_T0_E_clISt17integral_constantIbLb0EES11_EEDaSW_SX_EUlSW_E_NS1_11comp_targetILNS1_3genE5ELNS1_11target_archE942ELNS1_3gpuE9ELNS1_3repE0EEENS1_30default_config_static_selectorELNS0_4arch9wavefront6targetE0EEEvT1_.uses_vcc, 0
	.set _ZN7rocprim17ROCPRIM_400000_NS6detail17trampoline_kernelINS0_14default_configENS1_27scan_by_key_config_selectorIiyEEZZNS1_16scan_by_key_implILNS1_25lookback_scan_determinismE0ELb0ES3_N6thrust23THRUST_200600_302600_NS6detail15normal_iteratorINS9_10device_ptrIiEEEENSB_INSC_IyEEEESG_yNS9_4plusIvEENS9_8equal_toIvEEyEE10hipError_tPvRmT2_T3_T4_T5_mT6_T7_P12ihipStream_tbENKUlT_T0_E_clISt17integral_constantIbLb0EES11_EEDaSW_SX_EUlSW_E_NS1_11comp_targetILNS1_3genE5ELNS1_11target_archE942ELNS1_3gpuE9ELNS1_3repE0EEENS1_30default_config_static_selectorELNS0_4arch9wavefront6targetE0EEEvT1_.uses_flat_scratch, 0
	.set _ZN7rocprim17ROCPRIM_400000_NS6detail17trampoline_kernelINS0_14default_configENS1_27scan_by_key_config_selectorIiyEEZZNS1_16scan_by_key_implILNS1_25lookback_scan_determinismE0ELb0ES3_N6thrust23THRUST_200600_302600_NS6detail15normal_iteratorINS9_10device_ptrIiEEEENSB_INSC_IyEEEESG_yNS9_4plusIvEENS9_8equal_toIvEEyEE10hipError_tPvRmT2_T3_T4_T5_mT6_T7_P12ihipStream_tbENKUlT_T0_E_clISt17integral_constantIbLb0EES11_EEDaSW_SX_EUlSW_E_NS1_11comp_targetILNS1_3genE5ELNS1_11target_archE942ELNS1_3gpuE9ELNS1_3repE0EEENS1_30default_config_static_selectorELNS0_4arch9wavefront6targetE0EEEvT1_.has_dyn_sized_stack, 0
	.set _ZN7rocprim17ROCPRIM_400000_NS6detail17trampoline_kernelINS0_14default_configENS1_27scan_by_key_config_selectorIiyEEZZNS1_16scan_by_key_implILNS1_25lookback_scan_determinismE0ELb0ES3_N6thrust23THRUST_200600_302600_NS6detail15normal_iteratorINS9_10device_ptrIiEEEENSB_INSC_IyEEEESG_yNS9_4plusIvEENS9_8equal_toIvEEyEE10hipError_tPvRmT2_T3_T4_T5_mT6_T7_P12ihipStream_tbENKUlT_T0_E_clISt17integral_constantIbLb0EES11_EEDaSW_SX_EUlSW_E_NS1_11comp_targetILNS1_3genE5ELNS1_11target_archE942ELNS1_3gpuE9ELNS1_3repE0EEENS1_30default_config_static_selectorELNS0_4arch9wavefront6targetE0EEEvT1_.has_recursion, 0
	.set _ZN7rocprim17ROCPRIM_400000_NS6detail17trampoline_kernelINS0_14default_configENS1_27scan_by_key_config_selectorIiyEEZZNS1_16scan_by_key_implILNS1_25lookback_scan_determinismE0ELb0ES3_N6thrust23THRUST_200600_302600_NS6detail15normal_iteratorINS9_10device_ptrIiEEEENSB_INSC_IyEEEESG_yNS9_4plusIvEENS9_8equal_toIvEEyEE10hipError_tPvRmT2_T3_T4_T5_mT6_T7_P12ihipStream_tbENKUlT_T0_E_clISt17integral_constantIbLb0EES11_EEDaSW_SX_EUlSW_E_NS1_11comp_targetILNS1_3genE5ELNS1_11target_archE942ELNS1_3gpuE9ELNS1_3repE0EEENS1_30default_config_static_selectorELNS0_4arch9wavefront6targetE0EEEvT1_.has_indirect_call, 0
	.section	.AMDGPU.csdata,"",@progbits
; Kernel info:
; codeLenInByte = 0
; TotalNumSgprs: 0
; NumVgprs: 0
; ScratchSize: 0
; MemoryBound: 0
; FloatMode: 240
; IeeeMode: 1
; LDSByteSize: 0 bytes/workgroup (compile time only)
; SGPRBlocks: 0
; VGPRBlocks: 0
; NumSGPRsForWavesPerEU: 1
; NumVGPRsForWavesPerEU: 1
; Occupancy: 16
; WaveLimiterHint : 0
; COMPUTE_PGM_RSRC2:SCRATCH_EN: 0
; COMPUTE_PGM_RSRC2:USER_SGPR: 6
; COMPUTE_PGM_RSRC2:TRAP_HANDLER: 0
; COMPUTE_PGM_RSRC2:TGID_X_EN: 1
; COMPUTE_PGM_RSRC2:TGID_Y_EN: 0
; COMPUTE_PGM_RSRC2:TGID_Z_EN: 0
; COMPUTE_PGM_RSRC2:TIDIG_COMP_CNT: 0
	.section	.text._ZN7rocprim17ROCPRIM_400000_NS6detail17trampoline_kernelINS0_14default_configENS1_27scan_by_key_config_selectorIiyEEZZNS1_16scan_by_key_implILNS1_25lookback_scan_determinismE0ELb0ES3_N6thrust23THRUST_200600_302600_NS6detail15normal_iteratorINS9_10device_ptrIiEEEENSB_INSC_IyEEEESG_yNS9_4plusIvEENS9_8equal_toIvEEyEE10hipError_tPvRmT2_T3_T4_T5_mT6_T7_P12ihipStream_tbENKUlT_T0_E_clISt17integral_constantIbLb0EES11_EEDaSW_SX_EUlSW_E_NS1_11comp_targetILNS1_3genE4ELNS1_11target_archE910ELNS1_3gpuE8ELNS1_3repE0EEENS1_30default_config_static_selectorELNS0_4arch9wavefront6targetE0EEEvT1_,"axG",@progbits,_ZN7rocprim17ROCPRIM_400000_NS6detail17trampoline_kernelINS0_14default_configENS1_27scan_by_key_config_selectorIiyEEZZNS1_16scan_by_key_implILNS1_25lookback_scan_determinismE0ELb0ES3_N6thrust23THRUST_200600_302600_NS6detail15normal_iteratorINS9_10device_ptrIiEEEENSB_INSC_IyEEEESG_yNS9_4plusIvEENS9_8equal_toIvEEyEE10hipError_tPvRmT2_T3_T4_T5_mT6_T7_P12ihipStream_tbENKUlT_T0_E_clISt17integral_constantIbLb0EES11_EEDaSW_SX_EUlSW_E_NS1_11comp_targetILNS1_3genE4ELNS1_11target_archE910ELNS1_3gpuE8ELNS1_3repE0EEENS1_30default_config_static_selectorELNS0_4arch9wavefront6targetE0EEEvT1_,comdat
	.protected	_ZN7rocprim17ROCPRIM_400000_NS6detail17trampoline_kernelINS0_14default_configENS1_27scan_by_key_config_selectorIiyEEZZNS1_16scan_by_key_implILNS1_25lookback_scan_determinismE0ELb0ES3_N6thrust23THRUST_200600_302600_NS6detail15normal_iteratorINS9_10device_ptrIiEEEENSB_INSC_IyEEEESG_yNS9_4plusIvEENS9_8equal_toIvEEyEE10hipError_tPvRmT2_T3_T4_T5_mT6_T7_P12ihipStream_tbENKUlT_T0_E_clISt17integral_constantIbLb0EES11_EEDaSW_SX_EUlSW_E_NS1_11comp_targetILNS1_3genE4ELNS1_11target_archE910ELNS1_3gpuE8ELNS1_3repE0EEENS1_30default_config_static_selectorELNS0_4arch9wavefront6targetE0EEEvT1_ ; -- Begin function _ZN7rocprim17ROCPRIM_400000_NS6detail17trampoline_kernelINS0_14default_configENS1_27scan_by_key_config_selectorIiyEEZZNS1_16scan_by_key_implILNS1_25lookback_scan_determinismE0ELb0ES3_N6thrust23THRUST_200600_302600_NS6detail15normal_iteratorINS9_10device_ptrIiEEEENSB_INSC_IyEEEESG_yNS9_4plusIvEENS9_8equal_toIvEEyEE10hipError_tPvRmT2_T3_T4_T5_mT6_T7_P12ihipStream_tbENKUlT_T0_E_clISt17integral_constantIbLb0EES11_EEDaSW_SX_EUlSW_E_NS1_11comp_targetILNS1_3genE4ELNS1_11target_archE910ELNS1_3gpuE8ELNS1_3repE0EEENS1_30default_config_static_selectorELNS0_4arch9wavefront6targetE0EEEvT1_
	.globl	_ZN7rocprim17ROCPRIM_400000_NS6detail17trampoline_kernelINS0_14default_configENS1_27scan_by_key_config_selectorIiyEEZZNS1_16scan_by_key_implILNS1_25lookback_scan_determinismE0ELb0ES3_N6thrust23THRUST_200600_302600_NS6detail15normal_iteratorINS9_10device_ptrIiEEEENSB_INSC_IyEEEESG_yNS9_4plusIvEENS9_8equal_toIvEEyEE10hipError_tPvRmT2_T3_T4_T5_mT6_T7_P12ihipStream_tbENKUlT_T0_E_clISt17integral_constantIbLb0EES11_EEDaSW_SX_EUlSW_E_NS1_11comp_targetILNS1_3genE4ELNS1_11target_archE910ELNS1_3gpuE8ELNS1_3repE0EEENS1_30default_config_static_selectorELNS0_4arch9wavefront6targetE0EEEvT1_
	.p2align	8
	.type	_ZN7rocprim17ROCPRIM_400000_NS6detail17trampoline_kernelINS0_14default_configENS1_27scan_by_key_config_selectorIiyEEZZNS1_16scan_by_key_implILNS1_25lookback_scan_determinismE0ELb0ES3_N6thrust23THRUST_200600_302600_NS6detail15normal_iteratorINS9_10device_ptrIiEEEENSB_INSC_IyEEEESG_yNS9_4plusIvEENS9_8equal_toIvEEyEE10hipError_tPvRmT2_T3_T4_T5_mT6_T7_P12ihipStream_tbENKUlT_T0_E_clISt17integral_constantIbLb0EES11_EEDaSW_SX_EUlSW_E_NS1_11comp_targetILNS1_3genE4ELNS1_11target_archE910ELNS1_3gpuE8ELNS1_3repE0EEENS1_30default_config_static_selectorELNS0_4arch9wavefront6targetE0EEEvT1_,@function
_ZN7rocprim17ROCPRIM_400000_NS6detail17trampoline_kernelINS0_14default_configENS1_27scan_by_key_config_selectorIiyEEZZNS1_16scan_by_key_implILNS1_25lookback_scan_determinismE0ELb0ES3_N6thrust23THRUST_200600_302600_NS6detail15normal_iteratorINS9_10device_ptrIiEEEENSB_INSC_IyEEEESG_yNS9_4plusIvEENS9_8equal_toIvEEyEE10hipError_tPvRmT2_T3_T4_T5_mT6_T7_P12ihipStream_tbENKUlT_T0_E_clISt17integral_constantIbLb0EES11_EEDaSW_SX_EUlSW_E_NS1_11comp_targetILNS1_3genE4ELNS1_11target_archE910ELNS1_3gpuE8ELNS1_3repE0EEENS1_30default_config_static_selectorELNS0_4arch9wavefront6targetE0EEEvT1_: ; @_ZN7rocprim17ROCPRIM_400000_NS6detail17trampoline_kernelINS0_14default_configENS1_27scan_by_key_config_selectorIiyEEZZNS1_16scan_by_key_implILNS1_25lookback_scan_determinismE0ELb0ES3_N6thrust23THRUST_200600_302600_NS6detail15normal_iteratorINS9_10device_ptrIiEEEENSB_INSC_IyEEEESG_yNS9_4plusIvEENS9_8equal_toIvEEyEE10hipError_tPvRmT2_T3_T4_T5_mT6_T7_P12ihipStream_tbENKUlT_T0_E_clISt17integral_constantIbLb0EES11_EEDaSW_SX_EUlSW_E_NS1_11comp_targetILNS1_3genE4ELNS1_11target_archE910ELNS1_3gpuE8ELNS1_3repE0EEENS1_30default_config_static_selectorELNS0_4arch9wavefront6targetE0EEEvT1_
; %bb.0:
	.section	.rodata,"a",@progbits
	.p2align	6, 0x0
	.amdhsa_kernel _ZN7rocprim17ROCPRIM_400000_NS6detail17trampoline_kernelINS0_14default_configENS1_27scan_by_key_config_selectorIiyEEZZNS1_16scan_by_key_implILNS1_25lookback_scan_determinismE0ELb0ES3_N6thrust23THRUST_200600_302600_NS6detail15normal_iteratorINS9_10device_ptrIiEEEENSB_INSC_IyEEEESG_yNS9_4plusIvEENS9_8equal_toIvEEyEE10hipError_tPvRmT2_T3_T4_T5_mT6_T7_P12ihipStream_tbENKUlT_T0_E_clISt17integral_constantIbLb0EES11_EEDaSW_SX_EUlSW_E_NS1_11comp_targetILNS1_3genE4ELNS1_11target_archE910ELNS1_3gpuE8ELNS1_3repE0EEENS1_30default_config_static_selectorELNS0_4arch9wavefront6targetE0EEEvT1_
		.amdhsa_group_segment_fixed_size 0
		.amdhsa_private_segment_fixed_size 0
		.amdhsa_kernarg_size 136
		.amdhsa_user_sgpr_count 6
		.amdhsa_user_sgpr_private_segment_buffer 1
		.amdhsa_user_sgpr_dispatch_ptr 0
		.amdhsa_user_sgpr_queue_ptr 0
		.amdhsa_user_sgpr_kernarg_segment_ptr 1
		.amdhsa_user_sgpr_dispatch_id 0
		.amdhsa_user_sgpr_flat_scratch_init 0
		.amdhsa_user_sgpr_private_segment_size 0
		.amdhsa_wavefront_size32 1
		.amdhsa_uses_dynamic_stack 0
		.amdhsa_system_sgpr_private_segment_wavefront_offset 0
		.amdhsa_system_sgpr_workgroup_id_x 1
		.amdhsa_system_sgpr_workgroup_id_y 0
		.amdhsa_system_sgpr_workgroup_id_z 0
		.amdhsa_system_sgpr_workgroup_info 0
		.amdhsa_system_vgpr_workitem_id 0
		.amdhsa_next_free_vgpr 1
		.amdhsa_next_free_sgpr 1
		.amdhsa_reserve_vcc 0
		.amdhsa_reserve_flat_scratch 0
		.amdhsa_float_round_mode_32 0
		.amdhsa_float_round_mode_16_64 0
		.amdhsa_float_denorm_mode_32 3
		.amdhsa_float_denorm_mode_16_64 3
		.amdhsa_dx10_clamp 1
		.amdhsa_ieee_mode 1
		.amdhsa_fp16_overflow 0
		.amdhsa_workgroup_processor_mode 1
		.amdhsa_memory_ordered 1
		.amdhsa_forward_progress 1
		.amdhsa_shared_vgpr_count 0
		.amdhsa_exception_fp_ieee_invalid_op 0
		.amdhsa_exception_fp_denorm_src 0
		.amdhsa_exception_fp_ieee_div_zero 0
		.amdhsa_exception_fp_ieee_overflow 0
		.amdhsa_exception_fp_ieee_underflow 0
		.amdhsa_exception_fp_ieee_inexact 0
		.amdhsa_exception_int_div_zero 0
	.end_amdhsa_kernel
	.section	.text._ZN7rocprim17ROCPRIM_400000_NS6detail17trampoline_kernelINS0_14default_configENS1_27scan_by_key_config_selectorIiyEEZZNS1_16scan_by_key_implILNS1_25lookback_scan_determinismE0ELb0ES3_N6thrust23THRUST_200600_302600_NS6detail15normal_iteratorINS9_10device_ptrIiEEEENSB_INSC_IyEEEESG_yNS9_4plusIvEENS9_8equal_toIvEEyEE10hipError_tPvRmT2_T3_T4_T5_mT6_T7_P12ihipStream_tbENKUlT_T0_E_clISt17integral_constantIbLb0EES11_EEDaSW_SX_EUlSW_E_NS1_11comp_targetILNS1_3genE4ELNS1_11target_archE910ELNS1_3gpuE8ELNS1_3repE0EEENS1_30default_config_static_selectorELNS0_4arch9wavefront6targetE0EEEvT1_,"axG",@progbits,_ZN7rocprim17ROCPRIM_400000_NS6detail17trampoline_kernelINS0_14default_configENS1_27scan_by_key_config_selectorIiyEEZZNS1_16scan_by_key_implILNS1_25lookback_scan_determinismE0ELb0ES3_N6thrust23THRUST_200600_302600_NS6detail15normal_iteratorINS9_10device_ptrIiEEEENSB_INSC_IyEEEESG_yNS9_4plusIvEENS9_8equal_toIvEEyEE10hipError_tPvRmT2_T3_T4_T5_mT6_T7_P12ihipStream_tbENKUlT_T0_E_clISt17integral_constantIbLb0EES11_EEDaSW_SX_EUlSW_E_NS1_11comp_targetILNS1_3genE4ELNS1_11target_archE910ELNS1_3gpuE8ELNS1_3repE0EEENS1_30default_config_static_selectorELNS0_4arch9wavefront6targetE0EEEvT1_,comdat
.Lfunc_end1179:
	.size	_ZN7rocprim17ROCPRIM_400000_NS6detail17trampoline_kernelINS0_14default_configENS1_27scan_by_key_config_selectorIiyEEZZNS1_16scan_by_key_implILNS1_25lookback_scan_determinismE0ELb0ES3_N6thrust23THRUST_200600_302600_NS6detail15normal_iteratorINS9_10device_ptrIiEEEENSB_INSC_IyEEEESG_yNS9_4plusIvEENS9_8equal_toIvEEyEE10hipError_tPvRmT2_T3_T4_T5_mT6_T7_P12ihipStream_tbENKUlT_T0_E_clISt17integral_constantIbLb0EES11_EEDaSW_SX_EUlSW_E_NS1_11comp_targetILNS1_3genE4ELNS1_11target_archE910ELNS1_3gpuE8ELNS1_3repE0EEENS1_30default_config_static_selectorELNS0_4arch9wavefront6targetE0EEEvT1_, .Lfunc_end1179-_ZN7rocprim17ROCPRIM_400000_NS6detail17trampoline_kernelINS0_14default_configENS1_27scan_by_key_config_selectorIiyEEZZNS1_16scan_by_key_implILNS1_25lookback_scan_determinismE0ELb0ES3_N6thrust23THRUST_200600_302600_NS6detail15normal_iteratorINS9_10device_ptrIiEEEENSB_INSC_IyEEEESG_yNS9_4plusIvEENS9_8equal_toIvEEyEE10hipError_tPvRmT2_T3_T4_T5_mT6_T7_P12ihipStream_tbENKUlT_T0_E_clISt17integral_constantIbLb0EES11_EEDaSW_SX_EUlSW_E_NS1_11comp_targetILNS1_3genE4ELNS1_11target_archE910ELNS1_3gpuE8ELNS1_3repE0EEENS1_30default_config_static_selectorELNS0_4arch9wavefront6targetE0EEEvT1_
                                        ; -- End function
	.set _ZN7rocprim17ROCPRIM_400000_NS6detail17trampoline_kernelINS0_14default_configENS1_27scan_by_key_config_selectorIiyEEZZNS1_16scan_by_key_implILNS1_25lookback_scan_determinismE0ELb0ES3_N6thrust23THRUST_200600_302600_NS6detail15normal_iteratorINS9_10device_ptrIiEEEENSB_INSC_IyEEEESG_yNS9_4plusIvEENS9_8equal_toIvEEyEE10hipError_tPvRmT2_T3_T4_T5_mT6_T7_P12ihipStream_tbENKUlT_T0_E_clISt17integral_constantIbLb0EES11_EEDaSW_SX_EUlSW_E_NS1_11comp_targetILNS1_3genE4ELNS1_11target_archE910ELNS1_3gpuE8ELNS1_3repE0EEENS1_30default_config_static_selectorELNS0_4arch9wavefront6targetE0EEEvT1_.num_vgpr, 0
	.set _ZN7rocprim17ROCPRIM_400000_NS6detail17trampoline_kernelINS0_14default_configENS1_27scan_by_key_config_selectorIiyEEZZNS1_16scan_by_key_implILNS1_25lookback_scan_determinismE0ELb0ES3_N6thrust23THRUST_200600_302600_NS6detail15normal_iteratorINS9_10device_ptrIiEEEENSB_INSC_IyEEEESG_yNS9_4plusIvEENS9_8equal_toIvEEyEE10hipError_tPvRmT2_T3_T4_T5_mT6_T7_P12ihipStream_tbENKUlT_T0_E_clISt17integral_constantIbLb0EES11_EEDaSW_SX_EUlSW_E_NS1_11comp_targetILNS1_3genE4ELNS1_11target_archE910ELNS1_3gpuE8ELNS1_3repE0EEENS1_30default_config_static_selectorELNS0_4arch9wavefront6targetE0EEEvT1_.num_agpr, 0
	.set _ZN7rocprim17ROCPRIM_400000_NS6detail17trampoline_kernelINS0_14default_configENS1_27scan_by_key_config_selectorIiyEEZZNS1_16scan_by_key_implILNS1_25lookback_scan_determinismE0ELb0ES3_N6thrust23THRUST_200600_302600_NS6detail15normal_iteratorINS9_10device_ptrIiEEEENSB_INSC_IyEEEESG_yNS9_4plusIvEENS9_8equal_toIvEEyEE10hipError_tPvRmT2_T3_T4_T5_mT6_T7_P12ihipStream_tbENKUlT_T0_E_clISt17integral_constantIbLb0EES11_EEDaSW_SX_EUlSW_E_NS1_11comp_targetILNS1_3genE4ELNS1_11target_archE910ELNS1_3gpuE8ELNS1_3repE0EEENS1_30default_config_static_selectorELNS0_4arch9wavefront6targetE0EEEvT1_.numbered_sgpr, 0
	.set _ZN7rocprim17ROCPRIM_400000_NS6detail17trampoline_kernelINS0_14default_configENS1_27scan_by_key_config_selectorIiyEEZZNS1_16scan_by_key_implILNS1_25lookback_scan_determinismE0ELb0ES3_N6thrust23THRUST_200600_302600_NS6detail15normal_iteratorINS9_10device_ptrIiEEEENSB_INSC_IyEEEESG_yNS9_4plusIvEENS9_8equal_toIvEEyEE10hipError_tPvRmT2_T3_T4_T5_mT6_T7_P12ihipStream_tbENKUlT_T0_E_clISt17integral_constantIbLb0EES11_EEDaSW_SX_EUlSW_E_NS1_11comp_targetILNS1_3genE4ELNS1_11target_archE910ELNS1_3gpuE8ELNS1_3repE0EEENS1_30default_config_static_selectorELNS0_4arch9wavefront6targetE0EEEvT1_.num_named_barrier, 0
	.set _ZN7rocprim17ROCPRIM_400000_NS6detail17trampoline_kernelINS0_14default_configENS1_27scan_by_key_config_selectorIiyEEZZNS1_16scan_by_key_implILNS1_25lookback_scan_determinismE0ELb0ES3_N6thrust23THRUST_200600_302600_NS6detail15normal_iteratorINS9_10device_ptrIiEEEENSB_INSC_IyEEEESG_yNS9_4plusIvEENS9_8equal_toIvEEyEE10hipError_tPvRmT2_T3_T4_T5_mT6_T7_P12ihipStream_tbENKUlT_T0_E_clISt17integral_constantIbLb0EES11_EEDaSW_SX_EUlSW_E_NS1_11comp_targetILNS1_3genE4ELNS1_11target_archE910ELNS1_3gpuE8ELNS1_3repE0EEENS1_30default_config_static_selectorELNS0_4arch9wavefront6targetE0EEEvT1_.private_seg_size, 0
	.set _ZN7rocprim17ROCPRIM_400000_NS6detail17trampoline_kernelINS0_14default_configENS1_27scan_by_key_config_selectorIiyEEZZNS1_16scan_by_key_implILNS1_25lookback_scan_determinismE0ELb0ES3_N6thrust23THRUST_200600_302600_NS6detail15normal_iteratorINS9_10device_ptrIiEEEENSB_INSC_IyEEEESG_yNS9_4plusIvEENS9_8equal_toIvEEyEE10hipError_tPvRmT2_T3_T4_T5_mT6_T7_P12ihipStream_tbENKUlT_T0_E_clISt17integral_constantIbLb0EES11_EEDaSW_SX_EUlSW_E_NS1_11comp_targetILNS1_3genE4ELNS1_11target_archE910ELNS1_3gpuE8ELNS1_3repE0EEENS1_30default_config_static_selectorELNS0_4arch9wavefront6targetE0EEEvT1_.uses_vcc, 0
	.set _ZN7rocprim17ROCPRIM_400000_NS6detail17trampoline_kernelINS0_14default_configENS1_27scan_by_key_config_selectorIiyEEZZNS1_16scan_by_key_implILNS1_25lookback_scan_determinismE0ELb0ES3_N6thrust23THRUST_200600_302600_NS6detail15normal_iteratorINS9_10device_ptrIiEEEENSB_INSC_IyEEEESG_yNS9_4plusIvEENS9_8equal_toIvEEyEE10hipError_tPvRmT2_T3_T4_T5_mT6_T7_P12ihipStream_tbENKUlT_T0_E_clISt17integral_constantIbLb0EES11_EEDaSW_SX_EUlSW_E_NS1_11comp_targetILNS1_3genE4ELNS1_11target_archE910ELNS1_3gpuE8ELNS1_3repE0EEENS1_30default_config_static_selectorELNS0_4arch9wavefront6targetE0EEEvT1_.uses_flat_scratch, 0
	.set _ZN7rocprim17ROCPRIM_400000_NS6detail17trampoline_kernelINS0_14default_configENS1_27scan_by_key_config_selectorIiyEEZZNS1_16scan_by_key_implILNS1_25lookback_scan_determinismE0ELb0ES3_N6thrust23THRUST_200600_302600_NS6detail15normal_iteratorINS9_10device_ptrIiEEEENSB_INSC_IyEEEESG_yNS9_4plusIvEENS9_8equal_toIvEEyEE10hipError_tPvRmT2_T3_T4_T5_mT6_T7_P12ihipStream_tbENKUlT_T0_E_clISt17integral_constantIbLb0EES11_EEDaSW_SX_EUlSW_E_NS1_11comp_targetILNS1_3genE4ELNS1_11target_archE910ELNS1_3gpuE8ELNS1_3repE0EEENS1_30default_config_static_selectorELNS0_4arch9wavefront6targetE0EEEvT1_.has_dyn_sized_stack, 0
	.set _ZN7rocprim17ROCPRIM_400000_NS6detail17trampoline_kernelINS0_14default_configENS1_27scan_by_key_config_selectorIiyEEZZNS1_16scan_by_key_implILNS1_25lookback_scan_determinismE0ELb0ES3_N6thrust23THRUST_200600_302600_NS6detail15normal_iteratorINS9_10device_ptrIiEEEENSB_INSC_IyEEEESG_yNS9_4plusIvEENS9_8equal_toIvEEyEE10hipError_tPvRmT2_T3_T4_T5_mT6_T7_P12ihipStream_tbENKUlT_T0_E_clISt17integral_constantIbLb0EES11_EEDaSW_SX_EUlSW_E_NS1_11comp_targetILNS1_3genE4ELNS1_11target_archE910ELNS1_3gpuE8ELNS1_3repE0EEENS1_30default_config_static_selectorELNS0_4arch9wavefront6targetE0EEEvT1_.has_recursion, 0
	.set _ZN7rocprim17ROCPRIM_400000_NS6detail17trampoline_kernelINS0_14default_configENS1_27scan_by_key_config_selectorIiyEEZZNS1_16scan_by_key_implILNS1_25lookback_scan_determinismE0ELb0ES3_N6thrust23THRUST_200600_302600_NS6detail15normal_iteratorINS9_10device_ptrIiEEEENSB_INSC_IyEEEESG_yNS9_4plusIvEENS9_8equal_toIvEEyEE10hipError_tPvRmT2_T3_T4_T5_mT6_T7_P12ihipStream_tbENKUlT_T0_E_clISt17integral_constantIbLb0EES11_EEDaSW_SX_EUlSW_E_NS1_11comp_targetILNS1_3genE4ELNS1_11target_archE910ELNS1_3gpuE8ELNS1_3repE0EEENS1_30default_config_static_selectorELNS0_4arch9wavefront6targetE0EEEvT1_.has_indirect_call, 0
	.section	.AMDGPU.csdata,"",@progbits
; Kernel info:
; codeLenInByte = 0
; TotalNumSgprs: 0
; NumVgprs: 0
; ScratchSize: 0
; MemoryBound: 0
; FloatMode: 240
; IeeeMode: 1
; LDSByteSize: 0 bytes/workgroup (compile time only)
; SGPRBlocks: 0
; VGPRBlocks: 0
; NumSGPRsForWavesPerEU: 1
; NumVGPRsForWavesPerEU: 1
; Occupancy: 16
; WaveLimiterHint : 0
; COMPUTE_PGM_RSRC2:SCRATCH_EN: 0
; COMPUTE_PGM_RSRC2:USER_SGPR: 6
; COMPUTE_PGM_RSRC2:TRAP_HANDLER: 0
; COMPUTE_PGM_RSRC2:TGID_X_EN: 1
; COMPUTE_PGM_RSRC2:TGID_Y_EN: 0
; COMPUTE_PGM_RSRC2:TGID_Z_EN: 0
; COMPUTE_PGM_RSRC2:TIDIG_COMP_CNT: 0
	.section	.text._ZN7rocprim17ROCPRIM_400000_NS6detail17trampoline_kernelINS0_14default_configENS1_27scan_by_key_config_selectorIiyEEZZNS1_16scan_by_key_implILNS1_25lookback_scan_determinismE0ELb0ES3_N6thrust23THRUST_200600_302600_NS6detail15normal_iteratorINS9_10device_ptrIiEEEENSB_INSC_IyEEEESG_yNS9_4plusIvEENS9_8equal_toIvEEyEE10hipError_tPvRmT2_T3_T4_T5_mT6_T7_P12ihipStream_tbENKUlT_T0_E_clISt17integral_constantIbLb0EES11_EEDaSW_SX_EUlSW_E_NS1_11comp_targetILNS1_3genE3ELNS1_11target_archE908ELNS1_3gpuE7ELNS1_3repE0EEENS1_30default_config_static_selectorELNS0_4arch9wavefront6targetE0EEEvT1_,"axG",@progbits,_ZN7rocprim17ROCPRIM_400000_NS6detail17trampoline_kernelINS0_14default_configENS1_27scan_by_key_config_selectorIiyEEZZNS1_16scan_by_key_implILNS1_25lookback_scan_determinismE0ELb0ES3_N6thrust23THRUST_200600_302600_NS6detail15normal_iteratorINS9_10device_ptrIiEEEENSB_INSC_IyEEEESG_yNS9_4plusIvEENS9_8equal_toIvEEyEE10hipError_tPvRmT2_T3_T4_T5_mT6_T7_P12ihipStream_tbENKUlT_T0_E_clISt17integral_constantIbLb0EES11_EEDaSW_SX_EUlSW_E_NS1_11comp_targetILNS1_3genE3ELNS1_11target_archE908ELNS1_3gpuE7ELNS1_3repE0EEENS1_30default_config_static_selectorELNS0_4arch9wavefront6targetE0EEEvT1_,comdat
	.protected	_ZN7rocprim17ROCPRIM_400000_NS6detail17trampoline_kernelINS0_14default_configENS1_27scan_by_key_config_selectorIiyEEZZNS1_16scan_by_key_implILNS1_25lookback_scan_determinismE0ELb0ES3_N6thrust23THRUST_200600_302600_NS6detail15normal_iteratorINS9_10device_ptrIiEEEENSB_INSC_IyEEEESG_yNS9_4plusIvEENS9_8equal_toIvEEyEE10hipError_tPvRmT2_T3_T4_T5_mT6_T7_P12ihipStream_tbENKUlT_T0_E_clISt17integral_constantIbLb0EES11_EEDaSW_SX_EUlSW_E_NS1_11comp_targetILNS1_3genE3ELNS1_11target_archE908ELNS1_3gpuE7ELNS1_3repE0EEENS1_30default_config_static_selectorELNS0_4arch9wavefront6targetE0EEEvT1_ ; -- Begin function _ZN7rocprim17ROCPRIM_400000_NS6detail17trampoline_kernelINS0_14default_configENS1_27scan_by_key_config_selectorIiyEEZZNS1_16scan_by_key_implILNS1_25lookback_scan_determinismE0ELb0ES3_N6thrust23THRUST_200600_302600_NS6detail15normal_iteratorINS9_10device_ptrIiEEEENSB_INSC_IyEEEESG_yNS9_4plusIvEENS9_8equal_toIvEEyEE10hipError_tPvRmT2_T3_T4_T5_mT6_T7_P12ihipStream_tbENKUlT_T0_E_clISt17integral_constantIbLb0EES11_EEDaSW_SX_EUlSW_E_NS1_11comp_targetILNS1_3genE3ELNS1_11target_archE908ELNS1_3gpuE7ELNS1_3repE0EEENS1_30default_config_static_selectorELNS0_4arch9wavefront6targetE0EEEvT1_
	.globl	_ZN7rocprim17ROCPRIM_400000_NS6detail17trampoline_kernelINS0_14default_configENS1_27scan_by_key_config_selectorIiyEEZZNS1_16scan_by_key_implILNS1_25lookback_scan_determinismE0ELb0ES3_N6thrust23THRUST_200600_302600_NS6detail15normal_iteratorINS9_10device_ptrIiEEEENSB_INSC_IyEEEESG_yNS9_4plusIvEENS9_8equal_toIvEEyEE10hipError_tPvRmT2_T3_T4_T5_mT6_T7_P12ihipStream_tbENKUlT_T0_E_clISt17integral_constantIbLb0EES11_EEDaSW_SX_EUlSW_E_NS1_11comp_targetILNS1_3genE3ELNS1_11target_archE908ELNS1_3gpuE7ELNS1_3repE0EEENS1_30default_config_static_selectorELNS0_4arch9wavefront6targetE0EEEvT1_
	.p2align	8
	.type	_ZN7rocprim17ROCPRIM_400000_NS6detail17trampoline_kernelINS0_14default_configENS1_27scan_by_key_config_selectorIiyEEZZNS1_16scan_by_key_implILNS1_25lookback_scan_determinismE0ELb0ES3_N6thrust23THRUST_200600_302600_NS6detail15normal_iteratorINS9_10device_ptrIiEEEENSB_INSC_IyEEEESG_yNS9_4plusIvEENS9_8equal_toIvEEyEE10hipError_tPvRmT2_T3_T4_T5_mT6_T7_P12ihipStream_tbENKUlT_T0_E_clISt17integral_constantIbLb0EES11_EEDaSW_SX_EUlSW_E_NS1_11comp_targetILNS1_3genE3ELNS1_11target_archE908ELNS1_3gpuE7ELNS1_3repE0EEENS1_30default_config_static_selectorELNS0_4arch9wavefront6targetE0EEEvT1_,@function
_ZN7rocprim17ROCPRIM_400000_NS6detail17trampoline_kernelINS0_14default_configENS1_27scan_by_key_config_selectorIiyEEZZNS1_16scan_by_key_implILNS1_25lookback_scan_determinismE0ELb0ES3_N6thrust23THRUST_200600_302600_NS6detail15normal_iteratorINS9_10device_ptrIiEEEENSB_INSC_IyEEEESG_yNS9_4plusIvEENS9_8equal_toIvEEyEE10hipError_tPvRmT2_T3_T4_T5_mT6_T7_P12ihipStream_tbENKUlT_T0_E_clISt17integral_constantIbLb0EES11_EEDaSW_SX_EUlSW_E_NS1_11comp_targetILNS1_3genE3ELNS1_11target_archE908ELNS1_3gpuE7ELNS1_3repE0EEENS1_30default_config_static_selectorELNS0_4arch9wavefront6targetE0EEEvT1_: ; @_ZN7rocprim17ROCPRIM_400000_NS6detail17trampoline_kernelINS0_14default_configENS1_27scan_by_key_config_selectorIiyEEZZNS1_16scan_by_key_implILNS1_25lookback_scan_determinismE0ELb0ES3_N6thrust23THRUST_200600_302600_NS6detail15normal_iteratorINS9_10device_ptrIiEEEENSB_INSC_IyEEEESG_yNS9_4plusIvEENS9_8equal_toIvEEyEE10hipError_tPvRmT2_T3_T4_T5_mT6_T7_P12ihipStream_tbENKUlT_T0_E_clISt17integral_constantIbLb0EES11_EEDaSW_SX_EUlSW_E_NS1_11comp_targetILNS1_3genE3ELNS1_11target_archE908ELNS1_3gpuE7ELNS1_3repE0EEENS1_30default_config_static_selectorELNS0_4arch9wavefront6targetE0EEEvT1_
; %bb.0:
	.section	.rodata,"a",@progbits
	.p2align	6, 0x0
	.amdhsa_kernel _ZN7rocprim17ROCPRIM_400000_NS6detail17trampoline_kernelINS0_14default_configENS1_27scan_by_key_config_selectorIiyEEZZNS1_16scan_by_key_implILNS1_25lookback_scan_determinismE0ELb0ES3_N6thrust23THRUST_200600_302600_NS6detail15normal_iteratorINS9_10device_ptrIiEEEENSB_INSC_IyEEEESG_yNS9_4plusIvEENS9_8equal_toIvEEyEE10hipError_tPvRmT2_T3_T4_T5_mT6_T7_P12ihipStream_tbENKUlT_T0_E_clISt17integral_constantIbLb0EES11_EEDaSW_SX_EUlSW_E_NS1_11comp_targetILNS1_3genE3ELNS1_11target_archE908ELNS1_3gpuE7ELNS1_3repE0EEENS1_30default_config_static_selectorELNS0_4arch9wavefront6targetE0EEEvT1_
		.amdhsa_group_segment_fixed_size 0
		.amdhsa_private_segment_fixed_size 0
		.amdhsa_kernarg_size 136
		.amdhsa_user_sgpr_count 6
		.amdhsa_user_sgpr_private_segment_buffer 1
		.amdhsa_user_sgpr_dispatch_ptr 0
		.amdhsa_user_sgpr_queue_ptr 0
		.amdhsa_user_sgpr_kernarg_segment_ptr 1
		.amdhsa_user_sgpr_dispatch_id 0
		.amdhsa_user_sgpr_flat_scratch_init 0
		.amdhsa_user_sgpr_private_segment_size 0
		.amdhsa_wavefront_size32 1
		.amdhsa_uses_dynamic_stack 0
		.amdhsa_system_sgpr_private_segment_wavefront_offset 0
		.amdhsa_system_sgpr_workgroup_id_x 1
		.amdhsa_system_sgpr_workgroup_id_y 0
		.amdhsa_system_sgpr_workgroup_id_z 0
		.amdhsa_system_sgpr_workgroup_info 0
		.amdhsa_system_vgpr_workitem_id 0
		.amdhsa_next_free_vgpr 1
		.amdhsa_next_free_sgpr 1
		.amdhsa_reserve_vcc 0
		.amdhsa_reserve_flat_scratch 0
		.amdhsa_float_round_mode_32 0
		.amdhsa_float_round_mode_16_64 0
		.amdhsa_float_denorm_mode_32 3
		.amdhsa_float_denorm_mode_16_64 3
		.amdhsa_dx10_clamp 1
		.amdhsa_ieee_mode 1
		.amdhsa_fp16_overflow 0
		.amdhsa_workgroup_processor_mode 1
		.amdhsa_memory_ordered 1
		.amdhsa_forward_progress 1
		.amdhsa_shared_vgpr_count 0
		.amdhsa_exception_fp_ieee_invalid_op 0
		.amdhsa_exception_fp_denorm_src 0
		.amdhsa_exception_fp_ieee_div_zero 0
		.amdhsa_exception_fp_ieee_overflow 0
		.amdhsa_exception_fp_ieee_underflow 0
		.amdhsa_exception_fp_ieee_inexact 0
		.amdhsa_exception_int_div_zero 0
	.end_amdhsa_kernel
	.section	.text._ZN7rocprim17ROCPRIM_400000_NS6detail17trampoline_kernelINS0_14default_configENS1_27scan_by_key_config_selectorIiyEEZZNS1_16scan_by_key_implILNS1_25lookback_scan_determinismE0ELb0ES3_N6thrust23THRUST_200600_302600_NS6detail15normal_iteratorINS9_10device_ptrIiEEEENSB_INSC_IyEEEESG_yNS9_4plusIvEENS9_8equal_toIvEEyEE10hipError_tPvRmT2_T3_T4_T5_mT6_T7_P12ihipStream_tbENKUlT_T0_E_clISt17integral_constantIbLb0EES11_EEDaSW_SX_EUlSW_E_NS1_11comp_targetILNS1_3genE3ELNS1_11target_archE908ELNS1_3gpuE7ELNS1_3repE0EEENS1_30default_config_static_selectorELNS0_4arch9wavefront6targetE0EEEvT1_,"axG",@progbits,_ZN7rocprim17ROCPRIM_400000_NS6detail17trampoline_kernelINS0_14default_configENS1_27scan_by_key_config_selectorIiyEEZZNS1_16scan_by_key_implILNS1_25lookback_scan_determinismE0ELb0ES3_N6thrust23THRUST_200600_302600_NS6detail15normal_iteratorINS9_10device_ptrIiEEEENSB_INSC_IyEEEESG_yNS9_4plusIvEENS9_8equal_toIvEEyEE10hipError_tPvRmT2_T3_T4_T5_mT6_T7_P12ihipStream_tbENKUlT_T0_E_clISt17integral_constantIbLb0EES11_EEDaSW_SX_EUlSW_E_NS1_11comp_targetILNS1_3genE3ELNS1_11target_archE908ELNS1_3gpuE7ELNS1_3repE0EEENS1_30default_config_static_selectorELNS0_4arch9wavefront6targetE0EEEvT1_,comdat
.Lfunc_end1180:
	.size	_ZN7rocprim17ROCPRIM_400000_NS6detail17trampoline_kernelINS0_14default_configENS1_27scan_by_key_config_selectorIiyEEZZNS1_16scan_by_key_implILNS1_25lookback_scan_determinismE0ELb0ES3_N6thrust23THRUST_200600_302600_NS6detail15normal_iteratorINS9_10device_ptrIiEEEENSB_INSC_IyEEEESG_yNS9_4plusIvEENS9_8equal_toIvEEyEE10hipError_tPvRmT2_T3_T4_T5_mT6_T7_P12ihipStream_tbENKUlT_T0_E_clISt17integral_constantIbLb0EES11_EEDaSW_SX_EUlSW_E_NS1_11comp_targetILNS1_3genE3ELNS1_11target_archE908ELNS1_3gpuE7ELNS1_3repE0EEENS1_30default_config_static_selectorELNS0_4arch9wavefront6targetE0EEEvT1_, .Lfunc_end1180-_ZN7rocprim17ROCPRIM_400000_NS6detail17trampoline_kernelINS0_14default_configENS1_27scan_by_key_config_selectorIiyEEZZNS1_16scan_by_key_implILNS1_25lookback_scan_determinismE0ELb0ES3_N6thrust23THRUST_200600_302600_NS6detail15normal_iteratorINS9_10device_ptrIiEEEENSB_INSC_IyEEEESG_yNS9_4plusIvEENS9_8equal_toIvEEyEE10hipError_tPvRmT2_T3_T4_T5_mT6_T7_P12ihipStream_tbENKUlT_T0_E_clISt17integral_constantIbLb0EES11_EEDaSW_SX_EUlSW_E_NS1_11comp_targetILNS1_3genE3ELNS1_11target_archE908ELNS1_3gpuE7ELNS1_3repE0EEENS1_30default_config_static_selectorELNS0_4arch9wavefront6targetE0EEEvT1_
                                        ; -- End function
	.set _ZN7rocprim17ROCPRIM_400000_NS6detail17trampoline_kernelINS0_14default_configENS1_27scan_by_key_config_selectorIiyEEZZNS1_16scan_by_key_implILNS1_25lookback_scan_determinismE0ELb0ES3_N6thrust23THRUST_200600_302600_NS6detail15normal_iteratorINS9_10device_ptrIiEEEENSB_INSC_IyEEEESG_yNS9_4plusIvEENS9_8equal_toIvEEyEE10hipError_tPvRmT2_T3_T4_T5_mT6_T7_P12ihipStream_tbENKUlT_T0_E_clISt17integral_constantIbLb0EES11_EEDaSW_SX_EUlSW_E_NS1_11comp_targetILNS1_3genE3ELNS1_11target_archE908ELNS1_3gpuE7ELNS1_3repE0EEENS1_30default_config_static_selectorELNS0_4arch9wavefront6targetE0EEEvT1_.num_vgpr, 0
	.set _ZN7rocprim17ROCPRIM_400000_NS6detail17trampoline_kernelINS0_14default_configENS1_27scan_by_key_config_selectorIiyEEZZNS1_16scan_by_key_implILNS1_25lookback_scan_determinismE0ELb0ES3_N6thrust23THRUST_200600_302600_NS6detail15normal_iteratorINS9_10device_ptrIiEEEENSB_INSC_IyEEEESG_yNS9_4plusIvEENS9_8equal_toIvEEyEE10hipError_tPvRmT2_T3_T4_T5_mT6_T7_P12ihipStream_tbENKUlT_T0_E_clISt17integral_constantIbLb0EES11_EEDaSW_SX_EUlSW_E_NS1_11comp_targetILNS1_3genE3ELNS1_11target_archE908ELNS1_3gpuE7ELNS1_3repE0EEENS1_30default_config_static_selectorELNS0_4arch9wavefront6targetE0EEEvT1_.num_agpr, 0
	.set _ZN7rocprim17ROCPRIM_400000_NS6detail17trampoline_kernelINS0_14default_configENS1_27scan_by_key_config_selectorIiyEEZZNS1_16scan_by_key_implILNS1_25lookback_scan_determinismE0ELb0ES3_N6thrust23THRUST_200600_302600_NS6detail15normal_iteratorINS9_10device_ptrIiEEEENSB_INSC_IyEEEESG_yNS9_4plusIvEENS9_8equal_toIvEEyEE10hipError_tPvRmT2_T3_T4_T5_mT6_T7_P12ihipStream_tbENKUlT_T0_E_clISt17integral_constantIbLb0EES11_EEDaSW_SX_EUlSW_E_NS1_11comp_targetILNS1_3genE3ELNS1_11target_archE908ELNS1_3gpuE7ELNS1_3repE0EEENS1_30default_config_static_selectorELNS0_4arch9wavefront6targetE0EEEvT1_.numbered_sgpr, 0
	.set _ZN7rocprim17ROCPRIM_400000_NS6detail17trampoline_kernelINS0_14default_configENS1_27scan_by_key_config_selectorIiyEEZZNS1_16scan_by_key_implILNS1_25lookback_scan_determinismE0ELb0ES3_N6thrust23THRUST_200600_302600_NS6detail15normal_iteratorINS9_10device_ptrIiEEEENSB_INSC_IyEEEESG_yNS9_4plusIvEENS9_8equal_toIvEEyEE10hipError_tPvRmT2_T3_T4_T5_mT6_T7_P12ihipStream_tbENKUlT_T0_E_clISt17integral_constantIbLb0EES11_EEDaSW_SX_EUlSW_E_NS1_11comp_targetILNS1_3genE3ELNS1_11target_archE908ELNS1_3gpuE7ELNS1_3repE0EEENS1_30default_config_static_selectorELNS0_4arch9wavefront6targetE0EEEvT1_.num_named_barrier, 0
	.set _ZN7rocprim17ROCPRIM_400000_NS6detail17trampoline_kernelINS0_14default_configENS1_27scan_by_key_config_selectorIiyEEZZNS1_16scan_by_key_implILNS1_25lookback_scan_determinismE0ELb0ES3_N6thrust23THRUST_200600_302600_NS6detail15normal_iteratorINS9_10device_ptrIiEEEENSB_INSC_IyEEEESG_yNS9_4plusIvEENS9_8equal_toIvEEyEE10hipError_tPvRmT2_T3_T4_T5_mT6_T7_P12ihipStream_tbENKUlT_T0_E_clISt17integral_constantIbLb0EES11_EEDaSW_SX_EUlSW_E_NS1_11comp_targetILNS1_3genE3ELNS1_11target_archE908ELNS1_3gpuE7ELNS1_3repE0EEENS1_30default_config_static_selectorELNS0_4arch9wavefront6targetE0EEEvT1_.private_seg_size, 0
	.set _ZN7rocprim17ROCPRIM_400000_NS6detail17trampoline_kernelINS0_14default_configENS1_27scan_by_key_config_selectorIiyEEZZNS1_16scan_by_key_implILNS1_25lookback_scan_determinismE0ELb0ES3_N6thrust23THRUST_200600_302600_NS6detail15normal_iteratorINS9_10device_ptrIiEEEENSB_INSC_IyEEEESG_yNS9_4plusIvEENS9_8equal_toIvEEyEE10hipError_tPvRmT2_T3_T4_T5_mT6_T7_P12ihipStream_tbENKUlT_T0_E_clISt17integral_constantIbLb0EES11_EEDaSW_SX_EUlSW_E_NS1_11comp_targetILNS1_3genE3ELNS1_11target_archE908ELNS1_3gpuE7ELNS1_3repE0EEENS1_30default_config_static_selectorELNS0_4arch9wavefront6targetE0EEEvT1_.uses_vcc, 0
	.set _ZN7rocprim17ROCPRIM_400000_NS6detail17trampoline_kernelINS0_14default_configENS1_27scan_by_key_config_selectorIiyEEZZNS1_16scan_by_key_implILNS1_25lookback_scan_determinismE0ELb0ES3_N6thrust23THRUST_200600_302600_NS6detail15normal_iteratorINS9_10device_ptrIiEEEENSB_INSC_IyEEEESG_yNS9_4plusIvEENS9_8equal_toIvEEyEE10hipError_tPvRmT2_T3_T4_T5_mT6_T7_P12ihipStream_tbENKUlT_T0_E_clISt17integral_constantIbLb0EES11_EEDaSW_SX_EUlSW_E_NS1_11comp_targetILNS1_3genE3ELNS1_11target_archE908ELNS1_3gpuE7ELNS1_3repE0EEENS1_30default_config_static_selectorELNS0_4arch9wavefront6targetE0EEEvT1_.uses_flat_scratch, 0
	.set _ZN7rocprim17ROCPRIM_400000_NS6detail17trampoline_kernelINS0_14default_configENS1_27scan_by_key_config_selectorIiyEEZZNS1_16scan_by_key_implILNS1_25lookback_scan_determinismE0ELb0ES3_N6thrust23THRUST_200600_302600_NS6detail15normal_iteratorINS9_10device_ptrIiEEEENSB_INSC_IyEEEESG_yNS9_4plusIvEENS9_8equal_toIvEEyEE10hipError_tPvRmT2_T3_T4_T5_mT6_T7_P12ihipStream_tbENKUlT_T0_E_clISt17integral_constantIbLb0EES11_EEDaSW_SX_EUlSW_E_NS1_11comp_targetILNS1_3genE3ELNS1_11target_archE908ELNS1_3gpuE7ELNS1_3repE0EEENS1_30default_config_static_selectorELNS0_4arch9wavefront6targetE0EEEvT1_.has_dyn_sized_stack, 0
	.set _ZN7rocprim17ROCPRIM_400000_NS6detail17trampoline_kernelINS0_14default_configENS1_27scan_by_key_config_selectorIiyEEZZNS1_16scan_by_key_implILNS1_25lookback_scan_determinismE0ELb0ES3_N6thrust23THRUST_200600_302600_NS6detail15normal_iteratorINS9_10device_ptrIiEEEENSB_INSC_IyEEEESG_yNS9_4plusIvEENS9_8equal_toIvEEyEE10hipError_tPvRmT2_T3_T4_T5_mT6_T7_P12ihipStream_tbENKUlT_T0_E_clISt17integral_constantIbLb0EES11_EEDaSW_SX_EUlSW_E_NS1_11comp_targetILNS1_3genE3ELNS1_11target_archE908ELNS1_3gpuE7ELNS1_3repE0EEENS1_30default_config_static_selectorELNS0_4arch9wavefront6targetE0EEEvT1_.has_recursion, 0
	.set _ZN7rocprim17ROCPRIM_400000_NS6detail17trampoline_kernelINS0_14default_configENS1_27scan_by_key_config_selectorIiyEEZZNS1_16scan_by_key_implILNS1_25lookback_scan_determinismE0ELb0ES3_N6thrust23THRUST_200600_302600_NS6detail15normal_iteratorINS9_10device_ptrIiEEEENSB_INSC_IyEEEESG_yNS9_4plusIvEENS9_8equal_toIvEEyEE10hipError_tPvRmT2_T3_T4_T5_mT6_T7_P12ihipStream_tbENKUlT_T0_E_clISt17integral_constantIbLb0EES11_EEDaSW_SX_EUlSW_E_NS1_11comp_targetILNS1_3genE3ELNS1_11target_archE908ELNS1_3gpuE7ELNS1_3repE0EEENS1_30default_config_static_selectorELNS0_4arch9wavefront6targetE0EEEvT1_.has_indirect_call, 0
	.section	.AMDGPU.csdata,"",@progbits
; Kernel info:
; codeLenInByte = 0
; TotalNumSgprs: 0
; NumVgprs: 0
; ScratchSize: 0
; MemoryBound: 0
; FloatMode: 240
; IeeeMode: 1
; LDSByteSize: 0 bytes/workgroup (compile time only)
; SGPRBlocks: 0
; VGPRBlocks: 0
; NumSGPRsForWavesPerEU: 1
; NumVGPRsForWavesPerEU: 1
; Occupancy: 16
; WaveLimiterHint : 0
; COMPUTE_PGM_RSRC2:SCRATCH_EN: 0
; COMPUTE_PGM_RSRC2:USER_SGPR: 6
; COMPUTE_PGM_RSRC2:TRAP_HANDLER: 0
; COMPUTE_PGM_RSRC2:TGID_X_EN: 1
; COMPUTE_PGM_RSRC2:TGID_Y_EN: 0
; COMPUTE_PGM_RSRC2:TGID_Z_EN: 0
; COMPUTE_PGM_RSRC2:TIDIG_COMP_CNT: 0
	.section	.text._ZN7rocprim17ROCPRIM_400000_NS6detail17trampoline_kernelINS0_14default_configENS1_27scan_by_key_config_selectorIiyEEZZNS1_16scan_by_key_implILNS1_25lookback_scan_determinismE0ELb0ES3_N6thrust23THRUST_200600_302600_NS6detail15normal_iteratorINS9_10device_ptrIiEEEENSB_INSC_IyEEEESG_yNS9_4plusIvEENS9_8equal_toIvEEyEE10hipError_tPvRmT2_T3_T4_T5_mT6_T7_P12ihipStream_tbENKUlT_T0_E_clISt17integral_constantIbLb0EES11_EEDaSW_SX_EUlSW_E_NS1_11comp_targetILNS1_3genE2ELNS1_11target_archE906ELNS1_3gpuE6ELNS1_3repE0EEENS1_30default_config_static_selectorELNS0_4arch9wavefront6targetE0EEEvT1_,"axG",@progbits,_ZN7rocprim17ROCPRIM_400000_NS6detail17trampoline_kernelINS0_14default_configENS1_27scan_by_key_config_selectorIiyEEZZNS1_16scan_by_key_implILNS1_25lookback_scan_determinismE0ELb0ES3_N6thrust23THRUST_200600_302600_NS6detail15normal_iteratorINS9_10device_ptrIiEEEENSB_INSC_IyEEEESG_yNS9_4plusIvEENS9_8equal_toIvEEyEE10hipError_tPvRmT2_T3_T4_T5_mT6_T7_P12ihipStream_tbENKUlT_T0_E_clISt17integral_constantIbLb0EES11_EEDaSW_SX_EUlSW_E_NS1_11comp_targetILNS1_3genE2ELNS1_11target_archE906ELNS1_3gpuE6ELNS1_3repE0EEENS1_30default_config_static_selectorELNS0_4arch9wavefront6targetE0EEEvT1_,comdat
	.protected	_ZN7rocprim17ROCPRIM_400000_NS6detail17trampoline_kernelINS0_14default_configENS1_27scan_by_key_config_selectorIiyEEZZNS1_16scan_by_key_implILNS1_25lookback_scan_determinismE0ELb0ES3_N6thrust23THRUST_200600_302600_NS6detail15normal_iteratorINS9_10device_ptrIiEEEENSB_INSC_IyEEEESG_yNS9_4plusIvEENS9_8equal_toIvEEyEE10hipError_tPvRmT2_T3_T4_T5_mT6_T7_P12ihipStream_tbENKUlT_T0_E_clISt17integral_constantIbLb0EES11_EEDaSW_SX_EUlSW_E_NS1_11comp_targetILNS1_3genE2ELNS1_11target_archE906ELNS1_3gpuE6ELNS1_3repE0EEENS1_30default_config_static_selectorELNS0_4arch9wavefront6targetE0EEEvT1_ ; -- Begin function _ZN7rocprim17ROCPRIM_400000_NS6detail17trampoline_kernelINS0_14default_configENS1_27scan_by_key_config_selectorIiyEEZZNS1_16scan_by_key_implILNS1_25lookback_scan_determinismE0ELb0ES3_N6thrust23THRUST_200600_302600_NS6detail15normal_iteratorINS9_10device_ptrIiEEEENSB_INSC_IyEEEESG_yNS9_4plusIvEENS9_8equal_toIvEEyEE10hipError_tPvRmT2_T3_T4_T5_mT6_T7_P12ihipStream_tbENKUlT_T0_E_clISt17integral_constantIbLb0EES11_EEDaSW_SX_EUlSW_E_NS1_11comp_targetILNS1_3genE2ELNS1_11target_archE906ELNS1_3gpuE6ELNS1_3repE0EEENS1_30default_config_static_selectorELNS0_4arch9wavefront6targetE0EEEvT1_
	.globl	_ZN7rocprim17ROCPRIM_400000_NS6detail17trampoline_kernelINS0_14default_configENS1_27scan_by_key_config_selectorIiyEEZZNS1_16scan_by_key_implILNS1_25lookback_scan_determinismE0ELb0ES3_N6thrust23THRUST_200600_302600_NS6detail15normal_iteratorINS9_10device_ptrIiEEEENSB_INSC_IyEEEESG_yNS9_4plusIvEENS9_8equal_toIvEEyEE10hipError_tPvRmT2_T3_T4_T5_mT6_T7_P12ihipStream_tbENKUlT_T0_E_clISt17integral_constantIbLb0EES11_EEDaSW_SX_EUlSW_E_NS1_11comp_targetILNS1_3genE2ELNS1_11target_archE906ELNS1_3gpuE6ELNS1_3repE0EEENS1_30default_config_static_selectorELNS0_4arch9wavefront6targetE0EEEvT1_
	.p2align	8
	.type	_ZN7rocprim17ROCPRIM_400000_NS6detail17trampoline_kernelINS0_14default_configENS1_27scan_by_key_config_selectorIiyEEZZNS1_16scan_by_key_implILNS1_25lookback_scan_determinismE0ELb0ES3_N6thrust23THRUST_200600_302600_NS6detail15normal_iteratorINS9_10device_ptrIiEEEENSB_INSC_IyEEEESG_yNS9_4plusIvEENS9_8equal_toIvEEyEE10hipError_tPvRmT2_T3_T4_T5_mT6_T7_P12ihipStream_tbENKUlT_T0_E_clISt17integral_constantIbLb0EES11_EEDaSW_SX_EUlSW_E_NS1_11comp_targetILNS1_3genE2ELNS1_11target_archE906ELNS1_3gpuE6ELNS1_3repE0EEENS1_30default_config_static_selectorELNS0_4arch9wavefront6targetE0EEEvT1_,@function
_ZN7rocprim17ROCPRIM_400000_NS6detail17trampoline_kernelINS0_14default_configENS1_27scan_by_key_config_selectorIiyEEZZNS1_16scan_by_key_implILNS1_25lookback_scan_determinismE0ELb0ES3_N6thrust23THRUST_200600_302600_NS6detail15normal_iteratorINS9_10device_ptrIiEEEENSB_INSC_IyEEEESG_yNS9_4plusIvEENS9_8equal_toIvEEyEE10hipError_tPvRmT2_T3_T4_T5_mT6_T7_P12ihipStream_tbENKUlT_T0_E_clISt17integral_constantIbLb0EES11_EEDaSW_SX_EUlSW_E_NS1_11comp_targetILNS1_3genE2ELNS1_11target_archE906ELNS1_3gpuE6ELNS1_3repE0EEENS1_30default_config_static_selectorELNS0_4arch9wavefront6targetE0EEEvT1_: ; @_ZN7rocprim17ROCPRIM_400000_NS6detail17trampoline_kernelINS0_14default_configENS1_27scan_by_key_config_selectorIiyEEZZNS1_16scan_by_key_implILNS1_25lookback_scan_determinismE0ELb0ES3_N6thrust23THRUST_200600_302600_NS6detail15normal_iteratorINS9_10device_ptrIiEEEENSB_INSC_IyEEEESG_yNS9_4plusIvEENS9_8equal_toIvEEyEE10hipError_tPvRmT2_T3_T4_T5_mT6_T7_P12ihipStream_tbENKUlT_T0_E_clISt17integral_constantIbLb0EES11_EEDaSW_SX_EUlSW_E_NS1_11comp_targetILNS1_3genE2ELNS1_11target_archE906ELNS1_3gpuE6ELNS1_3repE0EEENS1_30default_config_static_selectorELNS0_4arch9wavefront6targetE0EEEvT1_
; %bb.0:
	.section	.rodata,"a",@progbits
	.p2align	6, 0x0
	.amdhsa_kernel _ZN7rocprim17ROCPRIM_400000_NS6detail17trampoline_kernelINS0_14default_configENS1_27scan_by_key_config_selectorIiyEEZZNS1_16scan_by_key_implILNS1_25lookback_scan_determinismE0ELb0ES3_N6thrust23THRUST_200600_302600_NS6detail15normal_iteratorINS9_10device_ptrIiEEEENSB_INSC_IyEEEESG_yNS9_4plusIvEENS9_8equal_toIvEEyEE10hipError_tPvRmT2_T3_T4_T5_mT6_T7_P12ihipStream_tbENKUlT_T0_E_clISt17integral_constantIbLb0EES11_EEDaSW_SX_EUlSW_E_NS1_11comp_targetILNS1_3genE2ELNS1_11target_archE906ELNS1_3gpuE6ELNS1_3repE0EEENS1_30default_config_static_selectorELNS0_4arch9wavefront6targetE0EEEvT1_
		.amdhsa_group_segment_fixed_size 0
		.amdhsa_private_segment_fixed_size 0
		.amdhsa_kernarg_size 136
		.amdhsa_user_sgpr_count 6
		.amdhsa_user_sgpr_private_segment_buffer 1
		.amdhsa_user_sgpr_dispatch_ptr 0
		.amdhsa_user_sgpr_queue_ptr 0
		.amdhsa_user_sgpr_kernarg_segment_ptr 1
		.amdhsa_user_sgpr_dispatch_id 0
		.amdhsa_user_sgpr_flat_scratch_init 0
		.amdhsa_user_sgpr_private_segment_size 0
		.amdhsa_wavefront_size32 1
		.amdhsa_uses_dynamic_stack 0
		.amdhsa_system_sgpr_private_segment_wavefront_offset 0
		.amdhsa_system_sgpr_workgroup_id_x 1
		.amdhsa_system_sgpr_workgroup_id_y 0
		.amdhsa_system_sgpr_workgroup_id_z 0
		.amdhsa_system_sgpr_workgroup_info 0
		.amdhsa_system_vgpr_workitem_id 0
		.amdhsa_next_free_vgpr 1
		.amdhsa_next_free_sgpr 1
		.amdhsa_reserve_vcc 0
		.amdhsa_reserve_flat_scratch 0
		.amdhsa_float_round_mode_32 0
		.amdhsa_float_round_mode_16_64 0
		.amdhsa_float_denorm_mode_32 3
		.amdhsa_float_denorm_mode_16_64 3
		.amdhsa_dx10_clamp 1
		.amdhsa_ieee_mode 1
		.amdhsa_fp16_overflow 0
		.amdhsa_workgroup_processor_mode 1
		.amdhsa_memory_ordered 1
		.amdhsa_forward_progress 1
		.amdhsa_shared_vgpr_count 0
		.amdhsa_exception_fp_ieee_invalid_op 0
		.amdhsa_exception_fp_denorm_src 0
		.amdhsa_exception_fp_ieee_div_zero 0
		.amdhsa_exception_fp_ieee_overflow 0
		.amdhsa_exception_fp_ieee_underflow 0
		.amdhsa_exception_fp_ieee_inexact 0
		.amdhsa_exception_int_div_zero 0
	.end_amdhsa_kernel
	.section	.text._ZN7rocprim17ROCPRIM_400000_NS6detail17trampoline_kernelINS0_14default_configENS1_27scan_by_key_config_selectorIiyEEZZNS1_16scan_by_key_implILNS1_25lookback_scan_determinismE0ELb0ES3_N6thrust23THRUST_200600_302600_NS6detail15normal_iteratorINS9_10device_ptrIiEEEENSB_INSC_IyEEEESG_yNS9_4plusIvEENS9_8equal_toIvEEyEE10hipError_tPvRmT2_T3_T4_T5_mT6_T7_P12ihipStream_tbENKUlT_T0_E_clISt17integral_constantIbLb0EES11_EEDaSW_SX_EUlSW_E_NS1_11comp_targetILNS1_3genE2ELNS1_11target_archE906ELNS1_3gpuE6ELNS1_3repE0EEENS1_30default_config_static_selectorELNS0_4arch9wavefront6targetE0EEEvT1_,"axG",@progbits,_ZN7rocprim17ROCPRIM_400000_NS6detail17trampoline_kernelINS0_14default_configENS1_27scan_by_key_config_selectorIiyEEZZNS1_16scan_by_key_implILNS1_25lookback_scan_determinismE0ELb0ES3_N6thrust23THRUST_200600_302600_NS6detail15normal_iteratorINS9_10device_ptrIiEEEENSB_INSC_IyEEEESG_yNS9_4plusIvEENS9_8equal_toIvEEyEE10hipError_tPvRmT2_T3_T4_T5_mT6_T7_P12ihipStream_tbENKUlT_T0_E_clISt17integral_constantIbLb0EES11_EEDaSW_SX_EUlSW_E_NS1_11comp_targetILNS1_3genE2ELNS1_11target_archE906ELNS1_3gpuE6ELNS1_3repE0EEENS1_30default_config_static_selectorELNS0_4arch9wavefront6targetE0EEEvT1_,comdat
.Lfunc_end1181:
	.size	_ZN7rocprim17ROCPRIM_400000_NS6detail17trampoline_kernelINS0_14default_configENS1_27scan_by_key_config_selectorIiyEEZZNS1_16scan_by_key_implILNS1_25lookback_scan_determinismE0ELb0ES3_N6thrust23THRUST_200600_302600_NS6detail15normal_iteratorINS9_10device_ptrIiEEEENSB_INSC_IyEEEESG_yNS9_4plusIvEENS9_8equal_toIvEEyEE10hipError_tPvRmT2_T3_T4_T5_mT6_T7_P12ihipStream_tbENKUlT_T0_E_clISt17integral_constantIbLb0EES11_EEDaSW_SX_EUlSW_E_NS1_11comp_targetILNS1_3genE2ELNS1_11target_archE906ELNS1_3gpuE6ELNS1_3repE0EEENS1_30default_config_static_selectorELNS0_4arch9wavefront6targetE0EEEvT1_, .Lfunc_end1181-_ZN7rocprim17ROCPRIM_400000_NS6detail17trampoline_kernelINS0_14default_configENS1_27scan_by_key_config_selectorIiyEEZZNS1_16scan_by_key_implILNS1_25lookback_scan_determinismE0ELb0ES3_N6thrust23THRUST_200600_302600_NS6detail15normal_iteratorINS9_10device_ptrIiEEEENSB_INSC_IyEEEESG_yNS9_4plusIvEENS9_8equal_toIvEEyEE10hipError_tPvRmT2_T3_T4_T5_mT6_T7_P12ihipStream_tbENKUlT_T0_E_clISt17integral_constantIbLb0EES11_EEDaSW_SX_EUlSW_E_NS1_11comp_targetILNS1_3genE2ELNS1_11target_archE906ELNS1_3gpuE6ELNS1_3repE0EEENS1_30default_config_static_selectorELNS0_4arch9wavefront6targetE0EEEvT1_
                                        ; -- End function
	.set _ZN7rocprim17ROCPRIM_400000_NS6detail17trampoline_kernelINS0_14default_configENS1_27scan_by_key_config_selectorIiyEEZZNS1_16scan_by_key_implILNS1_25lookback_scan_determinismE0ELb0ES3_N6thrust23THRUST_200600_302600_NS6detail15normal_iteratorINS9_10device_ptrIiEEEENSB_INSC_IyEEEESG_yNS9_4plusIvEENS9_8equal_toIvEEyEE10hipError_tPvRmT2_T3_T4_T5_mT6_T7_P12ihipStream_tbENKUlT_T0_E_clISt17integral_constantIbLb0EES11_EEDaSW_SX_EUlSW_E_NS1_11comp_targetILNS1_3genE2ELNS1_11target_archE906ELNS1_3gpuE6ELNS1_3repE0EEENS1_30default_config_static_selectorELNS0_4arch9wavefront6targetE0EEEvT1_.num_vgpr, 0
	.set _ZN7rocprim17ROCPRIM_400000_NS6detail17trampoline_kernelINS0_14default_configENS1_27scan_by_key_config_selectorIiyEEZZNS1_16scan_by_key_implILNS1_25lookback_scan_determinismE0ELb0ES3_N6thrust23THRUST_200600_302600_NS6detail15normal_iteratorINS9_10device_ptrIiEEEENSB_INSC_IyEEEESG_yNS9_4plusIvEENS9_8equal_toIvEEyEE10hipError_tPvRmT2_T3_T4_T5_mT6_T7_P12ihipStream_tbENKUlT_T0_E_clISt17integral_constantIbLb0EES11_EEDaSW_SX_EUlSW_E_NS1_11comp_targetILNS1_3genE2ELNS1_11target_archE906ELNS1_3gpuE6ELNS1_3repE0EEENS1_30default_config_static_selectorELNS0_4arch9wavefront6targetE0EEEvT1_.num_agpr, 0
	.set _ZN7rocprim17ROCPRIM_400000_NS6detail17trampoline_kernelINS0_14default_configENS1_27scan_by_key_config_selectorIiyEEZZNS1_16scan_by_key_implILNS1_25lookback_scan_determinismE0ELb0ES3_N6thrust23THRUST_200600_302600_NS6detail15normal_iteratorINS9_10device_ptrIiEEEENSB_INSC_IyEEEESG_yNS9_4plusIvEENS9_8equal_toIvEEyEE10hipError_tPvRmT2_T3_T4_T5_mT6_T7_P12ihipStream_tbENKUlT_T0_E_clISt17integral_constantIbLb0EES11_EEDaSW_SX_EUlSW_E_NS1_11comp_targetILNS1_3genE2ELNS1_11target_archE906ELNS1_3gpuE6ELNS1_3repE0EEENS1_30default_config_static_selectorELNS0_4arch9wavefront6targetE0EEEvT1_.numbered_sgpr, 0
	.set _ZN7rocprim17ROCPRIM_400000_NS6detail17trampoline_kernelINS0_14default_configENS1_27scan_by_key_config_selectorIiyEEZZNS1_16scan_by_key_implILNS1_25lookback_scan_determinismE0ELb0ES3_N6thrust23THRUST_200600_302600_NS6detail15normal_iteratorINS9_10device_ptrIiEEEENSB_INSC_IyEEEESG_yNS9_4plusIvEENS9_8equal_toIvEEyEE10hipError_tPvRmT2_T3_T4_T5_mT6_T7_P12ihipStream_tbENKUlT_T0_E_clISt17integral_constantIbLb0EES11_EEDaSW_SX_EUlSW_E_NS1_11comp_targetILNS1_3genE2ELNS1_11target_archE906ELNS1_3gpuE6ELNS1_3repE0EEENS1_30default_config_static_selectorELNS0_4arch9wavefront6targetE0EEEvT1_.num_named_barrier, 0
	.set _ZN7rocprim17ROCPRIM_400000_NS6detail17trampoline_kernelINS0_14default_configENS1_27scan_by_key_config_selectorIiyEEZZNS1_16scan_by_key_implILNS1_25lookback_scan_determinismE0ELb0ES3_N6thrust23THRUST_200600_302600_NS6detail15normal_iteratorINS9_10device_ptrIiEEEENSB_INSC_IyEEEESG_yNS9_4plusIvEENS9_8equal_toIvEEyEE10hipError_tPvRmT2_T3_T4_T5_mT6_T7_P12ihipStream_tbENKUlT_T0_E_clISt17integral_constantIbLb0EES11_EEDaSW_SX_EUlSW_E_NS1_11comp_targetILNS1_3genE2ELNS1_11target_archE906ELNS1_3gpuE6ELNS1_3repE0EEENS1_30default_config_static_selectorELNS0_4arch9wavefront6targetE0EEEvT1_.private_seg_size, 0
	.set _ZN7rocprim17ROCPRIM_400000_NS6detail17trampoline_kernelINS0_14default_configENS1_27scan_by_key_config_selectorIiyEEZZNS1_16scan_by_key_implILNS1_25lookback_scan_determinismE0ELb0ES3_N6thrust23THRUST_200600_302600_NS6detail15normal_iteratorINS9_10device_ptrIiEEEENSB_INSC_IyEEEESG_yNS9_4plusIvEENS9_8equal_toIvEEyEE10hipError_tPvRmT2_T3_T4_T5_mT6_T7_P12ihipStream_tbENKUlT_T0_E_clISt17integral_constantIbLb0EES11_EEDaSW_SX_EUlSW_E_NS1_11comp_targetILNS1_3genE2ELNS1_11target_archE906ELNS1_3gpuE6ELNS1_3repE0EEENS1_30default_config_static_selectorELNS0_4arch9wavefront6targetE0EEEvT1_.uses_vcc, 0
	.set _ZN7rocprim17ROCPRIM_400000_NS6detail17trampoline_kernelINS0_14default_configENS1_27scan_by_key_config_selectorIiyEEZZNS1_16scan_by_key_implILNS1_25lookback_scan_determinismE0ELb0ES3_N6thrust23THRUST_200600_302600_NS6detail15normal_iteratorINS9_10device_ptrIiEEEENSB_INSC_IyEEEESG_yNS9_4plusIvEENS9_8equal_toIvEEyEE10hipError_tPvRmT2_T3_T4_T5_mT6_T7_P12ihipStream_tbENKUlT_T0_E_clISt17integral_constantIbLb0EES11_EEDaSW_SX_EUlSW_E_NS1_11comp_targetILNS1_3genE2ELNS1_11target_archE906ELNS1_3gpuE6ELNS1_3repE0EEENS1_30default_config_static_selectorELNS0_4arch9wavefront6targetE0EEEvT1_.uses_flat_scratch, 0
	.set _ZN7rocprim17ROCPRIM_400000_NS6detail17trampoline_kernelINS0_14default_configENS1_27scan_by_key_config_selectorIiyEEZZNS1_16scan_by_key_implILNS1_25lookback_scan_determinismE0ELb0ES3_N6thrust23THRUST_200600_302600_NS6detail15normal_iteratorINS9_10device_ptrIiEEEENSB_INSC_IyEEEESG_yNS9_4plusIvEENS9_8equal_toIvEEyEE10hipError_tPvRmT2_T3_T4_T5_mT6_T7_P12ihipStream_tbENKUlT_T0_E_clISt17integral_constantIbLb0EES11_EEDaSW_SX_EUlSW_E_NS1_11comp_targetILNS1_3genE2ELNS1_11target_archE906ELNS1_3gpuE6ELNS1_3repE0EEENS1_30default_config_static_selectorELNS0_4arch9wavefront6targetE0EEEvT1_.has_dyn_sized_stack, 0
	.set _ZN7rocprim17ROCPRIM_400000_NS6detail17trampoline_kernelINS0_14default_configENS1_27scan_by_key_config_selectorIiyEEZZNS1_16scan_by_key_implILNS1_25lookback_scan_determinismE0ELb0ES3_N6thrust23THRUST_200600_302600_NS6detail15normal_iteratorINS9_10device_ptrIiEEEENSB_INSC_IyEEEESG_yNS9_4plusIvEENS9_8equal_toIvEEyEE10hipError_tPvRmT2_T3_T4_T5_mT6_T7_P12ihipStream_tbENKUlT_T0_E_clISt17integral_constantIbLb0EES11_EEDaSW_SX_EUlSW_E_NS1_11comp_targetILNS1_3genE2ELNS1_11target_archE906ELNS1_3gpuE6ELNS1_3repE0EEENS1_30default_config_static_selectorELNS0_4arch9wavefront6targetE0EEEvT1_.has_recursion, 0
	.set _ZN7rocprim17ROCPRIM_400000_NS6detail17trampoline_kernelINS0_14default_configENS1_27scan_by_key_config_selectorIiyEEZZNS1_16scan_by_key_implILNS1_25lookback_scan_determinismE0ELb0ES3_N6thrust23THRUST_200600_302600_NS6detail15normal_iteratorINS9_10device_ptrIiEEEENSB_INSC_IyEEEESG_yNS9_4plusIvEENS9_8equal_toIvEEyEE10hipError_tPvRmT2_T3_T4_T5_mT6_T7_P12ihipStream_tbENKUlT_T0_E_clISt17integral_constantIbLb0EES11_EEDaSW_SX_EUlSW_E_NS1_11comp_targetILNS1_3genE2ELNS1_11target_archE906ELNS1_3gpuE6ELNS1_3repE0EEENS1_30default_config_static_selectorELNS0_4arch9wavefront6targetE0EEEvT1_.has_indirect_call, 0
	.section	.AMDGPU.csdata,"",@progbits
; Kernel info:
; codeLenInByte = 0
; TotalNumSgprs: 0
; NumVgprs: 0
; ScratchSize: 0
; MemoryBound: 0
; FloatMode: 240
; IeeeMode: 1
; LDSByteSize: 0 bytes/workgroup (compile time only)
; SGPRBlocks: 0
; VGPRBlocks: 0
; NumSGPRsForWavesPerEU: 1
; NumVGPRsForWavesPerEU: 1
; Occupancy: 16
; WaveLimiterHint : 0
; COMPUTE_PGM_RSRC2:SCRATCH_EN: 0
; COMPUTE_PGM_RSRC2:USER_SGPR: 6
; COMPUTE_PGM_RSRC2:TRAP_HANDLER: 0
; COMPUTE_PGM_RSRC2:TGID_X_EN: 1
; COMPUTE_PGM_RSRC2:TGID_Y_EN: 0
; COMPUTE_PGM_RSRC2:TGID_Z_EN: 0
; COMPUTE_PGM_RSRC2:TIDIG_COMP_CNT: 0
	.section	.text._ZN7rocprim17ROCPRIM_400000_NS6detail17trampoline_kernelINS0_14default_configENS1_27scan_by_key_config_selectorIiyEEZZNS1_16scan_by_key_implILNS1_25lookback_scan_determinismE0ELb0ES3_N6thrust23THRUST_200600_302600_NS6detail15normal_iteratorINS9_10device_ptrIiEEEENSB_INSC_IyEEEESG_yNS9_4plusIvEENS9_8equal_toIvEEyEE10hipError_tPvRmT2_T3_T4_T5_mT6_T7_P12ihipStream_tbENKUlT_T0_E_clISt17integral_constantIbLb0EES11_EEDaSW_SX_EUlSW_E_NS1_11comp_targetILNS1_3genE10ELNS1_11target_archE1200ELNS1_3gpuE4ELNS1_3repE0EEENS1_30default_config_static_selectorELNS0_4arch9wavefront6targetE0EEEvT1_,"axG",@progbits,_ZN7rocprim17ROCPRIM_400000_NS6detail17trampoline_kernelINS0_14default_configENS1_27scan_by_key_config_selectorIiyEEZZNS1_16scan_by_key_implILNS1_25lookback_scan_determinismE0ELb0ES3_N6thrust23THRUST_200600_302600_NS6detail15normal_iteratorINS9_10device_ptrIiEEEENSB_INSC_IyEEEESG_yNS9_4plusIvEENS9_8equal_toIvEEyEE10hipError_tPvRmT2_T3_T4_T5_mT6_T7_P12ihipStream_tbENKUlT_T0_E_clISt17integral_constantIbLb0EES11_EEDaSW_SX_EUlSW_E_NS1_11comp_targetILNS1_3genE10ELNS1_11target_archE1200ELNS1_3gpuE4ELNS1_3repE0EEENS1_30default_config_static_selectorELNS0_4arch9wavefront6targetE0EEEvT1_,comdat
	.protected	_ZN7rocprim17ROCPRIM_400000_NS6detail17trampoline_kernelINS0_14default_configENS1_27scan_by_key_config_selectorIiyEEZZNS1_16scan_by_key_implILNS1_25lookback_scan_determinismE0ELb0ES3_N6thrust23THRUST_200600_302600_NS6detail15normal_iteratorINS9_10device_ptrIiEEEENSB_INSC_IyEEEESG_yNS9_4plusIvEENS9_8equal_toIvEEyEE10hipError_tPvRmT2_T3_T4_T5_mT6_T7_P12ihipStream_tbENKUlT_T0_E_clISt17integral_constantIbLb0EES11_EEDaSW_SX_EUlSW_E_NS1_11comp_targetILNS1_3genE10ELNS1_11target_archE1200ELNS1_3gpuE4ELNS1_3repE0EEENS1_30default_config_static_selectorELNS0_4arch9wavefront6targetE0EEEvT1_ ; -- Begin function _ZN7rocprim17ROCPRIM_400000_NS6detail17trampoline_kernelINS0_14default_configENS1_27scan_by_key_config_selectorIiyEEZZNS1_16scan_by_key_implILNS1_25lookback_scan_determinismE0ELb0ES3_N6thrust23THRUST_200600_302600_NS6detail15normal_iteratorINS9_10device_ptrIiEEEENSB_INSC_IyEEEESG_yNS9_4plusIvEENS9_8equal_toIvEEyEE10hipError_tPvRmT2_T3_T4_T5_mT6_T7_P12ihipStream_tbENKUlT_T0_E_clISt17integral_constantIbLb0EES11_EEDaSW_SX_EUlSW_E_NS1_11comp_targetILNS1_3genE10ELNS1_11target_archE1200ELNS1_3gpuE4ELNS1_3repE0EEENS1_30default_config_static_selectorELNS0_4arch9wavefront6targetE0EEEvT1_
	.globl	_ZN7rocprim17ROCPRIM_400000_NS6detail17trampoline_kernelINS0_14default_configENS1_27scan_by_key_config_selectorIiyEEZZNS1_16scan_by_key_implILNS1_25lookback_scan_determinismE0ELb0ES3_N6thrust23THRUST_200600_302600_NS6detail15normal_iteratorINS9_10device_ptrIiEEEENSB_INSC_IyEEEESG_yNS9_4plusIvEENS9_8equal_toIvEEyEE10hipError_tPvRmT2_T3_T4_T5_mT6_T7_P12ihipStream_tbENKUlT_T0_E_clISt17integral_constantIbLb0EES11_EEDaSW_SX_EUlSW_E_NS1_11comp_targetILNS1_3genE10ELNS1_11target_archE1200ELNS1_3gpuE4ELNS1_3repE0EEENS1_30default_config_static_selectorELNS0_4arch9wavefront6targetE0EEEvT1_
	.p2align	8
	.type	_ZN7rocprim17ROCPRIM_400000_NS6detail17trampoline_kernelINS0_14default_configENS1_27scan_by_key_config_selectorIiyEEZZNS1_16scan_by_key_implILNS1_25lookback_scan_determinismE0ELb0ES3_N6thrust23THRUST_200600_302600_NS6detail15normal_iteratorINS9_10device_ptrIiEEEENSB_INSC_IyEEEESG_yNS9_4plusIvEENS9_8equal_toIvEEyEE10hipError_tPvRmT2_T3_T4_T5_mT6_T7_P12ihipStream_tbENKUlT_T0_E_clISt17integral_constantIbLb0EES11_EEDaSW_SX_EUlSW_E_NS1_11comp_targetILNS1_3genE10ELNS1_11target_archE1200ELNS1_3gpuE4ELNS1_3repE0EEENS1_30default_config_static_selectorELNS0_4arch9wavefront6targetE0EEEvT1_,@function
_ZN7rocprim17ROCPRIM_400000_NS6detail17trampoline_kernelINS0_14default_configENS1_27scan_by_key_config_selectorIiyEEZZNS1_16scan_by_key_implILNS1_25lookback_scan_determinismE0ELb0ES3_N6thrust23THRUST_200600_302600_NS6detail15normal_iteratorINS9_10device_ptrIiEEEENSB_INSC_IyEEEESG_yNS9_4plusIvEENS9_8equal_toIvEEyEE10hipError_tPvRmT2_T3_T4_T5_mT6_T7_P12ihipStream_tbENKUlT_T0_E_clISt17integral_constantIbLb0EES11_EEDaSW_SX_EUlSW_E_NS1_11comp_targetILNS1_3genE10ELNS1_11target_archE1200ELNS1_3gpuE4ELNS1_3repE0EEENS1_30default_config_static_selectorELNS0_4arch9wavefront6targetE0EEEvT1_: ; @_ZN7rocprim17ROCPRIM_400000_NS6detail17trampoline_kernelINS0_14default_configENS1_27scan_by_key_config_selectorIiyEEZZNS1_16scan_by_key_implILNS1_25lookback_scan_determinismE0ELb0ES3_N6thrust23THRUST_200600_302600_NS6detail15normal_iteratorINS9_10device_ptrIiEEEENSB_INSC_IyEEEESG_yNS9_4plusIvEENS9_8equal_toIvEEyEE10hipError_tPvRmT2_T3_T4_T5_mT6_T7_P12ihipStream_tbENKUlT_T0_E_clISt17integral_constantIbLb0EES11_EEDaSW_SX_EUlSW_E_NS1_11comp_targetILNS1_3genE10ELNS1_11target_archE1200ELNS1_3gpuE4ELNS1_3repE0EEENS1_30default_config_static_selectorELNS0_4arch9wavefront6targetE0EEEvT1_
; %bb.0:
	.section	.rodata,"a",@progbits
	.p2align	6, 0x0
	.amdhsa_kernel _ZN7rocprim17ROCPRIM_400000_NS6detail17trampoline_kernelINS0_14default_configENS1_27scan_by_key_config_selectorIiyEEZZNS1_16scan_by_key_implILNS1_25lookback_scan_determinismE0ELb0ES3_N6thrust23THRUST_200600_302600_NS6detail15normal_iteratorINS9_10device_ptrIiEEEENSB_INSC_IyEEEESG_yNS9_4plusIvEENS9_8equal_toIvEEyEE10hipError_tPvRmT2_T3_T4_T5_mT6_T7_P12ihipStream_tbENKUlT_T0_E_clISt17integral_constantIbLb0EES11_EEDaSW_SX_EUlSW_E_NS1_11comp_targetILNS1_3genE10ELNS1_11target_archE1200ELNS1_3gpuE4ELNS1_3repE0EEENS1_30default_config_static_selectorELNS0_4arch9wavefront6targetE0EEEvT1_
		.amdhsa_group_segment_fixed_size 0
		.amdhsa_private_segment_fixed_size 0
		.amdhsa_kernarg_size 136
		.amdhsa_user_sgpr_count 6
		.amdhsa_user_sgpr_private_segment_buffer 1
		.amdhsa_user_sgpr_dispatch_ptr 0
		.amdhsa_user_sgpr_queue_ptr 0
		.amdhsa_user_sgpr_kernarg_segment_ptr 1
		.amdhsa_user_sgpr_dispatch_id 0
		.amdhsa_user_sgpr_flat_scratch_init 0
		.amdhsa_user_sgpr_private_segment_size 0
		.amdhsa_wavefront_size32 1
		.amdhsa_uses_dynamic_stack 0
		.amdhsa_system_sgpr_private_segment_wavefront_offset 0
		.amdhsa_system_sgpr_workgroup_id_x 1
		.amdhsa_system_sgpr_workgroup_id_y 0
		.amdhsa_system_sgpr_workgroup_id_z 0
		.amdhsa_system_sgpr_workgroup_info 0
		.amdhsa_system_vgpr_workitem_id 0
		.amdhsa_next_free_vgpr 1
		.amdhsa_next_free_sgpr 1
		.amdhsa_reserve_vcc 0
		.amdhsa_reserve_flat_scratch 0
		.amdhsa_float_round_mode_32 0
		.amdhsa_float_round_mode_16_64 0
		.amdhsa_float_denorm_mode_32 3
		.amdhsa_float_denorm_mode_16_64 3
		.amdhsa_dx10_clamp 1
		.amdhsa_ieee_mode 1
		.amdhsa_fp16_overflow 0
		.amdhsa_workgroup_processor_mode 1
		.amdhsa_memory_ordered 1
		.amdhsa_forward_progress 1
		.amdhsa_shared_vgpr_count 0
		.amdhsa_exception_fp_ieee_invalid_op 0
		.amdhsa_exception_fp_denorm_src 0
		.amdhsa_exception_fp_ieee_div_zero 0
		.amdhsa_exception_fp_ieee_overflow 0
		.amdhsa_exception_fp_ieee_underflow 0
		.amdhsa_exception_fp_ieee_inexact 0
		.amdhsa_exception_int_div_zero 0
	.end_amdhsa_kernel
	.section	.text._ZN7rocprim17ROCPRIM_400000_NS6detail17trampoline_kernelINS0_14default_configENS1_27scan_by_key_config_selectorIiyEEZZNS1_16scan_by_key_implILNS1_25lookback_scan_determinismE0ELb0ES3_N6thrust23THRUST_200600_302600_NS6detail15normal_iteratorINS9_10device_ptrIiEEEENSB_INSC_IyEEEESG_yNS9_4plusIvEENS9_8equal_toIvEEyEE10hipError_tPvRmT2_T3_T4_T5_mT6_T7_P12ihipStream_tbENKUlT_T0_E_clISt17integral_constantIbLb0EES11_EEDaSW_SX_EUlSW_E_NS1_11comp_targetILNS1_3genE10ELNS1_11target_archE1200ELNS1_3gpuE4ELNS1_3repE0EEENS1_30default_config_static_selectorELNS0_4arch9wavefront6targetE0EEEvT1_,"axG",@progbits,_ZN7rocprim17ROCPRIM_400000_NS6detail17trampoline_kernelINS0_14default_configENS1_27scan_by_key_config_selectorIiyEEZZNS1_16scan_by_key_implILNS1_25lookback_scan_determinismE0ELb0ES3_N6thrust23THRUST_200600_302600_NS6detail15normal_iteratorINS9_10device_ptrIiEEEENSB_INSC_IyEEEESG_yNS9_4plusIvEENS9_8equal_toIvEEyEE10hipError_tPvRmT2_T3_T4_T5_mT6_T7_P12ihipStream_tbENKUlT_T0_E_clISt17integral_constantIbLb0EES11_EEDaSW_SX_EUlSW_E_NS1_11comp_targetILNS1_3genE10ELNS1_11target_archE1200ELNS1_3gpuE4ELNS1_3repE0EEENS1_30default_config_static_selectorELNS0_4arch9wavefront6targetE0EEEvT1_,comdat
.Lfunc_end1182:
	.size	_ZN7rocprim17ROCPRIM_400000_NS6detail17trampoline_kernelINS0_14default_configENS1_27scan_by_key_config_selectorIiyEEZZNS1_16scan_by_key_implILNS1_25lookback_scan_determinismE0ELb0ES3_N6thrust23THRUST_200600_302600_NS6detail15normal_iteratorINS9_10device_ptrIiEEEENSB_INSC_IyEEEESG_yNS9_4plusIvEENS9_8equal_toIvEEyEE10hipError_tPvRmT2_T3_T4_T5_mT6_T7_P12ihipStream_tbENKUlT_T0_E_clISt17integral_constantIbLb0EES11_EEDaSW_SX_EUlSW_E_NS1_11comp_targetILNS1_3genE10ELNS1_11target_archE1200ELNS1_3gpuE4ELNS1_3repE0EEENS1_30default_config_static_selectorELNS0_4arch9wavefront6targetE0EEEvT1_, .Lfunc_end1182-_ZN7rocprim17ROCPRIM_400000_NS6detail17trampoline_kernelINS0_14default_configENS1_27scan_by_key_config_selectorIiyEEZZNS1_16scan_by_key_implILNS1_25lookback_scan_determinismE0ELb0ES3_N6thrust23THRUST_200600_302600_NS6detail15normal_iteratorINS9_10device_ptrIiEEEENSB_INSC_IyEEEESG_yNS9_4plusIvEENS9_8equal_toIvEEyEE10hipError_tPvRmT2_T3_T4_T5_mT6_T7_P12ihipStream_tbENKUlT_T0_E_clISt17integral_constantIbLb0EES11_EEDaSW_SX_EUlSW_E_NS1_11comp_targetILNS1_3genE10ELNS1_11target_archE1200ELNS1_3gpuE4ELNS1_3repE0EEENS1_30default_config_static_selectorELNS0_4arch9wavefront6targetE0EEEvT1_
                                        ; -- End function
	.set _ZN7rocprim17ROCPRIM_400000_NS6detail17trampoline_kernelINS0_14default_configENS1_27scan_by_key_config_selectorIiyEEZZNS1_16scan_by_key_implILNS1_25lookback_scan_determinismE0ELb0ES3_N6thrust23THRUST_200600_302600_NS6detail15normal_iteratorINS9_10device_ptrIiEEEENSB_INSC_IyEEEESG_yNS9_4plusIvEENS9_8equal_toIvEEyEE10hipError_tPvRmT2_T3_T4_T5_mT6_T7_P12ihipStream_tbENKUlT_T0_E_clISt17integral_constantIbLb0EES11_EEDaSW_SX_EUlSW_E_NS1_11comp_targetILNS1_3genE10ELNS1_11target_archE1200ELNS1_3gpuE4ELNS1_3repE0EEENS1_30default_config_static_selectorELNS0_4arch9wavefront6targetE0EEEvT1_.num_vgpr, 0
	.set _ZN7rocprim17ROCPRIM_400000_NS6detail17trampoline_kernelINS0_14default_configENS1_27scan_by_key_config_selectorIiyEEZZNS1_16scan_by_key_implILNS1_25lookback_scan_determinismE0ELb0ES3_N6thrust23THRUST_200600_302600_NS6detail15normal_iteratorINS9_10device_ptrIiEEEENSB_INSC_IyEEEESG_yNS9_4plusIvEENS9_8equal_toIvEEyEE10hipError_tPvRmT2_T3_T4_T5_mT6_T7_P12ihipStream_tbENKUlT_T0_E_clISt17integral_constantIbLb0EES11_EEDaSW_SX_EUlSW_E_NS1_11comp_targetILNS1_3genE10ELNS1_11target_archE1200ELNS1_3gpuE4ELNS1_3repE0EEENS1_30default_config_static_selectorELNS0_4arch9wavefront6targetE0EEEvT1_.num_agpr, 0
	.set _ZN7rocprim17ROCPRIM_400000_NS6detail17trampoline_kernelINS0_14default_configENS1_27scan_by_key_config_selectorIiyEEZZNS1_16scan_by_key_implILNS1_25lookback_scan_determinismE0ELb0ES3_N6thrust23THRUST_200600_302600_NS6detail15normal_iteratorINS9_10device_ptrIiEEEENSB_INSC_IyEEEESG_yNS9_4plusIvEENS9_8equal_toIvEEyEE10hipError_tPvRmT2_T3_T4_T5_mT6_T7_P12ihipStream_tbENKUlT_T0_E_clISt17integral_constantIbLb0EES11_EEDaSW_SX_EUlSW_E_NS1_11comp_targetILNS1_3genE10ELNS1_11target_archE1200ELNS1_3gpuE4ELNS1_3repE0EEENS1_30default_config_static_selectorELNS0_4arch9wavefront6targetE0EEEvT1_.numbered_sgpr, 0
	.set _ZN7rocprim17ROCPRIM_400000_NS6detail17trampoline_kernelINS0_14default_configENS1_27scan_by_key_config_selectorIiyEEZZNS1_16scan_by_key_implILNS1_25lookback_scan_determinismE0ELb0ES3_N6thrust23THRUST_200600_302600_NS6detail15normal_iteratorINS9_10device_ptrIiEEEENSB_INSC_IyEEEESG_yNS9_4plusIvEENS9_8equal_toIvEEyEE10hipError_tPvRmT2_T3_T4_T5_mT6_T7_P12ihipStream_tbENKUlT_T0_E_clISt17integral_constantIbLb0EES11_EEDaSW_SX_EUlSW_E_NS1_11comp_targetILNS1_3genE10ELNS1_11target_archE1200ELNS1_3gpuE4ELNS1_3repE0EEENS1_30default_config_static_selectorELNS0_4arch9wavefront6targetE0EEEvT1_.num_named_barrier, 0
	.set _ZN7rocprim17ROCPRIM_400000_NS6detail17trampoline_kernelINS0_14default_configENS1_27scan_by_key_config_selectorIiyEEZZNS1_16scan_by_key_implILNS1_25lookback_scan_determinismE0ELb0ES3_N6thrust23THRUST_200600_302600_NS6detail15normal_iteratorINS9_10device_ptrIiEEEENSB_INSC_IyEEEESG_yNS9_4plusIvEENS9_8equal_toIvEEyEE10hipError_tPvRmT2_T3_T4_T5_mT6_T7_P12ihipStream_tbENKUlT_T0_E_clISt17integral_constantIbLb0EES11_EEDaSW_SX_EUlSW_E_NS1_11comp_targetILNS1_3genE10ELNS1_11target_archE1200ELNS1_3gpuE4ELNS1_3repE0EEENS1_30default_config_static_selectorELNS0_4arch9wavefront6targetE0EEEvT1_.private_seg_size, 0
	.set _ZN7rocprim17ROCPRIM_400000_NS6detail17trampoline_kernelINS0_14default_configENS1_27scan_by_key_config_selectorIiyEEZZNS1_16scan_by_key_implILNS1_25lookback_scan_determinismE0ELb0ES3_N6thrust23THRUST_200600_302600_NS6detail15normal_iteratorINS9_10device_ptrIiEEEENSB_INSC_IyEEEESG_yNS9_4plusIvEENS9_8equal_toIvEEyEE10hipError_tPvRmT2_T3_T4_T5_mT6_T7_P12ihipStream_tbENKUlT_T0_E_clISt17integral_constantIbLb0EES11_EEDaSW_SX_EUlSW_E_NS1_11comp_targetILNS1_3genE10ELNS1_11target_archE1200ELNS1_3gpuE4ELNS1_3repE0EEENS1_30default_config_static_selectorELNS0_4arch9wavefront6targetE0EEEvT1_.uses_vcc, 0
	.set _ZN7rocprim17ROCPRIM_400000_NS6detail17trampoline_kernelINS0_14default_configENS1_27scan_by_key_config_selectorIiyEEZZNS1_16scan_by_key_implILNS1_25lookback_scan_determinismE0ELb0ES3_N6thrust23THRUST_200600_302600_NS6detail15normal_iteratorINS9_10device_ptrIiEEEENSB_INSC_IyEEEESG_yNS9_4plusIvEENS9_8equal_toIvEEyEE10hipError_tPvRmT2_T3_T4_T5_mT6_T7_P12ihipStream_tbENKUlT_T0_E_clISt17integral_constantIbLb0EES11_EEDaSW_SX_EUlSW_E_NS1_11comp_targetILNS1_3genE10ELNS1_11target_archE1200ELNS1_3gpuE4ELNS1_3repE0EEENS1_30default_config_static_selectorELNS0_4arch9wavefront6targetE0EEEvT1_.uses_flat_scratch, 0
	.set _ZN7rocprim17ROCPRIM_400000_NS6detail17trampoline_kernelINS0_14default_configENS1_27scan_by_key_config_selectorIiyEEZZNS1_16scan_by_key_implILNS1_25lookback_scan_determinismE0ELb0ES3_N6thrust23THRUST_200600_302600_NS6detail15normal_iteratorINS9_10device_ptrIiEEEENSB_INSC_IyEEEESG_yNS9_4plusIvEENS9_8equal_toIvEEyEE10hipError_tPvRmT2_T3_T4_T5_mT6_T7_P12ihipStream_tbENKUlT_T0_E_clISt17integral_constantIbLb0EES11_EEDaSW_SX_EUlSW_E_NS1_11comp_targetILNS1_3genE10ELNS1_11target_archE1200ELNS1_3gpuE4ELNS1_3repE0EEENS1_30default_config_static_selectorELNS0_4arch9wavefront6targetE0EEEvT1_.has_dyn_sized_stack, 0
	.set _ZN7rocprim17ROCPRIM_400000_NS6detail17trampoline_kernelINS0_14default_configENS1_27scan_by_key_config_selectorIiyEEZZNS1_16scan_by_key_implILNS1_25lookback_scan_determinismE0ELb0ES3_N6thrust23THRUST_200600_302600_NS6detail15normal_iteratorINS9_10device_ptrIiEEEENSB_INSC_IyEEEESG_yNS9_4plusIvEENS9_8equal_toIvEEyEE10hipError_tPvRmT2_T3_T4_T5_mT6_T7_P12ihipStream_tbENKUlT_T0_E_clISt17integral_constantIbLb0EES11_EEDaSW_SX_EUlSW_E_NS1_11comp_targetILNS1_3genE10ELNS1_11target_archE1200ELNS1_3gpuE4ELNS1_3repE0EEENS1_30default_config_static_selectorELNS0_4arch9wavefront6targetE0EEEvT1_.has_recursion, 0
	.set _ZN7rocprim17ROCPRIM_400000_NS6detail17trampoline_kernelINS0_14default_configENS1_27scan_by_key_config_selectorIiyEEZZNS1_16scan_by_key_implILNS1_25lookback_scan_determinismE0ELb0ES3_N6thrust23THRUST_200600_302600_NS6detail15normal_iteratorINS9_10device_ptrIiEEEENSB_INSC_IyEEEESG_yNS9_4plusIvEENS9_8equal_toIvEEyEE10hipError_tPvRmT2_T3_T4_T5_mT6_T7_P12ihipStream_tbENKUlT_T0_E_clISt17integral_constantIbLb0EES11_EEDaSW_SX_EUlSW_E_NS1_11comp_targetILNS1_3genE10ELNS1_11target_archE1200ELNS1_3gpuE4ELNS1_3repE0EEENS1_30default_config_static_selectorELNS0_4arch9wavefront6targetE0EEEvT1_.has_indirect_call, 0
	.section	.AMDGPU.csdata,"",@progbits
; Kernel info:
; codeLenInByte = 0
; TotalNumSgprs: 0
; NumVgprs: 0
; ScratchSize: 0
; MemoryBound: 0
; FloatMode: 240
; IeeeMode: 1
; LDSByteSize: 0 bytes/workgroup (compile time only)
; SGPRBlocks: 0
; VGPRBlocks: 0
; NumSGPRsForWavesPerEU: 1
; NumVGPRsForWavesPerEU: 1
; Occupancy: 16
; WaveLimiterHint : 0
; COMPUTE_PGM_RSRC2:SCRATCH_EN: 0
; COMPUTE_PGM_RSRC2:USER_SGPR: 6
; COMPUTE_PGM_RSRC2:TRAP_HANDLER: 0
; COMPUTE_PGM_RSRC2:TGID_X_EN: 1
; COMPUTE_PGM_RSRC2:TGID_Y_EN: 0
; COMPUTE_PGM_RSRC2:TGID_Z_EN: 0
; COMPUTE_PGM_RSRC2:TIDIG_COMP_CNT: 0
	.section	.text._ZN7rocprim17ROCPRIM_400000_NS6detail17trampoline_kernelINS0_14default_configENS1_27scan_by_key_config_selectorIiyEEZZNS1_16scan_by_key_implILNS1_25lookback_scan_determinismE0ELb0ES3_N6thrust23THRUST_200600_302600_NS6detail15normal_iteratorINS9_10device_ptrIiEEEENSB_INSC_IyEEEESG_yNS9_4plusIvEENS9_8equal_toIvEEyEE10hipError_tPvRmT2_T3_T4_T5_mT6_T7_P12ihipStream_tbENKUlT_T0_E_clISt17integral_constantIbLb0EES11_EEDaSW_SX_EUlSW_E_NS1_11comp_targetILNS1_3genE9ELNS1_11target_archE1100ELNS1_3gpuE3ELNS1_3repE0EEENS1_30default_config_static_selectorELNS0_4arch9wavefront6targetE0EEEvT1_,"axG",@progbits,_ZN7rocprim17ROCPRIM_400000_NS6detail17trampoline_kernelINS0_14default_configENS1_27scan_by_key_config_selectorIiyEEZZNS1_16scan_by_key_implILNS1_25lookback_scan_determinismE0ELb0ES3_N6thrust23THRUST_200600_302600_NS6detail15normal_iteratorINS9_10device_ptrIiEEEENSB_INSC_IyEEEESG_yNS9_4plusIvEENS9_8equal_toIvEEyEE10hipError_tPvRmT2_T3_T4_T5_mT6_T7_P12ihipStream_tbENKUlT_T0_E_clISt17integral_constantIbLb0EES11_EEDaSW_SX_EUlSW_E_NS1_11comp_targetILNS1_3genE9ELNS1_11target_archE1100ELNS1_3gpuE3ELNS1_3repE0EEENS1_30default_config_static_selectorELNS0_4arch9wavefront6targetE0EEEvT1_,comdat
	.protected	_ZN7rocprim17ROCPRIM_400000_NS6detail17trampoline_kernelINS0_14default_configENS1_27scan_by_key_config_selectorIiyEEZZNS1_16scan_by_key_implILNS1_25lookback_scan_determinismE0ELb0ES3_N6thrust23THRUST_200600_302600_NS6detail15normal_iteratorINS9_10device_ptrIiEEEENSB_INSC_IyEEEESG_yNS9_4plusIvEENS9_8equal_toIvEEyEE10hipError_tPvRmT2_T3_T4_T5_mT6_T7_P12ihipStream_tbENKUlT_T0_E_clISt17integral_constantIbLb0EES11_EEDaSW_SX_EUlSW_E_NS1_11comp_targetILNS1_3genE9ELNS1_11target_archE1100ELNS1_3gpuE3ELNS1_3repE0EEENS1_30default_config_static_selectorELNS0_4arch9wavefront6targetE0EEEvT1_ ; -- Begin function _ZN7rocprim17ROCPRIM_400000_NS6detail17trampoline_kernelINS0_14default_configENS1_27scan_by_key_config_selectorIiyEEZZNS1_16scan_by_key_implILNS1_25lookback_scan_determinismE0ELb0ES3_N6thrust23THRUST_200600_302600_NS6detail15normal_iteratorINS9_10device_ptrIiEEEENSB_INSC_IyEEEESG_yNS9_4plusIvEENS9_8equal_toIvEEyEE10hipError_tPvRmT2_T3_T4_T5_mT6_T7_P12ihipStream_tbENKUlT_T0_E_clISt17integral_constantIbLb0EES11_EEDaSW_SX_EUlSW_E_NS1_11comp_targetILNS1_3genE9ELNS1_11target_archE1100ELNS1_3gpuE3ELNS1_3repE0EEENS1_30default_config_static_selectorELNS0_4arch9wavefront6targetE0EEEvT1_
	.globl	_ZN7rocprim17ROCPRIM_400000_NS6detail17trampoline_kernelINS0_14default_configENS1_27scan_by_key_config_selectorIiyEEZZNS1_16scan_by_key_implILNS1_25lookback_scan_determinismE0ELb0ES3_N6thrust23THRUST_200600_302600_NS6detail15normal_iteratorINS9_10device_ptrIiEEEENSB_INSC_IyEEEESG_yNS9_4plusIvEENS9_8equal_toIvEEyEE10hipError_tPvRmT2_T3_T4_T5_mT6_T7_P12ihipStream_tbENKUlT_T0_E_clISt17integral_constantIbLb0EES11_EEDaSW_SX_EUlSW_E_NS1_11comp_targetILNS1_3genE9ELNS1_11target_archE1100ELNS1_3gpuE3ELNS1_3repE0EEENS1_30default_config_static_selectorELNS0_4arch9wavefront6targetE0EEEvT1_
	.p2align	8
	.type	_ZN7rocprim17ROCPRIM_400000_NS6detail17trampoline_kernelINS0_14default_configENS1_27scan_by_key_config_selectorIiyEEZZNS1_16scan_by_key_implILNS1_25lookback_scan_determinismE0ELb0ES3_N6thrust23THRUST_200600_302600_NS6detail15normal_iteratorINS9_10device_ptrIiEEEENSB_INSC_IyEEEESG_yNS9_4plusIvEENS9_8equal_toIvEEyEE10hipError_tPvRmT2_T3_T4_T5_mT6_T7_P12ihipStream_tbENKUlT_T0_E_clISt17integral_constantIbLb0EES11_EEDaSW_SX_EUlSW_E_NS1_11comp_targetILNS1_3genE9ELNS1_11target_archE1100ELNS1_3gpuE3ELNS1_3repE0EEENS1_30default_config_static_selectorELNS0_4arch9wavefront6targetE0EEEvT1_,@function
_ZN7rocprim17ROCPRIM_400000_NS6detail17trampoline_kernelINS0_14default_configENS1_27scan_by_key_config_selectorIiyEEZZNS1_16scan_by_key_implILNS1_25lookback_scan_determinismE0ELb0ES3_N6thrust23THRUST_200600_302600_NS6detail15normal_iteratorINS9_10device_ptrIiEEEENSB_INSC_IyEEEESG_yNS9_4plusIvEENS9_8equal_toIvEEyEE10hipError_tPvRmT2_T3_T4_T5_mT6_T7_P12ihipStream_tbENKUlT_T0_E_clISt17integral_constantIbLb0EES11_EEDaSW_SX_EUlSW_E_NS1_11comp_targetILNS1_3genE9ELNS1_11target_archE1100ELNS1_3gpuE3ELNS1_3repE0EEENS1_30default_config_static_selectorELNS0_4arch9wavefront6targetE0EEEvT1_: ; @_ZN7rocprim17ROCPRIM_400000_NS6detail17trampoline_kernelINS0_14default_configENS1_27scan_by_key_config_selectorIiyEEZZNS1_16scan_by_key_implILNS1_25lookback_scan_determinismE0ELb0ES3_N6thrust23THRUST_200600_302600_NS6detail15normal_iteratorINS9_10device_ptrIiEEEENSB_INSC_IyEEEESG_yNS9_4plusIvEENS9_8equal_toIvEEyEE10hipError_tPvRmT2_T3_T4_T5_mT6_T7_P12ihipStream_tbENKUlT_T0_E_clISt17integral_constantIbLb0EES11_EEDaSW_SX_EUlSW_E_NS1_11comp_targetILNS1_3genE9ELNS1_11target_archE1100ELNS1_3gpuE3ELNS1_3repE0EEENS1_30default_config_static_selectorELNS0_4arch9wavefront6targetE0EEEvT1_
; %bb.0:
	.section	.rodata,"a",@progbits
	.p2align	6, 0x0
	.amdhsa_kernel _ZN7rocprim17ROCPRIM_400000_NS6detail17trampoline_kernelINS0_14default_configENS1_27scan_by_key_config_selectorIiyEEZZNS1_16scan_by_key_implILNS1_25lookback_scan_determinismE0ELb0ES3_N6thrust23THRUST_200600_302600_NS6detail15normal_iteratorINS9_10device_ptrIiEEEENSB_INSC_IyEEEESG_yNS9_4plusIvEENS9_8equal_toIvEEyEE10hipError_tPvRmT2_T3_T4_T5_mT6_T7_P12ihipStream_tbENKUlT_T0_E_clISt17integral_constantIbLb0EES11_EEDaSW_SX_EUlSW_E_NS1_11comp_targetILNS1_3genE9ELNS1_11target_archE1100ELNS1_3gpuE3ELNS1_3repE0EEENS1_30default_config_static_selectorELNS0_4arch9wavefront6targetE0EEEvT1_
		.amdhsa_group_segment_fixed_size 0
		.amdhsa_private_segment_fixed_size 0
		.amdhsa_kernarg_size 136
		.amdhsa_user_sgpr_count 6
		.amdhsa_user_sgpr_private_segment_buffer 1
		.amdhsa_user_sgpr_dispatch_ptr 0
		.amdhsa_user_sgpr_queue_ptr 0
		.amdhsa_user_sgpr_kernarg_segment_ptr 1
		.amdhsa_user_sgpr_dispatch_id 0
		.amdhsa_user_sgpr_flat_scratch_init 0
		.amdhsa_user_sgpr_private_segment_size 0
		.amdhsa_wavefront_size32 1
		.amdhsa_uses_dynamic_stack 0
		.amdhsa_system_sgpr_private_segment_wavefront_offset 0
		.amdhsa_system_sgpr_workgroup_id_x 1
		.amdhsa_system_sgpr_workgroup_id_y 0
		.amdhsa_system_sgpr_workgroup_id_z 0
		.amdhsa_system_sgpr_workgroup_info 0
		.amdhsa_system_vgpr_workitem_id 0
		.amdhsa_next_free_vgpr 1
		.amdhsa_next_free_sgpr 1
		.amdhsa_reserve_vcc 0
		.amdhsa_reserve_flat_scratch 0
		.amdhsa_float_round_mode_32 0
		.amdhsa_float_round_mode_16_64 0
		.amdhsa_float_denorm_mode_32 3
		.amdhsa_float_denorm_mode_16_64 3
		.amdhsa_dx10_clamp 1
		.amdhsa_ieee_mode 1
		.amdhsa_fp16_overflow 0
		.amdhsa_workgroup_processor_mode 1
		.amdhsa_memory_ordered 1
		.amdhsa_forward_progress 1
		.amdhsa_shared_vgpr_count 0
		.amdhsa_exception_fp_ieee_invalid_op 0
		.amdhsa_exception_fp_denorm_src 0
		.amdhsa_exception_fp_ieee_div_zero 0
		.amdhsa_exception_fp_ieee_overflow 0
		.amdhsa_exception_fp_ieee_underflow 0
		.amdhsa_exception_fp_ieee_inexact 0
		.amdhsa_exception_int_div_zero 0
	.end_amdhsa_kernel
	.section	.text._ZN7rocprim17ROCPRIM_400000_NS6detail17trampoline_kernelINS0_14default_configENS1_27scan_by_key_config_selectorIiyEEZZNS1_16scan_by_key_implILNS1_25lookback_scan_determinismE0ELb0ES3_N6thrust23THRUST_200600_302600_NS6detail15normal_iteratorINS9_10device_ptrIiEEEENSB_INSC_IyEEEESG_yNS9_4plusIvEENS9_8equal_toIvEEyEE10hipError_tPvRmT2_T3_T4_T5_mT6_T7_P12ihipStream_tbENKUlT_T0_E_clISt17integral_constantIbLb0EES11_EEDaSW_SX_EUlSW_E_NS1_11comp_targetILNS1_3genE9ELNS1_11target_archE1100ELNS1_3gpuE3ELNS1_3repE0EEENS1_30default_config_static_selectorELNS0_4arch9wavefront6targetE0EEEvT1_,"axG",@progbits,_ZN7rocprim17ROCPRIM_400000_NS6detail17trampoline_kernelINS0_14default_configENS1_27scan_by_key_config_selectorIiyEEZZNS1_16scan_by_key_implILNS1_25lookback_scan_determinismE0ELb0ES3_N6thrust23THRUST_200600_302600_NS6detail15normal_iteratorINS9_10device_ptrIiEEEENSB_INSC_IyEEEESG_yNS9_4plusIvEENS9_8equal_toIvEEyEE10hipError_tPvRmT2_T3_T4_T5_mT6_T7_P12ihipStream_tbENKUlT_T0_E_clISt17integral_constantIbLb0EES11_EEDaSW_SX_EUlSW_E_NS1_11comp_targetILNS1_3genE9ELNS1_11target_archE1100ELNS1_3gpuE3ELNS1_3repE0EEENS1_30default_config_static_selectorELNS0_4arch9wavefront6targetE0EEEvT1_,comdat
.Lfunc_end1183:
	.size	_ZN7rocprim17ROCPRIM_400000_NS6detail17trampoline_kernelINS0_14default_configENS1_27scan_by_key_config_selectorIiyEEZZNS1_16scan_by_key_implILNS1_25lookback_scan_determinismE0ELb0ES3_N6thrust23THRUST_200600_302600_NS6detail15normal_iteratorINS9_10device_ptrIiEEEENSB_INSC_IyEEEESG_yNS9_4plusIvEENS9_8equal_toIvEEyEE10hipError_tPvRmT2_T3_T4_T5_mT6_T7_P12ihipStream_tbENKUlT_T0_E_clISt17integral_constantIbLb0EES11_EEDaSW_SX_EUlSW_E_NS1_11comp_targetILNS1_3genE9ELNS1_11target_archE1100ELNS1_3gpuE3ELNS1_3repE0EEENS1_30default_config_static_selectorELNS0_4arch9wavefront6targetE0EEEvT1_, .Lfunc_end1183-_ZN7rocprim17ROCPRIM_400000_NS6detail17trampoline_kernelINS0_14default_configENS1_27scan_by_key_config_selectorIiyEEZZNS1_16scan_by_key_implILNS1_25lookback_scan_determinismE0ELb0ES3_N6thrust23THRUST_200600_302600_NS6detail15normal_iteratorINS9_10device_ptrIiEEEENSB_INSC_IyEEEESG_yNS9_4plusIvEENS9_8equal_toIvEEyEE10hipError_tPvRmT2_T3_T4_T5_mT6_T7_P12ihipStream_tbENKUlT_T0_E_clISt17integral_constantIbLb0EES11_EEDaSW_SX_EUlSW_E_NS1_11comp_targetILNS1_3genE9ELNS1_11target_archE1100ELNS1_3gpuE3ELNS1_3repE0EEENS1_30default_config_static_selectorELNS0_4arch9wavefront6targetE0EEEvT1_
                                        ; -- End function
	.set _ZN7rocprim17ROCPRIM_400000_NS6detail17trampoline_kernelINS0_14default_configENS1_27scan_by_key_config_selectorIiyEEZZNS1_16scan_by_key_implILNS1_25lookback_scan_determinismE0ELb0ES3_N6thrust23THRUST_200600_302600_NS6detail15normal_iteratorINS9_10device_ptrIiEEEENSB_INSC_IyEEEESG_yNS9_4plusIvEENS9_8equal_toIvEEyEE10hipError_tPvRmT2_T3_T4_T5_mT6_T7_P12ihipStream_tbENKUlT_T0_E_clISt17integral_constantIbLb0EES11_EEDaSW_SX_EUlSW_E_NS1_11comp_targetILNS1_3genE9ELNS1_11target_archE1100ELNS1_3gpuE3ELNS1_3repE0EEENS1_30default_config_static_selectorELNS0_4arch9wavefront6targetE0EEEvT1_.num_vgpr, 0
	.set _ZN7rocprim17ROCPRIM_400000_NS6detail17trampoline_kernelINS0_14default_configENS1_27scan_by_key_config_selectorIiyEEZZNS1_16scan_by_key_implILNS1_25lookback_scan_determinismE0ELb0ES3_N6thrust23THRUST_200600_302600_NS6detail15normal_iteratorINS9_10device_ptrIiEEEENSB_INSC_IyEEEESG_yNS9_4plusIvEENS9_8equal_toIvEEyEE10hipError_tPvRmT2_T3_T4_T5_mT6_T7_P12ihipStream_tbENKUlT_T0_E_clISt17integral_constantIbLb0EES11_EEDaSW_SX_EUlSW_E_NS1_11comp_targetILNS1_3genE9ELNS1_11target_archE1100ELNS1_3gpuE3ELNS1_3repE0EEENS1_30default_config_static_selectorELNS0_4arch9wavefront6targetE0EEEvT1_.num_agpr, 0
	.set _ZN7rocprim17ROCPRIM_400000_NS6detail17trampoline_kernelINS0_14default_configENS1_27scan_by_key_config_selectorIiyEEZZNS1_16scan_by_key_implILNS1_25lookback_scan_determinismE0ELb0ES3_N6thrust23THRUST_200600_302600_NS6detail15normal_iteratorINS9_10device_ptrIiEEEENSB_INSC_IyEEEESG_yNS9_4plusIvEENS9_8equal_toIvEEyEE10hipError_tPvRmT2_T3_T4_T5_mT6_T7_P12ihipStream_tbENKUlT_T0_E_clISt17integral_constantIbLb0EES11_EEDaSW_SX_EUlSW_E_NS1_11comp_targetILNS1_3genE9ELNS1_11target_archE1100ELNS1_3gpuE3ELNS1_3repE0EEENS1_30default_config_static_selectorELNS0_4arch9wavefront6targetE0EEEvT1_.numbered_sgpr, 0
	.set _ZN7rocprim17ROCPRIM_400000_NS6detail17trampoline_kernelINS0_14default_configENS1_27scan_by_key_config_selectorIiyEEZZNS1_16scan_by_key_implILNS1_25lookback_scan_determinismE0ELb0ES3_N6thrust23THRUST_200600_302600_NS6detail15normal_iteratorINS9_10device_ptrIiEEEENSB_INSC_IyEEEESG_yNS9_4plusIvEENS9_8equal_toIvEEyEE10hipError_tPvRmT2_T3_T4_T5_mT6_T7_P12ihipStream_tbENKUlT_T0_E_clISt17integral_constantIbLb0EES11_EEDaSW_SX_EUlSW_E_NS1_11comp_targetILNS1_3genE9ELNS1_11target_archE1100ELNS1_3gpuE3ELNS1_3repE0EEENS1_30default_config_static_selectorELNS0_4arch9wavefront6targetE0EEEvT1_.num_named_barrier, 0
	.set _ZN7rocprim17ROCPRIM_400000_NS6detail17trampoline_kernelINS0_14default_configENS1_27scan_by_key_config_selectorIiyEEZZNS1_16scan_by_key_implILNS1_25lookback_scan_determinismE0ELb0ES3_N6thrust23THRUST_200600_302600_NS6detail15normal_iteratorINS9_10device_ptrIiEEEENSB_INSC_IyEEEESG_yNS9_4plusIvEENS9_8equal_toIvEEyEE10hipError_tPvRmT2_T3_T4_T5_mT6_T7_P12ihipStream_tbENKUlT_T0_E_clISt17integral_constantIbLb0EES11_EEDaSW_SX_EUlSW_E_NS1_11comp_targetILNS1_3genE9ELNS1_11target_archE1100ELNS1_3gpuE3ELNS1_3repE0EEENS1_30default_config_static_selectorELNS0_4arch9wavefront6targetE0EEEvT1_.private_seg_size, 0
	.set _ZN7rocprim17ROCPRIM_400000_NS6detail17trampoline_kernelINS0_14default_configENS1_27scan_by_key_config_selectorIiyEEZZNS1_16scan_by_key_implILNS1_25lookback_scan_determinismE0ELb0ES3_N6thrust23THRUST_200600_302600_NS6detail15normal_iteratorINS9_10device_ptrIiEEEENSB_INSC_IyEEEESG_yNS9_4plusIvEENS9_8equal_toIvEEyEE10hipError_tPvRmT2_T3_T4_T5_mT6_T7_P12ihipStream_tbENKUlT_T0_E_clISt17integral_constantIbLb0EES11_EEDaSW_SX_EUlSW_E_NS1_11comp_targetILNS1_3genE9ELNS1_11target_archE1100ELNS1_3gpuE3ELNS1_3repE0EEENS1_30default_config_static_selectorELNS0_4arch9wavefront6targetE0EEEvT1_.uses_vcc, 0
	.set _ZN7rocprim17ROCPRIM_400000_NS6detail17trampoline_kernelINS0_14default_configENS1_27scan_by_key_config_selectorIiyEEZZNS1_16scan_by_key_implILNS1_25lookback_scan_determinismE0ELb0ES3_N6thrust23THRUST_200600_302600_NS6detail15normal_iteratorINS9_10device_ptrIiEEEENSB_INSC_IyEEEESG_yNS9_4plusIvEENS9_8equal_toIvEEyEE10hipError_tPvRmT2_T3_T4_T5_mT6_T7_P12ihipStream_tbENKUlT_T0_E_clISt17integral_constantIbLb0EES11_EEDaSW_SX_EUlSW_E_NS1_11comp_targetILNS1_3genE9ELNS1_11target_archE1100ELNS1_3gpuE3ELNS1_3repE0EEENS1_30default_config_static_selectorELNS0_4arch9wavefront6targetE0EEEvT1_.uses_flat_scratch, 0
	.set _ZN7rocprim17ROCPRIM_400000_NS6detail17trampoline_kernelINS0_14default_configENS1_27scan_by_key_config_selectorIiyEEZZNS1_16scan_by_key_implILNS1_25lookback_scan_determinismE0ELb0ES3_N6thrust23THRUST_200600_302600_NS6detail15normal_iteratorINS9_10device_ptrIiEEEENSB_INSC_IyEEEESG_yNS9_4plusIvEENS9_8equal_toIvEEyEE10hipError_tPvRmT2_T3_T4_T5_mT6_T7_P12ihipStream_tbENKUlT_T0_E_clISt17integral_constantIbLb0EES11_EEDaSW_SX_EUlSW_E_NS1_11comp_targetILNS1_3genE9ELNS1_11target_archE1100ELNS1_3gpuE3ELNS1_3repE0EEENS1_30default_config_static_selectorELNS0_4arch9wavefront6targetE0EEEvT1_.has_dyn_sized_stack, 0
	.set _ZN7rocprim17ROCPRIM_400000_NS6detail17trampoline_kernelINS0_14default_configENS1_27scan_by_key_config_selectorIiyEEZZNS1_16scan_by_key_implILNS1_25lookback_scan_determinismE0ELb0ES3_N6thrust23THRUST_200600_302600_NS6detail15normal_iteratorINS9_10device_ptrIiEEEENSB_INSC_IyEEEESG_yNS9_4plusIvEENS9_8equal_toIvEEyEE10hipError_tPvRmT2_T3_T4_T5_mT6_T7_P12ihipStream_tbENKUlT_T0_E_clISt17integral_constantIbLb0EES11_EEDaSW_SX_EUlSW_E_NS1_11comp_targetILNS1_3genE9ELNS1_11target_archE1100ELNS1_3gpuE3ELNS1_3repE0EEENS1_30default_config_static_selectorELNS0_4arch9wavefront6targetE0EEEvT1_.has_recursion, 0
	.set _ZN7rocprim17ROCPRIM_400000_NS6detail17trampoline_kernelINS0_14default_configENS1_27scan_by_key_config_selectorIiyEEZZNS1_16scan_by_key_implILNS1_25lookback_scan_determinismE0ELb0ES3_N6thrust23THRUST_200600_302600_NS6detail15normal_iteratorINS9_10device_ptrIiEEEENSB_INSC_IyEEEESG_yNS9_4plusIvEENS9_8equal_toIvEEyEE10hipError_tPvRmT2_T3_T4_T5_mT6_T7_P12ihipStream_tbENKUlT_T0_E_clISt17integral_constantIbLb0EES11_EEDaSW_SX_EUlSW_E_NS1_11comp_targetILNS1_3genE9ELNS1_11target_archE1100ELNS1_3gpuE3ELNS1_3repE0EEENS1_30default_config_static_selectorELNS0_4arch9wavefront6targetE0EEEvT1_.has_indirect_call, 0
	.section	.AMDGPU.csdata,"",@progbits
; Kernel info:
; codeLenInByte = 0
; TotalNumSgprs: 0
; NumVgprs: 0
; ScratchSize: 0
; MemoryBound: 0
; FloatMode: 240
; IeeeMode: 1
; LDSByteSize: 0 bytes/workgroup (compile time only)
; SGPRBlocks: 0
; VGPRBlocks: 0
; NumSGPRsForWavesPerEU: 1
; NumVGPRsForWavesPerEU: 1
; Occupancy: 16
; WaveLimiterHint : 0
; COMPUTE_PGM_RSRC2:SCRATCH_EN: 0
; COMPUTE_PGM_RSRC2:USER_SGPR: 6
; COMPUTE_PGM_RSRC2:TRAP_HANDLER: 0
; COMPUTE_PGM_RSRC2:TGID_X_EN: 1
; COMPUTE_PGM_RSRC2:TGID_Y_EN: 0
; COMPUTE_PGM_RSRC2:TGID_Z_EN: 0
; COMPUTE_PGM_RSRC2:TIDIG_COMP_CNT: 0
	.section	.text._ZN7rocprim17ROCPRIM_400000_NS6detail17trampoline_kernelINS0_14default_configENS1_27scan_by_key_config_selectorIiyEEZZNS1_16scan_by_key_implILNS1_25lookback_scan_determinismE0ELb0ES3_N6thrust23THRUST_200600_302600_NS6detail15normal_iteratorINS9_10device_ptrIiEEEENSB_INSC_IyEEEESG_yNS9_4plusIvEENS9_8equal_toIvEEyEE10hipError_tPvRmT2_T3_T4_T5_mT6_T7_P12ihipStream_tbENKUlT_T0_E_clISt17integral_constantIbLb0EES11_EEDaSW_SX_EUlSW_E_NS1_11comp_targetILNS1_3genE8ELNS1_11target_archE1030ELNS1_3gpuE2ELNS1_3repE0EEENS1_30default_config_static_selectorELNS0_4arch9wavefront6targetE0EEEvT1_,"axG",@progbits,_ZN7rocprim17ROCPRIM_400000_NS6detail17trampoline_kernelINS0_14default_configENS1_27scan_by_key_config_selectorIiyEEZZNS1_16scan_by_key_implILNS1_25lookback_scan_determinismE0ELb0ES3_N6thrust23THRUST_200600_302600_NS6detail15normal_iteratorINS9_10device_ptrIiEEEENSB_INSC_IyEEEESG_yNS9_4plusIvEENS9_8equal_toIvEEyEE10hipError_tPvRmT2_T3_T4_T5_mT6_T7_P12ihipStream_tbENKUlT_T0_E_clISt17integral_constantIbLb0EES11_EEDaSW_SX_EUlSW_E_NS1_11comp_targetILNS1_3genE8ELNS1_11target_archE1030ELNS1_3gpuE2ELNS1_3repE0EEENS1_30default_config_static_selectorELNS0_4arch9wavefront6targetE0EEEvT1_,comdat
	.protected	_ZN7rocprim17ROCPRIM_400000_NS6detail17trampoline_kernelINS0_14default_configENS1_27scan_by_key_config_selectorIiyEEZZNS1_16scan_by_key_implILNS1_25lookback_scan_determinismE0ELb0ES3_N6thrust23THRUST_200600_302600_NS6detail15normal_iteratorINS9_10device_ptrIiEEEENSB_INSC_IyEEEESG_yNS9_4plusIvEENS9_8equal_toIvEEyEE10hipError_tPvRmT2_T3_T4_T5_mT6_T7_P12ihipStream_tbENKUlT_T0_E_clISt17integral_constantIbLb0EES11_EEDaSW_SX_EUlSW_E_NS1_11comp_targetILNS1_3genE8ELNS1_11target_archE1030ELNS1_3gpuE2ELNS1_3repE0EEENS1_30default_config_static_selectorELNS0_4arch9wavefront6targetE0EEEvT1_ ; -- Begin function _ZN7rocprim17ROCPRIM_400000_NS6detail17trampoline_kernelINS0_14default_configENS1_27scan_by_key_config_selectorIiyEEZZNS1_16scan_by_key_implILNS1_25lookback_scan_determinismE0ELb0ES3_N6thrust23THRUST_200600_302600_NS6detail15normal_iteratorINS9_10device_ptrIiEEEENSB_INSC_IyEEEESG_yNS9_4plusIvEENS9_8equal_toIvEEyEE10hipError_tPvRmT2_T3_T4_T5_mT6_T7_P12ihipStream_tbENKUlT_T0_E_clISt17integral_constantIbLb0EES11_EEDaSW_SX_EUlSW_E_NS1_11comp_targetILNS1_3genE8ELNS1_11target_archE1030ELNS1_3gpuE2ELNS1_3repE0EEENS1_30default_config_static_selectorELNS0_4arch9wavefront6targetE0EEEvT1_
	.globl	_ZN7rocprim17ROCPRIM_400000_NS6detail17trampoline_kernelINS0_14default_configENS1_27scan_by_key_config_selectorIiyEEZZNS1_16scan_by_key_implILNS1_25lookback_scan_determinismE0ELb0ES3_N6thrust23THRUST_200600_302600_NS6detail15normal_iteratorINS9_10device_ptrIiEEEENSB_INSC_IyEEEESG_yNS9_4plusIvEENS9_8equal_toIvEEyEE10hipError_tPvRmT2_T3_T4_T5_mT6_T7_P12ihipStream_tbENKUlT_T0_E_clISt17integral_constantIbLb0EES11_EEDaSW_SX_EUlSW_E_NS1_11comp_targetILNS1_3genE8ELNS1_11target_archE1030ELNS1_3gpuE2ELNS1_3repE0EEENS1_30default_config_static_selectorELNS0_4arch9wavefront6targetE0EEEvT1_
	.p2align	8
	.type	_ZN7rocprim17ROCPRIM_400000_NS6detail17trampoline_kernelINS0_14default_configENS1_27scan_by_key_config_selectorIiyEEZZNS1_16scan_by_key_implILNS1_25lookback_scan_determinismE0ELb0ES3_N6thrust23THRUST_200600_302600_NS6detail15normal_iteratorINS9_10device_ptrIiEEEENSB_INSC_IyEEEESG_yNS9_4plusIvEENS9_8equal_toIvEEyEE10hipError_tPvRmT2_T3_T4_T5_mT6_T7_P12ihipStream_tbENKUlT_T0_E_clISt17integral_constantIbLb0EES11_EEDaSW_SX_EUlSW_E_NS1_11comp_targetILNS1_3genE8ELNS1_11target_archE1030ELNS1_3gpuE2ELNS1_3repE0EEENS1_30default_config_static_selectorELNS0_4arch9wavefront6targetE0EEEvT1_,@function
_ZN7rocprim17ROCPRIM_400000_NS6detail17trampoline_kernelINS0_14default_configENS1_27scan_by_key_config_selectorIiyEEZZNS1_16scan_by_key_implILNS1_25lookback_scan_determinismE0ELb0ES3_N6thrust23THRUST_200600_302600_NS6detail15normal_iteratorINS9_10device_ptrIiEEEENSB_INSC_IyEEEESG_yNS9_4plusIvEENS9_8equal_toIvEEyEE10hipError_tPvRmT2_T3_T4_T5_mT6_T7_P12ihipStream_tbENKUlT_T0_E_clISt17integral_constantIbLb0EES11_EEDaSW_SX_EUlSW_E_NS1_11comp_targetILNS1_3genE8ELNS1_11target_archE1030ELNS1_3gpuE2ELNS1_3repE0EEENS1_30default_config_static_selectorELNS0_4arch9wavefront6targetE0EEEvT1_: ; @_ZN7rocprim17ROCPRIM_400000_NS6detail17trampoline_kernelINS0_14default_configENS1_27scan_by_key_config_selectorIiyEEZZNS1_16scan_by_key_implILNS1_25lookback_scan_determinismE0ELb0ES3_N6thrust23THRUST_200600_302600_NS6detail15normal_iteratorINS9_10device_ptrIiEEEENSB_INSC_IyEEEESG_yNS9_4plusIvEENS9_8equal_toIvEEyEE10hipError_tPvRmT2_T3_T4_T5_mT6_T7_P12ihipStream_tbENKUlT_T0_E_clISt17integral_constantIbLb0EES11_EEDaSW_SX_EUlSW_E_NS1_11comp_targetILNS1_3genE8ELNS1_11target_archE1030ELNS1_3gpuE2ELNS1_3repE0EEENS1_30default_config_static_selectorELNS0_4arch9wavefront6targetE0EEEvT1_
; %bb.0:
	s_clause 0x3
	s_load_dwordx8 s[8:15], s[4:5], 0x0
	s_load_dwordx2 s[34:35], s[4:5], 0x50
	s_load_dword s7, s[4:5], 0x58
	s_load_dwordx8 s[24:31], s[4:5], 0x60
	s_mov_b32 s1, 0
	s_load_dwordx8 s[16:23], s[4:5], 0x30
	s_waitcnt lgkmcnt(0)
	s_barrier
	buffer_gl0_inv
	s_lshl_b64 s[2:3], s[10:11], 2
	s_add_u32 s33, s8, s2
	s_addc_u32 s36, s9, s3
	s_lshl_b64 s[8:9], s[10:11], 3
	s_mul_i32 s0, s35, s7
	s_mul_hi_u32 s2, s34, s7
	s_add_u32 s12, s12, s8
	s_addc_u32 s13, s13, s9
	s_add_i32 s37, s2, s0
	s_cmp_lg_u64 s[28:29], 0
	s_mul_i32 s0, s6, 0x300
	s_cselect_b32 s29, -1, 0
	s_lshl_b64 s[2:3], s[0:1], 2
	s_add_u32 s4, s33, s2
	s_addc_u32 s5, s36, s3
	s_lshl_b64 s[10:11], s[0:1], 3
	s_mul_i32 s0, s34, s7
	s_add_u32 s3, s12, s10
	s_addc_u32 s28, s13, s11
	s_add_u32 s12, s0, s6
	s_addc_u32 s13, s37, 0
	s_add_u32 s24, s24, -1
	s_addc_u32 s25, s25, -1
	s_mul_i32 s7, s24, 0xfffffd00
	v_cmp_ge_u64_e64 s23, s[12:13], s[24:25]
	s_and_b32 vcc_lo, exec_lo, s23
	s_cbranch_vccz .LBB1184_22
; %bb.1:
	v_mov_b32_e32 v1, s4
	v_mov_b32_e32 v2, s5
	s_add_i32 s33, s7, s22
	v_cmp_gt_u32_e64 s2, s33, v0
	flat_load_dword v1, v[1:2]
	s_waitcnt vmcnt(0) lgkmcnt(0)
	v_mov_b32_e32 v2, v1
	s_and_saveexec_b32 s0, s2
	s_cbranch_execz .LBB1184_3
; %bb.2:
	v_lshlrev_b32_e32 v2, 2, v0
	v_add_co_u32 v2, s1, s4, v2
	v_add_co_ci_u32_e64 v3, null, s5, 0, s1
	flat_load_dword v2, v[2:3]
.LBB1184_3:
	s_or_b32 exec_lo, exec_lo, s0
	v_or_b32_e32 v11, 0x100, v0
	v_mov_b32_e32 v3, v1
	v_cmp_gt_u32_e64 s1, s33, v11
	s_and_saveexec_b32 s0, s1
	s_cbranch_execz .LBB1184_5
; %bb.4:
	v_lshlrev_b32_e32 v3, 2, v0
	v_add_co_u32 v3, s24, s4, v3
	v_add_co_ci_u32_e64 v4, null, s5, 0, s24
	flat_load_dword v3, v[3:4] offset:1024
.LBB1184_5:
	s_or_b32 exec_lo, exec_lo, s0
	v_or_b32_e32 v10, 0x200, v0
	v_cmp_gt_u32_e64 s0, s33, v10
	s_and_saveexec_b32 s24, s0
	s_cbranch_execz .LBB1184_7
; %bb.6:
	v_lshlrev_b32_e32 v1, 2, v10
	v_add_co_u32 v4, s25, s4, v1
	v_add_co_ci_u32_e64 v5, null, s5, 0, s25
	flat_load_dword v1, v[4:5]
.LBB1184_7:
	s_or_b32 exec_lo, exec_lo, s24
	v_lshlrev_b32_e32 v4, 2, v0
	v_lshlrev_b32_e32 v14, 3, v0
	s_cmp_eq_u64 s[12:13], 0
	s_mov_b64 s[24:25], s[4:5]
	s_waitcnt vmcnt(0) lgkmcnt(0)
	ds_write2st64_b32 v4, v2, v3 offset1:4
	v_add_nc_u32_e32 v2, v4, v14
	ds_write_b32 v4, v1 offset:2048
	s_waitcnt lgkmcnt(0)
	s_barrier
	buffer_gl0_inv
	ds_read2_b32 v[7:8], v2 offset1:1
	ds_read_b32 v9, v2 offset:8
	s_cbranch_scc1 .LBB1184_11
; %bb.8:
	s_andn2_b32 vcc_lo, exec_lo, s29
	s_cbranch_vccnz .LBB1184_145
; %bb.9:
	s_lshl_b64 s[24:25], s[12:13], 2
	s_add_u32 s24, s30, s24
	s_addc_u32 s25, s31, s25
	s_add_u32 s24, s24, -4
	s_addc_u32 s25, s25, -1
	s_cbranch_execnz .LBB1184_11
.LBB1184_10:
	s_add_u32 s24, s4, -4
	s_addc_u32 s25, s5, -1
.LBB1184_11:
	v_mov_b32_e32 v3, s24
	v_mov_b32_e32 v4, s25
	v_sub_nc_u32_e32 v13, v2, v14
	s_mov_b32 s24, exec_lo
	flat_load_dword v12, v[3:4]
	s_waitcnt lgkmcnt(1)
	ds_write_b32 v13, v9 offset:3072
	s_waitcnt vmcnt(0) lgkmcnt(0)
	s_barrier
	buffer_gl0_inv
	v_cmpx_ne_u32_e32 0, v0
; %bb.12:
	ds_read_b32 v12, v13 offset:3068
; %bb.13:
	s_or_b32 exec_lo, exec_lo, s24
	v_mov_b32_e32 v1, 0
	s_waitcnt lgkmcnt(0)
	s_barrier
	buffer_gl0_inv
	v_mov_b32_e32 v2, v1
	v_mov_b32_e32 v3, v1
	;; [unrolled: 1-line block ×5, first 2 shown]
	s_and_saveexec_b32 s24, s2
	s_cbranch_execnz .LBB1184_143
; %bb.14:
	s_or_b32 exec_lo, exec_lo, s24
	s_and_saveexec_b32 s2, s1
	s_cbranch_execnz .LBB1184_144
.LBB1184_15:
	s_or_b32 exec_lo, exec_lo, s2
	s_and_saveexec_b32 s1, s0
	s_cbranch_execz .LBB1184_17
.LBB1184_16:
	v_lshlrev_b32_e32 v5, 3, v10
	v_add_co_u32 v5, s0, s3, v5
	v_add_co_ci_u32_e64 v6, null, s28, 0, s0
	flat_load_dwordx2 v[5:6], v[5:6]
.LBB1184_17:
	s_or_b32 exec_lo, exec_lo, s1
	v_lshl_add_u32 v11, v0, 2, v13
	v_mul_u32_u24_e32 v10, 3, v0
	v_mov_b32_e32 v18, 0
	v_mov_b32_e32 v20, 0
	s_mov_b32 s24, 0
	s_waitcnt vmcnt(0) lgkmcnt(0)
	ds_write2st64_b64 v11, v[1:2], v[3:4] offset1:4
	ds_write_b64 v11, v[5:6] offset:4096
	v_mov_b32_e32 v1, 0
	v_mov_b32_e32 v3, 0
	;; [unrolled: 1-line block ×4, first 2 shown]
	s_mov_b32 s1, 0
	s_mov_b32 s25, exec_lo
	s_waitcnt lgkmcnt(0)
	s_barrier
	buffer_gl0_inv
                                        ; implicit-def: $sgpr2
                                        ; implicit-def: $vgpr5_vgpr6
	v_cmpx_gt_u32_e64 s33, v10
	s_cbranch_execz .LBB1184_21
; %bb.18:
	v_lshlrev_b32_e32 v1, 4, v0
	v_add_nc_u32_e32 v3, 1, v10
	v_mov_b32_e32 v20, 0
	v_cmp_ne_u32_e32 vcc_lo, v12, v7
                                        ; implicit-def: $sgpr2
                                        ; implicit-def: $vgpr5_vgpr6
	v_add_nc_u32_e32 v11, v11, v1
	v_cmp_gt_u32_e64 s0, s33, v3
	v_mov_b32_e32 v3, 0
	v_mov_b32_e32 v4, 0
	ds_read_b64 v[1:2], v11
	s_and_saveexec_b32 s36, s0
	s_xor_b32 s36, exec_lo, s36
	s_cbranch_execz .LBB1184_20
; %bb.19:
	ds_read2_b64 v[3:6], v11 offset0:1 offset1:2
	v_add_nc_u32_e32 v10, 2, v10
	v_cmp_ne_u32_e64 s1, v7, v8
	v_cmp_ne_u32_e64 s2, v8, v9
	v_cmp_gt_u32_e64 s0, s33, v10
	v_cndmask_b32_e64 v20, 0, 1, s1
	s_and_b32 s1, s0, exec_lo
.LBB1184_20:
	s_or_b32 exec_lo, exec_lo, s36
	v_cndmask_b32_e64 v18, 0, 1, vcc_lo
	s_and_b32 s1, s1, exec_lo
.LBB1184_21:
	s_or_b32 exec_lo, exec_lo, s25
	v_lshlrev_b32_e32 v17, 3, v0
	s_and_b32 vcc_lo, exec_lo, s24
	s_cbranch_vccnz .LBB1184_23
	s_branch .LBB1184_31
.LBB1184_22:
                                        ; implicit-def: $sgpr2
                                        ; implicit-def: $vgpr5_vgpr6
                                        ; implicit-def: $vgpr18
                                        ; implicit-def: $vgpr1_vgpr2
                                        ; implicit-def: $vgpr20
	v_lshlrev_b32_e32 v17, 3, v0
	s_cbranch_execz .LBB1184_31
.LBB1184_23:
	s_waitcnt lgkmcnt(0)
	v_lshlrev_b32_e32 v5, 2, v0
	s_cmp_eq_u64 s[12:13], 0
	v_add_co_u32 v1, s0, s4, v5
	v_add_co_ci_u32_e64 v2, null, s5, 0, s0
	v_add_co_u32 v3, vcc_lo, 0x800, v1
	v_add_co_ci_u32_e64 v4, null, 0, v2, vcc_lo
	s_clause 0x2
	flat_load_dword v6, v[1:2]
	flat_load_dword v2, v[1:2] offset:1024
	flat_load_dword v3, v[3:4]
	v_add_nc_u32_e32 v1, v5, v17
	s_waitcnt vmcnt(1) lgkmcnt(1)
	ds_write2st64_b32 v5, v6, v2 offset1:4
	s_waitcnt vmcnt(0) lgkmcnt(1)
	ds_write_b32 v5, v3 offset:2048
	s_waitcnt lgkmcnt(0)
	s_barrier
	buffer_gl0_inv
	ds_read2_b32 v[7:8], v1 offset1:1
	ds_read_b32 v9, v1 offset:8
	s_cbranch_scc1 .LBB1184_28
; %bb.24:
	s_andn2_b32 vcc_lo, exec_lo, s29
	s_cbranch_vccnz .LBB1184_146
; %bb.25:
	s_lshl_b64 s[0:1], s[12:13], 2
	s_add_u32 s0, s30, s0
	s_addc_u32 s1, s31, s1
	s_add_u32 s0, s0, -4
	s_addc_u32 s1, s1, -1
	s_cbranch_execnz .LBB1184_27
.LBB1184_26:
	s_add_u32 s0, s4, -4
	s_addc_u32 s1, s5, -1
.LBB1184_27:
	s_mov_b64 s[4:5], s[0:1]
.LBB1184_28:
	v_mov_b32_e32 v2, s4
	v_mov_b32_e32 v3, s5
	v_sub_nc_u32_e32 v1, v1, v17
	s_mov_b32 s0, exec_lo
	flat_load_dword v10, v[2:3]
	s_waitcnt lgkmcnt(1)
	ds_write_b32 v1, v9 offset:3072
	s_waitcnt vmcnt(0) lgkmcnt(0)
	s_barrier
	buffer_gl0_inv
	v_cmpx_ne_u32_e32 0, v0
; %bb.29:
	ds_read_b32 v10, v1 offset:3068
; %bb.30:
	s_or_b32 exec_lo, exec_lo, s0
	v_add_co_u32 v2, s0, s3, v17
	v_add_co_ci_u32_e64 v3, null, s28, 0, s0
	s_waitcnt lgkmcnt(0)
	v_add_co_u32 v4, vcc_lo, 0x800, v2
	v_add_co_ci_u32_e64 v5, null, 0, v3, vcc_lo
	v_add_co_u32 v11, vcc_lo, 0x1000, v2
	v_add_co_ci_u32_e64 v12, null, 0, v3, vcc_lo
	s_barrier
	buffer_gl0_inv
	s_clause 0x2
	flat_load_dwordx2 v[2:3], v[2:3]
	flat_load_dwordx2 v[4:5], v[4:5]
	;; [unrolled: 1-line block ×3, first 2 shown]
	v_lshl_add_u32 v1, v0, 2, v1
	v_cmp_ne_u32_e32 vcc_lo, v7, v8
	v_cmp_ne_u32_e64 s2, v8, v9
	s_mov_b32 s1, -1
	s_waitcnt vmcnt(1) lgkmcnt(1)
	ds_write2st64_b64 v1, v[2:3], v[4:5] offset1:4
	s_waitcnt vmcnt(0) lgkmcnt(1)
	ds_write_b64 v1, v[11:12] offset:4096
	v_lshl_add_u32 v6, v0, 4, v1
	s_waitcnt lgkmcnt(0)
	s_barrier
	buffer_gl0_inv
	ds_read2_b64 v[1:4], v6 offset1:1
	ds_read_b64 v[5:6], v6 offset:16
	v_cndmask_b32_e64 v20, 0, 1, vcc_lo
	v_cmp_ne_u32_e32 vcc_lo, v10, v7
	v_cndmask_b32_e64 v18, 0, 1, vcc_lo
.LBB1184_31:
	v_mov_b32_e32 v7, 0
	v_mov_b32_e32 v8, 0
	;; [unrolled: 1-line block ×3, first 2 shown]
	s_and_saveexec_b32 s0, s1
	s_cbranch_execz .LBB1184_33
; %bb.32:
	s_waitcnt lgkmcnt(0)
	v_mov_b32_e32 v8, v6
	v_cndmask_b32_e64 v21, 0, 1, s2
	v_mov_b32_e32 v7, v5
.LBB1184_33:
	s_or_b32 exec_lo, exec_lo, s0
	v_and_b32_e32 v22, 1, v21
	v_cmp_eq_u16_e64 s0, 0, v21
	v_mbcnt_lo_u32_b32 v19, -1, 0
	s_cmp_lg_u32 s6, 0
	s_waitcnt lgkmcnt(0)
	v_cmp_eq_u32_e32 vcc_lo, 1, v22
	s_barrier
	buffer_gl0_inv
	s_cbranch_scc0 .LBB1184_91
; %bb.34:
	v_mov_b32_e32 v5, 0
	v_or_b32_e32 v10, v20, v18
	s_mov_b32 s3, exec_lo
	v_cmp_eq_u16_sdwa s1, v20, v5 src0_sel:BYTE_0 src1_sel:DWORD
	v_cndmask_b32_e64 v9, 0, v1, s1
	v_cndmask_b32_e64 v6, 0, v2, s1
	v_add_co_u32 v9, s2, v9, v3
	v_add_co_ci_u32_e64 v6, null, v6, v4, s2
	v_cmp_ne_u16_sdwa s2, v10, v5 src0_sel:BYTE_0 src1_sel:DWORD
	v_cndmask_b32_e64 v9, 0, v9, s0
	v_cndmask_b32_e64 v6, 0, v6, s0
	s_or_b32 s2, s2, vcc_lo
	v_add_co_u32 v9, vcc_lo, v9, v7
	v_cndmask_b32_e64 v5, 0, 1, s2
	v_add_co_ci_u32_e64 v10, null, v6, v8, vcc_lo
	v_and_b32_e32 v6, 15, v19
	v_mov_b32_dpp v12, v9 row_shr:1 row_mask:0xf bank_mask:0xf
	v_mov_b32_dpp v11, v5 row_shr:1 row_mask:0xf bank_mask:0xf
	;; [unrolled: 1-line block ×3, first 2 shown]
	v_cmpx_ne_u32_e32 0, v6
; %bb.35:
	v_cndmask_b32_e64 v12, v12, 0, s2
	v_cndmask_b32_e64 v13, v13, 0, s2
	v_and_or_b32 v5, v11, 1, v5
	v_add_co_u32 v9, vcc_lo, v12, v9
	v_add_co_ci_u32_e64 v10, null, v13, v10, vcc_lo
; %bb.36:
	s_or_b32 exec_lo, exec_lo, s3
	v_mov_b32_dpp v12, v9 row_shr:2 row_mask:0xf bank_mask:0xf
	v_mov_b32_dpp v13, v10 row_shr:2 row_mask:0xf bank_mask:0xf
	v_mov_b32_dpp v11, v5 row_shr:2 row_mask:0xf bank_mask:0xf
	s_mov_b32 s2, exec_lo
	v_cmpx_lt_u32_e32 1, v6
	s_cbranch_execz .LBB1184_38
; %bb.37:
	v_cmp_eq_u16_e32 vcc_lo, 0, v5
	v_or_b32_e32 v5, v11, v5
	v_cndmask_b32_e32 v12, 0, v12, vcc_lo
	v_cndmask_b32_e32 v13, 0, v13, vcc_lo
	v_and_b32_e32 v5, 1, v5
	v_add_co_u32 v9, vcc_lo, v12, v9
	v_add_co_ci_u32_e64 v10, null, v13, v10, vcc_lo
.LBB1184_38:
	s_or_b32 exec_lo, exec_lo, s2
	v_mov_b32_dpp v12, v9 row_shr:4 row_mask:0xf bank_mask:0xf
	v_mov_b32_dpp v13, v10 row_shr:4 row_mask:0xf bank_mask:0xf
	v_mov_b32_dpp v11, v5 row_shr:4 row_mask:0xf bank_mask:0xf
	s_mov_b32 s2, exec_lo
	v_cmpx_lt_u32_e32 3, v6
	s_cbranch_execz .LBB1184_40
; %bb.39:
	v_cmp_eq_u16_e32 vcc_lo, 0, v5
	v_or_b32_e32 v5, v11, v5
	v_cndmask_b32_e32 v12, 0, v12, vcc_lo
	v_cndmask_b32_e32 v13, 0, v13, vcc_lo
	v_and_b32_e32 v5, 1, v5
	v_add_co_u32 v9, vcc_lo, v12, v9
	v_add_co_ci_u32_e64 v10, null, v13, v10, vcc_lo
.LBB1184_40:
	;; [unrolled: 16-line block ×3, first 2 shown]
	s_or_b32 exec_lo, exec_lo, s2
	ds_swizzle_b32 v6, v9 offset:swizzle(BROADCAST,32,15)
	ds_swizzle_b32 v12, v10 offset:swizzle(BROADCAST,32,15)
	;; [unrolled: 1-line block ×3, first 2 shown]
	v_and_b32_e32 v11, 16, v19
	v_cmp_ne_u32_e32 vcc_lo, 0, v11
	v_mov_b32_e32 v11, v5
	s_and_saveexec_b32 s4, vcc_lo
	s_cbranch_execz .LBB1184_44
; %bb.43:
	v_cmp_eq_u16_e32 vcc_lo, 0, v5
	v_and_b32_e32 v5, 1, v5
	s_waitcnt lgkmcnt(0)
	v_and_b32_e32 v11, 1, v13
	v_cndmask_b32_e32 v12, 0, v12, vcc_lo
	v_cndmask_b32_e32 v6, 0, v6, vcc_lo
	v_cmp_eq_u32_e32 vcc_lo, 1, v5
	v_cmp_eq_u32_e64 s2, 1, v11
	v_add_co_u32 v9, s3, v6, v9
	s_or_b32 s2, vcc_lo, s2
	v_add_co_ci_u32_e64 v10, null, v12, v10, s3
	v_cndmask_b32_e64 v5, 0, 1, s2
	v_cndmask_b32_e64 v11, 0, 1, s2
.LBB1184_44:
	s_or_b32 exec_lo, exec_lo, s4
	s_waitcnt lgkmcnt(1)
	v_lshrrev_b32_e32 v12, 5, v0
	v_or_b32_e32 v6, 31, v0
	s_mov_b32 s2, exec_lo
	v_lshlrev_b32_e32 v12, 4, v12
	v_cmpx_eq_u32_e64 v0, v6
	s_cbranch_execz .LBB1184_46
; %bb.45:
	ds_write_b64 v12, v[9:10]
	ds_write_b8 v12, v5 offset:8
.LBB1184_46:
	s_or_b32 exec_lo, exec_lo, s2
	s_mov_b32 s4, exec_lo
	s_waitcnt lgkmcnt(0)
	s_barrier
	buffer_gl0_inv
	v_cmpx_gt_u32_e32 8, v0
	s_cbranch_execz .LBB1184_54
; %bb.47:
	v_lshlrev_b32_e32 v13, 4, v0
	v_and_b32_e32 v14, 7, v19
	s_mov_b32 s2, exec_lo
	ds_read_b64 v[5:6], v13
	ds_read_b32 v24, v13 offset:8
	s_waitcnt lgkmcnt(1)
	v_mov_b32_dpp v25, v5 row_shr:1 row_mask:0xf bank_mask:0xf
	v_mov_b32_dpp v26, v6 row_shr:1 row_mask:0xf bank_mask:0xf
	s_waitcnt lgkmcnt(0)
	v_and_b32_e32 v16, 0xffffff00, v24
	v_mov_b32_dpp v27, v24 row_shr:1 row_mask:0xf bank_mask:0xf
	v_mov_b32_e32 v23, v24
	v_mov_b32_e32 v15, v24
	v_cmpx_ne_u32_e32 0, v14
	s_cbranch_execz .LBB1184_49
; %bb.48:
	v_mov_b32_e32 v15, 0
	v_cmp_eq_u16_sdwa vcc_lo, v24, v15 src0_sel:BYTE_0 src1_sel:DWORD
	v_or_b32_e32 v15, v27, v24
	v_cndmask_b32_e32 v25, 0, v25, vcc_lo
	v_cndmask_b32_e32 v24, 0, v26, vcc_lo
	v_and_b32_e32 v23, 1, v15
	v_and_b32_e32 v15, 1, v15
	v_add_co_u32 v5, vcc_lo, v25, v5
	v_add_co_ci_u32_e64 v6, null, v24, v6, vcc_lo
	v_or_b32_e32 v24, v15, v16
.LBB1184_49:
	s_or_b32 exec_lo, exec_lo, s2
	v_mov_b32_dpp v25, v5 row_shr:2 row_mask:0xf bank_mask:0xf
	v_mov_b32_dpp v26, v6 row_shr:2 row_mask:0xf bank_mask:0xf
	v_mov_b32_dpp v27, v24 row_shr:2 row_mask:0xf bank_mask:0xf
	s_mov_b32 s5, exec_lo
	v_cmpx_lt_u32_e32 1, v14
	s_cbranch_execz .LBB1184_51
; %bb.50:
	v_mov_b32_e32 v23, 0
	v_and_b32_e32 v24, 1, v15
	v_and_b32_e32 v27, 1, v27
	v_cmp_eq_u16_sdwa vcc_lo, v15, v23 src0_sel:BYTE_0 src1_sel:DWORD
	v_cmp_eq_u32_e64 s2, 1, v24
	v_cmp_eq_u32_e64 s3, 1, v27
	v_cndmask_b32_e32 v24, 0, v25, vcc_lo
	v_cndmask_b32_e32 v15, 0, v26, vcc_lo
	s_or_b32 s2, s2, s3
	v_cndmask_b32_e64 v23, 0, 1, s2
	v_cndmask_b32_e64 v25, 0, 1, s2
	v_add_co_u32 v5, vcc_lo, v24, v5
	v_add_co_ci_u32_e64 v6, null, v15, v6, vcc_lo
	v_or_b32_e32 v24, v16, v25
	v_mov_b32_e32 v15, v23
.LBB1184_51:
	s_or_b32 exec_lo, exec_lo, s5
	v_mov_b32_dpp v16, v5 row_shr:4 row_mask:0xf bank_mask:0xf
	v_mov_b32_dpp v25, v6 row_shr:4 row_mask:0xf bank_mask:0xf
	;; [unrolled: 1-line block ×3, first 2 shown]
	s_mov_b32 s5, exec_lo
	v_cmpx_lt_u32_e32 3, v14
	s_cbranch_execz .LBB1184_53
; %bb.52:
	v_mov_b32_e32 v14, 0
	v_cmp_eq_u16_sdwa vcc_lo, v15, v14 src0_sel:BYTE_0 src1_sel:DWORD
	v_and_b32_e32 v14, 1, v15
	v_and_b32_e32 v15, 1, v24
	v_cndmask_b32_e32 v23, 0, v25, vcc_lo
	v_cndmask_b32_e32 v16, 0, v16, vcc_lo
	v_cmp_eq_u32_e32 vcc_lo, 1, v14
	v_cmp_eq_u32_e64 s2, 1, v15
	v_add_co_u32 v5, s3, v16, v5
	s_or_b32 s2, vcc_lo, s2
	v_add_co_ci_u32_e64 v6, null, v23, v6, s3
	v_cndmask_b32_e64 v23, 0, 1, s2
.LBB1184_53:
	s_or_b32 exec_lo, exec_lo, s5
	ds_write_b64 v13, v[5:6]
	ds_write_b8 v13, v23 offset:8
.LBB1184_54:
	s_or_b32 exec_lo, exec_lo, s4
	v_mov_b32_e32 v5, 0
	v_mov_b32_e32 v6, 0
	;; [unrolled: 1-line block ×3, first 2 shown]
	s_mov_b32 s3, exec_lo
	v_cmp_gt_u32_e32 vcc_lo, 32, v0
	s_waitcnt lgkmcnt(0)
	s_barrier
	buffer_gl0_inv
	v_cmpx_lt_u32_e32 31, v0
	s_cbranch_execz .LBB1184_56
; %bb.55:
	v_add_nc_u32_e32 v5, -16, v12
	v_add_nc_u32_e32 v12, -8, v12
	v_cmp_eq_u32_e64 s2, 0, v11
	ds_read_b64 v[5:6], v5
	ds_read_u8 v12, v12
	s_waitcnt lgkmcnt(1)
	v_cndmask_b32_e64 v14, 0, v5, s2
	v_cndmask_b32_e64 v13, 0, v6, s2
	s_waitcnt lgkmcnt(0)
	v_or_b32_e32 v11, v12, v11
	v_and_b32_e32 v23, 1, v12
	v_add_co_u32 v9, s2, v14, v9
	v_add_co_ci_u32_e64 v10, null, v13, v10, s2
	v_and_b32_e32 v11, 1, v11
.LBB1184_56:
	s_or_b32 exec_lo, exec_lo, s3
	v_sub_co_u32 v12, s2, v19, 1
	v_cmp_gt_i32_e64 s3, 0, v12
	v_cndmask_b32_e64 v12, v12, v19, s3
	v_lshlrev_b32_e32 v12, 2, v12
	ds_bpermute_b32 v24, v12, v9
	ds_bpermute_b32 v25, v12, v10
	;; [unrolled: 1-line block ×3, first 2 shown]
	s_and_saveexec_b32 s5, vcc_lo
	s_cbranch_execz .LBB1184_96
; %bb.57:
	v_mov_b32_e32 v13, 0
	ds_read_b64 v[9:10], v13 offset:112
	ds_read_u8 v27, v13 offset:120
	s_and_saveexec_b32 s3, s2
	s_cbranch_execz .LBB1184_59
; %bb.58:
	s_add_i32 s12, s6, 32
	s_mov_b32 s13, 0
	v_mov_b32_e32 v11, 1
	s_lshl_b64 s[24:25], s[12:13], 4
	v_mov_b32_e32 v12, s12
	s_add_u32 s24, s16, s24
	s_addc_u32 s25, s17, s25
	s_waitcnt lgkmcnt(1)
	global_store_dwordx2 v13, v[9:10], s[24:25]
	s_waitcnt lgkmcnt(0)
	global_store_byte v13, v27, s[24:25] offset:8
	s_waitcnt_vscnt null, 0x0
	buffer_gl1_inv
	buffer_gl0_inv
	global_store_byte v12, v11, s[20:21]
.LBB1184_59:
	s_or_b32 exec_lo, exec_lo, s3
	v_xad_u32 v11, v19, -1, s6
	s_mov_b32 s4, 0
	s_mov_b32 s3, exec_lo
	v_add_nc_u32_e32 v12, 32, v11
	global_load_ubyte v28, v12, s[20:21] glc dlc
	s_waitcnt vmcnt(0)
	v_cmpx_eq_u16_e32 0, v28
	s_cbranch_execz .LBB1184_63
; %bb.60:
	v_add_co_u32 v14, s12, s20, v12
	v_add_co_ci_u32_e64 v15, null, s21, 0, s12
.LBB1184_61:                            ; =>This Inner Loop Header: Depth=1
	global_load_ubyte v28, v[14:15], off glc dlc
	s_waitcnt vmcnt(0)
	v_cmp_ne_u16_e32 vcc_lo, 0, v28
	s_or_b32 s4, vcc_lo, s4
	s_andn2_b32 exec_lo, exec_lo, s4
	s_cbranch_execnz .LBB1184_61
; %bb.62:
	s_or_b32 exec_lo, exec_lo, s4
.LBB1184_63:
	s_or_b32 exec_lo, exec_lo, s3
	v_cmp_eq_u16_e32 vcc_lo, 1, v28
	v_mov_b32_e32 v15, s16
	v_mov_b32_e32 v14, s17
	v_lshlrev_b64 v[12:13], 4, v[12:13]
	s_waitcnt lgkmcnt(0)
	s_waitcnt_vscnt null, 0x0
	buffer_gl1_inv
	buffer_gl0_inv
	v_lshlrev_b32_e64 v30, v19, -1
	v_cndmask_b32_e32 v15, s18, v15, vcc_lo
	v_cndmask_b32_e32 v14, s19, v14, vcc_lo
	s_mov_b32 s3, exec_lo
	v_add_co_u32 v12, vcc_lo, v15, v12
	v_add_co_ci_u32_e64 v13, null, v14, v13, vcc_lo
	v_cmp_ne_u32_e32 vcc_lo, 31, v19
	s_clause 0x1
	global_load_ubyte v41, v[12:13], off offset:8
	global_load_dwordx2 v[15:16], v[12:13], off
	v_add_co_ci_u32_e64 v12, null, 0, v19, vcc_lo
	v_cmp_eq_u16_e32 vcc_lo, 2, v28
	v_lshlrev_b32_e32 v29, 2, v12
	v_and_or_b32 v12, vcc_lo, v30, 0x80000000
	v_ffbl_b32_e32 v12, v12
	s_waitcnt vmcnt(1)
	v_and_b32_e32 v13, 1, v41
	s_waitcnt vmcnt(0)
	ds_bpermute_b32 v14, v29, v15
	ds_bpermute_b32 v31, v29, v16
	;; [unrolled: 1-line block ×3, first 2 shown]
	v_cmpx_lt_u32_e64 v19, v12
	s_cbranch_execz .LBB1184_65
; %bb.64:
	v_mov_b32_e32 v13, 0
	v_cmp_eq_u16_sdwa vcc_lo, v41, v13 src0_sel:BYTE_0 src1_sel:DWORD
	s_waitcnt lgkmcnt(0)
	v_and_b32_e32 v13, 1, v32
	v_cndmask_b32_e32 v14, 0, v14, vcc_lo
	v_cndmask_b32_e32 v31, 0, v31, vcc_lo
	v_or_b32_e32 v41, v13, v41
	v_add_co_u32 v15, vcc_lo, v14, v15
	v_add_co_ci_u32_e64 v16, null, v31, v16, vcc_lo
	v_and_b32_e32 v13, 0xff, v41
.LBB1184_65:
	s_or_b32 exec_lo, exec_lo, s3
	v_cmp_gt_u32_e32 vcc_lo, 30, v19
	s_waitcnt lgkmcnt(0)
	v_add_nc_u32_e32 v32, 2, v19
	s_mov_b32 s12, exec_lo
	v_cndmask_b32_e64 v14, 0, 2, vcc_lo
	v_add_lshl_u32 v31, v14, v19, 2
	ds_bpermute_b32 v14, v31, v15
	ds_bpermute_b32 v33, v31, v16
	ds_bpermute_b32 v34, v31, v13
	v_cmpx_le_u32_e64 v32, v12
	s_cbranch_execz .LBB1184_67
; %bb.66:
	v_mov_b32_e32 v13, 0
	v_and_b32_e32 v35, 1, v41
	s_waitcnt lgkmcnt(0)
	v_and_b32_e32 v34, 1, v34
	v_cmp_eq_u16_sdwa vcc_lo, v41, v13 src0_sel:BYTE_0 src1_sel:DWORD
	v_cmp_eq_u32_e64 s3, 1, v35
	v_cmp_eq_u32_e64 s4, 1, v34
	v_cndmask_b32_e32 v14, 0, v14, vcc_lo
	v_cndmask_b32_e32 v13, 0, v33, vcc_lo
	s_or_b32 s3, s3, s4
	v_cndmask_b32_e64 v41, 0, 1, s3
	v_add_co_u32 v15, vcc_lo, v14, v15
	v_add_co_ci_u32_e64 v16, null, v13, v16, vcc_lo
	v_cndmask_b32_e64 v13, 0, 1, s3
.LBB1184_67:
	s_or_b32 exec_lo, exec_lo, s12
	v_cmp_gt_u32_e32 vcc_lo, 28, v19
	s_waitcnt lgkmcnt(0)
	v_add_nc_u32_e32 v34, 4, v19
	s_mov_b32 s12, exec_lo
	v_cndmask_b32_e64 v14, 0, 4, vcc_lo
	v_add_lshl_u32 v33, v14, v19, 2
	ds_bpermute_b32 v14, v33, v15
	ds_bpermute_b32 v35, v33, v16
	ds_bpermute_b32 v36, v33, v13
	v_cmpx_le_u32_e64 v34, v12
	s_cbranch_execz .LBB1184_69
; %bb.68:
	v_mov_b32_e32 v13, 0
	v_and_b32_e32 v37, 1, v41
	s_waitcnt lgkmcnt(0)
	v_and_b32_e32 v36, 1, v36
	v_cmp_eq_u16_sdwa vcc_lo, v41, v13 src0_sel:BYTE_0 src1_sel:DWORD
	v_cmp_eq_u32_e64 s3, 1, v37
	v_cmp_eq_u32_e64 s4, 1, v36
	v_cndmask_b32_e32 v14, 0, v14, vcc_lo
	v_cndmask_b32_e32 v13, 0, v35, vcc_lo
	s_or_b32 s3, s3, s4
	v_cndmask_b32_e64 v41, 0, 1, s3
	v_add_co_u32 v15, vcc_lo, v14, v15
	v_add_co_ci_u32_e64 v16, null, v13, v16, vcc_lo
	v_cndmask_b32_e64 v13, 0, 1, s3
.LBB1184_69:
	;; [unrolled: 28-line block ×3, first 2 shown]
	s_or_b32 exec_lo, exec_lo, s12
	s_waitcnt lgkmcnt(0)
	v_lshl_or_b32 v38, v19, 2, 64
	v_add_nc_u32_e32 v39, 16, v19
	s_mov_b32 s12, exec_lo
	ds_bpermute_b32 v14, v38, v15
	ds_bpermute_b32 v37, v38, v16
	;; [unrolled: 1-line block ×3, first 2 shown]
	v_cmpx_le_u32_e64 v39, v12
	s_cbranch_execz .LBB1184_73
; %bb.72:
	v_mov_b32_e32 v12, 0
	s_waitcnt lgkmcnt(0)
	v_and_b32_e32 v13, 1, v13
	v_cmp_eq_u16_sdwa vcc_lo, v41, v12 src0_sel:BYTE_0 src1_sel:DWORD
	v_and_b32_e32 v12, 1, v41
	v_cmp_eq_u32_e64 s3, 1, v13
	v_cndmask_b32_e32 v37, 0, v37, vcc_lo
	v_cndmask_b32_e32 v14, 0, v14, vcc_lo
	v_cmp_eq_u32_e32 vcc_lo, 1, v12
	v_add_co_u32 v15, s4, v14, v15
	s_or_b32 s3, vcc_lo, s3
	v_add_co_ci_u32_e64 v16, null, v37, v16, s4
	v_cndmask_b32_e64 v41, 0, 1, s3
.LBB1184_73:
	s_or_b32 exec_lo, exec_lo, s12
	v_mov_b32_e32 v12, 0
	v_mov_b32_e32 v40, 2
	s_branch .LBB1184_76
.LBB1184_74:                            ;   in Loop: Header=BB1184_76 Depth=1
	s_or_b32 exec_lo, exec_lo, s13
	v_cmp_eq_u16_sdwa vcc_lo, v37, v12 src0_sel:BYTE_0 src1_sel:DWORD
	v_and_b32_e32 v41, 1, v37
	v_subrev_nc_u32_e32 v11, 32, v11
	v_cndmask_b32_e32 v15, 0, v15, vcc_lo
	v_cndmask_b32_e32 v16, 0, v16, vcc_lo
	v_cmp_eq_u32_e32 vcc_lo, 1, v41
	v_add_co_u32 v15, s3, v15, v13
	v_add_co_ci_u32_e64 v16, null, v16, v14, s3
	s_or_b32 s3, vcc_lo, s12
	v_cndmask_b32_e64 v41, 0, 1, s3
	s_mov_b32 s3, 0
.LBB1184_75:                            ;   in Loop: Header=BB1184_76 Depth=1
	s_and_b32 vcc_lo, exec_lo, s3
	s_cbranch_vccnz .LBB1184_92
.LBB1184_76:                            ; =>This Loop Header: Depth=1
                                        ;     Child Loop BB1184_79 Depth 2
	v_cmp_ne_u16_sdwa s3, v28, v40 src0_sel:BYTE_0 src1_sel:DWORD
	s_waitcnt lgkmcnt(0)
	v_mov_b32_e32 v13, v15
	v_mov_b32_e32 v37, v41
	;; [unrolled: 1-line block ×3, first 2 shown]
                                        ; implicit-def: $vgpr41
                                        ; implicit-def: $vgpr15_vgpr16
                                        ; implicit-def: $vgpr28
	s_cmp_lg_u32 s3, exec_lo
	s_mov_b32 s3, -1
	s_cbranch_scc1 .LBB1184_75
; %bb.77:                               ;   in Loop: Header=BB1184_76 Depth=1
	global_load_ubyte v28, v11, s[20:21] glc dlc
	s_mov_b32 s3, exec_lo
	s_waitcnt vmcnt(0)
	v_cmpx_eq_u16_e32 0, v28
	s_cbranch_execz .LBB1184_81
; %bb.78:                               ;   in Loop: Header=BB1184_76 Depth=1
	v_add_co_u32 v15, s4, s20, v11
	v_add_co_ci_u32_e64 v16, null, s21, 0, s4
	s_mov_b32 s4, 0
.LBB1184_79:                            ;   Parent Loop BB1184_76 Depth=1
                                        ; =>  This Inner Loop Header: Depth=2
	global_load_ubyte v28, v[15:16], off glc dlc
	s_waitcnt vmcnt(0)
	v_cmp_ne_u16_e32 vcc_lo, 0, v28
	s_or_b32 s4, vcc_lo, s4
	s_andn2_b32 exec_lo, exec_lo, s4
	s_cbranch_execnz .LBB1184_79
; %bb.80:                               ;   in Loop: Header=BB1184_76 Depth=1
	s_or_b32 exec_lo, exec_lo, s4
.LBB1184_81:                            ;   in Loop: Header=BB1184_76 Depth=1
	s_or_b32 exec_lo, exec_lo, s3
	v_cmp_eq_u16_e32 vcc_lo, 1, v28
	v_mov_b32_e32 v42, s16
	v_mov_b32_e32 v41, s17
	v_lshlrev_b64 v[15:16], 4, v[11:12]
	buffer_gl1_inv
	buffer_gl0_inv
	s_mov_b32 s3, exec_lo
	v_cndmask_b32_e32 v42, s18, v42, vcc_lo
	v_cndmask_b32_e32 v41, s19, v41, vcc_lo
	v_add_co_u32 v15, vcc_lo, v42, v15
	v_add_co_ci_u32_e64 v16, null, v41, v16, vcc_lo
	v_cmp_eq_u16_e32 vcc_lo, 2, v28
	s_clause 0x1
	global_load_ubyte v42, v[15:16], off offset:8
	global_load_dwordx2 v[15:16], v[15:16], off
	v_and_or_b32 v41, vcc_lo, v30, 0x80000000
	v_ffbl_b32_e32 v41, v41
	s_waitcnt vmcnt(1)
	v_and_b32_e32 v43, 1, v42
	s_waitcnt vmcnt(0)
	ds_bpermute_b32 v44, v29, v15
	ds_bpermute_b32 v45, v29, v16
	;; [unrolled: 1-line block ×3, first 2 shown]
	v_cmpx_lt_u32_e64 v19, v41
	s_cbranch_execz .LBB1184_83
; %bb.82:                               ;   in Loop: Header=BB1184_76 Depth=1
	v_cmp_eq_u16_sdwa vcc_lo, v42, v12 src0_sel:BYTE_0 src1_sel:DWORD
	s_waitcnt lgkmcnt(0)
	v_and_b32_e32 v43, 1, v46
	v_cndmask_b32_e32 v44, 0, v44, vcc_lo
	v_cndmask_b32_e32 v45, 0, v45, vcc_lo
	v_or_b32_e32 v42, v43, v42
	v_add_co_u32 v15, vcc_lo, v44, v15
	v_add_co_ci_u32_e64 v16, null, v45, v16, vcc_lo
	v_and_b32_e32 v43, 0xff, v42
.LBB1184_83:                            ;   in Loop: Header=BB1184_76 Depth=1
	s_or_b32 exec_lo, exec_lo, s3
	s_waitcnt lgkmcnt(2)
	ds_bpermute_b32 v44, v31, v15
	s_waitcnt lgkmcnt(2)
	ds_bpermute_b32 v45, v31, v16
	;; [unrolled: 2-line block ×3, first 2 shown]
	v_and_b32_e32 v47, 1, v42
	s_mov_b32 s4, exec_lo
	v_cmp_eq_u32_e64 s12, 1, v47
	v_cmpx_le_u32_e64 v32, v41
	s_cbranch_execz .LBB1184_85
; %bb.84:                               ;   in Loop: Header=BB1184_76 Depth=1
	v_cmp_eq_u16_sdwa vcc_lo, v42, v12 src0_sel:BYTE_0 src1_sel:DWORD
	s_waitcnt lgkmcnt(0)
	v_and_b32_e32 v42, 1, v46
	v_cndmask_b32_e32 v44, 0, v44, vcc_lo
	v_cndmask_b32_e32 v43, 0, v45, vcc_lo
	v_cmp_eq_u32_e32 vcc_lo, 1, v42
	v_add_co_u32 v15, s3, v44, v15
	v_add_co_ci_u32_e64 v16, null, v43, v16, s3
	s_or_b32 s3, s12, vcc_lo
	s_andn2_b32 s12, s12, exec_lo
	v_cndmask_b32_e64 v42, 0, 1, s3
	v_cndmask_b32_e64 v43, 0, 1, s3
	s_and_b32 s3, s3, exec_lo
	s_or_b32 s12, s12, s3
.LBB1184_85:                            ;   in Loop: Header=BB1184_76 Depth=1
	s_or_b32 exec_lo, exec_lo, s4
	s_waitcnt lgkmcnt(2)
	ds_bpermute_b32 v44, v33, v15
	s_waitcnt lgkmcnt(2)
	ds_bpermute_b32 v45, v33, v16
	;; [unrolled: 2-line block ×3, first 2 shown]
	s_mov_b32 s13, exec_lo
	v_cmpx_le_u32_e64 v34, v41
	s_cbranch_execz .LBB1184_87
; %bb.86:                               ;   in Loop: Header=BB1184_76 Depth=1
	v_cmp_eq_u16_sdwa vcc_lo, v42, v12 src0_sel:BYTE_0 src1_sel:DWORD
	v_and_b32_e32 v42, 1, v42
	s_waitcnt lgkmcnt(0)
	v_and_b32_e32 v43, 1, v46
	v_cndmask_b32_e32 v45, 0, v45, vcc_lo
	v_cndmask_b32_e32 v44, 0, v44, vcc_lo
	v_cmp_eq_u32_e32 vcc_lo, 1, v42
	v_cmp_eq_u32_e64 s3, 1, v43
	v_add_co_u32 v15, s4, v44, v15
	s_or_b32 s3, vcc_lo, s3
	v_add_co_ci_u32_e64 v16, null, v45, v16, s4
	v_cndmask_b32_e64 v42, 0, 1, s3
	v_cndmask_b32_e64 v43, 0, 1, s3
	s_andn2_b32 s4, s12, exec_lo
	s_and_b32 s3, s3, exec_lo
	s_or_b32 s12, s4, s3
.LBB1184_87:                            ;   in Loop: Header=BB1184_76 Depth=1
	s_or_b32 exec_lo, exec_lo, s13
	s_waitcnt lgkmcnt(2)
	ds_bpermute_b32 v44, v35, v15
	s_waitcnt lgkmcnt(2)
	ds_bpermute_b32 v45, v35, v16
	;; [unrolled: 2-line block ×3, first 2 shown]
	s_mov_b32 s13, exec_lo
	v_cmpx_le_u32_e64 v36, v41
	s_cbranch_execz .LBB1184_89
; %bb.88:                               ;   in Loop: Header=BB1184_76 Depth=1
	v_cmp_eq_u16_sdwa vcc_lo, v42, v12 src0_sel:BYTE_0 src1_sel:DWORD
	v_and_b32_e32 v42, 1, v42
	s_waitcnt lgkmcnt(0)
	v_and_b32_e32 v43, 1, v46
	v_cndmask_b32_e32 v45, 0, v45, vcc_lo
	v_cndmask_b32_e32 v44, 0, v44, vcc_lo
	v_cmp_eq_u32_e32 vcc_lo, 1, v42
	v_cmp_eq_u32_e64 s3, 1, v43
	v_add_co_u32 v15, s4, v44, v15
	s_or_b32 s3, vcc_lo, s3
	v_add_co_ci_u32_e64 v16, null, v45, v16, s4
	v_cndmask_b32_e64 v42, 0, 1, s3
	v_cndmask_b32_e64 v43, 0, 1, s3
	s_andn2_b32 s4, s12, exec_lo
	s_and_b32 s3, s3, exec_lo
	s_or_b32 s12, s4, s3
.LBB1184_89:                            ;   in Loop: Header=BB1184_76 Depth=1
	s_or_b32 exec_lo, exec_lo, s13
	s_waitcnt lgkmcnt(2)
	ds_bpermute_b32 v44, v38, v15
	s_waitcnt lgkmcnt(2)
	ds_bpermute_b32 v45, v38, v16
	ds_bpermute_b32 v43, v38, v43
	s_mov_b32 s13, exec_lo
	v_cmpx_le_u32_e64 v39, v41
	s_cbranch_execz .LBB1184_74
; %bb.90:                               ;   in Loop: Header=BB1184_76 Depth=1
	v_cmp_eq_u16_sdwa vcc_lo, v42, v12 src0_sel:BYTE_0 src1_sel:DWORD
	v_and_b32_e32 v41, 1, v42
	s_waitcnt lgkmcnt(0)
	v_and_b32_e32 v42, 1, v43
	v_cndmask_b32_e32 v44, 0, v44, vcc_lo
	v_cndmask_b32_e32 v43, 0, v45, vcc_lo
	v_cmp_eq_u32_e32 vcc_lo, 1, v41
	v_cmp_eq_u32_e64 s3, 1, v42
	v_add_co_u32 v15, s4, v44, v15
	v_add_co_ci_u32_e64 v16, null, v43, v16, s4
	s_or_b32 s3, vcc_lo, s3
	s_andn2_b32 s4, s12, exec_lo
	s_and_b32 s3, s3, exec_lo
	s_or_b32 s12, s4, s3
	s_branch .LBB1184_74
.LBB1184_91:
                                        ; implicit-def: $vgpr9_vgpr10
                                        ; implicit-def: $vgpr5_vgpr6
                                        ; implicit-def: $vgpr11_vgpr12
	s_cbranch_execnz .LBB1184_97
	s_branch .LBB1184_126
.LBB1184_92:
	s_and_saveexec_b32 s3, s2
	s_cbranch_execz .LBB1184_94
; %bb.93:
	v_mov_b32_e32 v11, 0
	v_or_b32_e32 v12, v27, v37
	s_mov_b32 s13, 0
	s_add_i32 s12, s6, 32
	v_mov_b32_e32 v15, 2
	v_cmp_eq_u32_sdwa vcc_lo, v27, v11 src0_sel:BYTE_0 src1_sel:DWORD
	s_lshl_b64 s[16:17], s[12:13], 4
	v_mov_b32_e32 v28, s12
	v_and_b32_e32 v12, 1, v12
	s_add_u32 s12, s18, s16
	v_cndmask_b32_e32 v27, 0, v13, vcc_lo
	v_cndmask_b32_e32 v16, 0, v14, vcc_lo
	s_addc_u32 s13, s19, s17
	v_add_co_u32 v9, vcc_lo, v27, v9
	v_add_co_ci_u32_e64 v10, null, v16, v10, vcc_lo
	global_store_byte v11, v12, s[12:13] offset:8
	global_store_dwordx2 v11, v[9:10], s[12:13]
	s_waitcnt lgkmcnt(0)
	s_waitcnt_vscnt null, 0x0
	buffer_gl1_inv
	buffer_gl0_inv
	global_store_byte v28, v15, s[20:21]
.LBB1184_94:
	s_or_b32 exec_lo, exec_lo, s3
	v_cmp_eq_u32_e32 vcc_lo, 0, v0
	s_and_b32 exec_lo, exec_lo, vcc_lo
	s_cbranch_execz .LBB1184_96
; %bb.95:
	v_mov_b32_e32 v9, 0
	ds_write_b64 v9, v[13:14] offset:112
	ds_write_b8 v9, v37 offset:120
.LBB1184_96:
	s_or_b32 exec_lo, exec_lo, s5
	s_waitcnt lgkmcnt(0)
	v_cndmask_b32_e64 v9, v26, v23, s2
	v_and_b32_e32 v12, 1, v18
	v_mov_b32_e32 v11, 0
	s_waitcnt_vscnt null, 0x0
	s_barrier
	v_and_b32_e32 v13, 1, v9
	v_cmp_eq_u32_e32 vcc_lo, 1, v12
	buffer_gl0_inv
	ds_read_b64 v[9:10], v11 offset:112
	v_cndmask_b32_e64 v6, v25, v6, s2
	v_cmp_eq_u32_e64 s3, 1, v13
	v_cndmask_b32_e64 v5, v24, v5, s2
	v_cmp_eq_u32_e64 s2, 0, v0
	s_or_b32 s3, vcc_lo, s3
	v_cmp_eq_u16_sdwa vcc_lo, v18, v11 src0_sel:BYTE_0 src1_sel:DWORD
	v_cndmask_b32_e64 v12, 0, 1, s3
	v_cndmask_b32_e32 v5, 0, v5, vcc_lo
	v_cndmask_b32_e64 v12, v12, v18, s2
	v_cndmask_b32_e32 v6, 0, v6, vcc_lo
	v_cndmask_b32_e64 v5, v5, 0, s2
	v_cmp_eq_u16_sdwa vcc_lo, v12, v11 src0_sel:BYTE_0 src1_sel:DWORD
	v_cndmask_b32_e64 v6, v6, 0, s2
	s_waitcnt lgkmcnt(0)
	v_cndmask_b32_e32 v10, 0, v10, vcc_lo
	v_cndmask_b32_e32 v9, 0, v9, vcc_lo
	v_add_co_u32 v5, vcc_lo, v5, v1
	v_add_co_ci_u32_e64 v6, null, v6, v2, vcc_lo
	v_add_co_u32 v11, vcc_lo, v5, v9
	v_add_co_ci_u32_e64 v12, null, v6, v10, vcc_lo
	v_cndmask_b32_e64 v5, 0, v11, s1
	v_cndmask_b32_e64 v6, 0, v12, s1
	v_add_co_u32 v5, vcc_lo, v5, v3
	v_add_co_ci_u32_e64 v6, null, v6, v4, vcc_lo
	v_cndmask_b32_e64 v9, 0, v5, s0
	v_cndmask_b32_e64 v10, 0, v6, s0
	v_add_co_u32 v9, vcc_lo, v9, v7
	v_add_co_ci_u32_e64 v10, null, v10, v8, vcc_lo
	s_branch .LBB1184_126
.LBB1184_97:
	s_cmp_lg_u64 s[34:35], 0
	v_cmp_eq_u32_e32 vcc_lo, 0, v0
	s_cselect_b32 s1, -1, 0
	s_cmp_lg_u64 s[26:27], 0
	v_cmp_ne_u32_e64 s0, 0, v0
	s_cselect_b32 s2, -1, 0
	s_and_b32 s1, s1, s2
	s_and_b32 s1, vcc_lo, s1
	s_and_saveexec_b32 s2, s1
	s_cbranch_execz .LBB1184_99
; %bb.98:
	v_mov_b32_e32 v9, 0
	s_clause 0x1
	global_load_dwordx2 v[5:6], v9, s[26:27]
	global_load_ubyte v10, v9, s[26:27] offset:8
	v_cmp_eq_u16_sdwa s1, v18, v9 src0_sel:BYTE_0 src1_sel:DWORD
	s_waitcnt vmcnt(1)
	v_cndmask_b32_e64 v5, 0, v5, s1
	v_cndmask_b32_e64 v6, 0, v6, s1
	s_waitcnt vmcnt(0)
	v_or_b32_e32 v9, v18, v10
	v_add_co_u32 v1, s1, v5, v1
	v_add_co_ci_u32_e64 v2, null, v6, v2, s1
	v_and_b32_e32 v18, 1, v9
.LBB1184_99:
	s_or_b32 exec_lo, exec_lo, s2
	v_mov_b32_e32 v9, 0
	v_or_b32_e32 v10, v18, v20
	v_cmp_eq_u32_e64 s3, 1, v22
	v_and_b32_e32 v15, 15, v19
	s_mov_b32 s5, exec_lo
	v_cmp_eq_u16_sdwa s1, v20, v9 src0_sel:BYTE_0 src1_sel:DWORD
	v_cmp_ne_u16_sdwa s4, v10, v9 src0_sel:BYTE_0 src1_sel:DWORD
	v_cndmask_b32_e64 v5, 0, v1, s1
	v_cndmask_b32_e64 v6, 0, v2, s1
	s_or_b32 s4, s4, s3
	v_cndmask_b32_e64 v20, 0, 1, s4
	v_add_co_u32 v5, s2, v5, v3
	v_add_co_ci_u32_e64 v6, null, v6, v4, s2
	v_cmp_eq_u16_e64 s2, 0, v21
	v_mov_b32_dpp v16, v20 row_shr:1 row_mask:0xf bank_mask:0xf
	v_cndmask_b32_e64 v9, 0, v5, s2
	v_cndmask_b32_e64 v10, 0, v6, s2
	v_add_co_u32 v9, s3, v9, v7
	v_add_co_ci_u32_e64 v10, null, v10, v8, s3
	v_mov_b32_dpp v21, v9 row_shr:1 row_mask:0xf bank_mask:0xf
	v_mov_b32_e32 v13, v9
	v_mov_b32_e32 v12, v10
	v_mov_b32_dpp v22, v10 row_shr:1 row_mask:0xf bank_mask:0xf
	v_mov_b32_e32 v11, v9
	v_mov_b32_e32 v14, v10
	v_cmpx_ne_u32_e32 0, v15
	s_cbranch_execz .LBB1184_101
; %bb.100:
	v_cndmask_b32_e64 v11, v21, 0, s4
	v_cndmask_b32_e64 v12, v22, 0, s4
	v_and_or_b32 v20, v16, 1, v20
	v_add_co_u32 v11, s3, v11, v9
	v_add_co_ci_u32_e64 v12, null, v12, v10, s3
	v_mov_b32_e32 v13, v11
	v_mov_b32_e32 v14, v12
.LBB1184_101:
	s_or_b32 exec_lo, exec_lo, s5
	v_mov_b32_dpp v21, v13 row_shr:2 row_mask:0xf bank_mask:0xf
	v_mov_b32_dpp v22, v14 row_shr:2 row_mask:0xf bank_mask:0xf
	v_mov_b32_dpp v16, v20 row_shr:2 row_mask:0xf bank_mask:0xf
	s_mov_b32 s4, exec_lo
	v_cmpx_lt_u32_e32 1, v15
	s_cbranch_execz .LBB1184_103
; %bb.102:
	v_cmp_eq_u16_e64 s3, 0, v20
	v_or_b32_e32 v16, v16, v20
	v_cndmask_b32_e64 v13, 0, v21, s3
	v_cndmask_b32_e64 v14, 0, v22, s3
	v_and_b32_e32 v20, 1, v16
	v_add_co_u32 v13, s3, v13, v11
	v_add_co_ci_u32_e64 v14, null, v14, v12, s3
	v_mov_b32_e32 v11, v13
	v_mov_b32_e32 v12, v14
.LBB1184_103:
	s_or_b32 exec_lo, exec_lo, s4
	v_mov_b32_dpp v21, v13 row_shr:4 row_mask:0xf bank_mask:0xf
	v_mov_b32_dpp v22, v14 row_shr:4 row_mask:0xf bank_mask:0xf
	v_mov_b32_dpp v16, v20 row_shr:4 row_mask:0xf bank_mask:0xf
	s_mov_b32 s4, exec_lo
	v_cmpx_lt_u32_e32 3, v15
	s_cbranch_execz .LBB1184_105
; %bb.104:
	v_cmp_eq_u16_e64 s3, 0, v20
	v_or_b32_e32 v16, v16, v20
	v_cndmask_b32_e64 v13, 0, v21, s3
	v_cndmask_b32_e64 v14, 0, v22, s3
	v_and_b32_e32 v20, 1, v16
	v_add_co_u32 v13, s3, v13, v11
	v_add_co_ci_u32_e64 v14, null, v14, v12, s3
	v_mov_b32_e32 v11, v13
	v_mov_b32_e32 v12, v14
.LBB1184_105:
	s_or_b32 exec_lo, exec_lo, s4
	v_mov_b32_dpp v21, v13 row_shr:8 row_mask:0xf bank_mask:0xf
	v_mov_b32_dpp v22, v14 row_shr:8 row_mask:0xf bank_mask:0xf
	v_mov_b32_dpp v16, v20 row_shr:8 row_mask:0xf bank_mask:0xf
	s_mov_b32 s4, exec_lo
	v_cmpx_lt_u32_e32 7, v15
	s_cbranch_execz .LBB1184_107
; %bb.106:
	v_cmp_eq_u16_e64 s3, 0, v20
	v_or_b32_e32 v15, v16, v20
	v_cndmask_b32_e64 v14, 0, v21, s3
	v_cndmask_b32_e64 v13, 0, v22, s3
	v_and_b32_e32 v20, 1, v15
	v_add_co_u32 v11, s3, v14, v11
	v_add_co_ci_u32_e64 v12, null, v13, v12, s3
	v_mov_b32_e32 v13, v11
	v_mov_b32_e32 v14, v12
.LBB1184_107:
	s_or_b32 exec_lo, exec_lo, s4
	ds_swizzle_b32 v13, v13 offset:swizzle(BROADCAST,32,15)
	ds_swizzle_b32 v14, v14 offset:swizzle(BROADCAST,32,15)
	ds_swizzle_b32 v16, v20 offset:swizzle(BROADCAST,32,15)
	v_and_b32_e32 v15, 16, v19
	v_cmp_ne_u32_e64 s3, 0, v15
	v_mov_b32_e32 v15, v20
	s_and_saveexec_b32 s6, s3
	s_cbranch_execz .LBB1184_109
; %bb.108:
	v_cmp_eq_u16_e64 s3, 0, v20
	v_and_b32_e32 v15, 1, v20
	s_waitcnt lgkmcnt(0)
	v_and_b32_e32 v16, 1, v16
	v_cndmask_b32_e64 v14, 0, v14, s3
	v_cndmask_b32_e64 v13, 0, v13, s3
	v_cmp_eq_u32_e64 s3, 1, v15
	v_cmp_eq_u32_e64 s4, 1, v16
	v_add_co_u32 v11, s5, v13, v11
	s_or_b32 s3, s3, s4
	v_add_co_ci_u32_e64 v12, null, v14, v12, s5
	v_cndmask_b32_e64 v20, 0, 1, s3
	v_cndmask_b32_e64 v15, 0, 1, s3
.LBB1184_109:
	s_or_b32 exec_lo, exec_lo, s6
	s_waitcnt lgkmcnt(2)
	v_or_b32_e32 v13, 31, v0
	s_waitcnt lgkmcnt(0)
	v_lshrrev_b32_e32 v16, 5, v0
	s_mov_b32 s4, exec_lo
	v_cmpx_eq_u32_e64 v0, v13
	s_cbranch_execz .LBB1184_111
; %bb.110:
	v_lshlrev_b32_e32 v13, 4, v16
	ds_write_b64 v13, v[11:12]
	ds_write_b8 v13, v20 offset:8
.LBB1184_111:
	s_or_b32 exec_lo, exec_lo, s4
	s_mov_b32 s6, exec_lo
	s_waitcnt lgkmcnt(0)
	s_barrier
	buffer_gl0_inv
	v_cmpx_gt_u32_e32 8, v0
	s_cbranch_execz .LBB1184_119
; %bb.112:
	v_lshlrev_b32_e32 v20, 4, v0
	v_and_b32_e32 v21, 7, v19
	s_mov_b32 s4, exec_lo
	ds_read_b64 v[13:14], v20
	ds_read_b32 v25, v20 offset:8
	s_waitcnt lgkmcnt(1)
	v_mov_b32_dpp v26, v13 row_shr:1 row_mask:0xf bank_mask:0xf
	v_mov_b32_dpp v27, v14 row_shr:1 row_mask:0xf bank_mask:0xf
	s_waitcnt lgkmcnt(0)
	v_and_b32_e32 v23, 0xffffff00, v25
	v_mov_b32_dpp v28, v25 row_shr:1 row_mask:0xf bank_mask:0xf
	v_mov_b32_e32 v24, v25
	v_mov_b32_e32 v22, v25
	v_cmpx_ne_u32_e32 0, v21
	s_cbranch_execz .LBB1184_114
; %bb.113:
	v_mov_b32_e32 v22, 0
	v_cmp_eq_u16_sdwa s3, v25, v22 src0_sel:BYTE_0 src1_sel:DWORD
	v_or_b32_e32 v22, v28, v25
	v_cndmask_b32_e64 v26, 0, v26, s3
	v_cndmask_b32_e64 v25, 0, v27, s3
	v_and_b32_e32 v24, 1, v22
	v_and_b32_e32 v22, 1, v22
	v_add_co_u32 v13, s3, v26, v13
	v_add_co_ci_u32_e64 v14, null, v25, v14, s3
	v_or_b32_e32 v25, v22, v23
.LBB1184_114:
	s_or_b32 exec_lo, exec_lo, s4
	v_mov_b32_dpp v26, v13 row_shr:2 row_mask:0xf bank_mask:0xf
	v_mov_b32_dpp v27, v14 row_shr:2 row_mask:0xf bank_mask:0xf
	;; [unrolled: 1-line block ×3, first 2 shown]
	s_mov_b32 s12, exec_lo
	v_cmpx_lt_u32_e32 1, v21
	s_cbranch_execz .LBB1184_116
; %bb.115:
	v_mov_b32_e32 v24, 0
	v_and_b32_e32 v25, 1, v22
	v_and_b32_e32 v28, 1, v28
	v_cmp_eq_u16_sdwa s3, v22, v24 src0_sel:BYTE_0 src1_sel:DWORD
	v_cmp_eq_u32_e64 s4, 1, v25
	v_cmp_eq_u32_e64 s5, 1, v28
	v_cndmask_b32_e64 v22, 0, v27, s3
	v_cndmask_b32_e64 v25, 0, v26, s3
	s_or_b32 s3, s4, s5
	v_cndmask_b32_e64 v24, 0, 1, s3
	v_cndmask_b32_e64 v26, 0, 1, s3
	v_add_co_u32 v13, s3, v25, v13
	v_add_co_ci_u32_e64 v14, null, v22, v14, s3
	v_or_b32_e32 v25, v23, v26
	v_mov_b32_e32 v22, v24
.LBB1184_116:
	s_or_b32 exec_lo, exec_lo, s12
	v_mov_b32_dpp v23, v13 row_shr:4 row_mask:0xf bank_mask:0xf
	v_mov_b32_dpp v26, v14 row_shr:4 row_mask:0xf bank_mask:0xf
	;; [unrolled: 1-line block ×3, first 2 shown]
	s_mov_b32 s12, exec_lo
	v_cmpx_lt_u32_e32 3, v21
	s_cbranch_execz .LBB1184_118
; %bb.117:
	v_mov_b32_e32 v21, 0
	v_cmp_eq_u16_sdwa s3, v22, v21 src0_sel:BYTE_0 src1_sel:DWORD
	v_and_b32_e32 v21, 1, v22
	v_and_b32_e32 v22, 1, v25
	v_cndmask_b32_e64 v24, 0, v26, s3
	v_cndmask_b32_e64 v23, 0, v23, s3
	v_cmp_eq_u32_e64 s3, 1, v21
	v_cmp_eq_u32_e64 s4, 1, v22
	v_add_co_u32 v13, s5, v23, v13
	s_or_b32 s3, s3, s4
	v_add_co_ci_u32_e64 v14, null, v24, v14, s5
	v_cndmask_b32_e64 v24, 0, 1, s3
.LBB1184_118:
	s_or_b32 exec_lo, exec_lo, s12
	ds_write_b64 v20, v[13:14]
	ds_write_b8 v20, v24 offset:8
.LBB1184_119:
	s_or_b32 exec_lo, exec_lo, s6
	v_mov_b32_e32 v13, 0
	v_mov_b32_e32 v14, 0
	s_mov_b32 s4, exec_lo
	s_waitcnt lgkmcnt(0)
	s_barrier
	buffer_gl0_inv
	v_cmpx_lt_u32_e32 31, v0
	s_cbranch_execz .LBB1184_121
; %bb.120:
	v_lshl_add_u32 v13, v16, 4, -16
	v_cmp_eq_u32_e64 s3, 0, v15
	ds_read_b64 v[13:14], v13
	s_waitcnt lgkmcnt(0)
	v_cndmask_b32_e64 v16, 0, v13, s3
	v_cndmask_b32_e64 v15, 0, v14, s3
	v_add_co_u32 v11, s3, v16, v11
	v_add_co_ci_u32_e64 v12, null, v15, v12, s3
.LBB1184_121:
	s_or_b32 exec_lo, exec_lo, s4
	v_add_nc_u32_e32 v15, -1, v19
	v_cmp_gt_i32_e64 s3, 0, v15
	v_cndmask_b32_e64 v15, v15, v19, s3
	v_lshlrev_b32_e32 v15, 2, v15
	ds_bpermute_b32 v11, v15, v11
	ds_bpermute_b32 v12, v15, v12
	s_and_saveexec_b32 s3, s0
	s_cbranch_execz .LBB1184_123
; %bb.122:
	v_cmp_eq_u32_e64 s0, 0, v19
	v_mov_b32_e32 v5, 0
	;;#ASMSTART
	;;#ASMEND
	s_waitcnt lgkmcnt(1)
	v_cndmask_b32_e64 v6, v11, v13, s0
	s_waitcnt lgkmcnt(0)
	v_cndmask_b32_e64 v9, v12, v14, s0
	v_cmp_eq_u16_sdwa s0, v18, v5 src0_sel:BYTE_0 src1_sel:DWORD
	v_cndmask_b32_e64 v6, 0, v6, s0
	v_cndmask_b32_e64 v5, 0, v9, s0
	v_add_co_u32 v1, s0, v6, v1
	v_add_co_ci_u32_e64 v2, null, v5, v2, s0
	v_cndmask_b32_e64 v5, 0, v1, s1
	v_cndmask_b32_e64 v6, 0, v2, s1
	v_add_co_u32 v5, s0, v5, v3
	v_add_co_ci_u32_e64 v6, null, v6, v4, s0
	;; [unrolled: 4-line block ×3, first 2 shown]
.LBB1184_123:
	s_or_b32 exec_lo, exec_lo, s3
	s_and_saveexec_b32 s0, vcc_lo
	s_cbranch_execz .LBB1184_125
; %bb.124:
	v_mov_b32_e32 v7, 0
	s_waitcnt lgkmcnt(1)
	v_mov_b32_e32 v11, 2
	ds_read_b64 v[3:4], v7 offset:112
	ds_read_u8 v8, v7 offset:120
	s_waitcnt lgkmcnt(1)
	global_store_dwordx2 v7, v[3:4], s[18:19] offset:512
	s_waitcnt lgkmcnt(0)
	global_store_byte v7, v8, s[18:19] offset:520
	s_waitcnt_vscnt null, 0x0
	buffer_gl1_inv
	buffer_gl0_inv
	global_store_byte v7, v11, s[20:21] offset:32
.LBB1184_125:
	s_or_b32 exec_lo, exec_lo, s0
	s_waitcnt lgkmcnt(0)
	v_mov_b32_e32 v12, v2
	v_mov_b32_e32 v11, v1
.LBB1184_126:
	s_add_u32 s0, s14, s8
	s_addc_u32 s1, s15, s9
	s_add_u32 s0, s0, s10
	s_addc_u32 s1, s1, s11
	s_and_b32 vcc_lo, exec_lo, s23
	s_cbranch_vccz .LBB1184_138
; %bb.127:
	v_mov_b32_e32 v7, 0
	v_mov_b32_e32 v8, 0
	;; [unrolled: 1-line block ×4, first 2 shown]
	v_mul_u32_u24_e32 v13, 3, v0
	s_add_i32 s7, s7, s22
	v_mov_b32_e32 v4, v8
	v_mov_b32_e32 v2, v8
	s_mov_b32 s2, exec_lo
	v_cmpx_gt_u32_e64 s7, v13
	s_cbranch_execz .LBB1184_133
; %bb.128:
	v_mov_b32_e32 v1, 0
	v_mov_b32_e32 v3, 0
	v_add_nc_u32_e32 v7, 1, v13
	v_mov_b32_e32 v2, 0
	v_mov_b32_e32 v4, 0
	s_mov_b32 s3, exec_lo
	v_cmpx_gt_u32_e64 s7, v7
	s_cbranch_execz .LBB1184_132
; %bb.129:
	v_mov_b32_e32 v1, 0
	v_add_nc_u32_e32 v3, 2, v13
	v_mov_b32_e32 v2, 0
	s_mov_b32 s4, exec_lo
	v_cmpx_gt_u32_e64 s7, v3
; %bb.130:
	v_mov_b32_e32 v1, v9
	v_mov_b32_e32 v2, v10
; %bb.131:
	s_or_b32 exec_lo, exec_lo, s4
	v_mov_b32_e32 v3, v5
	v_mov_b32_e32 v4, v6
.LBB1184_132:
	s_or_b32 exec_lo, exec_lo, s3
	v_mov_b32_e32 v7, v11
	v_mov_b32_e32 v8, v12
.LBB1184_133:
	s_or_b32 exec_lo, exec_lo, s2
	v_lshlrev_b32_e32 v13, 3, v13
	v_lshlrev_b32_e32 v14, 4, v0
	s_waitcnt_vscnt null, 0x0
	s_barrier
	buffer_gl0_inv
	ds_write2_b64 v13, v[7:8], v[3:4] offset1:1
	v_sub_nc_u32_e32 v3, v13, v14
	ds_write_b64 v13, v[1:2] offset:16
	s_waitcnt lgkmcnt(0)
	s_barrier
	buffer_gl0_inv
	ds_read2st64_b64 v[1:4], v3 offset0:4 offset1:8
	v_add_co_u32 v7, s2, s0, v17
	v_add_co_ci_u32_e64 v8, null, s1, 0, s2
	s_mov_b32 s2, exec_lo
	v_cmpx_gt_u32_e64 s7, v0
	s_cbranch_execz .LBB1184_135
; %bb.134:
	v_sub_nc_u32_e32 v14, 0, v14
	v_add_nc_u32_e32 v13, v13, v14
	ds_read_b64 v[13:14], v13
	s_waitcnt lgkmcnt(0)
	flat_store_dwordx2 v[7:8], v[13:14]
.LBB1184_135:
	s_or_b32 exec_lo, exec_lo, s2
	v_or_b32_e32 v13, 0x100, v0
	s_mov_b32 s2, exec_lo
	v_cmpx_gt_u32_e64 s7, v13
	s_cbranch_execz .LBB1184_137
; %bb.136:
	v_add_co_u32 v7, vcc_lo, 0x800, v7
	v_add_co_ci_u32_e64 v8, null, 0, v8, vcc_lo
	s_waitcnt lgkmcnt(0)
	flat_store_dwordx2 v[7:8], v[1:2]
.LBB1184_137:
	s_or_b32 exec_lo, exec_lo, s2
	s_waitcnt lgkmcnt(0)
	v_or_b32_e32 v1, 0x200, v0
	v_cmp_gt_u32_e64 s2, s7, v1
	s_branch .LBB1184_140
.LBB1184_138:
	s_mov_b32 s2, 0
                                        ; implicit-def: $vgpr3_vgpr4
	s_cbranch_execz .LBB1184_140
; %bb.139:
	v_mul_u32_u24_e32 v1, 24, v0
	v_lshlrev_b32_e32 v2, 4, v0
	s_waitcnt_vscnt null, 0x0
	s_barrier
	buffer_gl0_inv
	ds_write2_b64 v1, v[11:12], v[5:6] offset1:1
	v_sub_nc_u32_e32 v2, v1, v2
	ds_write_b64 v1, v[9:10] offset:16
	s_waitcnt lgkmcnt(0)
	s_barrier
	buffer_gl0_inv
	ds_read2st64_b64 v[5:8], v2 offset1:4
	ds_read_b64 v[3:4], v2 offset:4096
	v_add_co_u32 v1, s3, s0, v17
	v_add_co_ci_u32_e64 v2, null, s1, 0, s3
	s_or_b32 s2, s2, exec_lo
	v_add_co_u32 v9, vcc_lo, 0x800, v1
	v_add_co_ci_u32_e64 v10, null, 0, v2, vcc_lo
	s_waitcnt lgkmcnt(1)
	flat_store_dwordx2 v[1:2], v[5:6]
	flat_store_dwordx2 v[9:10], v[7:8]
.LBB1184_140:
	s_and_saveexec_b32 s3, s2
	s_cbranch_execnz .LBB1184_142
; %bb.141:
	s_endpgm
.LBB1184_142:
	v_lshlrev_b32_e32 v0, 3, v0
	v_add_co_u32 v0, s0, s0, v0
	v_add_co_ci_u32_e64 v1, null, s1, 0, s0
	v_add_co_u32 v0, vcc_lo, 0x1000, v0
	v_add_co_ci_u32_e64 v1, null, 0, v1, vcc_lo
	s_waitcnt lgkmcnt(2)
	flat_store_dwordx2 v[0:1], v[3:4]
	s_endpgm
.LBB1184_143:
	v_add_co_u32 v2, s2, s3, v14
	v_add_co_ci_u32_e64 v3, null, s28, 0, s2
	v_mov_b32_e32 v16, v1
	v_mov_b32_e32 v17, v1
	;; [unrolled: 1-line block ×3, first 2 shown]
	flat_load_dwordx2 v[14:15], v[2:3]
	v_mov_b32_e32 v19, v1
	s_waitcnt vmcnt(0) lgkmcnt(0)
	v_mov_b32_e32 v1, v14
	v_mov_b32_e32 v2, v15
	;; [unrolled: 1-line block ×6, first 2 shown]
	s_or_b32 exec_lo, exec_lo, s24
	s_and_saveexec_b32 s2, s1
	s_cbranch_execz .LBB1184_15
.LBB1184_144:
	v_lshlrev_b32_e32 v3, 3, v11
	v_add_co_u32 v3, s1, s3, v3
	v_add_co_ci_u32_e64 v4, null, s28, 0, s1
	flat_load_dwordx2 v[3:4], v[3:4]
	s_or_b32 exec_lo, exec_lo, s2
	s_and_saveexec_b32 s1, s0
	s_cbranch_execnz .LBB1184_16
	s_branch .LBB1184_17
.LBB1184_145:
                                        ; implicit-def: $sgpr24_sgpr25
	s_branch .LBB1184_10
.LBB1184_146:
                                        ; implicit-def: $sgpr0_sgpr1
	s_branch .LBB1184_26
	.section	.rodata,"a",@progbits
	.p2align	6, 0x0
	.amdhsa_kernel _ZN7rocprim17ROCPRIM_400000_NS6detail17trampoline_kernelINS0_14default_configENS1_27scan_by_key_config_selectorIiyEEZZNS1_16scan_by_key_implILNS1_25lookback_scan_determinismE0ELb0ES3_N6thrust23THRUST_200600_302600_NS6detail15normal_iteratorINS9_10device_ptrIiEEEENSB_INSC_IyEEEESG_yNS9_4plusIvEENS9_8equal_toIvEEyEE10hipError_tPvRmT2_T3_T4_T5_mT6_T7_P12ihipStream_tbENKUlT_T0_E_clISt17integral_constantIbLb0EES11_EEDaSW_SX_EUlSW_E_NS1_11comp_targetILNS1_3genE8ELNS1_11target_archE1030ELNS1_3gpuE2ELNS1_3repE0EEENS1_30default_config_static_selectorELNS0_4arch9wavefront6targetE0EEEvT1_
		.amdhsa_group_segment_fixed_size 6144
		.amdhsa_private_segment_fixed_size 0
		.amdhsa_kernarg_size 136
		.amdhsa_user_sgpr_count 6
		.amdhsa_user_sgpr_private_segment_buffer 1
		.amdhsa_user_sgpr_dispatch_ptr 0
		.amdhsa_user_sgpr_queue_ptr 0
		.amdhsa_user_sgpr_kernarg_segment_ptr 1
		.amdhsa_user_sgpr_dispatch_id 0
		.amdhsa_user_sgpr_flat_scratch_init 0
		.amdhsa_user_sgpr_private_segment_size 0
		.amdhsa_wavefront_size32 1
		.amdhsa_uses_dynamic_stack 0
		.amdhsa_system_sgpr_private_segment_wavefront_offset 0
		.amdhsa_system_sgpr_workgroup_id_x 1
		.amdhsa_system_sgpr_workgroup_id_y 0
		.amdhsa_system_sgpr_workgroup_id_z 0
		.amdhsa_system_sgpr_workgroup_info 0
		.amdhsa_system_vgpr_workitem_id 0
		.amdhsa_next_free_vgpr 48
		.amdhsa_next_free_sgpr 38
		.amdhsa_reserve_vcc 1
		.amdhsa_reserve_flat_scratch 1
		.amdhsa_float_round_mode_32 0
		.amdhsa_float_round_mode_16_64 0
		.amdhsa_float_denorm_mode_32 3
		.amdhsa_float_denorm_mode_16_64 3
		.amdhsa_dx10_clamp 1
		.amdhsa_ieee_mode 1
		.amdhsa_fp16_overflow 0
		.amdhsa_workgroup_processor_mode 1
		.amdhsa_memory_ordered 1
		.amdhsa_forward_progress 1
		.amdhsa_shared_vgpr_count 0
		.amdhsa_exception_fp_ieee_invalid_op 0
		.amdhsa_exception_fp_denorm_src 0
		.amdhsa_exception_fp_ieee_div_zero 0
		.amdhsa_exception_fp_ieee_overflow 0
		.amdhsa_exception_fp_ieee_underflow 0
		.amdhsa_exception_fp_ieee_inexact 0
		.amdhsa_exception_int_div_zero 0
	.end_amdhsa_kernel
	.section	.text._ZN7rocprim17ROCPRIM_400000_NS6detail17trampoline_kernelINS0_14default_configENS1_27scan_by_key_config_selectorIiyEEZZNS1_16scan_by_key_implILNS1_25lookback_scan_determinismE0ELb0ES3_N6thrust23THRUST_200600_302600_NS6detail15normal_iteratorINS9_10device_ptrIiEEEENSB_INSC_IyEEEESG_yNS9_4plusIvEENS9_8equal_toIvEEyEE10hipError_tPvRmT2_T3_T4_T5_mT6_T7_P12ihipStream_tbENKUlT_T0_E_clISt17integral_constantIbLb0EES11_EEDaSW_SX_EUlSW_E_NS1_11comp_targetILNS1_3genE8ELNS1_11target_archE1030ELNS1_3gpuE2ELNS1_3repE0EEENS1_30default_config_static_selectorELNS0_4arch9wavefront6targetE0EEEvT1_,"axG",@progbits,_ZN7rocprim17ROCPRIM_400000_NS6detail17trampoline_kernelINS0_14default_configENS1_27scan_by_key_config_selectorIiyEEZZNS1_16scan_by_key_implILNS1_25lookback_scan_determinismE0ELb0ES3_N6thrust23THRUST_200600_302600_NS6detail15normal_iteratorINS9_10device_ptrIiEEEENSB_INSC_IyEEEESG_yNS9_4plusIvEENS9_8equal_toIvEEyEE10hipError_tPvRmT2_T3_T4_T5_mT6_T7_P12ihipStream_tbENKUlT_T0_E_clISt17integral_constantIbLb0EES11_EEDaSW_SX_EUlSW_E_NS1_11comp_targetILNS1_3genE8ELNS1_11target_archE1030ELNS1_3gpuE2ELNS1_3repE0EEENS1_30default_config_static_selectorELNS0_4arch9wavefront6targetE0EEEvT1_,comdat
.Lfunc_end1184:
	.size	_ZN7rocprim17ROCPRIM_400000_NS6detail17trampoline_kernelINS0_14default_configENS1_27scan_by_key_config_selectorIiyEEZZNS1_16scan_by_key_implILNS1_25lookback_scan_determinismE0ELb0ES3_N6thrust23THRUST_200600_302600_NS6detail15normal_iteratorINS9_10device_ptrIiEEEENSB_INSC_IyEEEESG_yNS9_4plusIvEENS9_8equal_toIvEEyEE10hipError_tPvRmT2_T3_T4_T5_mT6_T7_P12ihipStream_tbENKUlT_T0_E_clISt17integral_constantIbLb0EES11_EEDaSW_SX_EUlSW_E_NS1_11comp_targetILNS1_3genE8ELNS1_11target_archE1030ELNS1_3gpuE2ELNS1_3repE0EEENS1_30default_config_static_selectorELNS0_4arch9wavefront6targetE0EEEvT1_, .Lfunc_end1184-_ZN7rocprim17ROCPRIM_400000_NS6detail17trampoline_kernelINS0_14default_configENS1_27scan_by_key_config_selectorIiyEEZZNS1_16scan_by_key_implILNS1_25lookback_scan_determinismE0ELb0ES3_N6thrust23THRUST_200600_302600_NS6detail15normal_iteratorINS9_10device_ptrIiEEEENSB_INSC_IyEEEESG_yNS9_4plusIvEENS9_8equal_toIvEEyEE10hipError_tPvRmT2_T3_T4_T5_mT6_T7_P12ihipStream_tbENKUlT_T0_E_clISt17integral_constantIbLb0EES11_EEDaSW_SX_EUlSW_E_NS1_11comp_targetILNS1_3genE8ELNS1_11target_archE1030ELNS1_3gpuE2ELNS1_3repE0EEENS1_30default_config_static_selectorELNS0_4arch9wavefront6targetE0EEEvT1_
                                        ; -- End function
	.set _ZN7rocprim17ROCPRIM_400000_NS6detail17trampoline_kernelINS0_14default_configENS1_27scan_by_key_config_selectorIiyEEZZNS1_16scan_by_key_implILNS1_25lookback_scan_determinismE0ELb0ES3_N6thrust23THRUST_200600_302600_NS6detail15normal_iteratorINS9_10device_ptrIiEEEENSB_INSC_IyEEEESG_yNS9_4plusIvEENS9_8equal_toIvEEyEE10hipError_tPvRmT2_T3_T4_T5_mT6_T7_P12ihipStream_tbENKUlT_T0_E_clISt17integral_constantIbLb0EES11_EEDaSW_SX_EUlSW_E_NS1_11comp_targetILNS1_3genE8ELNS1_11target_archE1030ELNS1_3gpuE2ELNS1_3repE0EEENS1_30default_config_static_selectorELNS0_4arch9wavefront6targetE0EEEvT1_.num_vgpr, 48
	.set _ZN7rocprim17ROCPRIM_400000_NS6detail17trampoline_kernelINS0_14default_configENS1_27scan_by_key_config_selectorIiyEEZZNS1_16scan_by_key_implILNS1_25lookback_scan_determinismE0ELb0ES3_N6thrust23THRUST_200600_302600_NS6detail15normal_iteratorINS9_10device_ptrIiEEEENSB_INSC_IyEEEESG_yNS9_4plusIvEENS9_8equal_toIvEEyEE10hipError_tPvRmT2_T3_T4_T5_mT6_T7_P12ihipStream_tbENKUlT_T0_E_clISt17integral_constantIbLb0EES11_EEDaSW_SX_EUlSW_E_NS1_11comp_targetILNS1_3genE8ELNS1_11target_archE1030ELNS1_3gpuE2ELNS1_3repE0EEENS1_30default_config_static_selectorELNS0_4arch9wavefront6targetE0EEEvT1_.num_agpr, 0
	.set _ZN7rocprim17ROCPRIM_400000_NS6detail17trampoline_kernelINS0_14default_configENS1_27scan_by_key_config_selectorIiyEEZZNS1_16scan_by_key_implILNS1_25lookback_scan_determinismE0ELb0ES3_N6thrust23THRUST_200600_302600_NS6detail15normal_iteratorINS9_10device_ptrIiEEEENSB_INSC_IyEEEESG_yNS9_4plusIvEENS9_8equal_toIvEEyEE10hipError_tPvRmT2_T3_T4_T5_mT6_T7_P12ihipStream_tbENKUlT_T0_E_clISt17integral_constantIbLb0EES11_EEDaSW_SX_EUlSW_E_NS1_11comp_targetILNS1_3genE8ELNS1_11target_archE1030ELNS1_3gpuE2ELNS1_3repE0EEENS1_30default_config_static_selectorELNS0_4arch9wavefront6targetE0EEEvT1_.numbered_sgpr, 38
	.set _ZN7rocprim17ROCPRIM_400000_NS6detail17trampoline_kernelINS0_14default_configENS1_27scan_by_key_config_selectorIiyEEZZNS1_16scan_by_key_implILNS1_25lookback_scan_determinismE0ELb0ES3_N6thrust23THRUST_200600_302600_NS6detail15normal_iteratorINS9_10device_ptrIiEEEENSB_INSC_IyEEEESG_yNS9_4plusIvEENS9_8equal_toIvEEyEE10hipError_tPvRmT2_T3_T4_T5_mT6_T7_P12ihipStream_tbENKUlT_T0_E_clISt17integral_constantIbLb0EES11_EEDaSW_SX_EUlSW_E_NS1_11comp_targetILNS1_3genE8ELNS1_11target_archE1030ELNS1_3gpuE2ELNS1_3repE0EEENS1_30default_config_static_selectorELNS0_4arch9wavefront6targetE0EEEvT1_.num_named_barrier, 0
	.set _ZN7rocprim17ROCPRIM_400000_NS6detail17trampoline_kernelINS0_14default_configENS1_27scan_by_key_config_selectorIiyEEZZNS1_16scan_by_key_implILNS1_25lookback_scan_determinismE0ELb0ES3_N6thrust23THRUST_200600_302600_NS6detail15normal_iteratorINS9_10device_ptrIiEEEENSB_INSC_IyEEEESG_yNS9_4plusIvEENS9_8equal_toIvEEyEE10hipError_tPvRmT2_T3_T4_T5_mT6_T7_P12ihipStream_tbENKUlT_T0_E_clISt17integral_constantIbLb0EES11_EEDaSW_SX_EUlSW_E_NS1_11comp_targetILNS1_3genE8ELNS1_11target_archE1030ELNS1_3gpuE2ELNS1_3repE0EEENS1_30default_config_static_selectorELNS0_4arch9wavefront6targetE0EEEvT1_.private_seg_size, 0
	.set _ZN7rocprim17ROCPRIM_400000_NS6detail17trampoline_kernelINS0_14default_configENS1_27scan_by_key_config_selectorIiyEEZZNS1_16scan_by_key_implILNS1_25lookback_scan_determinismE0ELb0ES3_N6thrust23THRUST_200600_302600_NS6detail15normal_iteratorINS9_10device_ptrIiEEEENSB_INSC_IyEEEESG_yNS9_4plusIvEENS9_8equal_toIvEEyEE10hipError_tPvRmT2_T3_T4_T5_mT6_T7_P12ihipStream_tbENKUlT_T0_E_clISt17integral_constantIbLb0EES11_EEDaSW_SX_EUlSW_E_NS1_11comp_targetILNS1_3genE8ELNS1_11target_archE1030ELNS1_3gpuE2ELNS1_3repE0EEENS1_30default_config_static_selectorELNS0_4arch9wavefront6targetE0EEEvT1_.uses_vcc, 1
	.set _ZN7rocprim17ROCPRIM_400000_NS6detail17trampoline_kernelINS0_14default_configENS1_27scan_by_key_config_selectorIiyEEZZNS1_16scan_by_key_implILNS1_25lookback_scan_determinismE0ELb0ES3_N6thrust23THRUST_200600_302600_NS6detail15normal_iteratorINS9_10device_ptrIiEEEENSB_INSC_IyEEEESG_yNS9_4plusIvEENS9_8equal_toIvEEyEE10hipError_tPvRmT2_T3_T4_T5_mT6_T7_P12ihipStream_tbENKUlT_T0_E_clISt17integral_constantIbLb0EES11_EEDaSW_SX_EUlSW_E_NS1_11comp_targetILNS1_3genE8ELNS1_11target_archE1030ELNS1_3gpuE2ELNS1_3repE0EEENS1_30default_config_static_selectorELNS0_4arch9wavefront6targetE0EEEvT1_.uses_flat_scratch, 1
	.set _ZN7rocprim17ROCPRIM_400000_NS6detail17trampoline_kernelINS0_14default_configENS1_27scan_by_key_config_selectorIiyEEZZNS1_16scan_by_key_implILNS1_25lookback_scan_determinismE0ELb0ES3_N6thrust23THRUST_200600_302600_NS6detail15normal_iteratorINS9_10device_ptrIiEEEENSB_INSC_IyEEEESG_yNS9_4plusIvEENS9_8equal_toIvEEyEE10hipError_tPvRmT2_T3_T4_T5_mT6_T7_P12ihipStream_tbENKUlT_T0_E_clISt17integral_constantIbLb0EES11_EEDaSW_SX_EUlSW_E_NS1_11comp_targetILNS1_3genE8ELNS1_11target_archE1030ELNS1_3gpuE2ELNS1_3repE0EEENS1_30default_config_static_selectorELNS0_4arch9wavefront6targetE0EEEvT1_.has_dyn_sized_stack, 0
	.set _ZN7rocprim17ROCPRIM_400000_NS6detail17trampoline_kernelINS0_14default_configENS1_27scan_by_key_config_selectorIiyEEZZNS1_16scan_by_key_implILNS1_25lookback_scan_determinismE0ELb0ES3_N6thrust23THRUST_200600_302600_NS6detail15normal_iteratorINS9_10device_ptrIiEEEENSB_INSC_IyEEEESG_yNS9_4plusIvEENS9_8equal_toIvEEyEE10hipError_tPvRmT2_T3_T4_T5_mT6_T7_P12ihipStream_tbENKUlT_T0_E_clISt17integral_constantIbLb0EES11_EEDaSW_SX_EUlSW_E_NS1_11comp_targetILNS1_3genE8ELNS1_11target_archE1030ELNS1_3gpuE2ELNS1_3repE0EEENS1_30default_config_static_selectorELNS0_4arch9wavefront6targetE0EEEvT1_.has_recursion, 0
	.set _ZN7rocprim17ROCPRIM_400000_NS6detail17trampoline_kernelINS0_14default_configENS1_27scan_by_key_config_selectorIiyEEZZNS1_16scan_by_key_implILNS1_25lookback_scan_determinismE0ELb0ES3_N6thrust23THRUST_200600_302600_NS6detail15normal_iteratorINS9_10device_ptrIiEEEENSB_INSC_IyEEEESG_yNS9_4plusIvEENS9_8equal_toIvEEyEE10hipError_tPvRmT2_T3_T4_T5_mT6_T7_P12ihipStream_tbENKUlT_T0_E_clISt17integral_constantIbLb0EES11_EEDaSW_SX_EUlSW_E_NS1_11comp_targetILNS1_3genE8ELNS1_11target_archE1030ELNS1_3gpuE2ELNS1_3repE0EEENS1_30default_config_static_selectorELNS0_4arch9wavefront6targetE0EEEvT1_.has_indirect_call, 0
	.section	.AMDGPU.csdata,"",@progbits
; Kernel info:
; codeLenInByte = 7512
; TotalNumSgprs: 40
; NumVgprs: 48
; ScratchSize: 0
; MemoryBound: 0
; FloatMode: 240
; IeeeMode: 1
; LDSByteSize: 6144 bytes/workgroup (compile time only)
; SGPRBlocks: 0
; VGPRBlocks: 5
; NumSGPRsForWavesPerEU: 40
; NumVGPRsForWavesPerEU: 48
; Occupancy: 16
; WaveLimiterHint : 1
; COMPUTE_PGM_RSRC2:SCRATCH_EN: 0
; COMPUTE_PGM_RSRC2:USER_SGPR: 6
; COMPUTE_PGM_RSRC2:TRAP_HANDLER: 0
; COMPUTE_PGM_RSRC2:TGID_X_EN: 1
; COMPUTE_PGM_RSRC2:TGID_Y_EN: 0
; COMPUTE_PGM_RSRC2:TGID_Z_EN: 0
; COMPUTE_PGM_RSRC2:TIDIG_COMP_CNT: 0
	.section	.text._ZN7rocprim17ROCPRIM_400000_NS6detail30init_device_scan_by_key_kernelINS1_19lookback_scan_stateINS0_5tupleIJybEEELb1ELb0EEEN6thrust23THRUST_200600_302600_NS6detail15normal_iteratorINS8_10device_ptrIiEEEEjNS1_16block_id_wrapperIjLb1EEEEEvT_jjPNSG_10value_typeET0_PNSt15iterator_traitsISJ_E10value_typeEmT1_T2_,"axG",@progbits,_ZN7rocprim17ROCPRIM_400000_NS6detail30init_device_scan_by_key_kernelINS1_19lookback_scan_stateINS0_5tupleIJybEEELb1ELb0EEEN6thrust23THRUST_200600_302600_NS6detail15normal_iteratorINS8_10device_ptrIiEEEEjNS1_16block_id_wrapperIjLb1EEEEEvT_jjPNSG_10value_typeET0_PNSt15iterator_traitsISJ_E10value_typeEmT1_T2_,comdat
	.protected	_ZN7rocprim17ROCPRIM_400000_NS6detail30init_device_scan_by_key_kernelINS1_19lookback_scan_stateINS0_5tupleIJybEEELb1ELb0EEEN6thrust23THRUST_200600_302600_NS6detail15normal_iteratorINS8_10device_ptrIiEEEEjNS1_16block_id_wrapperIjLb1EEEEEvT_jjPNSG_10value_typeET0_PNSt15iterator_traitsISJ_E10value_typeEmT1_T2_ ; -- Begin function _ZN7rocprim17ROCPRIM_400000_NS6detail30init_device_scan_by_key_kernelINS1_19lookback_scan_stateINS0_5tupleIJybEEELb1ELb0EEEN6thrust23THRUST_200600_302600_NS6detail15normal_iteratorINS8_10device_ptrIiEEEEjNS1_16block_id_wrapperIjLb1EEEEEvT_jjPNSG_10value_typeET0_PNSt15iterator_traitsISJ_E10value_typeEmT1_T2_
	.globl	_ZN7rocprim17ROCPRIM_400000_NS6detail30init_device_scan_by_key_kernelINS1_19lookback_scan_stateINS0_5tupleIJybEEELb1ELb0EEEN6thrust23THRUST_200600_302600_NS6detail15normal_iteratorINS8_10device_ptrIiEEEEjNS1_16block_id_wrapperIjLb1EEEEEvT_jjPNSG_10value_typeET0_PNSt15iterator_traitsISJ_E10value_typeEmT1_T2_
	.p2align	8
	.type	_ZN7rocprim17ROCPRIM_400000_NS6detail30init_device_scan_by_key_kernelINS1_19lookback_scan_stateINS0_5tupleIJybEEELb1ELb0EEEN6thrust23THRUST_200600_302600_NS6detail15normal_iteratorINS8_10device_ptrIiEEEEjNS1_16block_id_wrapperIjLb1EEEEEvT_jjPNSG_10value_typeET0_PNSt15iterator_traitsISJ_E10value_typeEmT1_T2_,@function
_ZN7rocprim17ROCPRIM_400000_NS6detail30init_device_scan_by_key_kernelINS1_19lookback_scan_stateINS0_5tupleIJybEEELb1ELb0EEEN6thrust23THRUST_200600_302600_NS6detail15normal_iteratorINS8_10device_ptrIiEEEEjNS1_16block_id_wrapperIjLb1EEEEEvT_jjPNSG_10value_typeET0_PNSt15iterator_traitsISJ_E10value_typeEmT1_T2_: ; @_ZN7rocprim17ROCPRIM_400000_NS6detail30init_device_scan_by_key_kernelINS1_19lookback_scan_stateINS0_5tupleIJybEEELb1ELb0EEEN6thrust23THRUST_200600_302600_NS6detail15normal_iteratorINS8_10device_ptrIiEEEEjNS1_16block_id_wrapperIjLb1EEEEEvT_jjPNSG_10value_typeET0_PNSt15iterator_traitsISJ_E10value_typeEmT1_T2_
; %bb.0:
	s_clause 0x2
	s_load_dword s0, s[4:5], 0x5c
	s_load_dwordx8 s[8:15], s[4:5], 0x10
	s_load_dword s18, s[4:5], 0x50
	s_waitcnt lgkmcnt(0)
	s_and_b32 s19, s0, 0xffff
	s_cmp_eq_u64 s[12:13], 0
	v_mad_u64_u32 v[0:1], null, s6, s19, v[0:1]
	s_cbranch_scc1 .LBB1185_9
; %bb.1:
	s_cmp_lt_u32 s11, s10
	s_mov_b32 s7, 0
	s_cselect_b32 s0, s11, 0
	s_mov_b32 s20, exec_lo
	v_cmpx_eq_u32_e64 s0, v0
	s_cbranch_execz .LBB1185_8
; %bb.2:
	s_add_i32 s6, s11, 32
	s_load_dwordx4 s[0:3], s[4:5], 0x0
	v_mov_b32_e32 v1, s6
	s_add_u32 s16, s8, s6
	s_addc_u32 s17, s9, 0
	global_load_ubyte v2, v1, s[8:9] glc dlc
	v_mov_b32_e32 v1, 0
	s_waitcnt vmcnt(0)
	v_cmp_ne_u32_sdwa s11, v2, v1 src0_sel:WORD_0 src1_sel:DWORD
	v_readfirstlane_b32 s21, v2
	s_and_b32 vcc_lo, exec_lo, s11
	s_cbranch_vccnz .LBB1185_7
; %bb.3:
	s_mov_b32 s11, 1
.LBB1185_4:                             ; =>This Loop Header: Depth=1
                                        ;     Child Loop BB1185_5 Depth 2
	s_mov_b32 s21, s11
.LBB1185_5:                             ;   Parent Loop BB1185_4 Depth=1
                                        ; =>  This Inner Loop Header: Depth=2
	s_add_i32 s21, s21, -1
	s_sleep 1
	s_cmp_eq_u32 s21, 0
	s_cbranch_scc0 .LBB1185_5
; %bb.6:                                ;   in Loop: Header=BB1185_4 Depth=1
	global_load_ubyte v2, v1, s[16:17] glc dlc
	s_cmp_lt_u32 s11, 32
	s_cselect_b32 s21, -1, 0
	s_cmp_lg_u32 s21, 0
	s_addc_u32 s11, s11, 0
	s_waitcnt vmcnt(0)
	v_cmp_ne_u32_sdwa s22, v2, v1 src0_sel:WORD_0 src1_sel:DWORD
	v_readfirstlane_b32 s21, v2
	s_and_b32 vcc_lo, exec_lo, s22
	s_cbranch_vccz .LBB1185_4
.LBB1185_7:
	s_and_b32 s11, 0xffff, s21
	v_mov_b32_e32 v3, 0
	s_cmp_eq_u32 s11, 1
	s_waitcnt lgkmcnt(0)
	buffer_gl1_inv
	buffer_gl0_inv
	s_cselect_b32 s3, s1, s3
	s_cselect_b32 s2, s0, s2
	s_lshl_b64 s[0:1], s[6:7], 4
	s_add_u32 s0, s2, s0
	s_addc_u32 s1, s3, s1
	s_clause 0x1
	global_load_dwordx2 v[1:2], v3, s[0:1]
	global_load_ubyte v4, v3, s[0:1] offset:8
	s_waitcnt vmcnt(1)
	global_store_dwordx2 v3, v[1:2], s[12:13]
	s_waitcnt vmcnt(0)
	global_store_byte v3, v4, s[12:13] offset:8
.LBB1185_8:
	s_or_b32 exec_lo, exec_lo, s20
.LBB1185_9:
	s_mov_b32 s0, exec_lo
	v_cmpx_eq_u32_e32 0, v0
	s_cbranch_execz .LBB1185_11
; %bb.10:
	s_load_dwordx2 s[2:3], s[4:5], 0x48
	v_mov_b32_e32 v1, 0
	s_waitcnt lgkmcnt(0)
	global_store_dword v1, v1, s[2:3]
.LBB1185_11:
	s_or_b32 exec_lo, exec_lo, s0
	s_mov_b32 s0, exec_lo
	v_cmpx_gt_u32_e64 s10, v0
	s_cbranch_execz .LBB1185_13
; %bb.12:
	v_add_nc_u32_e32 v1, 32, v0
	v_mov_b32_e32 v2, 0
	global_store_byte v1, v2, s[8:9]
.LBB1185_13:
	s_or_b32 exec_lo, exec_lo, s0
	v_mov_b32_e32 v1, 0
	s_mov_b32 s0, exec_lo
	v_cmpx_gt_u32_e32 32, v0
	s_cbranch_execz .LBB1185_15
; %bb.14:
	v_add_co_u32 v2, s1, s8, v0
	v_add_co_ci_u32_e64 v3, null, s9, 0, s1
	v_mov_b32_e32 v4, 0xff
	global_store_byte v[2:3], v4, off
.LBB1185_15:
	s_or_b32 exec_lo, exec_lo, s0
	s_load_dwordx2 s[2:3], s[4:5], 0x38
	s_mov_b32 s0, exec_lo
	s_waitcnt lgkmcnt(0)
	v_cmpx_gt_u64_e64 s[2:3], v[0:1]
	s_cbranch_execz .LBB1185_18
; %bb.16:
	s_clause 0x1
	s_load_dword s8, s[4:5], 0x40
	s_load_dwordx2 s[6:7], s[4:5], 0x30
	s_mov_b32 s1, 0
	v_lshlrev_b64 v[4:5], 2, v[0:1]
	s_mul_i32 s4, s18, s19
	s_waitcnt lgkmcnt(0)
	v_mad_u64_u32 v[2:3], null, s8, v0, 0
	s_add_i32 s0, s8, -1
	s_mul_hi_u32 s9, s8, s4
	s_lshl_b64 s[10:11], s[0:1], 2
	s_mul_i32 s8, s8, s4
	s_add_u32 s0, s14, s10
	s_addc_u32 s5, s15, s11
	v_lshlrev_b64 v[2:3], 2, v[2:3]
	v_add_co_u32 v2, vcc_lo, s0, v2
	v_add_co_ci_u32_e64 v3, null, s5, v3, vcc_lo
	v_add_co_u32 v4, vcc_lo, s6, v4
	v_add_co_ci_u32_e64 v5, null, s7, v5, vcc_lo
	s_mov_b32 s5, s1
	s_lshl_b64 s[6:7], s[8:9], 2
	s_lshl_b64 s[8:9], s[4:5], 2
	.p2align	6
.LBB1185_17:                            ; =>This Inner Loop Header: Depth=1
	global_load_dword v6, v[2:3], off
	v_add_co_u32 v0, vcc_lo, v0, s4
	v_add_co_ci_u32_e64 v1, null, 0, v1, vcc_lo
	v_add_co_u32 v2, vcc_lo, v2, s6
	v_add_co_ci_u32_e64 v3, null, s7, v3, vcc_lo
	v_cmp_le_u64_e32 vcc_lo, s[2:3], v[0:1]
	s_or_b32 s1, vcc_lo, s1
	s_waitcnt vmcnt(0)
	global_store_dword v[4:5], v6, off
	v_add_co_u32 v4, s0, v4, s8
	v_add_co_ci_u32_e64 v5, null, s9, v5, s0
	s_andn2_b32 exec_lo, exec_lo, s1
	s_cbranch_execnz .LBB1185_17
.LBB1185_18:
	s_endpgm
	.section	.rodata,"a",@progbits
	.p2align	6, 0x0
	.amdhsa_kernel _ZN7rocprim17ROCPRIM_400000_NS6detail30init_device_scan_by_key_kernelINS1_19lookback_scan_stateINS0_5tupleIJybEEELb1ELb0EEEN6thrust23THRUST_200600_302600_NS6detail15normal_iteratorINS8_10device_ptrIiEEEEjNS1_16block_id_wrapperIjLb1EEEEEvT_jjPNSG_10value_typeET0_PNSt15iterator_traitsISJ_E10value_typeEmT1_T2_
		.amdhsa_group_segment_fixed_size 0
		.amdhsa_private_segment_fixed_size 0
		.amdhsa_kernarg_size 336
		.amdhsa_user_sgpr_count 6
		.amdhsa_user_sgpr_private_segment_buffer 1
		.amdhsa_user_sgpr_dispatch_ptr 0
		.amdhsa_user_sgpr_queue_ptr 0
		.amdhsa_user_sgpr_kernarg_segment_ptr 1
		.amdhsa_user_sgpr_dispatch_id 0
		.amdhsa_user_sgpr_flat_scratch_init 0
		.amdhsa_user_sgpr_private_segment_size 0
		.amdhsa_wavefront_size32 1
		.amdhsa_uses_dynamic_stack 0
		.amdhsa_system_sgpr_private_segment_wavefront_offset 0
		.amdhsa_system_sgpr_workgroup_id_x 1
		.amdhsa_system_sgpr_workgroup_id_y 0
		.amdhsa_system_sgpr_workgroup_id_z 0
		.amdhsa_system_sgpr_workgroup_info 0
		.amdhsa_system_vgpr_workitem_id 0
		.amdhsa_next_free_vgpr 7
		.amdhsa_next_free_sgpr 23
		.amdhsa_reserve_vcc 1
		.amdhsa_reserve_flat_scratch 0
		.amdhsa_float_round_mode_32 0
		.amdhsa_float_round_mode_16_64 0
		.amdhsa_float_denorm_mode_32 3
		.amdhsa_float_denorm_mode_16_64 3
		.amdhsa_dx10_clamp 1
		.amdhsa_ieee_mode 1
		.amdhsa_fp16_overflow 0
		.amdhsa_workgroup_processor_mode 1
		.amdhsa_memory_ordered 1
		.amdhsa_forward_progress 1
		.amdhsa_shared_vgpr_count 0
		.amdhsa_exception_fp_ieee_invalid_op 0
		.amdhsa_exception_fp_denorm_src 0
		.amdhsa_exception_fp_ieee_div_zero 0
		.amdhsa_exception_fp_ieee_overflow 0
		.amdhsa_exception_fp_ieee_underflow 0
		.amdhsa_exception_fp_ieee_inexact 0
		.amdhsa_exception_int_div_zero 0
	.end_amdhsa_kernel
	.section	.text._ZN7rocprim17ROCPRIM_400000_NS6detail30init_device_scan_by_key_kernelINS1_19lookback_scan_stateINS0_5tupleIJybEEELb1ELb0EEEN6thrust23THRUST_200600_302600_NS6detail15normal_iteratorINS8_10device_ptrIiEEEEjNS1_16block_id_wrapperIjLb1EEEEEvT_jjPNSG_10value_typeET0_PNSt15iterator_traitsISJ_E10value_typeEmT1_T2_,"axG",@progbits,_ZN7rocprim17ROCPRIM_400000_NS6detail30init_device_scan_by_key_kernelINS1_19lookback_scan_stateINS0_5tupleIJybEEELb1ELb0EEEN6thrust23THRUST_200600_302600_NS6detail15normal_iteratorINS8_10device_ptrIiEEEEjNS1_16block_id_wrapperIjLb1EEEEEvT_jjPNSG_10value_typeET0_PNSt15iterator_traitsISJ_E10value_typeEmT1_T2_,comdat
.Lfunc_end1185:
	.size	_ZN7rocprim17ROCPRIM_400000_NS6detail30init_device_scan_by_key_kernelINS1_19lookback_scan_stateINS0_5tupleIJybEEELb1ELb0EEEN6thrust23THRUST_200600_302600_NS6detail15normal_iteratorINS8_10device_ptrIiEEEEjNS1_16block_id_wrapperIjLb1EEEEEvT_jjPNSG_10value_typeET0_PNSt15iterator_traitsISJ_E10value_typeEmT1_T2_, .Lfunc_end1185-_ZN7rocprim17ROCPRIM_400000_NS6detail30init_device_scan_by_key_kernelINS1_19lookback_scan_stateINS0_5tupleIJybEEELb1ELb0EEEN6thrust23THRUST_200600_302600_NS6detail15normal_iteratorINS8_10device_ptrIiEEEEjNS1_16block_id_wrapperIjLb1EEEEEvT_jjPNSG_10value_typeET0_PNSt15iterator_traitsISJ_E10value_typeEmT1_T2_
                                        ; -- End function
	.set _ZN7rocprim17ROCPRIM_400000_NS6detail30init_device_scan_by_key_kernelINS1_19lookback_scan_stateINS0_5tupleIJybEEELb1ELb0EEEN6thrust23THRUST_200600_302600_NS6detail15normal_iteratorINS8_10device_ptrIiEEEEjNS1_16block_id_wrapperIjLb1EEEEEvT_jjPNSG_10value_typeET0_PNSt15iterator_traitsISJ_E10value_typeEmT1_T2_.num_vgpr, 7
	.set _ZN7rocprim17ROCPRIM_400000_NS6detail30init_device_scan_by_key_kernelINS1_19lookback_scan_stateINS0_5tupleIJybEEELb1ELb0EEEN6thrust23THRUST_200600_302600_NS6detail15normal_iteratorINS8_10device_ptrIiEEEEjNS1_16block_id_wrapperIjLb1EEEEEvT_jjPNSG_10value_typeET0_PNSt15iterator_traitsISJ_E10value_typeEmT1_T2_.num_agpr, 0
	.set _ZN7rocprim17ROCPRIM_400000_NS6detail30init_device_scan_by_key_kernelINS1_19lookback_scan_stateINS0_5tupleIJybEEELb1ELb0EEEN6thrust23THRUST_200600_302600_NS6detail15normal_iteratorINS8_10device_ptrIiEEEEjNS1_16block_id_wrapperIjLb1EEEEEvT_jjPNSG_10value_typeET0_PNSt15iterator_traitsISJ_E10value_typeEmT1_T2_.numbered_sgpr, 23
	.set _ZN7rocprim17ROCPRIM_400000_NS6detail30init_device_scan_by_key_kernelINS1_19lookback_scan_stateINS0_5tupleIJybEEELb1ELb0EEEN6thrust23THRUST_200600_302600_NS6detail15normal_iteratorINS8_10device_ptrIiEEEEjNS1_16block_id_wrapperIjLb1EEEEEvT_jjPNSG_10value_typeET0_PNSt15iterator_traitsISJ_E10value_typeEmT1_T2_.num_named_barrier, 0
	.set _ZN7rocprim17ROCPRIM_400000_NS6detail30init_device_scan_by_key_kernelINS1_19lookback_scan_stateINS0_5tupleIJybEEELb1ELb0EEEN6thrust23THRUST_200600_302600_NS6detail15normal_iteratorINS8_10device_ptrIiEEEEjNS1_16block_id_wrapperIjLb1EEEEEvT_jjPNSG_10value_typeET0_PNSt15iterator_traitsISJ_E10value_typeEmT1_T2_.private_seg_size, 0
	.set _ZN7rocprim17ROCPRIM_400000_NS6detail30init_device_scan_by_key_kernelINS1_19lookback_scan_stateINS0_5tupleIJybEEELb1ELb0EEEN6thrust23THRUST_200600_302600_NS6detail15normal_iteratorINS8_10device_ptrIiEEEEjNS1_16block_id_wrapperIjLb1EEEEEvT_jjPNSG_10value_typeET0_PNSt15iterator_traitsISJ_E10value_typeEmT1_T2_.uses_vcc, 1
	.set _ZN7rocprim17ROCPRIM_400000_NS6detail30init_device_scan_by_key_kernelINS1_19lookback_scan_stateINS0_5tupleIJybEEELb1ELb0EEEN6thrust23THRUST_200600_302600_NS6detail15normal_iteratorINS8_10device_ptrIiEEEEjNS1_16block_id_wrapperIjLb1EEEEEvT_jjPNSG_10value_typeET0_PNSt15iterator_traitsISJ_E10value_typeEmT1_T2_.uses_flat_scratch, 0
	.set _ZN7rocprim17ROCPRIM_400000_NS6detail30init_device_scan_by_key_kernelINS1_19lookback_scan_stateINS0_5tupleIJybEEELb1ELb0EEEN6thrust23THRUST_200600_302600_NS6detail15normal_iteratorINS8_10device_ptrIiEEEEjNS1_16block_id_wrapperIjLb1EEEEEvT_jjPNSG_10value_typeET0_PNSt15iterator_traitsISJ_E10value_typeEmT1_T2_.has_dyn_sized_stack, 0
	.set _ZN7rocprim17ROCPRIM_400000_NS6detail30init_device_scan_by_key_kernelINS1_19lookback_scan_stateINS0_5tupleIJybEEELb1ELb0EEEN6thrust23THRUST_200600_302600_NS6detail15normal_iteratorINS8_10device_ptrIiEEEEjNS1_16block_id_wrapperIjLb1EEEEEvT_jjPNSG_10value_typeET0_PNSt15iterator_traitsISJ_E10value_typeEmT1_T2_.has_recursion, 0
	.set _ZN7rocprim17ROCPRIM_400000_NS6detail30init_device_scan_by_key_kernelINS1_19lookback_scan_stateINS0_5tupleIJybEEELb1ELb0EEEN6thrust23THRUST_200600_302600_NS6detail15normal_iteratorINS8_10device_ptrIiEEEEjNS1_16block_id_wrapperIjLb1EEEEEvT_jjPNSG_10value_typeET0_PNSt15iterator_traitsISJ_E10value_typeEmT1_T2_.has_indirect_call, 0
	.section	.AMDGPU.csdata,"",@progbits
; Kernel info:
; codeLenInByte = 728
; TotalNumSgprs: 25
; NumVgprs: 7
; ScratchSize: 0
; MemoryBound: 0
; FloatMode: 240
; IeeeMode: 1
; LDSByteSize: 0 bytes/workgroup (compile time only)
; SGPRBlocks: 0
; VGPRBlocks: 0
; NumSGPRsForWavesPerEU: 25
; NumVGPRsForWavesPerEU: 7
; Occupancy: 16
; WaveLimiterHint : 0
; COMPUTE_PGM_RSRC2:SCRATCH_EN: 0
; COMPUTE_PGM_RSRC2:USER_SGPR: 6
; COMPUTE_PGM_RSRC2:TRAP_HANDLER: 0
; COMPUTE_PGM_RSRC2:TGID_X_EN: 1
; COMPUTE_PGM_RSRC2:TGID_Y_EN: 0
; COMPUTE_PGM_RSRC2:TGID_Z_EN: 0
; COMPUTE_PGM_RSRC2:TIDIG_COMP_CNT: 0
	.section	.text._ZN7rocprim17ROCPRIM_400000_NS6detail30init_device_scan_by_key_kernelINS1_19lookback_scan_stateINS0_5tupleIJybEEELb1ELb0EEENS1_16block_id_wrapperIjLb1EEEEEvT_jjPNS9_10value_typeET0_,"axG",@progbits,_ZN7rocprim17ROCPRIM_400000_NS6detail30init_device_scan_by_key_kernelINS1_19lookback_scan_stateINS0_5tupleIJybEEELb1ELb0EEENS1_16block_id_wrapperIjLb1EEEEEvT_jjPNS9_10value_typeET0_,comdat
	.protected	_ZN7rocprim17ROCPRIM_400000_NS6detail30init_device_scan_by_key_kernelINS1_19lookback_scan_stateINS0_5tupleIJybEEELb1ELb0EEENS1_16block_id_wrapperIjLb1EEEEEvT_jjPNS9_10value_typeET0_ ; -- Begin function _ZN7rocprim17ROCPRIM_400000_NS6detail30init_device_scan_by_key_kernelINS1_19lookback_scan_stateINS0_5tupleIJybEEELb1ELb0EEENS1_16block_id_wrapperIjLb1EEEEEvT_jjPNS9_10value_typeET0_
	.globl	_ZN7rocprim17ROCPRIM_400000_NS6detail30init_device_scan_by_key_kernelINS1_19lookback_scan_stateINS0_5tupleIJybEEELb1ELb0EEENS1_16block_id_wrapperIjLb1EEEEEvT_jjPNS9_10value_typeET0_
	.p2align	8
	.type	_ZN7rocprim17ROCPRIM_400000_NS6detail30init_device_scan_by_key_kernelINS1_19lookback_scan_stateINS0_5tupleIJybEEELb1ELb0EEENS1_16block_id_wrapperIjLb1EEEEEvT_jjPNS9_10value_typeET0_,@function
_ZN7rocprim17ROCPRIM_400000_NS6detail30init_device_scan_by_key_kernelINS1_19lookback_scan_stateINS0_5tupleIJybEEELb1ELb0EEENS1_16block_id_wrapperIjLb1EEEEEvT_jjPNS9_10value_typeET0_: ; @_ZN7rocprim17ROCPRIM_400000_NS6detail30init_device_scan_by_key_kernelINS1_19lookback_scan_stateINS0_5tupleIJybEEELb1ELb0EEENS1_16block_id_wrapperIjLb1EEEEEvT_jjPNS9_10value_typeET0_
; %bb.0:
	s_clause 0x1
	s_load_dword s0, s[4:5], 0x3c
	s_load_dwordx8 s[8:15], s[4:5], 0x10
	s_waitcnt lgkmcnt(0)
	s_and_b32 s0, s0, 0xffff
	s_cmp_eq_u64 s[12:13], 0
	v_mad_u64_u32 v[0:1], null, s6, s0, v[0:1]
	s_cbranch_scc1 .LBB1186_9
; %bb.1:
	s_cmp_lt_u32 s11, s10
	s_mov_b32 s7, 0
	s_cselect_b32 s0, s11, 0
	s_mov_b32 s16, exec_lo
	v_cmpx_eq_u32_e64 s0, v0
	s_cbranch_execz .LBB1186_8
; %bb.2:
	s_add_i32 s6, s11, 32
	s_load_dwordx4 s[0:3], s[4:5], 0x0
	v_mov_b32_e32 v1, s6
	s_add_u32 s4, s8, s6
	s_addc_u32 s5, s9, 0
	global_load_ubyte v2, v1, s[8:9] glc dlc
	v_mov_b32_e32 v1, 0
	s_waitcnt vmcnt(0)
	v_cmp_ne_u32_sdwa s11, v2, v1 src0_sel:WORD_0 src1_sel:DWORD
	v_readfirstlane_b32 s17, v2
	s_and_b32 vcc_lo, exec_lo, s11
	s_cbranch_vccnz .LBB1186_7
; %bb.3:
	s_mov_b32 s11, 1
.LBB1186_4:                             ; =>This Loop Header: Depth=1
                                        ;     Child Loop BB1186_5 Depth 2
	s_mov_b32 s17, s11
.LBB1186_5:                             ;   Parent Loop BB1186_4 Depth=1
                                        ; =>  This Inner Loop Header: Depth=2
	s_add_i32 s17, s17, -1
	s_sleep 1
	s_cmp_eq_u32 s17, 0
	s_cbranch_scc0 .LBB1186_5
; %bb.6:                                ;   in Loop: Header=BB1186_4 Depth=1
	global_load_ubyte v2, v1, s[4:5] glc dlc
	s_cmp_lt_u32 s11, 32
	s_cselect_b32 s17, -1, 0
	s_cmp_lg_u32 s17, 0
	s_addc_u32 s11, s11, 0
	s_waitcnt vmcnt(0)
	v_cmp_ne_u32_sdwa s18, v2, v1 src0_sel:WORD_0 src1_sel:DWORD
	v_readfirstlane_b32 s17, v2
	s_and_b32 vcc_lo, exec_lo, s18
	s_cbranch_vccz .LBB1186_4
.LBB1186_7:
	s_and_b32 s4, 0xffff, s17
	v_mov_b32_e32 v3, 0
	s_cmp_eq_u32 s4, 1
	s_waitcnt lgkmcnt(0)
	buffer_gl1_inv
	buffer_gl0_inv
	s_cselect_b32 s3, s1, s3
	s_cselect_b32 s2, s0, s2
	s_lshl_b64 s[0:1], s[6:7], 4
	s_add_u32 s0, s2, s0
	s_addc_u32 s1, s3, s1
	s_clause 0x1
	global_load_dwordx2 v[1:2], v3, s[0:1]
	global_load_ubyte v4, v3, s[0:1] offset:8
	s_waitcnt vmcnt(1)
	global_store_dwordx2 v3, v[1:2], s[12:13]
	s_waitcnt vmcnt(0)
	global_store_byte v3, v4, s[12:13] offset:8
.LBB1186_8:
	s_or_b32 exec_lo, exec_lo, s16
.LBB1186_9:
	s_mov_b32 s0, exec_lo
	v_cmpx_eq_u32_e32 0, v0
	s_cbranch_execz .LBB1186_11
; %bb.10:
	v_mov_b32_e32 v1, 0
	global_store_dword v1, v1, s[14:15]
.LBB1186_11:
	s_or_b32 exec_lo, exec_lo, s0
	s_mov_b32 s0, exec_lo
	v_cmpx_gt_u32_e64 s10, v0
	s_cbranch_execz .LBB1186_13
; %bb.12:
	v_add_nc_u32_e32 v1, 32, v0
	v_mov_b32_e32 v2, 0
	global_store_byte v1, v2, s[8:9]
.LBB1186_13:
	s_or_b32 exec_lo, exec_lo, s0
	s_mov_b32 s0, exec_lo
	v_cmpx_gt_u32_e32 32, v0
	s_cbranch_execz .LBB1186_15
; %bb.14:
	v_mov_b32_e32 v1, 0xff
	global_store_byte v0, v1, s[8:9]
.LBB1186_15:
	s_endpgm
	.section	.rodata,"a",@progbits
	.p2align	6, 0x0
	.amdhsa_kernel _ZN7rocprim17ROCPRIM_400000_NS6detail30init_device_scan_by_key_kernelINS1_19lookback_scan_stateINS0_5tupleIJybEEELb1ELb0EEENS1_16block_id_wrapperIjLb1EEEEEvT_jjPNS9_10value_typeET0_
		.amdhsa_group_segment_fixed_size 0
		.amdhsa_private_segment_fixed_size 0
		.amdhsa_kernarg_size 304
		.amdhsa_user_sgpr_count 6
		.amdhsa_user_sgpr_private_segment_buffer 1
		.amdhsa_user_sgpr_dispatch_ptr 0
		.amdhsa_user_sgpr_queue_ptr 0
		.amdhsa_user_sgpr_kernarg_segment_ptr 1
		.amdhsa_user_sgpr_dispatch_id 0
		.amdhsa_user_sgpr_flat_scratch_init 0
		.amdhsa_user_sgpr_private_segment_size 0
		.amdhsa_wavefront_size32 1
		.amdhsa_uses_dynamic_stack 0
		.amdhsa_system_sgpr_private_segment_wavefront_offset 0
		.amdhsa_system_sgpr_workgroup_id_x 1
		.amdhsa_system_sgpr_workgroup_id_y 0
		.amdhsa_system_sgpr_workgroup_id_z 0
		.amdhsa_system_sgpr_workgroup_info 0
		.amdhsa_system_vgpr_workitem_id 0
		.amdhsa_next_free_vgpr 5
		.amdhsa_next_free_sgpr 19
		.amdhsa_reserve_vcc 1
		.amdhsa_reserve_flat_scratch 0
		.amdhsa_float_round_mode_32 0
		.amdhsa_float_round_mode_16_64 0
		.amdhsa_float_denorm_mode_32 3
		.amdhsa_float_denorm_mode_16_64 3
		.amdhsa_dx10_clamp 1
		.amdhsa_ieee_mode 1
		.amdhsa_fp16_overflow 0
		.amdhsa_workgroup_processor_mode 1
		.amdhsa_memory_ordered 1
		.amdhsa_forward_progress 1
		.amdhsa_shared_vgpr_count 0
		.amdhsa_exception_fp_ieee_invalid_op 0
		.amdhsa_exception_fp_denorm_src 0
		.amdhsa_exception_fp_ieee_div_zero 0
		.amdhsa_exception_fp_ieee_overflow 0
		.amdhsa_exception_fp_ieee_underflow 0
		.amdhsa_exception_fp_ieee_inexact 0
		.amdhsa_exception_int_div_zero 0
	.end_amdhsa_kernel
	.section	.text._ZN7rocprim17ROCPRIM_400000_NS6detail30init_device_scan_by_key_kernelINS1_19lookback_scan_stateINS0_5tupleIJybEEELb1ELb0EEENS1_16block_id_wrapperIjLb1EEEEEvT_jjPNS9_10value_typeET0_,"axG",@progbits,_ZN7rocprim17ROCPRIM_400000_NS6detail30init_device_scan_by_key_kernelINS1_19lookback_scan_stateINS0_5tupleIJybEEELb1ELb0EEENS1_16block_id_wrapperIjLb1EEEEEvT_jjPNS9_10value_typeET0_,comdat
.Lfunc_end1186:
	.size	_ZN7rocprim17ROCPRIM_400000_NS6detail30init_device_scan_by_key_kernelINS1_19lookback_scan_stateINS0_5tupleIJybEEELb1ELb0EEENS1_16block_id_wrapperIjLb1EEEEEvT_jjPNS9_10value_typeET0_, .Lfunc_end1186-_ZN7rocprim17ROCPRIM_400000_NS6detail30init_device_scan_by_key_kernelINS1_19lookback_scan_stateINS0_5tupleIJybEEELb1ELb0EEENS1_16block_id_wrapperIjLb1EEEEEvT_jjPNS9_10value_typeET0_
                                        ; -- End function
	.set _ZN7rocprim17ROCPRIM_400000_NS6detail30init_device_scan_by_key_kernelINS1_19lookback_scan_stateINS0_5tupleIJybEEELb1ELb0EEENS1_16block_id_wrapperIjLb1EEEEEvT_jjPNS9_10value_typeET0_.num_vgpr, 5
	.set _ZN7rocprim17ROCPRIM_400000_NS6detail30init_device_scan_by_key_kernelINS1_19lookback_scan_stateINS0_5tupleIJybEEELb1ELb0EEENS1_16block_id_wrapperIjLb1EEEEEvT_jjPNS9_10value_typeET0_.num_agpr, 0
	.set _ZN7rocprim17ROCPRIM_400000_NS6detail30init_device_scan_by_key_kernelINS1_19lookback_scan_stateINS0_5tupleIJybEEELb1ELb0EEENS1_16block_id_wrapperIjLb1EEEEEvT_jjPNS9_10value_typeET0_.numbered_sgpr, 19
	.set _ZN7rocprim17ROCPRIM_400000_NS6detail30init_device_scan_by_key_kernelINS1_19lookback_scan_stateINS0_5tupleIJybEEELb1ELb0EEENS1_16block_id_wrapperIjLb1EEEEEvT_jjPNS9_10value_typeET0_.num_named_barrier, 0
	.set _ZN7rocprim17ROCPRIM_400000_NS6detail30init_device_scan_by_key_kernelINS1_19lookback_scan_stateINS0_5tupleIJybEEELb1ELb0EEENS1_16block_id_wrapperIjLb1EEEEEvT_jjPNS9_10value_typeET0_.private_seg_size, 0
	.set _ZN7rocprim17ROCPRIM_400000_NS6detail30init_device_scan_by_key_kernelINS1_19lookback_scan_stateINS0_5tupleIJybEEELb1ELb0EEENS1_16block_id_wrapperIjLb1EEEEEvT_jjPNS9_10value_typeET0_.uses_vcc, 1
	.set _ZN7rocprim17ROCPRIM_400000_NS6detail30init_device_scan_by_key_kernelINS1_19lookback_scan_stateINS0_5tupleIJybEEELb1ELb0EEENS1_16block_id_wrapperIjLb1EEEEEvT_jjPNS9_10value_typeET0_.uses_flat_scratch, 0
	.set _ZN7rocprim17ROCPRIM_400000_NS6detail30init_device_scan_by_key_kernelINS1_19lookback_scan_stateINS0_5tupleIJybEEELb1ELb0EEENS1_16block_id_wrapperIjLb1EEEEEvT_jjPNS9_10value_typeET0_.has_dyn_sized_stack, 0
	.set _ZN7rocprim17ROCPRIM_400000_NS6detail30init_device_scan_by_key_kernelINS1_19lookback_scan_stateINS0_5tupleIJybEEELb1ELb0EEENS1_16block_id_wrapperIjLb1EEEEEvT_jjPNS9_10value_typeET0_.has_recursion, 0
	.set _ZN7rocprim17ROCPRIM_400000_NS6detail30init_device_scan_by_key_kernelINS1_19lookback_scan_stateINS0_5tupleIJybEEELb1ELb0EEENS1_16block_id_wrapperIjLb1EEEEEvT_jjPNS9_10value_typeET0_.has_indirect_call, 0
	.section	.AMDGPU.csdata,"",@progbits
; Kernel info:
; codeLenInByte = 408
; TotalNumSgprs: 21
; NumVgprs: 5
; ScratchSize: 0
; MemoryBound: 0
; FloatMode: 240
; IeeeMode: 1
; LDSByteSize: 0 bytes/workgroup (compile time only)
; SGPRBlocks: 0
; VGPRBlocks: 0
; NumSGPRsForWavesPerEU: 21
; NumVGPRsForWavesPerEU: 5
; Occupancy: 16
; WaveLimiterHint : 0
; COMPUTE_PGM_RSRC2:SCRATCH_EN: 0
; COMPUTE_PGM_RSRC2:USER_SGPR: 6
; COMPUTE_PGM_RSRC2:TRAP_HANDLER: 0
; COMPUTE_PGM_RSRC2:TGID_X_EN: 1
; COMPUTE_PGM_RSRC2:TGID_Y_EN: 0
; COMPUTE_PGM_RSRC2:TGID_Z_EN: 0
; COMPUTE_PGM_RSRC2:TIDIG_COMP_CNT: 0
	.section	.text._ZN7rocprim17ROCPRIM_400000_NS6detail17trampoline_kernelINS0_14default_configENS1_27scan_by_key_config_selectorIiyEEZZNS1_16scan_by_key_implILNS1_25lookback_scan_determinismE0ELb0ES3_N6thrust23THRUST_200600_302600_NS6detail15normal_iteratorINS9_10device_ptrIiEEEENSB_INSC_IyEEEESG_yNS9_4plusIvEENS9_8equal_toIvEEyEE10hipError_tPvRmT2_T3_T4_T5_mT6_T7_P12ihipStream_tbENKUlT_T0_E_clISt17integral_constantIbLb1EES11_EEDaSW_SX_EUlSW_E_NS1_11comp_targetILNS1_3genE0ELNS1_11target_archE4294967295ELNS1_3gpuE0ELNS1_3repE0EEENS1_30default_config_static_selectorELNS0_4arch9wavefront6targetE0EEEvT1_,"axG",@progbits,_ZN7rocprim17ROCPRIM_400000_NS6detail17trampoline_kernelINS0_14default_configENS1_27scan_by_key_config_selectorIiyEEZZNS1_16scan_by_key_implILNS1_25lookback_scan_determinismE0ELb0ES3_N6thrust23THRUST_200600_302600_NS6detail15normal_iteratorINS9_10device_ptrIiEEEENSB_INSC_IyEEEESG_yNS9_4plusIvEENS9_8equal_toIvEEyEE10hipError_tPvRmT2_T3_T4_T5_mT6_T7_P12ihipStream_tbENKUlT_T0_E_clISt17integral_constantIbLb1EES11_EEDaSW_SX_EUlSW_E_NS1_11comp_targetILNS1_3genE0ELNS1_11target_archE4294967295ELNS1_3gpuE0ELNS1_3repE0EEENS1_30default_config_static_selectorELNS0_4arch9wavefront6targetE0EEEvT1_,comdat
	.protected	_ZN7rocprim17ROCPRIM_400000_NS6detail17trampoline_kernelINS0_14default_configENS1_27scan_by_key_config_selectorIiyEEZZNS1_16scan_by_key_implILNS1_25lookback_scan_determinismE0ELb0ES3_N6thrust23THRUST_200600_302600_NS6detail15normal_iteratorINS9_10device_ptrIiEEEENSB_INSC_IyEEEESG_yNS9_4plusIvEENS9_8equal_toIvEEyEE10hipError_tPvRmT2_T3_T4_T5_mT6_T7_P12ihipStream_tbENKUlT_T0_E_clISt17integral_constantIbLb1EES11_EEDaSW_SX_EUlSW_E_NS1_11comp_targetILNS1_3genE0ELNS1_11target_archE4294967295ELNS1_3gpuE0ELNS1_3repE0EEENS1_30default_config_static_selectorELNS0_4arch9wavefront6targetE0EEEvT1_ ; -- Begin function _ZN7rocprim17ROCPRIM_400000_NS6detail17trampoline_kernelINS0_14default_configENS1_27scan_by_key_config_selectorIiyEEZZNS1_16scan_by_key_implILNS1_25lookback_scan_determinismE0ELb0ES3_N6thrust23THRUST_200600_302600_NS6detail15normal_iteratorINS9_10device_ptrIiEEEENSB_INSC_IyEEEESG_yNS9_4plusIvEENS9_8equal_toIvEEyEE10hipError_tPvRmT2_T3_T4_T5_mT6_T7_P12ihipStream_tbENKUlT_T0_E_clISt17integral_constantIbLb1EES11_EEDaSW_SX_EUlSW_E_NS1_11comp_targetILNS1_3genE0ELNS1_11target_archE4294967295ELNS1_3gpuE0ELNS1_3repE0EEENS1_30default_config_static_selectorELNS0_4arch9wavefront6targetE0EEEvT1_
	.globl	_ZN7rocprim17ROCPRIM_400000_NS6detail17trampoline_kernelINS0_14default_configENS1_27scan_by_key_config_selectorIiyEEZZNS1_16scan_by_key_implILNS1_25lookback_scan_determinismE0ELb0ES3_N6thrust23THRUST_200600_302600_NS6detail15normal_iteratorINS9_10device_ptrIiEEEENSB_INSC_IyEEEESG_yNS9_4plusIvEENS9_8equal_toIvEEyEE10hipError_tPvRmT2_T3_T4_T5_mT6_T7_P12ihipStream_tbENKUlT_T0_E_clISt17integral_constantIbLb1EES11_EEDaSW_SX_EUlSW_E_NS1_11comp_targetILNS1_3genE0ELNS1_11target_archE4294967295ELNS1_3gpuE0ELNS1_3repE0EEENS1_30default_config_static_selectorELNS0_4arch9wavefront6targetE0EEEvT1_
	.p2align	8
	.type	_ZN7rocprim17ROCPRIM_400000_NS6detail17trampoline_kernelINS0_14default_configENS1_27scan_by_key_config_selectorIiyEEZZNS1_16scan_by_key_implILNS1_25lookback_scan_determinismE0ELb0ES3_N6thrust23THRUST_200600_302600_NS6detail15normal_iteratorINS9_10device_ptrIiEEEENSB_INSC_IyEEEESG_yNS9_4plusIvEENS9_8equal_toIvEEyEE10hipError_tPvRmT2_T3_T4_T5_mT6_T7_P12ihipStream_tbENKUlT_T0_E_clISt17integral_constantIbLb1EES11_EEDaSW_SX_EUlSW_E_NS1_11comp_targetILNS1_3genE0ELNS1_11target_archE4294967295ELNS1_3gpuE0ELNS1_3repE0EEENS1_30default_config_static_selectorELNS0_4arch9wavefront6targetE0EEEvT1_,@function
_ZN7rocprim17ROCPRIM_400000_NS6detail17trampoline_kernelINS0_14default_configENS1_27scan_by_key_config_selectorIiyEEZZNS1_16scan_by_key_implILNS1_25lookback_scan_determinismE0ELb0ES3_N6thrust23THRUST_200600_302600_NS6detail15normal_iteratorINS9_10device_ptrIiEEEENSB_INSC_IyEEEESG_yNS9_4plusIvEENS9_8equal_toIvEEyEE10hipError_tPvRmT2_T3_T4_T5_mT6_T7_P12ihipStream_tbENKUlT_T0_E_clISt17integral_constantIbLb1EES11_EEDaSW_SX_EUlSW_E_NS1_11comp_targetILNS1_3genE0ELNS1_11target_archE4294967295ELNS1_3gpuE0ELNS1_3repE0EEENS1_30default_config_static_selectorELNS0_4arch9wavefront6targetE0EEEvT1_: ; @_ZN7rocprim17ROCPRIM_400000_NS6detail17trampoline_kernelINS0_14default_configENS1_27scan_by_key_config_selectorIiyEEZZNS1_16scan_by_key_implILNS1_25lookback_scan_determinismE0ELb0ES3_N6thrust23THRUST_200600_302600_NS6detail15normal_iteratorINS9_10device_ptrIiEEEENSB_INSC_IyEEEESG_yNS9_4plusIvEENS9_8equal_toIvEEyEE10hipError_tPvRmT2_T3_T4_T5_mT6_T7_P12ihipStream_tbENKUlT_T0_E_clISt17integral_constantIbLb1EES11_EEDaSW_SX_EUlSW_E_NS1_11comp_targetILNS1_3genE0ELNS1_11target_archE4294967295ELNS1_3gpuE0ELNS1_3repE0EEENS1_30default_config_static_selectorELNS0_4arch9wavefront6targetE0EEEvT1_
; %bb.0:
	.section	.rodata,"a",@progbits
	.p2align	6, 0x0
	.amdhsa_kernel _ZN7rocprim17ROCPRIM_400000_NS6detail17trampoline_kernelINS0_14default_configENS1_27scan_by_key_config_selectorIiyEEZZNS1_16scan_by_key_implILNS1_25lookback_scan_determinismE0ELb0ES3_N6thrust23THRUST_200600_302600_NS6detail15normal_iteratorINS9_10device_ptrIiEEEENSB_INSC_IyEEEESG_yNS9_4plusIvEENS9_8equal_toIvEEyEE10hipError_tPvRmT2_T3_T4_T5_mT6_T7_P12ihipStream_tbENKUlT_T0_E_clISt17integral_constantIbLb1EES11_EEDaSW_SX_EUlSW_E_NS1_11comp_targetILNS1_3genE0ELNS1_11target_archE4294967295ELNS1_3gpuE0ELNS1_3repE0EEENS1_30default_config_static_selectorELNS0_4arch9wavefront6targetE0EEEvT1_
		.amdhsa_group_segment_fixed_size 0
		.amdhsa_private_segment_fixed_size 0
		.amdhsa_kernarg_size 136
		.amdhsa_user_sgpr_count 6
		.amdhsa_user_sgpr_private_segment_buffer 1
		.amdhsa_user_sgpr_dispatch_ptr 0
		.amdhsa_user_sgpr_queue_ptr 0
		.amdhsa_user_sgpr_kernarg_segment_ptr 1
		.amdhsa_user_sgpr_dispatch_id 0
		.amdhsa_user_sgpr_flat_scratch_init 0
		.amdhsa_user_sgpr_private_segment_size 0
		.amdhsa_wavefront_size32 1
		.amdhsa_uses_dynamic_stack 0
		.amdhsa_system_sgpr_private_segment_wavefront_offset 0
		.amdhsa_system_sgpr_workgroup_id_x 1
		.amdhsa_system_sgpr_workgroup_id_y 0
		.amdhsa_system_sgpr_workgroup_id_z 0
		.amdhsa_system_sgpr_workgroup_info 0
		.amdhsa_system_vgpr_workitem_id 0
		.amdhsa_next_free_vgpr 1
		.amdhsa_next_free_sgpr 1
		.amdhsa_reserve_vcc 0
		.amdhsa_reserve_flat_scratch 0
		.amdhsa_float_round_mode_32 0
		.amdhsa_float_round_mode_16_64 0
		.amdhsa_float_denorm_mode_32 3
		.amdhsa_float_denorm_mode_16_64 3
		.amdhsa_dx10_clamp 1
		.amdhsa_ieee_mode 1
		.amdhsa_fp16_overflow 0
		.amdhsa_workgroup_processor_mode 1
		.amdhsa_memory_ordered 1
		.amdhsa_forward_progress 1
		.amdhsa_shared_vgpr_count 0
		.amdhsa_exception_fp_ieee_invalid_op 0
		.amdhsa_exception_fp_denorm_src 0
		.amdhsa_exception_fp_ieee_div_zero 0
		.amdhsa_exception_fp_ieee_overflow 0
		.amdhsa_exception_fp_ieee_underflow 0
		.amdhsa_exception_fp_ieee_inexact 0
		.amdhsa_exception_int_div_zero 0
	.end_amdhsa_kernel
	.section	.text._ZN7rocprim17ROCPRIM_400000_NS6detail17trampoline_kernelINS0_14default_configENS1_27scan_by_key_config_selectorIiyEEZZNS1_16scan_by_key_implILNS1_25lookback_scan_determinismE0ELb0ES3_N6thrust23THRUST_200600_302600_NS6detail15normal_iteratorINS9_10device_ptrIiEEEENSB_INSC_IyEEEESG_yNS9_4plusIvEENS9_8equal_toIvEEyEE10hipError_tPvRmT2_T3_T4_T5_mT6_T7_P12ihipStream_tbENKUlT_T0_E_clISt17integral_constantIbLb1EES11_EEDaSW_SX_EUlSW_E_NS1_11comp_targetILNS1_3genE0ELNS1_11target_archE4294967295ELNS1_3gpuE0ELNS1_3repE0EEENS1_30default_config_static_selectorELNS0_4arch9wavefront6targetE0EEEvT1_,"axG",@progbits,_ZN7rocprim17ROCPRIM_400000_NS6detail17trampoline_kernelINS0_14default_configENS1_27scan_by_key_config_selectorIiyEEZZNS1_16scan_by_key_implILNS1_25lookback_scan_determinismE0ELb0ES3_N6thrust23THRUST_200600_302600_NS6detail15normal_iteratorINS9_10device_ptrIiEEEENSB_INSC_IyEEEESG_yNS9_4plusIvEENS9_8equal_toIvEEyEE10hipError_tPvRmT2_T3_T4_T5_mT6_T7_P12ihipStream_tbENKUlT_T0_E_clISt17integral_constantIbLb1EES11_EEDaSW_SX_EUlSW_E_NS1_11comp_targetILNS1_3genE0ELNS1_11target_archE4294967295ELNS1_3gpuE0ELNS1_3repE0EEENS1_30default_config_static_selectorELNS0_4arch9wavefront6targetE0EEEvT1_,comdat
.Lfunc_end1187:
	.size	_ZN7rocprim17ROCPRIM_400000_NS6detail17trampoline_kernelINS0_14default_configENS1_27scan_by_key_config_selectorIiyEEZZNS1_16scan_by_key_implILNS1_25lookback_scan_determinismE0ELb0ES3_N6thrust23THRUST_200600_302600_NS6detail15normal_iteratorINS9_10device_ptrIiEEEENSB_INSC_IyEEEESG_yNS9_4plusIvEENS9_8equal_toIvEEyEE10hipError_tPvRmT2_T3_T4_T5_mT6_T7_P12ihipStream_tbENKUlT_T0_E_clISt17integral_constantIbLb1EES11_EEDaSW_SX_EUlSW_E_NS1_11comp_targetILNS1_3genE0ELNS1_11target_archE4294967295ELNS1_3gpuE0ELNS1_3repE0EEENS1_30default_config_static_selectorELNS0_4arch9wavefront6targetE0EEEvT1_, .Lfunc_end1187-_ZN7rocprim17ROCPRIM_400000_NS6detail17trampoline_kernelINS0_14default_configENS1_27scan_by_key_config_selectorIiyEEZZNS1_16scan_by_key_implILNS1_25lookback_scan_determinismE0ELb0ES3_N6thrust23THRUST_200600_302600_NS6detail15normal_iteratorINS9_10device_ptrIiEEEENSB_INSC_IyEEEESG_yNS9_4plusIvEENS9_8equal_toIvEEyEE10hipError_tPvRmT2_T3_T4_T5_mT6_T7_P12ihipStream_tbENKUlT_T0_E_clISt17integral_constantIbLb1EES11_EEDaSW_SX_EUlSW_E_NS1_11comp_targetILNS1_3genE0ELNS1_11target_archE4294967295ELNS1_3gpuE0ELNS1_3repE0EEENS1_30default_config_static_selectorELNS0_4arch9wavefront6targetE0EEEvT1_
                                        ; -- End function
	.set _ZN7rocprim17ROCPRIM_400000_NS6detail17trampoline_kernelINS0_14default_configENS1_27scan_by_key_config_selectorIiyEEZZNS1_16scan_by_key_implILNS1_25lookback_scan_determinismE0ELb0ES3_N6thrust23THRUST_200600_302600_NS6detail15normal_iteratorINS9_10device_ptrIiEEEENSB_INSC_IyEEEESG_yNS9_4plusIvEENS9_8equal_toIvEEyEE10hipError_tPvRmT2_T3_T4_T5_mT6_T7_P12ihipStream_tbENKUlT_T0_E_clISt17integral_constantIbLb1EES11_EEDaSW_SX_EUlSW_E_NS1_11comp_targetILNS1_3genE0ELNS1_11target_archE4294967295ELNS1_3gpuE0ELNS1_3repE0EEENS1_30default_config_static_selectorELNS0_4arch9wavefront6targetE0EEEvT1_.num_vgpr, 0
	.set _ZN7rocprim17ROCPRIM_400000_NS6detail17trampoline_kernelINS0_14default_configENS1_27scan_by_key_config_selectorIiyEEZZNS1_16scan_by_key_implILNS1_25lookback_scan_determinismE0ELb0ES3_N6thrust23THRUST_200600_302600_NS6detail15normal_iteratorINS9_10device_ptrIiEEEENSB_INSC_IyEEEESG_yNS9_4plusIvEENS9_8equal_toIvEEyEE10hipError_tPvRmT2_T3_T4_T5_mT6_T7_P12ihipStream_tbENKUlT_T0_E_clISt17integral_constantIbLb1EES11_EEDaSW_SX_EUlSW_E_NS1_11comp_targetILNS1_3genE0ELNS1_11target_archE4294967295ELNS1_3gpuE0ELNS1_3repE0EEENS1_30default_config_static_selectorELNS0_4arch9wavefront6targetE0EEEvT1_.num_agpr, 0
	.set _ZN7rocprim17ROCPRIM_400000_NS6detail17trampoline_kernelINS0_14default_configENS1_27scan_by_key_config_selectorIiyEEZZNS1_16scan_by_key_implILNS1_25lookback_scan_determinismE0ELb0ES3_N6thrust23THRUST_200600_302600_NS6detail15normal_iteratorINS9_10device_ptrIiEEEENSB_INSC_IyEEEESG_yNS9_4plusIvEENS9_8equal_toIvEEyEE10hipError_tPvRmT2_T3_T4_T5_mT6_T7_P12ihipStream_tbENKUlT_T0_E_clISt17integral_constantIbLb1EES11_EEDaSW_SX_EUlSW_E_NS1_11comp_targetILNS1_3genE0ELNS1_11target_archE4294967295ELNS1_3gpuE0ELNS1_3repE0EEENS1_30default_config_static_selectorELNS0_4arch9wavefront6targetE0EEEvT1_.numbered_sgpr, 0
	.set _ZN7rocprim17ROCPRIM_400000_NS6detail17trampoline_kernelINS0_14default_configENS1_27scan_by_key_config_selectorIiyEEZZNS1_16scan_by_key_implILNS1_25lookback_scan_determinismE0ELb0ES3_N6thrust23THRUST_200600_302600_NS6detail15normal_iteratorINS9_10device_ptrIiEEEENSB_INSC_IyEEEESG_yNS9_4plusIvEENS9_8equal_toIvEEyEE10hipError_tPvRmT2_T3_T4_T5_mT6_T7_P12ihipStream_tbENKUlT_T0_E_clISt17integral_constantIbLb1EES11_EEDaSW_SX_EUlSW_E_NS1_11comp_targetILNS1_3genE0ELNS1_11target_archE4294967295ELNS1_3gpuE0ELNS1_3repE0EEENS1_30default_config_static_selectorELNS0_4arch9wavefront6targetE0EEEvT1_.num_named_barrier, 0
	.set _ZN7rocprim17ROCPRIM_400000_NS6detail17trampoline_kernelINS0_14default_configENS1_27scan_by_key_config_selectorIiyEEZZNS1_16scan_by_key_implILNS1_25lookback_scan_determinismE0ELb0ES3_N6thrust23THRUST_200600_302600_NS6detail15normal_iteratorINS9_10device_ptrIiEEEENSB_INSC_IyEEEESG_yNS9_4plusIvEENS9_8equal_toIvEEyEE10hipError_tPvRmT2_T3_T4_T5_mT6_T7_P12ihipStream_tbENKUlT_T0_E_clISt17integral_constantIbLb1EES11_EEDaSW_SX_EUlSW_E_NS1_11comp_targetILNS1_3genE0ELNS1_11target_archE4294967295ELNS1_3gpuE0ELNS1_3repE0EEENS1_30default_config_static_selectorELNS0_4arch9wavefront6targetE0EEEvT1_.private_seg_size, 0
	.set _ZN7rocprim17ROCPRIM_400000_NS6detail17trampoline_kernelINS0_14default_configENS1_27scan_by_key_config_selectorIiyEEZZNS1_16scan_by_key_implILNS1_25lookback_scan_determinismE0ELb0ES3_N6thrust23THRUST_200600_302600_NS6detail15normal_iteratorINS9_10device_ptrIiEEEENSB_INSC_IyEEEESG_yNS9_4plusIvEENS9_8equal_toIvEEyEE10hipError_tPvRmT2_T3_T4_T5_mT6_T7_P12ihipStream_tbENKUlT_T0_E_clISt17integral_constantIbLb1EES11_EEDaSW_SX_EUlSW_E_NS1_11comp_targetILNS1_3genE0ELNS1_11target_archE4294967295ELNS1_3gpuE0ELNS1_3repE0EEENS1_30default_config_static_selectorELNS0_4arch9wavefront6targetE0EEEvT1_.uses_vcc, 0
	.set _ZN7rocprim17ROCPRIM_400000_NS6detail17trampoline_kernelINS0_14default_configENS1_27scan_by_key_config_selectorIiyEEZZNS1_16scan_by_key_implILNS1_25lookback_scan_determinismE0ELb0ES3_N6thrust23THRUST_200600_302600_NS6detail15normal_iteratorINS9_10device_ptrIiEEEENSB_INSC_IyEEEESG_yNS9_4plusIvEENS9_8equal_toIvEEyEE10hipError_tPvRmT2_T3_T4_T5_mT6_T7_P12ihipStream_tbENKUlT_T0_E_clISt17integral_constantIbLb1EES11_EEDaSW_SX_EUlSW_E_NS1_11comp_targetILNS1_3genE0ELNS1_11target_archE4294967295ELNS1_3gpuE0ELNS1_3repE0EEENS1_30default_config_static_selectorELNS0_4arch9wavefront6targetE0EEEvT1_.uses_flat_scratch, 0
	.set _ZN7rocprim17ROCPRIM_400000_NS6detail17trampoline_kernelINS0_14default_configENS1_27scan_by_key_config_selectorIiyEEZZNS1_16scan_by_key_implILNS1_25lookback_scan_determinismE0ELb0ES3_N6thrust23THRUST_200600_302600_NS6detail15normal_iteratorINS9_10device_ptrIiEEEENSB_INSC_IyEEEESG_yNS9_4plusIvEENS9_8equal_toIvEEyEE10hipError_tPvRmT2_T3_T4_T5_mT6_T7_P12ihipStream_tbENKUlT_T0_E_clISt17integral_constantIbLb1EES11_EEDaSW_SX_EUlSW_E_NS1_11comp_targetILNS1_3genE0ELNS1_11target_archE4294967295ELNS1_3gpuE0ELNS1_3repE0EEENS1_30default_config_static_selectorELNS0_4arch9wavefront6targetE0EEEvT1_.has_dyn_sized_stack, 0
	.set _ZN7rocprim17ROCPRIM_400000_NS6detail17trampoline_kernelINS0_14default_configENS1_27scan_by_key_config_selectorIiyEEZZNS1_16scan_by_key_implILNS1_25lookback_scan_determinismE0ELb0ES3_N6thrust23THRUST_200600_302600_NS6detail15normal_iteratorINS9_10device_ptrIiEEEENSB_INSC_IyEEEESG_yNS9_4plusIvEENS9_8equal_toIvEEyEE10hipError_tPvRmT2_T3_T4_T5_mT6_T7_P12ihipStream_tbENKUlT_T0_E_clISt17integral_constantIbLb1EES11_EEDaSW_SX_EUlSW_E_NS1_11comp_targetILNS1_3genE0ELNS1_11target_archE4294967295ELNS1_3gpuE0ELNS1_3repE0EEENS1_30default_config_static_selectorELNS0_4arch9wavefront6targetE0EEEvT1_.has_recursion, 0
	.set _ZN7rocprim17ROCPRIM_400000_NS6detail17trampoline_kernelINS0_14default_configENS1_27scan_by_key_config_selectorIiyEEZZNS1_16scan_by_key_implILNS1_25lookback_scan_determinismE0ELb0ES3_N6thrust23THRUST_200600_302600_NS6detail15normal_iteratorINS9_10device_ptrIiEEEENSB_INSC_IyEEEESG_yNS9_4plusIvEENS9_8equal_toIvEEyEE10hipError_tPvRmT2_T3_T4_T5_mT6_T7_P12ihipStream_tbENKUlT_T0_E_clISt17integral_constantIbLb1EES11_EEDaSW_SX_EUlSW_E_NS1_11comp_targetILNS1_3genE0ELNS1_11target_archE4294967295ELNS1_3gpuE0ELNS1_3repE0EEENS1_30default_config_static_selectorELNS0_4arch9wavefront6targetE0EEEvT1_.has_indirect_call, 0
	.section	.AMDGPU.csdata,"",@progbits
; Kernel info:
; codeLenInByte = 0
; TotalNumSgprs: 0
; NumVgprs: 0
; ScratchSize: 0
; MemoryBound: 0
; FloatMode: 240
; IeeeMode: 1
; LDSByteSize: 0 bytes/workgroup (compile time only)
; SGPRBlocks: 0
; VGPRBlocks: 0
; NumSGPRsForWavesPerEU: 1
; NumVGPRsForWavesPerEU: 1
; Occupancy: 16
; WaveLimiterHint : 0
; COMPUTE_PGM_RSRC2:SCRATCH_EN: 0
; COMPUTE_PGM_RSRC2:USER_SGPR: 6
; COMPUTE_PGM_RSRC2:TRAP_HANDLER: 0
; COMPUTE_PGM_RSRC2:TGID_X_EN: 1
; COMPUTE_PGM_RSRC2:TGID_Y_EN: 0
; COMPUTE_PGM_RSRC2:TGID_Z_EN: 0
; COMPUTE_PGM_RSRC2:TIDIG_COMP_CNT: 0
	.section	.text._ZN7rocprim17ROCPRIM_400000_NS6detail17trampoline_kernelINS0_14default_configENS1_27scan_by_key_config_selectorIiyEEZZNS1_16scan_by_key_implILNS1_25lookback_scan_determinismE0ELb0ES3_N6thrust23THRUST_200600_302600_NS6detail15normal_iteratorINS9_10device_ptrIiEEEENSB_INSC_IyEEEESG_yNS9_4plusIvEENS9_8equal_toIvEEyEE10hipError_tPvRmT2_T3_T4_T5_mT6_T7_P12ihipStream_tbENKUlT_T0_E_clISt17integral_constantIbLb1EES11_EEDaSW_SX_EUlSW_E_NS1_11comp_targetILNS1_3genE10ELNS1_11target_archE1201ELNS1_3gpuE5ELNS1_3repE0EEENS1_30default_config_static_selectorELNS0_4arch9wavefront6targetE0EEEvT1_,"axG",@progbits,_ZN7rocprim17ROCPRIM_400000_NS6detail17trampoline_kernelINS0_14default_configENS1_27scan_by_key_config_selectorIiyEEZZNS1_16scan_by_key_implILNS1_25lookback_scan_determinismE0ELb0ES3_N6thrust23THRUST_200600_302600_NS6detail15normal_iteratorINS9_10device_ptrIiEEEENSB_INSC_IyEEEESG_yNS9_4plusIvEENS9_8equal_toIvEEyEE10hipError_tPvRmT2_T3_T4_T5_mT6_T7_P12ihipStream_tbENKUlT_T0_E_clISt17integral_constantIbLb1EES11_EEDaSW_SX_EUlSW_E_NS1_11comp_targetILNS1_3genE10ELNS1_11target_archE1201ELNS1_3gpuE5ELNS1_3repE0EEENS1_30default_config_static_selectorELNS0_4arch9wavefront6targetE0EEEvT1_,comdat
	.protected	_ZN7rocprim17ROCPRIM_400000_NS6detail17trampoline_kernelINS0_14default_configENS1_27scan_by_key_config_selectorIiyEEZZNS1_16scan_by_key_implILNS1_25lookback_scan_determinismE0ELb0ES3_N6thrust23THRUST_200600_302600_NS6detail15normal_iteratorINS9_10device_ptrIiEEEENSB_INSC_IyEEEESG_yNS9_4plusIvEENS9_8equal_toIvEEyEE10hipError_tPvRmT2_T3_T4_T5_mT6_T7_P12ihipStream_tbENKUlT_T0_E_clISt17integral_constantIbLb1EES11_EEDaSW_SX_EUlSW_E_NS1_11comp_targetILNS1_3genE10ELNS1_11target_archE1201ELNS1_3gpuE5ELNS1_3repE0EEENS1_30default_config_static_selectorELNS0_4arch9wavefront6targetE0EEEvT1_ ; -- Begin function _ZN7rocprim17ROCPRIM_400000_NS6detail17trampoline_kernelINS0_14default_configENS1_27scan_by_key_config_selectorIiyEEZZNS1_16scan_by_key_implILNS1_25lookback_scan_determinismE0ELb0ES3_N6thrust23THRUST_200600_302600_NS6detail15normal_iteratorINS9_10device_ptrIiEEEENSB_INSC_IyEEEESG_yNS9_4plusIvEENS9_8equal_toIvEEyEE10hipError_tPvRmT2_T3_T4_T5_mT6_T7_P12ihipStream_tbENKUlT_T0_E_clISt17integral_constantIbLb1EES11_EEDaSW_SX_EUlSW_E_NS1_11comp_targetILNS1_3genE10ELNS1_11target_archE1201ELNS1_3gpuE5ELNS1_3repE0EEENS1_30default_config_static_selectorELNS0_4arch9wavefront6targetE0EEEvT1_
	.globl	_ZN7rocprim17ROCPRIM_400000_NS6detail17trampoline_kernelINS0_14default_configENS1_27scan_by_key_config_selectorIiyEEZZNS1_16scan_by_key_implILNS1_25lookback_scan_determinismE0ELb0ES3_N6thrust23THRUST_200600_302600_NS6detail15normal_iteratorINS9_10device_ptrIiEEEENSB_INSC_IyEEEESG_yNS9_4plusIvEENS9_8equal_toIvEEyEE10hipError_tPvRmT2_T3_T4_T5_mT6_T7_P12ihipStream_tbENKUlT_T0_E_clISt17integral_constantIbLb1EES11_EEDaSW_SX_EUlSW_E_NS1_11comp_targetILNS1_3genE10ELNS1_11target_archE1201ELNS1_3gpuE5ELNS1_3repE0EEENS1_30default_config_static_selectorELNS0_4arch9wavefront6targetE0EEEvT1_
	.p2align	8
	.type	_ZN7rocprim17ROCPRIM_400000_NS6detail17trampoline_kernelINS0_14default_configENS1_27scan_by_key_config_selectorIiyEEZZNS1_16scan_by_key_implILNS1_25lookback_scan_determinismE0ELb0ES3_N6thrust23THRUST_200600_302600_NS6detail15normal_iteratorINS9_10device_ptrIiEEEENSB_INSC_IyEEEESG_yNS9_4plusIvEENS9_8equal_toIvEEyEE10hipError_tPvRmT2_T3_T4_T5_mT6_T7_P12ihipStream_tbENKUlT_T0_E_clISt17integral_constantIbLb1EES11_EEDaSW_SX_EUlSW_E_NS1_11comp_targetILNS1_3genE10ELNS1_11target_archE1201ELNS1_3gpuE5ELNS1_3repE0EEENS1_30default_config_static_selectorELNS0_4arch9wavefront6targetE0EEEvT1_,@function
_ZN7rocprim17ROCPRIM_400000_NS6detail17trampoline_kernelINS0_14default_configENS1_27scan_by_key_config_selectorIiyEEZZNS1_16scan_by_key_implILNS1_25lookback_scan_determinismE0ELb0ES3_N6thrust23THRUST_200600_302600_NS6detail15normal_iteratorINS9_10device_ptrIiEEEENSB_INSC_IyEEEESG_yNS9_4plusIvEENS9_8equal_toIvEEyEE10hipError_tPvRmT2_T3_T4_T5_mT6_T7_P12ihipStream_tbENKUlT_T0_E_clISt17integral_constantIbLb1EES11_EEDaSW_SX_EUlSW_E_NS1_11comp_targetILNS1_3genE10ELNS1_11target_archE1201ELNS1_3gpuE5ELNS1_3repE0EEENS1_30default_config_static_selectorELNS0_4arch9wavefront6targetE0EEEvT1_: ; @_ZN7rocprim17ROCPRIM_400000_NS6detail17trampoline_kernelINS0_14default_configENS1_27scan_by_key_config_selectorIiyEEZZNS1_16scan_by_key_implILNS1_25lookback_scan_determinismE0ELb0ES3_N6thrust23THRUST_200600_302600_NS6detail15normal_iteratorINS9_10device_ptrIiEEEENSB_INSC_IyEEEESG_yNS9_4plusIvEENS9_8equal_toIvEEyEE10hipError_tPvRmT2_T3_T4_T5_mT6_T7_P12ihipStream_tbENKUlT_T0_E_clISt17integral_constantIbLb1EES11_EEDaSW_SX_EUlSW_E_NS1_11comp_targetILNS1_3genE10ELNS1_11target_archE1201ELNS1_3gpuE5ELNS1_3repE0EEENS1_30default_config_static_selectorELNS0_4arch9wavefront6targetE0EEEvT1_
; %bb.0:
	.section	.rodata,"a",@progbits
	.p2align	6, 0x0
	.amdhsa_kernel _ZN7rocprim17ROCPRIM_400000_NS6detail17trampoline_kernelINS0_14default_configENS1_27scan_by_key_config_selectorIiyEEZZNS1_16scan_by_key_implILNS1_25lookback_scan_determinismE0ELb0ES3_N6thrust23THRUST_200600_302600_NS6detail15normal_iteratorINS9_10device_ptrIiEEEENSB_INSC_IyEEEESG_yNS9_4plusIvEENS9_8equal_toIvEEyEE10hipError_tPvRmT2_T3_T4_T5_mT6_T7_P12ihipStream_tbENKUlT_T0_E_clISt17integral_constantIbLb1EES11_EEDaSW_SX_EUlSW_E_NS1_11comp_targetILNS1_3genE10ELNS1_11target_archE1201ELNS1_3gpuE5ELNS1_3repE0EEENS1_30default_config_static_selectorELNS0_4arch9wavefront6targetE0EEEvT1_
		.amdhsa_group_segment_fixed_size 0
		.amdhsa_private_segment_fixed_size 0
		.amdhsa_kernarg_size 136
		.amdhsa_user_sgpr_count 6
		.amdhsa_user_sgpr_private_segment_buffer 1
		.amdhsa_user_sgpr_dispatch_ptr 0
		.amdhsa_user_sgpr_queue_ptr 0
		.amdhsa_user_sgpr_kernarg_segment_ptr 1
		.amdhsa_user_sgpr_dispatch_id 0
		.amdhsa_user_sgpr_flat_scratch_init 0
		.amdhsa_user_sgpr_private_segment_size 0
		.amdhsa_wavefront_size32 1
		.amdhsa_uses_dynamic_stack 0
		.amdhsa_system_sgpr_private_segment_wavefront_offset 0
		.amdhsa_system_sgpr_workgroup_id_x 1
		.amdhsa_system_sgpr_workgroup_id_y 0
		.amdhsa_system_sgpr_workgroup_id_z 0
		.amdhsa_system_sgpr_workgroup_info 0
		.amdhsa_system_vgpr_workitem_id 0
		.amdhsa_next_free_vgpr 1
		.amdhsa_next_free_sgpr 1
		.amdhsa_reserve_vcc 0
		.amdhsa_reserve_flat_scratch 0
		.amdhsa_float_round_mode_32 0
		.amdhsa_float_round_mode_16_64 0
		.amdhsa_float_denorm_mode_32 3
		.amdhsa_float_denorm_mode_16_64 3
		.amdhsa_dx10_clamp 1
		.amdhsa_ieee_mode 1
		.amdhsa_fp16_overflow 0
		.amdhsa_workgroup_processor_mode 1
		.amdhsa_memory_ordered 1
		.amdhsa_forward_progress 1
		.amdhsa_shared_vgpr_count 0
		.amdhsa_exception_fp_ieee_invalid_op 0
		.amdhsa_exception_fp_denorm_src 0
		.amdhsa_exception_fp_ieee_div_zero 0
		.amdhsa_exception_fp_ieee_overflow 0
		.amdhsa_exception_fp_ieee_underflow 0
		.amdhsa_exception_fp_ieee_inexact 0
		.amdhsa_exception_int_div_zero 0
	.end_amdhsa_kernel
	.section	.text._ZN7rocprim17ROCPRIM_400000_NS6detail17trampoline_kernelINS0_14default_configENS1_27scan_by_key_config_selectorIiyEEZZNS1_16scan_by_key_implILNS1_25lookback_scan_determinismE0ELb0ES3_N6thrust23THRUST_200600_302600_NS6detail15normal_iteratorINS9_10device_ptrIiEEEENSB_INSC_IyEEEESG_yNS9_4plusIvEENS9_8equal_toIvEEyEE10hipError_tPvRmT2_T3_T4_T5_mT6_T7_P12ihipStream_tbENKUlT_T0_E_clISt17integral_constantIbLb1EES11_EEDaSW_SX_EUlSW_E_NS1_11comp_targetILNS1_3genE10ELNS1_11target_archE1201ELNS1_3gpuE5ELNS1_3repE0EEENS1_30default_config_static_selectorELNS0_4arch9wavefront6targetE0EEEvT1_,"axG",@progbits,_ZN7rocprim17ROCPRIM_400000_NS6detail17trampoline_kernelINS0_14default_configENS1_27scan_by_key_config_selectorIiyEEZZNS1_16scan_by_key_implILNS1_25lookback_scan_determinismE0ELb0ES3_N6thrust23THRUST_200600_302600_NS6detail15normal_iteratorINS9_10device_ptrIiEEEENSB_INSC_IyEEEESG_yNS9_4plusIvEENS9_8equal_toIvEEyEE10hipError_tPvRmT2_T3_T4_T5_mT6_T7_P12ihipStream_tbENKUlT_T0_E_clISt17integral_constantIbLb1EES11_EEDaSW_SX_EUlSW_E_NS1_11comp_targetILNS1_3genE10ELNS1_11target_archE1201ELNS1_3gpuE5ELNS1_3repE0EEENS1_30default_config_static_selectorELNS0_4arch9wavefront6targetE0EEEvT1_,comdat
.Lfunc_end1188:
	.size	_ZN7rocprim17ROCPRIM_400000_NS6detail17trampoline_kernelINS0_14default_configENS1_27scan_by_key_config_selectorIiyEEZZNS1_16scan_by_key_implILNS1_25lookback_scan_determinismE0ELb0ES3_N6thrust23THRUST_200600_302600_NS6detail15normal_iteratorINS9_10device_ptrIiEEEENSB_INSC_IyEEEESG_yNS9_4plusIvEENS9_8equal_toIvEEyEE10hipError_tPvRmT2_T3_T4_T5_mT6_T7_P12ihipStream_tbENKUlT_T0_E_clISt17integral_constantIbLb1EES11_EEDaSW_SX_EUlSW_E_NS1_11comp_targetILNS1_3genE10ELNS1_11target_archE1201ELNS1_3gpuE5ELNS1_3repE0EEENS1_30default_config_static_selectorELNS0_4arch9wavefront6targetE0EEEvT1_, .Lfunc_end1188-_ZN7rocprim17ROCPRIM_400000_NS6detail17trampoline_kernelINS0_14default_configENS1_27scan_by_key_config_selectorIiyEEZZNS1_16scan_by_key_implILNS1_25lookback_scan_determinismE0ELb0ES3_N6thrust23THRUST_200600_302600_NS6detail15normal_iteratorINS9_10device_ptrIiEEEENSB_INSC_IyEEEESG_yNS9_4plusIvEENS9_8equal_toIvEEyEE10hipError_tPvRmT2_T3_T4_T5_mT6_T7_P12ihipStream_tbENKUlT_T0_E_clISt17integral_constantIbLb1EES11_EEDaSW_SX_EUlSW_E_NS1_11comp_targetILNS1_3genE10ELNS1_11target_archE1201ELNS1_3gpuE5ELNS1_3repE0EEENS1_30default_config_static_selectorELNS0_4arch9wavefront6targetE0EEEvT1_
                                        ; -- End function
	.set _ZN7rocprim17ROCPRIM_400000_NS6detail17trampoline_kernelINS0_14default_configENS1_27scan_by_key_config_selectorIiyEEZZNS1_16scan_by_key_implILNS1_25lookback_scan_determinismE0ELb0ES3_N6thrust23THRUST_200600_302600_NS6detail15normal_iteratorINS9_10device_ptrIiEEEENSB_INSC_IyEEEESG_yNS9_4plusIvEENS9_8equal_toIvEEyEE10hipError_tPvRmT2_T3_T4_T5_mT6_T7_P12ihipStream_tbENKUlT_T0_E_clISt17integral_constantIbLb1EES11_EEDaSW_SX_EUlSW_E_NS1_11comp_targetILNS1_3genE10ELNS1_11target_archE1201ELNS1_3gpuE5ELNS1_3repE0EEENS1_30default_config_static_selectorELNS0_4arch9wavefront6targetE0EEEvT1_.num_vgpr, 0
	.set _ZN7rocprim17ROCPRIM_400000_NS6detail17trampoline_kernelINS0_14default_configENS1_27scan_by_key_config_selectorIiyEEZZNS1_16scan_by_key_implILNS1_25lookback_scan_determinismE0ELb0ES3_N6thrust23THRUST_200600_302600_NS6detail15normal_iteratorINS9_10device_ptrIiEEEENSB_INSC_IyEEEESG_yNS9_4plusIvEENS9_8equal_toIvEEyEE10hipError_tPvRmT2_T3_T4_T5_mT6_T7_P12ihipStream_tbENKUlT_T0_E_clISt17integral_constantIbLb1EES11_EEDaSW_SX_EUlSW_E_NS1_11comp_targetILNS1_3genE10ELNS1_11target_archE1201ELNS1_3gpuE5ELNS1_3repE0EEENS1_30default_config_static_selectorELNS0_4arch9wavefront6targetE0EEEvT1_.num_agpr, 0
	.set _ZN7rocprim17ROCPRIM_400000_NS6detail17trampoline_kernelINS0_14default_configENS1_27scan_by_key_config_selectorIiyEEZZNS1_16scan_by_key_implILNS1_25lookback_scan_determinismE0ELb0ES3_N6thrust23THRUST_200600_302600_NS6detail15normal_iteratorINS9_10device_ptrIiEEEENSB_INSC_IyEEEESG_yNS9_4plusIvEENS9_8equal_toIvEEyEE10hipError_tPvRmT2_T3_T4_T5_mT6_T7_P12ihipStream_tbENKUlT_T0_E_clISt17integral_constantIbLb1EES11_EEDaSW_SX_EUlSW_E_NS1_11comp_targetILNS1_3genE10ELNS1_11target_archE1201ELNS1_3gpuE5ELNS1_3repE0EEENS1_30default_config_static_selectorELNS0_4arch9wavefront6targetE0EEEvT1_.numbered_sgpr, 0
	.set _ZN7rocprim17ROCPRIM_400000_NS6detail17trampoline_kernelINS0_14default_configENS1_27scan_by_key_config_selectorIiyEEZZNS1_16scan_by_key_implILNS1_25lookback_scan_determinismE0ELb0ES3_N6thrust23THRUST_200600_302600_NS6detail15normal_iteratorINS9_10device_ptrIiEEEENSB_INSC_IyEEEESG_yNS9_4plusIvEENS9_8equal_toIvEEyEE10hipError_tPvRmT2_T3_T4_T5_mT6_T7_P12ihipStream_tbENKUlT_T0_E_clISt17integral_constantIbLb1EES11_EEDaSW_SX_EUlSW_E_NS1_11comp_targetILNS1_3genE10ELNS1_11target_archE1201ELNS1_3gpuE5ELNS1_3repE0EEENS1_30default_config_static_selectorELNS0_4arch9wavefront6targetE0EEEvT1_.num_named_barrier, 0
	.set _ZN7rocprim17ROCPRIM_400000_NS6detail17trampoline_kernelINS0_14default_configENS1_27scan_by_key_config_selectorIiyEEZZNS1_16scan_by_key_implILNS1_25lookback_scan_determinismE0ELb0ES3_N6thrust23THRUST_200600_302600_NS6detail15normal_iteratorINS9_10device_ptrIiEEEENSB_INSC_IyEEEESG_yNS9_4plusIvEENS9_8equal_toIvEEyEE10hipError_tPvRmT2_T3_T4_T5_mT6_T7_P12ihipStream_tbENKUlT_T0_E_clISt17integral_constantIbLb1EES11_EEDaSW_SX_EUlSW_E_NS1_11comp_targetILNS1_3genE10ELNS1_11target_archE1201ELNS1_3gpuE5ELNS1_3repE0EEENS1_30default_config_static_selectorELNS0_4arch9wavefront6targetE0EEEvT1_.private_seg_size, 0
	.set _ZN7rocprim17ROCPRIM_400000_NS6detail17trampoline_kernelINS0_14default_configENS1_27scan_by_key_config_selectorIiyEEZZNS1_16scan_by_key_implILNS1_25lookback_scan_determinismE0ELb0ES3_N6thrust23THRUST_200600_302600_NS6detail15normal_iteratorINS9_10device_ptrIiEEEENSB_INSC_IyEEEESG_yNS9_4plusIvEENS9_8equal_toIvEEyEE10hipError_tPvRmT2_T3_T4_T5_mT6_T7_P12ihipStream_tbENKUlT_T0_E_clISt17integral_constantIbLb1EES11_EEDaSW_SX_EUlSW_E_NS1_11comp_targetILNS1_3genE10ELNS1_11target_archE1201ELNS1_3gpuE5ELNS1_3repE0EEENS1_30default_config_static_selectorELNS0_4arch9wavefront6targetE0EEEvT1_.uses_vcc, 0
	.set _ZN7rocprim17ROCPRIM_400000_NS6detail17trampoline_kernelINS0_14default_configENS1_27scan_by_key_config_selectorIiyEEZZNS1_16scan_by_key_implILNS1_25lookback_scan_determinismE0ELb0ES3_N6thrust23THRUST_200600_302600_NS6detail15normal_iteratorINS9_10device_ptrIiEEEENSB_INSC_IyEEEESG_yNS9_4plusIvEENS9_8equal_toIvEEyEE10hipError_tPvRmT2_T3_T4_T5_mT6_T7_P12ihipStream_tbENKUlT_T0_E_clISt17integral_constantIbLb1EES11_EEDaSW_SX_EUlSW_E_NS1_11comp_targetILNS1_3genE10ELNS1_11target_archE1201ELNS1_3gpuE5ELNS1_3repE0EEENS1_30default_config_static_selectorELNS0_4arch9wavefront6targetE0EEEvT1_.uses_flat_scratch, 0
	.set _ZN7rocprim17ROCPRIM_400000_NS6detail17trampoline_kernelINS0_14default_configENS1_27scan_by_key_config_selectorIiyEEZZNS1_16scan_by_key_implILNS1_25lookback_scan_determinismE0ELb0ES3_N6thrust23THRUST_200600_302600_NS6detail15normal_iteratorINS9_10device_ptrIiEEEENSB_INSC_IyEEEESG_yNS9_4plusIvEENS9_8equal_toIvEEyEE10hipError_tPvRmT2_T3_T4_T5_mT6_T7_P12ihipStream_tbENKUlT_T0_E_clISt17integral_constantIbLb1EES11_EEDaSW_SX_EUlSW_E_NS1_11comp_targetILNS1_3genE10ELNS1_11target_archE1201ELNS1_3gpuE5ELNS1_3repE0EEENS1_30default_config_static_selectorELNS0_4arch9wavefront6targetE0EEEvT1_.has_dyn_sized_stack, 0
	.set _ZN7rocprim17ROCPRIM_400000_NS6detail17trampoline_kernelINS0_14default_configENS1_27scan_by_key_config_selectorIiyEEZZNS1_16scan_by_key_implILNS1_25lookback_scan_determinismE0ELb0ES3_N6thrust23THRUST_200600_302600_NS6detail15normal_iteratorINS9_10device_ptrIiEEEENSB_INSC_IyEEEESG_yNS9_4plusIvEENS9_8equal_toIvEEyEE10hipError_tPvRmT2_T3_T4_T5_mT6_T7_P12ihipStream_tbENKUlT_T0_E_clISt17integral_constantIbLb1EES11_EEDaSW_SX_EUlSW_E_NS1_11comp_targetILNS1_3genE10ELNS1_11target_archE1201ELNS1_3gpuE5ELNS1_3repE0EEENS1_30default_config_static_selectorELNS0_4arch9wavefront6targetE0EEEvT1_.has_recursion, 0
	.set _ZN7rocprim17ROCPRIM_400000_NS6detail17trampoline_kernelINS0_14default_configENS1_27scan_by_key_config_selectorIiyEEZZNS1_16scan_by_key_implILNS1_25lookback_scan_determinismE0ELb0ES3_N6thrust23THRUST_200600_302600_NS6detail15normal_iteratorINS9_10device_ptrIiEEEENSB_INSC_IyEEEESG_yNS9_4plusIvEENS9_8equal_toIvEEyEE10hipError_tPvRmT2_T3_T4_T5_mT6_T7_P12ihipStream_tbENKUlT_T0_E_clISt17integral_constantIbLb1EES11_EEDaSW_SX_EUlSW_E_NS1_11comp_targetILNS1_3genE10ELNS1_11target_archE1201ELNS1_3gpuE5ELNS1_3repE0EEENS1_30default_config_static_selectorELNS0_4arch9wavefront6targetE0EEEvT1_.has_indirect_call, 0
	.section	.AMDGPU.csdata,"",@progbits
; Kernel info:
; codeLenInByte = 0
; TotalNumSgprs: 0
; NumVgprs: 0
; ScratchSize: 0
; MemoryBound: 0
; FloatMode: 240
; IeeeMode: 1
; LDSByteSize: 0 bytes/workgroup (compile time only)
; SGPRBlocks: 0
; VGPRBlocks: 0
; NumSGPRsForWavesPerEU: 1
; NumVGPRsForWavesPerEU: 1
; Occupancy: 16
; WaveLimiterHint : 0
; COMPUTE_PGM_RSRC2:SCRATCH_EN: 0
; COMPUTE_PGM_RSRC2:USER_SGPR: 6
; COMPUTE_PGM_RSRC2:TRAP_HANDLER: 0
; COMPUTE_PGM_RSRC2:TGID_X_EN: 1
; COMPUTE_PGM_RSRC2:TGID_Y_EN: 0
; COMPUTE_PGM_RSRC2:TGID_Z_EN: 0
; COMPUTE_PGM_RSRC2:TIDIG_COMP_CNT: 0
	.section	.text._ZN7rocprim17ROCPRIM_400000_NS6detail17trampoline_kernelINS0_14default_configENS1_27scan_by_key_config_selectorIiyEEZZNS1_16scan_by_key_implILNS1_25lookback_scan_determinismE0ELb0ES3_N6thrust23THRUST_200600_302600_NS6detail15normal_iteratorINS9_10device_ptrIiEEEENSB_INSC_IyEEEESG_yNS9_4plusIvEENS9_8equal_toIvEEyEE10hipError_tPvRmT2_T3_T4_T5_mT6_T7_P12ihipStream_tbENKUlT_T0_E_clISt17integral_constantIbLb1EES11_EEDaSW_SX_EUlSW_E_NS1_11comp_targetILNS1_3genE5ELNS1_11target_archE942ELNS1_3gpuE9ELNS1_3repE0EEENS1_30default_config_static_selectorELNS0_4arch9wavefront6targetE0EEEvT1_,"axG",@progbits,_ZN7rocprim17ROCPRIM_400000_NS6detail17trampoline_kernelINS0_14default_configENS1_27scan_by_key_config_selectorIiyEEZZNS1_16scan_by_key_implILNS1_25lookback_scan_determinismE0ELb0ES3_N6thrust23THRUST_200600_302600_NS6detail15normal_iteratorINS9_10device_ptrIiEEEENSB_INSC_IyEEEESG_yNS9_4plusIvEENS9_8equal_toIvEEyEE10hipError_tPvRmT2_T3_T4_T5_mT6_T7_P12ihipStream_tbENKUlT_T0_E_clISt17integral_constantIbLb1EES11_EEDaSW_SX_EUlSW_E_NS1_11comp_targetILNS1_3genE5ELNS1_11target_archE942ELNS1_3gpuE9ELNS1_3repE0EEENS1_30default_config_static_selectorELNS0_4arch9wavefront6targetE0EEEvT1_,comdat
	.protected	_ZN7rocprim17ROCPRIM_400000_NS6detail17trampoline_kernelINS0_14default_configENS1_27scan_by_key_config_selectorIiyEEZZNS1_16scan_by_key_implILNS1_25lookback_scan_determinismE0ELb0ES3_N6thrust23THRUST_200600_302600_NS6detail15normal_iteratorINS9_10device_ptrIiEEEENSB_INSC_IyEEEESG_yNS9_4plusIvEENS9_8equal_toIvEEyEE10hipError_tPvRmT2_T3_T4_T5_mT6_T7_P12ihipStream_tbENKUlT_T0_E_clISt17integral_constantIbLb1EES11_EEDaSW_SX_EUlSW_E_NS1_11comp_targetILNS1_3genE5ELNS1_11target_archE942ELNS1_3gpuE9ELNS1_3repE0EEENS1_30default_config_static_selectorELNS0_4arch9wavefront6targetE0EEEvT1_ ; -- Begin function _ZN7rocprim17ROCPRIM_400000_NS6detail17trampoline_kernelINS0_14default_configENS1_27scan_by_key_config_selectorIiyEEZZNS1_16scan_by_key_implILNS1_25lookback_scan_determinismE0ELb0ES3_N6thrust23THRUST_200600_302600_NS6detail15normal_iteratorINS9_10device_ptrIiEEEENSB_INSC_IyEEEESG_yNS9_4plusIvEENS9_8equal_toIvEEyEE10hipError_tPvRmT2_T3_T4_T5_mT6_T7_P12ihipStream_tbENKUlT_T0_E_clISt17integral_constantIbLb1EES11_EEDaSW_SX_EUlSW_E_NS1_11comp_targetILNS1_3genE5ELNS1_11target_archE942ELNS1_3gpuE9ELNS1_3repE0EEENS1_30default_config_static_selectorELNS0_4arch9wavefront6targetE0EEEvT1_
	.globl	_ZN7rocprim17ROCPRIM_400000_NS6detail17trampoline_kernelINS0_14default_configENS1_27scan_by_key_config_selectorIiyEEZZNS1_16scan_by_key_implILNS1_25lookback_scan_determinismE0ELb0ES3_N6thrust23THRUST_200600_302600_NS6detail15normal_iteratorINS9_10device_ptrIiEEEENSB_INSC_IyEEEESG_yNS9_4plusIvEENS9_8equal_toIvEEyEE10hipError_tPvRmT2_T3_T4_T5_mT6_T7_P12ihipStream_tbENKUlT_T0_E_clISt17integral_constantIbLb1EES11_EEDaSW_SX_EUlSW_E_NS1_11comp_targetILNS1_3genE5ELNS1_11target_archE942ELNS1_3gpuE9ELNS1_3repE0EEENS1_30default_config_static_selectorELNS0_4arch9wavefront6targetE0EEEvT1_
	.p2align	8
	.type	_ZN7rocprim17ROCPRIM_400000_NS6detail17trampoline_kernelINS0_14default_configENS1_27scan_by_key_config_selectorIiyEEZZNS1_16scan_by_key_implILNS1_25lookback_scan_determinismE0ELb0ES3_N6thrust23THRUST_200600_302600_NS6detail15normal_iteratorINS9_10device_ptrIiEEEENSB_INSC_IyEEEESG_yNS9_4plusIvEENS9_8equal_toIvEEyEE10hipError_tPvRmT2_T3_T4_T5_mT6_T7_P12ihipStream_tbENKUlT_T0_E_clISt17integral_constantIbLb1EES11_EEDaSW_SX_EUlSW_E_NS1_11comp_targetILNS1_3genE5ELNS1_11target_archE942ELNS1_3gpuE9ELNS1_3repE0EEENS1_30default_config_static_selectorELNS0_4arch9wavefront6targetE0EEEvT1_,@function
_ZN7rocprim17ROCPRIM_400000_NS6detail17trampoline_kernelINS0_14default_configENS1_27scan_by_key_config_selectorIiyEEZZNS1_16scan_by_key_implILNS1_25lookback_scan_determinismE0ELb0ES3_N6thrust23THRUST_200600_302600_NS6detail15normal_iteratorINS9_10device_ptrIiEEEENSB_INSC_IyEEEESG_yNS9_4plusIvEENS9_8equal_toIvEEyEE10hipError_tPvRmT2_T3_T4_T5_mT6_T7_P12ihipStream_tbENKUlT_T0_E_clISt17integral_constantIbLb1EES11_EEDaSW_SX_EUlSW_E_NS1_11comp_targetILNS1_3genE5ELNS1_11target_archE942ELNS1_3gpuE9ELNS1_3repE0EEENS1_30default_config_static_selectorELNS0_4arch9wavefront6targetE0EEEvT1_: ; @_ZN7rocprim17ROCPRIM_400000_NS6detail17trampoline_kernelINS0_14default_configENS1_27scan_by_key_config_selectorIiyEEZZNS1_16scan_by_key_implILNS1_25lookback_scan_determinismE0ELb0ES3_N6thrust23THRUST_200600_302600_NS6detail15normal_iteratorINS9_10device_ptrIiEEEENSB_INSC_IyEEEESG_yNS9_4plusIvEENS9_8equal_toIvEEyEE10hipError_tPvRmT2_T3_T4_T5_mT6_T7_P12ihipStream_tbENKUlT_T0_E_clISt17integral_constantIbLb1EES11_EEDaSW_SX_EUlSW_E_NS1_11comp_targetILNS1_3genE5ELNS1_11target_archE942ELNS1_3gpuE9ELNS1_3repE0EEENS1_30default_config_static_selectorELNS0_4arch9wavefront6targetE0EEEvT1_
; %bb.0:
	.section	.rodata,"a",@progbits
	.p2align	6, 0x0
	.amdhsa_kernel _ZN7rocprim17ROCPRIM_400000_NS6detail17trampoline_kernelINS0_14default_configENS1_27scan_by_key_config_selectorIiyEEZZNS1_16scan_by_key_implILNS1_25lookback_scan_determinismE0ELb0ES3_N6thrust23THRUST_200600_302600_NS6detail15normal_iteratorINS9_10device_ptrIiEEEENSB_INSC_IyEEEESG_yNS9_4plusIvEENS9_8equal_toIvEEyEE10hipError_tPvRmT2_T3_T4_T5_mT6_T7_P12ihipStream_tbENKUlT_T0_E_clISt17integral_constantIbLb1EES11_EEDaSW_SX_EUlSW_E_NS1_11comp_targetILNS1_3genE5ELNS1_11target_archE942ELNS1_3gpuE9ELNS1_3repE0EEENS1_30default_config_static_selectorELNS0_4arch9wavefront6targetE0EEEvT1_
		.amdhsa_group_segment_fixed_size 0
		.amdhsa_private_segment_fixed_size 0
		.amdhsa_kernarg_size 136
		.amdhsa_user_sgpr_count 6
		.amdhsa_user_sgpr_private_segment_buffer 1
		.amdhsa_user_sgpr_dispatch_ptr 0
		.amdhsa_user_sgpr_queue_ptr 0
		.amdhsa_user_sgpr_kernarg_segment_ptr 1
		.amdhsa_user_sgpr_dispatch_id 0
		.amdhsa_user_sgpr_flat_scratch_init 0
		.amdhsa_user_sgpr_private_segment_size 0
		.amdhsa_wavefront_size32 1
		.amdhsa_uses_dynamic_stack 0
		.amdhsa_system_sgpr_private_segment_wavefront_offset 0
		.amdhsa_system_sgpr_workgroup_id_x 1
		.amdhsa_system_sgpr_workgroup_id_y 0
		.amdhsa_system_sgpr_workgroup_id_z 0
		.amdhsa_system_sgpr_workgroup_info 0
		.amdhsa_system_vgpr_workitem_id 0
		.amdhsa_next_free_vgpr 1
		.amdhsa_next_free_sgpr 1
		.amdhsa_reserve_vcc 0
		.amdhsa_reserve_flat_scratch 0
		.amdhsa_float_round_mode_32 0
		.amdhsa_float_round_mode_16_64 0
		.amdhsa_float_denorm_mode_32 3
		.amdhsa_float_denorm_mode_16_64 3
		.amdhsa_dx10_clamp 1
		.amdhsa_ieee_mode 1
		.amdhsa_fp16_overflow 0
		.amdhsa_workgroup_processor_mode 1
		.amdhsa_memory_ordered 1
		.amdhsa_forward_progress 1
		.amdhsa_shared_vgpr_count 0
		.amdhsa_exception_fp_ieee_invalid_op 0
		.amdhsa_exception_fp_denorm_src 0
		.amdhsa_exception_fp_ieee_div_zero 0
		.amdhsa_exception_fp_ieee_overflow 0
		.amdhsa_exception_fp_ieee_underflow 0
		.amdhsa_exception_fp_ieee_inexact 0
		.amdhsa_exception_int_div_zero 0
	.end_amdhsa_kernel
	.section	.text._ZN7rocprim17ROCPRIM_400000_NS6detail17trampoline_kernelINS0_14default_configENS1_27scan_by_key_config_selectorIiyEEZZNS1_16scan_by_key_implILNS1_25lookback_scan_determinismE0ELb0ES3_N6thrust23THRUST_200600_302600_NS6detail15normal_iteratorINS9_10device_ptrIiEEEENSB_INSC_IyEEEESG_yNS9_4plusIvEENS9_8equal_toIvEEyEE10hipError_tPvRmT2_T3_T4_T5_mT6_T7_P12ihipStream_tbENKUlT_T0_E_clISt17integral_constantIbLb1EES11_EEDaSW_SX_EUlSW_E_NS1_11comp_targetILNS1_3genE5ELNS1_11target_archE942ELNS1_3gpuE9ELNS1_3repE0EEENS1_30default_config_static_selectorELNS0_4arch9wavefront6targetE0EEEvT1_,"axG",@progbits,_ZN7rocprim17ROCPRIM_400000_NS6detail17trampoline_kernelINS0_14default_configENS1_27scan_by_key_config_selectorIiyEEZZNS1_16scan_by_key_implILNS1_25lookback_scan_determinismE0ELb0ES3_N6thrust23THRUST_200600_302600_NS6detail15normal_iteratorINS9_10device_ptrIiEEEENSB_INSC_IyEEEESG_yNS9_4plusIvEENS9_8equal_toIvEEyEE10hipError_tPvRmT2_T3_T4_T5_mT6_T7_P12ihipStream_tbENKUlT_T0_E_clISt17integral_constantIbLb1EES11_EEDaSW_SX_EUlSW_E_NS1_11comp_targetILNS1_3genE5ELNS1_11target_archE942ELNS1_3gpuE9ELNS1_3repE0EEENS1_30default_config_static_selectorELNS0_4arch9wavefront6targetE0EEEvT1_,comdat
.Lfunc_end1189:
	.size	_ZN7rocprim17ROCPRIM_400000_NS6detail17trampoline_kernelINS0_14default_configENS1_27scan_by_key_config_selectorIiyEEZZNS1_16scan_by_key_implILNS1_25lookback_scan_determinismE0ELb0ES3_N6thrust23THRUST_200600_302600_NS6detail15normal_iteratorINS9_10device_ptrIiEEEENSB_INSC_IyEEEESG_yNS9_4plusIvEENS9_8equal_toIvEEyEE10hipError_tPvRmT2_T3_T4_T5_mT6_T7_P12ihipStream_tbENKUlT_T0_E_clISt17integral_constantIbLb1EES11_EEDaSW_SX_EUlSW_E_NS1_11comp_targetILNS1_3genE5ELNS1_11target_archE942ELNS1_3gpuE9ELNS1_3repE0EEENS1_30default_config_static_selectorELNS0_4arch9wavefront6targetE0EEEvT1_, .Lfunc_end1189-_ZN7rocprim17ROCPRIM_400000_NS6detail17trampoline_kernelINS0_14default_configENS1_27scan_by_key_config_selectorIiyEEZZNS1_16scan_by_key_implILNS1_25lookback_scan_determinismE0ELb0ES3_N6thrust23THRUST_200600_302600_NS6detail15normal_iteratorINS9_10device_ptrIiEEEENSB_INSC_IyEEEESG_yNS9_4plusIvEENS9_8equal_toIvEEyEE10hipError_tPvRmT2_T3_T4_T5_mT6_T7_P12ihipStream_tbENKUlT_T0_E_clISt17integral_constantIbLb1EES11_EEDaSW_SX_EUlSW_E_NS1_11comp_targetILNS1_3genE5ELNS1_11target_archE942ELNS1_3gpuE9ELNS1_3repE0EEENS1_30default_config_static_selectorELNS0_4arch9wavefront6targetE0EEEvT1_
                                        ; -- End function
	.set _ZN7rocprim17ROCPRIM_400000_NS6detail17trampoline_kernelINS0_14default_configENS1_27scan_by_key_config_selectorIiyEEZZNS1_16scan_by_key_implILNS1_25lookback_scan_determinismE0ELb0ES3_N6thrust23THRUST_200600_302600_NS6detail15normal_iteratorINS9_10device_ptrIiEEEENSB_INSC_IyEEEESG_yNS9_4plusIvEENS9_8equal_toIvEEyEE10hipError_tPvRmT2_T3_T4_T5_mT6_T7_P12ihipStream_tbENKUlT_T0_E_clISt17integral_constantIbLb1EES11_EEDaSW_SX_EUlSW_E_NS1_11comp_targetILNS1_3genE5ELNS1_11target_archE942ELNS1_3gpuE9ELNS1_3repE0EEENS1_30default_config_static_selectorELNS0_4arch9wavefront6targetE0EEEvT1_.num_vgpr, 0
	.set _ZN7rocprim17ROCPRIM_400000_NS6detail17trampoline_kernelINS0_14default_configENS1_27scan_by_key_config_selectorIiyEEZZNS1_16scan_by_key_implILNS1_25lookback_scan_determinismE0ELb0ES3_N6thrust23THRUST_200600_302600_NS6detail15normal_iteratorINS9_10device_ptrIiEEEENSB_INSC_IyEEEESG_yNS9_4plusIvEENS9_8equal_toIvEEyEE10hipError_tPvRmT2_T3_T4_T5_mT6_T7_P12ihipStream_tbENKUlT_T0_E_clISt17integral_constantIbLb1EES11_EEDaSW_SX_EUlSW_E_NS1_11comp_targetILNS1_3genE5ELNS1_11target_archE942ELNS1_3gpuE9ELNS1_3repE0EEENS1_30default_config_static_selectorELNS0_4arch9wavefront6targetE0EEEvT1_.num_agpr, 0
	.set _ZN7rocprim17ROCPRIM_400000_NS6detail17trampoline_kernelINS0_14default_configENS1_27scan_by_key_config_selectorIiyEEZZNS1_16scan_by_key_implILNS1_25lookback_scan_determinismE0ELb0ES3_N6thrust23THRUST_200600_302600_NS6detail15normal_iteratorINS9_10device_ptrIiEEEENSB_INSC_IyEEEESG_yNS9_4plusIvEENS9_8equal_toIvEEyEE10hipError_tPvRmT2_T3_T4_T5_mT6_T7_P12ihipStream_tbENKUlT_T0_E_clISt17integral_constantIbLb1EES11_EEDaSW_SX_EUlSW_E_NS1_11comp_targetILNS1_3genE5ELNS1_11target_archE942ELNS1_3gpuE9ELNS1_3repE0EEENS1_30default_config_static_selectorELNS0_4arch9wavefront6targetE0EEEvT1_.numbered_sgpr, 0
	.set _ZN7rocprim17ROCPRIM_400000_NS6detail17trampoline_kernelINS0_14default_configENS1_27scan_by_key_config_selectorIiyEEZZNS1_16scan_by_key_implILNS1_25lookback_scan_determinismE0ELb0ES3_N6thrust23THRUST_200600_302600_NS6detail15normal_iteratorINS9_10device_ptrIiEEEENSB_INSC_IyEEEESG_yNS9_4plusIvEENS9_8equal_toIvEEyEE10hipError_tPvRmT2_T3_T4_T5_mT6_T7_P12ihipStream_tbENKUlT_T0_E_clISt17integral_constantIbLb1EES11_EEDaSW_SX_EUlSW_E_NS1_11comp_targetILNS1_3genE5ELNS1_11target_archE942ELNS1_3gpuE9ELNS1_3repE0EEENS1_30default_config_static_selectorELNS0_4arch9wavefront6targetE0EEEvT1_.num_named_barrier, 0
	.set _ZN7rocprim17ROCPRIM_400000_NS6detail17trampoline_kernelINS0_14default_configENS1_27scan_by_key_config_selectorIiyEEZZNS1_16scan_by_key_implILNS1_25lookback_scan_determinismE0ELb0ES3_N6thrust23THRUST_200600_302600_NS6detail15normal_iteratorINS9_10device_ptrIiEEEENSB_INSC_IyEEEESG_yNS9_4plusIvEENS9_8equal_toIvEEyEE10hipError_tPvRmT2_T3_T4_T5_mT6_T7_P12ihipStream_tbENKUlT_T0_E_clISt17integral_constantIbLb1EES11_EEDaSW_SX_EUlSW_E_NS1_11comp_targetILNS1_3genE5ELNS1_11target_archE942ELNS1_3gpuE9ELNS1_3repE0EEENS1_30default_config_static_selectorELNS0_4arch9wavefront6targetE0EEEvT1_.private_seg_size, 0
	.set _ZN7rocprim17ROCPRIM_400000_NS6detail17trampoline_kernelINS0_14default_configENS1_27scan_by_key_config_selectorIiyEEZZNS1_16scan_by_key_implILNS1_25lookback_scan_determinismE0ELb0ES3_N6thrust23THRUST_200600_302600_NS6detail15normal_iteratorINS9_10device_ptrIiEEEENSB_INSC_IyEEEESG_yNS9_4plusIvEENS9_8equal_toIvEEyEE10hipError_tPvRmT2_T3_T4_T5_mT6_T7_P12ihipStream_tbENKUlT_T0_E_clISt17integral_constantIbLb1EES11_EEDaSW_SX_EUlSW_E_NS1_11comp_targetILNS1_3genE5ELNS1_11target_archE942ELNS1_3gpuE9ELNS1_3repE0EEENS1_30default_config_static_selectorELNS0_4arch9wavefront6targetE0EEEvT1_.uses_vcc, 0
	.set _ZN7rocprim17ROCPRIM_400000_NS6detail17trampoline_kernelINS0_14default_configENS1_27scan_by_key_config_selectorIiyEEZZNS1_16scan_by_key_implILNS1_25lookback_scan_determinismE0ELb0ES3_N6thrust23THRUST_200600_302600_NS6detail15normal_iteratorINS9_10device_ptrIiEEEENSB_INSC_IyEEEESG_yNS9_4plusIvEENS9_8equal_toIvEEyEE10hipError_tPvRmT2_T3_T4_T5_mT6_T7_P12ihipStream_tbENKUlT_T0_E_clISt17integral_constantIbLb1EES11_EEDaSW_SX_EUlSW_E_NS1_11comp_targetILNS1_3genE5ELNS1_11target_archE942ELNS1_3gpuE9ELNS1_3repE0EEENS1_30default_config_static_selectorELNS0_4arch9wavefront6targetE0EEEvT1_.uses_flat_scratch, 0
	.set _ZN7rocprim17ROCPRIM_400000_NS6detail17trampoline_kernelINS0_14default_configENS1_27scan_by_key_config_selectorIiyEEZZNS1_16scan_by_key_implILNS1_25lookback_scan_determinismE0ELb0ES3_N6thrust23THRUST_200600_302600_NS6detail15normal_iteratorINS9_10device_ptrIiEEEENSB_INSC_IyEEEESG_yNS9_4plusIvEENS9_8equal_toIvEEyEE10hipError_tPvRmT2_T3_T4_T5_mT6_T7_P12ihipStream_tbENKUlT_T0_E_clISt17integral_constantIbLb1EES11_EEDaSW_SX_EUlSW_E_NS1_11comp_targetILNS1_3genE5ELNS1_11target_archE942ELNS1_3gpuE9ELNS1_3repE0EEENS1_30default_config_static_selectorELNS0_4arch9wavefront6targetE0EEEvT1_.has_dyn_sized_stack, 0
	.set _ZN7rocprim17ROCPRIM_400000_NS6detail17trampoline_kernelINS0_14default_configENS1_27scan_by_key_config_selectorIiyEEZZNS1_16scan_by_key_implILNS1_25lookback_scan_determinismE0ELb0ES3_N6thrust23THRUST_200600_302600_NS6detail15normal_iteratorINS9_10device_ptrIiEEEENSB_INSC_IyEEEESG_yNS9_4plusIvEENS9_8equal_toIvEEyEE10hipError_tPvRmT2_T3_T4_T5_mT6_T7_P12ihipStream_tbENKUlT_T0_E_clISt17integral_constantIbLb1EES11_EEDaSW_SX_EUlSW_E_NS1_11comp_targetILNS1_3genE5ELNS1_11target_archE942ELNS1_3gpuE9ELNS1_3repE0EEENS1_30default_config_static_selectorELNS0_4arch9wavefront6targetE0EEEvT1_.has_recursion, 0
	.set _ZN7rocprim17ROCPRIM_400000_NS6detail17trampoline_kernelINS0_14default_configENS1_27scan_by_key_config_selectorIiyEEZZNS1_16scan_by_key_implILNS1_25lookback_scan_determinismE0ELb0ES3_N6thrust23THRUST_200600_302600_NS6detail15normal_iteratorINS9_10device_ptrIiEEEENSB_INSC_IyEEEESG_yNS9_4plusIvEENS9_8equal_toIvEEyEE10hipError_tPvRmT2_T3_T4_T5_mT6_T7_P12ihipStream_tbENKUlT_T0_E_clISt17integral_constantIbLb1EES11_EEDaSW_SX_EUlSW_E_NS1_11comp_targetILNS1_3genE5ELNS1_11target_archE942ELNS1_3gpuE9ELNS1_3repE0EEENS1_30default_config_static_selectorELNS0_4arch9wavefront6targetE0EEEvT1_.has_indirect_call, 0
	.section	.AMDGPU.csdata,"",@progbits
; Kernel info:
; codeLenInByte = 0
; TotalNumSgprs: 0
; NumVgprs: 0
; ScratchSize: 0
; MemoryBound: 0
; FloatMode: 240
; IeeeMode: 1
; LDSByteSize: 0 bytes/workgroup (compile time only)
; SGPRBlocks: 0
; VGPRBlocks: 0
; NumSGPRsForWavesPerEU: 1
; NumVGPRsForWavesPerEU: 1
; Occupancy: 16
; WaveLimiterHint : 0
; COMPUTE_PGM_RSRC2:SCRATCH_EN: 0
; COMPUTE_PGM_RSRC2:USER_SGPR: 6
; COMPUTE_PGM_RSRC2:TRAP_HANDLER: 0
; COMPUTE_PGM_RSRC2:TGID_X_EN: 1
; COMPUTE_PGM_RSRC2:TGID_Y_EN: 0
; COMPUTE_PGM_RSRC2:TGID_Z_EN: 0
; COMPUTE_PGM_RSRC2:TIDIG_COMP_CNT: 0
	.section	.text._ZN7rocprim17ROCPRIM_400000_NS6detail17trampoline_kernelINS0_14default_configENS1_27scan_by_key_config_selectorIiyEEZZNS1_16scan_by_key_implILNS1_25lookback_scan_determinismE0ELb0ES3_N6thrust23THRUST_200600_302600_NS6detail15normal_iteratorINS9_10device_ptrIiEEEENSB_INSC_IyEEEESG_yNS9_4plusIvEENS9_8equal_toIvEEyEE10hipError_tPvRmT2_T3_T4_T5_mT6_T7_P12ihipStream_tbENKUlT_T0_E_clISt17integral_constantIbLb1EES11_EEDaSW_SX_EUlSW_E_NS1_11comp_targetILNS1_3genE4ELNS1_11target_archE910ELNS1_3gpuE8ELNS1_3repE0EEENS1_30default_config_static_selectorELNS0_4arch9wavefront6targetE0EEEvT1_,"axG",@progbits,_ZN7rocprim17ROCPRIM_400000_NS6detail17trampoline_kernelINS0_14default_configENS1_27scan_by_key_config_selectorIiyEEZZNS1_16scan_by_key_implILNS1_25lookback_scan_determinismE0ELb0ES3_N6thrust23THRUST_200600_302600_NS6detail15normal_iteratorINS9_10device_ptrIiEEEENSB_INSC_IyEEEESG_yNS9_4plusIvEENS9_8equal_toIvEEyEE10hipError_tPvRmT2_T3_T4_T5_mT6_T7_P12ihipStream_tbENKUlT_T0_E_clISt17integral_constantIbLb1EES11_EEDaSW_SX_EUlSW_E_NS1_11comp_targetILNS1_3genE4ELNS1_11target_archE910ELNS1_3gpuE8ELNS1_3repE0EEENS1_30default_config_static_selectorELNS0_4arch9wavefront6targetE0EEEvT1_,comdat
	.protected	_ZN7rocprim17ROCPRIM_400000_NS6detail17trampoline_kernelINS0_14default_configENS1_27scan_by_key_config_selectorIiyEEZZNS1_16scan_by_key_implILNS1_25lookback_scan_determinismE0ELb0ES3_N6thrust23THRUST_200600_302600_NS6detail15normal_iteratorINS9_10device_ptrIiEEEENSB_INSC_IyEEEESG_yNS9_4plusIvEENS9_8equal_toIvEEyEE10hipError_tPvRmT2_T3_T4_T5_mT6_T7_P12ihipStream_tbENKUlT_T0_E_clISt17integral_constantIbLb1EES11_EEDaSW_SX_EUlSW_E_NS1_11comp_targetILNS1_3genE4ELNS1_11target_archE910ELNS1_3gpuE8ELNS1_3repE0EEENS1_30default_config_static_selectorELNS0_4arch9wavefront6targetE0EEEvT1_ ; -- Begin function _ZN7rocprim17ROCPRIM_400000_NS6detail17trampoline_kernelINS0_14default_configENS1_27scan_by_key_config_selectorIiyEEZZNS1_16scan_by_key_implILNS1_25lookback_scan_determinismE0ELb0ES3_N6thrust23THRUST_200600_302600_NS6detail15normal_iteratorINS9_10device_ptrIiEEEENSB_INSC_IyEEEESG_yNS9_4plusIvEENS9_8equal_toIvEEyEE10hipError_tPvRmT2_T3_T4_T5_mT6_T7_P12ihipStream_tbENKUlT_T0_E_clISt17integral_constantIbLb1EES11_EEDaSW_SX_EUlSW_E_NS1_11comp_targetILNS1_3genE4ELNS1_11target_archE910ELNS1_3gpuE8ELNS1_3repE0EEENS1_30default_config_static_selectorELNS0_4arch9wavefront6targetE0EEEvT1_
	.globl	_ZN7rocprim17ROCPRIM_400000_NS6detail17trampoline_kernelINS0_14default_configENS1_27scan_by_key_config_selectorIiyEEZZNS1_16scan_by_key_implILNS1_25lookback_scan_determinismE0ELb0ES3_N6thrust23THRUST_200600_302600_NS6detail15normal_iteratorINS9_10device_ptrIiEEEENSB_INSC_IyEEEESG_yNS9_4plusIvEENS9_8equal_toIvEEyEE10hipError_tPvRmT2_T3_T4_T5_mT6_T7_P12ihipStream_tbENKUlT_T0_E_clISt17integral_constantIbLb1EES11_EEDaSW_SX_EUlSW_E_NS1_11comp_targetILNS1_3genE4ELNS1_11target_archE910ELNS1_3gpuE8ELNS1_3repE0EEENS1_30default_config_static_selectorELNS0_4arch9wavefront6targetE0EEEvT1_
	.p2align	8
	.type	_ZN7rocprim17ROCPRIM_400000_NS6detail17trampoline_kernelINS0_14default_configENS1_27scan_by_key_config_selectorIiyEEZZNS1_16scan_by_key_implILNS1_25lookback_scan_determinismE0ELb0ES3_N6thrust23THRUST_200600_302600_NS6detail15normal_iteratorINS9_10device_ptrIiEEEENSB_INSC_IyEEEESG_yNS9_4plusIvEENS9_8equal_toIvEEyEE10hipError_tPvRmT2_T3_T4_T5_mT6_T7_P12ihipStream_tbENKUlT_T0_E_clISt17integral_constantIbLb1EES11_EEDaSW_SX_EUlSW_E_NS1_11comp_targetILNS1_3genE4ELNS1_11target_archE910ELNS1_3gpuE8ELNS1_3repE0EEENS1_30default_config_static_selectorELNS0_4arch9wavefront6targetE0EEEvT1_,@function
_ZN7rocprim17ROCPRIM_400000_NS6detail17trampoline_kernelINS0_14default_configENS1_27scan_by_key_config_selectorIiyEEZZNS1_16scan_by_key_implILNS1_25lookback_scan_determinismE0ELb0ES3_N6thrust23THRUST_200600_302600_NS6detail15normal_iteratorINS9_10device_ptrIiEEEENSB_INSC_IyEEEESG_yNS9_4plusIvEENS9_8equal_toIvEEyEE10hipError_tPvRmT2_T3_T4_T5_mT6_T7_P12ihipStream_tbENKUlT_T0_E_clISt17integral_constantIbLb1EES11_EEDaSW_SX_EUlSW_E_NS1_11comp_targetILNS1_3genE4ELNS1_11target_archE910ELNS1_3gpuE8ELNS1_3repE0EEENS1_30default_config_static_selectorELNS0_4arch9wavefront6targetE0EEEvT1_: ; @_ZN7rocprim17ROCPRIM_400000_NS6detail17trampoline_kernelINS0_14default_configENS1_27scan_by_key_config_selectorIiyEEZZNS1_16scan_by_key_implILNS1_25lookback_scan_determinismE0ELb0ES3_N6thrust23THRUST_200600_302600_NS6detail15normal_iteratorINS9_10device_ptrIiEEEENSB_INSC_IyEEEESG_yNS9_4plusIvEENS9_8equal_toIvEEyEE10hipError_tPvRmT2_T3_T4_T5_mT6_T7_P12ihipStream_tbENKUlT_T0_E_clISt17integral_constantIbLb1EES11_EEDaSW_SX_EUlSW_E_NS1_11comp_targetILNS1_3genE4ELNS1_11target_archE910ELNS1_3gpuE8ELNS1_3repE0EEENS1_30default_config_static_selectorELNS0_4arch9wavefront6targetE0EEEvT1_
; %bb.0:
	.section	.rodata,"a",@progbits
	.p2align	6, 0x0
	.amdhsa_kernel _ZN7rocprim17ROCPRIM_400000_NS6detail17trampoline_kernelINS0_14default_configENS1_27scan_by_key_config_selectorIiyEEZZNS1_16scan_by_key_implILNS1_25lookback_scan_determinismE0ELb0ES3_N6thrust23THRUST_200600_302600_NS6detail15normal_iteratorINS9_10device_ptrIiEEEENSB_INSC_IyEEEESG_yNS9_4plusIvEENS9_8equal_toIvEEyEE10hipError_tPvRmT2_T3_T4_T5_mT6_T7_P12ihipStream_tbENKUlT_T0_E_clISt17integral_constantIbLb1EES11_EEDaSW_SX_EUlSW_E_NS1_11comp_targetILNS1_3genE4ELNS1_11target_archE910ELNS1_3gpuE8ELNS1_3repE0EEENS1_30default_config_static_selectorELNS0_4arch9wavefront6targetE0EEEvT1_
		.amdhsa_group_segment_fixed_size 0
		.amdhsa_private_segment_fixed_size 0
		.amdhsa_kernarg_size 136
		.amdhsa_user_sgpr_count 6
		.amdhsa_user_sgpr_private_segment_buffer 1
		.amdhsa_user_sgpr_dispatch_ptr 0
		.amdhsa_user_sgpr_queue_ptr 0
		.amdhsa_user_sgpr_kernarg_segment_ptr 1
		.amdhsa_user_sgpr_dispatch_id 0
		.amdhsa_user_sgpr_flat_scratch_init 0
		.amdhsa_user_sgpr_private_segment_size 0
		.amdhsa_wavefront_size32 1
		.amdhsa_uses_dynamic_stack 0
		.amdhsa_system_sgpr_private_segment_wavefront_offset 0
		.amdhsa_system_sgpr_workgroup_id_x 1
		.amdhsa_system_sgpr_workgroup_id_y 0
		.amdhsa_system_sgpr_workgroup_id_z 0
		.amdhsa_system_sgpr_workgroup_info 0
		.amdhsa_system_vgpr_workitem_id 0
		.amdhsa_next_free_vgpr 1
		.amdhsa_next_free_sgpr 1
		.amdhsa_reserve_vcc 0
		.amdhsa_reserve_flat_scratch 0
		.amdhsa_float_round_mode_32 0
		.amdhsa_float_round_mode_16_64 0
		.amdhsa_float_denorm_mode_32 3
		.amdhsa_float_denorm_mode_16_64 3
		.amdhsa_dx10_clamp 1
		.amdhsa_ieee_mode 1
		.amdhsa_fp16_overflow 0
		.amdhsa_workgroup_processor_mode 1
		.amdhsa_memory_ordered 1
		.amdhsa_forward_progress 1
		.amdhsa_shared_vgpr_count 0
		.amdhsa_exception_fp_ieee_invalid_op 0
		.amdhsa_exception_fp_denorm_src 0
		.amdhsa_exception_fp_ieee_div_zero 0
		.amdhsa_exception_fp_ieee_overflow 0
		.amdhsa_exception_fp_ieee_underflow 0
		.amdhsa_exception_fp_ieee_inexact 0
		.amdhsa_exception_int_div_zero 0
	.end_amdhsa_kernel
	.section	.text._ZN7rocprim17ROCPRIM_400000_NS6detail17trampoline_kernelINS0_14default_configENS1_27scan_by_key_config_selectorIiyEEZZNS1_16scan_by_key_implILNS1_25lookback_scan_determinismE0ELb0ES3_N6thrust23THRUST_200600_302600_NS6detail15normal_iteratorINS9_10device_ptrIiEEEENSB_INSC_IyEEEESG_yNS9_4plusIvEENS9_8equal_toIvEEyEE10hipError_tPvRmT2_T3_T4_T5_mT6_T7_P12ihipStream_tbENKUlT_T0_E_clISt17integral_constantIbLb1EES11_EEDaSW_SX_EUlSW_E_NS1_11comp_targetILNS1_3genE4ELNS1_11target_archE910ELNS1_3gpuE8ELNS1_3repE0EEENS1_30default_config_static_selectorELNS0_4arch9wavefront6targetE0EEEvT1_,"axG",@progbits,_ZN7rocprim17ROCPRIM_400000_NS6detail17trampoline_kernelINS0_14default_configENS1_27scan_by_key_config_selectorIiyEEZZNS1_16scan_by_key_implILNS1_25lookback_scan_determinismE0ELb0ES3_N6thrust23THRUST_200600_302600_NS6detail15normal_iteratorINS9_10device_ptrIiEEEENSB_INSC_IyEEEESG_yNS9_4plusIvEENS9_8equal_toIvEEyEE10hipError_tPvRmT2_T3_T4_T5_mT6_T7_P12ihipStream_tbENKUlT_T0_E_clISt17integral_constantIbLb1EES11_EEDaSW_SX_EUlSW_E_NS1_11comp_targetILNS1_3genE4ELNS1_11target_archE910ELNS1_3gpuE8ELNS1_3repE0EEENS1_30default_config_static_selectorELNS0_4arch9wavefront6targetE0EEEvT1_,comdat
.Lfunc_end1190:
	.size	_ZN7rocprim17ROCPRIM_400000_NS6detail17trampoline_kernelINS0_14default_configENS1_27scan_by_key_config_selectorIiyEEZZNS1_16scan_by_key_implILNS1_25lookback_scan_determinismE0ELb0ES3_N6thrust23THRUST_200600_302600_NS6detail15normal_iteratorINS9_10device_ptrIiEEEENSB_INSC_IyEEEESG_yNS9_4plusIvEENS9_8equal_toIvEEyEE10hipError_tPvRmT2_T3_T4_T5_mT6_T7_P12ihipStream_tbENKUlT_T0_E_clISt17integral_constantIbLb1EES11_EEDaSW_SX_EUlSW_E_NS1_11comp_targetILNS1_3genE4ELNS1_11target_archE910ELNS1_3gpuE8ELNS1_3repE0EEENS1_30default_config_static_selectorELNS0_4arch9wavefront6targetE0EEEvT1_, .Lfunc_end1190-_ZN7rocprim17ROCPRIM_400000_NS6detail17trampoline_kernelINS0_14default_configENS1_27scan_by_key_config_selectorIiyEEZZNS1_16scan_by_key_implILNS1_25lookback_scan_determinismE0ELb0ES3_N6thrust23THRUST_200600_302600_NS6detail15normal_iteratorINS9_10device_ptrIiEEEENSB_INSC_IyEEEESG_yNS9_4plusIvEENS9_8equal_toIvEEyEE10hipError_tPvRmT2_T3_T4_T5_mT6_T7_P12ihipStream_tbENKUlT_T0_E_clISt17integral_constantIbLb1EES11_EEDaSW_SX_EUlSW_E_NS1_11comp_targetILNS1_3genE4ELNS1_11target_archE910ELNS1_3gpuE8ELNS1_3repE0EEENS1_30default_config_static_selectorELNS0_4arch9wavefront6targetE0EEEvT1_
                                        ; -- End function
	.set _ZN7rocprim17ROCPRIM_400000_NS6detail17trampoline_kernelINS0_14default_configENS1_27scan_by_key_config_selectorIiyEEZZNS1_16scan_by_key_implILNS1_25lookback_scan_determinismE0ELb0ES3_N6thrust23THRUST_200600_302600_NS6detail15normal_iteratorINS9_10device_ptrIiEEEENSB_INSC_IyEEEESG_yNS9_4plusIvEENS9_8equal_toIvEEyEE10hipError_tPvRmT2_T3_T4_T5_mT6_T7_P12ihipStream_tbENKUlT_T0_E_clISt17integral_constantIbLb1EES11_EEDaSW_SX_EUlSW_E_NS1_11comp_targetILNS1_3genE4ELNS1_11target_archE910ELNS1_3gpuE8ELNS1_3repE0EEENS1_30default_config_static_selectorELNS0_4arch9wavefront6targetE0EEEvT1_.num_vgpr, 0
	.set _ZN7rocprim17ROCPRIM_400000_NS6detail17trampoline_kernelINS0_14default_configENS1_27scan_by_key_config_selectorIiyEEZZNS1_16scan_by_key_implILNS1_25lookback_scan_determinismE0ELb0ES3_N6thrust23THRUST_200600_302600_NS6detail15normal_iteratorINS9_10device_ptrIiEEEENSB_INSC_IyEEEESG_yNS9_4plusIvEENS9_8equal_toIvEEyEE10hipError_tPvRmT2_T3_T4_T5_mT6_T7_P12ihipStream_tbENKUlT_T0_E_clISt17integral_constantIbLb1EES11_EEDaSW_SX_EUlSW_E_NS1_11comp_targetILNS1_3genE4ELNS1_11target_archE910ELNS1_3gpuE8ELNS1_3repE0EEENS1_30default_config_static_selectorELNS0_4arch9wavefront6targetE0EEEvT1_.num_agpr, 0
	.set _ZN7rocprim17ROCPRIM_400000_NS6detail17trampoline_kernelINS0_14default_configENS1_27scan_by_key_config_selectorIiyEEZZNS1_16scan_by_key_implILNS1_25lookback_scan_determinismE0ELb0ES3_N6thrust23THRUST_200600_302600_NS6detail15normal_iteratorINS9_10device_ptrIiEEEENSB_INSC_IyEEEESG_yNS9_4plusIvEENS9_8equal_toIvEEyEE10hipError_tPvRmT2_T3_T4_T5_mT6_T7_P12ihipStream_tbENKUlT_T0_E_clISt17integral_constantIbLb1EES11_EEDaSW_SX_EUlSW_E_NS1_11comp_targetILNS1_3genE4ELNS1_11target_archE910ELNS1_3gpuE8ELNS1_3repE0EEENS1_30default_config_static_selectorELNS0_4arch9wavefront6targetE0EEEvT1_.numbered_sgpr, 0
	.set _ZN7rocprim17ROCPRIM_400000_NS6detail17trampoline_kernelINS0_14default_configENS1_27scan_by_key_config_selectorIiyEEZZNS1_16scan_by_key_implILNS1_25lookback_scan_determinismE0ELb0ES3_N6thrust23THRUST_200600_302600_NS6detail15normal_iteratorINS9_10device_ptrIiEEEENSB_INSC_IyEEEESG_yNS9_4plusIvEENS9_8equal_toIvEEyEE10hipError_tPvRmT2_T3_T4_T5_mT6_T7_P12ihipStream_tbENKUlT_T0_E_clISt17integral_constantIbLb1EES11_EEDaSW_SX_EUlSW_E_NS1_11comp_targetILNS1_3genE4ELNS1_11target_archE910ELNS1_3gpuE8ELNS1_3repE0EEENS1_30default_config_static_selectorELNS0_4arch9wavefront6targetE0EEEvT1_.num_named_barrier, 0
	.set _ZN7rocprim17ROCPRIM_400000_NS6detail17trampoline_kernelINS0_14default_configENS1_27scan_by_key_config_selectorIiyEEZZNS1_16scan_by_key_implILNS1_25lookback_scan_determinismE0ELb0ES3_N6thrust23THRUST_200600_302600_NS6detail15normal_iteratorINS9_10device_ptrIiEEEENSB_INSC_IyEEEESG_yNS9_4plusIvEENS9_8equal_toIvEEyEE10hipError_tPvRmT2_T3_T4_T5_mT6_T7_P12ihipStream_tbENKUlT_T0_E_clISt17integral_constantIbLb1EES11_EEDaSW_SX_EUlSW_E_NS1_11comp_targetILNS1_3genE4ELNS1_11target_archE910ELNS1_3gpuE8ELNS1_3repE0EEENS1_30default_config_static_selectorELNS0_4arch9wavefront6targetE0EEEvT1_.private_seg_size, 0
	.set _ZN7rocprim17ROCPRIM_400000_NS6detail17trampoline_kernelINS0_14default_configENS1_27scan_by_key_config_selectorIiyEEZZNS1_16scan_by_key_implILNS1_25lookback_scan_determinismE0ELb0ES3_N6thrust23THRUST_200600_302600_NS6detail15normal_iteratorINS9_10device_ptrIiEEEENSB_INSC_IyEEEESG_yNS9_4plusIvEENS9_8equal_toIvEEyEE10hipError_tPvRmT2_T3_T4_T5_mT6_T7_P12ihipStream_tbENKUlT_T0_E_clISt17integral_constantIbLb1EES11_EEDaSW_SX_EUlSW_E_NS1_11comp_targetILNS1_3genE4ELNS1_11target_archE910ELNS1_3gpuE8ELNS1_3repE0EEENS1_30default_config_static_selectorELNS0_4arch9wavefront6targetE0EEEvT1_.uses_vcc, 0
	.set _ZN7rocprim17ROCPRIM_400000_NS6detail17trampoline_kernelINS0_14default_configENS1_27scan_by_key_config_selectorIiyEEZZNS1_16scan_by_key_implILNS1_25lookback_scan_determinismE0ELb0ES3_N6thrust23THRUST_200600_302600_NS6detail15normal_iteratorINS9_10device_ptrIiEEEENSB_INSC_IyEEEESG_yNS9_4plusIvEENS9_8equal_toIvEEyEE10hipError_tPvRmT2_T3_T4_T5_mT6_T7_P12ihipStream_tbENKUlT_T0_E_clISt17integral_constantIbLb1EES11_EEDaSW_SX_EUlSW_E_NS1_11comp_targetILNS1_3genE4ELNS1_11target_archE910ELNS1_3gpuE8ELNS1_3repE0EEENS1_30default_config_static_selectorELNS0_4arch9wavefront6targetE0EEEvT1_.uses_flat_scratch, 0
	.set _ZN7rocprim17ROCPRIM_400000_NS6detail17trampoline_kernelINS0_14default_configENS1_27scan_by_key_config_selectorIiyEEZZNS1_16scan_by_key_implILNS1_25lookback_scan_determinismE0ELb0ES3_N6thrust23THRUST_200600_302600_NS6detail15normal_iteratorINS9_10device_ptrIiEEEENSB_INSC_IyEEEESG_yNS9_4plusIvEENS9_8equal_toIvEEyEE10hipError_tPvRmT2_T3_T4_T5_mT6_T7_P12ihipStream_tbENKUlT_T0_E_clISt17integral_constantIbLb1EES11_EEDaSW_SX_EUlSW_E_NS1_11comp_targetILNS1_3genE4ELNS1_11target_archE910ELNS1_3gpuE8ELNS1_3repE0EEENS1_30default_config_static_selectorELNS0_4arch9wavefront6targetE0EEEvT1_.has_dyn_sized_stack, 0
	.set _ZN7rocprim17ROCPRIM_400000_NS6detail17trampoline_kernelINS0_14default_configENS1_27scan_by_key_config_selectorIiyEEZZNS1_16scan_by_key_implILNS1_25lookback_scan_determinismE0ELb0ES3_N6thrust23THRUST_200600_302600_NS6detail15normal_iteratorINS9_10device_ptrIiEEEENSB_INSC_IyEEEESG_yNS9_4plusIvEENS9_8equal_toIvEEyEE10hipError_tPvRmT2_T3_T4_T5_mT6_T7_P12ihipStream_tbENKUlT_T0_E_clISt17integral_constantIbLb1EES11_EEDaSW_SX_EUlSW_E_NS1_11comp_targetILNS1_3genE4ELNS1_11target_archE910ELNS1_3gpuE8ELNS1_3repE0EEENS1_30default_config_static_selectorELNS0_4arch9wavefront6targetE0EEEvT1_.has_recursion, 0
	.set _ZN7rocprim17ROCPRIM_400000_NS6detail17trampoline_kernelINS0_14default_configENS1_27scan_by_key_config_selectorIiyEEZZNS1_16scan_by_key_implILNS1_25lookback_scan_determinismE0ELb0ES3_N6thrust23THRUST_200600_302600_NS6detail15normal_iteratorINS9_10device_ptrIiEEEENSB_INSC_IyEEEESG_yNS9_4plusIvEENS9_8equal_toIvEEyEE10hipError_tPvRmT2_T3_T4_T5_mT6_T7_P12ihipStream_tbENKUlT_T0_E_clISt17integral_constantIbLb1EES11_EEDaSW_SX_EUlSW_E_NS1_11comp_targetILNS1_3genE4ELNS1_11target_archE910ELNS1_3gpuE8ELNS1_3repE0EEENS1_30default_config_static_selectorELNS0_4arch9wavefront6targetE0EEEvT1_.has_indirect_call, 0
	.section	.AMDGPU.csdata,"",@progbits
; Kernel info:
; codeLenInByte = 0
; TotalNumSgprs: 0
; NumVgprs: 0
; ScratchSize: 0
; MemoryBound: 0
; FloatMode: 240
; IeeeMode: 1
; LDSByteSize: 0 bytes/workgroup (compile time only)
; SGPRBlocks: 0
; VGPRBlocks: 0
; NumSGPRsForWavesPerEU: 1
; NumVGPRsForWavesPerEU: 1
; Occupancy: 16
; WaveLimiterHint : 0
; COMPUTE_PGM_RSRC2:SCRATCH_EN: 0
; COMPUTE_PGM_RSRC2:USER_SGPR: 6
; COMPUTE_PGM_RSRC2:TRAP_HANDLER: 0
; COMPUTE_PGM_RSRC2:TGID_X_EN: 1
; COMPUTE_PGM_RSRC2:TGID_Y_EN: 0
; COMPUTE_PGM_RSRC2:TGID_Z_EN: 0
; COMPUTE_PGM_RSRC2:TIDIG_COMP_CNT: 0
	.section	.text._ZN7rocprim17ROCPRIM_400000_NS6detail17trampoline_kernelINS0_14default_configENS1_27scan_by_key_config_selectorIiyEEZZNS1_16scan_by_key_implILNS1_25lookback_scan_determinismE0ELb0ES3_N6thrust23THRUST_200600_302600_NS6detail15normal_iteratorINS9_10device_ptrIiEEEENSB_INSC_IyEEEESG_yNS9_4plusIvEENS9_8equal_toIvEEyEE10hipError_tPvRmT2_T3_T4_T5_mT6_T7_P12ihipStream_tbENKUlT_T0_E_clISt17integral_constantIbLb1EES11_EEDaSW_SX_EUlSW_E_NS1_11comp_targetILNS1_3genE3ELNS1_11target_archE908ELNS1_3gpuE7ELNS1_3repE0EEENS1_30default_config_static_selectorELNS0_4arch9wavefront6targetE0EEEvT1_,"axG",@progbits,_ZN7rocprim17ROCPRIM_400000_NS6detail17trampoline_kernelINS0_14default_configENS1_27scan_by_key_config_selectorIiyEEZZNS1_16scan_by_key_implILNS1_25lookback_scan_determinismE0ELb0ES3_N6thrust23THRUST_200600_302600_NS6detail15normal_iteratorINS9_10device_ptrIiEEEENSB_INSC_IyEEEESG_yNS9_4plusIvEENS9_8equal_toIvEEyEE10hipError_tPvRmT2_T3_T4_T5_mT6_T7_P12ihipStream_tbENKUlT_T0_E_clISt17integral_constantIbLb1EES11_EEDaSW_SX_EUlSW_E_NS1_11comp_targetILNS1_3genE3ELNS1_11target_archE908ELNS1_3gpuE7ELNS1_3repE0EEENS1_30default_config_static_selectorELNS0_4arch9wavefront6targetE0EEEvT1_,comdat
	.protected	_ZN7rocprim17ROCPRIM_400000_NS6detail17trampoline_kernelINS0_14default_configENS1_27scan_by_key_config_selectorIiyEEZZNS1_16scan_by_key_implILNS1_25lookback_scan_determinismE0ELb0ES3_N6thrust23THRUST_200600_302600_NS6detail15normal_iteratorINS9_10device_ptrIiEEEENSB_INSC_IyEEEESG_yNS9_4plusIvEENS9_8equal_toIvEEyEE10hipError_tPvRmT2_T3_T4_T5_mT6_T7_P12ihipStream_tbENKUlT_T0_E_clISt17integral_constantIbLb1EES11_EEDaSW_SX_EUlSW_E_NS1_11comp_targetILNS1_3genE3ELNS1_11target_archE908ELNS1_3gpuE7ELNS1_3repE0EEENS1_30default_config_static_selectorELNS0_4arch9wavefront6targetE0EEEvT1_ ; -- Begin function _ZN7rocprim17ROCPRIM_400000_NS6detail17trampoline_kernelINS0_14default_configENS1_27scan_by_key_config_selectorIiyEEZZNS1_16scan_by_key_implILNS1_25lookback_scan_determinismE0ELb0ES3_N6thrust23THRUST_200600_302600_NS6detail15normal_iteratorINS9_10device_ptrIiEEEENSB_INSC_IyEEEESG_yNS9_4plusIvEENS9_8equal_toIvEEyEE10hipError_tPvRmT2_T3_T4_T5_mT6_T7_P12ihipStream_tbENKUlT_T0_E_clISt17integral_constantIbLb1EES11_EEDaSW_SX_EUlSW_E_NS1_11comp_targetILNS1_3genE3ELNS1_11target_archE908ELNS1_3gpuE7ELNS1_3repE0EEENS1_30default_config_static_selectorELNS0_4arch9wavefront6targetE0EEEvT1_
	.globl	_ZN7rocprim17ROCPRIM_400000_NS6detail17trampoline_kernelINS0_14default_configENS1_27scan_by_key_config_selectorIiyEEZZNS1_16scan_by_key_implILNS1_25lookback_scan_determinismE0ELb0ES3_N6thrust23THRUST_200600_302600_NS6detail15normal_iteratorINS9_10device_ptrIiEEEENSB_INSC_IyEEEESG_yNS9_4plusIvEENS9_8equal_toIvEEyEE10hipError_tPvRmT2_T3_T4_T5_mT6_T7_P12ihipStream_tbENKUlT_T0_E_clISt17integral_constantIbLb1EES11_EEDaSW_SX_EUlSW_E_NS1_11comp_targetILNS1_3genE3ELNS1_11target_archE908ELNS1_3gpuE7ELNS1_3repE0EEENS1_30default_config_static_selectorELNS0_4arch9wavefront6targetE0EEEvT1_
	.p2align	8
	.type	_ZN7rocprim17ROCPRIM_400000_NS6detail17trampoline_kernelINS0_14default_configENS1_27scan_by_key_config_selectorIiyEEZZNS1_16scan_by_key_implILNS1_25lookback_scan_determinismE0ELb0ES3_N6thrust23THRUST_200600_302600_NS6detail15normal_iteratorINS9_10device_ptrIiEEEENSB_INSC_IyEEEESG_yNS9_4plusIvEENS9_8equal_toIvEEyEE10hipError_tPvRmT2_T3_T4_T5_mT6_T7_P12ihipStream_tbENKUlT_T0_E_clISt17integral_constantIbLb1EES11_EEDaSW_SX_EUlSW_E_NS1_11comp_targetILNS1_3genE3ELNS1_11target_archE908ELNS1_3gpuE7ELNS1_3repE0EEENS1_30default_config_static_selectorELNS0_4arch9wavefront6targetE0EEEvT1_,@function
_ZN7rocprim17ROCPRIM_400000_NS6detail17trampoline_kernelINS0_14default_configENS1_27scan_by_key_config_selectorIiyEEZZNS1_16scan_by_key_implILNS1_25lookback_scan_determinismE0ELb0ES3_N6thrust23THRUST_200600_302600_NS6detail15normal_iteratorINS9_10device_ptrIiEEEENSB_INSC_IyEEEESG_yNS9_4plusIvEENS9_8equal_toIvEEyEE10hipError_tPvRmT2_T3_T4_T5_mT6_T7_P12ihipStream_tbENKUlT_T0_E_clISt17integral_constantIbLb1EES11_EEDaSW_SX_EUlSW_E_NS1_11comp_targetILNS1_3genE3ELNS1_11target_archE908ELNS1_3gpuE7ELNS1_3repE0EEENS1_30default_config_static_selectorELNS0_4arch9wavefront6targetE0EEEvT1_: ; @_ZN7rocprim17ROCPRIM_400000_NS6detail17trampoline_kernelINS0_14default_configENS1_27scan_by_key_config_selectorIiyEEZZNS1_16scan_by_key_implILNS1_25lookback_scan_determinismE0ELb0ES3_N6thrust23THRUST_200600_302600_NS6detail15normal_iteratorINS9_10device_ptrIiEEEENSB_INSC_IyEEEESG_yNS9_4plusIvEENS9_8equal_toIvEEyEE10hipError_tPvRmT2_T3_T4_T5_mT6_T7_P12ihipStream_tbENKUlT_T0_E_clISt17integral_constantIbLb1EES11_EEDaSW_SX_EUlSW_E_NS1_11comp_targetILNS1_3genE3ELNS1_11target_archE908ELNS1_3gpuE7ELNS1_3repE0EEENS1_30default_config_static_selectorELNS0_4arch9wavefront6targetE0EEEvT1_
; %bb.0:
	.section	.rodata,"a",@progbits
	.p2align	6, 0x0
	.amdhsa_kernel _ZN7rocprim17ROCPRIM_400000_NS6detail17trampoline_kernelINS0_14default_configENS1_27scan_by_key_config_selectorIiyEEZZNS1_16scan_by_key_implILNS1_25lookback_scan_determinismE0ELb0ES3_N6thrust23THRUST_200600_302600_NS6detail15normal_iteratorINS9_10device_ptrIiEEEENSB_INSC_IyEEEESG_yNS9_4plusIvEENS9_8equal_toIvEEyEE10hipError_tPvRmT2_T3_T4_T5_mT6_T7_P12ihipStream_tbENKUlT_T0_E_clISt17integral_constantIbLb1EES11_EEDaSW_SX_EUlSW_E_NS1_11comp_targetILNS1_3genE3ELNS1_11target_archE908ELNS1_3gpuE7ELNS1_3repE0EEENS1_30default_config_static_selectorELNS0_4arch9wavefront6targetE0EEEvT1_
		.amdhsa_group_segment_fixed_size 0
		.amdhsa_private_segment_fixed_size 0
		.amdhsa_kernarg_size 136
		.amdhsa_user_sgpr_count 6
		.amdhsa_user_sgpr_private_segment_buffer 1
		.amdhsa_user_sgpr_dispatch_ptr 0
		.amdhsa_user_sgpr_queue_ptr 0
		.amdhsa_user_sgpr_kernarg_segment_ptr 1
		.amdhsa_user_sgpr_dispatch_id 0
		.amdhsa_user_sgpr_flat_scratch_init 0
		.amdhsa_user_sgpr_private_segment_size 0
		.amdhsa_wavefront_size32 1
		.amdhsa_uses_dynamic_stack 0
		.amdhsa_system_sgpr_private_segment_wavefront_offset 0
		.amdhsa_system_sgpr_workgroup_id_x 1
		.amdhsa_system_sgpr_workgroup_id_y 0
		.amdhsa_system_sgpr_workgroup_id_z 0
		.amdhsa_system_sgpr_workgroup_info 0
		.amdhsa_system_vgpr_workitem_id 0
		.amdhsa_next_free_vgpr 1
		.amdhsa_next_free_sgpr 1
		.amdhsa_reserve_vcc 0
		.amdhsa_reserve_flat_scratch 0
		.amdhsa_float_round_mode_32 0
		.amdhsa_float_round_mode_16_64 0
		.amdhsa_float_denorm_mode_32 3
		.amdhsa_float_denorm_mode_16_64 3
		.amdhsa_dx10_clamp 1
		.amdhsa_ieee_mode 1
		.amdhsa_fp16_overflow 0
		.amdhsa_workgroup_processor_mode 1
		.amdhsa_memory_ordered 1
		.amdhsa_forward_progress 1
		.amdhsa_shared_vgpr_count 0
		.amdhsa_exception_fp_ieee_invalid_op 0
		.amdhsa_exception_fp_denorm_src 0
		.amdhsa_exception_fp_ieee_div_zero 0
		.amdhsa_exception_fp_ieee_overflow 0
		.amdhsa_exception_fp_ieee_underflow 0
		.amdhsa_exception_fp_ieee_inexact 0
		.amdhsa_exception_int_div_zero 0
	.end_amdhsa_kernel
	.section	.text._ZN7rocprim17ROCPRIM_400000_NS6detail17trampoline_kernelINS0_14default_configENS1_27scan_by_key_config_selectorIiyEEZZNS1_16scan_by_key_implILNS1_25lookback_scan_determinismE0ELb0ES3_N6thrust23THRUST_200600_302600_NS6detail15normal_iteratorINS9_10device_ptrIiEEEENSB_INSC_IyEEEESG_yNS9_4plusIvEENS9_8equal_toIvEEyEE10hipError_tPvRmT2_T3_T4_T5_mT6_T7_P12ihipStream_tbENKUlT_T0_E_clISt17integral_constantIbLb1EES11_EEDaSW_SX_EUlSW_E_NS1_11comp_targetILNS1_3genE3ELNS1_11target_archE908ELNS1_3gpuE7ELNS1_3repE0EEENS1_30default_config_static_selectorELNS0_4arch9wavefront6targetE0EEEvT1_,"axG",@progbits,_ZN7rocprim17ROCPRIM_400000_NS6detail17trampoline_kernelINS0_14default_configENS1_27scan_by_key_config_selectorIiyEEZZNS1_16scan_by_key_implILNS1_25lookback_scan_determinismE0ELb0ES3_N6thrust23THRUST_200600_302600_NS6detail15normal_iteratorINS9_10device_ptrIiEEEENSB_INSC_IyEEEESG_yNS9_4plusIvEENS9_8equal_toIvEEyEE10hipError_tPvRmT2_T3_T4_T5_mT6_T7_P12ihipStream_tbENKUlT_T0_E_clISt17integral_constantIbLb1EES11_EEDaSW_SX_EUlSW_E_NS1_11comp_targetILNS1_3genE3ELNS1_11target_archE908ELNS1_3gpuE7ELNS1_3repE0EEENS1_30default_config_static_selectorELNS0_4arch9wavefront6targetE0EEEvT1_,comdat
.Lfunc_end1191:
	.size	_ZN7rocprim17ROCPRIM_400000_NS6detail17trampoline_kernelINS0_14default_configENS1_27scan_by_key_config_selectorIiyEEZZNS1_16scan_by_key_implILNS1_25lookback_scan_determinismE0ELb0ES3_N6thrust23THRUST_200600_302600_NS6detail15normal_iteratorINS9_10device_ptrIiEEEENSB_INSC_IyEEEESG_yNS9_4plusIvEENS9_8equal_toIvEEyEE10hipError_tPvRmT2_T3_T4_T5_mT6_T7_P12ihipStream_tbENKUlT_T0_E_clISt17integral_constantIbLb1EES11_EEDaSW_SX_EUlSW_E_NS1_11comp_targetILNS1_3genE3ELNS1_11target_archE908ELNS1_3gpuE7ELNS1_3repE0EEENS1_30default_config_static_selectorELNS0_4arch9wavefront6targetE0EEEvT1_, .Lfunc_end1191-_ZN7rocprim17ROCPRIM_400000_NS6detail17trampoline_kernelINS0_14default_configENS1_27scan_by_key_config_selectorIiyEEZZNS1_16scan_by_key_implILNS1_25lookback_scan_determinismE0ELb0ES3_N6thrust23THRUST_200600_302600_NS6detail15normal_iteratorINS9_10device_ptrIiEEEENSB_INSC_IyEEEESG_yNS9_4plusIvEENS9_8equal_toIvEEyEE10hipError_tPvRmT2_T3_T4_T5_mT6_T7_P12ihipStream_tbENKUlT_T0_E_clISt17integral_constantIbLb1EES11_EEDaSW_SX_EUlSW_E_NS1_11comp_targetILNS1_3genE3ELNS1_11target_archE908ELNS1_3gpuE7ELNS1_3repE0EEENS1_30default_config_static_selectorELNS0_4arch9wavefront6targetE0EEEvT1_
                                        ; -- End function
	.set _ZN7rocprim17ROCPRIM_400000_NS6detail17trampoline_kernelINS0_14default_configENS1_27scan_by_key_config_selectorIiyEEZZNS1_16scan_by_key_implILNS1_25lookback_scan_determinismE0ELb0ES3_N6thrust23THRUST_200600_302600_NS6detail15normal_iteratorINS9_10device_ptrIiEEEENSB_INSC_IyEEEESG_yNS9_4plusIvEENS9_8equal_toIvEEyEE10hipError_tPvRmT2_T3_T4_T5_mT6_T7_P12ihipStream_tbENKUlT_T0_E_clISt17integral_constantIbLb1EES11_EEDaSW_SX_EUlSW_E_NS1_11comp_targetILNS1_3genE3ELNS1_11target_archE908ELNS1_3gpuE7ELNS1_3repE0EEENS1_30default_config_static_selectorELNS0_4arch9wavefront6targetE0EEEvT1_.num_vgpr, 0
	.set _ZN7rocprim17ROCPRIM_400000_NS6detail17trampoline_kernelINS0_14default_configENS1_27scan_by_key_config_selectorIiyEEZZNS1_16scan_by_key_implILNS1_25lookback_scan_determinismE0ELb0ES3_N6thrust23THRUST_200600_302600_NS6detail15normal_iteratorINS9_10device_ptrIiEEEENSB_INSC_IyEEEESG_yNS9_4plusIvEENS9_8equal_toIvEEyEE10hipError_tPvRmT2_T3_T4_T5_mT6_T7_P12ihipStream_tbENKUlT_T0_E_clISt17integral_constantIbLb1EES11_EEDaSW_SX_EUlSW_E_NS1_11comp_targetILNS1_3genE3ELNS1_11target_archE908ELNS1_3gpuE7ELNS1_3repE0EEENS1_30default_config_static_selectorELNS0_4arch9wavefront6targetE0EEEvT1_.num_agpr, 0
	.set _ZN7rocprim17ROCPRIM_400000_NS6detail17trampoline_kernelINS0_14default_configENS1_27scan_by_key_config_selectorIiyEEZZNS1_16scan_by_key_implILNS1_25lookback_scan_determinismE0ELb0ES3_N6thrust23THRUST_200600_302600_NS6detail15normal_iteratorINS9_10device_ptrIiEEEENSB_INSC_IyEEEESG_yNS9_4plusIvEENS9_8equal_toIvEEyEE10hipError_tPvRmT2_T3_T4_T5_mT6_T7_P12ihipStream_tbENKUlT_T0_E_clISt17integral_constantIbLb1EES11_EEDaSW_SX_EUlSW_E_NS1_11comp_targetILNS1_3genE3ELNS1_11target_archE908ELNS1_3gpuE7ELNS1_3repE0EEENS1_30default_config_static_selectorELNS0_4arch9wavefront6targetE0EEEvT1_.numbered_sgpr, 0
	.set _ZN7rocprim17ROCPRIM_400000_NS6detail17trampoline_kernelINS0_14default_configENS1_27scan_by_key_config_selectorIiyEEZZNS1_16scan_by_key_implILNS1_25lookback_scan_determinismE0ELb0ES3_N6thrust23THRUST_200600_302600_NS6detail15normal_iteratorINS9_10device_ptrIiEEEENSB_INSC_IyEEEESG_yNS9_4plusIvEENS9_8equal_toIvEEyEE10hipError_tPvRmT2_T3_T4_T5_mT6_T7_P12ihipStream_tbENKUlT_T0_E_clISt17integral_constantIbLb1EES11_EEDaSW_SX_EUlSW_E_NS1_11comp_targetILNS1_3genE3ELNS1_11target_archE908ELNS1_3gpuE7ELNS1_3repE0EEENS1_30default_config_static_selectorELNS0_4arch9wavefront6targetE0EEEvT1_.num_named_barrier, 0
	.set _ZN7rocprim17ROCPRIM_400000_NS6detail17trampoline_kernelINS0_14default_configENS1_27scan_by_key_config_selectorIiyEEZZNS1_16scan_by_key_implILNS1_25lookback_scan_determinismE0ELb0ES3_N6thrust23THRUST_200600_302600_NS6detail15normal_iteratorINS9_10device_ptrIiEEEENSB_INSC_IyEEEESG_yNS9_4plusIvEENS9_8equal_toIvEEyEE10hipError_tPvRmT2_T3_T4_T5_mT6_T7_P12ihipStream_tbENKUlT_T0_E_clISt17integral_constantIbLb1EES11_EEDaSW_SX_EUlSW_E_NS1_11comp_targetILNS1_3genE3ELNS1_11target_archE908ELNS1_3gpuE7ELNS1_3repE0EEENS1_30default_config_static_selectorELNS0_4arch9wavefront6targetE0EEEvT1_.private_seg_size, 0
	.set _ZN7rocprim17ROCPRIM_400000_NS6detail17trampoline_kernelINS0_14default_configENS1_27scan_by_key_config_selectorIiyEEZZNS1_16scan_by_key_implILNS1_25lookback_scan_determinismE0ELb0ES3_N6thrust23THRUST_200600_302600_NS6detail15normal_iteratorINS9_10device_ptrIiEEEENSB_INSC_IyEEEESG_yNS9_4plusIvEENS9_8equal_toIvEEyEE10hipError_tPvRmT2_T3_T4_T5_mT6_T7_P12ihipStream_tbENKUlT_T0_E_clISt17integral_constantIbLb1EES11_EEDaSW_SX_EUlSW_E_NS1_11comp_targetILNS1_3genE3ELNS1_11target_archE908ELNS1_3gpuE7ELNS1_3repE0EEENS1_30default_config_static_selectorELNS0_4arch9wavefront6targetE0EEEvT1_.uses_vcc, 0
	.set _ZN7rocprim17ROCPRIM_400000_NS6detail17trampoline_kernelINS0_14default_configENS1_27scan_by_key_config_selectorIiyEEZZNS1_16scan_by_key_implILNS1_25lookback_scan_determinismE0ELb0ES3_N6thrust23THRUST_200600_302600_NS6detail15normal_iteratorINS9_10device_ptrIiEEEENSB_INSC_IyEEEESG_yNS9_4plusIvEENS9_8equal_toIvEEyEE10hipError_tPvRmT2_T3_T4_T5_mT6_T7_P12ihipStream_tbENKUlT_T0_E_clISt17integral_constantIbLb1EES11_EEDaSW_SX_EUlSW_E_NS1_11comp_targetILNS1_3genE3ELNS1_11target_archE908ELNS1_3gpuE7ELNS1_3repE0EEENS1_30default_config_static_selectorELNS0_4arch9wavefront6targetE0EEEvT1_.uses_flat_scratch, 0
	.set _ZN7rocprim17ROCPRIM_400000_NS6detail17trampoline_kernelINS0_14default_configENS1_27scan_by_key_config_selectorIiyEEZZNS1_16scan_by_key_implILNS1_25lookback_scan_determinismE0ELb0ES3_N6thrust23THRUST_200600_302600_NS6detail15normal_iteratorINS9_10device_ptrIiEEEENSB_INSC_IyEEEESG_yNS9_4plusIvEENS9_8equal_toIvEEyEE10hipError_tPvRmT2_T3_T4_T5_mT6_T7_P12ihipStream_tbENKUlT_T0_E_clISt17integral_constantIbLb1EES11_EEDaSW_SX_EUlSW_E_NS1_11comp_targetILNS1_3genE3ELNS1_11target_archE908ELNS1_3gpuE7ELNS1_3repE0EEENS1_30default_config_static_selectorELNS0_4arch9wavefront6targetE0EEEvT1_.has_dyn_sized_stack, 0
	.set _ZN7rocprim17ROCPRIM_400000_NS6detail17trampoline_kernelINS0_14default_configENS1_27scan_by_key_config_selectorIiyEEZZNS1_16scan_by_key_implILNS1_25lookback_scan_determinismE0ELb0ES3_N6thrust23THRUST_200600_302600_NS6detail15normal_iteratorINS9_10device_ptrIiEEEENSB_INSC_IyEEEESG_yNS9_4plusIvEENS9_8equal_toIvEEyEE10hipError_tPvRmT2_T3_T4_T5_mT6_T7_P12ihipStream_tbENKUlT_T0_E_clISt17integral_constantIbLb1EES11_EEDaSW_SX_EUlSW_E_NS1_11comp_targetILNS1_3genE3ELNS1_11target_archE908ELNS1_3gpuE7ELNS1_3repE0EEENS1_30default_config_static_selectorELNS0_4arch9wavefront6targetE0EEEvT1_.has_recursion, 0
	.set _ZN7rocprim17ROCPRIM_400000_NS6detail17trampoline_kernelINS0_14default_configENS1_27scan_by_key_config_selectorIiyEEZZNS1_16scan_by_key_implILNS1_25lookback_scan_determinismE0ELb0ES3_N6thrust23THRUST_200600_302600_NS6detail15normal_iteratorINS9_10device_ptrIiEEEENSB_INSC_IyEEEESG_yNS9_4plusIvEENS9_8equal_toIvEEyEE10hipError_tPvRmT2_T3_T4_T5_mT6_T7_P12ihipStream_tbENKUlT_T0_E_clISt17integral_constantIbLb1EES11_EEDaSW_SX_EUlSW_E_NS1_11comp_targetILNS1_3genE3ELNS1_11target_archE908ELNS1_3gpuE7ELNS1_3repE0EEENS1_30default_config_static_selectorELNS0_4arch9wavefront6targetE0EEEvT1_.has_indirect_call, 0
	.section	.AMDGPU.csdata,"",@progbits
; Kernel info:
; codeLenInByte = 0
; TotalNumSgprs: 0
; NumVgprs: 0
; ScratchSize: 0
; MemoryBound: 0
; FloatMode: 240
; IeeeMode: 1
; LDSByteSize: 0 bytes/workgroup (compile time only)
; SGPRBlocks: 0
; VGPRBlocks: 0
; NumSGPRsForWavesPerEU: 1
; NumVGPRsForWavesPerEU: 1
; Occupancy: 16
; WaveLimiterHint : 0
; COMPUTE_PGM_RSRC2:SCRATCH_EN: 0
; COMPUTE_PGM_RSRC2:USER_SGPR: 6
; COMPUTE_PGM_RSRC2:TRAP_HANDLER: 0
; COMPUTE_PGM_RSRC2:TGID_X_EN: 1
; COMPUTE_PGM_RSRC2:TGID_Y_EN: 0
; COMPUTE_PGM_RSRC2:TGID_Z_EN: 0
; COMPUTE_PGM_RSRC2:TIDIG_COMP_CNT: 0
	.section	.text._ZN7rocprim17ROCPRIM_400000_NS6detail17trampoline_kernelINS0_14default_configENS1_27scan_by_key_config_selectorIiyEEZZNS1_16scan_by_key_implILNS1_25lookback_scan_determinismE0ELb0ES3_N6thrust23THRUST_200600_302600_NS6detail15normal_iteratorINS9_10device_ptrIiEEEENSB_INSC_IyEEEESG_yNS9_4plusIvEENS9_8equal_toIvEEyEE10hipError_tPvRmT2_T3_T4_T5_mT6_T7_P12ihipStream_tbENKUlT_T0_E_clISt17integral_constantIbLb1EES11_EEDaSW_SX_EUlSW_E_NS1_11comp_targetILNS1_3genE2ELNS1_11target_archE906ELNS1_3gpuE6ELNS1_3repE0EEENS1_30default_config_static_selectorELNS0_4arch9wavefront6targetE0EEEvT1_,"axG",@progbits,_ZN7rocprim17ROCPRIM_400000_NS6detail17trampoline_kernelINS0_14default_configENS1_27scan_by_key_config_selectorIiyEEZZNS1_16scan_by_key_implILNS1_25lookback_scan_determinismE0ELb0ES3_N6thrust23THRUST_200600_302600_NS6detail15normal_iteratorINS9_10device_ptrIiEEEENSB_INSC_IyEEEESG_yNS9_4plusIvEENS9_8equal_toIvEEyEE10hipError_tPvRmT2_T3_T4_T5_mT6_T7_P12ihipStream_tbENKUlT_T0_E_clISt17integral_constantIbLb1EES11_EEDaSW_SX_EUlSW_E_NS1_11comp_targetILNS1_3genE2ELNS1_11target_archE906ELNS1_3gpuE6ELNS1_3repE0EEENS1_30default_config_static_selectorELNS0_4arch9wavefront6targetE0EEEvT1_,comdat
	.protected	_ZN7rocprim17ROCPRIM_400000_NS6detail17trampoline_kernelINS0_14default_configENS1_27scan_by_key_config_selectorIiyEEZZNS1_16scan_by_key_implILNS1_25lookback_scan_determinismE0ELb0ES3_N6thrust23THRUST_200600_302600_NS6detail15normal_iteratorINS9_10device_ptrIiEEEENSB_INSC_IyEEEESG_yNS9_4plusIvEENS9_8equal_toIvEEyEE10hipError_tPvRmT2_T3_T4_T5_mT6_T7_P12ihipStream_tbENKUlT_T0_E_clISt17integral_constantIbLb1EES11_EEDaSW_SX_EUlSW_E_NS1_11comp_targetILNS1_3genE2ELNS1_11target_archE906ELNS1_3gpuE6ELNS1_3repE0EEENS1_30default_config_static_selectorELNS0_4arch9wavefront6targetE0EEEvT1_ ; -- Begin function _ZN7rocprim17ROCPRIM_400000_NS6detail17trampoline_kernelINS0_14default_configENS1_27scan_by_key_config_selectorIiyEEZZNS1_16scan_by_key_implILNS1_25lookback_scan_determinismE0ELb0ES3_N6thrust23THRUST_200600_302600_NS6detail15normal_iteratorINS9_10device_ptrIiEEEENSB_INSC_IyEEEESG_yNS9_4plusIvEENS9_8equal_toIvEEyEE10hipError_tPvRmT2_T3_T4_T5_mT6_T7_P12ihipStream_tbENKUlT_T0_E_clISt17integral_constantIbLb1EES11_EEDaSW_SX_EUlSW_E_NS1_11comp_targetILNS1_3genE2ELNS1_11target_archE906ELNS1_3gpuE6ELNS1_3repE0EEENS1_30default_config_static_selectorELNS0_4arch9wavefront6targetE0EEEvT1_
	.globl	_ZN7rocprim17ROCPRIM_400000_NS6detail17trampoline_kernelINS0_14default_configENS1_27scan_by_key_config_selectorIiyEEZZNS1_16scan_by_key_implILNS1_25lookback_scan_determinismE0ELb0ES3_N6thrust23THRUST_200600_302600_NS6detail15normal_iteratorINS9_10device_ptrIiEEEENSB_INSC_IyEEEESG_yNS9_4plusIvEENS9_8equal_toIvEEyEE10hipError_tPvRmT2_T3_T4_T5_mT6_T7_P12ihipStream_tbENKUlT_T0_E_clISt17integral_constantIbLb1EES11_EEDaSW_SX_EUlSW_E_NS1_11comp_targetILNS1_3genE2ELNS1_11target_archE906ELNS1_3gpuE6ELNS1_3repE0EEENS1_30default_config_static_selectorELNS0_4arch9wavefront6targetE0EEEvT1_
	.p2align	8
	.type	_ZN7rocprim17ROCPRIM_400000_NS6detail17trampoline_kernelINS0_14default_configENS1_27scan_by_key_config_selectorIiyEEZZNS1_16scan_by_key_implILNS1_25lookback_scan_determinismE0ELb0ES3_N6thrust23THRUST_200600_302600_NS6detail15normal_iteratorINS9_10device_ptrIiEEEENSB_INSC_IyEEEESG_yNS9_4plusIvEENS9_8equal_toIvEEyEE10hipError_tPvRmT2_T3_T4_T5_mT6_T7_P12ihipStream_tbENKUlT_T0_E_clISt17integral_constantIbLb1EES11_EEDaSW_SX_EUlSW_E_NS1_11comp_targetILNS1_3genE2ELNS1_11target_archE906ELNS1_3gpuE6ELNS1_3repE0EEENS1_30default_config_static_selectorELNS0_4arch9wavefront6targetE0EEEvT1_,@function
_ZN7rocprim17ROCPRIM_400000_NS6detail17trampoline_kernelINS0_14default_configENS1_27scan_by_key_config_selectorIiyEEZZNS1_16scan_by_key_implILNS1_25lookback_scan_determinismE0ELb0ES3_N6thrust23THRUST_200600_302600_NS6detail15normal_iteratorINS9_10device_ptrIiEEEENSB_INSC_IyEEEESG_yNS9_4plusIvEENS9_8equal_toIvEEyEE10hipError_tPvRmT2_T3_T4_T5_mT6_T7_P12ihipStream_tbENKUlT_T0_E_clISt17integral_constantIbLb1EES11_EEDaSW_SX_EUlSW_E_NS1_11comp_targetILNS1_3genE2ELNS1_11target_archE906ELNS1_3gpuE6ELNS1_3repE0EEENS1_30default_config_static_selectorELNS0_4arch9wavefront6targetE0EEEvT1_: ; @_ZN7rocprim17ROCPRIM_400000_NS6detail17trampoline_kernelINS0_14default_configENS1_27scan_by_key_config_selectorIiyEEZZNS1_16scan_by_key_implILNS1_25lookback_scan_determinismE0ELb0ES3_N6thrust23THRUST_200600_302600_NS6detail15normal_iteratorINS9_10device_ptrIiEEEENSB_INSC_IyEEEESG_yNS9_4plusIvEENS9_8equal_toIvEEyEE10hipError_tPvRmT2_T3_T4_T5_mT6_T7_P12ihipStream_tbENKUlT_T0_E_clISt17integral_constantIbLb1EES11_EEDaSW_SX_EUlSW_E_NS1_11comp_targetILNS1_3genE2ELNS1_11target_archE906ELNS1_3gpuE6ELNS1_3repE0EEENS1_30default_config_static_selectorELNS0_4arch9wavefront6targetE0EEEvT1_
; %bb.0:
	.section	.rodata,"a",@progbits
	.p2align	6, 0x0
	.amdhsa_kernel _ZN7rocprim17ROCPRIM_400000_NS6detail17trampoline_kernelINS0_14default_configENS1_27scan_by_key_config_selectorIiyEEZZNS1_16scan_by_key_implILNS1_25lookback_scan_determinismE0ELb0ES3_N6thrust23THRUST_200600_302600_NS6detail15normal_iteratorINS9_10device_ptrIiEEEENSB_INSC_IyEEEESG_yNS9_4plusIvEENS9_8equal_toIvEEyEE10hipError_tPvRmT2_T3_T4_T5_mT6_T7_P12ihipStream_tbENKUlT_T0_E_clISt17integral_constantIbLb1EES11_EEDaSW_SX_EUlSW_E_NS1_11comp_targetILNS1_3genE2ELNS1_11target_archE906ELNS1_3gpuE6ELNS1_3repE0EEENS1_30default_config_static_selectorELNS0_4arch9wavefront6targetE0EEEvT1_
		.amdhsa_group_segment_fixed_size 0
		.amdhsa_private_segment_fixed_size 0
		.amdhsa_kernarg_size 136
		.amdhsa_user_sgpr_count 6
		.amdhsa_user_sgpr_private_segment_buffer 1
		.amdhsa_user_sgpr_dispatch_ptr 0
		.amdhsa_user_sgpr_queue_ptr 0
		.amdhsa_user_sgpr_kernarg_segment_ptr 1
		.amdhsa_user_sgpr_dispatch_id 0
		.amdhsa_user_sgpr_flat_scratch_init 0
		.amdhsa_user_sgpr_private_segment_size 0
		.amdhsa_wavefront_size32 1
		.amdhsa_uses_dynamic_stack 0
		.amdhsa_system_sgpr_private_segment_wavefront_offset 0
		.amdhsa_system_sgpr_workgroup_id_x 1
		.amdhsa_system_sgpr_workgroup_id_y 0
		.amdhsa_system_sgpr_workgroup_id_z 0
		.amdhsa_system_sgpr_workgroup_info 0
		.amdhsa_system_vgpr_workitem_id 0
		.amdhsa_next_free_vgpr 1
		.amdhsa_next_free_sgpr 1
		.amdhsa_reserve_vcc 0
		.amdhsa_reserve_flat_scratch 0
		.amdhsa_float_round_mode_32 0
		.amdhsa_float_round_mode_16_64 0
		.amdhsa_float_denorm_mode_32 3
		.amdhsa_float_denorm_mode_16_64 3
		.amdhsa_dx10_clamp 1
		.amdhsa_ieee_mode 1
		.amdhsa_fp16_overflow 0
		.amdhsa_workgroup_processor_mode 1
		.amdhsa_memory_ordered 1
		.amdhsa_forward_progress 1
		.amdhsa_shared_vgpr_count 0
		.amdhsa_exception_fp_ieee_invalid_op 0
		.amdhsa_exception_fp_denorm_src 0
		.amdhsa_exception_fp_ieee_div_zero 0
		.amdhsa_exception_fp_ieee_overflow 0
		.amdhsa_exception_fp_ieee_underflow 0
		.amdhsa_exception_fp_ieee_inexact 0
		.amdhsa_exception_int_div_zero 0
	.end_amdhsa_kernel
	.section	.text._ZN7rocprim17ROCPRIM_400000_NS6detail17trampoline_kernelINS0_14default_configENS1_27scan_by_key_config_selectorIiyEEZZNS1_16scan_by_key_implILNS1_25lookback_scan_determinismE0ELb0ES3_N6thrust23THRUST_200600_302600_NS6detail15normal_iteratorINS9_10device_ptrIiEEEENSB_INSC_IyEEEESG_yNS9_4plusIvEENS9_8equal_toIvEEyEE10hipError_tPvRmT2_T3_T4_T5_mT6_T7_P12ihipStream_tbENKUlT_T0_E_clISt17integral_constantIbLb1EES11_EEDaSW_SX_EUlSW_E_NS1_11comp_targetILNS1_3genE2ELNS1_11target_archE906ELNS1_3gpuE6ELNS1_3repE0EEENS1_30default_config_static_selectorELNS0_4arch9wavefront6targetE0EEEvT1_,"axG",@progbits,_ZN7rocprim17ROCPRIM_400000_NS6detail17trampoline_kernelINS0_14default_configENS1_27scan_by_key_config_selectorIiyEEZZNS1_16scan_by_key_implILNS1_25lookback_scan_determinismE0ELb0ES3_N6thrust23THRUST_200600_302600_NS6detail15normal_iteratorINS9_10device_ptrIiEEEENSB_INSC_IyEEEESG_yNS9_4plusIvEENS9_8equal_toIvEEyEE10hipError_tPvRmT2_T3_T4_T5_mT6_T7_P12ihipStream_tbENKUlT_T0_E_clISt17integral_constantIbLb1EES11_EEDaSW_SX_EUlSW_E_NS1_11comp_targetILNS1_3genE2ELNS1_11target_archE906ELNS1_3gpuE6ELNS1_3repE0EEENS1_30default_config_static_selectorELNS0_4arch9wavefront6targetE0EEEvT1_,comdat
.Lfunc_end1192:
	.size	_ZN7rocprim17ROCPRIM_400000_NS6detail17trampoline_kernelINS0_14default_configENS1_27scan_by_key_config_selectorIiyEEZZNS1_16scan_by_key_implILNS1_25lookback_scan_determinismE0ELb0ES3_N6thrust23THRUST_200600_302600_NS6detail15normal_iteratorINS9_10device_ptrIiEEEENSB_INSC_IyEEEESG_yNS9_4plusIvEENS9_8equal_toIvEEyEE10hipError_tPvRmT2_T3_T4_T5_mT6_T7_P12ihipStream_tbENKUlT_T0_E_clISt17integral_constantIbLb1EES11_EEDaSW_SX_EUlSW_E_NS1_11comp_targetILNS1_3genE2ELNS1_11target_archE906ELNS1_3gpuE6ELNS1_3repE0EEENS1_30default_config_static_selectorELNS0_4arch9wavefront6targetE0EEEvT1_, .Lfunc_end1192-_ZN7rocprim17ROCPRIM_400000_NS6detail17trampoline_kernelINS0_14default_configENS1_27scan_by_key_config_selectorIiyEEZZNS1_16scan_by_key_implILNS1_25lookback_scan_determinismE0ELb0ES3_N6thrust23THRUST_200600_302600_NS6detail15normal_iteratorINS9_10device_ptrIiEEEENSB_INSC_IyEEEESG_yNS9_4plusIvEENS9_8equal_toIvEEyEE10hipError_tPvRmT2_T3_T4_T5_mT6_T7_P12ihipStream_tbENKUlT_T0_E_clISt17integral_constantIbLb1EES11_EEDaSW_SX_EUlSW_E_NS1_11comp_targetILNS1_3genE2ELNS1_11target_archE906ELNS1_3gpuE6ELNS1_3repE0EEENS1_30default_config_static_selectorELNS0_4arch9wavefront6targetE0EEEvT1_
                                        ; -- End function
	.set _ZN7rocprim17ROCPRIM_400000_NS6detail17trampoline_kernelINS0_14default_configENS1_27scan_by_key_config_selectorIiyEEZZNS1_16scan_by_key_implILNS1_25lookback_scan_determinismE0ELb0ES3_N6thrust23THRUST_200600_302600_NS6detail15normal_iteratorINS9_10device_ptrIiEEEENSB_INSC_IyEEEESG_yNS9_4plusIvEENS9_8equal_toIvEEyEE10hipError_tPvRmT2_T3_T4_T5_mT6_T7_P12ihipStream_tbENKUlT_T0_E_clISt17integral_constantIbLb1EES11_EEDaSW_SX_EUlSW_E_NS1_11comp_targetILNS1_3genE2ELNS1_11target_archE906ELNS1_3gpuE6ELNS1_3repE0EEENS1_30default_config_static_selectorELNS0_4arch9wavefront6targetE0EEEvT1_.num_vgpr, 0
	.set _ZN7rocprim17ROCPRIM_400000_NS6detail17trampoline_kernelINS0_14default_configENS1_27scan_by_key_config_selectorIiyEEZZNS1_16scan_by_key_implILNS1_25lookback_scan_determinismE0ELb0ES3_N6thrust23THRUST_200600_302600_NS6detail15normal_iteratorINS9_10device_ptrIiEEEENSB_INSC_IyEEEESG_yNS9_4plusIvEENS9_8equal_toIvEEyEE10hipError_tPvRmT2_T3_T4_T5_mT6_T7_P12ihipStream_tbENKUlT_T0_E_clISt17integral_constantIbLb1EES11_EEDaSW_SX_EUlSW_E_NS1_11comp_targetILNS1_3genE2ELNS1_11target_archE906ELNS1_3gpuE6ELNS1_3repE0EEENS1_30default_config_static_selectorELNS0_4arch9wavefront6targetE0EEEvT1_.num_agpr, 0
	.set _ZN7rocprim17ROCPRIM_400000_NS6detail17trampoline_kernelINS0_14default_configENS1_27scan_by_key_config_selectorIiyEEZZNS1_16scan_by_key_implILNS1_25lookback_scan_determinismE0ELb0ES3_N6thrust23THRUST_200600_302600_NS6detail15normal_iteratorINS9_10device_ptrIiEEEENSB_INSC_IyEEEESG_yNS9_4plusIvEENS9_8equal_toIvEEyEE10hipError_tPvRmT2_T3_T4_T5_mT6_T7_P12ihipStream_tbENKUlT_T0_E_clISt17integral_constantIbLb1EES11_EEDaSW_SX_EUlSW_E_NS1_11comp_targetILNS1_3genE2ELNS1_11target_archE906ELNS1_3gpuE6ELNS1_3repE0EEENS1_30default_config_static_selectorELNS0_4arch9wavefront6targetE0EEEvT1_.numbered_sgpr, 0
	.set _ZN7rocprim17ROCPRIM_400000_NS6detail17trampoline_kernelINS0_14default_configENS1_27scan_by_key_config_selectorIiyEEZZNS1_16scan_by_key_implILNS1_25lookback_scan_determinismE0ELb0ES3_N6thrust23THRUST_200600_302600_NS6detail15normal_iteratorINS9_10device_ptrIiEEEENSB_INSC_IyEEEESG_yNS9_4plusIvEENS9_8equal_toIvEEyEE10hipError_tPvRmT2_T3_T4_T5_mT6_T7_P12ihipStream_tbENKUlT_T0_E_clISt17integral_constantIbLb1EES11_EEDaSW_SX_EUlSW_E_NS1_11comp_targetILNS1_3genE2ELNS1_11target_archE906ELNS1_3gpuE6ELNS1_3repE0EEENS1_30default_config_static_selectorELNS0_4arch9wavefront6targetE0EEEvT1_.num_named_barrier, 0
	.set _ZN7rocprim17ROCPRIM_400000_NS6detail17trampoline_kernelINS0_14default_configENS1_27scan_by_key_config_selectorIiyEEZZNS1_16scan_by_key_implILNS1_25lookback_scan_determinismE0ELb0ES3_N6thrust23THRUST_200600_302600_NS6detail15normal_iteratorINS9_10device_ptrIiEEEENSB_INSC_IyEEEESG_yNS9_4plusIvEENS9_8equal_toIvEEyEE10hipError_tPvRmT2_T3_T4_T5_mT6_T7_P12ihipStream_tbENKUlT_T0_E_clISt17integral_constantIbLb1EES11_EEDaSW_SX_EUlSW_E_NS1_11comp_targetILNS1_3genE2ELNS1_11target_archE906ELNS1_3gpuE6ELNS1_3repE0EEENS1_30default_config_static_selectorELNS0_4arch9wavefront6targetE0EEEvT1_.private_seg_size, 0
	.set _ZN7rocprim17ROCPRIM_400000_NS6detail17trampoline_kernelINS0_14default_configENS1_27scan_by_key_config_selectorIiyEEZZNS1_16scan_by_key_implILNS1_25lookback_scan_determinismE0ELb0ES3_N6thrust23THRUST_200600_302600_NS6detail15normal_iteratorINS9_10device_ptrIiEEEENSB_INSC_IyEEEESG_yNS9_4plusIvEENS9_8equal_toIvEEyEE10hipError_tPvRmT2_T3_T4_T5_mT6_T7_P12ihipStream_tbENKUlT_T0_E_clISt17integral_constantIbLb1EES11_EEDaSW_SX_EUlSW_E_NS1_11comp_targetILNS1_3genE2ELNS1_11target_archE906ELNS1_3gpuE6ELNS1_3repE0EEENS1_30default_config_static_selectorELNS0_4arch9wavefront6targetE0EEEvT1_.uses_vcc, 0
	.set _ZN7rocprim17ROCPRIM_400000_NS6detail17trampoline_kernelINS0_14default_configENS1_27scan_by_key_config_selectorIiyEEZZNS1_16scan_by_key_implILNS1_25lookback_scan_determinismE0ELb0ES3_N6thrust23THRUST_200600_302600_NS6detail15normal_iteratorINS9_10device_ptrIiEEEENSB_INSC_IyEEEESG_yNS9_4plusIvEENS9_8equal_toIvEEyEE10hipError_tPvRmT2_T3_T4_T5_mT6_T7_P12ihipStream_tbENKUlT_T0_E_clISt17integral_constantIbLb1EES11_EEDaSW_SX_EUlSW_E_NS1_11comp_targetILNS1_3genE2ELNS1_11target_archE906ELNS1_3gpuE6ELNS1_3repE0EEENS1_30default_config_static_selectorELNS0_4arch9wavefront6targetE0EEEvT1_.uses_flat_scratch, 0
	.set _ZN7rocprim17ROCPRIM_400000_NS6detail17trampoline_kernelINS0_14default_configENS1_27scan_by_key_config_selectorIiyEEZZNS1_16scan_by_key_implILNS1_25lookback_scan_determinismE0ELb0ES3_N6thrust23THRUST_200600_302600_NS6detail15normal_iteratorINS9_10device_ptrIiEEEENSB_INSC_IyEEEESG_yNS9_4plusIvEENS9_8equal_toIvEEyEE10hipError_tPvRmT2_T3_T4_T5_mT6_T7_P12ihipStream_tbENKUlT_T0_E_clISt17integral_constantIbLb1EES11_EEDaSW_SX_EUlSW_E_NS1_11comp_targetILNS1_3genE2ELNS1_11target_archE906ELNS1_3gpuE6ELNS1_3repE0EEENS1_30default_config_static_selectorELNS0_4arch9wavefront6targetE0EEEvT1_.has_dyn_sized_stack, 0
	.set _ZN7rocprim17ROCPRIM_400000_NS6detail17trampoline_kernelINS0_14default_configENS1_27scan_by_key_config_selectorIiyEEZZNS1_16scan_by_key_implILNS1_25lookback_scan_determinismE0ELb0ES3_N6thrust23THRUST_200600_302600_NS6detail15normal_iteratorINS9_10device_ptrIiEEEENSB_INSC_IyEEEESG_yNS9_4plusIvEENS9_8equal_toIvEEyEE10hipError_tPvRmT2_T3_T4_T5_mT6_T7_P12ihipStream_tbENKUlT_T0_E_clISt17integral_constantIbLb1EES11_EEDaSW_SX_EUlSW_E_NS1_11comp_targetILNS1_3genE2ELNS1_11target_archE906ELNS1_3gpuE6ELNS1_3repE0EEENS1_30default_config_static_selectorELNS0_4arch9wavefront6targetE0EEEvT1_.has_recursion, 0
	.set _ZN7rocprim17ROCPRIM_400000_NS6detail17trampoline_kernelINS0_14default_configENS1_27scan_by_key_config_selectorIiyEEZZNS1_16scan_by_key_implILNS1_25lookback_scan_determinismE0ELb0ES3_N6thrust23THRUST_200600_302600_NS6detail15normal_iteratorINS9_10device_ptrIiEEEENSB_INSC_IyEEEESG_yNS9_4plusIvEENS9_8equal_toIvEEyEE10hipError_tPvRmT2_T3_T4_T5_mT6_T7_P12ihipStream_tbENKUlT_T0_E_clISt17integral_constantIbLb1EES11_EEDaSW_SX_EUlSW_E_NS1_11comp_targetILNS1_3genE2ELNS1_11target_archE906ELNS1_3gpuE6ELNS1_3repE0EEENS1_30default_config_static_selectorELNS0_4arch9wavefront6targetE0EEEvT1_.has_indirect_call, 0
	.section	.AMDGPU.csdata,"",@progbits
; Kernel info:
; codeLenInByte = 0
; TotalNumSgprs: 0
; NumVgprs: 0
; ScratchSize: 0
; MemoryBound: 0
; FloatMode: 240
; IeeeMode: 1
; LDSByteSize: 0 bytes/workgroup (compile time only)
; SGPRBlocks: 0
; VGPRBlocks: 0
; NumSGPRsForWavesPerEU: 1
; NumVGPRsForWavesPerEU: 1
; Occupancy: 16
; WaveLimiterHint : 0
; COMPUTE_PGM_RSRC2:SCRATCH_EN: 0
; COMPUTE_PGM_RSRC2:USER_SGPR: 6
; COMPUTE_PGM_RSRC2:TRAP_HANDLER: 0
; COMPUTE_PGM_RSRC2:TGID_X_EN: 1
; COMPUTE_PGM_RSRC2:TGID_Y_EN: 0
; COMPUTE_PGM_RSRC2:TGID_Z_EN: 0
; COMPUTE_PGM_RSRC2:TIDIG_COMP_CNT: 0
	.section	.text._ZN7rocprim17ROCPRIM_400000_NS6detail17trampoline_kernelINS0_14default_configENS1_27scan_by_key_config_selectorIiyEEZZNS1_16scan_by_key_implILNS1_25lookback_scan_determinismE0ELb0ES3_N6thrust23THRUST_200600_302600_NS6detail15normal_iteratorINS9_10device_ptrIiEEEENSB_INSC_IyEEEESG_yNS9_4plusIvEENS9_8equal_toIvEEyEE10hipError_tPvRmT2_T3_T4_T5_mT6_T7_P12ihipStream_tbENKUlT_T0_E_clISt17integral_constantIbLb1EES11_EEDaSW_SX_EUlSW_E_NS1_11comp_targetILNS1_3genE10ELNS1_11target_archE1200ELNS1_3gpuE4ELNS1_3repE0EEENS1_30default_config_static_selectorELNS0_4arch9wavefront6targetE0EEEvT1_,"axG",@progbits,_ZN7rocprim17ROCPRIM_400000_NS6detail17trampoline_kernelINS0_14default_configENS1_27scan_by_key_config_selectorIiyEEZZNS1_16scan_by_key_implILNS1_25lookback_scan_determinismE0ELb0ES3_N6thrust23THRUST_200600_302600_NS6detail15normal_iteratorINS9_10device_ptrIiEEEENSB_INSC_IyEEEESG_yNS9_4plusIvEENS9_8equal_toIvEEyEE10hipError_tPvRmT2_T3_T4_T5_mT6_T7_P12ihipStream_tbENKUlT_T0_E_clISt17integral_constantIbLb1EES11_EEDaSW_SX_EUlSW_E_NS1_11comp_targetILNS1_3genE10ELNS1_11target_archE1200ELNS1_3gpuE4ELNS1_3repE0EEENS1_30default_config_static_selectorELNS0_4arch9wavefront6targetE0EEEvT1_,comdat
	.protected	_ZN7rocprim17ROCPRIM_400000_NS6detail17trampoline_kernelINS0_14default_configENS1_27scan_by_key_config_selectorIiyEEZZNS1_16scan_by_key_implILNS1_25lookback_scan_determinismE0ELb0ES3_N6thrust23THRUST_200600_302600_NS6detail15normal_iteratorINS9_10device_ptrIiEEEENSB_INSC_IyEEEESG_yNS9_4plusIvEENS9_8equal_toIvEEyEE10hipError_tPvRmT2_T3_T4_T5_mT6_T7_P12ihipStream_tbENKUlT_T0_E_clISt17integral_constantIbLb1EES11_EEDaSW_SX_EUlSW_E_NS1_11comp_targetILNS1_3genE10ELNS1_11target_archE1200ELNS1_3gpuE4ELNS1_3repE0EEENS1_30default_config_static_selectorELNS0_4arch9wavefront6targetE0EEEvT1_ ; -- Begin function _ZN7rocprim17ROCPRIM_400000_NS6detail17trampoline_kernelINS0_14default_configENS1_27scan_by_key_config_selectorIiyEEZZNS1_16scan_by_key_implILNS1_25lookback_scan_determinismE0ELb0ES3_N6thrust23THRUST_200600_302600_NS6detail15normal_iteratorINS9_10device_ptrIiEEEENSB_INSC_IyEEEESG_yNS9_4plusIvEENS9_8equal_toIvEEyEE10hipError_tPvRmT2_T3_T4_T5_mT6_T7_P12ihipStream_tbENKUlT_T0_E_clISt17integral_constantIbLb1EES11_EEDaSW_SX_EUlSW_E_NS1_11comp_targetILNS1_3genE10ELNS1_11target_archE1200ELNS1_3gpuE4ELNS1_3repE0EEENS1_30default_config_static_selectorELNS0_4arch9wavefront6targetE0EEEvT1_
	.globl	_ZN7rocprim17ROCPRIM_400000_NS6detail17trampoline_kernelINS0_14default_configENS1_27scan_by_key_config_selectorIiyEEZZNS1_16scan_by_key_implILNS1_25lookback_scan_determinismE0ELb0ES3_N6thrust23THRUST_200600_302600_NS6detail15normal_iteratorINS9_10device_ptrIiEEEENSB_INSC_IyEEEESG_yNS9_4plusIvEENS9_8equal_toIvEEyEE10hipError_tPvRmT2_T3_T4_T5_mT6_T7_P12ihipStream_tbENKUlT_T0_E_clISt17integral_constantIbLb1EES11_EEDaSW_SX_EUlSW_E_NS1_11comp_targetILNS1_3genE10ELNS1_11target_archE1200ELNS1_3gpuE4ELNS1_3repE0EEENS1_30default_config_static_selectorELNS0_4arch9wavefront6targetE0EEEvT1_
	.p2align	8
	.type	_ZN7rocprim17ROCPRIM_400000_NS6detail17trampoline_kernelINS0_14default_configENS1_27scan_by_key_config_selectorIiyEEZZNS1_16scan_by_key_implILNS1_25lookback_scan_determinismE0ELb0ES3_N6thrust23THRUST_200600_302600_NS6detail15normal_iteratorINS9_10device_ptrIiEEEENSB_INSC_IyEEEESG_yNS9_4plusIvEENS9_8equal_toIvEEyEE10hipError_tPvRmT2_T3_T4_T5_mT6_T7_P12ihipStream_tbENKUlT_T0_E_clISt17integral_constantIbLb1EES11_EEDaSW_SX_EUlSW_E_NS1_11comp_targetILNS1_3genE10ELNS1_11target_archE1200ELNS1_3gpuE4ELNS1_3repE0EEENS1_30default_config_static_selectorELNS0_4arch9wavefront6targetE0EEEvT1_,@function
_ZN7rocprim17ROCPRIM_400000_NS6detail17trampoline_kernelINS0_14default_configENS1_27scan_by_key_config_selectorIiyEEZZNS1_16scan_by_key_implILNS1_25lookback_scan_determinismE0ELb0ES3_N6thrust23THRUST_200600_302600_NS6detail15normal_iteratorINS9_10device_ptrIiEEEENSB_INSC_IyEEEESG_yNS9_4plusIvEENS9_8equal_toIvEEyEE10hipError_tPvRmT2_T3_T4_T5_mT6_T7_P12ihipStream_tbENKUlT_T0_E_clISt17integral_constantIbLb1EES11_EEDaSW_SX_EUlSW_E_NS1_11comp_targetILNS1_3genE10ELNS1_11target_archE1200ELNS1_3gpuE4ELNS1_3repE0EEENS1_30default_config_static_selectorELNS0_4arch9wavefront6targetE0EEEvT1_: ; @_ZN7rocprim17ROCPRIM_400000_NS6detail17trampoline_kernelINS0_14default_configENS1_27scan_by_key_config_selectorIiyEEZZNS1_16scan_by_key_implILNS1_25lookback_scan_determinismE0ELb0ES3_N6thrust23THRUST_200600_302600_NS6detail15normal_iteratorINS9_10device_ptrIiEEEENSB_INSC_IyEEEESG_yNS9_4plusIvEENS9_8equal_toIvEEyEE10hipError_tPvRmT2_T3_T4_T5_mT6_T7_P12ihipStream_tbENKUlT_T0_E_clISt17integral_constantIbLb1EES11_EEDaSW_SX_EUlSW_E_NS1_11comp_targetILNS1_3genE10ELNS1_11target_archE1200ELNS1_3gpuE4ELNS1_3repE0EEENS1_30default_config_static_selectorELNS0_4arch9wavefront6targetE0EEEvT1_
; %bb.0:
	.section	.rodata,"a",@progbits
	.p2align	6, 0x0
	.amdhsa_kernel _ZN7rocprim17ROCPRIM_400000_NS6detail17trampoline_kernelINS0_14default_configENS1_27scan_by_key_config_selectorIiyEEZZNS1_16scan_by_key_implILNS1_25lookback_scan_determinismE0ELb0ES3_N6thrust23THRUST_200600_302600_NS6detail15normal_iteratorINS9_10device_ptrIiEEEENSB_INSC_IyEEEESG_yNS9_4plusIvEENS9_8equal_toIvEEyEE10hipError_tPvRmT2_T3_T4_T5_mT6_T7_P12ihipStream_tbENKUlT_T0_E_clISt17integral_constantIbLb1EES11_EEDaSW_SX_EUlSW_E_NS1_11comp_targetILNS1_3genE10ELNS1_11target_archE1200ELNS1_3gpuE4ELNS1_3repE0EEENS1_30default_config_static_selectorELNS0_4arch9wavefront6targetE0EEEvT1_
		.amdhsa_group_segment_fixed_size 0
		.amdhsa_private_segment_fixed_size 0
		.amdhsa_kernarg_size 136
		.amdhsa_user_sgpr_count 6
		.amdhsa_user_sgpr_private_segment_buffer 1
		.amdhsa_user_sgpr_dispatch_ptr 0
		.amdhsa_user_sgpr_queue_ptr 0
		.amdhsa_user_sgpr_kernarg_segment_ptr 1
		.amdhsa_user_sgpr_dispatch_id 0
		.amdhsa_user_sgpr_flat_scratch_init 0
		.amdhsa_user_sgpr_private_segment_size 0
		.amdhsa_wavefront_size32 1
		.amdhsa_uses_dynamic_stack 0
		.amdhsa_system_sgpr_private_segment_wavefront_offset 0
		.amdhsa_system_sgpr_workgroup_id_x 1
		.amdhsa_system_sgpr_workgroup_id_y 0
		.amdhsa_system_sgpr_workgroup_id_z 0
		.amdhsa_system_sgpr_workgroup_info 0
		.amdhsa_system_vgpr_workitem_id 0
		.amdhsa_next_free_vgpr 1
		.amdhsa_next_free_sgpr 1
		.amdhsa_reserve_vcc 0
		.amdhsa_reserve_flat_scratch 0
		.amdhsa_float_round_mode_32 0
		.amdhsa_float_round_mode_16_64 0
		.amdhsa_float_denorm_mode_32 3
		.amdhsa_float_denorm_mode_16_64 3
		.amdhsa_dx10_clamp 1
		.amdhsa_ieee_mode 1
		.amdhsa_fp16_overflow 0
		.amdhsa_workgroup_processor_mode 1
		.amdhsa_memory_ordered 1
		.amdhsa_forward_progress 1
		.amdhsa_shared_vgpr_count 0
		.amdhsa_exception_fp_ieee_invalid_op 0
		.amdhsa_exception_fp_denorm_src 0
		.amdhsa_exception_fp_ieee_div_zero 0
		.amdhsa_exception_fp_ieee_overflow 0
		.amdhsa_exception_fp_ieee_underflow 0
		.amdhsa_exception_fp_ieee_inexact 0
		.amdhsa_exception_int_div_zero 0
	.end_amdhsa_kernel
	.section	.text._ZN7rocprim17ROCPRIM_400000_NS6detail17trampoline_kernelINS0_14default_configENS1_27scan_by_key_config_selectorIiyEEZZNS1_16scan_by_key_implILNS1_25lookback_scan_determinismE0ELb0ES3_N6thrust23THRUST_200600_302600_NS6detail15normal_iteratorINS9_10device_ptrIiEEEENSB_INSC_IyEEEESG_yNS9_4plusIvEENS9_8equal_toIvEEyEE10hipError_tPvRmT2_T3_T4_T5_mT6_T7_P12ihipStream_tbENKUlT_T0_E_clISt17integral_constantIbLb1EES11_EEDaSW_SX_EUlSW_E_NS1_11comp_targetILNS1_3genE10ELNS1_11target_archE1200ELNS1_3gpuE4ELNS1_3repE0EEENS1_30default_config_static_selectorELNS0_4arch9wavefront6targetE0EEEvT1_,"axG",@progbits,_ZN7rocprim17ROCPRIM_400000_NS6detail17trampoline_kernelINS0_14default_configENS1_27scan_by_key_config_selectorIiyEEZZNS1_16scan_by_key_implILNS1_25lookback_scan_determinismE0ELb0ES3_N6thrust23THRUST_200600_302600_NS6detail15normal_iteratorINS9_10device_ptrIiEEEENSB_INSC_IyEEEESG_yNS9_4plusIvEENS9_8equal_toIvEEyEE10hipError_tPvRmT2_T3_T4_T5_mT6_T7_P12ihipStream_tbENKUlT_T0_E_clISt17integral_constantIbLb1EES11_EEDaSW_SX_EUlSW_E_NS1_11comp_targetILNS1_3genE10ELNS1_11target_archE1200ELNS1_3gpuE4ELNS1_3repE0EEENS1_30default_config_static_selectorELNS0_4arch9wavefront6targetE0EEEvT1_,comdat
.Lfunc_end1193:
	.size	_ZN7rocprim17ROCPRIM_400000_NS6detail17trampoline_kernelINS0_14default_configENS1_27scan_by_key_config_selectorIiyEEZZNS1_16scan_by_key_implILNS1_25lookback_scan_determinismE0ELb0ES3_N6thrust23THRUST_200600_302600_NS6detail15normal_iteratorINS9_10device_ptrIiEEEENSB_INSC_IyEEEESG_yNS9_4plusIvEENS9_8equal_toIvEEyEE10hipError_tPvRmT2_T3_T4_T5_mT6_T7_P12ihipStream_tbENKUlT_T0_E_clISt17integral_constantIbLb1EES11_EEDaSW_SX_EUlSW_E_NS1_11comp_targetILNS1_3genE10ELNS1_11target_archE1200ELNS1_3gpuE4ELNS1_3repE0EEENS1_30default_config_static_selectorELNS0_4arch9wavefront6targetE0EEEvT1_, .Lfunc_end1193-_ZN7rocprim17ROCPRIM_400000_NS6detail17trampoline_kernelINS0_14default_configENS1_27scan_by_key_config_selectorIiyEEZZNS1_16scan_by_key_implILNS1_25lookback_scan_determinismE0ELb0ES3_N6thrust23THRUST_200600_302600_NS6detail15normal_iteratorINS9_10device_ptrIiEEEENSB_INSC_IyEEEESG_yNS9_4plusIvEENS9_8equal_toIvEEyEE10hipError_tPvRmT2_T3_T4_T5_mT6_T7_P12ihipStream_tbENKUlT_T0_E_clISt17integral_constantIbLb1EES11_EEDaSW_SX_EUlSW_E_NS1_11comp_targetILNS1_3genE10ELNS1_11target_archE1200ELNS1_3gpuE4ELNS1_3repE0EEENS1_30default_config_static_selectorELNS0_4arch9wavefront6targetE0EEEvT1_
                                        ; -- End function
	.set _ZN7rocprim17ROCPRIM_400000_NS6detail17trampoline_kernelINS0_14default_configENS1_27scan_by_key_config_selectorIiyEEZZNS1_16scan_by_key_implILNS1_25lookback_scan_determinismE0ELb0ES3_N6thrust23THRUST_200600_302600_NS6detail15normal_iteratorINS9_10device_ptrIiEEEENSB_INSC_IyEEEESG_yNS9_4plusIvEENS9_8equal_toIvEEyEE10hipError_tPvRmT2_T3_T4_T5_mT6_T7_P12ihipStream_tbENKUlT_T0_E_clISt17integral_constantIbLb1EES11_EEDaSW_SX_EUlSW_E_NS1_11comp_targetILNS1_3genE10ELNS1_11target_archE1200ELNS1_3gpuE4ELNS1_3repE0EEENS1_30default_config_static_selectorELNS0_4arch9wavefront6targetE0EEEvT1_.num_vgpr, 0
	.set _ZN7rocprim17ROCPRIM_400000_NS6detail17trampoline_kernelINS0_14default_configENS1_27scan_by_key_config_selectorIiyEEZZNS1_16scan_by_key_implILNS1_25lookback_scan_determinismE0ELb0ES3_N6thrust23THRUST_200600_302600_NS6detail15normal_iteratorINS9_10device_ptrIiEEEENSB_INSC_IyEEEESG_yNS9_4plusIvEENS9_8equal_toIvEEyEE10hipError_tPvRmT2_T3_T4_T5_mT6_T7_P12ihipStream_tbENKUlT_T0_E_clISt17integral_constantIbLb1EES11_EEDaSW_SX_EUlSW_E_NS1_11comp_targetILNS1_3genE10ELNS1_11target_archE1200ELNS1_3gpuE4ELNS1_3repE0EEENS1_30default_config_static_selectorELNS0_4arch9wavefront6targetE0EEEvT1_.num_agpr, 0
	.set _ZN7rocprim17ROCPRIM_400000_NS6detail17trampoline_kernelINS0_14default_configENS1_27scan_by_key_config_selectorIiyEEZZNS1_16scan_by_key_implILNS1_25lookback_scan_determinismE0ELb0ES3_N6thrust23THRUST_200600_302600_NS6detail15normal_iteratorINS9_10device_ptrIiEEEENSB_INSC_IyEEEESG_yNS9_4plusIvEENS9_8equal_toIvEEyEE10hipError_tPvRmT2_T3_T4_T5_mT6_T7_P12ihipStream_tbENKUlT_T0_E_clISt17integral_constantIbLb1EES11_EEDaSW_SX_EUlSW_E_NS1_11comp_targetILNS1_3genE10ELNS1_11target_archE1200ELNS1_3gpuE4ELNS1_3repE0EEENS1_30default_config_static_selectorELNS0_4arch9wavefront6targetE0EEEvT1_.numbered_sgpr, 0
	.set _ZN7rocprim17ROCPRIM_400000_NS6detail17trampoline_kernelINS0_14default_configENS1_27scan_by_key_config_selectorIiyEEZZNS1_16scan_by_key_implILNS1_25lookback_scan_determinismE0ELb0ES3_N6thrust23THRUST_200600_302600_NS6detail15normal_iteratorINS9_10device_ptrIiEEEENSB_INSC_IyEEEESG_yNS9_4plusIvEENS9_8equal_toIvEEyEE10hipError_tPvRmT2_T3_T4_T5_mT6_T7_P12ihipStream_tbENKUlT_T0_E_clISt17integral_constantIbLb1EES11_EEDaSW_SX_EUlSW_E_NS1_11comp_targetILNS1_3genE10ELNS1_11target_archE1200ELNS1_3gpuE4ELNS1_3repE0EEENS1_30default_config_static_selectorELNS0_4arch9wavefront6targetE0EEEvT1_.num_named_barrier, 0
	.set _ZN7rocprim17ROCPRIM_400000_NS6detail17trampoline_kernelINS0_14default_configENS1_27scan_by_key_config_selectorIiyEEZZNS1_16scan_by_key_implILNS1_25lookback_scan_determinismE0ELb0ES3_N6thrust23THRUST_200600_302600_NS6detail15normal_iteratorINS9_10device_ptrIiEEEENSB_INSC_IyEEEESG_yNS9_4plusIvEENS9_8equal_toIvEEyEE10hipError_tPvRmT2_T3_T4_T5_mT6_T7_P12ihipStream_tbENKUlT_T0_E_clISt17integral_constantIbLb1EES11_EEDaSW_SX_EUlSW_E_NS1_11comp_targetILNS1_3genE10ELNS1_11target_archE1200ELNS1_3gpuE4ELNS1_3repE0EEENS1_30default_config_static_selectorELNS0_4arch9wavefront6targetE0EEEvT1_.private_seg_size, 0
	.set _ZN7rocprim17ROCPRIM_400000_NS6detail17trampoline_kernelINS0_14default_configENS1_27scan_by_key_config_selectorIiyEEZZNS1_16scan_by_key_implILNS1_25lookback_scan_determinismE0ELb0ES3_N6thrust23THRUST_200600_302600_NS6detail15normal_iteratorINS9_10device_ptrIiEEEENSB_INSC_IyEEEESG_yNS9_4plusIvEENS9_8equal_toIvEEyEE10hipError_tPvRmT2_T3_T4_T5_mT6_T7_P12ihipStream_tbENKUlT_T0_E_clISt17integral_constantIbLb1EES11_EEDaSW_SX_EUlSW_E_NS1_11comp_targetILNS1_3genE10ELNS1_11target_archE1200ELNS1_3gpuE4ELNS1_3repE0EEENS1_30default_config_static_selectorELNS0_4arch9wavefront6targetE0EEEvT1_.uses_vcc, 0
	.set _ZN7rocprim17ROCPRIM_400000_NS6detail17trampoline_kernelINS0_14default_configENS1_27scan_by_key_config_selectorIiyEEZZNS1_16scan_by_key_implILNS1_25lookback_scan_determinismE0ELb0ES3_N6thrust23THRUST_200600_302600_NS6detail15normal_iteratorINS9_10device_ptrIiEEEENSB_INSC_IyEEEESG_yNS9_4plusIvEENS9_8equal_toIvEEyEE10hipError_tPvRmT2_T3_T4_T5_mT6_T7_P12ihipStream_tbENKUlT_T0_E_clISt17integral_constantIbLb1EES11_EEDaSW_SX_EUlSW_E_NS1_11comp_targetILNS1_3genE10ELNS1_11target_archE1200ELNS1_3gpuE4ELNS1_3repE0EEENS1_30default_config_static_selectorELNS0_4arch9wavefront6targetE0EEEvT1_.uses_flat_scratch, 0
	.set _ZN7rocprim17ROCPRIM_400000_NS6detail17trampoline_kernelINS0_14default_configENS1_27scan_by_key_config_selectorIiyEEZZNS1_16scan_by_key_implILNS1_25lookback_scan_determinismE0ELb0ES3_N6thrust23THRUST_200600_302600_NS6detail15normal_iteratorINS9_10device_ptrIiEEEENSB_INSC_IyEEEESG_yNS9_4plusIvEENS9_8equal_toIvEEyEE10hipError_tPvRmT2_T3_T4_T5_mT6_T7_P12ihipStream_tbENKUlT_T0_E_clISt17integral_constantIbLb1EES11_EEDaSW_SX_EUlSW_E_NS1_11comp_targetILNS1_3genE10ELNS1_11target_archE1200ELNS1_3gpuE4ELNS1_3repE0EEENS1_30default_config_static_selectorELNS0_4arch9wavefront6targetE0EEEvT1_.has_dyn_sized_stack, 0
	.set _ZN7rocprim17ROCPRIM_400000_NS6detail17trampoline_kernelINS0_14default_configENS1_27scan_by_key_config_selectorIiyEEZZNS1_16scan_by_key_implILNS1_25lookback_scan_determinismE0ELb0ES3_N6thrust23THRUST_200600_302600_NS6detail15normal_iteratorINS9_10device_ptrIiEEEENSB_INSC_IyEEEESG_yNS9_4plusIvEENS9_8equal_toIvEEyEE10hipError_tPvRmT2_T3_T4_T5_mT6_T7_P12ihipStream_tbENKUlT_T0_E_clISt17integral_constantIbLb1EES11_EEDaSW_SX_EUlSW_E_NS1_11comp_targetILNS1_3genE10ELNS1_11target_archE1200ELNS1_3gpuE4ELNS1_3repE0EEENS1_30default_config_static_selectorELNS0_4arch9wavefront6targetE0EEEvT1_.has_recursion, 0
	.set _ZN7rocprim17ROCPRIM_400000_NS6detail17trampoline_kernelINS0_14default_configENS1_27scan_by_key_config_selectorIiyEEZZNS1_16scan_by_key_implILNS1_25lookback_scan_determinismE0ELb0ES3_N6thrust23THRUST_200600_302600_NS6detail15normal_iteratorINS9_10device_ptrIiEEEENSB_INSC_IyEEEESG_yNS9_4plusIvEENS9_8equal_toIvEEyEE10hipError_tPvRmT2_T3_T4_T5_mT6_T7_P12ihipStream_tbENKUlT_T0_E_clISt17integral_constantIbLb1EES11_EEDaSW_SX_EUlSW_E_NS1_11comp_targetILNS1_3genE10ELNS1_11target_archE1200ELNS1_3gpuE4ELNS1_3repE0EEENS1_30default_config_static_selectorELNS0_4arch9wavefront6targetE0EEEvT1_.has_indirect_call, 0
	.section	.AMDGPU.csdata,"",@progbits
; Kernel info:
; codeLenInByte = 0
; TotalNumSgprs: 0
; NumVgprs: 0
; ScratchSize: 0
; MemoryBound: 0
; FloatMode: 240
; IeeeMode: 1
; LDSByteSize: 0 bytes/workgroup (compile time only)
; SGPRBlocks: 0
; VGPRBlocks: 0
; NumSGPRsForWavesPerEU: 1
; NumVGPRsForWavesPerEU: 1
; Occupancy: 16
; WaveLimiterHint : 0
; COMPUTE_PGM_RSRC2:SCRATCH_EN: 0
; COMPUTE_PGM_RSRC2:USER_SGPR: 6
; COMPUTE_PGM_RSRC2:TRAP_HANDLER: 0
; COMPUTE_PGM_RSRC2:TGID_X_EN: 1
; COMPUTE_PGM_RSRC2:TGID_Y_EN: 0
; COMPUTE_PGM_RSRC2:TGID_Z_EN: 0
; COMPUTE_PGM_RSRC2:TIDIG_COMP_CNT: 0
	.section	.text._ZN7rocprim17ROCPRIM_400000_NS6detail17trampoline_kernelINS0_14default_configENS1_27scan_by_key_config_selectorIiyEEZZNS1_16scan_by_key_implILNS1_25lookback_scan_determinismE0ELb0ES3_N6thrust23THRUST_200600_302600_NS6detail15normal_iteratorINS9_10device_ptrIiEEEENSB_INSC_IyEEEESG_yNS9_4plusIvEENS9_8equal_toIvEEyEE10hipError_tPvRmT2_T3_T4_T5_mT6_T7_P12ihipStream_tbENKUlT_T0_E_clISt17integral_constantIbLb1EES11_EEDaSW_SX_EUlSW_E_NS1_11comp_targetILNS1_3genE9ELNS1_11target_archE1100ELNS1_3gpuE3ELNS1_3repE0EEENS1_30default_config_static_selectorELNS0_4arch9wavefront6targetE0EEEvT1_,"axG",@progbits,_ZN7rocprim17ROCPRIM_400000_NS6detail17trampoline_kernelINS0_14default_configENS1_27scan_by_key_config_selectorIiyEEZZNS1_16scan_by_key_implILNS1_25lookback_scan_determinismE0ELb0ES3_N6thrust23THRUST_200600_302600_NS6detail15normal_iteratorINS9_10device_ptrIiEEEENSB_INSC_IyEEEESG_yNS9_4plusIvEENS9_8equal_toIvEEyEE10hipError_tPvRmT2_T3_T4_T5_mT6_T7_P12ihipStream_tbENKUlT_T0_E_clISt17integral_constantIbLb1EES11_EEDaSW_SX_EUlSW_E_NS1_11comp_targetILNS1_3genE9ELNS1_11target_archE1100ELNS1_3gpuE3ELNS1_3repE0EEENS1_30default_config_static_selectorELNS0_4arch9wavefront6targetE0EEEvT1_,comdat
	.protected	_ZN7rocprim17ROCPRIM_400000_NS6detail17trampoline_kernelINS0_14default_configENS1_27scan_by_key_config_selectorIiyEEZZNS1_16scan_by_key_implILNS1_25lookback_scan_determinismE0ELb0ES3_N6thrust23THRUST_200600_302600_NS6detail15normal_iteratorINS9_10device_ptrIiEEEENSB_INSC_IyEEEESG_yNS9_4plusIvEENS9_8equal_toIvEEyEE10hipError_tPvRmT2_T3_T4_T5_mT6_T7_P12ihipStream_tbENKUlT_T0_E_clISt17integral_constantIbLb1EES11_EEDaSW_SX_EUlSW_E_NS1_11comp_targetILNS1_3genE9ELNS1_11target_archE1100ELNS1_3gpuE3ELNS1_3repE0EEENS1_30default_config_static_selectorELNS0_4arch9wavefront6targetE0EEEvT1_ ; -- Begin function _ZN7rocprim17ROCPRIM_400000_NS6detail17trampoline_kernelINS0_14default_configENS1_27scan_by_key_config_selectorIiyEEZZNS1_16scan_by_key_implILNS1_25lookback_scan_determinismE0ELb0ES3_N6thrust23THRUST_200600_302600_NS6detail15normal_iteratorINS9_10device_ptrIiEEEENSB_INSC_IyEEEESG_yNS9_4plusIvEENS9_8equal_toIvEEyEE10hipError_tPvRmT2_T3_T4_T5_mT6_T7_P12ihipStream_tbENKUlT_T0_E_clISt17integral_constantIbLb1EES11_EEDaSW_SX_EUlSW_E_NS1_11comp_targetILNS1_3genE9ELNS1_11target_archE1100ELNS1_3gpuE3ELNS1_3repE0EEENS1_30default_config_static_selectorELNS0_4arch9wavefront6targetE0EEEvT1_
	.globl	_ZN7rocprim17ROCPRIM_400000_NS6detail17trampoline_kernelINS0_14default_configENS1_27scan_by_key_config_selectorIiyEEZZNS1_16scan_by_key_implILNS1_25lookback_scan_determinismE0ELb0ES3_N6thrust23THRUST_200600_302600_NS6detail15normal_iteratorINS9_10device_ptrIiEEEENSB_INSC_IyEEEESG_yNS9_4plusIvEENS9_8equal_toIvEEyEE10hipError_tPvRmT2_T3_T4_T5_mT6_T7_P12ihipStream_tbENKUlT_T0_E_clISt17integral_constantIbLb1EES11_EEDaSW_SX_EUlSW_E_NS1_11comp_targetILNS1_3genE9ELNS1_11target_archE1100ELNS1_3gpuE3ELNS1_3repE0EEENS1_30default_config_static_selectorELNS0_4arch9wavefront6targetE0EEEvT1_
	.p2align	8
	.type	_ZN7rocprim17ROCPRIM_400000_NS6detail17trampoline_kernelINS0_14default_configENS1_27scan_by_key_config_selectorIiyEEZZNS1_16scan_by_key_implILNS1_25lookback_scan_determinismE0ELb0ES3_N6thrust23THRUST_200600_302600_NS6detail15normal_iteratorINS9_10device_ptrIiEEEENSB_INSC_IyEEEESG_yNS9_4plusIvEENS9_8equal_toIvEEyEE10hipError_tPvRmT2_T3_T4_T5_mT6_T7_P12ihipStream_tbENKUlT_T0_E_clISt17integral_constantIbLb1EES11_EEDaSW_SX_EUlSW_E_NS1_11comp_targetILNS1_3genE9ELNS1_11target_archE1100ELNS1_3gpuE3ELNS1_3repE0EEENS1_30default_config_static_selectorELNS0_4arch9wavefront6targetE0EEEvT1_,@function
_ZN7rocprim17ROCPRIM_400000_NS6detail17trampoline_kernelINS0_14default_configENS1_27scan_by_key_config_selectorIiyEEZZNS1_16scan_by_key_implILNS1_25lookback_scan_determinismE0ELb0ES3_N6thrust23THRUST_200600_302600_NS6detail15normal_iteratorINS9_10device_ptrIiEEEENSB_INSC_IyEEEESG_yNS9_4plusIvEENS9_8equal_toIvEEyEE10hipError_tPvRmT2_T3_T4_T5_mT6_T7_P12ihipStream_tbENKUlT_T0_E_clISt17integral_constantIbLb1EES11_EEDaSW_SX_EUlSW_E_NS1_11comp_targetILNS1_3genE9ELNS1_11target_archE1100ELNS1_3gpuE3ELNS1_3repE0EEENS1_30default_config_static_selectorELNS0_4arch9wavefront6targetE0EEEvT1_: ; @_ZN7rocprim17ROCPRIM_400000_NS6detail17trampoline_kernelINS0_14default_configENS1_27scan_by_key_config_selectorIiyEEZZNS1_16scan_by_key_implILNS1_25lookback_scan_determinismE0ELb0ES3_N6thrust23THRUST_200600_302600_NS6detail15normal_iteratorINS9_10device_ptrIiEEEENSB_INSC_IyEEEESG_yNS9_4plusIvEENS9_8equal_toIvEEyEE10hipError_tPvRmT2_T3_T4_T5_mT6_T7_P12ihipStream_tbENKUlT_T0_E_clISt17integral_constantIbLb1EES11_EEDaSW_SX_EUlSW_E_NS1_11comp_targetILNS1_3genE9ELNS1_11target_archE1100ELNS1_3gpuE3ELNS1_3repE0EEENS1_30default_config_static_selectorELNS0_4arch9wavefront6targetE0EEEvT1_
; %bb.0:
	.section	.rodata,"a",@progbits
	.p2align	6, 0x0
	.amdhsa_kernel _ZN7rocprim17ROCPRIM_400000_NS6detail17trampoline_kernelINS0_14default_configENS1_27scan_by_key_config_selectorIiyEEZZNS1_16scan_by_key_implILNS1_25lookback_scan_determinismE0ELb0ES3_N6thrust23THRUST_200600_302600_NS6detail15normal_iteratorINS9_10device_ptrIiEEEENSB_INSC_IyEEEESG_yNS9_4plusIvEENS9_8equal_toIvEEyEE10hipError_tPvRmT2_T3_T4_T5_mT6_T7_P12ihipStream_tbENKUlT_T0_E_clISt17integral_constantIbLb1EES11_EEDaSW_SX_EUlSW_E_NS1_11comp_targetILNS1_3genE9ELNS1_11target_archE1100ELNS1_3gpuE3ELNS1_3repE0EEENS1_30default_config_static_selectorELNS0_4arch9wavefront6targetE0EEEvT1_
		.amdhsa_group_segment_fixed_size 0
		.amdhsa_private_segment_fixed_size 0
		.amdhsa_kernarg_size 136
		.amdhsa_user_sgpr_count 6
		.amdhsa_user_sgpr_private_segment_buffer 1
		.amdhsa_user_sgpr_dispatch_ptr 0
		.amdhsa_user_sgpr_queue_ptr 0
		.amdhsa_user_sgpr_kernarg_segment_ptr 1
		.amdhsa_user_sgpr_dispatch_id 0
		.amdhsa_user_sgpr_flat_scratch_init 0
		.amdhsa_user_sgpr_private_segment_size 0
		.amdhsa_wavefront_size32 1
		.amdhsa_uses_dynamic_stack 0
		.amdhsa_system_sgpr_private_segment_wavefront_offset 0
		.amdhsa_system_sgpr_workgroup_id_x 1
		.amdhsa_system_sgpr_workgroup_id_y 0
		.amdhsa_system_sgpr_workgroup_id_z 0
		.amdhsa_system_sgpr_workgroup_info 0
		.amdhsa_system_vgpr_workitem_id 0
		.amdhsa_next_free_vgpr 1
		.amdhsa_next_free_sgpr 1
		.amdhsa_reserve_vcc 0
		.amdhsa_reserve_flat_scratch 0
		.amdhsa_float_round_mode_32 0
		.amdhsa_float_round_mode_16_64 0
		.amdhsa_float_denorm_mode_32 3
		.amdhsa_float_denorm_mode_16_64 3
		.amdhsa_dx10_clamp 1
		.amdhsa_ieee_mode 1
		.amdhsa_fp16_overflow 0
		.amdhsa_workgroup_processor_mode 1
		.amdhsa_memory_ordered 1
		.amdhsa_forward_progress 1
		.amdhsa_shared_vgpr_count 0
		.amdhsa_exception_fp_ieee_invalid_op 0
		.amdhsa_exception_fp_denorm_src 0
		.amdhsa_exception_fp_ieee_div_zero 0
		.amdhsa_exception_fp_ieee_overflow 0
		.amdhsa_exception_fp_ieee_underflow 0
		.amdhsa_exception_fp_ieee_inexact 0
		.amdhsa_exception_int_div_zero 0
	.end_amdhsa_kernel
	.section	.text._ZN7rocprim17ROCPRIM_400000_NS6detail17trampoline_kernelINS0_14default_configENS1_27scan_by_key_config_selectorIiyEEZZNS1_16scan_by_key_implILNS1_25lookback_scan_determinismE0ELb0ES3_N6thrust23THRUST_200600_302600_NS6detail15normal_iteratorINS9_10device_ptrIiEEEENSB_INSC_IyEEEESG_yNS9_4plusIvEENS9_8equal_toIvEEyEE10hipError_tPvRmT2_T3_T4_T5_mT6_T7_P12ihipStream_tbENKUlT_T0_E_clISt17integral_constantIbLb1EES11_EEDaSW_SX_EUlSW_E_NS1_11comp_targetILNS1_3genE9ELNS1_11target_archE1100ELNS1_3gpuE3ELNS1_3repE0EEENS1_30default_config_static_selectorELNS0_4arch9wavefront6targetE0EEEvT1_,"axG",@progbits,_ZN7rocprim17ROCPRIM_400000_NS6detail17trampoline_kernelINS0_14default_configENS1_27scan_by_key_config_selectorIiyEEZZNS1_16scan_by_key_implILNS1_25lookback_scan_determinismE0ELb0ES3_N6thrust23THRUST_200600_302600_NS6detail15normal_iteratorINS9_10device_ptrIiEEEENSB_INSC_IyEEEESG_yNS9_4plusIvEENS9_8equal_toIvEEyEE10hipError_tPvRmT2_T3_T4_T5_mT6_T7_P12ihipStream_tbENKUlT_T0_E_clISt17integral_constantIbLb1EES11_EEDaSW_SX_EUlSW_E_NS1_11comp_targetILNS1_3genE9ELNS1_11target_archE1100ELNS1_3gpuE3ELNS1_3repE0EEENS1_30default_config_static_selectorELNS0_4arch9wavefront6targetE0EEEvT1_,comdat
.Lfunc_end1194:
	.size	_ZN7rocprim17ROCPRIM_400000_NS6detail17trampoline_kernelINS0_14default_configENS1_27scan_by_key_config_selectorIiyEEZZNS1_16scan_by_key_implILNS1_25lookback_scan_determinismE0ELb0ES3_N6thrust23THRUST_200600_302600_NS6detail15normal_iteratorINS9_10device_ptrIiEEEENSB_INSC_IyEEEESG_yNS9_4plusIvEENS9_8equal_toIvEEyEE10hipError_tPvRmT2_T3_T4_T5_mT6_T7_P12ihipStream_tbENKUlT_T0_E_clISt17integral_constantIbLb1EES11_EEDaSW_SX_EUlSW_E_NS1_11comp_targetILNS1_3genE9ELNS1_11target_archE1100ELNS1_3gpuE3ELNS1_3repE0EEENS1_30default_config_static_selectorELNS0_4arch9wavefront6targetE0EEEvT1_, .Lfunc_end1194-_ZN7rocprim17ROCPRIM_400000_NS6detail17trampoline_kernelINS0_14default_configENS1_27scan_by_key_config_selectorIiyEEZZNS1_16scan_by_key_implILNS1_25lookback_scan_determinismE0ELb0ES3_N6thrust23THRUST_200600_302600_NS6detail15normal_iteratorINS9_10device_ptrIiEEEENSB_INSC_IyEEEESG_yNS9_4plusIvEENS9_8equal_toIvEEyEE10hipError_tPvRmT2_T3_T4_T5_mT6_T7_P12ihipStream_tbENKUlT_T0_E_clISt17integral_constantIbLb1EES11_EEDaSW_SX_EUlSW_E_NS1_11comp_targetILNS1_3genE9ELNS1_11target_archE1100ELNS1_3gpuE3ELNS1_3repE0EEENS1_30default_config_static_selectorELNS0_4arch9wavefront6targetE0EEEvT1_
                                        ; -- End function
	.set _ZN7rocprim17ROCPRIM_400000_NS6detail17trampoline_kernelINS0_14default_configENS1_27scan_by_key_config_selectorIiyEEZZNS1_16scan_by_key_implILNS1_25lookback_scan_determinismE0ELb0ES3_N6thrust23THRUST_200600_302600_NS6detail15normal_iteratorINS9_10device_ptrIiEEEENSB_INSC_IyEEEESG_yNS9_4plusIvEENS9_8equal_toIvEEyEE10hipError_tPvRmT2_T3_T4_T5_mT6_T7_P12ihipStream_tbENKUlT_T0_E_clISt17integral_constantIbLb1EES11_EEDaSW_SX_EUlSW_E_NS1_11comp_targetILNS1_3genE9ELNS1_11target_archE1100ELNS1_3gpuE3ELNS1_3repE0EEENS1_30default_config_static_selectorELNS0_4arch9wavefront6targetE0EEEvT1_.num_vgpr, 0
	.set _ZN7rocprim17ROCPRIM_400000_NS6detail17trampoline_kernelINS0_14default_configENS1_27scan_by_key_config_selectorIiyEEZZNS1_16scan_by_key_implILNS1_25lookback_scan_determinismE0ELb0ES3_N6thrust23THRUST_200600_302600_NS6detail15normal_iteratorINS9_10device_ptrIiEEEENSB_INSC_IyEEEESG_yNS9_4plusIvEENS9_8equal_toIvEEyEE10hipError_tPvRmT2_T3_T4_T5_mT6_T7_P12ihipStream_tbENKUlT_T0_E_clISt17integral_constantIbLb1EES11_EEDaSW_SX_EUlSW_E_NS1_11comp_targetILNS1_3genE9ELNS1_11target_archE1100ELNS1_3gpuE3ELNS1_3repE0EEENS1_30default_config_static_selectorELNS0_4arch9wavefront6targetE0EEEvT1_.num_agpr, 0
	.set _ZN7rocprim17ROCPRIM_400000_NS6detail17trampoline_kernelINS0_14default_configENS1_27scan_by_key_config_selectorIiyEEZZNS1_16scan_by_key_implILNS1_25lookback_scan_determinismE0ELb0ES3_N6thrust23THRUST_200600_302600_NS6detail15normal_iteratorINS9_10device_ptrIiEEEENSB_INSC_IyEEEESG_yNS9_4plusIvEENS9_8equal_toIvEEyEE10hipError_tPvRmT2_T3_T4_T5_mT6_T7_P12ihipStream_tbENKUlT_T0_E_clISt17integral_constantIbLb1EES11_EEDaSW_SX_EUlSW_E_NS1_11comp_targetILNS1_3genE9ELNS1_11target_archE1100ELNS1_3gpuE3ELNS1_3repE0EEENS1_30default_config_static_selectorELNS0_4arch9wavefront6targetE0EEEvT1_.numbered_sgpr, 0
	.set _ZN7rocprim17ROCPRIM_400000_NS6detail17trampoline_kernelINS0_14default_configENS1_27scan_by_key_config_selectorIiyEEZZNS1_16scan_by_key_implILNS1_25lookback_scan_determinismE0ELb0ES3_N6thrust23THRUST_200600_302600_NS6detail15normal_iteratorINS9_10device_ptrIiEEEENSB_INSC_IyEEEESG_yNS9_4plusIvEENS9_8equal_toIvEEyEE10hipError_tPvRmT2_T3_T4_T5_mT6_T7_P12ihipStream_tbENKUlT_T0_E_clISt17integral_constantIbLb1EES11_EEDaSW_SX_EUlSW_E_NS1_11comp_targetILNS1_3genE9ELNS1_11target_archE1100ELNS1_3gpuE3ELNS1_3repE0EEENS1_30default_config_static_selectorELNS0_4arch9wavefront6targetE0EEEvT1_.num_named_barrier, 0
	.set _ZN7rocprim17ROCPRIM_400000_NS6detail17trampoline_kernelINS0_14default_configENS1_27scan_by_key_config_selectorIiyEEZZNS1_16scan_by_key_implILNS1_25lookback_scan_determinismE0ELb0ES3_N6thrust23THRUST_200600_302600_NS6detail15normal_iteratorINS9_10device_ptrIiEEEENSB_INSC_IyEEEESG_yNS9_4plusIvEENS9_8equal_toIvEEyEE10hipError_tPvRmT2_T3_T4_T5_mT6_T7_P12ihipStream_tbENKUlT_T0_E_clISt17integral_constantIbLb1EES11_EEDaSW_SX_EUlSW_E_NS1_11comp_targetILNS1_3genE9ELNS1_11target_archE1100ELNS1_3gpuE3ELNS1_3repE0EEENS1_30default_config_static_selectorELNS0_4arch9wavefront6targetE0EEEvT1_.private_seg_size, 0
	.set _ZN7rocprim17ROCPRIM_400000_NS6detail17trampoline_kernelINS0_14default_configENS1_27scan_by_key_config_selectorIiyEEZZNS1_16scan_by_key_implILNS1_25lookback_scan_determinismE0ELb0ES3_N6thrust23THRUST_200600_302600_NS6detail15normal_iteratorINS9_10device_ptrIiEEEENSB_INSC_IyEEEESG_yNS9_4plusIvEENS9_8equal_toIvEEyEE10hipError_tPvRmT2_T3_T4_T5_mT6_T7_P12ihipStream_tbENKUlT_T0_E_clISt17integral_constantIbLb1EES11_EEDaSW_SX_EUlSW_E_NS1_11comp_targetILNS1_3genE9ELNS1_11target_archE1100ELNS1_3gpuE3ELNS1_3repE0EEENS1_30default_config_static_selectorELNS0_4arch9wavefront6targetE0EEEvT1_.uses_vcc, 0
	.set _ZN7rocprim17ROCPRIM_400000_NS6detail17trampoline_kernelINS0_14default_configENS1_27scan_by_key_config_selectorIiyEEZZNS1_16scan_by_key_implILNS1_25lookback_scan_determinismE0ELb0ES3_N6thrust23THRUST_200600_302600_NS6detail15normal_iteratorINS9_10device_ptrIiEEEENSB_INSC_IyEEEESG_yNS9_4plusIvEENS9_8equal_toIvEEyEE10hipError_tPvRmT2_T3_T4_T5_mT6_T7_P12ihipStream_tbENKUlT_T0_E_clISt17integral_constantIbLb1EES11_EEDaSW_SX_EUlSW_E_NS1_11comp_targetILNS1_3genE9ELNS1_11target_archE1100ELNS1_3gpuE3ELNS1_3repE0EEENS1_30default_config_static_selectorELNS0_4arch9wavefront6targetE0EEEvT1_.uses_flat_scratch, 0
	.set _ZN7rocprim17ROCPRIM_400000_NS6detail17trampoline_kernelINS0_14default_configENS1_27scan_by_key_config_selectorIiyEEZZNS1_16scan_by_key_implILNS1_25lookback_scan_determinismE0ELb0ES3_N6thrust23THRUST_200600_302600_NS6detail15normal_iteratorINS9_10device_ptrIiEEEENSB_INSC_IyEEEESG_yNS9_4plusIvEENS9_8equal_toIvEEyEE10hipError_tPvRmT2_T3_T4_T5_mT6_T7_P12ihipStream_tbENKUlT_T0_E_clISt17integral_constantIbLb1EES11_EEDaSW_SX_EUlSW_E_NS1_11comp_targetILNS1_3genE9ELNS1_11target_archE1100ELNS1_3gpuE3ELNS1_3repE0EEENS1_30default_config_static_selectorELNS0_4arch9wavefront6targetE0EEEvT1_.has_dyn_sized_stack, 0
	.set _ZN7rocprim17ROCPRIM_400000_NS6detail17trampoline_kernelINS0_14default_configENS1_27scan_by_key_config_selectorIiyEEZZNS1_16scan_by_key_implILNS1_25lookback_scan_determinismE0ELb0ES3_N6thrust23THRUST_200600_302600_NS6detail15normal_iteratorINS9_10device_ptrIiEEEENSB_INSC_IyEEEESG_yNS9_4plusIvEENS9_8equal_toIvEEyEE10hipError_tPvRmT2_T3_T4_T5_mT6_T7_P12ihipStream_tbENKUlT_T0_E_clISt17integral_constantIbLb1EES11_EEDaSW_SX_EUlSW_E_NS1_11comp_targetILNS1_3genE9ELNS1_11target_archE1100ELNS1_3gpuE3ELNS1_3repE0EEENS1_30default_config_static_selectorELNS0_4arch9wavefront6targetE0EEEvT1_.has_recursion, 0
	.set _ZN7rocprim17ROCPRIM_400000_NS6detail17trampoline_kernelINS0_14default_configENS1_27scan_by_key_config_selectorIiyEEZZNS1_16scan_by_key_implILNS1_25lookback_scan_determinismE0ELb0ES3_N6thrust23THRUST_200600_302600_NS6detail15normal_iteratorINS9_10device_ptrIiEEEENSB_INSC_IyEEEESG_yNS9_4plusIvEENS9_8equal_toIvEEyEE10hipError_tPvRmT2_T3_T4_T5_mT6_T7_P12ihipStream_tbENKUlT_T0_E_clISt17integral_constantIbLb1EES11_EEDaSW_SX_EUlSW_E_NS1_11comp_targetILNS1_3genE9ELNS1_11target_archE1100ELNS1_3gpuE3ELNS1_3repE0EEENS1_30default_config_static_selectorELNS0_4arch9wavefront6targetE0EEEvT1_.has_indirect_call, 0
	.section	.AMDGPU.csdata,"",@progbits
; Kernel info:
; codeLenInByte = 0
; TotalNumSgprs: 0
; NumVgprs: 0
; ScratchSize: 0
; MemoryBound: 0
; FloatMode: 240
; IeeeMode: 1
; LDSByteSize: 0 bytes/workgroup (compile time only)
; SGPRBlocks: 0
; VGPRBlocks: 0
; NumSGPRsForWavesPerEU: 1
; NumVGPRsForWavesPerEU: 1
; Occupancy: 16
; WaveLimiterHint : 0
; COMPUTE_PGM_RSRC2:SCRATCH_EN: 0
; COMPUTE_PGM_RSRC2:USER_SGPR: 6
; COMPUTE_PGM_RSRC2:TRAP_HANDLER: 0
; COMPUTE_PGM_RSRC2:TGID_X_EN: 1
; COMPUTE_PGM_RSRC2:TGID_Y_EN: 0
; COMPUTE_PGM_RSRC2:TGID_Z_EN: 0
; COMPUTE_PGM_RSRC2:TIDIG_COMP_CNT: 0
	.section	.text._ZN7rocprim17ROCPRIM_400000_NS6detail17trampoline_kernelINS0_14default_configENS1_27scan_by_key_config_selectorIiyEEZZNS1_16scan_by_key_implILNS1_25lookback_scan_determinismE0ELb0ES3_N6thrust23THRUST_200600_302600_NS6detail15normal_iteratorINS9_10device_ptrIiEEEENSB_INSC_IyEEEESG_yNS9_4plusIvEENS9_8equal_toIvEEyEE10hipError_tPvRmT2_T3_T4_T5_mT6_T7_P12ihipStream_tbENKUlT_T0_E_clISt17integral_constantIbLb1EES11_EEDaSW_SX_EUlSW_E_NS1_11comp_targetILNS1_3genE8ELNS1_11target_archE1030ELNS1_3gpuE2ELNS1_3repE0EEENS1_30default_config_static_selectorELNS0_4arch9wavefront6targetE0EEEvT1_,"axG",@progbits,_ZN7rocprim17ROCPRIM_400000_NS6detail17trampoline_kernelINS0_14default_configENS1_27scan_by_key_config_selectorIiyEEZZNS1_16scan_by_key_implILNS1_25lookback_scan_determinismE0ELb0ES3_N6thrust23THRUST_200600_302600_NS6detail15normal_iteratorINS9_10device_ptrIiEEEENSB_INSC_IyEEEESG_yNS9_4plusIvEENS9_8equal_toIvEEyEE10hipError_tPvRmT2_T3_T4_T5_mT6_T7_P12ihipStream_tbENKUlT_T0_E_clISt17integral_constantIbLb1EES11_EEDaSW_SX_EUlSW_E_NS1_11comp_targetILNS1_3genE8ELNS1_11target_archE1030ELNS1_3gpuE2ELNS1_3repE0EEENS1_30default_config_static_selectorELNS0_4arch9wavefront6targetE0EEEvT1_,comdat
	.protected	_ZN7rocprim17ROCPRIM_400000_NS6detail17trampoline_kernelINS0_14default_configENS1_27scan_by_key_config_selectorIiyEEZZNS1_16scan_by_key_implILNS1_25lookback_scan_determinismE0ELb0ES3_N6thrust23THRUST_200600_302600_NS6detail15normal_iteratorINS9_10device_ptrIiEEEENSB_INSC_IyEEEESG_yNS9_4plusIvEENS9_8equal_toIvEEyEE10hipError_tPvRmT2_T3_T4_T5_mT6_T7_P12ihipStream_tbENKUlT_T0_E_clISt17integral_constantIbLb1EES11_EEDaSW_SX_EUlSW_E_NS1_11comp_targetILNS1_3genE8ELNS1_11target_archE1030ELNS1_3gpuE2ELNS1_3repE0EEENS1_30default_config_static_selectorELNS0_4arch9wavefront6targetE0EEEvT1_ ; -- Begin function _ZN7rocprim17ROCPRIM_400000_NS6detail17trampoline_kernelINS0_14default_configENS1_27scan_by_key_config_selectorIiyEEZZNS1_16scan_by_key_implILNS1_25lookback_scan_determinismE0ELb0ES3_N6thrust23THRUST_200600_302600_NS6detail15normal_iteratorINS9_10device_ptrIiEEEENSB_INSC_IyEEEESG_yNS9_4plusIvEENS9_8equal_toIvEEyEE10hipError_tPvRmT2_T3_T4_T5_mT6_T7_P12ihipStream_tbENKUlT_T0_E_clISt17integral_constantIbLb1EES11_EEDaSW_SX_EUlSW_E_NS1_11comp_targetILNS1_3genE8ELNS1_11target_archE1030ELNS1_3gpuE2ELNS1_3repE0EEENS1_30default_config_static_selectorELNS0_4arch9wavefront6targetE0EEEvT1_
	.globl	_ZN7rocprim17ROCPRIM_400000_NS6detail17trampoline_kernelINS0_14default_configENS1_27scan_by_key_config_selectorIiyEEZZNS1_16scan_by_key_implILNS1_25lookback_scan_determinismE0ELb0ES3_N6thrust23THRUST_200600_302600_NS6detail15normal_iteratorINS9_10device_ptrIiEEEENSB_INSC_IyEEEESG_yNS9_4plusIvEENS9_8equal_toIvEEyEE10hipError_tPvRmT2_T3_T4_T5_mT6_T7_P12ihipStream_tbENKUlT_T0_E_clISt17integral_constantIbLb1EES11_EEDaSW_SX_EUlSW_E_NS1_11comp_targetILNS1_3genE8ELNS1_11target_archE1030ELNS1_3gpuE2ELNS1_3repE0EEENS1_30default_config_static_selectorELNS0_4arch9wavefront6targetE0EEEvT1_
	.p2align	8
	.type	_ZN7rocprim17ROCPRIM_400000_NS6detail17trampoline_kernelINS0_14default_configENS1_27scan_by_key_config_selectorIiyEEZZNS1_16scan_by_key_implILNS1_25lookback_scan_determinismE0ELb0ES3_N6thrust23THRUST_200600_302600_NS6detail15normal_iteratorINS9_10device_ptrIiEEEENSB_INSC_IyEEEESG_yNS9_4plusIvEENS9_8equal_toIvEEyEE10hipError_tPvRmT2_T3_T4_T5_mT6_T7_P12ihipStream_tbENKUlT_T0_E_clISt17integral_constantIbLb1EES11_EEDaSW_SX_EUlSW_E_NS1_11comp_targetILNS1_3genE8ELNS1_11target_archE1030ELNS1_3gpuE2ELNS1_3repE0EEENS1_30default_config_static_selectorELNS0_4arch9wavefront6targetE0EEEvT1_,@function
_ZN7rocprim17ROCPRIM_400000_NS6detail17trampoline_kernelINS0_14default_configENS1_27scan_by_key_config_selectorIiyEEZZNS1_16scan_by_key_implILNS1_25lookback_scan_determinismE0ELb0ES3_N6thrust23THRUST_200600_302600_NS6detail15normal_iteratorINS9_10device_ptrIiEEEENSB_INSC_IyEEEESG_yNS9_4plusIvEENS9_8equal_toIvEEyEE10hipError_tPvRmT2_T3_T4_T5_mT6_T7_P12ihipStream_tbENKUlT_T0_E_clISt17integral_constantIbLb1EES11_EEDaSW_SX_EUlSW_E_NS1_11comp_targetILNS1_3genE8ELNS1_11target_archE1030ELNS1_3gpuE2ELNS1_3repE0EEENS1_30default_config_static_selectorELNS0_4arch9wavefront6targetE0EEEvT1_: ; @_ZN7rocprim17ROCPRIM_400000_NS6detail17trampoline_kernelINS0_14default_configENS1_27scan_by_key_config_selectorIiyEEZZNS1_16scan_by_key_implILNS1_25lookback_scan_determinismE0ELb0ES3_N6thrust23THRUST_200600_302600_NS6detail15normal_iteratorINS9_10device_ptrIiEEEENSB_INSC_IyEEEESG_yNS9_4plusIvEENS9_8equal_toIvEEyEE10hipError_tPvRmT2_T3_T4_T5_mT6_T7_P12ihipStream_tbENKUlT_T0_E_clISt17integral_constantIbLb1EES11_EEDaSW_SX_EUlSW_E_NS1_11comp_targetILNS1_3genE8ELNS1_11target_archE1030ELNS1_3gpuE2ELNS1_3repE0EEENS1_30default_config_static_selectorELNS0_4arch9wavefront6targetE0EEEvT1_
; %bb.0:
	s_endpgm
	.section	.rodata,"a",@progbits
	.p2align	6, 0x0
	.amdhsa_kernel _ZN7rocprim17ROCPRIM_400000_NS6detail17trampoline_kernelINS0_14default_configENS1_27scan_by_key_config_selectorIiyEEZZNS1_16scan_by_key_implILNS1_25lookback_scan_determinismE0ELb0ES3_N6thrust23THRUST_200600_302600_NS6detail15normal_iteratorINS9_10device_ptrIiEEEENSB_INSC_IyEEEESG_yNS9_4plusIvEENS9_8equal_toIvEEyEE10hipError_tPvRmT2_T3_T4_T5_mT6_T7_P12ihipStream_tbENKUlT_T0_E_clISt17integral_constantIbLb1EES11_EEDaSW_SX_EUlSW_E_NS1_11comp_targetILNS1_3genE8ELNS1_11target_archE1030ELNS1_3gpuE2ELNS1_3repE0EEENS1_30default_config_static_selectorELNS0_4arch9wavefront6targetE0EEEvT1_
		.amdhsa_group_segment_fixed_size 0
		.amdhsa_private_segment_fixed_size 0
		.amdhsa_kernarg_size 136
		.amdhsa_user_sgpr_count 6
		.amdhsa_user_sgpr_private_segment_buffer 1
		.amdhsa_user_sgpr_dispatch_ptr 0
		.amdhsa_user_sgpr_queue_ptr 0
		.amdhsa_user_sgpr_kernarg_segment_ptr 1
		.amdhsa_user_sgpr_dispatch_id 0
		.amdhsa_user_sgpr_flat_scratch_init 0
		.amdhsa_user_sgpr_private_segment_size 0
		.amdhsa_wavefront_size32 1
		.amdhsa_uses_dynamic_stack 0
		.amdhsa_system_sgpr_private_segment_wavefront_offset 0
		.amdhsa_system_sgpr_workgroup_id_x 1
		.amdhsa_system_sgpr_workgroup_id_y 0
		.amdhsa_system_sgpr_workgroup_id_z 0
		.amdhsa_system_sgpr_workgroup_info 0
		.amdhsa_system_vgpr_workitem_id 0
		.amdhsa_next_free_vgpr 1
		.amdhsa_next_free_sgpr 1
		.amdhsa_reserve_vcc 0
		.amdhsa_reserve_flat_scratch 0
		.amdhsa_float_round_mode_32 0
		.amdhsa_float_round_mode_16_64 0
		.amdhsa_float_denorm_mode_32 3
		.amdhsa_float_denorm_mode_16_64 3
		.amdhsa_dx10_clamp 1
		.amdhsa_ieee_mode 1
		.amdhsa_fp16_overflow 0
		.amdhsa_workgroup_processor_mode 1
		.amdhsa_memory_ordered 1
		.amdhsa_forward_progress 1
		.amdhsa_shared_vgpr_count 0
		.amdhsa_exception_fp_ieee_invalid_op 0
		.amdhsa_exception_fp_denorm_src 0
		.amdhsa_exception_fp_ieee_div_zero 0
		.amdhsa_exception_fp_ieee_overflow 0
		.amdhsa_exception_fp_ieee_underflow 0
		.amdhsa_exception_fp_ieee_inexact 0
		.amdhsa_exception_int_div_zero 0
	.end_amdhsa_kernel
	.section	.text._ZN7rocprim17ROCPRIM_400000_NS6detail17trampoline_kernelINS0_14default_configENS1_27scan_by_key_config_selectorIiyEEZZNS1_16scan_by_key_implILNS1_25lookback_scan_determinismE0ELb0ES3_N6thrust23THRUST_200600_302600_NS6detail15normal_iteratorINS9_10device_ptrIiEEEENSB_INSC_IyEEEESG_yNS9_4plusIvEENS9_8equal_toIvEEyEE10hipError_tPvRmT2_T3_T4_T5_mT6_T7_P12ihipStream_tbENKUlT_T0_E_clISt17integral_constantIbLb1EES11_EEDaSW_SX_EUlSW_E_NS1_11comp_targetILNS1_3genE8ELNS1_11target_archE1030ELNS1_3gpuE2ELNS1_3repE0EEENS1_30default_config_static_selectorELNS0_4arch9wavefront6targetE0EEEvT1_,"axG",@progbits,_ZN7rocprim17ROCPRIM_400000_NS6detail17trampoline_kernelINS0_14default_configENS1_27scan_by_key_config_selectorIiyEEZZNS1_16scan_by_key_implILNS1_25lookback_scan_determinismE0ELb0ES3_N6thrust23THRUST_200600_302600_NS6detail15normal_iteratorINS9_10device_ptrIiEEEENSB_INSC_IyEEEESG_yNS9_4plusIvEENS9_8equal_toIvEEyEE10hipError_tPvRmT2_T3_T4_T5_mT6_T7_P12ihipStream_tbENKUlT_T0_E_clISt17integral_constantIbLb1EES11_EEDaSW_SX_EUlSW_E_NS1_11comp_targetILNS1_3genE8ELNS1_11target_archE1030ELNS1_3gpuE2ELNS1_3repE0EEENS1_30default_config_static_selectorELNS0_4arch9wavefront6targetE0EEEvT1_,comdat
.Lfunc_end1195:
	.size	_ZN7rocprim17ROCPRIM_400000_NS6detail17trampoline_kernelINS0_14default_configENS1_27scan_by_key_config_selectorIiyEEZZNS1_16scan_by_key_implILNS1_25lookback_scan_determinismE0ELb0ES3_N6thrust23THRUST_200600_302600_NS6detail15normal_iteratorINS9_10device_ptrIiEEEENSB_INSC_IyEEEESG_yNS9_4plusIvEENS9_8equal_toIvEEyEE10hipError_tPvRmT2_T3_T4_T5_mT6_T7_P12ihipStream_tbENKUlT_T0_E_clISt17integral_constantIbLb1EES11_EEDaSW_SX_EUlSW_E_NS1_11comp_targetILNS1_3genE8ELNS1_11target_archE1030ELNS1_3gpuE2ELNS1_3repE0EEENS1_30default_config_static_selectorELNS0_4arch9wavefront6targetE0EEEvT1_, .Lfunc_end1195-_ZN7rocprim17ROCPRIM_400000_NS6detail17trampoline_kernelINS0_14default_configENS1_27scan_by_key_config_selectorIiyEEZZNS1_16scan_by_key_implILNS1_25lookback_scan_determinismE0ELb0ES3_N6thrust23THRUST_200600_302600_NS6detail15normal_iteratorINS9_10device_ptrIiEEEENSB_INSC_IyEEEESG_yNS9_4plusIvEENS9_8equal_toIvEEyEE10hipError_tPvRmT2_T3_T4_T5_mT6_T7_P12ihipStream_tbENKUlT_T0_E_clISt17integral_constantIbLb1EES11_EEDaSW_SX_EUlSW_E_NS1_11comp_targetILNS1_3genE8ELNS1_11target_archE1030ELNS1_3gpuE2ELNS1_3repE0EEENS1_30default_config_static_selectorELNS0_4arch9wavefront6targetE0EEEvT1_
                                        ; -- End function
	.set _ZN7rocprim17ROCPRIM_400000_NS6detail17trampoline_kernelINS0_14default_configENS1_27scan_by_key_config_selectorIiyEEZZNS1_16scan_by_key_implILNS1_25lookback_scan_determinismE0ELb0ES3_N6thrust23THRUST_200600_302600_NS6detail15normal_iteratorINS9_10device_ptrIiEEEENSB_INSC_IyEEEESG_yNS9_4plusIvEENS9_8equal_toIvEEyEE10hipError_tPvRmT2_T3_T4_T5_mT6_T7_P12ihipStream_tbENKUlT_T0_E_clISt17integral_constantIbLb1EES11_EEDaSW_SX_EUlSW_E_NS1_11comp_targetILNS1_3genE8ELNS1_11target_archE1030ELNS1_3gpuE2ELNS1_3repE0EEENS1_30default_config_static_selectorELNS0_4arch9wavefront6targetE0EEEvT1_.num_vgpr, 0
	.set _ZN7rocprim17ROCPRIM_400000_NS6detail17trampoline_kernelINS0_14default_configENS1_27scan_by_key_config_selectorIiyEEZZNS1_16scan_by_key_implILNS1_25lookback_scan_determinismE0ELb0ES3_N6thrust23THRUST_200600_302600_NS6detail15normal_iteratorINS9_10device_ptrIiEEEENSB_INSC_IyEEEESG_yNS9_4plusIvEENS9_8equal_toIvEEyEE10hipError_tPvRmT2_T3_T4_T5_mT6_T7_P12ihipStream_tbENKUlT_T0_E_clISt17integral_constantIbLb1EES11_EEDaSW_SX_EUlSW_E_NS1_11comp_targetILNS1_3genE8ELNS1_11target_archE1030ELNS1_3gpuE2ELNS1_3repE0EEENS1_30default_config_static_selectorELNS0_4arch9wavefront6targetE0EEEvT1_.num_agpr, 0
	.set _ZN7rocprim17ROCPRIM_400000_NS6detail17trampoline_kernelINS0_14default_configENS1_27scan_by_key_config_selectorIiyEEZZNS1_16scan_by_key_implILNS1_25lookback_scan_determinismE0ELb0ES3_N6thrust23THRUST_200600_302600_NS6detail15normal_iteratorINS9_10device_ptrIiEEEENSB_INSC_IyEEEESG_yNS9_4plusIvEENS9_8equal_toIvEEyEE10hipError_tPvRmT2_T3_T4_T5_mT6_T7_P12ihipStream_tbENKUlT_T0_E_clISt17integral_constantIbLb1EES11_EEDaSW_SX_EUlSW_E_NS1_11comp_targetILNS1_3genE8ELNS1_11target_archE1030ELNS1_3gpuE2ELNS1_3repE0EEENS1_30default_config_static_selectorELNS0_4arch9wavefront6targetE0EEEvT1_.numbered_sgpr, 0
	.set _ZN7rocprim17ROCPRIM_400000_NS6detail17trampoline_kernelINS0_14default_configENS1_27scan_by_key_config_selectorIiyEEZZNS1_16scan_by_key_implILNS1_25lookback_scan_determinismE0ELb0ES3_N6thrust23THRUST_200600_302600_NS6detail15normal_iteratorINS9_10device_ptrIiEEEENSB_INSC_IyEEEESG_yNS9_4plusIvEENS9_8equal_toIvEEyEE10hipError_tPvRmT2_T3_T4_T5_mT6_T7_P12ihipStream_tbENKUlT_T0_E_clISt17integral_constantIbLb1EES11_EEDaSW_SX_EUlSW_E_NS1_11comp_targetILNS1_3genE8ELNS1_11target_archE1030ELNS1_3gpuE2ELNS1_3repE0EEENS1_30default_config_static_selectorELNS0_4arch9wavefront6targetE0EEEvT1_.num_named_barrier, 0
	.set _ZN7rocprim17ROCPRIM_400000_NS6detail17trampoline_kernelINS0_14default_configENS1_27scan_by_key_config_selectorIiyEEZZNS1_16scan_by_key_implILNS1_25lookback_scan_determinismE0ELb0ES3_N6thrust23THRUST_200600_302600_NS6detail15normal_iteratorINS9_10device_ptrIiEEEENSB_INSC_IyEEEESG_yNS9_4plusIvEENS9_8equal_toIvEEyEE10hipError_tPvRmT2_T3_T4_T5_mT6_T7_P12ihipStream_tbENKUlT_T0_E_clISt17integral_constantIbLb1EES11_EEDaSW_SX_EUlSW_E_NS1_11comp_targetILNS1_3genE8ELNS1_11target_archE1030ELNS1_3gpuE2ELNS1_3repE0EEENS1_30default_config_static_selectorELNS0_4arch9wavefront6targetE0EEEvT1_.private_seg_size, 0
	.set _ZN7rocprim17ROCPRIM_400000_NS6detail17trampoline_kernelINS0_14default_configENS1_27scan_by_key_config_selectorIiyEEZZNS1_16scan_by_key_implILNS1_25lookback_scan_determinismE0ELb0ES3_N6thrust23THRUST_200600_302600_NS6detail15normal_iteratorINS9_10device_ptrIiEEEENSB_INSC_IyEEEESG_yNS9_4plusIvEENS9_8equal_toIvEEyEE10hipError_tPvRmT2_T3_T4_T5_mT6_T7_P12ihipStream_tbENKUlT_T0_E_clISt17integral_constantIbLb1EES11_EEDaSW_SX_EUlSW_E_NS1_11comp_targetILNS1_3genE8ELNS1_11target_archE1030ELNS1_3gpuE2ELNS1_3repE0EEENS1_30default_config_static_selectorELNS0_4arch9wavefront6targetE0EEEvT1_.uses_vcc, 0
	.set _ZN7rocprim17ROCPRIM_400000_NS6detail17trampoline_kernelINS0_14default_configENS1_27scan_by_key_config_selectorIiyEEZZNS1_16scan_by_key_implILNS1_25lookback_scan_determinismE0ELb0ES3_N6thrust23THRUST_200600_302600_NS6detail15normal_iteratorINS9_10device_ptrIiEEEENSB_INSC_IyEEEESG_yNS9_4plusIvEENS9_8equal_toIvEEyEE10hipError_tPvRmT2_T3_T4_T5_mT6_T7_P12ihipStream_tbENKUlT_T0_E_clISt17integral_constantIbLb1EES11_EEDaSW_SX_EUlSW_E_NS1_11comp_targetILNS1_3genE8ELNS1_11target_archE1030ELNS1_3gpuE2ELNS1_3repE0EEENS1_30default_config_static_selectorELNS0_4arch9wavefront6targetE0EEEvT1_.uses_flat_scratch, 0
	.set _ZN7rocprim17ROCPRIM_400000_NS6detail17trampoline_kernelINS0_14default_configENS1_27scan_by_key_config_selectorIiyEEZZNS1_16scan_by_key_implILNS1_25lookback_scan_determinismE0ELb0ES3_N6thrust23THRUST_200600_302600_NS6detail15normal_iteratorINS9_10device_ptrIiEEEENSB_INSC_IyEEEESG_yNS9_4plusIvEENS9_8equal_toIvEEyEE10hipError_tPvRmT2_T3_T4_T5_mT6_T7_P12ihipStream_tbENKUlT_T0_E_clISt17integral_constantIbLb1EES11_EEDaSW_SX_EUlSW_E_NS1_11comp_targetILNS1_3genE8ELNS1_11target_archE1030ELNS1_3gpuE2ELNS1_3repE0EEENS1_30default_config_static_selectorELNS0_4arch9wavefront6targetE0EEEvT1_.has_dyn_sized_stack, 0
	.set _ZN7rocprim17ROCPRIM_400000_NS6detail17trampoline_kernelINS0_14default_configENS1_27scan_by_key_config_selectorIiyEEZZNS1_16scan_by_key_implILNS1_25lookback_scan_determinismE0ELb0ES3_N6thrust23THRUST_200600_302600_NS6detail15normal_iteratorINS9_10device_ptrIiEEEENSB_INSC_IyEEEESG_yNS9_4plusIvEENS9_8equal_toIvEEyEE10hipError_tPvRmT2_T3_T4_T5_mT6_T7_P12ihipStream_tbENKUlT_T0_E_clISt17integral_constantIbLb1EES11_EEDaSW_SX_EUlSW_E_NS1_11comp_targetILNS1_3genE8ELNS1_11target_archE1030ELNS1_3gpuE2ELNS1_3repE0EEENS1_30default_config_static_selectorELNS0_4arch9wavefront6targetE0EEEvT1_.has_recursion, 0
	.set _ZN7rocprim17ROCPRIM_400000_NS6detail17trampoline_kernelINS0_14default_configENS1_27scan_by_key_config_selectorIiyEEZZNS1_16scan_by_key_implILNS1_25lookback_scan_determinismE0ELb0ES3_N6thrust23THRUST_200600_302600_NS6detail15normal_iteratorINS9_10device_ptrIiEEEENSB_INSC_IyEEEESG_yNS9_4plusIvEENS9_8equal_toIvEEyEE10hipError_tPvRmT2_T3_T4_T5_mT6_T7_P12ihipStream_tbENKUlT_T0_E_clISt17integral_constantIbLb1EES11_EEDaSW_SX_EUlSW_E_NS1_11comp_targetILNS1_3genE8ELNS1_11target_archE1030ELNS1_3gpuE2ELNS1_3repE0EEENS1_30default_config_static_selectorELNS0_4arch9wavefront6targetE0EEEvT1_.has_indirect_call, 0
	.section	.AMDGPU.csdata,"",@progbits
; Kernel info:
; codeLenInByte = 4
; TotalNumSgprs: 0
; NumVgprs: 0
; ScratchSize: 0
; MemoryBound: 0
; FloatMode: 240
; IeeeMode: 1
; LDSByteSize: 0 bytes/workgroup (compile time only)
; SGPRBlocks: 0
; VGPRBlocks: 0
; NumSGPRsForWavesPerEU: 1
; NumVGPRsForWavesPerEU: 1
; Occupancy: 16
; WaveLimiterHint : 0
; COMPUTE_PGM_RSRC2:SCRATCH_EN: 0
; COMPUTE_PGM_RSRC2:USER_SGPR: 6
; COMPUTE_PGM_RSRC2:TRAP_HANDLER: 0
; COMPUTE_PGM_RSRC2:TGID_X_EN: 1
; COMPUTE_PGM_RSRC2:TGID_Y_EN: 0
; COMPUTE_PGM_RSRC2:TGID_Z_EN: 0
; COMPUTE_PGM_RSRC2:TIDIG_COMP_CNT: 0
	.section	.text._ZN7rocprim17ROCPRIM_400000_NS6detail30init_device_scan_by_key_kernelINS1_19lookback_scan_stateINS0_5tupleIJybEEELb1ELb0EEEN6thrust23THRUST_200600_302600_NS6detail15normal_iteratorINS8_10device_ptrIiEEEEjNS1_16block_id_wrapperIjLb0EEEEEvT_jjPNSG_10value_typeET0_PNSt15iterator_traitsISJ_E10value_typeEmT1_T2_,"axG",@progbits,_ZN7rocprim17ROCPRIM_400000_NS6detail30init_device_scan_by_key_kernelINS1_19lookback_scan_stateINS0_5tupleIJybEEELb1ELb0EEEN6thrust23THRUST_200600_302600_NS6detail15normal_iteratorINS8_10device_ptrIiEEEEjNS1_16block_id_wrapperIjLb0EEEEEvT_jjPNSG_10value_typeET0_PNSt15iterator_traitsISJ_E10value_typeEmT1_T2_,comdat
	.protected	_ZN7rocprim17ROCPRIM_400000_NS6detail30init_device_scan_by_key_kernelINS1_19lookback_scan_stateINS0_5tupleIJybEEELb1ELb0EEEN6thrust23THRUST_200600_302600_NS6detail15normal_iteratorINS8_10device_ptrIiEEEEjNS1_16block_id_wrapperIjLb0EEEEEvT_jjPNSG_10value_typeET0_PNSt15iterator_traitsISJ_E10value_typeEmT1_T2_ ; -- Begin function _ZN7rocprim17ROCPRIM_400000_NS6detail30init_device_scan_by_key_kernelINS1_19lookback_scan_stateINS0_5tupleIJybEEELb1ELb0EEEN6thrust23THRUST_200600_302600_NS6detail15normal_iteratorINS8_10device_ptrIiEEEEjNS1_16block_id_wrapperIjLb0EEEEEvT_jjPNSG_10value_typeET0_PNSt15iterator_traitsISJ_E10value_typeEmT1_T2_
	.globl	_ZN7rocprim17ROCPRIM_400000_NS6detail30init_device_scan_by_key_kernelINS1_19lookback_scan_stateINS0_5tupleIJybEEELb1ELb0EEEN6thrust23THRUST_200600_302600_NS6detail15normal_iteratorINS8_10device_ptrIiEEEEjNS1_16block_id_wrapperIjLb0EEEEEvT_jjPNSG_10value_typeET0_PNSt15iterator_traitsISJ_E10value_typeEmT1_T2_
	.p2align	8
	.type	_ZN7rocprim17ROCPRIM_400000_NS6detail30init_device_scan_by_key_kernelINS1_19lookback_scan_stateINS0_5tupleIJybEEELb1ELb0EEEN6thrust23THRUST_200600_302600_NS6detail15normal_iteratorINS8_10device_ptrIiEEEEjNS1_16block_id_wrapperIjLb0EEEEEvT_jjPNSG_10value_typeET0_PNSt15iterator_traitsISJ_E10value_typeEmT1_T2_,@function
_ZN7rocprim17ROCPRIM_400000_NS6detail30init_device_scan_by_key_kernelINS1_19lookback_scan_stateINS0_5tupleIJybEEELb1ELb0EEEN6thrust23THRUST_200600_302600_NS6detail15normal_iteratorINS8_10device_ptrIiEEEEjNS1_16block_id_wrapperIjLb0EEEEEvT_jjPNSG_10value_typeET0_PNSt15iterator_traitsISJ_E10value_typeEmT1_T2_: ; @_ZN7rocprim17ROCPRIM_400000_NS6detail30init_device_scan_by_key_kernelINS1_19lookback_scan_stateINS0_5tupleIJybEEELb1ELb0EEEN6thrust23THRUST_200600_302600_NS6detail15normal_iteratorINS8_10device_ptrIiEEEEjNS1_16block_id_wrapperIjLb0EEEEEvT_jjPNSG_10value_typeET0_PNSt15iterator_traitsISJ_E10value_typeEmT1_T2_
; %bb.0:
	s_clause 0x2
	s_load_dword s0, s[4:5], 0x54
	s_load_dwordx8 s[8:15], s[4:5], 0x10
	s_load_dword s18, s[4:5], 0x48
	s_waitcnt lgkmcnt(0)
	s_and_b32 s19, s0, 0xffff
	s_cmp_eq_u64 s[12:13], 0
	v_mad_u64_u32 v[0:1], null, s6, s19, v[0:1]
	s_cbranch_scc1 .LBB1196_9
; %bb.1:
	s_cmp_lt_u32 s11, s10
	s_mov_b32 s7, 0
	s_cselect_b32 s0, s11, 0
	s_mov_b32 s20, exec_lo
	v_cmpx_eq_u32_e64 s0, v0
	s_cbranch_execz .LBB1196_8
; %bb.2:
	s_add_i32 s6, s11, 32
	s_load_dwordx4 s[0:3], s[4:5], 0x0
	v_mov_b32_e32 v1, s6
	s_add_u32 s16, s8, s6
	s_addc_u32 s17, s9, 0
	global_load_ubyte v2, v1, s[8:9] glc dlc
	v_mov_b32_e32 v1, 0
	s_waitcnt vmcnt(0)
	v_cmp_ne_u32_sdwa s11, v2, v1 src0_sel:WORD_0 src1_sel:DWORD
	v_readfirstlane_b32 s21, v2
	s_and_b32 vcc_lo, exec_lo, s11
	s_cbranch_vccnz .LBB1196_7
; %bb.3:
	s_mov_b32 s11, 1
.LBB1196_4:                             ; =>This Loop Header: Depth=1
                                        ;     Child Loop BB1196_5 Depth 2
	s_mov_b32 s21, s11
.LBB1196_5:                             ;   Parent Loop BB1196_4 Depth=1
                                        ; =>  This Inner Loop Header: Depth=2
	s_add_i32 s21, s21, -1
	s_sleep 1
	s_cmp_eq_u32 s21, 0
	s_cbranch_scc0 .LBB1196_5
; %bb.6:                                ;   in Loop: Header=BB1196_4 Depth=1
	global_load_ubyte v2, v1, s[16:17] glc dlc
	s_cmp_lt_u32 s11, 32
	s_cselect_b32 s21, -1, 0
	s_cmp_lg_u32 s21, 0
	s_addc_u32 s11, s11, 0
	s_waitcnt vmcnt(0)
	v_cmp_ne_u32_sdwa s22, v2, v1 src0_sel:WORD_0 src1_sel:DWORD
	v_readfirstlane_b32 s21, v2
	s_and_b32 vcc_lo, exec_lo, s22
	s_cbranch_vccz .LBB1196_4
.LBB1196_7:
	s_and_b32 s11, 0xffff, s21
	v_mov_b32_e32 v3, 0
	s_cmp_eq_u32 s11, 1
	s_waitcnt lgkmcnt(0)
	buffer_gl1_inv
	buffer_gl0_inv
	s_cselect_b32 s3, s1, s3
	s_cselect_b32 s2, s0, s2
	s_lshl_b64 s[0:1], s[6:7], 4
	s_add_u32 s0, s2, s0
	s_addc_u32 s1, s3, s1
	s_clause 0x1
	global_load_dwordx2 v[1:2], v3, s[0:1]
	global_load_ubyte v4, v3, s[0:1] offset:8
	s_waitcnt vmcnt(1)
	global_store_dwordx2 v3, v[1:2], s[12:13]
	s_waitcnt vmcnt(0)
	global_store_byte v3, v4, s[12:13] offset:8
.LBB1196_8:
	s_or_b32 exec_lo, exec_lo, s20
.LBB1196_9:
	s_mov_b32 s0, exec_lo
	v_cmpx_gt_u32_e64 s10, v0
	s_cbranch_execz .LBB1196_11
; %bb.10:
	v_add_nc_u32_e32 v1, 32, v0
	v_mov_b32_e32 v2, 0
	global_store_byte v1, v2, s[8:9]
.LBB1196_11:
	s_or_b32 exec_lo, exec_lo, s0
	v_mov_b32_e32 v1, 0
	s_mov_b32 s0, exec_lo
	v_cmpx_gt_u32_e32 32, v0
	s_cbranch_execz .LBB1196_13
; %bb.12:
	v_add_co_u32 v2, s1, s8, v0
	v_add_co_ci_u32_e64 v3, null, s9, 0, s1
	v_mov_b32_e32 v4, 0xff
	global_store_byte v[2:3], v4, off
.LBB1196_13:
	s_or_b32 exec_lo, exec_lo, s0
	s_load_dwordx2 s[2:3], s[4:5], 0x38
	s_mov_b32 s0, exec_lo
	s_waitcnt lgkmcnt(0)
	v_cmpx_gt_u64_e64 s[2:3], v[0:1]
	s_cbranch_execz .LBB1196_16
; %bb.14:
	s_clause 0x1
	s_load_dword s8, s[4:5], 0x40
	s_load_dwordx2 s[6:7], s[4:5], 0x30
	s_mov_b32 s1, 0
	v_lshlrev_b64 v[4:5], 2, v[0:1]
	s_mul_i32 s4, s18, s19
	s_waitcnt lgkmcnt(0)
	v_mad_u64_u32 v[2:3], null, s8, v0, 0
	s_add_i32 s0, s8, -1
	s_mul_hi_u32 s9, s8, s4
	s_lshl_b64 s[10:11], s[0:1], 2
	s_mul_i32 s8, s8, s4
	s_add_u32 s0, s14, s10
	s_addc_u32 s5, s15, s11
	v_lshlrev_b64 v[2:3], 2, v[2:3]
	v_add_co_u32 v2, vcc_lo, s0, v2
	v_add_co_ci_u32_e64 v3, null, s5, v3, vcc_lo
	v_add_co_u32 v4, vcc_lo, s6, v4
	v_add_co_ci_u32_e64 v5, null, s7, v5, vcc_lo
	s_mov_b32 s5, s1
	s_lshl_b64 s[6:7], s[8:9], 2
	s_lshl_b64 s[8:9], s[4:5], 2
	.p2align	6
.LBB1196_15:                            ; =>This Inner Loop Header: Depth=1
	global_load_dword v6, v[2:3], off
	v_add_co_u32 v0, vcc_lo, v0, s4
	v_add_co_ci_u32_e64 v1, null, 0, v1, vcc_lo
	v_add_co_u32 v2, vcc_lo, v2, s6
	v_add_co_ci_u32_e64 v3, null, s7, v3, vcc_lo
	v_cmp_le_u64_e32 vcc_lo, s[2:3], v[0:1]
	s_or_b32 s1, vcc_lo, s1
	s_waitcnt vmcnt(0)
	global_store_dword v[4:5], v6, off
	v_add_co_u32 v4, s0, v4, s8
	v_add_co_ci_u32_e64 v5, null, s9, v5, s0
	s_andn2_b32 exec_lo, exec_lo, s1
	s_cbranch_execnz .LBB1196_15
.LBB1196_16:
	s_endpgm
	.section	.rodata,"a",@progbits
	.p2align	6, 0x0
	.amdhsa_kernel _ZN7rocprim17ROCPRIM_400000_NS6detail30init_device_scan_by_key_kernelINS1_19lookback_scan_stateINS0_5tupleIJybEEELb1ELb0EEEN6thrust23THRUST_200600_302600_NS6detail15normal_iteratorINS8_10device_ptrIiEEEEjNS1_16block_id_wrapperIjLb0EEEEEvT_jjPNSG_10value_typeET0_PNSt15iterator_traitsISJ_E10value_typeEmT1_T2_
		.amdhsa_group_segment_fixed_size 0
		.amdhsa_private_segment_fixed_size 0
		.amdhsa_kernarg_size 328
		.amdhsa_user_sgpr_count 6
		.amdhsa_user_sgpr_private_segment_buffer 1
		.amdhsa_user_sgpr_dispatch_ptr 0
		.amdhsa_user_sgpr_queue_ptr 0
		.amdhsa_user_sgpr_kernarg_segment_ptr 1
		.amdhsa_user_sgpr_dispatch_id 0
		.amdhsa_user_sgpr_flat_scratch_init 0
		.amdhsa_user_sgpr_private_segment_size 0
		.amdhsa_wavefront_size32 1
		.amdhsa_uses_dynamic_stack 0
		.amdhsa_system_sgpr_private_segment_wavefront_offset 0
		.amdhsa_system_sgpr_workgroup_id_x 1
		.amdhsa_system_sgpr_workgroup_id_y 0
		.amdhsa_system_sgpr_workgroup_id_z 0
		.amdhsa_system_sgpr_workgroup_info 0
		.amdhsa_system_vgpr_workitem_id 0
		.amdhsa_next_free_vgpr 7
		.amdhsa_next_free_sgpr 23
		.amdhsa_reserve_vcc 1
		.amdhsa_reserve_flat_scratch 0
		.amdhsa_float_round_mode_32 0
		.amdhsa_float_round_mode_16_64 0
		.amdhsa_float_denorm_mode_32 3
		.amdhsa_float_denorm_mode_16_64 3
		.amdhsa_dx10_clamp 1
		.amdhsa_ieee_mode 1
		.amdhsa_fp16_overflow 0
		.amdhsa_workgroup_processor_mode 1
		.amdhsa_memory_ordered 1
		.amdhsa_forward_progress 1
		.amdhsa_shared_vgpr_count 0
		.amdhsa_exception_fp_ieee_invalid_op 0
		.amdhsa_exception_fp_denorm_src 0
		.amdhsa_exception_fp_ieee_div_zero 0
		.amdhsa_exception_fp_ieee_overflow 0
		.amdhsa_exception_fp_ieee_underflow 0
		.amdhsa_exception_fp_ieee_inexact 0
		.amdhsa_exception_int_div_zero 0
	.end_amdhsa_kernel
	.section	.text._ZN7rocprim17ROCPRIM_400000_NS6detail30init_device_scan_by_key_kernelINS1_19lookback_scan_stateINS0_5tupleIJybEEELb1ELb0EEEN6thrust23THRUST_200600_302600_NS6detail15normal_iteratorINS8_10device_ptrIiEEEEjNS1_16block_id_wrapperIjLb0EEEEEvT_jjPNSG_10value_typeET0_PNSt15iterator_traitsISJ_E10value_typeEmT1_T2_,"axG",@progbits,_ZN7rocprim17ROCPRIM_400000_NS6detail30init_device_scan_by_key_kernelINS1_19lookback_scan_stateINS0_5tupleIJybEEELb1ELb0EEEN6thrust23THRUST_200600_302600_NS6detail15normal_iteratorINS8_10device_ptrIiEEEEjNS1_16block_id_wrapperIjLb0EEEEEvT_jjPNSG_10value_typeET0_PNSt15iterator_traitsISJ_E10value_typeEmT1_T2_,comdat
.Lfunc_end1196:
	.size	_ZN7rocprim17ROCPRIM_400000_NS6detail30init_device_scan_by_key_kernelINS1_19lookback_scan_stateINS0_5tupleIJybEEELb1ELb0EEEN6thrust23THRUST_200600_302600_NS6detail15normal_iteratorINS8_10device_ptrIiEEEEjNS1_16block_id_wrapperIjLb0EEEEEvT_jjPNSG_10value_typeET0_PNSt15iterator_traitsISJ_E10value_typeEmT1_T2_, .Lfunc_end1196-_ZN7rocprim17ROCPRIM_400000_NS6detail30init_device_scan_by_key_kernelINS1_19lookback_scan_stateINS0_5tupleIJybEEELb1ELb0EEEN6thrust23THRUST_200600_302600_NS6detail15normal_iteratorINS8_10device_ptrIiEEEEjNS1_16block_id_wrapperIjLb0EEEEEvT_jjPNSG_10value_typeET0_PNSt15iterator_traitsISJ_E10value_typeEmT1_T2_
                                        ; -- End function
	.set _ZN7rocprim17ROCPRIM_400000_NS6detail30init_device_scan_by_key_kernelINS1_19lookback_scan_stateINS0_5tupleIJybEEELb1ELb0EEEN6thrust23THRUST_200600_302600_NS6detail15normal_iteratorINS8_10device_ptrIiEEEEjNS1_16block_id_wrapperIjLb0EEEEEvT_jjPNSG_10value_typeET0_PNSt15iterator_traitsISJ_E10value_typeEmT1_T2_.num_vgpr, 7
	.set _ZN7rocprim17ROCPRIM_400000_NS6detail30init_device_scan_by_key_kernelINS1_19lookback_scan_stateINS0_5tupleIJybEEELb1ELb0EEEN6thrust23THRUST_200600_302600_NS6detail15normal_iteratorINS8_10device_ptrIiEEEEjNS1_16block_id_wrapperIjLb0EEEEEvT_jjPNSG_10value_typeET0_PNSt15iterator_traitsISJ_E10value_typeEmT1_T2_.num_agpr, 0
	.set _ZN7rocprim17ROCPRIM_400000_NS6detail30init_device_scan_by_key_kernelINS1_19lookback_scan_stateINS0_5tupleIJybEEELb1ELb0EEEN6thrust23THRUST_200600_302600_NS6detail15normal_iteratorINS8_10device_ptrIiEEEEjNS1_16block_id_wrapperIjLb0EEEEEvT_jjPNSG_10value_typeET0_PNSt15iterator_traitsISJ_E10value_typeEmT1_T2_.numbered_sgpr, 23
	.set _ZN7rocprim17ROCPRIM_400000_NS6detail30init_device_scan_by_key_kernelINS1_19lookback_scan_stateINS0_5tupleIJybEEELb1ELb0EEEN6thrust23THRUST_200600_302600_NS6detail15normal_iteratorINS8_10device_ptrIiEEEEjNS1_16block_id_wrapperIjLb0EEEEEvT_jjPNSG_10value_typeET0_PNSt15iterator_traitsISJ_E10value_typeEmT1_T2_.num_named_barrier, 0
	.set _ZN7rocprim17ROCPRIM_400000_NS6detail30init_device_scan_by_key_kernelINS1_19lookback_scan_stateINS0_5tupleIJybEEELb1ELb0EEEN6thrust23THRUST_200600_302600_NS6detail15normal_iteratorINS8_10device_ptrIiEEEEjNS1_16block_id_wrapperIjLb0EEEEEvT_jjPNSG_10value_typeET0_PNSt15iterator_traitsISJ_E10value_typeEmT1_T2_.private_seg_size, 0
	.set _ZN7rocprim17ROCPRIM_400000_NS6detail30init_device_scan_by_key_kernelINS1_19lookback_scan_stateINS0_5tupleIJybEEELb1ELb0EEEN6thrust23THRUST_200600_302600_NS6detail15normal_iteratorINS8_10device_ptrIiEEEEjNS1_16block_id_wrapperIjLb0EEEEEvT_jjPNSG_10value_typeET0_PNSt15iterator_traitsISJ_E10value_typeEmT1_T2_.uses_vcc, 1
	.set _ZN7rocprim17ROCPRIM_400000_NS6detail30init_device_scan_by_key_kernelINS1_19lookback_scan_stateINS0_5tupleIJybEEELb1ELb0EEEN6thrust23THRUST_200600_302600_NS6detail15normal_iteratorINS8_10device_ptrIiEEEEjNS1_16block_id_wrapperIjLb0EEEEEvT_jjPNSG_10value_typeET0_PNSt15iterator_traitsISJ_E10value_typeEmT1_T2_.uses_flat_scratch, 0
	.set _ZN7rocprim17ROCPRIM_400000_NS6detail30init_device_scan_by_key_kernelINS1_19lookback_scan_stateINS0_5tupleIJybEEELb1ELb0EEEN6thrust23THRUST_200600_302600_NS6detail15normal_iteratorINS8_10device_ptrIiEEEEjNS1_16block_id_wrapperIjLb0EEEEEvT_jjPNSG_10value_typeET0_PNSt15iterator_traitsISJ_E10value_typeEmT1_T2_.has_dyn_sized_stack, 0
	.set _ZN7rocprim17ROCPRIM_400000_NS6detail30init_device_scan_by_key_kernelINS1_19lookback_scan_stateINS0_5tupleIJybEEELb1ELb0EEEN6thrust23THRUST_200600_302600_NS6detail15normal_iteratorINS8_10device_ptrIiEEEEjNS1_16block_id_wrapperIjLb0EEEEEvT_jjPNSG_10value_typeET0_PNSt15iterator_traitsISJ_E10value_typeEmT1_T2_.has_recursion, 0
	.set _ZN7rocprim17ROCPRIM_400000_NS6detail30init_device_scan_by_key_kernelINS1_19lookback_scan_stateINS0_5tupleIJybEEELb1ELb0EEEN6thrust23THRUST_200600_302600_NS6detail15normal_iteratorINS8_10device_ptrIiEEEEjNS1_16block_id_wrapperIjLb0EEEEEvT_jjPNSG_10value_typeET0_PNSt15iterator_traitsISJ_E10value_typeEmT1_T2_.has_indirect_call, 0
	.section	.AMDGPU.csdata,"",@progbits
; Kernel info:
; codeLenInByte = 664
; TotalNumSgprs: 25
; NumVgprs: 7
; ScratchSize: 0
; MemoryBound: 0
; FloatMode: 240
; IeeeMode: 1
; LDSByteSize: 0 bytes/workgroup (compile time only)
; SGPRBlocks: 0
; VGPRBlocks: 0
; NumSGPRsForWavesPerEU: 25
; NumVGPRsForWavesPerEU: 7
; Occupancy: 16
; WaveLimiterHint : 0
; COMPUTE_PGM_RSRC2:SCRATCH_EN: 0
; COMPUTE_PGM_RSRC2:USER_SGPR: 6
; COMPUTE_PGM_RSRC2:TRAP_HANDLER: 0
; COMPUTE_PGM_RSRC2:TGID_X_EN: 1
; COMPUTE_PGM_RSRC2:TGID_Y_EN: 0
; COMPUTE_PGM_RSRC2:TGID_Z_EN: 0
; COMPUTE_PGM_RSRC2:TIDIG_COMP_CNT: 0
	.section	.text._ZN7rocprim17ROCPRIM_400000_NS6detail30init_device_scan_by_key_kernelINS1_19lookback_scan_stateINS0_5tupleIJybEEELb1ELb0EEENS1_16block_id_wrapperIjLb0EEEEEvT_jjPNS9_10value_typeET0_,"axG",@progbits,_ZN7rocprim17ROCPRIM_400000_NS6detail30init_device_scan_by_key_kernelINS1_19lookback_scan_stateINS0_5tupleIJybEEELb1ELb0EEENS1_16block_id_wrapperIjLb0EEEEEvT_jjPNS9_10value_typeET0_,comdat
	.protected	_ZN7rocprim17ROCPRIM_400000_NS6detail30init_device_scan_by_key_kernelINS1_19lookback_scan_stateINS0_5tupleIJybEEELb1ELb0EEENS1_16block_id_wrapperIjLb0EEEEEvT_jjPNS9_10value_typeET0_ ; -- Begin function _ZN7rocprim17ROCPRIM_400000_NS6detail30init_device_scan_by_key_kernelINS1_19lookback_scan_stateINS0_5tupleIJybEEELb1ELb0EEENS1_16block_id_wrapperIjLb0EEEEEvT_jjPNS9_10value_typeET0_
	.globl	_ZN7rocprim17ROCPRIM_400000_NS6detail30init_device_scan_by_key_kernelINS1_19lookback_scan_stateINS0_5tupleIJybEEELb1ELb0EEENS1_16block_id_wrapperIjLb0EEEEEvT_jjPNS9_10value_typeET0_
	.p2align	8
	.type	_ZN7rocprim17ROCPRIM_400000_NS6detail30init_device_scan_by_key_kernelINS1_19lookback_scan_stateINS0_5tupleIJybEEELb1ELb0EEENS1_16block_id_wrapperIjLb0EEEEEvT_jjPNS9_10value_typeET0_,@function
_ZN7rocprim17ROCPRIM_400000_NS6detail30init_device_scan_by_key_kernelINS1_19lookback_scan_stateINS0_5tupleIJybEEELb1ELb0EEENS1_16block_id_wrapperIjLb0EEEEEvT_jjPNS9_10value_typeET0_: ; @_ZN7rocprim17ROCPRIM_400000_NS6detail30init_device_scan_by_key_kernelINS1_19lookback_scan_stateINS0_5tupleIJybEEELb1ELb0EEENS1_16block_id_wrapperIjLb0EEEEEvT_jjPNS9_10value_typeET0_
; %bb.0:
	s_clause 0x2
	s_load_dword s7, s[4:5], 0x3c
	s_load_dwordx2 s[8:9], s[4:5], 0x20
	s_load_dwordx4 s[0:3], s[4:5], 0x10
	s_waitcnt lgkmcnt(0)
	s_and_b32 s7, s7, 0xffff
	s_cmp_eq_u64 s[8:9], 0
	v_mad_u64_u32 v[0:1], null, s6, s7, v[0:1]
	s_cbranch_scc1 .LBB1197_9
; %bb.1:
	s_cmp_lt_u32 s3, s2
	s_mov_b32 s11, 0
	s_cselect_b32 s6, s3, 0
	s_mov_b32 s14, exec_lo
	v_cmpx_eq_u32_e64 s6, v0
	s_cbranch_execz .LBB1197_8
; %bb.2:
	s_add_i32 s10, s3, 32
	s_load_dwordx4 s[4:7], s[4:5], 0x0
	v_mov_b32_e32 v1, s10
	s_add_u32 s12, s0, s10
	s_addc_u32 s13, s1, 0
	global_load_ubyte v2, v1, s[0:1] glc dlc
	v_mov_b32_e32 v1, 0
	s_waitcnt vmcnt(0)
	v_cmp_ne_u32_sdwa s3, v2, v1 src0_sel:WORD_0 src1_sel:DWORD
	v_readfirstlane_b32 s15, v2
	s_and_b32 vcc_lo, exec_lo, s3
	s_cbranch_vccnz .LBB1197_7
; %bb.3:
	s_mov_b32 s3, 1
.LBB1197_4:                             ; =>This Loop Header: Depth=1
                                        ;     Child Loop BB1197_5 Depth 2
	s_mov_b32 s15, s3
.LBB1197_5:                             ;   Parent Loop BB1197_4 Depth=1
                                        ; =>  This Inner Loop Header: Depth=2
	s_add_i32 s15, s15, -1
	s_sleep 1
	s_cmp_eq_u32 s15, 0
	s_cbranch_scc0 .LBB1197_5
; %bb.6:                                ;   in Loop: Header=BB1197_4 Depth=1
	global_load_ubyte v2, v1, s[12:13] glc dlc
	s_cmp_lt_u32 s3, 32
	s_cselect_b32 s15, -1, 0
	s_cmp_lg_u32 s15, 0
	s_addc_u32 s3, s3, 0
	s_waitcnt vmcnt(0)
	v_cmp_ne_u32_sdwa s16, v2, v1 src0_sel:WORD_0 src1_sel:DWORD
	v_readfirstlane_b32 s15, v2
	s_and_b32 vcc_lo, exec_lo, s16
	s_cbranch_vccz .LBB1197_4
.LBB1197_7:
	s_and_b32 s3, 0xffff, s15
	v_mov_b32_e32 v3, 0
	s_cmp_eq_u32 s3, 1
	s_waitcnt lgkmcnt(0)
	buffer_gl1_inv
	buffer_gl0_inv
	s_cselect_b32 s3, s5, s7
	s_cselect_b32 s6, s4, s6
	s_lshl_b64 s[4:5], s[10:11], 4
	s_add_u32 s4, s6, s4
	s_addc_u32 s5, s3, s5
	s_clause 0x1
	global_load_dwordx2 v[1:2], v3, s[4:5]
	global_load_ubyte v4, v3, s[4:5] offset:8
	s_waitcnt vmcnt(1)
	global_store_dwordx2 v3, v[1:2], s[8:9]
	s_waitcnt vmcnt(0)
	global_store_byte v3, v4, s[8:9] offset:8
.LBB1197_8:
	s_or_b32 exec_lo, exec_lo, s14
.LBB1197_9:
	v_cmp_gt_u32_e32 vcc_lo, s2, v0
	s_and_saveexec_b32 s2, vcc_lo
	s_cbranch_execz .LBB1197_11
; %bb.10:
	v_add_nc_u32_e32 v1, 32, v0
	v_mov_b32_e32 v2, 0
	global_store_byte v1, v2, s[0:1]
.LBB1197_11:
	s_or_b32 exec_lo, exec_lo, s2
	s_mov_b32 s2, exec_lo
	v_cmpx_gt_u32_e32 32, v0
	s_cbranch_execz .LBB1197_13
; %bb.12:
	v_mov_b32_e32 v1, 0xff
	global_store_byte v0, v1, s[0:1]
.LBB1197_13:
	s_endpgm
	.section	.rodata,"a",@progbits
	.p2align	6, 0x0
	.amdhsa_kernel _ZN7rocprim17ROCPRIM_400000_NS6detail30init_device_scan_by_key_kernelINS1_19lookback_scan_stateINS0_5tupleIJybEEELb1ELb0EEENS1_16block_id_wrapperIjLb0EEEEEvT_jjPNS9_10value_typeET0_
		.amdhsa_group_segment_fixed_size 0
		.amdhsa_private_segment_fixed_size 0
		.amdhsa_kernarg_size 304
		.amdhsa_user_sgpr_count 6
		.amdhsa_user_sgpr_private_segment_buffer 1
		.amdhsa_user_sgpr_dispatch_ptr 0
		.amdhsa_user_sgpr_queue_ptr 0
		.amdhsa_user_sgpr_kernarg_segment_ptr 1
		.amdhsa_user_sgpr_dispatch_id 0
		.amdhsa_user_sgpr_flat_scratch_init 0
		.amdhsa_user_sgpr_private_segment_size 0
		.amdhsa_wavefront_size32 1
		.amdhsa_uses_dynamic_stack 0
		.amdhsa_system_sgpr_private_segment_wavefront_offset 0
		.amdhsa_system_sgpr_workgroup_id_x 1
		.amdhsa_system_sgpr_workgroup_id_y 0
		.amdhsa_system_sgpr_workgroup_id_z 0
		.amdhsa_system_sgpr_workgroup_info 0
		.amdhsa_system_vgpr_workitem_id 0
		.amdhsa_next_free_vgpr 5
		.amdhsa_next_free_sgpr 17
		.amdhsa_reserve_vcc 1
		.amdhsa_reserve_flat_scratch 0
		.amdhsa_float_round_mode_32 0
		.amdhsa_float_round_mode_16_64 0
		.amdhsa_float_denorm_mode_32 3
		.amdhsa_float_denorm_mode_16_64 3
		.amdhsa_dx10_clamp 1
		.amdhsa_ieee_mode 1
		.amdhsa_fp16_overflow 0
		.amdhsa_workgroup_processor_mode 1
		.amdhsa_memory_ordered 1
		.amdhsa_forward_progress 1
		.amdhsa_shared_vgpr_count 0
		.amdhsa_exception_fp_ieee_invalid_op 0
		.amdhsa_exception_fp_denorm_src 0
		.amdhsa_exception_fp_ieee_div_zero 0
		.amdhsa_exception_fp_ieee_overflow 0
		.amdhsa_exception_fp_ieee_underflow 0
		.amdhsa_exception_fp_ieee_inexact 0
		.amdhsa_exception_int_div_zero 0
	.end_amdhsa_kernel
	.section	.text._ZN7rocprim17ROCPRIM_400000_NS6detail30init_device_scan_by_key_kernelINS1_19lookback_scan_stateINS0_5tupleIJybEEELb1ELb0EEENS1_16block_id_wrapperIjLb0EEEEEvT_jjPNS9_10value_typeET0_,"axG",@progbits,_ZN7rocprim17ROCPRIM_400000_NS6detail30init_device_scan_by_key_kernelINS1_19lookback_scan_stateINS0_5tupleIJybEEELb1ELb0EEENS1_16block_id_wrapperIjLb0EEEEEvT_jjPNS9_10value_typeET0_,comdat
.Lfunc_end1197:
	.size	_ZN7rocprim17ROCPRIM_400000_NS6detail30init_device_scan_by_key_kernelINS1_19lookback_scan_stateINS0_5tupleIJybEEELb1ELb0EEENS1_16block_id_wrapperIjLb0EEEEEvT_jjPNS9_10value_typeET0_, .Lfunc_end1197-_ZN7rocprim17ROCPRIM_400000_NS6detail30init_device_scan_by_key_kernelINS1_19lookback_scan_stateINS0_5tupleIJybEEELb1ELb0EEENS1_16block_id_wrapperIjLb0EEEEEvT_jjPNS9_10value_typeET0_
                                        ; -- End function
	.set _ZN7rocprim17ROCPRIM_400000_NS6detail30init_device_scan_by_key_kernelINS1_19lookback_scan_stateINS0_5tupleIJybEEELb1ELb0EEENS1_16block_id_wrapperIjLb0EEEEEvT_jjPNS9_10value_typeET0_.num_vgpr, 5
	.set _ZN7rocprim17ROCPRIM_400000_NS6detail30init_device_scan_by_key_kernelINS1_19lookback_scan_stateINS0_5tupleIJybEEELb1ELb0EEENS1_16block_id_wrapperIjLb0EEEEEvT_jjPNS9_10value_typeET0_.num_agpr, 0
	.set _ZN7rocprim17ROCPRIM_400000_NS6detail30init_device_scan_by_key_kernelINS1_19lookback_scan_stateINS0_5tupleIJybEEELb1ELb0EEENS1_16block_id_wrapperIjLb0EEEEEvT_jjPNS9_10value_typeET0_.numbered_sgpr, 17
	.set _ZN7rocprim17ROCPRIM_400000_NS6detail30init_device_scan_by_key_kernelINS1_19lookback_scan_stateINS0_5tupleIJybEEELb1ELb0EEENS1_16block_id_wrapperIjLb0EEEEEvT_jjPNS9_10value_typeET0_.num_named_barrier, 0
	.set _ZN7rocprim17ROCPRIM_400000_NS6detail30init_device_scan_by_key_kernelINS1_19lookback_scan_stateINS0_5tupleIJybEEELb1ELb0EEENS1_16block_id_wrapperIjLb0EEEEEvT_jjPNS9_10value_typeET0_.private_seg_size, 0
	.set _ZN7rocprim17ROCPRIM_400000_NS6detail30init_device_scan_by_key_kernelINS1_19lookback_scan_stateINS0_5tupleIJybEEELb1ELb0EEENS1_16block_id_wrapperIjLb0EEEEEvT_jjPNS9_10value_typeET0_.uses_vcc, 1
	.set _ZN7rocprim17ROCPRIM_400000_NS6detail30init_device_scan_by_key_kernelINS1_19lookback_scan_stateINS0_5tupleIJybEEELb1ELb0EEENS1_16block_id_wrapperIjLb0EEEEEvT_jjPNS9_10value_typeET0_.uses_flat_scratch, 0
	.set _ZN7rocprim17ROCPRIM_400000_NS6detail30init_device_scan_by_key_kernelINS1_19lookback_scan_stateINS0_5tupleIJybEEELb1ELb0EEENS1_16block_id_wrapperIjLb0EEEEEvT_jjPNS9_10value_typeET0_.has_dyn_sized_stack, 0
	.set _ZN7rocprim17ROCPRIM_400000_NS6detail30init_device_scan_by_key_kernelINS1_19lookback_scan_stateINS0_5tupleIJybEEELb1ELb0EEENS1_16block_id_wrapperIjLb0EEEEEvT_jjPNS9_10value_typeET0_.has_recursion, 0
	.set _ZN7rocprim17ROCPRIM_400000_NS6detail30init_device_scan_by_key_kernelINS1_19lookback_scan_stateINS0_5tupleIJybEEELb1ELb0EEENS1_16block_id_wrapperIjLb0EEEEEvT_jjPNS9_10value_typeET0_.has_indirect_call, 0
	.section	.AMDGPU.csdata,"",@progbits
; Kernel info:
; codeLenInByte = 384
; TotalNumSgprs: 19
; NumVgprs: 5
; ScratchSize: 0
; MemoryBound: 0
; FloatMode: 240
; IeeeMode: 1
; LDSByteSize: 0 bytes/workgroup (compile time only)
; SGPRBlocks: 0
; VGPRBlocks: 0
; NumSGPRsForWavesPerEU: 19
; NumVGPRsForWavesPerEU: 5
; Occupancy: 16
; WaveLimiterHint : 0
; COMPUTE_PGM_RSRC2:SCRATCH_EN: 0
; COMPUTE_PGM_RSRC2:USER_SGPR: 6
; COMPUTE_PGM_RSRC2:TRAP_HANDLER: 0
; COMPUTE_PGM_RSRC2:TGID_X_EN: 1
; COMPUTE_PGM_RSRC2:TGID_Y_EN: 0
; COMPUTE_PGM_RSRC2:TGID_Z_EN: 0
; COMPUTE_PGM_RSRC2:TIDIG_COMP_CNT: 0
	.section	.text._ZN7rocprim17ROCPRIM_400000_NS6detail17trampoline_kernelINS0_14default_configENS1_27scan_by_key_config_selectorIiyEEZZNS1_16scan_by_key_implILNS1_25lookback_scan_determinismE0ELb0ES3_N6thrust23THRUST_200600_302600_NS6detail15normal_iteratorINS9_10device_ptrIiEEEENSB_INSC_IyEEEESG_yNS9_4plusIvEENS9_8equal_toIvEEyEE10hipError_tPvRmT2_T3_T4_T5_mT6_T7_P12ihipStream_tbENKUlT_T0_E_clISt17integral_constantIbLb1EES10_IbLb0EEEEDaSW_SX_EUlSW_E_NS1_11comp_targetILNS1_3genE0ELNS1_11target_archE4294967295ELNS1_3gpuE0ELNS1_3repE0EEENS1_30default_config_static_selectorELNS0_4arch9wavefront6targetE0EEEvT1_,"axG",@progbits,_ZN7rocprim17ROCPRIM_400000_NS6detail17trampoline_kernelINS0_14default_configENS1_27scan_by_key_config_selectorIiyEEZZNS1_16scan_by_key_implILNS1_25lookback_scan_determinismE0ELb0ES3_N6thrust23THRUST_200600_302600_NS6detail15normal_iteratorINS9_10device_ptrIiEEEENSB_INSC_IyEEEESG_yNS9_4plusIvEENS9_8equal_toIvEEyEE10hipError_tPvRmT2_T3_T4_T5_mT6_T7_P12ihipStream_tbENKUlT_T0_E_clISt17integral_constantIbLb1EES10_IbLb0EEEEDaSW_SX_EUlSW_E_NS1_11comp_targetILNS1_3genE0ELNS1_11target_archE4294967295ELNS1_3gpuE0ELNS1_3repE0EEENS1_30default_config_static_selectorELNS0_4arch9wavefront6targetE0EEEvT1_,comdat
	.protected	_ZN7rocprim17ROCPRIM_400000_NS6detail17trampoline_kernelINS0_14default_configENS1_27scan_by_key_config_selectorIiyEEZZNS1_16scan_by_key_implILNS1_25lookback_scan_determinismE0ELb0ES3_N6thrust23THRUST_200600_302600_NS6detail15normal_iteratorINS9_10device_ptrIiEEEENSB_INSC_IyEEEESG_yNS9_4plusIvEENS9_8equal_toIvEEyEE10hipError_tPvRmT2_T3_T4_T5_mT6_T7_P12ihipStream_tbENKUlT_T0_E_clISt17integral_constantIbLb1EES10_IbLb0EEEEDaSW_SX_EUlSW_E_NS1_11comp_targetILNS1_3genE0ELNS1_11target_archE4294967295ELNS1_3gpuE0ELNS1_3repE0EEENS1_30default_config_static_selectorELNS0_4arch9wavefront6targetE0EEEvT1_ ; -- Begin function _ZN7rocprim17ROCPRIM_400000_NS6detail17trampoline_kernelINS0_14default_configENS1_27scan_by_key_config_selectorIiyEEZZNS1_16scan_by_key_implILNS1_25lookback_scan_determinismE0ELb0ES3_N6thrust23THRUST_200600_302600_NS6detail15normal_iteratorINS9_10device_ptrIiEEEENSB_INSC_IyEEEESG_yNS9_4plusIvEENS9_8equal_toIvEEyEE10hipError_tPvRmT2_T3_T4_T5_mT6_T7_P12ihipStream_tbENKUlT_T0_E_clISt17integral_constantIbLb1EES10_IbLb0EEEEDaSW_SX_EUlSW_E_NS1_11comp_targetILNS1_3genE0ELNS1_11target_archE4294967295ELNS1_3gpuE0ELNS1_3repE0EEENS1_30default_config_static_selectorELNS0_4arch9wavefront6targetE0EEEvT1_
	.globl	_ZN7rocprim17ROCPRIM_400000_NS6detail17trampoline_kernelINS0_14default_configENS1_27scan_by_key_config_selectorIiyEEZZNS1_16scan_by_key_implILNS1_25lookback_scan_determinismE0ELb0ES3_N6thrust23THRUST_200600_302600_NS6detail15normal_iteratorINS9_10device_ptrIiEEEENSB_INSC_IyEEEESG_yNS9_4plusIvEENS9_8equal_toIvEEyEE10hipError_tPvRmT2_T3_T4_T5_mT6_T7_P12ihipStream_tbENKUlT_T0_E_clISt17integral_constantIbLb1EES10_IbLb0EEEEDaSW_SX_EUlSW_E_NS1_11comp_targetILNS1_3genE0ELNS1_11target_archE4294967295ELNS1_3gpuE0ELNS1_3repE0EEENS1_30default_config_static_selectorELNS0_4arch9wavefront6targetE0EEEvT1_
	.p2align	8
	.type	_ZN7rocprim17ROCPRIM_400000_NS6detail17trampoline_kernelINS0_14default_configENS1_27scan_by_key_config_selectorIiyEEZZNS1_16scan_by_key_implILNS1_25lookback_scan_determinismE0ELb0ES3_N6thrust23THRUST_200600_302600_NS6detail15normal_iteratorINS9_10device_ptrIiEEEENSB_INSC_IyEEEESG_yNS9_4plusIvEENS9_8equal_toIvEEyEE10hipError_tPvRmT2_T3_T4_T5_mT6_T7_P12ihipStream_tbENKUlT_T0_E_clISt17integral_constantIbLb1EES10_IbLb0EEEEDaSW_SX_EUlSW_E_NS1_11comp_targetILNS1_3genE0ELNS1_11target_archE4294967295ELNS1_3gpuE0ELNS1_3repE0EEENS1_30default_config_static_selectorELNS0_4arch9wavefront6targetE0EEEvT1_,@function
_ZN7rocprim17ROCPRIM_400000_NS6detail17trampoline_kernelINS0_14default_configENS1_27scan_by_key_config_selectorIiyEEZZNS1_16scan_by_key_implILNS1_25lookback_scan_determinismE0ELb0ES3_N6thrust23THRUST_200600_302600_NS6detail15normal_iteratorINS9_10device_ptrIiEEEENSB_INSC_IyEEEESG_yNS9_4plusIvEENS9_8equal_toIvEEyEE10hipError_tPvRmT2_T3_T4_T5_mT6_T7_P12ihipStream_tbENKUlT_T0_E_clISt17integral_constantIbLb1EES10_IbLb0EEEEDaSW_SX_EUlSW_E_NS1_11comp_targetILNS1_3genE0ELNS1_11target_archE4294967295ELNS1_3gpuE0ELNS1_3repE0EEENS1_30default_config_static_selectorELNS0_4arch9wavefront6targetE0EEEvT1_: ; @_ZN7rocprim17ROCPRIM_400000_NS6detail17trampoline_kernelINS0_14default_configENS1_27scan_by_key_config_selectorIiyEEZZNS1_16scan_by_key_implILNS1_25lookback_scan_determinismE0ELb0ES3_N6thrust23THRUST_200600_302600_NS6detail15normal_iteratorINS9_10device_ptrIiEEEENSB_INSC_IyEEEESG_yNS9_4plusIvEENS9_8equal_toIvEEyEE10hipError_tPvRmT2_T3_T4_T5_mT6_T7_P12ihipStream_tbENKUlT_T0_E_clISt17integral_constantIbLb1EES10_IbLb0EEEEDaSW_SX_EUlSW_E_NS1_11comp_targetILNS1_3genE0ELNS1_11target_archE4294967295ELNS1_3gpuE0ELNS1_3repE0EEENS1_30default_config_static_selectorELNS0_4arch9wavefront6targetE0EEEvT1_
; %bb.0:
	.section	.rodata,"a",@progbits
	.p2align	6, 0x0
	.amdhsa_kernel _ZN7rocprim17ROCPRIM_400000_NS6detail17trampoline_kernelINS0_14default_configENS1_27scan_by_key_config_selectorIiyEEZZNS1_16scan_by_key_implILNS1_25lookback_scan_determinismE0ELb0ES3_N6thrust23THRUST_200600_302600_NS6detail15normal_iteratorINS9_10device_ptrIiEEEENSB_INSC_IyEEEESG_yNS9_4plusIvEENS9_8equal_toIvEEyEE10hipError_tPvRmT2_T3_T4_T5_mT6_T7_P12ihipStream_tbENKUlT_T0_E_clISt17integral_constantIbLb1EES10_IbLb0EEEEDaSW_SX_EUlSW_E_NS1_11comp_targetILNS1_3genE0ELNS1_11target_archE4294967295ELNS1_3gpuE0ELNS1_3repE0EEENS1_30default_config_static_selectorELNS0_4arch9wavefront6targetE0EEEvT1_
		.amdhsa_group_segment_fixed_size 0
		.amdhsa_private_segment_fixed_size 0
		.amdhsa_kernarg_size 136
		.amdhsa_user_sgpr_count 6
		.amdhsa_user_sgpr_private_segment_buffer 1
		.amdhsa_user_sgpr_dispatch_ptr 0
		.amdhsa_user_sgpr_queue_ptr 0
		.amdhsa_user_sgpr_kernarg_segment_ptr 1
		.amdhsa_user_sgpr_dispatch_id 0
		.amdhsa_user_sgpr_flat_scratch_init 0
		.amdhsa_user_sgpr_private_segment_size 0
		.amdhsa_wavefront_size32 1
		.amdhsa_uses_dynamic_stack 0
		.amdhsa_system_sgpr_private_segment_wavefront_offset 0
		.amdhsa_system_sgpr_workgroup_id_x 1
		.amdhsa_system_sgpr_workgroup_id_y 0
		.amdhsa_system_sgpr_workgroup_id_z 0
		.amdhsa_system_sgpr_workgroup_info 0
		.amdhsa_system_vgpr_workitem_id 0
		.amdhsa_next_free_vgpr 1
		.amdhsa_next_free_sgpr 1
		.amdhsa_reserve_vcc 0
		.amdhsa_reserve_flat_scratch 0
		.amdhsa_float_round_mode_32 0
		.amdhsa_float_round_mode_16_64 0
		.amdhsa_float_denorm_mode_32 3
		.amdhsa_float_denorm_mode_16_64 3
		.amdhsa_dx10_clamp 1
		.amdhsa_ieee_mode 1
		.amdhsa_fp16_overflow 0
		.amdhsa_workgroup_processor_mode 1
		.amdhsa_memory_ordered 1
		.amdhsa_forward_progress 1
		.amdhsa_shared_vgpr_count 0
		.amdhsa_exception_fp_ieee_invalid_op 0
		.amdhsa_exception_fp_denorm_src 0
		.amdhsa_exception_fp_ieee_div_zero 0
		.amdhsa_exception_fp_ieee_overflow 0
		.amdhsa_exception_fp_ieee_underflow 0
		.amdhsa_exception_fp_ieee_inexact 0
		.amdhsa_exception_int_div_zero 0
	.end_amdhsa_kernel
	.section	.text._ZN7rocprim17ROCPRIM_400000_NS6detail17trampoline_kernelINS0_14default_configENS1_27scan_by_key_config_selectorIiyEEZZNS1_16scan_by_key_implILNS1_25lookback_scan_determinismE0ELb0ES3_N6thrust23THRUST_200600_302600_NS6detail15normal_iteratorINS9_10device_ptrIiEEEENSB_INSC_IyEEEESG_yNS9_4plusIvEENS9_8equal_toIvEEyEE10hipError_tPvRmT2_T3_T4_T5_mT6_T7_P12ihipStream_tbENKUlT_T0_E_clISt17integral_constantIbLb1EES10_IbLb0EEEEDaSW_SX_EUlSW_E_NS1_11comp_targetILNS1_3genE0ELNS1_11target_archE4294967295ELNS1_3gpuE0ELNS1_3repE0EEENS1_30default_config_static_selectorELNS0_4arch9wavefront6targetE0EEEvT1_,"axG",@progbits,_ZN7rocprim17ROCPRIM_400000_NS6detail17trampoline_kernelINS0_14default_configENS1_27scan_by_key_config_selectorIiyEEZZNS1_16scan_by_key_implILNS1_25lookback_scan_determinismE0ELb0ES3_N6thrust23THRUST_200600_302600_NS6detail15normal_iteratorINS9_10device_ptrIiEEEENSB_INSC_IyEEEESG_yNS9_4plusIvEENS9_8equal_toIvEEyEE10hipError_tPvRmT2_T3_T4_T5_mT6_T7_P12ihipStream_tbENKUlT_T0_E_clISt17integral_constantIbLb1EES10_IbLb0EEEEDaSW_SX_EUlSW_E_NS1_11comp_targetILNS1_3genE0ELNS1_11target_archE4294967295ELNS1_3gpuE0ELNS1_3repE0EEENS1_30default_config_static_selectorELNS0_4arch9wavefront6targetE0EEEvT1_,comdat
.Lfunc_end1198:
	.size	_ZN7rocprim17ROCPRIM_400000_NS6detail17trampoline_kernelINS0_14default_configENS1_27scan_by_key_config_selectorIiyEEZZNS1_16scan_by_key_implILNS1_25lookback_scan_determinismE0ELb0ES3_N6thrust23THRUST_200600_302600_NS6detail15normal_iteratorINS9_10device_ptrIiEEEENSB_INSC_IyEEEESG_yNS9_4plusIvEENS9_8equal_toIvEEyEE10hipError_tPvRmT2_T3_T4_T5_mT6_T7_P12ihipStream_tbENKUlT_T0_E_clISt17integral_constantIbLb1EES10_IbLb0EEEEDaSW_SX_EUlSW_E_NS1_11comp_targetILNS1_3genE0ELNS1_11target_archE4294967295ELNS1_3gpuE0ELNS1_3repE0EEENS1_30default_config_static_selectorELNS0_4arch9wavefront6targetE0EEEvT1_, .Lfunc_end1198-_ZN7rocprim17ROCPRIM_400000_NS6detail17trampoline_kernelINS0_14default_configENS1_27scan_by_key_config_selectorIiyEEZZNS1_16scan_by_key_implILNS1_25lookback_scan_determinismE0ELb0ES3_N6thrust23THRUST_200600_302600_NS6detail15normal_iteratorINS9_10device_ptrIiEEEENSB_INSC_IyEEEESG_yNS9_4plusIvEENS9_8equal_toIvEEyEE10hipError_tPvRmT2_T3_T4_T5_mT6_T7_P12ihipStream_tbENKUlT_T0_E_clISt17integral_constantIbLb1EES10_IbLb0EEEEDaSW_SX_EUlSW_E_NS1_11comp_targetILNS1_3genE0ELNS1_11target_archE4294967295ELNS1_3gpuE0ELNS1_3repE0EEENS1_30default_config_static_selectorELNS0_4arch9wavefront6targetE0EEEvT1_
                                        ; -- End function
	.set _ZN7rocprim17ROCPRIM_400000_NS6detail17trampoline_kernelINS0_14default_configENS1_27scan_by_key_config_selectorIiyEEZZNS1_16scan_by_key_implILNS1_25lookback_scan_determinismE0ELb0ES3_N6thrust23THRUST_200600_302600_NS6detail15normal_iteratorINS9_10device_ptrIiEEEENSB_INSC_IyEEEESG_yNS9_4plusIvEENS9_8equal_toIvEEyEE10hipError_tPvRmT2_T3_T4_T5_mT6_T7_P12ihipStream_tbENKUlT_T0_E_clISt17integral_constantIbLb1EES10_IbLb0EEEEDaSW_SX_EUlSW_E_NS1_11comp_targetILNS1_3genE0ELNS1_11target_archE4294967295ELNS1_3gpuE0ELNS1_3repE0EEENS1_30default_config_static_selectorELNS0_4arch9wavefront6targetE0EEEvT1_.num_vgpr, 0
	.set _ZN7rocprim17ROCPRIM_400000_NS6detail17trampoline_kernelINS0_14default_configENS1_27scan_by_key_config_selectorIiyEEZZNS1_16scan_by_key_implILNS1_25lookback_scan_determinismE0ELb0ES3_N6thrust23THRUST_200600_302600_NS6detail15normal_iteratorINS9_10device_ptrIiEEEENSB_INSC_IyEEEESG_yNS9_4plusIvEENS9_8equal_toIvEEyEE10hipError_tPvRmT2_T3_T4_T5_mT6_T7_P12ihipStream_tbENKUlT_T0_E_clISt17integral_constantIbLb1EES10_IbLb0EEEEDaSW_SX_EUlSW_E_NS1_11comp_targetILNS1_3genE0ELNS1_11target_archE4294967295ELNS1_3gpuE0ELNS1_3repE0EEENS1_30default_config_static_selectorELNS0_4arch9wavefront6targetE0EEEvT1_.num_agpr, 0
	.set _ZN7rocprim17ROCPRIM_400000_NS6detail17trampoline_kernelINS0_14default_configENS1_27scan_by_key_config_selectorIiyEEZZNS1_16scan_by_key_implILNS1_25lookback_scan_determinismE0ELb0ES3_N6thrust23THRUST_200600_302600_NS6detail15normal_iteratorINS9_10device_ptrIiEEEENSB_INSC_IyEEEESG_yNS9_4plusIvEENS9_8equal_toIvEEyEE10hipError_tPvRmT2_T3_T4_T5_mT6_T7_P12ihipStream_tbENKUlT_T0_E_clISt17integral_constantIbLb1EES10_IbLb0EEEEDaSW_SX_EUlSW_E_NS1_11comp_targetILNS1_3genE0ELNS1_11target_archE4294967295ELNS1_3gpuE0ELNS1_3repE0EEENS1_30default_config_static_selectorELNS0_4arch9wavefront6targetE0EEEvT1_.numbered_sgpr, 0
	.set _ZN7rocprim17ROCPRIM_400000_NS6detail17trampoline_kernelINS0_14default_configENS1_27scan_by_key_config_selectorIiyEEZZNS1_16scan_by_key_implILNS1_25lookback_scan_determinismE0ELb0ES3_N6thrust23THRUST_200600_302600_NS6detail15normal_iteratorINS9_10device_ptrIiEEEENSB_INSC_IyEEEESG_yNS9_4plusIvEENS9_8equal_toIvEEyEE10hipError_tPvRmT2_T3_T4_T5_mT6_T7_P12ihipStream_tbENKUlT_T0_E_clISt17integral_constantIbLb1EES10_IbLb0EEEEDaSW_SX_EUlSW_E_NS1_11comp_targetILNS1_3genE0ELNS1_11target_archE4294967295ELNS1_3gpuE0ELNS1_3repE0EEENS1_30default_config_static_selectorELNS0_4arch9wavefront6targetE0EEEvT1_.num_named_barrier, 0
	.set _ZN7rocprim17ROCPRIM_400000_NS6detail17trampoline_kernelINS0_14default_configENS1_27scan_by_key_config_selectorIiyEEZZNS1_16scan_by_key_implILNS1_25lookback_scan_determinismE0ELb0ES3_N6thrust23THRUST_200600_302600_NS6detail15normal_iteratorINS9_10device_ptrIiEEEENSB_INSC_IyEEEESG_yNS9_4plusIvEENS9_8equal_toIvEEyEE10hipError_tPvRmT2_T3_T4_T5_mT6_T7_P12ihipStream_tbENKUlT_T0_E_clISt17integral_constantIbLb1EES10_IbLb0EEEEDaSW_SX_EUlSW_E_NS1_11comp_targetILNS1_3genE0ELNS1_11target_archE4294967295ELNS1_3gpuE0ELNS1_3repE0EEENS1_30default_config_static_selectorELNS0_4arch9wavefront6targetE0EEEvT1_.private_seg_size, 0
	.set _ZN7rocprim17ROCPRIM_400000_NS6detail17trampoline_kernelINS0_14default_configENS1_27scan_by_key_config_selectorIiyEEZZNS1_16scan_by_key_implILNS1_25lookback_scan_determinismE0ELb0ES3_N6thrust23THRUST_200600_302600_NS6detail15normal_iteratorINS9_10device_ptrIiEEEENSB_INSC_IyEEEESG_yNS9_4plusIvEENS9_8equal_toIvEEyEE10hipError_tPvRmT2_T3_T4_T5_mT6_T7_P12ihipStream_tbENKUlT_T0_E_clISt17integral_constantIbLb1EES10_IbLb0EEEEDaSW_SX_EUlSW_E_NS1_11comp_targetILNS1_3genE0ELNS1_11target_archE4294967295ELNS1_3gpuE0ELNS1_3repE0EEENS1_30default_config_static_selectorELNS0_4arch9wavefront6targetE0EEEvT1_.uses_vcc, 0
	.set _ZN7rocprim17ROCPRIM_400000_NS6detail17trampoline_kernelINS0_14default_configENS1_27scan_by_key_config_selectorIiyEEZZNS1_16scan_by_key_implILNS1_25lookback_scan_determinismE0ELb0ES3_N6thrust23THRUST_200600_302600_NS6detail15normal_iteratorINS9_10device_ptrIiEEEENSB_INSC_IyEEEESG_yNS9_4plusIvEENS9_8equal_toIvEEyEE10hipError_tPvRmT2_T3_T4_T5_mT6_T7_P12ihipStream_tbENKUlT_T0_E_clISt17integral_constantIbLb1EES10_IbLb0EEEEDaSW_SX_EUlSW_E_NS1_11comp_targetILNS1_3genE0ELNS1_11target_archE4294967295ELNS1_3gpuE0ELNS1_3repE0EEENS1_30default_config_static_selectorELNS0_4arch9wavefront6targetE0EEEvT1_.uses_flat_scratch, 0
	.set _ZN7rocprim17ROCPRIM_400000_NS6detail17trampoline_kernelINS0_14default_configENS1_27scan_by_key_config_selectorIiyEEZZNS1_16scan_by_key_implILNS1_25lookback_scan_determinismE0ELb0ES3_N6thrust23THRUST_200600_302600_NS6detail15normal_iteratorINS9_10device_ptrIiEEEENSB_INSC_IyEEEESG_yNS9_4plusIvEENS9_8equal_toIvEEyEE10hipError_tPvRmT2_T3_T4_T5_mT6_T7_P12ihipStream_tbENKUlT_T0_E_clISt17integral_constantIbLb1EES10_IbLb0EEEEDaSW_SX_EUlSW_E_NS1_11comp_targetILNS1_3genE0ELNS1_11target_archE4294967295ELNS1_3gpuE0ELNS1_3repE0EEENS1_30default_config_static_selectorELNS0_4arch9wavefront6targetE0EEEvT1_.has_dyn_sized_stack, 0
	.set _ZN7rocprim17ROCPRIM_400000_NS6detail17trampoline_kernelINS0_14default_configENS1_27scan_by_key_config_selectorIiyEEZZNS1_16scan_by_key_implILNS1_25lookback_scan_determinismE0ELb0ES3_N6thrust23THRUST_200600_302600_NS6detail15normal_iteratorINS9_10device_ptrIiEEEENSB_INSC_IyEEEESG_yNS9_4plusIvEENS9_8equal_toIvEEyEE10hipError_tPvRmT2_T3_T4_T5_mT6_T7_P12ihipStream_tbENKUlT_T0_E_clISt17integral_constantIbLb1EES10_IbLb0EEEEDaSW_SX_EUlSW_E_NS1_11comp_targetILNS1_3genE0ELNS1_11target_archE4294967295ELNS1_3gpuE0ELNS1_3repE0EEENS1_30default_config_static_selectorELNS0_4arch9wavefront6targetE0EEEvT1_.has_recursion, 0
	.set _ZN7rocprim17ROCPRIM_400000_NS6detail17trampoline_kernelINS0_14default_configENS1_27scan_by_key_config_selectorIiyEEZZNS1_16scan_by_key_implILNS1_25lookback_scan_determinismE0ELb0ES3_N6thrust23THRUST_200600_302600_NS6detail15normal_iteratorINS9_10device_ptrIiEEEENSB_INSC_IyEEEESG_yNS9_4plusIvEENS9_8equal_toIvEEyEE10hipError_tPvRmT2_T3_T4_T5_mT6_T7_P12ihipStream_tbENKUlT_T0_E_clISt17integral_constantIbLb1EES10_IbLb0EEEEDaSW_SX_EUlSW_E_NS1_11comp_targetILNS1_3genE0ELNS1_11target_archE4294967295ELNS1_3gpuE0ELNS1_3repE0EEENS1_30default_config_static_selectorELNS0_4arch9wavefront6targetE0EEEvT1_.has_indirect_call, 0
	.section	.AMDGPU.csdata,"",@progbits
; Kernel info:
; codeLenInByte = 0
; TotalNumSgprs: 0
; NumVgprs: 0
; ScratchSize: 0
; MemoryBound: 0
; FloatMode: 240
; IeeeMode: 1
; LDSByteSize: 0 bytes/workgroup (compile time only)
; SGPRBlocks: 0
; VGPRBlocks: 0
; NumSGPRsForWavesPerEU: 1
; NumVGPRsForWavesPerEU: 1
; Occupancy: 16
; WaveLimiterHint : 0
; COMPUTE_PGM_RSRC2:SCRATCH_EN: 0
; COMPUTE_PGM_RSRC2:USER_SGPR: 6
; COMPUTE_PGM_RSRC2:TRAP_HANDLER: 0
; COMPUTE_PGM_RSRC2:TGID_X_EN: 1
; COMPUTE_PGM_RSRC2:TGID_Y_EN: 0
; COMPUTE_PGM_RSRC2:TGID_Z_EN: 0
; COMPUTE_PGM_RSRC2:TIDIG_COMP_CNT: 0
	.section	.text._ZN7rocprim17ROCPRIM_400000_NS6detail17trampoline_kernelINS0_14default_configENS1_27scan_by_key_config_selectorIiyEEZZNS1_16scan_by_key_implILNS1_25lookback_scan_determinismE0ELb0ES3_N6thrust23THRUST_200600_302600_NS6detail15normal_iteratorINS9_10device_ptrIiEEEENSB_INSC_IyEEEESG_yNS9_4plusIvEENS9_8equal_toIvEEyEE10hipError_tPvRmT2_T3_T4_T5_mT6_T7_P12ihipStream_tbENKUlT_T0_E_clISt17integral_constantIbLb1EES10_IbLb0EEEEDaSW_SX_EUlSW_E_NS1_11comp_targetILNS1_3genE10ELNS1_11target_archE1201ELNS1_3gpuE5ELNS1_3repE0EEENS1_30default_config_static_selectorELNS0_4arch9wavefront6targetE0EEEvT1_,"axG",@progbits,_ZN7rocprim17ROCPRIM_400000_NS6detail17trampoline_kernelINS0_14default_configENS1_27scan_by_key_config_selectorIiyEEZZNS1_16scan_by_key_implILNS1_25lookback_scan_determinismE0ELb0ES3_N6thrust23THRUST_200600_302600_NS6detail15normal_iteratorINS9_10device_ptrIiEEEENSB_INSC_IyEEEESG_yNS9_4plusIvEENS9_8equal_toIvEEyEE10hipError_tPvRmT2_T3_T4_T5_mT6_T7_P12ihipStream_tbENKUlT_T0_E_clISt17integral_constantIbLb1EES10_IbLb0EEEEDaSW_SX_EUlSW_E_NS1_11comp_targetILNS1_3genE10ELNS1_11target_archE1201ELNS1_3gpuE5ELNS1_3repE0EEENS1_30default_config_static_selectorELNS0_4arch9wavefront6targetE0EEEvT1_,comdat
	.protected	_ZN7rocprim17ROCPRIM_400000_NS6detail17trampoline_kernelINS0_14default_configENS1_27scan_by_key_config_selectorIiyEEZZNS1_16scan_by_key_implILNS1_25lookback_scan_determinismE0ELb0ES3_N6thrust23THRUST_200600_302600_NS6detail15normal_iteratorINS9_10device_ptrIiEEEENSB_INSC_IyEEEESG_yNS9_4plusIvEENS9_8equal_toIvEEyEE10hipError_tPvRmT2_T3_T4_T5_mT6_T7_P12ihipStream_tbENKUlT_T0_E_clISt17integral_constantIbLb1EES10_IbLb0EEEEDaSW_SX_EUlSW_E_NS1_11comp_targetILNS1_3genE10ELNS1_11target_archE1201ELNS1_3gpuE5ELNS1_3repE0EEENS1_30default_config_static_selectorELNS0_4arch9wavefront6targetE0EEEvT1_ ; -- Begin function _ZN7rocprim17ROCPRIM_400000_NS6detail17trampoline_kernelINS0_14default_configENS1_27scan_by_key_config_selectorIiyEEZZNS1_16scan_by_key_implILNS1_25lookback_scan_determinismE0ELb0ES3_N6thrust23THRUST_200600_302600_NS6detail15normal_iteratorINS9_10device_ptrIiEEEENSB_INSC_IyEEEESG_yNS9_4plusIvEENS9_8equal_toIvEEyEE10hipError_tPvRmT2_T3_T4_T5_mT6_T7_P12ihipStream_tbENKUlT_T0_E_clISt17integral_constantIbLb1EES10_IbLb0EEEEDaSW_SX_EUlSW_E_NS1_11comp_targetILNS1_3genE10ELNS1_11target_archE1201ELNS1_3gpuE5ELNS1_3repE0EEENS1_30default_config_static_selectorELNS0_4arch9wavefront6targetE0EEEvT1_
	.globl	_ZN7rocprim17ROCPRIM_400000_NS6detail17trampoline_kernelINS0_14default_configENS1_27scan_by_key_config_selectorIiyEEZZNS1_16scan_by_key_implILNS1_25lookback_scan_determinismE0ELb0ES3_N6thrust23THRUST_200600_302600_NS6detail15normal_iteratorINS9_10device_ptrIiEEEENSB_INSC_IyEEEESG_yNS9_4plusIvEENS9_8equal_toIvEEyEE10hipError_tPvRmT2_T3_T4_T5_mT6_T7_P12ihipStream_tbENKUlT_T0_E_clISt17integral_constantIbLb1EES10_IbLb0EEEEDaSW_SX_EUlSW_E_NS1_11comp_targetILNS1_3genE10ELNS1_11target_archE1201ELNS1_3gpuE5ELNS1_3repE0EEENS1_30default_config_static_selectorELNS0_4arch9wavefront6targetE0EEEvT1_
	.p2align	8
	.type	_ZN7rocprim17ROCPRIM_400000_NS6detail17trampoline_kernelINS0_14default_configENS1_27scan_by_key_config_selectorIiyEEZZNS1_16scan_by_key_implILNS1_25lookback_scan_determinismE0ELb0ES3_N6thrust23THRUST_200600_302600_NS6detail15normal_iteratorINS9_10device_ptrIiEEEENSB_INSC_IyEEEESG_yNS9_4plusIvEENS9_8equal_toIvEEyEE10hipError_tPvRmT2_T3_T4_T5_mT6_T7_P12ihipStream_tbENKUlT_T0_E_clISt17integral_constantIbLb1EES10_IbLb0EEEEDaSW_SX_EUlSW_E_NS1_11comp_targetILNS1_3genE10ELNS1_11target_archE1201ELNS1_3gpuE5ELNS1_3repE0EEENS1_30default_config_static_selectorELNS0_4arch9wavefront6targetE0EEEvT1_,@function
_ZN7rocprim17ROCPRIM_400000_NS6detail17trampoline_kernelINS0_14default_configENS1_27scan_by_key_config_selectorIiyEEZZNS1_16scan_by_key_implILNS1_25lookback_scan_determinismE0ELb0ES3_N6thrust23THRUST_200600_302600_NS6detail15normal_iteratorINS9_10device_ptrIiEEEENSB_INSC_IyEEEESG_yNS9_4plusIvEENS9_8equal_toIvEEyEE10hipError_tPvRmT2_T3_T4_T5_mT6_T7_P12ihipStream_tbENKUlT_T0_E_clISt17integral_constantIbLb1EES10_IbLb0EEEEDaSW_SX_EUlSW_E_NS1_11comp_targetILNS1_3genE10ELNS1_11target_archE1201ELNS1_3gpuE5ELNS1_3repE0EEENS1_30default_config_static_selectorELNS0_4arch9wavefront6targetE0EEEvT1_: ; @_ZN7rocprim17ROCPRIM_400000_NS6detail17trampoline_kernelINS0_14default_configENS1_27scan_by_key_config_selectorIiyEEZZNS1_16scan_by_key_implILNS1_25lookback_scan_determinismE0ELb0ES3_N6thrust23THRUST_200600_302600_NS6detail15normal_iteratorINS9_10device_ptrIiEEEENSB_INSC_IyEEEESG_yNS9_4plusIvEENS9_8equal_toIvEEyEE10hipError_tPvRmT2_T3_T4_T5_mT6_T7_P12ihipStream_tbENKUlT_T0_E_clISt17integral_constantIbLb1EES10_IbLb0EEEEDaSW_SX_EUlSW_E_NS1_11comp_targetILNS1_3genE10ELNS1_11target_archE1201ELNS1_3gpuE5ELNS1_3repE0EEENS1_30default_config_static_selectorELNS0_4arch9wavefront6targetE0EEEvT1_
; %bb.0:
	.section	.rodata,"a",@progbits
	.p2align	6, 0x0
	.amdhsa_kernel _ZN7rocprim17ROCPRIM_400000_NS6detail17trampoline_kernelINS0_14default_configENS1_27scan_by_key_config_selectorIiyEEZZNS1_16scan_by_key_implILNS1_25lookback_scan_determinismE0ELb0ES3_N6thrust23THRUST_200600_302600_NS6detail15normal_iteratorINS9_10device_ptrIiEEEENSB_INSC_IyEEEESG_yNS9_4plusIvEENS9_8equal_toIvEEyEE10hipError_tPvRmT2_T3_T4_T5_mT6_T7_P12ihipStream_tbENKUlT_T0_E_clISt17integral_constantIbLb1EES10_IbLb0EEEEDaSW_SX_EUlSW_E_NS1_11comp_targetILNS1_3genE10ELNS1_11target_archE1201ELNS1_3gpuE5ELNS1_3repE0EEENS1_30default_config_static_selectorELNS0_4arch9wavefront6targetE0EEEvT1_
		.amdhsa_group_segment_fixed_size 0
		.amdhsa_private_segment_fixed_size 0
		.amdhsa_kernarg_size 136
		.amdhsa_user_sgpr_count 6
		.amdhsa_user_sgpr_private_segment_buffer 1
		.amdhsa_user_sgpr_dispatch_ptr 0
		.amdhsa_user_sgpr_queue_ptr 0
		.amdhsa_user_sgpr_kernarg_segment_ptr 1
		.amdhsa_user_sgpr_dispatch_id 0
		.amdhsa_user_sgpr_flat_scratch_init 0
		.amdhsa_user_sgpr_private_segment_size 0
		.amdhsa_wavefront_size32 1
		.amdhsa_uses_dynamic_stack 0
		.amdhsa_system_sgpr_private_segment_wavefront_offset 0
		.amdhsa_system_sgpr_workgroup_id_x 1
		.amdhsa_system_sgpr_workgroup_id_y 0
		.amdhsa_system_sgpr_workgroup_id_z 0
		.amdhsa_system_sgpr_workgroup_info 0
		.amdhsa_system_vgpr_workitem_id 0
		.amdhsa_next_free_vgpr 1
		.amdhsa_next_free_sgpr 1
		.amdhsa_reserve_vcc 0
		.amdhsa_reserve_flat_scratch 0
		.amdhsa_float_round_mode_32 0
		.amdhsa_float_round_mode_16_64 0
		.amdhsa_float_denorm_mode_32 3
		.amdhsa_float_denorm_mode_16_64 3
		.amdhsa_dx10_clamp 1
		.amdhsa_ieee_mode 1
		.amdhsa_fp16_overflow 0
		.amdhsa_workgroup_processor_mode 1
		.amdhsa_memory_ordered 1
		.amdhsa_forward_progress 1
		.amdhsa_shared_vgpr_count 0
		.amdhsa_exception_fp_ieee_invalid_op 0
		.amdhsa_exception_fp_denorm_src 0
		.amdhsa_exception_fp_ieee_div_zero 0
		.amdhsa_exception_fp_ieee_overflow 0
		.amdhsa_exception_fp_ieee_underflow 0
		.amdhsa_exception_fp_ieee_inexact 0
		.amdhsa_exception_int_div_zero 0
	.end_amdhsa_kernel
	.section	.text._ZN7rocprim17ROCPRIM_400000_NS6detail17trampoline_kernelINS0_14default_configENS1_27scan_by_key_config_selectorIiyEEZZNS1_16scan_by_key_implILNS1_25lookback_scan_determinismE0ELb0ES3_N6thrust23THRUST_200600_302600_NS6detail15normal_iteratorINS9_10device_ptrIiEEEENSB_INSC_IyEEEESG_yNS9_4plusIvEENS9_8equal_toIvEEyEE10hipError_tPvRmT2_T3_T4_T5_mT6_T7_P12ihipStream_tbENKUlT_T0_E_clISt17integral_constantIbLb1EES10_IbLb0EEEEDaSW_SX_EUlSW_E_NS1_11comp_targetILNS1_3genE10ELNS1_11target_archE1201ELNS1_3gpuE5ELNS1_3repE0EEENS1_30default_config_static_selectorELNS0_4arch9wavefront6targetE0EEEvT1_,"axG",@progbits,_ZN7rocprim17ROCPRIM_400000_NS6detail17trampoline_kernelINS0_14default_configENS1_27scan_by_key_config_selectorIiyEEZZNS1_16scan_by_key_implILNS1_25lookback_scan_determinismE0ELb0ES3_N6thrust23THRUST_200600_302600_NS6detail15normal_iteratorINS9_10device_ptrIiEEEENSB_INSC_IyEEEESG_yNS9_4plusIvEENS9_8equal_toIvEEyEE10hipError_tPvRmT2_T3_T4_T5_mT6_T7_P12ihipStream_tbENKUlT_T0_E_clISt17integral_constantIbLb1EES10_IbLb0EEEEDaSW_SX_EUlSW_E_NS1_11comp_targetILNS1_3genE10ELNS1_11target_archE1201ELNS1_3gpuE5ELNS1_3repE0EEENS1_30default_config_static_selectorELNS0_4arch9wavefront6targetE0EEEvT1_,comdat
.Lfunc_end1199:
	.size	_ZN7rocprim17ROCPRIM_400000_NS6detail17trampoline_kernelINS0_14default_configENS1_27scan_by_key_config_selectorIiyEEZZNS1_16scan_by_key_implILNS1_25lookback_scan_determinismE0ELb0ES3_N6thrust23THRUST_200600_302600_NS6detail15normal_iteratorINS9_10device_ptrIiEEEENSB_INSC_IyEEEESG_yNS9_4plusIvEENS9_8equal_toIvEEyEE10hipError_tPvRmT2_T3_T4_T5_mT6_T7_P12ihipStream_tbENKUlT_T0_E_clISt17integral_constantIbLb1EES10_IbLb0EEEEDaSW_SX_EUlSW_E_NS1_11comp_targetILNS1_3genE10ELNS1_11target_archE1201ELNS1_3gpuE5ELNS1_3repE0EEENS1_30default_config_static_selectorELNS0_4arch9wavefront6targetE0EEEvT1_, .Lfunc_end1199-_ZN7rocprim17ROCPRIM_400000_NS6detail17trampoline_kernelINS0_14default_configENS1_27scan_by_key_config_selectorIiyEEZZNS1_16scan_by_key_implILNS1_25lookback_scan_determinismE0ELb0ES3_N6thrust23THRUST_200600_302600_NS6detail15normal_iteratorINS9_10device_ptrIiEEEENSB_INSC_IyEEEESG_yNS9_4plusIvEENS9_8equal_toIvEEyEE10hipError_tPvRmT2_T3_T4_T5_mT6_T7_P12ihipStream_tbENKUlT_T0_E_clISt17integral_constantIbLb1EES10_IbLb0EEEEDaSW_SX_EUlSW_E_NS1_11comp_targetILNS1_3genE10ELNS1_11target_archE1201ELNS1_3gpuE5ELNS1_3repE0EEENS1_30default_config_static_selectorELNS0_4arch9wavefront6targetE0EEEvT1_
                                        ; -- End function
	.set _ZN7rocprim17ROCPRIM_400000_NS6detail17trampoline_kernelINS0_14default_configENS1_27scan_by_key_config_selectorIiyEEZZNS1_16scan_by_key_implILNS1_25lookback_scan_determinismE0ELb0ES3_N6thrust23THRUST_200600_302600_NS6detail15normal_iteratorINS9_10device_ptrIiEEEENSB_INSC_IyEEEESG_yNS9_4plusIvEENS9_8equal_toIvEEyEE10hipError_tPvRmT2_T3_T4_T5_mT6_T7_P12ihipStream_tbENKUlT_T0_E_clISt17integral_constantIbLb1EES10_IbLb0EEEEDaSW_SX_EUlSW_E_NS1_11comp_targetILNS1_3genE10ELNS1_11target_archE1201ELNS1_3gpuE5ELNS1_3repE0EEENS1_30default_config_static_selectorELNS0_4arch9wavefront6targetE0EEEvT1_.num_vgpr, 0
	.set _ZN7rocprim17ROCPRIM_400000_NS6detail17trampoline_kernelINS0_14default_configENS1_27scan_by_key_config_selectorIiyEEZZNS1_16scan_by_key_implILNS1_25lookback_scan_determinismE0ELb0ES3_N6thrust23THRUST_200600_302600_NS6detail15normal_iteratorINS9_10device_ptrIiEEEENSB_INSC_IyEEEESG_yNS9_4plusIvEENS9_8equal_toIvEEyEE10hipError_tPvRmT2_T3_T4_T5_mT6_T7_P12ihipStream_tbENKUlT_T0_E_clISt17integral_constantIbLb1EES10_IbLb0EEEEDaSW_SX_EUlSW_E_NS1_11comp_targetILNS1_3genE10ELNS1_11target_archE1201ELNS1_3gpuE5ELNS1_3repE0EEENS1_30default_config_static_selectorELNS0_4arch9wavefront6targetE0EEEvT1_.num_agpr, 0
	.set _ZN7rocprim17ROCPRIM_400000_NS6detail17trampoline_kernelINS0_14default_configENS1_27scan_by_key_config_selectorIiyEEZZNS1_16scan_by_key_implILNS1_25lookback_scan_determinismE0ELb0ES3_N6thrust23THRUST_200600_302600_NS6detail15normal_iteratorINS9_10device_ptrIiEEEENSB_INSC_IyEEEESG_yNS9_4plusIvEENS9_8equal_toIvEEyEE10hipError_tPvRmT2_T3_T4_T5_mT6_T7_P12ihipStream_tbENKUlT_T0_E_clISt17integral_constantIbLb1EES10_IbLb0EEEEDaSW_SX_EUlSW_E_NS1_11comp_targetILNS1_3genE10ELNS1_11target_archE1201ELNS1_3gpuE5ELNS1_3repE0EEENS1_30default_config_static_selectorELNS0_4arch9wavefront6targetE0EEEvT1_.numbered_sgpr, 0
	.set _ZN7rocprim17ROCPRIM_400000_NS6detail17trampoline_kernelINS0_14default_configENS1_27scan_by_key_config_selectorIiyEEZZNS1_16scan_by_key_implILNS1_25lookback_scan_determinismE0ELb0ES3_N6thrust23THRUST_200600_302600_NS6detail15normal_iteratorINS9_10device_ptrIiEEEENSB_INSC_IyEEEESG_yNS9_4plusIvEENS9_8equal_toIvEEyEE10hipError_tPvRmT2_T3_T4_T5_mT6_T7_P12ihipStream_tbENKUlT_T0_E_clISt17integral_constantIbLb1EES10_IbLb0EEEEDaSW_SX_EUlSW_E_NS1_11comp_targetILNS1_3genE10ELNS1_11target_archE1201ELNS1_3gpuE5ELNS1_3repE0EEENS1_30default_config_static_selectorELNS0_4arch9wavefront6targetE0EEEvT1_.num_named_barrier, 0
	.set _ZN7rocprim17ROCPRIM_400000_NS6detail17trampoline_kernelINS0_14default_configENS1_27scan_by_key_config_selectorIiyEEZZNS1_16scan_by_key_implILNS1_25lookback_scan_determinismE0ELb0ES3_N6thrust23THRUST_200600_302600_NS6detail15normal_iteratorINS9_10device_ptrIiEEEENSB_INSC_IyEEEESG_yNS9_4plusIvEENS9_8equal_toIvEEyEE10hipError_tPvRmT2_T3_T4_T5_mT6_T7_P12ihipStream_tbENKUlT_T0_E_clISt17integral_constantIbLb1EES10_IbLb0EEEEDaSW_SX_EUlSW_E_NS1_11comp_targetILNS1_3genE10ELNS1_11target_archE1201ELNS1_3gpuE5ELNS1_3repE0EEENS1_30default_config_static_selectorELNS0_4arch9wavefront6targetE0EEEvT1_.private_seg_size, 0
	.set _ZN7rocprim17ROCPRIM_400000_NS6detail17trampoline_kernelINS0_14default_configENS1_27scan_by_key_config_selectorIiyEEZZNS1_16scan_by_key_implILNS1_25lookback_scan_determinismE0ELb0ES3_N6thrust23THRUST_200600_302600_NS6detail15normal_iteratorINS9_10device_ptrIiEEEENSB_INSC_IyEEEESG_yNS9_4plusIvEENS9_8equal_toIvEEyEE10hipError_tPvRmT2_T3_T4_T5_mT6_T7_P12ihipStream_tbENKUlT_T0_E_clISt17integral_constantIbLb1EES10_IbLb0EEEEDaSW_SX_EUlSW_E_NS1_11comp_targetILNS1_3genE10ELNS1_11target_archE1201ELNS1_3gpuE5ELNS1_3repE0EEENS1_30default_config_static_selectorELNS0_4arch9wavefront6targetE0EEEvT1_.uses_vcc, 0
	.set _ZN7rocprim17ROCPRIM_400000_NS6detail17trampoline_kernelINS0_14default_configENS1_27scan_by_key_config_selectorIiyEEZZNS1_16scan_by_key_implILNS1_25lookback_scan_determinismE0ELb0ES3_N6thrust23THRUST_200600_302600_NS6detail15normal_iteratorINS9_10device_ptrIiEEEENSB_INSC_IyEEEESG_yNS9_4plusIvEENS9_8equal_toIvEEyEE10hipError_tPvRmT2_T3_T4_T5_mT6_T7_P12ihipStream_tbENKUlT_T0_E_clISt17integral_constantIbLb1EES10_IbLb0EEEEDaSW_SX_EUlSW_E_NS1_11comp_targetILNS1_3genE10ELNS1_11target_archE1201ELNS1_3gpuE5ELNS1_3repE0EEENS1_30default_config_static_selectorELNS0_4arch9wavefront6targetE0EEEvT1_.uses_flat_scratch, 0
	.set _ZN7rocprim17ROCPRIM_400000_NS6detail17trampoline_kernelINS0_14default_configENS1_27scan_by_key_config_selectorIiyEEZZNS1_16scan_by_key_implILNS1_25lookback_scan_determinismE0ELb0ES3_N6thrust23THRUST_200600_302600_NS6detail15normal_iteratorINS9_10device_ptrIiEEEENSB_INSC_IyEEEESG_yNS9_4plusIvEENS9_8equal_toIvEEyEE10hipError_tPvRmT2_T3_T4_T5_mT6_T7_P12ihipStream_tbENKUlT_T0_E_clISt17integral_constantIbLb1EES10_IbLb0EEEEDaSW_SX_EUlSW_E_NS1_11comp_targetILNS1_3genE10ELNS1_11target_archE1201ELNS1_3gpuE5ELNS1_3repE0EEENS1_30default_config_static_selectorELNS0_4arch9wavefront6targetE0EEEvT1_.has_dyn_sized_stack, 0
	.set _ZN7rocprim17ROCPRIM_400000_NS6detail17trampoline_kernelINS0_14default_configENS1_27scan_by_key_config_selectorIiyEEZZNS1_16scan_by_key_implILNS1_25lookback_scan_determinismE0ELb0ES3_N6thrust23THRUST_200600_302600_NS6detail15normal_iteratorINS9_10device_ptrIiEEEENSB_INSC_IyEEEESG_yNS9_4plusIvEENS9_8equal_toIvEEyEE10hipError_tPvRmT2_T3_T4_T5_mT6_T7_P12ihipStream_tbENKUlT_T0_E_clISt17integral_constantIbLb1EES10_IbLb0EEEEDaSW_SX_EUlSW_E_NS1_11comp_targetILNS1_3genE10ELNS1_11target_archE1201ELNS1_3gpuE5ELNS1_3repE0EEENS1_30default_config_static_selectorELNS0_4arch9wavefront6targetE0EEEvT1_.has_recursion, 0
	.set _ZN7rocprim17ROCPRIM_400000_NS6detail17trampoline_kernelINS0_14default_configENS1_27scan_by_key_config_selectorIiyEEZZNS1_16scan_by_key_implILNS1_25lookback_scan_determinismE0ELb0ES3_N6thrust23THRUST_200600_302600_NS6detail15normal_iteratorINS9_10device_ptrIiEEEENSB_INSC_IyEEEESG_yNS9_4plusIvEENS9_8equal_toIvEEyEE10hipError_tPvRmT2_T3_T4_T5_mT6_T7_P12ihipStream_tbENKUlT_T0_E_clISt17integral_constantIbLb1EES10_IbLb0EEEEDaSW_SX_EUlSW_E_NS1_11comp_targetILNS1_3genE10ELNS1_11target_archE1201ELNS1_3gpuE5ELNS1_3repE0EEENS1_30default_config_static_selectorELNS0_4arch9wavefront6targetE0EEEvT1_.has_indirect_call, 0
	.section	.AMDGPU.csdata,"",@progbits
; Kernel info:
; codeLenInByte = 0
; TotalNumSgprs: 0
; NumVgprs: 0
; ScratchSize: 0
; MemoryBound: 0
; FloatMode: 240
; IeeeMode: 1
; LDSByteSize: 0 bytes/workgroup (compile time only)
; SGPRBlocks: 0
; VGPRBlocks: 0
; NumSGPRsForWavesPerEU: 1
; NumVGPRsForWavesPerEU: 1
; Occupancy: 16
; WaveLimiterHint : 0
; COMPUTE_PGM_RSRC2:SCRATCH_EN: 0
; COMPUTE_PGM_RSRC2:USER_SGPR: 6
; COMPUTE_PGM_RSRC2:TRAP_HANDLER: 0
; COMPUTE_PGM_RSRC2:TGID_X_EN: 1
; COMPUTE_PGM_RSRC2:TGID_Y_EN: 0
; COMPUTE_PGM_RSRC2:TGID_Z_EN: 0
; COMPUTE_PGM_RSRC2:TIDIG_COMP_CNT: 0
	.section	.text._ZN7rocprim17ROCPRIM_400000_NS6detail17trampoline_kernelINS0_14default_configENS1_27scan_by_key_config_selectorIiyEEZZNS1_16scan_by_key_implILNS1_25lookback_scan_determinismE0ELb0ES3_N6thrust23THRUST_200600_302600_NS6detail15normal_iteratorINS9_10device_ptrIiEEEENSB_INSC_IyEEEESG_yNS9_4plusIvEENS9_8equal_toIvEEyEE10hipError_tPvRmT2_T3_T4_T5_mT6_T7_P12ihipStream_tbENKUlT_T0_E_clISt17integral_constantIbLb1EES10_IbLb0EEEEDaSW_SX_EUlSW_E_NS1_11comp_targetILNS1_3genE5ELNS1_11target_archE942ELNS1_3gpuE9ELNS1_3repE0EEENS1_30default_config_static_selectorELNS0_4arch9wavefront6targetE0EEEvT1_,"axG",@progbits,_ZN7rocprim17ROCPRIM_400000_NS6detail17trampoline_kernelINS0_14default_configENS1_27scan_by_key_config_selectorIiyEEZZNS1_16scan_by_key_implILNS1_25lookback_scan_determinismE0ELb0ES3_N6thrust23THRUST_200600_302600_NS6detail15normal_iteratorINS9_10device_ptrIiEEEENSB_INSC_IyEEEESG_yNS9_4plusIvEENS9_8equal_toIvEEyEE10hipError_tPvRmT2_T3_T4_T5_mT6_T7_P12ihipStream_tbENKUlT_T0_E_clISt17integral_constantIbLb1EES10_IbLb0EEEEDaSW_SX_EUlSW_E_NS1_11comp_targetILNS1_3genE5ELNS1_11target_archE942ELNS1_3gpuE9ELNS1_3repE0EEENS1_30default_config_static_selectorELNS0_4arch9wavefront6targetE0EEEvT1_,comdat
	.protected	_ZN7rocprim17ROCPRIM_400000_NS6detail17trampoline_kernelINS0_14default_configENS1_27scan_by_key_config_selectorIiyEEZZNS1_16scan_by_key_implILNS1_25lookback_scan_determinismE0ELb0ES3_N6thrust23THRUST_200600_302600_NS6detail15normal_iteratorINS9_10device_ptrIiEEEENSB_INSC_IyEEEESG_yNS9_4plusIvEENS9_8equal_toIvEEyEE10hipError_tPvRmT2_T3_T4_T5_mT6_T7_P12ihipStream_tbENKUlT_T0_E_clISt17integral_constantIbLb1EES10_IbLb0EEEEDaSW_SX_EUlSW_E_NS1_11comp_targetILNS1_3genE5ELNS1_11target_archE942ELNS1_3gpuE9ELNS1_3repE0EEENS1_30default_config_static_selectorELNS0_4arch9wavefront6targetE0EEEvT1_ ; -- Begin function _ZN7rocprim17ROCPRIM_400000_NS6detail17trampoline_kernelINS0_14default_configENS1_27scan_by_key_config_selectorIiyEEZZNS1_16scan_by_key_implILNS1_25lookback_scan_determinismE0ELb0ES3_N6thrust23THRUST_200600_302600_NS6detail15normal_iteratorINS9_10device_ptrIiEEEENSB_INSC_IyEEEESG_yNS9_4plusIvEENS9_8equal_toIvEEyEE10hipError_tPvRmT2_T3_T4_T5_mT6_T7_P12ihipStream_tbENKUlT_T0_E_clISt17integral_constantIbLb1EES10_IbLb0EEEEDaSW_SX_EUlSW_E_NS1_11comp_targetILNS1_3genE5ELNS1_11target_archE942ELNS1_3gpuE9ELNS1_3repE0EEENS1_30default_config_static_selectorELNS0_4arch9wavefront6targetE0EEEvT1_
	.globl	_ZN7rocprim17ROCPRIM_400000_NS6detail17trampoline_kernelINS0_14default_configENS1_27scan_by_key_config_selectorIiyEEZZNS1_16scan_by_key_implILNS1_25lookback_scan_determinismE0ELb0ES3_N6thrust23THRUST_200600_302600_NS6detail15normal_iteratorINS9_10device_ptrIiEEEENSB_INSC_IyEEEESG_yNS9_4plusIvEENS9_8equal_toIvEEyEE10hipError_tPvRmT2_T3_T4_T5_mT6_T7_P12ihipStream_tbENKUlT_T0_E_clISt17integral_constantIbLb1EES10_IbLb0EEEEDaSW_SX_EUlSW_E_NS1_11comp_targetILNS1_3genE5ELNS1_11target_archE942ELNS1_3gpuE9ELNS1_3repE0EEENS1_30default_config_static_selectorELNS0_4arch9wavefront6targetE0EEEvT1_
	.p2align	8
	.type	_ZN7rocprim17ROCPRIM_400000_NS6detail17trampoline_kernelINS0_14default_configENS1_27scan_by_key_config_selectorIiyEEZZNS1_16scan_by_key_implILNS1_25lookback_scan_determinismE0ELb0ES3_N6thrust23THRUST_200600_302600_NS6detail15normal_iteratorINS9_10device_ptrIiEEEENSB_INSC_IyEEEESG_yNS9_4plusIvEENS9_8equal_toIvEEyEE10hipError_tPvRmT2_T3_T4_T5_mT6_T7_P12ihipStream_tbENKUlT_T0_E_clISt17integral_constantIbLb1EES10_IbLb0EEEEDaSW_SX_EUlSW_E_NS1_11comp_targetILNS1_3genE5ELNS1_11target_archE942ELNS1_3gpuE9ELNS1_3repE0EEENS1_30default_config_static_selectorELNS0_4arch9wavefront6targetE0EEEvT1_,@function
_ZN7rocprim17ROCPRIM_400000_NS6detail17trampoline_kernelINS0_14default_configENS1_27scan_by_key_config_selectorIiyEEZZNS1_16scan_by_key_implILNS1_25lookback_scan_determinismE0ELb0ES3_N6thrust23THRUST_200600_302600_NS6detail15normal_iteratorINS9_10device_ptrIiEEEENSB_INSC_IyEEEESG_yNS9_4plusIvEENS9_8equal_toIvEEyEE10hipError_tPvRmT2_T3_T4_T5_mT6_T7_P12ihipStream_tbENKUlT_T0_E_clISt17integral_constantIbLb1EES10_IbLb0EEEEDaSW_SX_EUlSW_E_NS1_11comp_targetILNS1_3genE5ELNS1_11target_archE942ELNS1_3gpuE9ELNS1_3repE0EEENS1_30default_config_static_selectorELNS0_4arch9wavefront6targetE0EEEvT1_: ; @_ZN7rocprim17ROCPRIM_400000_NS6detail17trampoline_kernelINS0_14default_configENS1_27scan_by_key_config_selectorIiyEEZZNS1_16scan_by_key_implILNS1_25lookback_scan_determinismE0ELb0ES3_N6thrust23THRUST_200600_302600_NS6detail15normal_iteratorINS9_10device_ptrIiEEEENSB_INSC_IyEEEESG_yNS9_4plusIvEENS9_8equal_toIvEEyEE10hipError_tPvRmT2_T3_T4_T5_mT6_T7_P12ihipStream_tbENKUlT_T0_E_clISt17integral_constantIbLb1EES10_IbLb0EEEEDaSW_SX_EUlSW_E_NS1_11comp_targetILNS1_3genE5ELNS1_11target_archE942ELNS1_3gpuE9ELNS1_3repE0EEENS1_30default_config_static_selectorELNS0_4arch9wavefront6targetE0EEEvT1_
; %bb.0:
	.section	.rodata,"a",@progbits
	.p2align	6, 0x0
	.amdhsa_kernel _ZN7rocprim17ROCPRIM_400000_NS6detail17trampoline_kernelINS0_14default_configENS1_27scan_by_key_config_selectorIiyEEZZNS1_16scan_by_key_implILNS1_25lookback_scan_determinismE0ELb0ES3_N6thrust23THRUST_200600_302600_NS6detail15normal_iteratorINS9_10device_ptrIiEEEENSB_INSC_IyEEEESG_yNS9_4plusIvEENS9_8equal_toIvEEyEE10hipError_tPvRmT2_T3_T4_T5_mT6_T7_P12ihipStream_tbENKUlT_T0_E_clISt17integral_constantIbLb1EES10_IbLb0EEEEDaSW_SX_EUlSW_E_NS1_11comp_targetILNS1_3genE5ELNS1_11target_archE942ELNS1_3gpuE9ELNS1_3repE0EEENS1_30default_config_static_selectorELNS0_4arch9wavefront6targetE0EEEvT1_
		.amdhsa_group_segment_fixed_size 0
		.amdhsa_private_segment_fixed_size 0
		.amdhsa_kernarg_size 136
		.amdhsa_user_sgpr_count 6
		.amdhsa_user_sgpr_private_segment_buffer 1
		.amdhsa_user_sgpr_dispatch_ptr 0
		.amdhsa_user_sgpr_queue_ptr 0
		.amdhsa_user_sgpr_kernarg_segment_ptr 1
		.amdhsa_user_sgpr_dispatch_id 0
		.amdhsa_user_sgpr_flat_scratch_init 0
		.amdhsa_user_sgpr_private_segment_size 0
		.amdhsa_wavefront_size32 1
		.amdhsa_uses_dynamic_stack 0
		.amdhsa_system_sgpr_private_segment_wavefront_offset 0
		.amdhsa_system_sgpr_workgroup_id_x 1
		.amdhsa_system_sgpr_workgroup_id_y 0
		.amdhsa_system_sgpr_workgroup_id_z 0
		.amdhsa_system_sgpr_workgroup_info 0
		.amdhsa_system_vgpr_workitem_id 0
		.amdhsa_next_free_vgpr 1
		.amdhsa_next_free_sgpr 1
		.amdhsa_reserve_vcc 0
		.amdhsa_reserve_flat_scratch 0
		.amdhsa_float_round_mode_32 0
		.amdhsa_float_round_mode_16_64 0
		.amdhsa_float_denorm_mode_32 3
		.amdhsa_float_denorm_mode_16_64 3
		.amdhsa_dx10_clamp 1
		.amdhsa_ieee_mode 1
		.amdhsa_fp16_overflow 0
		.amdhsa_workgroup_processor_mode 1
		.amdhsa_memory_ordered 1
		.amdhsa_forward_progress 1
		.amdhsa_shared_vgpr_count 0
		.amdhsa_exception_fp_ieee_invalid_op 0
		.amdhsa_exception_fp_denorm_src 0
		.amdhsa_exception_fp_ieee_div_zero 0
		.amdhsa_exception_fp_ieee_overflow 0
		.amdhsa_exception_fp_ieee_underflow 0
		.amdhsa_exception_fp_ieee_inexact 0
		.amdhsa_exception_int_div_zero 0
	.end_amdhsa_kernel
	.section	.text._ZN7rocprim17ROCPRIM_400000_NS6detail17trampoline_kernelINS0_14default_configENS1_27scan_by_key_config_selectorIiyEEZZNS1_16scan_by_key_implILNS1_25lookback_scan_determinismE0ELb0ES3_N6thrust23THRUST_200600_302600_NS6detail15normal_iteratorINS9_10device_ptrIiEEEENSB_INSC_IyEEEESG_yNS9_4plusIvEENS9_8equal_toIvEEyEE10hipError_tPvRmT2_T3_T4_T5_mT6_T7_P12ihipStream_tbENKUlT_T0_E_clISt17integral_constantIbLb1EES10_IbLb0EEEEDaSW_SX_EUlSW_E_NS1_11comp_targetILNS1_3genE5ELNS1_11target_archE942ELNS1_3gpuE9ELNS1_3repE0EEENS1_30default_config_static_selectorELNS0_4arch9wavefront6targetE0EEEvT1_,"axG",@progbits,_ZN7rocprim17ROCPRIM_400000_NS6detail17trampoline_kernelINS0_14default_configENS1_27scan_by_key_config_selectorIiyEEZZNS1_16scan_by_key_implILNS1_25lookback_scan_determinismE0ELb0ES3_N6thrust23THRUST_200600_302600_NS6detail15normal_iteratorINS9_10device_ptrIiEEEENSB_INSC_IyEEEESG_yNS9_4plusIvEENS9_8equal_toIvEEyEE10hipError_tPvRmT2_T3_T4_T5_mT6_T7_P12ihipStream_tbENKUlT_T0_E_clISt17integral_constantIbLb1EES10_IbLb0EEEEDaSW_SX_EUlSW_E_NS1_11comp_targetILNS1_3genE5ELNS1_11target_archE942ELNS1_3gpuE9ELNS1_3repE0EEENS1_30default_config_static_selectorELNS0_4arch9wavefront6targetE0EEEvT1_,comdat
.Lfunc_end1200:
	.size	_ZN7rocprim17ROCPRIM_400000_NS6detail17trampoline_kernelINS0_14default_configENS1_27scan_by_key_config_selectorIiyEEZZNS1_16scan_by_key_implILNS1_25lookback_scan_determinismE0ELb0ES3_N6thrust23THRUST_200600_302600_NS6detail15normal_iteratorINS9_10device_ptrIiEEEENSB_INSC_IyEEEESG_yNS9_4plusIvEENS9_8equal_toIvEEyEE10hipError_tPvRmT2_T3_T4_T5_mT6_T7_P12ihipStream_tbENKUlT_T0_E_clISt17integral_constantIbLb1EES10_IbLb0EEEEDaSW_SX_EUlSW_E_NS1_11comp_targetILNS1_3genE5ELNS1_11target_archE942ELNS1_3gpuE9ELNS1_3repE0EEENS1_30default_config_static_selectorELNS0_4arch9wavefront6targetE0EEEvT1_, .Lfunc_end1200-_ZN7rocprim17ROCPRIM_400000_NS6detail17trampoline_kernelINS0_14default_configENS1_27scan_by_key_config_selectorIiyEEZZNS1_16scan_by_key_implILNS1_25lookback_scan_determinismE0ELb0ES3_N6thrust23THRUST_200600_302600_NS6detail15normal_iteratorINS9_10device_ptrIiEEEENSB_INSC_IyEEEESG_yNS9_4plusIvEENS9_8equal_toIvEEyEE10hipError_tPvRmT2_T3_T4_T5_mT6_T7_P12ihipStream_tbENKUlT_T0_E_clISt17integral_constantIbLb1EES10_IbLb0EEEEDaSW_SX_EUlSW_E_NS1_11comp_targetILNS1_3genE5ELNS1_11target_archE942ELNS1_3gpuE9ELNS1_3repE0EEENS1_30default_config_static_selectorELNS0_4arch9wavefront6targetE0EEEvT1_
                                        ; -- End function
	.set _ZN7rocprim17ROCPRIM_400000_NS6detail17trampoline_kernelINS0_14default_configENS1_27scan_by_key_config_selectorIiyEEZZNS1_16scan_by_key_implILNS1_25lookback_scan_determinismE0ELb0ES3_N6thrust23THRUST_200600_302600_NS6detail15normal_iteratorINS9_10device_ptrIiEEEENSB_INSC_IyEEEESG_yNS9_4plusIvEENS9_8equal_toIvEEyEE10hipError_tPvRmT2_T3_T4_T5_mT6_T7_P12ihipStream_tbENKUlT_T0_E_clISt17integral_constantIbLb1EES10_IbLb0EEEEDaSW_SX_EUlSW_E_NS1_11comp_targetILNS1_3genE5ELNS1_11target_archE942ELNS1_3gpuE9ELNS1_3repE0EEENS1_30default_config_static_selectorELNS0_4arch9wavefront6targetE0EEEvT1_.num_vgpr, 0
	.set _ZN7rocprim17ROCPRIM_400000_NS6detail17trampoline_kernelINS0_14default_configENS1_27scan_by_key_config_selectorIiyEEZZNS1_16scan_by_key_implILNS1_25lookback_scan_determinismE0ELb0ES3_N6thrust23THRUST_200600_302600_NS6detail15normal_iteratorINS9_10device_ptrIiEEEENSB_INSC_IyEEEESG_yNS9_4plusIvEENS9_8equal_toIvEEyEE10hipError_tPvRmT2_T3_T4_T5_mT6_T7_P12ihipStream_tbENKUlT_T0_E_clISt17integral_constantIbLb1EES10_IbLb0EEEEDaSW_SX_EUlSW_E_NS1_11comp_targetILNS1_3genE5ELNS1_11target_archE942ELNS1_3gpuE9ELNS1_3repE0EEENS1_30default_config_static_selectorELNS0_4arch9wavefront6targetE0EEEvT1_.num_agpr, 0
	.set _ZN7rocprim17ROCPRIM_400000_NS6detail17trampoline_kernelINS0_14default_configENS1_27scan_by_key_config_selectorIiyEEZZNS1_16scan_by_key_implILNS1_25lookback_scan_determinismE0ELb0ES3_N6thrust23THRUST_200600_302600_NS6detail15normal_iteratorINS9_10device_ptrIiEEEENSB_INSC_IyEEEESG_yNS9_4plusIvEENS9_8equal_toIvEEyEE10hipError_tPvRmT2_T3_T4_T5_mT6_T7_P12ihipStream_tbENKUlT_T0_E_clISt17integral_constantIbLb1EES10_IbLb0EEEEDaSW_SX_EUlSW_E_NS1_11comp_targetILNS1_3genE5ELNS1_11target_archE942ELNS1_3gpuE9ELNS1_3repE0EEENS1_30default_config_static_selectorELNS0_4arch9wavefront6targetE0EEEvT1_.numbered_sgpr, 0
	.set _ZN7rocprim17ROCPRIM_400000_NS6detail17trampoline_kernelINS0_14default_configENS1_27scan_by_key_config_selectorIiyEEZZNS1_16scan_by_key_implILNS1_25lookback_scan_determinismE0ELb0ES3_N6thrust23THRUST_200600_302600_NS6detail15normal_iteratorINS9_10device_ptrIiEEEENSB_INSC_IyEEEESG_yNS9_4plusIvEENS9_8equal_toIvEEyEE10hipError_tPvRmT2_T3_T4_T5_mT6_T7_P12ihipStream_tbENKUlT_T0_E_clISt17integral_constantIbLb1EES10_IbLb0EEEEDaSW_SX_EUlSW_E_NS1_11comp_targetILNS1_3genE5ELNS1_11target_archE942ELNS1_3gpuE9ELNS1_3repE0EEENS1_30default_config_static_selectorELNS0_4arch9wavefront6targetE0EEEvT1_.num_named_barrier, 0
	.set _ZN7rocprim17ROCPRIM_400000_NS6detail17trampoline_kernelINS0_14default_configENS1_27scan_by_key_config_selectorIiyEEZZNS1_16scan_by_key_implILNS1_25lookback_scan_determinismE0ELb0ES3_N6thrust23THRUST_200600_302600_NS6detail15normal_iteratorINS9_10device_ptrIiEEEENSB_INSC_IyEEEESG_yNS9_4plusIvEENS9_8equal_toIvEEyEE10hipError_tPvRmT2_T3_T4_T5_mT6_T7_P12ihipStream_tbENKUlT_T0_E_clISt17integral_constantIbLb1EES10_IbLb0EEEEDaSW_SX_EUlSW_E_NS1_11comp_targetILNS1_3genE5ELNS1_11target_archE942ELNS1_3gpuE9ELNS1_3repE0EEENS1_30default_config_static_selectorELNS0_4arch9wavefront6targetE0EEEvT1_.private_seg_size, 0
	.set _ZN7rocprim17ROCPRIM_400000_NS6detail17trampoline_kernelINS0_14default_configENS1_27scan_by_key_config_selectorIiyEEZZNS1_16scan_by_key_implILNS1_25lookback_scan_determinismE0ELb0ES3_N6thrust23THRUST_200600_302600_NS6detail15normal_iteratorINS9_10device_ptrIiEEEENSB_INSC_IyEEEESG_yNS9_4plusIvEENS9_8equal_toIvEEyEE10hipError_tPvRmT2_T3_T4_T5_mT6_T7_P12ihipStream_tbENKUlT_T0_E_clISt17integral_constantIbLb1EES10_IbLb0EEEEDaSW_SX_EUlSW_E_NS1_11comp_targetILNS1_3genE5ELNS1_11target_archE942ELNS1_3gpuE9ELNS1_3repE0EEENS1_30default_config_static_selectorELNS0_4arch9wavefront6targetE0EEEvT1_.uses_vcc, 0
	.set _ZN7rocprim17ROCPRIM_400000_NS6detail17trampoline_kernelINS0_14default_configENS1_27scan_by_key_config_selectorIiyEEZZNS1_16scan_by_key_implILNS1_25lookback_scan_determinismE0ELb0ES3_N6thrust23THRUST_200600_302600_NS6detail15normal_iteratorINS9_10device_ptrIiEEEENSB_INSC_IyEEEESG_yNS9_4plusIvEENS9_8equal_toIvEEyEE10hipError_tPvRmT2_T3_T4_T5_mT6_T7_P12ihipStream_tbENKUlT_T0_E_clISt17integral_constantIbLb1EES10_IbLb0EEEEDaSW_SX_EUlSW_E_NS1_11comp_targetILNS1_3genE5ELNS1_11target_archE942ELNS1_3gpuE9ELNS1_3repE0EEENS1_30default_config_static_selectorELNS0_4arch9wavefront6targetE0EEEvT1_.uses_flat_scratch, 0
	.set _ZN7rocprim17ROCPRIM_400000_NS6detail17trampoline_kernelINS0_14default_configENS1_27scan_by_key_config_selectorIiyEEZZNS1_16scan_by_key_implILNS1_25lookback_scan_determinismE0ELb0ES3_N6thrust23THRUST_200600_302600_NS6detail15normal_iteratorINS9_10device_ptrIiEEEENSB_INSC_IyEEEESG_yNS9_4plusIvEENS9_8equal_toIvEEyEE10hipError_tPvRmT2_T3_T4_T5_mT6_T7_P12ihipStream_tbENKUlT_T0_E_clISt17integral_constantIbLb1EES10_IbLb0EEEEDaSW_SX_EUlSW_E_NS1_11comp_targetILNS1_3genE5ELNS1_11target_archE942ELNS1_3gpuE9ELNS1_3repE0EEENS1_30default_config_static_selectorELNS0_4arch9wavefront6targetE0EEEvT1_.has_dyn_sized_stack, 0
	.set _ZN7rocprim17ROCPRIM_400000_NS6detail17trampoline_kernelINS0_14default_configENS1_27scan_by_key_config_selectorIiyEEZZNS1_16scan_by_key_implILNS1_25lookback_scan_determinismE0ELb0ES3_N6thrust23THRUST_200600_302600_NS6detail15normal_iteratorINS9_10device_ptrIiEEEENSB_INSC_IyEEEESG_yNS9_4plusIvEENS9_8equal_toIvEEyEE10hipError_tPvRmT2_T3_T4_T5_mT6_T7_P12ihipStream_tbENKUlT_T0_E_clISt17integral_constantIbLb1EES10_IbLb0EEEEDaSW_SX_EUlSW_E_NS1_11comp_targetILNS1_3genE5ELNS1_11target_archE942ELNS1_3gpuE9ELNS1_3repE0EEENS1_30default_config_static_selectorELNS0_4arch9wavefront6targetE0EEEvT1_.has_recursion, 0
	.set _ZN7rocprim17ROCPRIM_400000_NS6detail17trampoline_kernelINS0_14default_configENS1_27scan_by_key_config_selectorIiyEEZZNS1_16scan_by_key_implILNS1_25lookback_scan_determinismE0ELb0ES3_N6thrust23THRUST_200600_302600_NS6detail15normal_iteratorINS9_10device_ptrIiEEEENSB_INSC_IyEEEESG_yNS9_4plusIvEENS9_8equal_toIvEEyEE10hipError_tPvRmT2_T3_T4_T5_mT6_T7_P12ihipStream_tbENKUlT_T0_E_clISt17integral_constantIbLb1EES10_IbLb0EEEEDaSW_SX_EUlSW_E_NS1_11comp_targetILNS1_3genE5ELNS1_11target_archE942ELNS1_3gpuE9ELNS1_3repE0EEENS1_30default_config_static_selectorELNS0_4arch9wavefront6targetE0EEEvT1_.has_indirect_call, 0
	.section	.AMDGPU.csdata,"",@progbits
; Kernel info:
; codeLenInByte = 0
; TotalNumSgprs: 0
; NumVgprs: 0
; ScratchSize: 0
; MemoryBound: 0
; FloatMode: 240
; IeeeMode: 1
; LDSByteSize: 0 bytes/workgroup (compile time only)
; SGPRBlocks: 0
; VGPRBlocks: 0
; NumSGPRsForWavesPerEU: 1
; NumVGPRsForWavesPerEU: 1
; Occupancy: 16
; WaveLimiterHint : 0
; COMPUTE_PGM_RSRC2:SCRATCH_EN: 0
; COMPUTE_PGM_RSRC2:USER_SGPR: 6
; COMPUTE_PGM_RSRC2:TRAP_HANDLER: 0
; COMPUTE_PGM_RSRC2:TGID_X_EN: 1
; COMPUTE_PGM_RSRC2:TGID_Y_EN: 0
; COMPUTE_PGM_RSRC2:TGID_Z_EN: 0
; COMPUTE_PGM_RSRC2:TIDIG_COMP_CNT: 0
	.section	.text._ZN7rocprim17ROCPRIM_400000_NS6detail17trampoline_kernelINS0_14default_configENS1_27scan_by_key_config_selectorIiyEEZZNS1_16scan_by_key_implILNS1_25lookback_scan_determinismE0ELb0ES3_N6thrust23THRUST_200600_302600_NS6detail15normal_iteratorINS9_10device_ptrIiEEEENSB_INSC_IyEEEESG_yNS9_4plusIvEENS9_8equal_toIvEEyEE10hipError_tPvRmT2_T3_T4_T5_mT6_T7_P12ihipStream_tbENKUlT_T0_E_clISt17integral_constantIbLb1EES10_IbLb0EEEEDaSW_SX_EUlSW_E_NS1_11comp_targetILNS1_3genE4ELNS1_11target_archE910ELNS1_3gpuE8ELNS1_3repE0EEENS1_30default_config_static_selectorELNS0_4arch9wavefront6targetE0EEEvT1_,"axG",@progbits,_ZN7rocprim17ROCPRIM_400000_NS6detail17trampoline_kernelINS0_14default_configENS1_27scan_by_key_config_selectorIiyEEZZNS1_16scan_by_key_implILNS1_25lookback_scan_determinismE0ELb0ES3_N6thrust23THRUST_200600_302600_NS6detail15normal_iteratorINS9_10device_ptrIiEEEENSB_INSC_IyEEEESG_yNS9_4plusIvEENS9_8equal_toIvEEyEE10hipError_tPvRmT2_T3_T4_T5_mT6_T7_P12ihipStream_tbENKUlT_T0_E_clISt17integral_constantIbLb1EES10_IbLb0EEEEDaSW_SX_EUlSW_E_NS1_11comp_targetILNS1_3genE4ELNS1_11target_archE910ELNS1_3gpuE8ELNS1_3repE0EEENS1_30default_config_static_selectorELNS0_4arch9wavefront6targetE0EEEvT1_,comdat
	.protected	_ZN7rocprim17ROCPRIM_400000_NS6detail17trampoline_kernelINS0_14default_configENS1_27scan_by_key_config_selectorIiyEEZZNS1_16scan_by_key_implILNS1_25lookback_scan_determinismE0ELb0ES3_N6thrust23THRUST_200600_302600_NS6detail15normal_iteratorINS9_10device_ptrIiEEEENSB_INSC_IyEEEESG_yNS9_4plusIvEENS9_8equal_toIvEEyEE10hipError_tPvRmT2_T3_T4_T5_mT6_T7_P12ihipStream_tbENKUlT_T0_E_clISt17integral_constantIbLb1EES10_IbLb0EEEEDaSW_SX_EUlSW_E_NS1_11comp_targetILNS1_3genE4ELNS1_11target_archE910ELNS1_3gpuE8ELNS1_3repE0EEENS1_30default_config_static_selectorELNS0_4arch9wavefront6targetE0EEEvT1_ ; -- Begin function _ZN7rocprim17ROCPRIM_400000_NS6detail17trampoline_kernelINS0_14default_configENS1_27scan_by_key_config_selectorIiyEEZZNS1_16scan_by_key_implILNS1_25lookback_scan_determinismE0ELb0ES3_N6thrust23THRUST_200600_302600_NS6detail15normal_iteratorINS9_10device_ptrIiEEEENSB_INSC_IyEEEESG_yNS9_4plusIvEENS9_8equal_toIvEEyEE10hipError_tPvRmT2_T3_T4_T5_mT6_T7_P12ihipStream_tbENKUlT_T0_E_clISt17integral_constantIbLb1EES10_IbLb0EEEEDaSW_SX_EUlSW_E_NS1_11comp_targetILNS1_3genE4ELNS1_11target_archE910ELNS1_3gpuE8ELNS1_3repE0EEENS1_30default_config_static_selectorELNS0_4arch9wavefront6targetE0EEEvT1_
	.globl	_ZN7rocprim17ROCPRIM_400000_NS6detail17trampoline_kernelINS0_14default_configENS1_27scan_by_key_config_selectorIiyEEZZNS1_16scan_by_key_implILNS1_25lookback_scan_determinismE0ELb0ES3_N6thrust23THRUST_200600_302600_NS6detail15normal_iteratorINS9_10device_ptrIiEEEENSB_INSC_IyEEEESG_yNS9_4plusIvEENS9_8equal_toIvEEyEE10hipError_tPvRmT2_T3_T4_T5_mT6_T7_P12ihipStream_tbENKUlT_T0_E_clISt17integral_constantIbLb1EES10_IbLb0EEEEDaSW_SX_EUlSW_E_NS1_11comp_targetILNS1_3genE4ELNS1_11target_archE910ELNS1_3gpuE8ELNS1_3repE0EEENS1_30default_config_static_selectorELNS0_4arch9wavefront6targetE0EEEvT1_
	.p2align	8
	.type	_ZN7rocprim17ROCPRIM_400000_NS6detail17trampoline_kernelINS0_14default_configENS1_27scan_by_key_config_selectorIiyEEZZNS1_16scan_by_key_implILNS1_25lookback_scan_determinismE0ELb0ES3_N6thrust23THRUST_200600_302600_NS6detail15normal_iteratorINS9_10device_ptrIiEEEENSB_INSC_IyEEEESG_yNS9_4plusIvEENS9_8equal_toIvEEyEE10hipError_tPvRmT2_T3_T4_T5_mT6_T7_P12ihipStream_tbENKUlT_T0_E_clISt17integral_constantIbLb1EES10_IbLb0EEEEDaSW_SX_EUlSW_E_NS1_11comp_targetILNS1_3genE4ELNS1_11target_archE910ELNS1_3gpuE8ELNS1_3repE0EEENS1_30default_config_static_selectorELNS0_4arch9wavefront6targetE0EEEvT1_,@function
_ZN7rocprim17ROCPRIM_400000_NS6detail17trampoline_kernelINS0_14default_configENS1_27scan_by_key_config_selectorIiyEEZZNS1_16scan_by_key_implILNS1_25lookback_scan_determinismE0ELb0ES3_N6thrust23THRUST_200600_302600_NS6detail15normal_iteratorINS9_10device_ptrIiEEEENSB_INSC_IyEEEESG_yNS9_4plusIvEENS9_8equal_toIvEEyEE10hipError_tPvRmT2_T3_T4_T5_mT6_T7_P12ihipStream_tbENKUlT_T0_E_clISt17integral_constantIbLb1EES10_IbLb0EEEEDaSW_SX_EUlSW_E_NS1_11comp_targetILNS1_3genE4ELNS1_11target_archE910ELNS1_3gpuE8ELNS1_3repE0EEENS1_30default_config_static_selectorELNS0_4arch9wavefront6targetE0EEEvT1_: ; @_ZN7rocprim17ROCPRIM_400000_NS6detail17trampoline_kernelINS0_14default_configENS1_27scan_by_key_config_selectorIiyEEZZNS1_16scan_by_key_implILNS1_25lookback_scan_determinismE0ELb0ES3_N6thrust23THRUST_200600_302600_NS6detail15normal_iteratorINS9_10device_ptrIiEEEENSB_INSC_IyEEEESG_yNS9_4plusIvEENS9_8equal_toIvEEyEE10hipError_tPvRmT2_T3_T4_T5_mT6_T7_P12ihipStream_tbENKUlT_T0_E_clISt17integral_constantIbLb1EES10_IbLb0EEEEDaSW_SX_EUlSW_E_NS1_11comp_targetILNS1_3genE4ELNS1_11target_archE910ELNS1_3gpuE8ELNS1_3repE0EEENS1_30default_config_static_selectorELNS0_4arch9wavefront6targetE0EEEvT1_
; %bb.0:
	.section	.rodata,"a",@progbits
	.p2align	6, 0x0
	.amdhsa_kernel _ZN7rocprim17ROCPRIM_400000_NS6detail17trampoline_kernelINS0_14default_configENS1_27scan_by_key_config_selectorIiyEEZZNS1_16scan_by_key_implILNS1_25lookback_scan_determinismE0ELb0ES3_N6thrust23THRUST_200600_302600_NS6detail15normal_iteratorINS9_10device_ptrIiEEEENSB_INSC_IyEEEESG_yNS9_4plusIvEENS9_8equal_toIvEEyEE10hipError_tPvRmT2_T3_T4_T5_mT6_T7_P12ihipStream_tbENKUlT_T0_E_clISt17integral_constantIbLb1EES10_IbLb0EEEEDaSW_SX_EUlSW_E_NS1_11comp_targetILNS1_3genE4ELNS1_11target_archE910ELNS1_3gpuE8ELNS1_3repE0EEENS1_30default_config_static_selectorELNS0_4arch9wavefront6targetE0EEEvT1_
		.amdhsa_group_segment_fixed_size 0
		.amdhsa_private_segment_fixed_size 0
		.amdhsa_kernarg_size 136
		.amdhsa_user_sgpr_count 6
		.amdhsa_user_sgpr_private_segment_buffer 1
		.amdhsa_user_sgpr_dispatch_ptr 0
		.amdhsa_user_sgpr_queue_ptr 0
		.amdhsa_user_sgpr_kernarg_segment_ptr 1
		.amdhsa_user_sgpr_dispatch_id 0
		.amdhsa_user_sgpr_flat_scratch_init 0
		.amdhsa_user_sgpr_private_segment_size 0
		.amdhsa_wavefront_size32 1
		.amdhsa_uses_dynamic_stack 0
		.amdhsa_system_sgpr_private_segment_wavefront_offset 0
		.amdhsa_system_sgpr_workgroup_id_x 1
		.amdhsa_system_sgpr_workgroup_id_y 0
		.amdhsa_system_sgpr_workgroup_id_z 0
		.amdhsa_system_sgpr_workgroup_info 0
		.amdhsa_system_vgpr_workitem_id 0
		.amdhsa_next_free_vgpr 1
		.amdhsa_next_free_sgpr 1
		.amdhsa_reserve_vcc 0
		.amdhsa_reserve_flat_scratch 0
		.amdhsa_float_round_mode_32 0
		.amdhsa_float_round_mode_16_64 0
		.amdhsa_float_denorm_mode_32 3
		.amdhsa_float_denorm_mode_16_64 3
		.amdhsa_dx10_clamp 1
		.amdhsa_ieee_mode 1
		.amdhsa_fp16_overflow 0
		.amdhsa_workgroup_processor_mode 1
		.amdhsa_memory_ordered 1
		.amdhsa_forward_progress 1
		.amdhsa_shared_vgpr_count 0
		.amdhsa_exception_fp_ieee_invalid_op 0
		.amdhsa_exception_fp_denorm_src 0
		.amdhsa_exception_fp_ieee_div_zero 0
		.amdhsa_exception_fp_ieee_overflow 0
		.amdhsa_exception_fp_ieee_underflow 0
		.amdhsa_exception_fp_ieee_inexact 0
		.amdhsa_exception_int_div_zero 0
	.end_amdhsa_kernel
	.section	.text._ZN7rocprim17ROCPRIM_400000_NS6detail17trampoline_kernelINS0_14default_configENS1_27scan_by_key_config_selectorIiyEEZZNS1_16scan_by_key_implILNS1_25lookback_scan_determinismE0ELb0ES3_N6thrust23THRUST_200600_302600_NS6detail15normal_iteratorINS9_10device_ptrIiEEEENSB_INSC_IyEEEESG_yNS9_4plusIvEENS9_8equal_toIvEEyEE10hipError_tPvRmT2_T3_T4_T5_mT6_T7_P12ihipStream_tbENKUlT_T0_E_clISt17integral_constantIbLb1EES10_IbLb0EEEEDaSW_SX_EUlSW_E_NS1_11comp_targetILNS1_3genE4ELNS1_11target_archE910ELNS1_3gpuE8ELNS1_3repE0EEENS1_30default_config_static_selectorELNS0_4arch9wavefront6targetE0EEEvT1_,"axG",@progbits,_ZN7rocprim17ROCPRIM_400000_NS6detail17trampoline_kernelINS0_14default_configENS1_27scan_by_key_config_selectorIiyEEZZNS1_16scan_by_key_implILNS1_25lookback_scan_determinismE0ELb0ES3_N6thrust23THRUST_200600_302600_NS6detail15normal_iteratorINS9_10device_ptrIiEEEENSB_INSC_IyEEEESG_yNS9_4plusIvEENS9_8equal_toIvEEyEE10hipError_tPvRmT2_T3_T4_T5_mT6_T7_P12ihipStream_tbENKUlT_T0_E_clISt17integral_constantIbLb1EES10_IbLb0EEEEDaSW_SX_EUlSW_E_NS1_11comp_targetILNS1_3genE4ELNS1_11target_archE910ELNS1_3gpuE8ELNS1_3repE0EEENS1_30default_config_static_selectorELNS0_4arch9wavefront6targetE0EEEvT1_,comdat
.Lfunc_end1201:
	.size	_ZN7rocprim17ROCPRIM_400000_NS6detail17trampoline_kernelINS0_14default_configENS1_27scan_by_key_config_selectorIiyEEZZNS1_16scan_by_key_implILNS1_25lookback_scan_determinismE0ELb0ES3_N6thrust23THRUST_200600_302600_NS6detail15normal_iteratorINS9_10device_ptrIiEEEENSB_INSC_IyEEEESG_yNS9_4plusIvEENS9_8equal_toIvEEyEE10hipError_tPvRmT2_T3_T4_T5_mT6_T7_P12ihipStream_tbENKUlT_T0_E_clISt17integral_constantIbLb1EES10_IbLb0EEEEDaSW_SX_EUlSW_E_NS1_11comp_targetILNS1_3genE4ELNS1_11target_archE910ELNS1_3gpuE8ELNS1_3repE0EEENS1_30default_config_static_selectorELNS0_4arch9wavefront6targetE0EEEvT1_, .Lfunc_end1201-_ZN7rocprim17ROCPRIM_400000_NS6detail17trampoline_kernelINS0_14default_configENS1_27scan_by_key_config_selectorIiyEEZZNS1_16scan_by_key_implILNS1_25lookback_scan_determinismE0ELb0ES3_N6thrust23THRUST_200600_302600_NS6detail15normal_iteratorINS9_10device_ptrIiEEEENSB_INSC_IyEEEESG_yNS9_4plusIvEENS9_8equal_toIvEEyEE10hipError_tPvRmT2_T3_T4_T5_mT6_T7_P12ihipStream_tbENKUlT_T0_E_clISt17integral_constantIbLb1EES10_IbLb0EEEEDaSW_SX_EUlSW_E_NS1_11comp_targetILNS1_3genE4ELNS1_11target_archE910ELNS1_3gpuE8ELNS1_3repE0EEENS1_30default_config_static_selectorELNS0_4arch9wavefront6targetE0EEEvT1_
                                        ; -- End function
	.set _ZN7rocprim17ROCPRIM_400000_NS6detail17trampoline_kernelINS0_14default_configENS1_27scan_by_key_config_selectorIiyEEZZNS1_16scan_by_key_implILNS1_25lookback_scan_determinismE0ELb0ES3_N6thrust23THRUST_200600_302600_NS6detail15normal_iteratorINS9_10device_ptrIiEEEENSB_INSC_IyEEEESG_yNS9_4plusIvEENS9_8equal_toIvEEyEE10hipError_tPvRmT2_T3_T4_T5_mT6_T7_P12ihipStream_tbENKUlT_T0_E_clISt17integral_constantIbLb1EES10_IbLb0EEEEDaSW_SX_EUlSW_E_NS1_11comp_targetILNS1_3genE4ELNS1_11target_archE910ELNS1_3gpuE8ELNS1_3repE0EEENS1_30default_config_static_selectorELNS0_4arch9wavefront6targetE0EEEvT1_.num_vgpr, 0
	.set _ZN7rocprim17ROCPRIM_400000_NS6detail17trampoline_kernelINS0_14default_configENS1_27scan_by_key_config_selectorIiyEEZZNS1_16scan_by_key_implILNS1_25lookback_scan_determinismE0ELb0ES3_N6thrust23THRUST_200600_302600_NS6detail15normal_iteratorINS9_10device_ptrIiEEEENSB_INSC_IyEEEESG_yNS9_4plusIvEENS9_8equal_toIvEEyEE10hipError_tPvRmT2_T3_T4_T5_mT6_T7_P12ihipStream_tbENKUlT_T0_E_clISt17integral_constantIbLb1EES10_IbLb0EEEEDaSW_SX_EUlSW_E_NS1_11comp_targetILNS1_3genE4ELNS1_11target_archE910ELNS1_3gpuE8ELNS1_3repE0EEENS1_30default_config_static_selectorELNS0_4arch9wavefront6targetE0EEEvT1_.num_agpr, 0
	.set _ZN7rocprim17ROCPRIM_400000_NS6detail17trampoline_kernelINS0_14default_configENS1_27scan_by_key_config_selectorIiyEEZZNS1_16scan_by_key_implILNS1_25lookback_scan_determinismE0ELb0ES3_N6thrust23THRUST_200600_302600_NS6detail15normal_iteratorINS9_10device_ptrIiEEEENSB_INSC_IyEEEESG_yNS9_4plusIvEENS9_8equal_toIvEEyEE10hipError_tPvRmT2_T3_T4_T5_mT6_T7_P12ihipStream_tbENKUlT_T0_E_clISt17integral_constantIbLb1EES10_IbLb0EEEEDaSW_SX_EUlSW_E_NS1_11comp_targetILNS1_3genE4ELNS1_11target_archE910ELNS1_3gpuE8ELNS1_3repE0EEENS1_30default_config_static_selectorELNS0_4arch9wavefront6targetE0EEEvT1_.numbered_sgpr, 0
	.set _ZN7rocprim17ROCPRIM_400000_NS6detail17trampoline_kernelINS0_14default_configENS1_27scan_by_key_config_selectorIiyEEZZNS1_16scan_by_key_implILNS1_25lookback_scan_determinismE0ELb0ES3_N6thrust23THRUST_200600_302600_NS6detail15normal_iteratorINS9_10device_ptrIiEEEENSB_INSC_IyEEEESG_yNS9_4plusIvEENS9_8equal_toIvEEyEE10hipError_tPvRmT2_T3_T4_T5_mT6_T7_P12ihipStream_tbENKUlT_T0_E_clISt17integral_constantIbLb1EES10_IbLb0EEEEDaSW_SX_EUlSW_E_NS1_11comp_targetILNS1_3genE4ELNS1_11target_archE910ELNS1_3gpuE8ELNS1_3repE0EEENS1_30default_config_static_selectorELNS0_4arch9wavefront6targetE0EEEvT1_.num_named_barrier, 0
	.set _ZN7rocprim17ROCPRIM_400000_NS6detail17trampoline_kernelINS0_14default_configENS1_27scan_by_key_config_selectorIiyEEZZNS1_16scan_by_key_implILNS1_25lookback_scan_determinismE0ELb0ES3_N6thrust23THRUST_200600_302600_NS6detail15normal_iteratorINS9_10device_ptrIiEEEENSB_INSC_IyEEEESG_yNS9_4plusIvEENS9_8equal_toIvEEyEE10hipError_tPvRmT2_T3_T4_T5_mT6_T7_P12ihipStream_tbENKUlT_T0_E_clISt17integral_constantIbLb1EES10_IbLb0EEEEDaSW_SX_EUlSW_E_NS1_11comp_targetILNS1_3genE4ELNS1_11target_archE910ELNS1_3gpuE8ELNS1_3repE0EEENS1_30default_config_static_selectorELNS0_4arch9wavefront6targetE0EEEvT1_.private_seg_size, 0
	.set _ZN7rocprim17ROCPRIM_400000_NS6detail17trampoline_kernelINS0_14default_configENS1_27scan_by_key_config_selectorIiyEEZZNS1_16scan_by_key_implILNS1_25lookback_scan_determinismE0ELb0ES3_N6thrust23THRUST_200600_302600_NS6detail15normal_iteratorINS9_10device_ptrIiEEEENSB_INSC_IyEEEESG_yNS9_4plusIvEENS9_8equal_toIvEEyEE10hipError_tPvRmT2_T3_T4_T5_mT6_T7_P12ihipStream_tbENKUlT_T0_E_clISt17integral_constantIbLb1EES10_IbLb0EEEEDaSW_SX_EUlSW_E_NS1_11comp_targetILNS1_3genE4ELNS1_11target_archE910ELNS1_3gpuE8ELNS1_3repE0EEENS1_30default_config_static_selectorELNS0_4arch9wavefront6targetE0EEEvT1_.uses_vcc, 0
	.set _ZN7rocprim17ROCPRIM_400000_NS6detail17trampoline_kernelINS0_14default_configENS1_27scan_by_key_config_selectorIiyEEZZNS1_16scan_by_key_implILNS1_25lookback_scan_determinismE0ELb0ES3_N6thrust23THRUST_200600_302600_NS6detail15normal_iteratorINS9_10device_ptrIiEEEENSB_INSC_IyEEEESG_yNS9_4plusIvEENS9_8equal_toIvEEyEE10hipError_tPvRmT2_T3_T4_T5_mT6_T7_P12ihipStream_tbENKUlT_T0_E_clISt17integral_constantIbLb1EES10_IbLb0EEEEDaSW_SX_EUlSW_E_NS1_11comp_targetILNS1_3genE4ELNS1_11target_archE910ELNS1_3gpuE8ELNS1_3repE0EEENS1_30default_config_static_selectorELNS0_4arch9wavefront6targetE0EEEvT1_.uses_flat_scratch, 0
	.set _ZN7rocprim17ROCPRIM_400000_NS6detail17trampoline_kernelINS0_14default_configENS1_27scan_by_key_config_selectorIiyEEZZNS1_16scan_by_key_implILNS1_25lookback_scan_determinismE0ELb0ES3_N6thrust23THRUST_200600_302600_NS6detail15normal_iteratorINS9_10device_ptrIiEEEENSB_INSC_IyEEEESG_yNS9_4plusIvEENS9_8equal_toIvEEyEE10hipError_tPvRmT2_T3_T4_T5_mT6_T7_P12ihipStream_tbENKUlT_T0_E_clISt17integral_constantIbLb1EES10_IbLb0EEEEDaSW_SX_EUlSW_E_NS1_11comp_targetILNS1_3genE4ELNS1_11target_archE910ELNS1_3gpuE8ELNS1_3repE0EEENS1_30default_config_static_selectorELNS0_4arch9wavefront6targetE0EEEvT1_.has_dyn_sized_stack, 0
	.set _ZN7rocprim17ROCPRIM_400000_NS6detail17trampoline_kernelINS0_14default_configENS1_27scan_by_key_config_selectorIiyEEZZNS1_16scan_by_key_implILNS1_25lookback_scan_determinismE0ELb0ES3_N6thrust23THRUST_200600_302600_NS6detail15normal_iteratorINS9_10device_ptrIiEEEENSB_INSC_IyEEEESG_yNS9_4plusIvEENS9_8equal_toIvEEyEE10hipError_tPvRmT2_T3_T4_T5_mT6_T7_P12ihipStream_tbENKUlT_T0_E_clISt17integral_constantIbLb1EES10_IbLb0EEEEDaSW_SX_EUlSW_E_NS1_11comp_targetILNS1_3genE4ELNS1_11target_archE910ELNS1_3gpuE8ELNS1_3repE0EEENS1_30default_config_static_selectorELNS0_4arch9wavefront6targetE0EEEvT1_.has_recursion, 0
	.set _ZN7rocprim17ROCPRIM_400000_NS6detail17trampoline_kernelINS0_14default_configENS1_27scan_by_key_config_selectorIiyEEZZNS1_16scan_by_key_implILNS1_25lookback_scan_determinismE0ELb0ES3_N6thrust23THRUST_200600_302600_NS6detail15normal_iteratorINS9_10device_ptrIiEEEENSB_INSC_IyEEEESG_yNS9_4plusIvEENS9_8equal_toIvEEyEE10hipError_tPvRmT2_T3_T4_T5_mT6_T7_P12ihipStream_tbENKUlT_T0_E_clISt17integral_constantIbLb1EES10_IbLb0EEEEDaSW_SX_EUlSW_E_NS1_11comp_targetILNS1_3genE4ELNS1_11target_archE910ELNS1_3gpuE8ELNS1_3repE0EEENS1_30default_config_static_selectorELNS0_4arch9wavefront6targetE0EEEvT1_.has_indirect_call, 0
	.section	.AMDGPU.csdata,"",@progbits
; Kernel info:
; codeLenInByte = 0
; TotalNumSgprs: 0
; NumVgprs: 0
; ScratchSize: 0
; MemoryBound: 0
; FloatMode: 240
; IeeeMode: 1
; LDSByteSize: 0 bytes/workgroup (compile time only)
; SGPRBlocks: 0
; VGPRBlocks: 0
; NumSGPRsForWavesPerEU: 1
; NumVGPRsForWavesPerEU: 1
; Occupancy: 16
; WaveLimiterHint : 0
; COMPUTE_PGM_RSRC2:SCRATCH_EN: 0
; COMPUTE_PGM_RSRC2:USER_SGPR: 6
; COMPUTE_PGM_RSRC2:TRAP_HANDLER: 0
; COMPUTE_PGM_RSRC2:TGID_X_EN: 1
; COMPUTE_PGM_RSRC2:TGID_Y_EN: 0
; COMPUTE_PGM_RSRC2:TGID_Z_EN: 0
; COMPUTE_PGM_RSRC2:TIDIG_COMP_CNT: 0
	.section	.text._ZN7rocprim17ROCPRIM_400000_NS6detail17trampoline_kernelINS0_14default_configENS1_27scan_by_key_config_selectorIiyEEZZNS1_16scan_by_key_implILNS1_25lookback_scan_determinismE0ELb0ES3_N6thrust23THRUST_200600_302600_NS6detail15normal_iteratorINS9_10device_ptrIiEEEENSB_INSC_IyEEEESG_yNS9_4plusIvEENS9_8equal_toIvEEyEE10hipError_tPvRmT2_T3_T4_T5_mT6_T7_P12ihipStream_tbENKUlT_T0_E_clISt17integral_constantIbLb1EES10_IbLb0EEEEDaSW_SX_EUlSW_E_NS1_11comp_targetILNS1_3genE3ELNS1_11target_archE908ELNS1_3gpuE7ELNS1_3repE0EEENS1_30default_config_static_selectorELNS0_4arch9wavefront6targetE0EEEvT1_,"axG",@progbits,_ZN7rocprim17ROCPRIM_400000_NS6detail17trampoline_kernelINS0_14default_configENS1_27scan_by_key_config_selectorIiyEEZZNS1_16scan_by_key_implILNS1_25lookback_scan_determinismE0ELb0ES3_N6thrust23THRUST_200600_302600_NS6detail15normal_iteratorINS9_10device_ptrIiEEEENSB_INSC_IyEEEESG_yNS9_4plusIvEENS9_8equal_toIvEEyEE10hipError_tPvRmT2_T3_T4_T5_mT6_T7_P12ihipStream_tbENKUlT_T0_E_clISt17integral_constantIbLb1EES10_IbLb0EEEEDaSW_SX_EUlSW_E_NS1_11comp_targetILNS1_3genE3ELNS1_11target_archE908ELNS1_3gpuE7ELNS1_3repE0EEENS1_30default_config_static_selectorELNS0_4arch9wavefront6targetE0EEEvT1_,comdat
	.protected	_ZN7rocprim17ROCPRIM_400000_NS6detail17trampoline_kernelINS0_14default_configENS1_27scan_by_key_config_selectorIiyEEZZNS1_16scan_by_key_implILNS1_25lookback_scan_determinismE0ELb0ES3_N6thrust23THRUST_200600_302600_NS6detail15normal_iteratorINS9_10device_ptrIiEEEENSB_INSC_IyEEEESG_yNS9_4plusIvEENS9_8equal_toIvEEyEE10hipError_tPvRmT2_T3_T4_T5_mT6_T7_P12ihipStream_tbENKUlT_T0_E_clISt17integral_constantIbLb1EES10_IbLb0EEEEDaSW_SX_EUlSW_E_NS1_11comp_targetILNS1_3genE3ELNS1_11target_archE908ELNS1_3gpuE7ELNS1_3repE0EEENS1_30default_config_static_selectorELNS0_4arch9wavefront6targetE0EEEvT1_ ; -- Begin function _ZN7rocprim17ROCPRIM_400000_NS6detail17trampoline_kernelINS0_14default_configENS1_27scan_by_key_config_selectorIiyEEZZNS1_16scan_by_key_implILNS1_25lookback_scan_determinismE0ELb0ES3_N6thrust23THRUST_200600_302600_NS6detail15normal_iteratorINS9_10device_ptrIiEEEENSB_INSC_IyEEEESG_yNS9_4plusIvEENS9_8equal_toIvEEyEE10hipError_tPvRmT2_T3_T4_T5_mT6_T7_P12ihipStream_tbENKUlT_T0_E_clISt17integral_constantIbLb1EES10_IbLb0EEEEDaSW_SX_EUlSW_E_NS1_11comp_targetILNS1_3genE3ELNS1_11target_archE908ELNS1_3gpuE7ELNS1_3repE0EEENS1_30default_config_static_selectorELNS0_4arch9wavefront6targetE0EEEvT1_
	.globl	_ZN7rocprim17ROCPRIM_400000_NS6detail17trampoline_kernelINS0_14default_configENS1_27scan_by_key_config_selectorIiyEEZZNS1_16scan_by_key_implILNS1_25lookback_scan_determinismE0ELb0ES3_N6thrust23THRUST_200600_302600_NS6detail15normal_iteratorINS9_10device_ptrIiEEEENSB_INSC_IyEEEESG_yNS9_4plusIvEENS9_8equal_toIvEEyEE10hipError_tPvRmT2_T3_T4_T5_mT6_T7_P12ihipStream_tbENKUlT_T0_E_clISt17integral_constantIbLb1EES10_IbLb0EEEEDaSW_SX_EUlSW_E_NS1_11comp_targetILNS1_3genE3ELNS1_11target_archE908ELNS1_3gpuE7ELNS1_3repE0EEENS1_30default_config_static_selectorELNS0_4arch9wavefront6targetE0EEEvT1_
	.p2align	8
	.type	_ZN7rocprim17ROCPRIM_400000_NS6detail17trampoline_kernelINS0_14default_configENS1_27scan_by_key_config_selectorIiyEEZZNS1_16scan_by_key_implILNS1_25lookback_scan_determinismE0ELb0ES3_N6thrust23THRUST_200600_302600_NS6detail15normal_iteratorINS9_10device_ptrIiEEEENSB_INSC_IyEEEESG_yNS9_4plusIvEENS9_8equal_toIvEEyEE10hipError_tPvRmT2_T3_T4_T5_mT6_T7_P12ihipStream_tbENKUlT_T0_E_clISt17integral_constantIbLb1EES10_IbLb0EEEEDaSW_SX_EUlSW_E_NS1_11comp_targetILNS1_3genE3ELNS1_11target_archE908ELNS1_3gpuE7ELNS1_3repE0EEENS1_30default_config_static_selectorELNS0_4arch9wavefront6targetE0EEEvT1_,@function
_ZN7rocprim17ROCPRIM_400000_NS6detail17trampoline_kernelINS0_14default_configENS1_27scan_by_key_config_selectorIiyEEZZNS1_16scan_by_key_implILNS1_25lookback_scan_determinismE0ELb0ES3_N6thrust23THRUST_200600_302600_NS6detail15normal_iteratorINS9_10device_ptrIiEEEENSB_INSC_IyEEEESG_yNS9_4plusIvEENS9_8equal_toIvEEyEE10hipError_tPvRmT2_T3_T4_T5_mT6_T7_P12ihipStream_tbENKUlT_T0_E_clISt17integral_constantIbLb1EES10_IbLb0EEEEDaSW_SX_EUlSW_E_NS1_11comp_targetILNS1_3genE3ELNS1_11target_archE908ELNS1_3gpuE7ELNS1_3repE0EEENS1_30default_config_static_selectorELNS0_4arch9wavefront6targetE0EEEvT1_: ; @_ZN7rocprim17ROCPRIM_400000_NS6detail17trampoline_kernelINS0_14default_configENS1_27scan_by_key_config_selectorIiyEEZZNS1_16scan_by_key_implILNS1_25lookback_scan_determinismE0ELb0ES3_N6thrust23THRUST_200600_302600_NS6detail15normal_iteratorINS9_10device_ptrIiEEEENSB_INSC_IyEEEESG_yNS9_4plusIvEENS9_8equal_toIvEEyEE10hipError_tPvRmT2_T3_T4_T5_mT6_T7_P12ihipStream_tbENKUlT_T0_E_clISt17integral_constantIbLb1EES10_IbLb0EEEEDaSW_SX_EUlSW_E_NS1_11comp_targetILNS1_3genE3ELNS1_11target_archE908ELNS1_3gpuE7ELNS1_3repE0EEENS1_30default_config_static_selectorELNS0_4arch9wavefront6targetE0EEEvT1_
; %bb.0:
	.section	.rodata,"a",@progbits
	.p2align	6, 0x0
	.amdhsa_kernel _ZN7rocprim17ROCPRIM_400000_NS6detail17trampoline_kernelINS0_14default_configENS1_27scan_by_key_config_selectorIiyEEZZNS1_16scan_by_key_implILNS1_25lookback_scan_determinismE0ELb0ES3_N6thrust23THRUST_200600_302600_NS6detail15normal_iteratorINS9_10device_ptrIiEEEENSB_INSC_IyEEEESG_yNS9_4plusIvEENS9_8equal_toIvEEyEE10hipError_tPvRmT2_T3_T4_T5_mT6_T7_P12ihipStream_tbENKUlT_T0_E_clISt17integral_constantIbLb1EES10_IbLb0EEEEDaSW_SX_EUlSW_E_NS1_11comp_targetILNS1_3genE3ELNS1_11target_archE908ELNS1_3gpuE7ELNS1_3repE0EEENS1_30default_config_static_selectorELNS0_4arch9wavefront6targetE0EEEvT1_
		.amdhsa_group_segment_fixed_size 0
		.amdhsa_private_segment_fixed_size 0
		.amdhsa_kernarg_size 136
		.amdhsa_user_sgpr_count 6
		.amdhsa_user_sgpr_private_segment_buffer 1
		.amdhsa_user_sgpr_dispatch_ptr 0
		.amdhsa_user_sgpr_queue_ptr 0
		.amdhsa_user_sgpr_kernarg_segment_ptr 1
		.amdhsa_user_sgpr_dispatch_id 0
		.amdhsa_user_sgpr_flat_scratch_init 0
		.amdhsa_user_sgpr_private_segment_size 0
		.amdhsa_wavefront_size32 1
		.amdhsa_uses_dynamic_stack 0
		.amdhsa_system_sgpr_private_segment_wavefront_offset 0
		.amdhsa_system_sgpr_workgroup_id_x 1
		.amdhsa_system_sgpr_workgroup_id_y 0
		.amdhsa_system_sgpr_workgroup_id_z 0
		.amdhsa_system_sgpr_workgroup_info 0
		.amdhsa_system_vgpr_workitem_id 0
		.amdhsa_next_free_vgpr 1
		.amdhsa_next_free_sgpr 1
		.amdhsa_reserve_vcc 0
		.amdhsa_reserve_flat_scratch 0
		.amdhsa_float_round_mode_32 0
		.amdhsa_float_round_mode_16_64 0
		.amdhsa_float_denorm_mode_32 3
		.amdhsa_float_denorm_mode_16_64 3
		.amdhsa_dx10_clamp 1
		.amdhsa_ieee_mode 1
		.amdhsa_fp16_overflow 0
		.amdhsa_workgroup_processor_mode 1
		.amdhsa_memory_ordered 1
		.amdhsa_forward_progress 1
		.amdhsa_shared_vgpr_count 0
		.amdhsa_exception_fp_ieee_invalid_op 0
		.amdhsa_exception_fp_denorm_src 0
		.amdhsa_exception_fp_ieee_div_zero 0
		.amdhsa_exception_fp_ieee_overflow 0
		.amdhsa_exception_fp_ieee_underflow 0
		.amdhsa_exception_fp_ieee_inexact 0
		.amdhsa_exception_int_div_zero 0
	.end_amdhsa_kernel
	.section	.text._ZN7rocprim17ROCPRIM_400000_NS6detail17trampoline_kernelINS0_14default_configENS1_27scan_by_key_config_selectorIiyEEZZNS1_16scan_by_key_implILNS1_25lookback_scan_determinismE0ELb0ES3_N6thrust23THRUST_200600_302600_NS6detail15normal_iteratorINS9_10device_ptrIiEEEENSB_INSC_IyEEEESG_yNS9_4plusIvEENS9_8equal_toIvEEyEE10hipError_tPvRmT2_T3_T4_T5_mT6_T7_P12ihipStream_tbENKUlT_T0_E_clISt17integral_constantIbLb1EES10_IbLb0EEEEDaSW_SX_EUlSW_E_NS1_11comp_targetILNS1_3genE3ELNS1_11target_archE908ELNS1_3gpuE7ELNS1_3repE0EEENS1_30default_config_static_selectorELNS0_4arch9wavefront6targetE0EEEvT1_,"axG",@progbits,_ZN7rocprim17ROCPRIM_400000_NS6detail17trampoline_kernelINS0_14default_configENS1_27scan_by_key_config_selectorIiyEEZZNS1_16scan_by_key_implILNS1_25lookback_scan_determinismE0ELb0ES3_N6thrust23THRUST_200600_302600_NS6detail15normal_iteratorINS9_10device_ptrIiEEEENSB_INSC_IyEEEESG_yNS9_4plusIvEENS9_8equal_toIvEEyEE10hipError_tPvRmT2_T3_T4_T5_mT6_T7_P12ihipStream_tbENKUlT_T0_E_clISt17integral_constantIbLb1EES10_IbLb0EEEEDaSW_SX_EUlSW_E_NS1_11comp_targetILNS1_3genE3ELNS1_11target_archE908ELNS1_3gpuE7ELNS1_3repE0EEENS1_30default_config_static_selectorELNS0_4arch9wavefront6targetE0EEEvT1_,comdat
.Lfunc_end1202:
	.size	_ZN7rocprim17ROCPRIM_400000_NS6detail17trampoline_kernelINS0_14default_configENS1_27scan_by_key_config_selectorIiyEEZZNS1_16scan_by_key_implILNS1_25lookback_scan_determinismE0ELb0ES3_N6thrust23THRUST_200600_302600_NS6detail15normal_iteratorINS9_10device_ptrIiEEEENSB_INSC_IyEEEESG_yNS9_4plusIvEENS9_8equal_toIvEEyEE10hipError_tPvRmT2_T3_T4_T5_mT6_T7_P12ihipStream_tbENKUlT_T0_E_clISt17integral_constantIbLb1EES10_IbLb0EEEEDaSW_SX_EUlSW_E_NS1_11comp_targetILNS1_3genE3ELNS1_11target_archE908ELNS1_3gpuE7ELNS1_3repE0EEENS1_30default_config_static_selectorELNS0_4arch9wavefront6targetE0EEEvT1_, .Lfunc_end1202-_ZN7rocprim17ROCPRIM_400000_NS6detail17trampoline_kernelINS0_14default_configENS1_27scan_by_key_config_selectorIiyEEZZNS1_16scan_by_key_implILNS1_25lookback_scan_determinismE0ELb0ES3_N6thrust23THRUST_200600_302600_NS6detail15normal_iteratorINS9_10device_ptrIiEEEENSB_INSC_IyEEEESG_yNS9_4plusIvEENS9_8equal_toIvEEyEE10hipError_tPvRmT2_T3_T4_T5_mT6_T7_P12ihipStream_tbENKUlT_T0_E_clISt17integral_constantIbLb1EES10_IbLb0EEEEDaSW_SX_EUlSW_E_NS1_11comp_targetILNS1_3genE3ELNS1_11target_archE908ELNS1_3gpuE7ELNS1_3repE0EEENS1_30default_config_static_selectorELNS0_4arch9wavefront6targetE0EEEvT1_
                                        ; -- End function
	.set _ZN7rocprim17ROCPRIM_400000_NS6detail17trampoline_kernelINS0_14default_configENS1_27scan_by_key_config_selectorIiyEEZZNS1_16scan_by_key_implILNS1_25lookback_scan_determinismE0ELb0ES3_N6thrust23THRUST_200600_302600_NS6detail15normal_iteratorINS9_10device_ptrIiEEEENSB_INSC_IyEEEESG_yNS9_4plusIvEENS9_8equal_toIvEEyEE10hipError_tPvRmT2_T3_T4_T5_mT6_T7_P12ihipStream_tbENKUlT_T0_E_clISt17integral_constantIbLb1EES10_IbLb0EEEEDaSW_SX_EUlSW_E_NS1_11comp_targetILNS1_3genE3ELNS1_11target_archE908ELNS1_3gpuE7ELNS1_3repE0EEENS1_30default_config_static_selectorELNS0_4arch9wavefront6targetE0EEEvT1_.num_vgpr, 0
	.set _ZN7rocprim17ROCPRIM_400000_NS6detail17trampoline_kernelINS0_14default_configENS1_27scan_by_key_config_selectorIiyEEZZNS1_16scan_by_key_implILNS1_25lookback_scan_determinismE0ELb0ES3_N6thrust23THRUST_200600_302600_NS6detail15normal_iteratorINS9_10device_ptrIiEEEENSB_INSC_IyEEEESG_yNS9_4plusIvEENS9_8equal_toIvEEyEE10hipError_tPvRmT2_T3_T4_T5_mT6_T7_P12ihipStream_tbENKUlT_T0_E_clISt17integral_constantIbLb1EES10_IbLb0EEEEDaSW_SX_EUlSW_E_NS1_11comp_targetILNS1_3genE3ELNS1_11target_archE908ELNS1_3gpuE7ELNS1_3repE0EEENS1_30default_config_static_selectorELNS0_4arch9wavefront6targetE0EEEvT1_.num_agpr, 0
	.set _ZN7rocprim17ROCPRIM_400000_NS6detail17trampoline_kernelINS0_14default_configENS1_27scan_by_key_config_selectorIiyEEZZNS1_16scan_by_key_implILNS1_25lookback_scan_determinismE0ELb0ES3_N6thrust23THRUST_200600_302600_NS6detail15normal_iteratorINS9_10device_ptrIiEEEENSB_INSC_IyEEEESG_yNS9_4plusIvEENS9_8equal_toIvEEyEE10hipError_tPvRmT2_T3_T4_T5_mT6_T7_P12ihipStream_tbENKUlT_T0_E_clISt17integral_constantIbLb1EES10_IbLb0EEEEDaSW_SX_EUlSW_E_NS1_11comp_targetILNS1_3genE3ELNS1_11target_archE908ELNS1_3gpuE7ELNS1_3repE0EEENS1_30default_config_static_selectorELNS0_4arch9wavefront6targetE0EEEvT1_.numbered_sgpr, 0
	.set _ZN7rocprim17ROCPRIM_400000_NS6detail17trampoline_kernelINS0_14default_configENS1_27scan_by_key_config_selectorIiyEEZZNS1_16scan_by_key_implILNS1_25lookback_scan_determinismE0ELb0ES3_N6thrust23THRUST_200600_302600_NS6detail15normal_iteratorINS9_10device_ptrIiEEEENSB_INSC_IyEEEESG_yNS9_4plusIvEENS9_8equal_toIvEEyEE10hipError_tPvRmT2_T3_T4_T5_mT6_T7_P12ihipStream_tbENKUlT_T0_E_clISt17integral_constantIbLb1EES10_IbLb0EEEEDaSW_SX_EUlSW_E_NS1_11comp_targetILNS1_3genE3ELNS1_11target_archE908ELNS1_3gpuE7ELNS1_3repE0EEENS1_30default_config_static_selectorELNS0_4arch9wavefront6targetE0EEEvT1_.num_named_barrier, 0
	.set _ZN7rocprim17ROCPRIM_400000_NS6detail17trampoline_kernelINS0_14default_configENS1_27scan_by_key_config_selectorIiyEEZZNS1_16scan_by_key_implILNS1_25lookback_scan_determinismE0ELb0ES3_N6thrust23THRUST_200600_302600_NS6detail15normal_iteratorINS9_10device_ptrIiEEEENSB_INSC_IyEEEESG_yNS9_4plusIvEENS9_8equal_toIvEEyEE10hipError_tPvRmT2_T3_T4_T5_mT6_T7_P12ihipStream_tbENKUlT_T0_E_clISt17integral_constantIbLb1EES10_IbLb0EEEEDaSW_SX_EUlSW_E_NS1_11comp_targetILNS1_3genE3ELNS1_11target_archE908ELNS1_3gpuE7ELNS1_3repE0EEENS1_30default_config_static_selectorELNS0_4arch9wavefront6targetE0EEEvT1_.private_seg_size, 0
	.set _ZN7rocprim17ROCPRIM_400000_NS6detail17trampoline_kernelINS0_14default_configENS1_27scan_by_key_config_selectorIiyEEZZNS1_16scan_by_key_implILNS1_25lookback_scan_determinismE0ELb0ES3_N6thrust23THRUST_200600_302600_NS6detail15normal_iteratorINS9_10device_ptrIiEEEENSB_INSC_IyEEEESG_yNS9_4plusIvEENS9_8equal_toIvEEyEE10hipError_tPvRmT2_T3_T4_T5_mT6_T7_P12ihipStream_tbENKUlT_T0_E_clISt17integral_constantIbLb1EES10_IbLb0EEEEDaSW_SX_EUlSW_E_NS1_11comp_targetILNS1_3genE3ELNS1_11target_archE908ELNS1_3gpuE7ELNS1_3repE0EEENS1_30default_config_static_selectorELNS0_4arch9wavefront6targetE0EEEvT1_.uses_vcc, 0
	.set _ZN7rocprim17ROCPRIM_400000_NS6detail17trampoline_kernelINS0_14default_configENS1_27scan_by_key_config_selectorIiyEEZZNS1_16scan_by_key_implILNS1_25lookback_scan_determinismE0ELb0ES3_N6thrust23THRUST_200600_302600_NS6detail15normal_iteratorINS9_10device_ptrIiEEEENSB_INSC_IyEEEESG_yNS9_4plusIvEENS9_8equal_toIvEEyEE10hipError_tPvRmT2_T3_T4_T5_mT6_T7_P12ihipStream_tbENKUlT_T0_E_clISt17integral_constantIbLb1EES10_IbLb0EEEEDaSW_SX_EUlSW_E_NS1_11comp_targetILNS1_3genE3ELNS1_11target_archE908ELNS1_3gpuE7ELNS1_3repE0EEENS1_30default_config_static_selectorELNS0_4arch9wavefront6targetE0EEEvT1_.uses_flat_scratch, 0
	.set _ZN7rocprim17ROCPRIM_400000_NS6detail17trampoline_kernelINS0_14default_configENS1_27scan_by_key_config_selectorIiyEEZZNS1_16scan_by_key_implILNS1_25lookback_scan_determinismE0ELb0ES3_N6thrust23THRUST_200600_302600_NS6detail15normal_iteratorINS9_10device_ptrIiEEEENSB_INSC_IyEEEESG_yNS9_4plusIvEENS9_8equal_toIvEEyEE10hipError_tPvRmT2_T3_T4_T5_mT6_T7_P12ihipStream_tbENKUlT_T0_E_clISt17integral_constantIbLb1EES10_IbLb0EEEEDaSW_SX_EUlSW_E_NS1_11comp_targetILNS1_3genE3ELNS1_11target_archE908ELNS1_3gpuE7ELNS1_3repE0EEENS1_30default_config_static_selectorELNS0_4arch9wavefront6targetE0EEEvT1_.has_dyn_sized_stack, 0
	.set _ZN7rocprim17ROCPRIM_400000_NS6detail17trampoline_kernelINS0_14default_configENS1_27scan_by_key_config_selectorIiyEEZZNS1_16scan_by_key_implILNS1_25lookback_scan_determinismE0ELb0ES3_N6thrust23THRUST_200600_302600_NS6detail15normal_iteratorINS9_10device_ptrIiEEEENSB_INSC_IyEEEESG_yNS9_4plusIvEENS9_8equal_toIvEEyEE10hipError_tPvRmT2_T3_T4_T5_mT6_T7_P12ihipStream_tbENKUlT_T0_E_clISt17integral_constantIbLb1EES10_IbLb0EEEEDaSW_SX_EUlSW_E_NS1_11comp_targetILNS1_3genE3ELNS1_11target_archE908ELNS1_3gpuE7ELNS1_3repE0EEENS1_30default_config_static_selectorELNS0_4arch9wavefront6targetE0EEEvT1_.has_recursion, 0
	.set _ZN7rocprim17ROCPRIM_400000_NS6detail17trampoline_kernelINS0_14default_configENS1_27scan_by_key_config_selectorIiyEEZZNS1_16scan_by_key_implILNS1_25lookback_scan_determinismE0ELb0ES3_N6thrust23THRUST_200600_302600_NS6detail15normal_iteratorINS9_10device_ptrIiEEEENSB_INSC_IyEEEESG_yNS9_4plusIvEENS9_8equal_toIvEEyEE10hipError_tPvRmT2_T3_T4_T5_mT6_T7_P12ihipStream_tbENKUlT_T0_E_clISt17integral_constantIbLb1EES10_IbLb0EEEEDaSW_SX_EUlSW_E_NS1_11comp_targetILNS1_3genE3ELNS1_11target_archE908ELNS1_3gpuE7ELNS1_3repE0EEENS1_30default_config_static_selectorELNS0_4arch9wavefront6targetE0EEEvT1_.has_indirect_call, 0
	.section	.AMDGPU.csdata,"",@progbits
; Kernel info:
; codeLenInByte = 0
; TotalNumSgprs: 0
; NumVgprs: 0
; ScratchSize: 0
; MemoryBound: 0
; FloatMode: 240
; IeeeMode: 1
; LDSByteSize: 0 bytes/workgroup (compile time only)
; SGPRBlocks: 0
; VGPRBlocks: 0
; NumSGPRsForWavesPerEU: 1
; NumVGPRsForWavesPerEU: 1
; Occupancy: 16
; WaveLimiterHint : 0
; COMPUTE_PGM_RSRC2:SCRATCH_EN: 0
; COMPUTE_PGM_RSRC2:USER_SGPR: 6
; COMPUTE_PGM_RSRC2:TRAP_HANDLER: 0
; COMPUTE_PGM_RSRC2:TGID_X_EN: 1
; COMPUTE_PGM_RSRC2:TGID_Y_EN: 0
; COMPUTE_PGM_RSRC2:TGID_Z_EN: 0
; COMPUTE_PGM_RSRC2:TIDIG_COMP_CNT: 0
	.section	.text._ZN7rocprim17ROCPRIM_400000_NS6detail17trampoline_kernelINS0_14default_configENS1_27scan_by_key_config_selectorIiyEEZZNS1_16scan_by_key_implILNS1_25lookback_scan_determinismE0ELb0ES3_N6thrust23THRUST_200600_302600_NS6detail15normal_iteratorINS9_10device_ptrIiEEEENSB_INSC_IyEEEESG_yNS9_4plusIvEENS9_8equal_toIvEEyEE10hipError_tPvRmT2_T3_T4_T5_mT6_T7_P12ihipStream_tbENKUlT_T0_E_clISt17integral_constantIbLb1EES10_IbLb0EEEEDaSW_SX_EUlSW_E_NS1_11comp_targetILNS1_3genE2ELNS1_11target_archE906ELNS1_3gpuE6ELNS1_3repE0EEENS1_30default_config_static_selectorELNS0_4arch9wavefront6targetE0EEEvT1_,"axG",@progbits,_ZN7rocprim17ROCPRIM_400000_NS6detail17trampoline_kernelINS0_14default_configENS1_27scan_by_key_config_selectorIiyEEZZNS1_16scan_by_key_implILNS1_25lookback_scan_determinismE0ELb0ES3_N6thrust23THRUST_200600_302600_NS6detail15normal_iteratorINS9_10device_ptrIiEEEENSB_INSC_IyEEEESG_yNS9_4plusIvEENS9_8equal_toIvEEyEE10hipError_tPvRmT2_T3_T4_T5_mT6_T7_P12ihipStream_tbENKUlT_T0_E_clISt17integral_constantIbLb1EES10_IbLb0EEEEDaSW_SX_EUlSW_E_NS1_11comp_targetILNS1_3genE2ELNS1_11target_archE906ELNS1_3gpuE6ELNS1_3repE0EEENS1_30default_config_static_selectorELNS0_4arch9wavefront6targetE0EEEvT1_,comdat
	.protected	_ZN7rocprim17ROCPRIM_400000_NS6detail17trampoline_kernelINS0_14default_configENS1_27scan_by_key_config_selectorIiyEEZZNS1_16scan_by_key_implILNS1_25lookback_scan_determinismE0ELb0ES3_N6thrust23THRUST_200600_302600_NS6detail15normal_iteratorINS9_10device_ptrIiEEEENSB_INSC_IyEEEESG_yNS9_4plusIvEENS9_8equal_toIvEEyEE10hipError_tPvRmT2_T3_T4_T5_mT6_T7_P12ihipStream_tbENKUlT_T0_E_clISt17integral_constantIbLb1EES10_IbLb0EEEEDaSW_SX_EUlSW_E_NS1_11comp_targetILNS1_3genE2ELNS1_11target_archE906ELNS1_3gpuE6ELNS1_3repE0EEENS1_30default_config_static_selectorELNS0_4arch9wavefront6targetE0EEEvT1_ ; -- Begin function _ZN7rocprim17ROCPRIM_400000_NS6detail17trampoline_kernelINS0_14default_configENS1_27scan_by_key_config_selectorIiyEEZZNS1_16scan_by_key_implILNS1_25lookback_scan_determinismE0ELb0ES3_N6thrust23THRUST_200600_302600_NS6detail15normal_iteratorINS9_10device_ptrIiEEEENSB_INSC_IyEEEESG_yNS9_4plusIvEENS9_8equal_toIvEEyEE10hipError_tPvRmT2_T3_T4_T5_mT6_T7_P12ihipStream_tbENKUlT_T0_E_clISt17integral_constantIbLb1EES10_IbLb0EEEEDaSW_SX_EUlSW_E_NS1_11comp_targetILNS1_3genE2ELNS1_11target_archE906ELNS1_3gpuE6ELNS1_3repE0EEENS1_30default_config_static_selectorELNS0_4arch9wavefront6targetE0EEEvT1_
	.globl	_ZN7rocprim17ROCPRIM_400000_NS6detail17trampoline_kernelINS0_14default_configENS1_27scan_by_key_config_selectorIiyEEZZNS1_16scan_by_key_implILNS1_25lookback_scan_determinismE0ELb0ES3_N6thrust23THRUST_200600_302600_NS6detail15normal_iteratorINS9_10device_ptrIiEEEENSB_INSC_IyEEEESG_yNS9_4plusIvEENS9_8equal_toIvEEyEE10hipError_tPvRmT2_T3_T4_T5_mT6_T7_P12ihipStream_tbENKUlT_T0_E_clISt17integral_constantIbLb1EES10_IbLb0EEEEDaSW_SX_EUlSW_E_NS1_11comp_targetILNS1_3genE2ELNS1_11target_archE906ELNS1_3gpuE6ELNS1_3repE0EEENS1_30default_config_static_selectorELNS0_4arch9wavefront6targetE0EEEvT1_
	.p2align	8
	.type	_ZN7rocprim17ROCPRIM_400000_NS6detail17trampoline_kernelINS0_14default_configENS1_27scan_by_key_config_selectorIiyEEZZNS1_16scan_by_key_implILNS1_25lookback_scan_determinismE0ELb0ES3_N6thrust23THRUST_200600_302600_NS6detail15normal_iteratorINS9_10device_ptrIiEEEENSB_INSC_IyEEEESG_yNS9_4plusIvEENS9_8equal_toIvEEyEE10hipError_tPvRmT2_T3_T4_T5_mT6_T7_P12ihipStream_tbENKUlT_T0_E_clISt17integral_constantIbLb1EES10_IbLb0EEEEDaSW_SX_EUlSW_E_NS1_11comp_targetILNS1_3genE2ELNS1_11target_archE906ELNS1_3gpuE6ELNS1_3repE0EEENS1_30default_config_static_selectorELNS0_4arch9wavefront6targetE0EEEvT1_,@function
_ZN7rocprim17ROCPRIM_400000_NS6detail17trampoline_kernelINS0_14default_configENS1_27scan_by_key_config_selectorIiyEEZZNS1_16scan_by_key_implILNS1_25lookback_scan_determinismE0ELb0ES3_N6thrust23THRUST_200600_302600_NS6detail15normal_iteratorINS9_10device_ptrIiEEEENSB_INSC_IyEEEESG_yNS9_4plusIvEENS9_8equal_toIvEEyEE10hipError_tPvRmT2_T3_T4_T5_mT6_T7_P12ihipStream_tbENKUlT_T0_E_clISt17integral_constantIbLb1EES10_IbLb0EEEEDaSW_SX_EUlSW_E_NS1_11comp_targetILNS1_3genE2ELNS1_11target_archE906ELNS1_3gpuE6ELNS1_3repE0EEENS1_30default_config_static_selectorELNS0_4arch9wavefront6targetE0EEEvT1_: ; @_ZN7rocprim17ROCPRIM_400000_NS6detail17trampoline_kernelINS0_14default_configENS1_27scan_by_key_config_selectorIiyEEZZNS1_16scan_by_key_implILNS1_25lookback_scan_determinismE0ELb0ES3_N6thrust23THRUST_200600_302600_NS6detail15normal_iteratorINS9_10device_ptrIiEEEENSB_INSC_IyEEEESG_yNS9_4plusIvEENS9_8equal_toIvEEyEE10hipError_tPvRmT2_T3_T4_T5_mT6_T7_P12ihipStream_tbENKUlT_T0_E_clISt17integral_constantIbLb1EES10_IbLb0EEEEDaSW_SX_EUlSW_E_NS1_11comp_targetILNS1_3genE2ELNS1_11target_archE906ELNS1_3gpuE6ELNS1_3repE0EEENS1_30default_config_static_selectorELNS0_4arch9wavefront6targetE0EEEvT1_
; %bb.0:
	.section	.rodata,"a",@progbits
	.p2align	6, 0x0
	.amdhsa_kernel _ZN7rocprim17ROCPRIM_400000_NS6detail17trampoline_kernelINS0_14default_configENS1_27scan_by_key_config_selectorIiyEEZZNS1_16scan_by_key_implILNS1_25lookback_scan_determinismE0ELb0ES3_N6thrust23THRUST_200600_302600_NS6detail15normal_iteratorINS9_10device_ptrIiEEEENSB_INSC_IyEEEESG_yNS9_4plusIvEENS9_8equal_toIvEEyEE10hipError_tPvRmT2_T3_T4_T5_mT6_T7_P12ihipStream_tbENKUlT_T0_E_clISt17integral_constantIbLb1EES10_IbLb0EEEEDaSW_SX_EUlSW_E_NS1_11comp_targetILNS1_3genE2ELNS1_11target_archE906ELNS1_3gpuE6ELNS1_3repE0EEENS1_30default_config_static_selectorELNS0_4arch9wavefront6targetE0EEEvT1_
		.amdhsa_group_segment_fixed_size 0
		.amdhsa_private_segment_fixed_size 0
		.amdhsa_kernarg_size 136
		.amdhsa_user_sgpr_count 6
		.amdhsa_user_sgpr_private_segment_buffer 1
		.amdhsa_user_sgpr_dispatch_ptr 0
		.amdhsa_user_sgpr_queue_ptr 0
		.amdhsa_user_sgpr_kernarg_segment_ptr 1
		.amdhsa_user_sgpr_dispatch_id 0
		.amdhsa_user_sgpr_flat_scratch_init 0
		.amdhsa_user_sgpr_private_segment_size 0
		.amdhsa_wavefront_size32 1
		.amdhsa_uses_dynamic_stack 0
		.amdhsa_system_sgpr_private_segment_wavefront_offset 0
		.amdhsa_system_sgpr_workgroup_id_x 1
		.amdhsa_system_sgpr_workgroup_id_y 0
		.amdhsa_system_sgpr_workgroup_id_z 0
		.amdhsa_system_sgpr_workgroup_info 0
		.amdhsa_system_vgpr_workitem_id 0
		.amdhsa_next_free_vgpr 1
		.amdhsa_next_free_sgpr 1
		.amdhsa_reserve_vcc 0
		.amdhsa_reserve_flat_scratch 0
		.amdhsa_float_round_mode_32 0
		.amdhsa_float_round_mode_16_64 0
		.amdhsa_float_denorm_mode_32 3
		.amdhsa_float_denorm_mode_16_64 3
		.amdhsa_dx10_clamp 1
		.amdhsa_ieee_mode 1
		.amdhsa_fp16_overflow 0
		.amdhsa_workgroup_processor_mode 1
		.amdhsa_memory_ordered 1
		.amdhsa_forward_progress 1
		.amdhsa_shared_vgpr_count 0
		.amdhsa_exception_fp_ieee_invalid_op 0
		.amdhsa_exception_fp_denorm_src 0
		.amdhsa_exception_fp_ieee_div_zero 0
		.amdhsa_exception_fp_ieee_overflow 0
		.amdhsa_exception_fp_ieee_underflow 0
		.amdhsa_exception_fp_ieee_inexact 0
		.amdhsa_exception_int_div_zero 0
	.end_amdhsa_kernel
	.section	.text._ZN7rocprim17ROCPRIM_400000_NS6detail17trampoline_kernelINS0_14default_configENS1_27scan_by_key_config_selectorIiyEEZZNS1_16scan_by_key_implILNS1_25lookback_scan_determinismE0ELb0ES3_N6thrust23THRUST_200600_302600_NS6detail15normal_iteratorINS9_10device_ptrIiEEEENSB_INSC_IyEEEESG_yNS9_4plusIvEENS9_8equal_toIvEEyEE10hipError_tPvRmT2_T3_T4_T5_mT6_T7_P12ihipStream_tbENKUlT_T0_E_clISt17integral_constantIbLb1EES10_IbLb0EEEEDaSW_SX_EUlSW_E_NS1_11comp_targetILNS1_3genE2ELNS1_11target_archE906ELNS1_3gpuE6ELNS1_3repE0EEENS1_30default_config_static_selectorELNS0_4arch9wavefront6targetE0EEEvT1_,"axG",@progbits,_ZN7rocprim17ROCPRIM_400000_NS6detail17trampoline_kernelINS0_14default_configENS1_27scan_by_key_config_selectorIiyEEZZNS1_16scan_by_key_implILNS1_25lookback_scan_determinismE0ELb0ES3_N6thrust23THRUST_200600_302600_NS6detail15normal_iteratorINS9_10device_ptrIiEEEENSB_INSC_IyEEEESG_yNS9_4plusIvEENS9_8equal_toIvEEyEE10hipError_tPvRmT2_T3_T4_T5_mT6_T7_P12ihipStream_tbENKUlT_T0_E_clISt17integral_constantIbLb1EES10_IbLb0EEEEDaSW_SX_EUlSW_E_NS1_11comp_targetILNS1_3genE2ELNS1_11target_archE906ELNS1_3gpuE6ELNS1_3repE0EEENS1_30default_config_static_selectorELNS0_4arch9wavefront6targetE0EEEvT1_,comdat
.Lfunc_end1203:
	.size	_ZN7rocprim17ROCPRIM_400000_NS6detail17trampoline_kernelINS0_14default_configENS1_27scan_by_key_config_selectorIiyEEZZNS1_16scan_by_key_implILNS1_25lookback_scan_determinismE0ELb0ES3_N6thrust23THRUST_200600_302600_NS6detail15normal_iteratorINS9_10device_ptrIiEEEENSB_INSC_IyEEEESG_yNS9_4plusIvEENS9_8equal_toIvEEyEE10hipError_tPvRmT2_T3_T4_T5_mT6_T7_P12ihipStream_tbENKUlT_T0_E_clISt17integral_constantIbLb1EES10_IbLb0EEEEDaSW_SX_EUlSW_E_NS1_11comp_targetILNS1_3genE2ELNS1_11target_archE906ELNS1_3gpuE6ELNS1_3repE0EEENS1_30default_config_static_selectorELNS0_4arch9wavefront6targetE0EEEvT1_, .Lfunc_end1203-_ZN7rocprim17ROCPRIM_400000_NS6detail17trampoline_kernelINS0_14default_configENS1_27scan_by_key_config_selectorIiyEEZZNS1_16scan_by_key_implILNS1_25lookback_scan_determinismE0ELb0ES3_N6thrust23THRUST_200600_302600_NS6detail15normal_iteratorINS9_10device_ptrIiEEEENSB_INSC_IyEEEESG_yNS9_4plusIvEENS9_8equal_toIvEEyEE10hipError_tPvRmT2_T3_T4_T5_mT6_T7_P12ihipStream_tbENKUlT_T0_E_clISt17integral_constantIbLb1EES10_IbLb0EEEEDaSW_SX_EUlSW_E_NS1_11comp_targetILNS1_3genE2ELNS1_11target_archE906ELNS1_3gpuE6ELNS1_3repE0EEENS1_30default_config_static_selectorELNS0_4arch9wavefront6targetE0EEEvT1_
                                        ; -- End function
	.set _ZN7rocprim17ROCPRIM_400000_NS6detail17trampoline_kernelINS0_14default_configENS1_27scan_by_key_config_selectorIiyEEZZNS1_16scan_by_key_implILNS1_25lookback_scan_determinismE0ELb0ES3_N6thrust23THRUST_200600_302600_NS6detail15normal_iteratorINS9_10device_ptrIiEEEENSB_INSC_IyEEEESG_yNS9_4plusIvEENS9_8equal_toIvEEyEE10hipError_tPvRmT2_T3_T4_T5_mT6_T7_P12ihipStream_tbENKUlT_T0_E_clISt17integral_constantIbLb1EES10_IbLb0EEEEDaSW_SX_EUlSW_E_NS1_11comp_targetILNS1_3genE2ELNS1_11target_archE906ELNS1_3gpuE6ELNS1_3repE0EEENS1_30default_config_static_selectorELNS0_4arch9wavefront6targetE0EEEvT1_.num_vgpr, 0
	.set _ZN7rocprim17ROCPRIM_400000_NS6detail17trampoline_kernelINS0_14default_configENS1_27scan_by_key_config_selectorIiyEEZZNS1_16scan_by_key_implILNS1_25lookback_scan_determinismE0ELb0ES3_N6thrust23THRUST_200600_302600_NS6detail15normal_iteratorINS9_10device_ptrIiEEEENSB_INSC_IyEEEESG_yNS9_4plusIvEENS9_8equal_toIvEEyEE10hipError_tPvRmT2_T3_T4_T5_mT6_T7_P12ihipStream_tbENKUlT_T0_E_clISt17integral_constantIbLb1EES10_IbLb0EEEEDaSW_SX_EUlSW_E_NS1_11comp_targetILNS1_3genE2ELNS1_11target_archE906ELNS1_3gpuE6ELNS1_3repE0EEENS1_30default_config_static_selectorELNS0_4arch9wavefront6targetE0EEEvT1_.num_agpr, 0
	.set _ZN7rocprim17ROCPRIM_400000_NS6detail17trampoline_kernelINS0_14default_configENS1_27scan_by_key_config_selectorIiyEEZZNS1_16scan_by_key_implILNS1_25lookback_scan_determinismE0ELb0ES3_N6thrust23THRUST_200600_302600_NS6detail15normal_iteratorINS9_10device_ptrIiEEEENSB_INSC_IyEEEESG_yNS9_4plusIvEENS9_8equal_toIvEEyEE10hipError_tPvRmT2_T3_T4_T5_mT6_T7_P12ihipStream_tbENKUlT_T0_E_clISt17integral_constantIbLb1EES10_IbLb0EEEEDaSW_SX_EUlSW_E_NS1_11comp_targetILNS1_3genE2ELNS1_11target_archE906ELNS1_3gpuE6ELNS1_3repE0EEENS1_30default_config_static_selectorELNS0_4arch9wavefront6targetE0EEEvT1_.numbered_sgpr, 0
	.set _ZN7rocprim17ROCPRIM_400000_NS6detail17trampoline_kernelINS0_14default_configENS1_27scan_by_key_config_selectorIiyEEZZNS1_16scan_by_key_implILNS1_25lookback_scan_determinismE0ELb0ES3_N6thrust23THRUST_200600_302600_NS6detail15normal_iteratorINS9_10device_ptrIiEEEENSB_INSC_IyEEEESG_yNS9_4plusIvEENS9_8equal_toIvEEyEE10hipError_tPvRmT2_T3_T4_T5_mT6_T7_P12ihipStream_tbENKUlT_T0_E_clISt17integral_constantIbLb1EES10_IbLb0EEEEDaSW_SX_EUlSW_E_NS1_11comp_targetILNS1_3genE2ELNS1_11target_archE906ELNS1_3gpuE6ELNS1_3repE0EEENS1_30default_config_static_selectorELNS0_4arch9wavefront6targetE0EEEvT1_.num_named_barrier, 0
	.set _ZN7rocprim17ROCPRIM_400000_NS6detail17trampoline_kernelINS0_14default_configENS1_27scan_by_key_config_selectorIiyEEZZNS1_16scan_by_key_implILNS1_25lookback_scan_determinismE0ELb0ES3_N6thrust23THRUST_200600_302600_NS6detail15normal_iteratorINS9_10device_ptrIiEEEENSB_INSC_IyEEEESG_yNS9_4plusIvEENS9_8equal_toIvEEyEE10hipError_tPvRmT2_T3_T4_T5_mT6_T7_P12ihipStream_tbENKUlT_T0_E_clISt17integral_constantIbLb1EES10_IbLb0EEEEDaSW_SX_EUlSW_E_NS1_11comp_targetILNS1_3genE2ELNS1_11target_archE906ELNS1_3gpuE6ELNS1_3repE0EEENS1_30default_config_static_selectorELNS0_4arch9wavefront6targetE0EEEvT1_.private_seg_size, 0
	.set _ZN7rocprim17ROCPRIM_400000_NS6detail17trampoline_kernelINS0_14default_configENS1_27scan_by_key_config_selectorIiyEEZZNS1_16scan_by_key_implILNS1_25lookback_scan_determinismE0ELb0ES3_N6thrust23THRUST_200600_302600_NS6detail15normal_iteratorINS9_10device_ptrIiEEEENSB_INSC_IyEEEESG_yNS9_4plusIvEENS9_8equal_toIvEEyEE10hipError_tPvRmT2_T3_T4_T5_mT6_T7_P12ihipStream_tbENKUlT_T0_E_clISt17integral_constantIbLb1EES10_IbLb0EEEEDaSW_SX_EUlSW_E_NS1_11comp_targetILNS1_3genE2ELNS1_11target_archE906ELNS1_3gpuE6ELNS1_3repE0EEENS1_30default_config_static_selectorELNS0_4arch9wavefront6targetE0EEEvT1_.uses_vcc, 0
	.set _ZN7rocprim17ROCPRIM_400000_NS6detail17trampoline_kernelINS0_14default_configENS1_27scan_by_key_config_selectorIiyEEZZNS1_16scan_by_key_implILNS1_25lookback_scan_determinismE0ELb0ES3_N6thrust23THRUST_200600_302600_NS6detail15normal_iteratorINS9_10device_ptrIiEEEENSB_INSC_IyEEEESG_yNS9_4plusIvEENS9_8equal_toIvEEyEE10hipError_tPvRmT2_T3_T4_T5_mT6_T7_P12ihipStream_tbENKUlT_T0_E_clISt17integral_constantIbLb1EES10_IbLb0EEEEDaSW_SX_EUlSW_E_NS1_11comp_targetILNS1_3genE2ELNS1_11target_archE906ELNS1_3gpuE6ELNS1_3repE0EEENS1_30default_config_static_selectorELNS0_4arch9wavefront6targetE0EEEvT1_.uses_flat_scratch, 0
	.set _ZN7rocprim17ROCPRIM_400000_NS6detail17trampoline_kernelINS0_14default_configENS1_27scan_by_key_config_selectorIiyEEZZNS1_16scan_by_key_implILNS1_25lookback_scan_determinismE0ELb0ES3_N6thrust23THRUST_200600_302600_NS6detail15normal_iteratorINS9_10device_ptrIiEEEENSB_INSC_IyEEEESG_yNS9_4plusIvEENS9_8equal_toIvEEyEE10hipError_tPvRmT2_T3_T4_T5_mT6_T7_P12ihipStream_tbENKUlT_T0_E_clISt17integral_constantIbLb1EES10_IbLb0EEEEDaSW_SX_EUlSW_E_NS1_11comp_targetILNS1_3genE2ELNS1_11target_archE906ELNS1_3gpuE6ELNS1_3repE0EEENS1_30default_config_static_selectorELNS0_4arch9wavefront6targetE0EEEvT1_.has_dyn_sized_stack, 0
	.set _ZN7rocprim17ROCPRIM_400000_NS6detail17trampoline_kernelINS0_14default_configENS1_27scan_by_key_config_selectorIiyEEZZNS1_16scan_by_key_implILNS1_25lookback_scan_determinismE0ELb0ES3_N6thrust23THRUST_200600_302600_NS6detail15normal_iteratorINS9_10device_ptrIiEEEENSB_INSC_IyEEEESG_yNS9_4plusIvEENS9_8equal_toIvEEyEE10hipError_tPvRmT2_T3_T4_T5_mT6_T7_P12ihipStream_tbENKUlT_T0_E_clISt17integral_constantIbLb1EES10_IbLb0EEEEDaSW_SX_EUlSW_E_NS1_11comp_targetILNS1_3genE2ELNS1_11target_archE906ELNS1_3gpuE6ELNS1_3repE0EEENS1_30default_config_static_selectorELNS0_4arch9wavefront6targetE0EEEvT1_.has_recursion, 0
	.set _ZN7rocprim17ROCPRIM_400000_NS6detail17trampoline_kernelINS0_14default_configENS1_27scan_by_key_config_selectorIiyEEZZNS1_16scan_by_key_implILNS1_25lookback_scan_determinismE0ELb0ES3_N6thrust23THRUST_200600_302600_NS6detail15normal_iteratorINS9_10device_ptrIiEEEENSB_INSC_IyEEEESG_yNS9_4plusIvEENS9_8equal_toIvEEyEE10hipError_tPvRmT2_T3_T4_T5_mT6_T7_P12ihipStream_tbENKUlT_T0_E_clISt17integral_constantIbLb1EES10_IbLb0EEEEDaSW_SX_EUlSW_E_NS1_11comp_targetILNS1_3genE2ELNS1_11target_archE906ELNS1_3gpuE6ELNS1_3repE0EEENS1_30default_config_static_selectorELNS0_4arch9wavefront6targetE0EEEvT1_.has_indirect_call, 0
	.section	.AMDGPU.csdata,"",@progbits
; Kernel info:
; codeLenInByte = 0
; TotalNumSgprs: 0
; NumVgprs: 0
; ScratchSize: 0
; MemoryBound: 0
; FloatMode: 240
; IeeeMode: 1
; LDSByteSize: 0 bytes/workgroup (compile time only)
; SGPRBlocks: 0
; VGPRBlocks: 0
; NumSGPRsForWavesPerEU: 1
; NumVGPRsForWavesPerEU: 1
; Occupancy: 16
; WaveLimiterHint : 0
; COMPUTE_PGM_RSRC2:SCRATCH_EN: 0
; COMPUTE_PGM_RSRC2:USER_SGPR: 6
; COMPUTE_PGM_RSRC2:TRAP_HANDLER: 0
; COMPUTE_PGM_RSRC2:TGID_X_EN: 1
; COMPUTE_PGM_RSRC2:TGID_Y_EN: 0
; COMPUTE_PGM_RSRC2:TGID_Z_EN: 0
; COMPUTE_PGM_RSRC2:TIDIG_COMP_CNT: 0
	.section	.text._ZN7rocprim17ROCPRIM_400000_NS6detail17trampoline_kernelINS0_14default_configENS1_27scan_by_key_config_selectorIiyEEZZNS1_16scan_by_key_implILNS1_25lookback_scan_determinismE0ELb0ES3_N6thrust23THRUST_200600_302600_NS6detail15normal_iteratorINS9_10device_ptrIiEEEENSB_INSC_IyEEEESG_yNS9_4plusIvEENS9_8equal_toIvEEyEE10hipError_tPvRmT2_T3_T4_T5_mT6_T7_P12ihipStream_tbENKUlT_T0_E_clISt17integral_constantIbLb1EES10_IbLb0EEEEDaSW_SX_EUlSW_E_NS1_11comp_targetILNS1_3genE10ELNS1_11target_archE1200ELNS1_3gpuE4ELNS1_3repE0EEENS1_30default_config_static_selectorELNS0_4arch9wavefront6targetE0EEEvT1_,"axG",@progbits,_ZN7rocprim17ROCPRIM_400000_NS6detail17trampoline_kernelINS0_14default_configENS1_27scan_by_key_config_selectorIiyEEZZNS1_16scan_by_key_implILNS1_25lookback_scan_determinismE0ELb0ES3_N6thrust23THRUST_200600_302600_NS6detail15normal_iteratorINS9_10device_ptrIiEEEENSB_INSC_IyEEEESG_yNS9_4plusIvEENS9_8equal_toIvEEyEE10hipError_tPvRmT2_T3_T4_T5_mT6_T7_P12ihipStream_tbENKUlT_T0_E_clISt17integral_constantIbLb1EES10_IbLb0EEEEDaSW_SX_EUlSW_E_NS1_11comp_targetILNS1_3genE10ELNS1_11target_archE1200ELNS1_3gpuE4ELNS1_3repE0EEENS1_30default_config_static_selectorELNS0_4arch9wavefront6targetE0EEEvT1_,comdat
	.protected	_ZN7rocprim17ROCPRIM_400000_NS6detail17trampoline_kernelINS0_14default_configENS1_27scan_by_key_config_selectorIiyEEZZNS1_16scan_by_key_implILNS1_25lookback_scan_determinismE0ELb0ES3_N6thrust23THRUST_200600_302600_NS6detail15normal_iteratorINS9_10device_ptrIiEEEENSB_INSC_IyEEEESG_yNS9_4plusIvEENS9_8equal_toIvEEyEE10hipError_tPvRmT2_T3_T4_T5_mT6_T7_P12ihipStream_tbENKUlT_T0_E_clISt17integral_constantIbLb1EES10_IbLb0EEEEDaSW_SX_EUlSW_E_NS1_11comp_targetILNS1_3genE10ELNS1_11target_archE1200ELNS1_3gpuE4ELNS1_3repE0EEENS1_30default_config_static_selectorELNS0_4arch9wavefront6targetE0EEEvT1_ ; -- Begin function _ZN7rocprim17ROCPRIM_400000_NS6detail17trampoline_kernelINS0_14default_configENS1_27scan_by_key_config_selectorIiyEEZZNS1_16scan_by_key_implILNS1_25lookback_scan_determinismE0ELb0ES3_N6thrust23THRUST_200600_302600_NS6detail15normal_iteratorINS9_10device_ptrIiEEEENSB_INSC_IyEEEESG_yNS9_4plusIvEENS9_8equal_toIvEEyEE10hipError_tPvRmT2_T3_T4_T5_mT6_T7_P12ihipStream_tbENKUlT_T0_E_clISt17integral_constantIbLb1EES10_IbLb0EEEEDaSW_SX_EUlSW_E_NS1_11comp_targetILNS1_3genE10ELNS1_11target_archE1200ELNS1_3gpuE4ELNS1_3repE0EEENS1_30default_config_static_selectorELNS0_4arch9wavefront6targetE0EEEvT1_
	.globl	_ZN7rocprim17ROCPRIM_400000_NS6detail17trampoline_kernelINS0_14default_configENS1_27scan_by_key_config_selectorIiyEEZZNS1_16scan_by_key_implILNS1_25lookback_scan_determinismE0ELb0ES3_N6thrust23THRUST_200600_302600_NS6detail15normal_iteratorINS9_10device_ptrIiEEEENSB_INSC_IyEEEESG_yNS9_4plusIvEENS9_8equal_toIvEEyEE10hipError_tPvRmT2_T3_T4_T5_mT6_T7_P12ihipStream_tbENKUlT_T0_E_clISt17integral_constantIbLb1EES10_IbLb0EEEEDaSW_SX_EUlSW_E_NS1_11comp_targetILNS1_3genE10ELNS1_11target_archE1200ELNS1_3gpuE4ELNS1_3repE0EEENS1_30default_config_static_selectorELNS0_4arch9wavefront6targetE0EEEvT1_
	.p2align	8
	.type	_ZN7rocprim17ROCPRIM_400000_NS6detail17trampoline_kernelINS0_14default_configENS1_27scan_by_key_config_selectorIiyEEZZNS1_16scan_by_key_implILNS1_25lookback_scan_determinismE0ELb0ES3_N6thrust23THRUST_200600_302600_NS6detail15normal_iteratorINS9_10device_ptrIiEEEENSB_INSC_IyEEEESG_yNS9_4plusIvEENS9_8equal_toIvEEyEE10hipError_tPvRmT2_T3_T4_T5_mT6_T7_P12ihipStream_tbENKUlT_T0_E_clISt17integral_constantIbLb1EES10_IbLb0EEEEDaSW_SX_EUlSW_E_NS1_11comp_targetILNS1_3genE10ELNS1_11target_archE1200ELNS1_3gpuE4ELNS1_3repE0EEENS1_30default_config_static_selectorELNS0_4arch9wavefront6targetE0EEEvT1_,@function
_ZN7rocprim17ROCPRIM_400000_NS6detail17trampoline_kernelINS0_14default_configENS1_27scan_by_key_config_selectorIiyEEZZNS1_16scan_by_key_implILNS1_25lookback_scan_determinismE0ELb0ES3_N6thrust23THRUST_200600_302600_NS6detail15normal_iteratorINS9_10device_ptrIiEEEENSB_INSC_IyEEEESG_yNS9_4plusIvEENS9_8equal_toIvEEyEE10hipError_tPvRmT2_T3_T4_T5_mT6_T7_P12ihipStream_tbENKUlT_T0_E_clISt17integral_constantIbLb1EES10_IbLb0EEEEDaSW_SX_EUlSW_E_NS1_11comp_targetILNS1_3genE10ELNS1_11target_archE1200ELNS1_3gpuE4ELNS1_3repE0EEENS1_30default_config_static_selectorELNS0_4arch9wavefront6targetE0EEEvT1_: ; @_ZN7rocprim17ROCPRIM_400000_NS6detail17trampoline_kernelINS0_14default_configENS1_27scan_by_key_config_selectorIiyEEZZNS1_16scan_by_key_implILNS1_25lookback_scan_determinismE0ELb0ES3_N6thrust23THRUST_200600_302600_NS6detail15normal_iteratorINS9_10device_ptrIiEEEENSB_INSC_IyEEEESG_yNS9_4plusIvEENS9_8equal_toIvEEyEE10hipError_tPvRmT2_T3_T4_T5_mT6_T7_P12ihipStream_tbENKUlT_T0_E_clISt17integral_constantIbLb1EES10_IbLb0EEEEDaSW_SX_EUlSW_E_NS1_11comp_targetILNS1_3genE10ELNS1_11target_archE1200ELNS1_3gpuE4ELNS1_3repE0EEENS1_30default_config_static_selectorELNS0_4arch9wavefront6targetE0EEEvT1_
; %bb.0:
	.section	.rodata,"a",@progbits
	.p2align	6, 0x0
	.amdhsa_kernel _ZN7rocprim17ROCPRIM_400000_NS6detail17trampoline_kernelINS0_14default_configENS1_27scan_by_key_config_selectorIiyEEZZNS1_16scan_by_key_implILNS1_25lookback_scan_determinismE0ELb0ES3_N6thrust23THRUST_200600_302600_NS6detail15normal_iteratorINS9_10device_ptrIiEEEENSB_INSC_IyEEEESG_yNS9_4plusIvEENS9_8equal_toIvEEyEE10hipError_tPvRmT2_T3_T4_T5_mT6_T7_P12ihipStream_tbENKUlT_T0_E_clISt17integral_constantIbLb1EES10_IbLb0EEEEDaSW_SX_EUlSW_E_NS1_11comp_targetILNS1_3genE10ELNS1_11target_archE1200ELNS1_3gpuE4ELNS1_3repE0EEENS1_30default_config_static_selectorELNS0_4arch9wavefront6targetE0EEEvT1_
		.amdhsa_group_segment_fixed_size 0
		.amdhsa_private_segment_fixed_size 0
		.amdhsa_kernarg_size 136
		.amdhsa_user_sgpr_count 6
		.amdhsa_user_sgpr_private_segment_buffer 1
		.amdhsa_user_sgpr_dispatch_ptr 0
		.amdhsa_user_sgpr_queue_ptr 0
		.amdhsa_user_sgpr_kernarg_segment_ptr 1
		.amdhsa_user_sgpr_dispatch_id 0
		.amdhsa_user_sgpr_flat_scratch_init 0
		.amdhsa_user_sgpr_private_segment_size 0
		.amdhsa_wavefront_size32 1
		.amdhsa_uses_dynamic_stack 0
		.amdhsa_system_sgpr_private_segment_wavefront_offset 0
		.amdhsa_system_sgpr_workgroup_id_x 1
		.amdhsa_system_sgpr_workgroup_id_y 0
		.amdhsa_system_sgpr_workgroup_id_z 0
		.amdhsa_system_sgpr_workgroup_info 0
		.amdhsa_system_vgpr_workitem_id 0
		.amdhsa_next_free_vgpr 1
		.amdhsa_next_free_sgpr 1
		.amdhsa_reserve_vcc 0
		.amdhsa_reserve_flat_scratch 0
		.amdhsa_float_round_mode_32 0
		.amdhsa_float_round_mode_16_64 0
		.amdhsa_float_denorm_mode_32 3
		.amdhsa_float_denorm_mode_16_64 3
		.amdhsa_dx10_clamp 1
		.amdhsa_ieee_mode 1
		.amdhsa_fp16_overflow 0
		.amdhsa_workgroup_processor_mode 1
		.amdhsa_memory_ordered 1
		.amdhsa_forward_progress 1
		.amdhsa_shared_vgpr_count 0
		.amdhsa_exception_fp_ieee_invalid_op 0
		.amdhsa_exception_fp_denorm_src 0
		.amdhsa_exception_fp_ieee_div_zero 0
		.amdhsa_exception_fp_ieee_overflow 0
		.amdhsa_exception_fp_ieee_underflow 0
		.amdhsa_exception_fp_ieee_inexact 0
		.amdhsa_exception_int_div_zero 0
	.end_amdhsa_kernel
	.section	.text._ZN7rocprim17ROCPRIM_400000_NS6detail17trampoline_kernelINS0_14default_configENS1_27scan_by_key_config_selectorIiyEEZZNS1_16scan_by_key_implILNS1_25lookback_scan_determinismE0ELb0ES3_N6thrust23THRUST_200600_302600_NS6detail15normal_iteratorINS9_10device_ptrIiEEEENSB_INSC_IyEEEESG_yNS9_4plusIvEENS9_8equal_toIvEEyEE10hipError_tPvRmT2_T3_T4_T5_mT6_T7_P12ihipStream_tbENKUlT_T0_E_clISt17integral_constantIbLb1EES10_IbLb0EEEEDaSW_SX_EUlSW_E_NS1_11comp_targetILNS1_3genE10ELNS1_11target_archE1200ELNS1_3gpuE4ELNS1_3repE0EEENS1_30default_config_static_selectorELNS0_4arch9wavefront6targetE0EEEvT1_,"axG",@progbits,_ZN7rocprim17ROCPRIM_400000_NS6detail17trampoline_kernelINS0_14default_configENS1_27scan_by_key_config_selectorIiyEEZZNS1_16scan_by_key_implILNS1_25lookback_scan_determinismE0ELb0ES3_N6thrust23THRUST_200600_302600_NS6detail15normal_iteratorINS9_10device_ptrIiEEEENSB_INSC_IyEEEESG_yNS9_4plusIvEENS9_8equal_toIvEEyEE10hipError_tPvRmT2_T3_T4_T5_mT6_T7_P12ihipStream_tbENKUlT_T0_E_clISt17integral_constantIbLb1EES10_IbLb0EEEEDaSW_SX_EUlSW_E_NS1_11comp_targetILNS1_3genE10ELNS1_11target_archE1200ELNS1_3gpuE4ELNS1_3repE0EEENS1_30default_config_static_selectorELNS0_4arch9wavefront6targetE0EEEvT1_,comdat
.Lfunc_end1204:
	.size	_ZN7rocprim17ROCPRIM_400000_NS6detail17trampoline_kernelINS0_14default_configENS1_27scan_by_key_config_selectorIiyEEZZNS1_16scan_by_key_implILNS1_25lookback_scan_determinismE0ELb0ES3_N6thrust23THRUST_200600_302600_NS6detail15normal_iteratorINS9_10device_ptrIiEEEENSB_INSC_IyEEEESG_yNS9_4plusIvEENS9_8equal_toIvEEyEE10hipError_tPvRmT2_T3_T4_T5_mT6_T7_P12ihipStream_tbENKUlT_T0_E_clISt17integral_constantIbLb1EES10_IbLb0EEEEDaSW_SX_EUlSW_E_NS1_11comp_targetILNS1_3genE10ELNS1_11target_archE1200ELNS1_3gpuE4ELNS1_3repE0EEENS1_30default_config_static_selectorELNS0_4arch9wavefront6targetE0EEEvT1_, .Lfunc_end1204-_ZN7rocprim17ROCPRIM_400000_NS6detail17trampoline_kernelINS0_14default_configENS1_27scan_by_key_config_selectorIiyEEZZNS1_16scan_by_key_implILNS1_25lookback_scan_determinismE0ELb0ES3_N6thrust23THRUST_200600_302600_NS6detail15normal_iteratorINS9_10device_ptrIiEEEENSB_INSC_IyEEEESG_yNS9_4plusIvEENS9_8equal_toIvEEyEE10hipError_tPvRmT2_T3_T4_T5_mT6_T7_P12ihipStream_tbENKUlT_T0_E_clISt17integral_constantIbLb1EES10_IbLb0EEEEDaSW_SX_EUlSW_E_NS1_11comp_targetILNS1_3genE10ELNS1_11target_archE1200ELNS1_3gpuE4ELNS1_3repE0EEENS1_30default_config_static_selectorELNS0_4arch9wavefront6targetE0EEEvT1_
                                        ; -- End function
	.set _ZN7rocprim17ROCPRIM_400000_NS6detail17trampoline_kernelINS0_14default_configENS1_27scan_by_key_config_selectorIiyEEZZNS1_16scan_by_key_implILNS1_25lookback_scan_determinismE0ELb0ES3_N6thrust23THRUST_200600_302600_NS6detail15normal_iteratorINS9_10device_ptrIiEEEENSB_INSC_IyEEEESG_yNS9_4plusIvEENS9_8equal_toIvEEyEE10hipError_tPvRmT2_T3_T4_T5_mT6_T7_P12ihipStream_tbENKUlT_T0_E_clISt17integral_constantIbLb1EES10_IbLb0EEEEDaSW_SX_EUlSW_E_NS1_11comp_targetILNS1_3genE10ELNS1_11target_archE1200ELNS1_3gpuE4ELNS1_3repE0EEENS1_30default_config_static_selectorELNS0_4arch9wavefront6targetE0EEEvT1_.num_vgpr, 0
	.set _ZN7rocprim17ROCPRIM_400000_NS6detail17trampoline_kernelINS0_14default_configENS1_27scan_by_key_config_selectorIiyEEZZNS1_16scan_by_key_implILNS1_25lookback_scan_determinismE0ELb0ES3_N6thrust23THRUST_200600_302600_NS6detail15normal_iteratorINS9_10device_ptrIiEEEENSB_INSC_IyEEEESG_yNS9_4plusIvEENS9_8equal_toIvEEyEE10hipError_tPvRmT2_T3_T4_T5_mT6_T7_P12ihipStream_tbENKUlT_T0_E_clISt17integral_constantIbLb1EES10_IbLb0EEEEDaSW_SX_EUlSW_E_NS1_11comp_targetILNS1_3genE10ELNS1_11target_archE1200ELNS1_3gpuE4ELNS1_3repE0EEENS1_30default_config_static_selectorELNS0_4arch9wavefront6targetE0EEEvT1_.num_agpr, 0
	.set _ZN7rocprim17ROCPRIM_400000_NS6detail17trampoline_kernelINS0_14default_configENS1_27scan_by_key_config_selectorIiyEEZZNS1_16scan_by_key_implILNS1_25lookback_scan_determinismE0ELb0ES3_N6thrust23THRUST_200600_302600_NS6detail15normal_iteratorINS9_10device_ptrIiEEEENSB_INSC_IyEEEESG_yNS9_4plusIvEENS9_8equal_toIvEEyEE10hipError_tPvRmT2_T3_T4_T5_mT6_T7_P12ihipStream_tbENKUlT_T0_E_clISt17integral_constantIbLb1EES10_IbLb0EEEEDaSW_SX_EUlSW_E_NS1_11comp_targetILNS1_3genE10ELNS1_11target_archE1200ELNS1_3gpuE4ELNS1_3repE0EEENS1_30default_config_static_selectorELNS0_4arch9wavefront6targetE0EEEvT1_.numbered_sgpr, 0
	.set _ZN7rocprim17ROCPRIM_400000_NS6detail17trampoline_kernelINS0_14default_configENS1_27scan_by_key_config_selectorIiyEEZZNS1_16scan_by_key_implILNS1_25lookback_scan_determinismE0ELb0ES3_N6thrust23THRUST_200600_302600_NS6detail15normal_iteratorINS9_10device_ptrIiEEEENSB_INSC_IyEEEESG_yNS9_4plusIvEENS9_8equal_toIvEEyEE10hipError_tPvRmT2_T3_T4_T5_mT6_T7_P12ihipStream_tbENKUlT_T0_E_clISt17integral_constantIbLb1EES10_IbLb0EEEEDaSW_SX_EUlSW_E_NS1_11comp_targetILNS1_3genE10ELNS1_11target_archE1200ELNS1_3gpuE4ELNS1_3repE0EEENS1_30default_config_static_selectorELNS0_4arch9wavefront6targetE0EEEvT1_.num_named_barrier, 0
	.set _ZN7rocprim17ROCPRIM_400000_NS6detail17trampoline_kernelINS0_14default_configENS1_27scan_by_key_config_selectorIiyEEZZNS1_16scan_by_key_implILNS1_25lookback_scan_determinismE0ELb0ES3_N6thrust23THRUST_200600_302600_NS6detail15normal_iteratorINS9_10device_ptrIiEEEENSB_INSC_IyEEEESG_yNS9_4plusIvEENS9_8equal_toIvEEyEE10hipError_tPvRmT2_T3_T4_T5_mT6_T7_P12ihipStream_tbENKUlT_T0_E_clISt17integral_constantIbLb1EES10_IbLb0EEEEDaSW_SX_EUlSW_E_NS1_11comp_targetILNS1_3genE10ELNS1_11target_archE1200ELNS1_3gpuE4ELNS1_3repE0EEENS1_30default_config_static_selectorELNS0_4arch9wavefront6targetE0EEEvT1_.private_seg_size, 0
	.set _ZN7rocprim17ROCPRIM_400000_NS6detail17trampoline_kernelINS0_14default_configENS1_27scan_by_key_config_selectorIiyEEZZNS1_16scan_by_key_implILNS1_25lookback_scan_determinismE0ELb0ES3_N6thrust23THRUST_200600_302600_NS6detail15normal_iteratorINS9_10device_ptrIiEEEENSB_INSC_IyEEEESG_yNS9_4plusIvEENS9_8equal_toIvEEyEE10hipError_tPvRmT2_T3_T4_T5_mT6_T7_P12ihipStream_tbENKUlT_T0_E_clISt17integral_constantIbLb1EES10_IbLb0EEEEDaSW_SX_EUlSW_E_NS1_11comp_targetILNS1_3genE10ELNS1_11target_archE1200ELNS1_3gpuE4ELNS1_3repE0EEENS1_30default_config_static_selectorELNS0_4arch9wavefront6targetE0EEEvT1_.uses_vcc, 0
	.set _ZN7rocprim17ROCPRIM_400000_NS6detail17trampoline_kernelINS0_14default_configENS1_27scan_by_key_config_selectorIiyEEZZNS1_16scan_by_key_implILNS1_25lookback_scan_determinismE0ELb0ES3_N6thrust23THRUST_200600_302600_NS6detail15normal_iteratorINS9_10device_ptrIiEEEENSB_INSC_IyEEEESG_yNS9_4plusIvEENS9_8equal_toIvEEyEE10hipError_tPvRmT2_T3_T4_T5_mT6_T7_P12ihipStream_tbENKUlT_T0_E_clISt17integral_constantIbLb1EES10_IbLb0EEEEDaSW_SX_EUlSW_E_NS1_11comp_targetILNS1_3genE10ELNS1_11target_archE1200ELNS1_3gpuE4ELNS1_3repE0EEENS1_30default_config_static_selectorELNS0_4arch9wavefront6targetE0EEEvT1_.uses_flat_scratch, 0
	.set _ZN7rocprim17ROCPRIM_400000_NS6detail17trampoline_kernelINS0_14default_configENS1_27scan_by_key_config_selectorIiyEEZZNS1_16scan_by_key_implILNS1_25lookback_scan_determinismE0ELb0ES3_N6thrust23THRUST_200600_302600_NS6detail15normal_iteratorINS9_10device_ptrIiEEEENSB_INSC_IyEEEESG_yNS9_4plusIvEENS9_8equal_toIvEEyEE10hipError_tPvRmT2_T3_T4_T5_mT6_T7_P12ihipStream_tbENKUlT_T0_E_clISt17integral_constantIbLb1EES10_IbLb0EEEEDaSW_SX_EUlSW_E_NS1_11comp_targetILNS1_3genE10ELNS1_11target_archE1200ELNS1_3gpuE4ELNS1_3repE0EEENS1_30default_config_static_selectorELNS0_4arch9wavefront6targetE0EEEvT1_.has_dyn_sized_stack, 0
	.set _ZN7rocprim17ROCPRIM_400000_NS6detail17trampoline_kernelINS0_14default_configENS1_27scan_by_key_config_selectorIiyEEZZNS1_16scan_by_key_implILNS1_25lookback_scan_determinismE0ELb0ES3_N6thrust23THRUST_200600_302600_NS6detail15normal_iteratorINS9_10device_ptrIiEEEENSB_INSC_IyEEEESG_yNS9_4plusIvEENS9_8equal_toIvEEyEE10hipError_tPvRmT2_T3_T4_T5_mT6_T7_P12ihipStream_tbENKUlT_T0_E_clISt17integral_constantIbLb1EES10_IbLb0EEEEDaSW_SX_EUlSW_E_NS1_11comp_targetILNS1_3genE10ELNS1_11target_archE1200ELNS1_3gpuE4ELNS1_3repE0EEENS1_30default_config_static_selectorELNS0_4arch9wavefront6targetE0EEEvT1_.has_recursion, 0
	.set _ZN7rocprim17ROCPRIM_400000_NS6detail17trampoline_kernelINS0_14default_configENS1_27scan_by_key_config_selectorIiyEEZZNS1_16scan_by_key_implILNS1_25lookback_scan_determinismE0ELb0ES3_N6thrust23THRUST_200600_302600_NS6detail15normal_iteratorINS9_10device_ptrIiEEEENSB_INSC_IyEEEESG_yNS9_4plusIvEENS9_8equal_toIvEEyEE10hipError_tPvRmT2_T3_T4_T5_mT6_T7_P12ihipStream_tbENKUlT_T0_E_clISt17integral_constantIbLb1EES10_IbLb0EEEEDaSW_SX_EUlSW_E_NS1_11comp_targetILNS1_3genE10ELNS1_11target_archE1200ELNS1_3gpuE4ELNS1_3repE0EEENS1_30default_config_static_selectorELNS0_4arch9wavefront6targetE0EEEvT1_.has_indirect_call, 0
	.section	.AMDGPU.csdata,"",@progbits
; Kernel info:
; codeLenInByte = 0
; TotalNumSgprs: 0
; NumVgprs: 0
; ScratchSize: 0
; MemoryBound: 0
; FloatMode: 240
; IeeeMode: 1
; LDSByteSize: 0 bytes/workgroup (compile time only)
; SGPRBlocks: 0
; VGPRBlocks: 0
; NumSGPRsForWavesPerEU: 1
; NumVGPRsForWavesPerEU: 1
; Occupancy: 16
; WaveLimiterHint : 0
; COMPUTE_PGM_RSRC2:SCRATCH_EN: 0
; COMPUTE_PGM_RSRC2:USER_SGPR: 6
; COMPUTE_PGM_RSRC2:TRAP_HANDLER: 0
; COMPUTE_PGM_RSRC2:TGID_X_EN: 1
; COMPUTE_PGM_RSRC2:TGID_Y_EN: 0
; COMPUTE_PGM_RSRC2:TGID_Z_EN: 0
; COMPUTE_PGM_RSRC2:TIDIG_COMP_CNT: 0
	.section	.text._ZN7rocprim17ROCPRIM_400000_NS6detail17trampoline_kernelINS0_14default_configENS1_27scan_by_key_config_selectorIiyEEZZNS1_16scan_by_key_implILNS1_25lookback_scan_determinismE0ELb0ES3_N6thrust23THRUST_200600_302600_NS6detail15normal_iteratorINS9_10device_ptrIiEEEENSB_INSC_IyEEEESG_yNS9_4plusIvEENS9_8equal_toIvEEyEE10hipError_tPvRmT2_T3_T4_T5_mT6_T7_P12ihipStream_tbENKUlT_T0_E_clISt17integral_constantIbLb1EES10_IbLb0EEEEDaSW_SX_EUlSW_E_NS1_11comp_targetILNS1_3genE9ELNS1_11target_archE1100ELNS1_3gpuE3ELNS1_3repE0EEENS1_30default_config_static_selectorELNS0_4arch9wavefront6targetE0EEEvT1_,"axG",@progbits,_ZN7rocprim17ROCPRIM_400000_NS6detail17trampoline_kernelINS0_14default_configENS1_27scan_by_key_config_selectorIiyEEZZNS1_16scan_by_key_implILNS1_25lookback_scan_determinismE0ELb0ES3_N6thrust23THRUST_200600_302600_NS6detail15normal_iteratorINS9_10device_ptrIiEEEENSB_INSC_IyEEEESG_yNS9_4plusIvEENS9_8equal_toIvEEyEE10hipError_tPvRmT2_T3_T4_T5_mT6_T7_P12ihipStream_tbENKUlT_T0_E_clISt17integral_constantIbLb1EES10_IbLb0EEEEDaSW_SX_EUlSW_E_NS1_11comp_targetILNS1_3genE9ELNS1_11target_archE1100ELNS1_3gpuE3ELNS1_3repE0EEENS1_30default_config_static_selectorELNS0_4arch9wavefront6targetE0EEEvT1_,comdat
	.protected	_ZN7rocprim17ROCPRIM_400000_NS6detail17trampoline_kernelINS0_14default_configENS1_27scan_by_key_config_selectorIiyEEZZNS1_16scan_by_key_implILNS1_25lookback_scan_determinismE0ELb0ES3_N6thrust23THRUST_200600_302600_NS6detail15normal_iteratorINS9_10device_ptrIiEEEENSB_INSC_IyEEEESG_yNS9_4plusIvEENS9_8equal_toIvEEyEE10hipError_tPvRmT2_T3_T4_T5_mT6_T7_P12ihipStream_tbENKUlT_T0_E_clISt17integral_constantIbLb1EES10_IbLb0EEEEDaSW_SX_EUlSW_E_NS1_11comp_targetILNS1_3genE9ELNS1_11target_archE1100ELNS1_3gpuE3ELNS1_3repE0EEENS1_30default_config_static_selectorELNS0_4arch9wavefront6targetE0EEEvT1_ ; -- Begin function _ZN7rocprim17ROCPRIM_400000_NS6detail17trampoline_kernelINS0_14default_configENS1_27scan_by_key_config_selectorIiyEEZZNS1_16scan_by_key_implILNS1_25lookback_scan_determinismE0ELb0ES3_N6thrust23THRUST_200600_302600_NS6detail15normal_iteratorINS9_10device_ptrIiEEEENSB_INSC_IyEEEESG_yNS9_4plusIvEENS9_8equal_toIvEEyEE10hipError_tPvRmT2_T3_T4_T5_mT6_T7_P12ihipStream_tbENKUlT_T0_E_clISt17integral_constantIbLb1EES10_IbLb0EEEEDaSW_SX_EUlSW_E_NS1_11comp_targetILNS1_3genE9ELNS1_11target_archE1100ELNS1_3gpuE3ELNS1_3repE0EEENS1_30default_config_static_selectorELNS0_4arch9wavefront6targetE0EEEvT1_
	.globl	_ZN7rocprim17ROCPRIM_400000_NS6detail17trampoline_kernelINS0_14default_configENS1_27scan_by_key_config_selectorIiyEEZZNS1_16scan_by_key_implILNS1_25lookback_scan_determinismE0ELb0ES3_N6thrust23THRUST_200600_302600_NS6detail15normal_iteratorINS9_10device_ptrIiEEEENSB_INSC_IyEEEESG_yNS9_4plusIvEENS9_8equal_toIvEEyEE10hipError_tPvRmT2_T3_T4_T5_mT6_T7_P12ihipStream_tbENKUlT_T0_E_clISt17integral_constantIbLb1EES10_IbLb0EEEEDaSW_SX_EUlSW_E_NS1_11comp_targetILNS1_3genE9ELNS1_11target_archE1100ELNS1_3gpuE3ELNS1_3repE0EEENS1_30default_config_static_selectorELNS0_4arch9wavefront6targetE0EEEvT1_
	.p2align	8
	.type	_ZN7rocprim17ROCPRIM_400000_NS6detail17trampoline_kernelINS0_14default_configENS1_27scan_by_key_config_selectorIiyEEZZNS1_16scan_by_key_implILNS1_25lookback_scan_determinismE0ELb0ES3_N6thrust23THRUST_200600_302600_NS6detail15normal_iteratorINS9_10device_ptrIiEEEENSB_INSC_IyEEEESG_yNS9_4plusIvEENS9_8equal_toIvEEyEE10hipError_tPvRmT2_T3_T4_T5_mT6_T7_P12ihipStream_tbENKUlT_T0_E_clISt17integral_constantIbLb1EES10_IbLb0EEEEDaSW_SX_EUlSW_E_NS1_11comp_targetILNS1_3genE9ELNS1_11target_archE1100ELNS1_3gpuE3ELNS1_3repE0EEENS1_30default_config_static_selectorELNS0_4arch9wavefront6targetE0EEEvT1_,@function
_ZN7rocprim17ROCPRIM_400000_NS6detail17trampoline_kernelINS0_14default_configENS1_27scan_by_key_config_selectorIiyEEZZNS1_16scan_by_key_implILNS1_25lookback_scan_determinismE0ELb0ES3_N6thrust23THRUST_200600_302600_NS6detail15normal_iteratorINS9_10device_ptrIiEEEENSB_INSC_IyEEEESG_yNS9_4plusIvEENS9_8equal_toIvEEyEE10hipError_tPvRmT2_T3_T4_T5_mT6_T7_P12ihipStream_tbENKUlT_T0_E_clISt17integral_constantIbLb1EES10_IbLb0EEEEDaSW_SX_EUlSW_E_NS1_11comp_targetILNS1_3genE9ELNS1_11target_archE1100ELNS1_3gpuE3ELNS1_3repE0EEENS1_30default_config_static_selectorELNS0_4arch9wavefront6targetE0EEEvT1_: ; @_ZN7rocprim17ROCPRIM_400000_NS6detail17trampoline_kernelINS0_14default_configENS1_27scan_by_key_config_selectorIiyEEZZNS1_16scan_by_key_implILNS1_25lookback_scan_determinismE0ELb0ES3_N6thrust23THRUST_200600_302600_NS6detail15normal_iteratorINS9_10device_ptrIiEEEENSB_INSC_IyEEEESG_yNS9_4plusIvEENS9_8equal_toIvEEyEE10hipError_tPvRmT2_T3_T4_T5_mT6_T7_P12ihipStream_tbENKUlT_T0_E_clISt17integral_constantIbLb1EES10_IbLb0EEEEDaSW_SX_EUlSW_E_NS1_11comp_targetILNS1_3genE9ELNS1_11target_archE1100ELNS1_3gpuE3ELNS1_3repE0EEENS1_30default_config_static_selectorELNS0_4arch9wavefront6targetE0EEEvT1_
; %bb.0:
	.section	.rodata,"a",@progbits
	.p2align	6, 0x0
	.amdhsa_kernel _ZN7rocprim17ROCPRIM_400000_NS6detail17trampoline_kernelINS0_14default_configENS1_27scan_by_key_config_selectorIiyEEZZNS1_16scan_by_key_implILNS1_25lookback_scan_determinismE0ELb0ES3_N6thrust23THRUST_200600_302600_NS6detail15normal_iteratorINS9_10device_ptrIiEEEENSB_INSC_IyEEEESG_yNS9_4plusIvEENS9_8equal_toIvEEyEE10hipError_tPvRmT2_T3_T4_T5_mT6_T7_P12ihipStream_tbENKUlT_T0_E_clISt17integral_constantIbLb1EES10_IbLb0EEEEDaSW_SX_EUlSW_E_NS1_11comp_targetILNS1_3genE9ELNS1_11target_archE1100ELNS1_3gpuE3ELNS1_3repE0EEENS1_30default_config_static_selectorELNS0_4arch9wavefront6targetE0EEEvT1_
		.amdhsa_group_segment_fixed_size 0
		.amdhsa_private_segment_fixed_size 0
		.amdhsa_kernarg_size 136
		.amdhsa_user_sgpr_count 6
		.amdhsa_user_sgpr_private_segment_buffer 1
		.amdhsa_user_sgpr_dispatch_ptr 0
		.amdhsa_user_sgpr_queue_ptr 0
		.amdhsa_user_sgpr_kernarg_segment_ptr 1
		.amdhsa_user_sgpr_dispatch_id 0
		.amdhsa_user_sgpr_flat_scratch_init 0
		.amdhsa_user_sgpr_private_segment_size 0
		.amdhsa_wavefront_size32 1
		.amdhsa_uses_dynamic_stack 0
		.amdhsa_system_sgpr_private_segment_wavefront_offset 0
		.amdhsa_system_sgpr_workgroup_id_x 1
		.amdhsa_system_sgpr_workgroup_id_y 0
		.amdhsa_system_sgpr_workgroup_id_z 0
		.amdhsa_system_sgpr_workgroup_info 0
		.amdhsa_system_vgpr_workitem_id 0
		.amdhsa_next_free_vgpr 1
		.amdhsa_next_free_sgpr 1
		.amdhsa_reserve_vcc 0
		.amdhsa_reserve_flat_scratch 0
		.amdhsa_float_round_mode_32 0
		.amdhsa_float_round_mode_16_64 0
		.amdhsa_float_denorm_mode_32 3
		.amdhsa_float_denorm_mode_16_64 3
		.amdhsa_dx10_clamp 1
		.amdhsa_ieee_mode 1
		.amdhsa_fp16_overflow 0
		.amdhsa_workgroup_processor_mode 1
		.amdhsa_memory_ordered 1
		.amdhsa_forward_progress 1
		.amdhsa_shared_vgpr_count 0
		.amdhsa_exception_fp_ieee_invalid_op 0
		.amdhsa_exception_fp_denorm_src 0
		.amdhsa_exception_fp_ieee_div_zero 0
		.amdhsa_exception_fp_ieee_overflow 0
		.amdhsa_exception_fp_ieee_underflow 0
		.amdhsa_exception_fp_ieee_inexact 0
		.amdhsa_exception_int_div_zero 0
	.end_amdhsa_kernel
	.section	.text._ZN7rocprim17ROCPRIM_400000_NS6detail17trampoline_kernelINS0_14default_configENS1_27scan_by_key_config_selectorIiyEEZZNS1_16scan_by_key_implILNS1_25lookback_scan_determinismE0ELb0ES3_N6thrust23THRUST_200600_302600_NS6detail15normal_iteratorINS9_10device_ptrIiEEEENSB_INSC_IyEEEESG_yNS9_4plusIvEENS9_8equal_toIvEEyEE10hipError_tPvRmT2_T3_T4_T5_mT6_T7_P12ihipStream_tbENKUlT_T0_E_clISt17integral_constantIbLb1EES10_IbLb0EEEEDaSW_SX_EUlSW_E_NS1_11comp_targetILNS1_3genE9ELNS1_11target_archE1100ELNS1_3gpuE3ELNS1_3repE0EEENS1_30default_config_static_selectorELNS0_4arch9wavefront6targetE0EEEvT1_,"axG",@progbits,_ZN7rocprim17ROCPRIM_400000_NS6detail17trampoline_kernelINS0_14default_configENS1_27scan_by_key_config_selectorIiyEEZZNS1_16scan_by_key_implILNS1_25lookback_scan_determinismE0ELb0ES3_N6thrust23THRUST_200600_302600_NS6detail15normal_iteratorINS9_10device_ptrIiEEEENSB_INSC_IyEEEESG_yNS9_4plusIvEENS9_8equal_toIvEEyEE10hipError_tPvRmT2_T3_T4_T5_mT6_T7_P12ihipStream_tbENKUlT_T0_E_clISt17integral_constantIbLb1EES10_IbLb0EEEEDaSW_SX_EUlSW_E_NS1_11comp_targetILNS1_3genE9ELNS1_11target_archE1100ELNS1_3gpuE3ELNS1_3repE0EEENS1_30default_config_static_selectorELNS0_4arch9wavefront6targetE0EEEvT1_,comdat
.Lfunc_end1205:
	.size	_ZN7rocprim17ROCPRIM_400000_NS6detail17trampoline_kernelINS0_14default_configENS1_27scan_by_key_config_selectorIiyEEZZNS1_16scan_by_key_implILNS1_25lookback_scan_determinismE0ELb0ES3_N6thrust23THRUST_200600_302600_NS6detail15normal_iteratorINS9_10device_ptrIiEEEENSB_INSC_IyEEEESG_yNS9_4plusIvEENS9_8equal_toIvEEyEE10hipError_tPvRmT2_T3_T4_T5_mT6_T7_P12ihipStream_tbENKUlT_T0_E_clISt17integral_constantIbLb1EES10_IbLb0EEEEDaSW_SX_EUlSW_E_NS1_11comp_targetILNS1_3genE9ELNS1_11target_archE1100ELNS1_3gpuE3ELNS1_3repE0EEENS1_30default_config_static_selectorELNS0_4arch9wavefront6targetE0EEEvT1_, .Lfunc_end1205-_ZN7rocprim17ROCPRIM_400000_NS6detail17trampoline_kernelINS0_14default_configENS1_27scan_by_key_config_selectorIiyEEZZNS1_16scan_by_key_implILNS1_25lookback_scan_determinismE0ELb0ES3_N6thrust23THRUST_200600_302600_NS6detail15normal_iteratorINS9_10device_ptrIiEEEENSB_INSC_IyEEEESG_yNS9_4plusIvEENS9_8equal_toIvEEyEE10hipError_tPvRmT2_T3_T4_T5_mT6_T7_P12ihipStream_tbENKUlT_T0_E_clISt17integral_constantIbLb1EES10_IbLb0EEEEDaSW_SX_EUlSW_E_NS1_11comp_targetILNS1_3genE9ELNS1_11target_archE1100ELNS1_3gpuE3ELNS1_3repE0EEENS1_30default_config_static_selectorELNS0_4arch9wavefront6targetE0EEEvT1_
                                        ; -- End function
	.set _ZN7rocprim17ROCPRIM_400000_NS6detail17trampoline_kernelINS0_14default_configENS1_27scan_by_key_config_selectorIiyEEZZNS1_16scan_by_key_implILNS1_25lookback_scan_determinismE0ELb0ES3_N6thrust23THRUST_200600_302600_NS6detail15normal_iteratorINS9_10device_ptrIiEEEENSB_INSC_IyEEEESG_yNS9_4plusIvEENS9_8equal_toIvEEyEE10hipError_tPvRmT2_T3_T4_T5_mT6_T7_P12ihipStream_tbENKUlT_T0_E_clISt17integral_constantIbLb1EES10_IbLb0EEEEDaSW_SX_EUlSW_E_NS1_11comp_targetILNS1_3genE9ELNS1_11target_archE1100ELNS1_3gpuE3ELNS1_3repE0EEENS1_30default_config_static_selectorELNS0_4arch9wavefront6targetE0EEEvT1_.num_vgpr, 0
	.set _ZN7rocprim17ROCPRIM_400000_NS6detail17trampoline_kernelINS0_14default_configENS1_27scan_by_key_config_selectorIiyEEZZNS1_16scan_by_key_implILNS1_25lookback_scan_determinismE0ELb0ES3_N6thrust23THRUST_200600_302600_NS6detail15normal_iteratorINS9_10device_ptrIiEEEENSB_INSC_IyEEEESG_yNS9_4plusIvEENS9_8equal_toIvEEyEE10hipError_tPvRmT2_T3_T4_T5_mT6_T7_P12ihipStream_tbENKUlT_T0_E_clISt17integral_constantIbLb1EES10_IbLb0EEEEDaSW_SX_EUlSW_E_NS1_11comp_targetILNS1_3genE9ELNS1_11target_archE1100ELNS1_3gpuE3ELNS1_3repE0EEENS1_30default_config_static_selectorELNS0_4arch9wavefront6targetE0EEEvT1_.num_agpr, 0
	.set _ZN7rocprim17ROCPRIM_400000_NS6detail17trampoline_kernelINS0_14default_configENS1_27scan_by_key_config_selectorIiyEEZZNS1_16scan_by_key_implILNS1_25lookback_scan_determinismE0ELb0ES3_N6thrust23THRUST_200600_302600_NS6detail15normal_iteratorINS9_10device_ptrIiEEEENSB_INSC_IyEEEESG_yNS9_4plusIvEENS9_8equal_toIvEEyEE10hipError_tPvRmT2_T3_T4_T5_mT6_T7_P12ihipStream_tbENKUlT_T0_E_clISt17integral_constantIbLb1EES10_IbLb0EEEEDaSW_SX_EUlSW_E_NS1_11comp_targetILNS1_3genE9ELNS1_11target_archE1100ELNS1_3gpuE3ELNS1_3repE0EEENS1_30default_config_static_selectorELNS0_4arch9wavefront6targetE0EEEvT1_.numbered_sgpr, 0
	.set _ZN7rocprim17ROCPRIM_400000_NS6detail17trampoline_kernelINS0_14default_configENS1_27scan_by_key_config_selectorIiyEEZZNS1_16scan_by_key_implILNS1_25lookback_scan_determinismE0ELb0ES3_N6thrust23THRUST_200600_302600_NS6detail15normal_iteratorINS9_10device_ptrIiEEEENSB_INSC_IyEEEESG_yNS9_4plusIvEENS9_8equal_toIvEEyEE10hipError_tPvRmT2_T3_T4_T5_mT6_T7_P12ihipStream_tbENKUlT_T0_E_clISt17integral_constantIbLb1EES10_IbLb0EEEEDaSW_SX_EUlSW_E_NS1_11comp_targetILNS1_3genE9ELNS1_11target_archE1100ELNS1_3gpuE3ELNS1_3repE0EEENS1_30default_config_static_selectorELNS0_4arch9wavefront6targetE0EEEvT1_.num_named_barrier, 0
	.set _ZN7rocprim17ROCPRIM_400000_NS6detail17trampoline_kernelINS0_14default_configENS1_27scan_by_key_config_selectorIiyEEZZNS1_16scan_by_key_implILNS1_25lookback_scan_determinismE0ELb0ES3_N6thrust23THRUST_200600_302600_NS6detail15normal_iteratorINS9_10device_ptrIiEEEENSB_INSC_IyEEEESG_yNS9_4plusIvEENS9_8equal_toIvEEyEE10hipError_tPvRmT2_T3_T4_T5_mT6_T7_P12ihipStream_tbENKUlT_T0_E_clISt17integral_constantIbLb1EES10_IbLb0EEEEDaSW_SX_EUlSW_E_NS1_11comp_targetILNS1_3genE9ELNS1_11target_archE1100ELNS1_3gpuE3ELNS1_3repE0EEENS1_30default_config_static_selectorELNS0_4arch9wavefront6targetE0EEEvT1_.private_seg_size, 0
	.set _ZN7rocprim17ROCPRIM_400000_NS6detail17trampoline_kernelINS0_14default_configENS1_27scan_by_key_config_selectorIiyEEZZNS1_16scan_by_key_implILNS1_25lookback_scan_determinismE0ELb0ES3_N6thrust23THRUST_200600_302600_NS6detail15normal_iteratorINS9_10device_ptrIiEEEENSB_INSC_IyEEEESG_yNS9_4plusIvEENS9_8equal_toIvEEyEE10hipError_tPvRmT2_T3_T4_T5_mT6_T7_P12ihipStream_tbENKUlT_T0_E_clISt17integral_constantIbLb1EES10_IbLb0EEEEDaSW_SX_EUlSW_E_NS1_11comp_targetILNS1_3genE9ELNS1_11target_archE1100ELNS1_3gpuE3ELNS1_3repE0EEENS1_30default_config_static_selectorELNS0_4arch9wavefront6targetE0EEEvT1_.uses_vcc, 0
	.set _ZN7rocprim17ROCPRIM_400000_NS6detail17trampoline_kernelINS0_14default_configENS1_27scan_by_key_config_selectorIiyEEZZNS1_16scan_by_key_implILNS1_25lookback_scan_determinismE0ELb0ES3_N6thrust23THRUST_200600_302600_NS6detail15normal_iteratorINS9_10device_ptrIiEEEENSB_INSC_IyEEEESG_yNS9_4plusIvEENS9_8equal_toIvEEyEE10hipError_tPvRmT2_T3_T4_T5_mT6_T7_P12ihipStream_tbENKUlT_T0_E_clISt17integral_constantIbLb1EES10_IbLb0EEEEDaSW_SX_EUlSW_E_NS1_11comp_targetILNS1_3genE9ELNS1_11target_archE1100ELNS1_3gpuE3ELNS1_3repE0EEENS1_30default_config_static_selectorELNS0_4arch9wavefront6targetE0EEEvT1_.uses_flat_scratch, 0
	.set _ZN7rocprim17ROCPRIM_400000_NS6detail17trampoline_kernelINS0_14default_configENS1_27scan_by_key_config_selectorIiyEEZZNS1_16scan_by_key_implILNS1_25lookback_scan_determinismE0ELb0ES3_N6thrust23THRUST_200600_302600_NS6detail15normal_iteratorINS9_10device_ptrIiEEEENSB_INSC_IyEEEESG_yNS9_4plusIvEENS9_8equal_toIvEEyEE10hipError_tPvRmT2_T3_T4_T5_mT6_T7_P12ihipStream_tbENKUlT_T0_E_clISt17integral_constantIbLb1EES10_IbLb0EEEEDaSW_SX_EUlSW_E_NS1_11comp_targetILNS1_3genE9ELNS1_11target_archE1100ELNS1_3gpuE3ELNS1_3repE0EEENS1_30default_config_static_selectorELNS0_4arch9wavefront6targetE0EEEvT1_.has_dyn_sized_stack, 0
	.set _ZN7rocprim17ROCPRIM_400000_NS6detail17trampoline_kernelINS0_14default_configENS1_27scan_by_key_config_selectorIiyEEZZNS1_16scan_by_key_implILNS1_25lookback_scan_determinismE0ELb0ES3_N6thrust23THRUST_200600_302600_NS6detail15normal_iteratorINS9_10device_ptrIiEEEENSB_INSC_IyEEEESG_yNS9_4plusIvEENS9_8equal_toIvEEyEE10hipError_tPvRmT2_T3_T4_T5_mT6_T7_P12ihipStream_tbENKUlT_T0_E_clISt17integral_constantIbLb1EES10_IbLb0EEEEDaSW_SX_EUlSW_E_NS1_11comp_targetILNS1_3genE9ELNS1_11target_archE1100ELNS1_3gpuE3ELNS1_3repE0EEENS1_30default_config_static_selectorELNS0_4arch9wavefront6targetE0EEEvT1_.has_recursion, 0
	.set _ZN7rocprim17ROCPRIM_400000_NS6detail17trampoline_kernelINS0_14default_configENS1_27scan_by_key_config_selectorIiyEEZZNS1_16scan_by_key_implILNS1_25lookback_scan_determinismE0ELb0ES3_N6thrust23THRUST_200600_302600_NS6detail15normal_iteratorINS9_10device_ptrIiEEEENSB_INSC_IyEEEESG_yNS9_4plusIvEENS9_8equal_toIvEEyEE10hipError_tPvRmT2_T3_T4_T5_mT6_T7_P12ihipStream_tbENKUlT_T0_E_clISt17integral_constantIbLb1EES10_IbLb0EEEEDaSW_SX_EUlSW_E_NS1_11comp_targetILNS1_3genE9ELNS1_11target_archE1100ELNS1_3gpuE3ELNS1_3repE0EEENS1_30default_config_static_selectorELNS0_4arch9wavefront6targetE0EEEvT1_.has_indirect_call, 0
	.section	.AMDGPU.csdata,"",@progbits
; Kernel info:
; codeLenInByte = 0
; TotalNumSgprs: 0
; NumVgprs: 0
; ScratchSize: 0
; MemoryBound: 0
; FloatMode: 240
; IeeeMode: 1
; LDSByteSize: 0 bytes/workgroup (compile time only)
; SGPRBlocks: 0
; VGPRBlocks: 0
; NumSGPRsForWavesPerEU: 1
; NumVGPRsForWavesPerEU: 1
; Occupancy: 16
; WaveLimiterHint : 0
; COMPUTE_PGM_RSRC2:SCRATCH_EN: 0
; COMPUTE_PGM_RSRC2:USER_SGPR: 6
; COMPUTE_PGM_RSRC2:TRAP_HANDLER: 0
; COMPUTE_PGM_RSRC2:TGID_X_EN: 1
; COMPUTE_PGM_RSRC2:TGID_Y_EN: 0
; COMPUTE_PGM_RSRC2:TGID_Z_EN: 0
; COMPUTE_PGM_RSRC2:TIDIG_COMP_CNT: 0
	.section	.text._ZN7rocprim17ROCPRIM_400000_NS6detail17trampoline_kernelINS0_14default_configENS1_27scan_by_key_config_selectorIiyEEZZNS1_16scan_by_key_implILNS1_25lookback_scan_determinismE0ELb0ES3_N6thrust23THRUST_200600_302600_NS6detail15normal_iteratorINS9_10device_ptrIiEEEENSB_INSC_IyEEEESG_yNS9_4plusIvEENS9_8equal_toIvEEyEE10hipError_tPvRmT2_T3_T4_T5_mT6_T7_P12ihipStream_tbENKUlT_T0_E_clISt17integral_constantIbLb1EES10_IbLb0EEEEDaSW_SX_EUlSW_E_NS1_11comp_targetILNS1_3genE8ELNS1_11target_archE1030ELNS1_3gpuE2ELNS1_3repE0EEENS1_30default_config_static_selectorELNS0_4arch9wavefront6targetE0EEEvT1_,"axG",@progbits,_ZN7rocprim17ROCPRIM_400000_NS6detail17trampoline_kernelINS0_14default_configENS1_27scan_by_key_config_selectorIiyEEZZNS1_16scan_by_key_implILNS1_25lookback_scan_determinismE0ELb0ES3_N6thrust23THRUST_200600_302600_NS6detail15normal_iteratorINS9_10device_ptrIiEEEENSB_INSC_IyEEEESG_yNS9_4plusIvEENS9_8equal_toIvEEyEE10hipError_tPvRmT2_T3_T4_T5_mT6_T7_P12ihipStream_tbENKUlT_T0_E_clISt17integral_constantIbLb1EES10_IbLb0EEEEDaSW_SX_EUlSW_E_NS1_11comp_targetILNS1_3genE8ELNS1_11target_archE1030ELNS1_3gpuE2ELNS1_3repE0EEENS1_30default_config_static_selectorELNS0_4arch9wavefront6targetE0EEEvT1_,comdat
	.protected	_ZN7rocprim17ROCPRIM_400000_NS6detail17trampoline_kernelINS0_14default_configENS1_27scan_by_key_config_selectorIiyEEZZNS1_16scan_by_key_implILNS1_25lookback_scan_determinismE0ELb0ES3_N6thrust23THRUST_200600_302600_NS6detail15normal_iteratorINS9_10device_ptrIiEEEENSB_INSC_IyEEEESG_yNS9_4plusIvEENS9_8equal_toIvEEyEE10hipError_tPvRmT2_T3_T4_T5_mT6_T7_P12ihipStream_tbENKUlT_T0_E_clISt17integral_constantIbLb1EES10_IbLb0EEEEDaSW_SX_EUlSW_E_NS1_11comp_targetILNS1_3genE8ELNS1_11target_archE1030ELNS1_3gpuE2ELNS1_3repE0EEENS1_30default_config_static_selectorELNS0_4arch9wavefront6targetE0EEEvT1_ ; -- Begin function _ZN7rocprim17ROCPRIM_400000_NS6detail17trampoline_kernelINS0_14default_configENS1_27scan_by_key_config_selectorIiyEEZZNS1_16scan_by_key_implILNS1_25lookback_scan_determinismE0ELb0ES3_N6thrust23THRUST_200600_302600_NS6detail15normal_iteratorINS9_10device_ptrIiEEEENSB_INSC_IyEEEESG_yNS9_4plusIvEENS9_8equal_toIvEEyEE10hipError_tPvRmT2_T3_T4_T5_mT6_T7_P12ihipStream_tbENKUlT_T0_E_clISt17integral_constantIbLb1EES10_IbLb0EEEEDaSW_SX_EUlSW_E_NS1_11comp_targetILNS1_3genE8ELNS1_11target_archE1030ELNS1_3gpuE2ELNS1_3repE0EEENS1_30default_config_static_selectorELNS0_4arch9wavefront6targetE0EEEvT1_
	.globl	_ZN7rocprim17ROCPRIM_400000_NS6detail17trampoline_kernelINS0_14default_configENS1_27scan_by_key_config_selectorIiyEEZZNS1_16scan_by_key_implILNS1_25lookback_scan_determinismE0ELb0ES3_N6thrust23THRUST_200600_302600_NS6detail15normal_iteratorINS9_10device_ptrIiEEEENSB_INSC_IyEEEESG_yNS9_4plusIvEENS9_8equal_toIvEEyEE10hipError_tPvRmT2_T3_T4_T5_mT6_T7_P12ihipStream_tbENKUlT_T0_E_clISt17integral_constantIbLb1EES10_IbLb0EEEEDaSW_SX_EUlSW_E_NS1_11comp_targetILNS1_3genE8ELNS1_11target_archE1030ELNS1_3gpuE2ELNS1_3repE0EEENS1_30default_config_static_selectorELNS0_4arch9wavefront6targetE0EEEvT1_
	.p2align	8
	.type	_ZN7rocprim17ROCPRIM_400000_NS6detail17trampoline_kernelINS0_14default_configENS1_27scan_by_key_config_selectorIiyEEZZNS1_16scan_by_key_implILNS1_25lookback_scan_determinismE0ELb0ES3_N6thrust23THRUST_200600_302600_NS6detail15normal_iteratorINS9_10device_ptrIiEEEENSB_INSC_IyEEEESG_yNS9_4plusIvEENS9_8equal_toIvEEyEE10hipError_tPvRmT2_T3_T4_T5_mT6_T7_P12ihipStream_tbENKUlT_T0_E_clISt17integral_constantIbLb1EES10_IbLb0EEEEDaSW_SX_EUlSW_E_NS1_11comp_targetILNS1_3genE8ELNS1_11target_archE1030ELNS1_3gpuE2ELNS1_3repE0EEENS1_30default_config_static_selectorELNS0_4arch9wavefront6targetE0EEEvT1_,@function
_ZN7rocprim17ROCPRIM_400000_NS6detail17trampoline_kernelINS0_14default_configENS1_27scan_by_key_config_selectorIiyEEZZNS1_16scan_by_key_implILNS1_25lookback_scan_determinismE0ELb0ES3_N6thrust23THRUST_200600_302600_NS6detail15normal_iteratorINS9_10device_ptrIiEEEENSB_INSC_IyEEEESG_yNS9_4plusIvEENS9_8equal_toIvEEyEE10hipError_tPvRmT2_T3_T4_T5_mT6_T7_P12ihipStream_tbENKUlT_T0_E_clISt17integral_constantIbLb1EES10_IbLb0EEEEDaSW_SX_EUlSW_E_NS1_11comp_targetILNS1_3genE8ELNS1_11target_archE1030ELNS1_3gpuE2ELNS1_3repE0EEENS1_30default_config_static_selectorELNS0_4arch9wavefront6targetE0EEEvT1_: ; @_ZN7rocprim17ROCPRIM_400000_NS6detail17trampoline_kernelINS0_14default_configENS1_27scan_by_key_config_selectorIiyEEZZNS1_16scan_by_key_implILNS1_25lookback_scan_determinismE0ELb0ES3_N6thrust23THRUST_200600_302600_NS6detail15normal_iteratorINS9_10device_ptrIiEEEENSB_INSC_IyEEEESG_yNS9_4plusIvEENS9_8equal_toIvEEyEE10hipError_tPvRmT2_T3_T4_T5_mT6_T7_P12ihipStream_tbENKUlT_T0_E_clISt17integral_constantIbLb1EES10_IbLb0EEEEDaSW_SX_EUlSW_E_NS1_11comp_targetILNS1_3genE8ELNS1_11target_archE1030ELNS1_3gpuE2ELNS1_3repE0EEENS1_30default_config_static_selectorELNS0_4arch9wavefront6targetE0EEEvT1_
; %bb.0:
	s_endpgm
	.section	.rodata,"a",@progbits
	.p2align	6, 0x0
	.amdhsa_kernel _ZN7rocprim17ROCPRIM_400000_NS6detail17trampoline_kernelINS0_14default_configENS1_27scan_by_key_config_selectorIiyEEZZNS1_16scan_by_key_implILNS1_25lookback_scan_determinismE0ELb0ES3_N6thrust23THRUST_200600_302600_NS6detail15normal_iteratorINS9_10device_ptrIiEEEENSB_INSC_IyEEEESG_yNS9_4plusIvEENS9_8equal_toIvEEyEE10hipError_tPvRmT2_T3_T4_T5_mT6_T7_P12ihipStream_tbENKUlT_T0_E_clISt17integral_constantIbLb1EES10_IbLb0EEEEDaSW_SX_EUlSW_E_NS1_11comp_targetILNS1_3genE8ELNS1_11target_archE1030ELNS1_3gpuE2ELNS1_3repE0EEENS1_30default_config_static_selectorELNS0_4arch9wavefront6targetE0EEEvT1_
		.amdhsa_group_segment_fixed_size 0
		.amdhsa_private_segment_fixed_size 0
		.amdhsa_kernarg_size 136
		.amdhsa_user_sgpr_count 6
		.amdhsa_user_sgpr_private_segment_buffer 1
		.amdhsa_user_sgpr_dispatch_ptr 0
		.amdhsa_user_sgpr_queue_ptr 0
		.amdhsa_user_sgpr_kernarg_segment_ptr 1
		.amdhsa_user_sgpr_dispatch_id 0
		.amdhsa_user_sgpr_flat_scratch_init 0
		.amdhsa_user_sgpr_private_segment_size 0
		.amdhsa_wavefront_size32 1
		.amdhsa_uses_dynamic_stack 0
		.amdhsa_system_sgpr_private_segment_wavefront_offset 0
		.amdhsa_system_sgpr_workgroup_id_x 1
		.amdhsa_system_sgpr_workgroup_id_y 0
		.amdhsa_system_sgpr_workgroup_id_z 0
		.amdhsa_system_sgpr_workgroup_info 0
		.amdhsa_system_vgpr_workitem_id 0
		.amdhsa_next_free_vgpr 1
		.amdhsa_next_free_sgpr 1
		.amdhsa_reserve_vcc 0
		.amdhsa_reserve_flat_scratch 0
		.amdhsa_float_round_mode_32 0
		.amdhsa_float_round_mode_16_64 0
		.amdhsa_float_denorm_mode_32 3
		.amdhsa_float_denorm_mode_16_64 3
		.amdhsa_dx10_clamp 1
		.amdhsa_ieee_mode 1
		.amdhsa_fp16_overflow 0
		.amdhsa_workgroup_processor_mode 1
		.amdhsa_memory_ordered 1
		.amdhsa_forward_progress 1
		.amdhsa_shared_vgpr_count 0
		.amdhsa_exception_fp_ieee_invalid_op 0
		.amdhsa_exception_fp_denorm_src 0
		.amdhsa_exception_fp_ieee_div_zero 0
		.amdhsa_exception_fp_ieee_overflow 0
		.amdhsa_exception_fp_ieee_underflow 0
		.amdhsa_exception_fp_ieee_inexact 0
		.amdhsa_exception_int_div_zero 0
	.end_amdhsa_kernel
	.section	.text._ZN7rocprim17ROCPRIM_400000_NS6detail17trampoline_kernelINS0_14default_configENS1_27scan_by_key_config_selectorIiyEEZZNS1_16scan_by_key_implILNS1_25lookback_scan_determinismE0ELb0ES3_N6thrust23THRUST_200600_302600_NS6detail15normal_iteratorINS9_10device_ptrIiEEEENSB_INSC_IyEEEESG_yNS9_4plusIvEENS9_8equal_toIvEEyEE10hipError_tPvRmT2_T3_T4_T5_mT6_T7_P12ihipStream_tbENKUlT_T0_E_clISt17integral_constantIbLb1EES10_IbLb0EEEEDaSW_SX_EUlSW_E_NS1_11comp_targetILNS1_3genE8ELNS1_11target_archE1030ELNS1_3gpuE2ELNS1_3repE0EEENS1_30default_config_static_selectorELNS0_4arch9wavefront6targetE0EEEvT1_,"axG",@progbits,_ZN7rocprim17ROCPRIM_400000_NS6detail17trampoline_kernelINS0_14default_configENS1_27scan_by_key_config_selectorIiyEEZZNS1_16scan_by_key_implILNS1_25lookback_scan_determinismE0ELb0ES3_N6thrust23THRUST_200600_302600_NS6detail15normal_iteratorINS9_10device_ptrIiEEEENSB_INSC_IyEEEESG_yNS9_4plusIvEENS9_8equal_toIvEEyEE10hipError_tPvRmT2_T3_T4_T5_mT6_T7_P12ihipStream_tbENKUlT_T0_E_clISt17integral_constantIbLb1EES10_IbLb0EEEEDaSW_SX_EUlSW_E_NS1_11comp_targetILNS1_3genE8ELNS1_11target_archE1030ELNS1_3gpuE2ELNS1_3repE0EEENS1_30default_config_static_selectorELNS0_4arch9wavefront6targetE0EEEvT1_,comdat
.Lfunc_end1206:
	.size	_ZN7rocprim17ROCPRIM_400000_NS6detail17trampoline_kernelINS0_14default_configENS1_27scan_by_key_config_selectorIiyEEZZNS1_16scan_by_key_implILNS1_25lookback_scan_determinismE0ELb0ES3_N6thrust23THRUST_200600_302600_NS6detail15normal_iteratorINS9_10device_ptrIiEEEENSB_INSC_IyEEEESG_yNS9_4plusIvEENS9_8equal_toIvEEyEE10hipError_tPvRmT2_T3_T4_T5_mT6_T7_P12ihipStream_tbENKUlT_T0_E_clISt17integral_constantIbLb1EES10_IbLb0EEEEDaSW_SX_EUlSW_E_NS1_11comp_targetILNS1_3genE8ELNS1_11target_archE1030ELNS1_3gpuE2ELNS1_3repE0EEENS1_30default_config_static_selectorELNS0_4arch9wavefront6targetE0EEEvT1_, .Lfunc_end1206-_ZN7rocprim17ROCPRIM_400000_NS6detail17trampoline_kernelINS0_14default_configENS1_27scan_by_key_config_selectorIiyEEZZNS1_16scan_by_key_implILNS1_25lookback_scan_determinismE0ELb0ES3_N6thrust23THRUST_200600_302600_NS6detail15normal_iteratorINS9_10device_ptrIiEEEENSB_INSC_IyEEEESG_yNS9_4plusIvEENS9_8equal_toIvEEyEE10hipError_tPvRmT2_T3_T4_T5_mT6_T7_P12ihipStream_tbENKUlT_T0_E_clISt17integral_constantIbLb1EES10_IbLb0EEEEDaSW_SX_EUlSW_E_NS1_11comp_targetILNS1_3genE8ELNS1_11target_archE1030ELNS1_3gpuE2ELNS1_3repE0EEENS1_30default_config_static_selectorELNS0_4arch9wavefront6targetE0EEEvT1_
                                        ; -- End function
	.set _ZN7rocprim17ROCPRIM_400000_NS6detail17trampoline_kernelINS0_14default_configENS1_27scan_by_key_config_selectorIiyEEZZNS1_16scan_by_key_implILNS1_25lookback_scan_determinismE0ELb0ES3_N6thrust23THRUST_200600_302600_NS6detail15normal_iteratorINS9_10device_ptrIiEEEENSB_INSC_IyEEEESG_yNS9_4plusIvEENS9_8equal_toIvEEyEE10hipError_tPvRmT2_T3_T4_T5_mT6_T7_P12ihipStream_tbENKUlT_T0_E_clISt17integral_constantIbLb1EES10_IbLb0EEEEDaSW_SX_EUlSW_E_NS1_11comp_targetILNS1_3genE8ELNS1_11target_archE1030ELNS1_3gpuE2ELNS1_3repE0EEENS1_30default_config_static_selectorELNS0_4arch9wavefront6targetE0EEEvT1_.num_vgpr, 0
	.set _ZN7rocprim17ROCPRIM_400000_NS6detail17trampoline_kernelINS0_14default_configENS1_27scan_by_key_config_selectorIiyEEZZNS1_16scan_by_key_implILNS1_25lookback_scan_determinismE0ELb0ES3_N6thrust23THRUST_200600_302600_NS6detail15normal_iteratorINS9_10device_ptrIiEEEENSB_INSC_IyEEEESG_yNS9_4plusIvEENS9_8equal_toIvEEyEE10hipError_tPvRmT2_T3_T4_T5_mT6_T7_P12ihipStream_tbENKUlT_T0_E_clISt17integral_constantIbLb1EES10_IbLb0EEEEDaSW_SX_EUlSW_E_NS1_11comp_targetILNS1_3genE8ELNS1_11target_archE1030ELNS1_3gpuE2ELNS1_3repE0EEENS1_30default_config_static_selectorELNS0_4arch9wavefront6targetE0EEEvT1_.num_agpr, 0
	.set _ZN7rocprim17ROCPRIM_400000_NS6detail17trampoline_kernelINS0_14default_configENS1_27scan_by_key_config_selectorIiyEEZZNS1_16scan_by_key_implILNS1_25lookback_scan_determinismE0ELb0ES3_N6thrust23THRUST_200600_302600_NS6detail15normal_iteratorINS9_10device_ptrIiEEEENSB_INSC_IyEEEESG_yNS9_4plusIvEENS9_8equal_toIvEEyEE10hipError_tPvRmT2_T3_T4_T5_mT6_T7_P12ihipStream_tbENKUlT_T0_E_clISt17integral_constantIbLb1EES10_IbLb0EEEEDaSW_SX_EUlSW_E_NS1_11comp_targetILNS1_3genE8ELNS1_11target_archE1030ELNS1_3gpuE2ELNS1_3repE0EEENS1_30default_config_static_selectorELNS0_4arch9wavefront6targetE0EEEvT1_.numbered_sgpr, 0
	.set _ZN7rocprim17ROCPRIM_400000_NS6detail17trampoline_kernelINS0_14default_configENS1_27scan_by_key_config_selectorIiyEEZZNS1_16scan_by_key_implILNS1_25lookback_scan_determinismE0ELb0ES3_N6thrust23THRUST_200600_302600_NS6detail15normal_iteratorINS9_10device_ptrIiEEEENSB_INSC_IyEEEESG_yNS9_4plusIvEENS9_8equal_toIvEEyEE10hipError_tPvRmT2_T3_T4_T5_mT6_T7_P12ihipStream_tbENKUlT_T0_E_clISt17integral_constantIbLb1EES10_IbLb0EEEEDaSW_SX_EUlSW_E_NS1_11comp_targetILNS1_3genE8ELNS1_11target_archE1030ELNS1_3gpuE2ELNS1_3repE0EEENS1_30default_config_static_selectorELNS0_4arch9wavefront6targetE0EEEvT1_.num_named_barrier, 0
	.set _ZN7rocprim17ROCPRIM_400000_NS6detail17trampoline_kernelINS0_14default_configENS1_27scan_by_key_config_selectorIiyEEZZNS1_16scan_by_key_implILNS1_25lookback_scan_determinismE0ELb0ES3_N6thrust23THRUST_200600_302600_NS6detail15normal_iteratorINS9_10device_ptrIiEEEENSB_INSC_IyEEEESG_yNS9_4plusIvEENS9_8equal_toIvEEyEE10hipError_tPvRmT2_T3_T4_T5_mT6_T7_P12ihipStream_tbENKUlT_T0_E_clISt17integral_constantIbLb1EES10_IbLb0EEEEDaSW_SX_EUlSW_E_NS1_11comp_targetILNS1_3genE8ELNS1_11target_archE1030ELNS1_3gpuE2ELNS1_3repE0EEENS1_30default_config_static_selectorELNS0_4arch9wavefront6targetE0EEEvT1_.private_seg_size, 0
	.set _ZN7rocprim17ROCPRIM_400000_NS6detail17trampoline_kernelINS0_14default_configENS1_27scan_by_key_config_selectorIiyEEZZNS1_16scan_by_key_implILNS1_25lookback_scan_determinismE0ELb0ES3_N6thrust23THRUST_200600_302600_NS6detail15normal_iteratorINS9_10device_ptrIiEEEENSB_INSC_IyEEEESG_yNS9_4plusIvEENS9_8equal_toIvEEyEE10hipError_tPvRmT2_T3_T4_T5_mT6_T7_P12ihipStream_tbENKUlT_T0_E_clISt17integral_constantIbLb1EES10_IbLb0EEEEDaSW_SX_EUlSW_E_NS1_11comp_targetILNS1_3genE8ELNS1_11target_archE1030ELNS1_3gpuE2ELNS1_3repE0EEENS1_30default_config_static_selectorELNS0_4arch9wavefront6targetE0EEEvT1_.uses_vcc, 0
	.set _ZN7rocprim17ROCPRIM_400000_NS6detail17trampoline_kernelINS0_14default_configENS1_27scan_by_key_config_selectorIiyEEZZNS1_16scan_by_key_implILNS1_25lookback_scan_determinismE0ELb0ES3_N6thrust23THRUST_200600_302600_NS6detail15normal_iteratorINS9_10device_ptrIiEEEENSB_INSC_IyEEEESG_yNS9_4plusIvEENS9_8equal_toIvEEyEE10hipError_tPvRmT2_T3_T4_T5_mT6_T7_P12ihipStream_tbENKUlT_T0_E_clISt17integral_constantIbLb1EES10_IbLb0EEEEDaSW_SX_EUlSW_E_NS1_11comp_targetILNS1_3genE8ELNS1_11target_archE1030ELNS1_3gpuE2ELNS1_3repE0EEENS1_30default_config_static_selectorELNS0_4arch9wavefront6targetE0EEEvT1_.uses_flat_scratch, 0
	.set _ZN7rocprim17ROCPRIM_400000_NS6detail17trampoline_kernelINS0_14default_configENS1_27scan_by_key_config_selectorIiyEEZZNS1_16scan_by_key_implILNS1_25lookback_scan_determinismE0ELb0ES3_N6thrust23THRUST_200600_302600_NS6detail15normal_iteratorINS9_10device_ptrIiEEEENSB_INSC_IyEEEESG_yNS9_4plusIvEENS9_8equal_toIvEEyEE10hipError_tPvRmT2_T3_T4_T5_mT6_T7_P12ihipStream_tbENKUlT_T0_E_clISt17integral_constantIbLb1EES10_IbLb0EEEEDaSW_SX_EUlSW_E_NS1_11comp_targetILNS1_3genE8ELNS1_11target_archE1030ELNS1_3gpuE2ELNS1_3repE0EEENS1_30default_config_static_selectorELNS0_4arch9wavefront6targetE0EEEvT1_.has_dyn_sized_stack, 0
	.set _ZN7rocprim17ROCPRIM_400000_NS6detail17trampoline_kernelINS0_14default_configENS1_27scan_by_key_config_selectorIiyEEZZNS1_16scan_by_key_implILNS1_25lookback_scan_determinismE0ELb0ES3_N6thrust23THRUST_200600_302600_NS6detail15normal_iteratorINS9_10device_ptrIiEEEENSB_INSC_IyEEEESG_yNS9_4plusIvEENS9_8equal_toIvEEyEE10hipError_tPvRmT2_T3_T4_T5_mT6_T7_P12ihipStream_tbENKUlT_T0_E_clISt17integral_constantIbLb1EES10_IbLb0EEEEDaSW_SX_EUlSW_E_NS1_11comp_targetILNS1_3genE8ELNS1_11target_archE1030ELNS1_3gpuE2ELNS1_3repE0EEENS1_30default_config_static_selectorELNS0_4arch9wavefront6targetE0EEEvT1_.has_recursion, 0
	.set _ZN7rocprim17ROCPRIM_400000_NS6detail17trampoline_kernelINS0_14default_configENS1_27scan_by_key_config_selectorIiyEEZZNS1_16scan_by_key_implILNS1_25lookback_scan_determinismE0ELb0ES3_N6thrust23THRUST_200600_302600_NS6detail15normal_iteratorINS9_10device_ptrIiEEEENSB_INSC_IyEEEESG_yNS9_4plusIvEENS9_8equal_toIvEEyEE10hipError_tPvRmT2_T3_T4_T5_mT6_T7_P12ihipStream_tbENKUlT_T0_E_clISt17integral_constantIbLb1EES10_IbLb0EEEEDaSW_SX_EUlSW_E_NS1_11comp_targetILNS1_3genE8ELNS1_11target_archE1030ELNS1_3gpuE2ELNS1_3repE0EEENS1_30default_config_static_selectorELNS0_4arch9wavefront6targetE0EEEvT1_.has_indirect_call, 0
	.section	.AMDGPU.csdata,"",@progbits
; Kernel info:
; codeLenInByte = 4
; TotalNumSgprs: 0
; NumVgprs: 0
; ScratchSize: 0
; MemoryBound: 0
; FloatMode: 240
; IeeeMode: 1
; LDSByteSize: 0 bytes/workgroup (compile time only)
; SGPRBlocks: 0
; VGPRBlocks: 0
; NumSGPRsForWavesPerEU: 1
; NumVGPRsForWavesPerEU: 1
; Occupancy: 16
; WaveLimiterHint : 0
; COMPUTE_PGM_RSRC2:SCRATCH_EN: 0
; COMPUTE_PGM_RSRC2:USER_SGPR: 6
; COMPUTE_PGM_RSRC2:TRAP_HANDLER: 0
; COMPUTE_PGM_RSRC2:TGID_X_EN: 1
; COMPUTE_PGM_RSRC2:TGID_Y_EN: 0
; COMPUTE_PGM_RSRC2:TGID_Z_EN: 0
; COMPUTE_PGM_RSRC2:TIDIG_COMP_CNT: 0
	.section	.text._ZN7rocprim17ROCPRIM_400000_NS6detail30init_device_scan_by_key_kernelINS1_19lookback_scan_stateINS0_5tupleIJybEEELb0ELb0EEEN6thrust23THRUST_200600_302600_NS6detail15normal_iteratorINS8_10device_ptrIiEEEEjNS1_16block_id_wrapperIjLb1EEEEEvT_jjPNSG_10value_typeET0_PNSt15iterator_traitsISJ_E10value_typeEmT1_T2_,"axG",@progbits,_ZN7rocprim17ROCPRIM_400000_NS6detail30init_device_scan_by_key_kernelINS1_19lookback_scan_stateINS0_5tupleIJybEEELb0ELb0EEEN6thrust23THRUST_200600_302600_NS6detail15normal_iteratorINS8_10device_ptrIiEEEEjNS1_16block_id_wrapperIjLb1EEEEEvT_jjPNSG_10value_typeET0_PNSt15iterator_traitsISJ_E10value_typeEmT1_T2_,comdat
	.protected	_ZN7rocprim17ROCPRIM_400000_NS6detail30init_device_scan_by_key_kernelINS1_19lookback_scan_stateINS0_5tupleIJybEEELb0ELb0EEEN6thrust23THRUST_200600_302600_NS6detail15normal_iteratorINS8_10device_ptrIiEEEEjNS1_16block_id_wrapperIjLb1EEEEEvT_jjPNSG_10value_typeET0_PNSt15iterator_traitsISJ_E10value_typeEmT1_T2_ ; -- Begin function _ZN7rocprim17ROCPRIM_400000_NS6detail30init_device_scan_by_key_kernelINS1_19lookback_scan_stateINS0_5tupleIJybEEELb0ELb0EEEN6thrust23THRUST_200600_302600_NS6detail15normal_iteratorINS8_10device_ptrIiEEEEjNS1_16block_id_wrapperIjLb1EEEEEvT_jjPNSG_10value_typeET0_PNSt15iterator_traitsISJ_E10value_typeEmT1_T2_
	.globl	_ZN7rocprim17ROCPRIM_400000_NS6detail30init_device_scan_by_key_kernelINS1_19lookback_scan_stateINS0_5tupleIJybEEELb0ELb0EEEN6thrust23THRUST_200600_302600_NS6detail15normal_iteratorINS8_10device_ptrIiEEEEjNS1_16block_id_wrapperIjLb1EEEEEvT_jjPNSG_10value_typeET0_PNSt15iterator_traitsISJ_E10value_typeEmT1_T2_
	.p2align	8
	.type	_ZN7rocprim17ROCPRIM_400000_NS6detail30init_device_scan_by_key_kernelINS1_19lookback_scan_stateINS0_5tupleIJybEEELb0ELb0EEEN6thrust23THRUST_200600_302600_NS6detail15normal_iteratorINS8_10device_ptrIiEEEEjNS1_16block_id_wrapperIjLb1EEEEEvT_jjPNSG_10value_typeET0_PNSt15iterator_traitsISJ_E10value_typeEmT1_T2_,@function
_ZN7rocprim17ROCPRIM_400000_NS6detail30init_device_scan_by_key_kernelINS1_19lookback_scan_stateINS0_5tupleIJybEEELb0ELb0EEEN6thrust23THRUST_200600_302600_NS6detail15normal_iteratorINS8_10device_ptrIiEEEEjNS1_16block_id_wrapperIjLb1EEEEEvT_jjPNSG_10value_typeET0_PNSt15iterator_traitsISJ_E10value_typeEmT1_T2_: ; @_ZN7rocprim17ROCPRIM_400000_NS6detail30init_device_scan_by_key_kernelINS1_19lookback_scan_stateINS0_5tupleIJybEEELb0ELb0EEEN6thrust23THRUST_200600_302600_NS6detail15normal_iteratorINS8_10device_ptrIiEEEEjNS1_16block_id_wrapperIjLb1EEEEEvT_jjPNSG_10value_typeET0_PNSt15iterator_traitsISJ_E10value_typeEmT1_T2_
; %bb.0:
	s_clause 0x2
	s_load_dword s0, s[4:5], 0x5c
	s_load_dwordx8 s[8:15], s[4:5], 0x10
	s_load_dword s18, s[4:5], 0x50
	s_waitcnt lgkmcnt(0)
	s_and_b32 s19, s0, 0xffff
	s_cmp_eq_u64 s[12:13], 0
	v_mad_u64_u32 v[0:1], null, s6, s19, v[0:1]
	s_cbranch_scc1 .LBB1207_6
; %bb.1:
	s_cmp_lt_u32 s11, s10
	s_mov_b32 s7, 0
	s_cselect_b32 s0, s11, 0
	s_mov_b32 s20, exec_lo
	v_cmpx_eq_u32_e64 s0, v0
	s_cbranch_execz .LBB1207_5
; %bb.2:
	s_add_i32 s6, s11, 32
	s_load_dwordx4 s[0:3], s[4:5], 0x0
	v_mov_b32_e32 v1, s6
	s_add_u32 s16, s8, s6
	s_addc_u32 s17, s9, 0
	global_load_ubyte v2, v1, s[8:9] glc dlc
	v_mov_b32_e32 v1, 0
	s_waitcnt vmcnt(0)
	v_cmp_ne_u32_sdwa s21, v2, v1 src0_sel:WORD_0 src1_sel:DWORD
	v_readfirstlane_b32 s11, v2
	s_and_b32 vcc_lo, exec_lo, s21
	s_cbranch_vccnz .LBB1207_4
.LBB1207_3:                             ; =>This Inner Loop Header: Depth=1
	global_load_ubyte v2, v1, s[16:17] glc dlc
	s_waitcnt vmcnt(0)
	v_cmp_eq_u32_sdwa s21, v2, v1 src0_sel:WORD_0 src1_sel:DWORD
	v_readfirstlane_b32 s11, v2
	s_and_b32 vcc_lo, exec_lo, s21
	s_cbranch_vccnz .LBB1207_3
.LBB1207_4:
	s_and_b32 s11, 0xffff, s11
	v_mov_b32_e32 v3, 0
	s_cmp_eq_u32 s11, 1
	s_waitcnt lgkmcnt(0)
	buffer_gl1_inv
	buffer_gl0_inv
	s_cselect_b32 s3, s1, s3
	s_cselect_b32 s2, s0, s2
	s_lshl_b64 s[0:1], s[6:7], 4
	s_add_u32 s0, s2, s0
	s_addc_u32 s1, s3, s1
	s_clause 0x1
	global_load_dwordx2 v[1:2], v3, s[0:1]
	global_load_ubyte v4, v3, s[0:1] offset:8
	s_waitcnt vmcnt(1)
	global_store_dwordx2 v3, v[1:2], s[12:13]
	s_waitcnt vmcnt(0)
	global_store_byte v3, v4, s[12:13] offset:8
.LBB1207_5:
	s_or_b32 exec_lo, exec_lo, s20
.LBB1207_6:
	s_mov_b32 s0, exec_lo
	v_cmpx_eq_u32_e32 0, v0
	s_cbranch_execz .LBB1207_8
; %bb.7:
	s_load_dwordx2 s[2:3], s[4:5], 0x48
	v_mov_b32_e32 v1, 0
	s_waitcnt lgkmcnt(0)
	global_store_dword v1, v1, s[2:3]
.LBB1207_8:
	s_or_b32 exec_lo, exec_lo, s0
	s_mov_b32 s0, exec_lo
	v_cmpx_gt_u32_e64 s10, v0
	s_cbranch_execz .LBB1207_10
; %bb.9:
	v_add_nc_u32_e32 v1, 32, v0
	v_mov_b32_e32 v2, 0
	global_store_byte v1, v2, s[8:9]
.LBB1207_10:
	s_or_b32 exec_lo, exec_lo, s0
	v_mov_b32_e32 v1, 0
	s_mov_b32 s0, exec_lo
	v_cmpx_gt_u32_e32 32, v0
	s_cbranch_execz .LBB1207_12
; %bb.11:
	v_add_co_u32 v2, s1, s8, v0
	v_add_co_ci_u32_e64 v3, null, s9, 0, s1
	v_mov_b32_e32 v4, 0xff
	global_store_byte v[2:3], v4, off
.LBB1207_12:
	s_or_b32 exec_lo, exec_lo, s0
	s_load_dwordx2 s[2:3], s[4:5], 0x38
	s_mov_b32 s0, exec_lo
	s_waitcnt lgkmcnt(0)
	v_cmpx_gt_u64_e64 s[2:3], v[0:1]
	s_cbranch_execz .LBB1207_15
; %bb.13:
	s_clause 0x1
	s_load_dword s8, s[4:5], 0x40
	s_load_dwordx2 s[6:7], s[4:5], 0x30
	s_mov_b32 s1, 0
	v_lshlrev_b64 v[4:5], 2, v[0:1]
	s_mul_i32 s4, s18, s19
	s_waitcnt lgkmcnt(0)
	v_mad_u64_u32 v[2:3], null, s8, v0, 0
	s_add_i32 s0, s8, -1
	s_mul_hi_u32 s9, s8, s4
	s_lshl_b64 s[10:11], s[0:1], 2
	s_mul_i32 s8, s8, s4
	s_add_u32 s0, s14, s10
	s_addc_u32 s5, s15, s11
	v_lshlrev_b64 v[2:3], 2, v[2:3]
	v_add_co_u32 v2, vcc_lo, s0, v2
	v_add_co_ci_u32_e64 v3, null, s5, v3, vcc_lo
	v_add_co_u32 v4, vcc_lo, s6, v4
	v_add_co_ci_u32_e64 v5, null, s7, v5, vcc_lo
	s_mov_b32 s5, s1
	s_lshl_b64 s[6:7], s[8:9], 2
	s_lshl_b64 s[8:9], s[4:5], 2
	.p2align	6
.LBB1207_14:                            ; =>This Inner Loop Header: Depth=1
	global_load_dword v6, v[2:3], off
	v_add_co_u32 v0, vcc_lo, v0, s4
	v_add_co_ci_u32_e64 v1, null, 0, v1, vcc_lo
	v_add_co_u32 v2, vcc_lo, v2, s6
	v_add_co_ci_u32_e64 v3, null, s7, v3, vcc_lo
	v_cmp_le_u64_e32 vcc_lo, s[2:3], v[0:1]
	s_or_b32 s1, vcc_lo, s1
	s_waitcnt vmcnt(0)
	global_store_dword v[4:5], v6, off
	v_add_co_u32 v4, s0, v4, s8
	v_add_co_ci_u32_e64 v5, null, s9, v5, s0
	s_andn2_b32 exec_lo, exec_lo, s1
	s_cbranch_execnz .LBB1207_14
.LBB1207_15:
	s_endpgm
	.section	.rodata,"a",@progbits
	.p2align	6, 0x0
	.amdhsa_kernel _ZN7rocprim17ROCPRIM_400000_NS6detail30init_device_scan_by_key_kernelINS1_19lookback_scan_stateINS0_5tupleIJybEEELb0ELb0EEEN6thrust23THRUST_200600_302600_NS6detail15normal_iteratorINS8_10device_ptrIiEEEEjNS1_16block_id_wrapperIjLb1EEEEEvT_jjPNSG_10value_typeET0_PNSt15iterator_traitsISJ_E10value_typeEmT1_T2_
		.amdhsa_group_segment_fixed_size 0
		.amdhsa_private_segment_fixed_size 0
		.amdhsa_kernarg_size 336
		.amdhsa_user_sgpr_count 6
		.amdhsa_user_sgpr_private_segment_buffer 1
		.amdhsa_user_sgpr_dispatch_ptr 0
		.amdhsa_user_sgpr_queue_ptr 0
		.amdhsa_user_sgpr_kernarg_segment_ptr 1
		.amdhsa_user_sgpr_dispatch_id 0
		.amdhsa_user_sgpr_flat_scratch_init 0
		.amdhsa_user_sgpr_private_segment_size 0
		.amdhsa_wavefront_size32 1
		.amdhsa_uses_dynamic_stack 0
		.amdhsa_system_sgpr_private_segment_wavefront_offset 0
		.amdhsa_system_sgpr_workgroup_id_x 1
		.amdhsa_system_sgpr_workgroup_id_y 0
		.amdhsa_system_sgpr_workgroup_id_z 0
		.amdhsa_system_sgpr_workgroup_info 0
		.amdhsa_system_vgpr_workitem_id 0
		.amdhsa_next_free_vgpr 7
		.amdhsa_next_free_sgpr 22
		.amdhsa_reserve_vcc 1
		.amdhsa_reserve_flat_scratch 0
		.amdhsa_float_round_mode_32 0
		.amdhsa_float_round_mode_16_64 0
		.amdhsa_float_denorm_mode_32 3
		.amdhsa_float_denorm_mode_16_64 3
		.amdhsa_dx10_clamp 1
		.amdhsa_ieee_mode 1
		.amdhsa_fp16_overflow 0
		.amdhsa_workgroup_processor_mode 1
		.amdhsa_memory_ordered 1
		.amdhsa_forward_progress 1
		.amdhsa_shared_vgpr_count 0
		.amdhsa_exception_fp_ieee_invalid_op 0
		.amdhsa_exception_fp_denorm_src 0
		.amdhsa_exception_fp_ieee_div_zero 0
		.amdhsa_exception_fp_ieee_overflow 0
		.amdhsa_exception_fp_ieee_underflow 0
		.amdhsa_exception_fp_ieee_inexact 0
		.amdhsa_exception_int_div_zero 0
	.end_amdhsa_kernel
	.section	.text._ZN7rocprim17ROCPRIM_400000_NS6detail30init_device_scan_by_key_kernelINS1_19lookback_scan_stateINS0_5tupleIJybEEELb0ELb0EEEN6thrust23THRUST_200600_302600_NS6detail15normal_iteratorINS8_10device_ptrIiEEEEjNS1_16block_id_wrapperIjLb1EEEEEvT_jjPNSG_10value_typeET0_PNSt15iterator_traitsISJ_E10value_typeEmT1_T2_,"axG",@progbits,_ZN7rocprim17ROCPRIM_400000_NS6detail30init_device_scan_by_key_kernelINS1_19lookback_scan_stateINS0_5tupleIJybEEELb0ELb0EEEN6thrust23THRUST_200600_302600_NS6detail15normal_iteratorINS8_10device_ptrIiEEEEjNS1_16block_id_wrapperIjLb1EEEEEvT_jjPNSG_10value_typeET0_PNSt15iterator_traitsISJ_E10value_typeEmT1_T2_,comdat
.Lfunc_end1207:
	.size	_ZN7rocprim17ROCPRIM_400000_NS6detail30init_device_scan_by_key_kernelINS1_19lookback_scan_stateINS0_5tupleIJybEEELb0ELb0EEEN6thrust23THRUST_200600_302600_NS6detail15normal_iteratorINS8_10device_ptrIiEEEEjNS1_16block_id_wrapperIjLb1EEEEEvT_jjPNSG_10value_typeET0_PNSt15iterator_traitsISJ_E10value_typeEmT1_T2_, .Lfunc_end1207-_ZN7rocprim17ROCPRIM_400000_NS6detail30init_device_scan_by_key_kernelINS1_19lookback_scan_stateINS0_5tupleIJybEEELb0ELb0EEEN6thrust23THRUST_200600_302600_NS6detail15normal_iteratorINS8_10device_ptrIiEEEEjNS1_16block_id_wrapperIjLb1EEEEEvT_jjPNSG_10value_typeET0_PNSt15iterator_traitsISJ_E10value_typeEmT1_T2_
                                        ; -- End function
	.set _ZN7rocprim17ROCPRIM_400000_NS6detail30init_device_scan_by_key_kernelINS1_19lookback_scan_stateINS0_5tupleIJybEEELb0ELb0EEEN6thrust23THRUST_200600_302600_NS6detail15normal_iteratorINS8_10device_ptrIiEEEEjNS1_16block_id_wrapperIjLb1EEEEEvT_jjPNSG_10value_typeET0_PNSt15iterator_traitsISJ_E10value_typeEmT1_T2_.num_vgpr, 7
	.set _ZN7rocprim17ROCPRIM_400000_NS6detail30init_device_scan_by_key_kernelINS1_19lookback_scan_stateINS0_5tupleIJybEEELb0ELb0EEEN6thrust23THRUST_200600_302600_NS6detail15normal_iteratorINS8_10device_ptrIiEEEEjNS1_16block_id_wrapperIjLb1EEEEEvT_jjPNSG_10value_typeET0_PNSt15iterator_traitsISJ_E10value_typeEmT1_T2_.num_agpr, 0
	.set _ZN7rocprim17ROCPRIM_400000_NS6detail30init_device_scan_by_key_kernelINS1_19lookback_scan_stateINS0_5tupleIJybEEELb0ELb0EEEN6thrust23THRUST_200600_302600_NS6detail15normal_iteratorINS8_10device_ptrIiEEEEjNS1_16block_id_wrapperIjLb1EEEEEvT_jjPNSG_10value_typeET0_PNSt15iterator_traitsISJ_E10value_typeEmT1_T2_.numbered_sgpr, 22
	.set _ZN7rocprim17ROCPRIM_400000_NS6detail30init_device_scan_by_key_kernelINS1_19lookback_scan_stateINS0_5tupleIJybEEELb0ELb0EEEN6thrust23THRUST_200600_302600_NS6detail15normal_iteratorINS8_10device_ptrIiEEEEjNS1_16block_id_wrapperIjLb1EEEEEvT_jjPNSG_10value_typeET0_PNSt15iterator_traitsISJ_E10value_typeEmT1_T2_.num_named_barrier, 0
	.set _ZN7rocprim17ROCPRIM_400000_NS6detail30init_device_scan_by_key_kernelINS1_19lookback_scan_stateINS0_5tupleIJybEEELb0ELb0EEEN6thrust23THRUST_200600_302600_NS6detail15normal_iteratorINS8_10device_ptrIiEEEEjNS1_16block_id_wrapperIjLb1EEEEEvT_jjPNSG_10value_typeET0_PNSt15iterator_traitsISJ_E10value_typeEmT1_T2_.private_seg_size, 0
	.set _ZN7rocprim17ROCPRIM_400000_NS6detail30init_device_scan_by_key_kernelINS1_19lookback_scan_stateINS0_5tupleIJybEEELb0ELb0EEEN6thrust23THRUST_200600_302600_NS6detail15normal_iteratorINS8_10device_ptrIiEEEEjNS1_16block_id_wrapperIjLb1EEEEEvT_jjPNSG_10value_typeET0_PNSt15iterator_traitsISJ_E10value_typeEmT1_T2_.uses_vcc, 1
	.set _ZN7rocprim17ROCPRIM_400000_NS6detail30init_device_scan_by_key_kernelINS1_19lookback_scan_stateINS0_5tupleIJybEEELb0ELb0EEEN6thrust23THRUST_200600_302600_NS6detail15normal_iteratorINS8_10device_ptrIiEEEEjNS1_16block_id_wrapperIjLb1EEEEEvT_jjPNSG_10value_typeET0_PNSt15iterator_traitsISJ_E10value_typeEmT1_T2_.uses_flat_scratch, 0
	.set _ZN7rocprim17ROCPRIM_400000_NS6detail30init_device_scan_by_key_kernelINS1_19lookback_scan_stateINS0_5tupleIJybEEELb0ELb0EEEN6thrust23THRUST_200600_302600_NS6detail15normal_iteratorINS8_10device_ptrIiEEEEjNS1_16block_id_wrapperIjLb1EEEEEvT_jjPNSG_10value_typeET0_PNSt15iterator_traitsISJ_E10value_typeEmT1_T2_.has_dyn_sized_stack, 0
	.set _ZN7rocprim17ROCPRIM_400000_NS6detail30init_device_scan_by_key_kernelINS1_19lookback_scan_stateINS0_5tupleIJybEEELb0ELb0EEEN6thrust23THRUST_200600_302600_NS6detail15normal_iteratorINS8_10device_ptrIiEEEEjNS1_16block_id_wrapperIjLb1EEEEEvT_jjPNSG_10value_typeET0_PNSt15iterator_traitsISJ_E10value_typeEmT1_T2_.has_recursion, 0
	.set _ZN7rocprim17ROCPRIM_400000_NS6detail30init_device_scan_by_key_kernelINS1_19lookback_scan_stateINS0_5tupleIJybEEELb0ELb0EEEN6thrust23THRUST_200600_302600_NS6detail15normal_iteratorINS8_10device_ptrIiEEEEjNS1_16block_id_wrapperIjLb1EEEEEvT_jjPNSG_10value_typeET0_PNSt15iterator_traitsISJ_E10value_typeEmT1_T2_.has_indirect_call, 0
	.section	.AMDGPU.csdata,"",@progbits
; Kernel info:
; codeLenInByte = 664
; TotalNumSgprs: 24
; NumVgprs: 7
; ScratchSize: 0
; MemoryBound: 0
; FloatMode: 240
; IeeeMode: 1
; LDSByteSize: 0 bytes/workgroup (compile time only)
; SGPRBlocks: 0
; VGPRBlocks: 0
; NumSGPRsForWavesPerEU: 24
; NumVGPRsForWavesPerEU: 7
; Occupancy: 16
; WaveLimiterHint : 0
; COMPUTE_PGM_RSRC2:SCRATCH_EN: 0
; COMPUTE_PGM_RSRC2:USER_SGPR: 6
; COMPUTE_PGM_RSRC2:TRAP_HANDLER: 0
; COMPUTE_PGM_RSRC2:TGID_X_EN: 1
; COMPUTE_PGM_RSRC2:TGID_Y_EN: 0
; COMPUTE_PGM_RSRC2:TGID_Z_EN: 0
; COMPUTE_PGM_RSRC2:TIDIG_COMP_CNT: 0
	.section	.text._ZN7rocprim17ROCPRIM_400000_NS6detail30init_device_scan_by_key_kernelINS1_19lookback_scan_stateINS0_5tupleIJybEEELb0ELb0EEENS1_16block_id_wrapperIjLb1EEEEEvT_jjPNS9_10value_typeET0_,"axG",@progbits,_ZN7rocprim17ROCPRIM_400000_NS6detail30init_device_scan_by_key_kernelINS1_19lookback_scan_stateINS0_5tupleIJybEEELb0ELb0EEENS1_16block_id_wrapperIjLb1EEEEEvT_jjPNS9_10value_typeET0_,comdat
	.protected	_ZN7rocprim17ROCPRIM_400000_NS6detail30init_device_scan_by_key_kernelINS1_19lookback_scan_stateINS0_5tupleIJybEEELb0ELb0EEENS1_16block_id_wrapperIjLb1EEEEEvT_jjPNS9_10value_typeET0_ ; -- Begin function _ZN7rocprim17ROCPRIM_400000_NS6detail30init_device_scan_by_key_kernelINS1_19lookback_scan_stateINS0_5tupleIJybEEELb0ELb0EEENS1_16block_id_wrapperIjLb1EEEEEvT_jjPNS9_10value_typeET0_
	.globl	_ZN7rocprim17ROCPRIM_400000_NS6detail30init_device_scan_by_key_kernelINS1_19lookback_scan_stateINS0_5tupleIJybEEELb0ELb0EEENS1_16block_id_wrapperIjLb1EEEEEvT_jjPNS9_10value_typeET0_
	.p2align	8
	.type	_ZN7rocprim17ROCPRIM_400000_NS6detail30init_device_scan_by_key_kernelINS1_19lookback_scan_stateINS0_5tupleIJybEEELb0ELb0EEENS1_16block_id_wrapperIjLb1EEEEEvT_jjPNS9_10value_typeET0_,@function
_ZN7rocprim17ROCPRIM_400000_NS6detail30init_device_scan_by_key_kernelINS1_19lookback_scan_stateINS0_5tupleIJybEEELb0ELb0EEENS1_16block_id_wrapperIjLb1EEEEEvT_jjPNS9_10value_typeET0_: ; @_ZN7rocprim17ROCPRIM_400000_NS6detail30init_device_scan_by_key_kernelINS1_19lookback_scan_stateINS0_5tupleIJybEEELb0ELb0EEENS1_16block_id_wrapperIjLb1EEEEEvT_jjPNS9_10value_typeET0_
; %bb.0:
	s_clause 0x1
	s_load_dword s0, s[4:5], 0x3c
	s_load_dwordx8 s[8:15], s[4:5], 0x10
	s_waitcnt lgkmcnt(0)
	s_and_b32 s0, s0, 0xffff
	s_cmp_eq_u64 s[12:13], 0
	v_mad_u64_u32 v[0:1], null, s6, s0, v[0:1]
	s_cbranch_scc1 .LBB1208_6
; %bb.1:
	s_cmp_lt_u32 s11, s10
	s_mov_b32 s7, 0
	s_cselect_b32 s0, s11, 0
	s_mov_b32 s16, exec_lo
	v_cmpx_eq_u32_e64 s0, v0
	s_cbranch_execz .LBB1208_5
; %bb.2:
	s_add_i32 s6, s11, 32
	s_load_dwordx4 s[0:3], s[4:5], 0x0
	v_mov_b32_e32 v1, s6
	s_add_u32 s4, s8, s6
	s_addc_u32 s5, s9, 0
	global_load_ubyte v2, v1, s[8:9] glc dlc
	v_mov_b32_e32 v1, 0
	s_waitcnt vmcnt(0)
	v_cmp_ne_u32_sdwa s17, v2, v1 src0_sel:WORD_0 src1_sel:DWORD
	v_readfirstlane_b32 s11, v2
	s_and_b32 vcc_lo, exec_lo, s17
	s_cbranch_vccnz .LBB1208_4
.LBB1208_3:                             ; =>This Inner Loop Header: Depth=1
	global_load_ubyte v2, v1, s[4:5] glc dlc
	s_waitcnt vmcnt(0)
	v_cmp_eq_u32_sdwa s17, v2, v1 src0_sel:WORD_0 src1_sel:DWORD
	v_readfirstlane_b32 s11, v2
	s_and_b32 vcc_lo, exec_lo, s17
	s_cbranch_vccnz .LBB1208_3
.LBB1208_4:
	s_and_b32 s4, 0xffff, s11
	v_mov_b32_e32 v3, 0
	s_cmp_eq_u32 s4, 1
	s_waitcnt lgkmcnt(0)
	buffer_gl1_inv
	buffer_gl0_inv
	s_cselect_b32 s3, s1, s3
	s_cselect_b32 s2, s0, s2
	s_lshl_b64 s[0:1], s[6:7], 4
	s_add_u32 s0, s2, s0
	s_addc_u32 s1, s3, s1
	s_clause 0x1
	global_load_dwordx2 v[1:2], v3, s[0:1]
	global_load_ubyte v4, v3, s[0:1] offset:8
	s_waitcnt vmcnt(1)
	global_store_dwordx2 v3, v[1:2], s[12:13]
	s_waitcnt vmcnt(0)
	global_store_byte v3, v4, s[12:13] offset:8
.LBB1208_5:
	s_or_b32 exec_lo, exec_lo, s16
.LBB1208_6:
	s_mov_b32 s0, exec_lo
	v_cmpx_eq_u32_e32 0, v0
	s_cbranch_execz .LBB1208_8
; %bb.7:
	v_mov_b32_e32 v1, 0
	global_store_dword v1, v1, s[14:15]
.LBB1208_8:
	s_or_b32 exec_lo, exec_lo, s0
	s_mov_b32 s0, exec_lo
	v_cmpx_gt_u32_e64 s10, v0
	s_cbranch_execz .LBB1208_10
; %bb.9:
	v_add_nc_u32_e32 v1, 32, v0
	v_mov_b32_e32 v2, 0
	global_store_byte v1, v2, s[8:9]
.LBB1208_10:
	s_or_b32 exec_lo, exec_lo, s0
	s_mov_b32 s0, exec_lo
	v_cmpx_gt_u32_e32 32, v0
	s_cbranch_execz .LBB1208_12
; %bb.11:
	v_mov_b32_e32 v1, 0xff
	global_store_byte v0, v1, s[8:9]
.LBB1208_12:
	s_endpgm
	.section	.rodata,"a",@progbits
	.p2align	6, 0x0
	.amdhsa_kernel _ZN7rocprim17ROCPRIM_400000_NS6detail30init_device_scan_by_key_kernelINS1_19lookback_scan_stateINS0_5tupleIJybEEELb0ELb0EEENS1_16block_id_wrapperIjLb1EEEEEvT_jjPNS9_10value_typeET0_
		.amdhsa_group_segment_fixed_size 0
		.amdhsa_private_segment_fixed_size 0
		.amdhsa_kernarg_size 304
		.amdhsa_user_sgpr_count 6
		.amdhsa_user_sgpr_private_segment_buffer 1
		.amdhsa_user_sgpr_dispatch_ptr 0
		.amdhsa_user_sgpr_queue_ptr 0
		.amdhsa_user_sgpr_kernarg_segment_ptr 1
		.amdhsa_user_sgpr_dispatch_id 0
		.amdhsa_user_sgpr_flat_scratch_init 0
		.amdhsa_user_sgpr_private_segment_size 0
		.amdhsa_wavefront_size32 1
		.amdhsa_uses_dynamic_stack 0
		.amdhsa_system_sgpr_private_segment_wavefront_offset 0
		.amdhsa_system_sgpr_workgroup_id_x 1
		.amdhsa_system_sgpr_workgroup_id_y 0
		.amdhsa_system_sgpr_workgroup_id_z 0
		.amdhsa_system_sgpr_workgroup_info 0
		.amdhsa_system_vgpr_workitem_id 0
		.amdhsa_next_free_vgpr 5
		.amdhsa_next_free_sgpr 18
		.amdhsa_reserve_vcc 1
		.amdhsa_reserve_flat_scratch 0
		.amdhsa_float_round_mode_32 0
		.amdhsa_float_round_mode_16_64 0
		.amdhsa_float_denorm_mode_32 3
		.amdhsa_float_denorm_mode_16_64 3
		.amdhsa_dx10_clamp 1
		.amdhsa_ieee_mode 1
		.amdhsa_fp16_overflow 0
		.amdhsa_workgroup_processor_mode 1
		.amdhsa_memory_ordered 1
		.amdhsa_forward_progress 1
		.amdhsa_shared_vgpr_count 0
		.amdhsa_exception_fp_ieee_invalid_op 0
		.amdhsa_exception_fp_denorm_src 0
		.amdhsa_exception_fp_ieee_div_zero 0
		.amdhsa_exception_fp_ieee_overflow 0
		.amdhsa_exception_fp_ieee_underflow 0
		.amdhsa_exception_fp_ieee_inexact 0
		.amdhsa_exception_int_div_zero 0
	.end_amdhsa_kernel
	.section	.text._ZN7rocprim17ROCPRIM_400000_NS6detail30init_device_scan_by_key_kernelINS1_19lookback_scan_stateINS0_5tupleIJybEEELb0ELb0EEENS1_16block_id_wrapperIjLb1EEEEEvT_jjPNS9_10value_typeET0_,"axG",@progbits,_ZN7rocprim17ROCPRIM_400000_NS6detail30init_device_scan_by_key_kernelINS1_19lookback_scan_stateINS0_5tupleIJybEEELb0ELb0EEENS1_16block_id_wrapperIjLb1EEEEEvT_jjPNS9_10value_typeET0_,comdat
.Lfunc_end1208:
	.size	_ZN7rocprim17ROCPRIM_400000_NS6detail30init_device_scan_by_key_kernelINS1_19lookback_scan_stateINS0_5tupleIJybEEELb0ELb0EEENS1_16block_id_wrapperIjLb1EEEEEvT_jjPNS9_10value_typeET0_, .Lfunc_end1208-_ZN7rocprim17ROCPRIM_400000_NS6detail30init_device_scan_by_key_kernelINS1_19lookback_scan_stateINS0_5tupleIJybEEELb0ELb0EEENS1_16block_id_wrapperIjLb1EEEEEvT_jjPNS9_10value_typeET0_
                                        ; -- End function
	.set _ZN7rocprim17ROCPRIM_400000_NS6detail30init_device_scan_by_key_kernelINS1_19lookback_scan_stateINS0_5tupleIJybEEELb0ELb0EEENS1_16block_id_wrapperIjLb1EEEEEvT_jjPNS9_10value_typeET0_.num_vgpr, 5
	.set _ZN7rocprim17ROCPRIM_400000_NS6detail30init_device_scan_by_key_kernelINS1_19lookback_scan_stateINS0_5tupleIJybEEELb0ELb0EEENS1_16block_id_wrapperIjLb1EEEEEvT_jjPNS9_10value_typeET0_.num_agpr, 0
	.set _ZN7rocprim17ROCPRIM_400000_NS6detail30init_device_scan_by_key_kernelINS1_19lookback_scan_stateINS0_5tupleIJybEEELb0ELb0EEENS1_16block_id_wrapperIjLb1EEEEEvT_jjPNS9_10value_typeET0_.numbered_sgpr, 18
	.set _ZN7rocprim17ROCPRIM_400000_NS6detail30init_device_scan_by_key_kernelINS1_19lookback_scan_stateINS0_5tupleIJybEEELb0ELb0EEENS1_16block_id_wrapperIjLb1EEEEEvT_jjPNS9_10value_typeET0_.num_named_barrier, 0
	.set _ZN7rocprim17ROCPRIM_400000_NS6detail30init_device_scan_by_key_kernelINS1_19lookback_scan_stateINS0_5tupleIJybEEELb0ELb0EEENS1_16block_id_wrapperIjLb1EEEEEvT_jjPNS9_10value_typeET0_.private_seg_size, 0
	.set _ZN7rocprim17ROCPRIM_400000_NS6detail30init_device_scan_by_key_kernelINS1_19lookback_scan_stateINS0_5tupleIJybEEELb0ELb0EEENS1_16block_id_wrapperIjLb1EEEEEvT_jjPNS9_10value_typeET0_.uses_vcc, 1
	.set _ZN7rocprim17ROCPRIM_400000_NS6detail30init_device_scan_by_key_kernelINS1_19lookback_scan_stateINS0_5tupleIJybEEELb0ELb0EEENS1_16block_id_wrapperIjLb1EEEEEvT_jjPNS9_10value_typeET0_.uses_flat_scratch, 0
	.set _ZN7rocprim17ROCPRIM_400000_NS6detail30init_device_scan_by_key_kernelINS1_19lookback_scan_stateINS0_5tupleIJybEEELb0ELb0EEENS1_16block_id_wrapperIjLb1EEEEEvT_jjPNS9_10value_typeET0_.has_dyn_sized_stack, 0
	.set _ZN7rocprim17ROCPRIM_400000_NS6detail30init_device_scan_by_key_kernelINS1_19lookback_scan_stateINS0_5tupleIJybEEELb0ELb0EEENS1_16block_id_wrapperIjLb1EEEEEvT_jjPNS9_10value_typeET0_.has_recursion, 0
	.set _ZN7rocprim17ROCPRIM_400000_NS6detail30init_device_scan_by_key_kernelINS1_19lookback_scan_stateINS0_5tupleIJybEEELb0ELb0EEENS1_16block_id_wrapperIjLb1EEEEEvT_jjPNS9_10value_typeET0_.has_indirect_call, 0
	.section	.AMDGPU.csdata,"",@progbits
; Kernel info:
; codeLenInByte = 368
; TotalNumSgprs: 20
; NumVgprs: 5
; ScratchSize: 0
; MemoryBound: 0
; FloatMode: 240
; IeeeMode: 1
; LDSByteSize: 0 bytes/workgroup (compile time only)
; SGPRBlocks: 0
; VGPRBlocks: 0
; NumSGPRsForWavesPerEU: 20
; NumVGPRsForWavesPerEU: 5
; Occupancy: 16
; WaveLimiterHint : 0
; COMPUTE_PGM_RSRC2:SCRATCH_EN: 0
; COMPUTE_PGM_RSRC2:USER_SGPR: 6
; COMPUTE_PGM_RSRC2:TRAP_HANDLER: 0
; COMPUTE_PGM_RSRC2:TGID_X_EN: 1
; COMPUTE_PGM_RSRC2:TGID_Y_EN: 0
; COMPUTE_PGM_RSRC2:TGID_Z_EN: 0
; COMPUTE_PGM_RSRC2:TIDIG_COMP_CNT: 0
	.section	.text._ZN7rocprim17ROCPRIM_400000_NS6detail17trampoline_kernelINS0_14default_configENS1_27scan_by_key_config_selectorIiyEEZZNS1_16scan_by_key_implILNS1_25lookback_scan_determinismE0ELb0ES3_N6thrust23THRUST_200600_302600_NS6detail15normal_iteratorINS9_10device_ptrIiEEEENSB_INSC_IyEEEESG_yNS9_4plusIvEENS9_8equal_toIvEEyEE10hipError_tPvRmT2_T3_T4_T5_mT6_T7_P12ihipStream_tbENKUlT_T0_E_clISt17integral_constantIbLb0EES10_IbLb1EEEEDaSW_SX_EUlSW_E_NS1_11comp_targetILNS1_3genE0ELNS1_11target_archE4294967295ELNS1_3gpuE0ELNS1_3repE0EEENS1_30default_config_static_selectorELNS0_4arch9wavefront6targetE0EEEvT1_,"axG",@progbits,_ZN7rocprim17ROCPRIM_400000_NS6detail17trampoline_kernelINS0_14default_configENS1_27scan_by_key_config_selectorIiyEEZZNS1_16scan_by_key_implILNS1_25lookback_scan_determinismE0ELb0ES3_N6thrust23THRUST_200600_302600_NS6detail15normal_iteratorINS9_10device_ptrIiEEEENSB_INSC_IyEEEESG_yNS9_4plusIvEENS9_8equal_toIvEEyEE10hipError_tPvRmT2_T3_T4_T5_mT6_T7_P12ihipStream_tbENKUlT_T0_E_clISt17integral_constantIbLb0EES10_IbLb1EEEEDaSW_SX_EUlSW_E_NS1_11comp_targetILNS1_3genE0ELNS1_11target_archE4294967295ELNS1_3gpuE0ELNS1_3repE0EEENS1_30default_config_static_selectorELNS0_4arch9wavefront6targetE0EEEvT1_,comdat
	.protected	_ZN7rocprim17ROCPRIM_400000_NS6detail17trampoline_kernelINS0_14default_configENS1_27scan_by_key_config_selectorIiyEEZZNS1_16scan_by_key_implILNS1_25lookback_scan_determinismE0ELb0ES3_N6thrust23THRUST_200600_302600_NS6detail15normal_iteratorINS9_10device_ptrIiEEEENSB_INSC_IyEEEESG_yNS9_4plusIvEENS9_8equal_toIvEEyEE10hipError_tPvRmT2_T3_T4_T5_mT6_T7_P12ihipStream_tbENKUlT_T0_E_clISt17integral_constantIbLb0EES10_IbLb1EEEEDaSW_SX_EUlSW_E_NS1_11comp_targetILNS1_3genE0ELNS1_11target_archE4294967295ELNS1_3gpuE0ELNS1_3repE0EEENS1_30default_config_static_selectorELNS0_4arch9wavefront6targetE0EEEvT1_ ; -- Begin function _ZN7rocprim17ROCPRIM_400000_NS6detail17trampoline_kernelINS0_14default_configENS1_27scan_by_key_config_selectorIiyEEZZNS1_16scan_by_key_implILNS1_25lookback_scan_determinismE0ELb0ES3_N6thrust23THRUST_200600_302600_NS6detail15normal_iteratorINS9_10device_ptrIiEEEENSB_INSC_IyEEEESG_yNS9_4plusIvEENS9_8equal_toIvEEyEE10hipError_tPvRmT2_T3_T4_T5_mT6_T7_P12ihipStream_tbENKUlT_T0_E_clISt17integral_constantIbLb0EES10_IbLb1EEEEDaSW_SX_EUlSW_E_NS1_11comp_targetILNS1_3genE0ELNS1_11target_archE4294967295ELNS1_3gpuE0ELNS1_3repE0EEENS1_30default_config_static_selectorELNS0_4arch9wavefront6targetE0EEEvT1_
	.globl	_ZN7rocprim17ROCPRIM_400000_NS6detail17trampoline_kernelINS0_14default_configENS1_27scan_by_key_config_selectorIiyEEZZNS1_16scan_by_key_implILNS1_25lookback_scan_determinismE0ELb0ES3_N6thrust23THRUST_200600_302600_NS6detail15normal_iteratorINS9_10device_ptrIiEEEENSB_INSC_IyEEEESG_yNS9_4plusIvEENS9_8equal_toIvEEyEE10hipError_tPvRmT2_T3_T4_T5_mT6_T7_P12ihipStream_tbENKUlT_T0_E_clISt17integral_constantIbLb0EES10_IbLb1EEEEDaSW_SX_EUlSW_E_NS1_11comp_targetILNS1_3genE0ELNS1_11target_archE4294967295ELNS1_3gpuE0ELNS1_3repE0EEENS1_30default_config_static_selectorELNS0_4arch9wavefront6targetE0EEEvT1_
	.p2align	8
	.type	_ZN7rocprim17ROCPRIM_400000_NS6detail17trampoline_kernelINS0_14default_configENS1_27scan_by_key_config_selectorIiyEEZZNS1_16scan_by_key_implILNS1_25lookback_scan_determinismE0ELb0ES3_N6thrust23THRUST_200600_302600_NS6detail15normal_iteratorINS9_10device_ptrIiEEEENSB_INSC_IyEEEESG_yNS9_4plusIvEENS9_8equal_toIvEEyEE10hipError_tPvRmT2_T3_T4_T5_mT6_T7_P12ihipStream_tbENKUlT_T0_E_clISt17integral_constantIbLb0EES10_IbLb1EEEEDaSW_SX_EUlSW_E_NS1_11comp_targetILNS1_3genE0ELNS1_11target_archE4294967295ELNS1_3gpuE0ELNS1_3repE0EEENS1_30default_config_static_selectorELNS0_4arch9wavefront6targetE0EEEvT1_,@function
_ZN7rocprim17ROCPRIM_400000_NS6detail17trampoline_kernelINS0_14default_configENS1_27scan_by_key_config_selectorIiyEEZZNS1_16scan_by_key_implILNS1_25lookback_scan_determinismE0ELb0ES3_N6thrust23THRUST_200600_302600_NS6detail15normal_iteratorINS9_10device_ptrIiEEEENSB_INSC_IyEEEESG_yNS9_4plusIvEENS9_8equal_toIvEEyEE10hipError_tPvRmT2_T3_T4_T5_mT6_T7_P12ihipStream_tbENKUlT_T0_E_clISt17integral_constantIbLb0EES10_IbLb1EEEEDaSW_SX_EUlSW_E_NS1_11comp_targetILNS1_3genE0ELNS1_11target_archE4294967295ELNS1_3gpuE0ELNS1_3repE0EEENS1_30default_config_static_selectorELNS0_4arch9wavefront6targetE0EEEvT1_: ; @_ZN7rocprim17ROCPRIM_400000_NS6detail17trampoline_kernelINS0_14default_configENS1_27scan_by_key_config_selectorIiyEEZZNS1_16scan_by_key_implILNS1_25lookback_scan_determinismE0ELb0ES3_N6thrust23THRUST_200600_302600_NS6detail15normal_iteratorINS9_10device_ptrIiEEEENSB_INSC_IyEEEESG_yNS9_4plusIvEENS9_8equal_toIvEEyEE10hipError_tPvRmT2_T3_T4_T5_mT6_T7_P12ihipStream_tbENKUlT_T0_E_clISt17integral_constantIbLb0EES10_IbLb1EEEEDaSW_SX_EUlSW_E_NS1_11comp_targetILNS1_3genE0ELNS1_11target_archE4294967295ELNS1_3gpuE0ELNS1_3repE0EEENS1_30default_config_static_selectorELNS0_4arch9wavefront6targetE0EEEvT1_
; %bb.0:
	.section	.rodata,"a",@progbits
	.p2align	6, 0x0
	.amdhsa_kernel _ZN7rocprim17ROCPRIM_400000_NS6detail17trampoline_kernelINS0_14default_configENS1_27scan_by_key_config_selectorIiyEEZZNS1_16scan_by_key_implILNS1_25lookback_scan_determinismE0ELb0ES3_N6thrust23THRUST_200600_302600_NS6detail15normal_iteratorINS9_10device_ptrIiEEEENSB_INSC_IyEEEESG_yNS9_4plusIvEENS9_8equal_toIvEEyEE10hipError_tPvRmT2_T3_T4_T5_mT6_T7_P12ihipStream_tbENKUlT_T0_E_clISt17integral_constantIbLb0EES10_IbLb1EEEEDaSW_SX_EUlSW_E_NS1_11comp_targetILNS1_3genE0ELNS1_11target_archE4294967295ELNS1_3gpuE0ELNS1_3repE0EEENS1_30default_config_static_selectorELNS0_4arch9wavefront6targetE0EEEvT1_
		.amdhsa_group_segment_fixed_size 0
		.amdhsa_private_segment_fixed_size 0
		.amdhsa_kernarg_size 136
		.amdhsa_user_sgpr_count 6
		.amdhsa_user_sgpr_private_segment_buffer 1
		.amdhsa_user_sgpr_dispatch_ptr 0
		.amdhsa_user_sgpr_queue_ptr 0
		.amdhsa_user_sgpr_kernarg_segment_ptr 1
		.amdhsa_user_sgpr_dispatch_id 0
		.amdhsa_user_sgpr_flat_scratch_init 0
		.amdhsa_user_sgpr_private_segment_size 0
		.amdhsa_wavefront_size32 1
		.amdhsa_uses_dynamic_stack 0
		.amdhsa_system_sgpr_private_segment_wavefront_offset 0
		.amdhsa_system_sgpr_workgroup_id_x 1
		.amdhsa_system_sgpr_workgroup_id_y 0
		.amdhsa_system_sgpr_workgroup_id_z 0
		.amdhsa_system_sgpr_workgroup_info 0
		.amdhsa_system_vgpr_workitem_id 0
		.amdhsa_next_free_vgpr 1
		.amdhsa_next_free_sgpr 1
		.amdhsa_reserve_vcc 0
		.amdhsa_reserve_flat_scratch 0
		.amdhsa_float_round_mode_32 0
		.amdhsa_float_round_mode_16_64 0
		.amdhsa_float_denorm_mode_32 3
		.amdhsa_float_denorm_mode_16_64 3
		.amdhsa_dx10_clamp 1
		.amdhsa_ieee_mode 1
		.amdhsa_fp16_overflow 0
		.amdhsa_workgroup_processor_mode 1
		.amdhsa_memory_ordered 1
		.amdhsa_forward_progress 1
		.amdhsa_shared_vgpr_count 0
		.amdhsa_exception_fp_ieee_invalid_op 0
		.amdhsa_exception_fp_denorm_src 0
		.amdhsa_exception_fp_ieee_div_zero 0
		.amdhsa_exception_fp_ieee_overflow 0
		.amdhsa_exception_fp_ieee_underflow 0
		.amdhsa_exception_fp_ieee_inexact 0
		.amdhsa_exception_int_div_zero 0
	.end_amdhsa_kernel
	.section	.text._ZN7rocprim17ROCPRIM_400000_NS6detail17trampoline_kernelINS0_14default_configENS1_27scan_by_key_config_selectorIiyEEZZNS1_16scan_by_key_implILNS1_25lookback_scan_determinismE0ELb0ES3_N6thrust23THRUST_200600_302600_NS6detail15normal_iteratorINS9_10device_ptrIiEEEENSB_INSC_IyEEEESG_yNS9_4plusIvEENS9_8equal_toIvEEyEE10hipError_tPvRmT2_T3_T4_T5_mT6_T7_P12ihipStream_tbENKUlT_T0_E_clISt17integral_constantIbLb0EES10_IbLb1EEEEDaSW_SX_EUlSW_E_NS1_11comp_targetILNS1_3genE0ELNS1_11target_archE4294967295ELNS1_3gpuE0ELNS1_3repE0EEENS1_30default_config_static_selectorELNS0_4arch9wavefront6targetE0EEEvT1_,"axG",@progbits,_ZN7rocprim17ROCPRIM_400000_NS6detail17trampoline_kernelINS0_14default_configENS1_27scan_by_key_config_selectorIiyEEZZNS1_16scan_by_key_implILNS1_25lookback_scan_determinismE0ELb0ES3_N6thrust23THRUST_200600_302600_NS6detail15normal_iteratorINS9_10device_ptrIiEEEENSB_INSC_IyEEEESG_yNS9_4plusIvEENS9_8equal_toIvEEyEE10hipError_tPvRmT2_T3_T4_T5_mT6_T7_P12ihipStream_tbENKUlT_T0_E_clISt17integral_constantIbLb0EES10_IbLb1EEEEDaSW_SX_EUlSW_E_NS1_11comp_targetILNS1_3genE0ELNS1_11target_archE4294967295ELNS1_3gpuE0ELNS1_3repE0EEENS1_30default_config_static_selectorELNS0_4arch9wavefront6targetE0EEEvT1_,comdat
.Lfunc_end1209:
	.size	_ZN7rocprim17ROCPRIM_400000_NS6detail17trampoline_kernelINS0_14default_configENS1_27scan_by_key_config_selectorIiyEEZZNS1_16scan_by_key_implILNS1_25lookback_scan_determinismE0ELb0ES3_N6thrust23THRUST_200600_302600_NS6detail15normal_iteratorINS9_10device_ptrIiEEEENSB_INSC_IyEEEESG_yNS9_4plusIvEENS9_8equal_toIvEEyEE10hipError_tPvRmT2_T3_T4_T5_mT6_T7_P12ihipStream_tbENKUlT_T0_E_clISt17integral_constantIbLb0EES10_IbLb1EEEEDaSW_SX_EUlSW_E_NS1_11comp_targetILNS1_3genE0ELNS1_11target_archE4294967295ELNS1_3gpuE0ELNS1_3repE0EEENS1_30default_config_static_selectorELNS0_4arch9wavefront6targetE0EEEvT1_, .Lfunc_end1209-_ZN7rocprim17ROCPRIM_400000_NS6detail17trampoline_kernelINS0_14default_configENS1_27scan_by_key_config_selectorIiyEEZZNS1_16scan_by_key_implILNS1_25lookback_scan_determinismE0ELb0ES3_N6thrust23THRUST_200600_302600_NS6detail15normal_iteratorINS9_10device_ptrIiEEEENSB_INSC_IyEEEESG_yNS9_4plusIvEENS9_8equal_toIvEEyEE10hipError_tPvRmT2_T3_T4_T5_mT6_T7_P12ihipStream_tbENKUlT_T0_E_clISt17integral_constantIbLb0EES10_IbLb1EEEEDaSW_SX_EUlSW_E_NS1_11comp_targetILNS1_3genE0ELNS1_11target_archE4294967295ELNS1_3gpuE0ELNS1_3repE0EEENS1_30default_config_static_selectorELNS0_4arch9wavefront6targetE0EEEvT1_
                                        ; -- End function
	.set _ZN7rocprim17ROCPRIM_400000_NS6detail17trampoline_kernelINS0_14default_configENS1_27scan_by_key_config_selectorIiyEEZZNS1_16scan_by_key_implILNS1_25lookback_scan_determinismE0ELb0ES3_N6thrust23THRUST_200600_302600_NS6detail15normal_iteratorINS9_10device_ptrIiEEEENSB_INSC_IyEEEESG_yNS9_4plusIvEENS9_8equal_toIvEEyEE10hipError_tPvRmT2_T3_T4_T5_mT6_T7_P12ihipStream_tbENKUlT_T0_E_clISt17integral_constantIbLb0EES10_IbLb1EEEEDaSW_SX_EUlSW_E_NS1_11comp_targetILNS1_3genE0ELNS1_11target_archE4294967295ELNS1_3gpuE0ELNS1_3repE0EEENS1_30default_config_static_selectorELNS0_4arch9wavefront6targetE0EEEvT1_.num_vgpr, 0
	.set _ZN7rocprim17ROCPRIM_400000_NS6detail17trampoline_kernelINS0_14default_configENS1_27scan_by_key_config_selectorIiyEEZZNS1_16scan_by_key_implILNS1_25lookback_scan_determinismE0ELb0ES3_N6thrust23THRUST_200600_302600_NS6detail15normal_iteratorINS9_10device_ptrIiEEEENSB_INSC_IyEEEESG_yNS9_4plusIvEENS9_8equal_toIvEEyEE10hipError_tPvRmT2_T3_T4_T5_mT6_T7_P12ihipStream_tbENKUlT_T0_E_clISt17integral_constantIbLb0EES10_IbLb1EEEEDaSW_SX_EUlSW_E_NS1_11comp_targetILNS1_3genE0ELNS1_11target_archE4294967295ELNS1_3gpuE0ELNS1_3repE0EEENS1_30default_config_static_selectorELNS0_4arch9wavefront6targetE0EEEvT1_.num_agpr, 0
	.set _ZN7rocprim17ROCPRIM_400000_NS6detail17trampoline_kernelINS0_14default_configENS1_27scan_by_key_config_selectorIiyEEZZNS1_16scan_by_key_implILNS1_25lookback_scan_determinismE0ELb0ES3_N6thrust23THRUST_200600_302600_NS6detail15normal_iteratorINS9_10device_ptrIiEEEENSB_INSC_IyEEEESG_yNS9_4plusIvEENS9_8equal_toIvEEyEE10hipError_tPvRmT2_T3_T4_T5_mT6_T7_P12ihipStream_tbENKUlT_T0_E_clISt17integral_constantIbLb0EES10_IbLb1EEEEDaSW_SX_EUlSW_E_NS1_11comp_targetILNS1_3genE0ELNS1_11target_archE4294967295ELNS1_3gpuE0ELNS1_3repE0EEENS1_30default_config_static_selectorELNS0_4arch9wavefront6targetE0EEEvT1_.numbered_sgpr, 0
	.set _ZN7rocprim17ROCPRIM_400000_NS6detail17trampoline_kernelINS0_14default_configENS1_27scan_by_key_config_selectorIiyEEZZNS1_16scan_by_key_implILNS1_25lookback_scan_determinismE0ELb0ES3_N6thrust23THRUST_200600_302600_NS6detail15normal_iteratorINS9_10device_ptrIiEEEENSB_INSC_IyEEEESG_yNS9_4plusIvEENS9_8equal_toIvEEyEE10hipError_tPvRmT2_T3_T4_T5_mT6_T7_P12ihipStream_tbENKUlT_T0_E_clISt17integral_constantIbLb0EES10_IbLb1EEEEDaSW_SX_EUlSW_E_NS1_11comp_targetILNS1_3genE0ELNS1_11target_archE4294967295ELNS1_3gpuE0ELNS1_3repE0EEENS1_30default_config_static_selectorELNS0_4arch9wavefront6targetE0EEEvT1_.num_named_barrier, 0
	.set _ZN7rocprim17ROCPRIM_400000_NS6detail17trampoline_kernelINS0_14default_configENS1_27scan_by_key_config_selectorIiyEEZZNS1_16scan_by_key_implILNS1_25lookback_scan_determinismE0ELb0ES3_N6thrust23THRUST_200600_302600_NS6detail15normal_iteratorINS9_10device_ptrIiEEEENSB_INSC_IyEEEESG_yNS9_4plusIvEENS9_8equal_toIvEEyEE10hipError_tPvRmT2_T3_T4_T5_mT6_T7_P12ihipStream_tbENKUlT_T0_E_clISt17integral_constantIbLb0EES10_IbLb1EEEEDaSW_SX_EUlSW_E_NS1_11comp_targetILNS1_3genE0ELNS1_11target_archE4294967295ELNS1_3gpuE0ELNS1_3repE0EEENS1_30default_config_static_selectorELNS0_4arch9wavefront6targetE0EEEvT1_.private_seg_size, 0
	.set _ZN7rocprim17ROCPRIM_400000_NS6detail17trampoline_kernelINS0_14default_configENS1_27scan_by_key_config_selectorIiyEEZZNS1_16scan_by_key_implILNS1_25lookback_scan_determinismE0ELb0ES3_N6thrust23THRUST_200600_302600_NS6detail15normal_iteratorINS9_10device_ptrIiEEEENSB_INSC_IyEEEESG_yNS9_4plusIvEENS9_8equal_toIvEEyEE10hipError_tPvRmT2_T3_T4_T5_mT6_T7_P12ihipStream_tbENKUlT_T0_E_clISt17integral_constantIbLb0EES10_IbLb1EEEEDaSW_SX_EUlSW_E_NS1_11comp_targetILNS1_3genE0ELNS1_11target_archE4294967295ELNS1_3gpuE0ELNS1_3repE0EEENS1_30default_config_static_selectorELNS0_4arch9wavefront6targetE0EEEvT1_.uses_vcc, 0
	.set _ZN7rocprim17ROCPRIM_400000_NS6detail17trampoline_kernelINS0_14default_configENS1_27scan_by_key_config_selectorIiyEEZZNS1_16scan_by_key_implILNS1_25lookback_scan_determinismE0ELb0ES3_N6thrust23THRUST_200600_302600_NS6detail15normal_iteratorINS9_10device_ptrIiEEEENSB_INSC_IyEEEESG_yNS9_4plusIvEENS9_8equal_toIvEEyEE10hipError_tPvRmT2_T3_T4_T5_mT6_T7_P12ihipStream_tbENKUlT_T0_E_clISt17integral_constantIbLb0EES10_IbLb1EEEEDaSW_SX_EUlSW_E_NS1_11comp_targetILNS1_3genE0ELNS1_11target_archE4294967295ELNS1_3gpuE0ELNS1_3repE0EEENS1_30default_config_static_selectorELNS0_4arch9wavefront6targetE0EEEvT1_.uses_flat_scratch, 0
	.set _ZN7rocprim17ROCPRIM_400000_NS6detail17trampoline_kernelINS0_14default_configENS1_27scan_by_key_config_selectorIiyEEZZNS1_16scan_by_key_implILNS1_25lookback_scan_determinismE0ELb0ES3_N6thrust23THRUST_200600_302600_NS6detail15normal_iteratorINS9_10device_ptrIiEEEENSB_INSC_IyEEEESG_yNS9_4plusIvEENS9_8equal_toIvEEyEE10hipError_tPvRmT2_T3_T4_T5_mT6_T7_P12ihipStream_tbENKUlT_T0_E_clISt17integral_constantIbLb0EES10_IbLb1EEEEDaSW_SX_EUlSW_E_NS1_11comp_targetILNS1_3genE0ELNS1_11target_archE4294967295ELNS1_3gpuE0ELNS1_3repE0EEENS1_30default_config_static_selectorELNS0_4arch9wavefront6targetE0EEEvT1_.has_dyn_sized_stack, 0
	.set _ZN7rocprim17ROCPRIM_400000_NS6detail17trampoline_kernelINS0_14default_configENS1_27scan_by_key_config_selectorIiyEEZZNS1_16scan_by_key_implILNS1_25lookback_scan_determinismE0ELb0ES3_N6thrust23THRUST_200600_302600_NS6detail15normal_iteratorINS9_10device_ptrIiEEEENSB_INSC_IyEEEESG_yNS9_4plusIvEENS9_8equal_toIvEEyEE10hipError_tPvRmT2_T3_T4_T5_mT6_T7_P12ihipStream_tbENKUlT_T0_E_clISt17integral_constantIbLb0EES10_IbLb1EEEEDaSW_SX_EUlSW_E_NS1_11comp_targetILNS1_3genE0ELNS1_11target_archE4294967295ELNS1_3gpuE0ELNS1_3repE0EEENS1_30default_config_static_selectorELNS0_4arch9wavefront6targetE0EEEvT1_.has_recursion, 0
	.set _ZN7rocprim17ROCPRIM_400000_NS6detail17trampoline_kernelINS0_14default_configENS1_27scan_by_key_config_selectorIiyEEZZNS1_16scan_by_key_implILNS1_25lookback_scan_determinismE0ELb0ES3_N6thrust23THRUST_200600_302600_NS6detail15normal_iteratorINS9_10device_ptrIiEEEENSB_INSC_IyEEEESG_yNS9_4plusIvEENS9_8equal_toIvEEyEE10hipError_tPvRmT2_T3_T4_T5_mT6_T7_P12ihipStream_tbENKUlT_T0_E_clISt17integral_constantIbLb0EES10_IbLb1EEEEDaSW_SX_EUlSW_E_NS1_11comp_targetILNS1_3genE0ELNS1_11target_archE4294967295ELNS1_3gpuE0ELNS1_3repE0EEENS1_30default_config_static_selectorELNS0_4arch9wavefront6targetE0EEEvT1_.has_indirect_call, 0
	.section	.AMDGPU.csdata,"",@progbits
; Kernel info:
; codeLenInByte = 0
; TotalNumSgprs: 0
; NumVgprs: 0
; ScratchSize: 0
; MemoryBound: 0
; FloatMode: 240
; IeeeMode: 1
; LDSByteSize: 0 bytes/workgroup (compile time only)
; SGPRBlocks: 0
; VGPRBlocks: 0
; NumSGPRsForWavesPerEU: 1
; NumVGPRsForWavesPerEU: 1
; Occupancy: 16
; WaveLimiterHint : 0
; COMPUTE_PGM_RSRC2:SCRATCH_EN: 0
; COMPUTE_PGM_RSRC2:USER_SGPR: 6
; COMPUTE_PGM_RSRC2:TRAP_HANDLER: 0
; COMPUTE_PGM_RSRC2:TGID_X_EN: 1
; COMPUTE_PGM_RSRC2:TGID_Y_EN: 0
; COMPUTE_PGM_RSRC2:TGID_Z_EN: 0
; COMPUTE_PGM_RSRC2:TIDIG_COMP_CNT: 0
	.section	.text._ZN7rocprim17ROCPRIM_400000_NS6detail17trampoline_kernelINS0_14default_configENS1_27scan_by_key_config_selectorIiyEEZZNS1_16scan_by_key_implILNS1_25lookback_scan_determinismE0ELb0ES3_N6thrust23THRUST_200600_302600_NS6detail15normal_iteratorINS9_10device_ptrIiEEEENSB_INSC_IyEEEESG_yNS9_4plusIvEENS9_8equal_toIvEEyEE10hipError_tPvRmT2_T3_T4_T5_mT6_T7_P12ihipStream_tbENKUlT_T0_E_clISt17integral_constantIbLb0EES10_IbLb1EEEEDaSW_SX_EUlSW_E_NS1_11comp_targetILNS1_3genE10ELNS1_11target_archE1201ELNS1_3gpuE5ELNS1_3repE0EEENS1_30default_config_static_selectorELNS0_4arch9wavefront6targetE0EEEvT1_,"axG",@progbits,_ZN7rocprim17ROCPRIM_400000_NS6detail17trampoline_kernelINS0_14default_configENS1_27scan_by_key_config_selectorIiyEEZZNS1_16scan_by_key_implILNS1_25lookback_scan_determinismE0ELb0ES3_N6thrust23THRUST_200600_302600_NS6detail15normal_iteratorINS9_10device_ptrIiEEEENSB_INSC_IyEEEESG_yNS9_4plusIvEENS9_8equal_toIvEEyEE10hipError_tPvRmT2_T3_T4_T5_mT6_T7_P12ihipStream_tbENKUlT_T0_E_clISt17integral_constantIbLb0EES10_IbLb1EEEEDaSW_SX_EUlSW_E_NS1_11comp_targetILNS1_3genE10ELNS1_11target_archE1201ELNS1_3gpuE5ELNS1_3repE0EEENS1_30default_config_static_selectorELNS0_4arch9wavefront6targetE0EEEvT1_,comdat
	.protected	_ZN7rocprim17ROCPRIM_400000_NS6detail17trampoline_kernelINS0_14default_configENS1_27scan_by_key_config_selectorIiyEEZZNS1_16scan_by_key_implILNS1_25lookback_scan_determinismE0ELb0ES3_N6thrust23THRUST_200600_302600_NS6detail15normal_iteratorINS9_10device_ptrIiEEEENSB_INSC_IyEEEESG_yNS9_4plusIvEENS9_8equal_toIvEEyEE10hipError_tPvRmT2_T3_T4_T5_mT6_T7_P12ihipStream_tbENKUlT_T0_E_clISt17integral_constantIbLb0EES10_IbLb1EEEEDaSW_SX_EUlSW_E_NS1_11comp_targetILNS1_3genE10ELNS1_11target_archE1201ELNS1_3gpuE5ELNS1_3repE0EEENS1_30default_config_static_selectorELNS0_4arch9wavefront6targetE0EEEvT1_ ; -- Begin function _ZN7rocprim17ROCPRIM_400000_NS6detail17trampoline_kernelINS0_14default_configENS1_27scan_by_key_config_selectorIiyEEZZNS1_16scan_by_key_implILNS1_25lookback_scan_determinismE0ELb0ES3_N6thrust23THRUST_200600_302600_NS6detail15normal_iteratorINS9_10device_ptrIiEEEENSB_INSC_IyEEEESG_yNS9_4plusIvEENS9_8equal_toIvEEyEE10hipError_tPvRmT2_T3_T4_T5_mT6_T7_P12ihipStream_tbENKUlT_T0_E_clISt17integral_constantIbLb0EES10_IbLb1EEEEDaSW_SX_EUlSW_E_NS1_11comp_targetILNS1_3genE10ELNS1_11target_archE1201ELNS1_3gpuE5ELNS1_3repE0EEENS1_30default_config_static_selectorELNS0_4arch9wavefront6targetE0EEEvT1_
	.globl	_ZN7rocprim17ROCPRIM_400000_NS6detail17trampoline_kernelINS0_14default_configENS1_27scan_by_key_config_selectorIiyEEZZNS1_16scan_by_key_implILNS1_25lookback_scan_determinismE0ELb0ES3_N6thrust23THRUST_200600_302600_NS6detail15normal_iteratorINS9_10device_ptrIiEEEENSB_INSC_IyEEEESG_yNS9_4plusIvEENS9_8equal_toIvEEyEE10hipError_tPvRmT2_T3_T4_T5_mT6_T7_P12ihipStream_tbENKUlT_T0_E_clISt17integral_constantIbLb0EES10_IbLb1EEEEDaSW_SX_EUlSW_E_NS1_11comp_targetILNS1_3genE10ELNS1_11target_archE1201ELNS1_3gpuE5ELNS1_3repE0EEENS1_30default_config_static_selectorELNS0_4arch9wavefront6targetE0EEEvT1_
	.p2align	8
	.type	_ZN7rocprim17ROCPRIM_400000_NS6detail17trampoline_kernelINS0_14default_configENS1_27scan_by_key_config_selectorIiyEEZZNS1_16scan_by_key_implILNS1_25lookback_scan_determinismE0ELb0ES3_N6thrust23THRUST_200600_302600_NS6detail15normal_iteratorINS9_10device_ptrIiEEEENSB_INSC_IyEEEESG_yNS9_4plusIvEENS9_8equal_toIvEEyEE10hipError_tPvRmT2_T3_T4_T5_mT6_T7_P12ihipStream_tbENKUlT_T0_E_clISt17integral_constantIbLb0EES10_IbLb1EEEEDaSW_SX_EUlSW_E_NS1_11comp_targetILNS1_3genE10ELNS1_11target_archE1201ELNS1_3gpuE5ELNS1_3repE0EEENS1_30default_config_static_selectorELNS0_4arch9wavefront6targetE0EEEvT1_,@function
_ZN7rocprim17ROCPRIM_400000_NS6detail17trampoline_kernelINS0_14default_configENS1_27scan_by_key_config_selectorIiyEEZZNS1_16scan_by_key_implILNS1_25lookback_scan_determinismE0ELb0ES3_N6thrust23THRUST_200600_302600_NS6detail15normal_iteratorINS9_10device_ptrIiEEEENSB_INSC_IyEEEESG_yNS9_4plusIvEENS9_8equal_toIvEEyEE10hipError_tPvRmT2_T3_T4_T5_mT6_T7_P12ihipStream_tbENKUlT_T0_E_clISt17integral_constantIbLb0EES10_IbLb1EEEEDaSW_SX_EUlSW_E_NS1_11comp_targetILNS1_3genE10ELNS1_11target_archE1201ELNS1_3gpuE5ELNS1_3repE0EEENS1_30default_config_static_selectorELNS0_4arch9wavefront6targetE0EEEvT1_: ; @_ZN7rocprim17ROCPRIM_400000_NS6detail17trampoline_kernelINS0_14default_configENS1_27scan_by_key_config_selectorIiyEEZZNS1_16scan_by_key_implILNS1_25lookback_scan_determinismE0ELb0ES3_N6thrust23THRUST_200600_302600_NS6detail15normal_iteratorINS9_10device_ptrIiEEEENSB_INSC_IyEEEESG_yNS9_4plusIvEENS9_8equal_toIvEEyEE10hipError_tPvRmT2_T3_T4_T5_mT6_T7_P12ihipStream_tbENKUlT_T0_E_clISt17integral_constantIbLb0EES10_IbLb1EEEEDaSW_SX_EUlSW_E_NS1_11comp_targetILNS1_3genE10ELNS1_11target_archE1201ELNS1_3gpuE5ELNS1_3repE0EEENS1_30default_config_static_selectorELNS0_4arch9wavefront6targetE0EEEvT1_
; %bb.0:
	.section	.rodata,"a",@progbits
	.p2align	6, 0x0
	.amdhsa_kernel _ZN7rocprim17ROCPRIM_400000_NS6detail17trampoline_kernelINS0_14default_configENS1_27scan_by_key_config_selectorIiyEEZZNS1_16scan_by_key_implILNS1_25lookback_scan_determinismE0ELb0ES3_N6thrust23THRUST_200600_302600_NS6detail15normal_iteratorINS9_10device_ptrIiEEEENSB_INSC_IyEEEESG_yNS9_4plusIvEENS9_8equal_toIvEEyEE10hipError_tPvRmT2_T3_T4_T5_mT6_T7_P12ihipStream_tbENKUlT_T0_E_clISt17integral_constantIbLb0EES10_IbLb1EEEEDaSW_SX_EUlSW_E_NS1_11comp_targetILNS1_3genE10ELNS1_11target_archE1201ELNS1_3gpuE5ELNS1_3repE0EEENS1_30default_config_static_selectorELNS0_4arch9wavefront6targetE0EEEvT1_
		.amdhsa_group_segment_fixed_size 0
		.amdhsa_private_segment_fixed_size 0
		.amdhsa_kernarg_size 136
		.amdhsa_user_sgpr_count 6
		.amdhsa_user_sgpr_private_segment_buffer 1
		.amdhsa_user_sgpr_dispatch_ptr 0
		.amdhsa_user_sgpr_queue_ptr 0
		.amdhsa_user_sgpr_kernarg_segment_ptr 1
		.amdhsa_user_sgpr_dispatch_id 0
		.amdhsa_user_sgpr_flat_scratch_init 0
		.amdhsa_user_sgpr_private_segment_size 0
		.amdhsa_wavefront_size32 1
		.amdhsa_uses_dynamic_stack 0
		.amdhsa_system_sgpr_private_segment_wavefront_offset 0
		.amdhsa_system_sgpr_workgroup_id_x 1
		.amdhsa_system_sgpr_workgroup_id_y 0
		.amdhsa_system_sgpr_workgroup_id_z 0
		.amdhsa_system_sgpr_workgroup_info 0
		.amdhsa_system_vgpr_workitem_id 0
		.amdhsa_next_free_vgpr 1
		.amdhsa_next_free_sgpr 1
		.amdhsa_reserve_vcc 0
		.amdhsa_reserve_flat_scratch 0
		.amdhsa_float_round_mode_32 0
		.amdhsa_float_round_mode_16_64 0
		.amdhsa_float_denorm_mode_32 3
		.amdhsa_float_denorm_mode_16_64 3
		.amdhsa_dx10_clamp 1
		.amdhsa_ieee_mode 1
		.amdhsa_fp16_overflow 0
		.amdhsa_workgroup_processor_mode 1
		.amdhsa_memory_ordered 1
		.amdhsa_forward_progress 1
		.amdhsa_shared_vgpr_count 0
		.amdhsa_exception_fp_ieee_invalid_op 0
		.amdhsa_exception_fp_denorm_src 0
		.amdhsa_exception_fp_ieee_div_zero 0
		.amdhsa_exception_fp_ieee_overflow 0
		.amdhsa_exception_fp_ieee_underflow 0
		.amdhsa_exception_fp_ieee_inexact 0
		.amdhsa_exception_int_div_zero 0
	.end_amdhsa_kernel
	.section	.text._ZN7rocprim17ROCPRIM_400000_NS6detail17trampoline_kernelINS0_14default_configENS1_27scan_by_key_config_selectorIiyEEZZNS1_16scan_by_key_implILNS1_25lookback_scan_determinismE0ELb0ES3_N6thrust23THRUST_200600_302600_NS6detail15normal_iteratorINS9_10device_ptrIiEEEENSB_INSC_IyEEEESG_yNS9_4plusIvEENS9_8equal_toIvEEyEE10hipError_tPvRmT2_T3_T4_T5_mT6_T7_P12ihipStream_tbENKUlT_T0_E_clISt17integral_constantIbLb0EES10_IbLb1EEEEDaSW_SX_EUlSW_E_NS1_11comp_targetILNS1_3genE10ELNS1_11target_archE1201ELNS1_3gpuE5ELNS1_3repE0EEENS1_30default_config_static_selectorELNS0_4arch9wavefront6targetE0EEEvT1_,"axG",@progbits,_ZN7rocprim17ROCPRIM_400000_NS6detail17trampoline_kernelINS0_14default_configENS1_27scan_by_key_config_selectorIiyEEZZNS1_16scan_by_key_implILNS1_25lookback_scan_determinismE0ELb0ES3_N6thrust23THRUST_200600_302600_NS6detail15normal_iteratorINS9_10device_ptrIiEEEENSB_INSC_IyEEEESG_yNS9_4plusIvEENS9_8equal_toIvEEyEE10hipError_tPvRmT2_T3_T4_T5_mT6_T7_P12ihipStream_tbENKUlT_T0_E_clISt17integral_constantIbLb0EES10_IbLb1EEEEDaSW_SX_EUlSW_E_NS1_11comp_targetILNS1_3genE10ELNS1_11target_archE1201ELNS1_3gpuE5ELNS1_3repE0EEENS1_30default_config_static_selectorELNS0_4arch9wavefront6targetE0EEEvT1_,comdat
.Lfunc_end1210:
	.size	_ZN7rocprim17ROCPRIM_400000_NS6detail17trampoline_kernelINS0_14default_configENS1_27scan_by_key_config_selectorIiyEEZZNS1_16scan_by_key_implILNS1_25lookback_scan_determinismE0ELb0ES3_N6thrust23THRUST_200600_302600_NS6detail15normal_iteratorINS9_10device_ptrIiEEEENSB_INSC_IyEEEESG_yNS9_4plusIvEENS9_8equal_toIvEEyEE10hipError_tPvRmT2_T3_T4_T5_mT6_T7_P12ihipStream_tbENKUlT_T0_E_clISt17integral_constantIbLb0EES10_IbLb1EEEEDaSW_SX_EUlSW_E_NS1_11comp_targetILNS1_3genE10ELNS1_11target_archE1201ELNS1_3gpuE5ELNS1_3repE0EEENS1_30default_config_static_selectorELNS0_4arch9wavefront6targetE0EEEvT1_, .Lfunc_end1210-_ZN7rocprim17ROCPRIM_400000_NS6detail17trampoline_kernelINS0_14default_configENS1_27scan_by_key_config_selectorIiyEEZZNS1_16scan_by_key_implILNS1_25lookback_scan_determinismE0ELb0ES3_N6thrust23THRUST_200600_302600_NS6detail15normal_iteratorINS9_10device_ptrIiEEEENSB_INSC_IyEEEESG_yNS9_4plusIvEENS9_8equal_toIvEEyEE10hipError_tPvRmT2_T3_T4_T5_mT6_T7_P12ihipStream_tbENKUlT_T0_E_clISt17integral_constantIbLb0EES10_IbLb1EEEEDaSW_SX_EUlSW_E_NS1_11comp_targetILNS1_3genE10ELNS1_11target_archE1201ELNS1_3gpuE5ELNS1_3repE0EEENS1_30default_config_static_selectorELNS0_4arch9wavefront6targetE0EEEvT1_
                                        ; -- End function
	.set _ZN7rocprim17ROCPRIM_400000_NS6detail17trampoline_kernelINS0_14default_configENS1_27scan_by_key_config_selectorIiyEEZZNS1_16scan_by_key_implILNS1_25lookback_scan_determinismE0ELb0ES3_N6thrust23THRUST_200600_302600_NS6detail15normal_iteratorINS9_10device_ptrIiEEEENSB_INSC_IyEEEESG_yNS9_4plusIvEENS9_8equal_toIvEEyEE10hipError_tPvRmT2_T3_T4_T5_mT6_T7_P12ihipStream_tbENKUlT_T0_E_clISt17integral_constantIbLb0EES10_IbLb1EEEEDaSW_SX_EUlSW_E_NS1_11comp_targetILNS1_3genE10ELNS1_11target_archE1201ELNS1_3gpuE5ELNS1_3repE0EEENS1_30default_config_static_selectorELNS0_4arch9wavefront6targetE0EEEvT1_.num_vgpr, 0
	.set _ZN7rocprim17ROCPRIM_400000_NS6detail17trampoline_kernelINS0_14default_configENS1_27scan_by_key_config_selectorIiyEEZZNS1_16scan_by_key_implILNS1_25lookback_scan_determinismE0ELb0ES3_N6thrust23THRUST_200600_302600_NS6detail15normal_iteratorINS9_10device_ptrIiEEEENSB_INSC_IyEEEESG_yNS9_4plusIvEENS9_8equal_toIvEEyEE10hipError_tPvRmT2_T3_T4_T5_mT6_T7_P12ihipStream_tbENKUlT_T0_E_clISt17integral_constantIbLb0EES10_IbLb1EEEEDaSW_SX_EUlSW_E_NS1_11comp_targetILNS1_3genE10ELNS1_11target_archE1201ELNS1_3gpuE5ELNS1_3repE0EEENS1_30default_config_static_selectorELNS0_4arch9wavefront6targetE0EEEvT1_.num_agpr, 0
	.set _ZN7rocprim17ROCPRIM_400000_NS6detail17trampoline_kernelINS0_14default_configENS1_27scan_by_key_config_selectorIiyEEZZNS1_16scan_by_key_implILNS1_25lookback_scan_determinismE0ELb0ES3_N6thrust23THRUST_200600_302600_NS6detail15normal_iteratorINS9_10device_ptrIiEEEENSB_INSC_IyEEEESG_yNS9_4plusIvEENS9_8equal_toIvEEyEE10hipError_tPvRmT2_T3_T4_T5_mT6_T7_P12ihipStream_tbENKUlT_T0_E_clISt17integral_constantIbLb0EES10_IbLb1EEEEDaSW_SX_EUlSW_E_NS1_11comp_targetILNS1_3genE10ELNS1_11target_archE1201ELNS1_3gpuE5ELNS1_3repE0EEENS1_30default_config_static_selectorELNS0_4arch9wavefront6targetE0EEEvT1_.numbered_sgpr, 0
	.set _ZN7rocprim17ROCPRIM_400000_NS6detail17trampoline_kernelINS0_14default_configENS1_27scan_by_key_config_selectorIiyEEZZNS1_16scan_by_key_implILNS1_25lookback_scan_determinismE0ELb0ES3_N6thrust23THRUST_200600_302600_NS6detail15normal_iteratorINS9_10device_ptrIiEEEENSB_INSC_IyEEEESG_yNS9_4plusIvEENS9_8equal_toIvEEyEE10hipError_tPvRmT2_T3_T4_T5_mT6_T7_P12ihipStream_tbENKUlT_T0_E_clISt17integral_constantIbLb0EES10_IbLb1EEEEDaSW_SX_EUlSW_E_NS1_11comp_targetILNS1_3genE10ELNS1_11target_archE1201ELNS1_3gpuE5ELNS1_3repE0EEENS1_30default_config_static_selectorELNS0_4arch9wavefront6targetE0EEEvT1_.num_named_barrier, 0
	.set _ZN7rocprim17ROCPRIM_400000_NS6detail17trampoline_kernelINS0_14default_configENS1_27scan_by_key_config_selectorIiyEEZZNS1_16scan_by_key_implILNS1_25lookback_scan_determinismE0ELb0ES3_N6thrust23THRUST_200600_302600_NS6detail15normal_iteratorINS9_10device_ptrIiEEEENSB_INSC_IyEEEESG_yNS9_4plusIvEENS9_8equal_toIvEEyEE10hipError_tPvRmT2_T3_T4_T5_mT6_T7_P12ihipStream_tbENKUlT_T0_E_clISt17integral_constantIbLb0EES10_IbLb1EEEEDaSW_SX_EUlSW_E_NS1_11comp_targetILNS1_3genE10ELNS1_11target_archE1201ELNS1_3gpuE5ELNS1_3repE0EEENS1_30default_config_static_selectorELNS0_4arch9wavefront6targetE0EEEvT1_.private_seg_size, 0
	.set _ZN7rocprim17ROCPRIM_400000_NS6detail17trampoline_kernelINS0_14default_configENS1_27scan_by_key_config_selectorIiyEEZZNS1_16scan_by_key_implILNS1_25lookback_scan_determinismE0ELb0ES3_N6thrust23THRUST_200600_302600_NS6detail15normal_iteratorINS9_10device_ptrIiEEEENSB_INSC_IyEEEESG_yNS9_4plusIvEENS9_8equal_toIvEEyEE10hipError_tPvRmT2_T3_T4_T5_mT6_T7_P12ihipStream_tbENKUlT_T0_E_clISt17integral_constantIbLb0EES10_IbLb1EEEEDaSW_SX_EUlSW_E_NS1_11comp_targetILNS1_3genE10ELNS1_11target_archE1201ELNS1_3gpuE5ELNS1_3repE0EEENS1_30default_config_static_selectorELNS0_4arch9wavefront6targetE0EEEvT1_.uses_vcc, 0
	.set _ZN7rocprim17ROCPRIM_400000_NS6detail17trampoline_kernelINS0_14default_configENS1_27scan_by_key_config_selectorIiyEEZZNS1_16scan_by_key_implILNS1_25lookback_scan_determinismE0ELb0ES3_N6thrust23THRUST_200600_302600_NS6detail15normal_iteratorINS9_10device_ptrIiEEEENSB_INSC_IyEEEESG_yNS9_4plusIvEENS9_8equal_toIvEEyEE10hipError_tPvRmT2_T3_T4_T5_mT6_T7_P12ihipStream_tbENKUlT_T0_E_clISt17integral_constantIbLb0EES10_IbLb1EEEEDaSW_SX_EUlSW_E_NS1_11comp_targetILNS1_3genE10ELNS1_11target_archE1201ELNS1_3gpuE5ELNS1_3repE0EEENS1_30default_config_static_selectorELNS0_4arch9wavefront6targetE0EEEvT1_.uses_flat_scratch, 0
	.set _ZN7rocprim17ROCPRIM_400000_NS6detail17trampoline_kernelINS0_14default_configENS1_27scan_by_key_config_selectorIiyEEZZNS1_16scan_by_key_implILNS1_25lookback_scan_determinismE0ELb0ES3_N6thrust23THRUST_200600_302600_NS6detail15normal_iteratorINS9_10device_ptrIiEEEENSB_INSC_IyEEEESG_yNS9_4plusIvEENS9_8equal_toIvEEyEE10hipError_tPvRmT2_T3_T4_T5_mT6_T7_P12ihipStream_tbENKUlT_T0_E_clISt17integral_constantIbLb0EES10_IbLb1EEEEDaSW_SX_EUlSW_E_NS1_11comp_targetILNS1_3genE10ELNS1_11target_archE1201ELNS1_3gpuE5ELNS1_3repE0EEENS1_30default_config_static_selectorELNS0_4arch9wavefront6targetE0EEEvT1_.has_dyn_sized_stack, 0
	.set _ZN7rocprim17ROCPRIM_400000_NS6detail17trampoline_kernelINS0_14default_configENS1_27scan_by_key_config_selectorIiyEEZZNS1_16scan_by_key_implILNS1_25lookback_scan_determinismE0ELb0ES3_N6thrust23THRUST_200600_302600_NS6detail15normal_iteratorINS9_10device_ptrIiEEEENSB_INSC_IyEEEESG_yNS9_4plusIvEENS9_8equal_toIvEEyEE10hipError_tPvRmT2_T3_T4_T5_mT6_T7_P12ihipStream_tbENKUlT_T0_E_clISt17integral_constantIbLb0EES10_IbLb1EEEEDaSW_SX_EUlSW_E_NS1_11comp_targetILNS1_3genE10ELNS1_11target_archE1201ELNS1_3gpuE5ELNS1_3repE0EEENS1_30default_config_static_selectorELNS0_4arch9wavefront6targetE0EEEvT1_.has_recursion, 0
	.set _ZN7rocprim17ROCPRIM_400000_NS6detail17trampoline_kernelINS0_14default_configENS1_27scan_by_key_config_selectorIiyEEZZNS1_16scan_by_key_implILNS1_25lookback_scan_determinismE0ELb0ES3_N6thrust23THRUST_200600_302600_NS6detail15normal_iteratorINS9_10device_ptrIiEEEENSB_INSC_IyEEEESG_yNS9_4plusIvEENS9_8equal_toIvEEyEE10hipError_tPvRmT2_T3_T4_T5_mT6_T7_P12ihipStream_tbENKUlT_T0_E_clISt17integral_constantIbLb0EES10_IbLb1EEEEDaSW_SX_EUlSW_E_NS1_11comp_targetILNS1_3genE10ELNS1_11target_archE1201ELNS1_3gpuE5ELNS1_3repE0EEENS1_30default_config_static_selectorELNS0_4arch9wavefront6targetE0EEEvT1_.has_indirect_call, 0
	.section	.AMDGPU.csdata,"",@progbits
; Kernel info:
; codeLenInByte = 0
; TotalNumSgprs: 0
; NumVgprs: 0
; ScratchSize: 0
; MemoryBound: 0
; FloatMode: 240
; IeeeMode: 1
; LDSByteSize: 0 bytes/workgroup (compile time only)
; SGPRBlocks: 0
; VGPRBlocks: 0
; NumSGPRsForWavesPerEU: 1
; NumVGPRsForWavesPerEU: 1
; Occupancy: 16
; WaveLimiterHint : 0
; COMPUTE_PGM_RSRC2:SCRATCH_EN: 0
; COMPUTE_PGM_RSRC2:USER_SGPR: 6
; COMPUTE_PGM_RSRC2:TRAP_HANDLER: 0
; COMPUTE_PGM_RSRC2:TGID_X_EN: 1
; COMPUTE_PGM_RSRC2:TGID_Y_EN: 0
; COMPUTE_PGM_RSRC2:TGID_Z_EN: 0
; COMPUTE_PGM_RSRC2:TIDIG_COMP_CNT: 0
	.section	.text._ZN7rocprim17ROCPRIM_400000_NS6detail17trampoline_kernelINS0_14default_configENS1_27scan_by_key_config_selectorIiyEEZZNS1_16scan_by_key_implILNS1_25lookback_scan_determinismE0ELb0ES3_N6thrust23THRUST_200600_302600_NS6detail15normal_iteratorINS9_10device_ptrIiEEEENSB_INSC_IyEEEESG_yNS9_4plusIvEENS9_8equal_toIvEEyEE10hipError_tPvRmT2_T3_T4_T5_mT6_T7_P12ihipStream_tbENKUlT_T0_E_clISt17integral_constantIbLb0EES10_IbLb1EEEEDaSW_SX_EUlSW_E_NS1_11comp_targetILNS1_3genE5ELNS1_11target_archE942ELNS1_3gpuE9ELNS1_3repE0EEENS1_30default_config_static_selectorELNS0_4arch9wavefront6targetE0EEEvT1_,"axG",@progbits,_ZN7rocprim17ROCPRIM_400000_NS6detail17trampoline_kernelINS0_14default_configENS1_27scan_by_key_config_selectorIiyEEZZNS1_16scan_by_key_implILNS1_25lookback_scan_determinismE0ELb0ES3_N6thrust23THRUST_200600_302600_NS6detail15normal_iteratorINS9_10device_ptrIiEEEENSB_INSC_IyEEEESG_yNS9_4plusIvEENS9_8equal_toIvEEyEE10hipError_tPvRmT2_T3_T4_T5_mT6_T7_P12ihipStream_tbENKUlT_T0_E_clISt17integral_constantIbLb0EES10_IbLb1EEEEDaSW_SX_EUlSW_E_NS1_11comp_targetILNS1_3genE5ELNS1_11target_archE942ELNS1_3gpuE9ELNS1_3repE0EEENS1_30default_config_static_selectorELNS0_4arch9wavefront6targetE0EEEvT1_,comdat
	.protected	_ZN7rocprim17ROCPRIM_400000_NS6detail17trampoline_kernelINS0_14default_configENS1_27scan_by_key_config_selectorIiyEEZZNS1_16scan_by_key_implILNS1_25lookback_scan_determinismE0ELb0ES3_N6thrust23THRUST_200600_302600_NS6detail15normal_iteratorINS9_10device_ptrIiEEEENSB_INSC_IyEEEESG_yNS9_4plusIvEENS9_8equal_toIvEEyEE10hipError_tPvRmT2_T3_T4_T5_mT6_T7_P12ihipStream_tbENKUlT_T0_E_clISt17integral_constantIbLb0EES10_IbLb1EEEEDaSW_SX_EUlSW_E_NS1_11comp_targetILNS1_3genE5ELNS1_11target_archE942ELNS1_3gpuE9ELNS1_3repE0EEENS1_30default_config_static_selectorELNS0_4arch9wavefront6targetE0EEEvT1_ ; -- Begin function _ZN7rocprim17ROCPRIM_400000_NS6detail17trampoline_kernelINS0_14default_configENS1_27scan_by_key_config_selectorIiyEEZZNS1_16scan_by_key_implILNS1_25lookback_scan_determinismE0ELb0ES3_N6thrust23THRUST_200600_302600_NS6detail15normal_iteratorINS9_10device_ptrIiEEEENSB_INSC_IyEEEESG_yNS9_4plusIvEENS9_8equal_toIvEEyEE10hipError_tPvRmT2_T3_T4_T5_mT6_T7_P12ihipStream_tbENKUlT_T0_E_clISt17integral_constantIbLb0EES10_IbLb1EEEEDaSW_SX_EUlSW_E_NS1_11comp_targetILNS1_3genE5ELNS1_11target_archE942ELNS1_3gpuE9ELNS1_3repE0EEENS1_30default_config_static_selectorELNS0_4arch9wavefront6targetE0EEEvT1_
	.globl	_ZN7rocprim17ROCPRIM_400000_NS6detail17trampoline_kernelINS0_14default_configENS1_27scan_by_key_config_selectorIiyEEZZNS1_16scan_by_key_implILNS1_25lookback_scan_determinismE0ELb0ES3_N6thrust23THRUST_200600_302600_NS6detail15normal_iteratorINS9_10device_ptrIiEEEENSB_INSC_IyEEEESG_yNS9_4plusIvEENS9_8equal_toIvEEyEE10hipError_tPvRmT2_T3_T4_T5_mT6_T7_P12ihipStream_tbENKUlT_T0_E_clISt17integral_constantIbLb0EES10_IbLb1EEEEDaSW_SX_EUlSW_E_NS1_11comp_targetILNS1_3genE5ELNS1_11target_archE942ELNS1_3gpuE9ELNS1_3repE0EEENS1_30default_config_static_selectorELNS0_4arch9wavefront6targetE0EEEvT1_
	.p2align	8
	.type	_ZN7rocprim17ROCPRIM_400000_NS6detail17trampoline_kernelINS0_14default_configENS1_27scan_by_key_config_selectorIiyEEZZNS1_16scan_by_key_implILNS1_25lookback_scan_determinismE0ELb0ES3_N6thrust23THRUST_200600_302600_NS6detail15normal_iteratorINS9_10device_ptrIiEEEENSB_INSC_IyEEEESG_yNS9_4plusIvEENS9_8equal_toIvEEyEE10hipError_tPvRmT2_T3_T4_T5_mT6_T7_P12ihipStream_tbENKUlT_T0_E_clISt17integral_constantIbLb0EES10_IbLb1EEEEDaSW_SX_EUlSW_E_NS1_11comp_targetILNS1_3genE5ELNS1_11target_archE942ELNS1_3gpuE9ELNS1_3repE0EEENS1_30default_config_static_selectorELNS0_4arch9wavefront6targetE0EEEvT1_,@function
_ZN7rocprim17ROCPRIM_400000_NS6detail17trampoline_kernelINS0_14default_configENS1_27scan_by_key_config_selectorIiyEEZZNS1_16scan_by_key_implILNS1_25lookback_scan_determinismE0ELb0ES3_N6thrust23THRUST_200600_302600_NS6detail15normal_iteratorINS9_10device_ptrIiEEEENSB_INSC_IyEEEESG_yNS9_4plusIvEENS9_8equal_toIvEEyEE10hipError_tPvRmT2_T3_T4_T5_mT6_T7_P12ihipStream_tbENKUlT_T0_E_clISt17integral_constantIbLb0EES10_IbLb1EEEEDaSW_SX_EUlSW_E_NS1_11comp_targetILNS1_3genE5ELNS1_11target_archE942ELNS1_3gpuE9ELNS1_3repE0EEENS1_30default_config_static_selectorELNS0_4arch9wavefront6targetE0EEEvT1_: ; @_ZN7rocprim17ROCPRIM_400000_NS6detail17trampoline_kernelINS0_14default_configENS1_27scan_by_key_config_selectorIiyEEZZNS1_16scan_by_key_implILNS1_25lookback_scan_determinismE0ELb0ES3_N6thrust23THRUST_200600_302600_NS6detail15normal_iteratorINS9_10device_ptrIiEEEENSB_INSC_IyEEEESG_yNS9_4plusIvEENS9_8equal_toIvEEyEE10hipError_tPvRmT2_T3_T4_T5_mT6_T7_P12ihipStream_tbENKUlT_T0_E_clISt17integral_constantIbLb0EES10_IbLb1EEEEDaSW_SX_EUlSW_E_NS1_11comp_targetILNS1_3genE5ELNS1_11target_archE942ELNS1_3gpuE9ELNS1_3repE0EEENS1_30default_config_static_selectorELNS0_4arch9wavefront6targetE0EEEvT1_
; %bb.0:
	.section	.rodata,"a",@progbits
	.p2align	6, 0x0
	.amdhsa_kernel _ZN7rocprim17ROCPRIM_400000_NS6detail17trampoline_kernelINS0_14default_configENS1_27scan_by_key_config_selectorIiyEEZZNS1_16scan_by_key_implILNS1_25lookback_scan_determinismE0ELb0ES3_N6thrust23THRUST_200600_302600_NS6detail15normal_iteratorINS9_10device_ptrIiEEEENSB_INSC_IyEEEESG_yNS9_4plusIvEENS9_8equal_toIvEEyEE10hipError_tPvRmT2_T3_T4_T5_mT6_T7_P12ihipStream_tbENKUlT_T0_E_clISt17integral_constantIbLb0EES10_IbLb1EEEEDaSW_SX_EUlSW_E_NS1_11comp_targetILNS1_3genE5ELNS1_11target_archE942ELNS1_3gpuE9ELNS1_3repE0EEENS1_30default_config_static_selectorELNS0_4arch9wavefront6targetE0EEEvT1_
		.amdhsa_group_segment_fixed_size 0
		.amdhsa_private_segment_fixed_size 0
		.amdhsa_kernarg_size 136
		.amdhsa_user_sgpr_count 6
		.amdhsa_user_sgpr_private_segment_buffer 1
		.amdhsa_user_sgpr_dispatch_ptr 0
		.amdhsa_user_sgpr_queue_ptr 0
		.amdhsa_user_sgpr_kernarg_segment_ptr 1
		.amdhsa_user_sgpr_dispatch_id 0
		.amdhsa_user_sgpr_flat_scratch_init 0
		.amdhsa_user_sgpr_private_segment_size 0
		.amdhsa_wavefront_size32 1
		.amdhsa_uses_dynamic_stack 0
		.amdhsa_system_sgpr_private_segment_wavefront_offset 0
		.amdhsa_system_sgpr_workgroup_id_x 1
		.amdhsa_system_sgpr_workgroup_id_y 0
		.amdhsa_system_sgpr_workgroup_id_z 0
		.amdhsa_system_sgpr_workgroup_info 0
		.amdhsa_system_vgpr_workitem_id 0
		.amdhsa_next_free_vgpr 1
		.amdhsa_next_free_sgpr 1
		.amdhsa_reserve_vcc 0
		.amdhsa_reserve_flat_scratch 0
		.amdhsa_float_round_mode_32 0
		.amdhsa_float_round_mode_16_64 0
		.amdhsa_float_denorm_mode_32 3
		.amdhsa_float_denorm_mode_16_64 3
		.amdhsa_dx10_clamp 1
		.amdhsa_ieee_mode 1
		.amdhsa_fp16_overflow 0
		.amdhsa_workgroup_processor_mode 1
		.amdhsa_memory_ordered 1
		.amdhsa_forward_progress 1
		.amdhsa_shared_vgpr_count 0
		.amdhsa_exception_fp_ieee_invalid_op 0
		.amdhsa_exception_fp_denorm_src 0
		.amdhsa_exception_fp_ieee_div_zero 0
		.amdhsa_exception_fp_ieee_overflow 0
		.amdhsa_exception_fp_ieee_underflow 0
		.amdhsa_exception_fp_ieee_inexact 0
		.amdhsa_exception_int_div_zero 0
	.end_amdhsa_kernel
	.section	.text._ZN7rocprim17ROCPRIM_400000_NS6detail17trampoline_kernelINS0_14default_configENS1_27scan_by_key_config_selectorIiyEEZZNS1_16scan_by_key_implILNS1_25lookback_scan_determinismE0ELb0ES3_N6thrust23THRUST_200600_302600_NS6detail15normal_iteratorINS9_10device_ptrIiEEEENSB_INSC_IyEEEESG_yNS9_4plusIvEENS9_8equal_toIvEEyEE10hipError_tPvRmT2_T3_T4_T5_mT6_T7_P12ihipStream_tbENKUlT_T0_E_clISt17integral_constantIbLb0EES10_IbLb1EEEEDaSW_SX_EUlSW_E_NS1_11comp_targetILNS1_3genE5ELNS1_11target_archE942ELNS1_3gpuE9ELNS1_3repE0EEENS1_30default_config_static_selectorELNS0_4arch9wavefront6targetE0EEEvT1_,"axG",@progbits,_ZN7rocprim17ROCPRIM_400000_NS6detail17trampoline_kernelINS0_14default_configENS1_27scan_by_key_config_selectorIiyEEZZNS1_16scan_by_key_implILNS1_25lookback_scan_determinismE0ELb0ES3_N6thrust23THRUST_200600_302600_NS6detail15normal_iteratorINS9_10device_ptrIiEEEENSB_INSC_IyEEEESG_yNS9_4plusIvEENS9_8equal_toIvEEyEE10hipError_tPvRmT2_T3_T4_T5_mT6_T7_P12ihipStream_tbENKUlT_T0_E_clISt17integral_constantIbLb0EES10_IbLb1EEEEDaSW_SX_EUlSW_E_NS1_11comp_targetILNS1_3genE5ELNS1_11target_archE942ELNS1_3gpuE9ELNS1_3repE0EEENS1_30default_config_static_selectorELNS0_4arch9wavefront6targetE0EEEvT1_,comdat
.Lfunc_end1211:
	.size	_ZN7rocprim17ROCPRIM_400000_NS6detail17trampoline_kernelINS0_14default_configENS1_27scan_by_key_config_selectorIiyEEZZNS1_16scan_by_key_implILNS1_25lookback_scan_determinismE0ELb0ES3_N6thrust23THRUST_200600_302600_NS6detail15normal_iteratorINS9_10device_ptrIiEEEENSB_INSC_IyEEEESG_yNS9_4plusIvEENS9_8equal_toIvEEyEE10hipError_tPvRmT2_T3_T4_T5_mT6_T7_P12ihipStream_tbENKUlT_T0_E_clISt17integral_constantIbLb0EES10_IbLb1EEEEDaSW_SX_EUlSW_E_NS1_11comp_targetILNS1_3genE5ELNS1_11target_archE942ELNS1_3gpuE9ELNS1_3repE0EEENS1_30default_config_static_selectorELNS0_4arch9wavefront6targetE0EEEvT1_, .Lfunc_end1211-_ZN7rocprim17ROCPRIM_400000_NS6detail17trampoline_kernelINS0_14default_configENS1_27scan_by_key_config_selectorIiyEEZZNS1_16scan_by_key_implILNS1_25lookback_scan_determinismE0ELb0ES3_N6thrust23THRUST_200600_302600_NS6detail15normal_iteratorINS9_10device_ptrIiEEEENSB_INSC_IyEEEESG_yNS9_4plusIvEENS9_8equal_toIvEEyEE10hipError_tPvRmT2_T3_T4_T5_mT6_T7_P12ihipStream_tbENKUlT_T0_E_clISt17integral_constantIbLb0EES10_IbLb1EEEEDaSW_SX_EUlSW_E_NS1_11comp_targetILNS1_3genE5ELNS1_11target_archE942ELNS1_3gpuE9ELNS1_3repE0EEENS1_30default_config_static_selectorELNS0_4arch9wavefront6targetE0EEEvT1_
                                        ; -- End function
	.set _ZN7rocprim17ROCPRIM_400000_NS6detail17trampoline_kernelINS0_14default_configENS1_27scan_by_key_config_selectorIiyEEZZNS1_16scan_by_key_implILNS1_25lookback_scan_determinismE0ELb0ES3_N6thrust23THRUST_200600_302600_NS6detail15normal_iteratorINS9_10device_ptrIiEEEENSB_INSC_IyEEEESG_yNS9_4plusIvEENS9_8equal_toIvEEyEE10hipError_tPvRmT2_T3_T4_T5_mT6_T7_P12ihipStream_tbENKUlT_T0_E_clISt17integral_constantIbLb0EES10_IbLb1EEEEDaSW_SX_EUlSW_E_NS1_11comp_targetILNS1_3genE5ELNS1_11target_archE942ELNS1_3gpuE9ELNS1_3repE0EEENS1_30default_config_static_selectorELNS0_4arch9wavefront6targetE0EEEvT1_.num_vgpr, 0
	.set _ZN7rocprim17ROCPRIM_400000_NS6detail17trampoline_kernelINS0_14default_configENS1_27scan_by_key_config_selectorIiyEEZZNS1_16scan_by_key_implILNS1_25lookback_scan_determinismE0ELb0ES3_N6thrust23THRUST_200600_302600_NS6detail15normal_iteratorINS9_10device_ptrIiEEEENSB_INSC_IyEEEESG_yNS9_4plusIvEENS9_8equal_toIvEEyEE10hipError_tPvRmT2_T3_T4_T5_mT6_T7_P12ihipStream_tbENKUlT_T0_E_clISt17integral_constantIbLb0EES10_IbLb1EEEEDaSW_SX_EUlSW_E_NS1_11comp_targetILNS1_3genE5ELNS1_11target_archE942ELNS1_3gpuE9ELNS1_3repE0EEENS1_30default_config_static_selectorELNS0_4arch9wavefront6targetE0EEEvT1_.num_agpr, 0
	.set _ZN7rocprim17ROCPRIM_400000_NS6detail17trampoline_kernelINS0_14default_configENS1_27scan_by_key_config_selectorIiyEEZZNS1_16scan_by_key_implILNS1_25lookback_scan_determinismE0ELb0ES3_N6thrust23THRUST_200600_302600_NS6detail15normal_iteratorINS9_10device_ptrIiEEEENSB_INSC_IyEEEESG_yNS9_4plusIvEENS9_8equal_toIvEEyEE10hipError_tPvRmT2_T3_T4_T5_mT6_T7_P12ihipStream_tbENKUlT_T0_E_clISt17integral_constantIbLb0EES10_IbLb1EEEEDaSW_SX_EUlSW_E_NS1_11comp_targetILNS1_3genE5ELNS1_11target_archE942ELNS1_3gpuE9ELNS1_3repE0EEENS1_30default_config_static_selectorELNS0_4arch9wavefront6targetE0EEEvT1_.numbered_sgpr, 0
	.set _ZN7rocprim17ROCPRIM_400000_NS6detail17trampoline_kernelINS0_14default_configENS1_27scan_by_key_config_selectorIiyEEZZNS1_16scan_by_key_implILNS1_25lookback_scan_determinismE0ELb0ES3_N6thrust23THRUST_200600_302600_NS6detail15normal_iteratorINS9_10device_ptrIiEEEENSB_INSC_IyEEEESG_yNS9_4plusIvEENS9_8equal_toIvEEyEE10hipError_tPvRmT2_T3_T4_T5_mT6_T7_P12ihipStream_tbENKUlT_T0_E_clISt17integral_constantIbLb0EES10_IbLb1EEEEDaSW_SX_EUlSW_E_NS1_11comp_targetILNS1_3genE5ELNS1_11target_archE942ELNS1_3gpuE9ELNS1_3repE0EEENS1_30default_config_static_selectorELNS0_4arch9wavefront6targetE0EEEvT1_.num_named_barrier, 0
	.set _ZN7rocprim17ROCPRIM_400000_NS6detail17trampoline_kernelINS0_14default_configENS1_27scan_by_key_config_selectorIiyEEZZNS1_16scan_by_key_implILNS1_25lookback_scan_determinismE0ELb0ES3_N6thrust23THRUST_200600_302600_NS6detail15normal_iteratorINS9_10device_ptrIiEEEENSB_INSC_IyEEEESG_yNS9_4plusIvEENS9_8equal_toIvEEyEE10hipError_tPvRmT2_T3_T4_T5_mT6_T7_P12ihipStream_tbENKUlT_T0_E_clISt17integral_constantIbLb0EES10_IbLb1EEEEDaSW_SX_EUlSW_E_NS1_11comp_targetILNS1_3genE5ELNS1_11target_archE942ELNS1_3gpuE9ELNS1_3repE0EEENS1_30default_config_static_selectorELNS0_4arch9wavefront6targetE0EEEvT1_.private_seg_size, 0
	.set _ZN7rocprim17ROCPRIM_400000_NS6detail17trampoline_kernelINS0_14default_configENS1_27scan_by_key_config_selectorIiyEEZZNS1_16scan_by_key_implILNS1_25lookback_scan_determinismE0ELb0ES3_N6thrust23THRUST_200600_302600_NS6detail15normal_iteratorINS9_10device_ptrIiEEEENSB_INSC_IyEEEESG_yNS9_4plusIvEENS9_8equal_toIvEEyEE10hipError_tPvRmT2_T3_T4_T5_mT6_T7_P12ihipStream_tbENKUlT_T0_E_clISt17integral_constantIbLb0EES10_IbLb1EEEEDaSW_SX_EUlSW_E_NS1_11comp_targetILNS1_3genE5ELNS1_11target_archE942ELNS1_3gpuE9ELNS1_3repE0EEENS1_30default_config_static_selectorELNS0_4arch9wavefront6targetE0EEEvT1_.uses_vcc, 0
	.set _ZN7rocprim17ROCPRIM_400000_NS6detail17trampoline_kernelINS0_14default_configENS1_27scan_by_key_config_selectorIiyEEZZNS1_16scan_by_key_implILNS1_25lookback_scan_determinismE0ELb0ES3_N6thrust23THRUST_200600_302600_NS6detail15normal_iteratorINS9_10device_ptrIiEEEENSB_INSC_IyEEEESG_yNS9_4plusIvEENS9_8equal_toIvEEyEE10hipError_tPvRmT2_T3_T4_T5_mT6_T7_P12ihipStream_tbENKUlT_T0_E_clISt17integral_constantIbLb0EES10_IbLb1EEEEDaSW_SX_EUlSW_E_NS1_11comp_targetILNS1_3genE5ELNS1_11target_archE942ELNS1_3gpuE9ELNS1_3repE0EEENS1_30default_config_static_selectorELNS0_4arch9wavefront6targetE0EEEvT1_.uses_flat_scratch, 0
	.set _ZN7rocprim17ROCPRIM_400000_NS6detail17trampoline_kernelINS0_14default_configENS1_27scan_by_key_config_selectorIiyEEZZNS1_16scan_by_key_implILNS1_25lookback_scan_determinismE0ELb0ES3_N6thrust23THRUST_200600_302600_NS6detail15normal_iteratorINS9_10device_ptrIiEEEENSB_INSC_IyEEEESG_yNS9_4plusIvEENS9_8equal_toIvEEyEE10hipError_tPvRmT2_T3_T4_T5_mT6_T7_P12ihipStream_tbENKUlT_T0_E_clISt17integral_constantIbLb0EES10_IbLb1EEEEDaSW_SX_EUlSW_E_NS1_11comp_targetILNS1_3genE5ELNS1_11target_archE942ELNS1_3gpuE9ELNS1_3repE0EEENS1_30default_config_static_selectorELNS0_4arch9wavefront6targetE0EEEvT1_.has_dyn_sized_stack, 0
	.set _ZN7rocprim17ROCPRIM_400000_NS6detail17trampoline_kernelINS0_14default_configENS1_27scan_by_key_config_selectorIiyEEZZNS1_16scan_by_key_implILNS1_25lookback_scan_determinismE0ELb0ES3_N6thrust23THRUST_200600_302600_NS6detail15normal_iteratorINS9_10device_ptrIiEEEENSB_INSC_IyEEEESG_yNS9_4plusIvEENS9_8equal_toIvEEyEE10hipError_tPvRmT2_T3_T4_T5_mT6_T7_P12ihipStream_tbENKUlT_T0_E_clISt17integral_constantIbLb0EES10_IbLb1EEEEDaSW_SX_EUlSW_E_NS1_11comp_targetILNS1_3genE5ELNS1_11target_archE942ELNS1_3gpuE9ELNS1_3repE0EEENS1_30default_config_static_selectorELNS0_4arch9wavefront6targetE0EEEvT1_.has_recursion, 0
	.set _ZN7rocprim17ROCPRIM_400000_NS6detail17trampoline_kernelINS0_14default_configENS1_27scan_by_key_config_selectorIiyEEZZNS1_16scan_by_key_implILNS1_25lookback_scan_determinismE0ELb0ES3_N6thrust23THRUST_200600_302600_NS6detail15normal_iteratorINS9_10device_ptrIiEEEENSB_INSC_IyEEEESG_yNS9_4plusIvEENS9_8equal_toIvEEyEE10hipError_tPvRmT2_T3_T4_T5_mT6_T7_P12ihipStream_tbENKUlT_T0_E_clISt17integral_constantIbLb0EES10_IbLb1EEEEDaSW_SX_EUlSW_E_NS1_11comp_targetILNS1_3genE5ELNS1_11target_archE942ELNS1_3gpuE9ELNS1_3repE0EEENS1_30default_config_static_selectorELNS0_4arch9wavefront6targetE0EEEvT1_.has_indirect_call, 0
	.section	.AMDGPU.csdata,"",@progbits
; Kernel info:
; codeLenInByte = 0
; TotalNumSgprs: 0
; NumVgprs: 0
; ScratchSize: 0
; MemoryBound: 0
; FloatMode: 240
; IeeeMode: 1
; LDSByteSize: 0 bytes/workgroup (compile time only)
; SGPRBlocks: 0
; VGPRBlocks: 0
; NumSGPRsForWavesPerEU: 1
; NumVGPRsForWavesPerEU: 1
; Occupancy: 16
; WaveLimiterHint : 0
; COMPUTE_PGM_RSRC2:SCRATCH_EN: 0
; COMPUTE_PGM_RSRC2:USER_SGPR: 6
; COMPUTE_PGM_RSRC2:TRAP_HANDLER: 0
; COMPUTE_PGM_RSRC2:TGID_X_EN: 1
; COMPUTE_PGM_RSRC2:TGID_Y_EN: 0
; COMPUTE_PGM_RSRC2:TGID_Z_EN: 0
; COMPUTE_PGM_RSRC2:TIDIG_COMP_CNT: 0
	.section	.text._ZN7rocprim17ROCPRIM_400000_NS6detail17trampoline_kernelINS0_14default_configENS1_27scan_by_key_config_selectorIiyEEZZNS1_16scan_by_key_implILNS1_25lookback_scan_determinismE0ELb0ES3_N6thrust23THRUST_200600_302600_NS6detail15normal_iteratorINS9_10device_ptrIiEEEENSB_INSC_IyEEEESG_yNS9_4plusIvEENS9_8equal_toIvEEyEE10hipError_tPvRmT2_T3_T4_T5_mT6_T7_P12ihipStream_tbENKUlT_T0_E_clISt17integral_constantIbLb0EES10_IbLb1EEEEDaSW_SX_EUlSW_E_NS1_11comp_targetILNS1_3genE4ELNS1_11target_archE910ELNS1_3gpuE8ELNS1_3repE0EEENS1_30default_config_static_selectorELNS0_4arch9wavefront6targetE0EEEvT1_,"axG",@progbits,_ZN7rocprim17ROCPRIM_400000_NS6detail17trampoline_kernelINS0_14default_configENS1_27scan_by_key_config_selectorIiyEEZZNS1_16scan_by_key_implILNS1_25lookback_scan_determinismE0ELb0ES3_N6thrust23THRUST_200600_302600_NS6detail15normal_iteratorINS9_10device_ptrIiEEEENSB_INSC_IyEEEESG_yNS9_4plusIvEENS9_8equal_toIvEEyEE10hipError_tPvRmT2_T3_T4_T5_mT6_T7_P12ihipStream_tbENKUlT_T0_E_clISt17integral_constantIbLb0EES10_IbLb1EEEEDaSW_SX_EUlSW_E_NS1_11comp_targetILNS1_3genE4ELNS1_11target_archE910ELNS1_3gpuE8ELNS1_3repE0EEENS1_30default_config_static_selectorELNS0_4arch9wavefront6targetE0EEEvT1_,comdat
	.protected	_ZN7rocprim17ROCPRIM_400000_NS6detail17trampoline_kernelINS0_14default_configENS1_27scan_by_key_config_selectorIiyEEZZNS1_16scan_by_key_implILNS1_25lookback_scan_determinismE0ELb0ES3_N6thrust23THRUST_200600_302600_NS6detail15normal_iteratorINS9_10device_ptrIiEEEENSB_INSC_IyEEEESG_yNS9_4plusIvEENS9_8equal_toIvEEyEE10hipError_tPvRmT2_T3_T4_T5_mT6_T7_P12ihipStream_tbENKUlT_T0_E_clISt17integral_constantIbLb0EES10_IbLb1EEEEDaSW_SX_EUlSW_E_NS1_11comp_targetILNS1_3genE4ELNS1_11target_archE910ELNS1_3gpuE8ELNS1_3repE0EEENS1_30default_config_static_selectorELNS0_4arch9wavefront6targetE0EEEvT1_ ; -- Begin function _ZN7rocprim17ROCPRIM_400000_NS6detail17trampoline_kernelINS0_14default_configENS1_27scan_by_key_config_selectorIiyEEZZNS1_16scan_by_key_implILNS1_25lookback_scan_determinismE0ELb0ES3_N6thrust23THRUST_200600_302600_NS6detail15normal_iteratorINS9_10device_ptrIiEEEENSB_INSC_IyEEEESG_yNS9_4plusIvEENS9_8equal_toIvEEyEE10hipError_tPvRmT2_T3_T4_T5_mT6_T7_P12ihipStream_tbENKUlT_T0_E_clISt17integral_constantIbLb0EES10_IbLb1EEEEDaSW_SX_EUlSW_E_NS1_11comp_targetILNS1_3genE4ELNS1_11target_archE910ELNS1_3gpuE8ELNS1_3repE0EEENS1_30default_config_static_selectorELNS0_4arch9wavefront6targetE0EEEvT1_
	.globl	_ZN7rocprim17ROCPRIM_400000_NS6detail17trampoline_kernelINS0_14default_configENS1_27scan_by_key_config_selectorIiyEEZZNS1_16scan_by_key_implILNS1_25lookback_scan_determinismE0ELb0ES3_N6thrust23THRUST_200600_302600_NS6detail15normal_iteratorINS9_10device_ptrIiEEEENSB_INSC_IyEEEESG_yNS9_4plusIvEENS9_8equal_toIvEEyEE10hipError_tPvRmT2_T3_T4_T5_mT6_T7_P12ihipStream_tbENKUlT_T0_E_clISt17integral_constantIbLb0EES10_IbLb1EEEEDaSW_SX_EUlSW_E_NS1_11comp_targetILNS1_3genE4ELNS1_11target_archE910ELNS1_3gpuE8ELNS1_3repE0EEENS1_30default_config_static_selectorELNS0_4arch9wavefront6targetE0EEEvT1_
	.p2align	8
	.type	_ZN7rocprim17ROCPRIM_400000_NS6detail17trampoline_kernelINS0_14default_configENS1_27scan_by_key_config_selectorIiyEEZZNS1_16scan_by_key_implILNS1_25lookback_scan_determinismE0ELb0ES3_N6thrust23THRUST_200600_302600_NS6detail15normal_iteratorINS9_10device_ptrIiEEEENSB_INSC_IyEEEESG_yNS9_4plusIvEENS9_8equal_toIvEEyEE10hipError_tPvRmT2_T3_T4_T5_mT6_T7_P12ihipStream_tbENKUlT_T0_E_clISt17integral_constantIbLb0EES10_IbLb1EEEEDaSW_SX_EUlSW_E_NS1_11comp_targetILNS1_3genE4ELNS1_11target_archE910ELNS1_3gpuE8ELNS1_3repE0EEENS1_30default_config_static_selectorELNS0_4arch9wavefront6targetE0EEEvT1_,@function
_ZN7rocprim17ROCPRIM_400000_NS6detail17trampoline_kernelINS0_14default_configENS1_27scan_by_key_config_selectorIiyEEZZNS1_16scan_by_key_implILNS1_25lookback_scan_determinismE0ELb0ES3_N6thrust23THRUST_200600_302600_NS6detail15normal_iteratorINS9_10device_ptrIiEEEENSB_INSC_IyEEEESG_yNS9_4plusIvEENS9_8equal_toIvEEyEE10hipError_tPvRmT2_T3_T4_T5_mT6_T7_P12ihipStream_tbENKUlT_T0_E_clISt17integral_constantIbLb0EES10_IbLb1EEEEDaSW_SX_EUlSW_E_NS1_11comp_targetILNS1_3genE4ELNS1_11target_archE910ELNS1_3gpuE8ELNS1_3repE0EEENS1_30default_config_static_selectorELNS0_4arch9wavefront6targetE0EEEvT1_: ; @_ZN7rocprim17ROCPRIM_400000_NS6detail17trampoline_kernelINS0_14default_configENS1_27scan_by_key_config_selectorIiyEEZZNS1_16scan_by_key_implILNS1_25lookback_scan_determinismE0ELb0ES3_N6thrust23THRUST_200600_302600_NS6detail15normal_iteratorINS9_10device_ptrIiEEEENSB_INSC_IyEEEESG_yNS9_4plusIvEENS9_8equal_toIvEEyEE10hipError_tPvRmT2_T3_T4_T5_mT6_T7_P12ihipStream_tbENKUlT_T0_E_clISt17integral_constantIbLb0EES10_IbLb1EEEEDaSW_SX_EUlSW_E_NS1_11comp_targetILNS1_3genE4ELNS1_11target_archE910ELNS1_3gpuE8ELNS1_3repE0EEENS1_30default_config_static_selectorELNS0_4arch9wavefront6targetE0EEEvT1_
; %bb.0:
	.section	.rodata,"a",@progbits
	.p2align	6, 0x0
	.amdhsa_kernel _ZN7rocprim17ROCPRIM_400000_NS6detail17trampoline_kernelINS0_14default_configENS1_27scan_by_key_config_selectorIiyEEZZNS1_16scan_by_key_implILNS1_25lookback_scan_determinismE0ELb0ES3_N6thrust23THRUST_200600_302600_NS6detail15normal_iteratorINS9_10device_ptrIiEEEENSB_INSC_IyEEEESG_yNS9_4plusIvEENS9_8equal_toIvEEyEE10hipError_tPvRmT2_T3_T4_T5_mT6_T7_P12ihipStream_tbENKUlT_T0_E_clISt17integral_constantIbLb0EES10_IbLb1EEEEDaSW_SX_EUlSW_E_NS1_11comp_targetILNS1_3genE4ELNS1_11target_archE910ELNS1_3gpuE8ELNS1_3repE0EEENS1_30default_config_static_selectorELNS0_4arch9wavefront6targetE0EEEvT1_
		.amdhsa_group_segment_fixed_size 0
		.amdhsa_private_segment_fixed_size 0
		.amdhsa_kernarg_size 136
		.amdhsa_user_sgpr_count 6
		.amdhsa_user_sgpr_private_segment_buffer 1
		.amdhsa_user_sgpr_dispatch_ptr 0
		.amdhsa_user_sgpr_queue_ptr 0
		.amdhsa_user_sgpr_kernarg_segment_ptr 1
		.amdhsa_user_sgpr_dispatch_id 0
		.amdhsa_user_sgpr_flat_scratch_init 0
		.amdhsa_user_sgpr_private_segment_size 0
		.amdhsa_wavefront_size32 1
		.amdhsa_uses_dynamic_stack 0
		.amdhsa_system_sgpr_private_segment_wavefront_offset 0
		.amdhsa_system_sgpr_workgroup_id_x 1
		.amdhsa_system_sgpr_workgroup_id_y 0
		.amdhsa_system_sgpr_workgroup_id_z 0
		.amdhsa_system_sgpr_workgroup_info 0
		.amdhsa_system_vgpr_workitem_id 0
		.amdhsa_next_free_vgpr 1
		.amdhsa_next_free_sgpr 1
		.amdhsa_reserve_vcc 0
		.amdhsa_reserve_flat_scratch 0
		.amdhsa_float_round_mode_32 0
		.amdhsa_float_round_mode_16_64 0
		.amdhsa_float_denorm_mode_32 3
		.amdhsa_float_denorm_mode_16_64 3
		.amdhsa_dx10_clamp 1
		.amdhsa_ieee_mode 1
		.amdhsa_fp16_overflow 0
		.amdhsa_workgroup_processor_mode 1
		.amdhsa_memory_ordered 1
		.amdhsa_forward_progress 1
		.amdhsa_shared_vgpr_count 0
		.amdhsa_exception_fp_ieee_invalid_op 0
		.amdhsa_exception_fp_denorm_src 0
		.amdhsa_exception_fp_ieee_div_zero 0
		.amdhsa_exception_fp_ieee_overflow 0
		.amdhsa_exception_fp_ieee_underflow 0
		.amdhsa_exception_fp_ieee_inexact 0
		.amdhsa_exception_int_div_zero 0
	.end_amdhsa_kernel
	.section	.text._ZN7rocprim17ROCPRIM_400000_NS6detail17trampoline_kernelINS0_14default_configENS1_27scan_by_key_config_selectorIiyEEZZNS1_16scan_by_key_implILNS1_25lookback_scan_determinismE0ELb0ES3_N6thrust23THRUST_200600_302600_NS6detail15normal_iteratorINS9_10device_ptrIiEEEENSB_INSC_IyEEEESG_yNS9_4plusIvEENS9_8equal_toIvEEyEE10hipError_tPvRmT2_T3_T4_T5_mT6_T7_P12ihipStream_tbENKUlT_T0_E_clISt17integral_constantIbLb0EES10_IbLb1EEEEDaSW_SX_EUlSW_E_NS1_11comp_targetILNS1_3genE4ELNS1_11target_archE910ELNS1_3gpuE8ELNS1_3repE0EEENS1_30default_config_static_selectorELNS0_4arch9wavefront6targetE0EEEvT1_,"axG",@progbits,_ZN7rocprim17ROCPRIM_400000_NS6detail17trampoline_kernelINS0_14default_configENS1_27scan_by_key_config_selectorIiyEEZZNS1_16scan_by_key_implILNS1_25lookback_scan_determinismE0ELb0ES3_N6thrust23THRUST_200600_302600_NS6detail15normal_iteratorINS9_10device_ptrIiEEEENSB_INSC_IyEEEESG_yNS9_4plusIvEENS9_8equal_toIvEEyEE10hipError_tPvRmT2_T3_T4_T5_mT6_T7_P12ihipStream_tbENKUlT_T0_E_clISt17integral_constantIbLb0EES10_IbLb1EEEEDaSW_SX_EUlSW_E_NS1_11comp_targetILNS1_3genE4ELNS1_11target_archE910ELNS1_3gpuE8ELNS1_3repE0EEENS1_30default_config_static_selectorELNS0_4arch9wavefront6targetE0EEEvT1_,comdat
.Lfunc_end1212:
	.size	_ZN7rocprim17ROCPRIM_400000_NS6detail17trampoline_kernelINS0_14default_configENS1_27scan_by_key_config_selectorIiyEEZZNS1_16scan_by_key_implILNS1_25lookback_scan_determinismE0ELb0ES3_N6thrust23THRUST_200600_302600_NS6detail15normal_iteratorINS9_10device_ptrIiEEEENSB_INSC_IyEEEESG_yNS9_4plusIvEENS9_8equal_toIvEEyEE10hipError_tPvRmT2_T3_T4_T5_mT6_T7_P12ihipStream_tbENKUlT_T0_E_clISt17integral_constantIbLb0EES10_IbLb1EEEEDaSW_SX_EUlSW_E_NS1_11comp_targetILNS1_3genE4ELNS1_11target_archE910ELNS1_3gpuE8ELNS1_3repE0EEENS1_30default_config_static_selectorELNS0_4arch9wavefront6targetE0EEEvT1_, .Lfunc_end1212-_ZN7rocprim17ROCPRIM_400000_NS6detail17trampoline_kernelINS0_14default_configENS1_27scan_by_key_config_selectorIiyEEZZNS1_16scan_by_key_implILNS1_25lookback_scan_determinismE0ELb0ES3_N6thrust23THRUST_200600_302600_NS6detail15normal_iteratorINS9_10device_ptrIiEEEENSB_INSC_IyEEEESG_yNS9_4plusIvEENS9_8equal_toIvEEyEE10hipError_tPvRmT2_T3_T4_T5_mT6_T7_P12ihipStream_tbENKUlT_T0_E_clISt17integral_constantIbLb0EES10_IbLb1EEEEDaSW_SX_EUlSW_E_NS1_11comp_targetILNS1_3genE4ELNS1_11target_archE910ELNS1_3gpuE8ELNS1_3repE0EEENS1_30default_config_static_selectorELNS0_4arch9wavefront6targetE0EEEvT1_
                                        ; -- End function
	.set _ZN7rocprim17ROCPRIM_400000_NS6detail17trampoline_kernelINS0_14default_configENS1_27scan_by_key_config_selectorIiyEEZZNS1_16scan_by_key_implILNS1_25lookback_scan_determinismE0ELb0ES3_N6thrust23THRUST_200600_302600_NS6detail15normal_iteratorINS9_10device_ptrIiEEEENSB_INSC_IyEEEESG_yNS9_4plusIvEENS9_8equal_toIvEEyEE10hipError_tPvRmT2_T3_T4_T5_mT6_T7_P12ihipStream_tbENKUlT_T0_E_clISt17integral_constantIbLb0EES10_IbLb1EEEEDaSW_SX_EUlSW_E_NS1_11comp_targetILNS1_3genE4ELNS1_11target_archE910ELNS1_3gpuE8ELNS1_3repE0EEENS1_30default_config_static_selectorELNS0_4arch9wavefront6targetE0EEEvT1_.num_vgpr, 0
	.set _ZN7rocprim17ROCPRIM_400000_NS6detail17trampoline_kernelINS0_14default_configENS1_27scan_by_key_config_selectorIiyEEZZNS1_16scan_by_key_implILNS1_25lookback_scan_determinismE0ELb0ES3_N6thrust23THRUST_200600_302600_NS6detail15normal_iteratorINS9_10device_ptrIiEEEENSB_INSC_IyEEEESG_yNS9_4plusIvEENS9_8equal_toIvEEyEE10hipError_tPvRmT2_T3_T4_T5_mT6_T7_P12ihipStream_tbENKUlT_T0_E_clISt17integral_constantIbLb0EES10_IbLb1EEEEDaSW_SX_EUlSW_E_NS1_11comp_targetILNS1_3genE4ELNS1_11target_archE910ELNS1_3gpuE8ELNS1_3repE0EEENS1_30default_config_static_selectorELNS0_4arch9wavefront6targetE0EEEvT1_.num_agpr, 0
	.set _ZN7rocprim17ROCPRIM_400000_NS6detail17trampoline_kernelINS0_14default_configENS1_27scan_by_key_config_selectorIiyEEZZNS1_16scan_by_key_implILNS1_25lookback_scan_determinismE0ELb0ES3_N6thrust23THRUST_200600_302600_NS6detail15normal_iteratorINS9_10device_ptrIiEEEENSB_INSC_IyEEEESG_yNS9_4plusIvEENS9_8equal_toIvEEyEE10hipError_tPvRmT2_T3_T4_T5_mT6_T7_P12ihipStream_tbENKUlT_T0_E_clISt17integral_constantIbLb0EES10_IbLb1EEEEDaSW_SX_EUlSW_E_NS1_11comp_targetILNS1_3genE4ELNS1_11target_archE910ELNS1_3gpuE8ELNS1_3repE0EEENS1_30default_config_static_selectorELNS0_4arch9wavefront6targetE0EEEvT1_.numbered_sgpr, 0
	.set _ZN7rocprim17ROCPRIM_400000_NS6detail17trampoline_kernelINS0_14default_configENS1_27scan_by_key_config_selectorIiyEEZZNS1_16scan_by_key_implILNS1_25lookback_scan_determinismE0ELb0ES3_N6thrust23THRUST_200600_302600_NS6detail15normal_iteratorINS9_10device_ptrIiEEEENSB_INSC_IyEEEESG_yNS9_4plusIvEENS9_8equal_toIvEEyEE10hipError_tPvRmT2_T3_T4_T5_mT6_T7_P12ihipStream_tbENKUlT_T0_E_clISt17integral_constantIbLb0EES10_IbLb1EEEEDaSW_SX_EUlSW_E_NS1_11comp_targetILNS1_3genE4ELNS1_11target_archE910ELNS1_3gpuE8ELNS1_3repE0EEENS1_30default_config_static_selectorELNS0_4arch9wavefront6targetE0EEEvT1_.num_named_barrier, 0
	.set _ZN7rocprim17ROCPRIM_400000_NS6detail17trampoline_kernelINS0_14default_configENS1_27scan_by_key_config_selectorIiyEEZZNS1_16scan_by_key_implILNS1_25lookback_scan_determinismE0ELb0ES3_N6thrust23THRUST_200600_302600_NS6detail15normal_iteratorINS9_10device_ptrIiEEEENSB_INSC_IyEEEESG_yNS9_4plusIvEENS9_8equal_toIvEEyEE10hipError_tPvRmT2_T3_T4_T5_mT6_T7_P12ihipStream_tbENKUlT_T0_E_clISt17integral_constantIbLb0EES10_IbLb1EEEEDaSW_SX_EUlSW_E_NS1_11comp_targetILNS1_3genE4ELNS1_11target_archE910ELNS1_3gpuE8ELNS1_3repE0EEENS1_30default_config_static_selectorELNS0_4arch9wavefront6targetE0EEEvT1_.private_seg_size, 0
	.set _ZN7rocprim17ROCPRIM_400000_NS6detail17trampoline_kernelINS0_14default_configENS1_27scan_by_key_config_selectorIiyEEZZNS1_16scan_by_key_implILNS1_25lookback_scan_determinismE0ELb0ES3_N6thrust23THRUST_200600_302600_NS6detail15normal_iteratorINS9_10device_ptrIiEEEENSB_INSC_IyEEEESG_yNS9_4plusIvEENS9_8equal_toIvEEyEE10hipError_tPvRmT2_T3_T4_T5_mT6_T7_P12ihipStream_tbENKUlT_T0_E_clISt17integral_constantIbLb0EES10_IbLb1EEEEDaSW_SX_EUlSW_E_NS1_11comp_targetILNS1_3genE4ELNS1_11target_archE910ELNS1_3gpuE8ELNS1_3repE0EEENS1_30default_config_static_selectorELNS0_4arch9wavefront6targetE0EEEvT1_.uses_vcc, 0
	.set _ZN7rocprim17ROCPRIM_400000_NS6detail17trampoline_kernelINS0_14default_configENS1_27scan_by_key_config_selectorIiyEEZZNS1_16scan_by_key_implILNS1_25lookback_scan_determinismE0ELb0ES3_N6thrust23THRUST_200600_302600_NS6detail15normal_iteratorINS9_10device_ptrIiEEEENSB_INSC_IyEEEESG_yNS9_4plusIvEENS9_8equal_toIvEEyEE10hipError_tPvRmT2_T3_T4_T5_mT6_T7_P12ihipStream_tbENKUlT_T0_E_clISt17integral_constantIbLb0EES10_IbLb1EEEEDaSW_SX_EUlSW_E_NS1_11comp_targetILNS1_3genE4ELNS1_11target_archE910ELNS1_3gpuE8ELNS1_3repE0EEENS1_30default_config_static_selectorELNS0_4arch9wavefront6targetE0EEEvT1_.uses_flat_scratch, 0
	.set _ZN7rocprim17ROCPRIM_400000_NS6detail17trampoline_kernelINS0_14default_configENS1_27scan_by_key_config_selectorIiyEEZZNS1_16scan_by_key_implILNS1_25lookback_scan_determinismE0ELb0ES3_N6thrust23THRUST_200600_302600_NS6detail15normal_iteratorINS9_10device_ptrIiEEEENSB_INSC_IyEEEESG_yNS9_4plusIvEENS9_8equal_toIvEEyEE10hipError_tPvRmT2_T3_T4_T5_mT6_T7_P12ihipStream_tbENKUlT_T0_E_clISt17integral_constantIbLb0EES10_IbLb1EEEEDaSW_SX_EUlSW_E_NS1_11comp_targetILNS1_3genE4ELNS1_11target_archE910ELNS1_3gpuE8ELNS1_3repE0EEENS1_30default_config_static_selectorELNS0_4arch9wavefront6targetE0EEEvT1_.has_dyn_sized_stack, 0
	.set _ZN7rocprim17ROCPRIM_400000_NS6detail17trampoline_kernelINS0_14default_configENS1_27scan_by_key_config_selectorIiyEEZZNS1_16scan_by_key_implILNS1_25lookback_scan_determinismE0ELb0ES3_N6thrust23THRUST_200600_302600_NS6detail15normal_iteratorINS9_10device_ptrIiEEEENSB_INSC_IyEEEESG_yNS9_4plusIvEENS9_8equal_toIvEEyEE10hipError_tPvRmT2_T3_T4_T5_mT6_T7_P12ihipStream_tbENKUlT_T0_E_clISt17integral_constantIbLb0EES10_IbLb1EEEEDaSW_SX_EUlSW_E_NS1_11comp_targetILNS1_3genE4ELNS1_11target_archE910ELNS1_3gpuE8ELNS1_3repE0EEENS1_30default_config_static_selectorELNS0_4arch9wavefront6targetE0EEEvT1_.has_recursion, 0
	.set _ZN7rocprim17ROCPRIM_400000_NS6detail17trampoline_kernelINS0_14default_configENS1_27scan_by_key_config_selectorIiyEEZZNS1_16scan_by_key_implILNS1_25lookback_scan_determinismE0ELb0ES3_N6thrust23THRUST_200600_302600_NS6detail15normal_iteratorINS9_10device_ptrIiEEEENSB_INSC_IyEEEESG_yNS9_4plusIvEENS9_8equal_toIvEEyEE10hipError_tPvRmT2_T3_T4_T5_mT6_T7_P12ihipStream_tbENKUlT_T0_E_clISt17integral_constantIbLb0EES10_IbLb1EEEEDaSW_SX_EUlSW_E_NS1_11comp_targetILNS1_3genE4ELNS1_11target_archE910ELNS1_3gpuE8ELNS1_3repE0EEENS1_30default_config_static_selectorELNS0_4arch9wavefront6targetE0EEEvT1_.has_indirect_call, 0
	.section	.AMDGPU.csdata,"",@progbits
; Kernel info:
; codeLenInByte = 0
; TotalNumSgprs: 0
; NumVgprs: 0
; ScratchSize: 0
; MemoryBound: 0
; FloatMode: 240
; IeeeMode: 1
; LDSByteSize: 0 bytes/workgroup (compile time only)
; SGPRBlocks: 0
; VGPRBlocks: 0
; NumSGPRsForWavesPerEU: 1
; NumVGPRsForWavesPerEU: 1
; Occupancy: 16
; WaveLimiterHint : 0
; COMPUTE_PGM_RSRC2:SCRATCH_EN: 0
; COMPUTE_PGM_RSRC2:USER_SGPR: 6
; COMPUTE_PGM_RSRC2:TRAP_HANDLER: 0
; COMPUTE_PGM_RSRC2:TGID_X_EN: 1
; COMPUTE_PGM_RSRC2:TGID_Y_EN: 0
; COMPUTE_PGM_RSRC2:TGID_Z_EN: 0
; COMPUTE_PGM_RSRC2:TIDIG_COMP_CNT: 0
	.section	.text._ZN7rocprim17ROCPRIM_400000_NS6detail17trampoline_kernelINS0_14default_configENS1_27scan_by_key_config_selectorIiyEEZZNS1_16scan_by_key_implILNS1_25lookback_scan_determinismE0ELb0ES3_N6thrust23THRUST_200600_302600_NS6detail15normal_iteratorINS9_10device_ptrIiEEEENSB_INSC_IyEEEESG_yNS9_4plusIvEENS9_8equal_toIvEEyEE10hipError_tPvRmT2_T3_T4_T5_mT6_T7_P12ihipStream_tbENKUlT_T0_E_clISt17integral_constantIbLb0EES10_IbLb1EEEEDaSW_SX_EUlSW_E_NS1_11comp_targetILNS1_3genE3ELNS1_11target_archE908ELNS1_3gpuE7ELNS1_3repE0EEENS1_30default_config_static_selectorELNS0_4arch9wavefront6targetE0EEEvT1_,"axG",@progbits,_ZN7rocprim17ROCPRIM_400000_NS6detail17trampoline_kernelINS0_14default_configENS1_27scan_by_key_config_selectorIiyEEZZNS1_16scan_by_key_implILNS1_25lookback_scan_determinismE0ELb0ES3_N6thrust23THRUST_200600_302600_NS6detail15normal_iteratorINS9_10device_ptrIiEEEENSB_INSC_IyEEEESG_yNS9_4plusIvEENS9_8equal_toIvEEyEE10hipError_tPvRmT2_T3_T4_T5_mT6_T7_P12ihipStream_tbENKUlT_T0_E_clISt17integral_constantIbLb0EES10_IbLb1EEEEDaSW_SX_EUlSW_E_NS1_11comp_targetILNS1_3genE3ELNS1_11target_archE908ELNS1_3gpuE7ELNS1_3repE0EEENS1_30default_config_static_selectorELNS0_4arch9wavefront6targetE0EEEvT1_,comdat
	.protected	_ZN7rocprim17ROCPRIM_400000_NS6detail17trampoline_kernelINS0_14default_configENS1_27scan_by_key_config_selectorIiyEEZZNS1_16scan_by_key_implILNS1_25lookback_scan_determinismE0ELb0ES3_N6thrust23THRUST_200600_302600_NS6detail15normal_iteratorINS9_10device_ptrIiEEEENSB_INSC_IyEEEESG_yNS9_4plusIvEENS9_8equal_toIvEEyEE10hipError_tPvRmT2_T3_T4_T5_mT6_T7_P12ihipStream_tbENKUlT_T0_E_clISt17integral_constantIbLb0EES10_IbLb1EEEEDaSW_SX_EUlSW_E_NS1_11comp_targetILNS1_3genE3ELNS1_11target_archE908ELNS1_3gpuE7ELNS1_3repE0EEENS1_30default_config_static_selectorELNS0_4arch9wavefront6targetE0EEEvT1_ ; -- Begin function _ZN7rocprim17ROCPRIM_400000_NS6detail17trampoline_kernelINS0_14default_configENS1_27scan_by_key_config_selectorIiyEEZZNS1_16scan_by_key_implILNS1_25lookback_scan_determinismE0ELb0ES3_N6thrust23THRUST_200600_302600_NS6detail15normal_iteratorINS9_10device_ptrIiEEEENSB_INSC_IyEEEESG_yNS9_4plusIvEENS9_8equal_toIvEEyEE10hipError_tPvRmT2_T3_T4_T5_mT6_T7_P12ihipStream_tbENKUlT_T0_E_clISt17integral_constantIbLb0EES10_IbLb1EEEEDaSW_SX_EUlSW_E_NS1_11comp_targetILNS1_3genE3ELNS1_11target_archE908ELNS1_3gpuE7ELNS1_3repE0EEENS1_30default_config_static_selectorELNS0_4arch9wavefront6targetE0EEEvT1_
	.globl	_ZN7rocprim17ROCPRIM_400000_NS6detail17trampoline_kernelINS0_14default_configENS1_27scan_by_key_config_selectorIiyEEZZNS1_16scan_by_key_implILNS1_25lookback_scan_determinismE0ELb0ES3_N6thrust23THRUST_200600_302600_NS6detail15normal_iteratorINS9_10device_ptrIiEEEENSB_INSC_IyEEEESG_yNS9_4plusIvEENS9_8equal_toIvEEyEE10hipError_tPvRmT2_T3_T4_T5_mT6_T7_P12ihipStream_tbENKUlT_T0_E_clISt17integral_constantIbLb0EES10_IbLb1EEEEDaSW_SX_EUlSW_E_NS1_11comp_targetILNS1_3genE3ELNS1_11target_archE908ELNS1_3gpuE7ELNS1_3repE0EEENS1_30default_config_static_selectorELNS0_4arch9wavefront6targetE0EEEvT1_
	.p2align	8
	.type	_ZN7rocprim17ROCPRIM_400000_NS6detail17trampoline_kernelINS0_14default_configENS1_27scan_by_key_config_selectorIiyEEZZNS1_16scan_by_key_implILNS1_25lookback_scan_determinismE0ELb0ES3_N6thrust23THRUST_200600_302600_NS6detail15normal_iteratorINS9_10device_ptrIiEEEENSB_INSC_IyEEEESG_yNS9_4plusIvEENS9_8equal_toIvEEyEE10hipError_tPvRmT2_T3_T4_T5_mT6_T7_P12ihipStream_tbENKUlT_T0_E_clISt17integral_constantIbLb0EES10_IbLb1EEEEDaSW_SX_EUlSW_E_NS1_11comp_targetILNS1_3genE3ELNS1_11target_archE908ELNS1_3gpuE7ELNS1_3repE0EEENS1_30default_config_static_selectorELNS0_4arch9wavefront6targetE0EEEvT1_,@function
_ZN7rocprim17ROCPRIM_400000_NS6detail17trampoline_kernelINS0_14default_configENS1_27scan_by_key_config_selectorIiyEEZZNS1_16scan_by_key_implILNS1_25lookback_scan_determinismE0ELb0ES3_N6thrust23THRUST_200600_302600_NS6detail15normal_iteratorINS9_10device_ptrIiEEEENSB_INSC_IyEEEESG_yNS9_4plusIvEENS9_8equal_toIvEEyEE10hipError_tPvRmT2_T3_T4_T5_mT6_T7_P12ihipStream_tbENKUlT_T0_E_clISt17integral_constantIbLb0EES10_IbLb1EEEEDaSW_SX_EUlSW_E_NS1_11comp_targetILNS1_3genE3ELNS1_11target_archE908ELNS1_3gpuE7ELNS1_3repE0EEENS1_30default_config_static_selectorELNS0_4arch9wavefront6targetE0EEEvT1_: ; @_ZN7rocprim17ROCPRIM_400000_NS6detail17trampoline_kernelINS0_14default_configENS1_27scan_by_key_config_selectorIiyEEZZNS1_16scan_by_key_implILNS1_25lookback_scan_determinismE0ELb0ES3_N6thrust23THRUST_200600_302600_NS6detail15normal_iteratorINS9_10device_ptrIiEEEENSB_INSC_IyEEEESG_yNS9_4plusIvEENS9_8equal_toIvEEyEE10hipError_tPvRmT2_T3_T4_T5_mT6_T7_P12ihipStream_tbENKUlT_T0_E_clISt17integral_constantIbLb0EES10_IbLb1EEEEDaSW_SX_EUlSW_E_NS1_11comp_targetILNS1_3genE3ELNS1_11target_archE908ELNS1_3gpuE7ELNS1_3repE0EEENS1_30default_config_static_selectorELNS0_4arch9wavefront6targetE0EEEvT1_
; %bb.0:
	.section	.rodata,"a",@progbits
	.p2align	6, 0x0
	.amdhsa_kernel _ZN7rocprim17ROCPRIM_400000_NS6detail17trampoline_kernelINS0_14default_configENS1_27scan_by_key_config_selectorIiyEEZZNS1_16scan_by_key_implILNS1_25lookback_scan_determinismE0ELb0ES3_N6thrust23THRUST_200600_302600_NS6detail15normal_iteratorINS9_10device_ptrIiEEEENSB_INSC_IyEEEESG_yNS9_4plusIvEENS9_8equal_toIvEEyEE10hipError_tPvRmT2_T3_T4_T5_mT6_T7_P12ihipStream_tbENKUlT_T0_E_clISt17integral_constantIbLb0EES10_IbLb1EEEEDaSW_SX_EUlSW_E_NS1_11comp_targetILNS1_3genE3ELNS1_11target_archE908ELNS1_3gpuE7ELNS1_3repE0EEENS1_30default_config_static_selectorELNS0_4arch9wavefront6targetE0EEEvT1_
		.amdhsa_group_segment_fixed_size 0
		.amdhsa_private_segment_fixed_size 0
		.amdhsa_kernarg_size 136
		.amdhsa_user_sgpr_count 6
		.amdhsa_user_sgpr_private_segment_buffer 1
		.amdhsa_user_sgpr_dispatch_ptr 0
		.amdhsa_user_sgpr_queue_ptr 0
		.amdhsa_user_sgpr_kernarg_segment_ptr 1
		.amdhsa_user_sgpr_dispatch_id 0
		.amdhsa_user_sgpr_flat_scratch_init 0
		.amdhsa_user_sgpr_private_segment_size 0
		.amdhsa_wavefront_size32 1
		.amdhsa_uses_dynamic_stack 0
		.amdhsa_system_sgpr_private_segment_wavefront_offset 0
		.amdhsa_system_sgpr_workgroup_id_x 1
		.amdhsa_system_sgpr_workgroup_id_y 0
		.amdhsa_system_sgpr_workgroup_id_z 0
		.amdhsa_system_sgpr_workgroup_info 0
		.amdhsa_system_vgpr_workitem_id 0
		.amdhsa_next_free_vgpr 1
		.amdhsa_next_free_sgpr 1
		.amdhsa_reserve_vcc 0
		.amdhsa_reserve_flat_scratch 0
		.amdhsa_float_round_mode_32 0
		.amdhsa_float_round_mode_16_64 0
		.amdhsa_float_denorm_mode_32 3
		.amdhsa_float_denorm_mode_16_64 3
		.amdhsa_dx10_clamp 1
		.amdhsa_ieee_mode 1
		.amdhsa_fp16_overflow 0
		.amdhsa_workgroup_processor_mode 1
		.amdhsa_memory_ordered 1
		.amdhsa_forward_progress 1
		.amdhsa_shared_vgpr_count 0
		.amdhsa_exception_fp_ieee_invalid_op 0
		.amdhsa_exception_fp_denorm_src 0
		.amdhsa_exception_fp_ieee_div_zero 0
		.amdhsa_exception_fp_ieee_overflow 0
		.amdhsa_exception_fp_ieee_underflow 0
		.amdhsa_exception_fp_ieee_inexact 0
		.amdhsa_exception_int_div_zero 0
	.end_amdhsa_kernel
	.section	.text._ZN7rocprim17ROCPRIM_400000_NS6detail17trampoline_kernelINS0_14default_configENS1_27scan_by_key_config_selectorIiyEEZZNS1_16scan_by_key_implILNS1_25lookback_scan_determinismE0ELb0ES3_N6thrust23THRUST_200600_302600_NS6detail15normal_iteratorINS9_10device_ptrIiEEEENSB_INSC_IyEEEESG_yNS9_4plusIvEENS9_8equal_toIvEEyEE10hipError_tPvRmT2_T3_T4_T5_mT6_T7_P12ihipStream_tbENKUlT_T0_E_clISt17integral_constantIbLb0EES10_IbLb1EEEEDaSW_SX_EUlSW_E_NS1_11comp_targetILNS1_3genE3ELNS1_11target_archE908ELNS1_3gpuE7ELNS1_3repE0EEENS1_30default_config_static_selectorELNS0_4arch9wavefront6targetE0EEEvT1_,"axG",@progbits,_ZN7rocprim17ROCPRIM_400000_NS6detail17trampoline_kernelINS0_14default_configENS1_27scan_by_key_config_selectorIiyEEZZNS1_16scan_by_key_implILNS1_25lookback_scan_determinismE0ELb0ES3_N6thrust23THRUST_200600_302600_NS6detail15normal_iteratorINS9_10device_ptrIiEEEENSB_INSC_IyEEEESG_yNS9_4plusIvEENS9_8equal_toIvEEyEE10hipError_tPvRmT2_T3_T4_T5_mT6_T7_P12ihipStream_tbENKUlT_T0_E_clISt17integral_constantIbLb0EES10_IbLb1EEEEDaSW_SX_EUlSW_E_NS1_11comp_targetILNS1_3genE3ELNS1_11target_archE908ELNS1_3gpuE7ELNS1_3repE0EEENS1_30default_config_static_selectorELNS0_4arch9wavefront6targetE0EEEvT1_,comdat
.Lfunc_end1213:
	.size	_ZN7rocprim17ROCPRIM_400000_NS6detail17trampoline_kernelINS0_14default_configENS1_27scan_by_key_config_selectorIiyEEZZNS1_16scan_by_key_implILNS1_25lookback_scan_determinismE0ELb0ES3_N6thrust23THRUST_200600_302600_NS6detail15normal_iteratorINS9_10device_ptrIiEEEENSB_INSC_IyEEEESG_yNS9_4plusIvEENS9_8equal_toIvEEyEE10hipError_tPvRmT2_T3_T4_T5_mT6_T7_P12ihipStream_tbENKUlT_T0_E_clISt17integral_constantIbLb0EES10_IbLb1EEEEDaSW_SX_EUlSW_E_NS1_11comp_targetILNS1_3genE3ELNS1_11target_archE908ELNS1_3gpuE7ELNS1_3repE0EEENS1_30default_config_static_selectorELNS0_4arch9wavefront6targetE0EEEvT1_, .Lfunc_end1213-_ZN7rocprim17ROCPRIM_400000_NS6detail17trampoline_kernelINS0_14default_configENS1_27scan_by_key_config_selectorIiyEEZZNS1_16scan_by_key_implILNS1_25lookback_scan_determinismE0ELb0ES3_N6thrust23THRUST_200600_302600_NS6detail15normal_iteratorINS9_10device_ptrIiEEEENSB_INSC_IyEEEESG_yNS9_4plusIvEENS9_8equal_toIvEEyEE10hipError_tPvRmT2_T3_T4_T5_mT6_T7_P12ihipStream_tbENKUlT_T0_E_clISt17integral_constantIbLb0EES10_IbLb1EEEEDaSW_SX_EUlSW_E_NS1_11comp_targetILNS1_3genE3ELNS1_11target_archE908ELNS1_3gpuE7ELNS1_3repE0EEENS1_30default_config_static_selectorELNS0_4arch9wavefront6targetE0EEEvT1_
                                        ; -- End function
	.set _ZN7rocprim17ROCPRIM_400000_NS6detail17trampoline_kernelINS0_14default_configENS1_27scan_by_key_config_selectorIiyEEZZNS1_16scan_by_key_implILNS1_25lookback_scan_determinismE0ELb0ES3_N6thrust23THRUST_200600_302600_NS6detail15normal_iteratorINS9_10device_ptrIiEEEENSB_INSC_IyEEEESG_yNS9_4plusIvEENS9_8equal_toIvEEyEE10hipError_tPvRmT2_T3_T4_T5_mT6_T7_P12ihipStream_tbENKUlT_T0_E_clISt17integral_constantIbLb0EES10_IbLb1EEEEDaSW_SX_EUlSW_E_NS1_11comp_targetILNS1_3genE3ELNS1_11target_archE908ELNS1_3gpuE7ELNS1_3repE0EEENS1_30default_config_static_selectorELNS0_4arch9wavefront6targetE0EEEvT1_.num_vgpr, 0
	.set _ZN7rocprim17ROCPRIM_400000_NS6detail17trampoline_kernelINS0_14default_configENS1_27scan_by_key_config_selectorIiyEEZZNS1_16scan_by_key_implILNS1_25lookback_scan_determinismE0ELb0ES3_N6thrust23THRUST_200600_302600_NS6detail15normal_iteratorINS9_10device_ptrIiEEEENSB_INSC_IyEEEESG_yNS9_4plusIvEENS9_8equal_toIvEEyEE10hipError_tPvRmT2_T3_T4_T5_mT6_T7_P12ihipStream_tbENKUlT_T0_E_clISt17integral_constantIbLb0EES10_IbLb1EEEEDaSW_SX_EUlSW_E_NS1_11comp_targetILNS1_3genE3ELNS1_11target_archE908ELNS1_3gpuE7ELNS1_3repE0EEENS1_30default_config_static_selectorELNS0_4arch9wavefront6targetE0EEEvT1_.num_agpr, 0
	.set _ZN7rocprim17ROCPRIM_400000_NS6detail17trampoline_kernelINS0_14default_configENS1_27scan_by_key_config_selectorIiyEEZZNS1_16scan_by_key_implILNS1_25lookback_scan_determinismE0ELb0ES3_N6thrust23THRUST_200600_302600_NS6detail15normal_iteratorINS9_10device_ptrIiEEEENSB_INSC_IyEEEESG_yNS9_4plusIvEENS9_8equal_toIvEEyEE10hipError_tPvRmT2_T3_T4_T5_mT6_T7_P12ihipStream_tbENKUlT_T0_E_clISt17integral_constantIbLb0EES10_IbLb1EEEEDaSW_SX_EUlSW_E_NS1_11comp_targetILNS1_3genE3ELNS1_11target_archE908ELNS1_3gpuE7ELNS1_3repE0EEENS1_30default_config_static_selectorELNS0_4arch9wavefront6targetE0EEEvT1_.numbered_sgpr, 0
	.set _ZN7rocprim17ROCPRIM_400000_NS6detail17trampoline_kernelINS0_14default_configENS1_27scan_by_key_config_selectorIiyEEZZNS1_16scan_by_key_implILNS1_25lookback_scan_determinismE0ELb0ES3_N6thrust23THRUST_200600_302600_NS6detail15normal_iteratorINS9_10device_ptrIiEEEENSB_INSC_IyEEEESG_yNS9_4plusIvEENS9_8equal_toIvEEyEE10hipError_tPvRmT2_T3_T4_T5_mT6_T7_P12ihipStream_tbENKUlT_T0_E_clISt17integral_constantIbLb0EES10_IbLb1EEEEDaSW_SX_EUlSW_E_NS1_11comp_targetILNS1_3genE3ELNS1_11target_archE908ELNS1_3gpuE7ELNS1_3repE0EEENS1_30default_config_static_selectorELNS0_4arch9wavefront6targetE0EEEvT1_.num_named_barrier, 0
	.set _ZN7rocprim17ROCPRIM_400000_NS6detail17trampoline_kernelINS0_14default_configENS1_27scan_by_key_config_selectorIiyEEZZNS1_16scan_by_key_implILNS1_25lookback_scan_determinismE0ELb0ES3_N6thrust23THRUST_200600_302600_NS6detail15normal_iteratorINS9_10device_ptrIiEEEENSB_INSC_IyEEEESG_yNS9_4plusIvEENS9_8equal_toIvEEyEE10hipError_tPvRmT2_T3_T4_T5_mT6_T7_P12ihipStream_tbENKUlT_T0_E_clISt17integral_constantIbLb0EES10_IbLb1EEEEDaSW_SX_EUlSW_E_NS1_11comp_targetILNS1_3genE3ELNS1_11target_archE908ELNS1_3gpuE7ELNS1_3repE0EEENS1_30default_config_static_selectorELNS0_4arch9wavefront6targetE0EEEvT1_.private_seg_size, 0
	.set _ZN7rocprim17ROCPRIM_400000_NS6detail17trampoline_kernelINS0_14default_configENS1_27scan_by_key_config_selectorIiyEEZZNS1_16scan_by_key_implILNS1_25lookback_scan_determinismE0ELb0ES3_N6thrust23THRUST_200600_302600_NS6detail15normal_iteratorINS9_10device_ptrIiEEEENSB_INSC_IyEEEESG_yNS9_4plusIvEENS9_8equal_toIvEEyEE10hipError_tPvRmT2_T3_T4_T5_mT6_T7_P12ihipStream_tbENKUlT_T0_E_clISt17integral_constantIbLb0EES10_IbLb1EEEEDaSW_SX_EUlSW_E_NS1_11comp_targetILNS1_3genE3ELNS1_11target_archE908ELNS1_3gpuE7ELNS1_3repE0EEENS1_30default_config_static_selectorELNS0_4arch9wavefront6targetE0EEEvT1_.uses_vcc, 0
	.set _ZN7rocprim17ROCPRIM_400000_NS6detail17trampoline_kernelINS0_14default_configENS1_27scan_by_key_config_selectorIiyEEZZNS1_16scan_by_key_implILNS1_25lookback_scan_determinismE0ELb0ES3_N6thrust23THRUST_200600_302600_NS6detail15normal_iteratorINS9_10device_ptrIiEEEENSB_INSC_IyEEEESG_yNS9_4plusIvEENS9_8equal_toIvEEyEE10hipError_tPvRmT2_T3_T4_T5_mT6_T7_P12ihipStream_tbENKUlT_T0_E_clISt17integral_constantIbLb0EES10_IbLb1EEEEDaSW_SX_EUlSW_E_NS1_11comp_targetILNS1_3genE3ELNS1_11target_archE908ELNS1_3gpuE7ELNS1_3repE0EEENS1_30default_config_static_selectorELNS0_4arch9wavefront6targetE0EEEvT1_.uses_flat_scratch, 0
	.set _ZN7rocprim17ROCPRIM_400000_NS6detail17trampoline_kernelINS0_14default_configENS1_27scan_by_key_config_selectorIiyEEZZNS1_16scan_by_key_implILNS1_25lookback_scan_determinismE0ELb0ES3_N6thrust23THRUST_200600_302600_NS6detail15normal_iteratorINS9_10device_ptrIiEEEENSB_INSC_IyEEEESG_yNS9_4plusIvEENS9_8equal_toIvEEyEE10hipError_tPvRmT2_T3_T4_T5_mT6_T7_P12ihipStream_tbENKUlT_T0_E_clISt17integral_constantIbLb0EES10_IbLb1EEEEDaSW_SX_EUlSW_E_NS1_11comp_targetILNS1_3genE3ELNS1_11target_archE908ELNS1_3gpuE7ELNS1_3repE0EEENS1_30default_config_static_selectorELNS0_4arch9wavefront6targetE0EEEvT1_.has_dyn_sized_stack, 0
	.set _ZN7rocprim17ROCPRIM_400000_NS6detail17trampoline_kernelINS0_14default_configENS1_27scan_by_key_config_selectorIiyEEZZNS1_16scan_by_key_implILNS1_25lookback_scan_determinismE0ELb0ES3_N6thrust23THRUST_200600_302600_NS6detail15normal_iteratorINS9_10device_ptrIiEEEENSB_INSC_IyEEEESG_yNS9_4plusIvEENS9_8equal_toIvEEyEE10hipError_tPvRmT2_T3_T4_T5_mT6_T7_P12ihipStream_tbENKUlT_T0_E_clISt17integral_constantIbLb0EES10_IbLb1EEEEDaSW_SX_EUlSW_E_NS1_11comp_targetILNS1_3genE3ELNS1_11target_archE908ELNS1_3gpuE7ELNS1_3repE0EEENS1_30default_config_static_selectorELNS0_4arch9wavefront6targetE0EEEvT1_.has_recursion, 0
	.set _ZN7rocprim17ROCPRIM_400000_NS6detail17trampoline_kernelINS0_14default_configENS1_27scan_by_key_config_selectorIiyEEZZNS1_16scan_by_key_implILNS1_25lookback_scan_determinismE0ELb0ES3_N6thrust23THRUST_200600_302600_NS6detail15normal_iteratorINS9_10device_ptrIiEEEENSB_INSC_IyEEEESG_yNS9_4plusIvEENS9_8equal_toIvEEyEE10hipError_tPvRmT2_T3_T4_T5_mT6_T7_P12ihipStream_tbENKUlT_T0_E_clISt17integral_constantIbLb0EES10_IbLb1EEEEDaSW_SX_EUlSW_E_NS1_11comp_targetILNS1_3genE3ELNS1_11target_archE908ELNS1_3gpuE7ELNS1_3repE0EEENS1_30default_config_static_selectorELNS0_4arch9wavefront6targetE0EEEvT1_.has_indirect_call, 0
	.section	.AMDGPU.csdata,"",@progbits
; Kernel info:
; codeLenInByte = 0
; TotalNumSgprs: 0
; NumVgprs: 0
; ScratchSize: 0
; MemoryBound: 0
; FloatMode: 240
; IeeeMode: 1
; LDSByteSize: 0 bytes/workgroup (compile time only)
; SGPRBlocks: 0
; VGPRBlocks: 0
; NumSGPRsForWavesPerEU: 1
; NumVGPRsForWavesPerEU: 1
; Occupancy: 16
; WaveLimiterHint : 0
; COMPUTE_PGM_RSRC2:SCRATCH_EN: 0
; COMPUTE_PGM_RSRC2:USER_SGPR: 6
; COMPUTE_PGM_RSRC2:TRAP_HANDLER: 0
; COMPUTE_PGM_RSRC2:TGID_X_EN: 1
; COMPUTE_PGM_RSRC2:TGID_Y_EN: 0
; COMPUTE_PGM_RSRC2:TGID_Z_EN: 0
; COMPUTE_PGM_RSRC2:TIDIG_COMP_CNT: 0
	.section	.text._ZN7rocprim17ROCPRIM_400000_NS6detail17trampoline_kernelINS0_14default_configENS1_27scan_by_key_config_selectorIiyEEZZNS1_16scan_by_key_implILNS1_25lookback_scan_determinismE0ELb0ES3_N6thrust23THRUST_200600_302600_NS6detail15normal_iteratorINS9_10device_ptrIiEEEENSB_INSC_IyEEEESG_yNS9_4plusIvEENS9_8equal_toIvEEyEE10hipError_tPvRmT2_T3_T4_T5_mT6_T7_P12ihipStream_tbENKUlT_T0_E_clISt17integral_constantIbLb0EES10_IbLb1EEEEDaSW_SX_EUlSW_E_NS1_11comp_targetILNS1_3genE2ELNS1_11target_archE906ELNS1_3gpuE6ELNS1_3repE0EEENS1_30default_config_static_selectorELNS0_4arch9wavefront6targetE0EEEvT1_,"axG",@progbits,_ZN7rocprim17ROCPRIM_400000_NS6detail17trampoline_kernelINS0_14default_configENS1_27scan_by_key_config_selectorIiyEEZZNS1_16scan_by_key_implILNS1_25lookback_scan_determinismE0ELb0ES3_N6thrust23THRUST_200600_302600_NS6detail15normal_iteratorINS9_10device_ptrIiEEEENSB_INSC_IyEEEESG_yNS9_4plusIvEENS9_8equal_toIvEEyEE10hipError_tPvRmT2_T3_T4_T5_mT6_T7_P12ihipStream_tbENKUlT_T0_E_clISt17integral_constantIbLb0EES10_IbLb1EEEEDaSW_SX_EUlSW_E_NS1_11comp_targetILNS1_3genE2ELNS1_11target_archE906ELNS1_3gpuE6ELNS1_3repE0EEENS1_30default_config_static_selectorELNS0_4arch9wavefront6targetE0EEEvT1_,comdat
	.protected	_ZN7rocprim17ROCPRIM_400000_NS6detail17trampoline_kernelINS0_14default_configENS1_27scan_by_key_config_selectorIiyEEZZNS1_16scan_by_key_implILNS1_25lookback_scan_determinismE0ELb0ES3_N6thrust23THRUST_200600_302600_NS6detail15normal_iteratorINS9_10device_ptrIiEEEENSB_INSC_IyEEEESG_yNS9_4plusIvEENS9_8equal_toIvEEyEE10hipError_tPvRmT2_T3_T4_T5_mT6_T7_P12ihipStream_tbENKUlT_T0_E_clISt17integral_constantIbLb0EES10_IbLb1EEEEDaSW_SX_EUlSW_E_NS1_11comp_targetILNS1_3genE2ELNS1_11target_archE906ELNS1_3gpuE6ELNS1_3repE0EEENS1_30default_config_static_selectorELNS0_4arch9wavefront6targetE0EEEvT1_ ; -- Begin function _ZN7rocprim17ROCPRIM_400000_NS6detail17trampoline_kernelINS0_14default_configENS1_27scan_by_key_config_selectorIiyEEZZNS1_16scan_by_key_implILNS1_25lookback_scan_determinismE0ELb0ES3_N6thrust23THRUST_200600_302600_NS6detail15normal_iteratorINS9_10device_ptrIiEEEENSB_INSC_IyEEEESG_yNS9_4plusIvEENS9_8equal_toIvEEyEE10hipError_tPvRmT2_T3_T4_T5_mT6_T7_P12ihipStream_tbENKUlT_T0_E_clISt17integral_constantIbLb0EES10_IbLb1EEEEDaSW_SX_EUlSW_E_NS1_11comp_targetILNS1_3genE2ELNS1_11target_archE906ELNS1_3gpuE6ELNS1_3repE0EEENS1_30default_config_static_selectorELNS0_4arch9wavefront6targetE0EEEvT1_
	.globl	_ZN7rocprim17ROCPRIM_400000_NS6detail17trampoline_kernelINS0_14default_configENS1_27scan_by_key_config_selectorIiyEEZZNS1_16scan_by_key_implILNS1_25lookback_scan_determinismE0ELb0ES3_N6thrust23THRUST_200600_302600_NS6detail15normal_iteratorINS9_10device_ptrIiEEEENSB_INSC_IyEEEESG_yNS9_4plusIvEENS9_8equal_toIvEEyEE10hipError_tPvRmT2_T3_T4_T5_mT6_T7_P12ihipStream_tbENKUlT_T0_E_clISt17integral_constantIbLb0EES10_IbLb1EEEEDaSW_SX_EUlSW_E_NS1_11comp_targetILNS1_3genE2ELNS1_11target_archE906ELNS1_3gpuE6ELNS1_3repE0EEENS1_30default_config_static_selectorELNS0_4arch9wavefront6targetE0EEEvT1_
	.p2align	8
	.type	_ZN7rocprim17ROCPRIM_400000_NS6detail17trampoline_kernelINS0_14default_configENS1_27scan_by_key_config_selectorIiyEEZZNS1_16scan_by_key_implILNS1_25lookback_scan_determinismE0ELb0ES3_N6thrust23THRUST_200600_302600_NS6detail15normal_iteratorINS9_10device_ptrIiEEEENSB_INSC_IyEEEESG_yNS9_4plusIvEENS9_8equal_toIvEEyEE10hipError_tPvRmT2_T3_T4_T5_mT6_T7_P12ihipStream_tbENKUlT_T0_E_clISt17integral_constantIbLb0EES10_IbLb1EEEEDaSW_SX_EUlSW_E_NS1_11comp_targetILNS1_3genE2ELNS1_11target_archE906ELNS1_3gpuE6ELNS1_3repE0EEENS1_30default_config_static_selectorELNS0_4arch9wavefront6targetE0EEEvT1_,@function
_ZN7rocprim17ROCPRIM_400000_NS6detail17trampoline_kernelINS0_14default_configENS1_27scan_by_key_config_selectorIiyEEZZNS1_16scan_by_key_implILNS1_25lookback_scan_determinismE0ELb0ES3_N6thrust23THRUST_200600_302600_NS6detail15normal_iteratorINS9_10device_ptrIiEEEENSB_INSC_IyEEEESG_yNS9_4plusIvEENS9_8equal_toIvEEyEE10hipError_tPvRmT2_T3_T4_T5_mT6_T7_P12ihipStream_tbENKUlT_T0_E_clISt17integral_constantIbLb0EES10_IbLb1EEEEDaSW_SX_EUlSW_E_NS1_11comp_targetILNS1_3genE2ELNS1_11target_archE906ELNS1_3gpuE6ELNS1_3repE0EEENS1_30default_config_static_selectorELNS0_4arch9wavefront6targetE0EEEvT1_: ; @_ZN7rocprim17ROCPRIM_400000_NS6detail17trampoline_kernelINS0_14default_configENS1_27scan_by_key_config_selectorIiyEEZZNS1_16scan_by_key_implILNS1_25lookback_scan_determinismE0ELb0ES3_N6thrust23THRUST_200600_302600_NS6detail15normal_iteratorINS9_10device_ptrIiEEEENSB_INSC_IyEEEESG_yNS9_4plusIvEENS9_8equal_toIvEEyEE10hipError_tPvRmT2_T3_T4_T5_mT6_T7_P12ihipStream_tbENKUlT_T0_E_clISt17integral_constantIbLb0EES10_IbLb1EEEEDaSW_SX_EUlSW_E_NS1_11comp_targetILNS1_3genE2ELNS1_11target_archE906ELNS1_3gpuE6ELNS1_3repE0EEENS1_30default_config_static_selectorELNS0_4arch9wavefront6targetE0EEEvT1_
; %bb.0:
	.section	.rodata,"a",@progbits
	.p2align	6, 0x0
	.amdhsa_kernel _ZN7rocprim17ROCPRIM_400000_NS6detail17trampoline_kernelINS0_14default_configENS1_27scan_by_key_config_selectorIiyEEZZNS1_16scan_by_key_implILNS1_25lookback_scan_determinismE0ELb0ES3_N6thrust23THRUST_200600_302600_NS6detail15normal_iteratorINS9_10device_ptrIiEEEENSB_INSC_IyEEEESG_yNS9_4plusIvEENS9_8equal_toIvEEyEE10hipError_tPvRmT2_T3_T4_T5_mT6_T7_P12ihipStream_tbENKUlT_T0_E_clISt17integral_constantIbLb0EES10_IbLb1EEEEDaSW_SX_EUlSW_E_NS1_11comp_targetILNS1_3genE2ELNS1_11target_archE906ELNS1_3gpuE6ELNS1_3repE0EEENS1_30default_config_static_selectorELNS0_4arch9wavefront6targetE0EEEvT1_
		.amdhsa_group_segment_fixed_size 0
		.amdhsa_private_segment_fixed_size 0
		.amdhsa_kernarg_size 136
		.amdhsa_user_sgpr_count 6
		.amdhsa_user_sgpr_private_segment_buffer 1
		.amdhsa_user_sgpr_dispatch_ptr 0
		.amdhsa_user_sgpr_queue_ptr 0
		.amdhsa_user_sgpr_kernarg_segment_ptr 1
		.amdhsa_user_sgpr_dispatch_id 0
		.amdhsa_user_sgpr_flat_scratch_init 0
		.amdhsa_user_sgpr_private_segment_size 0
		.amdhsa_wavefront_size32 1
		.amdhsa_uses_dynamic_stack 0
		.amdhsa_system_sgpr_private_segment_wavefront_offset 0
		.amdhsa_system_sgpr_workgroup_id_x 1
		.amdhsa_system_sgpr_workgroup_id_y 0
		.amdhsa_system_sgpr_workgroup_id_z 0
		.amdhsa_system_sgpr_workgroup_info 0
		.amdhsa_system_vgpr_workitem_id 0
		.amdhsa_next_free_vgpr 1
		.amdhsa_next_free_sgpr 1
		.amdhsa_reserve_vcc 0
		.amdhsa_reserve_flat_scratch 0
		.amdhsa_float_round_mode_32 0
		.amdhsa_float_round_mode_16_64 0
		.amdhsa_float_denorm_mode_32 3
		.amdhsa_float_denorm_mode_16_64 3
		.amdhsa_dx10_clamp 1
		.amdhsa_ieee_mode 1
		.amdhsa_fp16_overflow 0
		.amdhsa_workgroup_processor_mode 1
		.amdhsa_memory_ordered 1
		.amdhsa_forward_progress 1
		.amdhsa_shared_vgpr_count 0
		.amdhsa_exception_fp_ieee_invalid_op 0
		.amdhsa_exception_fp_denorm_src 0
		.amdhsa_exception_fp_ieee_div_zero 0
		.amdhsa_exception_fp_ieee_overflow 0
		.amdhsa_exception_fp_ieee_underflow 0
		.amdhsa_exception_fp_ieee_inexact 0
		.amdhsa_exception_int_div_zero 0
	.end_amdhsa_kernel
	.section	.text._ZN7rocprim17ROCPRIM_400000_NS6detail17trampoline_kernelINS0_14default_configENS1_27scan_by_key_config_selectorIiyEEZZNS1_16scan_by_key_implILNS1_25lookback_scan_determinismE0ELb0ES3_N6thrust23THRUST_200600_302600_NS6detail15normal_iteratorINS9_10device_ptrIiEEEENSB_INSC_IyEEEESG_yNS9_4plusIvEENS9_8equal_toIvEEyEE10hipError_tPvRmT2_T3_T4_T5_mT6_T7_P12ihipStream_tbENKUlT_T0_E_clISt17integral_constantIbLb0EES10_IbLb1EEEEDaSW_SX_EUlSW_E_NS1_11comp_targetILNS1_3genE2ELNS1_11target_archE906ELNS1_3gpuE6ELNS1_3repE0EEENS1_30default_config_static_selectorELNS0_4arch9wavefront6targetE0EEEvT1_,"axG",@progbits,_ZN7rocprim17ROCPRIM_400000_NS6detail17trampoline_kernelINS0_14default_configENS1_27scan_by_key_config_selectorIiyEEZZNS1_16scan_by_key_implILNS1_25lookback_scan_determinismE0ELb0ES3_N6thrust23THRUST_200600_302600_NS6detail15normal_iteratorINS9_10device_ptrIiEEEENSB_INSC_IyEEEESG_yNS9_4plusIvEENS9_8equal_toIvEEyEE10hipError_tPvRmT2_T3_T4_T5_mT6_T7_P12ihipStream_tbENKUlT_T0_E_clISt17integral_constantIbLb0EES10_IbLb1EEEEDaSW_SX_EUlSW_E_NS1_11comp_targetILNS1_3genE2ELNS1_11target_archE906ELNS1_3gpuE6ELNS1_3repE0EEENS1_30default_config_static_selectorELNS0_4arch9wavefront6targetE0EEEvT1_,comdat
.Lfunc_end1214:
	.size	_ZN7rocprim17ROCPRIM_400000_NS6detail17trampoline_kernelINS0_14default_configENS1_27scan_by_key_config_selectorIiyEEZZNS1_16scan_by_key_implILNS1_25lookback_scan_determinismE0ELb0ES3_N6thrust23THRUST_200600_302600_NS6detail15normal_iteratorINS9_10device_ptrIiEEEENSB_INSC_IyEEEESG_yNS9_4plusIvEENS9_8equal_toIvEEyEE10hipError_tPvRmT2_T3_T4_T5_mT6_T7_P12ihipStream_tbENKUlT_T0_E_clISt17integral_constantIbLb0EES10_IbLb1EEEEDaSW_SX_EUlSW_E_NS1_11comp_targetILNS1_3genE2ELNS1_11target_archE906ELNS1_3gpuE6ELNS1_3repE0EEENS1_30default_config_static_selectorELNS0_4arch9wavefront6targetE0EEEvT1_, .Lfunc_end1214-_ZN7rocprim17ROCPRIM_400000_NS6detail17trampoline_kernelINS0_14default_configENS1_27scan_by_key_config_selectorIiyEEZZNS1_16scan_by_key_implILNS1_25lookback_scan_determinismE0ELb0ES3_N6thrust23THRUST_200600_302600_NS6detail15normal_iteratorINS9_10device_ptrIiEEEENSB_INSC_IyEEEESG_yNS9_4plusIvEENS9_8equal_toIvEEyEE10hipError_tPvRmT2_T3_T4_T5_mT6_T7_P12ihipStream_tbENKUlT_T0_E_clISt17integral_constantIbLb0EES10_IbLb1EEEEDaSW_SX_EUlSW_E_NS1_11comp_targetILNS1_3genE2ELNS1_11target_archE906ELNS1_3gpuE6ELNS1_3repE0EEENS1_30default_config_static_selectorELNS0_4arch9wavefront6targetE0EEEvT1_
                                        ; -- End function
	.set _ZN7rocprim17ROCPRIM_400000_NS6detail17trampoline_kernelINS0_14default_configENS1_27scan_by_key_config_selectorIiyEEZZNS1_16scan_by_key_implILNS1_25lookback_scan_determinismE0ELb0ES3_N6thrust23THRUST_200600_302600_NS6detail15normal_iteratorINS9_10device_ptrIiEEEENSB_INSC_IyEEEESG_yNS9_4plusIvEENS9_8equal_toIvEEyEE10hipError_tPvRmT2_T3_T4_T5_mT6_T7_P12ihipStream_tbENKUlT_T0_E_clISt17integral_constantIbLb0EES10_IbLb1EEEEDaSW_SX_EUlSW_E_NS1_11comp_targetILNS1_3genE2ELNS1_11target_archE906ELNS1_3gpuE6ELNS1_3repE0EEENS1_30default_config_static_selectorELNS0_4arch9wavefront6targetE0EEEvT1_.num_vgpr, 0
	.set _ZN7rocprim17ROCPRIM_400000_NS6detail17trampoline_kernelINS0_14default_configENS1_27scan_by_key_config_selectorIiyEEZZNS1_16scan_by_key_implILNS1_25lookback_scan_determinismE0ELb0ES3_N6thrust23THRUST_200600_302600_NS6detail15normal_iteratorINS9_10device_ptrIiEEEENSB_INSC_IyEEEESG_yNS9_4plusIvEENS9_8equal_toIvEEyEE10hipError_tPvRmT2_T3_T4_T5_mT6_T7_P12ihipStream_tbENKUlT_T0_E_clISt17integral_constantIbLb0EES10_IbLb1EEEEDaSW_SX_EUlSW_E_NS1_11comp_targetILNS1_3genE2ELNS1_11target_archE906ELNS1_3gpuE6ELNS1_3repE0EEENS1_30default_config_static_selectorELNS0_4arch9wavefront6targetE0EEEvT1_.num_agpr, 0
	.set _ZN7rocprim17ROCPRIM_400000_NS6detail17trampoline_kernelINS0_14default_configENS1_27scan_by_key_config_selectorIiyEEZZNS1_16scan_by_key_implILNS1_25lookback_scan_determinismE0ELb0ES3_N6thrust23THRUST_200600_302600_NS6detail15normal_iteratorINS9_10device_ptrIiEEEENSB_INSC_IyEEEESG_yNS9_4plusIvEENS9_8equal_toIvEEyEE10hipError_tPvRmT2_T3_T4_T5_mT6_T7_P12ihipStream_tbENKUlT_T0_E_clISt17integral_constantIbLb0EES10_IbLb1EEEEDaSW_SX_EUlSW_E_NS1_11comp_targetILNS1_3genE2ELNS1_11target_archE906ELNS1_3gpuE6ELNS1_3repE0EEENS1_30default_config_static_selectorELNS0_4arch9wavefront6targetE0EEEvT1_.numbered_sgpr, 0
	.set _ZN7rocprim17ROCPRIM_400000_NS6detail17trampoline_kernelINS0_14default_configENS1_27scan_by_key_config_selectorIiyEEZZNS1_16scan_by_key_implILNS1_25lookback_scan_determinismE0ELb0ES3_N6thrust23THRUST_200600_302600_NS6detail15normal_iteratorINS9_10device_ptrIiEEEENSB_INSC_IyEEEESG_yNS9_4plusIvEENS9_8equal_toIvEEyEE10hipError_tPvRmT2_T3_T4_T5_mT6_T7_P12ihipStream_tbENKUlT_T0_E_clISt17integral_constantIbLb0EES10_IbLb1EEEEDaSW_SX_EUlSW_E_NS1_11comp_targetILNS1_3genE2ELNS1_11target_archE906ELNS1_3gpuE6ELNS1_3repE0EEENS1_30default_config_static_selectorELNS0_4arch9wavefront6targetE0EEEvT1_.num_named_barrier, 0
	.set _ZN7rocprim17ROCPRIM_400000_NS6detail17trampoline_kernelINS0_14default_configENS1_27scan_by_key_config_selectorIiyEEZZNS1_16scan_by_key_implILNS1_25lookback_scan_determinismE0ELb0ES3_N6thrust23THRUST_200600_302600_NS6detail15normal_iteratorINS9_10device_ptrIiEEEENSB_INSC_IyEEEESG_yNS9_4plusIvEENS9_8equal_toIvEEyEE10hipError_tPvRmT2_T3_T4_T5_mT6_T7_P12ihipStream_tbENKUlT_T0_E_clISt17integral_constantIbLb0EES10_IbLb1EEEEDaSW_SX_EUlSW_E_NS1_11comp_targetILNS1_3genE2ELNS1_11target_archE906ELNS1_3gpuE6ELNS1_3repE0EEENS1_30default_config_static_selectorELNS0_4arch9wavefront6targetE0EEEvT1_.private_seg_size, 0
	.set _ZN7rocprim17ROCPRIM_400000_NS6detail17trampoline_kernelINS0_14default_configENS1_27scan_by_key_config_selectorIiyEEZZNS1_16scan_by_key_implILNS1_25lookback_scan_determinismE0ELb0ES3_N6thrust23THRUST_200600_302600_NS6detail15normal_iteratorINS9_10device_ptrIiEEEENSB_INSC_IyEEEESG_yNS9_4plusIvEENS9_8equal_toIvEEyEE10hipError_tPvRmT2_T3_T4_T5_mT6_T7_P12ihipStream_tbENKUlT_T0_E_clISt17integral_constantIbLb0EES10_IbLb1EEEEDaSW_SX_EUlSW_E_NS1_11comp_targetILNS1_3genE2ELNS1_11target_archE906ELNS1_3gpuE6ELNS1_3repE0EEENS1_30default_config_static_selectorELNS0_4arch9wavefront6targetE0EEEvT1_.uses_vcc, 0
	.set _ZN7rocprim17ROCPRIM_400000_NS6detail17trampoline_kernelINS0_14default_configENS1_27scan_by_key_config_selectorIiyEEZZNS1_16scan_by_key_implILNS1_25lookback_scan_determinismE0ELb0ES3_N6thrust23THRUST_200600_302600_NS6detail15normal_iteratorINS9_10device_ptrIiEEEENSB_INSC_IyEEEESG_yNS9_4plusIvEENS9_8equal_toIvEEyEE10hipError_tPvRmT2_T3_T4_T5_mT6_T7_P12ihipStream_tbENKUlT_T0_E_clISt17integral_constantIbLb0EES10_IbLb1EEEEDaSW_SX_EUlSW_E_NS1_11comp_targetILNS1_3genE2ELNS1_11target_archE906ELNS1_3gpuE6ELNS1_3repE0EEENS1_30default_config_static_selectorELNS0_4arch9wavefront6targetE0EEEvT1_.uses_flat_scratch, 0
	.set _ZN7rocprim17ROCPRIM_400000_NS6detail17trampoline_kernelINS0_14default_configENS1_27scan_by_key_config_selectorIiyEEZZNS1_16scan_by_key_implILNS1_25lookback_scan_determinismE0ELb0ES3_N6thrust23THRUST_200600_302600_NS6detail15normal_iteratorINS9_10device_ptrIiEEEENSB_INSC_IyEEEESG_yNS9_4plusIvEENS9_8equal_toIvEEyEE10hipError_tPvRmT2_T3_T4_T5_mT6_T7_P12ihipStream_tbENKUlT_T0_E_clISt17integral_constantIbLb0EES10_IbLb1EEEEDaSW_SX_EUlSW_E_NS1_11comp_targetILNS1_3genE2ELNS1_11target_archE906ELNS1_3gpuE6ELNS1_3repE0EEENS1_30default_config_static_selectorELNS0_4arch9wavefront6targetE0EEEvT1_.has_dyn_sized_stack, 0
	.set _ZN7rocprim17ROCPRIM_400000_NS6detail17trampoline_kernelINS0_14default_configENS1_27scan_by_key_config_selectorIiyEEZZNS1_16scan_by_key_implILNS1_25lookback_scan_determinismE0ELb0ES3_N6thrust23THRUST_200600_302600_NS6detail15normal_iteratorINS9_10device_ptrIiEEEENSB_INSC_IyEEEESG_yNS9_4plusIvEENS9_8equal_toIvEEyEE10hipError_tPvRmT2_T3_T4_T5_mT6_T7_P12ihipStream_tbENKUlT_T0_E_clISt17integral_constantIbLb0EES10_IbLb1EEEEDaSW_SX_EUlSW_E_NS1_11comp_targetILNS1_3genE2ELNS1_11target_archE906ELNS1_3gpuE6ELNS1_3repE0EEENS1_30default_config_static_selectorELNS0_4arch9wavefront6targetE0EEEvT1_.has_recursion, 0
	.set _ZN7rocprim17ROCPRIM_400000_NS6detail17trampoline_kernelINS0_14default_configENS1_27scan_by_key_config_selectorIiyEEZZNS1_16scan_by_key_implILNS1_25lookback_scan_determinismE0ELb0ES3_N6thrust23THRUST_200600_302600_NS6detail15normal_iteratorINS9_10device_ptrIiEEEENSB_INSC_IyEEEESG_yNS9_4plusIvEENS9_8equal_toIvEEyEE10hipError_tPvRmT2_T3_T4_T5_mT6_T7_P12ihipStream_tbENKUlT_T0_E_clISt17integral_constantIbLb0EES10_IbLb1EEEEDaSW_SX_EUlSW_E_NS1_11comp_targetILNS1_3genE2ELNS1_11target_archE906ELNS1_3gpuE6ELNS1_3repE0EEENS1_30default_config_static_selectorELNS0_4arch9wavefront6targetE0EEEvT1_.has_indirect_call, 0
	.section	.AMDGPU.csdata,"",@progbits
; Kernel info:
; codeLenInByte = 0
; TotalNumSgprs: 0
; NumVgprs: 0
; ScratchSize: 0
; MemoryBound: 0
; FloatMode: 240
; IeeeMode: 1
; LDSByteSize: 0 bytes/workgroup (compile time only)
; SGPRBlocks: 0
; VGPRBlocks: 0
; NumSGPRsForWavesPerEU: 1
; NumVGPRsForWavesPerEU: 1
; Occupancy: 16
; WaveLimiterHint : 0
; COMPUTE_PGM_RSRC2:SCRATCH_EN: 0
; COMPUTE_PGM_RSRC2:USER_SGPR: 6
; COMPUTE_PGM_RSRC2:TRAP_HANDLER: 0
; COMPUTE_PGM_RSRC2:TGID_X_EN: 1
; COMPUTE_PGM_RSRC2:TGID_Y_EN: 0
; COMPUTE_PGM_RSRC2:TGID_Z_EN: 0
; COMPUTE_PGM_RSRC2:TIDIG_COMP_CNT: 0
	.section	.text._ZN7rocprim17ROCPRIM_400000_NS6detail17trampoline_kernelINS0_14default_configENS1_27scan_by_key_config_selectorIiyEEZZNS1_16scan_by_key_implILNS1_25lookback_scan_determinismE0ELb0ES3_N6thrust23THRUST_200600_302600_NS6detail15normal_iteratorINS9_10device_ptrIiEEEENSB_INSC_IyEEEESG_yNS9_4plusIvEENS9_8equal_toIvEEyEE10hipError_tPvRmT2_T3_T4_T5_mT6_T7_P12ihipStream_tbENKUlT_T0_E_clISt17integral_constantIbLb0EES10_IbLb1EEEEDaSW_SX_EUlSW_E_NS1_11comp_targetILNS1_3genE10ELNS1_11target_archE1200ELNS1_3gpuE4ELNS1_3repE0EEENS1_30default_config_static_selectorELNS0_4arch9wavefront6targetE0EEEvT1_,"axG",@progbits,_ZN7rocprim17ROCPRIM_400000_NS6detail17trampoline_kernelINS0_14default_configENS1_27scan_by_key_config_selectorIiyEEZZNS1_16scan_by_key_implILNS1_25lookback_scan_determinismE0ELb0ES3_N6thrust23THRUST_200600_302600_NS6detail15normal_iteratorINS9_10device_ptrIiEEEENSB_INSC_IyEEEESG_yNS9_4plusIvEENS9_8equal_toIvEEyEE10hipError_tPvRmT2_T3_T4_T5_mT6_T7_P12ihipStream_tbENKUlT_T0_E_clISt17integral_constantIbLb0EES10_IbLb1EEEEDaSW_SX_EUlSW_E_NS1_11comp_targetILNS1_3genE10ELNS1_11target_archE1200ELNS1_3gpuE4ELNS1_3repE0EEENS1_30default_config_static_selectorELNS0_4arch9wavefront6targetE0EEEvT1_,comdat
	.protected	_ZN7rocprim17ROCPRIM_400000_NS6detail17trampoline_kernelINS0_14default_configENS1_27scan_by_key_config_selectorIiyEEZZNS1_16scan_by_key_implILNS1_25lookback_scan_determinismE0ELb0ES3_N6thrust23THRUST_200600_302600_NS6detail15normal_iteratorINS9_10device_ptrIiEEEENSB_INSC_IyEEEESG_yNS9_4plusIvEENS9_8equal_toIvEEyEE10hipError_tPvRmT2_T3_T4_T5_mT6_T7_P12ihipStream_tbENKUlT_T0_E_clISt17integral_constantIbLb0EES10_IbLb1EEEEDaSW_SX_EUlSW_E_NS1_11comp_targetILNS1_3genE10ELNS1_11target_archE1200ELNS1_3gpuE4ELNS1_3repE0EEENS1_30default_config_static_selectorELNS0_4arch9wavefront6targetE0EEEvT1_ ; -- Begin function _ZN7rocprim17ROCPRIM_400000_NS6detail17trampoline_kernelINS0_14default_configENS1_27scan_by_key_config_selectorIiyEEZZNS1_16scan_by_key_implILNS1_25lookback_scan_determinismE0ELb0ES3_N6thrust23THRUST_200600_302600_NS6detail15normal_iteratorINS9_10device_ptrIiEEEENSB_INSC_IyEEEESG_yNS9_4plusIvEENS9_8equal_toIvEEyEE10hipError_tPvRmT2_T3_T4_T5_mT6_T7_P12ihipStream_tbENKUlT_T0_E_clISt17integral_constantIbLb0EES10_IbLb1EEEEDaSW_SX_EUlSW_E_NS1_11comp_targetILNS1_3genE10ELNS1_11target_archE1200ELNS1_3gpuE4ELNS1_3repE0EEENS1_30default_config_static_selectorELNS0_4arch9wavefront6targetE0EEEvT1_
	.globl	_ZN7rocprim17ROCPRIM_400000_NS6detail17trampoline_kernelINS0_14default_configENS1_27scan_by_key_config_selectorIiyEEZZNS1_16scan_by_key_implILNS1_25lookback_scan_determinismE0ELb0ES3_N6thrust23THRUST_200600_302600_NS6detail15normal_iteratorINS9_10device_ptrIiEEEENSB_INSC_IyEEEESG_yNS9_4plusIvEENS9_8equal_toIvEEyEE10hipError_tPvRmT2_T3_T4_T5_mT6_T7_P12ihipStream_tbENKUlT_T0_E_clISt17integral_constantIbLb0EES10_IbLb1EEEEDaSW_SX_EUlSW_E_NS1_11comp_targetILNS1_3genE10ELNS1_11target_archE1200ELNS1_3gpuE4ELNS1_3repE0EEENS1_30default_config_static_selectorELNS0_4arch9wavefront6targetE0EEEvT1_
	.p2align	8
	.type	_ZN7rocprim17ROCPRIM_400000_NS6detail17trampoline_kernelINS0_14default_configENS1_27scan_by_key_config_selectorIiyEEZZNS1_16scan_by_key_implILNS1_25lookback_scan_determinismE0ELb0ES3_N6thrust23THRUST_200600_302600_NS6detail15normal_iteratorINS9_10device_ptrIiEEEENSB_INSC_IyEEEESG_yNS9_4plusIvEENS9_8equal_toIvEEyEE10hipError_tPvRmT2_T3_T4_T5_mT6_T7_P12ihipStream_tbENKUlT_T0_E_clISt17integral_constantIbLb0EES10_IbLb1EEEEDaSW_SX_EUlSW_E_NS1_11comp_targetILNS1_3genE10ELNS1_11target_archE1200ELNS1_3gpuE4ELNS1_3repE0EEENS1_30default_config_static_selectorELNS0_4arch9wavefront6targetE0EEEvT1_,@function
_ZN7rocprim17ROCPRIM_400000_NS6detail17trampoline_kernelINS0_14default_configENS1_27scan_by_key_config_selectorIiyEEZZNS1_16scan_by_key_implILNS1_25lookback_scan_determinismE0ELb0ES3_N6thrust23THRUST_200600_302600_NS6detail15normal_iteratorINS9_10device_ptrIiEEEENSB_INSC_IyEEEESG_yNS9_4plusIvEENS9_8equal_toIvEEyEE10hipError_tPvRmT2_T3_T4_T5_mT6_T7_P12ihipStream_tbENKUlT_T0_E_clISt17integral_constantIbLb0EES10_IbLb1EEEEDaSW_SX_EUlSW_E_NS1_11comp_targetILNS1_3genE10ELNS1_11target_archE1200ELNS1_3gpuE4ELNS1_3repE0EEENS1_30default_config_static_selectorELNS0_4arch9wavefront6targetE0EEEvT1_: ; @_ZN7rocprim17ROCPRIM_400000_NS6detail17trampoline_kernelINS0_14default_configENS1_27scan_by_key_config_selectorIiyEEZZNS1_16scan_by_key_implILNS1_25lookback_scan_determinismE0ELb0ES3_N6thrust23THRUST_200600_302600_NS6detail15normal_iteratorINS9_10device_ptrIiEEEENSB_INSC_IyEEEESG_yNS9_4plusIvEENS9_8equal_toIvEEyEE10hipError_tPvRmT2_T3_T4_T5_mT6_T7_P12ihipStream_tbENKUlT_T0_E_clISt17integral_constantIbLb0EES10_IbLb1EEEEDaSW_SX_EUlSW_E_NS1_11comp_targetILNS1_3genE10ELNS1_11target_archE1200ELNS1_3gpuE4ELNS1_3repE0EEENS1_30default_config_static_selectorELNS0_4arch9wavefront6targetE0EEEvT1_
; %bb.0:
	.section	.rodata,"a",@progbits
	.p2align	6, 0x0
	.amdhsa_kernel _ZN7rocprim17ROCPRIM_400000_NS6detail17trampoline_kernelINS0_14default_configENS1_27scan_by_key_config_selectorIiyEEZZNS1_16scan_by_key_implILNS1_25lookback_scan_determinismE0ELb0ES3_N6thrust23THRUST_200600_302600_NS6detail15normal_iteratorINS9_10device_ptrIiEEEENSB_INSC_IyEEEESG_yNS9_4plusIvEENS9_8equal_toIvEEyEE10hipError_tPvRmT2_T3_T4_T5_mT6_T7_P12ihipStream_tbENKUlT_T0_E_clISt17integral_constantIbLb0EES10_IbLb1EEEEDaSW_SX_EUlSW_E_NS1_11comp_targetILNS1_3genE10ELNS1_11target_archE1200ELNS1_3gpuE4ELNS1_3repE0EEENS1_30default_config_static_selectorELNS0_4arch9wavefront6targetE0EEEvT1_
		.amdhsa_group_segment_fixed_size 0
		.amdhsa_private_segment_fixed_size 0
		.amdhsa_kernarg_size 136
		.amdhsa_user_sgpr_count 6
		.amdhsa_user_sgpr_private_segment_buffer 1
		.amdhsa_user_sgpr_dispatch_ptr 0
		.amdhsa_user_sgpr_queue_ptr 0
		.amdhsa_user_sgpr_kernarg_segment_ptr 1
		.amdhsa_user_sgpr_dispatch_id 0
		.amdhsa_user_sgpr_flat_scratch_init 0
		.amdhsa_user_sgpr_private_segment_size 0
		.amdhsa_wavefront_size32 1
		.amdhsa_uses_dynamic_stack 0
		.amdhsa_system_sgpr_private_segment_wavefront_offset 0
		.amdhsa_system_sgpr_workgroup_id_x 1
		.amdhsa_system_sgpr_workgroup_id_y 0
		.amdhsa_system_sgpr_workgroup_id_z 0
		.amdhsa_system_sgpr_workgroup_info 0
		.amdhsa_system_vgpr_workitem_id 0
		.amdhsa_next_free_vgpr 1
		.amdhsa_next_free_sgpr 1
		.amdhsa_reserve_vcc 0
		.amdhsa_reserve_flat_scratch 0
		.amdhsa_float_round_mode_32 0
		.amdhsa_float_round_mode_16_64 0
		.amdhsa_float_denorm_mode_32 3
		.amdhsa_float_denorm_mode_16_64 3
		.amdhsa_dx10_clamp 1
		.amdhsa_ieee_mode 1
		.amdhsa_fp16_overflow 0
		.amdhsa_workgroup_processor_mode 1
		.amdhsa_memory_ordered 1
		.amdhsa_forward_progress 1
		.amdhsa_shared_vgpr_count 0
		.amdhsa_exception_fp_ieee_invalid_op 0
		.amdhsa_exception_fp_denorm_src 0
		.amdhsa_exception_fp_ieee_div_zero 0
		.amdhsa_exception_fp_ieee_overflow 0
		.amdhsa_exception_fp_ieee_underflow 0
		.amdhsa_exception_fp_ieee_inexact 0
		.amdhsa_exception_int_div_zero 0
	.end_amdhsa_kernel
	.section	.text._ZN7rocprim17ROCPRIM_400000_NS6detail17trampoline_kernelINS0_14default_configENS1_27scan_by_key_config_selectorIiyEEZZNS1_16scan_by_key_implILNS1_25lookback_scan_determinismE0ELb0ES3_N6thrust23THRUST_200600_302600_NS6detail15normal_iteratorINS9_10device_ptrIiEEEENSB_INSC_IyEEEESG_yNS9_4plusIvEENS9_8equal_toIvEEyEE10hipError_tPvRmT2_T3_T4_T5_mT6_T7_P12ihipStream_tbENKUlT_T0_E_clISt17integral_constantIbLb0EES10_IbLb1EEEEDaSW_SX_EUlSW_E_NS1_11comp_targetILNS1_3genE10ELNS1_11target_archE1200ELNS1_3gpuE4ELNS1_3repE0EEENS1_30default_config_static_selectorELNS0_4arch9wavefront6targetE0EEEvT1_,"axG",@progbits,_ZN7rocprim17ROCPRIM_400000_NS6detail17trampoline_kernelINS0_14default_configENS1_27scan_by_key_config_selectorIiyEEZZNS1_16scan_by_key_implILNS1_25lookback_scan_determinismE0ELb0ES3_N6thrust23THRUST_200600_302600_NS6detail15normal_iteratorINS9_10device_ptrIiEEEENSB_INSC_IyEEEESG_yNS9_4plusIvEENS9_8equal_toIvEEyEE10hipError_tPvRmT2_T3_T4_T5_mT6_T7_P12ihipStream_tbENKUlT_T0_E_clISt17integral_constantIbLb0EES10_IbLb1EEEEDaSW_SX_EUlSW_E_NS1_11comp_targetILNS1_3genE10ELNS1_11target_archE1200ELNS1_3gpuE4ELNS1_3repE0EEENS1_30default_config_static_selectorELNS0_4arch9wavefront6targetE0EEEvT1_,comdat
.Lfunc_end1215:
	.size	_ZN7rocprim17ROCPRIM_400000_NS6detail17trampoline_kernelINS0_14default_configENS1_27scan_by_key_config_selectorIiyEEZZNS1_16scan_by_key_implILNS1_25lookback_scan_determinismE0ELb0ES3_N6thrust23THRUST_200600_302600_NS6detail15normal_iteratorINS9_10device_ptrIiEEEENSB_INSC_IyEEEESG_yNS9_4plusIvEENS9_8equal_toIvEEyEE10hipError_tPvRmT2_T3_T4_T5_mT6_T7_P12ihipStream_tbENKUlT_T0_E_clISt17integral_constantIbLb0EES10_IbLb1EEEEDaSW_SX_EUlSW_E_NS1_11comp_targetILNS1_3genE10ELNS1_11target_archE1200ELNS1_3gpuE4ELNS1_3repE0EEENS1_30default_config_static_selectorELNS0_4arch9wavefront6targetE0EEEvT1_, .Lfunc_end1215-_ZN7rocprim17ROCPRIM_400000_NS6detail17trampoline_kernelINS0_14default_configENS1_27scan_by_key_config_selectorIiyEEZZNS1_16scan_by_key_implILNS1_25lookback_scan_determinismE0ELb0ES3_N6thrust23THRUST_200600_302600_NS6detail15normal_iteratorINS9_10device_ptrIiEEEENSB_INSC_IyEEEESG_yNS9_4plusIvEENS9_8equal_toIvEEyEE10hipError_tPvRmT2_T3_T4_T5_mT6_T7_P12ihipStream_tbENKUlT_T0_E_clISt17integral_constantIbLb0EES10_IbLb1EEEEDaSW_SX_EUlSW_E_NS1_11comp_targetILNS1_3genE10ELNS1_11target_archE1200ELNS1_3gpuE4ELNS1_3repE0EEENS1_30default_config_static_selectorELNS0_4arch9wavefront6targetE0EEEvT1_
                                        ; -- End function
	.set _ZN7rocprim17ROCPRIM_400000_NS6detail17trampoline_kernelINS0_14default_configENS1_27scan_by_key_config_selectorIiyEEZZNS1_16scan_by_key_implILNS1_25lookback_scan_determinismE0ELb0ES3_N6thrust23THRUST_200600_302600_NS6detail15normal_iteratorINS9_10device_ptrIiEEEENSB_INSC_IyEEEESG_yNS9_4plusIvEENS9_8equal_toIvEEyEE10hipError_tPvRmT2_T3_T4_T5_mT6_T7_P12ihipStream_tbENKUlT_T0_E_clISt17integral_constantIbLb0EES10_IbLb1EEEEDaSW_SX_EUlSW_E_NS1_11comp_targetILNS1_3genE10ELNS1_11target_archE1200ELNS1_3gpuE4ELNS1_3repE0EEENS1_30default_config_static_selectorELNS0_4arch9wavefront6targetE0EEEvT1_.num_vgpr, 0
	.set _ZN7rocprim17ROCPRIM_400000_NS6detail17trampoline_kernelINS0_14default_configENS1_27scan_by_key_config_selectorIiyEEZZNS1_16scan_by_key_implILNS1_25lookback_scan_determinismE0ELb0ES3_N6thrust23THRUST_200600_302600_NS6detail15normal_iteratorINS9_10device_ptrIiEEEENSB_INSC_IyEEEESG_yNS9_4plusIvEENS9_8equal_toIvEEyEE10hipError_tPvRmT2_T3_T4_T5_mT6_T7_P12ihipStream_tbENKUlT_T0_E_clISt17integral_constantIbLb0EES10_IbLb1EEEEDaSW_SX_EUlSW_E_NS1_11comp_targetILNS1_3genE10ELNS1_11target_archE1200ELNS1_3gpuE4ELNS1_3repE0EEENS1_30default_config_static_selectorELNS0_4arch9wavefront6targetE0EEEvT1_.num_agpr, 0
	.set _ZN7rocprim17ROCPRIM_400000_NS6detail17trampoline_kernelINS0_14default_configENS1_27scan_by_key_config_selectorIiyEEZZNS1_16scan_by_key_implILNS1_25lookback_scan_determinismE0ELb0ES3_N6thrust23THRUST_200600_302600_NS6detail15normal_iteratorINS9_10device_ptrIiEEEENSB_INSC_IyEEEESG_yNS9_4plusIvEENS9_8equal_toIvEEyEE10hipError_tPvRmT2_T3_T4_T5_mT6_T7_P12ihipStream_tbENKUlT_T0_E_clISt17integral_constantIbLb0EES10_IbLb1EEEEDaSW_SX_EUlSW_E_NS1_11comp_targetILNS1_3genE10ELNS1_11target_archE1200ELNS1_3gpuE4ELNS1_3repE0EEENS1_30default_config_static_selectorELNS0_4arch9wavefront6targetE0EEEvT1_.numbered_sgpr, 0
	.set _ZN7rocprim17ROCPRIM_400000_NS6detail17trampoline_kernelINS0_14default_configENS1_27scan_by_key_config_selectorIiyEEZZNS1_16scan_by_key_implILNS1_25lookback_scan_determinismE0ELb0ES3_N6thrust23THRUST_200600_302600_NS6detail15normal_iteratorINS9_10device_ptrIiEEEENSB_INSC_IyEEEESG_yNS9_4plusIvEENS9_8equal_toIvEEyEE10hipError_tPvRmT2_T3_T4_T5_mT6_T7_P12ihipStream_tbENKUlT_T0_E_clISt17integral_constantIbLb0EES10_IbLb1EEEEDaSW_SX_EUlSW_E_NS1_11comp_targetILNS1_3genE10ELNS1_11target_archE1200ELNS1_3gpuE4ELNS1_3repE0EEENS1_30default_config_static_selectorELNS0_4arch9wavefront6targetE0EEEvT1_.num_named_barrier, 0
	.set _ZN7rocprim17ROCPRIM_400000_NS6detail17trampoline_kernelINS0_14default_configENS1_27scan_by_key_config_selectorIiyEEZZNS1_16scan_by_key_implILNS1_25lookback_scan_determinismE0ELb0ES3_N6thrust23THRUST_200600_302600_NS6detail15normal_iteratorINS9_10device_ptrIiEEEENSB_INSC_IyEEEESG_yNS9_4plusIvEENS9_8equal_toIvEEyEE10hipError_tPvRmT2_T3_T4_T5_mT6_T7_P12ihipStream_tbENKUlT_T0_E_clISt17integral_constantIbLb0EES10_IbLb1EEEEDaSW_SX_EUlSW_E_NS1_11comp_targetILNS1_3genE10ELNS1_11target_archE1200ELNS1_3gpuE4ELNS1_3repE0EEENS1_30default_config_static_selectorELNS0_4arch9wavefront6targetE0EEEvT1_.private_seg_size, 0
	.set _ZN7rocprim17ROCPRIM_400000_NS6detail17trampoline_kernelINS0_14default_configENS1_27scan_by_key_config_selectorIiyEEZZNS1_16scan_by_key_implILNS1_25lookback_scan_determinismE0ELb0ES3_N6thrust23THRUST_200600_302600_NS6detail15normal_iteratorINS9_10device_ptrIiEEEENSB_INSC_IyEEEESG_yNS9_4plusIvEENS9_8equal_toIvEEyEE10hipError_tPvRmT2_T3_T4_T5_mT6_T7_P12ihipStream_tbENKUlT_T0_E_clISt17integral_constantIbLb0EES10_IbLb1EEEEDaSW_SX_EUlSW_E_NS1_11comp_targetILNS1_3genE10ELNS1_11target_archE1200ELNS1_3gpuE4ELNS1_3repE0EEENS1_30default_config_static_selectorELNS0_4arch9wavefront6targetE0EEEvT1_.uses_vcc, 0
	.set _ZN7rocprim17ROCPRIM_400000_NS6detail17trampoline_kernelINS0_14default_configENS1_27scan_by_key_config_selectorIiyEEZZNS1_16scan_by_key_implILNS1_25lookback_scan_determinismE0ELb0ES3_N6thrust23THRUST_200600_302600_NS6detail15normal_iteratorINS9_10device_ptrIiEEEENSB_INSC_IyEEEESG_yNS9_4plusIvEENS9_8equal_toIvEEyEE10hipError_tPvRmT2_T3_T4_T5_mT6_T7_P12ihipStream_tbENKUlT_T0_E_clISt17integral_constantIbLb0EES10_IbLb1EEEEDaSW_SX_EUlSW_E_NS1_11comp_targetILNS1_3genE10ELNS1_11target_archE1200ELNS1_3gpuE4ELNS1_3repE0EEENS1_30default_config_static_selectorELNS0_4arch9wavefront6targetE0EEEvT1_.uses_flat_scratch, 0
	.set _ZN7rocprim17ROCPRIM_400000_NS6detail17trampoline_kernelINS0_14default_configENS1_27scan_by_key_config_selectorIiyEEZZNS1_16scan_by_key_implILNS1_25lookback_scan_determinismE0ELb0ES3_N6thrust23THRUST_200600_302600_NS6detail15normal_iteratorINS9_10device_ptrIiEEEENSB_INSC_IyEEEESG_yNS9_4plusIvEENS9_8equal_toIvEEyEE10hipError_tPvRmT2_T3_T4_T5_mT6_T7_P12ihipStream_tbENKUlT_T0_E_clISt17integral_constantIbLb0EES10_IbLb1EEEEDaSW_SX_EUlSW_E_NS1_11comp_targetILNS1_3genE10ELNS1_11target_archE1200ELNS1_3gpuE4ELNS1_3repE0EEENS1_30default_config_static_selectorELNS0_4arch9wavefront6targetE0EEEvT1_.has_dyn_sized_stack, 0
	.set _ZN7rocprim17ROCPRIM_400000_NS6detail17trampoline_kernelINS0_14default_configENS1_27scan_by_key_config_selectorIiyEEZZNS1_16scan_by_key_implILNS1_25lookback_scan_determinismE0ELb0ES3_N6thrust23THRUST_200600_302600_NS6detail15normal_iteratorINS9_10device_ptrIiEEEENSB_INSC_IyEEEESG_yNS9_4plusIvEENS9_8equal_toIvEEyEE10hipError_tPvRmT2_T3_T4_T5_mT6_T7_P12ihipStream_tbENKUlT_T0_E_clISt17integral_constantIbLb0EES10_IbLb1EEEEDaSW_SX_EUlSW_E_NS1_11comp_targetILNS1_3genE10ELNS1_11target_archE1200ELNS1_3gpuE4ELNS1_3repE0EEENS1_30default_config_static_selectorELNS0_4arch9wavefront6targetE0EEEvT1_.has_recursion, 0
	.set _ZN7rocprim17ROCPRIM_400000_NS6detail17trampoline_kernelINS0_14default_configENS1_27scan_by_key_config_selectorIiyEEZZNS1_16scan_by_key_implILNS1_25lookback_scan_determinismE0ELb0ES3_N6thrust23THRUST_200600_302600_NS6detail15normal_iteratorINS9_10device_ptrIiEEEENSB_INSC_IyEEEESG_yNS9_4plusIvEENS9_8equal_toIvEEyEE10hipError_tPvRmT2_T3_T4_T5_mT6_T7_P12ihipStream_tbENKUlT_T0_E_clISt17integral_constantIbLb0EES10_IbLb1EEEEDaSW_SX_EUlSW_E_NS1_11comp_targetILNS1_3genE10ELNS1_11target_archE1200ELNS1_3gpuE4ELNS1_3repE0EEENS1_30default_config_static_selectorELNS0_4arch9wavefront6targetE0EEEvT1_.has_indirect_call, 0
	.section	.AMDGPU.csdata,"",@progbits
; Kernel info:
; codeLenInByte = 0
; TotalNumSgprs: 0
; NumVgprs: 0
; ScratchSize: 0
; MemoryBound: 0
; FloatMode: 240
; IeeeMode: 1
; LDSByteSize: 0 bytes/workgroup (compile time only)
; SGPRBlocks: 0
; VGPRBlocks: 0
; NumSGPRsForWavesPerEU: 1
; NumVGPRsForWavesPerEU: 1
; Occupancy: 16
; WaveLimiterHint : 0
; COMPUTE_PGM_RSRC2:SCRATCH_EN: 0
; COMPUTE_PGM_RSRC2:USER_SGPR: 6
; COMPUTE_PGM_RSRC2:TRAP_HANDLER: 0
; COMPUTE_PGM_RSRC2:TGID_X_EN: 1
; COMPUTE_PGM_RSRC2:TGID_Y_EN: 0
; COMPUTE_PGM_RSRC2:TGID_Z_EN: 0
; COMPUTE_PGM_RSRC2:TIDIG_COMP_CNT: 0
	.section	.text._ZN7rocprim17ROCPRIM_400000_NS6detail17trampoline_kernelINS0_14default_configENS1_27scan_by_key_config_selectorIiyEEZZNS1_16scan_by_key_implILNS1_25lookback_scan_determinismE0ELb0ES3_N6thrust23THRUST_200600_302600_NS6detail15normal_iteratorINS9_10device_ptrIiEEEENSB_INSC_IyEEEESG_yNS9_4plusIvEENS9_8equal_toIvEEyEE10hipError_tPvRmT2_T3_T4_T5_mT6_T7_P12ihipStream_tbENKUlT_T0_E_clISt17integral_constantIbLb0EES10_IbLb1EEEEDaSW_SX_EUlSW_E_NS1_11comp_targetILNS1_3genE9ELNS1_11target_archE1100ELNS1_3gpuE3ELNS1_3repE0EEENS1_30default_config_static_selectorELNS0_4arch9wavefront6targetE0EEEvT1_,"axG",@progbits,_ZN7rocprim17ROCPRIM_400000_NS6detail17trampoline_kernelINS0_14default_configENS1_27scan_by_key_config_selectorIiyEEZZNS1_16scan_by_key_implILNS1_25lookback_scan_determinismE0ELb0ES3_N6thrust23THRUST_200600_302600_NS6detail15normal_iteratorINS9_10device_ptrIiEEEENSB_INSC_IyEEEESG_yNS9_4plusIvEENS9_8equal_toIvEEyEE10hipError_tPvRmT2_T3_T4_T5_mT6_T7_P12ihipStream_tbENKUlT_T0_E_clISt17integral_constantIbLb0EES10_IbLb1EEEEDaSW_SX_EUlSW_E_NS1_11comp_targetILNS1_3genE9ELNS1_11target_archE1100ELNS1_3gpuE3ELNS1_3repE0EEENS1_30default_config_static_selectorELNS0_4arch9wavefront6targetE0EEEvT1_,comdat
	.protected	_ZN7rocprim17ROCPRIM_400000_NS6detail17trampoline_kernelINS0_14default_configENS1_27scan_by_key_config_selectorIiyEEZZNS1_16scan_by_key_implILNS1_25lookback_scan_determinismE0ELb0ES3_N6thrust23THRUST_200600_302600_NS6detail15normal_iteratorINS9_10device_ptrIiEEEENSB_INSC_IyEEEESG_yNS9_4plusIvEENS9_8equal_toIvEEyEE10hipError_tPvRmT2_T3_T4_T5_mT6_T7_P12ihipStream_tbENKUlT_T0_E_clISt17integral_constantIbLb0EES10_IbLb1EEEEDaSW_SX_EUlSW_E_NS1_11comp_targetILNS1_3genE9ELNS1_11target_archE1100ELNS1_3gpuE3ELNS1_3repE0EEENS1_30default_config_static_selectorELNS0_4arch9wavefront6targetE0EEEvT1_ ; -- Begin function _ZN7rocprim17ROCPRIM_400000_NS6detail17trampoline_kernelINS0_14default_configENS1_27scan_by_key_config_selectorIiyEEZZNS1_16scan_by_key_implILNS1_25lookback_scan_determinismE0ELb0ES3_N6thrust23THRUST_200600_302600_NS6detail15normal_iteratorINS9_10device_ptrIiEEEENSB_INSC_IyEEEESG_yNS9_4plusIvEENS9_8equal_toIvEEyEE10hipError_tPvRmT2_T3_T4_T5_mT6_T7_P12ihipStream_tbENKUlT_T0_E_clISt17integral_constantIbLb0EES10_IbLb1EEEEDaSW_SX_EUlSW_E_NS1_11comp_targetILNS1_3genE9ELNS1_11target_archE1100ELNS1_3gpuE3ELNS1_3repE0EEENS1_30default_config_static_selectorELNS0_4arch9wavefront6targetE0EEEvT1_
	.globl	_ZN7rocprim17ROCPRIM_400000_NS6detail17trampoline_kernelINS0_14default_configENS1_27scan_by_key_config_selectorIiyEEZZNS1_16scan_by_key_implILNS1_25lookback_scan_determinismE0ELb0ES3_N6thrust23THRUST_200600_302600_NS6detail15normal_iteratorINS9_10device_ptrIiEEEENSB_INSC_IyEEEESG_yNS9_4plusIvEENS9_8equal_toIvEEyEE10hipError_tPvRmT2_T3_T4_T5_mT6_T7_P12ihipStream_tbENKUlT_T0_E_clISt17integral_constantIbLb0EES10_IbLb1EEEEDaSW_SX_EUlSW_E_NS1_11comp_targetILNS1_3genE9ELNS1_11target_archE1100ELNS1_3gpuE3ELNS1_3repE0EEENS1_30default_config_static_selectorELNS0_4arch9wavefront6targetE0EEEvT1_
	.p2align	8
	.type	_ZN7rocprim17ROCPRIM_400000_NS6detail17trampoline_kernelINS0_14default_configENS1_27scan_by_key_config_selectorIiyEEZZNS1_16scan_by_key_implILNS1_25lookback_scan_determinismE0ELb0ES3_N6thrust23THRUST_200600_302600_NS6detail15normal_iteratorINS9_10device_ptrIiEEEENSB_INSC_IyEEEESG_yNS9_4plusIvEENS9_8equal_toIvEEyEE10hipError_tPvRmT2_T3_T4_T5_mT6_T7_P12ihipStream_tbENKUlT_T0_E_clISt17integral_constantIbLb0EES10_IbLb1EEEEDaSW_SX_EUlSW_E_NS1_11comp_targetILNS1_3genE9ELNS1_11target_archE1100ELNS1_3gpuE3ELNS1_3repE0EEENS1_30default_config_static_selectorELNS0_4arch9wavefront6targetE0EEEvT1_,@function
_ZN7rocprim17ROCPRIM_400000_NS6detail17trampoline_kernelINS0_14default_configENS1_27scan_by_key_config_selectorIiyEEZZNS1_16scan_by_key_implILNS1_25lookback_scan_determinismE0ELb0ES3_N6thrust23THRUST_200600_302600_NS6detail15normal_iteratorINS9_10device_ptrIiEEEENSB_INSC_IyEEEESG_yNS9_4plusIvEENS9_8equal_toIvEEyEE10hipError_tPvRmT2_T3_T4_T5_mT6_T7_P12ihipStream_tbENKUlT_T0_E_clISt17integral_constantIbLb0EES10_IbLb1EEEEDaSW_SX_EUlSW_E_NS1_11comp_targetILNS1_3genE9ELNS1_11target_archE1100ELNS1_3gpuE3ELNS1_3repE0EEENS1_30default_config_static_selectorELNS0_4arch9wavefront6targetE0EEEvT1_: ; @_ZN7rocprim17ROCPRIM_400000_NS6detail17trampoline_kernelINS0_14default_configENS1_27scan_by_key_config_selectorIiyEEZZNS1_16scan_by_key_implILNS1_25lookback_scan_determinismE0ELb0ES3_N6thrust23THRUST_200600_302600_NS6detail15normal_iteratorINS9_10device_ptrIiEEEENSB_INSC_IyEEEESG_yNS9_4plusIvEENS9_8equal_toIvEEyEE10hipError_tPvRmT2_T3_T4_T5_mT6_T7_P12ihipStream_tbENKUlT_T0_E_clISt17integral_constantIbLb0EES10_IbLb1EEEEDaSW_SX_EUlSW_E_NS1_11comp_targetILNS1_3genE9ELNS1_11target_archE1100ELNS1_3gpuE3ELNS1_3repE0EEENS1_30default_config_static_selectorELNS0_4arch9wavefront6targetE0EEEvT1_
; %bb.0:
	.section	.rodata,"a",@progbits
	.p2align	6, 0x0
	.amdhsa_kernel _ZN7rocprim17ROCPRIM_400000_NS6detail17trampoline_kernelINS0_14default_configENS1_27scan_by_key_config_selectorIiyEEZZNS1_16scan_by_key_implILNS1_25lookback_scan_determinismE0ELb0ES3_N6thrust23THRUST_200600_302600_NS6detail15normal_iteratorINS9_10device_ptrIiEEEENSB_INSC_IyEEEESG_yNS9_4plusIvEENS9_8equal_toIvEEyEE10hipError_tPvRmT2_T3_T4_T5_mT6_T7_P12ihipStream_tbENKUlT_T0_E_clISt17integral_constantIbLb0EES10_IbLb1EEEEDaSW_SX_EUlSW_E_NS1_11comp_targetILNS1_3genE9ELNS1_11target_archE1100ELNS1_3gpuE3ELNS1_3repE0EEENS1_30default_config_static_selectorELNS0_4arch9wavefront6targetE0EEEvT1_
		.amdhsa_group_segment_fixed_size 0
		.amdhsa_private_segment_fixed_size 0
		.amdhsa_kernarg_size 136
		.amdhsa_user_sgpr_count 6
		.amdhsa_user_sgpr_private_segment_buffer 1
		.amdhsa_user_sgpr_dispatch_ptr 0
		.amdhsa_user_sgpr_queue_ptr 0
		.amdhsa_user_sgpr_kernarg_segment_ptr 1
		.amdhsa_user_sgpr_dispatch_id 0
		.amdhsa_user_sgpr_flat_scratch_init 0
		.amdhsa_user_sgpr_private_segment_size 0
		.amdhsa_wavefront_size32 1
		.amdhsa_uses_dynamic_stack 0
		.amdhsa_system_sgpr_private_segment_wavefront_offset 0
		.amdhsa_system_sgpr_workgroup_id_x 1
		.amdhsa_system_sgpr_workgroup_id_y 0
		.amdhsa_system_sgpr_workgroup_id_z 0
		.amdhsa_system_sgpr_workgroup_info 0
		.amdhsa_system_vgpr_workitem_id 0
		.amdhsa_next_free_vgpr 1
		.amdhsa_next_free_sgpr 1
		.amdhsa_reserve_vcc 0
		.amdhsa_reserve_flat_scratch 0
		.amdhsa_float_round_mode_32 0
		.amdhsa_float_round_mode_16_64 0
		.amdhsa_float_denorm_mode_32 3
		.amdhsa_float_denorm_mode_16_64 3
		.amdhsa_dx10_clamp 1
		.amdhsa_ieee_mode 1
		.amdhsa_fp16_overflow 0
		.amdhsa_workgroup_processor_mode 1
		.amdhsa_memory_ordered 1
		.amdhsa_forward_progress 1
		.amdhsa_shared_vgpr_count 0
		.amdhsa_exception_fp_ieee_invalid_op 0
		.amdhsa_exception_fp_denorm_src 0
		.amdhsa_exception_fp_ieee_div_zero 0
		.amdhsa_exception_fp_ieee_overflow 0
		.amdhsa_exception_fp_ieee_underflow 0
		.amdhsa_exception_fp_ieee_inexact 0
		.amdhsa_exception_int_div_zero 0
	.end_amdhsa_kernel
	.section	.text._ZN7rocprim17ROCPRIM_400000_NS6detail17trampoline_kernelINS0_14default_configENS1_27scan_by_key_config_selectorIiyEEZZNS1_16scan_by_key_implILNS1_25lookback_scan_determinismE0ELb0ES3_N6thrust23THRUST_200600_302600_NS6detail15normal_iteratorINS9_10device_ptrIiEEEENSB_INSC_IyEEEESG_yNS9_4plusIvEENS9_8equal_toIvEEyEE10hipError_tPvRmT2_T3_T4_T5_mT6_T7_P12ihipStream_tbENKUlT_T0_E_clISt17integral_constantIbLb0EES10_IbLb1EEEEDaSW_SX_EUlSW_E_NS1_11comp_targetILNS1_3genE9ELNS1_11target_archE1100ELNS1_3gpuE3ELNS1_3repE0EEENS1_30default_config_static_selectorELNS0_4arch9wavefront6targetE0EEEvT1_,"axG",@progbits,_ZN7rocprim17ROCPRIM_400000_NS6detail17trampoline_kernelINS0_14default_configENS1_27scan_by_key_config_selectorIiyEEZZNS1_16scan_by_key_implILNS1_25lookback_scan_determinismE0ELb0ES3_N6thrust23THRUST_200600_302600_NS6detail15normal_iteratorINS9_10device_ptrIiEEEENSB_INSC_IyEEEESG_yNS9_4plusIvEENS9_8equal_toIvEEyEE10hipError_tPvRmT2_T3_T4_T5_mT6_T7_P12ihipStream_tbENKUlT_T0_E_clISt17integral_constantIbLb0EES10_IbLb1EEEEDaSW_SX_EUlSW_E_NS1_11comp_targetILNS1_3genE9ELNS1_11target_archE1100ELNS1_3gpuE3ELNS1_3repE0EEENS1_30default_config_static_selectorELNS0_4arch9wavefront6targetE0EEEvT1_,comdat
.Lfunc_end1216:
	.size	_ZN7rocprim17ROCPRIM_400000_NS6detail17trampoline_kernelINS0_14default_configENS1_27scan_by_key_config_selectorIiyEEZZNS1_16scan_by_key_implILNS1_25lookback_scan_determinismE0ELb0ES3_N6thrust23THRUST_200600_302600_NS6detail15normal_iteratorINS9_10device_ptrIiEEEENSB_INSC_IyEEEESG_yNS9_4plusIvEENS9_8equal_toIvEEyEE10hipError_tPvRmT2_T3_T4_T5_mT6_T7_P12ihipStream_tbENKUlT_T0_E_clISt17integral_constantIbLb0EES10_IbLb1EEEEDaSW_SX_EUlSW_E_NS1_11comp_targetILNS1_3genE9ELNS1_11target_archE1100ELNS1_3gpuE3ELNS1_3repE0EEENS1_30default_config_static_selectorELNS0_4arch9wavefront6targetE0EEEvT1_, .Lfunc_end1216-_ZN7rocprim17ROCPRIM_400000_NS6detail17trampoline_kernelINS0_14default_configENS1_27scan_by_key_config_selectorIiyEEZZNS1_16scan_by_key_implILNS1_25lookback_scan_determinismE0ELb0ES3_N6thrust23THRUST_200600_302600_NS6detail15normal_iteratorINS9_10device_ptrIiEEEENSB_INSC_IyEEEESG_yNS9_4plusIvEENS9_8equal_toIvEEyEE10hipError_tPvRmT2_T3_T4_T5_mT6_T7_P12ihipStream_tbENKUlT_T0_E_clISt17integral_constantIbLb0EES10_IbLb1EEEEDaSW_SX_EUlSW_E_NS1_11comp_targetILNS1_3genE9ELNS1_11target_archE1100ELNS1_3gpuE3ELNS1_3repE0EEENS1_30default_config_static_selectorELNS0_4arch9wavefront6targetE0EEEvT1_
                                        ; -- End function
	.set _ZN7rocprim17ROCPRIM_400000_NS6detail17trampoline_kernelINS0_14default_configENS1_27scan_by_key_config_selectorIiyEEZZNS1_16scan_by_key_implILNS1_25lookback_scan_determinismE0ELb0ES3_N6thrust23THRUST_200600_302600_NS6detail15normal_iteratorINS9_10device_ptrIiEEEENSB_INSC_IyEEEESG_yNS9_4plusIvEENS9_8equal_toIvEEyEE10hipError_tPvRmT2_T3_T4_T5_mT6_T7_P12ihipStream_tbENKUlT_T0_E_clISt17integral_constantIbLb0EES10_IbLb1EEEEDaSW_SX_EUlSW_E_NS1_11comp_targetILNS1_3genE9ELNS1_11target_archE1100ELNS1_3gpuE3ELNS1_3repE0EEENS1_30default_config_static_selectorELNS0_4arch9wavefront6targetE0EEEvT1_.num_vgpr, 0
	.set _ZN7rocprim17ROCPRIM_400000_NS6detail17trampoline_kernelINS0_14default_configENS1_27scan_by_key_config_selectorIiyEEZZNS1_16scan_by_key_implILNS1_25lookback_scan_determinismE0ELb0ES3_N6thrust23THRUST_200600_302600_NS6detail15normal_iteratorINS9_10device_ptrIiEEEENSB_INSC_IyEEEESG_yNS9_4plusIvEENS9_8equal_toIvEEyEE10hipError_tPvRmT2_T3_T4_T5_mT6_T7_P12ihipStream_tbENKUlT_T0_E_clISt17integral_constantIbLb0EES10_IbLb1EEEEDaSW_SX_EUlSW_E_NS1_11comp_targetILNS1_3genE9ELNS1_11target_archE1100ELNS1_3gpuE3ELNS1_3repE0EEENS1_30default_config_static_selectorELNS0_4arch9wavefront6targetE0EEEvT1_.num_agpr, 0
	.set _ZN7rocprim17ROCPRIM_400000_NS6detail17trampoline_kernelINS0_14default_configENS1_27scan_by_key_config_selectorIiyEEZZNS1_16scan_by_key_implILNS1_25lookback_scan_determinismE0ELb0ES3_N6thrust23THRUST_200600_302600_NS6detail15normal_iteratorINS9_10device_ptrIiEEEENSB_INSC_IyEEEESG_yNS9_4plusIvEENS9_8equal_toIvEEyEE10hipError_tPvRmT2_T3_T4_T5_mT6_T7_P12ihipStream_tbENKUlT_T0_E_clISt17integral_constantIbLb0EES10_IbLb1EEEEDaSW_SX_EUlSW_E_NS1_11comp_targetILNS1_3genE9ELNS1_11target_archE1100ELNS1_3gpuE3ELNS1_3repE0EEENS1_30default_config_static_selectorELNS0_4arch9wavefront6targetE0EEEvT1_.numbered_sgpr, 0
	.set _ZN7rocprim17ROCPRIM_400000_NS6detail17trampoline_kernelINS0_14default_configENS1_27scan_by_key_config_selectorIiyEEZZNS1_16scan_by_key_implILNS1_25lookback_scan_determinismE0ELb0ES3_N6thrust23THRUST_200600_302600_NS6detail15normal_iteratorINS9_10device_ptrIiEEEENSB_INSC_IyEEEESG_yNS9_4plusIvEENS9_8equal_toIvEEyEE10hipError_tPvRmT2_T3_T4_T5_mT6_T7_P12ihipStream_tbENKUlT_T0_E_clISt17integral_constantIbLb0EES10_IbLb1EEEEDaSW_SX_EUlSW_E_NS1_11comp_targetILNS1_3genE9ELNS1_11target_archE1100ELNS1_3gpuE3ELNS1_3repE0EEENS1_30default_config_static_selectorELNS0_4arch9wavefront6targetE0EEEvT1_.num_named_barrier, 0
	.set _ZN7rocprim17ROCPRIM_400000_NS6detail17trampoline_kernelINS0_14default_configENS1_27scan_by_key_config_selectorIiyEEZZNS1_16scan_by_key_implILNS1_25lookback_scan_determinismE0ELb0ES3_N6thrust23THRUST_200600_302600_NS6detail15normal_iteratorINS9_10device_ptrIiEEEENSB_INSC_IyEEEESG_yNS9_4plusIvEENS9_8equal_toIvEEyEE10hipError_tPvRmT2_T3_T4_T5_mT6_T7_P12ihipStream_tbENKUlT_T0_E_clISt17integral_constantIbLb0EES10_IbLb1EEEEDaSW_SX_EUlSW_E_NS1_11comp_targetILNS1_3genE9ELNS1_11target_archE1100ELNS1_3gpuE3ELNS1_3repE0EEENS1_30default_config_static_selectorELNS0_4arch9wavefront6targetE0EEEvT1_.private_seg_size, 0
	.set _ZN7rocprim17ROCPRIM_400000_NS6detail17trampoline_kernelINS0_14default_configENS1_27scan_by_key_config_selectorIiyEEZZNS1_16scan_by_key_implILNS1_25lookback_scan_determinismE0ELb0ES3_N6thrust23THRUST_200600_302600_NS6detail15normal_iteratorINS9_10device_ptrIiEEEENSB_INSC_IyEEEESG_yNS9_4plusIvEENS9_8equal_toIvEEyEE10hipError_tPvRmT2_T3_T4_T5_mT6_T7_P12ihipStream_tbENKUlT_T0_E_clISt17integral_constantIbLb0EES10_IbLb1EEEEDaSW_SX_EUlSW_E_NS1_11comp_targetILNS1_3genE9ELNS1_11target_archE1100ELNS1_3gpuE3ELNS1_3repE0EEENS1_30default_config_static_selectorELNS0_4arch9wavefront6targetE0EEEvT1_.uses_vcc, 0
	.set _ZN7rocprim17ROCPRIM_400000_NS6detail17trampoline_kernelINS0_14default_configENS1_27scan_by_key_config_selectorIiyEEZZNS1_16scan_by_key_implILNS1_25lookback_scan_determinismE0ELb0ES3_N6thrust23THRUST_200600_302600_NS6detail15normal_iteratorINS9_10device_ptrIiEEEENSB_INSC_IyEEEESG_yNS9_4plusIvEENS9_8equal_toIvEEyEE10hipError_tPvRmT2_T3_T4_T5_mT6_T7_P12ihipStream_tbENKUlT_T0_E_clISt17integral_constantIbLb0EES10_IbLb1EEEEDaSW_SX_EUlSW_E_NS1_11comp_targetILNS1_3genE9ELNS1_11target_archE1100ELNS1_3gpuE3ELNS1_3repE0EEENS1_30default_config_static_selectorELNS0_4arch9wavefront6targetE0EEEvT1_.uses_flat_scratch, 0
	.set _ZN7rocprim17ROCPRIM_400000_NS6detail17trampoline_kernelINS0_14default_configENS1_27scan_by_key_config_selectorIiyEEZZNS1_16scan_by_key_implILNS1_25lookback_scan_determinismE0ELb0ES3_N6thrust23THRUST_200600_302600_NS6detail15normal_iteratorINS9_10device_ptrIiEEEENSB_INSC_IyEEEESG_yNS9_4plusIvEENS9_8equal_toIvEEyEE10hipError_tPvRmT2_T3_T4_T5_mT6_T7_P12ihipStream_tbENKUlT_T0_E_clISt17integral_constantIbLb0EES10_IbLb1EEEEDaSW_SX_EUlSW_E_NS1_11comp_targetILNS1_3genE9ELNS1_11target_archE1100ELNS1_3gpuE3ELNS1_3repE0EEENS1_30default_config_static_selectorELNS0_4arch9wavefront6targetE0EEEvT1_.has_dyn_sized_stack, 0
	.set _ZN7rocprim17ROCPRIM_400000_NS6detail17trampoline_kernelINS0_14default_configENS1_27scan_by_key_config_selectorIiyEEZZNS1_16scan_by_key_implILNS1_25lookback_scan_determinismE0ELb0ES3_N6thrust23THRUST_200600_302600_NS6detail15normal_iteratorINS9_10device_ptrIiEEEENSB_INSC_IyEEEESG_yNS9_4plusIvEENS9_8equal_toIvEEyEE10hipError_tPvRmT2_T3_T4_T5_mT6_T7_P12ihipStream_tbENKUlT_T0_E_clISt17integral_constantIbLb0EES10_IbLb1EEEEDaSW_SX_EUlSW_E_NS1_11comp_targetILNS1_3genE9ELNS1_11target_archE1100ELNS1_3gpuE3ELNS1_3repE0EEENS1_30default_config_static_selectorELNS0_4arch9wavefront6targetE0EEEvT1_.has_recursion, 0
	.set _ZN7rocprim17ROCPRIM_400000_NS6detail17trampoline_kernelINS0_14default_configENS1_27scan_by_key_config_selectorIiyEEZZNS1_16scan_by_key_implILNS1_25lookback_scan_determinismE0ELb0ES3_N6thrust23THRUST_200600_302600_NS6detail15normal_iteratorINS9_10device_ptrIiEEEENSB_INSC_IyEEEESG_yNS9_4plusIvEENS9_8equal_toIvEEyEE10hipError_tPvRmT2_T3_T4_T5_mT6_T7_P12ihipStream_tbENKUlT_T0_E_clISt17integral_constantIbLb0EES10_IbLb1EEEEDaSW_SX_EUlSW_E_NS1_11comp_targetILNS1_3genE9ELNS1_11target_archE1100ELNS1_3gpuE3ELNS1_3repE0EEENS1_30default_config_static_selectorELNS0_4arch9wavefront6targetE0EEEvT1_.has_indirect_call, 0
	.section	.AMDGPU.csdata,"",@progbits
; Kernel info:
; codeLenInByte = 0
; TotalNumSgprs: 0
; NumVgprs: 0
; ScratchSize: 0
; MemoryBound: 0
; FloatMode: 240
; IeeeMode: 1
; LDSByteSize: 0 bytes/workgroup (compile time only)
; SGPRBlocks: 0
; VGPRBlocks: 0
; NumSGPRsForWavesPerEU: 1
; NumVGPRsForWavesPerEU: 1
; Occupancy: 16
; WaveLimiterHint : 0
; COMPUTE_PGM_RSRC2:SCRATCH_EN: 0
; COMPUTE_PGM_RSRC2:USER_SGPR: 6
; COMPUTE_PGM_RSRC2:TRAP_HANDLER: 0
; COMPUTE_PGM_RSRC2:TGID_X_EN: 1
; COMPUTE_PGM_RSRC2:TGID_Y_EN: 0
; COMPUTE_PGM_RSRC2:TGID_Z_EN: 0
; COMPUTE_PGM_RSRC2:TIDIG_COMP_CNT: 0
	.section	.text._ZN7rocprim17ROCPRIM_400000_NS6detail17trampoline_kernelINS0_14default_configENS1_27scan_by_key_config_selectorIiyEEZZNS1_16scan_by_key_implILNS1_25lookback_scan_determinismE0ELb0ES3_N6thrust23THRUST_200600_302600_NS6detail15normal_iteratorINS9_10device_ptrIiEEEENSB_INSC_IyEEEESG_yNS9_4plusIvEENS9_8equal_toIvEEyEE10hipError_tPvRmT2_T3_T4_T5_mT6_T7_P12ihipStream_tbENKUlT_T0_E_clISt17integral_constantIbLb0EES10_IbLb1EEEEDaSW_SX_EUlSW_E_NS1_11comp_targetILNS1_3genE8ELNS1_11target_archE1030ELNS1_3gpuE2ELNS1_3repE0EEENS1_30default_config_static_selectorELNS0_4arch9wavefront6targetE0EEEvT1_,"axG",@progbits,_ZN7rocprim17ROCPRIM_400000_NS6detail17trampoline_kernelINS0_14default_configENS1_27scan_by_key_config_selectorIiyEEZZNS1_16scan_by_key_implILNS1_25lookback_scan_determinismE0ELb0ES3_N6thrust23THRUST_200600_302600_NS6detail15normal_iteratorINS9_10device_ptrIiEEEENSB_INSC_IyEEEESG_yNS9_4plusIvEENS9_8equal_toIvEEyEE10hipError_tPvRmT2_T3_T4_T5_mT6_T7_P12ihipStream_tbENKUlT_T0_E_clISt17integral_constantIbLb0EES10_IbLb1EEEEDaSW_SX_EUlSW_E_NS1_11comp_targetILNS1_3genE8ELNS1_11target_archE1030ELNS1_3gpuE2ELNS1_3repE0EEENS1_30default_config_static_selectorELNS0_4arch9wavefront6targetE0EEEvT1_,comdat
	.protected	_ZN7rocprim17ROCPRIM_400000_NS6detail17trampoline_kernelINS0_14default_configENS1_27scan_by_key_config_selectorIiyEEZZNS1_16scan_by_key_implILNS1_25lookback_scan_determinismE0ELb0ES3_N6thrust23THRUST_200600_302600_NS6detail15normal_iteratorINS9_10device_ptrIiEEEENSB_INSC_IyEEEESG_yNS9_4plusIvEENS9_8equal_toIvEEyEE10hipError_tPvRmT2_T3_T4_T5_mT6_T7_P12ihipStream_tbENKUlT_T0_E_clISt17integral_constantIbLb0EES10_IbLb1EEEEDaSW_SX_EUlSW_E_NS1_11comp_targetILNS1_3genE8ELNS1_11target_archE1030ELNS1_3gpuE2ELNS1_3repE0EEENS1_30default_config_static_selectorELNS0_4arch9wavefront6targetE0EEEvT1_ ; -- Begin function _ZN7rocprim17ROCPRIM_400000_NS6detail17trampoline_kernelINS0_14default_configENS1_27scan_by_key_config_selectorIiyEEZZNS1_16scan_by_key_implILNS1_25lookback_scan_determinismE0ELb0ES3_N6thrust23THRUST_200600_302600_NS6detail15normal_iteratorINS9_10device_ptrIiEEEENSB_INSC_IyEEEESG_yNS9_4plusIvEENS9_8equal_toIvEEyEE10hipError_tPvRmT2_T3_T4_T5_mT6_T7_P12ihipStream_tbENKUlT_T0_E_clISt17integral_constantIbLb0EES10_IbLb1EEEEDaSW_SX_EUlSW_E_NS1_11comp_targetILNS1_3genE8ELNS1_11target_archE1030ELNS1_3gpuE2ELNS1_3repE0EEENS1_30default_config_static_selectorELNS0_4arch9wavefront6targetE0EEEvT1_
	.globl	_ZN7rocprim17ROCPRIM_400000_NS6detail17trampoline_kernelINS0_14default_configENS1_27scan_by_key_config_selectorIiyEEZZNS1_16scan_by_key_implILNS1_25lookback_scan_determinismE0ELb0ES3_N6thrust23THRUST_200600_302600_NS6detail15normal_iteratorINS9_10device_ptrIiEEEENSB_INSC_IyEEEESG_yNS9_4plusIvEENS9_8equal_toIvEEyEE10hipError_tPvRmT2_T3_T4_T5_mT6_T7_P12ihipStream_tbENKUlT_T0_E_clISt17integral_constantIbLb0EES10_IbLb1EEEEDaSW_SX_EUlSW_E_NS1_11comp_targetILNS1_3genE8ELNS1_11target_archE1030ELNS1_3gpuE2ELNS1_3repE0EEENS1_30default_config_static_selectorELNS0_4arch9wavefront6targetE0EEEvT1_
	.p2align	8
	.type	_ZN7rocprim17ROCPRIM_400000_NS6detail17trampoline_kernelINS0_14default_configENS1_27scan_by_key_config_selectorIiyEEZZNS1_16scan_by_key_implILNS1_25lookback_scan_determinismE0ELb0ES3_N6thrust23THRUST_200600_302600_NS6detail15normal_iteratorINS9_10device_ptrIiEEEENSB_INSC_IyEEEESG_yNS9_4plusIvEENS9_8equal_toIvEEyEE10hipError_tPvRmT2_T3_T4_T5_mT6_T7_P12ihipStream_tbENKUlT_T0_E_clISt17integral_constantIbLb0EES10_IbLb1EEEEDaSW_SX_EUlSW_E_NS1_11comp_targetILNS1_3genE8ELNS1_11target_archE1030ELNS1_3gpuE2ELNS1_3repE0EEENS1_30default_config_static_selectorELNS0_4arch9wavefront6targetE0EEEvT1_,@function
_ZN7rocprim17ROCPRIM_400000_NS6detail17trampoline_kernelINS0_14default_configENS1_27scan_by_key_config_selectorIiyEEZZNS1_16scan_by_key_implILNS1_25lookback_scan_determinismE0ELb0ES3_N6thrust23THRUST_200600_302600_NS6detail15normal_iteratorINS9_10device_ptrIiEEEENSB_INSC_IyEEEESG_yNS9_4plusIvEENS9_8equal_toIvEEyEE10hipError_tPvRmT2_T3_T4_T5_mT6_T7_P12ihipStream_tbENKUlT_T0_E_clISt17integral_constantIbLb0EES10_IbLb1EEEEDaSW_SX_EUlSW_E_NS1_11comp_targetILNS1_3genE8ELNS1_11target_archE1030ELNS1_3gpuE2ELNS1_3repE0EEENS1_30default_config_static_selectorELNS0_4arch9wavefront6targetE0EEEvT1_: ; @_ZN7rocprim17ROCPRIM_400000_NS6detail17trampoline_kernelINS0_14default_configENS1_27scan_by_key_config_selectorIiyEEZZNS1_16scan_by_key_implILNS1_25lookback_scan_determinismE0ELb0ES3_N6thrust23THRUST_200600_302600_NS6detail15normal_iteratorINS9_10device_ptrIiEEEENSB_INSC_IyEEEESG_yNS9_4plusIvEENS9_8equal_toIvEEyEE10hipError_tPvRmT2_T3_T4_T5_mT6_T7_P12ihipStream_tbENKUlT_T0_E_clISt17integral_constantIbLb0EES10_IbLb1EEEEDaSW_SX_EUlSW_E_NS1_11comp_targetILNS1_3genE8ELNS1_11target_archE1030ELNS1_3gpuE2ELNS1_3repE0EEENS1_30default_config_static_selectorELNS0_4arch9wavefront6targetE0EEEvT1_
; %bb.0:
	s_clause 0x1
	s_load_dwordx8 s[8:15], s[4:5], 0x30
	s_load_dwordx2 s[34:35], s[4:5], 0x50
	v_cmp_ne_u32_e64 s1, 0, v0
	v_cmp_eq_u32_e64 s0, 0, v0
	s_and_saveexec_b32 s2, s0
	s_cbranch_execz .LBB1217_4
; %bb.1:
	s_mov_b32 s6, exec_lo
	s_mov_b32 s3, exec_lo
	v_mbcnt_lo_u32_b32 v1, s6, 0
                                        ; implicit-def: $vgpr2
	v_cmpx_eq_u32_e32 0, v1
	s_cbranch_execz .LBB1217_3
; %bb.2:
	s_load_dwordx2 s[16:17], s[4:5], 0x80
	s_bcnt1_i32_b32 s6, s6
	v_mov_b32_e32 v2, 0
	v_mov_b32_e32 v3, s6
	s_waitcnt lgkmcnt(0)
	global_atomic_add v2, v2, v3, s[16:17] glc
.LBB1217_3:
	s_or_b32 exec_lo, exec_lo, s3
	s_waitcnt vmcnt(0)
	v_readfirstlane_b32 s3, v2
	v_mov_b32_e32 v2, 0
	v_add_nc_u32_e32 v1, s3, v1
	ds_write_b32 v2, v1
.LBB1217_4:
	s_or_b32 exec_lo, exec_lo, s2
	v_mov_b32_e32 v1, 0
	s_load_dwordx8 s[16:23], s[4:5], 0x0
	s_waitcnt lgkmcnt(0)
	s_clause 0x1
	s_load_dword s15, s[4:5], 0x58
	s_load_dwordx8 s[24:31], s[4:5], 0x60
	s_waitcnt lgkmcnt(0)
	s_barrier
	buffer_gl0_inv
	ds_read_b32 v1, v1
	s_mov_b32 s3, 0
	s_waitcnt lgkmcnt(0)
	s_barrier
	buffer_gl0_inv
	s_barrier
	buffer_gl0_inv
	s_lshl_b64 s[4:5], s[18:19], 2
	s_mul_i32 s2, s35, s15
	s_add_u32 s7, s16, s4
	s_addc_u32 s37, s17, s5
	s_lshl_b64 s[16:17], s[18:19], 3
	s_mul_hi_u32 s6, s34, s15
	v_readfirstlane_b32 s33, v1
	s_add_u32 s20, s20, s16
	s_addc_u32 s21, s21, s17
	s_add_i32 s38, s6, s2
	s_cmp_lg_u64 s[28:29], 0
	s_mul_i32 s2, s33, 0x300
	s_cselect_b32 s36, -1, 0
	s_lshl_b64 s[4:5], s[2:3], 2
	s_add_u32 s6, s7, s4
	s_addc_u32 s7, s37, s5
	s_lshl_b64 s[18:19], s[2:3], 3
	s_mul_i32 s2, s34, s15
	s_add_u32 s5, s20, s18
	s_addc_u32 s29, s21, s19
	s_add_u32 s20, s2, s33
	s_addc_u32 s21, s38, 0
	s_add_u32 s24, s24, -1
	s_addc_u32 s25, s25, -1
	s_mul_i32 s15, s24, 0xfffffd00
	v_cmp_ge_u64_e64 s28, s[20:21], s[24:25]
	s_and_b32 vcc_lo, exec_lo, s28
	s_cbranch_vccz .LBB1217_26
; %bb.5:
	v_mov_b32_e32 v1, s6
	v_mov_b32_e32 v2, s7
	s_add_i32 s37, s15, s14
	v_cmp_gt_u32_e64 s4, s37, v0
	flat_load_dword v1, v[1:2]
	s_waitcnt vmcnt(0) lgkmcnt(0)
	v_mov_b32_e32 v2, v1
	s_and_saveexec_b32 s2, s4
	s_cbranch_execz .LBB1217_7
; %bb.6:
	v_lshlrev_b32_e32 v2, 2, v0
	v_add_co_u32 v2, s3, s6, v2
	v_add_co_ci_u32_e64 v3, null, s7, 0, s3
	flat_load_dword v2, v[2:3]
.LBB1217_7:
	s_or_b32 exec_lo, exec_lo, s2
	v_or_b32_e32 v11, 0x100, v0
	v_mov_b32_e32 v3, v1
	v_cmp_gt_u32_e64 s3, s37, v11
	s_and_saveexec_b32 s2, s3
	s_cbranch_execz .LBB1217_9
; %bb.8:
	v_lshlrev_b32_e32 v3, 2, v0
	v_add_co_u32 v3, s24, s6, v3
	v_add_co_ci_u32_e64 v4, null, s7, 0, s24
	flat_load_dword v3, v[3:4] offset:1024
.LBB1217_9:
	s_or_b32 exec_lo, exec_lo, s2
	v_or_b32_e32 v10, 0x200, v0
	v_cmp_gt_u32_e64 s2, s37, v10
	s_and_saveexec_b32 s24, s2
	s_cbranch_execz .LBB1217_11
; %bb.10:
	v_lshlrev_b32_e32 v1, 2, v10
	v_add_co_u32 v4, s25, s6, v1
	v_add_co_ci_u32_e64 v5, null, s7, 0, s25
	flat_load_dword v1, v[4:5]
.LBB1217_11:
	s_or_b32 exec_lo, exec_lo, s24
	v_lshlrev_b32_e32 v4, 2, v0
	v_lshlrev_b32_e32 v14, 3, v0
	s_cmp_eq_u64 s[20:21], 0
	s_mov_b64 s[24:25], s[6:7]
	s_waitcnt vmcnt(0) lgkmcnt(0)
	ds_write2st64_b32 v4, v2, v3 offset1:4
	v_add_nc_u32_e32 v2, v4, v14
	ds_write_b32 v4, v1 offset:2048
	s_waitcnt lgkmcnt(0)
	s_barrier
	buffer_gl0_inv
	ds_read2_b32 v[7:8], v2 offset1:1
	ds_read_b32 v9, v2 offset:8
	s_cbranch_scc1 .LBB1217_15
; %bb.12:
	s_andn2_b32 vcc_lo, exec_lo, s36
	s_cbranch_vccnz .LBB1217_149
; %bb.13:
	s_lshl_b64 s[24:25], s[20:21], 2
	s_add_u32 s24, s30, s24
	s_addc_u32 s25, s31, s25
	s_add_u32 s24, s24, -4
	s_addc_u32 s25, s25, -1
	s_cbranch_execnz .LBB1217_15
.LBB1217_14:
	s_add_u32 s24, s6, -4
	s_addc_u32 s25, s7, -1
.LBB1217_15:
	v_mov_b32_e32 v3, s24
	v_mov_b32_e32 v4, s25
	v_sub_nc_u32_e32 v13, v2, v14
	flat_load_dword v12, v[3:4]
	s_waitcnt lgkmcnt(1)
	ds_write_b32 v13, v9 offset:3072
	s_waitcnt vmcnt(0) lgkmcnt(0)
	s_barrier
	buffer_gl0_inv
	s_and_saveexec_b32 s24, s1
; %bb.16:
	ds_read_b32 v12, v13 offset:3068
; %bb.17:
	s_or_b32 exec_lo, exec_lo, s24
	v_mov_b32_e32 v1, 0
	s_waitcnt lgkmcnt(0)
	s_barrier
	buffer_gl0_inv
	v_mov_b32_e32 v2, v1
	v_mov_b32_e32 v3, v1
	;; [unrolled: 1-line block ×5, first 2 shown]
	s_and_saveexec_b32 s24, s4
	s_cbranch_execnz .LBB1217_147
; %bb.18:
	s_or_b32 exec_lo, exec_lo, s24
	s_and_saveexec_b32 s4, s3
	s_cbranch_execnz .LBB1217_148
.LBB1217_19:
	s_or_b32 exec_lo, exec_lo, s4
	s_and_saveexec_b32 s3, s2
	s_cbranch_execz .LBB1217_21
.LBB1217_20:
	v_lshlrev_b32_e32 v5, 3, v10
	v_add_co_u32 v5, s2, s5, v5
	v_add_co_ci_u32_e64 v6, null, s29, 0, s2
	flat_load_dwordx2 v[5:6], v[5:6]
.LBB1217_21:
	s_or_b32 exec_lo, exec_lo, s3
	v_lshl_add_u32 v11, v0, 2, v13
	v_mul_u32_u24_e32 v10, 3, v0
	v_mov_b32_e32 v18, 0
	v_mov_b32_e32 v20, 0
	s_mov_b32 s24, 0
	s_waitcnt vmcnt(0) lgkmcnt(0)
	ds_write2st64_b64 v11, v[1:2], v[3:4] offset1:4
	ds_write_b64 v11, v[5:6] offset:4096
	v_mov_b32_e32 v1, 0
	v_mov_b32_e32 v3, 0
	;; [unrolled: 1-line block ×4, first 2 shown]
	s_mov_b32 s3, 0
	s_mov_b32 s25, exec_lo
	s_waitcnt lgkmcnt(0)
	s_barrier
	buffer_gl0_inv
                                        ; implicit-def: $sgpr4
                                        ; implicit-def: $vgpr5_vgpr6
	v_cmpx_gt_u32_e64 s37, v10
	s_cbranch_execz .LBB1217_25
; %bb.22:
	v_lshlrev_b32_e32 v1, 4, v0
	v_add_nc_u32_e32 v3, 1, v10
	v_mov_b32_e32 v20, 0
	v_cmp_ne_u32_e32 vcc_lo, v12, v7
                                        ; implicit-def: $sgpr4
                                        ; implicit-def: $vgpr5_vgpr6
	v_add_nc_u32_e32 v11, v11, v1
	v_cmp_gt_u32_e64 s2, s37, v3
	v_mov_b32_e32 v3, 0
	v_mov_b32_e32 v4, 0
	ds_read_b64 v[1:2], v11
	s_and_saveexec_b32 s38, s2
	s_xor_b32 s38, exec_lo, s38
	s_cbranch_execz .LBB1217_24
; %bb.23:
	ds_read2_b64 v[3:6], v11 offset0:1 offset1:2
	v_add_nc_u32_e32 v10, 2, v10
	v_cmp_ne_u32_e64 s3, v7, v8
	v_cmp_ne_u32_e64 s4, v8, v9
	v_cmp_gt_u32_e64 s2, s37, v10
	v_cndmask_b32_e64 v20, 0, 1, s3
	s_and_b32 s3, s2, exec_lo
.LBB1217_24:
	s_or_b32 exec_lo, exec_lo, s38
	v_cndmask_b32_e64 v18, 0, 1, vcc_lo
	s_and_b32 s3, s3, exec_lo
.LBB1217_25:
	s_or_b32 exec_lo, exec_lo, s25
	v_lshlrev_b32_e32 v17, 3, v0
	s_and_b32 vcc_lo, exec_lo, s24
	s_cbranch_vccnz .LBB1217_27
	s_branch .LBB1217_35
.LBB1217_26:
                                        ; implicit-def: $sgpr4
                                        ; implicit-def: $vgpr5_vgpr6
                                        ; implicit-def: $vgpr18
                                        ; implicit-def: $vgpr1_vgpr2
                                        ; implicit-def: $vgpr20
	v_lshlrev_b32_e32 v17, 3, v0
	s_cbranch_execz .LBB1217_35
.LBB1217_27:
	s_waitcnt lgkmcnt(0)
	v_lshlrev_b32_e32 v5, 2, v0
	s_cmp_eq_u64 s[20:21], 0
	v_add_co_u32 v1, s2, s6, v5
	v_add_co_ci_u32_e64 v2, null, s7, 0, s2
	v_add_co_u32 v3, vcc_lo, 0x800, v1
	v_add_co_ci_u32_e64 v4, null, 0, v2, vcc_lo
	s_clause 0x2
	flat_load_dword v6, v[1:2]
	flat_load_dword v2, v[1:2] offset:1024
	flat_load_dword v3, v[3:4]
	v_add_nc_u32_e32 v1, v5, v17
	s_waitcnt vmcnt(1) lgkmcnt(1)
	ds_write2st64_b32 v5, v6, v2 offset1:4
	s_waitcnt vmcnt(0) lgkmcnt(1)
	ds_write_b32 v5, v3 offset:2048
	s_waitcnt lgkmcnt(0)
	s_barrier
	buffer_gl0_inv
	ds_read2_b32 v[7:8], v1 offset1:1
	ds_read_b32 v9, v1 offset:8
	s_cbranch_scc1 .LBB1217_32
; %bb.28:
	s_andn2_b32 vcc_lo, exec_lo, s36
	s_cbranch_vccnz .LBB1217_150
; %bb.29:
	s_lshl_b64 s[2:3], s[20:21], 2
	s_add_u32 s2, s30, s2
	s_addc_u32 s3, s31, s3
	s_add_u32 s2, s2, -4
	s_addc_u32 s3, s3, -1
	s_cbranch_execnz .LBB1217_31
.LBB1217_30:
	s_add_u32 s2, s6, -4
	s_addc_u32 s3, s7, -1
.LBB1217_31:
	s_mov_b64 s[6:7], s[2:3]
.LBB1217_32:
	v_mov_b32_e32 v2, s6
	v_mov_b32_e32 v3, s7
	v_sub_nc_u32_e32 v1, v1, v17
	flat_load_dword v10, v[2:3]
	s_waitcnt lgkmcnt(1)
	ds_write_b32 v1, v9 offset:3072
	s_waitcnt vmcnt(0) lgkmcnt(0)
	s_barrier
	buffer_gl0_inv
	s_and_saveexec_b32 s2, s1
; %bb.33:
	ds_read_b32 v10, v1 offset:3068
; %bb.34:
	s_or_b32 exec_lo, exec_lo, s2
	v_add_co_u32 v2, s2, s5, v17
	v_add_co_ci_u32_e64 v3, null, s29, 0, s2
	s_waitcnt lgkmcnt(0)
	v_add_co_u32 v4, vcc_lo, 0x800, v2
	v_add_co_ci_u32_e64 v5, null, 0, v3, vcc_lo
	v_add_co_u32 v11, vcc_lo, 0x1000, v2
	v_add_co_ci_u32_e64 v12, null, 0, v3, vcc_lo
	s_barrier
	buffer_gl0_inv
	s_clause 0x2
	flat_load_dwordx2 v[2:3], v[2:3]
	flat_load_dwordx2 v[4:5], v[4:5]
	;; [unrolled: 1-line block ×3, first 2 shown]
	v_lshl_add_u32 v1, v0, 2, v1
	v_cmp_ne_u32_e32 vcc_lo, v7, v8
	v_cmp_ne_u32_e64 s4, v8, v9
	s_mov_b32 s3, -1
	s_waitcnt vmcnt(1) lgkmcnt(1)
	ds_write2st64_b64 v1, v[2:3], v[4:5] offset1:4
	s_waitcnt vmcnt(0) lgkmcnt(1)
	ds_write_b64 v1, v[11:12] offset:4096
	v_lshl_add_u32 v6, v0, 4, v1
	s_waitcnt lgkmcnt(0)
	s_barrier
	buffer_gl0_inv
	ds_read2_b64 v[1:4], v6 offset1:1
	ds_read_b64 v[5:6], v6 offset:16
	v_cndmask_b32_e64 v20, 0, 1, vcc_lo
	v_cmp_ne_u32_e32 vcc_lo, v10, v7
	v_cndmask_b32_e64 v18, 0, 1, vcc_lo
.LBB1217_35:
	v_mov_b32_e32 v7, 0
	v_mov_b32_e32 v8, 0
	;; [unrolled: 1-line block ×3, first 2 shown]
	s_and_saveexec_b32 s2, s3
	s_cbranch_execz .LBB1217_37
; %bb.36:
	s_waitcnt lgkmcnt(0)
	v_mov_b32_e32 v8, v6
	v_cndmask_b32_e64 v21, 0, 1, s4
	v_mov_b32_e32 v7, v5
.LBB1217_37:
	s_or_b32 exec_lo, exec_lo, s2
	v_and_b32_e32 v22, 1, v21
	v_cmp_eq_u16_e64 s2, 0, v21
	v_mbcnt_lo_u32_b32 v19, -1, 0
	s_cmp_lg_u32 s33, 0
	s_waitcnt lgkmcnt(0)
	v_cmp_eq_u32_e32 vcc_lo, 1, v22
	s_barrier
	buffer_gl0_inv
	s_cbranch_scc0 .LBB1217_95
; %bb.38:
	v_mov_b32_e32 v5, 0
	v_or_b32_e32 v10, v20, v18
	s_mov_b32 s5, exec_lo
	v_cmp_eq_u16_sdwa s3, v20, v5 src0_sel:BYTE_0 src1_sel:DWORD
	v_cndmask_b32_e64 v9, 0, v1, s3
	v_cndmask_b32_e64 v6, 0, v2, s3
	v_add_co_u32 v9, s4, v9, v3
	v_add_co_ci_u32_e64 v6, null, v6, v4, s4
	v_cmp_ne_u16_sdwa s4, v10, v5 src0_sel:BYTE_0 src1_sel:DWORD
	v_cndmask_b32_e64 v9, 0, v9, s2
	v_cndmask_b32_e64 v6, 0, v6, s2
	s_or_b32 s4, s4, vcc_lo
	v_add_co_u32 v9, vcc_lo, v9, v7
	v_cndmask_b32_e64 v5, 0, 1, s4
	v_add_co_ci_u32_e64 v10, null, v6, v8, vcc_lo
	v_and_b32_e32 v6, 15, v19
	v_mov_b32_dpp v12, v9 row_shr:1 row_mask:0xf bank_mask:0xf
	v_mov_b32_dpp v11, v5 row_shr:1 row_mask:0xf bank_mask:0xf
	;; [unrolled: 1-line block ×3, first 2 shown]
	v_cmpx_ne_u32_e32 0, v6
; %bb.39:
	v_cndmask_b32_e64 v12, v12, 0, s4
	v_cndmask_b32_e64 v13, v13, 0, s4
	v_and_or_b32 v5, v11, 1, v5
	v_add_co_u32 v9, vcc_lo, v12, v9
	v_add_co_ci_u32_e64 v10, null, v13, v10, vcc_lo
; %bb.40:
	s_or_b32 exec_lo, exec_lo, s5
	v_mov_b32_dpp v12, v9 row_shr:2 row_mask:0xf bank_mask:0xf
	v_mov_b32_dpp v13, v10 row_shr:2 row_mask:0xf bank_mask:0xf
	v_mov_b32_dpp v11, v5 row_shr:2 row_mask:0xf bank_mask:0xf
	s_mov_b32 s4, exec_lo
	v_cmpx_lt_u32_e32 1, v6
	s_cbranch_execz .LBB1217_42
; %bb.41:
	v_cmp_eq_u16_e32 vcc_lo, 0, v5
	v_or_b32_e32 v5, v11, v5
	v_cndmask_b32_e32 v12, 0, v12, vcc_lo
	v_cndmask_b32_e32 v13, 0, v13, vcc_lo
	v_and_b32_e32 v5, 1, v5
	v_add_co_u32 v9, vcc_lo, v12, v9
	v_add_co_ci_u32_e64 v10, null, v13, v10, vcc_lo
.LBB1217_42:
	s_or_b32 exec_lo, exec_lo, s4
	v_mov_b32_dpp v12, v9 row_shr:4 row_mask:0xf bank_mask:0xf
	v_mov_b32_dpp v13, v10 row_shr:4 row_mask:0xf bank_mask:0xf
	v_mov_b32_dpp v11, v5 row_shr:4 row_mask:0xf bank_mask:0xf
	s_mov_b32 s4, exec_lo
	v_cmpx_lt_u32_e32 3, v6
	s_cbranch_execz .LBB1217_44
; %bb.43:
	v_cmp_eq_u16_e32 vcc_lo, 0, v5
	v_or_b32_e32 v5, v11, v5
	v_cndmask_b32_e32 v12, 0, v12, vcc_lo
	v_cndmask_b32_e32 v13, 0, v13, vcc_lo
	v_and_b32_e32 v5, 1, v5
	v_add_co_u32 v9, vcc_lo, v12, v9
	v_add_co_ci_u32_e64 v10, null, v13, v10, vcc_lo
.LBB1217_44:
	;; [unrolled: 16-line block ×3, first 2 shown]
	s_or_b32 exec_lo, exec_lo, s4
	ds_swizzle_b32 v6, v9 offset:swizzle(BROADCAST,32,15)
	ds_swizzle_b32 v12, v10 offset:swizzle(BROADCAST,32,15)
	;; [unrolled: 1-line block ×3, first 2 shown]
	v_and_b32_e32 v11, 16, v19
	v_cmp_ne_u32_e32 vcc_lo, 0, v11
	v_mov_b32_e32 v11, v5
	s_and_saveexec_b32 s6, vcc_lo
	s_cbranch_execz .LBB1217_48
; %bb.47:
	v_cmp_eq_u16_e32 vcc_lo, 0, v5
	v_and_b32_e32 v5, 1, v5
	s_waitcnt lgkmcnt(0)
	v_and_b32_e32 v11, 1, v13
	v_cndmask_b32_e32 v12, 0, v12, vcc_lo
	v_cndmask_b32_e32 v6, 0, v6, vcc_lo
	v_cmp_eq_u32_e32 vcc_lo, 1, v5
	v_cmp_eq_u32_e64 s4, 1, v11
	v_add_co_u32 v9, s5, v6, v9
	s_or_b32 s4, vcc_lo, s4
	v_add_co_ci_u32_e64 v10, null, v12, v10, s5
	v_cndmask_b32_e64 v5, 0, 1, s4
	v_cndmask_b32_e64 v11, 0, 1, s4
.LBB1217_48:
	s_or_b32 exec_lo, exec_lo, s6
	s_waitcnt lgkmcnt(1)
	v_lshrrev_b32_e32 v12, 5, v0
	v_or_b32_e32 v6, 31, v0
	s_mov_b32 s4, exec_lo
	v_lshlrev_b32_e32 v12, 4, v12
	v_cmpx_eq_u32_e64 v0, v6
	s_cbranch_execz .LBB1217_50
; %bb.49:
	ds_write_b64 v12, v[9:10]
	ds_write_b8 v12, v5 offset:8
.LBB1217_50:
	s_or_b32 exec_lo, exec_lo, s4
	s_mov_b32 s6, exec_lo
	s_waitcnt lgkmcnt(0)
	s_barrier
	buffer_gl0_inv
	v_cmpx_gt_u32_e32 8, v0
	s_cbranch_execz .LBB1217_58
; %bb.51:
	v_lshlrev_b32_e32 v13, 4, v0
	v_and_b32_e32 v14, 7, v19
	s_mov_b32 s4, exec_lo
	ds_read_b64 v[5:6], v13
	ds_read_b32 v24, v13 offset:8
	s_waitcnt lgkmcnt(1)
	v_mov_b32_dpp v25, v5 row_shr:1 row_mask:0xf bank_mask:0xf
	v_mov_b32_dpp v26, v6 row_shr:1 row_mask:0xf bank_mask:0xf
	s_waitcnt lgkmcnt(0)
	v_and_b32_e32 v16, 0xffffff00, v24
	v_mov_b32_dpp v27, v24 row_shr:1 row_mask:0xf bank_mask:0xf
	v_mov_b32_e32 v23, v24
	v_mov_b32_e32 v15, v24
	v_cmpx_ne_u32_e32 0, v14
	s_cbranch_execz .LBB1217_53
; %bb.52:
	v_mov_b32_e32 v15, 0
	v_cmp_eq_u16_sdwa vcc_lo, v24, v15 src0_sel:BYTE_0 src1_sel:DWORD
	v_or_b32_e32 v15, v27, v24
	v_cndmask_b32_e32 v25, 0, v25, vcc_lo
	v_cndmask_b32_e32 v24, 0, v26, vcc_lo
	v_and_b32_e32 v23, 1, v15
	v_and_b32_e32 v15, 1, v15
	v_add_co_u32 v5, vcc_lo, v25, v5
	v_add_co_ci_u32_e64 v6, null, v24, v6, vcc_lo
	v_or_b32_e32 v24, v15, v16
.LBB1217_53:
	s_or_b32 exec_lo, exec_lo, s4
	v_mov_b32_dpp v25, v5 row_shr:2 row_mask:0xf bank_mask:0xf
	v_mov_b32_dpp v26, v6 row_shr:2 row_mask:0xf bank_mask:0xf
	;; [unrolled: 1-line block ×3, first 2 shown]
	s_mov_b32 s7, exec_lo
	v_cmpx_lt_u32_e32 1, v14
	s_cbranch_execz .LBB1217_55
; %bb.54:
	v_mov_b32_e32 v23, 0
	v_and_b32_e32 v24, 1, v15
	v_and_b32_e32 v27, 1, v27
	v_cmp_eq_u16_sdwa vcc_lo, v15, v23 src0_sel:BYTE_0 src1_sel:DWORD
	v_cmp_eq_u32_e64 s4, 1, v24
	v_cmp_eq_u32_e64 s5, 1, v27
	v_cndmask_b32_e32 v24, 0, v25, vcc_lo
	v_cndmask_b32_e32 v15, 0, v26, vcc_lo
	s_or_b32 s4, s4, s5
	v_cndmask_b32_e64 v23, 0, 1, s4
	v_cndmask_b32_e64 v25, 0, 1, s4
	v_add_co_u32 v5, vcc_lo, v24, v5
	v_add_co_ci_u32_e64 v6, null, v15, v6, vcc_lo
	v_or_b32_e32 v24, v16, v25
	v_mov_b32_e32 v15, v23
.LBB1217_55:
	s_or_b32 exec_lo, exec_lo, s7
	v_mov_b32_dpp v16, v5 row_shr:4 row_mask:0xf bank_mask:0xf
	v_mov_b32_dpp v25, v6 row_shr:4 row_mask:0xf bank_mask:0xf
	v_mov_b32_dpp v24, v24 row_shr:4 row_mask:0xf bank_mask:0xf
	s_mov_b32 s7, exec_lo
	v_cmpx_lt_u32_e32 3, v14
	s_cbranch_execz .LBB1217_57
; %bb.56:
	v_mov_b32_e32 v14, 0
	v_cmp_eq_u16_sdwa vcc_lo, v15, v14 src0_sel:BYTE_0 src1_sel:DWORD
	v_and_b32_e32 v14, 1, v15
	v_and_b32_e32 v15, 1, v24
	v_cndmask_b32_e32 v23, 0, v25, vcc_lo
	v_cndmask_b32_e32 v16, 0, v16, vcc_lo
	v_cmp_eq_u32_e32 vcc_lo, 1, v14
	v_cmp_eq_u32_e64 s4, 1, v15
	v_add_co_u32 v5, s5, v16, v5
	s_or_b32 s4, vcc_lo, s4
	v_add_co_ci_u32_e64 v6, null, v23, v6, s5
	v_cndmask_b32_e64 v23, 0, 1, s4
.LBB1217_57:
	s_or_b32 exec_lo, exec_lo, s7
	ds_write_b64 v13, v[5:6]
	ds_write_b8 v13, v23 offset:8
.LBB1217_58:
	s_or_b32 exec_lo, exec_lo, s6
	v_mov_b32_e32 v5, 0
	v_mov_b32_e32 v6, 0
	;; [unrolled: 1-line block ×3, first 2 shown]
	s_mov_b32 s5, exec_lo
	v_cmp_gt_u32_e32 vcc_lo, 32, v0
	s_waitcnt lgkmcnt(0)
	s_barrier
	buffer_gl0_inv
	v_cmpx_lt_u32_e32 31, v0
	s_cbranch_execz .LBB1217_60
; %bb.59:
	v_add_nc_u32_e32 v5, -16, v12
	v_add_nc_u32_e32 v12, -8, v12
	v_cmp_eq_u32_e64 s4, 0, v11
	ds_read_b64 v[5:6], v5
	ds_read_u8 v12, v12
	s_waitcnt lgkmcnt(1)
	v_cndmask_b32_e64 v14, 0, v5, s4
	v_cndmask_b32_e64 v13, 0, v6, s4
	s_waitcnt lgkmcnt(0)
	v_or_b32_e32 v11, v12, v11
	v_and_b32_e32 v23, 1, v12
	v_add_co_u32 v9, s4, v14, v9
	v_add_co_ci_u32_e64 v10, null, v13, v10, s4
	v_and_b32_e32 v11, 1, v11
.LBB1217_60:
	s_or_b32 exec_lo, exec_lo, s5
	v_sub_co_u32 v12, s4, v19, 1
	v_cmp_gt_i32_e64 s5, 0, v12
	v_cndmask_b32_e64 v12, v12, v19, s5
	v_lshlrev_b32_e32 v12, 2, v12
	ds_bpermute_b32 v24, v12, v9
	ds_bpermute_b32 v25, v12, v10
	;; [unrolled: 1-line block ×3, first 2 shown]
	s_and_saveexec_b32 s7, vcc_lo
	s_cbranch_execz .LBB1217_100
; %bb.61:
	v_mov_b32_e32 v13, 0
	ds_read_b64 v[9:10], v13 offset:112
	ds_read_u8 v27, v13 offset:120
	s_and_saveexec_b32 s5, s4
	s_cbranch_execz .LBB1217_63
; %bb.62:
	s_add_i32 s20, s33, 32
	s_mov_b32 s21, 0
	v_mov_b32_e32 v11, 1
	s_lshl_b64 s[24:25], s[20:21], 4
	v_mov_b32_e32 v12, s20
	s_add_u32 s24, s8, s24
	s_addc_u32 s25, s9, s25
	s_waitcnt lgkmcnt(1)
	global_store_dwordx2 v13, v[9:10], s[24:25]
	s_waitcnt lgkmcnt(0)
	global_store_byte v13, v27, s[24:25] offset:8
	s_waitcnt_vscnt null, 0x0
	buffer_gl1_inv
	buffer_gl0_inv
	global_store_byte v12, v11, s[12:13]
.LBB1217_63:
	s_or_b32 exec_lo, exec_lo, s5
	v_xad_u32 v11, v19, -1, s33
	s_mov_b32 s6, 0
	s_mov_b32 s5, exec_lo
	v_add_nc_u32_e32 v12, 32, v11
	global_load_ubyte v28, v12, s[12:13] glc dlc
	s_waitcnt vmcnt(0)
	v_cmpx_eq_u16_e32 0, v28
	s_cbranch_execz .LBB1217_67
; %bb.64:
	v_add_co_u32 v14, s20, s12, v12
	v_add_co_ci_u32_e64 v15, null, s13, 0, s20
.LBB1217_65:                            ; =>This Inner Loop Header: Depth=1
	global_load_ubyte v28, v[14:15], off glc dlc
	s_waitcnt vmcnt(0)
	v_cmp_ne_u16_e32 vcc_lo, 0, v28
	s_or_b32 s6, vcc_lo, s6
	s_andn2_b32 exec_lo, exec_lo, s6
	s_cbranch_execnz .LBB1217_65
; %bb.66:
	s_or_b32 exec_lo, exec_lo, s6
.LBB1217_67:
	s_or_b32 exec_lo, exec_lo, s5
	v_cmp_eq_u16_e32 vcc_lo, 1, v28
	v_mov_b32_e32 v15, s8
	v_mov_b32_e32 v14, s9
	v_lshlrev_b64 v[12:13], 4, v[12:13]
	s_waitcnt lgkmcnt(0)
	s_waitcnt_vscnt null, 0x0
	buffer_gl1_inv
	buffer_gl0_inv
	v_lshlrev_b32_e64 v30, v19, -1
	v_cndmask_b32_e32 v15, s10, v15, vcc_lo
	v_cndmask_b32_e32 v14, s11, v14, vcc_lo
	s_mov_b32 s5, exec_lo
	v_add_co_u32 v12, vcc_lo, v15, v12
	v_add_co_ci_u32_e64 v13, null, v14, v13, vcc_lo
	v_cmp_ne_u32_e32 vcc_lo, 31, v19
	s_clause 0x1
	global_load_ubyte v41, v[12:13], off offset:8
	global_load_dwordx2 v[15:16], v[12:13], off
	v_add_co_ci_u32_e64 v12, null, 0, v19, vcc_lo
	v_cmp_eq_u16_e32 vcc_lo, 2, v28
	v_lshlrev_b32_e32 v29, 2, v12
	v_and_or_b32 v12, vcc_lo, v30, 0x80000000
	v_ffbl_b32_e32 v12, v12
	s_waitcnt vmcnt(1)
	v_and_b32_e32 v13, 1, v41
	s_waitcnt vmcnt(0)
	ds_bpermute_b32 v14, v29, v15
	ds_bpermute_b32 v31, v29, v16
	;; [unrolled: 1-line block ×3, first 2 shown]
	v_cmpx_lt_u32_e64 v19, v12
	s_cbranch_execz .LBB1217_69
; %bb.68:
	v_mov_b32_e32 v13, 0
	v_cmp_eq_u16_sdwa vcc_lo, v41, v13 src0_sel:BYTE_0 src1_sel:DWORD
	s_waitcnt lgkmcnt(0)
	v_and_b32_e32 v13, 1, v32
	v_cndmask_b32_e32 v14, 0, v14, vcc_lo
	v_cndmask_b32_e32 v31, 0, v31, vcc_lo
	v_or_b32_e32 v41, v13, v41
	v_add_co_u32 v15, vcc_lo, v14, v15
	v_add_co_ci_u32_e64 v16, null, v31, v16, vcc_lo
	v_and_b32_e32 v13, 0xff, v41
.LBB1217_69:
	s_or_b32 exec_lo, exec_lo, s5
	v_cmp_gt_u32_e32 vcc_lo, 30, v19
	s_waitcnt lgkmcnt(0)
	v_add_nc_u32_e32 v32, 2, v19
	s_mov_b32 s20, exec_lo
	v_cndmask_b32_e64 v14, 0, 2, vcc_lo
	v_add_lshl_u32 v31, v14, v19, 2
	ds_bpermute_b32 v14, v31, v15
	ds_bpermute_b32 v33, v31, v16
	ds_bpermute_b32 v34, v31, v13
	v_cmpx_le_u32_e64 v32, v12
	s_cbranch_execz .LBB1217_71
; %bb.70:
	v_mov_b32_e32 v13, 0
	v_and_b32_e32 v35, 1, v41
	s_waitcnt lgkmcnt(0)
	v_and_b32_e32 v34, 1, v34
	v_cmp_eq_u16_sdwa vcc_lo, v41, v13 src0_sel:BYTE_0 src1_sel:DWORD
	v_cmp_eq_u32_e64 s5, 1, v35
	v_cmp_eq_u32_e64 s6, 1, v34
	v_cndmask_b32_e32 v14, 0, v14, vcc_lo
	v_cndmask_b32_e32 v13, 0, v33, vcc_lo
	s_or_b32 s5, s5, s6
	v_cndmask_b32_e64 v41, 0, 1, s5
	v_add_co_u32 v15, vcc_lo, v14, v15
	v_add_co_ci_u32_e64 v16, null, v13, v16, vcc_lo
	v_cndmask_b32_e64 v13, 0, 1, s5
.LBB1217_71:
	s_or_b32 exec_lo, exec_lo, s20
	v_cmp_gt_u32_e32 vcc_lo, 28, v19
	s_waitcnt lgkmcnt(0)
	v_add_nc_u32_e32 v34, 4, v19
	s_mov_b32 s20, exec_lo
	v_cndmask_b32_e64 v14, 0, 4, vcc_lo
	v_add_lshl_u32 v33, v14, v19, 2
	ds_bpermute_b32 v14, v33, v15
	ds_bpermute_b32 v35, v33, v16
	ds_bpermute_b32 v36, v33, v13
	v_cmpx_le_u32_e64 v34, v12
	s_cbranch_execz .LBB1217_73
; %bb.72:
	v_mov_b32_e32 v13, 0
	v_and_b32_e32 v37, 1, v41
	s_waitcnt lgkmcnt(0)
	v_and_b32_e32 v36, 1, v36
	v_cmp_eq_u16_sdwa vcc_lo, v41, v13 src0_sel:BYTE_0 src1_sel:DWORD
	v_cmp_eq_u32_e64 s5, 1, v37
	v_cmp_eq_u32_e64 s6, 1, v36
	v_cndmask_b32_e32 v14, 0, v14, vcc_lo
	v_cndmask_b32_e32 v13, 0, v35, vcc_lo
	s_or_b32 s5, s5, s6
	v_cndmask_b32_e64 v41, 0, 1, s5
	v_add_co_u32 v15, vcc_lo, v14, v15
	v_add_co_ci_u32_e64 v16, null, v13, v16, vcc_lo
	v_cndmask_b32_e64 v13, 0, 1, s5
.LBB1217_73:
	;; [unrolled: 28-line block ×3, first 2 shown]
	s_or_b32 exec_lo, exec_lo, s20
	s_waitcnt lgkmcnt(0)
	v_lshl_or_b32 v38, v19, 2, 64
	v_add_nc_u32_e32 v39, 16, v19
	s_mov_b32 s20, exec_lo
	ds_bpermute_b32 v14, v38, v15
	ds_bpermute_b32 v37, v38, v16
	;; [unrolled: 1-line block ×3, first 2 shown]
	v_cmpx_le_u32_e64 v39, v12
	s_cbranch_execz .LBB1217_77
; %bb.76:
	v_mov_b32_e32 v12, 0
	s_waitcnt lgkmcnt(0)
	v_and_b32_e32 v13, 1, v13
	v_cmp_eq_u16_sdwa vcc_lo, v41, v12 src0_sel:BYTE_0 src1_sel:DWORD
	v_and_b32_e32 v12, 1, v41
	v_cmp_eq_u32_e64 s5, 1, v13
	v_cndmask_b32_e32 v37, 0, v37, vcc_lo
	v_cndmask_b32_e32 v14, 0, v14, vcc_lo
	v_cmp_eq_u32_e32 vcc_lo, 1, v12
	v_add_co_u32 v15, s6, v14, v15
	s_or_b32 s5, vcc_lo, s5
	v_add_co_ci_u32_e64 v16, null, v37, v16, s6
	v_cndmask_b32_e64 v41, 0, 1, s5
.LBB1217_77:
	s_or_b32 exec_lo, exec_lo, s20
	v_mov_b32_e32 v12, 0
	v_mov_b32_e32 v40, 2
	s_branch .LBB1217_80
.LBB1217_78:                            ;   in Loop: Header=BB1217_80 Depth=1
	s_or_b32 exec_lo, exec_lo, s21
	v_cmp_eq_u16_sdwa vcc_lo, v37, v12 src0_sel:BYTE_0 src1_sel:DWORD
	v_and_b32_e32 v41, 1, v37
	v_subrev_nc_u32_e32 v11, 32, v11
	v_cndmask_b32_e32 v15, 0, v15, vcc_lo
	v_cndmask_b32_e32 v16, 0, v16, vcc_lo
	v_cmp_eq_u32_e32 vcc_lo, 1, v41
	v_add_co_u32 v15, s5, v15, v13
	v_add_co_ci_u32_e64 v16, null, v16, v14, s5
	s_or_b32 s5, vcc_lo, s20
	v_cndmask_b32_e64 v41, 0, 1, s5
	s_mov_b32 s5, 0
.LBB1217_79:                            ;   in Loop: Header=BB1217_80 Depth=1
	s_and_b32 vcc_lo, exec_lo, s5
	s_cbranch_vccnz .LBB1217_96
.LBB1217_80:                            ; =>This Loop Header: Depth=1
                                        ;     Child Loop BB1217_83 Depth 2
	v_cmp_ne_u16_sdwa s5, v28, v40 src0_sel:BYTE_0 src1_sel:DWORD
	s_waitcnt lgkmcnt(0)
	v_mov_b32_e32 v13, v15
	v_mov_b32_e32 v37, v41
	;; [unrolled: 1-line block ×3, first 2 shown]
                                        ; implicit-def: $vgpr41
                                        ; implicit-def: $vgpr15_vgpr16
                                        ; implicit-def: $vgpr28
	s_cmp_lg_u32 s5, exec_lo
	s_mov_b32 s5, -1
	s_cbranch_scc1 .LBB1217_79
; %bb.81:                               ;   in Loop: Header=BB1217_80 Depth=1
	global_load_ubyte v28, v11, s[12:13] glc dlc
	s_mov_b32 s5, exec_lo
	s_waitcnt vmcnt(0)
	v_cmpx_eq_u16_e32 0, v28
	s_cbranch_execz .LBB1217_85
; %bb.82:                               ;   in Loop: Header=BB1217_80 Depth=1
	v_add_co_u32 v15, s6, s12, v11
	v_add_co_ci_u32_e64 v16, null, s13, 0, s6
	s_mov_b32 s6, 0
.LBB1217_83:                            ;   Parent Loop BB1217_80 Depth=1
                                        ; =>  This Inner Loop Header: Depth=2
	global_load_ubyte v28, v[15:16], off glc dlc
	s_waitcnt vmcnt(0)
	v_cmp_ne_u16_e32 vcc_lo, 0, v28
	s_or_b32 s6, vcc_lo, s6
	s_andn2_b32 exec_lo, exec_lo, s6
	s_cbranch_execnz .LBB1217_83
; %bb.84:                               ;   in Loop: Header=BB1217_80 Depth=1
	s_or_b32 exec_lo, exec_lo, s6
.LBB1217_85:                            ;   in Loop: Header=BB1217_80 Depth=1
	s_or_b32 exec_lo, exec_lo, s5
	v_cmp_eq_u16_e32 vcc_lo, 1, v28
	v_mov_b32_e32 v42, s8
	v_mov_b32_e32 v41, s9
	v_lshlrev_b64 v[15:16], 4, v[11:12]
	buffer_gl1_inv
	buffer_gl0_inv
	s_mov_b32 s5, exec_lo
	v_cndmask_b32_e32 v42, s10, v42, vcc_lo
	v_cndmask_b32_e32 v41, s11, v41, vcc_lo
	v_add_co_u32 v15, vcc_lo, v42, v15
	v_add_co_ci_u32_e64 v16, null, v41, v16, vcc_lo
	v_cmp_eq_u16_e32 vcc_lo, 2, v28
	s_clause 0x1
	global_load_ubyte v42, v[15:16], off offset:8
	global_load_dwordx2 v[15:16], v[15:16], off
	v_and_or_b32 v41, vcc_lo, v30, 0x80000000
	v_ffbl_b32_e32 v41, v41
	s_waitcnt vmcnt(1)
	v_and_b32_e32 v43, 1, v42
	s_waitcnt vmcnt(0)
	ds_bpermute_b32 v44, v29, v15
	ds_bpermute_b32 v45, v29, v16
	;; [unrolled: 1-line block ×3, first 2 shown]
	v_cmpx_lt_u32_e64 v19, v41
	s_cbranch_execz .LBB1217_87
; %bb.86:                               ;   in Loop: Header=BB1217_80 Depth=1
	v_cmp_eq_u16_sdwa vcc_lo, v42, v12 src0_sel:BYTE_0 src1_sel:DWORD
	s_waitcnt lgkmcnt(0)
	v_and_b32_e32 v43, 1, v46
	v_cndmask_b32_e32 v44, 0, v44, vcc_lo
	v_cndmask_b32_e32 v45, 0, v45, vcc_lo
	v_or_b32_e32 v42, v43, v42
	v_add_co_u32 v15, vcc_lo, v44, v15
	v_add_co_ci_u32_e64 v16, null, v45, v16, vcc_lo
	v_and_b32_e32 v43, 0xff, v42
.LBB1217_87:                            ;   in Loop: Header=BB1217_80 Depth=1
	s_or_b32 exec_lo, exec_lo, s5
	s_waitcnt lgkmcnt(2)
	ds_bpermute_b32 v44, v31, v15
	s_waitcnt lgkmcnt(2)
	ds_bpermute_b32 v45, v31, v16
	;; [unrolled: 2-line block ×3, first 2 shown]
	v_and_b32_e32 v47, 1, v42
	s_mov_b32 s6, exec_lo
	v_cmp_eq_u32_e64 s20, 1, v47
	v_cmpx_le_u32_e64 v32, v41
	s_cbranch_execz .LBB1217_89
; %bb.88:                               ;   in Loop: Header=BB1217_80 Depth=1
	v_cmp_eq_u16_sdwa vcc_lo, v42, v12 src0_sel:BYTE_0 src1_sel:DWORD
	s_waitcnt lgkmcnt(0)
	v_and_b32_e32 v42, 1, v46
	v_cndmask_b32_e32 v44, 0, v44, vcc_lo
	v_cndmask_b32_e32 v43, 0, v45, vcc_lo
	v_cmp_eq_u32_e32 vcc_lo, 1, v42
	v_add_co_u32 v15, s5, v44, v15
	v_add_co_ci_u32_e64 v16, null, v43, v16, s5
	s_or_b32 s5, s20, vcc_lo
	s_andn2_b32 s20, s20, exec_lo
	v_cndmask_b32_e64 v42, 0, 1, s5
	v_cndmask_b32_e64 v43, 0, 1, s5
	s_and_b32 s5, s5, exec_lo
	s_or_b32 s20, s20, s5
.LBB1217_89:                            ;   in Loop: Header=BB1217_80 Depth=1
	s_or_b32 exec_lo, exec_lo, s6
	s_waitcnt lgkmcnt(2)
	ds_bpermute_b32 v44, v33, v15
	s_waitcnt lgkmcnt(2)
	ds_bpermute_b32 v45, v33, v16
	;; [unrolled: 2-line block ×3, first 2 shown]
	s_mov_b32 s21, exec_lo
	v_cmpx_le_u32_e64 v34, v41
	s_cbranch_execz .LBB1217_91
; %bb.90:                               ;   in Loop: Header=BB1217_80 Depth=1
	v_cmp_eq_u16_sdwa vcc_lo, v42, v12 src0_sel:BYTE_0 src1_sel:DWORD
	v_and_b32_e32 v42, 1, v42
	s_waitcnt lgkmcnt(0)
	v_and_b32_e32 v43, 1, v46
	v_cndmask_b32_e32 v45, 0, v45, vcc_lo
	v_cndmask_b32_e32 v44, 0, v44, vcc_lo
	v_cmp_eq_u32_e32 vcc_lo, 1, v42
	v_cmp_eq_u32_e64 s5, 1, v43
	v_add_co_u32 v15, s6, v44, v15
	s_or_b32 s5, vcc_lo, s5
	v_add_co_ci_u32_e64 v16, null, v45, v16, s6
	v_cndmask_b32_e64 v42, 0, 1, s5
	v_cndmask_b32_e64 v43, 0, 1, s5
	s_andn2_b32 s6, s20, exec_lo
	s_and_b32 s5, s5, exec_lo
	s_or_b32 s20, s6, s5
.LBB1217_91:                            ;   in Loop: Header=BB1217_80 Depth=1
	s_or_b32 exec_lo, exec_lo, s21
	s_waitcnt lgkmcnt(2)
	ds_bpermute_b32 v44, v35, v15
	s_waitcnt lgkmcnt(2)
	ds_bpermute_b32 v45, v35, v16
	s_waitcnt lgkmcnt(2)
	ds_bpermute_b32 v46, v35, v43
	s_mov_b32 s21, exec_lo
	v_cmpx_le_u32_e64 v36, v41
	s_cbranch_execz .LBB1217_93
; %bb.92:                               ;   in Loop: Header=BB1217_80 Depth=1
	v_cmp_eq_u16_sdwa vcc_lo, v42, v12 src0_sel:BYTE_0 src1_sel:DWORD
	v_and_b32_e32 v42, 1, v42
	s_waitcnt lgkmcnt(0)
	v_and_b32_e32 v43, 1, v46
	v_cndmask_b32_e32 v45, 0, v45, vcc_lo
	v_cndmask_b32_e32 v44, 0, v44, vcc_lo
	v_cmp_eq_u32_e32 vcc_lo, 1, v42
	v_cmp_eq_u32_e64 s5, 1, v43
	v_add_co_u32 v15, s6, v44, v15
	s_or_b32 s5, vcc_lo, s5
	v_add_co_ci_u32_e64 v16, null, v45, v16, s6
	v_cndmask_b32_e64 v42, 0, 1, s5
	v_cndmask_b32_e64 v43, 0, 1, s5
	s_andn2_b32 s6, s20, exec_lo
	s_and_b32 s5, s5, exec_lo
	s_or_b32 s20, s6, s5
.LBB1217_93:                            ;   in Loop: Header=BB1217_80 Depth=1
	s_or_b32 exec_lo, exec_lo, s21
	s_waitcnt lgkmcnt(2)
	ds_bpermute_b32 v44, v38, v15
	s_waitcnt lgkmcnt(2)
	ds_bpermute_b32 v45, v38, v16
	ds_bpermute_b32 v43, v38, v43
	s_mov_b32 s21, exec_lo
	v_cmpx_le_u32_e64 v39, v41
	s_cbranch_execz .LBB1217_78
; %bb.94:                               ;   in Loop: Header=BB1217_80 Depth=1
	v_cmp_eq_u16_sdwa vcc_lo, v42, v12 src0_sel:BYTE_0 src1_sel:DWORD
	v_and_b32_e32 v41, 1, v42
	s_waitcnt lgkmcnt(0)
	v_and_b32_e32 v42, 1, v43
	v_cndmask_b32_e32 v44, 0, v44, vcc_lo
	v_cndmask_b32_e32 v43, 0, v45, vcc_lo
	v_cmp_eq_u32_e32 vcc_lo, 1, v41
	v_cmp_eq_u32_e64 s5, 1, v42
	v_add_co_u32 v15, s6, v44, v15
	v_add_co_ci_u32_e64 v16, null, v43, v16, s6
	s_or_b32 s5, vcc_lo, s5
	s_andn2_b32 s6, s20, exec_lo
	s_and_b32 s5, s5, exec_lo
	s_or_b32 s20, s6, s5
	s_branch .LBB1217_78
.LBB1217_95:
                                        ; implicit-def: $vgpr9_vgpr10
                                        ; implicit-def: $vgpr5_vgpr6
                                        ; implicit-def: $vgpr11_vgpr12
	s_cbranch_execnz .LBB1217_101
	s_branch .LBB1217_130
.LBB1217_96:
	s_and_saveexec_b32 s5, s4
	s_cbranch_execz .LBB1217_98
; %bb.97:
	v_mov_b32_e32 v11, 0
	v_or_b32_e32 v12, v27, v37
	s_mov_b32 s9, 0
	s_add_i32 s8, s33, 32
	v_mov_b32_e32 v15, 2
	v_cmp_eq_u32_sdwa vcc_lo, v27, v11 src0_sel:BYTE_0 src1_sel:DWORD
	s_lshl_b64 s[20:21], s[8:9], 4
	v_mov_b32_e32 v28, s8
	v_and_b32_e32 v12, 1, v12
	s_add_u32 s8, s10, s20
	v_cndmask_b32_e32 v27, 0, v13, vcc_lo
	v_cndmask_b32_e32 v16, 0, v14, vcc_lo
	s_addc_u32 s9, s11, s21
	v_add_co_u32 v9, vcc_lo, v27, v9
	v_add_co_ci_u32_e64 v10, null, v16, v10, vcc_lo
	global_store_byte v11, v12, s[8:9] offset:8
	global_store_dwordx2 v11, v[9:10], s[8:9]
	s_waitcnt lgkmcnt(0)
	s_waitcnt_vscnt null, 0x0
	buffer_gl1_inv
	buffer_gl0_inv
	global_store_byte v28, v15, s[12:13]
.LBB1217_98:
	s_or_b32 exec_lo, exec_lo, s5
	s_and_b32 exec_lo, exec_lo, s0
	s_cbranch_execz .LBB1217_100
; %bb.99:
	v_mov_b32_e32 v9, 0
	ds_write_b64 v9, v[13:14] offset:112
	ds_write_b8 v9, v37 offset:120
.LBB1217_100:
	s_or_b32 exec_lo, exec_lo, s7
	s_waitcnt lgkmcnt(0)
	v_cndmask_b32_e64 v9, v26, v23, s4
	v_and_b32_e32 v12, 1, v18
	v_mov_b32_e32 v11, 0
	s_waitcnt_vscnt null, 0x0
	s_barrier
	v_and_b32_e32 v13, 1, v9
	v_cmp_eq_u32_e32 vcc_lo, 1, v12
	buffer_gl0_inv
	ds_read_b64 v[9:10], v11 offset:112
	v_cndmask_b32_e64 v5, v24, v5, s4
	v_cmp_eq_u32_e64 s5, 1, v13
	v_cndmask_b32_e64 v6, v25, v6, s4
	s_or_b32 s5, vcc_lo, s5
	v_cmp_eq_u16_sdwa vcc_lo, v18, v11 src0_sel:BYTE_0 src1_sel:DWORD
	v_cndmask_b32_e64 v12, 0, 1, s5
	v_cndmask_b32_e32 v5, 0, v5, vcc_lo
	v_cndmask_b32_e64 v12, v12, v18, s0
	v_cndmask_b32_e32 v6, 0, v6, vcc_lo
	v_cndmask_b32_e64 v5, v5, 0, s0
	v_cmp_eq_u16_sdwa vcc_lo, v12, v11 src0_sel:BYTE_0 src1_sel:DWORD
	v_cndmask_b32_e64 v6, v6, 0, s0
	s_waitcnt lgkmcnt(0)
	v_cndmask_b32_e32 v10, 0, v10, vcc_lo
	v_cndmask_b32_e32 v9, 0, v9, vcc_lo
	v_add_co_u32 v5, vcc_lo, v5, v1
	v_add_co_ci_u32_e64 v6, null, v6, v2, vcc_lo
	v_add_co_u32 v11, vcc_lo, v5, v9
	v_add_co_ci_u32_e64 v12, null, v6, v10, vcc_lo
	v_cndmask_b32_e64 v5, 0, v11, s3
	v_cndmask_b32_e64 v6, 0, v12, s3
	v_add_co_u32 v5, vcc_lo, v5, v3
	v_add_co_ci_u32_e64 v6, null, v6, v4, vcc_lo
	v_cndmask_b32_e64 v9, 0, v5, s2
	v_cndmask_b32_e64 v10, 0, v6, s2
	v_add_co_u32 v9, vcc_lo, v9, v7
	v_add_co_ci_u32_e64 v10, null, v10, v8, vcc_lo
	s_branch .LBB1217_130
.LBB1217_101:
	s_cmp_lg_u64 s[34:35], 0
	s_cselect_b32 s2, -1, 0
	s_cmp_lg_u64 s[26:27], 0
	s_cselect_b32 s3, -1, 0
	s_and_b32 s2, s2, s3
	s_and_b32 s3, s0, s2
	s_and_saveexec_b32 s2, s3
	s_cbranch_execz .LBB1217_103
; %bb.102:
	v_mov_b32_e32 v9, 0
	s_clause 0x1
	global_load_dwordx2 v[5:6], v9, s[26:27]
	global_load_ubyte v10, v9, s[26:27] offset:8
	v_cmp_eq_u16_sdwa vcc_lo, v18, v9 src0_sel:BYTE_0 src1_sel:DWORD
	s_waitcnt vmcnt(1)
	v_cndmask_b32_e32 v5, 0, v5, vcc_lo
	v_cndmask_b32_e32 v6, 0, v6, vcc_lo
	s_waitcnt vmcnt(0)
	v_or_b32_e32 v9, v18, v10
	v_add_co_u32 v1, vcc_lo, v5, v1
	v_add_co_ci_u32_e64 v2, null, v6, v2, vcc_lo
	v_and_b32_e32 v18, 1, v9
.LBB1217_103:
	s_or_b32 exec_lo, exec_lo, s2
	v_mov_b32_e32 v9, 0
	v_or_b32_e32 v10, v18, v20
	v_cmp_eq_u32_e64 s3, 1, v22
	v_and_b32_e32 v15, 15, v19
	s_mov_b32 s5, exec_lo
	v_cmp_eq_u16_sdwa vcc_lo, v20, v9 src0_sel:BYTE_0 src1_sel:DWORD
	v_cmp_ne_u16_sdwa s4, v10, v9 src0_sel:BYTE_0 src1_sel:DWORD
	v_cndmask_b32_e32 v5, 0, v1, vcc_lo
	v_cndmask_b32_e32 v6, 0, v2, vcc_lo
	s_or_b32 s4, s4, s3
	v_cndmask_b32_e64 v20, 0, 1, s4
	v_add_co_u32 v5, s2, v5, v3
	v_add_co_ci_u32_e64 v6, null, v6, v4, s2
	v_cmp_eq_u16_e64 s2, 0, v21
	v_mov_b32_dpp v16, v20 row_shr:1 row_mask:0xf bank_mask:0xf
	v_cndmask_b32_e64 v9, 0, v5, s2
	v_cndmask_b32_e64 v10, 0, v6, s2
	v_add_co_u32 v9, s3, v9, v7
	v_add_co_ci_u32_e64 v10, null, v10, v8, s3
	v_mov_b32_dpp v21, v9 row_shr:1 row_mask:0xf bank_mask:0xf
	v_mov_b32_e32 v13, v9
	v_mov_b32_e32 v12, v10
	v_mov_b32_dpp v22, v10 row_shr:1 row_mask:0xf bank_mask:0xf
	v_mov_b32_e32 v11, v9
	v_mov_b32_e32 v14, v10
	v_cmpx_ne_u32_e32 0, v15
	s_cbranch_execz .LBB1217_105
; %bb.104:
	v_cndmask_b32_e64 v11, v21, 0, s4
	v_cndmask_b32_e64 v12, v22, 0, s4
	v_and_or_b32 v20, v16, 1, v20
	v_add_co_u32 v11, s3, v11, v9
	v_add_co_ci_u32_e64 v12, null, v12, v10, s3
	v_mov_b32_e32 v13, v11
	v_mov_b32_e32 v14, v12
.LBB1217_105:
	s_or_b32 exec_lo, exec_lo, s5
	v_mov_b32_dpp v21, v13 row_shr:2 row_mask:0xf bank_mask:0xf
	v_mov_b32_dpp v22, v14 row_shr:2 row_mask:0xf bank_mask:0xf
	v_mov_b32_dpp v16, v20 row_shr:2 row_mask:0xf bank_mask:0xf
	s_mov_b32 s4, exec_lo
	v_cmpx_lt_u32_e32 1, v15
	s_cbranch_execz .LBB1217_107
; %bb.106:
	v_cmp_eq_u16_e64 s3, 0, v20
	v_or_b32_e32 v16, v16, v20
	v_cndmask_b32_e64 v13, 0, v21, s3
	v_cndmask_b32_e64 v14, 0, v22, s3
	v_and_b32_e32 v20, 1, v16
	v_add_co_u32 v13, s3, v13, v11
	v_add_co_ci_u32_e64 v14, null, v14, v12, s3
	v_mov_b32_e32 v11, v13
	v_mov_b32_e32 v12, v14
.LBB1217_107:
	s_or_b32 exec_lo, exec_lo, s4
	v_mov_b32_dpp v21, v13 row_shr:4 row_mask:0xf bank_mask:0xf
	v_mov_b32_dpp v22, v14 row_shr:4 row_mask:0xf bank_mask:0xf
	v_mov_b32_dpp v16, v20 row_shr:4 row_mask:0xf bank_mask:0xf
	s_mov_b32 s4, exec_lo
	v_cmpx_lt_u32_e32 3, v15
	s_cbranch_execz .LBB1217_109
; %bb.108:
	v_cmp_eq_u16_e64 s3, 0, v20
	v_or_b32_e32 v16, v16, v20
	v_cndmask_b32_e64 v13, 0, v21, s3
	v_cndmask_b32_e64 v14, 0, v22, s3
	v_and_b32_e32 v20, 1, v16
	v_add_co_u32 v13, s3, v13, v11
	v_add_co_ci_u32_e64 v14, null, v14, v12, s3
	v_mov_b32_e32 v11, v13
	v_mov_b32_e32 v12, v14
.LBB1217_109:
	;; [unrolled: 18-line block ×3, first 2 shown]
	s_or_b32 exec_lo, exec_lo, s4
	ds_swizzle_b32 v13, v13 offset:swizzle(BROADCAST,32,15)
	ds_swizzle_b32 v14, v14 offset:swizzle(BROADCAST,32,15)
	;; [unrolled: 1-line block ×3, first 2 shown]
	v_and_b32_e32 v15, 16, v19
	v_cmp_ne_u32_e64 s3, 0, v15
	v_mov_b32_e32 v15, v20
	s_and_saveexec_b32 s6, s3
	s_cbranch_execz .LBB1217_113
; %bb.112:
	v_cmp_eq_u16_e64 s3, 0, v20
	v_and_b32_e32 v15, 1, v20
	s_waitcnt lgkmcnt(0)
	v_and_b32_e32 v16, 1, v16
	v_cndmask_b32_e64 v14, 0, v14, s3
	v_cndmask_b32_e64 v13, 0, v13, s3
	v_cmp_eq_u32_e64 s3, 1, v15
	v_cmp_eq_u32_e64 s4, 1, v16
	v_add_co_u32 v11, s5, v13, v11
	s_or_b32 s3, s3, s4
	v_add_co_ci_u32_e64 v12, null, v14, v12, s5
	v_cndmask_b32_e64 v20, 0, 1, s3
	v_cndmask_b32_e64 v15, 0, 1, s3
.LBB1217_113:
	s_or_b32 exec_lo, exec_lo, s6
	s_waitcnt lgkmcnt(2)
	v_or_b32_e32 v13, 31, v0
	s_waitcnt lgkmcnt(0)
	v_lshrrev_b32_e32 v16, 5, v0
	s_mov_b32 s4, exec_lo
	v_cmpx_eq_u32_e64 v0, v13
	s_cbranch_execz .LBB1217_115
; %bb.114:
	v_lshlrev_b32_e32 v13, 4, v16
	ds_write_b64 v13, v[11:12]
	ds_write_b8 v13, v20 offset:8
.LBB1217_115:
	s_or_b32 exec_lo, exec_lo, s4
	s_mov_b32 s6, exec_lo
	s_waitcnt lgkmcnt(0)
	s_barrier
	buffer_gl0_inv
	v_cmpx_gt_u32_e32 8, v0
	s_cbranch_execz .LBB1217_123
; %bb.116:
	v_lshlrev_b32_e32 v20, 4, v0
	v_and_b32_e32 v21, 7, v19
	s_mov_b32 s4, exec_lo
	ds_read_b64 v[13:14], v20
	ds_read_b32 v25, v20 offset:8
	s_waitcnt lgkmcnt(1)
	v_mov_b32_dpp v26, v13 row_shr:1 row_mask:0xf bank_mask:0xf
	v_mov_b32_dpp v27, v14 row_shr:1 row_mask:0xf bank_mask:0xf
	s_waitcnt lgkmcnt(0)
	v_and_b32_e32 v23, 0xffffff00, v25
	v_mov_b32_dpp v28, v25 row_shr:1 row_mask:0xf bank_mask:0xf
	v_mov_b32_e32 v24, v25
	v_mov_b32_e32 v22, v25
	v_cmpx_ne_u32_e32 0, v21
	s_cbranch_execz .LBB1217_118
; %bb.117:
	v_mov_b32_e32 v22, 0
	v_cmp_eq_u16_sdwa s3, v25, v22 src0_sel:BYTE_0 src1_sel:DWORD
	v_or_b32_e32 v22, v28, v25
	v_cndmask_b32_e64 v26, 0, v26, s3
	v_cndmask_b32_e64 v25, 0, v27, s3
	v_and_b32_e32 v24, 1, v22
	v_and_b32_e32 v22, 1, v22
	v_add_co_u32 v13, s3, v26, v13
	v_add_co_ci_u32_e64 v14, null, v25, v14, s3
	v_or_b32_e32 v25, v22, v23
.LBB1217_118:
	s_or_b32 exec_lo, exec_lo, s4
	v_mov_b32_dpp v26, v13 row_shr:2 row_mask:0xf bank_mask:0xf
	v_mov_b32_dpp v27, v14 row_shr:2 row_mask:0xf bank_mask:0xf
	;; [unrolled: 1-line block ×3, first 2 shown]
	s_mov_b32 s7, exec_lo
	v_cmpx_lt_u32_e32 1, v21
	s_cbranch_execz .LBB1217_120
; %bb.119:
	v_mov_b32_e32 v24, 0
	v_and_b32_e32 v25, 1, v22
	v_and_b32_e32 v28, 1, v28
	v_cmp_eq_u16_sdwa s3, v22, v24 src0_sel:BYTE_0 src1_sel:DWORD
	v_cmp_eq_u32_e64 s4, 1, v25
	v_cmp_eq_u32_e64 s5, 1, v28
	v_cndmask_b32_e64 v22, 0, v27, s3
	v_cndmask_b32_e64 v25, 0, v26, s3
	s_or_b32 s3, s4, s5
	v_cndmask_b32_e64 v24, 0, 1, s3
	v_cndmask_b32_e64 v26, 0, 1, s3
	v_add_co_u32 v13, s3, v25, v13
	v_add_co_ci_u32_e64 v14, null, v22, v14, s3
	v_or_b32_e32 v25, v23, v26
	v_mov_b32_e32 v22, v24
.LBB1217_120:
	s_or_b32 exec_lo, exec_lo, s7
	v_mov_b32_dpp v23, v13 row_shr:4 row_mask:0xf bank_mask:0xf
	v_mov_b32_dpp v26, v14 row_shr:4 row_mask:0xf bank_mask:0xf
	;; [unrolled: 1-line block ×3, first 2 shown]
	s_mov_b32 s7, exec_lo
	v_cmpx_lt_u32_e32 3, v21
	s_cbranch_execz .LBB1217_122
; %bb.121:
	v_mov_b32_e32 v21, 0
	v_cmp_eq_u16_sdwa s3, v22, v21 src0_sel:BYTE_0 src1_sel:DWORD
	v_and_b32_e32 v21, 1, v22
	v_and_b32_e32 v22, 1, v25
	v_cndmask_b32_e64 v24, 0, v26, s3
	v_cndmask_b32_e64 v23, 0, v23, s3
	v_cmp_eq_u32_e64 s3, 1, v21
	v_cmp_eq_u32_e64 s4, 1, v22
	v_add_co_u32 v13, s5, v23, v13
	s_or_b32 s3, s3, s4
	v_add_co_ci_u32_e64 v14, null, v24, v14, s5
	v_cndmask_b32_e64 v24, 0, 1, s3
.LBB1217_122:
	s_or_b32 exec_lo, exec_lo, s7
	ds_write_b64 v20, v[13:14]
	ds_write_b8 v20, v24 offset:8
.LBB1217_123:
	s_or_b32 exec_lo, exec_lo, s6
	v_mov_b32_e32 v13, 0
	v_mov_b32_e32 v14, 0
	s_mov_b32 s4, exec_lo
	s_waitcnt lgkmcnt(0)
	s_barrier
	buffer_gl0_inv
	v_cmpx_lt_u32_e32 31, v0
	s_cbranch_execz .LBB1217_125
; %bb.124:
	v_lshl_add_u32 v13, v16, 4, -16
	v_cmp_eq_u32_e64 s3, 0, v15
	ds_read_b64 v[13:14], v13
	s_waitcnt lgkmcnt(0)
	v_cndmask_b32_e64 v16, 0, v13, s3
	v_cndmask_b32_e64 v15, 0, v14, s3
	v_add_co_u32 v11, s3, v16, v11
	v_add_co_ci_u32_e64 v12, null, v15, v12, s3
.LBB1217_125:
	s_or_b32 exec_lo, exec_lo, s4
	v_add_nc_u32_e32 v15, -1, v19
	v_cmp_gt_i32_e64 s3, 0, v15
	v_cndmask_b32_e64 v15, v15, v19, s3
	v_lshlrev_b32_e32 v15, 2, v15
	ds_bpermute_b32 v11, v15, v11
	ds_bpermute_b32 v12, v15, v12
	s_and_saveexec_b32 s3, s1
	s_cbranch_execz .LBB1217_127
; %bb.126:
	v_cmp_eq_u32_e64 s1, 0, v19
	v_mov_b32_e32 v5, 0
	;;#ASMSTART
	;;#ASMEND
	s_waitcnt lgkmcnt(1)
	v_cndmask_b32_e64 v6, v11, v13, s1
	s_waitcnt lgkmcnt(0)
	v_cndmask_b32_e64 v9, v12, v14, s1
	v_cmp_eq_u16_sdwa s1, v18, v5 src0_sel:BYTE_0 src1_sel:DWORD
	v_cndmask_b32_e64 v6, 0, v6, s1
	v_cndmask_b32_e64 v5, 0, v9, s1
	v_add_co_u32 v1, s1, v6, v1
	v_add_co_ci_u32_e64 v2, null, v5, v2, s1
	v_cndmask_b32_e32 v5, 0, v1, vcc_lo
	v_cndmask_b32_e32 v6, 0, v2, vcc_lo
	v_add_co_u32 v5, vcc_lo, v5, v3
	v_add_co_ci_u32_e64 v6, null, v6, v4, vcc_lo
	v_cndmask_b32_e64 v3, 0, v5, s2
	v_cndmask_b32_e64 v4, 0, v6, s2
	v_add_co_u32 v9, vcc_lo, v3, v7
	v_add_co_ci_u32_e64 v10, null, v4, v8, vcc_lo
.LBB1217_127:
	s_or_b32 exec_lo, exec_lo, s3
	s_and_saveexec_b32 s1, s0
	s_cbranch_execz .LBB1217_129
; %bb.128:
	v_mov_b32_e32 v7, 0
	s_waitcnt lgkmcnt(1)
	v_mov_b32_e32 v11, 2
	ds_read_b64 v[3:4], v7 offset:112
	ds_read_u8 v8, v7 offset:120
	s_waitcnt lgkmcnt(1)
	global_store_dwordx2 v7, v[3:4], s[10:11] offset:512
	s_waitcnt lgkmcnt(0)
	global_store_byte v7, v8, s[10:11] offset:520
	s_waitcnt_vscnt null, 0x0
	buffer_gl1_inv
	buffer_gl0_inv
	global_store_byte v7, v11, s[12:13] offset:32
.LBB1217_129:
	s_or_b32 exec_lo, exec_lo, s1
	s_waitcnt lgkmcnt(0)
	v_mov_b32_e32 v12, v2
	v_mov_b32_e32 v11, v1
.LBB1217_130:
	s_add_u32 s0, s22, s16
	s_addc_u32 s1, s23, s17
	s_add_u32 s0, s0, s18
	s_addc_u32 s1, s1, s19
	s_and_b32 vcc_lo, exec_lo, s28
	s_cbranch_vccz .LBB1217_142
; %bb.131:
	v_mov_b32_e32 v7, 0
	v_mov_b32_e32 v8, 0
	;; [unrolled: 1-line block ×4, first 2 shown]
	v_mul_u32_u24_e32 v13, 3, v0
	s_add_i32 s15, s15, s14
	v_mov_b32_e32 v4, v8
	v_mov_b32_e32 v2, v8
	s_mov_b32 s2, exec_lo
	v_cmpx_gt_u32_e64 s15, v13
	s_cbranch_execz .LBB1217_137
; %bb.132:
	v_mov_b32_e32 v1, 0
	v_mov_b32_e32 v3, 0
	v_add_nc_u32_e32 v7, 1, v13
	v_mov_b32_e32 v2, 0
	v_mov_b32_e32 v4, 0
	s_mov_b32 s3, exec_lo
	v_cmpx_gt_u32_e64 s15, v7
	s_cbranch_execz .LBB1217_136
; %bb.133:
	v_mov_b32_e32 v1, 0
	v_add_nc_u32_e32 v3, 2, v13
	v_mov_b32_e32 v2, 0
	s_mov_b32 s4, exec_lo
	v_cmpx_gt_u32_e64 s15, v3
; %bb.134:
	v_mov_b32_e32 v1, v9
	v_mov_b32_e32 v2, v10
; %bb.135:
	s_or_b32 exec_lo, exec_lo, s4
	v_mov_b32_e32 v3, v5
	v_mov_b32_e32 v4, v6
.LBB1217_136:
	s_or_b32 exec_lo, exec_lo, s3
	v_mov_b32_e32 v7, v11
	v_mov_b32_e32 v8, v12
.LBB1217_137:
	s_or_b32 exec_lo, exec_lo, s2
	v_lshlrev_b32_e32 v13, 3, v13
	v_lshlrev_b32_e32 v14, 4, v0
	s_waitcnt_vscnt null, 0x0
	s_barrier
	buffer_gl0_inv
	ds_write2_b64 v13, v[7:8], v[3:4] offset1:1
	v_sub_nc_u32_e32 v3, v13, v14
	ds_write_b64 v13, v[1:2] offset:16
	s_waitcnt lgkmcnt(0)
	s_barrier
	buffer_gl0_inv
	ds_read2st64_b64 v[1:4], v3 offset0:4 offset1:8
	v_add_co_u32 v7, s2, s0, v17
	v_add_co_ci_u32_e64 v8, null, s1, 0, s2
	s_mov_b32 s2, exec_lo
	v_cmpx_gt_u32_e64 s15, v0
	s_cbranch_execz .LBB1217_139
; %bb.138:
	v_sub_nc_u32_e32 v14, 0, v14
	v_add_nc_u32_e32 v13, v13, v14
	ds_read_b64 v[13:14], v13
	s_waitcnt lgkmcnt(0)
	flat_store_dwordx2 v[7:8], v[13:14]
.LBB1217_139:
	s_or_b32 exec_lo, exec_lo, s2
	v_or_b32_e32 v13, 0x100, v0
	s_mov_b32 s2, exec_lo
	v_cmpx_gt_u32_e64 s15, v13
	s_cbranch_execz .LBB1217_141
; %bb.140:
	v_add_co_u32 v7, vcc_lo, 0x800, v7
	v_add_co_ci_u32_e64 v8, null, 0, v8, vcc_lo
	s_waitcnt lgkmcnt(0)
	flat_store_dwordx2 v[7:8], v[1:2]
.LBB1217_141:
	s_or_b32 exec_lo, exec_lo, s2
	s_waitcnt lgkmcnt(0)
	v_or_b32_e32 v1, 0x200, v0
	v_cmp_gt_u32_e64 s2, s15, v1
	s_branch .LBB1217_144
.LBB1217_142:
	s_mov_b32 s2, 0
                                        ; implicit-def: $vgpr3_vgpr4
	s_cbranch_execz .LBB1217_144
; %bb.143:
	v_mul_u32_u24_e32 v1, 24, v0
	v_lshlrev_b32_e32 v2, 4, v0
	s_waitcnt_vscnt null, 0x0
	s_barrier
	buffer_gl0_inv
	ds_write2_b64 v1, v[11:12], v[5:6] offset1:1
	v_sub_nc_u32_e32 v2, v1, v2
	ds_write_b64 v1, v[9:10] offset:16
	s_waitcnt lgkmcnt(0)
	s_barrier
	buffer_gl0_inv
	ds_read2st64_b64 v[5:8], v2 offset1:4
	ds_read_b64 v[3:4], v2 offset:4096
	v_add_co_u32 v1, s3, s0, v17
	v_add_co_ci_u32_e64 v2, null, s1, 0, s3
	s_or_b32 s2, s2, exec_lo
	v_add_co_u32 v9, vcc_lo, 0x800, v1
	v_add_co_ci_u32_e64 v10, null, 0, v2, vcc_lo
	s_waitcnt lgkmcnt(1)
	flat_store_dwordx2 v[1:2], v[5:6]
	flat_store_dwordx2 v[9:10], v[7:8]
.LBB1217_144:
	s_and_saveexec_b32 s3, s2
	s_cbranch_execnz .LBB1217_146
; %bb.145:
	s_endpgm
.LBB1217_146:
	v_lshlrev_b32_e32 v0, 3, v0
	v_add_co_u32 v0, s0, s0, v0
	v_add_co_ci_u32_e64 v1, null, s1, 0, s0
	v_add_co_u32 v0, vcc_lo, 0x1000, v0
	v_add_co_ci_u32_e64 v1, null, 0, v1, vcc_lo
	s_waitcnt lgkmcnt(2)
	flat_store_dwordx2 v[0:1], v[3:4]
	s_endpgm
.LBB1217_147:
	v_add_co_u32 v2, s4, s5, v14
	v_add_co_ci_u32_e64 v3, null, s29, 0, s4
	v_mov_b32_e32 v16, v1
	v_mov_b32_e32 v17, v1
	;; [unrolled: 1-line block ×3, first 2 shown]
	flat_load_dwordx2 v[14:15], v[2:3]
	v_mov_b32_e32 v19, v1
	s_waitcnt vmcnt(0) lgkmcnt(0)
	v_mov_b32_e32 v1, v14
	v_mov_b32_e32 v2, v15
	;; [unrolled: 1-line block ×6, first 2 shown]
	s_or_b32 exec_lo, exec_lo, s24
	s_and_saveexec_b32 s4, s3
	s_cbranch_execz .LBB1217_19
.LBB1217_148:
	v_lshlrev_b32_e32 v3, 3, v11
	v_add_co_u32 v3, s3, s5, v3
	v_add_co_ci_u32_e64 v4, null, s29, 0, s3
	flat_load_dwordx2 v[3:4], v[3:4]
	s_or_b32 exec_lo, exec_lo, s4
	s_and_saveexec_b32 s3, s2
	s_cbranch_execnz .LBB1217_20
	s_branch .LBB1217_21
.LBB1217_149:
                                        ; implicit-def: $sgpr24_sgpr25
	s_branch .LBB1217_14
.LBB1217_150:
                                        ; implicit-def: $sgpr2_sgpr3
	s_branch .LBB1217_30
	.section	.rodata,"a",@progbits
	.p2align	6, 0x0
	.amdhsa_kernel _ZN7rocprim17ROCPRIM_400000_NS6detail17trampoline_kernelINS0_14default_configENS1_27scan_by_key_config_selectorIiyEEZZNS1_16scan_by_key_implILNS1_25lookback_scan_determinismE0ELb0ES3_N6thrust23THRUST_200600_302600_NS6detail15normal_iteratorINS9_10device_ptrIiEEEENSB_INSC_IyEEEESG_yNS9_4plusIvEENS9_8equal_toIvEEyEE10hipError_tPvRmT2_T3_T4_T5_mT6_T7_P12ihipStream_tbENKUlT_T0_E_clISt17integral_constantIbLb0EES10_IbLb1EEEEDaSW_SX_EUlSW_E_NS1_11comp_targetILNS1_3genE8ELNS1_11target_archE1030ELNS1_3gpuE2ELNS1_3repE0EEENS1_30default_config_static_selectorELNS0_4arch9wavefront6targetE0EEEvT1_
		.amdhsa_group_segment_fixed_size 6144
		.amdhsa_private_segment_fixed_size 0
		.amdhsa_kernarg_size 136
		.amdhsa_user_sgpr_count 6
		.amdhsa_user_sgpr_private_segment_buffer 1
		.amdhsa_user_sgpr_dispatch_ptr 0
		.amdhsa_user_sgpr_queue_ptr 0
		.amdhsa_user_sgpr_kernarg_segment_ptr 1
		.amdhsa_user_sgpr_dispatch_id 0
		.amdhsa_user_sgpr_flat_scratch_init 0
		.amdhsa_user_sgpr_private_segment_size 0
		.amdhsa_wavefront_size32 1
		.amdhsa_uses_dynamic_stack 0
		.amdhsa_system_sgpr_private_segment_wavefront_offset 0
		.amdhsa_system_sgpr_workgroup_id_x 1
		.amdhsa_system_sgpr_workgroup_id_y 0
		.amdhsa_system_sgpr_workgroup_id_z 0
		.amdhsa_system_sgpr_workgroup_info 0
		.amdhsa_system_vgpr_workitem_id 0
		.amdhsa_next_free_vgpr 48
		.amdhsa_next_free_sgpr 39
		.amdhsa_reserve_vcc 1
		.amdhsa_reserve_flat_scratch 1
		.amdhsa_float_round_mode_32 0
		.amdhsa_float_round_mode_16_64 0
		.amdhsa_float_denorm_mode_32 3
		.amdhsa_float_denorm_mode_16_64 3
		.amdhsa_dx10_clamp 1
		.amdhsa_ieee_mode 1
		.amdhsa_fp16_overflow 0
		.amdhsa_workgroup_processor_mode 1
		.amdhsa_memory_ordered 1
		.amdhsa_forward_progress 1
		.amdhsa_shared_vgpr_count 0
		.amdhsa_exception_fp_ieee_invalid_op 0
		.amdhsa_exception_fp_denorm_src 0
		.amdhsa_exception_fp_ieee_div_zero 0
		.amdhsa_exception_fp_ieee_overflow 0
		.amdhsa_exception_fp_ieee_underflow 0
		.amdhsa_exception_fp_ieee_inexact 0
		.amdhsa_exception_int_div_zero 0
	.end_amdhsa_kernel
	.section	.text._ZN7rocprim17ROCPRIM_400000_NS6detail17trampoline_kernelINS0_14default_configENS1_27scan_by_key_config_selectorIiyEEZZNS1_16scan_by_key_implILNS1_25lookback_scan_determinismE0ELb0ES3_N6thrust23THRUST_200600_302600_NS6detail15normal_iteratorINS9_10device_ptrIiEEEENSB_INSC_IyEEEESG_yNS9_4plusIvEENS9_8equal_toIvEEyEE10hipError_tPvRmT2_T3_T4_T5_mT6_T7_P12ihipStream_tbENKUlT_T0_E_clISt17integral_constantIbLb0EES10_IbLb1EEEEDaSW_SX_EUlSW_E_NS1_11comp_targetILNS1_3genE8ELNS1_11target_archE1030ELNS1_3gpuE2ELNS1_3repE0EEENS1_30default_config_static_selectorELNS0_4arch9wavefront6targetE0EEEvT1_,"axG",@progbits,_ZN7rocprim17ROCPRIM_400000_NS6detail17trampoline_kernelINS0_14default_configENS1_27scan_by_key_config_selectorIiyEEZZNS1_16scan_by_key_implILNS1_25lookback_scan_determinismE0ELb0ES3_N6thrust23THRUST_200600_302600_NS6detail15normal_iteratorINS9_10device_ptrIiEEEENSB_INSC_IyEEEESG_yNS9_4plusIvEENS9_8equal_toIvEEyEE10hipError_tPvRmT2_T3_T4_T5_mT6_T7_P12ihipStream_tbENKUlT_T0_E_clISt17integral_constantIbLb0EES10_IbLb1EEEEDaSW_SX_EUlSW_E_NS1_11comp_targetILNS1_3genE8ELNS1_11target_archE1030ELNS1_3gpuE2ELNS1_3repE0EEENS1_30default_config_static_selectorELNS0_4arch9wavefront6targetE0EEEvT1_,comdat
.Lfunc_end1217:
	.size	_ZN7rocprim17ROCPRIM_400000_NS6detail17trampoline_kernelINS0_14default_configENS1_27scan_by_key_config_selectorIiyEEZZNS1_16scan_by_key_implILNS1_25lookback_scan_determinismE0ELb0ES3_N6thrust23THRUST_200600_302600_NS6detail15normal_iteratorINS9_10device_ptrIiEEEENSB_INSC_IyEEEESG_yNS9_4plusIvEENS9_8equal_toIvEEyEE10hipError_tPvRmT2_T3_T4_T5_mT6_T7_P12ihipStream_tbENKUlT_T0_E_clISt17integral_constantIbLb0EES10_IbLb1EEEEDaSW_SX_EUlSW_E_NS1_11comp_targetILNS1_3genE8ELNS1_11target_archE1030ELNS1_3gpuE2ELNS1_3repE0EEENS1_30default_config_static_selectorELNS0_4arch9wavefront6targetE0EEEvT1_, .Lfunc_end1217-_ZN7rocprim17ROCPRIM_400000_NS6detail17trampoline_kernelINS0_14default_configENS1_27scan_by_key_config_selectorIiyEEZZNS1_16scan_by_key_implILNS1_25lookback_scan_determinismE0ELb0ES3_N6thrust23THRUST_200600_302600_NS6detail15normal_iteratorINS9_10device_ptrIiEEEENSB_INSC_IyEEEESG_yNS9_4plusIvEENS9_8equal_toIvEEyEE10hipError_tPvRmT2_T3_T4_T5_mT6_T7_P12ihipStream_tbENKUlT_T0_E_clISt17integral_constantIbLb0EES10_IbLb1EEEEDaSW_SX_EUlSW_E_NS1_11comp_targetILNS1_3genE8ELNS1_11target_archE1030ELNS1_3gpuE2ELNS1_3repE0EEENS1_30default_config_static_selectorELNS0_4arch9wavefront6targetE0EEEvT1_
                                        ; -- End function
	.set _ZN7rocprim17ROCPRIM_400000_NS6detail17trampoline_kernelINS0_14default_configENS1_27scan_by_key_config_selectorIiyEEZZNS1_16scan_by_key_implILNS1_25lookback_scan_determinismE0ELb0ES3_N6thrust23THRUST_200600_302600_NS6detail15normal_iteratorINS9_10device_ptrIiEEEENSB_INSC_IyEEEESG_yNS9_4plusIvEENS9_8equal_toIvEEyEE10hipError_tPvRmT2_T3_T4_T5_mT6_T7_P12ihipStream_tbENKUlT_T0_E_clISt17integral_constantIbLb0EES10_IbLb1EEEEDaSW_SX_EUlSW_E_NS1_11comp_targetILNS1_3genE8ELNS1_11target_archE1030ELNS1_3gpuE2ELNS1_3repE0EEENS1_30default_config_static_selectorELNS0_4arch9wavefront6targetE0EEEvT1_.num_vgpr, 48
	.set _ZN7rocprim17ROCPRIM_400000_NS6detail17trampoline_kernelINS0_14default_configENS1_27scan_by_key_config_selectorIiyEEZZNS1_16scan_by_key_implILNS1_25lookback_scan_determinismE0ELb0ES3_N6thrust23THRUST_200600_302600_NS6detail15normal_iteratorINS9_10device_ptrIiEEEENSB_INSC_IyEEEESG_yNS9_4plusIvEENS9_8equal_toIvEEyEE10hipError_tPvRmT2_T3_T4_T5_mT6_T7_P12ihipStream_tbENKUlT_T0_E_clISt17integral_constantIbLb0EES10_IbLb1EEEEDaSW_SX_EUlSW_E_NS1_11comp_targetILNS1_3genE8ELNS1_11target_archE1030ELNS1_3gpuE2ELNS1_3repE0EEENS1_30default_config_static_selectorELNS0_4arch9wavefront6targetE0EEEvT1_.num_agpr, 0
	.set _ZN7rocprim17ROCPRIM_400000_NS6detail17trampoline_kernelINS0_14default_configENS1_27scan_by_key_config_selectorIiyEEZZNS1_16scan_by_key_implILNS1_25lookback_scan_determinismE0ELb0ES3_N6thrust23THRUST_200600_302600_NS6detail15normal_iteratorINS9_10device_ptrIiEEEENSB_INSC_IyEEEESG_yNS9_4plusIvEENS9_8equal_toIvEEyEE10hipError_tPvRmT2_T3_T4_T5_mT6_T7_P12ihipStream_tbENKUlT_T0_E_clISt17integral_constantIbLb0EES10_IbLb1EEEEDaSW_SX_EUlSW_E_NS1_11comp_targetILNS1_3genE8ELNS1_11target_archE1030ELNS1_3gpuE2ELNS1_3repE0EEENS1_30default_config_static_selectorELNS0_4arch9wavefront6targetE0EEEvT1_.numbered_sgpr, 39
	.set _ZN7rocprim17ROCPRIM_400000_NS6detail17trampoline_kernelINS0_14default_configENS1_27scan_by_key_config_selectorIiyEEZZNS1_16scan_by_key_implILNS1_25lookback_scan_determinismE0ELb0ES3_N6thrust23THRUST_200600_302600_NS6detail15normal_iteratorINS9_10device_ptrIiEEEENSB_INSC_IyEEEESG_yNS9_4plusIvEENS9_8equal_toIvEEyEE10hipError_tPvRmT2_T3_T4_T5_mT6_T7_P12ihipStream_tbENKUlT_T0_E_clISt17integral_constantIbLb0EES10_IbLb1EEEEDaSW_SX_EUlSW_E_NS1_11comp_targetILNS1_3genE8ELNS1_11target_archE1030ELNS1_3gpuE2ELNS1_3repE0EEENS1_30default_config_static_selectorELNS0_4arch9wavefront6targetE0EEEvT1_.num_named_barrier, 0
	.set _ZN7rocprim17ROCPRIM_400000_NS6detail17trampoline_kernelINS0_14default_configENS1_27scan_by_key_config_selectorIiyEEZZNS1_16scan_by_key_implILNS1_25lookback_scan_determinismE0ELb0ES3_N6thrust23THRUST_200600_302600_NS6detail15normal_iteratorINS9_10device_ptrIiEEEENSB_INSC_IyEEEESG_yNS9_4plusIvEENS9_8equal_toIvEEyEE10hipError_tPvRmT2_T3_T4_T5_mT6_T7_P12ihipStream_tbENKUlT_T0_E_clISt17integral_constantIbLb0EES10_IbLb1EEEEDaSW_SX_EUlSW_E_NS1_11comp_targetILNS1_3genE8ELNS1_11target_archE1030ELNS1_3gpuE2ELNS1_3repE0EEENS1_30default_config_static_selectorELNS0_4arch9wavefront6targetE0EEEvT1_.private_seg_size, 0
	.set _ZN7rocprim17ROCPRIM_400000_NS6detail17trampoline_kernelINS0_14default_configENS1_27scan_by_key_config_selectorIiyEEZZNS1_16scan_by_key_implILNS1_25lookback_scan_determinismE0ELb0ES3_N6thrust23THRUST_200600_302600_NS6detail15normal_iteratorINS9_10device_ptrIiEEEENSB_INSC_IyEEEESG_yNS9_4plusIvEENS9_8equal_toIvEEyEE10hipError_tPvRmT2_T3_T4_T5_mT6_T7_P12ihipStream_tbENKUlT_T0_E_clISt17integral_constantIbLb0EES10_IbLb1EEEEDaSW_SX_EUlSW_E_NS1_11comp_targetILNS1_3genE8ELNS1_11target_archE1030ELNS1_3gpuE2ELNS1_3repE0EEENS1_30default_config_static_selectorELNS0_4arch9wavefront6targetE0EEEvT1_.uses_vcc, 1
	.set _ZN7rocprim17ROCPRIM_400000_NS6detail17trampoline_kernelINS0_14default_configENS1_27scan_by_key_config_selectorIiyEEZZNS1_16scan_by_key_implILNS1_25lookback_scan_determinismE0ELb0ES3_N6thrust23THRUST_200600_302600_NS6detail15normal_iteratorINS9_10device_ptrIiEEEENSB_INSC_IyEEEESG_yNS9_4plusIvEENS9_8equal_toIvEEyEE10hipError_tPvRmT2_T3_T4_T5_mT6_T7_P12ihipStream_tbENKUlT_T0_E_clISt17integral_constantIbLb0EES10_IbLb1EEEEDaSW_SX_EUlSW_E_NS1_11comp_targetILNS1_3genE8ELNS1_11target_archE1030ELNS1_3gpuE2ELNS1_3repE0EEENS1_30default_config_static_selectorELNS0_4arch9wavefront6targetE0EEEvT1_.uses_flat_scratch, 1
	.set _ZN7rocprim17ROCPRIM_400000_NS6detail17trampoline_kernelINS0_14default_configENS1_27scan_by_key_config_selectorIiyEEZZNS1_16scan_by_key_implILNS1_25lookback_scan_determinismE0ELb0ES3_N6thrust23THRUST_200600_302600_NS6detail15normal_iteratorINS9_10device_ptrIiEEEENSB_INSC_IyEEEESG_yNS9_4plusIvEENS9_8equal_toIvEEyEE10hipError_tPvRmT2_T3_T4_T5_mT6_T7_P12ihipStream_tbENKUlT_T0_E_clISt17integral_constantIbLb0EES10_IbLb1EEEEDaSW_SX_EUlSW_E_NS1_11comp_targetILNS1_3genE8ELNS1_11target_archE1030ELNS1_3gpuE2ELNS1_3repE0EEENS1_30default_config_static_selectorELNS0_4arch9wavefront6targetE0EEEvT1_.has_dyn_sized_stack, 0
	.set _ZN7rocprim17ROCPRIM_400000_NS6detail17trampoline_kernelINS0_14default_configENS1_27scan_by_key_config_selectorIiyEEZZNS1_16scan_by_key_implILNS1_25lookback_scan_determinismE0ELb0ES3_N6thrust23THRUST_200600_302600_NS6detail15normal_iteratorINS9_10device_ptrIiEEEENSB_INSC_IyEEEESG_yNS9_4plusIvEENS9_8equal_toIvEEyEE10hipError_tPvRmT2_T3_T4_T5_mT6_T7_P12ihipStream_tbENKUlT_T0_E_clISt17integral_constantIbLb0EES10_IbLb1EEEEDaSW_SX_EUlSW_E_NS1_11comp_targetILNS1_3genE8ELNS1_11target_archE1030ELNS1_3gpuE2ELNS1_3repE0EEENS1_30default_config_static_selectorELNS0_4arch9wavefront6targetE0EEEvT1_.has_recursion, 0
	.set _ZN7rocprim17ROCPRIM_400000_NS6detail17trampoline_kernelINS0_14default_configENS1_27scan_by_key_config_selectorIiyEEZZNS1_16scan_by_key_implILNS1_25lookback_scan_determinismE0ELb0ES3_N6thrust23THRUST_200600_302600_NS6detail15normal_iteratorINS9_10device_ptrIiEEEENSB_INSC_IyEEEESG_yNS9_4plusIvEENS9_8equal_toIvEEyEE10hipError_tPvRmT2_T3_T4_T5_mT6_T7_P12ihipStream_tbENKUlT_T0_E_clISt17integral_constantIbLb0EES10_IbLb1EEEEDaSW_SX_EUlSW_E_NS1_11comp_targetILNS1_3genE8ELNS1_11target_archE1030ELNS1_3gpuE2ELNS1_3repE0EEENS1_30default_config_static_selectorELNS0_4arch9wavefront6targetE0EEEvT1_.has_indirect_call, 0
	.section	.AMDGPU.csdata,"",@progbits
; Kernel info:
; codeLenInByte = 7620
; TotalNumSgprs: 41
; NumVgprs: 48
; ScratchSize: 0
; MemoryBound: 0
; FloatMode: 240
; IeeeMode: 1
; LDSByteSize: 6144 bytes/workgroup (compile time only)
; SGPRBlocks: 0
; VGPRBlocks: 5
; NumSGPRsForWavesPerEU: 41
; NumVGPRsForWavesPerEU: 48
; Occupancy: 16
; WaveLimiterHint : 1
; COMPUTE_PGM_RSRC2:SCRATCH_EN: 0
; COMPUTE_PGM_RSRC2:USER_SGPR: 6
; COMPUTE_PGM_RSRC2:TRAP_HANDLER: 0
; COMPUTE_PGM_RSRC2:TGID_X_EN: 1
; COMPUTE_PGM_RSRC2:TGID_Y_EN: 0
; COMPUTE_PGM_RSRC2:TGID_Z_EN: 0
; COMPUTE_PGM_RSRC2:TIDIG_COMP_CNT: 0
	.section	.text._ZN6thrust23THRUST_200600_302600_NS11hip_rocprim14__parallel_for6kernelILj256ENS1_20__uninitialized_fill7functorINS0_10device_ptrIjEEjEEmLj1EEEvT0_T1_SA_,"axG",@progbits,_ZN6thrust23THRUST_200600_302600_NS11hip_rocprim14__parallel_for6kernelILj256ENS1_20__uninitialized_fill7functorINS0_10device_ptrIjEEjEEmLj1EEEvT0_T1_SA_,comdat
	.protected	_ZN6thrust23THRUST_200600_302600_NS11hip_rocprim14__parallel_for6kernelILj256ENS1_20__uninitialized_fill7functorINS0_10device_ptrIjEEjEEmLj1EEEvT0_T1_SA_ ; -- Begin function _ZN6thrust23THRUST_200600_302600_NS11hip_rocprim14__parallel_for6kernelILj256ENS1_20__uninitialized_fill7functorINS0_10device_ptrIjEEjEEmLj1EEEvT0_T1_SA_
	.globl	_ZN6thrust23THRUST_200600_302600_NS11hip_rocprim14__parallel_for6kernelILj256ENS1_20__uninitialized_fill7functorINS0_10device_ptrIjEEjEEmLj1EEEvT0_T1_SA_
	.p2align	8
	.type	_ZN6thrust23THRUST_200600_302600_NS11hip_rocprim14__parallel_for6kernelILj256ENS1_20__uninitialized_fill7functorINS0_10device_ptrIjEEjEEmLj1EEEvT0_T1_SA_,@function
_ZN6thrust23THRUST_200600_302600_NS11hip_rocprim14__parallel_for6kernelILj256ENS1_20__uninitialized_fill7functorINS0_10device_ptrIjEEjEEmLj1EEEvT0_T1_SA_: ; @_ZN6thrust23THRUST_200600_302600_NS11hip_rocprim14__parallel_for6kernelILj256ENS1_20__uninitialized_fill7functorINS0_10device_ptrIjEEjEEmLj1EEEvT0_T1_SA_
; %bb.0:
	s_clause 0x2
	s_load_dwordx4 s[8:11], s[4:5], 0x10
	s_load_dwordx2 s[0:1], s[4:5], 0x0
	s_load_dword s7, s[4:5], 0x8
	s_lshl_b32 s2, s6, 8
	s_waitcnt lgkmcnt(0)
	s_add_u32 s2, s10, s2
	s_addc_u32 s3, s11, 0
	s_sub_u32 s4, s8, s2
	s_subb_u32 s5, s9, s3
	v_cmp_lt_u64_e64 s5, 0xff, s[4:5]
	s_and_b32 vcc_lo, exec_lo, s5
	s_mov_b32 s5, -1
	s_cbranch_vccz .LBB1218_3
; %bb.1:
	s_andn2_b32 vcc_lo, exec_lo, s5
	s_cbranch_vccz .LBB1218_6
.LBB1218_2:
	s_endpgm
.LBB1218_3:
	v_cmp_gt_u32_e32 vcc_lo, s4, v0
	s_and_saveexec_b32 s4, vcc_lo
	s_cbranch_execz .LBB1218_5
; %bb.4:
	v_lshlrev_b32_e32 v1, 2, v0
	s_lshl_b64 s[8:9], s[2:3], 2
	v_mov_b32_e32 v3, s7
	s_add_u32 s5, s0, s8
	s_addc_u32 s6, s1, s9
	v_add_co_u32 v1, s5, s5, v1
	v_add_co_ci_u32_e64 v2, null, s6, 0, s5
	flat_store_dword v[1:2], v3
.LBB1218_5:
	s_or_b32 exec_lo, exec_lo, s4
	s_cbranch_execnz .LBB1218_2
.LBB1218_6:
	v_lshlrev_b32_e32 v0, 2, v0
	s_lshl_b64 s[2:3], s[2:3], 2
	v_mov_b32_e32 v2, s7
	s_add_u32 s0, s0, s2
	s_addc_u32 s1, s1, s3
	v_add_co_u32 v0, s0, s0, v0
	v_add_co_ci_u32_e64 v1, null, s1, 0, s0
	flat_store_dword v[0:1], v2
	s_endpgm
	.section	.rodata,"a",@progbits
	.p2align	6, 0x0
	.amdhsa_kernel _ZN6thrust23THRUST_200600_302600_NS11hip_rocprim14__parallel_for6kernelILj256ENS1_20__uninitialized_fill7functorINS0_10device_ptrIjEEjEEmLj1EEEvT0_T1_SA_
		.amdhsa_group_segment_fixed_size 0
		.amdhsa_private_segment_fixed_size 0
		.amdhsa_kernarg_size 32
		.amdhsa_user_sgpr_count 6
		.amdhsa_user_sgpr_private_segment_buffer 1
		.amdhsa_user_sgpr_dispatch_ptr 0
		.amdhsa_user_sgpr_queue_ptr 0
		.amdhsa_user_sgpr_kernarg_segment_ptr 1
		.amdhsa_user_sgpr_dispatch_id 0
		.amdhsa_user_sgpr_flat_scratch_init 0
		.amdhsa_user_sgpr_private_segment_size 0
		.amdhsa_wavefront_size32 1
		.amdhsa_uses_dynamic_stack 0
		.amdhsa_system_sgpr_private_segment_wavefront_offset 0
		.amdhsa_system_sgpr_workgroup_id_x 1
		.amdhsa_system_sgpr_workgroup_id_y 0
		.amdhsa_system_sgpr_workgroup_id_z 0
		.amdhsa_system_sgpr_workgroup_info 0
		.amdhsa_system_vgpr_workitem_id 0
		.amdhsa_next_free_vgpr 4
		.amdhsa_next_free_sgpr 12
		.amdhsa_reserve_vcc 1
		.amdhsa_reserve_flat_scratch 0
		.amdhsa_float_round_mode_32 0
		.amdhsa_float_round_mode_16_64 0
		.amdhsa_float_denorm_mode_32 3
		.amdhsa_float_denorm_mode_16_64 3
		.amdhsa_dx10_clamp 1
		.amdhsa_ieee_mode 1
		.amdhsa_fp16_overflow 0
		.amdhsa_workgroup_processor_mode 1
		.amdhsa_memory_ordered 1
		.amdhsa_forward_progress 1
		.amdhsa_shared_vgpr_count 0
		.amdhsa_exception_fp_ieee_invalid_op 0
		.amdhsa_exception_fp_denorm_src 0
		.amdhsa_exception_fp_ieee_div_zero 0
		.amdhsa_exception_fp_ieee_overflow 0
		.amdhsa_exception_fp_ieee_underflow 0
		.amdhsa_exception_fp_ieee_inexact 0
		.amdhsa_exception_int_div_zero 0
	.end_amdhsa_kernel
	.section	.text._ZN6thrust23THRUST_200600_302600_NS11hip_rocprim14__parallel_for6kernelILj256ENS1_20__uninitialized_fill7functorINS0_10device_ptrIjEEjEEmLj1EEEvT0_T1_SA_,"axG",@progbits,_ZN6thrust23THRUST_200600_302600_NS11hip_rocprim14__parallel_for6kernelILj256ENS1_20__uninitialized_fill7functorINS0_10device_ptrIjEEjEEmLj1EEEvT0_T1_SA_,comdat
.Lfunc_end1218:
	.size	_ZN6thrust23THRUST_200600_302600_NS11hip_rocprim14__parallel_for6kernelILj256ENS1_20__uninitialized_fill7functorINS0_10device_ptrIjEEjEEmLj1EEEvT0_T1_SA_, .Lfunc_end1218-_ZN6thrust23THRUST_200600_302600_NS11hip_rocprim14__parallel_for6kernelILj256ENS1_20__uninitialized_fill7functorINS0_10device_ptrIjEEjEEmLj1EEEvT0_T1_SA_
                                        ; -- End function
	.set _ZN6thrust23THRUST_200600_302600_NS11hip_rocprim14__parallel_for6kernelILj256ENS1_20__uninitialized_fill7functorINS0_10device_ptrIjEEjEEmLj1EEEvT0_T1_SA_.num_vgpr, 4
	.set _ZN6thrust23THRUST_200600_302600_NS11hip_rocprim14__parallel_for6kernelILj256ENS1_20__uninitialized_fill7functorINS0_10device_ptrIjEEjEEmLj1EEEvT0_T1_SA_.num_agpr, 0
	.set _ZN6thrust23THRUST_200600_302600_NS11hip_rocprim14__parallel_for6kernelILj256ENS1_20__uninitialized_fill7functorINS0_10device_ptrIjEEjEEmLj1EEEvT0_T1_SA_.numbered_sgpr, 12
	.set _ZN6thrust23THRUST_200600_302600_NS11hip_rocprim14__parallel_for6kernelILj256ENS1_20__uninitialized_fill7functorINS0_10device_ptrIjEEjEEmLj1EEEvT0_T1_SA_.num_named_barrier, 0
	.set _ZN6thrust23THRUST_200600_302600_NS11hip_rocprim14__parallel_for6kernelILj256ENS1_20__uninitialized_fill7functorINS0_10device_ptrIjEEjEEmLj1EEEvT0_T1_SA_.private_seg_size, 0
	.set _ZN6thrust23THRUST_200600_302600_NS11hip_rocprim14__parallel_for6kernelILj256ENS1_20__uninitialized_fill7functorINS0_10device_ptrIjEEjEEmLj1EEEvT0_T1_SA_.uses_vcc, 1
	.set _ZN6thrust23THRUST_200600_302600_NS11hip_rocprim14__parallel_for6kernelILj256ENS1_20__uninitialized_fill7functorINS0_10device_ptrIjEEjEEmLj1EEEvT0_T1_SA_.uses_flat_scratch, 0
	.set _ZN6thrust23THRUST_200600_302600_NS11hip_rocprim14__parallel_for6kernelILj256ENS1_20__uninitialized_fill7functorINS0_10device_ptrIjEEjEEmLj1EEEvT0_T1_SA_.has_dyn_sized_stack, 0
	.set _ZN6thrust23THRUST_200600_302600_NS11hip_rocprim14__parallel_for6kernelILj256ENS1_20__uninitialized_fill7functorINS0_10device_ptrIjEEjEEmLj1EEEvT0_T1_SA_.has_recursion, 0
	.set _ZN6thrust23THRUST_200600_302600_NS11hip_rocprim14__parallel_for6kernelILj256ENS1_20__uninitialized_fill7functorINS0_10device_ptrIjEEjEEmLj1EEEvT0_T1_SA_.has_indirect_call, 0
	.section	.AMDGPU.csdata,"",@progbits
; Kernel info:
; codeLenInByte = 200
; TotalNumSgprs: 14
; NumVgprs: 4
; ScratchSize: 0
; MemoryBound: 0
; FloatMode: 240
; IeeeMode: 1
; LDSByteSize: 0 bytes/workgroup (compile time only)
; SGPRBlocks: 0
; VGPRBlocks: 0
; NumSGPRsForWavesPerEU: 14
; NumVGPRsForWavesPerEU: 4
; Occupancy: 16
; WaveLimiterHint : 0
; COMPUTE_PGM_RSRC2:SCRATCH_EN: 0
; COMPUTE_PGM_RSRC2:USER_SGPR: 6
; COMPUTE_PGM_RSRC2:TRAP_HANDLER: 0
; COMPUTE_PGM_RSRC2:TGID_X_EN: 1
; COMPUTE_PGM_RSRC2:TGID_Y_EN: 0
; COMPUTE_PGM_RSRC2:TGID_Z_EN: 0
; COMPUTE_PGM_RSRC2:TIDIG_COMP_CNT: 0
	.section	.text._ZN7rocprim17ROCPRIM_400000_NS6detail30init_device_scan_by_key_kernelINS1_19lookback_scan_stateINS0_5tupleIJjbEEELb0ELb1EEEN6thrust23THRUST_200600_302600_NS6detail15normal_iteratorINS8_10device_ptrIiEEEEjNS1_16block_id_wrapperIjLb0EEEEEvT_jjPNSG_10value_typeET0_PNSt15iterator_traitsISJ_E10value_typeEmT1_T2_,"axG",@progbits,_ZN7rocprim17ROCPRIM_400000_NS6detail30init_device_scan_by_key_kernelINS1_19lookback_scan_stateINS0_5tupleIJjbEEELb0ELb1EEEN6thrust23THRUST_200600_302600_NS6detail15normal_iteratorINS8_10device_ptrIiEEEEjNS1_16block_id_wrapperIjLb0EEEEEvT_jjPNSG_10value_typeET0_PNSt15iterator_traitsISJ_E10value_typeEmT1_T2_,comdat
	.protected	_ZN7rocprim17ROCPRIM_400000_NS6detail30init_device_scan_by_key_kernelINS1_19lookback_scan_stateINS0_5tupleIJjbEEELb0ELb1EEEN6thrust23THRUST_200600_302600_NS6detail15normal_iteratorINS8_10device_ptrIiEEEEjNS1_16block_id_wrapperIjLb0EEEEEvT_jjPNSG_10value_typeET0_PNSt15iterator_traitsISJ_E10value_typeEmT1_T2_ ; -- Begin function _ZN7rocprim17ROCPRIM_400000_NS6detail30init_device_scan_by_key_kernelINS1_19lookback_scan_stateINS0_5tupleIJjbEEELb0ELb1EEEN6thrust23THRUST_200600_302600_NS6detail15normal_iteratorINS8_10device_ptrIiEEEEjNS1_16block_id_wrapperIjLb0EEEEEvT_jjPNSG_10value_typeET0_PNSt15iterator_traitsISJ_E10value_typeEmT1_T2_
	.globl	_ZN7rocprim17ROCPRIM_400000_NS6detail30init_device_scan_by_key_kernelINS1_19lookback_scan_stateINS0_5tupleIJjbEEELb0ELb1EEEN6thrust23THRUST_200600_302600_NS6detail15normal_iteratorINS8_10device_ptrIiEEEEjNS1_16block_id_wrapperIjLb0EEEEEvT_jjPNSG_10value_typeET0_PNSt15iterator_traitsISJ_E10value_typeEmT1_T2_
	.p2align	8
	.type	_ZN7rocprim17ROCPRIM_400000_NS6detail30init_device_scan_by_key_kernelINS1_19lookback_scan_stateINS0_5tupleIJjbEEELb0ELb1EEEN6thrust23THRUST_200600_302600_NS6detail15normal_iteratorINS8_10device_ptrIiEEEEjNS1_16block_id_wrapperIjLb0EEEEEvT_jjPNSG_10value_typeET0_PNSt15iterator_traitsISJ_E10value_typeEmT1_T2_,@function
_ZN7rocprim17ROCPRIM_400000_NS6detail30init_device_scan_by_key_kernelINS1_19lookback_scan_stateINS0_5tupleIJjbEEELb0ELb1EEEN6thrust23THRUST_200600_302600_NS6detail15normal_iteratorINS8_10device_ptrIiEEEEjNS1_16block_id_wrapperIjLb0EEEEEvT_jjPNSG_10value_typeET0_PNSt15iterator_traitsISJ_E10value_typeEmT1_T2_: ; @_ZN7rocprim17ROCPRIM_400000_NS6detail30init_device_scan_by_key_kernelINS1_19lookback_scan_stateINS0_5tupleIJjbEEELb0ELb1EEEN6thrust23THRUST_200600_302600_NS6detail15normal_iteratorINS8_10device_ptrIiEEEEjNS1_16block_id_wrapperIjLb0EEEEEvT_jjPNSG_10value_typeET0_PNSt15iterator_traitsISJ_E10value_typeEmT1_T2_
; %bb.0:
	s_clause 0x2
	s_load_dword s0, s[4:5], 0x44
	s_load_dwordx8 s[8:15], s[4:5], 0x0
	s_load_dword s7, s[4:5], 0x38
	s_waitcnt lgkmcnt(0)
	s_and_b32 s16, s0, 0xffff
	s_cmp_eq_u64 s[12:13], 0
	v_mad_u64_u32 v[4:5], null, s6, s16, v[0:1]
	s_cbranch_scc1 .LBB1219_8
; %bb.1:
	s_cmp_lt_u32 s11, s10
	s_mov_b32 s1, 0
	s_cselect_b32 s0, s11, 0
	s_mov_b32 s2, exec_lo
	v_cmpx_eq_u32_e64 s0, v4
	s_cbranch_execz .LBB1219_7
; %bb.2:
	s_add_i32 s0, s11, 32
	v_mov_b32_e32 v6, 0
	s_lshl_b64 s[0:1], s[0:1], 4
	s_mov_b32 s3, exec_lo
	s_add_u32 s0, s8, s0
	s_addc_u32 s1, s9, s1
	v_mov_b32_e32 v0, s0
	v_mov_b32_e32 v1, s1
	;;#ASMSTART
	global_load_dwordx4 v[0:3], v[0:1] off glc dlc	
s_waitcnt vmcnt(0)
	;;#ASMEND
	v_and_b32_e32 v5, 0xff, v2
	v_cmpx_eq_u64_e32 0, v[5:6]
	s_cbranch_execz .LBB1219_6
; %bb.3:
	v_mov_b32_e32 v8, s1
	v_mov_b32_e32 v7, s0
	s_mov_b32 s0, 0
.LBB1219_4:                             ; =>This Inner Loop Header: Depth=1
	;;#ASMSTART
	global_load_dwordx4 v[0:3], v[7:8] off glc dlc	
s_waitcnt vmcnt(0)
	;;#ASMEND
	v_and_b32_e32 v5, 0xff, v2
	v_cmp_ne_u64_e32 vcc_lo, 0, v[5:6]
	s_or_b32 s0, vcc_lo, s0
	s_andn2_b32 exec_lo, exec_lo, s0
	s_cbranch_execnz .LBB1219_4
; %bb.5:
	s_or_b32 exec_lo, exec_lo, s0
.LBB1219_6:
	s_or_b32 exec_lo, exec_lo, s3
	v_mov_b32_e32 v2, 0
	global_store_dword v2, v0, s[12:13]
	global_store_byte v2, v1, s[12:13] offset:4
.LBB1219_7:
	s_or_b32 exec_lo, exec_lo, s2
.LBB1219_8:
	s_mov_b32 s0, exec_lo
	v_cmpx_gt_u32_e64 s10, v4
	s_cbranch_execz .LBB1219_10
; %bb.9:
	v_add_nc_u32_e32 v0, 32, v4
	v_mov_b32_e32 v1, 0
	v_lshlrev_b64 v[5:6], 4, v[0:1]
	v_mov_b32_e32 v0, v1
	v_mov_b32_e32 v2, v1
	;; [unrolled: 1-line block ×3, first 2 shown]
	v_add_co_u32 v5, vcc_lo, s8, v5
	v_add_co_ci_u32_e64 v6, null, s9, v6, vcc_lo
	global_store_dwordx4 v[5:6], v[0:3], off
.LBB1219_10:
	s_or_b32 exec_lo, exec_lo, s0
	v_mov_b32_e32 v5, 0
	s_mov_b32 s0, exec_lo
	v_cmpx_gt_u32_e32 32, v4
	s_cbranch_execz .LBB1219_12
; %bb.11:
	v_lshlrev_b64 v[6:7], 4, v[4:5]
	v_mov_b32_e32 v2, 0xff
	v_mov_b32_e32 v0, v5
	;; [unrolled: 1-line block ×4, first 2 shown]
	v_add_co_u32 v6, vcc_lo, s8, v6
	v_add_co_ci_u32_e64 v7, null, s9, v7, vcc_lo
	global_store_dwordx4 v[6:7], v[0:3], off
.LBB1219_12:
	s_or_b32 exec_lo, exec_lo, s0
	s_load_dwordx2 s[2:3], s[4:5], 0x28
	s_mov_b32 s0, exec_lo
	s_waitcnt lgkmcnt(0)
	v_cmpx_gt_u64_e64 s[2:3], v[4:5]
	s_cbranch_execz .LBB1219_15
; %bb.13:
	s_clause 0x1
	s_load_dword s6, s[4:5], 0x30
	s_load_dwordx2 s[8:9], s[4:5], 0x20
	s_mov_b32 s1, 0
	v_lshlrev_b64 v[2:3], 2, v[4:5]
	s_mul_i32 s4, s7, s16
	s_waitcnt lgkmcnt(0)
	v_mad_u64_u32 v[0:1], null, s6, v4, 0
	s_add_i32 s0, s6, -1
	s_mul_hi_u32 s7, s6, s4
	s_lshl_b64 s[10:11], s[0:1], 2
	s_mul_i32 s6, s6, s4
	s_add_u32 s0, s14, s10
	s_addc_u32 s5, s15, s11
	v_lshlrev_b64 v[0:1], 2, v[0:1]
	s_lshl_b64 s[6:7], s[6:7], 2
	v_add_co_u32 v0, vcc_lo, s0, v0
	v_add_co_ci_u32_e64 v1, null, s5, v1, vcc_lo
	v_add_co_u32 v2, vcc_lo, s8, v2
	v_add_co_ci_u32_e64 v3, null, s9, v3, vcc_lo
	s_mov_b32 s5, s1
	s_lshl_b64 s[8:9], s[4:5], 2
	.p2align	6
.LBB1219_14:                            ; =>This Inner Loop Header: Depth=1
	global_load_dword v6, v[0:1], off
	v_add_co_u32 v4, vcc_lo, v4, s4
	v_add_co_ci_u32_e64 v5, null, 0, v5, vcc_lo
	v_add_co_u32 v0, vcc_lo, v0, s6
	v_add_co_ci_u32_e64 v1, null, s7, v1, vcc_lo
	v_cmp_le_u64_e32 vcc_lo, s[2:3], v[4:5]
	s_or_b32 s1, vcc_lo, s1
	s_waitcnt vmcnt(0)
	global_store_dword v[2:3], v6, off
	v_add_co_u32 v2, s0, v2, s8
	v_add_co_ci_u32_e64 v3, null, s9, v3, s0
	s_andn2_b32 exec_lo, exec_lo, s1
	s_cbranch_execnz .LBB1219_14
.LBB1219_15:
	s_endpgm
	.section	.rodata,"a",@progbits
	.p2align	6, 0x0
	.amdhsa_kernel _ZN7rocprim17ROCPRIM_400000_NS6detail30init_device_scan_by_key_kernelINS1_19lookback_scan_stateINS0_5tupleIJjbEEELb0ELb1EEEN6thrust23THRUST_200600_302600_NS6detail15normal_iteratorINS8_10device_ptrIiEEEEjNS1_16block_id_wrapperIjLb0EEEEEvT_jjPNSG_10value_typeET0_PNSt15iterator_traitsISJ_E10value_typeEmT1_T2_
		.amdhsa_group_segment_fixed_size 0
		.amdhsa_private_segment_fixed_size 0
		.amdhsa_kernarg_size 312
		.amdhsa_user_sgpr_count 6
		.amdhsa_user_sgpr_private_segment_buffer 1
		.amdhsa_user_sgpr_dispatch_ptr 0
		.amdhsa_user_sgpr_queue_ptr 0
		.amdhsa_user_sgpr_kernarg_segment_ptr 1
		.amdhsa_user_sgpr_dispatch_id 0
		.amdhsa_user_sgpr_flat_scratch_init 0
		.amdhsa_user_sgpr_private_segment_size 0
		.amdhsa_wavefront_size32 1
		.amdhsa_uses_dynamic_stack 0
		.amdhsa_system_sgpr_private_segment_wavefront_offset 0
		.amdhsa_system_sgpr_workgroup_id_x 1
		.amdhsa_system_sgpr_workgroup_id_y 0
		.amdhsa_system_sgpr_workgroup_id_z 0
		.amdhsa_system_sgpr_workgroup_info 0
		.amdhsa_system_vgpr_workitem_id 0
		.amdhsa_next_free_vgpr 9
		.amdhsa_next_free_sgpr 17
		.amdhsa_reserve_vcc 1
		.amdhsa_reserve_flat_scratch 0
		.amdhsa_float_round_mode_32 0
		.amdhsa_float_round_mode_16_64 0
		.amdhsa_float_denorm_mode_32 3
		.amdhsa_float_denorm_mode_16_64 3
		.amdhsa_dx10_clamp 1
		.amdhsa_ieee_mode 1
		.amdhsa_fp16_overflow 0
		.amdhsa_workgroup_processor_mode 1
		.amdhsa_memory_ordered 1
		.amdhsa_forward_progress 1
		.amdhsa_shared_vgpr_count 0
		.amdhsa_exception_fp_ieee_invalid_op 0
		.amdhsa_exception_fp_denorm_src 0
		.amdhsa_exception_fp_ieee_div_zero 0
		.amdhsa_exception_fp_ieee_overflow 0
		.amdhsa_exception_fp_ieee_underflow 0
		.amdhsa_exception_fp_ieee_inexact 0
		.amdhsa_exception_int_div_zero 0
	.end_amdhsa_kernel
	.section	.text._ZN7rocprim17ROCPRIM_400000_NS6detail30init_device_scan_by_key_kernelINS1_19lookback_scan_stateINS0_5tupleIJjbEEELb0ELb1EEEN6thrust23THRUST_200600_302600_NS6detail15normal_iteratorINS8_10device_ptrIiEEEEjNS1_16block_id_wrapperIjLb0EEEEEvT_jjPNSG_10value_typeET0_PNSt15iterator_traitsISJ_E10value_typeEmT1_T2_,"axG",@progbits,_ZN7rocprim17ROCPRIM_400000_NS6detail30init_device_scan_by_key_kernelINS1_19lookback_scan_stateINS0_5tupleIJjbEEELb0ELb1EEEN6thrust23THRUST_200600_302600_NS6detail15normal_iteratorINS8_10device_ptrIiEEEEjNS1_16block_id_wrapperIjLb0EEEEEvT_jjPNSG_10value_typeET0_PNSt15iterator_traitsISJ_E10value_typeEmT1_T2_,comdat
.Lfunc_end1219:
	.size	_ZN7rocprim17ROCPRIM_400000_NS6detail30init_device_scan_by_key_kernelINS1_19lookback_scan_stateINS0_5tupleIJjbEEELb0ELb1EEEN6thrust23THRUST_200600_302600_NS6detail15normal_iteratorINS8_10device_ptrIiEEEEjNS1_16block_id_wrapperIjLb0EEEEEvT_jjPNSG_10value_typeET0_PNSt15iterator_traitsISJ_E10value_typeEmT1_T2_, .Lfunc_end1219-_ZN7rocprim17ROCPRIM_400000_NS6detail30init_device_scan_by_key_kernelINS1_19lookback_scan_stateINS0_5tupleIJjbEEELb0ELb1EEEN6thrust23THRUST_200600_302600_NS6detail15normal_iteratorINS8_10device_ptrIiEEEEjNS1_16block_id_wrapperIjLb0EEEEEvT_jjPNSG_10value_typeET0_PNSt15iterator_traitsISJ_E10value_typeEmT1_T2_
                                        ; -- End function
	.set _ZN7rocprim17ROCPRIM_400000_NS6detail30init_device_scan_by_key_kernelINS1_19lookback_scan_stateINS0_5tupleIJjbEEELb0ELb1EEEN6thrust23THRUST_200600_302600_NS6detail15normal_iteratorINS8_10device_ptrIiEEEEjNS1_16block_id_wrapperIjLb0EEEEEvT_jjPNSG_10value_typeET0_PNSt15iterator_traitsISJ_E10value_typeEmT1_T2_.num_vgpr, 9
	.set _ZN7rocprim17ROCPRIM_400000_NS6detail30init_device_scan_by_key_kernelINS1_19lookback_scan_stateINS0_5tupleIJjbEEELb0ELb1EEEN6thrust23THRUST_200600_302600_NS6detail15normal_iteratorINS8_10device_ptrIiEEEEjNS1_16block_id_wrapperIjLb0EEEEEvT_jjPNSG_10value_typeET0_PNSt15iterator_traitsISJ_E10value_typeEmT1_T2_.num_agpr, 0
	.set _ZN7rocprim17ROCPRIM_400000_NS6detail30init_device_scan_by_key_kernelINS1_19lookback_scan_stateINS0_5tupleIJjbEEELb0ELb1EEEN6thrust23THRUST_200600_302600_NS6detail15normal_iteratorINS8_10device_ptrIiEEEEjNS1_16block_id_wrapperIjLb0EEEEEvT_jjPNSG_10value_typeET0_PNSt15iterator_traitsISJ_E10value_typeEmT1_T2_.numbered_sgpr, 17
	.set _ZN7rocprim17ROCPRIM_400000_NS6detail30init_device_scan_by_key_kernelINS1_19lookback_scan_stateINS0_5tupleIJjbEEELb0ELb1EEEN6thrust23THRUST_200600_302600_NS6detail15normal_iteratorINS8_10device_ptrIiEEEEjNS1_16block_id_wrapperIjLb0EEEEEvT_jjPNSG_10value_typeET0_PNSt15iterator_traitsISJ_E10value_typeEmT1_T2_.num_named_barrier, 0
	.set _ZN7rocprim17ROCPRIM_400000_NS6detail30init_device_scan_by_key_kernelINS1_19lookback_scan_stateINS0_5tupleIJjbEEELb0ELb1EEEN6thrust23THRUST_200600_302600_NS6detail15normal_iteratorINS8_10device_ptrIiEEEEjNS1_16block_id_wrapperIjLb0EEEEEvT_jjPNSG_10value_typeET0_PNSt15iterator_traitsISJ_E10value_typeEmT1_T2_.private_seg_size, 0
	.set _ZN7rocprim17ROCPRIM_400000_NS6detail30init_device_scan_by_key_kernelINS1_19lookback_scan_stateINS0_5tupleIJjbEEELb0ELb1EEEN6thrust23THRUST_200600_302600_NS6detail15normal_iteratorINS8_10device_ptrIiEEEEjNS1_16block_id_wrapperIjLb0EEEEEvT_jjPNSG_10value_typeET0_PNSt15iterator_traitsISJ_E10value_typeEmT1_T2_.uses_vcc, 1
	.set _ZN7rocprim17ROCPRIM_400000_NS6detail30init_device_scan_by_key_kernelINS1_19lookback_scan_stateINS0_5tupleIJjbEEELb0ELb1EEEN6thrust23THRUST_200600_302600_NS6detail15normal_iteratorINS8_10device_ptrIiEEEEjNS1_16block_id_wrapperIjLb0EEEEEvT_jjPNSG_10value_typeET0_PNSt15iterator_traitsISJ_E10value_typeEmT1_T2_.uses_flat_scratch, 0
	.set _ZN7rocprim17ROCPRIM_400000_NS6detail30init_device_scan_by_key_kernelINS1_19lookback_scan_stateINS0_5tupleIJjbEEELb0ELb1EEEN6thrust23THRUST_200600_302600_NS6detail15normal_iteratorINS8_10device_ptrIiEEEEjNS1_16block_id_wrapperIjLb0EEEEEvT_jjPNSG_10value_typeET0_PNSt15iterator_traitsISJ_E10value_typeEmT1_T2_.has_dyn_sized_stack, 0
	.set _ZN7rocprim17ROCPRIM_400000_NS6detail30init_device_scan_by_key_kernelINS1_19lookback_scan_stateINS0_5tupleIJjbEEELb0ELb1EEEN6thrust23THRUST_200600_302600_NS6detail15normal_iteratorINS8_10device_ptrIiEEEEjNS1_16block_id_wrapperIjLb0EEEEEvT_jjPNSG_10value_typeET0_PNSt15iterator_traitsISJ_E10value_typeEmT1_T2_.has_recursion, 0
	.set _ZN7rocprim17ROCPRIM_400000_NS6detail30init_device_scan_by_key_kernelINS1_19lookback_scan_stateINS0_5tupleIJjbEEELb0ELb1EEEN6thrust23THRUST_200600_302600_NS6detail15normal_iteratorINS8_10device_ptrIiEEEEjNS1_16block_id_wrapperIjLb0EEEEEvT_jjPNSG_10value_typeET0_PNSt15iterator_traitsISJ_E10value_typeEmT1_T2_.has_indirect_call, 0
	.section	.AMDGPU.csdata,"",@progbits
; Kernel info:
; codeLenInByte = 664
; TotalNumSgprs: 19
; NumVgprs: 9
; ScratchSize: 0
; MemoryBound: 0
; FloatMode: 240
; IeeeMode: 1
; LDSByteSize: 0 bytes/workgroup (compile time only)
; SGPRBlocks: 0
; VGPRBlocks: 1
; NumSGPRsForWavesPerEU: 19
; NumVGPRsForWavesPerEU: 9
; Occupancy: 16
; WaveLimiterHint : 0
; COMPUTE_PGM_RSRC2:SCRATCH_EN: 0
; COMPUTE_PGM_RSRC2:USER_SGPR: 6
; COMPUTE_PGM_RSRC2:TRAP_HANDLER: 0
; COMPUTE_PGM_RSRC2:TGID_X_EN: 1
; COMPUTE_PGM_RSRC2:TGID_Y_EN: 0
; COMPUTE_PGM_RSRC2:TGID_Z_EN: 0
; COMPUTE_PGM_RSRC2:TIDIG_COMP_CNT: 0
	.section	.text._ZN7rocprim17ROCPRIM_400000_NS6detail30init_device_scan_by_key_kernelINS1_19lookback_scan_stateINS0_5tupleIJjbEEELb0ELb1EEENS1_16block_id_wrapperIjLb0EEEEEvT_jjPNS9_10value_typeET0_,"axG",@progbits,_ZN7rocprim17ROCPRIM_400000_NS6detail30init_device_scan_by_key_kernelINS1_19lookback_scan_stateINS0_5tupleIJjbEEELb0ELb1EEENS1_16block_id_wrapperIjLb0EEEEEvT_jjPNS9_10value_typeET0_,comdat
	.protected	_ZN7rocprim17ROCPRIM_400000_NS6detail30init_device_scan_by_key_kernelINS1_19lookback_scan_stateINS0_5tupleIJjbEEELb0ELb1EEENS1_16block_id_wrapperIjLb0EEEEEvT_jjPNS9_10value_typeET0_ ; -- Begin function _ZN7rocprim17ROCPRIM_400000_NS6detail30init_device_scan_by_key_kernelINS1_19lookback_scan_stateINS0_5tupleIJjbEEELb0ELb1EEENS1_16block_id_wrapperIjLb0EEEEEvT_jjPNS9_10value_typeET0_
	.globl	_ZN7rocprim17ROCPRIM_400000_NS6detail30init_device_scan_by_key_kernelINS1_19lookback_scan_stateINS0_5tupleIJjbEEELb0ELb1EEENS1_16block_id_wrapperIjLb0EEEEEvT_jjPNS9_10value_typeET0_
	.p2align	8
	.type	_ZN7rocprim17ROCPRIM_400000_NS6detail30init_device_scan_by_key_kernelINS1_19lookback_scan_stateINS0_5tupleIJjbEEELb0ELb1EEENS1_16block_id_wrapperIjLb0EEEEEvT_jjPNS9_10value_typeET0_,@function
_ZN7rocprim17ROCPRIM_400000_NS6detail30init_device_scan_by_key_kernelINS1_19lookback_scan_stateINS0_5tupleIJjbEEELb0ELb1EEENS1_16block_id_wrapperIjLb0EEEEEvT_jjPNS9_10value_typeET0_: ; @_ZN7rocprim17ROCPRIM_400000_NS6detail30init_device_scan_by_key_kernelINS1_19lookback_scan_stateINS0_5tupleIJjbEEELb0ELb1EEENS1_16block_id_wrapperIjLb0EEEEEvT_jjPNS9_10value_typeET0_
; %bb.0:
	s_clause 0x2
	s_load_dword s7, s[4:5], 0x2c
	s_load_dwordx2 s[8:9], s[4:5], 0x10
	s_load_dwordx4 s[0:3], s[4:5], 0x0
	s_waitcnt lgkmcnt(0)
	s_and_b32 s4, s7, 0xffff
	s_cmp_eq_u64 s[8:9], 0
	v_mad_u64_u32 v[0:1], null, s6, s4, v[0:1]
	s_cbranch_scc1 .LBB1220_8
; %bb.1:
	s_cmp_lt_u32 s3, s2
	s_mov_b32 s5, 0
	s_cselect_b32 s4, s3, 0
	s_mov_b32 s6, exec_lo
	v_cmpx_eq_u32_e64 s4, v0
	s_cbranch_execz .LBB1220_7
; %bb.2:
	s_add_i32 s4, s3, 32
	v_mov_b32_e32 v5, 0
	s_lshl_b64 s[4:5], s[4:5], 4
	s_mov_b32 s3, exec_lo
	s_add_u32 s4, s0, s4
	s_addc_u32 s5, s1, s5
	v_mov_b32_e32 v1, s4
	v_mov_b32_e32 v2, s5
	;;#ASMSTART
	global_load_dwordx4 v[1:4], v[1:2] off glc dlc	
s_waitcnt vmcnt(0)
	;;#ASMEND
	v_and_b32_e32 v4, 0xff, v3
	v_cmpx_eq_u64_e32 0, v[4:5]
	s_cbranch_execz .LBB1220_6
; %bb.3:
	v_mov_b32_e32 v7, s5
	v_mov_b32_e32 v6, s4
	s_mov_b32 s4, 0
.LBB1220_4:                             ; =>This Inner Loop Header: Depth=1
	;;#ASMSTART
	global_load_dwordx4 v[1:4], v[6:7] off glc dlc	
s_waitcnt vmcnt(0)
	;;#ASMEND
	v_and_b32_e32 v4, 0xff, v3
	v_cmp_ne_u64_e32 vcc_lo, 0, v[4:5]
	s_or_b32 s4, vcc_lo, s4
	s_andn2_b32 exec_lo, exec_lo, s4
	s_cbranch_execnz .LBB1220_4
; %bb.5:
	s_or_b32 exec_lo, exec_lo, s4
.LBB1220_6:
	s_or_b32 exec_lo, exec_lo, s3
	v_mov_b32_e32 v3, 0
	global_store_dword v3, v1, s[8:9]
	global_store_byte v3, v2, s[8:9] offset:4
.LBB1220_7:
	s_or_b32 exec_lo, exec_lo, s6
.LBB1220_8:
	v_cmp_gt_u32_e32 vcc_lo, s2, v0
	s_and_saveexec_b32 s2, vcc_lo
	s_cbranch_execz .LBB1220_10
; %bb.9:
	v_add_nc_u32_e32 v1, 32, v0
	v_mov_b32_e32 v2, 0
	v_lshlrev_b64 v[4:5], 4, v[1:2]
	v_mov_b32_e32 v1, v2
	v_mov_b32_e32 v3, v2
	v_add_co_u32 v6, vcc_lo, s0, v4
	v_add_co_ci_u32_e64 v7, null, s1, v5, vcc_lo
	v_mov_b32_e32 v4, v2
	global_store_dwordx4 v[6:7], v[1:4], off
.LBB1220_10:
	s_or_b32 exec_lo, exec_lo, s2
	s_mov_b32 s2, exec_lo
	v_cmpx_gt_u32_e32 32, v0
	s_cbranch_execz .LBB1220_12
; %bb.11:
	v_mov_b32_e32 v1, 0
	v_mov_b32_e32 v2, 0xff
	v_lshlrev_b64 v[3:4], 4, v[0:1]
	v_mov_b32_e32 v0, v1
	v_add_co_u32 v5, vcc_lo, s0, v3
	v_add_co_ci_u32_e64 v6, null, s1, v4, vcc_lo
	v_mov_b32_e32 v3, v1
	global_store_dwordx4 v[5:6], v[0:3], off
.LBB1220_12:
	s_endpgm
	.section	.rodata,"a",@progbits
	.p2align	6, 0x0
	.amdhsa_kernel _ZN7rocprim17ROCPRIM_400000_NS6detail30init_device_scan_by_key_kernelINS1_19lookback_scan_stateINS0_5tupleIJjbEEELb0ELb1EEENS1_16block_id_wrapperIjLb0EEEEEvT_jjPNS9_10value_typeET0_
		.amdhsa_group_segment_fixed_size 0
		.amdhsa_private_segment_fixed_size 0
		.amdhsa_kernarg_size 288
		.amdhsa_user_sgpr_count 6
		.amdhsa_user_sgpr_private_segment_buffer 1
		.amdhsa_user_sgpr_dispatch_ptr 0
		.amdhsa_user_sgpr_queue_ptr 0
		.amdhsa_user_sgpr_kernarg_segment_ptr 1
		.amdhsa_user_sgpr_dispatch_id 0
		.amdhsa_user_sgpr_flat_scratch_init 0
		.amdhsa_user_sgpr_private_segment_size 0
		.amdhsa_wavefront_size32 1
		.amdhsa_uses_dynamic_stack 0
		.amdhsa_system_sgpr_private_segment_wavefront_offset 0
		.amdhsa_system_sgpr_workgroup_id_x 1
		.amdhsa_system_sgpr_workgroup_id_y 0
		.amdhsa_system_sgpr_workgroup_id_z 0
		.amdhsa_system_sgpr_workgroup_info 0
		.amdhsa_system_vgpr_workitem_id 0
		.amdhsa_next_free_vgpr 8
		.amdhsa_next_free_sgpr 10
		.amdhsa_reserve_vcc 1
		.amdhsa_reserve_flat_scratch 0
		.amdhsa_float_round_mode_32 0
		.amdhsa_float_round_mode_16_64 0
		.amdhsa_float_denorm_mode_32 3
		.amdhsa_float_denorm_mode_16_64 3
		.amdhsa_dx10_clamp 1
		.amdhsa_ieee_mode 1
		.amdhsa_fp16_overflow 0
		.amdhsa_workgroup_processor_mode 1
		.amdhsa_memory_ordered 1
		.amdhsa_forward_progress 1
		.amdhsa_shared_vgpr_count 0
		.amdhsa_exception_fp_ieee_invalid_op 0
		.amdhsa_exception_fp_denorm_src 0
		.amdhsa_exception_fp_ieee_div_zero 0
		.amdhsa_exception_fp_ieee_overflow 0
		.amdhsa_exception_fp_ieee_underflow 0
		.amdhsa_exception_fp_ieee_inexact 0
		.amdhsa_exception_int_div_zero 0
	.end_amdhsa_kernel
	.section	.text._ZN7rocprim17ROCPRIM_400000_NS6detail30init_device_scan_by_key_kernelINS1_19lookback_scan_stateINS0_5tupleIJjbEEELb0ELb1EEENS1_16block_id_wrapperIjLb0EEEEEvT_jjPNS9_10value_typeET0_,"axG",@progbits,_ZN7rocprim17ROCPRIM_400000_NS6detail30init_device_scan_by_key_kernelINS1_19lookback_scan_stateINS0_5tupleIJjbEEELb0ELb1EEENS1_16block_id_wrapperIjLb0EEEEEvT_jjPNS9_10value_typeET0_,comdat
.Lfunc_end1220:
	.size	_ZN7rocprim17ROCPRIM_400000_NS6detail30init_device_scan_by_key_kernelINS1_19lookback_scan_stateINS0_5tupleIJjbEEELb0ELb1EEENS1_16block_id_wrapperIjLb0EEEEEvT_jjPNS9_10value_typeET0_, .Lfunc_end1220-_ZN7rocprim17ROCPRIM_400000_NS6detail30init_device_scan_by_key_kernelINS1_19lookback_scan_stateINS0_5tupleIJjbEEELb0ELb1EEENS1_16block_id_wrapperIjLb0EEEEEvT_jjPNS9_10value_typeET0_
                                        ; -- End function
	.set _ZN7rocprim17ROCPRIM_400000_NS6detail30init_device_scan_by_key_kernelINS1_19lookback_scan_stateINS0_5tupleIJjbEEELb0ELb1EEENS1_16block_id_wrapperIjLb0EEEEEvT_jjPNS9_10value_typeET0_.num_vgpr, 8
	.set _ZN7rocprim17ROCPRIM_400000_NS6detail30init_device_scan_by_key_kernelINS1_19lookback_scan_stateINS0_5tupleIJjbEEELb0ELb1EEENS1_16block_id_wrapperIjLb0EEEEEvT_jjPNS9_10value_typeET0_.num_agpr, 0
	.set _ZN7rocprim17ROCPRIM_400000_NS6detail30init_device_scan_by_key_kernelINS1_19lookback_scan_stateINS0_5tupleIJjbEEELb0ELb1EEENS1_16block_id_wrapperIjLb0EEEEEvT_jjPNS9_10value_typeET0_.numbered_sgpr, 10
	.set _ZN7rocprim17ROCPRIM_400000_NS6detail30init_device_scan_by_key_kernelINS1_19lookback_scan_stateINS0_5tupleIJjbEEELb0ELb1EEENS1_16block_id_wrapperIjLb0EEEEEvT_jjPNS9_10value_typeET0_.num_named_barrier, 0
	.set _ZN7rocprim17ROCPRIM_400000_NS6detail30init_device_scan_by_key_kernelINS1_19lookback_scan_stateINS0_5tupleIJjbEEELb0ELb1EEENS1_16block_id_wrapperIjLb0EEEEEvT_jjPNS9_10value_typeET0_.private_seg_size, 0
	.set _ZN7rocprim17ROCPRIM_400000_NS6detail30init_device_scan_by_key_kernelINS1_19lookback_scan_stateINS0_5tupleIJjbEEELb0ELb1EEENS1_16block_id_wrapperIjLb0EEEEEvT_jjPNS9_10value_typeET0_.uses_vcc, 1
	.set _ZN7rocprim17ROCPRIM_400000_NS6detail30init_device_scan_by_key_kernelINS1_19lookback_scan_stateINS0_5tupleIJjbEEELb0ELb1EEENS1_16block_id_wrapperIjLb0EEEEEvT_jjPNS9_10value_typeET0_.uses_flat_scratch, 0
	.set _ZN7rocprim17ROCPRIM_400000_NS6detail30init_device_scan_by_key_kernelINS1_19lookback_scan_stateINS0_5tupleIJjbEEELb0ELb1EEENS1_16block_id_wrapperIjLb0EEEEEvT_jjPNS9_10value_typeET0_.has_dyn_sized_stack, 0
	.set _ZN7rocprim17ROCPRIM_400000_NS6detail30init_device_scan_by_key_kernelINS1_19lookback_scan_stateINS0_5tupleIJjbEEELb0ELb1EEENS1_16block_id_wrapperIjLb0EEEEEvT_jjPNS9_10value_typeET0_.has_recursion, 0
	.set _ZN7rocprim17ROCPRIM_400000_NS6detail30init_device_scan_by_key_kernelINS1_19lookback_scan_stateINS0_5tupleIJjbEEELb0ELb1EEENS1_16block_id_wrapperIjLb0EEEEEvT_jjPNS9_10value_typeET0_.has_indirect_call, 0
	.section	.AMDGPU.csdata,"",@progbits
; Kernel info:
; codeLenInByte = 416
; TotalNumSgprs: 12
; NumVgprs: 8
; ScratchSize: 0
; MemoryBound: 0
; FloatMode: 240
; IeeeMode: 1
; LDSByteSize: 0 bytes/workgroup (compile time only)
; SGPRBlocks: 0
; VGPRBlocks: 0
; NumSGPRsForWavesPerEU: 12
; NumVGPRsForWavesPerEU: 8
; Occupancy: 16
; WaveLimiterHint : 0
; COMPUTE_PGM_RSRC2:SCRATCH_EN: 0
; COMPUTE_PGM_RSRC2:USER_SGPR: 6
; COMPUTE_PGM_RSRC2:TRAP_HANDLER: 0
; COMPUTE_PGM_RSRC2:TGID_X_EN: 1
; COMPUTE_PGM_RSRC2:TGID_Y_EN: 0
; COMPUTE_PGM_RSRC2:TGID_Z_EN: 0
; COMPUTE_PGM_RSRC2:TIDIG_COMP_CNT: 0
	.section	.text._ZN7rocprim17ROCPRIM_400000_NS6detail17trampoline_kernelINS0_14default_configENS1_27scan_by_key_config_selectorIijEEZZNS1_16scan_by_key_implILNS1_25lookback_scan_determinismE0ELb0ES3_N6thrust23THRUST_200600_302600_NS6detail15normal_iteratorINS9_10device_ptrIiEEEENSB_INSC_IjEEEESG_jNS9_4plusIvEENS9_8equal_toIvEEjEE10hipError_tPvRmT2_T3_T4_T5_mT6_T7_P12ihipStream_tbENKUlT_T0_E_clISt17integral_constantIbLb0EES11_EEDaSW_SX_EUlSW_E_NS1_11comp_targetILNS1_3genE0ELNS1_11target_archE4294967295ELNS1_3gpuE0ELNS1_3repE0EEENS1_30default_config_static_selectorELNS0_4arch9wavefront6targetE0EEEvT1_,"axG",@progbits,_ZN7rocprim17ROCPRIM_400000_NS6detail17trampoline_kernelINS0_14default_configENS1_27scan_by_key_config_selectorIijEEZZNS1_16scan_by_key_implILNS1_25lookback_scan_determinismE0ELb0ES3_N6thrust23THRUST_200600_302600_NS6detail15normal_iteratorINS9_10device_ptrIiEEEENSB_INSC_IjEEEESG_jNS9_4plusIvEENS9_8equal_toIvEEjEE10hipError_tPvRmT2_T3_T4_T5_mT6_T7_P12ihipStream_tbENKUlT_T0_E_clISt17integral_constantIbLb0EES11_EEDaSW_SX_EUlSW_E_NS1_11comp_targetILNS1_3genE0ELNS1_11target_archE4294967295ELNS1_3gpuE0ELNS1_3repE0EEENS1_30default_config_static_selectorELNS0_4arch9wavefront6targetE0EEEvT1_,comdat
	.protected	_ZN7rocprim17ROCPRIM_400000_NS6detail17trampoline_kernelINS0_14default_configENS1_27scan_by_key_config_selectorIijEEZZNS1_16scan_by_key_implILNS1_25lookback_scan_determinismE0ELb0ES3_N6thrust23THRUST_200600_302600_NS6detail15normal_iteratorINS9_10device_ptrIiEEEENSB_INSC_IjEEEESG_jNS9_4plusIvEENS9_8equal_toIvEEjEE10hipError_tPvRmT2_T3_T4_T5_mT6_T7_P12ihipStream_tbENKUlT_T0_E_clISt17integral_constantIbLb0EES11_EEDaSW_SX_EUlSW_E_NS1_11comp_targetILNS1_3genE0ELNS1_11target_archE4294967295ELNS1_3gpuE0ELNS1_3repE0EEENS1_30default_config_static_selectorELNS0_4arch9wavefront6targetE0EEEvT1_ ; -- Begin function _ZN7rocprim17ROCPRIM_400000_NS6detail17trampoline_kernelINS0_14default_configENS1_27scan_by_key_config_selectorIijEEZZNS1_16scan_by_key_implILNS1_25lookback_scan_determinismE0ELb0ES3_N6thrust23THRUST_200600_302600_NS6detail15normal_iteratorINS9_10device_ptrIiEEEENSB_INSC_IjEEEESG_jNS9_4plusIvEENS9_8equal_toIvEEjEE10hipError_tPvRmT2_T3_T4_T5_mT6_T7_P12ihipStream_tbENKUlT_T0_E_clISt17integral_constantIbLb0EES11_EEDaSW_SX_EUlSW_E_NS1_11comp_targetILNS1_3genE0ELNS1_11target_archE4294967295ELNS1_3gpuE0ELNS1_3repE0EEENS1_30default_config_static_selectorELNS0_4arch9wavefront6targetE0EEEvT1_
	.globl	_ZN7rocprim17ROCPRIM_400000_NS6detail17trampoline_kernelINS0_14default_configENS1_27scan_by_key_config_selectorIijEEZZNS1_16scan_by_key_implILNS1_25lookback_scan_determinismE0ELb0ES3_N6thrust23THRUST_200600_302600_NS6detail15normal_iteratorINS9_10device_ptrIiEEEENSB_INSC_IjEEEESG_jNS9_4plusIvEENS9_8equal_toIvEEjEE10hipError_tPvRmT2_T3_T4_T5_mT6_T7_P12ihipStream_tbENKUlT_T0_E_clISt17integral_constantIbLb0EES11_EEDaSW_SX_EUlSW_E_NS1_11comp_targetILNS1_3genE0ELNS1_11target_archE4294967295ELNS1_3gpuE0ELNS1_3repE0EEENS1_30default_config_static_selectorELNS0_4arch9wavefront6targetE0EEEvT1_
	.p2align	8
	.type	_ZN7rocprim17ROCPRIM_400000_NS6detail17trampoline_kernelINS0_14default_configENS1_27scan_by_key_config_selectorIijEEZZNS1_16scan_by_key_implILNS1_25lookback_scan_determinismE0ELb0ES3_N6thrust23THRUST_200600_302600_NS6detail15normal_iteratorINS9_10device_ptrIiEEEENSB_INSC_IjEEEESG_jNS9_4plusIvEENS9_8equal_toIvEEjEE10hipError_tPvRmT2_T3_T4_T5_mT6_T7_P12ihipStream_tbENKUlT_T0_E_clISt17integral_constantIbLb0EES11_EEDaSW_SX_EUlSW_E_NS1_11comp_targetILNS1_3genE0ELNS1_11target_archE4294967295ELNS1_3gpuE0ELNS1_3repE0EEENS1_30default_config_static_selectorELNS0_4arch9wavefront6targetE0EEEvT1_,@function
_ZN7rocprim17ROCPRIM_400000_NS6detail17trampoline_kernelINS0_14default_configENS1_27scan_by_key_config_selectorIijEEZZNS1_16scan_by_key_implILNS1_25lookback_scan_determinismE0ELb0ES3_N6thrust23THRUST_200600_302600_NS6detail15normal_iteratorINS9_10device_ptrIiEEEENSB_INSC_IjEEEESG_jNS9_4plusIvEENS9_8equal_toIvEEjEE10hipError_tPvRmT2_T3_T4_T5_mT6_T7_P12ihipStream_tbENKUlT_T0_E_clISt17integral_constantIbLb0EES11_EEDaSW_SX_EUlSW_E_NS1_11comp_targetILNS1_3genE0ELNS1_11target_archE4294967295ELNS1_3gpuE0ELNS1_3repE0EEENS1_30default_config_static_selectorELNS0_4arch9wavefront6targetE0EEEvT1_: ; @_ZN7rocprim17ROCPRIM_400000_NS6detail17trampoline_kernelINS0_14default_configENS1_27scan_by_key_config_selectorIijEEZZNS1_16scan_by_key_implILNS1_25lookback_scan_determinismE0ELb0ES3_N6thrust23THRUST_200600_302600_NS6detail15normal_iteratorINS9_10device_ptrIiEEEENSB_INSC_IjEEEESG_jNS9_4plusIvEENS9_8equal_toIvEEjEE10hipError_tPvRmT2_T3_T4_T5_mT6_T7_P12ihipStream_tbENKUlT_T0_E_clISt17integral_constantIbLb0EES11_EEDaSW_SX_EUlSW_E_NS1_11comp_targetILNS1_3genE0ELNS1_11target_archE4294967295ELNS1_3gpuE0ELNS1_3repE0EEENS1_30default_config_static_selectorELNS0_4arch9wavefront6targetE0EEEvT1_
; %bb.0:
	.section	.rodata,"a",@progbits
	.p2align	6, 0x0
	.amdhsa_kernel _ZN7rocprim17ROCPRIM_400000_NS6detail17trampoline_kernelINS0_14default_configENS1_27scan_by_key_config_selectorIijEEZZNS1_16scan_by_key_implILNS1_25lookback_scan_determinismE0ELb0ES3_N6thrust23THRUST_200600_302600_NS6detail15normal_iteratorINS9_10device_ptrIiEEEENSB_INSC_IjEEEESG_jNS9_4plusIvEENS9_8equal_toIvEEjEE10hipError_tPvRmT2_T3_T4_T5_mT6_T7_P12ihipStream_tbENKUlT_T0_E_clISt17integral_constantIbLb0EES11_EEDaSW_SX_EUlSW_E_NS1_11comp_targetILNS1_3genE0ELNS1_11target_archE4294967295ELNS1_3gpuE0ELNS1_3repE0EEENS1_30default_config_static_selectorELNS0_4arch9wavefront6targetE0EEEvT1_
		.amdhsa_group_segment_fixed_size 0
		.amdhsa_private_segment_fixed_size 0
		.amdhsa_kernarg_size 112
		.amdhsa_user_sgpr_count 6
		.amdhsa_user_sgpr_private_segment_buffer 1
		.amdhsa_user_sgpr_dispatch_ptr 0
		.amdhsa_user_sgpr_queue_ptr 0
		.amdhsa_user_sgpr_kernarg_segment_ptr 1
		.amdhsa_user_sgpr_dispatch_id 0
		.amdhsa_user_sgpr_flat_scratch_init 0
		.amdhsa_user_sgpr_private_segment_size 0
		.amdhsa_wavefront_size32 1
		.amdhsa_uses_dynamic_stack 0
		.amdhsa_system_sgpr_private_segment_wavefront_offset 0
		.amdhsa_system_sgpr_workgroup_id_x 1
		.amdhsa_system_sgpr_workgroup_id_y 0
		.amdhsa_system_sgpr_workgroup_id_z 0
		.amdhsa_system_sgpr_workgroup_info 0
		.amdhsa_system_vgpr_workitem_id 0
		.amdhsa_next_free_vgpr 1
		.amdhsa_next_free_sgpr 1
		.amdhsa_reserve_vcc 0
		.amdhsa_reserve_flat_scratch 0
		.amdhsa_float_round_mode_32 0
		.amdhsa_float_round_mode_16_64 0
		.amdhsa_float_denorm_mode_32 3
		.amdhsa_float_denorm_mode_16_64 3
		.amdhsa_dx10_clamp 1
		.amdhsa_ieee_mode 1
		.amdhsa_fp16_overflow 0
		.amdhsa_workgroup_processor_mode 1
		.amdhsa_memory_ordered 1
		.amdhsa_forward_progress 1
		.amdhsa_shared_vgpr_count 0
		.amdhsa_exception_fp_ieee_invalid_op 0
		.amdhsa_exception_fp_denorm_src 0
		.amdhsa_exception_fp_ieee_div_zero 0
		.amdhsa_exception_fp_ieee_overflow 0
		.amdhsa_exception_fp_ieee_underflow 0
		.amdhsa_exception_fp_ieee_inexact 0
		.amdhsa_exception_int_div_zero 0
	.end_amdhsa_kernel
	.section	.text._ZN7rocprim17ROCPRIM_400000_NS6detail17trampoline_kernelINS0_14default_configENS1_27scan_by_key_config_selectorIijEEZZNS1_16scan_by_key_implILNS1_25lookback_scan_determinismE0ELb0ES3_N6thrust23THRUST_200600_302600_NS6detail15normal_iteratorINS9_10device_ptrIiEEEENSB_INSC_IjEEEESG_jNS9_4plusIvEENS9_8equal_toIvEEjEE10hipError_tPvRmT2_T3_T4_T5_mT6_T7_P12ihipStream_tbENKUlT_T0_E_clISt17integral_constantIbLb0EES11_EEDaSW_SX_EUlSW_E_NS1_11comp_targetILNS1_3genE0ELNS1_11target_archE4294967295ELNS1_3gpuE0ELNS1_3repE0EEENS1_30default_config_static_selectorELNS0_4arch9wavefront6targetE0EEEvT1_,"axG",@progbits,_ZN7rocprim17ROCPRIM_400000_NS6detail17trampoline_kernelINS0_14default_configENS1_27scan_by_key_config_selectorIijEEZZNS1_16scan_by_key_implILNS1_25lookback_scan_determinismE0ELb0ES3_N6thrust23THRUST_200600_302600_NS6detail15normal_iteratorINS9_10device_ptrIiEEEENSB_INSC_IjEEEESG_jNS9_4plusIvEENS9_8equal_toIvEEjEE10hipError_tPvRmT2_T3_T4_T5_mT6_T7_P12ihipStream_tbENKUlT_T0_E_clISt17integral_constantIbLb0EES11_EEDaSW_SX_EUlSW_E_NS1_11comp_targetILNS1_3genE0ELNS1_11target_archE4294967295ELNS1_3gpuE0ELNS1_3repE0EEENS1_30default_config_static_selectorELNS0_4arch9wavefront6targetE0EEEvT1_,comdat
.Lfunc_end1221:
	.size	_ZN7rocprim17ROCPRIM_400000_NS6detail17trampoline_kernelINS0_14default_configENS1_27scan_by_key_config_selectorIijEEZZNS1_16scan_by_key_implILNS1_25lookback_scan_determinismE0ELb0ES3_N6thrust23THRUST_200600_302600_NS6detail15normal_iteratorINS9_10device_ptrIiEEEENSB_INSC_IjEEEESG_jNS9_4plusIvEENS9_8equal_toIvEEjEE10hipError_tPvRmT2_T3_T4_T5_mT6_T7_P12ihipStream_tbENKUlT_T0_E_clISt17integral_constantIbLb0EES11_EEDaSW_SX_EUlSW_E_NS1_11comp_targetILNS1_3genE0ELNS1_11target_archE4294967295ELNS1_3gpuE0ELNS1_3repE0EEENS1_30default_config_static_selectorELNS0_4arch9wavefront6targetE0EEEvT1_, .Lfunc_end1221-_ZN7rocprim17ROCPRIM_400000_NS6detail17trampoline_kernelINS0_14default_configENS1_27scan_by_key_config_selectorIijEEZZNS1_16scan_by_key_implILNS1_25lookback_scan_determinismE0ELb0ES3_N6thrust23THRUST_200600_302600_NS6detail15normal_iteratorINS9_10device_ptrIiEEEENSB_INSC_IjEEEESG_jNS9_4plusIvEENS9_8equal_toIvEEjEE10hipError_tPvRmT2_T3_T4_T5_mT6_T7_P12ihipStream_tbENKUlT_T0_E_clISt17integral_constantIbLb0EES11_EEDaSW_SX_EUlSW_E_NS1_11comp_targetILNS1_3genE0ELNS1_11target_archE4294967295ELNS1_3gpuE0ELNS1_3repE0EEENS1_30default_config_static_selectorELNS0_4arch9wavefront6targetE0EEEvT1_
                                        ; -- End function
	.set _ZN7rocprim17ROCPRIM_400000_NS6detail17trampoline_kernelINS0_14default_configENS1_27scan_by_key_config_selectorIijEEZZNS1_16scan_by_key_implILNS1_25lookback_scan_determinismE0ELb0ES3_N6thrust23THRUST_200600_302600_NS6detail15normal_iteratorINS9_10device_ptrIiEEEENSB_INSC_IjEEEESG_jNS9_4plusIvEENS9_8equal_toIvEEjEE10hipError_tPvRmT2_T3_T4_T5_mT6_T7_P12ihipStream_tbENKUlT_T0_E_clISt17integral_constantIbLb0EES11_EEDaSW_SX_EUlSW_E_NS1_11comp_targetILNS1_3genE0ELNS1_11target_archE4294967295ELNS1_3gpuE0ELNS1_3repE0EEENS1_30default_config_static_selectorELNS0_4arch9wavefront6targetE0EEEvT1_.num_vgpr, 0
	.set _ZN7rocprim17ROCPRIM_400000_NS6detail17trampoline_kernelINS0_14default_configENS1_27scan_by_key_config_selectorIijEEZZNS1_16scan_by_key_implILNS1_25lookback_scan_determinismE0ELb0ES3_N6thrust23THRUST_200600_302600_NS6detail15normal_iteratorINS9_10device_ptrIiEEEENSB_INSC_IjEEEESG_jNS9_4plusIvEENS9_8equal_toIvEEjEE10hipError_tPvRmT2_T3_T4_T5_mT6_T7_P12ihipStream_tbENKUlT_T0_E_clISt17integral_constantIbLb0EES11_EEDaSW_SX_EUlSW_E_NS1_11comp_targetILNS1_3genE0ELNS1_11target_archE4294967295ELNS1_3gpuE0ELNS1_3repE0EEENS1_30default_config_static_selectorELNS0_4arch9wavefront6targetE0EEEvT1_.num_agpr, 0
	.set _ZN7rocprim17ROCPRIM_400000_NS6detail17trampoline_kernelINS0_14default_configENS1_27scan_by_key_config_selectorIijEEZZNS1_16scan_by_key_implILNS1_25lookback_scan_determinismE0ELb0ES3_N6thrust23THRUST_200600_302600_NS6detail15normal_iteratorINS9_10device_ptrIiEEEENSB_INSC_IjEEEESG_jNS9_4plusIvEENS9_8equal_toIvEEjEE10hipError_tPvRmT2_T3_T4_T5_mT6_T7_P12ihipStream_tbENKUlT_T0_E_clISt17integral_constantIbLb0EES11_EEDaSW_SX_EUlSW_E_NS1_11comp_targetILNS1_3genE0ELNS1_11target_archE4294967295ELNS1_3gpuE0ELNS1_3repE0EEENS1_30default_config_static_selectorELNS0_4arch9wavefront6targetE0EEEvT1_.numbered_sgpr, 0
	.set _ZN7rocprim17ROCPRIM_400000_NS6detail17trampoline_kernelINS0_14default_configENS1_27scan_by_key_config_selectorIijEEZZNS1_16scan_by_key_implILNS1_25lookback_scan_determinismE0ELb0ES3_N6thrust23THRUST_200600_302600_NS6detail15normal_iteratorINS9_10device_ptrIiEEEENSB_INSC_IjEEEESG_jNS9_4plusIvEENS9_8equal_toIvEEjEE10hipError_tPvRmT2_T3_T4_T5_mT6_T7_P12ihipStream_tbENKUlT_T0_E_clISt17integral_constantIbLb0EES11_EEDaSW_SX_EUlSW_E_NS1_11comp_targetILNS1_3genE0ELNS1_11target_archE4294967295ELNS1_3gpuE0ELNS1_3repE0EEENS1_30default_config_static_selectorELNS0_4arch9wavefront6targetE0EEEvT1_.num_named_barrier, 0
	.set _ZN7rocprim17ROCPRIM_400000_NS6detail17trampoline_kernelINS0_14default_configENS1_27scan_by_key_config_selectorIijEEZZNS1_16scan_by_key_implILNS1_25lookback_scan_determinismE0ELb0ES3_N6thrust23THRUST_200600_302600_NS6detail15normal_iteratorINS9_10device_ptrIiEEEENSB_INSC_IjEEEESG_jNS9_4plusIvEENS9_8equal_toIvEEjEE10hipError_tPvRmT2_T3_T4_T5_mT6_T7_P12ihipStream_tbENKUlT_T0_E_clISt17integral_constantIbLb0EES11_EEDaSW_SX_EUlSW_E_NS1_11comp_targetILNS1_3genE0ELNS1_11target_archE4294967295ELNS1_3gpuE0ELNS1_3repE0EEENS1_30default_config_static_selectorELNS0_4arch9wavefront6targetE0EEEvT1_.private_seg_size, 0
	.set _ZN7rocprim17ROCPRIM_400000_NS6detail17trampoline_kernelINS0_14default_configENS1_27scan_by_key_config_selectorIijEEZZNS1_16scan_by_key_implILNS1_25lookback_scan_determinismE0ELb0ES3_N6thrust23THRUST_200600_302600_NS6detail15normal_iteratorINS9_10device_ptrIiEEEENSB_INSC_IjEEEESG_jNS9_4plusIvEENS9_8equal_toIvEEjEE10hipError_tPvRmT2_T3_T4_T5_mT6_T7_P12ihipStream_tbENKUlT_T0_E_clISt17integral_constantIbLb0EES11_EEDaSW_SX_EUlSW_E_NS1_11comp_targetILNS1_3genE0ELNS1_11target_archE4294967295ELNS1_3gpuE0ELNS1_3repE0EEENS1_30default_config_static_selectorELNS0_4arch9wavefront6targetE0EEEvT1_.uses_vcc, 0
	.set _ZN7rocprim17ROCPRIM_400000_NS6detail17trampoline_kernelINS0_14default_configENS1_27scan_by_key_config_selectorIijEEZZNS1_16scan_by_key_implILNS1_25lookback_scan_determinismE0ELb0ES3_N6thrust23THRUST_200600_302600_NS6detail15normal_iteratorINS9_10device_ptrIiEEEENSB_INSC_IjEEEESG_jNS9_4plusIvEENS9_8equal_toIvEEjEE10hipError_tPvRmT2_T3_T4_T5_mT6_T7_P12ihipStream_tbENKUlT_T0_E_clISt17integral_constantIbLb0EES11_EEDaSW_SX_EUlSW_E_NS1_11comp_targetILNS1_3genE0ELNS1_11target_archE4294967295ELNS1_3gpuE0ELNS1_3repE0EEENS1_30default_config_static_selectorELNS0_4arch9wavefront6targetE0EEEvT1_.uses_flat_scratch, 0
	.set _ZN7rocprim17ROCPRIM_400000_NS6detail17trampoline_kernelINS0_14default_configENS1_27scan_by_key_config_selectorIijEEZZNS1_16scan_by_key_implILNS1_25lookback_scan_determinismE0ELb0ES3_N6thrust23THRUST_200600_302600_NS6detail15normal_iteratorINS9_10device_ptrIiEEEENSB_INSC_IjEEEESG_jNS9_4plusIvEENS9_8equal_toIvEEjEE10hipError_tPvRmT2_T3_T4_T5_mT6_T7_P12ihipStream_tbENKUlT_T0_E_clISt17integral_constantIbLb0EES11_EEDaSW_SX_EUlSW_E_NS1_11comp_targetILNS1_3genE0ELNS1_11target_archE4294967295ELNS1_3gpuE0ELNS1_3repE0EEENS1_30default_config_static_selectorELNS0_4arch9wavefront6targetE0EEEvT1_.has_dyn_sized_stack, 0
	.set _ZN7rocprim17ROCPRIM_400000_NS6detail17trampoline_kernelINS0_14default_configENS1_27scan_by_key_config_selectorIijEEZZNS1_16scan_by_key_implILNS1_25lookback_scan_determinismE0ELb0ES3_N6thrust23THRUST_200600_302600_NS6detail15normal_iteratorINS9_10device_ptrIiEEEENSB_INSC_IjEEEESG_jNS9_4plusIvEENS9_8equal_toIvEEjEE10hipError_tPvRmT2_T3_T4_T5_mT6_T7_P12ihipStream_tbENKUlT_T0_E_clISt17integral_constantIbLb0EES11_EEDaSW_SX_EUlSW_E_NS1_11comp_targetILNS1_3genE0ELNS1_11target_archE4294967295ELNS1_3gpuE0ELNS1_3repE0EEENS1_30default_config_static_selectorELNS0_4arch9wavefront6targetE0EEEvT1_.has_recursion, 0
	.set _ZN7rocprim17ROCPRIM_400000_NS6detail17trampoline_kernelINS0_14default_configENS1_27scan_by_key_config_selectorIijEEZZNS1_16scan_by_key_implILNS1_25lookback_scan_determinismE0ELb0ES3_N6thrust23THRUST_200600_302600_NS6detail15normal_iteratorINS9_10device_ptrIiEEEENSB_INSC_IjEEEESG_jNS9_4plusIvEENS9_8equal_toIvEEjEE10hipError_tPvRmT2_T3_T4_T5_mT6_T7_P12ihipStream_tbENKUlT_T0_E_clISt17integral_constantIbLb0EES11_EEDaSW_SX_EUlSW_E_NS1_11comp_targetILNS1_3genE0ELNS1_11target_archE4294967295ELNS1_3gpuE0ELNS1_3repE0EEENS1_30default_config_static_selectorELNS0_4arch9wavefront6targetE0EEEvT1_.has_indirect_call, 0
	.section	.AMDGPU.csdata,"",@progbits
; Kernel info:
; codeLenInByte = 0
; TotalNumSgprs: 0
; NumVgprs: 0
; ScratchSize: 0
; MemoryBound: 0
; FloatMode: 240
; IeeeMode: 1
; LDSByteSize: 0 bytes/workgroup (compile time only)
; SGPRBlocks: 0
; VGPRBlocks: 0
; NumSGPRsForWavesPerEU: 1
; NumVGPRsForWavesPerEU: 1
; Occupancy: 16
; WaveLimiterHint : 0
; COMPUTE_PGM_RSRC2:SCRATCH_EN: 0
; COMPUTE_PGM_RSRC2:USER_SGPR: 6
; COMPUTE_PGM_RSRC2:TRAP_HANDLER: 0
; COMPUTE_PGM_RSRC2:TGID_X_EN: 1
; COMPUTE_PGM_RSRC2:TGID_Y_EN: 0
; COMPUTE_PGM_RSRC2:TGID_Z_EN: 0
; COMPUTE_PGM_RSRC2:TIDIG_COMP_CNT: 0
	.section	.text._ZN7rocprim17ROCPRIM_400000_NS6detail17trampoline_kernelINS0_14default_configENS1_27scan_by_key_config_selectorIijEEZZNS1_16scan_by_key_implILNS1_25lookback_scan_determinismE0ELb0ES3_N6thrust23THRUST_200600_302600_NS6detail15normal_iteratorINS9_10device_ptrIiEEEENSB_INSC_IjEEEESG_jNS9_4plusIvEENS9_8equal_toIvEEjEE10hipError_tPvRmT2_T3_T4_T5_mT6_T7_P12ihipStream_tbENKUlT_T0_E_clISt17integral_constantIbLb0EES11_EEDaSW_SX_EUlSW_E_NS1_11comp_targetILNS1_3genE10ELNS1_11target_archE1201ELNS1_3gpuE5ELNS1_3repE0EEENS1_30default_config_static_selectorELNS0_4arch9wavefront6targetE0EEEvT1_,"axG",@progbits,_ZN7rocprim17ROCPRIM_400000_NS6detail17trampoline_kernelINS0_14default_configENS1_27scan_by_key_config_selectorIijEEZZNS1_16scan_by_key_implILNS1_25lookback_scan_determinismE0ELb0ES3_N6thrust23THRUST_200600_302600_NS6detail15normal_iteratorINS9_10device_ptrIiEEEENSB_INSC_IjEEEESG_jNS9_4plusIvEENS9_8equal_toIvEEjEE10hipError_tPvRmT2_T3_T4_T5_mT6_T7_P12ihipStream_tbENKUlT_T0_E_clISt17integral_constantIbLb0EES11_EEDaSW_SX_EUlSW_E_NS1_11comp_targetILNS1_3genE10ELNS1_11target_archE1201ELNS1_3gpuE5ELNS1_3repE0EEENS1_30default_config_static_selectorELNS0_4arch9wavefront6targetE0EEEvT1_,comdat
	.protected	_ZN7rocprim17ROCPRIM_400000_NS6detail17trampoline_kernelINS0_14default_configENS1_27scan_by_key_config_selectorIijEEZZNS1_16scan_by_key_implILNS1_25lookback_scan_determinismE0ELb0ES3_N6thrust23THRUST_200600_302600_NS6detail15normal_iteratorINS9_10device_ptrIiEEEENSB_INSC_IjEEEESG_jNS9_4plusIvEENS9_8equal_toIvEEjEE10hipError_tPvRmT2_T3_T4_T5_mT6_T7_P12ihipStream_tbENKUlT_T0_E_clISt17integral_constantIbLb0EES11_EEDaSW_SX_EUlSW_E_NS1_11comp_targetILNS1_3genE10ELNS1_11target_archE1201ELNS1_3gpuE5ELNS1_3repE0EEENS1_30default_config_static_selectorELNS0_4arch9wavefront6targetE0EEEvT1_ ; -- Begin function _ZN7rocprim17ROCPRIM_400000_NS6detail17trampoline_kernelINS0_14default_configENS1_27scan_by_key_config_selectorIijEEZZNS1_16scan_by_key_implILNS1_25lookback_scan_determinismE0ELb0ES3_N6thrust23THRUST_200600_302600_NS6detail15normal_iteratorINS9_10device_ptrIiEEEENSB_INSC_IjEEEESG_jNS9_4plusIvEENS9_8equal_toIvEEjEE10hipError_tPvRmT2_T3_T4_T5_mT6_T7_P12ihipStream_tbENKUlT_T0_E_clISt17integral_constantIbLb0EES11_EEDaSW_SX_EUlSW_E_NS1_11comp_targetILNS1_3genE10ELNS1_11target_archE1201ELNS1_3gpuE5ELNS1_3repE0EEENS1_30default_config_static_selectorELNS0_4arch9wavefront6targetE0EEEvT1_
	.globl	_ZN7rocprim17ROCPRIM_400000_NS6detail17trampoline_kernelINS0_14default_configENS1_27scan_by_key_config_selectorIijEEZZNS1_16scan_by_key_implILNS1_25lookback_scan_determinismE0ELb0ES3_N6thrust23THRUST_200600_302600_NS6detail15normal_iteratorINS9_10device_ptrIiEEEENSB_INSC_IjEEEESG_jNS9_4plusIvEENS9_8equal_toIvEEjEE10hipError_tPvRmT2_T3_T4_T5_mT6_T7_P12ihipStream_tbENKUlT_T0_E_clISt17integral_constantIbLb0EES11_EEDaSW_SX_EUlSW_E_NS1_11comp_targetILNS1_3genE10ELNS1_11target_archE1201ELNS1_3gpuE5ELNS1_3repE0EEENS1_30default_config_static_selectorELNS0_4arch9wavefront6targetE0EEEvT1_
	.p2align	8
	.type	_ZN7rocprim17ROCPRIM_400000_NS6detail17trampoline_kernelINS0_14default_configENS1_27scan_by_key_config_selectorIijEEZZNS1_16scan_by_key_implILNS1_25lookback_scan_determinismE0ELb0ES3_N6thrust23THRUST_200600_302600_NS6detail15normal_iteratorINS9_10device_ptrIiEEEENSB_INSC_IjEEEESG_jNS9_4plusIvEENS9_8equal_toIvEEjEE10hipError_tPvRmT2_T3_T4_T5_mT6_T7_P12ihipStream_tbENKUlT_T0_E_clISt17integral_constantIbLb0EES11_EEDaSW_SX_EUlSW_E_NS1_11comp_targetILNS1_3genE10ELNS1_11target_archE1201ELNS1_3gpuE5ELNS1_3repE0EEENS1_30default_config_static_selectorELNS0_4arch9wavefront6targetE0EEEvT1_,@function
_ZN7rocprim17ROCPRIM_400000_NS6detail17trampoline_kernelINS0_14default_configENS1_27scan_by_key_config_selectorIijEEZZNS1_16scan_by_key_implILNS1_25lookback_scan_determinismE0ELb0ES3_N6thrust23THRUST_200600_302600_NS6detail15normal_iteratorINS9_10device_ptrIiEEEENSB_INSC_IjEEEESG_jNS9_4plusIvEENS9_8equal_toIvEEjEE10hipError_tPvRmT2_T3_T4_T5_mT6_T7_P12ihipStream_tbENKUlT_T0_E_clISt17integral_constantIbLb0EES11_EEDaSW_SX_EUlSW_E_NS1_11comp_targetILNS1_3genE10ELNS1_11target_archE1201ELNS1_3gpuE5ELNS1_3repE0EEENS1_30default_config_static_selectorELNS0_4arch9wavefront6targetE0EEEvT1_: ; @_ZN7rocprim17ROCPRIM_400000_NS6detail17trampoline_kernelINS0_14default_configENS1_27scan_by_key_config_selectorIijEEZZNS1_16scan_by_key_implILNS1_25lookback_scan_determinismE0ELb0ES3_N6thrust23THRUST_200600_302600_NS6detail15normal_iteratorINS9_10device_ptrIiEEEENSB_INSC_IjEEEESG_jNS9_4plusIvEENS9_8equal_toIvEEjEE10hipError_tPvRmT2_T3_T4_T5_mT6_T7_P12ihipStream_tbENKUlT_T0_E_clISt17integral_constantIbLb0EES11_EEDaSW_SX_EUlSW_E_NS1_11comp_targetILNS1_3genE10ELNS1_11target_archE1201ELNS1_3gpuE5ELNS1_3repE0EEENS1_30default_config_static_selectorELNS0_4arch9wavefront6targetE0EEEvT1_
; %bb.0:
	.section	.rodata,"a",@progbits
	.p2align	6, 0x0
	.amdhsa_kernel _ZN7rocprim17ROCPRIM_400000_NS6detail17trampoline_kernelINS0_14default_configENS1_27scan_by_key_config_selectorIijEEZZNS1_16scan_by_key_implILNS1_25lookback_scan_determinismE0ELb0ES3_N6thrust23THRUST_200600_302600_NS6detail15normal_iteratorINS9_10device_ptrIiEEEENSB_INSC_IjEEEESG_jNS9_4plusIvEENS9_8equal_toIvEEjEE10hipError_tPvRmT2_T3_T4_T5_mT6_T7_P12ihipStream_tbENKUlT_T0_E_clISt17integral_constantIbLb0EES11_EEDaSW_SX_EUlSW_E_NS1_11comp_targetILNS1_3genE10ELNS1_11target_archE1201ELNS1_3gpuE5ELNS1_3repE0EEENS1_30default_config_static_selectorELNS0_4arch9wavefront6targetE0EEEvT1_
		.amdhsa_group_segment_fixed_size 0
		.amdhsa_private_segment_fixed_size 0
		.amdhsa_kernarg_size 112
		.amdhsa_user_sgpr_count 6
		.amdhsa_user_sgpr_private_segment_buffer 1
		.amdhsa_user_sgpr_dispatch_ptr 0
		.amdhsa_user_sgpr_queue_ptr 0
		.amdhsa_user_sgpr_kernarg_segment_ptr 1
		.amdhsa_user_sgpr_dispatch_id 0
		.amdhsa_user_sgpr_flat_scratch_init 0
		.amdhsa_user_sgpr_private_segment_size 0
		.amdhsa_wavefront_size32 1
		.amdhsa_uses_dynamic_stack 0
		.amdhsa_system_sgpr_private_segment_wavefront_offset 0
		.amdhsa_system_sgpr_workgroup_id_x 1
		.amdhsa_system_sgpr_workgroup_id_y 0
		.amdhsa_system_sgpr_workgroup_id_z 0
		.amdhsa_system_sgpr_workgroup_info 0
		.amdhsa_system_vgpr_workitem_id 0
		.amdhsa_next_free_vgpr 1
		.amdhsa_next_free_sgpr 1
		.amdhsa_reserve_vcc 0
		.amdhsa_reserve_flat_scratch 0
		.amdhsa_float_round_mode_32 0
		.amdhsa_float_round_mode_16_64 0
		.amdhsa_float_denorm_mode_32 3
		.amdhsa_float_denorm_mode_16_64 3
		.amdhsa_dx10_clamp 1
		.amdhsa_ieee_mode 1
		.amdhsa_fp16_overflow 0
		.amdhsa_workgroup_processor_mode 1
		.amdhsa_memory_ordered 1
		.amdhsa_forward_progress 1
		.amdhsa_shared_vgpr_count 0
		.amdhsa_exception_fp_ieee_invalid_op 0
		.amdhsa_exception_fp_denorm_src 0
		.amdhsa_exception_fp_ieee_div_zero 0
		.amdhsa_exception_fp_ieee_overflow 0
		.amdhsa_exception_fp_ieee_underflow 0
		.amdhsa_exception_fp_ieee_inexact 0
		.amdhsa_exception_int_div_zero 0
	.end_amdhsa_kernel
	.section	.text._ZN7rocprim17ROCPRIM_400000_NS6detail17trampoline_kernelINS0_14default_configENS1_27scan_by_key_config_selectorIijEEZZNS1_16scan_by_key_implILNS1_25lookback_scan_determinismE0ELb0ES3_N6thrust23THRUST_200600_302600_NS6detail15normal_iteratorINS9_10device_ptrIiEEEENSB_INSC_IjEEEESG_jNS9_4plusIvEENS9_8equal_toIvEEjEE10hipError_tPvRmT2_T3_T4_T5_mT6_T7_P12ihipStream_tbENKUlT_T0_E_clISt17integral_constantIbLb0EES11_EEDaSW_SX_EUlSW_E_NS1_11comp_targetILNS1_3genE10ELNS1_11target_archE1201ELNS1_3gpuE5ELNS1_3repE0EEENS1_30default_config_static_selectorELNS0_4arch9wavefront6targetE0EEEvT1_,"axG",@progbits,_ZN7rocprim17ROCPRIM_400000_NS6detail17trampoline_kernelINS0_14default_configENS1_27scan_by_key_config_selectorIijEEZZNS1_16scan_by_key_implILNS1_25lookback_scan_determinismE0ELb0ES3_N6thrust23THRUST_200600_302600_NS6detail15normal_iteratorINS9_10device_ptrIiEEEENSB_INSC_IjEEEESG_jNS9_4plusIvEENS9_8equal_toIvEEjEE10hipError_tPvRmT2_T3_T4_T5_mT6_T7_P12ihipStream_tbENKUlT_T0_E_clISt17integral_constantIbLb0EES11_EEDaSW_SX_EUlSW_E_NS1_11comp_targetILNS1_3genE10ELNS1_11target_archE1201ELNS1_3gpuE5ELNS1_3repE0EEENS1_30default_config_static_selectorELNS0_4arch9wavefront6targetE0EEEvT1_,comdat
.Lfunc_end1222:
	.size	_ZN7rocprim17ROCPRIM_400000_NS6detail17trampoline_kernelINS0_14default_configENS1_27scan_by_key_config_selectorIijEEZZNS1_16scan_by_key_implILNS1_25lookback_scan_determinismE0ELb0ES3_N6thrust23THRUST_200600_302600_NS6detail15normal_iteratorINS9_10device_ptrIiEEEENSB_INSC_IjEEEESG_jNS9_4plusIvEENS9_8equal_toIvEEjEE10hipError_tPvRmT2_T3_T4_T5_mT6_T7_P12ihipStream_tbENKUlT_T0_E_clISt17integral_constantIbLb0EES11_EEDaSW_SX_EUlSW_E_NS1_11comp_targetILNS1_3genE10ELNS1_11target_archE1201ELNS1_3gpuE5ELNS1_3repE0EEENS1_30default_config_static_selectorELNS0_4arch9wavefront6targetE0EEEvT1_, .Lfunc_end1222-_ZN7rocprim17ROCPRIM_400000_NS6detail17trampoline_kernelINS0_14default_configENS1_27scan_by_key_config_selectorIijEEZZNS1_16scan_by_key_implILNS1_25lookback_scan_determinismE0ELb0ES3_N6thrust23THRUST_200600_302600_NS6detail15normal_iteratorINS9_10device_ptrIiEEEENSB_INSC_IjEEEESG_jNS9_4plusIvEENS9_8equal_toIvEEjEE10hipError_tPvRmT2_T3_T4_T5_mT6_T7_P12ihipStream_tbENKUlT_T0_E_clISt17integral_constantIbLb0EES11_EEDaSW_SX_EUlSW_E_NS1_11comp_targetILNS1_3genE10ELNS1_11target_archE1201ELNS1_3gpuE5ELNS1_3repE0EEENS1_30default_config_static_selectorELNS0_4arch9wavefront6targetE0EEEvT1_
                                        ; -- End function
	.set _ZN7rocprim17ROCPRIM_400000_NS6detail17trampoline_kernelINS0_14default_configENS1_27scan_by_key_config_selectorIijEEZZNS1_16scan_by_key_implILNS1_25lookback_scan_determinismE0ELb0ES3_N6thrust23THRUST_200600_302600_NS6detail15normal_iteratorINS9_10device_ptrIiEEEENSB_INSC_IjEEEESG_jNS9_4plusIvEENS9_8equal_toIvEEjEE10hipError_tPvRmT2_T3_T4_T5_mT6_T7_P12ihipStream_tbENKUlT_T0_E_clISt17integral_constantIbLb0EES11_EEDaSW_SX_EUlSW_E_NS1_11comp_targetILNS1_3genE10ELNS1_11target_archE1201ELNS1_3gpuE5ELNS1_3repE0EEENS1_30default_config_static_selectorELNS0_4arch9wavefront6targetE0EEEvT1_.num_vgpr, 0
	.set _ZN7rocprim17ROCPRIM_400000_NS6detail17trampoline_kernelINS0_14default_configENS1_27scan_by_key_config_selectorIijEEZZNS1_16scan_by_key_implILNS1_25lookback_scan_determinismE0ELb0ES3_N6thrust23THRUST_200600_302600_NS6detail15normal_iteratorINS9_10device_ptrIiEEEENSB_INSC_IjEEEESG_jNS9_4plusIvEENS9_8equal_toIvEEjEE10hipError_tPvRmT2_T3_T4_T5_mT6_T7_P12ihipStream_tbENKUlT_T0_E_clISt17integral_constantIbLb0EES11_EEDaSW_SX_EUlSW_E_NS1_11comp_targetILNS1_3genE10ELNS1_11target_archE1201ELNS1_3gpuE5ELNS1_3repE0EEENS1_30default_config_static_selectorELNS0_4arch9wavefront6targetE0EEEvT1_.num_agpr, 0
	.set _ZN7rocprim17ROCPRIM_400000_NS6detail17trampoline_kernelINS0_14default_configENS1_27scan_by_key_config_selectorIijEEZZNS1_16scan_by_key_implILNS1_25lookback_scan_determinismE0ELb0ES3_N6thrust23THRUST_200600_302600_NS6detail15normal_iteratorINS9_10device_ptrIiEEEENSB_INSC_IjEEEESG_jNS9_4plusIvEENS9_8equal_toIvEEjEE10hipError_tPvRmT2_T3_T4_T5_mT6_T7_P12ihipStream_tbENKUlT_T0_E_clISt17integral_constantIbLb0EES11_EEDaSW_SX_EUlSW_E_NS1_11comp_targetILNS1_3genE10ELNS1_11target_archE1201ELNS1_3gpuE5ELNS1_3repE0EEENS1_30default_config_static_selectorELNS0_4arch9wavefront6targetE0EEEvT1_.numbered_sgpr, 0
	.set _ZN7rocprim17ROCPRIM_400000_NS6detail17trampoline_kernelINS0_14default_configENS1_27scan_by_key_config_selectorIijEEZZNS1_16scan_by_key_implILNS1_25lookback_scan_determinismE0ELb0ES3_N6thrust23THRUST_200600_302600_NS6detail15normal_iteratorINS9_10device_ptrIiEEEENSB_INSC_IjEEEESG_jNS9_4plusIvEENS9_8equal_toIvEEjEE10hipError_tPvRmT2_T3_T4_T5_mT6_T7_P12ihipStream_tbENKUlT_T0_E_clISt17integral_constantIbLb0EES11_EEDaSW_SX_EUlSW_E_NS1_11comp_targetILNS1_3genE10ELNS1_11target_archE1201ELNS1_3gpuE5ELNS1_3repE0EEENS1_30default_config_static_selectorELNS0_4arch9wavefront6targetE0EEEvT1_.num_named_barrier, 0
	.set _ZN7rocprim17ROCPRIM_400000_NS6detail17trampoline_kernelINS0_14default_configENS1_27scan_by_key_config_selectorIijEEZZNS1_16scan_by_key_implILNS1_25lookback_scan_determinismE0ELb0ES3_N6thrust23THRUST_200600_302600_NS6detail15normal_iteratorINS9_10device_ptrIiEEEENSB_INSC_IjEEEESG_jNS9_4plusIvEENS9_8equal_toIvEEjEE10hipError_tPvRmT2_T3_T4_T5_mT6_T7_P12ihipStream_tbENKUlT_T0_E_clISt17integral_constantIbLb0EES11_EEDaSW_SX_EUlSW_E_NS1_11comp_targetILNS1_3genE10ELNS1_11target_archE1201ELNS1_3gpuE5ELNS1_3repE0EEENS1_30default_config_static_selectorELNS0_4arch9wavefront6targetE0EEEvT1_.private_seg_size, 0
	.set _ZN7rocprim17ROCPRIM_400000_NS6detail17trampoline_kernelINS0_14default_configENS1_27scan_by_key_config_selectorIijEEZZNS1_16scan_by_key_implILNS1_25lookback_scan_determinismE0ELb0ES3_N6thrust23THRUST_200600_302600_NS6detail15normal_iteratorINS9_10device_ptrIiEEEENSB_INSC_IjEEEESG_jNS9_4plusIvEENS9_8equal_toIvEEjEE10hipError_tPvRmT2_T3_T4_T5_mT6_T7_P12ihipStream_tbENKUlT_T0_E_clISt17integral_constantIbLb0EES11_EEDaSW_SX_EUlSW_E_NS1_11comp_targetILNS1_3genE10ELNS1_11target_archE1201ELNS1_3gpuE5ELNS1_3repE0EEENS1_30default_config_static_selectorELNS0_4arch9wavefront6targetE0EEEvT1_.uses_vcc, 0
	.set _ZN7rocprim17ROCPRIM_400000_NS6detail17trampoline_kernelINS0_14default_configENS1_27scan_by_key_config_selectorIijEEZZNS1_16scan_by_key_implILNS1_25lookback_scan_determinismE0ELb0ES3_N6thrust23THRUST_200600_302600_NS6detail15normal_iteratorINS9_10device_ptrIiEEEENSB_INSC_IjEEEESG_jNS9_4plusIvEENS9_8equal_toIvEEjEE10hipError_tPvRmT2_T3_T4_T5_mT6_T7_P12ihipStream_tbENKUlT_T0_E_clISt17integral_constantIbLb0EES11_EEDaSW_SX_EUlSW_E_NS1_11comp_targetILNS1_3genE10ELNS1_11target_archE1201ELNS1_3gpuE5ELNS1_3repE0EEENS1_30default_config_static_selectorELNS0_4arch9wavefront6targetE0EEEvT1_.uses_flat_scratch, 0
	.set _ZN7rocprim17ROCPRIM_400000_NS6detail17trampoline_kernelINS0_14default_configENS1_27scan_by_key_config_selectorIijEEZZNS1_16scan_by_key_implILNS1_25lookback_scan_determinismE0ELb0ES3_N6thrust23THRUST_200600_302600_NS6detail15normal_iteratorINS9_10device_ptrIiEEEENSB_INSC_IjEEEESG_jNS9_4plusIvEENS9_8equal_toIvEEjEE10hipError_tPvRmT2_T3_T4_T5_mT6_T7_P12ihipStream_tbENKUlT_T0_E_clISt17integral_constantIbLb0EES11_EEDaSW_SX_EUlSW_E_NS1_11comp_targetILNS1_3genE10ELNS1_11target_archE1201ELNS1_3gpuE5ELNS1_3repE0EEENS1_30default_config_static_selectorELNS0_4arch9wavefront6targetE0EEEvT1_.has_dyn_sized_stack, 0
	.set _ZN7rocprim17ROCPRIM_400000_NS6detail17trampoline_kernelINS0_14default_configENS1_27scan_by_key_config_selectorIijEEZZNS1_16scan_by_key_implILNS1_25lookback_scan_determinismE0ELb0ES3_N6thrust23THRUST_200600_302600_NS6detail15normal_iteratorINS9_10device_ptrIiEEEENSB_INSC_IjEEEESG_jNS9_4plusIvEENS9_8equal_toIvEEjEE10hipError_tPvRmT2_T3_T4_T5_mT6_T7_P12ihipStream_tbENKUlT_T0_E_clISt17integral_constantIbLb0EES11_EEDaSW_SX_EUlSW_E_NS1_11comp_targetILNS1_3genE10ELNS1_11target_archE1201ELNS1_3gpuE5ELNS1_3repE0EEENS1_30default_config_static_selectorELNS0_4arch9wavefront6targetE0EEEvT1_.has_recursion, 0
	.set _ZN7rocprim17ROCPRIM_400000_NS6detail17trampoline_kernelINS0_14default_configENS1_27scan_by_key_config_selectorIijEEZZNS1_16scan_by_key_implILNS1_25lookback_scan_determinismE0ELb0ES3_N6thrust23THRUST_200600_302600_NS6detail15normal_iteratorINS9_10device_ptrIiEEEENSB_INSC_IjEEEESG_jNS9_4plusIvEENS9_8equal_toIvEEjEE10hipError_tPvRmT2_T3_T4_T5_mT6_T7_P12ihipStream_tbENKUlT_T0_E_clISt17integral_constantIbLb0EES11_EEDaSW_SX_EUlSW_E_NS1_11comp_targetILNS1_3genE10ELNS1_11target_archE1201ELNS1_3gpuE5ELNS1_3repE0EEENS1_30default_config_static_selectorELNS0_4arch9wavefront6targetE0EEEvT1_.has_indirect_call, 0
	.section	.AMDGPU.csdata,"",@progbits
; Kernel info:
; codeLenInByte = 0
; TotalNumSgprs: 0
; NumVgprs: 0
; ScratchSize: 0
; MemoryBound: 0
; FloatMode: 240
; IeeeMode: 1
; LDSByteSize: 0 bytes/workgroup (compile time only)
; SGPRBlocks: 0
; VGPRBlocks: 0
; NumSGPRsForWavesPerEU: 1
; NumVGPRsForWavesPerEU: 1
; Occupancy: 16
; WaveLimiterHint : 0
; COMPUTE_PGM_RSRC2:SCRATCH_EN: 0
; COMPUTE_PGM_RSRC2:USER_SGPR: 6
; COMPUTE_PGM_RSRC2:TRAP_HANDLER: 0
; COMPUTE_PGM_RSRC2:TGID_X_EN: 1
; COMPUTE_PGM_RSRC2:TGID_Y_EN: 0
; COMPUTE_PGM_RSRC2:TGID_Z_EN: 0
; COMPUTE_PGM_RSRC2:TIDIG_COMP_CNT: 0
	.section	.text._ZN7rocprim17ROCPRIM_400000_NS6detail17trampoline_kernelINS0_14default_configENS1_27scan_by_key_config_selectorIijEEZZNS1_16scan_by_key_implILNS1_25lookback_scan_determinismE0ELb0ES3_N6thrust23THRUST_200600_302600_NS6detail15normal_iteratorINS9_10device_ptrIiEEEENSB_INSC_IjEEEESG_jNS9_4plusIvEENS9_8equal_toIvEEjEE10hipError_tPvRmT2_T3_T4_T5_mT6_T7_P12ihipStream_tbENKUlT_T0_E_clISt17integral_constantIbLb0EES11_EEDaSW_SX_EUlSW_E_NS1_11comp_targetILNS1_3genE5ELNS1_11target_archE942ELNS1_3gpuE9ELNS1_3repE0EEENS1_30default_config_static_selectorELNS0_4arch9wavefront6targetE0EEEvT1_,"axG",@progbits,_ZN7rocprim17ROCPRIM_400000_NS6detail17trampoline_kernelINS0_14default_configENS1_27scan_by_key_config_selectorIijEEZZNS1_16scan_by_key_implILNS1_25lookback_scan_determinismE0ELb0ES3_N6thrust23THRUST_200600_302600_NS6detail15normal_iteratorINS9_10device_ptrIiEEEENSB_INSC_IjEEEESG_jNS9_4plusIvEENS9_8equal_toIvEEjEE10hipError_tPvRmT2_T3_T4_T5_mT6_T7_P12ihipStream_tbENKUlT_T0_E_clISt17integral_constantIbLb0EES11_EEDaSW_SX_EUlSW_E_NS1_11comp_targetILNS1_3genE5ELNS1_11target_archE942ELNS1_3gpuE9ELNS1_3repE0EEENS1_30default_config_static_selectorELNS0_4arch9wavefront6targetE0EEEvT1_,comdat
	.protected	_ZN7rocprim17ROCPRIM_400000_NS6detail17trampoline_kernelINS0_14default_configENS1_27scan_by_key_config_selectorIijEEZZNS1_16scan_by_key_implILNS1_25lookback_scan_determinismE0ELb0ES3_N6thrust23THRUST_200600_302600_NS6detail15normal_iteratorINS9_10device_ptrIiEEEENSB_INSC_IjEEEESG_jNS9_4plusIvEENS9_8equal_toIvEEjEE10hipError_tPvRmT2_T3_T4_T5_mT6_T7_P12ihipStream_tbENKUlT_T0_E_clISt17integral_constantIbLb0EES11_EEDaSW_SX_EUlSW_E_NS1_11comp_targetILNS1_3genE5ELNS1_11target_archE942ELNS1_3gpuE9ELNS1_3repE0EEENS1_30default_config_static_selectorELNS0_4arch9wavefront6targetE0EEEvT1_ ; -- Begin function _ZN7rocprim17ROCPRIM_400000_NS6detail17trampoline_kernelINS0_14default_configENS1_27scan_by_key_config_selectorIijEEZZNS1_16scan_by_key_implILNS1_25lookback_scan_determinismE0ELb0ES3_N6thrust23THRUST_200600_302600_NS6detail15normal_iteratorINS9_10device_ptrIiEEEENSB_INSC_IjEEEESG_jNS9_4plusIvEENS9_8equal_toIvEEjEE10hipError_tPvRmT2_T3_T4_T5_mT6_T7_P12ihipStream_tbENKUlT_T0_E_clISt17integral_constantIbLb0EES11_EEDaSW_SX_EUlSW_E_NS1_11comp_targetILNS1_3genE5ELNS1_11target_archE942ELNS1_3gpuE9ELNS1_3repE0EEENS1_30default_config_static_selectorELNS0_4arch9wavefront6targetE0EEEvT1_
	.globl	_ZN7rocprim17ROCPRIM_400000_NS6detail17trampoline_kernelINS0_14default_configENS1_27scan_by_key_config_selectorIijEEZZNS1_16scan_by_key_implILNS1_25lookback_scan_determinismE0ELb0ES3_N6thrust23THRUST_200600_302600_NS6detail15normal_iteratorINS9_10device_ptrIiEEEENSB_INSC_IjEEEESG_jNS9_4plusIvEENS9_8equal_toIvEEjEE10hipError_tPvRmT2_T3_T4_T5_mT6_T7_P12ihipStream_tbENKUlT_T0_E_clISt17integral_constantIbLb0EES11_EEDaSW_SX_EUlSW_E_NS1_11comp_targetILNS1_3genE5ELNS1_11target_archE942ELNS1_3gpuE9ELNS1_3repE0EEENS1_30default_config_static_selectorELNS0_4arch9wavefront6targetE0EEEvT1_
	.p2align	8
	.type	_ZN7rocprim17ROCPRIM_400000_NS6detail17trampoline_kernelINS0_14default_configENS1_27scan_by_key_config_selectorIijEEZZNS1_16scan_by_key_implILNS1_25lookback_scan_determinismE0ELb0ES3_N6thrust23THRUST_200600_302600_NS6detail15normal_iteratorINS9_10device_ptrIiEEEENSB_INSC_IjEEEESG_jNS9_4plusIvEENS9_8equal_toIvEEjEE10hipError_tPvRmT2_T3_T4_T5_mT6_T7_P12ihipStream_tbENKUlT_T0_E_clISt17integral_constantIbLb0EES11_EEDaSW_SX_EUlSW_E_NS1_11comp_targetILNS1_3genE5ELNS1_11target_archE942ELNS1_3gpuE9ELNS1_3repE0EEENS1_30default_config_static_selectorELNS0_4arch9wavefront6targetE0EEEvT1_,@function
_ZN7rocprim17ROCPRIM_400000_NS6detail17trampoline_kernelINS0_14default_configENS1_27scan_by_key_config_selectorIijEEZZNS1_16scan_by_key_implILNS1_25lookback_scan_determinismE0ELb0ES3_N6thrust23THRUST_200600_302600_NS6detail15normal_iteratorINS9_10device_ptrIiEEEENSB_INSC_IjEEEESG_jNS9_4plusIvEENS9_8equal_toIvEEjEE10hipError_tPvRmT2_T3_T4_T5_mT6_T7_P12ihipStream_tbENKUlT_T0_E_clISt17integral_constantIbLb0EES11_EEDaSW_SX_EUlSW_E_NS1_11comp_targetILNS1_3genE5ELNS1_11target_archE942ELNS1_3gpuE9ELNS1_3repE0EEENS1_30default_config_static_selectorELNS0_4arch9wavefront6targetE0EEEvT1_: ; @_ZN7rocprim17ROCPRIM_400000_NS6detail17trampoline_kernelINS0_14default_configENS1_27scan_by_key_config_selectorIijEEZZNS1_16scan_by_key_implILNS1_25lookback_scan_determinismE0ELb0ES3_N6thrust23THRUST_200600_302600_NS6detail15normal_iteratorINS9_10device_ptrIiEEEENSB_INSC_IjEEEESG_jNS9_4plusIvEENS9_8equal_toIvEEjEE10hipError_tPvRmT2_T3_T4_T5_mT6_T7_P12ihipStream_tbENKUlT_T0_E_clISt17integral_constantIbLb0EES11_EEDaSW_SX_EUlSW_E_NS1_11comp_targetILNS1_3genE5ELNS1_11target_archE942ELNS1_3gpuE9ELNS1_3repE0EEENS1_30default_config_static_selectorELNS0_4arch9wavefront6targetE0EEEvT1_
; %bb.0:
	.section	.rodata,"a",@progbits
	.p2align	6, 0x0
	.amdhsa_kernel _ZN7rocprim17ROCPRIM_400000_NS6detail17trampoline_kernelINS0_14default_configENS1_27scan_by_key_config_selectorIijEEZZNS1_16scan_by_key_implILNS1_25lookback_scan_determinismE0ELb0ES3_N6thrust23THRUST_200600_302600_NS6detail15normal_iteratorINS9_10device_ptrIiEEEENSB_INSC_IjEEEESG_jNS9_4plusIvEENS9_8equal_toIvEEjEE10hipError_tPvRmT2_T3_T4_T5_mT6_T7_P12ihipStream_tbENKUlT_T0_E_clISt17integral_constantIbLb0EES11_EEDaSW_SX_EUlSW_E_NS1_11comp_targetILNS1_3genE5ELNS1_11target_archE942ELNS1_3gpuE9ELNS1_3repE0EEENS1_30default_config_static_selectorELNS0_4arch9wavefront6targetE0EEEvT1_
		.amdhsa_group_segment_fixed_size 0
		.amdhsa_private_segment_fixed_size 0
		.amdhsa_kernarg_size 112
		.amdhsa_user_sgpr_count 6
		.amdhsa_user_sgpr_private_segment_buffer 1
		.amdhsa_user_sgpr_dispatch_ptr 0
		.amdhsa_user_sgpr_queue_ptr 0
		.amdhsa_user_sgpr_kernarg_segment_ptr 1
		.amdhsa_user_sgpr_dispatch_id 0
		.amdhsa_user_sgpr_flat_scratch_init 0
		.amdhsa_user_sgpr_private_segment_size 0
		.amdhsa_wavefront_size32 1
		.amdhsa_uses_dynamic_stack 0
		.amdhsa_system_sgpr_private_segment_wavefront_offset 0
		.amdhsa_system_sgpr_workgroup_id_x 1
		.amdhsa_system_sgpr_workgroup_id_y 0
		.amdhsa_system_sgpr_workgroup_id_z 0
		.amdhsa_system_sgpr_workgroup_info 0
		.amdhsa_system_vgpr_workitem_id 0
		.amdhsa_next_free_vgpr 1
		.amdhsa_next_free_sgpr 1
		.amdhsa_reserve_vcc 0
		.amdhsa_reserve_flat_scratch 0
		.amdhsa_float_round_mode_32 0
		.amdhsa_float_round_mode_16_64 0
		.amdhsa_float_denorm_mode_32 3
		.amdhsa_float_denorm_mode_16_64 3
		.amdhsa_dx10_clamp 1
		.amdhsa_ieee_mode 1
		.amdhsa_fp16_overflow 0
		.amdhsa_workgroup_processor_mode 1
		.amdhsa_memory_ordered 1
		.amdhsa_forward_progress 1
		.amdhsa_shared_vgpr_count 0
		.amdhsa_exception_fp_ieee_invalid_op 0
		.amdhsa_exception_fp_denorm_src 0
		.amdhsa_exception_fp_ieee_div_zero 0
		.amdhsa_exception_fp_ieee_overflow 0
		.amdhsa_exception_fp_ieee_underflow 0
		.amdhsa_exception_fp_ieee_inexact 0
		.amdhsa_exception_int_div_zero 0
	.end_amdhsa_kernel
	.section	.text._ZN7rocprim17ROCPRIM_400000_NS6detail17trampoline_kernelINS0_14default_configENS1_27scan_by_key_config_selectorIijEEZZNS1_16scan_by_key_implILNS1_25lookback_scan_determinismE0ELb0ES3_N6thrust23THRUST_200600_302600_NS6detail15normal_iteratorINS9_10device_ptrIiEEEENSB_INSC_IjEEEESG_jNS9_4plusIvEENS9_8equal_toIvEEjEE10hipError_tPvRmT2_T3_T4_T5_mT6_T7_P12ihipStream_tbENKUlT_T0_E_clISt17integral_constantIbLb0EES11_EEDaSW_SX_EUlSW_E_NS1_11comp_targetILNS1_3genE5ELNS1_11target_archE942ELNS1_3gpuE9ELNS1_3repE0EEENS1_30default_config_static_selectorELNS0_4arch9wavefront6targetE0EEEvT1_,"axG",@progbits,_ZN7rocprim17ROCPRIM_400000_NS6detail17trampoline_kernelINS0_14default_configENS1_27scan_by_key_config_selectorIijEEZZNS1_16scan_by_key_implILNS1_25lookback_scan_determinismE0ELb0ES3_N6thrust23THRUST_200600_302600_NS6detail15normal_iteratorINS9_10device_ptrIiEEEENSB_INSC_IjEEEESG_jNS9_4plusIvEENS9_8equal_toIvEEjEE10hipError_tPvRmT2_T3_T4_T5_mT6_T7_P12ihipStream_tbENKUlT_T0_E_clISt17integral_constantIbLb0EES11_EEDaSW_SX_EUlSW_E_NS1_11comp_targetILNS1_3genE5ELNS1_11target_archE942ELNS1_3gpuE9ELNS1_3repE0EEENS1_30default_config_static_selectorELNS0_4arch9wavefront6targetE0EEEvT1_,comdat
.Lfunc_end1223:
	.size	_ZN7rocprim17ROCPRIM_400000_NS6detail17trampoline_kernelINS0_14default_configENS1_27scan_by_key_config_selectorIijEEZZNS1_16scan_by_key_implILNS1_25lookback_scan_determinismE0ELb0ES3_N6thrust23THRUST_200600_302600_NS6detail15normal_iteratorINS9_10device_ptrIiEEEENSB_INSC_IjEEEESG_jNS9_4plusIvEENS9_8equal_toIvEEjEE10hipError_tPvRmT2_T3_T4_T5_mT6_T7_P12ihipStream_tbENKUlT_T0_E_clISt17integral_constantIbLb0EES11_EEDaSW_SX_EUlSW_E_NS1_11comp_targetILNS1_3genE5ELNS1_11target_archE942ELNS1_3gpuE9ELNS1_3repE0EEENS1_30default_config_static_selectorELNS0_4arch9wavefront6targetE0EEEvT1_, .Lfunc_end1223-_ZN7rocprim17ROCPRIM_400000_NS6detail17trampoline_kernelINS0_14default_configENS1_27scan_by_key_config_selectorIijEEZZNS1_16scan_by_key_implILNS1_25lookback_scan_determinismE0ELb0ES3_N6thrust23THRUST_200600_302600_NS6detail15normal_iteratorINS9_10device_ptrIiEEEENSB_INSC_IjEEEESG_jNS9_4plusIvEENS9_8equal_toIvEEjEE10hipError_tPvRmT2_T3_T4_T5_mT6_T7_P12ihipStream_tbENKUlT_T0_E_clISt17integral_constantIbLb0EES11_EEDaSW_SX_EUlSW_E_NS1_11comp_targetILNS1_3genE5ELNS1_11target_archE942ELNS1_3gpuE9ELNS1_3repE0EEENS1_30default_config_static_selectorELNS0_4arch9wavefront6targetE0EEEvT1_
                                        ; -- End function
	.set _ZN7rocprim17ROCPRIM_400000_NS6detail17trampoline_kernelINS0_14default_configENS1_27scan_by_key_config_selectorIijEEZZNS1_16scan_by_key_implILNS1_25lookback_scan_determinismE0ELb0ES3_N6thrust23THRUST_200600_302600_NS6detail15normal_iteratorINS9_10device_ptrIiEEEENSB_INSC_IjEEEESG_jNS9_4plusIvEENS9_8equal_toIvEEjEE10hipError_tPvRmT2_T3_T4_T5_mT6_T7_P12ihipStream_tbENKUlT_T0_E_clISt17integral_constantIbLb0EES11_EEDaSW_SX_EUlSW_E_NS1_11comp_targetILNS1_3genE5ELNS1_11target_archE942ELNS1_3gpuE9ELNS1_3repE0EEENS1_30default_config_static_selectorELNS0_4arch9wavefront6targetE0EEEvT1_.num_vgpr, 0
	.set _ZN7rocprim17ROCPRIM_400000_NS6detail17trampoline_kernelINS0_14default_configENS1_27scan_by_key_config_selectorIijEEZZNS1_16scan_by_key_implILNS1_25lookback_scan_determinismE0ELb0ES3_N6thrust23THRUST_200600_302600_NS6detail15normal_iteratorINS9_10device_ptrIiEEEENSB_INSC_IjEEEESG_jNS9_4plusIvEENS9_8equal_toIvEEjEE10hipError_tPvRmT2_T3_T4_T5_mT6_T7_P12ihipStream_tbENKUlT_T0_E_clISt17integral_constantIbLb0EES11_EEDaSW_SX_EUlSW_E_NS1_11comp_targetILNS1_3genE5ELNS1_11target_archE942ELNS1_3gpuE9ELNS1_3repE0EEENS1_30default_config_static_selectorELNS0_4arch9wavefront6targetE0EEEvT1_.num_agpr, 0
	.set _ZN7rocprim17ROCPRIM_400000_NS6detail17trampoline_kernelINS0_14default_configENS1_27scan_by_key_config_selectorIijEEZZNS1_16scan_by_key_implILNS1_25lookback_scan_determinismE0ELb0ES3_N6thrust23THRUST_200600_302600_NS6detail15normal_iteratorINS9_10device_ptrIiEEEENSB_INSC_IjEEEESG_jNS9_4plusIvEENS9_8equal_toIvEEjEE10hipError_tPvRmT2_T3_T4_T5_mT6_T7_P12ihipStream_tbENKUlT_T0_E_clISt17integral_constantIbLb0EES11_EEDaSW_SX_EUlSW_E_NS1_11comp_targetILNS1_3genE5ELNS1_11target_archE942ELNS1_3gpuE9ELNS1_3repE0EEENS1_30default_config_static_selectorELNS0_4arch9wavefront6targetE0EEEvT1_.numbered_sgpr, 0
	.set _ZN7rocprim17ROCPRIM_400000_NS6detail17trampoline_kernelINS0_14default_configENS1_27scan_by_key_config_selectorIijEEZZNS1_16scan_by_key_implILNS1_25lookback_scan_determinismE0ELb0ES3_N6thrust23THRUST_200600_302600_NS6detail15normal_iteratorINS9_10device_ptrIiEEEENSB_INSC_IjEEEESG_jNS9_4plusIvEENS9_8equal_toIvEEjEE10hipError_tPvRmT2_T3_T4_T5_mT6_T7_P12ihipStream_tbENKUlT_T0_E_clISt17integral_constantIbLb0EES11_EEDaSW_SX_EUlSW_E_NS1_11comp_targetILNS1_3genE5ELNS1_11target_archE942ELNS1_3gpuE9ELNS1_3repE0EEENS1_30default_config_static_selectorELNS0_4arch9wavefront6targetE0EEEvT1_.num_named_barrier, 0
	.set _ZN7rocprim17ROCPRIM_400000_NS6detail17trampoline_kernelINS0_14default_configENS1_27scan_by_key_config_selectorIijEEZZNS1_16scan_by_key_implILNS1_25lookback_scan_determinismE0ELb0ES3_N6thrust23THRUST_200600_302600_NS6detail15normal_iteratorINS9_10device_ptrIiEEEENSB_INSC_IjEEEESG_jNS9_4plusIvEENS9_8equal_toIvEEjEE10hipError_tPvRmT2_T3_T4_T5_mT6_T7_P12ihipStream_tbENKUlT_T0_E_clISt17integral_constantIbLb0EES11_EEDaSW_SX_EUlSW_E_NS1_11comp_targetILNS1_3genE5ELNS1_11target_archE942ELNS1_3gpuE9ELNS1_3repE0EEENS1_30default_config_static_selectorELNS0_4arch9wavefront6targetE0EEEvT1_.private_seg_size, 0
	.set _ZN7rocprim17ROCPRIM_400000_NS6detail17trampoline_kernelINS0_14default_configENS1_27scan_by_key_config_selectorIijEEZZNS1_16scan_by_key_implILNS1_25lookback_scan_determinismE0ELb0ES3_N6thrust23THRUST_200600_302600_NS6detail15normal_iteratorINS9_10device_ptrIiEEEENSB_INSC_IjEEEESG_jNS9_4plusIvEENS9_8equal_toIvEEjEE10hipError_tPvRmT2_T3_T4_T5_mT6_T7_P12ihipStream_tbENKUlT_T0_E_clISt17integral_constantIbLb0EES11_EEDaSW_SX_EUlSW_E_NS1_11comp_targetILNS1_3genE5ELNS1_11target_archE942ELNS1_3gpuE9ELNS1_3repE0EEENS1_30default_config_static_selectorELNS0_4arch9wavefront6targetE0EEEvT1_.uses_vcc, 0
	.set _ZN7rocprim17ROCPRIM_400000_NS6detail17trampoline_kernelINS0_14default_configENS1_27scan_by_key_config_selectorIijEEZZNS1_16scan_by_key_implILNS1_25lookback_scan_determinismE0ELb0ES3_N6thrust23THRUST_200600_302600_NS6detail15normal_iteratorINS9_10device_ptrIiEEEENSB_INSC_IjEEEESG_jNS9_4plusIvEENS9_8equal_toIvEEjEE10hipError_tPvRmT2_T3_T4_T5_mT6_T7_P12ihipStream_tbENKUlT_T0_E_clISt17integral_constantIbLb0EES11_EEDaSW_SX_EUlSW_E_NS1_11comp_targetILNS1_3genE5ELNS1_11target_archE942ELNS1_3gpuE9ELNS1_3repE0EEENS1_30default_config_static_selectorELNS0_4arch9wavefront6targetE0EEEvT1_.uses_flat_scratch, 0
	.set _ZN7rocprim17ROCPRIM_400000_NS6detail17trampoline_kernelINS0_14default_configENS1_27scan_by_key_config_selectorIijEEZZNS1_16scan_by_key_implILNS1_25lookback_scan_determinismE0ELb0ES3_N6thrust23THRUST_200600_302600_NS6detail15normal_iteratorINS9_10device_ptrIiEEEENSB_INSC_IjEEEESG_jNS9_4plusIvEENS9_8equal_toIvEEjEE10hipError_tPvRmT2_T3_T4_T5_mT6_T7_P12ihipStream_tbENKUlT_T0_E_clISt17integral_constantIbLb0EES11_EEDaSW_SX_EUlSW_E_NS1_11comp_targetILNS1_3genE5ELNS1_11target_archE942ELNS1_3gpuE9ELNS1_3repE0EEENS1_30default_config_static_selectorELNS0_4arch9wavefront6targetE0EEEvT1_.has_dyn_sized_stack, 0
	.set _ZN7rocprim17ROCPRIM_400000_NS6detail17trampoline_kernelINS0_14default_configENS1_27scan_by_key_config_selectorIijEEZZNS1_16scan_by_key_implILNS1_25lookback_scan_determinismE0ELb0ES3_N6thrust23THRUST_200600_302600_NS6detail15normal_iteratorINS9_10device_ptrIiEEEENSB_INSC_IjEEEESG_jNS9_4plusIvEENS9_8equal_toIvEEjEE10hipError_tPvRmT2_T3_T4_T5_mT6_T7_P12ihipStream_tbENKUlT_T0_E_clISt17integral_constantIbLb0EES11_EEDaSW_SX_EUlSW_E_NS1_11comp_targetILNS1_3genE5ELNS1_11target_archE942ELNS1_3gpuE9ELNS1_3repE0EEENS1_30default_config_static_selectorELNS0_4arch9wavefront6targetE0EEEvT1_.has_recursion, 0
	.set _ZN7rocprim17ROCPRIM_400000_NS6detail17trampoline_kernelINS0_14default_configENS1_27scan_by_key_config_selectorIijEEZZNS1_16scan_by_key_implILNS1_25lookback_scan_determinismE0ELb0ES3_N6thrust23THRUST_200600_302600_NS6detail15normal_iteratorINS9_10device_ptrIiEEEENSB_INSC_IjEEEESG_jNS9_4plusIvEENS9_8equal_toIvEEjEE10hipError_tPvRmT2_T3_T4_T5_mT6_T7_P12ihipStream_tbENKUlT_T0_E_clISt17integral_constantIbLb0EES11_EEDaSW_SX_EUlSW_E_NS1_11comp_targetILNS1_3genE5ELNS1_11target_archE942ELNS1_3gpuE9ELNS1_3repE0EEENS1_30default_config_static_selectorELNS0_4arch9wavefront6targetE0EEEvT1_.has_indirect_call, 0
	.section	.AMDGPU.csdata,"",@progbits
; Kernel info:
; codeLenInByte = 0
; TotalNumSgprs: 0
; NumVgprs: 0
; ScratchSize: 0
; MemoryBound: 0
; FloatMode: 240
; IeeeMode: 1
; LDSByteSize: 0 bytes/workgroup (compile time only)
; SGPRBlocks: 0
; VGPRBlocks: 0
; NumSGPRsForWavesPerEU: 1
; NumVGPRsForWavesPerEU: 1
; Occupancy: 16
; WaveLimiterHint : 0
; COMPUTE_PGM_RSRC2:SCRATCH_EN: 0
; COMPUTE_PGM_RSRC2:USER_SGPR: 6
; COMPUTE_PGM_RSRC2:TRAP_HANDLER: 0
; COMPUTE_PGM_RSRC2:TGID_X_EN: 1
; COMPUTE_PGM_RSRC2:TGID_Y_EN: 0
; COMPUTE_PGM_RSRC2:TGID_Z_EN: 0
; COMPUTE_PGM_RSRC2:TIDIG_COMP_CNT: 0
	.section	.text._ZN7rocprim17ROCPRIM_400000_NS6detail17trampoline_kernelINS0_14default_configENS1_27scan_by_key_config_selectorIijEEZZNS1_16scan_by_key_implILNS1_25lookback_scan_determinismE0ELb0ES3_N6thrust23THRUST_200600_302600_NS6detail15normal_iteratorINS9_10device_ptrIiEEEENSB_INSC_IjEEEESG_jNS9_4plusIvEENS9_8equal_toIvEEjEE10hipError_tPvRmT2_T3_T4_T5_mT6_T7_P12ihipStream_tbENKUlT_T0_E_clISt17integral_constantIbLb0EES11_EEDaSW_SX_EUlSW_E_NS1_11comp_targetILNS1_3genE4ELNS1_11target_archE910ELNS1_3gpuE8ELNS1_3repE0EEENS1_30default_config_static_selectorELNS0_4arch9wavefront6targetE0EEEvT1_,"axG",@progbits,_ZN7rocprim17ROCPRIM_400000_NS6detail17trampoline_kernelINS0_14default_configENS1_27scan_by_key_config_selectorIijEEZZNS1_16scan_by_key_implILNS1_25lookback_scan_determinismE0ELb0ES3_N6thrust23THRUST_200600_302600_NS6detail15normal_iteratorINS9_10device_ptrIiEEEENSB_INSC_IjEEEESG_jNS9_4plusIvEENS9_8equal_toIvEEjEE10hipError_tPvRmT2_T3_T4_T5_mT6_T7_P12ihipStream_tbENKUlT_T0_E_clISt17integral_constantIbLb0EES11_EEDaSW_SX_EUlSW_E_NS1_11comp_targetILNS1_3genE4ELNS1_11target_archE910ELNS1_3gpuE8ELNS1_3repE0EEENS1_30default_config_static_selectorELNS0_4arch9wavefront6targetE0EEEvT1_,comdat
	.protected	_ZN7rocprim17ROCPRIM_400000_NS6detail17trampoline_kernelINS0_14default_configENS1_27scan_by_key_config_selectorIijEEZZNS1_16scan_by_key_implILNS1_25lookback_scan_determinismE0ELb0ES3_N6thrust23THRUST_200600_302600_NS6detail15normal_iteratorINS9_10device_ptrIiEEEENSB_INSC_IjEEEESG_jNS9_4plusIvEENS9_8equal_toIvEEjEE10hipError_tPvRmT2_T3_T4_T5_mT6_T7_P12ihipStream_tbENKUlT_T0_E_clISt17integral_constantIbLb0EES11_EEDaSW_SX_EUlSW_E_NS1_11comp_targetILNS1_3genE4ELNS1_11target_archE910ELNS1_3gpuE8ELNS1_3repE0EEENS1_30default_config_static_selectorELNS0_4arch9wavefront6targetE0EEEvT1_ ; -- Begin function _ZN7rocprim17ROCPRIM_400000_NS6detail17trampoline_kernelINS0_14default_configENS1_27scan_by_key_config_selectorIijEEZZNS1_16scan_by_key_implILNS1_25lookback_scan_determinismE0ELb0ES3_N6thrust23THRUST_200600_302600_NS6detail15normal_iteratorINS9_10device_ptrIiEEEENSB_INSC_IjEEEESG_jNS9_4plusIvEENS9_8equal_toIvEEjEE10hipError_tPvRmT2_T3_T4_T5_mT6_T7_P12ihipStream_tbENKUlT_T0_E_clISt17integral_constantIbLb0EES11_EEDaSW_SX_EUlSW_E_NS1_11comp_targetILNS1_3genE4ELNS1_11target_archE910ELNS1_3gpuE8ELNS1_3repE0EEENS1_30default_config_static_selectorELNS0_4arch9wavefront6targetE0EEEvT1_
	.globl	_ZN7rocprim17ROCPRIM_400000_NS6detail17trampoline_kernelINS0_14default_configENS1_27scan_by_key_config_selectorIijEEZZNS1_16scan_by_key_implILNS1_25lookback_scan_determinismE0ELb0ES3_N6thrust23THRUST_200600_302600_NS6detail15normal_iteratorINS9_10device_ptrIiEEEENSB_INSC_IjEEEESG_jNS9_4plusIvEENS9_8equal_toIvEEjEE10hipError_tPvRmT2_T3_T4_T5_mT6_T7_P12ihipStream_tbENKUlT_T0_E_clISt17integral_constantIbLb0EES11_EEDaSW_SX_EUlSW_E_NS1_11comp_targetILNS1_3genE4ELNS1_11target_archE910ELNS1_3gpuE8ELNS1_3repE0EEENS1_30default_config_static_selectorELNS0_4arch9wavefront6targetE0EEEvT1_
	.p2align	8
	.type	_ZN7rocprim17ROCPRIM_400000_NS6detail17trampoline_kernelINS0_14default_configENS1_27scan_by_key_config_selectorIijEEZZNS1_16scan_by_key_implILNS1_25lookback_scan_determinismE0ELb0ES3_N6thrust23THRUST_200600_302600_NS6detail15normal_iteratorINS9_10device_ptrIiEEEENSB_INSC_IjEEEESG_jNS9_4plusIvEENS9_8equal_toIvEEjEE10hipError_tPvRmT2_T3_T4_T5_mT6_T7_P12ihipStream_tbENKUlT_T0_E_clISt17integral_constantIbLb0EES11_EEDaSW_SX_EUlSW_E_NS1_11comp_targetILNS1_3genE4ELNS1_11target_archE910ELNS1_3gpuE8ELNS1_3repE0EEENS1_30default_config_static_selectorELNS0_4arch9wavefront6targetE0EEEvT1_,@function
_ZN7rocprim17ROCPRIM_400000_NS6detail17trampoline_kernelINS0_14default_configENS1_27scan_by_key_config_selectorIijEEZZNS1_16scan_by_key_implILNS1_25lookback_scan_determinismE0ELb0ES3_N6thrust23THRUST_200600_302600_NS6detail15normal_iteratorINS9_10device_ptrIiEEEENSB_INSC_IjEEEESG_jNS9_4plusIvEENS9_8equal_toIvEEjEE10hipError_tPvRmT2_T3_T4_T5_mT6_T7_P12ihipStream_tbENKUlT_T0_E_clISt17integral_constantIbLb0EES11_EEDaSW_SX_EUlSW_E_NS1_11comp_targetILNS1_3genE4ELNS1_11target_archE910ELNS1_3gpuE8ELNS1_3repE0EEENS1_30default_config_static_selectorELNS0_4arch9wavefront6targetE0EEEvT1_: ; @_ZN7rocprim17ROCPRIM_400000_NS6detail17trampoline_kernelINS0_14default_configENS1_27scan_by_key_config_selectorIijEEZZNS1_16scan_by_key_implILNS1_25lookback_scan_determinismE0ELb0ES3_N6thrust23THRUST_200600_302600_NS6detail15normal_iteratorINS9_10device_ptrIiEEEENSB_INSC_IjEEEESG_jNS9_4plusIvEENS9_8equal_toIvEEjEE10hipError_tPvRmT2_T3_T4_T5_mT6_T7_P12ihipStream_tbENKUlT_T0_E_clISt17integral_constantIbLb0EES11_EEDaSW_SX_EUlSW_E_NS1_11comp_targetILNS1_3genE4ELNS1_11target_archE910ELNS1_3gpuE8ELNS1_3repE0EEENS1_30default_config_static_selectorELNS0_4arch9wavefront6targetE0EEEvT1_
; %bb.0:
	.section	.rodata,"a",@progbits
	.p2align	6, 0x0
	.amdhsa_kernel _ZN7rocprim17ROCPRIM_400000_NS6detail17trampoline_kernelINS0_14default_configENS1_27scan_by_key_config_selectorIijEEZZNS1_16scan_by_key_implILNS1_25lookback_scan_determinismE0ELb0ES3_N6thrust23THRUST_200600_302600_NS6detail15normal_iteratorINS9_10device_ptrIiEEEENSB_INSC_IjEEEESG_jNS9_4plusIvEENS9_8equal_toIvEEjEE10hipError_tPvRmT2_T3_T4_T5_mT6_T7_P12ihipStream_tbENKUlT_T0_E_clISt17integral_constantIbLb0EES11_EEDaSW_SX_EUlSW_E_NS1_11comp_targetILNS1_3genE4ELNS1_11target_archE910ELNS1_3gpuE8ELNS1_3repE0EEENS1_30default_config_static_selectorELNS0_4arch9wavefront6targetE0EEEvT1_
		.amdhsa_group_segment_fixed_size 0
		.amdhsa_private_segment_fixed_size 0
		.amdhsa_kernarg_size 112
		.amdhsa_user_sgpr_count 6
		.amdhsa_user_sgpr_private_segment_buffer 1
		.amdhsa_user_sgpr_dispatch_ptr 0
		.amdhsa_user_sgpr_queue_ptr 0
		.amdhsa_user_sgpr_kernarg_segment_ptr 1
		.amdhsa_user_sgpr_dispatch_id 0
		.amdhsa_user_sgpr_flat_scratch_init 0
		.amdhsa_user_sgpr_private_segment_size 0
		.amdhsa_wavefront_size32 1
		.amdhsa_uses_dynamic_stack 0
		.amdhsa_system_sgpr_private_segment_wavefront_offset 0
		.amdhsa_system_sgpr_workgroup_id_x 1
		.amdhsa_system_sgpr_workgroup_id_y 0
		.amdhsa_system_sgpr_workgroup_id_z 0
		.amdhsa_system_sgpr_workgroup_info 0
		.amdhsa_system_vgpr_workitem_id 0
		.amdhsa_next_free_vgpr 1
		.amdhsa_next_free_sgpr 1
		.amdhsa_reserve_vcc 0
		.amdhsa_reserve_flat_scratch 0
		.amdhsa_float_round_mode_32 0
		.amdhsa_float_round_mode_16_64 0
		.amdhsa_float_denorm_mode_32 3
		.amdhsa_float_denorm_mode_16_64 3
		.amdhsa_dx10_clamp 1
		.amdhsa_ieee_mode 1
		.amdhsa_fp16_overflow 0
		.amdhsa_workgroup_processor_mode 1
		.amdhsa_memory_ordered 1
		.amdhsa_forward_progress 1
		.amdhsa_shared_vgpr_count 0
		.amdhsa_exception_fp_ieee_invalid_op 0
		.amdhsa_exception_fp_denorm_src 0
		.amdhsa_exception_fp_ieee_div_zero 0
		.amdhsa_exception_fp_ieee_overflow 0
		.amdhsa_exception_fp_ieee_underflow 0
		.amdhsa_exception_fp_ieee_inexact 0
		.amdhsa_exception_int_div_zero 0
	.end_amdhsa_kernel
	.section	.text._ZN7rocprim17ROCPRIM_400000_NS6detail17trampoline_kernelINS0_14default_configENS1_27scan_by_key_config_selectorIijEEZZNS1_16scan_by_key_implILNS1_25lookback_scan_determinismE0ELb0ES3_N6thrust23THRUST_200600_302600_NS6detail15normal_iteratorINS9_10device_ptrIiEEEENSB_INSC_IjEEEESG_jNS9_4plusIvEENS9_8equal_toIvEEjEE10hipError_tPvRmT2_T3_T4_T5_mT6_T7_P12ihipStream_tbENKUlT_T0_E_clISt17integral_constantIbLb0EES11_EEDaSW_SX_EUlSW_E_NS1_11comp_targetILNS1_3genE4ELNS1_11target_archE910ELNS1_3gpuE8ELNS1_3repE0EEENS1_30default_config_static_selectorELNS0_4arch9wavefront6targetE0EEEvT1_,"axG",@progbits,_ZN7rocprim17ROCPRIM_400000_NS6detail17trampoline_kernelINS0_14default_configENS1_27scan_by_key_config_selectorIijEEZZNS1_16scan_by_key_implILNS1_25lookback_scan_determinismE0ELb0ES3_N6thrust23THRUST_200600_302600_NS6detail15normal_iteratorINS9_10device_ptrIiEEEENSB_INSC_IjEEEESG_jNS9_4plusIvEENS9_8equal_toIvEEjEE10hipError_tPvRmT2_T3_T4_T5_mT6_T7_P12ihipStream_tbENKUlT_T0_E_clISt17integral_constantIbLb0EES11_EEDaSW_SX_EUlSW_E_NS1_11comp_targetILNS1_3genE4ELNS1_11target_archE910ELNS1_3gpuE8ELNS1_3repE0EEENS1_30default_config_static_selectorELNS0_4arch9wavefront6targetE0EEEvT1_,comdat
.Lfunc_end1224:
	.size	_ZN7rocprim17ROCPRIM_400000_NS6detail17trampoline_kernelINS0_14default_configENS1_27scan_by_key_config_selectorIijEEZZNS1_16scan_by_key_implILNS1_25lookback_scan_determinismE0ELb0ES3_N6thrust23THRUST_200600_302600_NS6detail15normal_iteratorINS9_10device_ptrIiEEEENSB_INSC_IjEEEESG_jNS9_4plusIvEENS9_8equal_toIvEEjEE10hipError_tPvRmT2_T3_T4_T5_mT6_T7_P12ihipStream_tbENKUlT_T0_E_clISt17integral_constantIbLb0EES11_EEDaSW_SX_EUlSW_E_NS1_11comp_targetILNS1_3genE4ELNS1_11target_archE910ELNS1_3gpuE8ELNS1_3repE0EEENS1_30default_config_static_selectorELNS0_4arch9wavefront6targetE0EEEvT1_, .Lfunc_end1224-_ZN7rocprim17ROCPRIM_400000_NS6detail17trampoline_kernelINS0_14default_configENS1_27scan_by_key_config_selectorIijEEZZNS1_16scan_by_key_implILNS1_25lookback_scan_determinismE0ELb0ES3_N6thrust23THRUST_200600_302600_NS6detail15normal_iteratorINS9_10device_ptrIiEEEENSB_INSC_IjEEEESG_jNS9_4plusIvEENS9_8equal_toIvEEjEE10hipError_tPvRmT2_T3_T4_T5_mT6_T7_P12ihipStream_tbENKUlT_T0_E_clISt17integral_constantIbLb0EES11_EEDaSW_SX_EUlSW_E_NS1_11comp_targetILNS1_3genE4ELNS1_11target_archE910ELNS1_3gpuE8ELNS1_3repE0EEENS1_30default_config_static_selectorELNS0_4arch9wavefront6targetE0EEEvT1_
                                        ; -- End function
	.set _ZN7rocprim17ROCPRIM_400000_NS6detail17trampoline_kernelINS0_14default_configENS1_27scan_by_key_config_selectorIijEEZZNS1_16scan_by_key_implILNS1_25lookback_scan_determinismE0ELb0ES3_N6thrust23THRUST_200600_302600_NS6detail15normal_iteratorINS9_10device_ptrIiEEEENSB_INSC_IjEEEESG_jNS9_4plusIvEENS9_8equal_toIvEEjEE10hipError_tPvRmT2_T3_T4_T5_mT6_T7_P12ihipStream_tbENKUlT_T0_E_clISt17integral_constantIbLb0EES11_EEDaSW_SX_EUlSW_E_NS1_11comp_targetILNS1_3genE4ELNS1_11target_archE910ELNS1_3gpuE8ELNS1_3repE0EEENS1_30default_config_static_selectorELNS0_4arch9wavefront6targetE0EEEvT1_.num_vgpr, 0
	.set _ZN7rocprim17ROCPRIM_400000_NS6detail17trampoline_kernelINS0_14default_configENS1_27scan_by_key_config_selectorIijEEZZNS1_16scan_by_key_implILNS1_25lookback_scan_determinismE0ELb0ES3_N6thrust23THRUST_200600_302600_NS6detail15normal_iteratorINS9_10device_ptrIiEEEENSB_INSC_IjEEEESG_jNS9_4plusIvEENS9_8equal_toIvEEjEE10hipError_tPvRmT2_T3_T4_T5_mT6_T7_P12ihipStream_tbENKUlT_T0_E_clISt17integral_constantIbLb0EES11_EEDaSW_SX_EUlSW_E_NS1_11comp_targetILNS1_3genE4ELNS1_11target_archE910ELNS1_3gpuE8ELNS1_3repE0EEENS1_30default_config_static_selectorELNS0_4arch9wavefront6targetE0EEEvT1_.num_agpr, 0
	.set _ZN7rocprim17ROCPRIM_400000_NS6detail17trampoline_kernelINS0_14default_configENS1_27scan_by_key_config_selectorIijEEZZNS1_16scan_by_key_implILNS1_25lookback_scan_determinismE0ELb0ES3_N6thrust23THRUST_200600_302600_NS6detail15normal_iteratorINS9_10device_ptrIiEEEENSB_INSC_IjEEEESG_jNS9_4plusIvEENS9_8equal_toIvEEjEE10hipError_tPvRmT2_T3_T4_T5_mT6_T7_P12ihipStream_tbENKUlT_T0_E_clISt17integral_constantIbLb0EES11_EEDaSW_SX_EUlSW_E_NS1_11comp_targetILNS1_3genE4ELNS1_11target_archE910ELNS1_3gpuE8ELNS1_3repE0EEENS1_30default_config_static_selectorELNS0_4arch9wavefront6targetE0EEEvT1_.numbered_sgpr, 0
	.set _ZN7rocprim17ROCPRIM_400000_NS6detail17trampoline_kernelINS0_14default_configENS1_27scan_by_key_config_selectorIijEEZZNS1_16scan_by_key_implILNS1_25lookback_scan_determinismE0ELb0ES3_N6thrust23THRUST_200600_302600_NS6detail15normal_iteratorINS9_10device_ptrIiEEEENSB_INSC_IjEEEESG_jNS9_4plusIvEENS9_8equal_toIvEEjEE10hipError_tPvRmT2_T3_T4_T5_mT6_T7_P12ihipStream_tbENKUlT_T0_E_clISt17integral_constantIbLb0EES11_EEDaSW_SX_EUlSW_E_NS1_11comp_targetILNS1_3genE4ELNS1_11target_archE910ELNS1_3gpuE8ELNS1_3repE0EEENS1_30default_config_static_selectorELNS0_4arch9wavefront6targetE0EEEvT1_.num_named_barrier, 0
	.set _ZN7rocprim17ROCPRIM_400000_NS6detail17trampoline_kernelINS0_14default_configENS1_27scan_by_key_config_selectorIijEEZZNS1_16scan_by_key_implILNS1_25lookback_scan_determinismE0ELb0ES3_N6thrust23THRUST_200600_302600_NS6detail15normal_iteratorINS9_10device_ptrIiEEEENSB_INSC_IjEEEESG_jNS9_4plusIvEENS9_8equal_toIvEEjEE10hipError_tPvRmT2_T3_T4_T5_mT6_T7_P12ihipStream_tbENKUlT_T0_E_clISt17integral_constantIbLb0EES11_EEDaSW_SX_EUlSW_E_NS1_11comp_targetILNS1_3genE4ELNS1_11target_archE910ELNS1_3gpuE8ELNS1_3repE0EEENS1_30default_config_static_selectorELNS0_4arch9wavefront6targetE0EEEvT1_.private_seg_size, 0
	.set _ZN7rocprim17ROCPRIM_400000_NS6detail17trampoline_kernelINS0_14default_configENS1_27scan_by_key_config_selectorIijEEZZNS1_16scan_by_key_implILNS1_25lookback_scan_determinismE0ELb0ES3_N6thrust23THRUST_200600_302600_NS6detail15normal_iteratorINS9_10device_ptrIiEEEENSB_INSC_IjEEEESG_jNS9_4plusIvEENS9_8equal_toIvEEjEE10hipError_tPvRmT2_T3_T4_T5_mT6_T7_P12ihipStream_tbENKUlT_T0_E_clISt17integral_constantIbLb0EES11_EEDaSW_SX_EUlSW_E_NS1_11comp_targetILNS1_3genE4ELNS1_11target_archE910ELNS1_3gpuE8ELNS1_3repE0EEENS1_30default_config_static_selectorELNS0_4arch9wavefront6targetE0EEEvT1_.uses_vcc, 0
	.set _ZN7rocprim17ROCPRIM_400000_NS6detail17trampoline_kernelINS0_14default_configENS1_27scan_by_key_config_selectorIijEEZZNS1_16scan_by_key_implILNS1_25lookback_scan_determinismE0ELb0ES3_N6thrust23THRUST_200600_302600_NS6detail15normal_iteratorINS9_10device_ptrIiEEEENSB_INSC_IjEEEESG_jNS9_4plusIvEENS9_8equal_toIvEEjEE10hipError_tPvRmT2_T3_T4_T5_mT6_T7_P12ihipStream_tbENKUlT_T0_E_clISt17integral_constantIbLb0EES11_EEDaSW_SX_EUlSW_E_NS1_11comp_targetILNS1_3genE4ELNS1_11target_archE910ELNS1_3gpuE8ELNS1_3repE0EEENS1_30default_config_static_selectorELNS0_4arch9wavefront6targetE0EEEvT1_.uses_flat_scratch, 0
	.set _ZN7rocprim17ROCPRIM_400000_NS6detail17trampoline_kernelINS0_14default_configENS1_27scan_by_key_config_selectorIijEEZZNS1_16scan_by_key_implILNS1_25lookback_scan_determinismE0ELb0ES3_N6thrust23THRUST_200600_302600_NS6detail15normal_iteratorINS9_10device_ptrIiEEEENSB_INSC_IjEEEESG_jNS9_4plusIvEENS9_8equal_toIvEEjEE10hipError_tPvRmT2_T3_T4_T5_mT6_T7_P12ihipStream_tbENKUlT_T0_E_clISt17integral_constantIbLb0EES11_EEDaSW_SX_EUlSW_E_NS1_11comp_targetILNS1_3genE4ELNS1_11target_archE910ELNS1_3gpuE8ELNS1_3repE0EEENS1_30default_config_static_selectorELNS0_4arch9wavefront6targetE0EEEvT1_.has_dyn_sized_stack, 0
	.set _ZN7rocprim17ROCPRIM_400000_NS6detail17trampoline_kernelINS0_14default_configENS1_27scan_by_key_config_selectorIijEEZZNS1_16scan_by_key_implILNS1_25lookback_scan_determinismE0ELb0ES3_N6thrust23THRUST_200600_302600_NS6detail15normal_iteratorINS9_10device_ptrIiEEEENSB_INSC_IjEEEESG_jNS9_4plusIvEENS9_8equal_toIvEEjEE10hipError_tPvRmT2_T3_T4_T5_mT6_T7_P12ihipStream_tbENKUlT_T0_E_clISt17integral_constantIbLb0EES11_EEDaSW_SX_EUlSW_E_NS1_11comp_targetILNS1_3genE4ELNS1_11target_archE910ELNS1_3gpuE8ELNS1_3repE0EEENS1_30default_config_static_selectorELNS0_4arch9wavefront6targetE0EEEvT1_.has_recursion, 0
	.set _ZN7rocprim17ROCPRIM_400000_NS6detail17trampoline_kernelINS0_14default_configENS1_27scan_by_key_config_selectorIijEEZZNS1_16scan_by_key_implILNS1_25lookback_scan_determinismE0ELb0ES3_N6thrust23THRUST_200600_302600_NS6detail15normal_iteratorINS9_10device_ptrIiEEEENSB_INSC_IjEEEESG_jNS9_4plusIvEENS9_8equal_toIvEEjEE10hipError_tPvRmT2_T3_T4_T5_mT6_T7_P12ihipStream_tbENKUlT_T0_E_clISt17integral_constantIbLb0EES11_EEDaSW_SX_EUlSW_E_NS1_11comp_targetILNS1_3genE4ELNS1_11target_archE910ELNS1_3gpuE8ELNS1_3repE0EEENS1_30default_config_static_selectorELNS0_4arch9wavefront6targetE0EEEvT1_.has_indirect_call, 0
	.section	.AMDGPU.csdata,"",@progbits
; Kernel info:
; codeLenInByte = 0
; TotalNumSgprs: 0
; NumVgprs: 0
; ScratchSize: 0
; MemoryBound: 0
; FloatMode: 240
; IeeeMode: 1
; LDSByteSize: 0 bytes/workgroup (compile time only)
; SGPRBlocks: 0
; VGPRBlocks: 0
; NumSGPRsForWavesPerEU: 1
; NumVGPRsForWavesPerEU: 1
; Occupancy: 16
; WaveLimiterHint : 0
; COMPUTE_PGM_RSRC2:SCRATCH_EN: 0
; COMPUTE_PGM_RSRC2:USER_SGPR: 6
; COMPUTE_PGM_RSRC2:TRAP_HANDLER: 0
; COMPUTE_PGM_RSRC2:TGID_X_EN: 1
; COMPUTE_PGM_RSRC2:TGID_Y_EN: 0
; COMPUTE_PGM_RSRC2:TGID_Z_EN: 0
; COMPUTE_PGM_RSRC2:TIDIG_COMP_CNT: 0
	.section	.text._ZN7rocprim17ROCPRIM_400000_NS6detail17trampoline_kernelINS0_14default_configENS1_27scan_by_key_config_selectorIijEEZZNS1_16scan_by_key_implILNS1_25lookback_scan_determinismE0ELb0ES3_N6thrust23THRUST_200600_302600_NS6detail15normal_iteratorINS9_10device_ptrIiEEEENSB_INSC_IjEEEESG_jNS9_4plusIvEENS9_8equal_toIvEEjEE10hipError_tPvRmT2_T3_T4_T5_mT6_T7_P12ihipStream_tbENKUlT_T0_E_clISt17integral_constantIbLb0EES11_EEDaSW_SX_EUlSW_E_NS1_11comp_targetILNS1_3genE3ELNS1_11target_archE908ELNS1_3gpuE7ELNS1_3repE0EEENS1_30default_config_static_selectorELNS0_4arch9wavefront6targetE0EEEvT1_,"axG",@progbits,_ZN7rocprim17ROCPRIM_400000_NS6detail17trampoline_kernelINS0_14default_configENS1_27scan_by_key_config_selectorIijEEZZNS1_16scan_by_key_implILNS1_25lookback_scan_determinismE0ELb0ES3_N6thrust23THRUST_200600_302600_NS6detail15normal_iteratorINS9_10device_ptrIiEEEENSB_INSC_IjEEEESG_jNS9_4plusIvEENS9_8equal_toIvEEjEE10hipError_tPvRmT2_T3_T4_T5_mT6_T7_P12ihipStream_tbENKUlT_T0_E_clISt17integral_constantIbLb0EES11_EEDaSW_SX_EUlSW_E_NS1_11comp_targetILNS1_3genE3ELNS1_11target_archE908ELNS1_3gpuE7ELNS1_3repE0EEENS1_30default_config_static_selectorELNS0_4arch9wavefront6targetE0EEEvT1_,comdat
	.protected	_ZN7rocprim17ROCPRIM_400000_NS6detail17trampoline_kernelINS0_14default_configENS1_27scan_by_key_config_selectorIijEEZZNS1_16scan_by_key_implILNS1_25lookback_scan_determinismE0ELb0ES3_N6thrust23THRUST_200600_302600_NS6detail15normal_iteratorINS9_10device_ptrIiEEEENSB_INSC_IjEEEESG_jNS9_4plusIvEENS9_8equal_toIvEEjEE10hipError_tPvRmT2_T3_T4_T5_mT6_T7_P12ihipStream_tbENKUlT_T0_E_clISt17integral_constantIbLb0EES11_EEDaSW_SX_EUlSW_E_NS1_11comp_targetILNS1_3genE3ELNS1_11target_archE908ELNS1_3gpuE7ELNS1_3repE0EEENS1_30default_config_static_selectorELNS0_4arch9wavefront6targetE0EEEvT1_ ; -- Begin function _ZN7rocprim17ROCPRIM_400000_NS6detail17trampoline_kernelINS0_14default_configENS1_27scan_by_key_config_selectorIijEEZZNS1_16scan_by_key_implILNS1_25lookback_scan_determinismE0ELb0ES3_N6thrust23THRUST_200600_302600_NS6detail15normal_iteratorINS9_10device_ptrIiEEEENSB_INSC_IjEEEESG_jNS9_4plusIvEENS9_8equal_toIvEEjEE10hipError_tPvRmT2_T3_T4_T5_mT6_T7_P12ihipStream_tbENKUlT_T0_E_clISt17integral_constantIbLb0EES11_EEDaSW_SX_EUlSW_E_NS1_11comp_targetILNS1_3genE3ELNS1_11target_archE908ELNS1_3gpuE7ELNS1_3repE0EEENS1_30default_config_static_selectorELNS0_4arch9wavefront6targetE0EEEvT1_
	.globl	_ZN7rocprim17ROCPRIM_400000_NS6detail17trampoline_kernelINS0_14default_configENS1_27scan_by_key_config_selectorIijEEZZNS1_16scan_by_key_implILNS1_25lookback_scan_determinismE0ELb0ES3_N6thrust23THRUST_200600_302600_NS6detail15normal_iteratorINS9_10device_ptrIiEEEENSB_INSC_IjEEEESG_jNS9_4plusIvEENS9_8equal_toIvEEjEE10hipError_tPvRmT2_T3_T4_T5_mT6_T7_P12ihipStream_tbENKUlT_T0_E_clISt17integral_constantIbLb0EES11_EEDaSW_SX_EUlSW_E_NS1_11comp_targetILNS1_3genE3ELNS1_11target_archE908ELNS1_3gpuE7ELNS1_3repE0EEENS1_30default_config_static_selectorELNS0_4arch9wavefront6targetE0EEEvT1_
	.p2align	8
	.type	_ZN7rocprim17ROCPRIM_400000_NS6detail17trampoline_kernelINS0_14default_configENS1_27scan_by_key_config_selectorIijEEZZNS1_16scan_by_key_implILNS1_25lookback_scan_determinismE0ELb0ES3_N6thrust23THRUST_200600_302600_NS6detail15normal_iteratorINS9_10device_ptrIiEEEENSB_INSC_IjEEEESG_jNS9_4plusIvEENS9_8equal_toIvEEjEE10hipError_tPvRmT2_T3_T4_T5_mT6_T7_P12ihipStream_tbENKUlT_T0_E_clISt17integral_constantIbLb0EES11_EEDaSW_SX_EUlSW_E_NS1_11comp_targetILNS1_3genE3ELNS1_11target_archE908ELNS1_3gpuE7ELNS1_3repE0EEENS1_30default_config_static_selectorELNS0_4arch9wavefront6targetE0EEEvT1_,@function
_ZN7rocprim17ROCPRIM_400000_NS6detail17trampoline_kernelINS0_14default_configENS1_27scan_by_key_config_selectorIijEEZZNS1_16scan_by_key_implILNS1_25lookback_scan_determinismE0ELb0ES3_N6thrust23THRUST_200600_302600_NS6detail15normal_iteratorINS9_10device_ptrIiEEEENSB_INSC_IjEEEESG_jNS9_4plusIvEENS9_8equal_toIvEEjEE10hipError_tPvRmT2_T3_T4_T5_mT6_T7_P12ihipStream_tbENKUlT_T0_E_clISt17integral_constantIbLb0EES11_EEDaSW_SX_EUlSW_E_NS1_11comp_targetILNS1_3genE3ELNS1_11target_archE908ELNS1_3gpuE7ELNS1_3repE0EEENS1_30default_config_static_selectorELNS0_4arch9wavefront6targetE0EEEvT1_: ; @_ZN7rocprim17ROCPRIM_400000_NS6detail17trampoline_kernelINS0_14default_configENS1_27scan_by_key_config_selectorIijEEZZNS1_16scan_by_key_implILNS1_25lookback_scan_determinismE0ELb0ES3_N6thrust23THRUST_200600_302600_NS6detail15normal_iteratorINS9_10device_ptrIiEEEENSB_INSC_IjEEEESG_jNS9_4plusIvEENS9_8equal_toIvEEjEE10hipError_tPvRmT2_T3_T4_T5_mT6_T7_P12ihipStream_tbENKUlT_T0_E_clISt17integral_constantIbLb0EES11_EEDaSW_SX_EUlSW_E_NS1_11comp_targetILNS1_3genE3ELNS1_11target_archE908ELNS1_3gpuE7ELNS1_3repE0EEENS1_30default_config_static_selectorELNS0_4arch9wavefront6targetE0EEEvT1_
; %bb.0:
	.section	.rodata,"a",@progbits
	.p2align	6, 0x0
	.amdhsa_kernel _ZN7rocprim17ROCPRIM_400000_NS6detail17trampoline_kernelINS0_14default_configENS1_27scan_by_key_config_selectorIijEEZZNS1_16scan_by_key_implILNS1_25lookback_scan_determinismE0ELb0ES3_N6thrust23THRUST_200600_302600_NS6detail15normal_iteratorINS9_10device_ptrIiEEEENSB_INSC_IjEEEESG_jNS9_4plusIvEENS9_8equal_toIvEEjEE10hipError_tPvRmT2_T3_T4_T5_mT6_T7_P12ihipStream_tbENKUlT_T0_E_clISt17integral_constantIbLb0EES11_EEDaSW_SX_EUlSW_E_NS1_11comp_targetILNS1_3genE3ELNS1_11target_archE908ELNS1_3gpuE7ELNS1_3repE0EEENS1_30default_config_static_selectorELNS0_4arch9wavefront6targetE0EEEvT1_
		.amdhsa_group_segment_fixed_size 0
		.amdhsa_private_segment_fixed_size 0
		.amdhsa_kernarg_size 112
		.amdhsa_user_sgpr_count 6
		.amdhsa_user_sgpr_private_segment_buffer 1
		.amdhsa_user_sgpr_dispatch_ptr 0
		.amdhsa_user_sgpr_queue_ptr 0
		.amdhsa_user_sgpr_kernarg_segment_ptr 1
		.amdhsa_user_sgpr_dispatch_id 0
		.amdhsa_user_sgpr_flat_scratch_init 0
		.amdhsa_user_sgpr_private_segment_size 0
		.amdhsa_wavefront_size32 1
		.amdhsa_uses_dynamic_stack 0
		.amdhsa_system_sgpr_private_segment_wavefront_offset 0
		.amdhsa_system_sgpr_workgroup_id_x 1
		.amdhsa_system_sgpr_workgroup_id_y 0
		.amdhsa_system_sgpr_workgroup_id_z 0
		.amdhsa_system_sgpr_workgroup_info 0
		.amdhsa_system_vgpr_workitem_id 0
		.amdhsa_next_free_vgpr 1
		.amdhsa_next_free_sgpr 1
		.amdhsa_reserve_vcc 0
		.amdhsa_reserve_flat_scratch 0
		.amdhsa_float_round_mode_32 0
		.amdhsa_float_round_mode_16_64 0
		.amdhsa_float_denorm_mode_32 3
		.amdhsa_float_denorm_mode_16_64 3
		.amdhsa_dx10_clamp 1
		.amdhsa_ieee_mode 1
		.amdhsa_fp16_overflow 0
		.amdhsa_workgroup_processor_mode 1
		.amdhsa_memory_ordered 1
		.amdhsa_forward_progress 1
		.amdhsa_shared_vgpr_count 0
		.amdhsa_exception_fp_ieee_invalid_op 0
		.amdhsa_exception_fp_denorm_src 0
		.amdhsa_exception_fp_ieee_div_zero 0
		.amdhsa_exception_fp_ieee_overflow 0
		.amdhsa_exception_fp_ieee_underflow 0
		.amdhsa_exception_fp_ieee_inexact 0
		.amdhsa_exception_int_div_zero 0
	.end_amdhsa_kernel
	.section	.text._ZN7rocprim17ROCPRIM_400000_NS6detail17trampoline_kernelINS0_14default_configENS1_27scan_by_key_config_selectorIijEEZZNS1_16scan_by_key_implILNS1_25lookback_scan_determinismE0ELb0ES3_N6thrust23THRUST_200600_302600_NS6detail15normal_iteratorINS9_10device_ptrIiEEEENSB_INSC_IjEEEESG_jNS9_4plusIvEENS9_8equal_toIvEEjEE10hipError_tPvRmT2_T3_T4_T5_mT6_T7_P12ihipStream_tbENKUlT_T0_E_clISt17integral_constantIbLb0EES11_EEDaSW_SX_EUlSW_E_NS1_11comp_targetILNS1_3genE3ELNS1_11target_archE908ELNS1_3gpuE7ELNS1_3repE0EEENS1_30default_config_static_selectorELNS0_4arch9wavefront6targetE0EEEvT1_,"axG",@progbits,_ZN7rocprim17ROCPRIM_400000_NS6detail17trampoline_kernelINS0_14default_configENS1_27scan_by_key_config_selectorIijEEZZNS1_16scan_by_key_implILNS1_25lookback_scan_determinismE0ELb0ES3_N6thrust23THRUST_200600_302600_NS6detail15normal_iteratorINS9_10device_ptrIiEEEENSB_INSC_IjEEEESG_jNS9_4plusIvEENS9_8equal_toIvEEjEE10hipError_tPvRmT2_T3_T4_T5_mT6_T7_P12ihipStream_tbENKUlT_T0_E_clISt17integral_constantIbLb0EES11_EEDaSW_SX_EUlSW_E_NS1_11comp_targetILNS1_3genE3ELNS1_11target_archE908ELNS1_3gpuE7ELNS1_3repE0EEENS1_30default_config_static_selectorELNS0_4arch9wavefront6targetE0EEEvT1_,comdat
.Lfunc_end1225:
	.size	_ZN7rocprim17ROCPRIM_400000_NS6detail17trampoline_kernelINS0_14default_configENS1_27scan_by_key_config_selectorIijEEZZNS1_16scan_by_key_implILNS1_25lookback_scan_determinismE0ELb0ES3_N6thrust23THRUST_200600_302600_NS6detail15normal_iteratorINS9_10device_ptrIiEEEENSB_INSC_IjEEEESG_jNS9_4plusIvEENS9_8equal_toIvEEjEE10hipError_tPvRmT2_T3_T4_T5_mT6_T7_P12ihipStream_tbENKUlT_T0_E_clISt17integral_constantIbLb0EES11_EEDaSW_SX_EUlSW_E_NS1_11comp_targetILNS1_3genE3ELNS1_11target_archE908ELNS1_3gpuE7ELNS1_3repE0EEENS1_30default_config_static_selectorELNS0_4arch9wavefront6targetE0EEEvT1_, .Lfunc_end1225-_ZN7rocprim17ROCPRIM_400000_NS6detail17trampoline_kernelINS0_14default_configENS1_27scan_by_key_config_selectorIijEEZZNS1_16scan_by_key_implILNS1_25lookback_scan_determinismE0ELb0ES3_N6thrust23THRUST_200600_302600_NS6detail15normal_iteratorINS9_10device_ptrIiEEEENSB_INSC_IjEEEESG_jNS9_4plusIvEENS9_8equal_toIvEEjEE10hipError_tPvRmT2_T3_T4_T5_mT6_T7_P12ihipStream_tbENKUlT_T0_E_clISt17integral_constantIbLb0EES11_EEDaSW_SX_EUlSW_E_NS1_11comp_targetILNS1_3genE3ELNS1_11target_archE908ELNS1_3gpuE7ELNS1_3repE0EEENS1_30default_config_static_selectorELNS0_4arch9wavefront6targetE0EEEvT1_
                                        ; -- End function
	.set _ZN7rocprim17ROCPRIM_400000_NS6detail17trampoline_kernelINS0_14default_configENS1_27scan_by_key_config_selectorIijEEZZNS1_16scan_by_key_implILNS1_25lookback_scan_determinismE0ELb0ES3_N6thrust23THRUST_200600_302600_NS6detail15normal_iteratorINS9_10device_ptrIiEEEENSB_INSC_IjEEEESG_jNS9_4plusIvEENS9_8equal_toIvEEjEE10hipError_tPvRmT2_T3_T4_T5_mT6_T7_P12ihipStream_tbENKUlT_T0_E_clISt17integral_constantIbLb0EES11_EEDaSW_SX_EUlSW_E_NS1_11comp_targetILNS1_3genE3ELNS1_11target_archE908ELNS1_3gpuE7ELNS1_3repE0EEENS1_30default_config_static_selectorELNS0_4arch9wavefront6targetE0EEEvT1_.num_vgpr, 0
	.set _ZN7rocprim17ROCPRIM_400000_NS6detail17trampoline_kernelINS0_14default_configENS1_27scan_by_key_config_selectorIijEEZZNS1_16scan_by_key_implILNS1_25lookback_scan_determinismE0ELb0ES3_N6thrust23THRUST_200600_302600_NS6detail15normal_iteratorINS9_10device_ptrIiEEEENSB_INSC_IjEEEESG_jNS9_4plusIvEENS9_8equal_toIvEEjEE10hipError_tPvRmT2_T3_T4_T5_mT6_T7_P12ihipStream_tbENKUlT_T0_E_clISt17integral_constantIbLb0EES11_EEDaSW_SX_EUlSW_E_NS1_11comp_targetILNS1_3genE3ELNS1_11target_archE908ELNS1_3gpuE7ELNS1_3repE0EEENS1_30default_config_static_selectorELNS0_4arch9wavefront6targetE0EEEvT1_.num_agpr, 0
	.set _ZN7rocprim17ROCPRIM_400000_NS6detail17trampoline_kernelINS0_14default_configENS1_27scan_by_key_config_selectorIijEEZZNS1_16scan_by_key_implILNS1_25lookback_scan_determinismE0ELb0ES3_N6thrust23THRUST_200600_302600_NS6detail15normal_iteratorINS9_10device_ptrIiEEEENSB_INSC_IjEEEESG_jNS9_4plusIvEENS9_8equal_toIvEEjEE10hipError_tPvRmT2_T3_T4_T5_mT6_T7_P12ihipStream_tbENKUlT_T0_E_clISt17integral_constantIbLb0EES11_EEDaSW_SX_EUlSW_E_NS1_11comp_targetILNS1_3genE3ELNS1_11target_archE908ELNS1_3gpuE7ELNS1_3repE0EEENS1_30default_config_static_selectorELNS0_4arch9wavefront6targetE0EEEvT1_.numbered_sgpr, 0
	.set _ZN7rocprim17ROCPRIM_400000_NS6detail17trampoline_kernelINS0_14default_configENS1_27scan_by_key_config_selectorIijEEZZNS1_16scan_by_key_implILNS1_25lookback_scan_determinismE0ELb0ES3_N6thrust23THRUST_200600_302600_NS6detail15normal_iteratorINS9_10device_ptrIiEEEENSB_INSC_IjEEEESG_jNS9_4plusIvEENS9_8equal_toIvEEjEE10hipError_tPvRmT2_T3_T4_T5_mT6_T7_P12ihipStream_tbENKUlT_T0_E_clISt17integral_constantIbLb0EES11_EEDaSW_SX_EUlSW_E_NS1_11comp_targetILNS1_3genE3ELNS1_11target_archE908ELNS1_3gpuE7ELNS1_3repE0EEENS1_30default_config_static_selectorELNS0_4arch9wavefront6targetE0EEEvT1_.num_named_barrier, 0
	.set _ZN7rocprim17ROCPRIM_400000_NS6detail17trampoline_kernelINS0_14default_configENS1_27scan_by_key_config_selectorIijEEZZNS1_16scan_by_key_implILNS1_25lookback_scan_determinismE0ELb0ES3_N6thrust23THRUST_200600_302600_NS6detail15normal_iteratorINS9_10device_ptrIiEEEENSB_INSC_IjEEEESG_jNS9_4plusIvEENS9_8equal_toIvEEjEE10hipError_tPvRmT2_T3_T4_T5_mT6_T7_P12ihipStream_tbENKUlT_T0_E_clISt17integral_constantIbLb0EES11_EEDaSW_SX_EUlSW_E_NS1_11comp_targetILNS1_3genE3ELNS1_11target_archE908ELNS1_3gpuE7ELNS1_3repE0EEENS1_30default_config_static_selectorELNS0_4arch9wavefront6targetE0EEEvT1_.private_seg_size, 0
	.set _ZN7rocprim17ROCPRIM_400000_NS6detail17trampoline_kernelINS0_14default_configENS1_27scan_by_key_config_selectorIijEEZZNS1_16scan_by_key_implILNS1_25lookback_scan_determinismE0ELb0ES3_N6thrust23THRUST_200600_302600_NS6detail15normal_iteratorINS9_10device_ptrIiEEEENSB_INSC_IjEEEESG_jNS9_4plusIvEENS9_8equal_toIvEEjEE10hipError_tPvRmT2_T3_T4_T5_mT6_T7_P12ihipStream_tbENKUlT_T0_E_clISt17integral_constantIbLb0EES11_EEDaSW_SX_EUlSW_E_NS1_11comp_targetILNS1_3genE3ELNS1_11target_archE908ELNS1_3gpuE7ELNS1_3repE0EEENS1_30default_config_static_selectorELNS0_4arch9wavefront6targetE0EEEvT1_.uses_vcc, 0
	.set _ZN7rocprim17ROCPRIM_400000_NS6detail17trampoline_kernelINS0_14default_configENS1_27scan_by_key_config_selectorIijEEZZNS1_16scan_by_key_implILNS1_25lookback_scan_determinismE0ELb0ES3_N6thrust23THRUST_200600_302600_NS6detail15normal_iteratorINS9_10device_ptrIiEEEENSB_INSC_IjEEEESG_jNS9_4plusIvEENS9_8equal_toIvEEjEE10hipError_tPvRmT2_T3_T4_T5_mT6_T7_P12ihipStream_tbENKUlT_T0_E_clISt17integral_constantIbLb0EES11_EEDaSW_SX_EUlSW_E_NS1_11comp_targetILNS1_3genE3ELNS1_11target_archE908ELNS1_3gpuE7ELNS1_3repE0EEENS1_30default_config_static_selectorELNS0_4arch9wavefront6targetE0EEEvT1_.uses_flat_scratch, 0
	.set _ZN7rocprim17ROCPRIM_400000_NS6detail17trampoline_kernelINS0_14default_configENS1_27scan_by_key_config_selectorIijEEZZNS1_16scan_by_key_implILNS1_25lookback_scan_determinismE0ELb0ES3_N6thrust23THRUST_200600_302600_NS6detail15normal_iteratorINS9_10device_ptrIiEEEENSB_INSC_IjEEEESG_jNS9_4plusIvEENS9_8equal_toIvEEjEE10hipError_tPvRmT2_T3_T4_T5_mT6_T7_P12ihipStream_tbENKUlT_T0_E_clISt17integral_constantIbLb0EES11_EEDaSW_SX_EUlSW_E_NS1_11comp_targetILNS1_3genE3ELNS1_11target_archE908ELNS1_3gpuE7ELNS1_3repE0EEENS1_30default_config_static_selectorELNS0_4arch9wavefront6targetE0EEEvT1_.has_dyn_sized_stack, 0
	.set _ZN7rocprim17ROCPRIM_400000_NS6detail17trampoline_kernelINS0_14default_configENS1_27scan_by_key_config_selectorIijEEZZNS1_16scan_by_key_implILNS1_25lookback_scan_determinismE0ELb0ES3_N6thrust23THRUST_200600_302600_NS6detail15normal_iteratorINS9_10device_ptrIiEEEENSB_INSC_IjEEEESG_jNS9_4plusIvEENS9_8equal_toIvEEjEE10hipError_tPvRmT2_T3_T4_T5_mT6_T7_P12ihipStream_tbENKUlT_T0_E_clISt17integral_constantIbLb0EES11_EEDaSW_SX_EUlSW_E_NS1_11comp_targetILNS1_3genE3ELNS1_11target_archE908ELNS1_3gpuE7ELNS1_3repE0EEENS1_30default_config_static_selectorELNS0_4arch9wavefront6targetE0EEEvT1_.has_recursion, 0
	.set _ZN7rocprim17ROCPRIM_400000_NS6detail17trampoline_kernelINS0_14default_configENS1_27scan_by_key_config_selectorIijEEZZNS1_16scan_by_key_implILNS1_25lookback_scan_determinismE0ELb0ES3_N6thrust23THRUST_200600_302600_NS6detail15normal_iteratorINS9_10device_ptrIiEEEENSB_INSC_IjEEEESG_jNS9_4plusIvEENS9_8equal_toIvEEjEE10hipError_tPvRmT2_T3_T4_T5_mT6_T7_P12ihipStream_tbENKUlT_T0_E_clISt17integral_constantIbLb0EES11_EEDaSW_SX_EUlSW_E_NS1_11comp_targetILNS1_3genE3ELNS1_11target_archE908ELNS1_3gpuE7ELNS1_3repE0EEENS1_30default_config_static_selectorELNS0_4arch9wavefront6targetE0EEEvT1_.has_indirect_call, 0
	.section	.AMDGPU.csdata,"",@progbits
; Kernel info:
; codeLenInByte = 0
; TotalNumSgprs: 0
; NumVgprs: 0
; ScratchSize: 0
; MemoryBound: 0
; FloatMode: 240
; IeeeMode: 1
; LDSByteSize: 0 bytes/workgroup (compile time only)
; SGPRBlocks: 0
; VGPRBlocks: 0
; NumSGPRsForWavesPerEU: 1
; NumVGPRsForWavesPerEU: 1
; Occupancy: 16
; WaveLimiterHint : 0
; COMPUTE_PGM_RSRC2:SCRATCH_EN: 0
; COMPUTE_PGM_RSRC2:USER_SGPR: 6
; COMPUTE_PGM_RSRC2:TRAP_HANDLER: 0
; COMPUTE_PGM_RSRC2:TGID_X_EN: 1
; COMPUTE_PGM_RSRC2:TGID_Y_EN: 0
; COMPUTE_PGM_RSRC2:TGID_Z_EN: 0
; COMPUTE_PGM_RSRC2:TIDIG_COMP_CNT: 0
	.section	.text._ZN7rocprim17ROCPRIM_400000_NS6detail17trampoline_kernelINS0_14default_configENS1_27scan_by_key_config_selectorIijEEZZNS1_16scan_by_key_implILNS1_25lookback_scan_determinismE0ELb0ES3_N6thrust23THRUST_200600_302600_NS6detail15normal_iteratorINS9_10device_ptrIiEEEENSB_INSC_IjEEEESG_jNS9_4plusIvEENS9_8equal_toIvEEjEE10hipError_tPvRmT2_T3_T4_T5_mT6_T7_P12ihipStream_tbENKUlT_T0_E_clISt17integral_constantIbLb0EES11_EEDaSW_SX_EUlSW_E_NS1_11comp_targetILNS1_3genE2ELNS1_11target_archE906ELNS1_3gpuE6ELNS1_3repE0EEENS1_30default_config_static_selectorELNS0_4arch9wavefront6targetE0EEEvT1_,"axG",@progbits,_ZN7rocprim17ROCPRIM_400000_NS6detail17trampoline_kernelINS0_14default_configENS1_27scan_by_key_config_selectorIijEEZZNS1_16scan_by_key_implILNS1_25lookback_scan_determinismE0ELb0ES3_N6thrust23THRUST_200600_302600_NS6detail15normal_iteratorINS9_10device_ptrIiEEEENSB_INSC_IjEEEESG_jNS9_4plusIvEENS9_8equal_toIvEEjEE10hipError_tPvRmT2_T3_T4_T5_mT6_T7_P12ihipStream_tbENKUlT_T0_E_clISt17integral_constantIbLb0EES11_EEDaSW_SX_EUlSW_E_NS1_11comp_targetILNS1_3genE2ELNS1_11target_archE906ELNS1_3gpuE6ELNS1_3repE0EEENS1_30default_config_static_selectorELNS0_4arch9wavefront6targetE0EEEvT1_,comdat
	.protected	_ZN7rocprim17ROCPRIM_400000_NS6detail17trampoline_kernelINS0_14default_configENS1_27scan_by_key_config_selectorIijEEZZNS1_16scan_by_key_implILNS1_25lookback_scan_determinismE0ELb0ES3_N6thrust23THRUST_200600_302600_NS6detail15normal_iteratorINS9_10device_ptrIiEEEENSB_INSC_IjEEEESG_jNS9_4plusIvEENS9_8equal_toIvEEjEE10hipError_tPvRmT2_T3_T4_T5_mT6_T7_P12ihipStream_tbENKUlT_T0_E_clISt17integral_constantIbLb0EES11_EEDaSW_SX_EUlSW_E_NS1_11comp_targetILNS1_3genE2ELNS1_11target_archE906ELNS1_3gpuE6ELNS1_3repE0EEENS1_30default_config_static_selectorELNS0_4arch9wavefront6targetE0EEEvT1_ ; -- Begin function _ZN7rocprim17ROCPRIM_400000_NS6detail17trampoline_kernelINS0_14default_configENS1_27scan_by_key_config_selectorIijEEZZNS1_16scan_by_key_implILNS1_25lookback_scan_determinismE0ELb0ES3_N6thrust23THRUST_200600_302600_NS6detail15normal_iteratorINS9_10device_ptrIiEEEENSB_INSC_IjEEEESG_jNS9_4plusIvEENS9_8equal_toIvEEjEE10hipError_tPvRmT2_T3_T4_T5_mT6_T7_P12ihipStream_tbENKUlT_T0_E_clISt17integral_constantIbLb0EES11_EEDaSW_SX_EUlSW_E_NS1_11comp_targetILNS1_3genE2ELNS1_11target_archE906ELNS1_3gpuE6ELNS1_3repE0EEENS1_30default_config_static_selectorELNS0_4arch9wavefront6targetE0EEEvT1_
	.globl	_ZN7rocprim17ROCPRIM_400000_NS6detail17trampoline_kernelINS0_14default_configENS1_27scan_by_key_config_selectorIijEEZZNS1_16scan_by_key_implILNS1_25lookback_scan_determinismE0ELb0ES3_N6thrust23THRUST_200600_302600_NS6detail15normal_iteratorINS9_10device_ptrIiEEEENSB_INSC_IjEEEESG_jNS9_4plusIvEENS9_8equal_toIvEEjEE10hipError_tPvRmT2_T3_T4_T5_mT6_T7_P12ihipStream_tbENKUlT_T0_E_clISt17integral_constantIbLb0EES11_EEDaSW_SX_EUlSW_E_NS1_11comp_targetILNS1_3genE2ELNS1_11target_archE906ELNS1_3gpuE6ELNS1_3repE0EEENS1_30default_config_static_selectorELNS0_4arch9wavefront6targetE0EEEvT1_
	.p2align	8
	.type	_ZN7rocprim17ROCPRIM_400000_NS6detail17trampoline_kernelINS0_14default_configENS1_27scan_by_key_config_selectorIijEEZZNS1_16scan_by_key_implILNS1_25lookback_scan_determinismE0ELb0ES3_N6thrust23THRUST_200600_302600_NS6detail15normal_iteratorINS9_10device_ptrIiEEEENSB_INSC_IjEEEESG_jNS9_4plusIvEENS9_8equal_toIvEEjEE10hipError_tPvRmT2_T3_T4_T5_mT6_T7_P12ihipStream_tbENKUlT_T0_E_clISt17integral_constantIbLb0EES11_EEDaSW_SX_EUlSW_E_NS1_11comp_targetILNS1_3genE2ELNS1_11target_archE906ELNS1_3gpuE6ELNS1_3repE0EEENS1_30default_config_static_selectorELNS0_4arch9wavefront6targetE0EEEvT1_,@function
_ZN7rocprim17ROCPRIM_400000_NS6detail17trampoline_kernelINS0_14default_configENS1_27scan_by_key_config_selectorIijEEZZNS1_16scan_by_key_implILNS1_25lookback_scan_determinismE0ELb0ES3_N6thrust23THRUST_200600_302600_NS6detail15normal_iteratorINS9_10device_ptrIiEEEENSB_INSC_IjEEEESG_jNS9_4plusIvEENS9_8equal_toIvEEjEE10hipError_tPvRmT2_T3_T4_T5_mT6_T7_P12ihipStream_tbENKUlT_T0_E_clISt17integral_constantIbLb0EES11_EEDaSW_SX_EUlSW_E_NS1_11comp_targetILNS1_3genE2ELNS1_11target_archE906ELNS1_3gpuE6ELNS1_3repE0EEENS1_30default_config_static_selectorELNS0_4arch9wavefront6targetE0EEEvT1_: ; @_ZN7rocprim17ROCPRIM_400000_NS6detail17trampoline_kernelINS0_14default_configENS1_27scan_by_key_config_selectorIijEEZZNS1_16scan_by_key_implILNS1_25lookback_scan_determinismE0ELb0ES3_N6thrust23THRUST_200600_302600_NS6detail15normal_iteratorINS9_10device_ptrIiEEEENSB_INSC_IjEEEESG_jNS9_4plusIvEENS9_8equal_toIvEEjEE10hipError_tPvRmT2_T3_T4_T5_mT6_T7_P12ihipStream_tbENKUlT_T0_E_clISt17integral_constantIbLb0EES11_EEDaSW_SX_EUlSW_E_NS1_11comp_targetILNS1_3genE2ELNS1_11target_archE906ELNS1_3gpuE6ELNS1_3repE0EEENS1_30default_config_static_selectorELNS0_4arch9wavefront6targetE0EEEvT1_
; %bb.0:
	.section	.rodata,"a",@progbits
	.p2align	6, 0x0
	.amdhsa_kernel _ZN7rocprim17ROCPRIM_400000_NS6detail17trampoline_kernelINS0_14default_configENS1_27scan_by_key_config_selectorIijEEZZNS1_16scan_by_key_implILNS1_25lookback_scan_determinismE0ELb0ES3_N6thrust23THRUST_200600_302600_NS6detail15normal_iteratorINS9_10device_ptrIiEEEENSB_INSC_IjEEEESG_jNS9_4plusIvEENS9_8equal_toIvEEjEE10hipError_tPvRmT2_T3_T4_T5_mT6_T7_P12ihipStream_tbENKUlT_T0_E_clISt17integral_constantIbLb0EES11_EEDaSW_SX_EUlSW_E_NS1_11comp_targetILNS1_3genE2ELNS1_11target_archE906ELNS1_3gpuE6ELNS1_3repE0EEENS1_30default_config_static_selectorELNS0_4arch9wavefront6targetE0EEEvT1_
		.amdhsa_group_segment_fixed_size 0
		.amdhsa_private_segment_fixed_size 0
		.amdhsa_kernarg_size 112
		.amdhsa_user_sgpr_count 6
		.amdhsa_user_sgpr_private_segment_buffer 1
		.amdhsa_user_sgpr_dispatch_ptr 0
		.amdhsa_user_sgpr_queue_ptr 0
		.amdhsa_user_sgpr_kernarg_segment_ptr 1
		.amdhsa_user_sgpr_dispatch_id 0
		.amdhsa_user_sgpr_flat_scratch_init 0
		.amdhsa_user_sgpr_private_segment_size 0
		.amdhsa_wavefront_size32 1
		.amdhsa_uses_dynamic_stack 0
		.amdhsa_system_sgpr_private_segment_wavefront_offset 0
		.amdhsa_system_sgpr_workgroup_id_x 1
		.amdhsa_system_sgpr_workgroup_id_y 0
		.amdhsa_system_sgpr_workgroup_id_z 0
		.amdhsa_system_sgpr_workgroup_info 0
		.amdhsa_system_vgpr_workitem_id 0
		.amdhsa_next_free_vgpr 1
		.amdhsa_next_free_sgpr 1
		.amdhsa_reserve_vcc 0
		.amdhsa_reserve_flat_scratch 0
		.amdhsa_float_round_mode_32 0
		.amdhsa_float_round_mode_16_64 0
		.amdhsa_float_denorm_mode_32 3
		.amdhsa_float_denorm_mode_16_64 3
		.amdhsa_dx10_clamp 1
		.amdhsa_ieee_mode 1
		.amdhsa_fp16_overflow 0
		.amdhsa_workgroup_processor_mode 1
		.amdhsa_memory_ordered 1
		.amdhsa_forward_progress 1
		.amdhsa_shared_vgpr_count 0
		.amdhsa_exception_fp_ieee_invalid_op 0
		.amdhsa_exception_fp_denorm_src 0
		.amdhsa_exception_fp_ieee_div_zero 0
		.amdhsa_exception_fp_ieee_overflow 0
		.amdhsa_exception_fp_ieee_underflow 0
		.amdhsa_exception_fp_ieee_inexact 0
		.amdhsa_exception_int_div_zero 0
	.end_amdhsa_kernel
	.section	.text._ZN7rocprim17ROCPRIM_400000_NS6detail17trampoline_kernelINS0_14default_configENS1_27scan_by_key_config_selectorIijEEZZNS1_16scan_by_key_implILNS1_25lookback_scan_determinismE0ELb0ES3_N6thrust23THRUST_200600_302600_NS6detail15normal_iteratorINS9_10device_ptrIiEEEENSB_INSC_IjEEEESG_jNS9_4plusIvEENS9_8equal_toIvEEjEE10hipError_tPvRmT2_T3_T4_T5_mT6_T7_P12ihipStream_tbENKUlT_T0_E_clISt17integral_constantIbLb0EES11_EEDaSW_SX_EUlSW_E_NS1_11comp_targetILNS1_3genE2ELNS1_11target_archE906ELNS1_3gpuE6ELNS1_3repE0EEENS1_30default_config_static_selectorELNS0_4arch9wavefront6targetE0EEEvT1_,"axG",@progbits,_ZN7rocprim17ROCPRIM_400000_NS6detail17trampoline_kernelINS0_14default_configENS1_27scan_by_key_config_selectorIijEEZZNS1_16scan_by_key_implILNS1_25lookback_scan_determinismE0ELb0ES3_N6thrust23THRUST_200600_302600_NS6detail15normal_iteratorINS9_10device_ptrIiEEEENSB_INSC_IjEEEESG_jNS9_4plusIvEENS9_8equal_toIvEEjEE10hipError_tPvRmT2_T3_T4_T5_mT6_T7_P12ihipStream_tbENKUlT_T0_E_clISt17integral_constantIbLb0EES11_EEDaSW_SX_EUlSW_E_NS1_11comp_targetILNS1_3genE2ELNS1_11target_archE906ELNS1_3gpuE6ELNS1_3repE0EEENS1_30default_config_static_selectorELNS0_4arch9wavefront6targetE0EEEvT1_,comdat
.Lfunc_end1226:
	.size	_ZN7rocprim17ROCPRIM_400000_NS6detail17trampoline_kernelINS0_14default_configENS1_27scan_by_key_config_selectorIijEEZZNS1_16scan_by_key_implILNS1_25lookback_scan_determinismE0ELb0ES3_N6thrust23THRUST_200600_302600_NS6detail15normal_iteratorINS9_10device_ptrIiEEEENSB_INSC_IjEEEESG_jNS9_4plusIvEENS9_8equal_toIvEEjEE10hipError_tPvRmT2_T3_T4_T5_mT6_T7_P12ihipStream_tbENKUlT_T0_E_clISt17integral_constantIbLb0EES11_EEDaSW_SX_EUlSW_E_NS1_11comp_targetILNS1_3genE2ELNS1_11target_archE906ELNS1_3gpuE6ELNS1_3repE0EEENS1_30default_config_static_selectorELNS0_4arch9wavefront6targetE0EEEvT1_, .Lfunc_end1226-_ZN7rocprim17ROCPRIM_400000_NS6detail17trampoline_kernelINS0_14default_configENS1_27scan_by_key_config_selectorIijEEZZNS1_16scan_by_key_implILNS1_25lookback_scan_determinismE0ELb0ES3_N6thrust23THRUST_200600_302600_NS6detail15normal_iteratorINS9_10device_ptrIiEEEENSB_INSC_IjEEEESG_jNS9_4plusIvEENS9_8equal_toIvEEjEE10hipError_tPvRmT2_T3_T4_T5_mT6_T7_P12ihipStream_tbENKUlT_T0_E_clISt17integral_constantIbLb0EES11_EEDaSW_SX_EUlSW_E_NS1_11comp_targetILNS1_3genE2ELNS1_11target_archE906ELNS1_3gpuE6ELNS1_3repE0EEENS1_30default_config_static_selectorELNS0_4arch9wavefront6targetE0EEEvT1_
                                        ; -- End function
	.set _ZN7rocprim17ROCPRIM_400000_NS6detail17trampoline_kernelINS0_14default_configENS1_27scan_by_key_config_selectorIijEEZZNS1_16scan_by_key_implILNS1_25lookback_scan_determinismE0ELb0ES3_N6thrust23THRUST_200600_302600_NS6detail15normal_iteratorINS9_10device_ptrIiEEEENSB_INSC_IjEEEESG_jNS9_4plusIvEENS9_8equal_toIvEEjEE10hipError_tPvRmT2_T3_T4_T5_mT6_T7_P12ihipStream_tbENKUlT_T0_E_clISt17integral_constantIbLb0EES11_EEDaSW_SX_EUlSW_E_NS1_11comp_targetILNS1_3genE2ELNS1_11target_archE906ELNS1_3gpuE6ELNS1_3repE0EEENS1_30default_config_static_selectorELNS0_4arch9wavefront6targetE0EEEvT1_.num_vgpr, 0
	.set _ZN7rocprim17ROCPRIM_400000_NS6detail17trampoline_kernelINS0_14default_configENS1_27scan_by_key_config_selectorIijEEZZNS1_16scan_by_key_implILNS1_25lookback_scan_determinismE0ELb0ES3_N6thrust23THRUST_200600_302600_NS6detail15normal_iteratorINS9_10device_ptrIiEEEENSB_INSC_IjEEEESG_jNS9_4plusIvEENS9_8equal_toIvEEjEE10hipError_tPvRmT2_T3_T4_T5_mT6_T7_P12ihipStream_tbENKUlT_T0_E_clISt17integral_constantIbLb0EES11_EEDaSW_SX_EUlSW_E_NS1_11comp_targetILNS1_3genE2ELNS1_11target_archE906ELNS1_3gpuE6ELNS1_3repE0EEENS1_30default_config_static_selectorELNS0_4arch9wavefront6targetE0EEEvT1_.num_agpr, 0
	.set _ZN7rocprim17ROCPRIM_400000_NS6detail17trampoline_kernelINS0_14default_configENS1_27scan_by_key_config_selectorIijEEZZNS1_16scan_by_key_implILNS1_25lookback_scan_determinismE0ELb0ES3_N6thrust23THRUST_200600_302600_NS6detail15normal_iteratorINS9_10device_ptrIiEEEENSB_INSC_IjEEEESG_jNS9_4plusIvEENS9_8equal_toIvEEjEE10hipError_tPvRmT2_T3_T4_T5_mT6_T7_P12ihipStream_tbENKUlT_T0_E_clISt17integral_constantIbLb0EES11_EEDaSW_SX_EUlSW_E_NS1_11comp_targetILNS1_3genE2ELNS1_11target_archE906ELNS1_3gpuE6ELNS1_3repE0EEENS1_30default_config_static_selectorELNS0_4arch9wavefront6targetE0EEEvT1_.numbered_sgpr, 0
	.set _ZN7rocprim17ROCPRIM_400000_NS6detail17trampoline_kernelINS0_14default_configENS1_27scan_by_key_config_selectorIijEEZZNS1_16scan_by_key_implILNS1_25lookback_scan_determinismE0ELb0ES3_N6thrust23THRUST_200600_302600_NS6detail15normal_iteratorINS9_10device_ptrIiEEEENSB_INSC_IjEEEESG_jNS9_4plusIvEENS9_8equal_toIvEEjEE10hipError_tPvRmT2_T3_T4_T5_mT6_T7_P12ihipStream_tbENKUlT_T0_E_clISt17integral_constantIbLb0EES11_EEDaSW_SX_EUlSW_E_NS1_11comp_targetILNS1_3genE2ELNS1_11target_archE906ELNS1_3gpuE6ELNS1_3repE0EEENS1_30default_config_static_selectorELNS0_4arch9wavefront6targetE0EEEvT1_.num_named_barrier, 0
	.set _ZN7rocprim17ROCPRIM_400000_NS6detail17trampoline_kernelINS0_14default_configENS1_27scan_by_key_config_selectorIijEEZZNS1_16scan_by_key_implILNS1_25lookback_scan_determinismE0ELb0ES3_N6thrust23THRUST_200600_302600_NS6detail15normal_iteratorINS9_10device_ptrIiEEEENSB_INSC_IjEEEESG_jNS9_4plusIvEENS9_8equal_toIvEEjEE10hipError_tPvRmT2_T3_T4_T5_mT6_T7_P12ihipStream_tbENKUlT_T0_E_clISt17integral_constantIbLb0EES11_EEDaSW_SX_EUlSW_E_NS1_11comp_targetILNS1_3genE2ELNS1_11target_archE906ELNS1_3gpuE6ELNS1_3repE0EEENS1_30default_config_static_selectorELNS0_4arch9wavefront6targetE0EEEvT1_.private_seg_size, 0
	.set _ZN7rocprim17ROCPRIM_400000_NS6detail17trampoline_kernelINS0_14default_configENS1_27scan_by_key_config_selectorIijEEZZNS1_16scan_by_key_implILNS1_25lookback_scan_determinismE0ELb0ES3_N6thrust23THRUST_200600_302600_NS6detail15normal_iteratorINS9_10device_ptrIiEEEENSB_INSC_IjEEEESG_jNS9_4plusIvEENS9_8equal_toIvEEjEE10hipError_tPvRmT2_T3_T4_T5_mT6_T7_P12ihipStream_tbENKUlT_T0_E_clISt17integral_constantIbLb0EES11_EEDaSW_SX_EUlSW_E_NS1_11comp_targetILNS1_3genE2ELNS1_11target_archE906ELNS1_3gpuE6ELNS1_3repE0EEENS1_30default_config_static_selectorELNS0_4arch9wavefront6targetE0EEEvT1_.uses_vcc, 0
	.set _ZN7rocprim17ROCPRIM_400000_NS6detail17trampoline_kernelINS0_14default_configENS1_27scan_by_key_config_selectorIijEEZZNS1_16scan_by_key_implILNS1_25lookback_scan_determinismE0ELb0ES3_N6thrust23THRUST_200600_302600_NS6detail15normal_iteratorINS9_10device_ptrIiEEEENSB_INSC_IjEEEESG_jNS9_4plusIvEENS9_8equal_toIvEEjEE10hipError_tPvRmT2_T3_T4_T5_mT6_T7_P12ihipStream_tbENKUlT_T0_E_clISt17integral_constantIbLb0EES11_EEDaSW_SX_EUlSW_E_NS1_11comp_targetILNS1_3genE2ELNS1_11target_archE906ELNS1_3gpuE6ELNS1_3repE0EEENS1_30default_config_static_selectorELNS0_4arch9wavefront6targetE0EEEvT1_.uses_flat_scratch, 0
	.set _ZN7rocprim17ROCPRIM_400000_NS6detail17trampoline_kernelINS0_14default_configENS1_27scan_by_key_config_selectorIijEEZZNS1_16scan_by_key_implILNS1_25lookback_scan_determinismE0ELb0ES3_N6thrust23THRUST_200600_302600_NS6detail15normal_iteratorINS9_10device_ptrIiEEEENSB_INSC_IjEEEESG_jNS9_4plusIvEENS9_8equal_toIvEEjEE10hipError_tPvRmT2_T3_T4_T5_mT6_T7_P12ihipStream_tbENKUlT_T0_E_clISt17integral_constantIbLb0EES11_EEDaSW_SX_EUlSW_E_NS1_11comp_targetILNS1_3genE2ELNS1_11target_archE906ELNS1_3gpuE6ELNS1_3repE0EEENS1_30default_config_static_selectorELNS0_4arch9wavefront6targetE0EEEvT1_.has_dyn_sized_stack, 0
	.set _ZN7rocprim17ROCPRIM_400000_NS6detail17trampoline_kernelINS0_14default_configENS1_27scan_by_key_config_selectorIijEEZZNS1_16scan_by_key_implILNS1_25lookback_scan_determinismE0ELb0ES3_N6thrust23THRUST_200600_302600_NS6detail15normal_iteratorINS9_10device_ptrIiEEEENSB_INSC_IjEEEESG_jNS9_4plusIvEENS9_8equal_toIvEEjEE10hipError_tPvRmT2_T3_T4_T5_mT6_T7_P12ihipStream_tbENKUlT_T0_E_clISt17integral_constantIbLb0EES11_EEDaSW_SX_EUlSW_E_NS1_11comp_targetILNS1_3genE2ELNS1_11target_archE906ELNS1_3gpuE6ELNS1_3repE0EEENS1_30default_config_static_selectorELNS0_4arch9wavefront6targetE0EEEvT1_.has_recursion, 0
	.set _ZN7rocprim17ROCPRIM_400000_NS6detail17trampoline_kernelINS0_14default_configENS1_27scan_by_key_config_selectorIijEEZZNS1_16scan_by_key_implILNS1_25lookback_scan_determinismE0ELb0ES3_N6thrust23THRUST_200600_302600_NS6detail15normal_iteratorINS9_10device_ptrIiEEEENSB_INSC_IjEEEESG_jNS9_4plusIvEENS9_8equal_toIvEEjEE10hipError_tPvRmT2_T3_T4_T5_mT6_T7_P12ihipStream_tbENKUlT_T0_E_clISt17integral_constantIbLb0EES11_EEDaSW_SX_EUlSW_E_NS1_11comp_targetILNS1_3genE2ELNS1_11target_archE906ELNS1_3gpuE6ELNS1_3repE0EEENS1_30default_config_static_selectorELNS0_4arch9wavefront6targetE0EEEvT1_.has_indirect_call, 0
	.section	.AMDGPU.csdata,"",@progbits
; Kernel info:
; codeLenInByte = 0
; TotalNumSgprs: 0
; NumVgprs: 0
; ScratchSize: 0
; MemoryBound: 0
; FloatMode: 240
; IeeeMode: 1
; LDSByteSize: 0 bytes/workgroup (compile time only)
; SGPRBlocks: 0
; VGPRBlocks: 0
; NumSGPRsForWavesPerEU: 1
; NumVGPRsForWavesPerEU: 1
; Occupancy: 16
; WaveLimiterHint : 0
; COMPUTE_PGM_RSRC2:SCRATCH_EN: 0
; COMPUTE_PGM_RSRC2:USER_SGPR: 6
; COMPUTE_PGM_RSRC2:TRAP_HANDLER: 0
; COMPUTE_PGM_RSRC2:TGID_X_EN: 1
; COMPUTE_PGM_RSRC2:TGID_Y_EN: 0
; COMPUTE_PGM_RSRC2:TGID_Z_EN: 0
; COMPUTE_PGM_RSRC2:TIDIG_COMP_CNT: 0
	.section	.text._ZN7rocprim17ROCPRIM_400000_NS6detail17trampoline_kernelINS0_14default_configENS1_27scan_by_key_config_selectorIijEEZZNS1_16scan_by_key_implILNS1_25lookback_scan_determinismE0ELb0ES3_N6thrust23THRUST_200600_302600_NS6detail15normal_iteratorINS9_10device_ptrIiEEEENSB_INSC_IjEEEESG_jNS9_4plusIvEENS9_8equal_toIvEEjEE10hipError_tPvRmT2_T3_T4_T5_mT6_T7_P12ihipStream_tbENKUlT_T0_E_clISt17integral_constantIbLb0EES11_EEDaSW_SX_EUlSW_E_NS1_11comp_targetILNS1_3genE10ELNS1_11target_archE1200ELNS1_3gpuE4ELNS1_3repE0EEENS1_30default_config_static_selectorELNS0_4arch9wavefront6targetE0EEEvT1_,"axG",@progbits,_ZN7rocprim17ROCPRIM_400000_NS6detail17trampoline_kernelINS0_14default_configENS1_27scan_by_key_config_selectorIijEEZZNS1_16scan_by_key_implILNS1_25lookback_scan_determinismE0ELb0ES3_N6thrust23THRUST_200600_302600_NS6detail15normal_iteratorINS9_10device_ptrIiEEEENSB_INSC_IjEEEESG_jNS9_4plusIvEENS9_8equal_toIvEEjEE10hipError_tPvRmT2_T3_T4_T5_mT6_T7_P12ihipStream_tbENKUlT_T0_E_clISt17integral_constantIbLb0EES11_EEDaSW_SX_EUlSW_E_NS1_11comp_targetILNS1_3genE10ELNS1_11target_archE1200ELNS1_3gpuE4ELNS1_3repE0EEENS1_30default_config_static_selectorELNS0_4arch9wavefront6targetE0EEEvT1_,comdat
	.protected	_ZN7rocprim17ROCPRIM_400000_NS6detail17trampoline_kernelINS0_14default_configENS1_27scan_by_key_config_selectorIijEEZZNS1_16scan_by_key_implILNS1_25lookback_scan_determinismE0ELb0ES3_N6thrust23THRUST_200600_302600_NS6detail15normal_iteratorINS9_10device_ptrIiEEEENSB_INSC_IjEEEESG_jNS9_4plusIvEENS9_8equal_toIvEEjEE10hipError_tPvRmT2_T3_T4_T5_mT6_T7_P12ihipStream_tbENKUlT_T0_E_clISt17integral_constantIbLb0EES11_EEDaSW_SX_EUlSW_E_NS1_11comp_targetILNS1_3genE10ELNS1_11target_archE1200ELNS1_3gpuE4ELNS1_3repE0EEENS1_30default_config_static_selectorELNS0_4arch9wavefront6targetE0EEEvT1_ ; -- Begin function _ZN7rocprim17ROCPRIM_400000_NS6detail17trampoline_kernelINS0_14default_configENS1_27scan_by_key_config_selectorIijEEZZNS1_16scan_by_key_implILNS1_25lookback_scan_determinismE0ELb0ES3_N6thrust23THRUST_200600_302600_NS6detail15normal_iteratorINS9_10device_ptrIiEEEENSB_INSC_IjEEEESG_jNS9_4plusIvEENS9_8equal_toIvEEjEE10hipError_tPvRmT2_T3_T4_T5_mT6_T7_P12ihipStream_tbENKUlT_T0_E_clISt17integral_constantIbLb0EES11_EEDaSW_SX_EUlSW_E_NS1_11comp_targetILNS1_3genE10ELNS1_11target_archE1200ELNS1_3gpuE4ELNS1_3repE0EEENS1_30default_config_static_selectorELNS0_4arch9wavefront6targetE0EEEvT1_
	.globl	_ZN7rocprim17ROCPRIM_400000_NS6detail17trampoline_kernelINS0_14default_configENS1_27scan_by_key_config_selectorIijEEZZNS1_16scan_by_key_implILNS1_25lookback_scan_determinismE0ELb0ES3_N6thrust23THRUST_200600_302600_NS6detail15normal_iteratorINS9_10device_ptrIiEEEENSB_INSC_IjEEEESG_jNS9_4plusIvEENS9_8equal_toIvEEjEE10hipError_tPvRmT2_T3_T4_T5_mT6_T7_P12ihipStream_tbENKUlT_T0_E_clISt17integral_constantIbLb0EES11_EEDaSW_SX_EUlSW_E_NS1_11comp_targetILNS1_3genE10ELNS1_11target_archE1200ELNS1_3gpuE4ELNS1_3repE0EEENS1_30default_config_static_selectorELNS0_4arch9wavefront6targetE0EEEvT1_
	.p2align	8
	.type	_ZN7rocprim17ROCPRIM_400000_NS6detail17trampoline_kernelINS0_14default_configENS1_27scan_by_key_config_selectorIijEEZZNS1_16scan_by_key_implILNS1_25lookback_scan_determinismE0ELb0ES3_N6thrust23THRUST_200600_302600_NS6detail15normal_iteratorINS9_10device_ptrIiEEEENSB_INSC_IjEEEESG_jNS9_4plusIvEENS9_8equal_toIvEEjEE10hipError_tPvRmT2_T3_T4_T5_mT6_T7_P12ihipStream_tbENKUlT_T0_E_clISt17integral_constantIbLb0EES11_EEDaSW_SX_EUlSW_E_NS1_11comp_targetILNS1_3genE10ELNS1_11target_archE1200ELNS1_3gpuE4ELNS1_3repE0EEENS1_30default_config_static_selectorELNS0_4arch9wavefront6targetE0EEEvT1_,@function
_ZN7rocprim17ROCPRIM_400000_NS6detail17trampoline_kernelINS0_14default_configENS1_27scan_by_key_config_selectorIijEEZZNS1_16scan_by_key_implILNS1_25lookback_scan_determinismE0ELb0ES3_N6thrust23THRUST_200600_302600_NS6detail15normal_iteratorINS9_10device_ptrIiEEEENSB_INSC_IjEEEESG_jNS9_4plusIvEENS9_8equal_toIvEEjEE10hipError_tPvRmT2_T3_T4_T5_mT6_T7_P12ihipStream_tbENKUlT_T0_E_clISt17integral_constantIbLb0EES11_EEDaSW_SX_EUlSW_E_NS1_11comp_targetILNS1_3genE10ELNS1_11target_archE1200ELNS1_3gpuE4ELNS1_3repE0EEENS1_30default_config_static_selectorELNS0_4arch9wavefront6targetE0EEEvT1_: ; @_ZN7rocprim17ROCPRIM_400000_NS6detail17trampoline_kernelINS0_14default_configENS1_27scan_by_key_config_selectorIijEEZZNS1_16scan_by_key_implILNS1_25lookback_scan_determinismE0ELb0ES3_N6thrust23THRUST_200600_302600_NS6detail15normal_iteratorINS9_10device_ptrIiEEEENSB_INSC_IjEEEESG_jNS9_4plusIvEENS9_8equal_toIvEEjEE10hipError_tPvRmT2_T3_T4_T5_mT6_T7_P12ihipStream_tbENKUlT_T0_E_clISt17integral_constantIbLb0EES11_EEDaSW_SX_EUlSW_E_NS1_11comp_targetILNS1_3genE10ELNS1_11target_archE1200ELNS1_3gpuE4ELNS1_3repE0EEENS1_30default_config_static_selectorELNS0_4arch9wavefront6targetE0EEEvT1_
; %bb.0:
	.section	.rodata,"a",@progbits
	.p2align	6, 0x0
	.amdhsa_kernel _ZN7rocprim17ROCPRIM_400000_NS6detail17trampoline_kernelINS0_14default_configENS1_27scan_by_key_config_selectorIijEEZZNS1_16scan_by_key_implILNS1_25lookback_scan_determinismE0ELb0ES3_N6thrust23THRUST_200600_302600_NS6detail15normal_iteratorINS9_10device_ptrIiEEEENSB_INSC_IjEEEESG_jNS9_4plusIvEENS9_8equal_toIvEEjEE10hipError_tPvRmT2_T3_T4_T5_mT6_T7_P12ihipStream_tbENKUlT_T0_E_clISt17integral_constantIbLb0EES11_EEDaSW_SX_EUlSW_E_NS1_11comp_targetILNS1_3genE10ELNS1_11target_archE1200ELNS1_3gpuE4ELNS1_3repE0EEENS1_30default_config_static_selectorELNS0_4arch9wavefront6targetE0EEEvT1_
		.amdhsa_group_segment_fixed_size 0
		.amdhsa_private_segment_fixed_size 0
		.amdhsa_kernarg_size 112
		.amdhsa_user_sgpr_count 6
		.amdhsa_user_sgpr_private_segment_buffer 1
		.amdhsa_user_sgpr_dispatch_ptr 0
		.amdhsa_user_sgpr_queue_ptr 0
		.amdhsa_user_sgpr_kernarg_segment_ptr 1
		.amdhsa_user_sgpr_dispatch_id 0
		.amdhsa_user_sgpr_flat_scratch_init 0
		.amdhsa_user_sgpr_private_segment_size 0
		.amdhsa_wavefront_size32 1
		.amdhsa_uses_dynamic_stack 0
		.amdhsa_system_sgpr_private_segment_wavefront_offset 0
		.amdhsa_system_sgpr_workgroup_id_x 1
		.amdhsa_system_sgpr_workgroup_id_y 0
		.amdhsa_system_sgpr_workgroup_id_z 0
		.amdhsa_system_sgpr_workgroup_info 0
		.amdhsa_system_vgpr_workitem_id 0
		.amdhsa_next_free_vgpr 1
		.amdhsa_next_free_sgpr 1
		.amdhsa_reserve_vcc 0
		.amdhsa_reserve_flat_scratch 0
		.amdhsa_float_round_mode_32 0
		.amdhsa_float_round_mode_16_64 0
		.amdhsa_float_denorm_mode_32 3
		.amdhsa_float_denorm_mode_16_64 3
		.amdhsa_dx10_clamp 1
		.amdhsa_ieee_mode 1
		.amdhsa_fp16_overflow 0
		.amdhsa_workgroup_processor_mode 1
		.amdhsa_memory_ordered 1
		.amdhsa_forward_progress 1
		.amdhsa_shared_vgpr_count 0
		.amdhsa_exception_fp_ieee_invalid_op 0
		.amdhsa_exception_fp_denorm_src 0
		.amdhsa_exception_fp_ieee_div_zero 0
		.amdhsa_exception_fp_ieee_overflow 0
		.amdhsa_exception_fp_ieee_underflow 0
		.amdhsa_exception_fp_ieee_inexact 0
		.amdhsa_exception_int_div_zero 0
	.end_amdhsa_kernel
	.section	.text._ZN7rocprim17ROCPRIM_400000_NS6detail17trampoline_kernelINS0_14default_configENS1_27scan_by_key_config_selectorIijEEZZNS1_16scan_by_key_implILNS1_25lookback_scan_determinismE0ELb0ES3_N6thrust23THRUST_200600_302600_NS6detail15normal_iteratorINS9_10device_ptrIiEEEENSB_INSC_IjEEEESG_jNS9_4plusIvEENS9_8equal_toIvEEjEE10hipError_tPvRmT2_T3_T4_T5_mT6_T7_P12ihipStream_tbENKUlT_T0_E_clISt17integral_constantIbLb0EES11_EEDaSW_SX_EUlSW_E_NS1_11comp_targetILNS1_3genE10ELNS1_11target_archE1200ELNS1_3gpuE4ELNS1_3repE0EEENS1_30default_config_static_selectorELNS0_4arch9wavefront6targetE0EEEvT1_,"axG",@progbits,_ZN7rocprim17ROCPRIM_400000_NS6detail17trampoline_kernelINS0_14default_configENS1_27scan_by_key_config_selectorIijEEZZNS1_16scan_by_key_implILNS1_25lookback_scan_determinismE0ELb0ES3_N6thrust23THRUST_200600_302600_NS6detail15normal_iteratorINS9_10device_ptrIiEEEENSB_INSC_IjEEEESG_jNS9_4plusIvEENS9_8equal_toIvEEjEE10hipError_tPvRmT2_T3_T4_T5_mT6_T7_P12ihipStream_tbENKUlT_T0_E_clISt17integral_constantIbLb0EES11_EEDaSW_SX_EUlSW_E_NS1_11comp_targetILNS1_3genE10ELNS1_11target_archE1200ELNS1_3gpuE4ELNS1_3repE0EEENS1_30default_config_static_selectorELNS0_4arch9wavefront6targetE0EEEvT1_,comdat
.Lfunc_end1227:
	.size	_ZN7rocprim17ROCPRIM_400000_NS6detail17trampoline_kernelINS0_14default_configENS1_27scan_by_key_config_selectorIijEEZZNS1_16scan_by_key_implILNS1_25lookback_scan_determinismE0ELb0ES3_N6thrust23THRUST_200600_302600_NS6detail15normal_iteratorINS9_10device_ptrIiEEEENSB_INSC_IjEEEESG_jNS9_4plusIvEENS9_8equal_toIvEEjEE10hipError_tPvRmT2_T3_T4_T5_mT6_T7_P12ihipStream_tbENKUlT_T0_E_clISt17integral_constantIbLb0EES11_EEDaSW_SX_EUlSW_E_NS1_11comp_targetILNS1_3genE10ELNS1_11target_archE1200ELNS1_3gpuE4ELNS1_3repE0EEENS1_30default_config_static_selectorELNS0_4arch9wavefront6targetE0EEEvT1_, .Lfunc_end1227-_ZN7rocprim17ROCPRIM_400000_NS6detail17trampoline_kernelINS0_14default_configENS1_27scan_by_key_config_selectorIijEEZZNS1_16scan_by_key_implILNS1_25lookback_scan_determinismE0ELb0ES3_N6thrust23THRUST_200600_302600_NS6detail15normal_iteratorINS9_10device_ptrIiEEEENSB_INSC_IjEEEESG_jNS9_4plusIvEENS9_8equal_toIvEEjEE10hipError_tPvRmT2_T3_T4_T5_mT6_T7_P12ihipStream_tbENKUlT_T0_E_clISt17integral_constantIbLb0EES11_EEDaSW_SX_EUlSW_E_NS1_11comp_targetILNS1_3genE10ELNS1_11target_archE1200ELNS1_3gpuE4ELNS1_3repE0EEENS1_30default_config_static_selectorELNS0_4arch9wavefront6targetE0EEEvT1_
                                        ; -- End function
	.set _ZN7rocprim17ROCPRIM_400000_NS6detail17trampoline_kernelINS0_14default_configENS1_27scan_by_key_config_selectorIijEEZZNS1_16scan_by_key_implILNS1_25lookback_scan_determinismE0ELb0ES3_N6thrust23THRUST_200600_302600_NS6detail15normal_iteratorINS9_10device_ptrIiEEEENSB_INSC_IjEEEESG_jNS9_4plusIvEENS9_8equal_toIvEEjEE10hipError_tPvRmT2_T3_T4_T5_mT6_T7_P12ihipStream_tbENKUlT_T0_E_clISt17integral_constantIbLb0EES11_EEDaSW_SX_EUlSW_E_NS1_11comp_targetILNS1_3genE10ELNS1_11target_archE1200ELNS1_3gpuE4ELNS1_3repE0EEENS1_30default_config_static_selectorELNS0_4arch9wavefront6targetE0EEEvT1_.num_vgpr, 0
	.set _ZN7rocprim17ROCPRIM_400000_NS6detail17trampoline_kernelINS0_14default_configENS1_27scan_by_key_config_selectorIijEEZZNS1_16scan_by_key_implILNS1_25lookback_scan_determinismE0ELb0ES3_N6thrust23THRUST_200600_302600_NS6detail15normal_iteratorINS9_10device_ptrIiEEEENSB_INSC_IjEEEESG_jNS9_4plusIvEENS9_8equal_toIvEEjEE10hipError_tPvRmT2_T3_T4_T5_mT6_T7_P12ihipStream_tbENKUlT_T0_E_clISt17integral_constantIbLb0EES11_EEDaSW_SX_EUlSW_E_NS1_11comp_targetILNS1_3genE10ELNS1_11target_archE1200ELNS1_3gpuE4ELNS1_3repE0EEENS1_30default_config_static_selectorELNS0_4arch9wavefront6targetE0EEEvT1_.num_agpr, 0
	.set _ZN7rocprim17ROCPRIM_400000_NS6detail17trampoline_kernelINS0_14default_configENS1_27scan_by_key_config_selectorIijEEZZNS1_16scan_by_key_implILNS1_25lookback_scan_determinismE0ELb0ES3_N6thrust23THRUST_200600_302600_NS6detail15normal_iteratorINS9_10device_ptrIiEEEENSB_INSC_IjEEEESG_jNS9_4plusIvEENS9_8equal_toIvEEjEE10hipError_tPvRmT2_T3_T4_T5_mT6_T7_P12ihipStream_tbENKUlT_T0_E_clISt17integral_constantIbLb0EES11_EEDaSW_SX_EUlSW_E_NS1_11comp_targetILNS1_3genE10ELNS1_11target_archE1200ELNS1_3gpuE4ELNS1_3repE0EEENS1_30default_config_static_selectorELNS0_4arch9wavefront6targetE0EEEvT1_.numbered_sgpr, 0
	.set _ZN7rocprim17ROCPRIM_400000_NS6detail17trampoline_kernelINS0_14default_configENS1_27scan_by_key_config_selectorIijEEZZNS1_16scan_by_key_implILNS1_25lookback_scan_determinismE0ELb0ES3_N6thrust23THRUST_200600_302600_NS6detail15normal_iteratorINS9_10device_ptrIiEEEENSB_INSC_IjEEEESG_jNS9_4plusIvEENS9_8equal_toIvEEjEE10hipError_tPvRmT2_T3_T4_T5_mT6_T7_P12ihipStream_tbENKUlT_T0_E_clISt17integral_constantIbLb0EES11_EEDaSW_SX_EUlSW_E_NS1_11comp_targetILNS1_3genE10ELNS1_11target_archE1200ELNS1_3gpuE4ELNS1_3repE0EEENS1_30default_config_static_selectorELNS0_4arch9wavefront6targetE0EEEvT1_.num_named_barrier, 0
	.set _ZN7rocprim17ROCPRIM_400000_NS6detail17trampoline_kernelINS0_14default_configENS1_27scan_by_key_config_selectorIijEEZZNS1_16scan_by_key_implILNS1_25lookback_scan_determinismE0ELb0ES3_N6thrust23THRUST_200600_302600_NS6detail15normal_iteratorINS9_10device_ptrIiEEEENSB_INSC_IjEEEESG_jNS9_4plusIvEENS9_8equal_toIvEEjEE10hipError_tPvRmT2_T3_T4_T5_mT6_T7_P12ihipStream_tbENKUlT_T0_E_clISt17integral_constantIbLb0EES11_EEDaSW_SX_EUlSW_E_NS1_11comp_targetILNS1_3genE10ELNS1_11target_archE1200ELNS1_3gpuE4ELNS1_3repE0EEENS1_30default_config_static_selectorELNS0_4arch9wavefront6targetE0EEEvT1_.private_seg_size, 0
	.set _ZN7rocprim17ROCPRIM_400000_NS6detail17trampoline_kernelINS0_14default_configENS1_27scan_by_key_config_selectorIijEEZZNS1_16scan_by_key_implILNS1_25lookback_scan_determinismE0ELb0ES3_N6thrust23THRUST_200600_302600_NS6detail15normal_iteratorINS9_10device_ptrIiEEEENSB_INSC_IjEEEESG_jNS9_4plusIvEENS9_8equal_toIvEEjEE10hipError_tPvRmT2_T3_T4_T5_mT6_T7_P12ihipStream_tbENKUlT_T0_E_clISt17integral_constantIbLb0EES11_EEDaSW_SX_EUlSW_E_NS1_11comp_targetILNS1_3genE10ELNS1_11target_archE1200ELNS1_3gpuE4ELNS1_3repE0EEENS1_30default_config_static_selectorELNS0_4arch9wavefront6targetE0EEEvT1_.uses_vcc, 0
	.set _ZN7rocprim17ROCPRIM_400000_NS6detail17trampoline_kernelINS0_14default_configENS1_27scan_by_key_config_selectorIijEEZZNS1_16scan_by_key_implILNS1_25lookback_scan_determinismE0ELb0ES3_N6thrust23THRUST_200600_302600_NS6detail15normal_iteratorINS9_10device_ptrIiEEEENSB_INSC_IjEEEESG_jNS9_4plusIvEENS9_8equal_toIvEEjEE10hipError_tPvRmT2_T3_T4_T5_mT6_T7_P12ihipStream_tbENKUlT_T0_E_clISt17integral_constantIbLb0EES11_EEDaSW_SX_EUlSW_E_NS1_11comp_targetILNS1_3genE10ELNS1_11target_archE1200ELNS1_3gpuE4ELNS1_3repE0EEENS1_30default_config_static_selectorELNS0_4arch9wavefront6targetE0EEEvT1_.uses_flat_scratch, 0
	.set _ZN7rocprim17ROCPRIM_400000_NS6detail17trampoline_kernelINS0_14default_configENS1_27scan_by_key_config_selectorIijEEZZNS1_16scan_by_key_implILNS1_25lookback_scan_determinismE0ELb0ES3_N6thrust23THRUST_200600_302600_NS6detail15normal_iteratorINS9_10device_ptrIiEEEENSB_INSC_IjEEEESG_jNS9_4plusIvEENS9_8equal_toIvEEjEE10hipError_tPvRmT2_T3_T4_T5_mT6_T7_P12ihipStream_tbENKUlT_T0_E_clISt17integral_constantIbLb0EES11_EEDaSW_SX_EUlSW_E_NS1_11comp_targetILNS1_3genE10ELNS1_11target_archE1200ELNS1_3gpuE4ELNS1_3repE0EEENS1_30default_config_static_selectorELNS0_4arch9wavefront6targetE0EEEvT1_.has_dyn_sized_stack, 0
	.set _ZN7rocprim17ROCPRIM_400000_NS6detail17trampoline_kernelINS0_14default_configENS1_27scan_by_key_config_selectorIijEEZZNS1_16scan_by_key_implILNS1_25lookback_scan_determinismE0ELb0ES3_N6thrust23THRUST_200600_302600_NS6detail15normal_iteratorINS9_10device_ptrIiEEEENSB_INSC_IjEEEESG_jNS9_4plusIvEENS9_8equal_toIvEEjEE10hipError_tPvRmT2_T3_T4_T5_mT6_T7_P12ihipStream_tbENKUlT_T0_E_clISt17integral_constantIbLb0EES11_EEDaSW_SX_EUlSW_E_NS1_11comp_targetILNS1_3genE10ELNS1_11target_archE1200ELNS1_3gpuE4ELNS1_3repE0EEENS1_30default_config_static_selectorELNS0_4arch9wavefront6targetE0EEEvT1_.has_recursion, 0
	.set _ZN7rocprim17ROCPRIM_400000_NS6detail17trampoline_kernelINS0_14default_configENS1_27scan_by_key_config_selectorIijEEZZNS1_16scan_by_key_implILNS1_25lookback_scan_determinismE0ELb0ES3_N6thrust23THRUST_200600_302600_NS6detail15normal_iteratorINS9_10device_ptrIiEEEENSB_INSC_IjEEEESG_jNS9_4plusIvEENS9_8equal_toIvEEjEE10hipError_tPvRmT2_T3_T4_T5_mT6_T7_P12ihipStream_tbENKUlT_T0_E_clISt17integral_constantIbLb0EES11_EEDaSW_SX_EUlSW_E_NS1_11comp_targetILNS1_3genE10ELNS1_11target_archE1200ELNS1_3gpuE4ELNS1_3repE0EEENS1_30default_config_static_selectorELNS0_4arch9wavefront6targetE0EEEvT1_.has_indirect_call, 0
	.section	.AMDGPU.csdata,"",@progbits
; Kernel info:
; codeLenInByte = 0
; TotalNumSgprs: 0
; NumVgprs: 0
; ScratchSize: 0
; MemoryBound: 0
; FloatMode: 240
; IeeeMode: 1
; LDSByteSize: 0 bytes/workgroup (compile time only)
; SGPRBlocks: 0
; VGPRBlocks: 0
; NumSGPRsForWavesPerEU: 1
; NumVGPRsForWavesPerEU: 1
; Occupancy: 16
; WaveLimiterHint : 0
; COMPUTE_PGM_RSRC2:SCRATCH_EN: 0
; COMPUTE_PGM_RSRC2:USER_SGPR: 6
; COMPUTE_PGM_RSRC2:TRAP_HANDLER: 0
; COMPUTE_PGM_RSRC2:TGID_X_EN: 1
; COMPUTE_PGM_RSRC2:TGID_Y_EN: 0
; COMPUTE_PGM_RSRC2:TGID_Z_EN: 0
; COMPUTE_PGM_RSRC2:TIDIG_COMP_CNT: 0
	.section	.text._ZN7rocprim17ROCPRIM_400000_NS6detail17trampoline_kernelINS0_14default_configENS1_27scan_by_key_config_selectorIijEEZZNS1_16scan_by_key_implILNS1_25lookback_scan_determinismE0ELb0ES3_N6thrust23THRUST_200600_302600_NS6detail15normal_iteratorINS9_10device_ptrIiEEEENSB_INSC_IjEEEESG_jNS9_4plusIvEENS9_8equal_toIvEEjEE10hipError_tPvRmT2_T3_T4_T5_mT6_T7_P12ihipStream_tbENKUlT_T0_E_clISt17integral_constantIbLb0EES11_EEDaSW_SX_EUlSW_E_NS1_11comp_targetILNS1_3genE9ELNS1_11target_archE1100ELNS1_3gpuE3ELNS1_3repE0EEENS1_30default_config_static_selectorELNS0_4arch9wavefront6targetE0EEEvT1_,"axG",@progbits,_ZN7rocprim17ROCPRIM_400000_NS6detail17trampoline_kernelINS0_14default_configENS1_27scan_by_key_config_selectorIijEEZZNS1_16scan_by_key_implILNS1_25lookback_scan_determinismE0ELb0ES3_N6thrust23THRUST_200600_302600_NS6detail15normal_iteratorINS9_10device_ptrIiEEEENSB_INSC_IjEEEESG_jNS9_4plusIvEENS9_8equal_toIvEEjEE10hipError_tPvRmT2_T3_T4_T5_mT6_T7_P12ihipStream_tbENKUlT_T0_E_clISt17integral_constantIbLb0EES11_EEDaSW_SX_EUlSW_E_NS1_11comp_targetILNS1_3genE9ELNS1_11target_archE1100ELNS1_3gpuE3ELNS1_3repE0EEENS1_30default_config_static_selectorELNS0_4arch9wavefront6targetE0EEEvT1_,comdat
	.protected	_ZN7rocprim17ROCPRIM_400000_NS6detail17trampoline_kernelINS0_14default_configENS1_27scan_by_key_config_selectorIijEEZZNS1_16scan_by_key_implILNS1_25lookback_scan_determinismE0ELb0ES3_N6thrust23THRUST_200600_302600_NS6detail15normal_iteratorINS9_10device_ptrIiEEEENSB_INSC_IjEEEESG_jNS9_4plusIvEENS9_8equal_toIvEEjEE10hipError_tPvRmT2_T3_T4_T5_mT6_T7_P12ihipStream_tbENKUlT_T0_E_clISt17integral_constantIbLb0EES11_EEDaSW_SX_EUlSW_E_NS1_11comp_targetILNS1_3genE9ELNS1_11target_archE1100ELNS1_3gpuE3ELNS1_3repE0EEENS1_30default_config_static_selectorELNS0_4arch9wavefront6targetE0EEEvT1_ ; -- Begin function _ZN7rocprim17ROCPRIM_400000_NS6detail17trampoline_kernelINS0_14default_configENS1_27scan_by_key_config_selectorIijEEZZNS1_16scan_by_key_implILNS1_25lookback_scan_determinismE0ELb0ES3_N6thrust23THRUST_200600_302600_NS6detail15normal_iteratorINS9_10device_ptrIiEEEENSB_INSC_IjEEEESG_jNS9_4plusIvEENS9_8equal_toIvEEjEE10hipError_tPvRmT2_T3_T4_T5_mT6_T7_P12ihipStream_tbENKUlT_T0_E_clISt17integral_constantIbLb0EES11_EEDaSW_SX_EUlSW_E_NS1_11comp_targetILNS1_3genE9ELNS1_11target_archE1100ELNS1_3gpuE3ELNS1_3repE0EEENS1_30default_config_static_selectorELNS0_4arch9wavefront6targetE0EEEvT1_
	.globl	_ZN7rocprim17ROCPRIM_400000_NS6detail17trampoline_kernelINS0_14default_configENS1_27scan_by_key_config_selectorIijEEZZNS1_16scan_by_key_implILNS1_25lookback_scan_determinismE0ELb0ES3_N6thrust23THRUST_200600_302600_NS6detail15normal_iteratorINS9_10device_ptrIiEEEENSB_INSC_IjEEEESG_jNS9_4plusIvEENS9_8equal_toIvEEjEE10hipError_tPvRmT2_T3_T4_T5_mT6_T7_P12ihipStream_tbENKUlT_T0_E_clISt17integral_constantIbLb0EES11_EEDaSW_SX_EUlSW_E_NS1_11comp_targetILNS1_3genE9ELNS1_11target_archE1100ELNS1_3gpuE3ELNS1_3repE0EEENS1_30default_config_static_selectorELNS0_4arch9wavefront6targetE0EEEvT1_
	.p2align	8
	.type	_ZN7rocprim17ROCPRIM_400000_NS6detail17trampoline_kernelINS0_14default_configENS1_27scan_by_key_config_selectorIijEEZZNS1_16scan_by_key_implILNS1_25lookback_scan_determinismE0ELb0ES3_N6thrust23THRUST_200600_302600_NS6detail15normal_iteratorINS9_10device_ptrIiEEEENSB_INSC_IjEEEESG_jNS9_4plusIvEENS9_8equal_toIvEEjEE10hipError_tPvRmT2_T3_T4_T5_mT6_T7_P12ihipStream_tbENKUlT_T0_E_clISt17integral_constantIbLb0EES11_EEDaSW_SX_EUlSW_E_NS1_11comp_targetILNS1_3genE9ELNS1_11target_archE1100ELNS1_3gpuE3ELNS1_3repE0EEENS1_30default_config_static_selectorELNS0_4arch9wavefront6targetE0EEEvT1_,@function
_ZN7rocprim17ROCPRIM_400000_NS6detail17trampoline_kernelINS0_14default_configENS1_27scan_by_key_config_selectorIijEEZZNS1_16scan_by_key_implILNS1_25lookback_scan_determinismE0ELb0ES3_N6thrust23THRUST_200600_302600_NS6detail15normal_iteratorINS9_10device_ptrIiEEEENSB_INSC_IjEEEESG_jNS9_4plusIvEENS9_8equal_toIvEEjEE10hipError_tPvRmT2_T3_T4_T5_mT6_T7_P12ihipStream_tbENKUlT_T0_E_clISt17integral_constantIbLb0EES11_EEDaSW_SX_EUlSW_E_NS1_11comp_targetILNS1_3genE9ELNS1_11target_archE1100ELNS1_3gpuE3ELNS1_3repE0EEENS1_30default_config_static_selectorELNS0_4arch9wavefront6targetE0EEEvT1_: ; @_ZN7rocprim17ROCPRIM_400000_NS6detail17trampoline_kernelINS0_14default_configENS1_27scan_by_key_config_selectorIijEEZZNS1_16scan_by_key_implILNS1_25lookback_scan_determinismE0ELb0ES3_N6thrust23THRUST_200600_302600_NS6detail15normal_iteratorINS9_10device_ptrIiEEEENSB_INSC_IjEEEESG_jNS9_4plusIvEENS9_8equal_toIvEEjEE10hipError_tPvRmT2_T3_T4_T5_mT6_T7_P12ihipStream_tbENKUlT_T0_E_clISt17integral_constantIbLb0EES11_EEDaSW_SX_EUlSW_E_NS1_11comp_targetILNS1_3genE9ELNS1_11target_archE1100ELNS1_3gpuE3ELNS1_3repE0EEENS1_30default_config_static_selectorELNS0_4arch9wavefront6targetE0EEEvT1_
; %bb.0:
	.section	.rodata,"a",@progbits
	.p2align	6, 0x0
	.amdhsa_kernel _ZN7rocprim17ROCPRIM_400000_NS6detail17trampoline_kernelINS0_14default_configENS1_27scan_by_key_config_selectorIijEEZZNS1_16scan_by_key_implILNS1_25lookback_scan_determinismE0ELb0ES3_N6thrust23THRUST_200600_302600_NS6detail15normal_iteratorINS9_10device_ptrIiEEEENSB_INSC_IjEEEESG_jNS9_4plusIvEENS9_8equal_toIvEEjEE10hipError_tPvRmT2_T3_T4_T5_mT6_T7_P12ihipStream_tbENKUlT_T0_E_clISt17integral_constantIbLb0EES11_EEDaSW_SX_EUlSW_E_NS1_11comp_targetILNS1_3genE9ELNS1_11target_archE1100ELNS1_3gpuE3ELNS1_3repE0EEENS1_30default_config_static_selectorELNS0_4arch9wavefront6targetE0EEEvT1_
		.amdhsa_group_segment_fixed_size 0
		.amdhsa_private_segment_fixed_size 0
		.amdhsa_kernarg_size 112
		.amdhsa_user_sgpr_count 6
		.amdhsa_user_sgpr_private_segment_buffer 1
		.amdhsa_user_sgpr_dispatch_ptr 0
		.amdhsa_user_sgpr_queue_ptr 0
		.amdhsa_user_sgpr_kernarg_segment_ptr 1
		.amdhsa_user_sgpr_dispatch_id 0
		.amdhsa_user_sgpr_flat_scratch_init 0
		.amdhsa_user_sgpr_private_segment_size 0
		.amdhsa_wavefront_size32 1
		.amdhsa_uses_dynamic_stack 0
		.amdhsa_system_sgpr_private_segment_wavefront_offset 0
		.amdhsa_system_sgpr_workgroup_id_x 1
		.amdhsa_system_sgpr_workgroup_id_y 0
		.amdhsa_system_sgpr_workgroup_id_z 0
		.amdhsa_system_sgpr_workgroup_info 0
		.amdhsa_system_vgpr_workitem_id 0
		.amdhsa_next_free_vgpr 1
		.amdhsa_next_free_sgpr 1
		.amdhsa_reserve_vcc 0
		.amdhsa_reserve_flat_scratch 0
		.amdhsa_float_round_mode_32 0
		.amdhsa_float_round_mode_16_64 0
		.amdhsa_float_denorm_mode_32 3
		.amdhsa_float_denorm_mode_16_64 3
		.amdhsa_dx10_clamp 1
		.amdhsa_ieee_mode 1
		.amdhsa_fp16_overflow 0
		.amdhsa_workgroup_processor_mode 1
		.amdhsa_memory_ordered 1
		.amdhsa_forward_progress 1
		.amdhsa_shared_vgpr_count 0
		.amdhsa_exception_fp_ieee_invalid_op 0
		.amdhsa_exception_fp_denorm_src 0
		.amdhsa_exception_fp_ieee_div_zero 0
		.amdhsa_exception_fp_ieee_overflow 0
		.amdhsa_exception_fp_ieee_underflow 0
		.amdhsa_exception_fp_ieee_inexact 0
		.amdhsa_exception_int_div_zero 0
	.end_amdhsa_kernel
	.section	.text._ZN7rocprim17ROCPRIM_400000_NS6detail17trampoline_kernelINS0_14default_configENS1_27scan_by_key_config_selectorIijEEZZNS1_16scan_by_key_implILNS1_25lookback_scan_determinismE0ELb0ES3_N6thrust23THRUST_200600_302600_NS6detail15normal_iteratorINS9_10device_ptrIiEEEENSB_INSC_IjEEEESG_jNS9_4plusIvEENS9_8equal_toIvEEjEE10hipError_tPvRmT2_T3_T4_T5_mT6_T7_P12ihipStream_tbENKUlT_T0_E_clISt17integral_constantIbLb0EES11_EEDaSW_SX_EUlSW_E_NS1_11comp_targetILNS1_3genE9ELNS1_11target_archE1100ELNS1_3gpuE3ELNS1_3repE0EEENS1_30default_config_static_selectorELNS0_4arch9wavefront6targetE0EEEvT1_,"axG",@progbits,_ZN7rocprim17ROCPRIM_400000_NS6detail17trampoline_kernelINS0_14default_configENS1_27scan_by_key_config_selectorIijEEZZNS1_16scan_by_key_implILNS1_25lookback_scan_determinismE0ELb0ES3_N6thrust23THRUST_200600_302600_NS6detail15normal_iteratorINS9_10device_ptrIiEEEENSB_INSC_IjEEEESG_jNS9_4plusIvEENS9_8equal_toIvEEjEE10hipError_tPvRmT2_T3_T4_T5_mT6_T7_P12ihipStream_tbENKUlT_T0_E_clISt17integral_constantIbLb0EES11_EEDaSW_SX_EUlSW_E_NS1_11comp_targetILNS1_3genE9ELNS1_11target_archE1100ELNS1_3gpuE3ELNS1_3repE0EEENS1_30default_config_static_selectorELNS0_4arch9wavefront6targetE0EEEvT1_,comdat
.Lfunc_end1228:
	.size	_ZN7rocprim17ROCPRIM_400000_NS6detail17trampoline_kernelINS0_14default_configENS1_27scan_by_key_config_selectorIijEEZZNS1_16scan_by_key_implILNS1_25lookback_scan_determinismE0ELb0ES3_N6thrust23THRUST_200600_302600_NS6detail15normal_iteratorINS9_10device_ptrIiEEEENSB_INSC_IjEEEESG_jNS9_4plusIvEENS9_8equal_toIvEEjEE10hipError_tPvRmT2_T3_T4_T5_mT6_T7_P12ihipStream_tbENKUlT_T0_E_clISt17integral_constantIbLb0EES11_EEDaSW_SX_EUlSW_E_NS1_11comp_targetILNS1_3genE9ELNS1_11target_archE1100ELNS1_3gpuE3ELNS1_3repE0EEENS1_30default_config_static_selectorELNS0_4arch9wavefront6targetE0EEEvT1_, .Lfunc_end1228-_ZN7rocprim17ROCPRIM_400000_NS6detail17trampoline_kernelINS0_14default_configENS1_27scan_by_key_config_selectorIijEEZZNS1_16scan_by_key_implILNS1_25lookback_scan_determinismE0ELb0ES3_N6thrust23THRUST_200600_302600_NS6detail15normal_iteratorINS9_10device_ptrIiEEEENSB_INSC_IjEEEESG_jNS9_4plusIvEENS9_8equal_toIvEEjEE10hipError_tPvRmT2_T3_T4_T5_mT6_T7_P12ihipStream_tbENKUlT_T0_E_clISt17integral_constantIbLb0EES11_EEDaSW_SX_EUlSW_E_NS1_11comp_targetILNS1_3genE9ELNS1_11target_archE1100ELNS1_3gpuE3ELNS1_3repE0EEENS1_30default_config_static_selectorELNS0_4arch9wavefront6targetE0EEEvT1_
                                        ; -- End function
	.set _ZN7rocprim17ROCPRIM_400000_NS6detail17trampoline_kernelINS0_14default_configENS1_27scan_by_key_config_selectorIijEEZZNS1_16scan_by_key_implILNS1_25lookback_scan_determinismE0ELb0ES3_N6thrust23THRUST_200600_302600_NS6detail15normal_iteratorINS9_10device_ptrIiEEEENSB_INSC_IjEEEESG_jNS9_4plusIvEENS9_8equal_toIvEEjEE10hipError_tPvRmT2_T3_T4_T5_mT6_T7_P12ihipStream_tbENKUlT_T0_E_clISt17integral_constantIbLb0EES11_EEDaSW_SX_EUlSW_E_NS1_11comp_targetILNS1_3genE9ELNS1_11target_archE1100ELNS1_3gpuE3ELNS1_3repE0EEENS1_30default_config_static_selectorELNS0_4arch9wavefront6targetE0EEEvT1_.num_vgpr, 0
	.set _ZN7rocprim17ROCPRIM_400000_NS6detail17trampoline_kernelINS0_14default_configENS1_27scan_by_key_config_selectorIijEEZZNS1_16scan_by_key_implILNS1_25lookback_scan_determinismE0ELb0ES3_N6thrust23THRUST_200600_302600_NS6detail15normal_iteratorINS9_10device_ptrIiEEEENSB_INSC_IjEEEESG_jNS9_4plusIvEENS9_8equal_toIvEEjEE10hipError_tPvRmT2_T3_T4_T5_mT6_T7_P12ihipStream_tbENKUlT_T0_E_clISt17integral_constantIbLb0EES11_EEDaSW_SX_EUlSW_E_NS1_11comp_targetILNS1_3genE9ELNS1_11target_archE1100ELNS1_3gpuE3ELNS1_3repE0EEENS1_30default_config_static_selectorELNS0_4arch9wavefront6targetE0EEEvT1_.num_agpr, 0
	.set _ZN7rocprim17ROCPRIM_400000_NS6detail17trampoline_kernelINS0_14default_configENS1_27scan_by_key_config_selectorIijEEZZNS1_16scan_by_key_implILNS1_25lookback_scan_determinismE0ELb0ES3_N6thrust23THRUST_200600_302600_NS6detail15normal_iteratorINS9_10device_ptrIiEEEENSB_INSC_IjEEEESG_jNS9_4plusIvEENS9_8equal_toIvEEjEE10hipError_tPvRmT2_T3_T4_T5_mT6_T7_P12ihipStream_tbENKUlT_T0_E_clISt17integral_constantIbLb0EES11_EEDaSW_SX_EUlSW_E_NS1_11comp_targetILNS1_3genE9ELNS1_11target_archE1100ELNS1_3gpuE3ELNS1_3repE0EEENS1_30default_config_static_selectorELNS0_4arch9wavefront6targetE0EEEvT1_.numbered_sgpr, 0
	.set _ZN7rocprim17ROCPRIM_400000_NS6detail17trampoline_kernelINS0_14default_configENS1_27scan_by_key_config_selectorIijEEZZNS1_16scan_by_key_implILNS1_25lookback_scan_determinismE0ELb0ES3_N6thrust23THRUST_200600_302600_NS6detail15normal_iteratorINS9_10device_ptrIiEEEENSB_INSC_IjEEEESG_jNS9_4plusIvEENS9_8equal_toIvEEjEE10hipError_tPvRmT2_T3_T4_T5_mT6_T7_P12ihipStream_tbENKUlT_T0_E_clISt17integral_constantIbLb0EES11_EEDaSW_SX_EUlSW_E_NS1_11comp_targetILNS1_3genE9ELNS1_11target_archE1100ELNS1_3gpuE3ELNS1_3repE0EEENS1_30default_config_static_selectorELNS0_4arch9wavefront6targetE0EEEvT1_.num_named_barrier, 0
	.set _ZN7rocprim17ROCPRIM_400000_NS6detail17trampoline_kernelINS0_14default_configENS1_27scan_by_key_config_selectorIijEEZZNS1_16scan_by_key_implILNS1_25lookback_scan_determinismE0ELb0ES3_N6thrust23THRUST_200600_302600_NS6detail15normal_iteratorINS9_10device_ptrIiEEEENSB_INSC_IjEEEESG_jNS9_4plusIvEENS9_8equal_toIvEEjEE10hipError_tPvRmT2_T3_T4_T5_mT6_T7_P12ihipStream_tbENKUlT_T0_E_clISt17integral_constantIbLb0EES11_EEDaSW_SX_EUlSW_E_NS1_11comp_targetILNS1_3genE9ELNS1_11target_archE1100ELNS1_3gpuE3ELNS1_3repE0EEENS1_30default_config_static_selectorELNS0_4arch9wavefront6targetE0EEEvT1_.private_seg_size, 0
	.set _ZN7rocprim17ROCPRIM_400000_NS6detail17trampoline_kernelINS0_14default_configENS1_27scan_by_key_config_selectorIijEEZZNS1_16scan_by_key_implILNS1_25lookback_scan_determinismE0ELb0ES3_N6thrust23THRUST_200600_302600_NS6detail15normal_iteratorINS9_10device_ptrIiEEEENSB_INSC_IjEEEESG_jNS9_4plusIvEENS9_8equal_toIvEEjEE10hipError_tPvRmT2_T3_T4_T5_mT6_T7_P12ihipStream_tbENKUlT_T0_E_clISt17integral_constantIbLb0EES11_EEDaSW_SX_EUlSW_E_NS1_11comp_targetILNS1_3genE9ELNS1_11target_archE1100ELNS1_3gpuE3ELNS1_3repE0EEENS1_30default_config_static_selectorELNS0_4arch9wavefront6targetE0EEEvT1_.uses_vcc, 0
	.set _ZN7rocprim17ROCPRIM_400000_NS6detail17trampoline_kernelINS0_14default_configENS1_27scan_by_key_config_selectorIijEEZZNS1_16scan_by_key_implILNS1_25lookback_scan_determinismE0ELb0ES3_N6thrust23THRUST_200600_302600_NS6detail15normal_iteratorINS9_10device_ptrIiEEEENSB_INSC_IjEEEESG_jNS9_4plusIvEENS9_8equal_toIvEEjEE10hipError_tPvRmT2_T3_T4_T5_mT6_T7_P12ihipStream_tbENKUlT_T0_E_clISt17integral_constantIbLb0EES11_EEDaSW_SX_EUlSW_E_NS1_11comp_targetILNS1_3genE9ELNS1_11target_archE1100ELNS1_3gpuE3ELNS1_3repE0EEENS1_30default_config_static_selectorELNS0_4arch9wavefront6targetE0EEEvT1_.uses_flat_scratch, 0
	.set _ZN7rocprim17ROCPRIM_400000_NS6detail17trampoline_kernelINS0_14default_configENS1_27scan_by_key_config_selectorIijEEZZNS1_16scan_by_key_implILNS1_25lookback_scan_determinismE0ELb0ES3_N6thrust23THRUST_200600_302600_NS6detail15normal_iteratorINS9_10device_ptrIiEEEENSB_INSC_IjEEEESG_jNS9_4plusIvEENS9_8equal_toIvEEjEE10hipError_tPvRmT2_T3_T4_T5_mT6_T7_P12ihipStream_tbENKUlT_T0_E_clISt17integral_constantIbLb0EES11_EEDaSW_SX_EUlSW_E_NS1_11comp_targetILNS1_3genE9ELNS1_11target_archE1100ELNS1_3gpuE3ELNS1_3repE0EEENS1_30default_config_static_selectorELNS0_4arch9wavefront6targetE0EEEvT1_.has_dyn_sized_stack, 0
	.set _ZN7rocprim17ROCPRIM_400000_NS6detail17trampoline_kernelINS0_14default_configENS1_27scan_by_key_config_selectorIijEEZZNS1_16scan_by_key_implILNS1_25lookback_scan_determinismE0ELb0ES3_N6thrust23THRUST_200600_302600_NS6detail15normal_iteratorINS9_10device_ptrIiEEEENSB_INSC_IjEEEESG_jNS9_4plusIvEENS9_8equal_toIvEEjEE10hipError_tPvRmT2_T3_T4_T5_mT6_T7_P12ihipStream_tbENKUlT_T0_E_clISt17integral_constantIbLb0EES11_EEDaSW_SX_EUlSW_E_NS1_11comp_targetILNS1_3genE9ELNS1_11target_archE1100ELNS1_3gpuE3ELNS1_3repE0EEENS1_30default_config_static_selectorELNS0_4arch9wavefront6targetE0EEEvT1_.has_recursion, 0
	.set _ZN7rocprim17ROCPRIM_400000_NS6detail17trampoline_kernelINS0_14default_configENS1_27scan_by_key_config_selectorIijEEZZNS1_16scan_by_key_implILNS1_25lookback_scan_determinismE0ELb0ES3_N6thrust23THRUST_200600_302600_NS6detail15normal_iteratorINS9_10device_ptrIiEEEENSB_INSC_IjEEEESG_jNS9_4plusIvEENS9_8equal_toIvEEjEE10hipError_tPvRmT2_T3_T4_T5_mT6_T7_P12ihipStream_tbENKUlT_T0_E_clISt17integral_constantIbLb0EES11_EEDaSW_SX_EUlSW_E_NS1_11comp_targetILNS1_3genE9ELNS1_11target_archE1100ELNS1_3gpuE3ELNS1_3repE0EEENS1_30default_config_static_selectorELNS0_4arch9wavefront6targetE0EEEvT1_.has_indirect_call, 0
	.section	.AMDGPU.csdata,"",@progbits
; Kernel info:
; codeLenInByte = 0
; TotalNumSgprs: 0
; NumVgprs: 0
; ScratchSize: 0
; MemoryBound: 0
; FloatMode: 240
; IeeeMode: 1
; LDSByteSize: 0 bytes/workgroup (compile time only)
; SGPRBlocks: 0
; VGPRBlocks: 0
; NumSGPRsForWavesPerEU: 1
; NumVGPRsForWavesPerEU: 1
; Occupancy: 16
; WaveLimiterHint : 0
; COMPUTE_PGM_RSRC2:SCRATCH_EN: 0
; COMPUTE_PGM_RSRC2:USER_SGPR: 6
; COMPUTE_PGM_RSRC2:TRAP_HANDLER: 0
; COMPUTE_PGM_RSRC2:TGID_X_EN: 1
; COMPUTE_PGM_RSRC2:TGID_Y_EN: 0
; COMPUTE_PGM_RSRC2:TGID_Z_EN: 0
; COMPUTE_PGM_RSRC2:TIDIG_COMP_CNT: 0
	.section	.text._ZN7rocprim17ROCPRIM_400000_NS6detail17trampoline_kernelINS0_14default_configENS1_27scan_by_key_config_selectorIijEEZZNS1_16scan_by_key_implILNS1_25lookback_scan_determinismE0ELb0ES3_N6thrust23THRUST_200600_302600_NS6detail15normal_iteratorINS9_10device_ptrIiEEEENSB_INSC_IjEEEESG_jNS9_4plusIvEENS9_8equal_toIvEEjEE10hipError_tPvRmT2_T3_T4_T5_mT6_T7_P12ihipStream_tbENKUlT_T0_E_clISt17integral_constantIbLb0EES11_EEDaSW_SX_EUlSW_E_NS1_11comp_targetILNS1_3genE8ELNS1_11target_archE1030ELNS1_3gpuE2ELNS1_3repE0EEENS1_30default_config_static_selectorELNS0_4arch9wavefront6targetE0EEEvT1_,"axG",@progbits,_ZN7rocprim17ROCPRIM_400000_NS6detail17trampoline_kernelINS0_14default_configENS1_27scan_by_key_config_selectorIijEEZZNS1_16scan_by_key_implILNS1_25lookback_scan_determinismE0ELb0ES3_N6thrust23THRUST_200600_302600_NS6detail15normal_iteratorINS9_10device_ptrIiEEEENSB_INSC_IjEEEESG_jNS9_4plusIvEENS9_8equal_toIvEEjEE10hipError_tPvRmT2_T3_T4_T5_mT6_T7_P12ihipStream_tbENKUlT_T0_E_clISt17integral_constantIbLb0EES11_EEDaSW_SX_EUlSW_E_NS1_11comp_targetILNS1_3genE8ELNS1_11target_archE1030ELNS1_3gpuE2ELNS1_3repE0EEENS1_30default_config_static_selectorELNS0_4arch9wavefront6targetE0EEEvT1_,comdat
	.protected	_ZN7rocprim17ROCPRIM_400000_NS6detail17trampoline_kernelINS0_14default_configENS1_27scan_by_key_config_selectorIijEEZZNS1_16scan_by_key_implILNS1_25lookback_scan_determinismE0ELb0ES3_N6thrust23THRUST_200600_302600_NS6detail15normal_iteratorINS9_10device_ptrIiEEEENSB_INSC_IjEEEESG_jNS9_4plusIvEENS9_8equal_toIvEEjEE10hipError_tPvRmT2_T3_T4_T5_mT6_T7_P12ihipStream_tbENKUlT_T0_E_clISt17integral_constantIbLb0EES11_EEDaSW_SX_EUlSW_E_NS1_11comp_targetILNS1_3genE8ELNS1_11target_archE1030ELNS1_3gpuE2ELNS1_3repE0EEENS1_30default_config_static_selectorELNS0_4arch9wavefront6targetE0EEEvT1_ ; -- Begin function _ZN7rocprim17ROCPRIM_400000_NS6detail17trampoline_kernelINS0_14default_configENS1_27scan_by_key_config_selectorIijEEZZNS1_16scan_by_key_implILNS1_25lookback_scan_determinismE0ELb0ES3_N6thrust23THRUST_200600_302600_NS6detail15normal_iteratorINS9_10device_ptrIiEEEENSB_INSC_IjEEEESG_jNS9_4plusIvEENS9_8equal_toIvEEjEE10hipError_tPvRmT2_T3_T4_T5_mT6_T7_P12ihipStream_tbENKUlT_T0_E_clISt17integral_constantIbLb0EES11_EEDaSW_SX_EUlSW_E_NS1_11comp_targetILNS1_3genE8ELNS1_11target_archE1030ELNS1_3gpuE2ELNS1_3repE0EEENS1_30default_config_static_selectorELNS0_4arch9wavefront6targetE0EEEvT1_
	.globl	_ZN7rocprim17ROCPRIM_400000_NS6detail17trampoline_kernelINS0_14default_configENS1_27scan_by_key_config_selectorIijEEZZNS1_16scan_by_key_implILNS1_25lookback_scan_determinismE0ELb0ES3_N6thrust23THRUST_200600_302600_NS6detail15normal_iteratorINS9_10device_ptrIiEEEENSB_INSC_IjEEEESG_jNS9_4plusIvEENS9_8equal_toIvEEjEE10hipError_tPvRmT2_T3_T4_T5_mT6_T7_P12ihipStream_tbENKUlT_T0_E_clISt17integral_constantIbLb0EES11_EEDaSW_SX_EUlSW_E_NS1_11comp_targetILNS1_3genE8ELNS1_11target_archE1030ELNS1_3gpuE2ELNS1_3repE0EEENS1_30default_config_static_selectorELNS0_4arch9wavefront6targetE0EEEvT1_
	.p2align	8
	.type	_ZN7rocprim17ROCPRIM_400000_NS6detail17trampoline_kernelINS0_14default_configENS1_27scan_by_key_config_selectorIijEEZZNS1_16scan_by_key_implILNS1_25lookback_scan_determinismE0ELb0ES3_N6thrust23THRUST_200600_302600_NS6detail15normal_iteratorINS9_10device_ptrIiEEEENSB_INSC_IjEEEESG_jNS9_4plusIvEENS9_8equal_toIvEEjEE10hipError_tPvRmT2_T3_T4_T5_mT6_T7_P12ihipStream_tbENKUlT_T0_E_clISt17integral_constantIbLb0EES11_EEDaSW_SX_EUlSW_E_NS1_11comp_targetILNS1_3genE8ELNS1_11target_archE1030ELNS1_3gpuE2ELNS1_3repE0EEENS1_30default_config_static_selectorELNS0_4arch9wavefront6targetE0EEEvT1_,@function
_ZN7rocprim17ROCPRIM_400000_NS6detail17trampoline_kernelINS0_14default_configENS1_27scan_by_key_config_selectorIijEEZZNS1_16scan_by_key_implILNS1_25lookback_scan_determinismE0ELb0ES3_N6thrust23THRUST_200600_302600_NS6detail15normal_iteratorINS9_10device_ptrIiEEEENSB_INSC_IjEEEESG_jNS9_4plusIvEENS9_8equal_toIvEEjEE10hipError_tPvRmT2_T3_T4_T5_mT6_T7_P12ihipStream_tbENKUlT_T0_E_clISt17integral_constantIbLb0EES11_EEDaSW_SX_EUlSW_E_NS1_11comp_targetILNS1_3genE8ELNS1_11target_archE1030ELNS1_3gpuE2ELNS1_3repE0EEENS1_30default_config_static_selectorELNS0_4arch9wavefront6targetE0EEEvT1_: ; @_ZN7rocprim17ROCPRIM_400000_NS6detail17trampoline_kernelINS0_14default_configENS1_27scan_by_key_config_selectorIijEEZZNS1_16scan_by_key_implILNS1_25lookback_scan_determinismE0ELb0ES3_N6thrust23THRUST_200600_302600_NS6detail15normal_iteratorINS9_10device_ptrIiEEEENSB_INSC_IjEEEESG_jNS9_4plusIvEENS9_8equal_toIvEEjEE10hipError_tPvRmT2_T3_T4_T5_mT6_T7_P12ihipStream_tbENKUlT_T0_E_clISt17integral_constantIbLb0EES11_EEDaSW_SX_EUlSW_E_NS1_11comp_targetILNS1_3genE8ELNS1_11target_archE1030ELNS1_3gpuE2ELNS1_3repE0EEENS1_30default_config_static_selectorELNS0_4arch9wavefront6targetE0EEEvT1_
; %bb.0:
	s_clause 0x4
	s_load_dwordx8 s[8:15], s[4:5], 0x0
	s_load_dwordx2 s[28:29], s[4:5], 0x38
	s_load_dword s2, s[4:5], 0x40
	s_load_dwordx8 s[16:23], s[4:5], 0x48
	s_load_dwordx4 s[24:27], s[4:5], 0x28
	s_mov_b32 s1, 0
	s_waitcnt lgkmcnt(0)
	s_barrier
	buffer_gl0_inv
	s_lshl_b64 s[10:11], s[10:11], 2
	s_add_u32 s4, s8, s10
	s_mul_i32 s0, s29, s2
	s_mul_hi_u32 s3, s28, s2
	s_addc_u32 s5, s9, s11
	s_add_u32 s7, s12, s10
	s_addc_u32 s12, s13, s11
	s_add_i32 s13, s3, s0
	s_cmp_lg_u64 s[20:21], 0
	s_mul_i32 s0, s6, 0x300
	s_cselect_b32 s27, -1, 0
	s_lshl_b64 s[8:9], s[0:1], 2
	s_mul_i32 s0, s28, s2
	s_add_u32 s4, s4, s8
	s_addc_u32 s5, s5, s9
	s_add_u32 s3, s7, s8
	s_addc_u32 s21, s12, s9
	;; [unrolled: 2-line block ×3, first 2 shown]
	s_add_u32 s16, s16, -1
	s_addc_u32 s17, s17, -1
	s_mul_i32 s20, s16, 0xfffffd00
	v_cmp_ge_u64_e64 s7, s[12:13], s[16:17]
	s_and_b32 vcc_lo, exec_lo, s7
	s_cbranch_vccz .LBB1229_22
; %bb.1:
	v_mov_b32_e32 v1, s4
	v_mov_b32_e32 v2, s5
	s_add_i32 s30, s20, s26
	v_cmp_gt_u32_e64 s0, s30, v0
	flat_load_dword v2, v[1:2]
	s_waitcnt vmcnt(0) lgkmcnt(0)
	v_mov_b32_e32 v3, v2
	s_and_saveexec_b32 s1, s0
	s_cbranch_execz .LBB1229_3
; %bb.2:
	v_lshlrev_b32_e32 v1, 2, v0
	v_add_co_u32 v3, s2, s4, v1
	v_add_co_ci_u32_e64 v4, null, s5, 0, s2
	flat_load_dword v3, v[3:4]
.LBB1229_3:
	s_or_b32 exec_lo, exec_lo, s1
	v_or_b32_e32 v1, 0x100, v0
	v_mov_b32_e32 v4, v2
	v_cmp_gt_u32_e64 s1, s30, v1
	s_and_saveexec_b32 s2, s1
	s_cbranch_execz .LBB1229_5
; %bb.4:
	v_lshlrev_b32_e32 v1, 2, v0
	v_add_co_u32 v4, s16, s4, v1
	v_add_co_ci_u32_e64 v5, null, s5, 0, s16
	flat_load_dword v4, v[4:5] offset:1024
.LBB1229_5:
	s_or_b32 exec_lo, exec_lo, s2
	v_or_b32_e32 v1, 0x200, v0
	v_cmp_gt_u32_e64 s2, s30, v1
	v_lshlrev_b32_e32 v8, 2, v1
	s_and_saveexec_b32 s16, s2
	s_cbranch_execz .LBB1229_7
; %bb.6:
	v_add_co_u32 v1, s17, s4, v8
	v_add_co_ci_u32_e64 v2, null, s5, 0, s17
	flat_load_dword v2, v[1:2]
.LBB1229_7:
	s_or_b32 exec_lo, exec_lo, s16
	v_lshlrev_b32_e32 v9, 2, v0
	v_lshlrev_b32_e32 v1, 3, v0
	s_cmp_eq_u64 s[12:13], 0
	s_mov_b64 s[16:17], s[4:5]
	s_waitcnt vmcnt(0) lgkmcnt(0)
	ds_write2st64_b32 v9, v3, v4 offset1:4
	v_add_nc_u32_e32 v7, v9, v1
	ds_write_b32 v9, v2 offset:2048
	s_waitcnt lgkmcnt(0)
	s_barrier
	buffer_gl0_inv
	ds_read2_b32 v[4:5], v7 offset1:1
	ds_read_b32 v6, v7 offset:8
	s_cbranch_scc1 .LBB1229_11
; %bb.8:
	s_andn2_b32 vcc_lo, exec_lo, s27
	s_cbranch_vccnz .LBB1229_101
; %bb.9:
	s_lshl_b64 s[16:17], s[12:13], 2
	s_add_u32 s16, s22, s16
	s_addc_u32 s17, s23, s17
	s_add_u32 s16, s16, -4
	s_addc_u32 s17, s17, -1
	s_cbranch_execnz .LBB1229_11
.LBB1229_10:
	s_add_u32 s16, s4, -4
	s_addc_u32 s17, s5, -1
.LBB1229_11:
	v_mov_b32_e32 v2, s16
	v_mov_b32_e32 v3, s17
	s_mov_b32 s16, exec_lo
	flat_load_dword v13, v[2:3]
	v_sub_nc_u32_e32 v2, v7, v1
	s_waitcnt lgkmcnt(1)
	ds_write_b32 v2, v6 offset:3072
	s_waitcnt vmcnt(0) lgkmcnt(0)
	s_barrier
	buffer_gl0_inv
	v_cmpx_ne_u32_e32 0, v0
; %bb.12:
	v_sub_nc_u32_e32 v1, 0, v1
	v_add_nc_u32_e32 v1, v7, v1
	ds_read_b32 v13, v1 offset:3068
; %bb.13:
	s_or_b32 exec_lo, exec_lo, s16
	v_mov_b32_e32 v1, 0
	s_waitcnt lgkmcnt(0)
	s_barrier
	buffer_gl0_inv
	v_mov_b32_e32 v2, v1
	v_mov_b32_e32 v3, v1
	s_and_saveexec_b32 s16, s0
	s_cbranch_execnz .LBB1229_99
; %bb.14:
	s_or_b32 exec_lo, exec_lo, s16
	s_and_saveexec_b32 s0, s1
	s_cbranch_execnz .LBB1229_100
.LBB1229_15:
	s_or_b32 exec_lo, exec_lo, s0
	s_and_saveexec_b32 s0, s2
	s_cbranch_execz .LBB1229_17
.LBB1229_16:
	v_add_co_u32 v10, s1, s3, v8
	v_add_co_ci_u32_e64 v11, null, s21, 0, s1
	flat_load_dword v3, v[10:11]
.LBB1229_17:
	s_or_b32 exec_lo, exec_lo, s0
	s_waitcnt vmcnt(0) lgkmcnt(0)
	ds_write2st64_b32 v9, v1, v2 offset1:4
	ds_write_b32 v9, v3 offset:2048
	v_mov_b32_e32 v9, 0
	v_mov_b32_e32 v11, 0
	v_mul_u32_u24_e32 v8, 3, v0
	v_mov_b32_e32 v10, 0
	v_mov_b32_e32 v12, 0
	s_mov_b32 s16, 0
	s_mov_b32 s1, 0
	s_mov_b32 s17, exec_lo
	s_waitcnt lgkmcnt(0)
	s_barrier
	buffer_gl0_inv
                                        ; implicit-def: $sgpr2
                                        ; implicit-def: $vgpr2
	v_cmpx_gt_u32_e64 s30, v8
	s_cbranch_execz .LBB1229_21
; %bb.18:
	ds_read_b32 v9, v7
	v_cmp_ne_u32_e32 vcc_lo, v13, v4
	v_mov_b32_e32 v11, 0
	v_add_nc_u32_e32 v1, 1, v8
	v_mov_b32_e32 v12, 0
	s_mov_b32 s0, 0
	v_cndmask_b32_e64 v10, 0, 1, vcc_lo
	s_mov_b32 s1, exec_lo
                                        ; implicit-def: $sgpr2
                                        ; implicit-def: $vgpr2
	v_cmpx_gt_u32_e64 s30, v1
	s_xor_b32 s1, exec_lo, s1
	s_cbranch_execz .LBB1229_20
; %bb.19:
	ds_read2_b32 v[1:2], v7 offset0:1 offset1:2
	v_add_nc_u32_e32 v3, 2, v8
	v_cmp_ne_u32_e64 s0, v4, v5
	v_cmp_ne_u32_e64 s2, v5, v6
	v_cmp_gt_u32_e32 vcc_lo, s30, v3
	v_cndmask_b32_e64 v12, 0, 1, s0
	s_and_b32 s0, vcc_lo, exec_lo
	s_waitcnt lgkmcnt(0)
	v_mov_b32_e32 v11, v1
.LBB1229_20:
	s_or_b32 exec_lo, exec_lo, s1
	s_and_b32 s1, s0, exec_lo
.LBB1229_21:
	s_or_b32 exec_lo, exec_lo, s17
	v_lshlrev_b32_e32 v18, 2, v0
	v_lshlrev_b32_e32 v19, 3, v0
	s_and_b32 vcc_lo, exec_lo, s16
	s_cbranch_vccnz .LBB1229_23
	s_branch .LBB1229_31
.LBB1229_22:
                                        ; implicit-def: $sgpr2
                                        ; implicit-def: $vgpr2
                                        ; implicit-def: $vgpr9_vgpr10
                                        ; implicit-def: $vgpr11_vgpr12
	v_lshlrev_b32_e32 v18, 2, v0
	v_lshlrev_b32_e32 v19, 3, v0
	s_cbranch_execz .LBB1229_31
.LBB1229_23:
	v_add_co_u32 v1, s0, s4, v18
	v_add_co_ci_u32_e64 v2, null, s5, 0, s0
	s_cmp_eq_u64 s[12:13], 0
	v_add_co_u32 v3, vcc_lo, 0x800, v1
	v_add_co_ci_u32_e64 v4, null, 0, v2, vcc_lo
	s_clause 0x2
	flat_load_dword v5, v[1:2]
	flat_load_dword v2, v[1:2] offset:1024
	flat_load_dword v3, v[3:4]
	v_add_nc_u32_e32 v1, v18, v19
	s_waitcnt vmcnt(1) lgkmcnt(1)
	ds_write2st64_b32 v18, v5, v2 offset1:4
	s_waitcnt vmcnt(0) lgkmcnt(1)
	ds_write_b32 v18, v3 offset:2048
	s_waitcnt lgkmcnt(0)
	s_barrier
	buffer_gl0_inv
	ds_read2_b32 v[3:4], v1 offset1:1
	ds_read_b32 v5, v1 offset:8
	s_cbranch_scc1 .LBB1229_28
; %bb.24:
	s_andn2_b32 vcc_lo, exec_lo, s27
	s_cbranch_vccnz .LBB1229_102
; %bb.25:
	s_lshl_b64 s[0:1], s[12:13], 2
	s_add_u32 s0, s22, s0
	s_addc_u32 s1, s23, s1
	s_add_u32 s0, s0, -4
	s_addc_u32 s1, s1, -1
	s_cbranch_execnz .LBB1229_27
.LBB1229_26:
	s_add_u32 s0, s4, -4
	s_addc_u32 s1, s5, -1
.LBB1229_27:
	s_mov_b64 s[4:5], s[0:1]
.LBB1229_28:
	v_mov_b32_e32 v7, s5
	v_mov_b32_e32 v6, s4
	v_sub_nc_u32_e32 v2, v1, v19
	s_mov_b32 s0, exec_lo
	flat_load_dword v6, v[6:7]
	s_waitcnt lgkmcnt(1)
	ds_write_b32 v2, v5 offset:3072
	s_waitcnt vmcnt(0) lgkmcnt(0)
	s_barrier
	buffer_gl0_inv
	v_cmpx_ne_u32_e32 0, v0
; %bb.29:
	v_sub_nc_u32_e32 v2, 0, v19
	v_add_nc_u32_e32 v2, v1, v2
	ds_read_b32 v6, v2 offset:3068
; %bb.30:
	s_or_b32 exec_lo, exec_lo, s0
	v_add_co_u32 v7, s0, s3, v18
	v_add_co_ci_u32_e64 v8, null, s21, 0, s0
	s_waitcnt lgkmcnt(0)
	v_add_co_u32 v9, vcc_lo, 0x800, v7
	v_add_co_ci_u32_e64 v10, null, 0, v8, vcc_lo
	s_barrier
	buffer_gl0_inv
	s_clause 0x2
	flat_load_dword v2, v[7:8]
	flat_load_dword v7, v[7:8] offset:1024
	flat_load_dword v8, v[9:10]
	v_cmp_ne_u32_e32 vcc_lo, v6, v3
	v_cmp_ne_u32_e64 s2, v4, v5
	s_mov_b32 s1, -1
	s_waitcnt vmcnt(1) lgkmcnt(1)
	ds_write2st64_b32 v18, v2, v7 offset1:4
	s_waitcnt vmcnt(0) lgkmcnt(1)
	ds_write_b32 v18, v8 offset:2048
	s_waitcnt lgkmcnt(0)
	s_barrier
	buffer_gl0_inv
	ds_read2_b32 v[7:8], v1 offset1:1
	ds_read_b32 v2, v1 offset:8
	v_cndmask_b32_e64 v10, 0, 1, vcc_lo
	v_cmp_ne_u32_e32 vcc_lo, v3, v4
	v_cndmask_b32_e64 v12, 0, 1, vcc_lo
	s_waitcnt lgkmcnt(1)
	v_mov_b32_e32 v9, v7
	v_mov_b32_e32 v11, v8
.LBB1229_31:
	v_mov_b32_e32 v13, 0
	v_mov_b32_e32 v14, 0
	s_and_saveexec_b32 s0, s1
	s_cbranch_execz .LBB1229_33
; %bb.32:
	v_cndmask_b32_e64 v14, 0, 1, s2
	s_waitcnt lgkmcnt(0)
	v_mov_b32_e32 v13, v2
.LBB1229_33:
	s_or_b32 exec_lo, exec_lo, s0
	v_or_b32_e32 v23, v12, v14
	v_mbcnt_lo_u32_b32 v20, -1, 0
	v_lshrrev_b32_e32 v21, 5, v0
	v_or_b32_e32 v22, 31, v0
	s_cmp_lg_u32 s6, 0
	s_mov_b32 s2, 0
	s_waitcnt lgkmcnt(0)
	s_barrier
	buffer_gl0_inv
	s_cbranch_scc0 .LBB1229_59
; %bb.34:
	v_and_b32_e32 v2, 0xff, v23
	v_mov_b32_e32 v1, 0
	s_mov_b32 s3, 1
	v_and_b32_e32 v8, 15, v20
	v_cmp_gt_u64_e64 s0, s[2:3], v[11:12]
	v_cmp_gt_u64_e64 s1, s[2:3], v[13:14]
	v_cmp_eq_u64_e32 vcc_lo, 0, v[1:2]
	v_cndmask_b32_e64 v3, 0, v9, s0
	v_cndmask_b32_e32 v2, 1, v10, vcc_lo
	v_add_nc_u32_e32 v3, v3, v11
	v_and_b32_e32 v4, 0xff, v2
	v_and_b32_e32 v6, 1, v2
	v_cndmask_b32_e64 v3, 0, v3, s1
	v_mov_b32_dpp v5, v4 row_shr:1 row_mask:0xf bank_mask:0xf
	v_cmp_eq_u32_e32 vcc_lo, 1, v6
	v_add_nc_u32_e32 v3, v3, v13
	v_and_b32_e32 v5, 1, v5
	v_mov_b32_dpp v7, v3 row_shr:1 row_mask:0xf bank_mask:0xf
	v_cndmask_b32_e64 v5, v5, 1, vcc_lo
	v_cmp_eq_u16_e32 vcc_lo, 0, v4
	v_cndmask_b32_e32 v6, 0, v7, vcc_lo
	v_cmp_eq_u32_e32 vcc_lo, 0, v8
	v_cndmask_b32_e32 v4, v5, v4, vcc_lo
	v_cndmask_b32_e32 v2, v5, v2, vcc_lo
	v_cndmask_b32_e64 v6, v6, 0, vcc_lo
	v_mov_b32_dpp v5, v4 row_shr:2 row_mask:0xf bank_mask:0xf
	v_and_b32_e32 v7, 1, v2
	v_add_nc_u32_e32 v3, v6, v3
	v_cmp_eq_u16_sdwa s2, v2, v1 src0_sel:BYTE_0 src1_sel:DWORD
	v_and_b32_e32 v5, 1, v5
	v_cmp_eq_u32_e32 vcc_lo, 1, v7
	v_cndmask_b32_e64 v5, v5, 1, vcc_lo
	v_cmp_lt_u32_e32 vcc_lo, 1, v8
	v_cndmask_b32_e32 v7, v2, v5, vcc_lo
	v_cndmask_b32_e32 v4, v4, v5, vcc_lo
	v_mov_b32_dpp v2, v3 row_shr:2 row_mask:0xf bank_mask:0xf
	s_and_b32 vcc_lo, vcc_lo, s2
	v_and_b32_e32 v6, 1, v7
	v_mov_b32_dpp v5, v4 row_shr:4 row_mask:0xf bank_mask:0xf
	v_cndmask_b32_e32 v2, 0, v2, vcc_lo
	v_cmp_eq_u16_sdwa s2, v7, v1 src0_sel:BYTE_0 src1_sel:DWORD
	v_cmp_eq_u32_e32 vcc_lo, 1, v6
	v_and_b32_e32 v5, 1, v5
	v_add_nc_u32_e32 v2, v2, v3
	v_cndmask_b32_e64 v5, v5, 1, vcc_lo
	v_cmp_lt_u32_e32 vcc_lo, 3, v8
	v_cndmask_b32_e32 v3, v7, v5, vcc_lo
	v_cndmask_b32_e32 v4, v4, v5, vcc_lo
	v_mov_b32_dpp v5, v2 row_shr:4 row_mask:0xf bank_mask:0xf
	s_and_b32 vcc_lo, vcc_lo, s2
	v_and_b32_e32 v7, 1, v3
	v_mov_b32_dpp v6, v4 row_shr:8 row_mask:0xf bank_mask:0xf
	v_cndmask_b32_e32 v5, 0, v5, vcc_lo
	v_cmp_eq_u16_sdwa s2, v3, v1 src0_sel:BYTE_0 src1_sel:DWORD
	v_cmp_eq_u32_e32 vcc_lo, 1, v7
	v_and_b32_e32 v6, 1, v6
	v_add_nc_u32_e32 v2, v5, v2
	v_bfe_i32 v7, v20, 4, 1
	v_cndmask_b32_e64 v5, v6, 1, vcc_lo
	v_cmp_lt_u32_e32 vcc_lo, 7, v8
	v_mov_b32_dpp v6, v2 row_shr:8 row_mask:0xf bank_mask:0xf
	s_and_b32 s2, vcc_lo, s2
	v_cndmask_b32_e32 v4, v4, v5, vcc_lo
	v_cndmask_b32_e64 v6, 0, v6, s2
	v_cndmask_b32_e32 v3, v3, v5, vcc_lo
	ds_swizzle_b32 v5, v4 offset:swizzle(BROADCAST,32,15)
	v_add_nc_u32_e32 v2, v6, v2
	v_and_b32_e32 v8, 1, v3
	v_cmp_eq_u16_sdwa vcc_lo, v3, v1 src0_sel:BYTE_0 src1_sel:DWORD
	v_and_b32_e32 v3, 16, v20
	ds_swizzle_b32 v6, v2 offset:swizzle(BROADCAST,32,15)
	v_cmp_eq_u32_e64 s2, 0, v3
	s_waitcnt lgkmcnt(1)
	v_and_b32_e32 v5, 1, v5
	s_waitcnt lgkmcnt(0)
	v_cndmask_b32_e32 v1, 0, v6, vcc_lo
	v_cmp_eq_u32_e32 vcc_lo, 1, v8
	v_and_b32_e32 v1, v7, v1
	v_cndmask_b32_e64 v5, v5, 1, vcc_lo
	v_add_nc_u32_e32 v3, v1, v2
	v_cndmask_b32_e64 v4, v5, v4, s2
	v_lshlrev_b32_e32 v5, 3, v21
	s_mov_b32 s2, exec_lo
	v_cmpx_eq_u32_e64 v0, v22
	s_cbranch_execz .LBB1229_36
; %bb.35:
	ds_write_b32 v5, v3
	ds_write_b8 v5, v4 offset:4
.LBB1229_36:
	s_or_b32 exec_lo, exec_lo, s2
	s_mov_b32 s2, exec_lo
	s_waitcnt lgkmcnt(0)
	s_barrier
	buffer_gl0_inv
	v_cmpx_gt_u32_e32 8, v0
	s_cbranch_execz .LBB1229_42
; %bb.37:
	ds_read_b64 v[1:2], v19
	v_and_b32_e32 v6, 7, v20
	s_mov_b32 s3, exec_lo
	s_waitcnt lgkmcnt(0)
	v_and_b32_e32 v7, 0xffffff00, v2
	v_mov_b32_dpp v15, v1 row_shr:1 row_mask:0xf bank_mask:0xf
	v_mov_b32_dpp v16, v2 row_shr:1 row_mask:0xf bank_mask:0xf
	v_mov_b32_e32 v8, v2
	v_cmpx_ne_u32_e32 0, v6
	s_cbranch_execz .LBB1229_39
; %bb.38:
	v_mov_b32_e32 v8, 0
	v_and_b32_e32 v17, 1, v2
	v_and_b32_e32 v16, 1, v16
	v_cmp_eq_u16_sdwa vcc_lo, v2, v8 src0_sel:BYTE_0 src1_sel:DWORD
	v_cndmask_b32_e32 v2, 0, v15, vcc_lo
	v_cmp_eq_u32_e32 vcc_lo, 1, v17
	v_add_nc_u32_e32 v1, v2, v1
	v_cndmask_b32_e64 v15, v16, 1, vcc_lo
	v_or_b32_sdwa v8, v7, v15 dst_sel:DWORD dst_unused:UNUSED_PAD src0_sel:DWORD src1_sel:WORD_0
	v_mov_b32_e32 v2, v15
.LBB1229_39:
	s_or_b32 exec_lo, exec_lo, s3
	v_mov_b32_dpp v15, v1 row_shr:2 row_mask:0xf bank_mask:0xf
	v_mov_b32_dpp v16, v8 row_shr:2 row_mask:0xf bank_mask:0xf
	s_mov_b32 s3, exec_lo
	v_cmpx_lt_u32_e32 1, v6
	s_cbranch_execz .LBB1229_41
; %bb.40:
	v_mov_b32_e32 v8, 0
	v_and_b32_e32 v17, 1, v2
	v_and_b32_e32 v16, 1, v16
	v_cmp_eq_u16_sdwa vcc_lo, v2, v8 src0_sel:BYTE_0 src1_sel:DWORD
	v_cndmask_b32_e32 v2, 0, v15, vcc_lo
	v_cmp_eq_u32_e32 vcc_lo, 1, v17
	v_add_nc_u32_e32 v1, v2, v1
	v_cndmask_b32_e64 v15, v16, 1, vcc_lo
	v_or_b32_sdwa v8, v7, v15 dst_sel:DWORD dst_unused:UNUSED_PAD src0_sel:DWORD src1_sel:WORD_0
	v_mov_b32_e32 v2, v15
.LBB1229_41:
	s_or_b32 exec_lo, exec_lo, s3
	v_mov_b32_dpp v7, v8 row_shr:4 row_mask:0xf bank_mask:0xf
	v_and_b32_e32 v15, 1, v2
	v_mov_b32_e32 v8, 0
	v_and_b32_e32 v7, 1, v7
	v_cmp_eq_u32_e32 vcc_lo, 1, v15
	v_cmp_eq_u16_sdwa s3, v2, v8 src0_sel:BYTE_0 src1_sel:DWORD
	v_cndmask_b32_e64 v7, v7, 1, vcc_lo
	v_cmp_lt_u32_e32 vcc_lo, 3, v6
	v_mov_b32_dpp v6, v1 row_shr:4 row_mask:0xf bank_mask:0xf
	v_cndmask_b32_e32 v2, v2, v7, vcc_lo
	s_and_b32 vcc_lo, vcc_lo, s3
	v_cndmask_b32_e32 v6, 0, v6, vcc_lo
	v_add_nc_u32_e32 v1, v6, v1
	ds_write_b32 v19, v1
	ds_write_b8 v19, v2 offset:4
.LBB1229_42:
	s_or_b32 exec_lo, exec_lo, s2
	v_mov_b32_e32 v24, 0
	v_mov_b32_e32 v25, 0
	s_mov_b32 s3, exec_lo
	v_cmp_gt_u32_e32 vcc_lo, 32, v0
	s_waitcnt lgkmcnt(0)
	s_barrier
	buffer_gl0_inv
	v_cmpx_lt_u32_e32 31, v0
	s_cbranch_execz .LBB1229_44
; %bb.43:
	v_add_nc_u32_e32 v1, -8, v5
	v_cmp_eq_u32_e64 s2, 0, v4
	v_and_b32_e32 v2, 1, v4
	ds_read_b32 v24, v1
	v_add_nc_u32_e32 v1, -4, v5
	ds_read_u8 v25, v1
	s_waitcnt lgkmcnt(1)
	v_cndmask_b32_e64 v1, 0, v24, s2
	v_cmp_eq_u32_e64 s2, 1, v2
	v_add_nc_u32_e32 v3, v1, v3
	s_waitcnt lgkmcnt(0)
	v_cndmask_b32_e64 v4, v25, 1, s2
.LBB1229_44:
	s_or_b32 exec_lo, exec_lo, s3
	v_sub_co_u32 v1, s2, v20, 1
	v_cmp_gt_i32_e64 s3, 0, v1
	v_cndmask_b32_e64 v1, v1, v20, s3
	v_lshlrev_b32_e32 v1, 2, v1
	ds_bpermute_b32 v26, v1, v3
	ds_bpermute_b32 v27, v1, v4
	s_and_saveexec_b32 s12, vcc_lo
	s_cbranch_execz .LBB1229_64
; %bb.45:
	v_mov_b32_e32 v4, 0
	ds_read_b64 v[1:2], v4 offset:56
	s_and_saveexec_b32 s3, s2
	s_cbranch_execz .LBB1229_47
; %bb.46:
	s_add_i32 s4, s6, 32
	s_mov_b32 s5, 0
	v_mov_b32_e32 v3, 1
	s_lshl_b64 s[4:5], s[4:5], 4
	s_add_u32 s4, s24, s4
	s_addc_u32 s5, s25, s5
	v_mov_b32_e32 v6, s5
	v_mov_b32_e32 v5, s4
	s_waitcnt lgkmcnt(0)
	;;#ASMSTART
	global_store_dwordx4 v[5:6], v[1:4] off	
s_waitcnt vmcnt(0)
	;;#ASMEND
.LBB1229_47:
	s_or_b32 exec_lo, exec_lo, s3
	v_xad_u32 v15, v20, -1, s6
	s_mov_b32 s4, 0
	v_add_nc_u32_e32 v3, 32, v15
	v_lshlrev_b64 v[5:6], 4, v[3:4]
	v_add_co_u32 v16, vcc_lo, s24, v5
	v_add_co_ci_u32_e64 v17, null, s25, v6, vcc_lo
	;;#ASMSTART
	global_load_dwordx4 v[5:8], v[16:17] off glc dlc	
s_waitcnt vmcnt(0)
	;;#ASMEND
	v_and_b32_e32 v6, 0xff, v6
	v_cmp_eq_u16_sdwa s5, v7, v4 src0_sel:BYTE_0 src1_sel:DWORD
	s_and_saveexec_b32 s3, s5
	s_cbranch_execz .LBB1229_51
; %bb.48:
	v_mov_b32_e32 v3, 0
.LBB1229_49:                            ; =>This Inner Loop Header: Depth=1
	;;#ASMSTART
	global_load_dwordx4 v[5:8], v[16:17] off glc dlc	
s_waitcnt vmcnt(0)
	;;#ASMEND
	v_cmp_ne_u16_sdwa s5, v7, v3 src0_sel:BYTE_0 src1_sel:DWORD
	s_or_b32 s4, s5, s4
	s_andn2_b32 exec_lo, exec_lo, s4
	s_cbranch_execnz .LBB1229_49
; %bb.50:
	s_or_b32 exec_lo, exec_lo, s4
	v_and_b32_e32 v6, 0xff, v6
.LBB1229_51:
	s_or_b32 exec_lo, exec_lo, s3
	v_cmp_ne_u32_e32 vcc_lo, 31, v20
	v_mov_b32_e32 v28, 2
	v_lshlrev_b32_e64 v29, v20, -1
	v_and_b32_e32 v8, 1, v6
	s_mov_b32 s4, 0
	v_add_co_ci_u32_e64 v3, null, 0, v20, vcc_lo
	v_cmp_eq_u16_sdwa s3, v7, v28 src0_sel:BYTE_0 src1_sel:DWORD
	v_cmp_eq_u32_e32 vcc_lo, 1, v8
	s_mov_b32 s5, 1
	v_lshlrev_b32_e32 v17, 2, v3
	v_add_nc_u32_e32 v37, 8, v20
	v_and_or_b32 v4, s3, v29, 0x80000000
	v_cmp_gt_u64_e64 s3, s[4:5], v[5:6]
	v_lshl_or_b32 v38, v20, 2, 64
	ds_bpermute_b32 v3, v17, v6
	ds_bpermute_b32 v16, v17, v5
	v_ffbl_b32_e32 v4, v4
	v_add_nc_u32_e32 v39, 16, v20
	s_waitcnt lgkmcnt(1)
	v_and_b32_e32 v3, 1, v3
	v_cndmask_b32_e64 v3, v3, 1, vcc_lo
	v_cmp_gt_u32_e32 vcc_lo, 30, v20
	v_and_b32_e32 v31, 0xffff, v3
	v_cndmask_b32_e64 v8, 0, 2, vcc_lo
	v_cmp_lt_u32_e32 vcc_lo, v20, v4
	v_add_lshl_u32 v30, v8, v20, 2
	v_cndmask_b32_e32 v8, v6, v31, vcc_lo
	v_cndmask_b32_e32 v3, v6, v3, vcc_lo
	s_and_b32 vcc_lo, vcc_lo, s3
	s_waitcnt lgkmcnt(0)
	v_cndmask_b32_e32 v6, 0, v16, vcc_lo
	ds_bpermute_b32 v31, v30, v8
	v_and_b32_e32 v16, 1, v3
	v_add_nc_u32_e32 v5, v6, v5
	v_cmp_eq_u32_e32 vcc_lo, 1, v16
	v_mov_b32_e32 v16, 0
	ds_bpermute_b32 v6, v30, v5
	v_cmp_eq_u16_sdwa s3, v3, v16 src0_sel:BYTE_0 src1_sel:DWORD
	s_waitcnt lgkmcnt(1)
	v_and_b32_e32 v32, 1, v31
	v_add_nc_u32_e32 v31, 2, v20
	v_cndmask_b32_e64 v33, v32, 1, vcc_lo
	v_cmp_gt_u32_e32 vcc_lo, 28, v20
	v_and_b32_e32 v34, 0xffff, v33
	v_cndmask_b32_e64 v32, 0, 4, vcc_lo
	v_cmp_gt_u32_e32 vcc_lo, v31, v4
	v_add_lshl_u32 v32, v32, v20, 2
	v_cndmask_b32_e32 v8, v34, v8, vcc_lo
	v_cndmask_b32_e32 v35, v33, v3, vcc_lo
	s_waitcnt lgkmcnt(0)
	v_cndmask_b32_e64 v3, 0, v6, s3
	v_add_nc_u32_e32 v33, 4, v20
	ds_bpermute_b32 v6, v32, v8
	v_and_b32_e32 v34, 1, v35
	v_cndmask_b32_e64 v3, v3, 0, vcc_lo
	v_cmp_eq_u16_sdwa s3, v35, v16 src0_sel:BYTE_0 src1_sel:DWORD
	v_cmp_eq_u32_e32 vcc_lo, 1, v34
	v_add_nc_u32_e32 v3, v3, v5
	ds_bpermute_b32 v5, v32, v3
	s_waitcnt lgkmcnt(1)
	v_and_b32_e32 v6, 1, v6
	v_cndmask_b32_e64 v6, v6, 1, vcc_lo
	v_cmp_gt_u32_e32 vcc_lo, 24, v20
	v_and_b32_e32 v36, 0xffff, v6
	v_cndmask_b32_e64 v34, 0, 8, vcc_lo
	v_cmp_gt_u32_e32 vcc_lo, v33, v4
	s_waitcnt lgkmcnt(0)
	v_cndmask_b32_e64 v5, 0, v5, s3
	v_add_lshl_u32 v34, v34, v20, 2
	v_cndmask_b32_e32 v8, v36, v8, vcc_lo
	v_cndmask_b32_e32 v6, v6, v35, vcc_lo
	v_cndmask_b32_e64 v5, v5, 0, vcc_lo
	ds_bpermute_b32 v35, v34, v8
	v_and_b32_e32 v36, 1, v6
	v_add_nc_u32_e32 v3, v5, v3
	v_cmp_eq_u32_e32 vcc_lo, 1, v36
	ds_bpermute_b32 v5, v34, v3
	s_waitcnt lgkmcnt(1)
	v_and_b32_e32 v35, 1, v35
	v_cndmask_b32_e64 v35, v35, 1, vcc_lo
	v_cmp_eq_u16_sdwa vcc_lo, v6, v16 src0_sel:BYTE_0 src1_sel:DWORD
	v_and_b32_e32 v36, 0xffff, v35
	s_waitcnt lgkmcnt(0)
	v_cndmask_b32_e32 v5, 0, v5, vcc_lo
	v_cmp_gt_u32_e32 vcc_lo, v37, v4
	v_cndmask_b32_e64 v5, v5, 0, vcc_lo
	v_cndmask_b32_e32 v8, v36, v8, vcc_lo
	v_cndmask_b32_e32 v6, v35, v6, vcc_lo
	v_add_nc_u32_e32 v3, v5, v3
	ds_bpermute_b32 v5, v38, v8
	v_and_b32_e32 v35, 1, v6
	v_cmp_eq_u16_sdwa vcc_lo, v6, v16 src0_sel:BYTE_0 src1_sel:DWORD
	ds_bpermute_b32 v8, v38, v3
	s_waitcnt lgkmcnt(1)
	v_and_b32_e32 v5, 1, v5
	s_waitcnt lgkmcnt(0)
	v_cndmask_b32_e32 v8, 0, v8, vcc_lo
	v_cmp_eq_u32_e32 vcc_lo, 1, v35
	v_cndmask_b32_e64 v5, v5, 1, vcc_lo
	v_cmp_gt_u32_e32 vcc_lo, v39, v4
	v_cndmask_b32_e32 v4, v5, v6, vcc_lo
	v_cndmask_b32_e64 v5, v8, 0, vcc_lo
	v_add_nc_u32_e32 v3, v5, v3
	s_branch .LBB1229_55
.LBB1229_52:                            ;   in Loop: Header=BB1229_55 Depth=1
	s_or_b32 exec_lo, exec_lo, s13
	v_and_b32_e32 v6, 0xff, v6
.LBB1229_53:                            ;   in Loop: Header=BB1229_55 Depth=1
	s_or_b32 exec_lo, exec_lo, s3
	ds_bpermute_b32 v3, v17, v6
	v_cmp_eq_u16_sdwa s3, v7, v28 src0_sel:BYTE_0 src1_sel:DWORD
	v_and_b32_e32 v4, 1, v6
	v_subrev_nc_u32_e32 v15, 32, v15
	v_and_or_b32 v8, s3, v29, 0x80000000
	v_cmp_eq_u32_e32 vcc_lo, 1, v4
	v_cmp_gt_u64_e64 s3, s[4:5], v[5:6]
	v_ffbl_b32_e32 v4, v8
	ds_bpermute_b32 v8, v17, v5
	s_waitcnt lgkmcnt(1)
	v_and_b32_e32 v3, 1, v3
	v_cndmask_b32_e64 v3, v3, 1, vcc_lo
	v_cmp_lt_u32_e32 vcc_lo, v20, v4
	v_and_b32_e32 v40, 0xffff, v3
	v_cndmask_b32_e32 v3, v6, v3, vcc_lo
	v_cndmask_b32_e32 v40, v6, v40, vcc_lo
	s_and_b32 vcc_lo, vcc_lo, s3
	v_cmp_eq_u16_sdwa s3, v3, v16 src0_sel:BYTE_0 src1_sel:DWORD
	s_waitcnt lgkmcnt(0)
	v_cndmask_b32_e32 v6, 0, v8, vcc_lo
	v_and_b32_e32 v8, 1, v3
	ds_bpermute_b32 v41, v30, v40
	v_add_nc_u32_e32 v5, v6, v5
	v_cmp_eq_u32_e32 vcc_lo, 1, v8
	ds_bpermute_b32 v6, v30, v5
	s_waitcnt lgkmcnt(1)
	v_and_b32_e32 v41, 1, v41
	v_cndmask_b32_e64 v8, v41, 1, vcc_lo
	v_cmp_gt_u32_e32 vcc_lo, v31, v4
	v_and_b32_e32 v41, 0xffff, v8
	v_cndmask_b32_e32 v8, v8, v3, vcc_lo
	s_waitcnt lgkmcnt(0)
	v_cndmask_b32_e64 v3, 0, v6, s3
	v_cndmask_b32_e32 v40, v41, v40, vcc_lo
	v_and_b32_e32 v41, 1, v8
	v_cndmask_b32_e64 v3, v3, 0, vcc_lo
	v_cmp_eq_u16_sdwa s3, v8, v16 src0_sel:BYTE_0 src1_sel:DWORD
	ds_bpermute_b32 v6, v32, v40
	v_cmp_eq_u32_e32 vcc_lo, 1, v41
	v_add_nc_u32_e32 v3, v3, v5
	ds_bpermute_b32 v5, v32, v3
	s_waitcnt lgkmcnt(1)
	v_and_b32_e32 v6, 1, v6
	v_cndmask_b32_e64 v6, v6, 1, vcc_lo
	v_cmp_gt_u32_e32 vcc_lo, v33, v4
	s_waitcnt lgkmcnt(0)
	v_cndmask_b32_e64 v5, 0, v5, s3
	s_mov_b32 s3, 0
	v_and_b32_e32 v41, 0xffff, v6
	v_cndmask_b32_e32 v6, v6, v8, vcc_lo
	v_cndmask_b32_e64 v5, v5, 0, vcc_lo
	v_cndmask_b32_e32 v8, v41, v40, vcc_lo
	v_and_b32_e32 v41, 1, v6
	v_add_nc_u32_e32 v3, v5, v3
	ds_bpermute_b32 v40, v34, v8
	v_cmp_eq_u32_e32 vcc_lo, 1, v41
	ds_bpermute_b32 v5, v34, v3
	s_waitcnt lgkmcnt(1)
	v_and_b32_e32 v40, 1, v40
	v_cndmask_b32_e64 v40, v40, 1, vcc_lo
	v_cmp_eq_u16_sdwa vcc_lo, v6, v16 src0_sel:BYTE_0 src1_sel:DWORD
	v_and_b32_e32 v41, 0xffff, v40
	s_waitcnt lgkmcnt(0)
	v_cndmask_b32_e32 v5, 0, v5, vcc_lo
	v_cmp_gt_u32_e32 vcc_lo, v37, v4
	v_cndmask_b32_e64 v5, v5, 0, vcc_lo
	v_cndmask_b32_e32 v8, v41, v8, vcc_lo
	v_cndmask_b32_e32 v6, v40, v6, vcc_lo
	v_add_nc_u32_e32 v3, v5, v3
	ds_bpermute_b32 v5, v38, v8
	v_and_b32_e32 v40, 1, v6
	ds_bpermute_b32 v8, v38, v3
	v_cmp_eq_u32_e32 vcc_lo, 1, v40
	s_waitcnt lgkmcnt(1)
	v_cndmask_b32_e64 v5, v5, 1, vcc_lo
	v_cmp_eq_u16_sdwa vcc_lo, v6, v16 src0_sel:BYTE_0 src1_sel:DWORD
	s_waitcnt lgkmcnt(0)
	v_cndmask_b32_e32 v8, 0, v8, vcc_lo
	v_cmp_gt_u32_e32 vcc_lo, v39, v4
	v_cndmask_b32_e32 v4, v5, v6, vcc_lo
	v_cndmask_b32_e64 v5, v8, 0, vcc_lo
	v_cmp_eq_u16_sdwa vcc_lo, v35, v16 src0_sel:BYTE_0 src1_sel:DWORD
	v_and_b32_e32 v4, 1, v4
	v_add_nc_u32_e32 v3, v5, v3
	v_and_b32_e32 v5, 1, v35
	v_cndmask_b32_e32 v3, 0, v3, vcc_lo
	v_cmp_eq_u32_e32 vcc_lo, 1, v5
	v_add_nc_u32_e32 v3, v3, v36
	v_cndmask_b32_e64 v4, v4, 1, vcc_lo
.LBB1229_54:                            ;   in Loop: Header=BB1229_55 Depth=1
	s_and_b32 vcc_lo, exec_lo, s3
	s_cbranch_vccnz .LBB1229_60
.LBB1229_55:                            ; =>This Loop Header: Depth=1
                                        ;     Child Loop BB1229_58 Depth 2
	v_cmp_ne_u16_sdwa s3, v7, v28 src0_sel:BYTE_0 src1_sel:DWORD
	v_mov_b32_e32 v35, v4
	v_mov_b32_e32 v36, v3
                                        ; implicit-def: $vgpr4
                                        ; implicit-def: $vgpr3
                                        ; implicit-def: $vgpr7
	s_cmp_lg_u32 s3, exec_lo
	s_mov_b32 s3, -1
	s_cbranch_scc1 .LBB1229_54
; %bb.56:                               ;   in Loop: Header=BB1229_55 Depth=1
	v_lshlrev_b64 v[3:4], 4, v[15:16]
	v_add_co_u32 v3, vcc_lo, s24, v3
	v_add_co_ci_u32_e64 v4, null, s25, v4, vcc_lo
	;;#ASMSTART
	global_load_dwordx4 v[5:8], v[3:4] off glc dlc	
s_waitcnt vmcnt(0)
	;;#ASMEND
	v_and_b32_e32 v6, 0xff, v6
	v_cmp_eq_u16_sdwa s13, v7, v16 src0_sel:BYTE_0 src1_sel:DWORD
	s_and_saveexec_b32 s3, s13
	s_cbranch_execz .LBB1229_53
; %bb.57:                               ;   in Loop: Header=BB1229_55 Depth=1
	s_mov_b32 s13, 0
.LBB1229_58:                            ;   Parent Loop BB1229_55 Depth=1
                                        ; =>  This Inner Loop Header: Depth=2
	;;#ASMSTART
	global_load_dwordx4 v[5:8], v[3:4] off glc dlc	
s_waitcnt vmcnt(0)
	;;#ASMEND
	v_cmp_ne_u16_sdwa s16, v7, v16 src0_sel:BYTE_0 src1_sel:DWORD
	s_or_b32 s13, s16, s13
	s_andn2_b32 exec_lo, exec_lo, s13
	s_cbranch_execnz .LBB1229_58
	s_branch .LBB1229_52
.LBB1229_59:
                                        ; implicit-def: $vgpr7
                                        ; implicit-def: $vgpr5
                                        ; implicit-def: $vgpr6
	s_cbranch_execnz .LBB1229_65
	s_branch .LBB1229_82
.LBB1229_60:
	s_and_saveexec_b32 s3, s2
	s_cbranch_execz .LBB1229_62
; %bb.61:
	v_mov_b32_e32 v4, 0
	v_and_b32_e32 v3, 1, v2
	s_mov_b32 s5, 0
	s_add_i32 s4, s6, 32
	v_and_b32_e32 v5, 1, v35
	v_cmp_eq_u32_sdwa vcc_lo, v2, v4 src0_sel:BYTE_0 src1_sel:DWORD
	s_lshl_b64 s[4:5], s[4:5], 4
	s_add_u32 s4, s24, s4
	s_addc_u32 s5, s25, s5
	v_cndmask_b32_e32 v2, 0, v36, vcc_lo
	v_cmp_eq_u32_e32 vcc_lo, 1, v3
	v_mov_b32_e32 v3, 2
	v_add_nc_u32_e32 v1, v2, v1
	v_cndmask_b32_e64 v2, v5, 1, vcc_lo
	v_mov_b32_e32 v6, s5
	v_mov_b32_e32 v5, s4
	;;#ASMSTART
	global_store_dwordx4 v[5:6], v[1:4] off	
s_waitcnt vmcnt(0)
	;;#ASMEND
.LBB1229_62:
	s_or_b32 exec_lo, exec_lo, s3
	v_cmp_eq_u32_e32 vcc_lo, 0, v0
	s_and_b32 exec_lo, exec_lo, vcc_lo
	s_cbranch_execz .LBB1229_64
; %bb.63:
	v_mov_b32_e32 v1, 0
	ds_write_b32 v1, v36 offset:56
	ds_write_b8 v1, v35 offset:60
.LBB1229_64:
	s_or_b32 exec_lo, exec_lo, s12
	s_waitcnt lgkmcnt(0)
	v_cndmask_b32_e64 v2, v27, v25, s2
	v_and_b32_e32 v4, 1, v10
	v_mov_b32_e32 v1, 0
	v_cndmask_b32_e64 v5, v26, v24, s2
	s_mov_b32 s2, 0
	v_and_b32_e32 v2, 1, v2
	v_cmp_eq_u32_e32 vcc_lo, 1, v4
	s_mov_b32 s3, 1
	s_barrier
	buffer_gl0_inv
	v_cndmask_b32_e64 v2, v2, 1, vcc_lo
	v_cmp_gt_u64_e32 vcc_lo, s[2:3], v[9:10]
	ds_read_b32 v3, v1 offset:56
	v_cndmask_b32_e32 v4, 0, v5, vcc_lo
	v_cmp_eq_u32_e32 vcc_lo, 0, v0
	v_cndmask_b32_e32 v2, v2, v10, vcc_lo
	v_cndmask_b32_e64 v4, v4, 0, vcc_lo
	v_cmp_eq_u16_sdwa vcc_lo, v2, v1 src0_sel:BYTE_0 src1_sel:DWORD
	s_waitcnt lgkmcnt(0)
	v_cndmask_b32_e32 v1, 0, v3, vcc_lo
	v_add3_u32 v7, v4, v9, v1
	v_cndmask_b32_e64 v1, 0, v7, s0
	v_add_nc_u32_e32 v5, v1, v11
	v_cndmask_b32_e64 v1, 0, v5, s1
	v_add_nc_u32_e32 v6, v1, v13
	s_branch .LBB1229_82
.LBB1229_65:
	s_cmp_lg_u64 s[28:29], 0
	v_cmp_eq_u32_e32 vcc_lo, 0, v0
	s_cselect_b32 s1, -1, 0
	s_cmp_lg_u64 s[18:19], 0
	v_cmp_ne_u32_e64 s0, 0, v0
	s_cselect_b32 s2, -1, 0
	s_mov_b32 s4, 0
	s_and_b32 s1, s1, s2
	s_and_b32 s1, vcc_lo, s1
	s_and_saveexec_b32 s2, s1
	s_cbranch_execz .LBB1229_67
; %bb.66:
	v_mov_b32_e32 v1, 0
	s_mov_b32 s5, 1
	s_clause 0x1
	global_load_dword v2, v1, s[18:19]
	global_load_ubyte v3, v1, s[18:19] offset:4
	v_cmp_gt_u64_e64 s1, s[4:5], v[9:10]
	s_waitcnt vmcnt(1)
	v_cndmask_b32_e64 v4, 0, v2, s1
	v_and_b32_e32 v2, 1, v10
	s_waitcnt vmcnt(0)
	v_and_b32_e32 v3, 1, v3
	v_add_nc_u32_e32 v9, v4, v9
	v_cmp_eq_u64_e64 s1, 0, v[1:2]
	v_cndmask_b32_e64 v10, 1, v3, s1
.LBB1229_67:
	s_or_b32 exec_lo, exec_lo, s2
	v_and_b32_e32 v2, 0xff, v23
	v_mov_b32_e32 v1, 0
	s_mov_b32 s5, 1
	v_and_b32_e32 v7, 15, v20
	v_cmp_eq_u64_e64 s1, 0, v[1:2]
	v_cmp_eq_u32_e64 s3, 0, v7
	v_cndmask_b32_e64 v2, 1, v10, s1
	v_cmp_gt_u64_e64 s1, s[4:5], v[11:12]
	v_and_b32_e32 v3, 0xff, v2
	v_and_b32_e32 v6, 1, v2
	v_cndmask_b32_e64 v5, 0, v9, s1
	v_mov_b32_dpp v4, v3 row_shr:1 row_mask:0xf bank_mask:0xf
	v_cmp_eq_u32_e64 s2, 1, v6
	v_add_nc_u32_e32 v5, v5, v11
	v_and_b32_e32 v4, 1, v4
	v_cndmask_b32_e64 v4, v4, 1, s2
	v_cmp_gt_u64_e64 s2, s[4:5], v[13:14]
	v_cmp_eq_u16_e64 s4, 0, v3
	v_cndmask_b32_e64 v8, v4, v3, s3
	v_cndmask_b32_e64 v2, v4, v2, s3
	;; [unrolled: 1-line block ×3, first 2 shown]
	v_mov_b32_dpp v4, v8 row_shr:2 row_mask:0xf bank_mask:0xf
	v_and_b32_e32 v14, 1, v2
	v_add_nc_u32_e32 v6, v6, v13
	v_and_b32_e32 v4, 1, v4
	v_mov_b32_dpp v12, v6 row_shr:1 row_mask:0xf bank_mask:0xf
	v_cndmask_b32_e64 v3, 0, v12, s4
	v_cmp_eq_u32_e64 s4, 1, v14
	v_cndmask_b32_e64 v3, v3, 0, s3
	v_cndmask_b32_e64 v4, v4, 1, s4
	v_cmp_lt_u32_e64 s4, 1, v7
	v_cmp_eq_u16_sdwa s3, v2, v1 src0_sel:BYTE_0 src1_sel:DWORD
	v_add_nc_u32_e32 v3, v3, v6
	v_cndmask_b32_e64 v12, v2, v4, s4
	v_cndmask_b32_e64 v4, v8, v4, s4
	s_and_b32 s3, s4, s3
	v_mov_b32_dpp v2, v3 row_shr:2 row_mask:0xf bank_mask:0xf
	v_and_b32_e32 v14, 1, v12
	v_mov_b32_dpp v8, v4 row_shr:4 row_mask:0xf bank_mask:0xf
	v_cmp_eq_u16_sdwa s4, v12, v1 src0_sel:BYTE_0 src1_sel:DWORD
	v_cndmask_b32_e64 v2, 0, v2, s3
	v_cmp_eq_u32_e64 s3, 1, v14
	v_and_b32_e32 v8, 1, v8
	v_add_nc_u32_e32 v2, v2, v3
	v_cndmask_b32_e64 v8, v8, 1, s3
	v_cmp_lt_u32_e64 s3, 3, v7
	v_cndmask_b32_e64 v3, v12, v8, s3
	v_cndmask_b32_e64 v4, v4, v8, s3
	v_mov_b32_dpp v8, v2 row_shr:4 row_mask:0xf bank_mask:0xf
	s_and_b32 s3, s3, s4
	v_and_b32_e32 v14, 1, v3
	v_mov_b32_dpp v12, v4 row_shr:8 row_mask:0xf bank_mask:0xf
	v_cndmask_b32_e64 v8, 0, v8, s3
	v_cmp_eq_u16_sdwa s4, v3, v1 src0_sel:BYTE_0 src1_sel:DWORD
	v_cmp_eq_u32_e64 s3, 1, v14
	v_and_b32_e32 v12, 1, v12
	v_add_nc_u32_e32 v2, v8, v2
	v_cndmask_b32_e64 v8, v12, 1, s3
	v_cmp_lt_u32_e64 s3, 7, v7
	v_mov_b32_dpp v7, v2 row_shr:8 row_mask:0xf bank_mask:0xf
	v_bfe_i32 v12, v20, 4, 1
	s_and_b32 s4, s3, s4
	v_cndmask_b32_e64 v4, v4, v8, s3
	v_cndmask_b32_e64 v7, 0, v7, s4
	;; [unrolled: 1-line block ×3, first 2 shown]
	s_mov_b32 s4, exec_lo
	v_add_nc_u32_e32 v2, v7, v2
	ds_swizzle_b32 v7, v4 offset:swizzle(BROADCAST,32,15)
	v_and_b32_e32 v14, 1, v3
	v_cmp_eq_u16_sdwa s3, v3, v1 src0_sel:BYTE_0 src1_sel:DWORD
	v_and_b32_e32 v3, 16, v20
	ds_swizzle_b32 v8, v2 offset:swizzle(BROADCAST,32,15)
	s_waitcnt lgkmcnt(1)
	v_and_b32_e32 v7, 1, v7
	s_waitcnt lgkmcnt(0)
	v_cndmask_b32_e64 v1, 0, v8, s3
	v_cmp_eq_u32_e64 s3, 1, v14
	v_and_b32_e32 v1, v12, v1
	v_cndmask_b32_e64 v7, v7, 1, s3
	v_cmp_eq_u32_e64 s3, 0, v3
	v_add_nc_u32_e32 v3, v1, v2
	v_cndmask_b32_e64 v4, v7, v4, s3
	v_cmpx_eq_u32_e64 v0, v22
	s_cbranch_execz .LBB1229_69
; %bb.68:
	v_lshlrev_b32_e32 v1, 3, v21
	ds_write_b32 v1, v3
	ds_write_b8 v1, v4 offset:4
.LBB1229_69:
	s_or_b32 exec_lo, exec_lo, s4
	s_mov_b32 s4, exec_lo
	s_waitcnt lgkmcnt(0)
	s_barrier
	buffer_gl0_inv
	v_cmpx_gt_u32_e32 8, v0
	s_cbranch_execz .LBB1229_75
; %bb.70:
	ds_read_b64 v[1:2], v19
	v_and_b32_e32 v7, 7, v20
	s_mov_b32 s5, exec_lo
	s_waitcnt lgkmcnt(0)
	v_and_b32_e32 v8, 0xffffff00, v2
	v_mov_b32_dpp v14, v1 row_shr:1 row_mask:0xf bank_mask:0xf
	v_mov_b32_dpp v15, v2 row_shr:1 row_mask:0xf bank_mask:0xf
	v_mov_b32_e32 v12, v2
	v_cmpx_ne_u32_e32 0, v7
	s_cbranch_execz .LBB1229_72
; %bb.71:
	v_mov_b32_e32 v12, 0
	v_and_b32_e32 v16, 1, v2
	v_and_b32_e32 v15, 1, v15
	v_cmp_eq_u16_sdwa s3, v2, v12 src0_sel:BYTE_0 src1_sel:DWORD
	v_cndmask_b32_e64 v2, 0, v14, s3
	v_cmp_eq_u32_e64 s3, 1, v16
	v_add_nc_u32_e32 v1, v2, v1
	v_cndmask_b32_e64 v14, v15, 1, s3
	v_or_b32_sdwa v12, v8, v14 dst_sel:DWORD dst_unused:UNUSED_PAD src0_sel:DWORD src1_sel:WORD_0
	v_mov_b32_e32 v2, v14
.LBB1229_72:
	s_or_b32 exec_lo, exec_lo, s5
	v_mov_b32_dpp v14, v1 row_shr:2 row_mask:0xf bank_mask:0xf
	v_mov_b32_dpp v15, v12 row_shr:2 row_mask:0xf bank_mask:0xf
	s_mov_b32 s5, exec_lo
	v_cmpx_lt_u32_e32 1, v7
	s_cbranch_execz .LBB1229_74
; %bb.73:
	v_mov_b32_e32 v12, 0
	v_and_b32_e32 v16, 1, v2
	v_and_b32_e32 v15, 1, v15
	v_cmp_eq_u16_sdwa s3, v2, v12 src0_sel:BYTE_0 src1_sel:DWORD
	v_cndmask_b32_e64 v2, 0, v14, s3
	v_cmp_eq_u32_e64 s3, 1, v16
	v_add_nc_u32_e32 v1, v2, v1
	v_cndmask_b32_e64 v14, v15, 1, s3
	v_or_b32_sdwa v12, v8, v14 dst_sel:DWORD dst_unused:UNUSED_PAD src0_sel:DWORD src1_sel:WORD_0
	v_mov_b32_e32 v2, v14
.LBB1229_74:
	s_or_b32 exec_lo, exec_lo, s5
	v_mov_b32_dpp v8, v12 row_shr:4 row_mask:0xf bank_mask:0xf
	v_and_b32_e32 v14, 1, v2
	v_mov_b32_e32 v12, 0
	v_and_b32_e32 v8, 1, v8
	v_cmp_eq_u32_e64 s3, 1, v14
	v_cmp_eq_u16_sdwa s5, v2, v12 src0_sel:BYTE_0 src1_sel:DWORD
	v_cndmask_b32_e64 v8, v8, 1, s3
	v_cmp_lt_u32_e64 s3, 3, v7
	v_mov_b32_dpp v7, v1 row_shr:4 row_mask:0xf bank_mask:0xf
	v_cndmask_b32_e64 v2, v2, v8, s3
	s_and_b32 s3, s3, s5
	v_cndmask_b32_e64 v7, 0, v7, s3
	v_add_nc_u32_e32 v1, v7, v1
	ds_write_b32 v19, v1
	ds_write_b8 v19, v2 offset:4
.LBB1229_75:
	s_or_b32 exec_lo, exec_lo, s4
	v_mov_b32_e32 v1, 0
	s_mov_b32 s4, exec_lo
	s_waitcnt lgkmcnt(0)
	s_barrier
	buffer_gl0_inv
	v_cmpx_lt_u32_e32 31, v0
	s_cbranch_execz .LBB1229_77
; %bb.76:
	v_lshl_add_u32 v1, v21, 3, -8
	v_cmp_eq_u32_e64 s3, 0, v4
	ds_read_b32 v1, v1
	s_waitcnt lgkmcnt(0)
	v_cndmask_b32_e64 v2, 0, v1, s3
	v_add_nc_u32_e32 v3, v2, v3
.LBB1229_77:
	s_or_b32 exec_lo, exec_lo, s4
	v_add_nc_u32_e32 v2, -1, v20
	s_mov_b32 s4, 0
	v_cmp_gt_i32_e64 s3, 0, v2
	v_cndmask_b32_e64 v2, v2, v20, s3
	v_lshlrev_b32_e32 v2, 2, v2
	ds_bpermute_b32 v2, v2, v3
	s_and_saveexec_b32 s3, s0
	s_cbranch_execz .LBB1229_79
; %bb.78:
	v_cmp_eq_u32_e64 s0, 0, v20
	s_mov_b32 s5, 1
	;;#ASMSTART
	;;#ASMEND
	s_waitcnt lgkmcnt(0)
	v_cndmask_b32_e64 v1, v2, v1, s0
	v_cmp_gt_u64_e64 s0, s[4:5], v[9:10]
	v_cndmask_b32_e64 v1, 0, v1, s0
	v_add_nc_u32_e32 v9, v1, v9
	v_cndmask_b32_e64 v1, 0, v9, s1
	v_add_nc_u32_e32 v5, v1, v11
	;; [unrolled: 2-line block ×3, first 2 shown]
.LBB1229_79:
	s_or_b32 exec_lo, exec_lo, s3
	s_and_saveexec_b32 s0, vcc_lo
	s_cbranch_execz .LBB1229_81
; %bb.80:
	v_mov_b32_e32 v4, 0
	s_add_u32 s2, s24, 0x200
	s_addc_u32 s3, s25, 0
	v_mov_b32_e32 v3, 2
	v_mov_b32_e32 v8, s3
	ds_read_b32 v1, v4 offset:56
	s_waitcnt lgkmcnt(1)
	ds_read_u8 v2, v4 offset:60
	v_mov_b32_e32 v7, s2
	s_waitcnt lgkmcnt(0)
	;;#ASMSTART
	global_store_dwordx4 v[7:8], v[1:4] off	
s_waitcnt vmcnt(0)
	;;#ASMEND
.LBB1229_81:
	s_or_b32 exec_lo, exec_lo, s0
	v_mov_b32_e32 v7, v9
.LBB1229_82:
	s_add_u32 s0, s14, s10
	v_mov_b32_e32 v3, 0
	s_addc_u32 s1, s15, s11
	s_add_u32 s0, s0, s8
	s_addc_u32 s1, s1, s9
	s_and_b32 vcc_lo, exec_lo, s7
	s_cbranch_vccz .LBB1229_94
; %bb.83:
	v_mul_u32_u24_e32 v1, 3, v0
	v_mov_b32_e32 v4, 0
	s_waitcnt lgkmcnt(0)
	v_mov_b32_e32 v2, 0
	s_add_i32 s20, s20, s26
	s_mov_b32 s2, exec_lo
	v_cmpx_gt_u32_e64 s20, v1
	s_cbranch_execz .LBB1229_89
; %bb.84:
	v_add_nc_u32_e32 v3, 1, v1
	v_mov_b32_e32 v2, 0
	v_mov_b32_e32 v4, 0
	s_mov_b32 s3, exec_lo
	v_cmpx_gt_u32_e64 s20, v3
	s_cbranch_execz .LBB1229_88
; %bb.85:
	v_add_nc_u32_e32 v2, 2, v1
	v_cmp_gt_u32_e32 vcc_lo, s20, v2
	v_mov_b32_e32 v2, 0
	s_and_saveexec_b32 s4, vcc_lo
; %bb.86:
	v_mov_b32_e32 v2, v6
; %bb.87:
	s_or_b32 exec_lo, exec_lo, s4
	v_mov_b32_e32 v4, v5
.LBB1229_88:
	s_or_b32 exec_lo, exec_lo, s3
	v_mov_b32_e32 v3, v7
.LBB1229_89:
	s_or_b32 exec_lo, exec_lo, s2
	v_lshlrev_b32_e32 v8, 2, v1
	s_barrier
	buffer_gl0_inv
	v_sub_nc_u32_e32 v1, v8, v19
	ds_write2_b32 v8, v3, v4 offset1:1
	ds_write_b32 v8, v2 offset:8
	s_waitcnt lgkmcnt(0)
	s_barrier
	buffer_gl0_inv
	ds_read2st64_b32 v[1:2], v1 offset0:4 offset1:8
	v_add_co_u32 v3, s2, s0, v18
	v_add_co_ci_u32_e64 v4, null, s1, 0, s2
	s_mov_b32 s2, exec_lo
	v_cmpx_gt_u32_e64 s20, v0
	s_cbranch_execz .LBB1229_91
; %bb.90:
	v_sub_nc_u32_e32 v9, 0, v19
	v_add_nc_u32_e32 v8, v8, v9
	ds_read_b32 v8, v8
	s_waitcnt lgkmcnt(0)
	flat_store_dword v[3:4], v8
.LBB1229_91:
	s_or_b32 exec_lo, exec_lo, s2
	v_or_b32_e32 v8, 0x100, v0
	s_mov_b32 s2, exec_lo
	v_cmpx_gt_u32_e64 s20, v8
	s_cbranch_execz .LBB1229_93
; %bb.92:
	s_waitcnt lgkmcnt(0)
	flat_store_dword v[3:4], v1 offset:1024
.LBB1229_93:
	s_or_b32 exec_lo, exec_lo, s2
	s_waitcnt lgkmcnt(0)
	v_or_b32_e32 v1, 0x200, v0
	v_cmp_gt_u32_e64 s2, s20, v1
	s_branch .LBB1229_96
.LBB1229_94:
	s_mov_b32 s2, 0
                                        ; implicit-def: $vgpr2
	s_cbranch_execz .LBB1229_96
; %bb.95:
	v_mul_u32_u24_e32 v1, 12, v0
	s_waitcnt lgkmcnt(0)
	s_waitcnt_vscnt null, 0x0
	s_barrier
	buffer_gl0_inv
	s_or_b32 s2, s2, exec_lo
	v_sub_nc_u32_e32 v2, v1, v19
	ds_write2_b32 v1, v7, v5 offset1:1
	ds_write_b32 v1, v6 offset:8
	s_waitcnt lgkmcnt(0)
	s_barrier
	buffer_gl0_inv
	ds_read2st64_b32 v[3:4], v2 offset1:4
	ds_read_b32 v2, v2 offset:2048
	v_add_co_u32 v5, s3, s0, v18
	v_add_co_ci_u32_e64 v6, null, s1, 0, s3
	s_waitcnt lgkmcnt(1)
	flat_store_dword v[5:6], v3
	flat_store_dword v[5:6], v4 offset:1024
.LBB1229_96:
	s_and_saveexec_b32 s3, s2
	s_cbranch_execnz .LBB1229_98
; %bb.97:
	s_endpgm
.LBB1229_98:
	v_lshlrev_b32_e32 v0, 2, v0
	v_add_co_u32 v0, s0, s0, v0
	v_add_co_ci_u32_e64 v1, null, s1, 0, s0
	v_add_co_u32 v0, vcc_lo, 0x800, v0
	v_add_co_ci_u32_e64 v1, null, 0, v1, vcc_lo
	s_waitcnt lgkmcnt(0)
	flat_store_dword v[0:1], v2
	s_endpgm
.LBB1229_99:
	v_add_co_u32 v2, s0, s3, v9
	v_add_co_ci_u32_e64 v3, null, s21, 0, s0
	v_mov_b32_e32 v11, v1
	v_mov_b32_e32 v12, v1
	flat_load_dword v10, v[2:3]
	s_waitcnt vmcnt(0) lgkmcnt(0)
	v_mov_b32_e32 v1, v10
	v_mov_b32_e32 v2, v11
	;; [unrolled: 1-line block ×3, first 2 shown]
	s_or_b32 exec_lo, exec_lo, s16
	s_and_saveexec_b32 s0, s1
	s_cbranch_execz .LBB1229_15
.LBB1229_100:
	v_add_co_u32 v10, s1, s3, v9
	v_add_co_ci_u32_e64 v11, null, s21, 0, s1
	flat_load_dword v2, v[10:11] offset:1024
	s_or_b32 exec_lo, exec_lo, s0
	s_and_saveexec_b32 s0, s2
	s_cbranch_execnz .LBB1229_16
	s_branch .LBB1229_17
.LBB1229_101:
                                        ; implicit-def: $sgpr16_sgpr17
	s_branch .LBB1229_10
.LBB1229_102:
                                        ; implicit-def: $sgpr0_sgpr1
	s_branch .LBB1229_26
	.section	.rodata,"a",@progbits
	.p2align	6, 0x0
	.amdhsa_kernel _ZN7rocprim17ROCPRIM_400000_NS6detail17trampoline_kernelINS0_14default_configENS1_27scan_by_key_config_selectorIijEEZZNS1_16scan_by_key_implILNS1_25lookback_scan_determinismE0ELb0ES3_N6thrust23THRUST_200600_302600_NS6detail15normal_iteratorINS9_10device_ptrIiEEEENSB_INSC_IjEEEESG_jNS9_4plusIvEENS9_8equal_toIvEEjEE10hipError_tPvRmT2_T3_T4_T5_mT6_T7_P12ihipStream_tbENKUlT_T0_E_clISt17integral_constantIbLb0EES11_EEDaSW_SX_EUlSW_E_NS1_11comp_targetILNS1_3genE8ELNS1_11target_archE1030ELNS1_3gpuE2ELNS1_3repE0EEENS1_30default_config_static_selectorELNS0_4arch9wavefront6targetE0EEEvT1_
		.amdhsa_group_segment_fixed_size 5120
		.amdhsa_private_segment_fixed_size 0
		.amdhsa_kernarg_size 112
		.amdhsa_user_sgpr_count 6
		.amdhsa_user_sgpr_private_segment_buffer 1
		.amdhsa_user_sgpr_dispatch_ptr 0
		.amdhsa_user_sgpr_queue_ptr 0
		.amdhsa_user_sgpr_kernarg_segment_ptr 1
		.amdhsa_user_sgpr_dispatch_id 0
		.amdhsa_user_sgpr_flat_scratch_init 0
		.amdhsa_user_sgpr_private_segment_size 0
		.amdhsa_wavefront_size32 1
		.amdhsa_uses_dynamic_stack 0
		.amdhsa_system_sgpr_private_segment_wavefront_offset 0
		.amdhsa_system_sgpr_workgroup_id_x 1
		.amdhsa_system_sgpr_workgroup_id_y 0
		.amdhsa_system_sgpr_workgroup_id_z 0
		.amdhsa_system_sgpr_workgroup_info 0
		.amdhsa_system_vgpr_workitem_id 0
		.amdhsa_next_free_vgpr 42
		.amdhsa_next_free_sgpr 31
		.amdhsa_reserve_vcc 1
		.amdhsa_reserve_flat_scratch 1
		.amdhsa_float_round_mode_32 0
		.amdhsa_float_round_mode_16_64 0
		.amdhsa_float_denorm_mode_32 3
		.amdhsa_float_denorm_mode_16_64 3
		.amdhsa_dx10_clamp 1
		.amdhsa_ieee_mode 1
		.amdhsa_fp16_overflow 0
		.amdhsa_workgroup_processor_mode 1
		.amdhsa_memory_ordered 1
		.amdhsa_forward_progress 1
		.amdhsa_shared_vgpr_count 0
		.amdhsa_exception_fp_ieee_invalid_op 0
		.amdhsa_exception_fp_denorm_src 0
		.amdhsa_exception_fp_ieee_div_zero 0
		.amdhsa_exception_fp_ieee_overflow 0
		.amdhsa_exception_fp_ieee_underflow 0
		.amdhsa_exception_fp_ieee_inexact 0
		.amdhsa_exception_int_div_zero 0
	.end_amdhsa_kernel
	.section	.text._ZN7rocprim17ROCPRIM_400000_NS6detail17trampoline_kernelINS0_14default_configENS1_27scan_by_key_config_selectorIijEEZZNS1_16scan_by_key_implILNS1_25lookback_scan_determinismE0ELb0ES3_N6thrust23THRUST_200600_302600_NS6detail15normal_iteratorINS9_10device_ptrIiEEEENSB_INSC_IjEEEESG_jNS9_4plusIvEENS9_8equal_toIvEEjEE10hipError_tPvRmT2_T3_T4_T5_mT6_T7_P12ihipStream_tbENKUlT_T0_E_clISt17integral_constantIbLb0EES11_EEDaSW_SX_EUlSW_E_NS1_11comp_targetILNS1_3genE8ELNS1_11target_archE1030ELNS1_3gpuE2ELNS1_3repE0EEENS1_30default_config_static_selectorELNS0_4arch9wavefront6targetE0EEEvT1_,"axG",@progbits,_ZN7rocprim17ROCPRIM_400000_NS6detail17trampoline_kernelINS0_14default_configENS1_27scan_by_key_config_selectorIijEEZZNS1_16scan_by_key_implILNS1_25lookback_scan_determinismE0ELb0ES3_N6thrust23THRUST_200600_302600_NS6detail15normal_iteratorINS9_10device_ptrIiEEEENSB_INSC_IjEEEESG_jNS9_4plusIvEENS9_8equal_toIvEEjEE10hipError_tPvRmT2_T3_T4_T5_mT6_T7_P12ihipStream_tbENKUlT_T0_E_clISt17integral_constantIbLb0EES11_EEDaSW_SX_EUlSW_E_NS1_11comp_targetILNS1_3genE8ELNS1_11target_archE1030ELNS1_3gpuE2ELNS1_3repE0EEENS1_30default_config_static_selectorELNS0_4arch9wavefront6targetE0EEEvT1_,comdat
.Lfunc_end1229:
	.size	_ZN7rocprim17ROCPRIM_400000_NS6detail17trampoline_kernelINS0_14default_configENS1_27scan_by_key_config_selectorIijEEZZNS1_16scan_by_key_implILNS1_25lookback_scan_determinismE0ELb0ES3_N6thrust23THRUST_200600_302600_NS6detail15normal_iteratorINS9_10device_ptrIiEEEENSB_INSC_IjEEEESG_jNS9_4plusIvEENS9_8equal_toIvEEjEE10hipError_tPvRmT2_T3_T4_T5_mT6_T7_P12ihipStream_tbENKUlT_T0_E_clISt17integral_constantIbLb0EES11_EEDaSW_SX_EUlSW_E_NS1_11comp_targetILNS1_3genE8ELNS1_11target_archE1030ELNS1_3gpuE2ELNS1_3repE0EEENS1_30default_config_static_selectorELNS0_4arch9wavefront6targetE0EEEvT1_, .Lfunc_end1229-_ZN7rocprim17ROCPRIM_400000_NS6detail17trampoline_kernelINS0_14default_configENS1_27scan_by_key_config_selectorIijEEZZNS1_16scan_by_key_implILNS1_25lookback_scan_determinismE0ELb0ES3_N6thrust23THRUST_200600_302600_NS6detail15normal_iteratorINS9_10device_ptrIiEEEENSB_INSC_IjEEEESG_jNS9_4plusIvEENS9_8equal_toIvEEjEE10hipError_tPvRmT2_T3_T4_T5_mT6_T7_P12ihipStream_tbENKUlT_T0_E_clISt17integral_constantIbLb0EES11_EEDaSW_SX_EUlSW_E_NS1_11comp_targetILNS1_3genE8ELNS1_11target_archE1030ELNS1_3gpuE2ELNS1_3repE0EEENS1_30default_config_static_selectorELNS0_4arch9wavefront6targetE0EEEvT1_
                                        ; -- End function
	.set _ZN7rocprim17ROCPRIM_400000_NS6detail17trampoline_kernelINS0_14default_configENS1_27scan_by_key_config_selectorIijEEZZNS1_16scan_by_key_implILNS1_25lookback_scan_determinismE0ELb0ES3_N6thrust23THRUST_200600_302600_NS6detail15normal_iteratorINS9_10device_ptrIiEEEENSB_INSC_IjEEEESG_jNS9_4plusIvEENS9_8equal_toIvEEjEE10hipError_tPvRmT2_T3_T4_T5_mT6_T7_P12ihipStream_tbENKUlT_T0_E_clISt17integral_constantIbLb0EES11_EEDaSW_SX_EUlSW_E_NS1_11comp_targetILNS1_3genE8ELNS1_11target_archE1030ELNS1_3gpuE2ELNS1_3repE0EEENS1_30default_config_static_selectorELNS0_4arch9wavefront6targetE0EEEvT1_.num_vgpr, 42
	.set _ZN7rocprim17ROCPRIM_400000_NS6detail17trampoline_kernelINS0_14default_configENS1_27scan_by_key_config_selectorIijEEZZNS1_16scan_by_key_implILNS1_25lookback_scan_determinismE0ELb0ES3_N6thrust23THRUST_200600_302600_NS6detail15normal_iteratorINS9_10device_ptrIiEEEENSB_INSC_IjEEEESG_jNS9_4plusIvEENS9_8equal_toIvEEjEE10hipError_tPvRmT2_T3_T4_T5_mT6_T7_P12ihipStream_tbENKUlT_T0_E_clISt17integral_constantIbLb0EES11_EEDaSW_SX_EUlSW_E_NS1_11comp_targetILNS1_3genE8ELNS1_11target_archE1030ELNS1_3gpuE2ELNS1_3repE0EEENS1_30default_config_static_selectorELNS0_4arch9wavefront6targetE0EEEvT1_.num_agpr, 0
	.set _ZN7rocprim17ROCPRIM_400000_NS6detail17trampoline_kernelINS0_14default_configENS1_27scan_by_key_config_selectorIijEEZZNS1_16scan_by_key_implILNS1_25lookback_scan_determinismE0ELb0ES3_N6thrust23THRUST_200600_302600_NS6detail15normal_iteratorINS9_10device_ptrIiEEEENSB_INSC_IjEEEESG_jNS9_4plusIvEENS9_8equal_toIvEEjEE10hipError_tPvRmT2_T3_T4_T5_mT6_T7_P12ihipStream_tbENKUlT_T0_E_clISt17integral_constantIbLb0EES11_EEDaSW_SX_EUlSW_E_NS1_11comp_targetILNS1_3genE8ELNS1_11target_archE1030ELNS1_3gpuE2ELNS1_3repE0EEENS1_30default_config_static_selectorELNS0_4arch9wavefront6targetE0EEEvT1_.numbered_sgpr, 31
	.set _ZN7rocprim17ROCPRIM_400000_NS6detail17trampoline_kernelINS0_14default_configENS1_27scan_by_key_config_selectorIijEEZZNS1_16scan_by_key_implILNS1_25lookback_scan_determinismE0ELb0ES3_N6thrust23THRUST_200600_302600_NS6detail15normal_iteratorINS9_10device_ptrIiEEEENSB_INSC_IjEEEESG_jNS9_4plusIvEENS9_8equal_toIvEEjEE10hipError_tPvRmT2_T3_T4_T5_mT6_T7_P12ihipStream_tbENKUlT_T0_E_clISt17integral_constantIbLb0EES11_EEDaSW_SX_EUlSW_E_NS1_11comp_targetILNS1_3genE8ELNS1_11target_archE1030ELNS1_3gpuE2ELNS1_3repE0EEENS1_30default_config_static_selectorELNS0_4arch9wavefront6targetE0EEEvT1_.num_named_barrier, 0
	.set _ZN7rocprim17ROCPRIM_400000_NS6detail17trampoline_kernelINS0_14default_configENS1_27scan_by_key_config_selectorIijEEZZNS1_16scan_by_key_implILNS1_25lookback_scan_determinismE0ELb0ES3_N6thrust23THRUST_200600_302600_NS6detail15normal_iteratorINS9_10device_ptrIiEEEENSB_INSC_IjEEEESG_jNS9_4plusIvEENS9_8equal_toIvEEjEE10hipError_tPvRmT2_T3_T4_T5_mT6_T7_P12ihipStream_tbENKUlT_T0_E_clISt17integral_constantIbLb0EES11_EEDaSW_SX_EUlSW_E_NS1_11comp_targetILNS1_3genE8ELNS1_11target_archE1030ELNS1_3gpuE2ELNS1_3repE0EEENS1_30default_config_static_selectorELNS0_4arch9wavefront6targetE0EEEvT1_.private_seg_size, 0
	.set _ZN7rocprim17ROCPRIM_400000_NS6detail17trampoline_kernelINS0_14default_configENS1_27scan_by_key_config_selectorIijEEZZNS1_16scan_by_key_implILNS1_25lookback_scan_determinismE0ELb0ES3_N6thrust23THRUST_200600_302600_NS6detail15normal_iteratorINS9_10device_ptrIiEEEENSB_INSC_IjEEEESG_jNS9_4plusIvEENS9_8equal_toIvEEjEE10hipError_tPvRmT2_T3_T4_T5_mT6_T7_P12ihipStream_tbENKUlT_T0_E_clISt17integral_constantIbLb0EES11_EEDaSW_SX_EUlSW_E_NS1_11comp_targetILNS1_3genE8ELNS1_11target_archE1030ELNS1_3gpuE2ELNS1_3repE0EEENS1_30default_config_static_selectorELNS0_4arch9wavefront6targetE0EEEvT1_.uses_vcc, 1
	.set _ZN7rocprim17ROCPRIM_400000_NS6detail17trampoline_kernelINS0_14default_configENS1_27scan_by_key_config_selectorIijEEZZNS1_16scan_by_key_implILNS1_25lookback_scan_determinismE0ELb0ES3_N6thrust23THRUST_200600_302600_NS6detail15normal_iteratorINS9_10device_ptrIiEEEENSB_INSC_IjEEEESG_jNS9_4plusIvEENS9_8equal_toIvEEjEE10hipError_tPvRmT2_T3_T4_T5_mT6_T7_P12ihipStream_tbENKUlT_T0_E_clISt17integral_constantIbLb0EES11_EEDaSW_SX_EUlSW_E_NS1_11comp_targetILNS1_3genE8ELNS1_11target_archE1030ELNS1_3gpuE2ELNS1_3repE0EEENS1_30default_config_static_selectorELNS0_4arch9wavefront6targetE0EEEvT1_.uses_flat_scratch, 1
	.set _ZN7rocprim17ROCPRIM_400000_NS6detail17trampoline_kernelINS0_14default_configENS1_27scan_by_key_config_selectorIijEEZZNS1_16scan_by_key_implILNS1_25lookback_scan_determinismE0ELb0ES3_N6thrust23THRUST_200600_302600_NS6detail15normal_iteratorINS9_10device_ptrIiEEEENSB_INSC_IjEEEESG_jNS9_4plusIvEENS9_8equal_toIvEEjEE10hipError_tPvRmT2_T3_T4_T5_mT6_T7_P12ihipStream_tbENKUlT_T0_E_clISt17integral_constantIbLb0EES11_EEDaSW_SX_EUlSW_E_NS1_11comp_targetILNS1_3genE8ELNS1_11target_archE1030ELNS1_3gpuE2ELNS1_3repE0EEENS1_30default_config_static_selectorELNS0_4arch9wavefront6targetE0EEEvT1_.has_dyn_sized_stack, 0
	.set _ZN7rocprim17ROCPRIM_400000_NS6detail17trampoline_kernelINS0_14default_configENS1_27scan_by_key_config_selectorIijEEZZNS1_16scan_by_key_implILNS1_25lookback_scan_determinismE0ELb0ES3_N6thrust23THRUST_200600_302600_NS6detail15normal_iteratorINS9_10device_ptrIiEEEENSB_INSC_IjEEEESG_jNS9_4plusIvEENS9_8equal_toIvEEjEE10hipError_tPvRmT2_T3_T4_T5_mT6_T7_P12ihipStream_tbENKUlT_T0_E_clISt17integral_constantIbLb0EES11_EEDaSW_SX_EUlSW_E_NS1_11comp_targetILNS1_3genE8ELNS1_11target_archE1030ELNS1_3gpuE2ELNS1_3repE0EEENS1_30default_config_static_selectorELNS0_4arch9wavefront6targetE0EEEvT1_.has_recursion, 0
	.set _ZN7rocprim17ROCPRIM_400000_NS6detail17trampoline_kernelINS0_14default_configENS1_27scan_by_key_config_selectorIijEEZZNS1_16scan_by_key_implILNS1_25lookback_scan_determinismE0ELb0ES3_N6thrust23THRUST_200600_302600_NS6detail15normal_iteratorINS9_10device_ptrIiEEEENSB_INSC_IjEEEESG_jNS9_4plusIvEENS9_8equal_toIvEEjEE10hipError_tPvRmT2_T3_T4_T5_mT6_T7_P12ihipStream_tbENKUlT_T0_E_clISt17integral_constantIbLb0EES11_EEDaSW_SX_EUlSW_E_NS1_11comp_targetILNS1_3genE8ELNS1_11target_archE1030ELNS1_3gpuE2ELNS1_3repE0EEENS1_30default_config_static_selectorELNS0_4arch9wavefront6targetE0EEEvT1_.has_indirect_call, 0
	.section	.AMDGPU.csdata,"",@progbits
; Kernel info:
; codeLenInByte = 6228
; TotalNumSgprs: 33
; NumVgprs: 42
; ScratchSize: 0
; MemoryBound: 0
; FloatMode: 240
; IeeeMode: 1
; LDSByteSize: 5120 bytes/workgroup (compile time only)
; SGPRBlocks: 0
; VGPRBlocks: 5
; NumSGPRsForWavesPerEU: 33
; NumVGPRsForWavesPerEU: 42
; Occupancy: 16
; WaveLimiterHint : 1
; COMPUTE_PGM_RSRC2:SCRATCH_EN: 0
; COMPUTE_PGM_RSRC2:USER_SGPR: 6
; COMPUTE_PGM_RSRC2:TRAP_HANDLER: 0
; COMPUTE_PGM_RSRC2:TGID_X_EN: 1
; COMPUTE_PGM_RSRC2:TGID_Y_EN: 0
; COMPUTE_PGM_RSRC2:TGID_Z_EN: 0
; COMPUTE_PGM_RSRC2:TIDIG_COMP_CNT: 0
	.section	.text._ZN7rocprim17ROCPRIM_400000_NS6detail30init_device_scan_by_key_kernelINS1_19lookback_scan_stateINS0_5tupleIJjbEEELb1ELb1EEEN6thrust23THRUST_200600_302600_NS6detail15normal_iteratorINS8_10device_ptrIiEEEEjNS1_16block_id_wrapperIjLb1EEEEEvT_jjPNSG_10value_typeET0_PNSt15iterator_traitsISJ_E10value_typeEmT1_T2_,"axG",@progbits,_ZN7rocprim17ROCPRIM_400000_NS6detail30init_device_scan_by_key_kernelINS1_19lookback_scan_stateINS0_5tupleIJjbEEELb1ELb1EEEN6thrust23THRUST_200600_302600_NS6detail15normal_iteratorINS8_10device_ptrIiEEEEjNS1_16block_id_wrapperIjLb1EEEEEvT_jjPNSG_10value_typeET0_PNSt15iterator_traitsISJ_E10value_typeEmT1_T2_,comdat
	.protected	_ZN7rocprim17ROCPRIM_400000_NS6detail30init_device_scan_by_key_kernelINS1_19lookback_scan_stateINS0_5tupleIJjbEEELb1ELb1EEEN6thrust23THRUST_200600_302600_NS6detail15normal_iteratorINS8_10device_ptrIiEEEEjNS1_16block_id_wrapperIjLb1EEEEEvT_jjPNSG_10value_typeET0_PNSt15iterator_traitsISJ_E10value_typeEmT1_T2_ ; -- Begin function _ZN7rocprim17ROCPRIM_400000_NS6detail30init_device_scan_by_key_kernelINS1_19lookback_scan_stateINS0_5tupleIJjbEEELb1ELb1EEEN6thrust23THRUST_200600_302600_NS6detail15normal_iteratorINS8_10device_ptrIiEEEEjNS1_16block_id_wrapperIjLb1EEEEEvT_jjPNSG_10value_typeET0_PNSt15iterator_traitsISJ_E10value_typeEmT1_T2_
	.globl	_ZN7rocprim17ROCPRIM_400000_NS6detail30init_device_scan_by_key_kernelINS1_19lookback_scan_stateINS0_5tupleIJjbEEELb1ELb1EEEN6thrust23THRUST_200600_302600_NS6detail15normal_iteratorINS8_10device_ptrIiEEEEjNS1_16block_id_wrapperIjLb1EEEEEvT_jjPNSG_10value_typeET0_PNSt15iterator_traitsISJ_E10value_typeEmT1_T2_
	.p2align	8
	.type	_ZN7rocprim17ROCPRIM_400000_NS6detail30init_device_scan_by_key_kernelINS1_19lookback_scan_stateINS0_5tupleIJjbEEELb1ELb1EEEN6thrust23THRUST_200600_302600_NS6detail15normal_iteratorINS8_10device_ptrIiEEEEjNS1_16block_id_wrapperIjLb1EEEEEvT_jjPNSG_10value_typeET0_PNSt15iterator_traitsISJ_E10value_typeEmT1_T2_,@function
_ZN7rocprim17ROCPRIM_400000_NS6detail30init_device_scan_by_key_kernelINS1_19lookback_scan_stateINS0_5tupleIJjbEEELb1ELb1EEEN6thrust23THRUST_200600_302600_NS6detail15normal_iteratorINS8_10device_ptrIiEEEEjNS1_16block_id_wrapperIjLb1EEEEEvT_jjPNSG_10value_typeET0_PNSt15iterator_traitsISJ_E10value_typeEmT1_T2_: ; @_ZN7rocprim17ROCPRIM_400000_NS6detail30init_device_scan_by_key_kernelINS1_19lookback_scan_stateINS0_5tupleIJjbEEELb1ELb1EEEN6thrust23THRUST_200600_302600_NS6detail15normal_iteratorINS8_10device_ptrIiEEEEjNS1_16block_id_wrapperIjLb1EEEEEvT_jjPNSG_10value_typeET0_PNSt15iterator_traitsISJ_E10value_typeEmT1_T2_
; %bb.0:
	s_clause 0x2
	s_load_dword s0, s[4:5], 0x4c
	s_load_dwordx8 s[8:15], s[4:5], 0x0
	s_load_dword s7, s[4:5], 0x40
	s_waitcnt lgkmcnt(0)
	s_and_b32 s16, s0, 0xffff
	s_cmp_eq_u64 s[12:13], 0
	v_mad_u64_u32 v[4:5], null, s6, s16, v[0:1]
	s_cbranch_scc1 .LBB1230_10
; %bb.1:
	s_cmp_lt_u32 s11, s10
	s_mov_b32 s1, 0
	s_cselect_b32 s0, s11, 0
	s_mov_b32 s2, exec_lo
	v_cmpx_eq_u32_e64 s0, v4
	s_cbranch_execz .LBB1230_9
; %bb.2:
	s_add_i32 s0, s11, 32
	v_mov_b32_e32 v6, 0
	s_lshl_b64 s[0:1], s[0:1], 4
	s_mov_b32 s3, exec_lo
	s_add_u32 s0, s8, s0
	s_addc_u32 s1, s9, s1
	v_mov_b32_e32 v0, s0
	v_mov_b32_e32 v1, s1
	;;#ASMSTART
	global_load_dwordx4 v[0:3], v[0:1] off glc dlc	
s_waitcnt vmcnt(0)
	;;#ASMEND
	v_and_b32_e32 v5, 0xff, v2
	v_cmpx_eq_u64_e32 0, v[5:6]
	s_cbranch_execz .LBB1230_8
; %bb.3:
	v_mov_b32_e32 v8, s1
	v_mov_b32_e32 v7, s0
	s_mov_b32 s1, 1
	s_mov_b32 s0, 0
	.p2align	6
.LBB1230_4:                             ; =>This Loop Header: Depth=1
                                        ;     Child Loop BB1230_5 Depth 2
	s_mov_b32 s6, s1
.LBB1230_5:                             ;   Parent Loop BB1230_4 Depth=1
                                        ; =>  This Inner Loop Header: Depth=2
	s_add_i32 s6, s6, -1
	s_sleep 1
	s_cmp_eq_u32 s6, 0
	s_cbranch_scc0 .LBB1230_5
; %bb.6:                                ;   in Loop: Header=BB1230_4 Depth=1
	;;#ASMSTART
	global_load_dwordx4 v[0:3], v[7:8] off glc dlc	
s_waitcnt vmcnt(0)
	;;#ASMEND
	v_and_b32_e32 v5, 0xff, v2
	s_cmp_lt_u32 s1, 32
	s_cselect_b32 s6, -1, 0
	v_cmp_ne_u64_e32 vcc_lo, 0, v[5:6]
	s_cmp_lg_u32 s6, 0
	s_addc_u32 s1, s1, 0
	s_or_b32 s0, vcc_lo, s0
	s_andn2_b32 exec_lo, exec_lo, s0
	s_cbranch_execnz .LBB1230_4
; %bb.7:
	s_or_b32 exec_lo, exec_lo, s0
.LBB1230_8:
	s_or_b32 exec_lo, exec_lo, s3
	v_mov_b32_e32 v2, 0
	global_store_dword v2, v0, s[12:13]
	global_store_byte v2, v1, s[12:13] offset:4
.LBB1230_9:
	s_or_b32 exec_lo, exec_lo, s2
.LBB1230_10:
	s_mov_b32 s0, exec_lo
	v_cmpx_eq_u32_e32 0, v4
	s_cbranch_execz .LBB1230_12
; %bb.11:
	s_load_dwordx2 s[2:3], s[4:5], 0x38
	v_mov_b32_e32 v0, 0
	s_waitcnt lgkmcnt(0)
	global_store_dword v0, v0, s[2:3]
.LBB1230_12:
	s_or_b32 exec_lo, exec_lo, s0
	s_mov_b32 s0, exec_lo
	v_cmpx_gt_u32_e64 s10, v4
	s_cbranch_execz .LBB1230_14
; %bb.13:
	v_add_nc_u32_e32 v0, 32, v4
	v_mov_b32_e32 v1, 0
	v_lshlrev_b64 v[5:6], 4, v[0:1]
	v_mov_b32_e32 v0, v1
	v_mov_b32_e32 v2, v1
	;; [unrolled: 1-line block ×3, first 2 shown]
	v_add_co_u32 v5, vcc_lo, s8, v5
	v_add_co_ci_u32_e64 v6, null, s9, v6, vcc_lo
	global_store_dwordx4 v[5:6], v[0:3], off
.LBB1230_14:
	s_or_b32 exec_lo, exec_lo, s0
	v_mov_b32_e32 v5, 0
	s_mov_b32 s0, exec_lo
	v_cmpx_gt_u32_e32 32, v4
	s_cbranch_execz .LBB1230_16
; %bb.15:
	v_lshlrev_b64 v[6:7], 4, v[4:5]
	v_mov_b32_e32 v2, 0xff
	v_mov_b32_e32 v0, v5
	;; [unrolled: 1-line block ×4, first 2 shown]
	v_add_co_u32 v6, vcc_lo, s8, v6
	v_add_co_ci_u32_e64 v7, null, s9, v7, vcc_lo
	global_store_dwordx4 v[6:7], v[0:3], off
.LBB1230_16:
	s_or_b32 exec_lo, exec_lo, s0
	s_load_dwordx2 s[2:3], s[4:5], 0x28
	s_mov_b32 s0, exec_lo
	s_waitcnt lgkmcnt(0)
	v_cmpx_gt_u64_e64 s[2:3], v[4:5]
	s_cbranch_execz .LBB1230_19
; %bb.17:
	s_clause 0x1
	s_load_dword s6, s[4:5], 0x30
	s_load_dwordx2 s[8:9], s[4:5], 0x20
	s_mov_b32 s1, 0
	v_lshlrev_b64 v[2:3], 2, v[4:5]
	s_mul_i32 s4, s7, s16
	s_waitcnt lgkmcnt(0)
	v_mad_u64_u32 v[0:1], null, s6, v4, 0
	s_add_i32 s0, s6, -1
	s_mul_hi_u32 s7, s6, s4
	s_lshl_b64 s[10:11], s[0:1], 2
	s_mul_i32 s6, s6, s4
	s_add_u32 s0, s14, s10
	s_addc_u32 s5, s15, s11
	v_lshlrev_b64 v[0:1], 2, v[0:1]
	s_lshl_b64 s[6:7], s[6:7], 2
	v_add_co_u32 v0, vcc_lo, s0, v0
	v_add_co_ci_u32_e64 v1, null, s5, v1, vcc_lo
	v_add_co_u32 v2, vcc_lo, s8, v2
	v_add_co_ci_u32_e64 v3, null, s9, v3, vcc_lo
	s_mov_b32 s5, s1
	s_lshl_b64 s[8:9], s[4:5], 2
	.p2align	6
.LBB1230_18:                            ; =>This Inner Loop Header: Depth=1
	global_load_dword v6, v[0:1], off
	v_add_co_u32 v4, vcc_lo, v4, s4
	v_add_co_ci_u32_e64 v5, null, 0, v5, vcc_lo
	v_add_co_u32 v0, vcc_lo, v0, s6
	v_add_co_ci_u32_e64 v1, null, s7, v1, vcc_lo
	v_cmp_le_u64_e32 vcc_lo, s[2:3], v[4:5]
	s_or_b32 s1, vcc_lo, s1
	s_waitcnt vmcnt(0)
	global_store_dword v[2:3], v6, off
	v_add_co_u32 v2, s0, v2, s8
	v_add_co_ci_u32_e64 v3, null, s9, v3, s0
	s_andn2_b32 exec_lo, exec_lo, s1
	s_cbranch_execnz .LBB1230_18
.LBB1230_19:
	s_endpgm
	.section	.rodata,"a",@progbits
	.p2align	6, 0x0
	.amdhsa_kernel _ZN7rocprim17ROCPRIM_400000_NS6detail30init_device_scan_by_key_kernelINS1_19lookback_scan_stateINS0_5tupleIJjbEEELb1ELb1EEEN6thrust23THRUST_200600_302600_NS6detail15normal_iteratorINS8_10device_ptrIiEEEEjNS1_16block_id_wrapperIjLb1EEEEEvT_jjPNSG_10value_typeET0_PNSt15iterator_traitsISJ_E10value_typeEmT1_T2_
		.amdhsa_group_segment_fixed_size 0
		.amdhsa_private_segment_fixed_size 0
		.amdhsa_kernarg_size 320
		.amdhsa_user_sgpr_count 6
		.amdhsa_user_sgpr_private_segment_buffer 1
		.amdhsa_user_sgpr_dispatch_ptr 0
		.amdhsa_user_sgpr_queue_ptr 0
		.amdhsa_user_sgpr_kernarg_segment_ptr 1
		.amdhsa_user_sgpr_dispatch_id 0
		.amdhsa_user_sgpr_flat_scratch_init 0
		.amdhsa_user_sgpr_private_segment_size 0
		.amdhsa_wavefront_size32 1
		.amdhsa_uses_dynamic_stack 0
		.amdhsa_system_sgpr_private_segment_wavefront_offset 0
		.amdhsa_system_sgpr_workgroup_id_x 1
		.amdhsa_system_sgpr_workgroup_id_y 0
		.amdhsa_system_sgpr_workgroup_id_z 0
		.amdhsa_system_sgpr_workgroup_info 0
		.amdhsa_system_vgpr_workitem_id 0
		.amdhsa_next_free_vgpr 9
		.amdhsa_next_free_sgpr 17
		.amdhsa_reserve_vcc 1
		.amdhsa_reserve_flat_scratch 0
		.amdhsa_float_round_mode_32 0
		.amdhsa_float_round_mode_16_64 0
		.amdhsa_float_denorm_mode_32 3
		.amdhsa_float_denorm_mode_16_64 3
		.amdhsa_dx10_clamp 1
		.amdhsa_ieee_mode 1
		.amdhsa_fp16_overflow 0
		.amdhsa_workgroup_processor_mode 1
		.amdhsa_memory_ordered 1
		.amdhsa_forward_progress 1
		.amdhsa_shared_vgpr_count 0
		.amdhsa_exception_fp_ieee_invalid_op 0
		.amdhsa_exception_fp_denorm_src 0
		.amdhsa_exception_fp_ieee_div_zero 0
		.amdhsa_exception_fp_ieee_overflow 0
		.amdhsa_exception_fp_ieee_underflow 0
		.amdhsa_exception_fp_ieee_inexact 0
		.amdhsa_exception_int_div_zero 0
	.end_amdhsa_kernel
	.section	.text._ZN7rocprim17ROCPRIM_400000_NS6detail30init_device_scan_by_key_kernelINS1_19lookback_scan_stateINS0_5tupleIJjbEEELb1ELb1EEEN6thrust23THRUST_200600_302600_NS6detail15normal_iteratorINS8_10device_ptrIiEEEEjNS1_16block_id_wrapperIjLb1EEEEEvT_jjPNSG_10value_typeET0_PNSt15iterator_traitsISJ_E10value_typeEmT1_T2_,"axG",@progbits,_ZN7rocprim17ROCPRIM_400000_NS6detail30init_device_scan_by_key_kernelINS1_19lookback_scan_stateINS0_5tupleIJjbEEELb1ELb1EEEN6thrust23THRUST_200600_302600_NS6detail15normal_iteratorINS8_10device_ptrIiEEEEjNS1_16block_id_wrapperIjLb1EEEEEvT_jjPNSG_10value_typeET0_PNSt15iterator_traitsISJ_E10value_typeEmT1_T2_,comdat
.Lfunc_end1230:
	.size	_ZN7rocprim17ROCPRIM_400000_NS6detail30init_device_scan_by_key_kernelINS1_19lookback_scan_stateINS0_5tupleIJjbEEELb1ELb1EEEN6thrust23THRUST_200600_302600_NS6detail15normal_iteratorINS8_10device_ptrIiEEEEjNS1_16block_id_wrapperIjLb1EEEEEvT_jjPNSG_10value_typeET0_PNSt15iterator_traitsISJ_E10value_typeEmT1_T2_, .Lfunc_end1230-_ZN7rocprim17ROCPRIM_400000_NS6detail30init_device_scan_by_key_kernelINS1_19lookback_scan_stateINS0_5tupleIJjbEEELb1ELb1EEEN6thrust23THRUST_200600_302600_NS6detail15normal_iteratorINS8_10device_ptrIiEEEEjNS1_16block_id_wrapperIjLb1EEEEEvT_jjPNSG_10value_typeET0_PNSt15iterator_traitsISJ_E10value_typeEmT1_T2_
                                        ; -- End function
	.set _ZN7rocprim17ROCPRIM_400000_NS6detail30init_device_scan_by_key_kernelINS1_19lookback_scan_stateINS0_5tupleIJjbEEELb1ELb1EEEN6thrust23THRUST_200600_302600_NS6detail15normal_iteratorINS8_10device_ptrIiEEEEjNS1_16block_id_wrapperIjLb1EEEEEvT_jjPNSG_10value_typeET0_PNSt15iterator_traitsISJ_E10value_typeEmT1_T2_.num_vgpr, 9
	.set _ZN7rocprim17ROCPRIM_400000_NS6detail30init_device_scan_by_key_kernelINS1_19lookback_scan_stateINS0_5tupleIJjbEEELb1ELb1EEEN6thrust23THRUST_200600_302600_NS6detail15normal_iteratorINS8_10device_ptrIiEEEEjNS1_16block_id_wrapperIjLb1EEEEEvT_jjPNSG_10value_typeET0_PNSt15iterator_traitsISJ_E10value_typeEmT1_T2_.num_agpr, 0
	.set _ZN7rocprim17ROCPRIM_400000_NS6detail30init_device_scan_by_key_kernelINS1_19lookback_scan_stateINS0_5tupleIJjbEEELb1ELb1EEEN6thrust23THRUST_200600_302600_NS6detail15normal_iteratorINS8_10device_ptrIiEEEEjNS1_16block_id_wrapperIjLb1EEEEEvT_jjPNSG_10value_typeET0_PNSt15iterator_traitsISJ_E10value_typeEmT1_T2_.numbered_sgpr, 17
	.set _ZN7rocprim17ROCPRIM_400000_NS6detail30init_device_scan_by_key_kernelINS1_19lookback_scan_stateINS0_5tupleIJjbEEELb1ELb1EEEN6thrust23THRUST_200600_302600_NS6detail15normal_iteratorINS8_10device_ptrIiEEEEjNS1_16block_id_wrapperIjLb1EEEEEvT_jjPNSG_10value_typeET0_PNSt15iterator_traitsISJ_E10value_typeEmT1_T2_.num_named_barrier, 0
	.set _ZN7rocprim17ROCPRIM_400000_NS6detail30init_device_scan_by_key_kernelINS1_19lookback_scan_stateINS0_5tupleIJjbEEELb1ELb1EEEN6thrust23THRUST_200600_302600_NS6detail15normal_iteratorINS8_10device_ptrIiEEEEjNS1_16block_id_wrapperIjLb1EEEEEvT_jjPNSG_10value_typeET0_PNSt15iterator_traitsISJ_E10value_typeEmT1_T2_.private_seg_size, 0
	.set _ZN7rocprim17ROCPRIM_400000_NS6detail30init_device_scan_by_key_kernelINS1_19lookback_scan_stateINS0_5tupleIJjbEEELb1ELb1EEEN6thrust23THRUST_200600_302600_NS6detail15normal_iteratorINS8_10device_ptrIiEEEEjNS1_16block_id_wrapperIjLb1EEEEEvT_jjPNSG_10value_typeET0_PNSt15iterator_traitsISJ_E10value_typeEmT1_T2_.uses_vcc, 1
	.set _ZN7rocprim17ROCPRIM_400000_NS6detail30init_device_scan_by_key_kernelINS1_19lookback_scan_stateINS0_5tupleIJjbEEELb1ELb1EEEN6thrust23THRUST_200600_302600_NS6detail15normal_iteratorINS8_10device_ptrIiEEEEjNS1_16block_id_wrapperIjLb1EEEEEvT_jjPNSG_10value_typeET0_PNSt15iterator_traitsISJ_E10value_typeEmT1_T2_.uses_flat_scratch, 0
	.set _ZN7rocprim17ROCPRIM_400000_NS6detail30init_device_scan_by_key_kernelINS1_19lookback_scan_stateINS0_5tupleIJjbEEELb1ELb1EEEN6thrust23THRUST_200600_302600_NS6detail15normal_iteratorINS8_10device_ptrIiEEEEjNS1_16block_id_wrapperIjLb1EEEEEvT_jjPNSG_10value_typeET0_PNSt15iterator_traitsISJ_E10value_typeEmT1_T2_.has_dyn_sized_stack, 0
	.set _ZN7rocprim17ROCPRIM_400000_NS6detail30init_device_scan_by_key_kernelINS1_19lookback_scan_stateINS0_5tupleIJjbEEELb1ELb1EEEN6thrust23THRUST_200600_302600_NS6detail15normal_iteratorINS8_10device_ptrIiEEEEjNS1_16block_id_wrapperIjLb1EEEEEvT_jjPNSG_10value_typeET0_PNSt15iterator_traitsISJ_E10value_typeEmT1_T2_.has_recursion, 0
	.set _ZN7rocprim17ROCPRIM_400000_NS6detail30init_device_scan_by_key_kernelINS1_19lookback_scan_stateINS0_5tupleIJjbEEELb1ELb1EEEN6thrust23THRUST_200600_302600_NS6detail15normal_iteratorINS8_10device_ptrIiEEEEjNS1_16block_id_wrapperIjLb1EEEEEvT_jjPNSG_10value_typeET0_PNSt15iterator_traitsISJ_E10value_typeEmT1_T2_.has_indirect_call, 0
	.section	.AMDGPU.csdata,"",@progbits
; Kernel info:
; codeLenInByte = 792
; TotalNumSgprs: 19
; NumVgprs: 9
; ScratchSize: 0
; MemoryBound: 0
; FloatMode: 240
; IeeeMode: 1
; LDSByteSize: 0 bytes/workgroup (compile time only)
; SGPRBlocks: 0
; VGPRBlocks: 1
; NumSGPRsForWavesPerEU: 19
; NumVGPRsForWavesPerEU: 9
; Occupancy: 16
; WaveLimiterHint : 0
; COMPUTE_PGM_RSRC2:SCRATCH_EN: 0
; COMPUTE_PGM_RSRC2:USER_SGPR: 6
; COMPUTE_PGM_RSRC2:TRAP_HANDLER: 0
; COMPUTE_PGM_RSRC2:TGID_X_EN: 1
; COMPUTE_PGM_RSRC2:TGID_Y_EN: 0
; COMPUTE_PGM_RSRC2:TGID_Z_EN: 0
; COMPUTE_PGM_RSRC2:TIDIG_COMP_CNT: 0
	.section	.text._ZN7rocprim17ROCPRIM_400000_NS6detail30init_device_scan_by_key_kernelINS1_19lookback_scan_stateINS0_5tupleIJjbEEELb1ELb1EEENS1_16block_id_wrapperIjLb1EEEEEvT_jjPNS9_10value_typeET0_,"axG",@progbits,_ZN7rocprim17ROCPRIM_400000_NS6detail30init_device_scan_by_key_kernelINS1_19lookback_scan_stateINS0_5tupleIJjbEEELb1ELb1EEENS1_16block_id_wrapperIjLb1EEEEEvT_jjPNS9_10value_typeET0_,comdat
	.protected	_ZN7rocprim17ROCPRIM_400000_NS6detail30init_device_scan_by_key_kernelINS1_19lookback_scan_stateINS0_5tupleIJjbEEELb1ELb1EEENS1_16block_id_wrapperIjLb1EEEEEvT_jjPNS9_10value_typeET0_ ; -- Begin function _ZN7rocprim17ROCPRIM_400000_NS6detail30init_device_scan_by_key_kernelINS1_19lookback_scan_stateINS0_5tupleIJjbEEELb1ELb1EEENS1_16block_id_wrapperIjLb1EEEEEvT_jjPNS9_10value_typeET0_
	.globl	_ZN7rocprim17ROCPRIM_400000_NS6detail30init_device_scan_by_key_kernelINS1_19lookback_scan_stateINS0_5tupleIJjbEEELb1ELb1EEENS1_16block_id_wrapperIjLb1EEEEEvT_jjPNS9_10value_typeET0_
	.p2align	8
	.type	_ZN7rocprim17ROCPRIM_400000_NS6detail30init_device_scan_by_key_kernelINS1_19lookback_scan_stateINS0_5tupleIJjbEEELb1ELb1EEENS1_16block_id_wrapperIjLb1EEEEEvT_jjPNS9_10value_typeET0_,@function
_ZN7rocprim17ROCPRIM_400000_NS6detail30init_device_scan_by_key_kernelINS1_19lookback_scan_stateINS0_5tupleIJjbEEELb1ELb1EEENS1_16block_id_wrapperIjLb1EEEEEvT_jjPNS9_10value_typeET0_: ; @_ZN7rocprim17ROCPRIM_400000_NS6detail30init_device_scan_by_key_kernelINS1_19lookback_scan_stateINS0_5tupleIJjbEEELb1ELb1EEENS1_16block_id_wrapperIjLb1EEEEEvT_jjPNS9_10value_typeET0_
; %bb.0:
	s_clause 0x1
	s_load_dword s0, s[4:5], 0x2c
	s_load_dwordx8 s[8:15], s[4:5], 0x0
	s_waitcnt lgkmcnt(0)
	s_and_b32 s0, s0, 0xffff
	s_cmp_eq_u64 s[12:13], 0
	v_mad_u64_u32 v[0:1], null, s6, s0, v[0:1]
	s_cbranch_scc1 .LBB1231_10
; %bb.1:
	s_cmp_lt_u32 s11, s10
	s_mov_b32 s1, 0
	s_cselect_b32 s0, s11, 0
	s_mov_b32 s2, exec_lo
	v_cmpx_eq_u32_e64 s0, v0
	s_cbranch_execz .LBB1231_9
; %bb.2:
	s_add_i32 s0, s11, 32
	v_mov_b32_e32 v5, 0
	s_lshl_b64 s[0:1], s[0:1], 4
	s_mov_b32 s3, exec_lo
	s_add_u32 s0, s8, s0
	s_addc_u32 s1, s9, s1
	v_mov_b32_e32 v2, s1
	v_mov_b32_e32 v1, s0
	;;#ASMSTART
	global_load_dwordx4 v[1:4], v[1:2] off glc dlc	
s_waitcnt vmcnt(0)
	;;#ASMEND
	v_and_b32_e32 v4, 0xff, v3
	v_cmpx_eq_u64_e32 0, v[4:5]
	s_cbranch_execz .LBB1231_8
; %bb.3:
	v_mov_b32_e32 v7, s1
	v_mov_b32_e32 v6, s0
	s_mov_b32 s1, 1
	s_mov_b32 s0, 0
	.p2align	6
.LBB1231_4:                             ; =>This Loop Header: Depth=1
                                        ;     Child Loop BB1231_5 Depth 2
	s_mov_b32 s4, s1
.LBB1231_5:                             ;   Parent Loop BB1231_4 Depth=1
                                        ; =>  This Inner Loop Header: Depth=2
	s_add_i32 s4, s4, -1
	s_sleep 1
	s_cmp_eq_u32 s4, 0
	s_cbranch_scc0 .LBB1231_5
; %bb.6:                                ;   in Loop: Header=BB1231_4 Depth=1
	;;#ASMSTART
	global_load_dwordx4 v[1:4], v[6:7] off glc dlc	
s_waitcnt vmcnt(0)
	;;#ASMEND
	v_and_b32_e32 v4, 0xff, v3
	s_cmp_lt_u32 s1, 32
	s_cselect_b32 s4, -1, 0
	s_cmp_lg_u32 s4, 0
	v_cmp_ne_u64_e32 vcc_lo, 0, v[4:5]
	s_addc_u32 s1, s1, 0
	s_or_b32 s0, vcc_lo, s0
	s_andn2_b32 exec_lo, exec_lo, s0
	s_cbranch_execnz .LBB1231_4
; %bb.7:
	s_or_b32 exec_lo, exec_lo, s0
.LBB1231_8:
	s_or_b32 exec_lo, exec_lo, s3
	v_mov_b32_e32 v3, 0
	global_store_dword v3, v1, s[12:13]
	global_store_byte v3, v2, s[12:13] offset:4
.LBB1231_9:
	s_or_b32 exec_lo, exec_lo, s2
.LBB1231_10:
	s_mov_b32 s0, exec_lo
	v_cmpx_eq_u32_e32 0, v0
	s_cbranch_execz .LBB1231_12
; %bb.11:
	v_mov_b32_e32 v1, 0
	global_store_dword v1, v1, s[14:15]
.LBB1231_12:
	s_or_b32 exec_lo, exec_lo, s0
	s_mov_b32 s0, exec_lo
	v_cmpx_gt_u32_e64 s10, v0
	s_cbranch_execz .LBB1231_14
; %bb.13:
	v_add_nc_u32_e32 v1, 32, v0
	v_mov_b32_e32 v2, 0
	v_lshlrev_b64 v[4:5], 4, v[1:2]
	v_mov_b32_e32 v1, v2
	v_mov_b32_e32 v3, v2
	v_add_co_u32 v6, vcc_lo, s8, v4
	v_add_co_ci_u32_e64 v7, null, s9, v5, vcc_lo
	v_mov_b32_e32 v4, v2
	global_store_dwordx4 v[6:7], v[1:4], off
.LBB1231_14:
	s_or_b32 exec_lo, exec_lo, s0
	s_mov_b32 s0, exec_lo
	v_cmpx_gt_u32_e32 32, v0
	s_cbranch_execz .LBB1231_16
; %bb.15:
	v_mov_b32_e32 v1, 0
	v_mov_b32_e32 v2, 0xff
	v_lshlrev_b64 v[3:4], 4, v[0:1]
	v_mov_b32_e32 v0, v1
	v_add_co_u32 v5, vcc_lo, s8, v3
	v_add_co_ci_u32_e64 v6, null, s9, v4, vcc_lo
	v_mov_b32_e32 v3, v1
	global_store_dwordx4 v[5:6], v[0:3], off
.LBB1231_16:
	s_endpgm
	.section	.rodata,"a",@progbits
	.p2align	6, 0x0
	.amdhsa_kernel _ZN7rocprim17ROCPRIM_400000_NS6detail30init_device_scan_by_key_kernelINS1_19lookback_scan_stateINS0_5tupleIJjbEEELb1ELb1EEENS1_16block_id_wrapperIjLb1EEEEEvT_jjPNS9_10value_typeET0_
		.amdhsa_group_segment_fixed_size 0
		.amdhsa_private_segment_fixed_size 0
		.amdhsa_kernarg_size 288
		.amdhsa_user_sgpr_count 6
		.amdhsa_user_sgpr_private_segment_buffer 1
		.amdhsa_user_sgpr_dispatch_ptr 0
		.amdhsa_user_sgpr_queue_ptr 0
		.amdhsa_user_sgpr_kernarg_segment_ptr 1
		.amdhsa_user_sgpr_dispatch_id 0
		.amdhsa_user_sgpr_flat_scratch_init 0
		.amdhsa_user_sgpr_private_segment_size 0
		.amdhsa_wavefront_size32 1
		.amdhsa_uses_dynamic_stack 0
		.amdhsa_system_sgpr_private_segment_wavefront_offset 0
		.amdhsa_system_sgpr_workgroup_id_x 1
		.amdhsa_system_sgpr_workgroup_id_y 0
		.amdhsa_system_sgpr_workgroup_id_z 0
		.amdhsa_system_sgpr_workgroup_info 0
		.amdhsa_system_vgpr_workitem_id 0
		.amdhsa_next_free_vgpr 8
		.amdhsa_next_free_sgpr 16
		.amdhsa_reserve_vcc 1
		.amdhsa_reserve_flat_scratch 0
		.amdhsa_float_round_mode_32 0
		.amdhsa_float_round_mode_16_64 0
		.amdhsa_float_denorm_mode_32 3
		.amdhsa_float_denorm_mode_16_64 3
		.amdhsa_dx10_clamp 1
		.amdhsa_ieee_mode 1
		.amdhsa_fp16_overflow 0
		.amdhsa_workgroup_processor_mode 1
		.amdhsa_memory_ordered 1
		.amdhsa_forward_progress 1
		.amdhsa_shared_vgpr_count 0
		.amdhsa_exception_fp_ieee_invalid_op 0
		.amdhsa_exception_fp_denorm_src 0
		.amdhsa_exception_fp_ieee_div_zero 0
		.amdhsa_exception_fp_ieee_overflow 0
		.amdhsa_exception_fp_ieee_underflow 0
		.amdhsa_exception_fp_ieee_inexact 0
		.amdhsa_exception_int_div_zero 0
	.end_amdhsa_kernel
	.section	.text._ZN7rocprim17ROCPRIM_400000_NS6detail30init_device_scan_by_key_kernelINS1_19lookback_scan_stateINS0_5tupleIJjbEEELb1ELb1EEENS1_16block_id_wrapperIjLb1EEEEEvT_jjPNS9_10value_typeET0_,"axG",@progbits,_ZN7rocprim17ROCPRIM_400000_NS6detail30init_device_scan_by_key_kernelINS1_19lookback_scan_stateINS0_5tupleIJjbEEELb1ELb1EEENS1_16block_id_wrapperIjLb1EEEEEvT_jjPNS9_10value_typeET0_,comdat
.Lfunc_end1231:
	.size	_ZN7rocprim17ROCPRIM_400000_NS6detail30init_device_scan_by_key_kernelINS1_19lookback_scan_stateINS0_5tupleIJjbEEELb1ELb1EEENS1_16block_id_wrapperIjLb1EEEEEvT_jjPNS9_10value_typeET0_, .Lfunc_end1231-_ZN7rocprim17ROCPRIM_400000_NS6detail30init_device_scan_by_key_kernelINS1_19lookback_scan_stateINS0_5tupleIJjbEEELb1ELb1EEENS1_16block_id_wrapperIjLb1EEEEEvT_jjPNS9_10value_typeET0_
                                        ; -- End function
	.set _ZN7rocprim17ROCPRIM_400000_NS6detail30init_device_scan_by_key_kernelINS1_19lookback_scan_stateINS0_5tupleIJjbEEELb1ELb1EEENS1_16block_id_wrapperIjLb1EEEEEvT_jjPNS9_10value_typeET0_.num_vgpr, 8
	.set _ZN7rocprim17ROCPRIM_400000_NS6detail30init_device_scan_by_key_kernelINS1_19lookback_scan_stateINS0_5tupleIJjbEEELb1ELb1EEENS1_16block_id_wrapperIjLb1EEEEEvT_jjPNS9_10value_typeET0_.num_agpr, 0
	.set _ZN7rocprim17ROCPRIM_400000_NS6detail30init_device_scan_by_key_kernelINS1_19lookback_scan_stateINS0_5tupleIJjbEEELb1ELb1EEENS1_16block_id_wrapperIjLb1EEEEEvT_jjPNS9_10value_typeET0_.numbered_sgpr, 16
	.set _ZN7rocprim17ROCPRIM_400000_NS6detail30init_device_scan_by_key_kernelINS1_19lookback_scan_stateINS0_5tupleIJjbEEELb1ELb1EEENS1_16block_id_wrapperIjLb1EEEEEvT_jjPNS9_10value_typeET0_.num_named_barrier, 0
	.set _ZN7rocprim17ROCPRIM_400000_NS6detail30init_device_scan_by_key_kernelINS1_19lookback_scan_stateINS0_5tupleIJjbEEELb1ELb1EEENS1_16block_id_wrapperIjLb1EEEEEvT_jjPNS9_10value_typeET0_.private_seg_size, 0
	.set _ZN7rocprim17ROCPRIM_400000_NS6detail30init_device_scan_by_key_kernelINS1_19lookback_scan_stateINS0_5tupleIJjbEEELb1ELb1EEENS1_16block_id_wrapperIjLb1EEEEEvT_jjPNS9_10value_typeET0_.uses_vcc, 1
	.set _ZN7rocprim17ROCPRIM_400000_NS6detail30init_device_scan_by_key_kernelINS1_19lookback_scan_stateINS0_5tupleIJjbEEELb1ELb1EEENS1_16block_id_wrapperIjLb1EEEEEvT_jjPNS9_10value_typeET0_.uses_flat_scratch, 0
	.set _ZN7rocprim17ROCPRIM_400000_NS6detail30init_device_scan_by_key_kernelINS1_19lookback_scan_stateINS0_5tupleIJjbEEELb1ELb1EEENS1_16block_id_wrapperIjLb1EEEEEvT_jjPNS9_10value_typeET0_.has_dyn_sized_stack, 0
	.set _ZN7rocprim17ROCPRIM_400000_NS6detail30init_device_scan_by_key_kernelINS1_19lookback_scan_stateINS0_5tupleIJjbEEELb1ELb1EEENS1_16block_id_wrapperIjLb1EEEEEvT_jjPNS9_10value_typeET0_.has_recursion, 0
	.set _ZN7rocprim17ROCPRIM_400000_NS6detail30init_device_scan_by_key_kernelINS1_19lookback_scan_stateINS0_5tupleIJjbEEELb1ELb1EEENS1_16block_id_wrapperIjLb1EEEEEvT_jjPNS9_10value_typeET0_.has_indirect_call, 0
	.section	.AMDGPU.csdata,"",@progbits
; Kernel info:
; codeLenInByte = 492
; TotalNumSgprs: 18
; NumVgprs: 8
; ScratchSize: 0
; MemoryBound: 0
; FloatMode: 240
; IeeeMode: 1
; LDSByteSize: 0 bytes/workgroup (compile time only)
; SGPRBlocks: 0
; VGPRBlocks: 0
; NumSGPRsForWavesPerEU: 18
; NumVGPRsForWavesPerEU: 8
; Occupancy: 16
; WaveLimiterHint : 0
; COMPUTE_PGM_RSRC2:SCRATCH_EN: 0
; COMPUTE_PGM_RSRC2:USER_SGPR: 6
; COMPUTE_PGM_RSRC2:TRAP_HANDLER: 0
; COMPUTE_PGM_RSRC2:TGID_X_EN: 1
; COMPUTE_PGM_RSRC2:TGID_Y_EN: 0
; COMPUTE_PGM_RSRC2:TGID_Z_EN: 0
; COMPUTE_PGM_RSRC2:TIDIG_COMP_CNT: 0
	.section	.text._ZN7rocprim17ROCPRIM_400000_NS6detail17trampoline_kernelINS0_14default_configENS1_27scan_by_key_config_selectorIijEEZZNS1_16scan_by_key_implILNS1_25lookback_scan_determinismE0ELb0ES3_N6thrust23THRUST_200600_302600_NS6detail15normal_iteratorINS9_10device_ptrIiEEEENSB_INSC_IjEEEESG_jNS9_4plusIvEENS9_8equal_toIvEEjEE10hipError_tPvRmT2_T3_T4_T5_mT6_T7_P12ihipStream_tbENKUlT_T0_E_clISt17integral_constantIbLb1EES11_EEDaSW_SX_EUlSW_E_NS1_11comp_targetILNS1_3genE0ELNS1_11target_archE4294967295ELNS1_3gpuE0ELNS1_3repE0EEENS1_30default_config_static_selectorELNS0_4arch9wavefront6targetE0EEEvT1_,"axG",@progbits,_ZN7rocprim17ROCPRIM_400000_NS6detail17trampoline_kernelINS0_14default_configENS1_27scan_by_key_config_selectorIijEEZZNS1_16scan_by_key_implILNS1_25lookback_scan_determinismE0ELb0ES3_N6thrust23THRUST_200600_302600_NS6detail15normal_iteratorINS9_10device_ptrIiEEEENSB_INSC_IjEEEESG_jNS9_4plusIvEENS9_8equal_toIvEEjEE10hipError_tPvRmT2_T3_T4_T5_mT6_T7_P12ihipStream_tbENKUlT_T0_E_clISt17integral_constantIbLb1EES11_EEDaSW_SX_EUlSW_E_NS1_11comp_targetILNS1_3genE0ELNS1_11target_archE4294967295ELNS1_3gpuE0ELNS1_3repE0EEENS1_30default_config_static_selectorELNS0_4arch9wavefront6targetE0EEEvT1_,comdat
	.protected	_ZN7rocprim17ROCPRIM_400000_NS6detail17trampoline_kernelINS0_14default_configENS1_27scan_by_key_config_selectorIijEEZZNS1_16scan_by_key_implILNS1_25lookback_scan_determinismE0ELb0ES3_N6thrust23THRUST_200600_302600_NS6detail15normal_iteratorINS9_10device_ptrIiEEEENSB_INSC_IjEEEESG_jNS9_4plusIvEENS9_8equal_toIvEEjEE10hipError_tPvRmT2_T3_T4_T5_mT6_T7_P12ihipStream_tbENKUlT_T0_E_clISt17integral_constantIbLb1EES11_EEDaSW_SX_EUlSW_E_NS1_11comp_targetILNS1_3genE0ELNS1_11target_archE4294967295ELNS1_3gpuE0ELNS1_3repE0EEENS1_30default_config_static_selectorELNS0_4arch9wavefront6targetE0EEEvT1_ ; -- Begin function _ZN7rocprim17ROCPRIM_400000_NS6detail17trampoline_kernelINS0_14default_configENS1_27scan_by_key_config_selectorIijEEZZNS1_16scan_by_key_implILNS1_25lookback_scan_determinismE0ELb0ES3_N6thrust23THRUST_200600_302600_NS6detail15normal_iteratorINS9_10device_ptrIiEEEENSB_INSC_IjEEEESG_jNS9_4plusIvEENS9_8equal_toIvEEjEE10hipError_tPvRmT2_T3_T4_T5_mT6_T7_P12ihipStream_tbENKUlT_T0_E_clISt17integral_constantIbLb1EES11_EEDaSW_SX_EUlSW_E_NS1_11comp_targetILNS1_3genE0ELNS1_11target_archE4294967295ELNS1_3gpuE0ELNS1_3repE0EEENS1_30default_config_static_selectorELNS0_4arch9wavefront6targetE0EEEvT1_
	.globl	_ZN7rocprim17ROCPRIM_400000_NS6detail17trampoline_kernelINS0_14default_configENS1_27scan_by_key_config_selectorIijEEZZNS1_16scan_by_key_implILNS1_25lookback_scan_determinismE0ELb0ES3_N6thrust23THRUST_200600_302600_NS6detail15normal_iteratorINS9_10device_ptrIiEEEENSB_INSC_IjEEEESG_jNS9_4plusIvEENS9_8equal_toIvEEjEE10hipError_tPvRmT2_T3_T4_T5_mT6_T7_P12ihipStream_tbENKUlT_T0_E_clISt17integral_constantIbLb1EES11_EEDaSW_SX_EUlSW_E_NS1_11comp_targetILNS1_3genE0ELNS1_11target_archE4294967295ELNS1_3gpuE0ELNS1_3repE0EEENS1_30default_config_static_selectorELNS0_4arch9wavefront6targetE0EEEvT1_
	.p2align	8
	.type	_ZN7rocprim17ROCPRIM_400000_NS6detail17trampoline_kernelINS0_14default_configENS1_27scan_by_key_config_selectorIijEEZZNS1_16scan_by_key_implILNS1_25lookback_scan_determinismE0ELb0ES3_N6thrust23THRUST_200600_302600_NS6detail15normal_iteratorINS9_10device_ptrIiEEEENSB_INSC_IjEEEESG_jNS9_4plusIvEENS9_8equal_toIvEEjEE10hipError_tPvRmT2_T3_T4_T5_mT6_T7_P12ihipStream_tbENKUlT_T0_E_clISt17integral_constantIbLb1EES11_EEDaSW_SX_EUlSW_E_NS1_11comp_targetILNS1_3genE0ELNS1_11target_archE4294967295ELNS1_3gpuE0ELNS1_3repE0EEENS1_30default_config_static_selectorELNS0_4arch9wavefront6targetE0EEEvT1_,@function
_ZN7rocprim17ROCPRIM_400000_NS6detail17trampoline_kernelINS0_14default_configENS1_27scan_by_key_config_selectorIijEEZZNS1_16scan_by_key_implILNS1_25lookback_scan_determinismE0ELb0ES3_N6thrust23THRUST_200600_302600_NS6detail15normal_iteratorINS9_10device_ptrIiEEEENSB_INSC_IjEEEESG_jNS9_4plusIvEENS9_8equal_toIvEEjEE10hipError_tPvRmT2_T3_T4_T5_mT6_T7_P12ihipStream_tbENKUlT_T0_E_clISt17integral_constantIbLb1EES11_EEDaSW_SX_EUlSW_E_NS1_11comp_targetILNS1_3genE0ELNS1_11target_archE4294967295ELNS1_3gpuE0ELNS1_3repE0EEENS1_30default_config_static_selectorELNS0_4arch9wavefront6targetE0EEEvT1_: ; @_ZN7rocprim17ROCPRIM_400000_NS6detail17trampoline_kernelINS0_14default_configENS1_27scan_by_key_config_selectorIijEEZZNS1_16scan_by_key_implILNS1_25lookback_scan_determinismE0ELb0ES3_N6thrust23THRUST_200600_302600_NS6detail15normal_iteratorINS9_10device_ptrIiEEEENSB_INSC_IjEEEESG_jNS9_4plusIvEENS9_8equal_toIvEEjEE10hipError_tPvRmT2_T3_T4_T5_mT6_T7_P12ihipStream_tbENKUlT_T0_E_clISt17integral_constantIbLb1EES11_EEDaSW_SX_EUlSW_E_NS1_11comp_targetILNS1_3genE0ELNS1_11target_archE4294967295ELNS1_3gpuE0ELNS1_3repE0EEENS1_30default_config_static_selectorELNS0_4arch9wavefront6targetE0EEEvT1_
; %bb.0:
	.section	.rodata,"a",@progbits
	.p2align	6, 0x0
	.amdhsa_kernel _ZN7rocprim17ROCPRIM_400000_NS6detail17trampoline_kernelINS0_14default_configENS1_27scan_by_key_config_selectorIijEEZZNS1_16scan_by_key_implILNS1_25lookback_scan_determinismE0ELb0ES3_N6thrust23THRUST_200600_302600_NS6detail15normal_iteratorINS9_10device_ptrIiEEEENSB_INSC_IjEEEESG_jNS9_4plusIvEENS9_8equal_toIvEEjEE10hipError_tPvRmT2_T3_T4_T5_mT6_T7_P12ihipStream_tbENKUlT_T0_E_clISt17integral_constantIbLb1EES11_EEDaSW_SX_EUlSW_E_NS1_11comp_targetILNS1_3genE0ELNS1_11target_archE4294967295ELNS1_3gpuE0ELNS1_3repE0EEENS1_30default_config_static_selectorELNS0_4arch9wavefront6targetE0EEEvT1_
		.amdhsa_group_segment_fixed_size 0
		.amdhsa_private_segment_fixed_size 0
		.amdhsa_kernarg_size 112
		.amdhsa_user_sgpr_count 6
		.amdhsa_user_sgpr_private_segment_buffer 1
		.amdhsa_user_sgpr_dispatch_ptr 0
		.amdhsa_user_sgpr_queue_ptr 0
		.amdhsa_user_sgpr_kernarg_segment_ptr 1
		.amdhsa_user_sgpr_dispatch_id 0
		.amdhsa_user_sgpr_flat_scratch_init 0
		.amdhsa_user_sgpr_private_segment_size 0
		.amdhsa_wavefront_size32 1
		.amdhsa_uses_dynamic_stack 0
		.amdhsa_system_sgpr_private_segment_wavefront_offset 0
		.amdhsa_system_sgpr_workgroup_id_x 1
		.amdhsa_system_sgpr_workgroup_id_y 0
		.amdhsa_system_sgpr_workgroup_id_z 0
		.amdhsa_system_sgpr_workgroup_info 0
		.amdhsa_system_vgpr_workitem_id 0
		.amdhsa_next_free_vgpr 1
		.amdhsa_next_free_sgpr 1
		.amdhsa_reserve_vcc 0
		.amdhsa_reserve_flat_scratch 0
		.amdhsa_float_round_mode_32 0
		.amdhsa_float_round_mode_16_64 0
		.amdhsa_float_denorm_mode_32 3
		.amdhsa_float_denorm_mode_16_64 3
		.amdhsa_dx10_clamp 1
		.amdhsa_ieee_mode 1
		.amdhsa_fp16_overflow 0
		.amdhsa_workgroup_processor_mode 1
		.amdhsa_memory_ordered 1
		.amdhsa_forward_progress 1
		.amdhsa_shared_vgpr_count 0
		.amdhsa_exception_fp_ieee_invalid_op 0
		.amdhsa_exception_fp_denorm_src 0
		.amdhsa_exception_fp_ieee_div_zero 0
		.amdhsa_exception_fp_ieee_overflow 0
		.amdhsa_exception_fp_ieee_underflow 0
		.amdhsa_exception_fp_ieee_inexact 0
		.amdhsa_exception_int_div_zero 0
	.end_amdhsa_kernel
	.section	.text._ZN7rocprim17ROCPRIM_400000_NS6detail17trampoline_kernelINS0_14default_configENS1_27scan_by_key_config_selectorIijEEZZNS1_16scan_by_key_implILNS1_25lookback_scan_determinismE0ELb0ES3_N6thrust23THRUST_200600_302600_NS6detail15normal_iteratorINS9_10device_ptrIiEEEENSB_INSC_IjEEEESG_jNS9_4plusIvEENS9_8equal_toIvEEjEE10hipError_tPvRmT2_T3_T4_T5_mT6_T7_P12ihipStream_tbENKUlT_T0_E_clISt17integral_constantIbLb1EES11_EEDaSW_SX_EUlSW_E_NS1_11comp_targetILNS1_3genE0ELNS1_11target_archE4294967295ELNS1_3gpuE0ELNS1_3repE0EEENS1_30default_config_static_selectorELNS0_4arch9wavefront6targetE0EEEvT1_,"axG",@progbits,_ZN7rocprim17ROCPRIM_400000_NS6detail17trampoline_kernelINS0_14default_configENS1_27scan_by_key_config_selectorIijEEZZNS1_16scan_by_key_implILNS1_25lookback_scan_determinismE0ELb0ES3_N6thrust23THRUST_200600_302600_NS6detail15normal_iteratorINS9_10device_ptrIiEEEENSB_INSC_IjEEEESG_jNS9_4plusIvEENS9_8equal_toIvEEjEE10hipError_tPvRmT2_T3_T4_T5_mT6_T7_P12ihipStream_tbENKUlT_T0_E_clISt17integral_constantIbLb1EES11_EEDaSW_SX_EUlSW_E_NS1_11comp_targetILNS1_3genE0ELNS1_11target_archE4294967295ELNS1_3gpuE0ELNS1_3repE0EEENS1_30default_config_static_selectorELNS0_4arch9wavefront6targetE0EEEvT1_,comdat
.Lfunc_end1232:
	.size	_ZN7rocprim17ROCPRIM_400000_NS6detail17trampoline_kernelINS0_14default_configENS1_27scan_by_key_config_selectorIijEEZZNS1_16scan_by_key_implILNS1_25lookback_scan_determinismE0ELb0ES3_N6thrust23THRUST_200600_302600_NS6detail15normal_iteratorINS9_10device_ptrIiEEEENSB_INSC_IjEEEESG_jNS9_4plusIvEENS9_8equal_toIvEEjEE10hipError_tPvRmT2_T3_T4_T5_mT6_T7_P12ihipStream_tbENKUlT_T0_E_clISt17integral_constantIbLb1EES11_EEDaSW_SX_EUlSW_E_NS1_11comp_targetILNS1_3genE0ELNS1_11target_archE4294967295ELNS1_3gpuE0ELNS1_3repE0EEENS1_30default_config_static_selectorELNS0_4arch9wavefront6targetE0EEEvT1_, .Lfunc_end1232-_ZN7rocprim17ROCPRIM_400000_NS6detail17trampoline_kernelINS0_14default_configENS1_27scan_by_key_config_selectorIijEEZZNS1_16scan_by_key_implILNS1_25lookback_scan_determinismE0ELb0ES3_N6thrust23THRUST_200600_302600_NS6detail15normal_iteratorINS9_10device_ptrIiEEEENSB_INSC_IjEEEESG_jNS9_4plusIvEENS9_8equal_toIvEEjEE10hipError_tPvRmT2_T3_T4_T5_mT6_T7_P12ihipStream_tbENKUlT_T0_E_clISt17integral_constantIbLb1EES11_EEDaSW_SX_EUlSW_E_NS1_11comp_targetILNS1_3genE0ELNS1_11target_archE4294967295ELNS1_3gpuE0ELNS1_3repE0EEENS1_30default_config_static_selectorELNS0_4arch9wavefront6targetE0EEEvT1_
                                        ; -- End function
	.set _ZN7rocprim17ROCPRIM_400000_NS6detail17trampoline_kernelINS0_14default_configENS1_27scan_by_key_config_selectorIijEEZZNS1_16scan_by_key_implILNS1_25lookback_scan_determinismE0ELb0ES3_N6thrust23THRUST_200600_302600_NS6detail15normal_iteratorINS9_10device_ptrIiEEEENSB_INSC_IjEEEESG_jNS9_4plusIvEENS9_8equal_toIvEEjEE10hipError_tPvRmT2_T3_T4_T5_mT6_T7_P12ihipStream_tbENKUlT_T0_E_clISt17integral_constantIbLb1EES11_EEDaSW_SX_EUlSW_E_NS1_11comp_targetILNS1_3genE0ELNS1_11target_archE4294967295ELNS1_3gpuE0ELNS1_3repE0EEENS1_30default_config_static_selectorELNS0_4arch9wavefront6targetE0EEEvT1_.num_vgpr, 0
	.set _ZN7rocprim17ROCPRIM_400000_NS6detail17trampoline_kernelINS0_14default_configENS1_27scan_by_key_config_selectorIijEEZZNS1_16scan_by_key_implILNS1_25lookback_scan_determinismE0ELb0ES3_N6thrust23THRUST_200600_302600_NS6detail15normal_iteratorINS9_10device_ptrIiEEEENSB_INSC_IjEEEESG_jNS9_4plusIvEENS9_8equal_toIvEEjEE10hipError_tPvRmT2_T3_T4_T5_mT6_T7_P12ihipStream_tbENKUlT_T0_E_clISt17integral_constantIbLb1EES11_EEDaSW_SX_EUlSW_E_NS1_11comp_targetILNS1_3genE0ELNS1_11target_archE4294967295ELNS1_3gpuE0ELNS1_3repE0EEENS1_30default_config_static_selectorELNS0_4arch9wavefront6targetE0EEEvT1_.num_agpr, 0
	.set _ZN7rocprim17ROCPRIM_400000_NS6detail17trampoline_kernelINS0_14default_configENS1_27scan_by_key_config_selectorIijEEZZNS1_16scan_by_key_implILNS1_25lookback_scan_determinismE0ELb0ES3_N6thrust23THRUST_200600_302600_NS6detail15normal_iteratorINS9_10device_ptrIiEEEENSB_INSC_IjEEEESG_jNS9_4plusIvEENS9_8equal_toIvEEjEE10hipError_tPvRmT2_T3_T4_T5_mT6_T7_P12ihipStream_tbENKUlT_T0_E_clISt17integral_constantIbLb1EES11_EEDaSW_SX_EUlSW_E_NS1_11comp_targetILNS1_3genE0ELNS1_11target_archE4294967295ELNS1_3gpuE0ELNS1_3repE0EEENS1_30default_config_static_selectorELNS0_4arch9wavefront6targetE0EEEvT1_.numbered_sgpr, 0
	.set _ZN7rocprim17ROCPRIM_400000_NS6detail17trampoline_kernelINS0_14default_configENS1_27scan_by_key_config_selectorIijEEZZNS1_16scan_by_key_implILNS1_25lookback_scan_determinismE0ELb0ES3_N6thrust23THRUST_200600_302600_NS6detail15normal_iteratorINS9_10device_ptrIiEEEENSB_INSC_IjEEEESG_jNS9_4plusIvEENS9_8equal_toIvEEjEE10hipError_tPvRmT2_T3_T4_T5_mT6_T7_P12ihipStream_tbENKUlT_T0_E_clISt17integral_constantIbLb1EES11_EEDaSW_SX_EUlSW_E_NS1_11comp_targetILNS1_3genE0ELNS1_11target_archE4294967295ELNS1_3gpuE0ELNS1_3repE0EEENS1_30default_config_static_selectorELNS0_4arch9wavefront6targetE0EEEvT1_.num_named_barrier, 0
	.set _ZN7rocprim17ROCPRIM_400000_NS6detail17trampoline_kernelINS0_14default_configENS1_27scan_by_key_config_selectorIijEEZZNS1_16scan_by_key_implILNS1_25lookback_scan_determinismE0ELb0ES3_N6thrust23THRUST_200600_302600_NS6detail15normal_iteratorINS9_10device_ptrIiEEEENSB_INSC_IjEEEESG_jNS9_4plusIvEENS9_8equal_toIvEEjEE10hipError_tPvRmT2_T3_T4_T5_mT6_T7_P12ihipStream_tbENKUlT_T0_E_clISt17integral_constantIbLb1EES11_EEDaSW_SX_EUlSW_E_NS1_11comp_targetILNS1_3genE0ELNS1_11target_archE4294967295ELNS1_3gpuE0ELNS1_3repE0EEENS1_30default_config_static_selectorELNS0_4arch9wavefront6targetE0EEEvT1_.private_seg_size, 0
	.set _ZN7rocprim17ROCPRIM_400000_NS6detail17trampoline_kernelINS0_14default_configENS1_27scan_by_key_config_selectorIijEEZZNS1_16scan_by_key_implILNS1_25lookback_scan_determinismE0ELb0ES3_N6thrust23THRUST_200600_302600_NS6detail15normal_iteratorINS9_10device_ptrIiEEEENSB_INSC_IjEEEESG_jNS9_4plusIvEENS9_8equal_toIvEEjEE10hipError_tPvRmT2_T3_T4_T5_mT6_T7_P12ihipStream_tbENKUlT_T0_E_clISt17integral_constantIbLb1EES11_EEDaSW_SX_EUlSW_E_NS1_11comp_targetILNS1_3genE0ELNS1_11target_archE4294967295ELNS1_3gpuE0ELNS1_3repE0EEENS1_30default_config_static_selectorELNS0_4arch9wavefront6targetE0EEEvT1_.uses_vcc, 0
	.set _ZN7rocprim17ROCPRIM_400000_NS6detail17trampoline_kernelINS0_14default_configENS1_27scan_by_key_config_selectorIijEEZZNS1_16scan_by_key_implILNS1_25lookback_scan_determinismE0ELb0ES3_N6thrust23THRUST_200600_302600_NS6detail15normal_iteratorINS9_10device_ptrIiEEEENSB_INSC_IjEEEESG_jNS9_4plusIvEENS9_8equal_toIvEEjEE10hipError_tPvRmT2_T3_T4_T5_mT6_T7_P12ihipStream_tbENKUlT_T0_E_clISt17integral_constantIbLb1EES11_EEDaSW_SX_EUlSW_E_NS1_11comp_targetILNS1_3genE0ELNS1_11target_archE4294967295ELNS1_3gpuE0ELNS1_3repE0EEENS1_30default_config_static_selectorELNS0_4arch9wavefront6targetE0EEEvT1_.uses_flat_scratch, 0
	.set _ZN7rocprim17ROCPRIM_400000_NS6detail17trampoline_kernelINS0_14default_configENS1_27scan_by_key_config_selectorIijEEZZNS1_16scan_by_key_implILNS1_25lookback_scan_determinismE0ELb0ES3_N6thrust23THRUST_200600_302600_NS6detail15normal_iteratorINS9_10device_ptrIiEEEENSB_INSC_IjEEEESG_jNS9_4plusIvEENS9_8equal_toIvEEjEE10hipError_tPvRmT2_T3_T4_T5_mT6_T7_P12ihipStream_tbENKUlT_T0_E_clISt17integral_constantIbLb1EES11_EEDaSW_SX_EUlSW_E_NS1_11comp_targetILNS1_3genE0ELNS1_11target_archE4294967295ELNS1_3gpuE0ELNS1_3repE0EEENS1_30default_config_static_selectorELNS0_4arch9wavefront6targetE0EEEvT1_.has_dyn_sized_stack, 0
	.set _ZN7rocprim17ROCPRIM_400000_NS6detail17trampoline_kernelINS0_14default_configENS1_27scan_by_key_config_selectorIijEEZZNS1_16scan_by_key_implILNS1_25lookback_scan_determinismE0ELb0ES3_N6thrust23THRUST_200600_302600_NS6detail15normal_iteratorINS9_10device_ptrIiEEEENSB_INSC_IjEEEESG_jNS9_4plusIvEENS9_8equal_toIvEEjEE10hipError_tPvRmT2_T3_T4_T5_mT6_T7_P12ihipStream_tbENKUlT_T0_E_clISt17integral_constantIbLb1EES11_EEDaSW_SX_EUlSW_E_NS1_11comp_targetILNS1_3genE0ELNS1_11target_archE4294967295ELNS1_3gpuE0ELNS1_3repE0EEENS1_30default_config_static_selectorELNS0_4arch9wavefront6targetE0EEEvT1_.has_recursion, 0
	.set _ZN7rocprim17ROCPRIM_400000_NS6detail17trampoline_kernelINS0_14default_configENS1_27scan_by_key_config_selectorIijEEZZNS1_16scan_by_key_implILNS1_25lookback_scan_determinismE0ELb0ES3_N6thrust23THRUST_200600_302600_NS6detail15normal_iteratorINS9_10device_ptrIiEEEENSB_INSC_IjEEEESG_jNS9_4plusIvEENS9_8equal_toIvEEjEE10hipError_tPvRmT2_T3_T4_T5_mT6_T7_P12ihipStream_tbENKUlT_T0_E_clISt17integral_constantIbLb1EES11_EEDaSW_SX_EUlSW_E_NS1_11comp_targetILNS1_3genE0ELNS1_11target_archE4294967295ELNS1_3gpuE0ELNS1_3repE0EEENS1_30default_config_static_selectorELNS0_4arch9wavefront6targetE0EEEvT1_.has_indirect_call, 0
	.section	.AMDGPU.csdata,"",@progbits
; Kernel info:
; codeLenInByte = 0
; TotalNumSgprs: 0
; NumVgprs: 0
; ScratchSize: 0
; MemoryBound: 0
; FloatMode: 240
; IeeeMode: 1
; LDSByteSize: 0 bytes/workgroup (compile time only)
; SGPRBlocks: 0
; VGPRBlocks: 0
; NumSGPRsForWavesPerEU: 1
; NumVGPRsForWavesPerEU: 1
; Occupancy: 16
; WaveLimiterHint : 0
; COMPUTE_PGM_RSRC2:SCRATCH_EN: 0
; COMPUTE_PGM_RSRC2:USER_SGPR: 6
; COMPUTE_PGM_RSRC2:TRAP_HANDLER: 0
; COMPUTE_PGM_RSRC2:TGID_X_EN: 1
; COMPUTE_PGM_RSRC2:TGID_Y_EN: 0
; COMPUTE_PGM_RSRC2:TGID_Z_EN: 0
; COMPUTE_PGM_RSRC2:TIDIG_COMP_CNT: 0
	.section	.text._ZN7rocprim17ROCPRIM_400000_NS6detail17trampoline_kernelINS0_14default_configENS1_27scan_by_key_config_selectorIijEEZZNS1_16scan_by_key_implILNS1_25lookback_scan_determinismE0ELb0ES3_N6thrust23THRUST_200600_302600_NS6detail15normal_iteratorINS9_10device_ptrIiEEEENSB_INSC_IjEEEESG_jNS9_4plusIvEENS9_8equal_toIvEEjEE10hipError_tPvRmT2_T3_T4_T5_mT6_T7_P12ihipStream_tbENKUlT_T0_E_clISt17integral_constantIbLb1EES11_EEDaSW_SX_EUlSW_E_NS1_11comp_targetILNS1_3genE10ELNS1_11target_archE1201ELNS1_3gpuE5ELNS1_3repE0EEENS1_30default_config_static_selectorELNS0_4arch9wavefront6targetE0EEEvT1_,"axG",@progbits,_ZN7rocprim17ROCPRIM_400000_NS6detail17trampoline_kernelINS0_14default_configENS1_27scan_by_key_config_selectorIijEEZZNS1_16scan_by_key_implILNS1_25lookback_scan_determinismE0ELb0ES3_N6thrust23THRUST_200600_302600_NS6detail15normal_iteratorINS9_10device_ptrIiEEEENSB_INSC_IjEEEESG_jNS9_4plusIvEENS9_8equal_toIvEEjEE10hipError_tPvRmT2_T3_T4_T5_mT6_T7_P12ihipStream_tbENKUlT_T0_E_clISt17integral_constantIbLb1EES11_EEDaSW_SX_EUlSW_E_NS1_11comp_targetILNS1_3genE10ELNS1_11target_archE1201ELNS1_3gpuE5ELNS1_3repE0EEENS1_30default_config_static_selectorELNS0_4arch9wavefront6targetE0EEEvT1_,comdat
	.protected	_ZN7rocprim17ROCPRIM_400000_NS6detail17trampoline_kernelINS0_14default_configENS1_27scan_by_key_config_selectorIijEEZZNS1_16scan_by_key_implILNS1_25lookback_scan_determinismE0ELb0ES3_N6thrust23THRUST_200600_302600_NS6detail15normal_iteratorINS9_10device_ptrIiEEEENSB_INSC_IjEEEESG_jNS9_4plusIvEENS9_8equal_toIvEEjEE10hipError_tPvRmT2_T3_T4_T5_mT6_T7_P12ihipStream_tbENKUlT_T0_E_clISt17integral_constantIbLb1EES11_EEDaSW_SX_EUlSW_E_NS1_11comp_targetILNS1_3genE10ELNS1_11target_archE1201ELNS1_3gpuE5ELNS1_3repE0EEENS1_30default_config_static_selectorELNS0_4arch9wavefront6targetE0EEEvT1_ ; -- Begin function _ZN7rocprim17ROCPRIM_400000_NS6detail17trampoline_kernelINS0_14default_configENS1_27scan_by_key_config_selectorIijEEZZNS1_16scan_by_key_implILNS1_25lookback_scan_determinismE0ELb0ES3_N6thrust23THRUST_200600_302600_NS6detail15normal_iteratorINS9_10device_ptrIiEEEENSB_INSC_IjEEEESG_jNS9_4plusIvEENS9_8equal_toIvEEjEE10hipError_tPvRmT2_T3_T4_T5_mT6_T7_P12ihipStream_tbENKUlT_T0_E_clISt17integral_constantIbLb1EES11_EEDaSW_SX_EUlSW_E_NS1_11comp_targetILNS1_3genE10ELNS1_11target_archE1201ELNS1_3gpuE5ELNS1_3repE0EEENS1_30default_config_static_selectorELNS0_4arch9wavefront6targetE0EEEvT1_
	.globl	_ZN7rocprim17ROCPRIM_400000_NS6detail17trampoline_kernelINS0_14default_configENS1_27scan_by_key_config_selectorIijEEZZNS1_16scan_by_key_implILNS1_25lookback_scan_determinismE0ELb0ES3_N6thrust23THRUST_200600_302600_NS6detail15normal_iteratorINS9_10device_ptrIiEEEENSB_INSC_IjEEEESG_jNS9_4plusIvEENS9_8equal_toIvEEjEE10hipError_tPvRmT2_T3_T4_T5_mT6_T7_P12ihipStream_tbENKUlT_T0_E_clISt17integral_constantIbLb1EES11_EEDaSW_SX_EUlSW_E_NS1_11comp_targetILNS1_3genE10ELNS1_11target_archE1201ELNS1_3gpuE5ELNS1_3repE0EEENS1_30default_config_static_selectorELNS0_4arch9wavefront6targetE0EEEvT1_
	.p2align	8
	.type	_ZN7rocprim17ROCPRIM_400000_NS6detail17trampoline_kernelINS0_14default_configENS1_27scan_by_key_config_selectorIijEEZZNS1_16scan_by_key_implILNS1_25lookback_scan_determinismE0ELb0ES3_N6thrust23THRUST_200600_302600_NS6detail15normal_iteratorINS9_10device_ptrIiEEEENSB_INSC_IjEEEESG_jNS9_4plusIvEENS9_8equal_toIvEEjEE10hipError_tPvRmT2_T3_T4_T5_mT6_T7_P12ihipStream_tbENKUlT_T0_E_clISt17integral_constantIbLb1EES11_EEDaSW_SX_EUlSW_E_NS1_11comp_targetILNS1_3genE10ELNS1_11target_archE1201ELNS1_3gpuE5ELNS1_3repE0EEENS1_30default_config_static_selectorELNS0_4arch9wavefront6targetE0EEEvT1_,@function
_ZN7rocprim17ROCPRIM_400000_NS6detail17trampoline_kernelINS0_14default_configENS1_27scan_by_key_config_selectorIijEEZZNS1_16scan_by_key_implILNS1_25lookback_scan_determinismE0ELb0ES3_N6thrust23THRUST_200600_302600_NS6detail15normal_iteratorINS9_10device_ptrIiEEEENSB_INSC_IjEEEESG_jNS9_4plusIvEENS9_8equal_toIvEEjEE10hipError_tPvRmT2_T3_T4_T5_mT6_T7_P12ihipStream_tbENKUlT_T0_E_clISt17integral_constantIbLb1EES11_EEDaSW_SX_EUlSW_E_NS1_11comp_targetILNS1_3genE10ELNS1_11target_archE1201ELNS1_3gpuE5ELNS1_3repE0EEENS1_30default_config_static_selectorELNS0_4arch9wavefront6targetE0EEEvT1_: ; @_ZN7rocprim17ROCPRIM_400000_NS6detail17trampoline_kernelINS0_14default_configENS1_27scan_by_key_config_selectorIijEEZZNS1_16scan_by_key_implILNS1_25lookback_scan_determinismE0ELb0ES3_N6thrust23THRUST_200600_302600_NS6detail15normal_iteratorINS9_10device_ptrIiEEEENSB_INSC_IjEEEESG_jNS9_4plusIvEENS9_8equal_toIvEEjEE10hipError_tPvRmT2_T3_T4_T5_mT6_T7_P12ihipStream_tbENKUlT_T0_E_clISt17integral_constantIbLb1EES11_EEDaSW_SX_EUlSW_E_NS1_11comp_targetILNS1_3genE10ELNS1_11target_archE1201ELNS1_3gpuE5ELNS1_3repE0EEENS1_30default_config_static_selectorELNS0_4arch9wavefront6targetE0EEEvT1_
; %bb.0:
	.section	.rodata,"a",@progbits
	.p2align	6, 0x0
	.amdhsa_kernel _ZN7rocprim17ROCPRIM_400000_NS6detail17trampoline_kernelINS0_14default_configENS1_27scan_by_key_config_selectorIijEEZZNS1_16scan_by_key_implILNS1_25lookback_scan_determinismE0ELb0ES3_N6thrust23THRUST_200600_302600_NS6detail15normal_iteratorINS9_10device_ptrIiEEEENSB_INSC_IjEEEESG_jNS9_4plusIvEENS9_8equal_toIvEEjEE10hipError_tPvRmT2_T3_T4_T5_mT6_T7_P12ihipStream_tbENKUlT_T0_E_clISt17integral_constantIbLb1EES11_EEDaSW_SX_EUlSW_E_NS1_11comp_targetILNS1_3genE10ELNS1_11target_archE1201ELNS1_3gpuE5ELNS1_3repE0EEENS1_30default_config_static_selectorELNS0_4arch9wavefront6targetE0EEEvT1_
		.amdhsa_group_segment_fixed_size 0
		.amdhsa_private_segment_fixed_size 0
		.amdhsa_kernarg_size 112
		.amdhsa_user_sgpr_count 6
		.amdhsa_user_sgpr_private_segment_buffer 1
		.amdhsa_user_sgpr_dispatch_ptr 0
		.amdhsa_user_sgpr_queue_ptr 0
		.amdhsa_user_sgpr_kernarg_segment_ptr 1
		.amdhsa_user_sgpr_dispatch_id 0
		.amdhsa_user_sgpr_flat_scratch_init 0
		.amdhsa_user_sgpr_private_segment_size 0
		.amdhsa_wavefront_size32 1
		.amdhsa_uses_dynamic_stack 0
		.amdhsa_system_sgpr_private_segment_wavefront_offset 0
		.amdhsa_system_sgpr_workgroup_id_x 1
		.amdhsa_system_sgpr_workgroup_id_y 0
		.amdhsa_system_sgpr_workgroup_id_z 0
		.amdhsa_system_sgpr_workgroup_info 0
		.amdhsa_system_vgpr_workitem_id 0
		.amdhsa_next_free_vgpr 1
		.amdhsa_next_free_sgpr 1
		.amdhsa_reserve_vcc 0
		.amdhsa_reserve_flat_scratch 0
		.amdhsa_float_round_mode_32 0
		.amdhsa_float_round_mode_16_64 0
		.amdhsa_float_denorm_mode_32 3
		.amdhsa_float_denorm_mode_16_64 3
		.amdhsa_dx10_clamp 1
		.amdhsa_ieee_mode 1
		.amdhsa_fp16_overflow 0
		.amdhsa_workgroup_processor_mode 1
		.amdhsa_memory_ordered 1
		.amdhsa_forward_progress 1
		.amdhsa_shared_vgpr_count 0
		.amdhsa_exception_fp_ieee_invalid_op 0
		.amdhsa_exception_fp_denorm_src 0
		.amdhsa_exception_fp_ieee_div_zero 0
		.amdhsa_exception_fp_ieee_overflow 0
		.amdhsa_exception_fp_ieee_underflow 0
		.amdhsa_exception_fp_ieee_inexact 0
		.amdhsa_exception_int_div_zero 0
	.end_amdhsa_kernel
	.section	.text._ZN7rocprim17ROCPRIM_400000_NS6detail17trampoline_kernelINS0_14default_configENS1_27scan_by_key_config_selectorIijEEZZNS1_16scan_by_key_implILNS1_25lookback_scan_determinismE0ELb0ES3_N6thrust23THRUST_200600_302600_NS6detail15normal_iteratorINS9_10device_ptrIiEEEENSB_INSC_IjEEEESG_jNS9_4plusIvEENS9_8equal_toIvEEjEE10hipError_tPvRmT2_T3_T4_T5_mT6_T7_P12ihipStream_tbENKUlT_T0_E_clISt17integral_constantIbLb1EES11_EEDaSW_SX_EUlSW_E_NS1_11comp_targetILNS1_3genE10ELNS1_11target_archE1201ELNS1_3gpuE5ELNS1_3repE0EEENS1_30default_config_static_selectorELNS0_4arch9wavefront6targetE0EEEvT1_,"axG",@progbits,_ZN7rocprim17ROCPRIM_400000_NS6detail17trampoline_kernelINS0_14default_configENS1_27scan_by_key_config_selectorIijEEZZNS1_16scan_by_key_implILNS1_25lookback_scan_determinismE0ELb0ES3_N6thrust23THRUST_200600_302600_NS6detail15normal_iteratorINS9_10device_ptrIiEEEENSB_INSC_IjEEEESG_jNS9_4plusIvEENS9_8equal_toIvEEjEE10hipError_tPvRmT2_T3_T4_T5_mT6_T7_P12ihipStream_tbENKUlT_T0_E_clISt17integral_constantIbLb1EES11_EEDaSW_SX_EUlSW_E_NS1_11comp_targetILNS1_3genE10ELNS1_11target_archE1201ELNS1_3gpuE5ELNS1_3repE0EEENS1_30default_config_static_selectorELNS0_4arch9wavefront6targetE0EEEvT1_,comdat
.Lfunc_end1233:
	.size	_ZN7rocprim17ROCPRIM_400000_NS6detail17trampoline_kernelINS0_14default_configENS1_27scan_by_key_config_selectorIijEEZZNS1_16scan_by_key_implILNS1_25lookback_scan_determinismE0ELb0ES3_N6thrust23THRUST_200600_302600_NS6detail15normal_iteratorINS9_10device_ptrIiEEEENSB_INSC_IjEEEESG_jNS9_4plusIvEENS9_8equal_toIvEEjEE10hipError_tPvRmT2_T3_T4_T5_mT6_T7_P12ihipStream_tbENKUlT_T0_E_clISt17integral_constantIbLb1EES11_EEDaSW_SX_EUlSW_E_NS1_11comp_targetILNS1_3genE10ELNS1_11target_archE1201ELNS1_3gpuE5ELNS1_3repE0EEENS1_30default_config_static_selectorELNS0_4arch9wavefront6targetE0EEEvT1_, .Lfunc_end1233-_ZN7rocprim17ROCPRIM_400000_NS6detail17trampoline_kernelINS0_14default_configENS1_27scan_by_key_config_selectorIijEEZZNS1_16scan_by_key_implILNS1_25lookback_scan_determinismE0ELb0ES3_N6thrust23THRUST_200600_302600_NS6detail15normal_iteratorINS9_10device_ptrIiEEEENSB_INSC_IjEEEESG_jNS9_4plusIvEENS9_8equal_toIvEEjEE10hipError_tPvRmT2_T3_T4_T5_mT6_T7_P12ihipStream_tbENKUlT_T0_E_clISt17integral_constantIbLb1EES11_EEDaSW_SX_EUlSW_E_NS1_11comp_targetILNS1_3genE10ELNS1_11target_archE1201ELNS1_3gpuE5ELNS1_3repE0EEENS1_30default_config_static_selectorELNS0_4arch9wavefront6targetE0EEEvT1_
                                        ; -- End function
	.set _ZN7rocprim17ROCPRIM_400000_NS6detail17trampoline_kernelINS0_14default_configENS1_27scan_by_key_config_selectorIijEEZZNS1_16scan_by_key_implILNS1_25lookback_scan_determinismE0ELb0ES3_N6thrust23THRUST_200600_302600_NS6detail15normal_iteratorINS9_10device_ptrIiEEEENSB_INSC_IjEEEESG_jNS9_4plusIvEENS9_8equal_toIvEEjEE10hipError_tPvRmT2_T3_T4_T5_mT6_T7_P12ihipStream_tbENKUlT_T0_E_clISt17integral_constantIbLb1EES11_EEDaSW_SX_EUlSW_E_NS1_11comp_targetILNS1_3genE10ELNS1_11target_archE1201ELNS1_3gpuE5ELNS1_3repE0EEENS1_30default_config_static_selectorELNS0_4arch9wavefront6targetE0EEEvT1_.num_vgpr, 0
	.set _ZN7rocprim17ROCPRIM_400000_NS6detail17trampoline_kernelINS0_14default_configENS1_27scan_by_key_config_selectorIijEEZZNS1_16scan_by_key_implILNS1_25lookback_scan_determinismE0ELb0ES3_N6thrust23THRUST_200600_302600_NS6detail15normal_iteratorINS9_10device_ptrIiEEEENSB_INSC_IjEEEESG_jNS9_4plusIvEENS9_8equal_toIvEEjEE10hipError_tPvRmT2_T3_T4_T5_mT6_T7_P12ihipStream_tbENKUlT_T0_E_clISt17integral_constantIbLb1EES11_EEDaSW_SX_EUlSW_E_NS1_11comp_targetILNS1_3genE10ELNS1_11target_archE1201ELNS1_3gpuE5ELNS1_3repE0EEENS1_30default_config_static_selectorELNS0_4arch9wavefront6targetE0EEEvT1_.num_agpr, 0
	.set _ZN7rocprim17ROCPRIM_400000_NS6detail17trampoline_kernelINS0_14default_configENS1_27scan_by_key_config_selectorIijEEZZNS1_16scan_by_key_implILNS1_25lookback_scan_determinismE0ELb0ES3_N6thrust23THRUST_200600_302600_NS6detail15normal_iteratorINS9_10device_ptrIiEEEENSB_INSC_IjEEEESG_jNS9_4plusIvEENS9_8equal_toIvEEjEE10hipError_tPvRmT2_T3_T4_T5_mT6_T7_P12ihipStream_tbENKUlT_T0_E_clISt17integral_constantIbLb1EES11_EEDaSW_SX_EUlSW_E_NS1_11comp_targetILNS1_3genE10ELNS1_11target_archE1201ELNS1_3gpuE5ELNS1_3repE0EEENS1_30default_config_static_selectorELNS0_4arch9wavefront6targetE0EEEvT1_.numbered_sgpr, 0
	.set _ZN7rocprim17ROCPRIM_400000_NS6detail17trampoline_kernelINS0_14default_configENS1_27scan_by_key_config_selectorIijEEZZNS1_16scan_by_key_implILNS1_25lookback_scan_determinismE0ELb0ES3_N6thrust23THRUST_200600_302600_NS6detail15normal_iteratorINS9_10device_ptrIiEEEENSB_INSC_IjEEEESG_jNS9_4plusIvEENS9_8equal_toIvEEjEE10hipError_tPvRmT2_T3_T4_T5_mT6_T7_P12ihipStream_tbENKUlT_T0_E_clISt17integral_constantIbLb1EES11_EEDaSW_SX_EUlSW_E_NS1_11comp_targetILNS1_3genE10ELNS1_11target_archE1201ELNS1_3gpuE5ELNS1_3repE0EEENS1_30default_config_static_selectorELNS0_4arch9wavefront6targetE0EEEvT1_.num_named_barrier, 0
	.set _ZN7rocprim17ROCPRIM_400000_NS6detail17trampoline_kernelINS0_14default_configENS1_27scan_by_key_config_selectorIijEEZZNS1_16scan_by_key_implILNS1_25lookback_scan_determinismE0ELb0ES3_N6thrust23THRUST_200600_302600_NS6detail15normal_iteratorINS9_10device_ptrIiEEEENSB_INSC_IjEEEESG_jNS9_4plusIvEENS9_8equal_toIvEEjEE10hipError_tPvRmT2_T3_T4_T5_mT6_T7_P12ihipStream_tbENKUlT_T0_E_clISt17integral_constantIbLb1EES11_EEDaSW_SX_EUlSW_E_NS1_11comp_targetILNS1_3genE10ELNS1_11target_archE1201ELNS1_3gpuE5ELNS1_3repE0EEENS1_30default_config_static_selectorELNS0_4arch9wavefront6targetE0EEEvT1_.private_seg_size, 0
	.set _ZN7rocprim17ROCPRIM_400000_NS6detail17trampoline_kernelINS0_14default_configENS1_27scan_by_key_config_selectorIijEEZZNS1_16scan_by_key_implILNS1_25lookback_scan_determinismE0ELb0ES3_N6thrust23THRUST_200600_302600_NS6detail15normal_iteratorINS9_10device_ptrIiEEEENSB_INSC_IjEEEESG_jNS9_4plusIvEENS9_8equal_toIvEEjEE10hipError_tPvRmT2_T3_T4_T5_mT6_T7_P12ihipStream_tbENKUlT_T0_E_clISt17integral_constantIbLb1EES11_EEDaSW_SX_EUlSW_E_NS1_11comp_targetILNS1_3genE10ELNS1_11target_archE1201ELNS1_3gpuE5ELNS1_3repE0EEENS1_30default_config_static_selectorELNS0_4arch9wavefront6targetE0EEEvT1_.uses_vcc, 0
	.set _ZN7rocprim17ROCPRIM_400000_NS6detail17trampoline_kernelINS0_14default_configENS1_27scan_by_key_config_selectorIijEEZZNS1_16scan_by_key_implILNS1_25lookback_scan_determinismE0ELb0ES3_N6thrust23THRUST_200600_302600_NS6detail15normal_iteratorINS9_10device_ptrIiEEEENSB_INSC_IjEEEESG_jNS9_4plusIvEENS9_8equal_toIvEEjEE10hipError_tPvRmT2_T3_T4_T5_mT6_T7_P12ihipStream_tbENKUlT_T0_E_clISt17integral_constantIbLb1EES11_EEDaSW_SX_EUlSW_E_NS1_11comp_targetILNS1_3genE10ELNS1_11target_archE1201ELNS1_3gpuE5ELNS1_3repE0EEENS1_30default_config_static_selectorELNS0_4arch9wavefront6targetE0EEEvT1_.uses_flat_scratch, 0
	.set _ZN7rocprim17ROCPRIM_400000_NS6detail17trampoline_kernelINS0_14default_configENS1_27scan_by_key_config_selectorIijEEZZNS1_16scan_by_key_implILNS1_25lookback_scan_determinismE0ELb0ES3_N6thrust23THRUST_200600_302600_NS6detail15normal_iteratorINS9_10device_ptrIiEEEENSB_INSC_IjEEEESG_jNS9_4plusIvEENS9_8equal_toIvEEjEE10hipError_tPvRmT2_T3_T4_T5_mT6_T7_P12ihipStream_tbENKUlT_T0_E_clISt17integral_constantIbLb1EES11_EEDaSW_SX_EUlSW_E_NS1_11comp_targetILNS1_3genE10ELNS1_11target_archE1201ELNS1_3gpuE5ELNS1_3repE0EEENS1_30default_config_static_selectorELNS0_4arch9wavefront6targetE0EEEvT1_.has_dyn_sized_stack, 0
	.set _ZN7rocprim17ROCPRIM_400000_NS6detail17trampoline_kernelINS0_14default_configENS1_27scan_by_key_config_selectorIijEEZZNS1_16scan_by_key_implILNS1_25lookback_scan_determinismE0ELb0ES3_N6thrust23THRUST_200600_302600_NS6detail15normal_iteratorINS9_10device_ptrIiEEEENSB_INSC_IjEEEESG_jNS9_4plusIvEENS9_8equal_toIvEEjEE10hipError_tPvRmT2_T3_T4_T5_mT6_T7_P12ihipStream_tbENKUlT_T0_E_clISt17integral_constantIbLb1EES11_EEDaSW_SX_EUlSW_E_NS1_11comp_targetILNS1_3genE10ELNS1_11target_archE1201ELNS1_3gpuE5ELNS1_3repE0EEENS1_30default_config_static_selectorELNS0_4arch9wavefront6targetE0EEEvT1_.has_recursion, 0
	.set _ZN7rocprim17ROCPRIM_400000_NS6detail17trampoline_kernelINS0_14default_configENS1_27scan_by_key_config_selectorIijEEZZNS1_16scan_by_key_implILNS1_25lookback_scan_determinismE0ELb0ES3_N6thrust23THRUST_200600_302600_NS6detail15normal_iteratorINS9_10device_ptrIiEEEENSB_INSC_IjEEEESG_jNS9_4plusIvEENS9_8equal_toIvEEjEE10hipError_tPvRmT2_T3_T4_T5_mT6_T7_P12ihipStream_tbENKUlT_T0_E_clISt17integral_constantIbLb1EES11_EEDaSW_SX_EUlSW_E_NS1_11comp_targetILNS1_3genE10ELNS1_11target_archE1201ELNS1_3gpuE5ELNS1_3repE0EEENS1_30default_config_static_selectorELNS0_4arch9wavefront6targetE0EEEvT1_.has_indirect_call, 0
	.section	.AMDGPU.csdata,"",@progbits
; Kernel info:
; codeLenInByte = 0
; TotalNumSgprs: 0
; NumVgprs: 0
; ScratchSize: 0
; MemoryBound: 0
; FloatMode: 240
; IeeeMode: 1
; LDSByteSize: 0 bytes/workgroup (compile time only)
; SGPRBlocks: 0
; VGPRBlocks: 0
; NumSGPRsForWavesPerEU: 1
; NumVGPRsForWavesPerEU: 1
; Occupancy: 16
; WaveLimiterHint : 0
; COMPUTE_PGM_RSRC2:SCRATCH_EN: 0
; COMPUTE_PGM_RSRC2:USER_SGPR: 6
; COMPUTE_PGM_RSRC2:TRAP_HANDLER: 0
; COMPUTE_PGM_RSRC2:TGID_X_EN: 1
; COMPUTE_PGM_RSRC2:TGID_Y_EN: 0
; COMPUTE_PGM_RSRC2:TGID_Z_EN: 0
; COMPUTE_PGM_RSRC2:TIDIG_COMP_CNT: 0
	.section	.text._ZN7rocprim17ROCPRIM_400000_NS6detail17trampoline_kernelINS0_14default_configENS1_27scan_by_key_config_selectorIijEEZZNS1_16scan_by_key_implILNS1_25lookback_scan_determinismE0ELb0ES3_N6thrust23THRUST_200600_302600_NS6detail15normal_iteratorINS9_10device_ptrIiEEEENSB_INSC_IjEEEESG_jNS9_4plusIvEENS9_8equal_toIvEEjEE10hipError_tPvRmT2_T3_T4_T5_mT6_T7_P12ihipStream_tbENKUlT_T0_E_clISt17integral_constantIbLb1EES11_EEDaSW_SX_EUlSW_E_NS1_11comp_targetILNS1_3genE5ELNS1_11target_archE942ELNS1_3gpuE9ELNS1_3repE0EEENS1_30default_config_static_selectorELNS0_4arch9wavefront6targetE0EEEvT1_,"axG",@progbits,_ZN7rocprim17ROCPRIM_400000_NS6detail17trampoline_kernelINS0_14default_configENS1_27scan_by_key_config_selectorIijEEZZNS1_16scan_by_key_implILNS1_25lookback_scan_determinismE0ELb0ES3_N6thrust23THRUST_200600_302600_NS6detail15normal_iteratorINS9_10device_ptrIiEEEENSB_INSC_IjEEEESG_jNS9_4plusIvEENS9_8equal_toIvEEjEE10hipError_tPvRmT2_T3_T4_T5_mT6_T7_P12ihipStream_tbENKUlT_T0_E_clISt17integral_constantIbLb1EES11_EEDaSW_SX_EUlSW_E_NS1_11comp_targetILNS1_3genE5ELNS1_11target_archE942ELNS1_3gpuE9ELNS1_3repE0EEENS1_30default_config_static_selectorELNS0_4arch9wavefront6targetE0EEEvT1_,comdat
	.protected	_ZN7rocprim17ROCPRIM_400000_NS6detail17trampoline_kernelINS0_14default_configENS1_27scan_by_key_config_selectorIijEEZZNS1_16scan_by_key_implILNS1_25lookback_scan_determinismE0ELb0ES3_N6thrust23THRUST_200600_302600_NS6detail15normal_iteratorINS9_10device_ptrIiEEEENSB_INSC_IjEEEESG_jNS9_4plusIvEENS9_8equal_toIvEEjEE10hipError_tPvRmT2_T3_T4_T5_mT6_T7_P12ihipStream_tbENKUlT_T0_E_clISt17integral_constantIbLb1EES11_EEDaSW_SX_EUlSW_E_NS1_11comp_targetILNS1_3genE5ELNS1_11target_archE942ELNS1_3gpuE9ELNS1_3repE0EEENS1_30default_config_static_selectorELNS0_4arch9wavefront6targetE0EEEvT1_ ; -- Begin function _ZN7rocprim17ROCPRIM_400000_NS6detail17trampoline_kernelINS0_14default_configENS1_27scan_by_key_config_selectorIijEEZZNS1_16scan_by_key_implILNS1_25lookback_scan_determinismE0ELb0ES3_N6thrust23THRUST_200600_302600_NS6detail15normal_iteratorINS9_10device_ptrIiEEEENSB_INSC_IjEEEESG_jNS9_4plusIvEENS9_8equal_toIvEEjEE10hipError_tPvRmT2_T3_T4_T5_mT6_T7_P12ihipStream_tbENKUlT_T0_E_clISt17integral_constantIbLb1EES11_EEDaSW_SX_EUlSW_E_NS1_11comp_targetILNS1_3genE5ELNS1_11target_archE942ELNS1_3gpuE9ELNS1_3repE0EEENS1_30default_config_static_selectorELNS0_4arch9wavefront6targetE0EEEvT1_
	.globl	_ZN7rocprim17ROCPRIM_400000_NS6detail17trampoline_kernelINS0_14default_configENS1_27scan_by_key_config_selectorIijEEZZNS1_16scan_by_key_implILNS1_25lookback_scan_determinismE0ELb0ES3_N6thrust23THRUST_200600_302600_NS6detail15normal_iteratorINS9_10device_ptrIiEEEENSB_INSC_IjEEEESG_jNS9_4plusIvEENS9_8equal_toIvEEjEE10hipError_tPvRmT2_T3_T4_T5_mT6_T7_P12ihipStream_tbENKUlT_T0_E_clISt17integral_constantIbLb1EES11_EEDaSW_SX_EUlSW_E_NS1_11comp_targetILNS1_3genE5ELNS1_11target_archE942ELNS1_3gpuE9ELNS1_3repE0EEENS1_30default_config_static_selectorELNS0_4arch9wavefront6targetE0EEEvT1_
	.p2align	8
	.type	_ZN7rocprim17ROCPRIM_400000_NS6detail17trampoline_kernelINS0_14default_configENS1_27scan_by_key_config_selectorIijEEZZNS1_16scan_by_key_implILNS1_25lookback_scan_determinismE0ELb0ES3_N6thrust23THRUST_200600_302600_NS6detail15normal_iteratorINS9_10device_ptrIiEEEENSB_INSC_IjEEEESG_jNS9_4plusIvEENS9_8equal_toIvEEjEE10hipError_tPvRmT2_T3_T4_T5_mT6_T7_P12ihipStream_tbENKUlT_T0_E_clISt17integral_constantIbLb1EES11_EEDaSW_SX_EUlSW_E_NS1_11comp_targetILNS1_3genE5ELNS1_11target_archE942ELNS1_3gpuE9ELNS1_3repE0EEENS1_30default_config_static_selectorELNS0_4arch9wavefront6targetE0EEEvT1_,@function
_ZN7rocprim17ROCPRIM_400000_NS6detail17trampoline_kernelINS0_14default_configENS1_27scan_by_key_config_selectorIijEEZZNS1_16scan_by_key_implILNS1_25lookback_scan_determinismE0ELb0ES3_N6thrust23THRUST_200600_302600_NS6detail15normal_iteratorINS9_10device_ptrIiEEEENSB_INSC_IjEEEESG_jNS9_4plusIvEENS9_8equal_toIvEEjEE10hipError_tPvRmT2_T3_T4_T5_mT6_T7_P12ihipStream_tbENKUlT_T0_E_clISt17integral_constantIbLb1EES11_EEDaSW_SX_EUlSW_E_NS1_11comp_targetILNS1_3genE5ELNS1_11target_archE942ELNS1_3gpuE9ELNS1_3repE0EEENS1_30default_config_static_selectorELNS0_4arch9wavefront6targetE0EEEvT1_: ; @_ZN7rocprim17ROCPRIM_400000_NS6detail17trampoline_kernelINS0_14default_configENS1_27scan_by_key_config_selectorIijEEZZNS1_16scan_by_key_implILNS1_25lookback_scan_determinismE0ELb0ES3_N6thrust23THRUST_200600_302600_NS6detail15normal_iteratorINS9_10device_ptrIiEEEENSB_INSC_IjEEEESG_jNS9_4plusIvEENS9_8equal_toIvEEjEE10hipError_tPvRmT2_T3_T4_T5_mT6_T7_P12ihipStream_tbENKUlT_T0_E_clISt17integral_constantIbLb1EES11_EEDaSW_SX_EUlSW_E_NS1_11comp_targetILNS1_3genE5ELNS1_11target_archE942ELNS1_3gpuE9ELNS1_3repE0EEENS1_30default_config_static_selectorELNS0_4arch9wavefront6targetE0EEEvT1_
; %bb.0:
	.section	.rodata,"a",@progbits
	.p2align	6, 0x0
	.amdhsa_kernel _ZN7rocprim17ROCPRIM_400000_NS6detail17trampoline_kernelINS0_14default_configENS1_27scan_by_key_config_selectorIijEEZZNS1_16scan_by_key_implILNS1_25lookback_scan_determinismE0ELb0ES3_N6thrust23THRUST_200600_302600_NS6detail15normal_iteratorINS9_10device_ptrIiEEEENSB_INSC_IjEEEESG_jNS9_4plusIvEENS9_8equal_toIvEEjEE10hipError_tPvRmT2_T3_T4_T5_mT6_T7_P12ihipStream_tbENKUlT_T0_E_clISt17integral_constantIbLb1EES11_EEDaSW_SX_EUlSW_E_NS1_11comp_targetILNS1_3genE5ELNS1_11target_archE942ELNS1_3gpuE9ELNS1_3repE0EEENS1_30default_config_static_selectorELNS0_4arch9wavefront6targetE0EEEvT1_
		.amdhsa_group_segment_fixed_size 0
		.amdhsa_private_segment_fixed_size 0
		.amdhsa_kernarg_size 112
		.amdhsa_user_sgpr_count 6
		.amdhsa_user_sgpr_private_segment_buffer 1
		.amdhsa_user_sgpr_dispatch_ptr 0
		.amdhsa_user_sgpr_queue_ptr 0
		.amdhsa_user_sgpr_kernarg_segment_ptr 1
		.amdhsa_user_sgpr_dispatch_id 0
		.amdhsa_user_sgpr_flat_scratch_init 0
		.amdhsa_user_sgpr_private_segment_size 0
		.amdhsa_wavefront_size32 1
		.amdhsa_uses_dynamic_stack 0
		.amdhsa_system_sgpr_private_segment_wavefront_offset 0
		.amdhsa_system_sgpr_workgroup_id_x 1
		.amdhsa_system_sgpr_workgroup_id_y 0
		.amdhsa_system_sgpr_workgroup_id_z 0
		.amdhsa_system_sgpr_workgroup_info 0
		.amdhsa_system_vgpr_workitem_id 0
		.amdhsa_next_free_vgpr 1
		.amdhsa_next_free_sgpr 1
		.amdhsa_reserve_vcc 0
		.amdhsa_reserve_flat_scratch 0
		.amdhsa_float_round_mode_32 0
		.amdhsa_float_round_mode_16_64 0
		.amdhsa_float_denorm_mode_32 3
		.amdhsa_float_denorm_mode_16_64 3
		.amdhsa_dx10_clamp 1
		.amdhsa_ieee_mode 1
		.amdhsa_fp16_overflow 0
		.amdhsa_workgroup_processor_mode 1
		.amdhsa_memory_ordered 1
		.amdhsa_forward_progress 1
		.amdhsa_shared_vgpr_count 0
		.amdhsa_exception_fp_ieee_invalid_op 0
		.amdhsa_exception_fp_denorm_src 0
		.amdhsa_exception_fp_ieee_div_zero 0
		.amdhsa_exception_fp_ieee_overflow 0
		.amdhsa_exception_fp_ieee_underflow 0
		.amdhsa_exception_fp_ieee_inexact 0
		.amdhsa_exception_int_div_zero 0
	.end_amdhsa_kernel
	.section	.text._ZN7rocprim17ROCPRIM_400000_NS6detail17trampoline_kernelINS0_14default_configENS1_27scan_by_key_config_selectorIijEEZZNS1_16scan_by_key_implILNS1_25lookback_scan_determinismE0ELb0ES3_N6thrust23THRUST_200600_302600_NS6detail15normal_iteratorINS9_10device_ptrIiEEEENSB_INSC_IjEEEESG_jNS9_4plusIvEENS9_8equal_toIvEEjEE10hipError_tPvRmT2_T3_T4_T5_mT6_T7_P12ihipStream_tbENKUlT_T0_E_clISt17integral_constantIbLb1EES11_EEDaSW_SX_EUlSW_E_NS1_11comp_targetILNS1_3genE5ELNS1_11target_archE942ELNS1_3gpuE9ELNS1_3repE0EEENS1_30default_config_static_selectorELNS0_4arch9wavefront6targetE0EEEvT1_,"axG",@progbits,_ZN7rocprim17ROCPRIM_400000_NS6detail17trampoline_kernelINS0_14default_configENS1_27scan_by_key_config_selectorIijEEZZNS1_16scan_by_key_implILNS1_25lookback_scan_determinismE0ELb0ES3_N6thrust23THRUST_200600_302600_NS6detail15normal_iteratorINS9_10device_ptrIiEEEENSB_INSC_IjEEEESG_jNS9_4plusIvEENS9_8equal_toIvEEjEE10hipError_tPvRmT2_T3_T4_T5_mT6_T7_P12ihipStream_tbENKUlT_T0_E_clISt17integral_constantIbLb1EES11_EEDaSW_SX_EUlSW_E_NS1_11comp_targetILNS1_3genE5ELNS1_11target_archE942ELNS1_3gpuE9ELNS1_3repE0EEENS1_30default_config_static_selectorELNS0_4arch9wavefront6targetE0EEEvT1_,comdat
.Lfunc_end1234:
	.size	_ZN7rocprim17ROCPRIM_400000_NS6detail17trampoline_kernelINS0_14default_configENS1_27scan_by_key_config_selectorIijEEZZNS1_16scan_by_key_implILNS1_25lookback_scan_determinismE0ELb0ES3_N6thrust23THRUST_200600_302600_NS6detail15normal_iteratorINS9_10device_ptrIiEEEENSB_INSC_IjEEEESG_jNS9_4plusIvEENS9_8equal_toIvEEjEE10hipError_tPvRmT2_T3_T4_T5_mT6_T7_P12ihipStream_tbENKUlT_T0_E_clISt17integral_constantIbLb1EES11_EEDaSW_SX_EUlSW_E_NS1_11comp_targetILNS1_3genE5ELNS1_11target_archE942ELNS1_3gpuE9ELNS1_3repE0EEENS1_30default_config_static_selectorELNS0_4arch9wavefront6targetE0EEEvT1_, .Lfunc_end1234-_ZN7rocprim17ROCPRIM_400000_NS6detail17trampoline_kernelINS0_14default_configENS1_27scan_by_key_config_selectorIijEEZZNS1_16scan_by_key_implILNS1_25lookback_scan_determinismE0ELb0ES3_N6thrust23THRUST_200600_302600_NS6detail15normal_iteratorINS9_10device_ptrIiEEEENSB_INSC_IjEEEESG_jNS9_4plusIvEENS9_8equal_toIvEEjEE10hipError_tPvRmT2_T3_T4_T5_mT6_T7_P12ihipStream_tbENKUlT_T0_E_clISt17integral_constantIbLb1EES11_EEDaSW_SX_EUlSW_E_NS1_11comp_targetILNS1_3genE5ELNS1_11target_archE942ELNS1_3gpuE9ELNS1_3repE0EEENS1_30default_config_static_selectorELNS0_4arch9wavefront6targetE0EEEvT1_
                                        ; -- End function
	.set _ZN7rocprim17ROCPRIM_400000_NS6detail17trampoline_kernelINS0_14default_configENS1_27scan_by_key_config_selectorIijEEZZNS1_16scan_by_key_implILNS1_25lookback_scan_determinismE0ELb0ES3_N6thrust23THRUST_200600_302600_NS6detail15normal_iteratorINS9_10device_ptrIiEEEENSB_INSC_IjEEEESG_jNS9_4plusIvEENS9_8equal_toIvEEjEE10hipError_tPvRmT2_T3_T4_T5_mT6_T7_P12ihipStream_tbENKUlT_T0_E_clISt17integral_constantIbLb1EES11_EEDaSW_SX_EUlSW_E_NS1_11comp_targetILNS1_3genE5ELNS1_11target_archE942ELNS1_3gpuE9ELNS1_3repE0EEENS1_30default_config_static_selectorELNS0_4arch9wavefront6targetE0EEEvT1_.num_vgpr, 0
	.set _ZN7rocprim17ROCPRIM_400000_NS6detail17trampoline_kernelINS0_14default_configENS1_27scan_by_key_config_selectorIijEEZZNS1_16scan_by_key_implILNS1_25lookback_scan_determinismE0ELb0ES3_N6thrust23THRUST_200600_302600_NS6detail15normal_iteratorINS9_10device_ptrIiEEEENSB_INSC_IjEEEESG_jNS9_4plusIvEENS9_8equal_toIvEEjEE10hipError_tPvRmT2_T3_T4_T5_mT6_T7_P12ihipStream_tbENKUlT_T0_E_clISt17integral_constantIbLb1EES11_EEDaSW_SX_EUlSW_E_NS1_11comp_targetILNS1_3genE5ELNS1_11target_archE942ELNS1_3gpuE9ELNS1_3repE0EEENS1_30default_config_static_selectorELNS0_4arch9wavefront6targetE0EEEvT1_.num_agpr, 0
	.set _ZN7rocprim17ROCPRIM_400000_NS6detail17trampoline_kernelINS0_14default_configENS1_27scan_by_key_config_selectorIijEEZZNS1_16scan_by_key_implILNS1_25lookback_scan_determinismE0ELb0ES3_N6thrust23THRUST_200600_302600_NS6detail15normal_iteratorINS9_10device_ptrIiEEEENSB_INSC_IjEEEESG_jNS9_4plusIvEENS9_8equal_toIvEEjEE10hipError_tPvRmT2_T3_T4_T5_mT6_T7_P12ihipStream_tbENKUlT_T0_E_clISt17integral_constantIbLb1EES11_EEDaSW_SX_EUlSW_E_NS1_11comp_targetILNS1_3genE5ELNS1_11target_archE942ELNS1_3gpuE9ELNS1_3repE0EEENS1_30default_config_static_selectorELNS0_4arch9wavefront6targetE0EEEvT1_.numbered_sgpr, 0
	.set _ZN7rocprim17ROCPRIM_400000_NS6detail17trampoline_kernelINS0_14default_configENS1_27scan_by_key_config_selectorIijEEZZNS1_16scan_by_key_implILNS1_25lookback_scan_determinismE0ELb0ES3_N6thrust23THRUST_200600_302600_NS6detail15normal_iteratorINS9_10device_ptrIiEEEENSB_INSC_IjEEEESG_jNS9_4plusIvEENS9_8equal_toIvEEjEE10hipError_tPvRmT2_T3_T4_T5_mT6_T7_P12ihipStream_tbENKUlT_T0_E_clISt17integral_constantIbLb1EES11_EEDaSW_SX_EUlSW_E_NS1_11comp_targetILNS1_3genE5ELNS1_11target_archE942ELNS1_3gpuE9ELNS1_3repE0EEENS1_30default_config_static_selectorELNS0_4arch9wavefront6targetE0EEEvT1_.num_named_barrier, 0
	.set _ZN7rocprim17ROCPRIM_400000_NS6detail17trampoline_kernelINS0_14default_configENS1_27scan_by_key_config_selectorIijEEZZNS1_16scan_by_key_implILNS1_25lookback_scan_determinismE0ELb0ES3_N6thrust23THRUST_200600_302600_NS6detail15normal_iteratorINS9_10device_ptrIiEEEENSB_INSC_IjEEEESG_jNS9_4plusIvEENS9_8equal_toIvEEjEE10hipError_tPvRmT2_T3_T4_T5_mT6_T7_P12ihipStream_tbENKUlT_T0_E_clISt17integral_constantIbLb1EES11_EEDaSW_SX_EUlSW_E_NS1_11comp_targetILNS1_3genE5ELNS1_11target_archE942ELNS1_3gpuE9ELNS1_3repE0EEENS1_30default_config_static_selectorELNS0_4arch9wavefront6targetE0EEEvT1_.private_seg_size, 0
	.set _ZN7rocprim17ROCPRIM_400000_NS6detail17trampoline_kernelINS0_14default_configENS1_27scan_by_key_config_selectorIijEEZZNS1_16scan_by_key_implILNS1_25lookback_scan_determinismE0ELb0ES3_N6thrust23THRUST_200600_302600_NS6detail15normal_iteratorINS9_10device_ptrIiEEEENSB_INSC_IjEEEESG_jNS9_4plusIvEENS9_8equal_toIvEEjEE10hipError_tPvRmT2_T3_T4_T5_mT6_T7_P12ihipStream_tbENKUlT_T0_E_clISt17integral_constantIbLb1EES11_EEDaSW_SX_EUlSW_E_NS1_11comp_targetILNS1_3genE5ELNS1_11target_archE942ELNS1_3gpuE9ELNS1_3repE0EEENS1_30default_config_static_selectorELNS0_4arch9wavefront6targetE0EEEvT1_.uses_vcc, 0
	.set _ZN7rocprim17ROCPRIM_400000_NS6detail17trampoline_kernelINS0_14default_configENS1_27scan_by_key_config_selectorIijEEZZNS1_16scan_by_key_implILNS1_25lookback_scan_determinismE0ELb0ES3_N6thrust23THRUST_200600_302600_NS6detail15normal_iteratorINS9_10device_ptrIiEEEENSB_INSC_IjEEEESG_jNS9_4plusIvEENS9_8equal_toIvEEjEE10hipError_tPvRmT2_T3_T4_T5_mT6_T7_P12ihipStream_tbENKUlT_T0_E_clISt17integral_constantIbLb1EES11_EEDaSW_SX_EUlSW_E_NS1_11comp_targetILNS1_3genE5ELNS1_11target_archE942ELNS1_3gpuE9ELNS1_3repE0EEENS1_30default_config_static_selectorELNS0_4arch9wavefront6targetE0EEEvT1_.uses_flat_scratch, 0
	.set _ZN7rocprim17ROCPRIM_400000_NS6detail17trampoline_kernelINS0_14default_configENS1_27scan_by_key_config_selectorIijEEZZNS1_16scan_by_key_implILNS1_25lookback_scan_determinismE0ELb0ES3_N6thrust23THRUST_200600_302600_NS6detail15normal_iteratorINS9_10device_ptrIiEEEENSB_INSC_IjEEEESG_jNS9_4plusIvEENS9_8equal_toIvEEjEE10hipError_tPvRmT2_T3_T4_T5_mT6_T7_P12ihipStream_tbENKUlT_T0_E_clISt17integral_constantIbLb1EES11_EEDaSW_SX_EUlSW_E_NS1_11comp_targetILNS1_3genE5ELNS1_11target_archE942ELNS1_3gpuE9ELNS1_3repE0EEENS1_30default_config_static_selectorELNS0_4arch9wavefront6targetE0EEEvT1_.has_dyn_sized_stack, 0
	.set _ZN7rocprim17ROCPRIM_400000_NS6detail17trampoline_kernelINS0_14default_configENS1_27scan_by_key_config_selectorIijEEZZNS1_16scan_by_key_implILNS1_25lookback_scan_determinismE0ELb0ES3_N6thrust23THRUST_200600_302600_NS6detail15normal_iteratorINS9_10device_ptrIiEEEENSB_INSC_IjEEEESG_jNS9_4plusIvEENS9_8equal_toIvEEjEE10hipError_tPvRmT2_T3_T4_T5_mT6_T7_P12ihipStream_tbENKUlT_T0_E_clISt17integral_constantIbLb1EES11_EEDaSW_SX_EUlSW_E_NS1_11comp_targetILNS1_3genE5ELNS1_11target_archE942ELNS1_3gpuE9ELNS1_3repE0EEENS1_30default_config_static_selectorELNS0_4arch9wavefront6targetE0EEEvT1_.has_recursion, 0
	.set _ZN7rocprim17ROCPRIM_400000_NS6detail17trampoline_kernelINS0_14default_configENS1_27scan_by_key_config_selectorIijEEZZNS1_16scan_by_key_implILNS1_25lookback_scan_determinismE0ELb0ES3_N6thrust23THRUST_200600_302600_NS6detail15normal_iteratorINS9_10device_ptrIiEEEENSB_INSC_IjEEEESG_jNS9_4plusIvEENS9_8equal_toIvEEjEE10hipError_tPvRmT2_T3_T4_T5_mT6_T7_P12ihipStream_tbENKUlT_T0_E_clISt17integral_constantIbLb1EES11_EEDaSW_SX_EUlSW_E_NS1_11comp_targetILNS1_3genE5ELNS1_11target_archE942ELNS1_3gpuE9ELNS1_3repE0EEENS1_30default_config_static_selectorELNS0_4arch9wavefront6targetE0EEEvT1_.has_indirect_call, 0
	.section	.AMDGPU.csdata,"",@progbits
; Kernel info:
; codeLenInByte = 0
; TotalNumSgprs: 0
; NumVgprs: 0
; ScratchSize: 0
; MemoryBound: 0
; FloatMode: 240
; IeeeMode: 1
; LDSByteSize: 0 bytes/workgroup (compile time only)
; SGPRBlocks: 0
; VGPRBlocks: 0
; NumSGPRsForWavesPerEU: 1
; NumVGPRsForWavesPerEU: 1
; Occupancy: 16
; WaveLimiterHint : 0
; COMPUTE_PGM_RSRC2:SCRATCH_EN: 0
; COMPUTE_PGM_RSRC2:USER_SGPR: 6
; COMPUTE_PGM_RSRC2:TRAP_HANDLER: 0
; COMPUTE_PGM_RSRC2:TGID_X_EN: 1
; COMPUTE_PGM_RSRC2:TGID_Y_EN: 0
; COMPUTE_PGM_RSRC2:TGID_Z_EN: 0
; COMPUTE_PGM_RSRC2:TIDIG_COMP_CNT: 0
	.section	.text._ZN7rocprim17ROCPRIM_400000_NS6detail17trampoline_kernelINS0_14default_configENS1_27scan_by_key_config_selectorIijEEZZNS1_16scan_by_key_implILNS1_25lookback_scan_determinismE0ELb0ES3_N6thrust23THRUST_200600_302600_NS6detail15normal_iteratorINS9_10device_ptrIiEEEENSB_INSC_IjEEEESG_jNS9_4plusIvEENS9_8equal_toIvEEjEE10hipError_tPvRmT2_T3_T4_T5_mT6_T7_P12ihipStream_tbENKUlT_T0_E_clISt17integral_constantIbLb1EES11_EEDaSW_SX_EUlSW_E_NS1_11comp_targetILNS1_3genE4ELNS1_11target_archE910ELNS1_3gpuE8ELNS1_3repE0EEENS1_30default_config_static_selectorELNS0_4arch9wavefront6targetE0EEEvT1_,"axG",@progbits,_ZN7rocprim17ROCPRIM_400000_NS6detail17trampoline_kernelINS0_14default_configENS1_27scan_by_key_config_selectorIijEEZZNS1_16scan_by_key_implILNS1_25lookback_scan_determinismE0ELb0ES3_N6thrust23THRUST_200600_302600_NS6detail15normal_iteratorINS9_10device_ptrIiEEEENSB_INSC_IjEEEESG_jNS9_4plusIvEENS9_8equal_toIvEEjEE10hipError_tPvRmT2_T3_T4_T5_mT6_T7_P12ihipStream_tbENKUlT_T0_E_clISt17integral_constantIbLb1EES11_EEDaSW_SX_EUlSW_E_NS1_11comp_targetILNS1_3genE4ELNS1_11target_archE910ELNS1_3gpuE8ELNS1_3repE0EEENS1_30default_config_static_selectorELNS0_4arch9wavefront6targetE0EEEvT1_,comdat
	.protected	_ZN7rocprim17ROCPRIM_400000_NS6detail17trampoline_kernelINS0_14default_configENS1_27scan_by_key_config_selectorIijEEZZNS1_16scan_by_key_implILNS1_25lookback_scan_determinismE0ELb0ES3_N6thrust23THRUST_200600_302600_NS6detail15normal_iteratorINS9_10device_ptrIiEEEENSB_INSC_IjEEEESG_jNS9_4plusIvEENS9_8equal_toIvEEjEE10hipError_tPvRmT2_T3_T4_T5_mT6_T7_P12ihipStream_tbENKUlT_T0_E_clISt17integral_constantIbLb1EES11_EEDaSW_SX_EUlSW_E_NS1_11comp_targetILNS1_3genE4ELNS1_11target_archE910ELNS1_3gpuE8ELNS1_3repE0EEENS1_30default_config_static_selectorELNS0_4arch9wavefront6targetE0EEEvT1_ ; -- Begin function _ZN7rocprim17ROCPRIM_400000_NS6detail17trampoline_kernelINS0_14default_configENS1_27scan_by_key_config_selectorIijEEZZNS1_16scan_by_key_implILNS1_25lookback_scan_determinismE0ELb0ES3_N6thrust23THRUST_200600_302600_NS6detail15normal_iteratorINS9_10device_ptrIiEEEENSB_INSC_IjEEEESG_jNS9_4plusIvEENS9_8equal_toIvEEjEE10hipError_tPvRmT2_T3_T4_T5_mT6_T7_P12ihipStream_tbENKUlT_T0_E_clISt17integral_constantIbLb1EES11_EEDaSW_SX_EUlSW_E_NS1_11comp_targetILNS1_3genE4ELNS1_11target_archE910ELNS1_3gpuE8ELNS1_3repE0EEENS1_30default_config_static_selectorELNS0_4arch9wavefront6targetE0EEEvT1_
	.globl	_ZN7rocprim17ROCPRIM_400000_NS6detail17trampoline_kernelINS0_14default_configENS1_27scan_by_key_config_selectorIijEEZZNS1_16scan_by_key_implILNS1_25lookback_scan_determinismE0ELb0ES3_N6thrust23THRUST_200600_302600_NS6detail15normal_iteratorINS9_10device_ptrIiEEEENSB_INSC_IjEEEESG_jNS9_4plusIvEENS9_8equal_toIvEEjEE10hipError_tPvRmT2_T3_T4_T5_mT6_T7_P12ihipStream_tbENKUlT_T0_E_clISt17integral_constantIbLb1EES11_EEDaSW_SX_EUlSW_E_NS1_11comp_targetILNS1_3genE4ELNS1_11target_archE910ELNS1_3gpuE8ELNS1_3repE0EEENS1_30default_config_static_selectorELNS0_4arch9wavefront6targetE0EEEvT1_
	.p2align	8
	.type	_ZN7rocprim17ROCPRIM_400000_NS6detail17trampoline_kernelINS0_14default_configENS1_27scan_by_key_config_selectorIijEEZZNS1_16scan_by_key_implILNS1_25lookback_scan_determinismE0ELb0ES3_N6thrust23THRUST_200600_302600_NS6detail15normal_iteratorINS9_10device_ptrIiEEEENSB_INSC_IjEEEESG_jNS9_4plusIvEENS9_8equal_toIvEEjEE10hipError_tPvRmT2_T3_T4_T5_mT6_T7_P12ihipStream_tbENKUlT_T0_E_clISt17integral_constantIbLb1EES11_EEDaSW_SX_EUlSW_E_NS1_11comp_targetILNS1_3genE4ELNS1_11target_archE910ELNS1_3gpuE8ELNS1_3repE0EEENS1_30default_config_static_selectorELNS0_4arch9wavefront6targetE0EEEvT1_,@function
_ZN7rocprim17ROCPRIM_400000_NS6detail17trampoline_kernelINS0_14default_configENS1_27scan_by_key_config_selectorIijEEZZNS1_16scan_by_key_implILNS1_25lookback_scan_determinismE0ELb0ES3_N6thrust23THRUST_200600_302600_NS6detail15normal_iteratorINS9_10device_ptrIiEEEENSB_INSC_IjEEEESG_jNS9_4plusIvEENS9_8equal_toIvEEjEE10hipError_tPvRmT2_T3_T4_T5_mT6_T7_P12ihipStream_tbENKUlT_T0_E_clISt17integral_constantIbLb1EES11_EEDaSW_SX_EUlSW_E_NS1_11comp_targetILNS1_3genE4ELNS1_11target_archE910ELNS1_3gpuE8ELNS1_3repE0EEENS1_30default_config_static_selectorELNS0_4arch9wavefront6targetE0EEEvT1_: ; @_ZN7rocprim17ROCPRIM_400000_NS6detail17trampoline_kernelINS0_14default_configENS1_27scan_by_key_config_selectorIijEEZZNS1_16scan_by_key_implILNS1_25lookback_scan_determinismE0ELb0ES3_N6thrust23THRUST_200600_302600_NS6detail15normal_iteratorINS9_10device_ptrIiEEEENSB_INSC_IjEEEESG_jNS9_4plusIvEENS9_8equal_toIvEEjEE10hipError_tPvRmT2_T3_T4_T5_mT6_T7_P12ihipStream_tbENKUlT_T0_E_clISt17integral_constantIbLb1EES11_EEDaSW_SX_EUlSW_E_NS1_11comp_targetILNS1_3genE4ELNS1_11target_archE910ELNS1_3gpuE8ELNS1_3repE0EEENS1_30default_config_static_selectorELNS0_4arch9wavefront6targetE0EEEvT1_
; %bb.0:
	.section	.rodata,"a",@progbits
	.p2align	6, 0x0
	.amdhsa_kernel _ZN7rocprim17ROCPRIM_400000_NS6detail17trampoline_kernelINS0_14default_configENS1_27scan_by_key_config_selectorIijEEZZNS1_16scan_by_key_implILNS1_25lookback_scan_determinismE0ELb0ES3_N6thrust23THRUST_200600_302600_NS6detail15normal_iteratorINS9_10device_ptrIiEEEENSB_INSC_IjEEEESG_jNS9_4plusIvEENS9_8equal_toIvEEjEE10hipError_tPvRmT2_T3_T4_T5_mT6_T7_P12ihipStream_tbENKUlT_T0_E_clISt17integral_constantIbLb1EES11_EEDaSW_SX_EUlSW_E_NS1_11comp_targetILNS1_3genE4ELNS1_11target_archE910ELNS1_3gpuE8ELNS1_3repE0EEENS1_30default_config_static_selectorELNS0_4arch9wavefront6targetE0EEEvT1_
		.amdhsa_group_segment_fixed_size 0
		.amdhsa_private_segment_fixed_size 0
		.amdhsa_kernarg_size 112
		.amdhsa_user_sgpr_count 6
		.amdhsa_user_sgpr_private_segment_buffer 1
		.amdhsa_user_sgpr_dispatch_ptr 0
		.amdhsa_user_sgpr_queue_ptr 0
		.amdhsa_user_sgpr_kernarg_segment_ptr 1
		.amdhsa_user_sgpr_dispatch_id 0
		.amdhsa_user_sgpr_flat_scratch_init 0
		.amdhsa_user_sgpr_private_segment_size 0
		.amdhsa_wavefront_size32 1
		.amdhsa_uses_dynamic_stack 0
		.amdhsa_system_sgpr_private_segment_wavefront_offset 0
		.amdhsa_system_sgpr_workgroup_id_x 1
		.amdhsa_system_sgpr_workgroup_id_y 0
		.amdhsa_system_sgpr_workgroup_id_z 0
		.amdhsa_system_sgpr_workgroup_info 0
		.amdhsa_system_vgpr_workitem_id 0
		.amdhsa_next_free_vgpr 1
		.amdhsa_next_free_sgpr 1
		.amdhsa_reserve_vcc 0
		.amdhsa_reserve_flat_scratch 0
		.amdhsa_float_round_mode_32 0
		.amdhsa_float_round_mode_16_64 0
		.amdhsa_float_denorm_mode_32 3
		.amdhsa_float_denorm_mode_16_64 3
		.amdhsa_dx10_clamp 1
		.amdhsa_ieee_mode 1
		.amdhsa_fp16_overflow 0
		.amdhsa_workgroup_processor_mode 1
		.amdhsa_memory_ordered 1
		.amdhsa_forward_progress 1
		.amdhsa_shared_vgpr_count 0
		.amdhsa_exception_fp_ieee_invalid_op 0
		.amdhsa_exception_fp_denorm_src 0
		.amdhsa_exception_fp_ieee_div_zero 0
		.amdhsa_exception_fp_ieee_overflow 0
		.amdhsa_exception_fp_ieee_underflow 0
		.amdhsa_exception_fp_ieee_inexact 0
		.amdhsa_exception_int_div_zero 0
	.end_amdhsa_kernel
	.section	.text._ZN7rocprim17ROCPRIM_400000_NS6detail17trampoline_kernelINS0_14default_configENS1_27scan_by_key_config_selectorIijEEZZNS1_16scan_by_key_implILNS1_25lookback_scan_determinismE0ELb0ES3_N6thrust23THRUST_200600_302600_NS6detail15normal_iteratorINS9_10device_ptrIiEEEENSB_INSC_IjEEEESG_jNS9_4plusIvEENS9_8equal_toIvEEjEE10hipError_tPvRmT2_T3_T4_T5_mT6_T7_P12ihipStream_tbENKUlT_T0_E_clISt17integral_constantIbLb1EES11_EEDaSW_SX_EUlSW_E_NS1_11comp_targetILNS1_3genE4ELNS1_11target_archE910ELNS1_3gpuE8ELNS1_3repE0EEENS1_30default_config_static_selectorELNS0_4arch9wavefront6targetE0EEEvT1_,"axG",@progbits,_ZN7rocprim17ROCPRIM_400000_NS6detail17trampoline_kernelINS0_14default_configENS1_27scan_by_key_config_selectorIijEEZZNS1_16scan_by_key_implILNS1_25lookback_scan_determinismE0ELb0ES3_N6thrust23THRUST_200600_302600_NS6detail15normal_iteratorINS9_10device_ptrIiEEEENSB_INSC_IjEEEESG_jNS9_4plusIvEENS9_8equal_toIvEEjEE10hipError_tPvRmT2_T3_T4_T5_mT6_T7_P12ihipStream_tbENKUlT_T0_E_clISt17integral_constantIbLb1EES11_EEDaSW_SX_EUlSW_E_NS1_11comp_targetILNS1_3genE4ELNS1_11target_archE910ELNS1_3gpuE8ELNS1_3repE0EEENS1_30default_config_static_selectorELNS0_4arch9wavefront6targetE0EEEvT1_,comdat
.Lfunc_end1235:
	.size	_ZN7rocprim17ROCPRIM_400000_NS6detail17trampoline_kernelINS0_14default_configENS1_27scan_by_key_config_selectorIijEEZZNS1_16scan_by_key_implILNS1_25lookback_scan_determinismE0ELb0ES3_N6thrust23THRUST_200600_302600_NS6detail15normal_iteratorINS9_10device_ptrIiEEEENSB_INSC_IjEEEESG_jNS9_4plusIvEENS9_8equal_toIvEEjEE10hipError_tPvRmT2_T3_T4_T5_mT6_T7_P12ihipStream_tbENKUlT_T0_E_clISt17integral_constantIbLb1EES11_EEDaSW_SX_EUlSW_E_NS1_11comp_targetILNS1_3genE4ELNS1_11target_archE910ELNS1_3gpuE8ELNS1_3repE0EEENS1_30default_config_static_selectorELNS0_4arch9wavefront6targetE0EEEvT1_, .Lfunc_end1235-_ZN7rocprim17ROCPRIM_400000_NS6detail17trampoline_kernelINS0_14default_configENS1_27scan_by_key_config_selectorIijEEZZNS1_16scan_by_key_implILNS1_25lookback_scan_determinismE0ELb0ES3_N6thrust23THRUST_200600_302600_NS6detail15normal_iteratorINS9_10device_ptrIiEEEENSB_INSC_IjEEEESG_jNS9_4plusIvEENS9_8equal_toIvEEjEE10hipError_tPvRmT2_T3_T4_T5_mT6_T7_P12ihipStream_tbENKUlT_T0_E_clISt17integral_constantIbLb1EES11_EEDaSW_SX_EUlSW_E_NS1_11comp_targetILNS1_3genE4ELNS1_11target_archE910ELNS1_3gpuE8ELNS1_3repE0EEENS1_30default_config_static_selectorELNS0_4arch9wavefront6targetE0EEEvT1_
                                        ; -- End function
	.set _ZN7rocprim17ROCPRIM_400000_NS6detail17trampoline_kernelINS0_14default_configENS1_27scan_by_key_config_selectorIijEEZZNS1_16scan_by_key_implILNS1_25lookback_scan_determinismE0ELb0ES3_N6thrust23THRUST_200600_302600_NS6detail15normal_iteratorINS9_10device_ptrIiEEEENSB_INSC_IjEEEESG_jNS9_4plusIvEENS9_8equal_toIvEEjEE10hipError_tPvRmT2_T3_T4_T5_mT6_T7_P12ihipStream_tbENKUlT_T0_E_clISt17integral_constantIbLb1EES11_EEDaSW_SX_EUlSW_E_NS1_11comp_targetILNS1_3genE4ELNS1_11target_archE910ELNS1_3gpuE8ELNS1_3repE0EEENS1_30default_config_static_selectorELNS0_4arch9wavefront6targetE0EEEvT1_.num_vgpr, 0
	.set _ZN7rocprim17ROCPRIM_400000_NS6detail17trampoline_kernelINS0_14default_configENS1_27scan_by_key_config_selectorIijEEZZNS1_16scan_by_key_implILNS1_25lookback_scan_determinismE0ELb0ES3_N6thrust23THRUST_200600_302600_NS6detail15normal_iteratorINS9_10device_ptrIiEEEENSB_INSC_IjEEEESG_jNS9_4plusIvEENS9_8equal_toIvEEjEE10hipError_tPvRmT2_T3_T4_T5_mT6_T7_P12ihipStream_tbENKUlT_T0_E_clISt17integral_constantIbLb1EES11_EEDaSW_SX_EUlSW_E_NS1_11comp_targetILNS1_3genE4ELNS1_11target_archE910ELNS1_3gpuE8ELNS1_3repE0EEENS1_30default_config_static_selectorELNS0_4arch9wavefront6targetE0EEEvT1_.num_agpr, 0
	.set _ZN7rocprim17ROCPRIM_400000_NS6detail17trampoline_kernelINS0_14default_configENS1_27scan_by_key_config_selectorIijEEZZNS1_16scan_by_key_implILNS1_25lookback_scan_determinismE0ELb0ES3_N6thrust23THRUST_200600_302600_NS6detail15normal_iteratorINS9_10device_ptrIiEEEENSB_INSC_IjEEEESG_jNS9_4plusIvEENS9_8equal_toIvEEjEE10hipError_tPvRmT2_T3_T4_T5_mT6_T7_P12ihipStream_tbENKUlT_T0_E_clISt17integral_constantIbLb1EES11_EEDaSW_SX_EUlSW_E_NS1_11comp_targetILNS1_3genE4ELNS1_11target_archE910ELNS1_3gpuE8ELNS1_3repE0EEENS1_30default_config_static_selectorELNS0_4arch9wavefront6targetE0EEEvT1_.numbered_sgpr, 0
	.set _ZN7rocprim17ROCPRIM_400000_NS6detail17trampoline_kernelINS0_14default_configENS1_27scan_by_key_config_selectorIijEEZZNS1_16scan_by_key_implILNS1_25lookback_scan_determinismE0ELb0ES3_N6thrust23THRUST_200600_302600_NS6detail15normal_iteratorINS9_10device_ptrIiEEEENSB_INSC_IjEEEESG_jNS9_4plusIvEENS9_8equal_toIvEEjEE10hipError_tPvRmT2_T3_T4_T5_mT6_T7_P12ihipStream_tbENKUlT_T0_E_clISt17integral_constantIbLb1EES11_EEDaSW_SX_EUlSW_E_NS1_11comp_targetILNS1_3genE4ELNS1_11target_archE910ELNS1_3gpuE8ELNS1_3repE0EEENS1_30default_config_static_selectorELNS0_4arch9wavefront6targetE0EEEvT1_.num_named_barrier, 0
	.set _ZN7rocprim17ROCPRIM_400000_NS6detail17trampoline_kernelINS0_14default_configENS1_27scan_by_key_config_selectorIijEEZZNS1_16scan_by_key_implILNS1_25lookback_scan_determinismE0ELb0ES3_N6thrust23THRUST_200600_302600_NS6detail15normal_iteratorINS9_10device_ptrIiEEEENSB_INSC_IjEEEESG_jNS9_4plusIvEENS9_8equal_toIvEEjEE10hipError_tPvRmT2_T3_T4_T5_mT6_T7_P12ihipStream_tbENKUlT_T0_E_clISt17integral_constantIbLb1EES11_EEDaSW_SX_EUlSW_E_NS1_11comp_targetILNS1_3genE4ELNS1_11target_archE910ELNS1_3gpuE8ELNS1_3repE0EEENS1_30default_config_static_selectorELNS0_4arch9wavefront6targetE0EEEvT1_.private_seg_size, 0
	.set _ZN7rocprim17ROCPRIM_400000_NS6detail17trampoline_kernelINS0_14default_configENS1_27scan_by_key_config_selectorIijEEZZNS1_16scan_by_key_implILNS1_25lookback_scan_determinismE0ELb0ES3_N6thrust23THRUST_200600_302600_NS6detail15normal_iteratorINS9_10device_ptrIiEEEENSB_INSC_IjEEEESG_jNS9_4plusIvEENS9_8equal_toIvEEjEE10hipError_tPvRmT2_T3_T4_T5_mT6_T7_P12ihipStream_tbENKUlT_T0_E_clISt17integral_constantIbLb1EES11_EEDaSW_SX_EUlSW_E_NS1_11comp_targetILNS1_3genE4ELNS1_11target_archE910ELNS1_3gpuE8ELNS1_3repE0EEENS1_30default_config_static_selectorELNS0_4arch9wavefront6targetE0EEEvT1_.uses_vcc, 0
	.set _ZN7rocprim17ROCPRIM_400000_NS6detail17trampoline_kernelINS0_14default_configENS1_27scan_by_key_config_selectorIijEEZZNS1_16scan_by_key_implILNS1_25lookback_scan_determinismE0ELb0ES3_N6thrust23THRUST_200600_302600_NS6detail15normal_iteratorINS9_10device_ptrIiEEEENSB_INSC_IjEEEESG_jNS9_4plusIvEENS9_8equal_toIvEEjEE10hipError_tPvRmT2_T3_T4_T5_mT6_T7_P12ihipStream_tbENKUlT_T0_E_clISt17integral_constantIbLb1EES11_EEDaSW_SX_EUlSW_E_NS1_11comp_targetILNS1_3genE4ELNS1_11target_archE910ELNS1_3gpuE8ELNS1_3repE0EEENS1_30default_config_static_selectorELNS0_4arch9wavefront6targetE0EEEvT1_.uses_flat_scratch, 0
	.set _ZN7rocprim17ROCPRIM_400000_NS6detail17trampoline_kernelINS0_14default_configENS1_27scan_by_key_config_selectorIijEEZZNS1_16scan_by_key_implILNS1_25lookback_scan_determinismE0ELb0ES3_N6thrust23THRUST_200600_302600_NS6detail15normal_iteratorINS9_10device_ptrIiEEEENSB_INSC_IjEEEESG_jNS9_4plusIvEENS9_8equal_toIvEEjEE10hipError_tPvRmT2_T3_T4_T5_mT6_T7_P12ihipStream_tbENKUlT_T0_E_clISt17integral_constantIbLb1EES11_EEDaSW_SX_EUlSW_E_NS1_11comp_targetILNS1_3genE4ELNS1_11target_archE910ELNS1_3gpuE8ELNS1_3repE0EEENS1_30default_config_static_selectorELNS0_4arch9wavefront6targetE0EEEvT1_.has_dyn_sized_stack, 0
	.set _ZN7rocprim17ROCPRIM_400000_NS6detail17trampoline_kernelINS0_14default_configENS1_27scan_by_key_config_selectorIijEEZZNS1_16scan_by_key_implILNS1_25lookback_scan_determinismE0ELb0ES3_N6thrust23THRUST_200600_302600_NS6detail15normal_iteratorINS9_10device_ptrIiEEEENSB_INSC_IjEEEESG_jNS9_4plusIvEENS9_8equal_toIvEEjEE10hipError_tPvRmT2_T3_T4_T5_mT6_T7_P12ihipStream_tbENKUlT_T0_E_clISt17integral_constantIbLb1EES11_EEDaSW_SX_EUlSW_E_NS1_11comp_targetILNS1_3genE4ELNS1_11target_archE910ELNS1_3gpuE8ELNS1_3repE0EEENS1_30default_config_static_selectorELNS0_4arch9wavefront6targetE0EEEvT1_.has_recursion, 0
	.set _ZN7rocprim17ROCPRIM_400000_NS6detail17trampoline_kernelINS0_14default_configENS1_27scan_by_key_config_selectorIijEEZZNS1_16scan_by_key_implILNS1_25lookback_scan_determinismE0ELb0ES3_N6thrust23THRUST_200600_302600_NS6detail15normal_iteratorINS9_10device_ptrIiEEEENSB_INSC_IjEEEESG_jNS9_4plusIvEENS9_8equal_toIvEEjEE10hipError_tPvRmT2_T3_T4_T5_mT6_T7_P12ihipStream_tbENKUlT_T0_E_clISt17integral_constantIbLb1EES11_EEDaSW_SX_EUlSW_E_NS1_11comp_targetILNS1_3genE4ELNS1_11target_archE910ELNS1_3gpuE8ELNS1_3repE0EEENS1_30default_config_static_selectorELNS0_4arch9wavefront6targetE0EEEvT1_.has_indirect_call, 0
	.section	.AMDGPU.csdata,"",@progbits
; Kernel info:
; codeLenInByte = 0
; TotalNumSgprs: 0
; NumVgprs: 0
; ScratchSize: 0
; MemoryBound: 0
; FloatMode: 240
; IeeeMode: 1
; LDSByteSize: 0 bytes/workgroup (compile time only)
; SGPRBlocks: 0
; VGPRBlocks: 0
; NumSGPRsForWavesPerEU: 1
; NumVGPRsForWavesPerEU: 1
; Occupancy: 16
; WaveLimiterHint : 0
; COMPUTE_PGM_RSRC2:SCRATCH_EN: 0
; COMPUTE_PGM_RSRC2:USER_SGPR: 6
; COMPUTE_PGM_RSRC2:TRAP_HANDLER: 0
; COMPUTE_PGM_RSRC2:TGID_X_EN: 1
; COMPUTE_PGM_RSRC2:TGID_Y_EN: 0
; COMPUTE_PGM_RSRC2:TGID_Z_EN: 0
; COMPUTE_PGM_RSRC2:TIDIG_COMP_CNT: 0
	.section	.text._ZN7rocprim17ROCPRIM_400000_NS6detail17trampoline_kernelINS0_14default_configENS1_27scan_by_key_config_selectorIijEEZZNS1_16scan_by_key_implILNS1_25lookback_scan_determinismE0ELb0ES3_N6thrust23THRUST_200600_302600_NS6detail15normal_iteratorINS9_10device_ptrIiEEEENSB_INSC_IjEEEESG_jNS9_4plusIvEENS9_8equal_toIvEEjEE10hipError_tPvRmT2_T3_T4_T5_mT6_T7_P12ihipStream_tbENKUlT_T0_E_clISt17integral_constantIbLb1EES11_EEDaSW_SX_EUlSW_E_NS1_11comp_targetILNS1_3genE3ELNS1_11target_archE908ELNS1_3gpuE7ELNS1_3repE0EEENS1_30default_config_static_selectorELNS0_4arch9wavefront6targetE0EEEvT1_,"axG",@progbits,_ZN7rocprim17ROCPRIM_400000_NS6detail17trampoline_kernelINS0_14default_configENS1_27scan_by_key_config_selectorIijEEZZNS1_16scan_by_key_implILNS1_25lookback_scan_determinismE0ELb0ES3_N6thrust23THRUST_200600_302600_NS6detail15normal_iteratorINS9_10device_ptrIiEEEENSB_INSC_IjEEEESG_jNS9_4plusIvEENS9_8equal_toIvEEjEE10hipError_tPvRmT2_T3_T4_T5_mT6_T7_P12ihipStream_tbENKUlT_T0_E_clISt17integral_constantIbLb1EES11_EEDaSW_SX_EUlSW_E_NS1_11comp_targetILNS1_3genE3ELNS1_11target_archE908ELNS1_3gpuE7ELNS1_3repE0EEENS1_30default_config_static_selectorELNS0_4arch9wavefront6targetE0EEEvT1_,comdat
	.protected	_ZN7rocprim17ROCPRIM_400000_NS6detail17trampoline_kernelINS0_14default_configENS1_27scan_by_key_config_selectorIijEEZZNS1_16scan_by_key_implILNS1_25lookback_scan_determinismE0ELb0ES3_N6thrust23THRUST_200600_302600_NS6detail15normal_iteratorINS9_10device_ptrIiEEEENSB_INSC_IjEEEESG_jNS9_4plusIvEENS9_8equal_toIvEEjEE10hipError_tPvRmT2_T3_T4_T5_mT6_T7_P12ihipStream_tbENKUlT_T0_E_clISt17integral_constantIbLb1EES11_EEDaSW_SX_EUlSW_E_NS1_11comp_targetILNS1_3genE3ELNS1_11target_archE908ELNS1_3gpuE7ELNS1_3repE0EEENS1_30default_config_static_selectorELNS0_4arch9wavefront6targetE0EEEvT1_ ; -- Begin function _ZN7rocprim17ROCPRIM_400000_NS6detail17trampoline_kernelINS0_14default_configENS1_27scan_by_key_config_selectorIijEEZZNS1_16scan_by_key_implILNS1_25lookback_scan_determinismE0ELb0ES3_N6thrust23THRUST_200600_302600_NS6detail15normal_iteratorINS9_10device_ptrIiEEEENSB_INSC_IjEEEESG_jNS9_4plusIvEENS9_8equal_toIvEEjEE10hipError_tPvRmT2_T3_T4_T5_mT6_T7_P12ihipStream_tbENKUlT_T0_E_clISt17integral_constantIbLb1EES11_EEDaSW_SX_EUlSW_E_NS1_11comp_targetILNS1_3genE3ELNS1_11target_archE908ELNS1_3gpuE7ELNS1_3repE0EEENS1_30default_config_static_selectorELNS0_4arch9wavefront6targetE0EEEvT1_
	.globl	_ZN7rocprim17ROCPRIM_400000_NS6detail17trampoline_kernelINS0_14default_configENS1_27scan_by_key_config_selectorIijEEZZNS1_16scan_by_key_implILNS1_25lookback_scan_determinismE0ELb0ES3_N6thrust23THRUST_200600_302600_NS6detail15normal_iteratorINS9_10device_ptrIiEEEENSB_INSC_IjEEEESG_jNS9_4plusIvEENS9_8equal_toIvEEjEE10hipError_tPvRmT2_T3_T4_T5_mT6_T7_P12ihipStream_tbENKUlT_T0_E_clISt17integral_constantIbLb1EES11_EEDaSW_SX_EUlSW_E_NS1_11comp_targetILNS1_3genE3ELNS1_11target_archE908ELNS1_3gpuE7ELNS1_3repE0EEENS1_30default_config_static_selectorELNS0_4arch9wavefront6targetE0EEEvT1_
	.p2align	8
	.type	_ZN7rocprim17ROCPRIM_400000_NS6detail17trampoline_kernelINS0_14default_configENS1_27scan_by_key_config_selectorIijEEZZNS1_16scan_by_key_implILNS1_25lookback_scan_determinismE0ELb0ES3_N6thrust23THRUST_200600_302600_NS6detail15normal_iteratorINS9_10device_ptrIiEEEENSB_INSC_IjEEEESG_jNS9_4plusIvEENS9_8equal_toIvEEjEE10hipError_tPvRmT2_T3_T4_T5_mT6_T7_P12ihipStream_tbENKUlT_T0_E_clISt17integral_constantIbLb1EES11_EEDaSW_SX_EUlSW_E_NS1_11comp_targetILNS1_3genE3ELNS1_11target_archE908ELNS1_3gpuE7ELNS1_3repE0EEENS1_30default_config_static_selectorELNS0_4arch9wavefront6targetE0EEEvT1_,@function
_ZN7rocprim17ROCPRIM_400000_NS6detail17trampoline_kernelINS0_14default_configENS1_27scan_by_key_config_selectorIijEEZZNS1_16scan_by_key_implILNS1_25lookback_scan_determinismE0ELb0ES3_N6thrust23THRUST_200600_302600_NS6detail15normal_iteratorINS9_10device_ptrIiEEEENSB_INSC_IjEEEESG_jNS9_4plusIvEENS9_8equal_toIvEEjEE10hipError_tPvRmT2_T3_T4_T5_mT6_T7_P12ihipStream_tbENKUlT_T0_E_clISt17integral_constantIbLb1EES11_EEDaSW_SX_EUlSW_E_NS1_11comp_targetILNS1_3genE3ELNS1_11target_archE908ELNS1_3gpuE7ELNS1_3repE0EEENS1_30default_config_static_selectorELNS0_4arch9wavefront6targetE0EEEvT1_: ; @_ZN7rocprim17ROCPRIM_400000_NS6detail17trampoline_kernelINS0_14default_configENS1_27scan_by_key_config_selectorIijEEZZNS1_16scan_by_key_implILNS1_25lookback_scan_determinismE0ELb0ES3_N6thrust23THRUST_200600_302600_NS6detail15normal_iteratorINS9_10device_ptrIiEEEENSB_INSC_IjEEEESG_jNS9_4plusIvEENS9_8equal_toIvEEjEE10hipError_tPvRmT2_T3_T4_T5_mT6_T7_P12ihipStream_tbENKUlT_T0_E_clISt17integral_constantIbLb1EES11_EEDaSW_SX_EUlSW_E_NS1_11comp_targetILNS1_3genE3ELNS1_11target_archE908ELNS1_3gpuE7ELNS1_3repE0EEENS1_30default_config_static_selectorELNS0_4arch9wavefront6targetE0EEEvT1_
; %bb.0:
	.section	.rodata,"a",@progbits
	.p2align	6, 0x0
	.amdhsa_kernel _ZN7rocprim17ROCPRIM_400000_NS6detail17trampoline_kernelINS0_14default_configENS1_27scan_by_key_config_selectorIijEEZZNS1_16scan_by_key_implILNS1_25lookback_scan_determinismE0ELb0ES3_N6thrust23THRUST_200600_302600_NS6detail15normal_iteratorINS9_10device_ptrIiEEEENSB_INSC_IjEEEESG_jNS9_4plusIvEENS9_8equal_toIvEEjEE10hipError_tPvRmT2_T3_T4_T5_mT6_T7_P12ihipStream_tbENKUlT_T0_E_clISt17integral_constantIbLb1EES11_EEDaSW_SX_EUlSW_E_NS1_11comp_targetILNS1_3genE3ELNS1_11target_archE908ELNS1_3gpuE7ELNS1_3repE0EEENS1_30default_config_static_selectorELNS0_4arch9wavefront6targetE0EEEvT1_
		.amdhsa_group_segment_fixed_size 0
		.amdhsa_private_segment_fixed_size 0
		.amdhsa_kernarg_size 112
		.amdhsa_user_sgpr_count 6
		.amdhsa_user_sgpr_private_segment_buffer 1
		.amdhsa_user_sgpr_dispatch_ptr 0
		.amdhsa_user_sgpr_queue_ptr 0
		.amdhsa_user_sgpr_kernarg_segment_ptr 1
		.amdhsa_user_sgpr_dispatch_id 0
		.amdhsa_user_sgpr_flat_scratch_init 0
		.amdhsa_user_sgpr_private_segment_size 0
		.amdhsa_wavefront_size32 1
		.amdhsa_uses_dynamic_stack 0
		.amdhsa_system_sgpr_private_segment_wavefront_offset 0
		.amdhsa_system_sgpr_workgroup_id_x 1
		.amdhsa_system_sgpr_workgroup_id_y 0
		.amdhsa_system_sgpr_workgroup_id_z 0
		.amdhsa_system_sgpr_workgroup_info 0
		.amdhsa_system_vgpr_workitem_id 0
		.amdhsa_next_free_vgpr 1
		.amdhsa_next_free_sgpr 1
		.amdhsa_reserve_vcc 0
		.amdhsa_reserve_flat_scratch 0
		.amdhsa_float_round_mode_32 0
		.amdhsa_float_round_mode_16_64 0
		.amdhsa_float_denorm_mode_32 3
		.amdhsa_float_denorm_mode_16_64 3
		.amdhsa_dx10_clamp 1
		.amdhsa_ieee_mode 1
		.amdhsa_fp16_overflow 0
		.amdhsa_workgroup_processor_mode 1
		.amdhsa_memory_ordered 1
		.amdhsa_forward_progress 1
		.amdhsa_shared_vgpr_count 0
		.amdhsa_exception_fp_ieee_invalid_op 0
		.amdhsa_exception_fp_denorm_src 0
		.amdhsa_exception_fp_ieee_div_zero 0
		.amdhsa_exception_fp_ieee_overflow 0
		.amdhsa_exception_fp_ieee_underflow 0
		.amdhsa_exception_fp_ieee_inexact 0
		.amdhsa_exception_int_div_zero 0
	.end_amdhsa_kernel
	.section	.text._ZN7rocprim17ROCPRIM_400000_NS6detail17trampoline_kernelINS0_14default_configENS1_27scan_by_key_config_selectorIijEEZZNS1_16scan_by_key_implILNS1_25lookback_scan_determinismE0ELb0ES3_N6thrust23THRUST_200600_302600_NS6detail15normal_iteratorINS9_10device_ptrIiEEEENSB_INSC_IjEEEESG_jNS9_4plusIvEENS9_8equal_toIvEEjEE10hipError_tPvRmT2_T3_T4_T5_mT6_T7_P12ihipStream_tbENKUlT_T0_E_clISt17integral_constantIbLb1EES11_EEDaSW_SX_EUlSW_E_NS1_11comp_targetILNS1_3genE3ELNS1_11target_archE908ELNS1_3gpuE7ELNS1_3repE0EEENS1_30default_config_static_selectorELNS0_4arch9wavefront6targetE0EEEvT1_,"axG",@progbits,_ZN7rocprim17ROCPRIM_400000_NS6detail17trampoline_kernelINS0_14default_configENS1_27scan_by_key_config_selectorIijEEZZNS1_16scan_by_key_implILNS1_25lookback_scan_determinismE0ELb0ES3_N6thrust23THRUST_200600_302600_NS6detail15normal_iteratorINS9_10device_ptrIiEEEENSB_INSC_IjEEEESG_jNS9_4plusIvEENS9_8equal_toIvEEjEE10hipError_tPvRmT2_T3_T4_T5_mT6_T7_P12ihipStream_tbENKUlT_T0_E_clISt17integral_constantIbLb1EES11_EEDaSW_SX_EUlSW_E_NS1_11comp_targetILNS1_3genE3ELNS1_11target_archE908ELNS1_3gpuE7ELNS1_3repE0EEENS1_30default_config_static_selectorELNS0_4arch9wavefront6targetE0EEEvT1_,comdat
.Lfunc_end1236:
	.size	_ZN7rocprim17ROCPRIM_400000_NS6detail17trampoline_kernelINS0_14default_configENS1_27scan_by_key_config_selectorIijEEZZNS1_16scan_by_key_implILNS1_25lookback_scan_determinismE0ELb0ES3_N6thrust23THRUST_200600_302600_NS6detail15normal_iteratorINS9_10device_ptrIiEEEENSB_INSC_IjEEEESG_jNS9_4plusIvEENS9_8equal_toIvEEjEE10hipError_tPvRmT2_T3_T4_T5_mT6_T7_P12ihipStream_tbENKUlT_T0_E_clISt17integral_constantIbLb1EES11_EEDaSW_SX_EUlSW_E_NS1_11comp_targetILNS1_3genE3ELNS1_11target_archE908ELNS1_3gpuE7ELNS1_3repE0EEENS1_30default_config_static_selectorELNS0_4arch9wavefront6targetE0EEEvT1_, .Lfunc_end1236-_ZN7rocprim17ROCPRIM_400000_NS6detail17trampoline_kernelINS0_14default_configENS1_27scan_by_key_config_selectorIijEEZZNS1_16scan_by_key_implILNS1_25lookback_scan_determinismE0ELb0ES3_N6thrust23THRUST_200600_302600_NS6detail15normal_iteratorINS9_10device_ptrIiEEEENSB_INSC_IjEEEESG_jNS9_4plusIvEENS9_8equal_toIvEEjEE10hipError_tPvRmT2_T3_T4_T5_mT6_T7_P12ihipStream_tbENKUlT_T0_E_clISt17integral_constantIbLb1EES11_EEDaSW_SX_EUlSW_E_NS1_11comp_targetILNS1_3genE3ELNS1_11target_archE908ELNS1_3gpuE7ELNS1_3repE0EEENS1_30default_config_static_selectorELNS0_4arch9wavefront6targetE0EEEvT1_
                                        ; -- End function
	.set _ZN7rocprim17ROCPRIM_400000_NS6detail17trampoline_kernelINS0_14default_configENS1_27scan_by_key_config_selectorIijEEZZNS1_16scan_by_key_implILNS1_25lookback_scan_determinismE0ELb0ES3_N6thrust23THRUST_200600_302600_NS6detail15normal_iteratorINS9_10device_ptrIiEEEENSB_INSC_IjEEEESG_jNS9_4plusIvEENS9_8equal_toIvEEjEE10hipError_tPvRmT2_T3_T4_T5_mT6_T7_P12ihipStream_tbENKUlT_T0_E_clISt17integral_constantIbLb1EES11_EEDaSW_SX_EUlSW_E_NS1_11comp_targetILNS1_3genE3ELNS1_11target_archE908ELNS1_3gpuE7ELNS1_3repE0EEENS1_30default_config_static_selectorELNS0_4arch9wavefront6targetE0EEEvT1_.num_vgpr, 0
	.set _ZN7rocprim17ROCPRIM_400000_NS6detail17trampoline_kernelINS0_14default_configENS1_27scan_by_key_config_selectorIijEEZZNS1_16scan_by_key_implILNS1_25lookback_scan_determinismE0ELb0ES3_N6thrust23THRUST_200600_302600_NS6detail15normal_iteratorINS9_10device_ptrIiEEEENSB_INSC_IjEEEESG_jNS9_4plusIvEENS9_8equal_toIvEEjEE10hipError_tPvRmT2_T3_T4_T5_mT6_T7_P12ihipStream_tbENKUlT_T0_E_clISt17integral_constantIbLb1EES11_EEDaSW_SX_EUlSW_E_NS1_11comp_targetILNS1_3genE3ELNS1_11target_archE908ELNS1_3gpuE7ELNS1_3repE0EEENS1_30default_config_static_selectorELNS0_4arch9wavefront6targetE0EEEvT1_.num_agpr, 0
	.set _ZN7rocprim17ROCPRIM_400000_NS6detail17trampoline_kernelINS0_14default_configENS1_27scan_by_key_config_selectorIijEEZZNS1_16scan_by_key_implILNS1_25lookback_scan_determinismE0ELb0ES3_N6thrust23THRUST_200600_302600_NS6detail15normal_iteratorINS9_10device_ptrIiEEEENSB_INSC_IjEEEESG_jNS9_4plusIvEENS9_8equal_toIvEEjEE10hipError_tPvRmT2_T3_T4_T5_mT6_T7_P12ihipStream_tbENKUlT_T0_E_clISt17integral_constantIbLb1EES11_EEDaSW_SX_EUlSW_E_NS1_11comp_targetILNS1_3genE3ELNS1_11target_archE908ELNS1_3gpuE7ELNS1_3repE0EEENS1_30default_config_static_selectorELNS0_4arch9wavefront6targetE0EEEvT1_.numbered_sgpr, 0
	.set _ZN7rocprim17ROCPRIM_400000_NS6detail17trampoline_kernelINS0_14default_configENS1_27scan_by_key_config_selectorIijEEZZNS1_16scan_by_key_implILNS1_25lookback_scan_determinismE0ELb0ES3_N6thrust23THRUST_200600_302600_NS6detail15normal_iteratorINS9_10device_ptrIiEEEENSB_INSC_IjEEEESG_jNS9_4plusIvEENS9_8equal_toIvEEjEE10hipError_tPvRmT2_T3_T4_T5_mT6_T7_P12ihipStream_tbENKUlT_T0_E_clISt17integral_constantIbLb1EES11_EEDaSW_SX_EUlSW_E_NS1_11comp_targetILNS1_3genE3ELNS1_11target_archE908ELNS1_3gpuE7ELNS1_3repE0EEENS1_30default_config_static_selectorELNS0_4arch9wavefront6targetE0EEEvT1_.num_named_barrier, 0
	.set _ZN7rocprim17ROCPRIM_400000_NS6detail17trampoline_kernelINS0_14default_configENS1_27scan_by_key_config_selectorIijEEZZNS1_16scan_by_key_implILNS1_25lookback_scan_determinismE0ELb0ES3_N6thrust23THRUST_200600_302600_NS6detail15normal_iteratorINS9_10device_ptrIiEEEENSB_INSC_IjEEEESG_jNS9_4plusIvEENS9_8equal_toIvEEjEE10hipError_tPvRmT2_T3_T4_T5_mT6_T7_P12ihipStream_tbENKUlT_T0_E_clISt17integral_constantIbLb1EES11_EEDaSW_SX_EUlSW_E_NS1_11comp_targetILNS1_3genE3ELNS1_11target_archE908ELNS1_3gpuE7ELNS1_3repE0EEENS1_30default_config_static_selectorELNS0_4arch9wavefront6targetE0EEEvT1_.private_seg_size, 0
	.set _ZN7rocprim17ROCPRIM_400000_NS6detail17trampoline_kernelINS0_14default_configENS1_27scan_by_key_config_selectorIijEEZZNS1_16scan_by_key_implILNS1_25lookback_scan_determinismE0ELb0ES3_N6thrust23THRUST_200600_302600_NS6detail15normal_iteratorINS9_10device_ptrIiEEEENSB_INSC_IjEEEESG_jNS9_4plusIvEENS9_8equal_toIvEEjEE10hipError_tPvRmT2_T3_T4_T5_mT6_T7_P12ihipStream_tbENKUlT_T0_E_clISt17integral_constantIbLb1EES11_EEDaSW_SX_EUlSW_E_NS1_11comp_targetILNS1_3genE3ELNS1_11target_archE908ELNS1_3gpuE7ELNS1_3repE0EEENS1_30default_config_static_selectorELNS0_4arch9wavefront6targetE0EEEvT1_.uses_vcc, 0
	.set _ZN7rocprim17ROCPRIM_400000_NS6detail17trampoline_kernelINS0_14default_configENS1_27scan_by_key_config_selectorIijEEZZNS1_16scan_by_key_implILNS1_25lookback_scan_determinismE0ELb0ES3_N6thrust23THRUST_200600_302600_NS6detail15normal_iteratorINS9_10device_ptrIiEEEENSB_INSC_IjEEEESG_jNS9_4plusIvEENS9_8equal_toIvEEjEE10hipError_tPvRmT2_T3_T4_T5_mT6_T7_P12ihipStream_tbENKUlT_T0_E_clISt17integral_constantIbLb1EES11_EEDaSW_SX_EUlSW_E_NS1_11comp_targetILNS1_3genE3ELNS1_11target_archE908ELNS1_3gpuE7ELNS1_3repE0EEENS1_30default_config_static_selectorELNS0_4arch9wavefront6targetE0EEEvT1_.uses_flat_scratch, 0
	.set _ZN7rocprim17ROCPRIM_400000_NS6detail17trampoline_kernelINS0_14default_configENS1_27scan_by_key_config_selectorIijEEZZNS1_16scan_by_key_implILNS1_25lookback_scan_determinismE0ELb0ES3_N6thrust23THRUST_200600_302600_NS6detail15normal_iteratorINS9_10device_ptrIiEEEENSB_INSC_IjEEEESG_jNS9_4plusIvEENS9_8equal_toIvEEjEE10hipError_tPvRmT2_T3_T4_T5_mT6_T7_P12ihipStream_tbENKUlT_T0_E_clISt17integral_constantIbLb1EES11_EEDaSW_SX_EUlSW_E_NS1_11comp_targetILNS1_3genE3ELNS1_11target_archE908ELNS1_3gpuE7ELNS1_3repE0EEENS1_30default_config_static_selectorELNS0_4arch9wavefront6targetE0EEEvT1_.has_dyn_sized_stack, 0
	.set _ZN7rocprim17ROCPRIM_400000_NS6detail17trampoline_kernelINS0_14default_configENS1_27scan_by_key_config_selectorIijEEZZNS1_16scan_by_key_implILNS1_25lookback_scan_determinismE0ELb0ES3_N6thrust23THRUST_200600_302600_NS6detail15normal_iteratorINS9_10device_ptrIiEEEENSB_INSC_IjEEEESG_jNS9_4plusIvEENS9_8equal_toIvEEjEE10hipError_tPvRmT2_T3_T4_T5_mT6_T7_P12ihipStream_tbENKUlT_T0_E_clISt17integral_constantIbLb1EES11_EEDaSW_SX_EUlSW_E_NS1_11comp_targetILNS1_3genE3ELNS1_11target_archE908ELNS1_3gpuE7ELNS1_3repE0EEENS1_30default_config_static_selectorELNS0_4arch9wavefront6targetE0EEEvT1_.has_recursion, 0
	.set _ZN7rocprim17ROCPRIM_400000_NS6detail17trampoline_kernelINS0_14default_configENS1_27scan_by_key_config_selectorIijEEZZNS1_16scan_by_key_implILNS1_25lookback_scan_determinismE0ELb0ES3_N6thrust23THRUST_200600_302600_NS6detail15normal_iteratorINS9_10device_ptrIiEEEENSB_INSC_IjEEEESG_jNS9_4plusIvEENS9_8equal_toIvEEjEE10hipError_tPvRmT2_T3_T4_T5_mT6_T7_P12ihipStream_tbENKUlT_T0_E_clISt17integral_constantIbLb1EES11_EEDaSW_SX_EUlSW_E_NS1_11comp_targetILNS1_3genE3ELNS1_11target_archE908ELNS1_3gpuE7ELNS1_3repE0EEENS1_30default_config_static_selectorELNS0_4arch9wavefront6targetE0EEEvT1_.has_indirect_call, 0
	.section	.AMDGPU.csdata,"",@progbits
; Kernel info:
; codeLenInByte = 0
; TotalNumSgprs: 0
; NumVgprs: 0
; ScratchSize: 0
; MemoryBound: 0
; FloatMode: 240
; IeeeMode: 1
; LDSByteSize: 0 bytes/workgroup (compile time only)
; SGPRBlocks: 0
; VGPRBlocks: 0
; NumSGPRsForWavesPerEU: 1
; NumVGPRsForWavesPerEU: 1
; Occupancy: 16
; WaveLimiterHint : 0
; COMPUTE_PGM_RSRC2:SCRATCH_EN: 0
; COMPUTE_PGM_RSRC2:USER_SGPR: 6
; COMPUTE_PGM_RSRC2:TRAP_HANDLER: 0
; COMPUTE_PGM_RSRC2:TGID_X_EN: 1
; COMPUTE_PGM_RSRC2:TGID_Y_EN: 0
; COMPUTE_PGM_RSRC2:TGID_Z_EN: 0
; COMPUTE_PGM_RSRC2:TIDIG_COMP_CNT: 0
	.section	.text._ZN7rocprim17ROCPRIM_400000_NS6detail17trampoline_kernelINS0_14default_configENS1_27scan_by_key_config_selectorIijEEZZNS1_16scan_by_key_implILNS1_25lookback_scan_determinismE0ELb0ES3_N6thrust23THRUST_200600_302600_NS6detail15normal_iteratorINS9_10device_ptrIiEEEENSB_INSC_IjEEEESG_jNS9_4plusIvEENS9_8equal_toIvEEjEE10hipError_tPvRmT2_T3_T4_T5_mT6_T7_P12ihipStream_tbENKUlT_T0_E_clISt17integral_constantIbLb1EES11_EEDaSW_SX_EUlSW_E_NS1_11comp_targetILNS1_3genE2ELNS1_11target_archE906ELNS1_3gpuE6ELNS1_3repE0EEENS1_30default_config_static_selectorELNS0_4arch9wavefront6targetE0EEEvT1_,"axG",@progbits,_ZN7rocprim17ROCPRIM_400000_NS6detail17trampoline_kernelINS0_14default_configENS1_27scan_by_key_config_selectorIijEEZZNS1_16scan_by_key_implILNS1_25lookback_scan_determinismE0ELb0ES3_N6thrust23THRUST_200600_302600_NS6detail15normal_iteratorINS9_10device_ptrIiEEEENSB_INSC_IjEEEESG_jNS9_4plusIvEENS9_8equal_toIvEEjEE10hipError_tPvRmT2_T3_T4_T5_mT6_T7_P12ihipStream_tbENKUlT_T0_E_clISt17integral_constantIbLb1EES11_EEDaSW_SX_EUlSW_E_NS1_11comp_targetILNS1_3genE2ELNS1_11target_archE906ELNS1_3gpuE6ELNS1_3repE0EEENS1_30default_config_static_selectorELNS0_4arch9wavefront6targetE0EEEvT1_,comdat
	.protected	_ZN7rocprim17ROCPRIM_400000_NS6detail17trampoline_kernelINS0_14default_configENS1_27scan_by_key_config_selectorIijEEZZNS1_16scan_by_key_implILNS1_25lookback_scan_determinismE0ELb0ES3_N6thrust23THRUST_200600_302600_NS6detail15normal_iteratorINS9_10device_ptrIiEEEENSB_INSC_IjEEEESG_jNS9_4plusIvEENS9_8equal_toIvEEjEE10hipError_tPvRmT2_T3_T4_T5_mT6_T7_P12ihipStream_tbENKUlT_T0_E_clISt17integral_constantIbLb1EES11_EEDaSW_SX_EUlSW_E_NS1_11comp_targetILNS1_3genE2ELNS1_11target_archE906ELNS1_3gpuE6ELNS1_3repE0EEENS1_30default_config_static_selectorELNS0_4arch9wavefront6targetE0EEEvT1_ ; -- Begin function _ZN7rocprim17ROCPRIM_400000_NS6detail17trampoline_kernelINS0_14default_configENS1_27scan_by_key_config_selectorIijEEZZNS1_16scan_by_key_implILNS1_25lookback_scan_determinismE0ELb0ES3_N6thrust23THRUST_200600_302600_NS6detail15normal_iteratorINS9_10device_ptrIiEEEENSB_INSC_IjEEEESG_jNS9_4plusIvEENS9_8equal_toIvEEjEE10hipError_tPvRmT2_T3_T4_T5_mT6_T7_P12ihipStream_tbENKUlT_T0_E_clISt17integral_constantIbLb1EES11_EEDaSW_SX_EUlSW_E_NS1_11comp_targetILNS1_3genE2ELNS1_11target_archE906ELNS1_3gpuE6ELNS1_3repE0EEENS1_30default_config_static_selectorELNS0_4arch9wavefront6targetE0EEEvT1_
	.globl	_ZN7rocprim17ROCPRIM_400000_NS6detail17trampoline_kernelINS0_14default_configENS1_27scan_by_key_config_selectorIijEEZZNS1_16scan_by_key_implILNS1_25lookback_scan_determinismE0ELb0ES3_N6thrust23THRUST_200600_302600_NS6detail15normal_iteratorINS9_10device_ptrIiEEEENSB_INSC_IjEEEESG_jNS9_4plusIvEENS9_8equal_toIvEEjEE10hipError_tPvRmT2_T3_T4_T5_mT6_T7_P12ihipStream_tbENKUlT_T0_E_clISt17integral_constantIbLb1EES11_EEDaSW_SX_EUlSW_E_NS1_11comp_targetILNS1_3genE2ELNS1_11target_archE906ELNS1_3gpuE6ELNS1_3repE0EEENS1_30default_config_static_selectorELNS0_4arch9wavefront6targetE0EEEvT1_
	.p2align	8
	.type	_ZN7rocprim17ROCPRIM_400000_NS6detail17trampoline_kernelINS0_14default_configENS1_27scan_by_key_config_selectorIijEEZZNS1_16scan_by_key_implILNS1_25lookback_scan_determinismE0ELb0ES3_N6thrust23THRUST_200600_302600_NS6detail15normal_iteratorINS9_10device_ptrIiEEEENSB_INSC_IjEEEESG_jNS9_4plusIvEENS9_8equal_toIvEEjEE10hipError_tPvRmT2_T3_T4_T5_mT6_T7_P12ihipStream_tbENKUlT_T0_E_clISt17integral_constantIbLb1EES11_EEDaSW_SX_EUlSW_E_NS1_11comp_targetILNS1_3genE2ELNS1_11target_archE906ELNS1_3gpuE6ELNS1_3repE0EEENS1_30default_config_static_selectorELNS0_4arch9wavefront6targetE0EEEvT1_,@function
_ZN7rocprim17ROCPRIM_400000_NS6detail17trampoline_kernelINS0_14default_configENS1_27scan_by_key_config_selectorIijEEZZNS1_16scan_by_key_implILNS1_25lookback_scan_determinismE0ELb0ES3_N6thrust23THRUST_200600_302600_NS6detail15normal_iteratorINS9_10device_ptrIiEEEENSB_INSC_IjEEEESG_jNS9_4plusIvEENS9_8equal_toIvEEjEE10hipError_tPvRmT2_T3_T4_T5_mT6_T7_P12ihipStream_tbENKUlT_T0_E_clISt17integral_constantIbLb1EES11_EEDaSW_SX_EUlSW_E_NS1_11comp_targetILNS1_3genE2ELNS1_11target_archE906ELNS1_3gpuE6ELNS1_3repE0EEENS1_30default_config_static_selectorELNS0_4arch9wavefront6targetE0EEEvT1_: ; @_ZN7rocprim17ROCPRIM_400000_NS6detail17trampoline_kernelINS0_14default_configENS1_27scan_by_key_config_selectorIijEEZZNS1_16scan_by_key_implILNS1_25lookback_scan_determinismE0ELb0ES3_N6thrust23THRUST_200600_302600_NS6detail15normal_iteratorINS9_10device_ptrIiEEEENSB_INSC_IjEEEESG_jNS9_4plusIvEENS9_8equal_toIvEEjEE10hipError_tPvRmT2_T3_T4_T5_mT6_T7_P12ihipStream_tbENKUlT_T0_E_clISt17integral_constantIbLb1EES11_EEDaSW_SX_EUlSW_E_NS1_11comp_targetILNS1_3genE2ELNS1_11target_archE906ELNS1_3gpuE6ELNS1_3repE0EEENS1_30default_config_static_selectorELNS0_4arch9wavefront6targetE0EEEvT1_
; %bb.0:
	.section	.rodata,"a",@progbits
	.p2align	6, 0x0
	.amdhsa_kernel _ZN7rocprim17ROCPRIM_400000_NS6detail17trampoline_kernelINS0_14default_configENS1_27scan_by_key_config_selectorIijEEZZNS1_16scan_by_key_implILNS1_25lookback_scan_determinismE0ELb0ES3_N6thrust23THRUST_200600_302600_NS6detail15normal_iteratorINS9_10device_ptrIiEEEENSB_INSC_IjEEEESG_jNS9_4plusIvEENS9_8equal_toIvEEjEE10hipError_tPvRmT2_T3_T4_T5_mT6_T7_P12ihipStream_tbENKUlT_T0_E_clISt17integral_constantIbLb1EES11_EEDaSW_SX_EUlSW_E_NS1_11comp_targetILNS1_3genE2ELNS1_11target_archE906ELNS1_3gpuE6ELNS1_3repE0EEENS1_30default_config_static_selectorELNS0_4arch9wavefront6targetE0EEEvT1_
		.amdhsa_group_segment_fixed_size 0
		.amdhsa_private_segment_fixed_size 0
		.amdhsa_kernarg_size 112
		.amdhsa_user_sgpr_count 6
		.amdhsa_user_sgpr_private_segment_buffer 1
		.amdhsa_user_sgpr_dispatch_ptr 0
		.amdhsa_user_sgpr_queue_ptr 0
		.amdhsa_user_sgpr_kernarg_segment_ptr 1
		.amdhsa_user_sgpr_dispatch_id 0
		.amdhsa_user_sgpr_flat_scratch_init 0
		.amdhsa_user_sgpr_private_segment_size 0
		.amdhsa_wavefront_size32 1
		.amdhsa_uses_dynamic_stack 0
		.amdhsa_system_sgpr_private_segment_wavefront_offset 0
		.amdhsa_system_sgpr_workgroup_id_x 1
		.amdhsa_system_sgpr_workgroup_id_y 0
		.amdhsa_system_sgpr_workgroup_id_z 0
		.amdhsa_system_sgpr_workgroup_info 0
		.amdhsa_system_vgpr_workitem_id 0
		.amdhsa_next_free_vgpr 1
		.amdhsa_next_free_sgpr 1
		.amdhsa_reserve_vcc 0
		.amdhsa_reserve_flat_scratch 0
		.amdhsa_float_round_mode_32 0
		.amdhsa_float_round_mode_16_64 0
		.amdhsa_float_denorm_mode_32 3
		.amdhsa_float_denorm_mode_16_64 3
		.amdhsa_dx10_clamp 1
		.amdhsa_ieee_mode 1
		.amdhsa_fp16_overflow 0
		.amdhsa_workgroup_processor_mode 1
		.amdhsa_memory_ordered 1
		.amdhsa_forward_progress 1
		.amdhsa_shared_vgpr_count 0
		.amdhsa_exception_fp_ieee_invalid_op 0
		.amdhsa_exception_fp_denorm_src 0
		.amdhsa_exception_fp_ieee_div_zero 0
		.amdhsa_exception_fp_ieee_overflow 0
		.amdhsa_exception_fp_ieee_underflow 0
		.amdhsa_exception_fp_ieee_inexact 0
		.amdhsa_exception_int_div_zero 0
	.end_amdhsa_kernel
	.section	.text._ZN7rocprim17ROCPRIM_400000_NS6detail17trampoline_kernelINS0_14default_configENS1_27scan_by_key_config_selectorIijEEZZNS1_16scan_by_key_implILNS1_25lookback_scan_determinismE0ELb0ES3_N6thrust23THRUST_200600_302600_NS6detail15normal_iteratorINS9_10device_ptrIiEEEENSB_INSC_IjEEEESG_jNS9_4plusIvEENS9_8equal_toIvEEjEE10hipError_tPvRmT2_T3_T4_T5_mT6_T7_P12ihipStream_tbENKUlT_T0_E_clISt17integral_constantIbLb1EES11_EEDaSW_SX_EUlSW_E_NS1_11comp_targetILNS1_3genE2ELNS1_11target_archE906ELNS1_3gpuE6ELNS1_3repE0EEENS1_30default_config_static_selectorELNS0_4arch9wavefront6targetE0EEEvT1_,"axG",@progbits,_ZN7rocprim17ROCPRIM_400000_NS6detail17trampoline_kernelINS0_14default_configENS1_27scan_by_key_config_selectorIijEEZZNS1_16scan_by_key_implILNS1_25lookback_scan_determinismE0ELb0ES3_N6thrust23THRUST_200600_302600_NS6detail15normal_iteratorINS9_10device_ptrIiEEEENSB_INSC_IjEEEESG_jNS9_4plusIvEENS9_8equal_toIvEEjEE10hipError_tPvRmT2_T3_T4_T5_mT6_T7_P12ihipStream_tbENKUlT_T0_E_clISt17integral_constantIbLb1EES11_EEDaSW_SX_EUlSW_E_NS1_11comp_targetILNS1_3genE2ELNS1_11target_archE906ELNS1_3gpuE6ELNS1_3repE0EEENS1_30default_config_static_selectorELNS0_4arch9wavefront6targetE0EEEvT1_,comdat
.Lfunc_end1237:
	.size	_ZN7rocprim17ROCPRIM_400000_NS6detail17trampoline_kernelINS0_14default_configENS1_27scan_by_key_config_selectorIijEEZZNS1_16scan_by_key_implILNS1_25lookback_scan_determinismE0ELb0ES3_N6thrust23THRUST_200600_302600_NS6detail15normal_iteratorINS9_10device_ptrIiEEEENSB_INSC_IjEEEESG_jNS9_4plusIvEENS9_8equal_toIvEEjEE10hipError_tPvRmT2_T3_T4_T5_mT6_T7_P12ihipStream_tbENKUlT_T0_E_clISt17integral_constantIbLb1EES11_EEDaSW_SX_EUlSW_E_NS1_11comp_targetILNS1_3genE2ELNS1_11target_archE906ELNS1_3gpuE6ELNS1_3repE0EEENS1_30default_config_static_selectorELNS0_4arch9wavefront6targetE0EEEvT1_, .Lfunc_end1237-_ZN7rocprim17ROCPRIM_400000_NS6detail17trampoline_kernelINS0_14default_configENS1_27scan_by_key_config_selectorIijEEZZNS1_16scan_by_key_implILNS1_25lookback_scan_determinismE0ELb0ES3_N6thrust23THRUST_200600_302600_NS6detail15normal_iteratorINS9_10device_ptrIiEEEENSB_INSC_IjEEEESG_jNS9_4plusIvEENS9_8equal_toIvEEjEE10hipError_tPvRmT2_T3_T4_T5_mT6_T7_P12ihipStream_tbENKUlT_T0_E_clISt17integral_constantIbLb1EES11_EEDaSW_SX_EUlSW_E_NS1_11comp_targetILNS1_3genE2ELNS1_11target_archE906ELNS1_3gpuE6ELNS1_3repE0EEENS1_30default_config_static_selectorELNS0_4arch9wavefront6targetE0EEEvT1_
                                        ; -- End function
	.set _ZN7rocprim17ROCPRIM_400000_NS6detail17trampoline_kernelINS0_14default_configENS1_27scan_by_key_config_selectorIijEEZZNS1_16scan_by_key_implILNS1_25lookback_scan_determinismE0ELb0ES3_N6thrust23THRUST_200600_302600_NS6detail15normal_iteratorINS9_10device_ptrIiEEEENSB_INSC_IjEEEESG_jNS9_4plusIvEENS9_8equal_toIvEEjEE10hipError_tPvRmT2_T3_T4_T5_mT6_T7_P12ihipStream_tbENKUlT_T0_E_clISt17integral_constantIbLb1EES11_EEDaSW_SX_EUlSW_E_NS1_11comp_targetILNS1_3genE2ELNS1_11target_archE906ELNS1_3gpuE6ELNS1_3repE0EEENS1_30default_config_static_selectorELNS0_4arch9wavefront6targetE0EEEvT1_.num_vgpr, 0
	.set _ZN7rocprim17ROCPRIM_400000_NS6detail17trampoline_kernelINS0_14default_configENS1_27scan_by_key_config_selectorIijEEZZNS1_16scan_by_key_implILNS1_25lookback_scan_determinismE0ELb0ES3_N6thrust23THRUST_200600_302600_NS6detail15normal_iteratorINS9_10device_ptrIiEEEENSB_INSC_IjEEEESG_jNS9_4plusIvEENS9_8equal_toIvEEjEE10hipError_tPvRmT2_T3_T4_T5_mT6_T7_P12ihipStream_tbENKUlT_T0_E_clISt17integral_constantIbLb1EES11_EEDaSW_SX_EUlSW_E_NS1_11comp_targetILNS1_3genE2ELNS1_11target_archE906ELNS1_3gpuE6ELNS1_3repE0EEENS1_30default_config_static_selectorELNS0_4arch9wavefront6targetE0EEEvT1_.num_agpr, 0
	.set _ZN7rocprim17ROCPRIM_400000_NS6detail17trampoline_kernelINS0_14default_configENS1_27scan_by_key_config_selectorIijEEZZNS1_16scan_by_key_implILNS1_25lookback_scan_determinismE0ELb0ES3_N6thrust23THRUST_200600_302600_NS6detail15normal_iteratorINS9_10device_ptrIiEEEENSB_INSC_IjEEEESG_jNS9_4plusIvEENS9_8equal_toIvEEjEE10hipError_tPvRmT2_T3_T4_T5_mT6_T7_P12ihipStream_tbENKUlT_T0_E_clISt17integral_constantIbLb1EES11_EEDaSW_SX_EUlSW_E_NS1_11comp_targetILNS1_3genE2ELNS1_11target_archE906ELNS1_3gpuE6ELNS1_3repE0EEENS1_30default_config_static_selectorELNS0_4arch9wavefront6targetE0EEEvT1_.numbered_sgpr, 0
	.set _ZN7rocprim17ROCPRIM_400000_NS6detail17trampoline_kernelINS0_14default_configENS1_27scan_by_key_config_selectorIijEEZZNS1_16scan_by_key_implILNS1_25lookback_scan_determinismE0ELb0ES3_N6thrust23THRUST_200600_302600_NS6detail15normal_iteratorINS9_10device_ptrIiEEEENSB_INSC_IjEEEESG_jNS9_4plusIvEENS9_8equal_toIvEEjEE10hipError_tPvRmT2_T3_T4_T5_mT6_T7_P12ihipStream_tbENKUlT_T0_E_clISt17integral_constantIbLb1EES11_EEDaSW_SX_EUlSW_E_NS1_11comp_targetILNS1_3genE2ELNS1_11target_archE906ELNS1_3gpuE6ELNS1_3repE0EEENS1_30default_config_static_selectorELNS0_4arch9wavefront6targetE0EEEvT1_.num_named_barrier, 0
	.set _ZN7rocprim17ROCPRIM_400000_NS6detail17trampoline_kernelINS0_14default_configENS1_27scan_by_key_config_selectorIijEEZZNS1_16scan_by_key_implILNS1_25lookback_scan_determinismE0ELb0ES3_N6thrust23THRUST_200600_302600_NS6detail15normal_iteratorINS9_10device_ptrIiEEEENSB_INSC_IjEEEESG_jNS9_4plusIvEENS9_8equal_toIvEEjEE10hipError_tPvRmT2_T3_T4_T5_mT6_T7_P12ihipStream_tbENKUlT_T0_E_clISt17integral_constantIbLb1EES11_EEDaSW_SX_EUlSW_E_NS1_11comp_targetILNS1_3genE2ELNS1_11target_archE906ELNS1_3gpuE6ELNS1_3repE0EEENS1_30default_config_static_selectorELNS0_4arch9wavefront6targetE0EEEvT1_.private_seg_size, 0
	.set _ZN7rocprim17ROCPRIM_400000_NS6detail17trampoline_kernelINS0_14default_configENS1_27scan_by_key_config_selectorIijEEZZNS1_16scan_by_key_implILNS1_25lookback_scan_determinismE0ELb0ES3_N6thrust23THRUST_200600_302600_NS6detail15normal_iteratorINS9_10device_ptrIiEEEENSB_INSC_IjEEEESG_jNS9_4plusIvEENS9_8equal_toIvEEjEE10hipError_tPvRmT2_T3_T4_T5_mT6_T7_P12ihipStream_tbENKUlT_T0_E_clISt17integral_constantIbLb1EES11_EEDaSW_SX_EUlSW_E_NS1_11comp_targetILNS1_3genE2ELNS1_11target_archE906ELNS1_3gpuE6ELNS1_3repE0EEENS1_30default_config_static_selectorELNS0_4arch9wavefront6targetE0EEEvT1_.uses_vcc, 0
	.set _ZN7rocprim17ROCPRIM_400000_NS6detail17trampoline_kernelINS0_14default_configENS1_27scan_by_key_config_selectorIijEEZZNS1_16scan_by_key_implILNS1_25lookback_scan_determinismE0ELb0ES3_N6thrust23THRUST_200600_302600_NS6detail15normal_iteratorINS9_10device_ptrIiEEEENSB_INSC_IjEEEESG_jNS9_4plusIvEENS9_8equal_toIvEEjEE10hipError_tPvRmT2_T3_T4_T5_mT6_T7_P12ihipStream_tbENKUlT_T0_E_clISt17integral_constantIbLb1EES11_EEDaSW_SX_EUlSW_E_NS1_11comp_targetILNS1_3genE2ELNS1_11target_archE906ELNS1_3gpuE6ELNS1_3repE0EEENS1_30default_config_static_selectorELNS0_4arch9wavefront6targetE0EEEvT1_.uses_flat_scratch, 0
	.set _ZN7rocprim17ROCPRIM_400000_NS6detail17trampoline_kernelINS0_14default_configENS1_27scan_by_key_config_selectorIijEEZZNS1_16scan_by_key_implILNS1_25lookback_scan_determinismE0ELb0ES3_N6thrust23THRUST_200600_302600_NS6detail15normal_iteratorINS9_10device_ptrIiEEEENSB_INSC_IjEEEESG_jNS9_4plusIvEENS9_8equal_toIvEEjEE10hipError_tPvRmT2_T3_T4_T5_mT6_T7_P12ihipStream_tbENKUlT_T0_E_clISt17integral_constantIbLb1EES11_EEDaSW_SX_EUlSW_E_NS1_11comp_targetILNS1_3genE2ELNS1_11target_archE906ELNS1_3gpuE6ELNS1_3repE0EEENS1_30default_config_static_selectorELNS0_4arch9wavefront6targetE0EEEvT1_.has_dyn_sized_stack, 0
	.set _ZN7rocprim17ROCPRIM_400000_NS6detail17trampoline_kernelINS0_14default_configENS1_27scan_by_key_config_selectorIijEEZZNS1_16scan_by_key_implILNS1_25lookback_scan_determinismE0ELb0ES3_N6thrust23THRUST_200600_302600_NS6detail15normal_iteratorINS9_10device_ptrIiEEEENSB_INSC_IjEEEESG_jNS9_4plusIvEENS9_8equal_toIvEEjEE10hipError_tPvRmT2_T3_T4_T5_mT6_T7_P12ihipStream_tbENKUlT_T0_E_clISt17integral_constantIbLb1EES11_EEDaSW_SX_EUlSW_E_NS1_11comp_targetILNS1_3genE2ELNS1_11target_archE906ELNS1_3gpuE6ELNS1_3repE0EEENS1_30default_config_static_selectorELNS0_4arch9wavefront6targetE0EEEvT1_.has_recursion, 0
	.set _ZN7rocprim17ROCPRIM_400000_NS6detail17trampoline_kernelINS0_14default_configENS1_27scan_by_key_config_selectorIijEEZZNS1_16scan_by_key_implILNS1_25lookback_scan_determinismE0ELb0ES3_N6thrust23THRUST_200600_302600_NS6detail15normal_iteratorINS9_10device_ptrIiEEEENSB_INSC_IjEEEESG_jNS9_4plusIvEENS9_8equal_toIvEEjEE10hipError_tPvRmT2_T3_T4_T5_mT6_T7_P12ihipStream_tbENKUlT_T0_E_clISt17integral_constantIbLb1EES11_EEDaSW_SX_EUlSW_E_NS1_11comp_targetILNS1_3genE2ELNS1_11target_archE906ELNS1_3gpuE6ELNS1_3repE0EEENS1_30default_config_static_selectorELNS0_4arch9wavefront6targetE0EEEvT1_.has_indirect_call, 0
	.section	.AMDGPU.csdata,"",@progbits
; Kernel info:
; codeLenInByte = 0
; TotalNumSgprs: 0
; NumVgprs: 0
; ScratchSize: 0
; MemoryBound: 0
; FloatMode: 240
; IeeeMode: 1
; LDSByteSize: 0 bytes/workgroup (compile time only)
; SGPRBlocks: 0
; VGPRBlocks: 0
; NumSGPRsForWavesPerEU: 1
; NumVGPRsForWavesPerEU: 1
; Occupancy: 16
; WaveLimiterHint : 0
; COMPUTE_PGM_RSRC2:SCRATCH_EN: 0
; COMPUTE_PGM_RSRC2:USER_SGPR: 6
; COMPUTE_PGM_RSRC2:TRAP_HANDLER: 0
; COMPUTE_PGM_RSRC2:TGID_X_EN: 1
; COMPUTE_PGM_RSRC2:TGID_Y_EN: 0
; COMPUTE_PGM_RSRC2:TGID_Z_EN: 0
; COMPUTE_PGM_RSRC2:TIDIG_COMP_CNT: 0
	.section	.text._ZN7rocprim17ROCPRIM_400000_NS6detail17trampoline_kernelINS0_14default_configENS1_27scan_by_key_config_selectorIijEEZZNS1_16scan_by_key_implILNS1_25lookback_scan_determinismE0ELb0ES3_N6thrust23THRUST_200600_302600_NS6detail15normal_iteratorINS9_10device_ptrIiEEEENSB_INSC_IjEEEESG_jNS9_4plusIvEENS9_8equal_toIvEEjEE10hipError_tPvRmT2_T3_T4_T5_mT6_T7_P12ihipStream_tbENKUlT_T0_E_clISt17integral_constantIbLb1EES11_EEDaSW_SX_EUlSW_E_NS1_11comp_targetILNS1_3genE10ELNS1_11target_archE1200ELNS1_3gpuE4ELNS1_3repE0EEENS1_30default_config_static_selectorELNS0_4arch9wavefront6targetE0EEEvT1_,"axG",@progbits,_ZN7rocprim17ROCPRIM_400000_NS6detail17trampoline_kernelINS0_14default_configENS1_27scan_by_key_config_selectorIijEEZZNS1_16scan_by_key_implILNS1_25lookback_scan_determinismE0ELb0ES3_N6thrust23THRUST_200600_302600_NS6detail15normal_iteratorINS9_10device_ptrIiEEEENSB_INSC_IjEEEESG_jNS9_4plusIvEENS9_8equal_toIvEEjEE10hipError_tPvRmT2_T3_T4_T5_mT6_T7_P12ihipStream_tbENKUlT_T0_E_clISt17integral_constantIbLb1EES11_EEDaSW_SX_EUlSW_E_NS1_11comp_targetILNS1_3genE10ELNS1_11target_archE1200ELNS1_3gpuE4ELNS1_3repE0EEENS1_30default_config_static_selectorELNS0_4arch9wavefront6targetE0EEEvT1_,comdat
	.protected	_ZN7rocprim17ROCPRIM_400000_NS6detail17trampoline_kernelINS0_14default_configENS1_27scan_by_key_config_selectorIijEEZZNS1_16scan_by_key_implILNS1_25lookback_scan_determinismE0ELb0ES3_N6thrust23THRUST_200600_302600_NS6detail15normal_iteratorINS9_10device_ptrIiEEEENSB_INSC_IjEEEESG_jNS9_4plusIvEENS9_8equal_toIvEEjEE10hipError_tPvRmT2_T3_T4_T5_mT6_T7_P12ihipStream_tbENKUlT_T0_E_clISt17integral_constantIbLb1EES11_EEDaSW_SX_EUlSW_E_NS1_11comp_targetILNS1_3genE10ELNS1_11target_archE1200ELNS1_3gpuE4ELNS1_3repE0EEENS1_30default_config_static_selectorELNS0_4arch9wavefront6targetE0EEEvT1_ ; -- Begin function _ZN7rocprim17ROCPRIM_400000_NS6detail17trampoline_kernelINS0_14default_configENS1_27scan_by_key_config_selectorIijEEZZNS1_16scan_by_key_implILNS1_25lookback_scan_determinismE0ELb0ES3_N6thrust23THRUST_200600_302600_NS6detail15normal_iteratorINS9_10device_ptrIiEEEENSB_INSC_IjEEEESG_jNS9_4plusIvEENS9_8equal_toIvEEjEE10hipError_tPvRmT2_T3_T4_T5_mT6_T7_P12ihipStream_tbENKUlT_T0_E_clISt17integral_constantIbLb1EES11_EEDaSW_SX_EUlSW_E_NS1_11comp_targetILNS1_3genE10ELNS1_11target_archE1200ELNS1_3gpuE4ELNS1_3repE0EEENS1_30default_config_static_selectorELNS0_4arch9wavefront6targetE0EEEvT1_
	.globl	_ZN7rocprim17ROCPRIM_400000_NS6detail17trampoline_kernelINS0_14default_configENS1_27scan_by_key_config_selectorIijEEZZNS1_16scan_by_key_implILNS1_25lookback_scan_determinismE0ELb0ES3_N6thrust23THRUST_200600_302600_NS6detail15normal_iteratorINS9_10device_ptrIiEEEENSB_INSC_IjEEEESG_jNS9_4plusIvEENS9_8equal_toIvEEjEE10hipError_tPvRmT2_T3_T4_T5_mT6_T7_P12ihipStream_tbENKUlT_T0_E_clISt17integral_constantIbLb1EES11_EEDaSW_SX_EUlSW_E_NS1_11comp_targetILNS1_3genE10ELNS1_11target_archE1200ELNS1_3gpuE4ELNS1_3repE0EEENS1_30default_config_static_selectorELNS0_4arch9wavefront6targetE0EEEvT1_
	.p2align	8
	.type	_ZN7rocprim17ROCPRIM_400000_NS6detail17trampoline_kernelINS0_14default_configENS1_27scan_by_key_config_selectorIijEEZZNS1_16scan_by_key_implILNS1_25lookback_scan_determinismE0ELb0ES3_N6thrust23THRUST_200600_302600_NS6detail15normal_iteratorINS9_10device_ptrIiEEEENSB_INSC_IjEEEESG_jNS9_4plusIvEENS9_8equal_toIvEEjEE10hipError_tPvRmT2_T3_T4_T5_mT6_T7_P12ihipStream_tbENKUlT_T0_E_clISt17integral_constantIbLb1EES11_EEDaSW_SX_EUlSW_E_NS1_11comp_targetILNS1_3genE10ELNS1_11target_archE1200ELNS1_3gpuE4ELNS1_3repE0EEENS1_30default_config_static_selectorELNS0_4arch9wavefront6targetE0EEEvT1_,@function
_ZN7rocprim17ROCPRIM_400000_NS6detail17trampoline_kernelINS0_14default_configENS1_27scan_by_key_config_selectorIijEEZZNS1_16scan_by_key_implILNS1_25lookback_scan_determinismE0ELb0ES3_N6thrust23THRUST_200600_302600_NS6detail15normal_iteratorINS9_10device_ptrIiEEEENSB_INSC_IjEEEESG_jNS9_4plusIvEENS9_8equal_toIvEEjEE10hipError_tPvRmT2_T3_T4_T5_mT6_T7_P12ihipStream_tbENKUlT_T0_E_clISt17integral_constantIbLb1EES11_EEDaSW_SX_EUlSW_E_NS1_11comp_targetILNS1_3genE10ELNS1_11target_archE1200ELNS1_3gpuE4ELNS1_3repE0EEENS1_30default_config_static_selectorELNS0_4arch9wavefront6targetE0EEEvT1_: ; @_ZN7rocprim17ROCPRIM_400000_NS6detail17trampoline_kernelINS0_14default_configENS1_27scan_by_key_config_selectorIijEEZZNS1_16scan_by_key_implILNS1_25lookback_scan_determinismE0ELb0ES3_N6thrust23THRUST_200600_302600_NS6detail15normal_iteratorINS9_10device_ptrIiEEEENSB_INSC_IjEEEESG_jNS9_4plusIvEENS9_8equal_toIvEEjEE10hipError_tPvRmT2_T3_T4_T5_mT6_T7_P12ihipStream_tbENKUlT_T0_E_clISt17integral_constantIbLb1EES11_EEDaSW_SX_EUlSW_E_NS1_11comp_targetILNS1_3genE10ELNS1_11target_archE1200ELNS1_3gpuE4ELNS1_3repE0EEENS1_30default_config_static_selectorELNS0_4arch9wavefront6targetE0EEEvT1_
; %bb.0:
	.section	.rodata,"a",@progbits
	.p2align	6, 0x0
	.amdhsa_kernel _ZN7rocprim17ROCPRIM_400000_NS6detail17trampoline_kernelINS0_14default_configENS1_27scan_by_key_config_selectorIijEEZZNS1_16scan_by_key_implILNS1_25lookback_scan_determinismE0ELb0ES3_N6thrust23THRUST_200600_302600_NS6detail15normal_iteratorINS9_10device_ptrIiEEEENSB_INSC_IjEEEESG_jNS9_4plusIvEENS9_8equal_toIvEEjEE10hipError_tPvRmT2_T3_T4_T5_mT6_T7_P12ihipStream_tbENKUlT_T0_E_clISt17integral_constantIbLb1EES11_EEDaSW_SX_EUlSW_E_NS1_11comp_targetILNS1_3genE10ELNS1_11target_archE1200ELNS1_3gpuE4ELNS1_3repE0EEENS1_30default_config_static_selectorELNS0_4arch9wavefront6targetE0EEEvT1_
		.amdhsa_group_segment_fixed_size 0
		.amdhsa_private_segment_fixed_size 0
		.amdhsa_kernarg_size 112
		.amdhsa_user_sgpr_count 6
		.amdhsa_user_sgpr_private_segment_buffer 1
		.amdhsa_user_sgpr_dispatch_ptr 0
		.amdhsa_user_sgpr_queue_ptr 0
		.amdhsa_user_sgpr_kernarg_segment_ptr 1
		.amdhsa_user_sgpr_dispatch_id 0
		.amdhsa_user_sgpr_flat_scratch_init 0
		.amdhsa_user_sgpr_private_segment_size 0
		.amdhsa_wavefront_size32 1
		.amdhsa_uses_dynamic_stack 0
		.amdhsa_system_sgpr_private_segment_wavefront_offset 0
		.amdhsa_system_sgpr_workgroup_id_x 1
		.amdhsa_system_sgpr_workgroup_id_y 0
		.amdhsa_system_sgpr_workgroup_id_z 0
		.amdhsa_system_sgpr_workgroup_info 0
		.amdhsa_system_vgpr_workitem_id 0
		.amdhsa_next_free_vgpr 1
		.amdhsa_next_free_sgpr 1
		.amdhsa_reserve_vcc 0
		.amdhsa_reserve_flat_scratch 0
		.amdhsa_float_round_mode_32 0
		.amdhsa_float_round_mode_16_64 0
		.amdhsa_float_denorm_mode_32 3
		.amdhsa_float_denorm_mode_16_64 3
		.amdhsa_dx10_clamp 1
		.amdhsa_ieee_mode 1
		.amdhsa_fp16_overflow 0
		.amdhsa_workgroup_processor_mode 1
		.amdhsa_memory_ordered 1
		.amdhsa_forward_progress 1
		.amdhsa_shared_vgpr_count 0
		.amdhsa_exception_fp_ieee_invalid_op 0
		.amdhsa_exception_fp_denorm_src 0
		.amdhsa_exception_fp_ieee_div_zero 0
		.amdhsa_exception_fp_ieee_overflow 0
		.amdhsa_exception_fp_ieee_underflow 0
		.amdhsa_exception_fp_ieee_inexact 0
		.amdhsa_exception_int_div_zero 0
	.end_amdhsa_kernel
	.section	.text._ZN7rocprim17ROCPRIM_400000_NS6detail17trampoline_kernelINS0_14default_configENS1_27scan_by_key_config_selectorIijEEZZNS1_16scan_by_key_implILNS1_25lookback_scan_determinismE0ELb0ES3_N6thrust23THRUST_200600_302600_NS6detail15normal_iteratorINS9_10device_ptrIiEEEENSB_INSC_IjEEEESG_jNS9_4plusIvEENS9_8equal_toIvEEjEE10hipError_tPvRmT2_T3_T4_T5_mT6_T7_P12ihipStream_tbENKUlT_T0_E_clISt17integral_constantIbLb1EES11_EEDaSW_SX_EUlSW_E_NS1_11comp_targetILNS1_3genE10ELNS1_11target_archE1200ELNS1_3gpuE4ELNS1_3repE0EEENS1_30default_config_static_selectorELNS0_4arch9wavefront6targetE0EEEvT1_,"axG",@progbits,_ZN7rocprim17ROCPRIM_400000_NS6detail17trampoline_kernelINS0_14default_configENS1_27scan_by_key_config_selectorIijEEZZNS1_16scan_by_key_implILNS1_25lookback_scan_determinismE0ELb0ES3_N6thrust23THRUST_200600_302600_NS6detail15normal_iteratorINS9_10device_ptrIiEEEENSB_INSC_IjEEEESG_jNS9_4plusIvEENS9_8equal_toIvEEjEE10hipError_tPvRmT2_T3_T4_T5_mT6_T7_P12ihipStream_tbENKUlT_T0_E_clISt17integral_constantIbLb1EES11_EEDaSW_SX_EUlSW_E_NS1_11comp_targetILNS1_3genE10ELNS1_11target_archE1200ELNS1_3gpuE4ELNS1_3repE0EEENS1_30default_config_static_selectorELNS0_4arch9wavefront6targetE0EEEvT1_,comdat
.Lfunc_end1238:
	.size	_ZN7rocprim17ROCPRIM_400000_NS6detail17trampoline_kernelINS0_14default_configENS1_27scan_by_key_config_selectorIijEEZZNS1_16scan_by_key_implILNS1_25lookback_scan_determinismE0ELb0ES3_N6thrust23THRUST_200600_302600_NS6detail15normal_iteratorINS9_10device_ptrIiEEEENSB_INSC_IjEEEESG_jNS9_4plusIvEENS9_8equal_toIvEEjEE10hipError_tPvRmT2_T3_T4_T5_mT6_T7_P12ihipStream_tbENKUlT_T0_E_clISt17integral_constantIbLb1EES11_EEDaSW_SX_EUlSW_E_NS1_11comp_targetILNS1_3genE10ELNS1_11target_archE1200ELNS1_3gpuE4ELNS1_3repE0EEENS1_30default_config_static_selectorELNS0_4arch9wavefront6targetE0EEEvT1_, .Lfunc_end1238-_ZN7rocprim17ROCPRIM_400000_NS6detail17trampoline_kernelINS0_14default_configENS1_27scan_by_key_config_selectorIijEEZZNS1_16scan_by_key_implILNS1_25lookback_scan_determinismE0ELb0ES3_N6thrust23THRUST_200600_302600_NS6detail15normal_iteratorINS9_10device_ptrIiEEEENSB_INSC_IjEEEESG_jNS9_4plusIvEENS9_8equal_toIvEEjEE10hipError_tPvRmT2_T3_T4_T5_mT6_T7_P12ihipStream_tbENKUlT_T0_E_clISt17integral_constantIbLb1EES11_EEDaSW_SX_EUlSW_E_NS1_11comp_targetILNS1_3genE10ELNS1_11target_archE1200ELNS1_3gpuE4ELNS1_3repE0EEENS1_30default_config_static_selectorELNS0_4arch9wavefront6targetE0EEEvT1_
                                        ; -- End function
	.set _ZN7rocprim17ROCPRIM_400000_NS6detail17trampoline_kernelINS0_14default_configENS1_27scan_by_key_config_selectorIijEEZZNS1_16scan_by_key_implILNS1_25lookback_scan_determinismE0ELb0ES3_N6thrust23THRUST_200600_302600_NS6detail15normal_iteratorINS9_10device_ptrIiEEEENSB_INSC_IjEEEESG_jNS9_4plusIvEENS9_8equal_toIvEEjEE10hipError_tPvRmT2_T3_T4_T5_mT6_T7_P12ihipStream_tbENKUlT_T0_E_clISt17integral_constantIbLb1EES11_EEDaSW_SX_EUlSW_E_NS1_11comp_targetILNS1_3genE10ELNS1_11target_archE1200ELNS1_3gpuE4ELNS1_3repE0EEENS1_30default_config_static_selectorELNS0_4arch9wavefront6targetE0EEEvT1_.num_vgpr, 0
	.set _ZN7rocprim17ROCPRIM_400000_NS6detail17trampoline_kernelINS0_14default_configENS1_27scan_by_key_config_selectorIijEEZZNS1_16scan_by_key_implILNS1_25lookback_scan_determinismE0ELb0ES3_N6thrust23THRUST_200600_302600_NS6detail15normal_iteratorINS9_10device_ptrIiEEEENSB_INSC_IjEEEESG_jNS9_4plusIvEENS9_8equal_toIvEEjEE10hipError_tPvRmT2_T3_T4_T5_mT6_T7_P12ihipStream_tbENKUlT_T0_E_clISt17integral_constantIbLb1EES11_EEDaSW_SX_EUlSW_E_NS1_11comp_targetILNS1_3genE10ELNS1_11target_archE1200ELNS1_3gpuE4ELNS1_3repE0EEENS1_30default_config_static_selectorELNS0_4arch9wavefront6targetE0EEEvT1_.num_agpr, 0
	.set _ZN7rocprim17ROCPRIM_400000_NS6detail17trampoline_kernelINS0_14default_configENS1_27scan_by_key_config_selectorIijEEZZNS1_16scan_by_key_implILNS1_25lookback_scan_determinismE0ELb0ES3_N6thrust23THRUST_200600_302600_NS6detail15normal_iteratorINS9_10device_ptrIiEEEENSB_INSC_IjEEEESG_jNS9_4plusIvEENS9_8equal_toIvEEjEE10hipError_tPvRmT2_T3_T4_T5_mT6_T7_P12ihipStream_tbENKUlT_T0_E_clISt17integral_constantIbLb1EES11_EEDaSW_SX_EUlSW_E_NS1_11comp_targetILNS1_3genE10ELNS1_11target_archE1200ELNS1_3gpuE4ELNS1_3repE0EEENS1_30default_config_static_selectorELNS0_4arch9wavefront6targetE0EEEvT1_.numbered_sgpr, 0
	.set _ZN7rocprim17ROCPRIM_400000_NS6detail17trampoline_kernelINS0_14default_configENS1_27scan_by_key_config_selectorIijEEZZNS1_16scan_by_key_implILNS1_25lookback_scan_determinismE0ELb0ES3_N6thrust23THRUST_200600_302600_NS6detail15normal_iteratorINS9_10device_ptrIiEEEENSB_INSC_IjEEEESG_jNS9_4plusIvEENS9_8equal_toIvEEjEE10hipError_tPvRmT2_T3_T4_T5_mT6_T7_P12ihipStream_tbENKUlT_T0_E_clISt17integral_constantIbLb1EES11_EEDaSW_SX_EUlSW_E_NS1_11comp_targetILNS1_3genE10ELNS1_11target_archE1200ELNS1_3gpuE4ELNS1_3repE0EEENS1_30default_config_static_selectorELNS0_4arch9wavefront6targetE0EEEvT1_.num_named_barrier, 0
	.set _ZN7rocprim17ROCPRIM_400000_NS6detail17trampoline_kernelINS0_14default_configENS1_27scan_by_key_config_selectorIijEEZZNS1_16scan_by_key_implILNS1_25lookback_scan_determinismE0ELb0ES3_N6thrust23THRUST_200600_302600_NS6detail15normal_iteratorINS9_10device_ptrIiEEEENSB_INSC_IjEEEESG_jNS9_4plusIvEENS9_8equal_toIvEEjEE10hipError_tPvRmT2_T3_T4_T5_mT6_T7_P12ihipStream_tbENKUlT_T0_E_clISt17integral_constantIbLb1EES11_EEDaSW_SX_EUlSW_E_NS1_11comp_targetILNS1_3genE10ELNS1_11target_archE1200ELNS1_3gpuE4ELNS1_3repE0EEENS1_30default_config_static_selectorELNS0_4arch9wavefront6targetE0EEEvT1_.private_seg_size, 0
	.set _ZN7rocprim17ROCPRIM_400000_NS6detail17trampoline_kernelINS0_14default_configENS1_27scan_by_key_config_selectorIijEEZZNS1_16scan_by_key_implILNS1_25lookback_scan_determinismE0ELb0ES3_N6thrust23THRUST_200600_302600_NS6detail15normal_iteratorINS9_10device_ptrIiEEEENSB_INSC_IjEEEESG_jNS9_4plusIvEENS9_8equal_toIvEEjEE10hipError_tPvRmT2_T3_T4_T5_mT6_T7_P12ihipStream_tbENKUlT_T0_E_clISt17integral_constantIbLb1EES11_EEDaSW_SX_EUlSW_E_NS1_11comp_targetILNS1_3genE10ELNS1_11target_archE1200ELNS1_3gpuE4ELNS1_3repE0EEENS1_30default_config_static_selectorELNS0_4arch9wavefront6targetE0EEEvT1_.uses_vcc, 0
	.set _ZN7rocprim17ROCPRIM_400000_NS6detail17trampoline_kernelINS0_14default_configENS1_27scan_by_key_config_selectorIijEEZZNS1_16scan_by_key_implILNS1_25lookback_scan_determinismE0ELb0ES3_N6thrust23THRUST_200600_302600_NS6detail15normal_iteratorINS9_10device_ptrIiEEEENSB_INSC_IjEEEESG_jNS9_4plusIvEENS9_8equal_toIvEEjEE10hipError_tPvRmT2_T3_T4_T5_mT6_T7_P12ihipStream_tbENKUlT_T0_E_clISt17integral_constantIbLb1EES11_EEDaSW_SX_EUlSW_E_NS1_11comp_targetILNS1_3genE10ELNS1_11target_archE1200ELNS1_3gpuE4ELNS1_3repE0EEENS1_30default_config_static_selectorELNS0_4arch9wavefront6targetE0EEEvT1_.uses_flat_scratch, 0
	.set _ZN7rocprim17ROCPRIM_400000_NS6detail17trampoline_kernelINS0_14default_configENS1_27scan_by_key_config_selectorIijEEZZNS1_16scan_by_key_implILNS1_25lookback_scan_determinismE0ELb0ES3_N6thrust23THRUST_200600_302600_NS6detail15normal_iteratorINS9_10device_ptrIiEEEENSB_INSC_IjEEEESG_jNS9_4plusIvEENS9_8equal_toIvEEjEE10hipError_tPvRmT2_T3_T4_T5_mT6_T7_P12ihipStream_tbENKUlT_T0_E_clISt17integral_constantIbLb1EES11_EEDaSW_SX_EUlSW_E_NS1_11comp_targetILNS1_3genE10ELNS1_11target_archE1200ELNS1_3gpuE4ELNS1_3repE0EEENS1_30default_config_static_selectorELNS0_4arch9wavefront6targetE0EEEvT1_.has_dyn_sized_stack, 0
	.set _ZN7rocprim17ROCPRIM_400000_NS6detail17trampoline_kernelINS0_14default_configENS1_27scan_by_key_config_selectorIijEEZZNS1_16scan_by_key_implILNS1_25lookback_scan_determinismE0ELb0ES3_N6thrust23THRUST_200600_302600_NS6detail15normal_iteratorINS9_10device_ptrIiEEEENSB_INSC_IjEEEESG_jNS9_4plusIvEENS9_8equal_toIvEEjEE10hipError_tPvRmT2_T3_T4_T5_mT6_T7_P12ihipStream_tbENKUlT_T0_E_clISt17integral_constantIbLb1EES11_EEDaSW_SX_EUlSW_E_NS1_11comp_targetILNS1_3genE10ELNS1_11target_archE1200ELNS1_3gpuE4ELNS1_3repE0EEENS1_30default_config_static_selectorELNS0_4arch9wavefront6targetE0EEEvT1_.has_recursion, 0
	.set _ZN7rocprim17ROCPRIM_400000_NS6detail17trampoline_kernelINS0_14default_configENS1_27scan_by_key_config_selectorIijEEZZNS1_16scan_by_key_implILNS1_25lookback_scan_determinismE0ELb0ES3_N6thrust23THRUST_200600_302600_NS6detail15normal_iteratorINS9_10device_ptrIiEEEENSB_INSC_IjEEEESG_jNS9_4plusIvEENS9_8equal_toIvEEjEE10hipError_tPvRmT2_T3_T4_T5_mT6_T7_P12ihipStream_tbENKUlT_T0_E_clISt17integral_constantIbLb1EES11_EEDaSW_SX_EUlSW_E_NS1_11comp_targetILNS1_3genE10ELNS1_11target_archE1200ELNS1_3gpuE4ELNS1_3repE0EEENS1_30default_config_static_selectorELNS0_4arch9wavefront6targetE0EEEvT1_.has_indirect_call, 0
	.section	.AMDGPU.csdata,"",@progbits
; Kernel info:
; codeLenInByte = 0
; TotalNumSgprs: 0
; NumVgprs: 0
; ScratchSize: 0
; MemoryBound: 0
; FloatMode: 240
; IeeeMode: 1
; LDSByteSize: 0 bytes/workgroup (compile time only)
; SGPRBlocks: 0
; VGPRBlocks: 0
; NumSGPRsForWavesPerEU: 1
; NumVGPRsForWavesPerEU: 1
; Occupancy: 16
; WaveLimiterHint : 0
; COMPUTE_PGM_RSRC2:SCRATCH_EN: 0
; COMPUTE_PGM_RSRC2:USER_SGPR: 6
; COMPUTE_PGM_RSRC2:TRAP_HANDLER: 0
; COMPUTE_PGM_RSRC2:TGID_X_EN: 1
; COMPUTE_PGM_RSRC2:TGID_Y_EN: 0
; COMPUTE_PGM_RSRC2:TGID_Z_EN: 0
; COMPUTE_PGM_RSRC2:TIDIG_COMP_CNT: 0
	.section	.text._ZN7rocprim17ROCPRIM_400000_NS6detail17trampoline_kernelINS0_14default_configENS1_27scan_by_key_config_selectorIijEEZZNS1_16scan_by_key_implILNS1_25lookback_scan_determinismE0ELb0ES3_N6thrust23THRUST_200600_302600_NS6detail15normal_iteratorINS9_10device_ptrIiEEEENSB_INSC_IjEEEESG_jNS9_4plusIvEENS9_8equal_toIvEEjEE10hipError_tPvRmT2_T3_T4_T5_mT6_T7_P12ihipStream_tbENKUlT_T0_E_clISt17integral_constantIbLb1EES11_EEDaSW_SX_EUlSW_E_NS1_11comp_targetILNS1_3genE9ELNS1_11target_archE1100ELNS1_3gpuE3ELNS1_3repE0EEENS1_30default_config_static_selectorELNS0_4arch9wavefront6targetE0EEEvT1_,"axG",@progbits,_ZN7rocprim17ROCPRIM_400000_NS6detail17trampoline_kernelINS0_14default_configENS1_27scan_by_key_config_selectorIijEEZZNS1_16scan_by_key_implILNS1_25lookback_scan_determinismE0ELb0ES3_N6thrust23THRUST_200600_302600_NS6detail15normal_iteratorINS9_10device_ptrIiEEEENSB_INSC_IjEEEESG_jNS9_4plusIvEENS9_8equal_toIvEEjEE10hipError_tPvRmT2_T3_T4_T5_mT6_T7_P12ihipStream_tbENKUlT_T0_E_clISt17integral_constantIbLb1EES11_EEDaSW_SX_EUlSW_E_NS1_11comp_targetILNS1_3genE9ELNS1_11target_archE1100ELNS1_3gpuE3ELNS1_3repE0EEENS1_30default_config_static_selectorELNS0_4arch9wavefront6targetE0EEEvT1_,comdat
	.protected	_ZN7rocprim17ROCPRIM_400000_NS6detail17trampoline_kernelINS0_14default_configENS1_27scan_by_key_config_selectorIijEEZZNS1_16scan_by_key_implILNS1_25lookback_scan_determinismE0ELb0ES3_N6thrust23THRUST_200600_302600_NS6detail15normal_iteratorINS9_10device_ptrIiEEEENSB_INSC_IjEEEESG_jNS9_4plusIvEENS9_8equal_toIvEEjEE10hipError_tPvRmT2_T3_T4_T5_mT6_T7_P12ihipStream_tbENKUlT_T0_E_clISt17integral_constantIbLb1EES11_EEDaSW_SX_EUlSW_E_NS1_11comp_targetILNS1_3genE9ELNS1_11target_archE1100ELNS1_3gpuE3ELNS1_3repE0EEENS1_30default_config_static_selectorELNS0_4arch9wavefront6targetE0EEEvT1_ ; -- Begin function _ZN7rocprim17ROCPRIM_400000_NS6detail17trampoline_kernelINS0_14default_configENS1_27scan_by_key_config_selectorIijEEZZNS1_16scan_by_key_implILNS1_25lookback_scan_determinismE0ELb0ES3_N6thrust23THRUST_200600_302600_NS6detail15normal_iteratorINS9_10device_ptrIiEEEENSB_INSC_IjEEEESG_jNS9_4plusIvEENS9_8equal_toIvEEjEE10hipError_tPvRmT2_T3_T4_T5_mT6_T7_P12ihipStream_tbENKUlT_T0_E_clISt17integral_constantIbLb1EES11_EEDaSW_SX_EUlSW_E_NS1_11comp_targetILNS1_3genE9ELNS1_11target_archE1100ELNS1_3gpuE3ELNS1_3repE0EEENS1_30default_config_static_selectorELNS0_4arch9wavefront6targetE0EEEvT1_
	.globl	_ZN7rocprim17ROCPRIM_400000_NS6detail17trampoline_kernelINS0_14default_configENS1_27scan_by_key_config_selectorIijEEZZNS1_16scan_by_key_implILNS1_25lookback_scan_determinismE0ELb0ES3_N6thrust23THRUST_200600_302600_NS6detail15normal_iteratorINS9_10device_ptrIiEEEENSB_INSC_IjEEEESG_jNS9_4plusIvEENS9_8equal_toIvEEjEE10hipError_tPvRmT2_T3_T4_T5_mT6_T7_P12ihipStream_tbENKUlT_T0_E_clISt17integral_constantIbLb1EES11_EEDaSW_SX_EUlSW_E_NS1_11comp_targetILNS1_3genE9ELNS1_11target_archE1100ELNS1_3gpuE3ELNS1_3repE0EEENS1_30default_config_static_selectorELNS0_4arch9wavefront6targetE0EEEvT1_
	.p2align	8
	.type	_ZN7rocprim17ROCPRIM_400000_NS6detail17trampoline_kernelINS0_14default_configENS1_27scan_by_key_config_selectorIijEEZZNS1_16scan_by_key_implILNS1_25lookback_scan_determinismE0ELb0ES3_N6thrust23THRUST_200600_302600_NS6detail15normal_iteratorINS9_10device_ptrIiEEEENSB_INSC_IjEEEESG_jNS9_4plusIvEENS9_8equal_toIvEEjEE10hipError_tPvRmT2_T3_T4_T5_mT6_T7_P12ihipStream_tbENKUlT_T0_E_clISt17integral_constantIbLb1EES11_EEDaSW_SX_EUlSW_E_NS1_11comp_targetILNS1_3genE9ELNS1_11target_archE1100ELNS1_3gpuE3ELNS1_3repE0EEENS1_30default_config_static_selectorELNS0_4arch9wavefront6targetE0EEEvT1_,@function
_ZN7rocprim17ROCPRIM_400000_NS6detail17trampoline_kernelINS0_14default_configENS1_27scan_by_key_config_selectorIijEEZZNS1_16scan_by_key_implILNS1_25lookback_scan_determinismE0ELb0ES3_N6thrust23THRUST_200600_302600_NS6detail15normal_iteratorINS9_10device_ptrIiEEEENSB_INSC_IjEEEESG_jNS9_4plusIvEENS9_8equal_toIvEEjEE10hipError_tPvRmT2_T3_T4_T5_mT6_T7_P12ihipStream_tbENKUlT_T0_E_clISt17integral_constantIbLb1EES11_EEDaSW_SX_EUlSW_E_NS1_11comp_targetILNS1_3genE9ELNS1_11target_archE1100ELNS1_3gpuE3ELNS1_3repE0EEENS1_30default_config_static_selectorELNS0_4arch9wavefront6targetE0EEEvT1_: ; @_ZN7rocprim17ROCPRIM_400000_NS6detail17trampoline_kernelINS0_14default_configENS1_27scan_by_key_config_selectorIijEEZZNS1_16scan_by_key_implILNS1_25lookback_scan_determinismE0ELb0ES3_N6thrust23THRUST_200600_302600_NS6detail15normal_iteratorINS9_10device_ptrIiEEEENSB_INSC_IjEEEESG_jNS9_4plusIvEENS9_8equal_toIvEEjEE10hipError_tPvRmT2_T3_T4_T5_mT6_T7_P12ihipStream_tbENKUlT_T0_E_clISt17integral_constantIbLb1EES11_EEDaSW_SX_EUlSW_E_NS1_11comp_targetILNS1_3genE9ELNS1_11target_archE1100ELNS1_3gpuE3ELNS1_3repE0EEENS1_30default_config_static_selectorELNS0_4arch9wavefront6targetE0EEEvT1_
; %bb.0:
	.section	.rodata,"a",@progbits
	.p2align	6, 0x0
	.amdhsa_kernel _ZN7rocprim17ROCPRIM_400000_NS6detail17trampoline_kernelINS0_14default_configENS1_27scan_by_key_config_selectorIijEEZZNS1_16scan_by_key_implILNS1_25lookback_scan_determinismE0ELb0ES3_N6thrust23THRUST_200600_302600_NS6detail15normal_iteratorINS9_10device_ptrIiEEEENSB_INSC_IjEEEESG_jNS9_4plusIvEENS9_8equal_toIvEEjEE10hipError_tPvRmT2_T3_T4_T5_mT6_T7_P12ihipStream_tbENKUlT_T0_E_clISt17integral_constantIbLb1EES11_EEDaSW_SX_EUlSW_E_NS1_11comp_targetILNS1_3genE9ELNS1_11target_archE1100ELNS1_3gpuE3ELNS1_3repE0EEENS1_30default_config_static_selectorELNS0_4arch9wavefront6targetE0EEEvT1_
		.amdhsa_group_segment_fixed_size 0
		.amdhsa_private_segment_fixed_size 0
		.amdhsa_kernarg_size 112
		.amdhsa_user_sgpr_count 6
		.amdhsa_user_sgpr_private_segment_buffer 1
		.amdhsa_user_sgpr_dispatch_ptr 0
		.amdhsa_user_sgpr_queue_ptr 0
		.amdhsa_user_sgpr_kernarg_segment_ptr 1
		.amdhsa_user_sgpr_dispatch_id 0
		.amdhsa_user_sgpr_flat_scratch_init 0
		.amdhsa_user_sgpr_private_segment_size 0
		.amdhsa_wavefront_size32 1
		.amdhsa_uses_dynamic_stack 0
		.amdhsa_system_sgpr_private_segment_wavefront_offset 0
		.amdhsa_system_sgpr_workgroup_id_x 1
		.amdhsa_system_sgpr_workgroup_id_y 0
		.amdhsa_system_sgpr_workgroup_id_z 0
		.amdhsa_system_sgpr_workgroup_info 0
		.amdhsa_system_vgpr_workitem_id 0
		.amdhsa_next_free_vgpr 1
		.amdhsa_next_free_sgpr 1
		.amdhsa_reserve_vcc 0
		.amdhsa_reserve_flat_scratch 0
		.amdhsa_float_round_mode_32 0
		.amdhsa_float_round_mode_16_64 0
		.amdhsa_float_denorm_mode_32 3
		.amdhsa_float_denorm_mode_16_64 3
		.amdhsa_dx10_clamp 1
		.amdhsa_ieee_mode 1
		.amdhsa_fp16_overflow 0
		.amdhsa_workgroup_processor_mode 1
		.amdhsa_memory_ordered 1
		.amdhsa_forward_progress 1
		.amdhsa_shared_vgpr_count 0
		.amdhsa_exception_fp_ieee_invalid_op 0
		.amdhsa_exception_fp_denorm_src 0
		.amdhsa_exception_fp_ieee_div_zero 0
		.amdhsa_exception_fp_ieee_overflow 0
		.amdhsa_exception_fp_ieee_underflow 0
		.amdhsa_exception_fp_ieee_inexact 0
		.amdhsa_exception_int_div_zero 0
	.end_amdhsa_kernel
	.section	.text._ZN7rocprim17ROCPRIM_400000_NS6detail17trampoline_kernelINS0_14default_configENS1_27scan_by_key_config_selectorIijEEZZNS1_16scan_by_key_implILNS1_25lookback_scan_determinismE0ELb0ES3_N6thrust23THRUST_200600_302600_NS6detail15normal_iteratorINS9_10device_ptrIiEEEENSB_INSC_IjEEEESG_jNS9_4plusIvEENS9_8equal_toIvEEjEE10hipError_tPvRmT2_T3_T4_T5_mT6_T7_P12ihipStream_tbENKUlT_T0_E_clISt17integral_constantIbLb1EES11_EEDaSW_SX_EUlSW_E_NS1_11comp_targetILNS1_3genE9ELNS1_11target_archE1100ELNS1_3gpuE3ELNS1_3repE0EEENS1_30default_config_static_selectorELNS0_4arch9wavefront6targetE0EEEvT1_,"axG",@progbits,_ZN7rocprim17ROCPRIM_400000_NS6detail17trampoline_kernelINS0_14default_configENS1_27scan_by_key_config_selectorIijEEZZNS1_16scan_by_key_implILNS1_25lookback_scan_determinismE0ELb0ES3_N6thrust23THRUST_200600_302600_NS6detail15normal_iteratorINS9_10device_ptrIiEEEENSB_INSC_IjEEEESG_jNS9_4plusIvEENS9_8equal_toIvEEjEE10hipError_tPvRmT2_T3_T4_T5_mT6_T7_P12ihipStream_tbENKUlT_T0_E_clISt17integral_constantIbLb1EES11_EEDaSW_SX_EUlSW_E_NS1_11comp_targetILNS1_3genE9ELNS1_11target_archE1100ELNS1_3gpuE3ELNS1_3repE0EEENS1_30default_config_static_selectorELNS0_4arch9wavefront6targetE0EEEvT1_,comdat
.Lfunc_end1239:
	.size	_ZN7rocprim17ROCPRIM_400000_NS6detail17trampoline_kernelINS0_14default_configENS1_27scan_by_key_config_selectorIijEEZZNS1_16scan_by_key_implILNS1_25lookback_scan_determinismE0ELb0ES3_N6thrust23THRUST_200600_302600_NS6detail15normal_iteratorINS9_10device_ptrIiEEEENSB_INSC_IjEEEESG_jNS9_4plusIvEENS9_8equal_toIvEEjEE10hipError_tPvRmT2_T3_T4_T5_mT6_T7_P12ihipStream_tbENKUlT_T0_E_clISt17integral_constantIbLb1EES11_EEDaSW_SX_EUlSW_E_NS1_11comp_targetILNS1_3genE9ELNS1_11target_archE1100ELNS1_3gpuE3ELNS1_3repE0EEENS1_30default_config_static_selectorELNS0_4arch9wavefront6targetE0EEEvT1_, .Lfunc_end1239-_ZN7rocprim17ROCPRIM_400000_NS6detail17trampoline_kernelINS0_14default_configENS1_27scan_by_key_config_selectorIijEEZZNS1_16scan_by_key_implILNS1_25lookback_scan_determinismE0ELb0ES3_N6thrust23THRUST_200600_302600_NS6detail15normal_iteratorINS9_10device_ptrIiEEEENSB_INSC_IjEEEESG_jNS9_4plusIvEENS9_8equal_toIvEEjEE10hipError_tPvRmT2_T3_T4_T5_mT6_T7_P12ihipStream_tbENKUlT_T0_E_clISt17integral_constantIbLb1EES11_EEDaSW_SX_EUlSW_E_NS1_11comp_targetILNS1_3genE9ELNS1_11target_archE1100ELNS1_3gpuE3ELNS1_3repE0EEENS1_30default_config_static_selectorELNS0_4arch9wavefront6targetE0EEEvT1_
                                        ; -- End function
	.set _ZN7rocprim17ROCPRIM_400000_NS6detail17trampoline_kernelINS0_14default_configENS1_27scan_by_key_config_selectorIijEEZZNS1_16scan_by_key_implILNS1_25lookback_scan_determinismE0ELb0ES3_N6thrust23THRUST_200600_302600_NS6detail15normal_iteratorINS9_10device_ptrIiEEEENSB_INSC_IjEEEESG_jNS9_4plusIvEENS9_8equal_toIvEEjEE10hipError_tPvRmT2_T3_T4_T5_mT6_T7_P12ihipStream_tbENKUlT_T0_E_clISt17integral_constantIbLb1EES11_EEDaSW_SX_EUlSW_E_NS1_11comp_targetILNS1_3genE9ELNS1_11target_archE1100ELNS1_3gpuE3ELNS1_3repE0EEENS1_30default_config_static_selectorELNS0_4arch9wavefront6targetE0EEEvT1_.num_vgpr, 0
	.set _ZN7rocprim17ROCPRIM_400000_NS6detail17trampoline_kernelINS0_14default_configENS1_27scan_by_key_config_selectorIijEEZZNS1_16scan_by_key_implILNS1_25lookback_scan_determinismE0ELb0ES3_N6thrust23THRUST_200600_302600_NS6detail15normal_iteratorINS9_10device_ptrIiEEEENSB_INSC_IjEEEESG_jNS9_4plusIvEENS9_8equal_toIvEEjEE10hipError_tPvRmT2_T3_T4_T5_mT6_T7_P12ihipStream_tbENKUlT_T0_E_clISt17integral_constantIbLb1EES11_EEDaSW_SX_EUlSW_E_NS1_11comp_targetILNS1_3genE9ELNS1_11target_archE1100ELNS1_3gpuE3ELNS1_3repE0EEENS1_30default_config_static_selectorELNS0_4arch9wavefront6targetE0EEEvT1_.num_agpr, 0
	.set _ZN7rocprim17ROCPRIM_400000_NS6detail17trampoline_kernelINS0_14default_configENS1_27scan_by_key_config_selectorIijEEZZNS1_16scan_by_key_implILNS1_25lookback_scan_determinismE0ELb0ES3_N6thrust23THRUST_200600_302600_NS6detail15normal_iteratorINS9_10device_ptrIiEEEENSB_INSC_IjEEEESG_jNS9_4plusIvEENS9_8equal_toIvEEjEE10hipError_tPvRmT2_T3_T4_T5_mT6_T7_P12ihipStream_tbENKUlT_T0_E_clISt17integral_constantIbLb1EES11_EEDaSW_SX_EUlSW_E_NS1_11comp_targetILNS1_3genE9ELNS1_11target_archE1100ELNS1_3gpuE3ELNS1_3repE0EEENS1_30default_config_static_selectorELNS0_4arch9wavefront6targetE0EEEvT1_.numbered_sgpr, 0
	.set _ZN7rocprim17ROCPRIM_400000_NS6detail17trampoline_kernelINS0_14default_configENS1_27scan_by_key_config_selectorIijEEZZNS1_16scan_by_key_implILNS1_25lookback_scan_determinismE0ELb0ES3_N6thrust23THRUST_200600_302600_NS6detail15normal_iteratorINS9_10device_ptrIiEEEENSB_INSC_IjEEEESG_jNS9_4plusIvEENS9_8equal_toIvEEjEE10hipError_tPvRmT2_T3_T4_T5_mT6_T7_P12ihipStream_tbENKUlT_T0_E_clISt17integral_constantIbLb1EES11_EEDaSW_SX_EUlSW_E_NS1_11comp_targetILNS1_3genE9ELNS1_11target_archE1100ELNS1_3gpuE3ELNS1_3repE0EEENS1_30default_config_static_selectorELNS0_4arch9wavefront6targetE0EEEvT1_.num_named_barrier, 0
	.set _ZN7rocprim17ROCPRIM_400000_NS6detail17trampoline_kernelINS0_14default_configENS1_27scan_by_key_config_selectorIijEEZZNS1_16scan_by_key_implILNS1_25lookback_scan_determinismE0ELb0ES3_N6thrust23THRUST_200600_302600_NS6detail15normal_iteratorINS9_10device_ptrIiEEEENSB_INSC_IjEEEESG_jNS9_4plusIvEENS9_8equal_toIvEEjEE10hipError_tPvRmT2_T3_T4_T5_mT6_T7_P12ihipStream_tbENKUlT_T0_E_clISt17integral_constantIbLb1EES11_EEDaSW_SX_EUlSW_E_NS1_11comp_targetILNS1_3genE9ELNS1_11target_archE1100ELNS1_3gpuE3ELNS1_3repE0EEENS1_30default_config_static_selectorELNS0_4arch9wavefront6targetE0EEEvT1_.private_seg_size, 0
	.set _ZN7rocprim17ROCPRIM_400000_NS6detail17trampoline_kernelINS0_14default_configENS1_27scan_by_key_config_selectorIijEEZZNS1_16scan_by_key_implILNS1_25lookback_scan_determinismE0ELb0ES3_N6thrust23THRUST_200600_302600_NS6detail15normal_iteratorINS9_10device_ptrIiEEEENSB_INSC_IjEEEESG_jNS9_4plusIvEENS9_8equal_toIvEEjEE10hipError_tPvRmT2_T3_T4_T5_mT6_T7_P12ihipStream_tbENKUlT_T0_E_clISt17integral_constantIbLb1EES11_EEDaSW_SX_EUlSW_E_NS1_11comp_targetILNS1_3genE9ELNS1_11target_archE1100ELNS1_3gpuE3ELNS1_3repE0EEENS1_30default_config_static_selectorELNS0_4arch9wavefront6targetE0EEEvT1_.uses_vcc, 0
	.set _ZN7rocprim17ROCPRIM_400000_NS6detail17trampoline_kernelINS0_14default_configENS1_27scan_by_key_config_selectorIijEEZZNS1_16scan_by_key_implILNS1_25lookback_scan_determinismE0ELb0ES3_N6thrust23THRUST_200600_302600_NS6detail15normal_iteratorINS9_10device_ptrIiEEEENSB_INSC_IjEEEESG_jNS9_4plusIvEENS9_8equal_toIvEEjEE10hipError_tPvRmT2_T3_T4_T5_mT6_T7_P12ihipStream_tbENKUlT_T0_E_clISt17integral_constantIbLb1EES11_EEDaSW_SX_EUlSW_E_NS1_11comp_targetILNS1_3genE9ELNS1_11target_archE1100ELNS1_3gpuE3ELNS1_3repE0EEENS1_30default_config_static_selectorELNS0_4arch9wavefront6targetE0EEEvT1_.uses_flat_scratch, 0
	.set _ZN7rocprim17ROCPRIM_400000_NS6detail17trampoline_kernelINS0_14default_configENS1_27scan_by_key_config_selectorIijEEZZNS1_16scan_by_key_implILNS1_25lookback_scan_determinismE0ELb0ES3_N6thrust23THRUST_200600_302600_NS6detail15normal_iteratorINS9_10device_ptrIiEEEENSB_INSC_IjEEEESG_jNS9_4plusIvEENS9_8equal_toIvEEjEE10hipError_tPvRmT2_T3_T4_T5_mT6_T7_P12ihipStream_tbENKUlT_T0_E_clISt17integral_constantIbLb1EES11_EEDaSW_SX_EUlSW_E_NS1_11comp_targetILNS1_3genE9ELNS1_11target_archE1100ELNS1_3gpuE3ELNS1_3repE0EEENS1_30default_config_static_selectorELNS0_4arch9wavefront6targetE0EEEvT1_.has_dyn_sized_stack, 0
	.set _ZN7rocprim17ROCPRIM_400000_NS6detail17trampoline_kernelINS0_14default_configENS1_27scan_by_key_config_selectorIijEEZZNS1_16scan_by_key_implILNS1_25lookback_scan_determinismE0ELb0ES3_N6thrust23THRUST_200600_302600_NS6detail15normal_iteratorINS9_10device_ptrIiEEEENSB_INSC_IjEEEESG_jNS9_4plusIvEENS9_8equal_toIvEEjEE10hipError_tPvRmT2_T3_T4_T5_mT6_T7_P12ihipStream_tbENKUlT_T0_E_clISt17integral_constantIbLb1EES11_EEDaSW_SX_EUlSW_E_NS1_11comp_targetILNS1_3genE9ELNS1_11target_archE1100ELNS1_3gpuE3ELNS1_3repE0EEENS1_30default_config_static_selectorELNS0_4arch9wavefront6targetE0EEEvT1_.has_recursion, 0
	.set _ZN7rocprim17ROCPRIM_400000_NS6detail17trampoline_kernelINS0_14default_configENS1_27scan_by_key_config_selectorIijEEZZNS1_16scan_by_key_implILNS1_25lookback_scan_determinismE0ELb0ES3_N6thrust23THRUST_200600_302600_NS6detail15normal_iteratorINS9_10device_ptrIiEEEENSB_INSC_IjEEEESG_jNS9_4plusIvEENS9_8equal_toIvEEjEE10hipError_tPvRmT2_T3_T4_T5_mT6_T7_P12ihipStream_tbENKUlT_T0_E_clISt17integral_constantIbLb1EES11_EEDaSW_SX_EUlSW_E_NS1_11comp_targetILNS1_3genE9ELNS1_11target_archE1100ELNS1_3gpuE3ELNS1_3repE0EEENS1_30default_config_static_selectorELNS0_4arch9wavefront6targetE0EEEvT1_.has_indirect_call, 0
	.section	.AMDGPU.csdata,"",@progbits
; Kernel info:
; codeLenInByte = 0
; TotalNumSgprs: 0
; NumVgprs: 0
; ScratchSize: 0
; MemoryBound: 0
; FloatMode: 240
; IeeeMode: 1
; LDSByteSize: 0 bytes/workgroup (compile time only)
; SGPRBlocks: 0
; VGPRBlocks: 0
; NumSGPRsForWavesPerEU: 1
; NumVGPRsForWavesPerEU: 1
; Occupancy: 16
; WaveLimiterHint : 0
; COMPUTE_PGM_RSRC2:SCRATCH_EN: 0
; COMPUTE_PGM_RSRC2:USER_SGPR: 6
; COMPUTE_PGM_RSRC2:TRAP_HANDLER: 0
; COMPUTE_PGM_RSRC2:TGID_X_EN: 1
; COMPUTE_PGM_RSRC2:TGID_Y_EN: 0
; COMPUTE_PGM_RSRC2:TGID_Z_EN: 0
; COMPUTE_PGM_RSRC2:TIDIG_COMP_CNT: 0
	.section	.text._ZN7rocprim17ROCPRIM_400000_NS6detail17trampoline_kernelINS0_14default_configENS1_27scan_by_key_config_selectorIijEEZZNS1_16scan_by_key_implILNS1_25lookback_scan_determinismE0ELb0ES3_N6thrust23THRUST_200600_302600_NS6detail15normal_iteratorINS9_10device_ptrIiEEEENSB_INSC_IjEEEESG_jNS9_4plusIvEENS9_8equal_toIvEEjEE10hipError_tPvRmT2_T3_T4_T5_mT6_T7_P12ihipStream_tbENKUlT_T0_E_clISt17integral_constantIbLb1EES11_EEDaSW_SX_EUlSW_E_NS1_11comp_targetILNS1_3genE8ELNS1_11target_archE1030ELNS1_3gpuE2ELNS1_3repE0EEENS1_30default_config_static_selectorELNS0_4arch9wavefront6targetE0EEEvT1_,"axG",@progbits,_ZN7rocprim17ROCPRIM_400000_NS6detail17trampoline_kernelINS0_14default_configENS1_27scan_by_key_config_selectorIijEEZZNS1_16scan_by_key_implILNS1_25lookback_scan_determinismE0ELb0ES3_N6thrust23THRUST_200600_302600_NS6detail15normal_iteratorINS9_10device_ptrIiEEEENSB_INSC_IjEEEESG_jNS9_4plusIvEENS9_8equal_toIvEEjEE10hipError_tPvRmT2_T3_T4_T5_mT6_T7_P12ihipStream_tbENKUlT_T0_E_clISt17integral_constantIbLb1EES11_EEDaSW_SX_EUlSW_E_NS1_11comp_targetILNS1_3genE8ELNS1_11target_archE1030ELNS1_3gpuE2ELNS1_3repE0EEENS1_30default_config_static_selectorELNS0_4arch9wavefront6targetE0EEEvT1_,comdat
	.protected	_ZN7rocprim17ROCPRIM_400000_NS6detail17trampoline_kernelINS0_14default_configENS1_27scan_by_key_config_selectorIijEEZZNS1_16scan_by_key_implILNS1_25lookback_scan_determinismE0ELb0ES3_N6thrust23THRUST_200600_302600_NS6detail15normal_iteratorINS9_10device_ptrIiEEEENSB_INSC_IjEEEESG_jNS9_4plusIvEENS9_8equal_toIvEEjEE10hipError_tPvRmT2_T3_T4_T5_mT6_T7_P12ihipStream_tbENKUlT_T0_E_clISt17integral_constantIbLb1EES11_EEDaSW_SX_EUlSW_E_NS1_11comp_targetILNS1_3genE8ELNS1_11target_archE1030ELNS1_3gpuE2ELNS1_3repE0EEENS1_30default_config_static_selectorELNS0_4arch9wavefront6targetE0EEEvT1_ ; -- Begin function _ZN7rocprim17ROCPRIM_400000_NS6detail17trampoline_kernelINS0_14default_configENS1_27scan_by_key_config_selectorIijEEZZNS1_16scan_by_key_implILNS1_25lookback_scan_determinismE0ELb0ES3_N6thrust23THRUST_200600_302600_NS6detail15normal_iteratorINS9_10device_ptrIiEEEENSB_INSC_IjEEEESG_jNS9_4plusIvEENS9_8equal_toIvEEjEE10hipError_tPvRmT2_T3_T4_T5_mT6_T7_P12ihipStream_tbENKUlT_T0_E_clISt17integral_constantIbLb1EES11_EEDaSW_SX_EUlSW_E_NS1_11comp_targetILNS1_3genE8ELNS1_11target_archE1030ELNS1_3gpuE2ELNS1_3repE0EEENS1_30default_config_static_selectorELNS0_4arch9wavefront6targetE0EEEvT1_
	.globl	_ZN7rocprim17ROCPRIM_400000_NS6detail17trampoline_kernelINS0_14default_configENS1_27scan_by_key_config_selectorIijEEZZNS1_16scan_by_key_implILNS1_25lookback_scan_determinismE0ELb0ES3_N6thrust23THRUST_200600_302600_NS6detail15normal_iteratorINS9_10device_ptrIiEEEENSB_INSC_IjEEEESG_jNS9_4plusIvEENS9_8equal_toIvEEjEE10hipError_tPvRmT2_T3_T4_T5_mT6_T7_P12ihipStream_tbENKUlT_T0_E_clISt17integral_constantIbLb1EES11_EEDaSW_SX_EUlSW_E_NS1_11comp_targetILNS1_3genE8ELNS1_11target_archE1030ELNS1_3gpuE2ELNS1_3repE0EEENS1_30default_config_static_selectorELNS0_4arch9wavefront6targetE0EEEvT1_
	.p2align	8
	.type	_ZN7rocprim17ROCPRIM_400000_NS6detail17trampoline_kernelINS0_14default_configENS1_27scan_by_key_config_selectorIijEEZZNS1_16scan_by_key_implILNS1_25lookback_scan_determinismE0ELb0ES3_N6thrust23THRUST_200600_302600_NS6detail15normal_iteratorINS9_10device_ptrIiEEEENSB_INSC_IjEEEESG_jNS9_4plusIvEENS9_8equal_toIvEEjEE10hipError_tPvRmT2_T3_T4_T5_mT6_T7_P12ihipStream_tbENKUlT_T0_E_clISt17integral_constantIbLb1EES11_EEDaSW_SX_EUlSW_E_NS1_11comp_targetILNS1_3genE8ELNS1_11target_archE1030ELNS1_3gpuE2ELNS1_3repE0EEENS1_30default_config_static_selectorELNS0_4arch9wavefront6targetE0EEEvT1_,@function
_ZN7rocprim17ROCPRIM_400000_NS6detail17trampoline_kernelINS0_14default_configENS1_27scan_by_key_config_selectorIijEEZZNS1_16scan_by_key_implILNS1_25lookback_scan_determinismE0ELb0ES3_N6thrust23THRUST_200600_302600_NS6detail15normal_iteratorINS9_10device_ptrIiEEEENSB_INSC_IjEEEESG_jNS9_4plusIvEENS9_8equal_toIvEEjEE10hipError_tPvRmT2_T3_T4_T5_mT6_T7_P12ihipStream_tbENKUlT_T0_E_clISt17integral_constantIbLb1EES11_EEDaSW_SX_EUlSW_E_NS1_11comp_targetILNS1_3genE8ELNS1_11target_archE1030ELNS1_3gpuE2ELNS1_3repE0EEENS1_30default_config_static_selectorELNS0_4arch9wavefront6targetE0EEEvT1_: ; @_ZN7rocprim17ROCPRIM_400000_NS6detail17trampoline_kernelINS0_14default_configENS1_27scan_by_key_config_selectorIijEEZZNS1_16scan_by_key_implILNS1_25lookback_scan_determinismE0ELb0ES3_N6thrust23THRUST_200600_302600_NS6detail15normal_iteratorINS9_10device_ptrIiEEEENSB_INSC_IjEEEESG_jNS9_4plusIvEENS9_8equal_toIvEEjEE10hipError_tPvRmT2_T3_T4_T5_mT6_T7_P12ihipStream_tbENKUlT_T0_E_clISt17integral_constantIbLb1EES11_EEDaSW_SX_EUlSW_E_NS1_11comp_targetILNS1_3genE8ELNS1_11target_archE1030ELNS1_3gpuE2ELNS1_3repE0EEENS1_30default_config_static_selectorELNS0_4arch9wavefront6targetE0EEEvT1_
; %bb.0:
	s_endpgm
	.section	.rodata,"a",@progbits
	.p2align	6, 0x0
	.amdhsa_kernel _ZN7rocprim17ROCPRIM_400000_NS6detail17trampoline_kernelINS0_14default_configENS1_27scan_by_key_config_selectorIijEEZZNS1_16scan_by_key_implILNS1_25lookback_scan_determinismE0ELb0ES3_N6thrust23THRUST_200600_302600_NS6detail15normal_iteratorINS9_10device_ptrIiEEEENSB_INSC_IjEEEESG_jNS9_4plusIvEENS9_8equal_toIvEEjEE10hipError_tPvRmT2_T3_T4_T5_mT6_T7_P12ihipStream_tbENKUlT_T0_E_clISt17integral_constantIbLb1EES11_EEDaSW_SX_EUlSW_E_NS1_11comp_targetILNS1_3genE8ELNS1_11target_archE1030ELNS1_3gpuE2ELNS1_3repE0EEENS1_30default_config_static_selectorELNS0_4arch9wavefront6targetE0EEEvT1_
		.amdhsa_group_segment_fixed_size 0
		.amdhsa_private_segment_fixed_size 0
		.amdhsa_kernarg_size 112
		.amdhsa_user_sgpr_count 6
		.amdhsa_user_sgpr_private_segment_buffer 1
		.amdhsa_user_sgpr_dispatch_ptr 0
		.amdhsa_user_sgpr_queue_ptr 0
		.amdhsa_user_sgpr_kernarg_segment_ptr 1
		.amdhsa_user_sgpr_dispatch_id 0
		.amdhsa_user_sgpr_flat_scratch_init 0
		.amdhsa_user_sgpr_private_segment_size 0
		.amdhsa_wavefront_size32 1
		.amdhsa_uses_dynamic_stack 0
		.amdhsa_system_sgpr_private_segment_wavefront_offset 0
		.amdhsa_system_sgpr_workgroup_id_x 1
		.amdhsa_system_sgpr_workgroup_id_y 0
		.amdhsa_system_sgpr_workgroup_id_z 0
		.amdhsa_system_sgpr_workgroup_info 0
		.amdhsa_system_vgpr_workitem_id 0
		.amdhsa_next_free_vgpr 1
		.amdhsa_next_free_sgpr 1
		.amdhsa_reserve_vcc 0
		.amdhsa_reserve_flat_scratch 0
		.amdhsa_float_round_mode_32 0
		.amdhsa_float_round_mode_16_64 0
		.amdhsa_float_denorm_mode_32 3
		.amdhsa_float_denorm_mode_16_64 3
		.amdhsa_dx10_clamp 1
		.amdhsa_ieee_mode 1
		.amdhsa_fp16_overflow 0
		.amdhsa_workgroup_processor_mode 1
		.amdhsa_memory_ordered 1
		.amdhsa_forward_progress 1
		.amdhsa_shared_vgpr_count 0
		.amdhsa_exception_fp_ieee_invalid_op 0
		.amdhsa_exception_fp_denorm_src 0
		.amdhsa_exception_fp_ieee_div_zero 0
		.amdhsa_exception_fp_ieee_overflow 0
		.amdhsa_exception_fp_ieee_underflow 0
		.amdhsa_exception_fp_ieee_inexact 0
		.amdhsa_exception_int_div_zero 0
	.end_amdhsa_kernel
	.section	.text._ZN7rocprim17ROCPRIM_400000_NS6detail17trampoline_kernelINS0_14default_configENS1_27scan_by_key_config_selectorIijEEZZNS1_16scan_by_key_implILNS1_25lookback_scan_determinismE0ELb0ES3_N6thrust23THRUST_200600_302600_NS6detail15normal_iteratorINS9_10device_ptrIiEEEENSB_INSC_IjEEEESG_jNS9_4plusIvEENS9_8equal_toIvEEjEE10hipError_tPvRmT2_T3_T4_T5_mT6_T7_P12ihipStream_tbENKUlT_T0_E_clISt17integral_constantIbLb1EES11_EEDaSW_SX_EUlSW_E_NS1_11comp_targetILNS1_3genE8ELNS1_11target_archE1030ELNS1_3gpuE2ELNS1_3repE0EEENS1_30default_config_static_selectorELNS0_4arch9wavefront6targetE0EEEvT1_,"axG",@progbits,_ZN7rocprim17ROCPRIM_400000_NS6detail17trampoline_kernelINS0_14default_configENS1_27scan_by_key_config_selectorIijEEZZNS1_16scan_by_key_implILNS1_25lookback_scan_determinismE0ELb0ES3_N6thrust23THRUST_200600_302600_NS6detail15normal_iteratorINS9_10device_ptrIiEEEENSB_INSC_IjEEEESG_jNS9_4plusIvEENS9_8equal_toIvEEjEE10hipError_tPvRmT2_T3_T4_T5_mT6_T7_P12ihipStream_tbENKUlT_T0_E_clISt17integral_constantIbLb1EES11_EEDaSW_SX_EUlSW_E_NS1_11comp_targetILNS1_3genE8ELNS1_11target_archE1030ELNS1_3gpuE2ELNS1_3repE0EEENS1_30default_config_static_selectorELNS0_4arch9wavefront6targetE0EEEvT1_,comdat
.Lfunc_end1240:
	.size	_ZN7rocprim17ROCPRIM_400000_NS6detail17trampoline_kernelINS0_14default_configENS1_27scan_by_key_config_selectorIijEEZZNS1_16scan_by_key_implILNS1_25lookback_scan_determinismE0ELb0ES3_N6thrust23THRUST_200600_302600_NS6detail15normal_iteratorINS9_10device_ptrIiEEEENSB_INSC_IjEEEESG_jNS9_4plusIvEENS9_8equal_toIvEEjEE10hipError_tPvRmT2_T3_T4_T5_mT6_T7_P12ihipStream_tbENKUlT_T0_E_clISt17integral_constantIbLb1EES11_EEDaSW_SX_EUlSW_E_NS1_11comp_targetILNS1_3genE8ELNS1_11target_archE1030ELNS1_3gpuE2ELNS1_3repE0EEENS1_30default_config_static_selectorELNS0_4arch9wavefront6targetE0EEEvT1_, .Lfunc_end1240-_ZN7rocprim17ROCPRIM_400000_NS6detail17trampoline_kernelINS0_14default_configENS1_27scan_by_key_config_selectorIijEEZZNS1_16scan_by_key_implILNS1_25lookback_scan_determinismE0ELb0ES3_N6thrust23THRUST_200600_302600_NS6detail15normal_iteratorINS9_10device_ptrIiEEEENSB_INSC_IjEEEESG_jNS9_4plusIvEENS9_8equal_toIvEEjEE10hipError_tPvRmT2_T3_T4_T5_mT6_T7_P12ihipStream_tbENKUlT_T0_E_clISt17integral_constantIbLb1EES11_EEDaSW_SX_EUlSW_E_NS1_11comp_targetILNS1_3genE8ELNS1_11target_archE1030ELNS1_3gpuE2ELNS1_3repE0EEENS1_30default_config_static_selectorELNS0_4arch9wavefront6targetE0EEEvT1_
                                        ; -- End function
	.set _ZN7rocprim17ROCPRIM_400000_NS6detail17trampoline_kernelINS0_14default_configENS1_27scan_by_key_config_selectorIijEEZZNS1_16scan_by_key_implILNS1_25lookback_scan_determinismE0ELb0ES3_N6thrust23THRUST_200600_302600_NS6detail15normal_iteratorINS9_10device_ptrIiEEEENSB_INSC_IjEEEESG_jNS9_4plusIvEENS9_8equal_toIvEEjEE10hipError_tPvRmT2_T3_T4_T5_mT6_T7_P12ihipStream_tbENKUlT_T0_E_clISt17integral_constantIbLb1EES11_EEDaSW_SX_EUlSW_E_NS1_11comp_targetILNS1_3genE8ELNS1_11target_archE1030ELNS1_3gpuE2ELNS1_3repE0EEENS1_30default_config_static_selectorELNS0_4arch9wavefront6targetE0EEEvT1_.num_vgpr, 0
	.set _ZN7rocprim17ROCPRIM_400000_NS6detail17trampoline_kernelINS0_14default_configENS1_27scan_by_key_config_selectorIijEEZZNS1_16scan_by_key_implILNS1_25lookback_scan_determinismE0ELb0ES3_N6thrust23THRUST_200600_302600_NS6detail15normal_iteratorINS9_10device_ptrIiEEEENSB_INSC_IjEEEESG_jNS9_4plusIvEENS9_8equal_toIvEEjEE10hipError_tPvRmT2_T3_T4_T5_mT6_T7_P12ihipStream_tbENKUlT_T0_E_clISt17integral_constantIbLb1EES11_EEDaSW_SX_EUlSW_E_NS1_11comp_targetILNS1_3genE8ELNS1_11target_archE1030ELNS1_3gpuE2ELNS1_3repE0EEENS1_30default_config_static_selectorELNS0_4arch9wavefront6targetE0EEEvT1_.num_agpr, 0
	.set _ZN7rocprim17ROCPRIM_400000_NS6detail17trampoline_kernelINS0_14default_configENS1_27scan_by_key_config_selectorIijEEZZNS1_16scan_by_key_implILNS1_25lookback_scan_determinismE0ELb0ES3_N6thrust23THRUST_200600_302600_NS6detail15normal_iteratorINS9_10device_ptrIiEEEENSB_INSC_IjEEEESG_jNS9_4plusIvEENS9_8equal_toIvEEjEE10hipError_tPvRmT2_T3_T4_T5_mT6_T7_P12ihipStream_tbENKUlT_T0_E_clISt17integral_constantIbLb1EES11_EEDaSW_SX_EUlSW_E_NS1_11comp_targetILNS1_3genE8ELNS1_11target_archE1030ELNS1_3gpuE2ELNS1_3repE0EEENS1_30default_config_static_selectorELNS0_4arch9wavefront6targetE0EEEvT1_.numbered_sgpr, 0
	.set _ZN7rocprim17ROCPRIM_400000_NS6detail17trampoline_kernelINS0_14default_configENS1_27scan_by_key_config_selectorIijEEZZNS1_16scan_by_key_implILNS1_25lookback_scan_determinismE0ELb0ES3_N6thrust23THRUST_200600_302600_NS6detail15normal_iteratorINS9_10device_ptrIiEEEENSB_INSC_IjEEEESG_jNS9_4plusIvEENS9_8equal_toIvEEjEE10hipError_tPvRmT2_T3_T4_T5_mT6_T7_P12ihipStream_tbENKUlT_T0_E_clISt17integral_constantIbLb1EES11_EEDaSW_SX_EUlSW_E_NS1_11comp_targetILNS1_3genE8ELNS1_11target_archE1030ELNS1_3gpuE2ELNS1_3repE0EEENS1_30default_config_static_selectorELNS0_4arch9wavefront6targetE0EEEvT1_.num_named_barrier, 0
	.set _ZN7rocprim17ROCPRIM_400000_NS6detail17trampoline_kernelINS0_14default_configENS1_27scan_by_key_config_selectorIijEEZZNS1_16scan_by_key_implILNS1_25lookback_scan_determinismE0ELb0ES3_N6thrust23THRUST_200600_302600_NS6detail15normal_iteratorINS9_10device_ptrIiEEEENSB_INSC_IjEEEESG_jNS9_4plusIvEENS9_8equal_toIvEEjEE10hipError_tPvRmT2_T3_T4_T5_mT6_T7_P12ihipStream_tbENKUlT_T0_E_clISt17integral_constantIbLb1EES11_EEDaSW_SX_EUlSW_E_NS1_11comp_targetILNS1_3genE8ELNS1_11target_archE1030ELNS1_3gpuE2ELNS1_3repE0EEENS1_30default_config_static_selectorELNS0_4arch9wavefront6targetE0EEEvT1_.private_seg_size, 0
	.set _ZN7rocprim17ROCPRIM_400000_NS6detail17trampoline_kernelINS0_14default_configENS1_27scan_by_key_config_selectorIijEEZZNS1_16scan_by_key_implILNS1_25lookback_scan_determinismE0ELb0ES3_N6thrust23THRUST_200600_302600_NS6detail15normal_iteratorINS9_10device_ptrIiEEEENSB_INSC_IjEEEESG_jNS9_4plusIvEENS9_8equal_toIvEEjEE10hipError_tPvRmT2_T3_T4_T5_mT6_T7_P12ihipStream_tbENKUlT_T0_E_clISt17integral_constantIbLb1EES11_EEDaSW_SX_EUlSW_E_NS1_11comp_targetILNS1_3genE8ELNS1_11target_archE1030ELNS1_3gpuE2ELNS1_3repE0EEENS1_30default_config_static_selectorELNS0_4arch9wavefront6targetE0EEEvT1_.uses_vcc, 0
	.set _ZN7rocprim17ROCPRIM_400000_NS6detail17trampoline_kernelINS0_14default_configENS1_27scan_by_key_config_selectorIijEEZZNS1_16scan_by_key_implILNS1_25lookback_scan_determinismE0ELb0ES3_N6thrust23THRUST_200600_302600_NS6detail15normal_iteratorINS9_10device_ptrIiEEEENSB_INSC_IjEEEESG_jNS9_4plusIvEENS9_8equal_toIvEEjEE10hipError_tPvRmT2_T3_T4_T5_mT6_T7_P12ihipStream_tbENKUlT_T0_E_clISt17integral_constantIbLb1EES11_EEDaSW_SX_EUlSW_E_NS1_11comp_targetILNS1_3genE8ELNS1_11target_archE1030ELNS1_3gpuE2ELNS1_3repE0EEENS1_30default_config_static_selectorELNS0_4arch9wavefront6targetE0EEEvT1_.uses_flat_scratch, 0
	.set _ZN7rocprim17ROCPRIM_400000_NS6detail17trampoline_kernelINS0_14default_configENS1_27scan_by_key_config_selectorIijEEZZNS1_16scan_by_key_implILNS1_25lookback_scan_determinismE0ELb0ES3_N6thrust23THRUST_200600_302600_NS6detail15normal_iteratorINS9_10device_ptrIiEEEENSB_INSC_IjEEEESG_jNS9_4plusIvEENS9_8equal_toIvEEjEE10hipError_tPvRmT2_T3_T4_T5_mT6_T7_P12ihipStream_tbENKUlT_T0_E_clISt17integral_constantIbLb1EES11_EEDaSW_SX_EUlSW_E_NS1_11comp_targetILNS1_3genE8ELNS1_11target_archE1030ELNS1_3gpuE2ELNS1_3repE0EEENS1_30default_config_static_selectorELNS0_4arch9wavefront6targetE0EEEvT1_.has_dyn_sized_stack, 0
	.set _ZN7rocprim17ROCPRIM_400000_NS6detail17trampoline_kernelINS0_14default_configENS1_27scan_by_key_config_selectorIijEEZZNS1_16scan_by_key_implILNS1_25lookback_scan_determinismE0ELb0ES3_N6thrust23THRUST_200600_302600_NS6detail15normal_iteratorINS9_10device_ptrIiEEEENSB_INSC_IjEEEESG_jNS9_4plusIvEENS9_8equal_toIvEEjEE10hipError_tPvRmT2_T3_T4_T5_mT6_T7_P12ihipStream_tbENKUlT_T0_E_clISt17integral_constantIbLb1EES11_EEDaSW_SX_EUlSW_E_NS1_11comp_targetILNS1_3genE8ELNS1_11target_archE1030ELNS1_3gpuE2ELNS1_3repE0EEENS1_30default_config_static_selectorELNS0_4arch9wavefront6targetE0EEEvT1_.has_recursion, 0
	.set _ZN7rocprim17ROCPRIM_400000_NS6detail17trampoline_kernelINS0_14default_configENS1_27scan_by_key_config_selectorIijEEZZNS1_16scan_by_key_implILNS1_25lookback_scan_determinismE0ELb0ES3_N6thrust23THRUST_200600_302600_NS6detail15normal_iteratorINS9_10device_ptrIiEEEENSB_INSC_IjEEEESG_jNS9_4plusIvEENS9_8equal_toIvEEjEE10hipError_tPvRmT2_T3_T4_T5_mT6_T7_P12ihipStream_tbENKUlT_T0_E_clISt17integral_constantIbLb1EES11_EEDaSW_SX_EUlSW_E_NS1_11comp_targetILNS1_3genE8ELNS1_11target_archE1030ELNS1_3gpuE2ELNS1_3repE0EEENS1_30default_config_static_selectorELNS0_4arch9wavefront6targetE0EEEvT1_.has_indirect_call, 0
	.section	.AMDGPU.csdata,"",@progbits
; Kernel info:
; codeLenInByte = 4
; TotalNumSgprs: 0
; NumVgprs: 0
; ScratchSize: 0
; MemoryBound: 0
; FloatMode: 240
; IeeeMode: 1
; LDSByteSize: 0 bytes/workgroup (compile time only)
; SGPRBlocks: 0
; VGPRBlocks: 0
; NumSGPRsForWavesPerEU: 1
; NumVGPRsForWavesPerEU: 1
; Occupancy: 16
; WaveLimiterHint : 0
; COMPUTE_PGM_RSRC2:SCRATCH_EN: 0
; COMPUTE_PGM_RSRC2:USER_SGPR: 6
; COMPUTE_PGM_RSRC2:TRAP_HANDLER: 0
; COMPUTE_PGM_RSRC2:TGID_X_EN: 1
; COMPUTE_PGM_RSRC2:TGID_Y_EN: 0
; COMPUTE_PGM_RSRC2:TGID_Z_EN: 0
; COMPUTE_PGM_RSRC2:TIDIG_COMP_CNT: 0
	.section	.text._ZN7rocprim17ROCPRIM_400000_NS6detail30init_device_scan_by_key_kernelINS1_19lookback_scan_stateINS0_5tupleIJjbEEELb1ELb1EEEN6thrust23THRUST_200600_302600_NS6detail15normal_iteratorINS8_10device_ptrIiEEEEjNS1_16block_id_wrapperIjLb0EEEEEvT_jjPNSG_10value_typeET0_PNSt15iterator_traitsISJ_E10value_typeEmT1_T2_,"axG",@progbits,_ZN7rocprim17ROCPRIM_400000_NS6detail30init_device_scan_by_key_kernelINS1_19lookback_scan_stateINS0_5tupleIJjbEEELb1ELb1EEEN6thrust23THRUST_200600_302600_NS6detail15normal_iteratorINS8_10device_ptrIiEEEEjNS1_16block_id_wrapperIjLb0EEEEEvT_jjPNSG_10value_typeET0_PNSt15iterator_traitsISJ_E10value_typeEmT1_T2_,comdat
	.protected	_ZN7rocprim17ROCPRIM_400000_NS6detail30init_device_scan_by_key_kernelINS1_19lookback_scan_stateINS0_5tupleIJjbEEELb1ELb1EEEN6thrust23THRUST_200600_302600_NS6detail15normal_iteratorINS8_10device_ptrIiEEEEjNS1_16block_id_wrapperIjLb0EEEEEvT_jjPNSG_10value_typeET0_PNSt15iterator_traitsISJ_E10value_typeEmT1_T2_ ; -- Begin function _ZN7rocprim17ROCPRIM_400000_NS6detail30init_device_scan_by_key_kernelINS1_19lookback_scan_stateINS0_5tupleIJjbEEELb1ELb1EEEN6thrust23THRUST_200600_302600_NS6detail15normal_iteratorINS8_10device_ptrIiEEEEjNS1_16block_id_wrapperIjLb0EEEEEvT_jjPNSG_10value_typeET0_PNSt15iterator_traitsISJ_E10value_typeEmT1_T2_
	.globl	_ZN7rocprim17ROCPRIM_400000_NS6detail30init_device_scan_by_key_kernelINS1_19lookback_scan_stateINS0_5tupleIJjbEEELb1ELb1EEEN6thrust23THRUST_200600_302600_NS6detail15normal_iteratorINS8_10device_ptrIiEEEEjNS1_16block_id_wrapperIjLb0EEEEEvT_jjPNSG_10value_typeET0_PNSt15iterator_traitsISJ_E10value_typeEmT1_T2_
	.p2align	8
	.type	_ZN7rocprim17ROCPRIM_400000_NS6detail30init_device_scan_by_key_kernelINS1_19lookback_scan_stateINS0_5tupleIJjbEEELb1ELb1EEEN6thrust23THRUST_200600_302600_NS6detail15normal_iteratorINS8_10device_ptrIiEEEEjNS1_16block_id_wrapperIjLb0EEEEEvT_jjPNSG_10value_typeET0_PNSt15iterator_traitsISJ_E10value_typeEmT1_T2_,@function
_ZN7rocprim17ROCPRIM_400000_NS6detail30init_device_scan_by_key_kernelINS1_19lookback_scan_stateINS0_5tupleIJjbEEELb1ELb1EEEN6thrust23THRUST_200600_302600_NS6detail15normal_iteratorINS8_10device_ptrIiEEEEjNS1_16block_id_wrapperIjLb0EEEEEvT_jjPNSG_10value_typeET0_PNSt15iterator_traitsISJ_E10value_typeEmT1_T2_: ; @_ZN7rocprim17ROCPRIM_400000_NS6detail30init_device_scan_by_key_kernelINS1_19lookback_scan_stateINS0_5tupleIJjbEEELb1ELb1EEEN6thrust23THRUST_200600_302600_NS6detail15normal_iteratorINS8_10device_ptrIiEEEEjNS1_16block_id_wrapperIjLb0EEEEEvT_jjPNSG_10value_typeET0_PNSt15iterator_traitsISJ_E10value_typeEmT1_T2_
; %bb.0:
	s_clause 0x2
	s_load_dword s0, s[4:5], 0x44
	s_load_dwordx8 s[8:15], s[4:5], 0x0
	s_load_dword s7, s[4:5], 0x38
	s_waitcnt lgkmcnt(0)
	s_and_b32 s16, s0, 0xffff
	s_cmp_eq_u64 s[12:13], 0
	v_mad_u64_u32 v[4:5], null, s6, s16, v[0:1]
	s_cbranch_scc1 .LBB1241_10
; %bb.1:
	s_cmp_lt_u32 s11, s10
	s_mov_b32 s1, 0
	s_cselect_b32 s0, s11, 0
	s_mov_b32 s2, exec_lo
	v_cmpx_eq_u32_e64 s0, v4
	s_cbranch_execz .LBB1241_9
; %bb.2:
	s_add_i32 s0, s11, 32
	v_mov_b32_e32 v6, 0
	s_lshl_b64 s[0:1], s[0:1], 4
	s_mov_b32 s3, exec_lo
	s_add_u32 s0, s8, s0
	s_addc_u32 s1, s9, s1
	v_mov_b32_e32 v0, s0
	v_mov_b32_e32 v1, s1
	;;#ASMSTART
	global_load_dwordx4 v[0:3], v[0:1] off glc dlc	
s_waitcnt vmcnt(0)
	;;#ASMEND
	v_and_b32_e32 v5, 0xff, v2
	v_cmpx_eq_u64_e32 0, v[5:6]
	s_cbranch_execz .LBB1241_8
; %bb.3:
	v_mov_b32_e32 v8, s1
	v_mov_b32_e32 v7, s0
	s_mov_b32 s1, 1
	s_mov_b32 s0, 0
	.p2align	6
.LBB1241_4:                             ; =>This Loop Header: Depth=1
                                        ;     Child Loop BB1241_5 Depth 2
	s_mov_b32 s6, s1
.LBB1241_5:                             ;   Parent Loop BB1241_4 Depth=1
                                        ; =>  This Inner Loop Header: Depth=2
	s_add_i32 s6, s6, -1
	s_sleep 1
	s_cmp_eq_u32 s6, 0
	s_cbranch_scc0 .LBB1241_5
; %bb.6:                                ;   in Loop: Header=BB1241_4 Depth=1
	;;#ASMSTART
	global_load_dwordx4 v[0:3], v[7:8] off glc dlc	
s_waitcnt vmcnt(0)
	;;#ASMEND
	v_and_b32_e32 v5, 0xff, v2
	s_cmp_lt_u32 s1, 32
	s_cselect_b32 s6, -1, 0
	v_cmp_ne_u64_e32 vcc_lo, 0, v[5:6]
	s_cmp_lg_u32 s6, 0
	s_addc_u32 s1, s1, 0
	s_or_b32 s0, vcc_lo, s0
	s_andn2_b32 exec_lo, exec_lo, s0
	s_cbranch_execnz .LBB1241_4
; %bb.7:
	s_or_b32 exec_lo, exec_lo, s0
.LBB1241_8:
	s_or_b32 exec_lo, exec_lo, s3
	v_mov_b32_e32 v2, 0
	global_store_dword v2, v0, s[12:13]
	global_store_byte v2, v1, s[12:13] offset:4
.LBB1241_9:
	s_or_b32 exec_lo, exec_lo, s2
.LBB1241_10:
	s_mov_b32 s0, exec_lo
	v_cmpx_gt_u32_e64 s10, v4
	s_cbranch_execz .LBB1241_12
; %bb.11:
	v_add_nc_u32_e32 v0, 32, v4
	v_mov_b32_e32 v1, 0
	v_lshlrev_b64 v[5:6], 4, v[0:1]
	v_mov_b32_e32 v0, v1
	v_mov_b32_e32 v2, v1
	v_mov_b32_e32 v3, v1
	v_add_co_u32 v5, vcc_lo, s8, v5
	v_add_co_ci_u32_e64 v6, null, s9, v6, vcc_lo
	global_store_dwordx4 v[5:6], v[0:3], off
.LBB1241_12:
	s_or_b32 exec_lo, exec_lo, s0
	v_mov_b32_e32 v5, 0
	s_mov_b32 s0, exec_lo
	v_cmpx_gt_u32_e32 32, v4
	s_cbranch_execz .LBB1241_14
; %bb.13:
	v_lshlrev_b64 v[6:7], 4, v[4:5]
	v_mov_b32_e32 v2, 0xff
	v_mov_b32_e32 v0, v5
	;; [unrolled: 1-line block ×4, first 2 shown]
	v_add_co_u32 v6, vcc_lo, s8, v6
	v_add_co_ci_u32_e64 v7, null, s9, v7, vcc_lo
	global_store_dwordx4 v[6:7], v[0:3], off
.LBB1241_14:
	s_or_b32 exec_lo, exec_lo, s0
	s_load_dwordx2 s[2:3], s[4:5], 0x28
	s_mov_b32 s0, exec_lo
	s_waitcnt lgkmcnt(0)
	v_cmpx_gt_u64_e64 s[2:3], v[4:5]
	s_cbranch_execz .LBB1241_17
; %bb.15:
	s_clause 0x1
	s_load_dword s6, s[4:5], 0x30
	s_load_dwordx2 s[8:9], s[4:5], 0x20
	s_mov_b32 s1, 0
	v_lshlrev_b64 v[2:3], 2, v[4:5]
	s_mul_i32 s4, s7, s16
	s_waitcnt lgkmcnt(0)
	v_mad_u64_u32 v[0:1], null, s6, v4, 0
	s_add_i32 s0, s6, -1
	s_mul_hi_u32 s7, s6, s4
	s_lshl_b64 s[10:11], s[0:1], 2
	s_mul_i32 s6, s6, s4
	s_add_u32 s0, s14, s10
	s_addc_u32 s5, s15, s11
	v_lshlrev_b64 v[0:1], 2, v[0:1]
	s_lshl_b64 s[6:7], s[6:7], 2
	v_add_co_u32 v0, vcc_lo, s0, v0
	v_add_co_ci_u32_e64 v1, null, s5, v1, vcc_lo
	v_add_co_u32 v2, vcc_lo, s8, v2
	v_add_co_ci_u32_e64 v3, null, s9, v3, vcc_lo
	s_mov_b32 s5, s1
	s_lshl_b64 s[8:9], s[4:5], 2
	.p2align	6
.LBB1241_16:                            ; =>This Inner Loop Header: Depth=1
	global_load_dword v6, v[0:1], off
	v_add_co_u32 v4, vcc_lo, v4, s4
	v_add_co_ci_u32_e64 v5, null, 0, v5, vcc_lo
	v_add_co_u32 v0, vcc_lo, v0, s6
	v_add_co_ci_u32_e64 v1, null, s7, v1, vcc_lo
	v_cmp_le_u64_e32 vcc_lo, s[2:3], v[4:5]
	s_or_b32 s1, vcc_lo, s1
	s_waitcnt vmcnt(0)
	global_store_dword v[2:3], v6, off
	v_add_co_u32 v2, s0, v2, s8
	v_add_co_ci_u32_e64 v3, null, s9, v3, s0
	s_andn2_b32 exec_lo, exec_lo, s1
	s_cbranch_execnz .LBB1241_16
.LBB1241_17:
	s_endpgm
	.section	.rodata,"a",@progbits
	.p2align	6, 0x0
	.amdhsa_kernel _ZN7rocprim17ROCPRIM_400000_NS6detail30init_device_scan_by_key_kernelINS1_19lookback_scan_stateINS0_5tupleIJjbEEELb1ELb1EEEN6thrust23THRUST_200600_302600_NS6detail15normal_iteratorINS8_10device_ptrIiEEEEjNS1_16block_id_wrapperIjLb0EEEEEvT_jjPNSG_10value_typeET0_PNSt15iterator_traitsISJ_E10value_typeEmT1_T2_
		.amdhsa_group_segment_fixed_size 0
		.amdhsa_private_segment_fixed_size 0
		.amdhsa_kernarg_size 312
		.amdhsa_user_sgpr_count 6
		.amdhsa_user_sgpr_private_segment_buffer 1
		.amdhsa_user_sgpr_dispatch_ptr 0
		.amdhsa_user_sgpr_queue_ptr 0
		.amdhsa_user_sgpr_kernarg_segment_ptr 1
		.amdhsa_user_sgpr_dispatch_id 0
		.amdhsa_user_sgpr_flat_scratch_init 0
		.amdhsa_user_sgpr_private_segment_size 0
		.amdhsa_wavefront_size32 1
		.amdhsa_uses_dynamic_stack 0
		.amdhsa_system_sgpr_private_segment_wavefront_offset 0
		.amdhsa_system_sgpr_workgroup_id_x 1
		.amdhsa_system_sgpr_workgroup_id_y 0
		.amdhsa_system_sgpr_workgroup_id_z 0
		.amdhsa_system_sgpr_workgroup_info 0
		.amdhsa_system_vgpr_workitem_id 0
		.amdhsa_next_free_vgpr 9
		.amdhsa_next_free_sgpr 17
		.amdhsa_reserve_vcc 1
		.amdhsa_reserve_flat_scratch 0
		.amdhsa_float_round_mode_32 0
		.amdhsa_float_round_mode_16_64 0
		.amdhsa_float_denorm_mode_32 3
		.amdhsa_float_denorm_mode_16_64 3
		.amdhsa_dx10_clamp 1
		.amdhsa_ieee_mode 1
		.amdhsa_fp16_overflow 0
		.amdhsa_workgroup_processor_mode 1
		.amdhsa_memory_ordered 1
		.amdhsa_forward_progress 1
		.amdhsa_shared_vgpr_count 0
		.amdhsa_exception_fp_ieee_invalid_op 0
		.amdhsa_exception_fp_denorm_src 0
		.amdhsa_exception_fp_ieee_div_zero 0
		.amdhsa_exception_fp_ieee_overflow 0
		.amdhsa_exception_fp_ieee_underflow 0
		.amdhsa_exception_fp_ieee_inexact 0
		.amdhsa_exception_int_div_zero 0
	.end_amdhsa_kernel
	.section	.text._ZN7rocprim17ROCPRIM_400000_NS6detail30init_device_scan_by_key_kernelINS1_19lookback_scan_stateINS0_5tupleIJjbEEELb1ELb1EEEN6thrust23THRUST_200600_302600_NS6detail15normal_iteratorINS8_10device_ptrIiEEEEjNS1_16block_id_wrapperIjLb0EEEEEvT_jjPNSG_10value_typeET0_PNSt15iterator_traitsISJ_E10value_typeEmT1_T2_,"axG",@progbits,_ZN7rocprim17ROCPRIM_400000_NS6detail30init_device_scan_by_key_kernelINS1_19lookback_scan_stateINS0_5tupleIJjbEEELb1ELb1EEEN6thrust23THRUST_200600_302600_NS6detail15normal_iteratorINS8_10device_ptrIiEEEEjNS1_16block_id_wrapperIjLb0EEEEEvT_jjPNSG_10value_typeET0_PNSt15iterator_traitsISJ_E10value_typeEmT1_T2_,comdat
.Lfunc_end1241:
	.size	_ZN7rocprim17ROCPRIM_400000_NS6detail30init_device_scan_by_key_kernelINS1_19lookback_scan_stateINS0_5tupleIJjbEEELb1ELb1EEEN6thrust23THRUST_200600_302600_NS6detail15normal_iteratorINS8_10device_ptrIiEEEEjNS1_16block_id_wrapperIjLb0EEEEEvT_jjPNSG_10value_typeET0_PNSt15iterator_traitsISJ_E10value_typeEmT1_T2_, .Lfunc_end1241-_ZN7rocprim17ROCPRIM_400000_NS6detail30init_device_scan_by_key_kernelINS1_19lookback_scan_stateINS0_5tupleIJjbEEELb1ELb1EEEN6thrust23THRUST_200600_302600_NS6detail15normal_iteratorINS8_10device_ptrIiEEEEjNS1_16block_id_wrapperIjLb0EEEEEvT_jjPNSG_10value_typeET0_PNSt15iterator_traitsISJ_E10value_typeEmT1_T2_
                                        ; -- End function
	.set _ZN7rocprim17ROCPRIM_400000_NS6detail30init_device_scan_by_key_kernelINS1_19lookback_scan_stateINS0_5tupleIJjbEEELb1ELb1EEEN6thrust23THRUST_200600_302600_NS6detail15normal_iteratorINS8_10device_ptrIiEEEEjNS1_16block_id_wrapperIjLb0EEEEEvT_jjPNSG_10value_typeET0_PNSt15iterator_traitsISJ_E10value_typeEmT1_T2_.num_vgpr, 9
	.set _ZN7rocprim17ROCPRIM_400000_NS6detail30init_device_scan_by_key_kernelINS1_19lookback_scan_stateINS0_5tupleIJjbEEELb1ELb1EEEN6thrust23THRUST_200600_302600_NS6detail15normal_iteratorINS8_10device_ptrIiEEEEjNS1_16block_id_wrapperIjLb0EEEEEvT_jjPNSG_10value_typeET0_PNSt15iterator_traitsISJ_E10value_typeEmT1_T2_.num_agpr, 0
	.set _ZN7rocprim17ROCPRIM_400000_NS6detail30init_device_scan_by_key_kernelINS1_19lookback_scan_stateINS0_5tupleIJjbEEELb1ELb1EEEN6thrust23THRUST_200600_302600_NS6detail15normal_iteratorINS8_10device_ptrIiEEEEjNS1_16block_id_wrapperIjLb0EEEEEvT_jjPNSG_10value_typeET0_PNSt15iterator_traitsISJ_E10value_typeEmT1_T2_.numbered_sgpr, 17
	.set _ZN7rocprim17ROCPRIM_400000_NS6detail30init_device_scan_by_key_kernelINS1_19lookback_scan_stateINS0_5tupleIJjbEEELb1ELb1EEEN6thrust23THRUST_200600_302600_NS6detail15normal_iteratorINS8_10device_ptrIiEEEEjNS1_16block_id_wrapperIjLb0EEEEEvT_jjPNSG_10value_typeET0_PNSt15iterator_traitsISJ_E10value_typeEmT1_T2_.num_named_barrier, 0
	.set _ZN7rocprim17ROCPRIM_400000_NS6detail30init_device_scan_by_key_kernelINS1_19lookback_scan_stateINS0_5tupleIJjbEEELb1ELb1EEEN6thrust23THRUST_200600_302600_NS6detail15normal_iteratorINS8_10device_ptrIiEEEEjNS1_16block_id_wrapperIjLb0EEEEEvT_jjPNSG_10value_typeET0_PNSt15iterator_traitsISJ_E10value_typeEmT1_T2_.private_seg_size, 0
	.set _ZN7rocprim17ROCPRIM_400000_NS6detail30init_device_scan_by_key_kernelINS1_19lookback_scan_stateINS0_5tupleIJjbEEELb1ELb1EEEN6thrust23THRUST_200600_302600_NS6detail15normal_iteratorINS8_10device_ptrIiEEEEjNS1_16block_id_wrapperIjLb0EEEEEvT_jjPNSG_10value_typeET0_PNSt15iterator_traitsISJ_E10value_typeEmT1_T2_.uses_vcc, 1
	.set _ZN7rocprim17ROCPRIM_400000_NS6detail30init_device_scan_by_key_kernelINS1_19lookback_scan_stateINS0_5tupleIJjbEEELb1ELb1EEEN6thrust23THRUST_200600_302600_NS6detail15normal_iteratorINS8_10device_ptrIiEEEEjNS1_16block_id_wrapperIjLb0EEEEEvT_jjPNSG_10value_typeET0_PNSt15iterator_traitsISJ_E10value_typeEmT1_T2_.uses_flat_scratch, 0
	.set _ZN7rocprim17ROCPRIM_400000_NS6detail30init_device_scan_by_key_kernelINS1_19lookback_scan_stateINS0_5tupleIJjbEEELb1ELb1EEEN6thrust23THRUST_200600_302600_NS6detail15normal_iteratorINS8_10device_ptrIiEEEEjNS1_16block_id_wrapperIjLb0EEEEEvT_jjPNSG_10value_typeET0_PNSt15iterator_traitsISJ_E10value_typeEmT1_T2_.has_dyn_sized_stack, 0
	.set _ZN7rocprim17ROCPRIM_400000_NS6detail30init_device_scan_by_key_kernelINS1_19lookback_scan_stateINS0_5tupleIJjbEEELb1ELb1EEEN6thrust23THRUST_200600_302600_NS6detail15normal_iteratorINS8_10device_ptrIiEEEEjNS1_16block_id_wrapperIjLb0EEEEEvT_jjPNSG_10value_typeET0_PNSt15iterator_traitsISJ_E10value_typeEmT1_T2_.has_recursion, 0
	.set _ZN7rocprim17ROCPRIM_400000_NS6detail30init_device_scan_by_key_kernelINS1_19lookback_scan_stateINS0_5tupleIJjbEEELb1ELb1EEEN6thrust23THRUST_200600_302600_NS6detail15normal_iteratorINS8_10device_ptrIiEEEEjNS1_16block_id_wrapperIjLb0EEEEEvT_jjPNSG_10value_typeET0_PNSt15iterator_traitsISJ_E10value_typeEmT1_T2_.has_indirect_call, 0
	.section	.AMDGPU.csdata,"",@progbits
; Kernel info:
; codeLenInByte = 728
; TotalNumSgprs: 19
; NumVgprs: 9
; ScratchSize: 0
; MemoryBound: 0
; FloatMode: 240
; IeeeMode: 1
; LDSByteSize: 0 bytes/workgroup (compile time only)
; SGPRBlocks: 0
; VGPRBlocks: 1
; NumSGPRsForWavesPerEU: 19
; NumVGPRsForWavesPerEU: 9
; Occupancy: 16
; WaveLimiterHint : 0
; COMPUTE_PGM_RSRC2:SCRATCH_EN: 0
; COMPUTE_PGM_RSRC2:USER_SGPR: 6
; COMPUTE_PGM_RSRC2:TRAP_HANDLER: 0
; COMPUTE_PGM_RSRC2:TGID_X_EN: 1
; COMPUTE_PGM_RSRC2:TGID_Y_EN: 0
; COMPUTE_PGM_RSRC2:TGID_Z_EN: 0
; COMPUTE_PGM_RSRC2:TIDIG_COMP_CNT: 0
	.section	.text._ZN7rocprim17ROCPRIM_400000_NS6detail30init_device_scan_by_key_kernelINS1_19lookback_scan_stateINS0_5tupleIJjbEEELb1ELb1EEENS1_16block_id_wrapperIjLb0EEEEEvT_jjPNS9_10value_typeET0_,"axG",@progbits,_ZN7rocprim17ROCPRIM_400000_NS6detail30init_device_scan_by_key_kernelINS1_19lookback_scan_stateINS0_5tupleIJjbEEELb1ELb1EEENS1_16block_id_wrapperIjLb0EEEEEvT_jjPNS9_10value_typeET0_,comdat
	.protected	_ZN7rocprim17ROCPRIM_400000_NS6detail30init_device_scan_by_key_kernelINS1_19lookback_scan_stateINS0_5tupleIJjbEEELb1ELb1EEENS1_16block_id_wrapperIjLb0EEEEEvT_jjPNS9_10value_typeET0_ ; -- Begin function _ZN7rocprim17ROCPRIM_400000_NS6detail30init_device_scan_by_key_kernelINS1_19lookback_scan_stateINS0_5tupleIJjbEEELb1ELb1EEENS1_16block_id_wrapperIjLb0EEEEEvT_jjPNS9_10value_typeET0_
	.globl	_ZN7rocprim17ROCPRIM_400000_NS6detail30init_device_scan_by_key_kernelINS1_19lookback_scan_stateINS0_5tupleIJjbEEELb1ELb1EEENS1_16block_id_wrapperIjLb0EEEEEvT_jjPNS9_10value_typeET0_
	.p2align	8
	.type	_ZN7rocprim17ROCPRIM_400000_NS6detail30init_device_scan_by_key_kernelINS1_19lookback_scan_stateINS0_5tupleIJjbEEELb1ELb1EEENS1_16block_id_wrapperIjLb0EEEEEvT_jjPNS9_10value_typeET0_,@function
_ZN7rocprim17ROCPRIM_400000_NS6detail30init_device_scan_by_key_kernelINS1_19lookback_scan_stateINS0_5tupleIJjbEEELb1ELb1EEENS1_16block_id_wrapperIjLb0EEEEEvT_jjPNS9_10value_typeET0_: ; @_ZN7rocprim17ROCPRIM_400000_NS6detail30init_device_scan_by_key_kernelINS1_19lookback_scan_stateINS0_5tupleIJjbEEELb1ELb1EEENS1_16block_id_wrapperIjLb0EEEEEvT_jjPNS9_10value_typeET0_
; %bb.0:
	s_clause 0x2
	s_load_dword s7, s[4:5], 0x2c
	s_load_dwordx2 s[8:9], s[4:5], 0x10
	s_load_dwordx4 s[0:3], s[4:5], 0x0
	s_waitcnt lgkmcnt(0)
	s_and_b32 s4, s7, 0xffff
	s_cmp_eq_u64 s[8:9], 0
	v_mad_u64_u32 v[0:1], null, s6, s4, v[0:1]
	s_cbranch_scc1 .LBB1242_10
; %bb.1:
	s_cmp_lt_u32 s3, s2
	s_mov_b32 s5, 0
	s_cselect_b32 s4, s3, 0
	s_mov_b32 s6, exec_lo
	v_cmpx_eq_u32_e64 s4, v0
	s_cbranch_execz .LBB1242_9
; %bb.2:
	s_add_i32 s4, s3, 32
	v_mov_b32_e32 v5, 0
	s_lshl_b64 s[4:5], s[4:5], 4
	s_mov_b32 s3, exec_lo
	s_add_u32 s4, s0, s4
	s_addc_u32 s5, s1, s5
	v_mov_b32_e32 v1, s4
	v_mov_b32_e32 v2, s5
	;;#ASMSTART
	global_load_dwordx4 v[1:4], v[1:2] off glc dlc	
s_waitcnt vmcnt(0)
	;;#ASMEND
	v_and_b32_e32 v4, 0xff, v3
	v_cmpx_eq_u64_e32 0, v[4:5]
	s_cbranch_execz .LBB1242_8
; %bb.3:
	v_mov_b32_e32 v7, s5
	v_mov_b32_e32 v6, s4
	s_mov_b32 s5, 1
	s_mov_b32 s4, 0
	.p2align	6
.LBB1242_4:                             ; =>This Loop Header: Depth=1
                                        ;     Child Loop BB1242_5 Depth 2
	s_mov_b32 s7, s5
.LBB1242_5:                             ;   Parent Loop BB1242_4 Depth=1
                                        ; =>  This Inner Loop Header: Depth=2
	s_add_i32 s7, s7, -1
	s_sleep 1
	s_cmp_eq_u32 s7, 0
	s_cbranch_scc0 .LBB1242_5
; %bb.6:                                ;   in Loop: Header=BB1242_4 Depth=1
	;;#ASMSTART
	global_load_dwordx4 v[1:4], v[6:7] off glc dlc	
s_waitcnt vmcnt(0)
	;;#ASMEND
	v_and_b32_e32 v4, 0xff, v3
	s_cmp_lt_u32 s5, 32
	s_cselect_b32 s7, -1, 0
	s_cmp_lg_u32 s7, 0
	v_cmp_ne_u64_e32 vcc_lo, 0, v[4:5]
	s_addc_u32 s5, s5, 0
	s_or_b32 s4, vcc_lo, s4
	s_andn2_b32 exec_lo, exec_lo, s4
	s_cbranch_execnz .LBB1242_4
; %bb.7:
	s_or_b32 exec_lo, exec_lo, s4
.LBB1242_8:
	s_or_b32 exec_lo, exec_lo, s3
	v_mov_b32_e32 v3, 0
	global_store_dword v3, v1, s[8:9]
	global_store_byte v3, v2, s[8:9] offset:4
.LBB1242_9:
	s_or_b32 exec_lo, exec_lo, s6
.LBB1242_10:
	v_cmp_gt_u32_e32 vcc_lo, s2, v0
	s_and_saveexec_b32 s2, vcc_lo
	s_cbranch_execz .LBB1242_12
; %bb.11:
	v_add_nc_u32_e32 v1, 32, v0
	v_mov_b32_e32 v2, 0
	v_lshlrev_b64 v[4:5], 4, v[1:2]
	v_mov_b32_e32 v1, v2
	v_mov_b32_e32 v3, v2
	v_add_co_u32 v6, vcc_lo, s0, v4
	v_add_co_ci_u32_e64 v7, null, s1, v5, vcc_lo
	v_mov_b32_e32 v4, v2
	global_store_dwordx4 v[6:7], v[1:4], off
.LBB1242_12:
	s_or_b32 exec_lo, exec_lo, s2
	s_mov_b32 s2, exec_lo
	v_cmpx_gt_u32_e32 32, v0
	s_cbranch_execz .LBB1242_14
; %bb.13:
	v_mov_b32_e32 v1, 0
	v_mov_b32_e32 v2, 0xff
	v_lshlrev_b64 v[3:4], 4, v[0:1]
	v_mov_b32_e32 v0, v1
	v_add_co_u32 v5, vcc_lo, s0, v3
	v_add_co_ci_u32_e64 v6, null, s1, v4, vcc_lo
	v_mov_b32_e32 v3, v1
	global_store_dwordx4 v[5:6], v[0:3], off
.LBB1242_14:
	s_endpgm
	.section	.rodata,"a",@progbits
	.p2align	6, 0x0
	.amdhsa_kernel _ZN7rocprim17ROCPRIM_400000_NS6detail30init_device_scan_by_key_kernelINS1_19lookback_scan_stateINS0_5tupleIJjbEEELb1ELb1EEENS1_16block_id_wrapperIjLb0EEEEEvT_jjPNS9_10value_typeET0_
		.amdhsa_group_segment_fixed_size 0
		.amdhsa_private_segment_fixed_size 0
		.amdhsa_kernarg_size 288
		.amdhsa_user_sgpr_count 6
		.amdhsa_user_sgpr_private_segment_buffer 1
		.amdhsa_user_sgpr_dispatch_ptr 0
		.amdhsa_user_sgpr_queue_ptr 0
		.amdhsa_user_sgpr_kernarg_segment_ptr 1
		.amdhsa_user_sgpr_dispatch_id 0
		.amdhsa_user_sgpr_flat_scratch_init 0
		.amdhsa_user_sgpr_private_segment_size 0
		.amdhsa_wavefront_size32 1
		.amdhsa_uses_dynamic_stack 0
		.amdhsa_system_sgpr_private_segment_wavefront_offset 0
		.amdhsa_system_sgpr_workgroup_id_x 1
		.amdhsa_system_sgpr_workgroup_id_y 0
		.amdhsa_system_sgpr_workgroup_id_z 0
		.amdhsa_system_sgpr_workgroup_info 0
		.amdhsa_system_vgpr_workitem_id 0
		.amdhsa_next_free_vgpr 8
		.amdhsa_next_free_sgpr 10
		.amdhsa_reserve_vcc 1
		.amdhsa_reserve_flat_scratch 0
		.amdhsa_float_round_mode_32 0
		.amdhsa_float_round_mode_16_64 0
		.amdhsa_float_denorm_mode_32 3
		.amdhsa_float_denorm_mode_16_64 3
		.amdhsa_dx10_clamp 1
		.amdhsa_ieee_mode 1
		.amdhsa_fp16_overflow 0
		.amdhsa_workgroup_processor_mode 1
		.amdhsa_memory_ordered 1
		.amdhsa_forward_progress 1
		.amdhsa_shared_vgpr_count 0
		.amdhsa_exception_fp_ieee_invalid_op 0
		.amdhsa_exception_fp_denorm_src 0
		.amdhsa_exception_fp_ieee_div_zero 0
		.amdhsa_exception_fp_ieee_overflow 0
		.amdhsa_exception_fp_ieee_underflow 0
		.amdhsa_exception_fp_ieee_inexact 0
		.amdhsa_exception_int_div_zero 0
	.end_amdhsa_kernel
	.section	.text._ZN7rocprim17ROCPRIM_400000_NS6detail30init_device_scan_by_key_kernelINS1_19lookback_scan_stateINS0_5tupleIJjbEEELb1ELb1EEENS1_16block_id_wrapperIjLb0EEEEEvT_jjPNS9_10value_typeET0_,"axG",@progbits,_ZN7rocprim17ROCPRIM_400000_NS6detail30init_device_scan_by_key_kernelINS1_19lookback_scan_stateINS0_5tupleIJjbEEELb1ELb1EEENS1_16block_id_wrapperIjLb0EEEEEvT_jjPNS9_10value_typeET0_,comdat
.Lfunc_end1242:
	.size	_ZN7rocprim17ROCPRIM_400000_NS6detail30init_device_scan_by_key_kernelINS1_19lookback_scan_stateINS0_5tupleIJjbEEELb1ELb1EEENS1_16block_id_wrapperIjLb0EEEEEvT_jjPNS9_10value_typeET0_, .Lfunc_end1242-_ZN7rocprim17ROCPRIM_400000_NS6detail30init_device_scan_by_key_kernelINS1_19lookback_scan_stateINS0_5tupleIJjbEEELb1ELb1EEENS1_16block_id_wrapperIjLb0EEEEEvT_jjPNS9_10value_typeET0_
                                        ; -- End function
	.set _ZN7rocprim17ROCPRIM_400000_NS6detail30init_device_scan_by_key_kernelINS1_19lookback_scan_stateINS0_5tupleIJjbEEELb1ELb1EEENS1_16block_id_wrapperIjLb0EEEEEvT_jjPNS9_10value_typeET0_.num_vgpr, 8
	.set _ZN7rocprim17ROCPRIM_400000_NS6detail30init_device_scan_by_key_kernelINS1_19lookback_scan_stateINS0_5tupleIJjbEEELb1ELb1EEENS1_16block_id_wrapperIjLb0EEEEEvT_jjPNS9_10value_typeET0_.num_agpr, 0
	.set _ZN7rocprim17ROCPRIM_400000_NS6detail30init_device_scan_by_key_kernelINS1_19lookback_scan_stateINS0_5tupleIJjbEEELb1ELb1EEENS1_16block_id_wrapperIjLb0EEEEEvT_jjPNS9_10value_typeET0_.numbered_sgpr, 10
	.set _ZN7rocprim17ROCPRIM_400000_NS6detail30init_device_scan_by_key_kernelINS1_19lookback_scan_stateINS0_5tupleIJjbEEELb1ELb1EEENS1_16block_id_wrapperIjLb0EEEEEvT_jjPNS9_10value_typeET0_.num_named_barrier, 0
	.set _ZN7rocprim17ROCPRIM_400000_NS6detail30init_device_scan_by_key_kernelINS1_19lookback_scan_stateINS0_5tupleIJjbEEELb1ELb1EEENS1_16block_id_wrapperIjLb0EEEEEvT_jjPNS9_10value_typeET0_.private_seg_size, 0
	.set _ZN7rocprim17ROCPRIM_400000_NS6detail30init_device_scan_by_key_kernelINS1_19lookback_scan_stateINS0_5tupleIJjbEEELb1ELb1EEENS1_16block_id_wrapperIjLb0EEEEEvT_jjPNS9_10value_typeET0_.uses_vcc, 1
	.set _ZN7rocprim17ROCPRIM_400000_NS6detail30init_device_scan_by_key_kernelINS1_19lookback_scan_stateINS0_5tupleIJjbEEELb1ELb1EEENS1_16block_id_wrapperIjLb0EEEEEvT_jjPNS9_10value_typeET0_.uses_flat_scratch, 0
	.set _ZN7rocprim17ROCPRIM_400000_NS6detail30init_device_scan_by_key_kernelINS1_19lookback_scan_stateINS0_5tupleIJjbEEELb1ELb1EEENS1_16block_id_wrapperIjLb0EEEEEvT_jjPNS9_10value_typeET0_.has_dyn_sized_stack, 0
	.set _ZN7rocprim17ROCPRIM_400000_NS6detail30init_device_scan_by_key_kernelINS1_19lookback_scan_stateINS0_5tupleIJjbEEELb1ELb1EEENS1_16block_id_wrapperIjLb0EEEEEvT_jjPNS9_10value_typeET0_.has_recursion, 0
	.set _ZN7rocprim17ROCPRIM_400000_NS6detail30init_device_scan_by_key_kernelINS1_19lookback_scan_stateINS0_5tupleIJjbEEELb1ELb1EEENS1_16block_id_wrapperIjLb0EEEEEvT_jjPNS9_10value_typeET0_.has_indirect_call, 0
	.section	.AMDGPU.csdata,"",@progbits
; Kernel info:
; codeLenInByte = 460
; TotalNumSgprs: 12
; NumVgprs: 8
; ScratchSize: 0
; MemoryBound: 0
; FloatMode: 240
; IeeeMode: 1
; LDSByteSize: 0 bytes/workgroup (compile time only)
; SGPRBlocks: 0
; VGPRBlocks: 0
; NumSGPRsForWavesPerEU: 12
; NumVGPRsForWavesPerEU: 8
; Occupancy: 16
; WaveLimiterHint : 0
; COMPUTE_PGM_RSRC2:SCRATCH_EN: 0
; COMPUTE_PGM_RSRC2:USER_SGPR: 6
; COMPUTE_PGM_RSRC2:TRAP_HANDLER: 0
; COMPUTE_PGM_RSRC2:TGID_X_EN: 1
; COMPUTE_PGM_RSRC2:TGID_Y_EN: 0
; COMPUTE_PGM_RSRC2:TGID_Z_EN: 0
; COMPUTE_PGM_RSRC2:TIDIG_COMP_CNT: 0
	.section	.text._ZN7rocprim17ROCPRIM_400000_NS6detail17trampoline_kernelINS0_14default_configENS1_27scan_by_key_config_selectorIijEEZZNS1_16scan_by_key_implILNS1_25lookback_scan_determinismE0ELb0ES3_N6thrust23THRUST_200600_302600_NS6detail15normal_iteratorINS9_10device_ptrIiEEEENSB_INSC_IjEEEESG_jNS9_4plusIvEENS9_8equal_toIvEEjEE10hipError_tPvRmT2_T3_T4_T5_mT6_T7_P12ihipStream_tbENKUlT_T0_E_clISt17integral_constantIbLb1EES10_IbLb0EEEEDaSW_SX_EUlSW_E_NS1_11comp_targetILNS1_3genE0ELNS1_11target_archE4294967295ELNS1_3gpuE0ELNS1_3repE0EEENS1_30default_config_static_selectorELNS0_4arch9wavefront6targetE0EEEvT1_,"axG",@progbits,_ZN7rocprim17ROCPRIM_400000_NS6detail17trampoline_kernelINS0_14default_configENS1_27scan_by_key_config_selectorIijEEZZNS1_16scan_by_key_implILNS1_25lookback_scan_determinismE0ELb0ES3_N6thrust23THRUST_200600_302600_NS6detail15normal_iteratorINS9_10device_ptrIiEEEENSB_INSC_IjEEEESG_jNS9_4plusIvEENS9_8equal_toIvEEjEE10hipError_tPvRmT2_T3_T4_T5_mT6_T7_P12ihipStream_tbENKUlT_T0_E_clISt17integral_constantIbLb1EES10_IbLb0EEEEDaSW_SX_EUlSW_E_NS1_11comp_targetILNS1_3genE0ELNS1_11target_archE4294967295ELNS1_3gpuE0ELNS1_3repE0EEENS1_30default_config_static_selectorELNS0_4arch9wavefront6targetE0EEEvT1_,comdat
	.protected	_ZN7rocprim17ROCPRIM_400000_NS6detail17trampoline_kernelINS0_14default_configENS1_27scan_by_key_config_selectorIijEEZZNS1_16scan_by_key_implILNS1_25lookback_scan_determinismE0ELb0ES3_N6thrust23THRUST_200600_302600_NS6detail15normal_iteratorINS9_10device_ptrIiEEEENSB_INSC_IjEEEESG_jNS9_4plusIvEENS9_8equal_toIvEEjEE10hipError_tPvRmT2_T3_T4_T5_mT6_T7_P12ihipStream_tbENKUlT_T0_E_clISt17integral_constantIbLb1EES10_IbLb0EEEEDaSW_SX_EUlSW_E_NS1_11comp_targetILNS1_3genE0ELNS1_11target_archE4294967295ELNS1_3gpuE0ELNS1_3repE0EEENS1_30default_config_static_selectorELNS0_4arch9wavefront6targetE0EEEvT1_ ; -- Begin function _ZN7rocprim17ROCPRIM_400000_NS6detail17trampoline_kernelINS0_14default_configENS1_27scan_by_key_config_selectorIijEEZZNS1_16scan_by_key_implILNS1_25lookback_scan_determinismE0ELb0ES3_N6thrust23THRUST_200600_302600_NS6detail15normal_iteratorINS9_10device_ptrIiEEEENSB_INSC_IjEEEESG_jNS9_4plusIvEENS9_8equal_toIvEEjEE10hipError_tPvRmT2_T3_T4_T5_mT6_T7_P12ihipStream_tbENKUlT_T0_E_clISt17integral_constantIbLb1EES10_IbLb0EEEEDaSW_SX_EUlSW_E_NS1_11comp_targetILNS1_3genE0ELNS1_11target_archE4294967295ELNS1_3gpuE0ELNS1_3repE0EEENS1_30default_config_static_selectorELNS0_4arch9wavefront6targetE0EEEvT1_
	.globl	_ZN7rocprim17ROCPRIM_400000_NS6detail17trampoline_kernelINS0_14default_configENS1_27scan_by_key_config_selectorIijEEZZNS1_16scan_by_key_implILNS1_25lookback_scan_determinismE0ELb0ES3_N6thrust23THRUST_200600_302600_NS6detail15normal_iteratorINS9_10device_ptrIiEEEENSB_INSC_IjEEEESG_jNS9_4plusIvEENS9_8equal_toIvEEjEE10hipError_tPvRmT2_T3_T4_T5_mT6_T7_P12ihipStream_tbENKUlT_T0_E_clISt17integral_constantIbLb1EES10_IbLb0EEEEDaSW_SX_EUlSW_E_NS1_11comp_targetILNS1_3genE0ELNS1_11target_archE4294967295ELNS1_3gpuE0ELNS1_3repE0EEENS1_30default_config_static_selectorELNS0_4arch9wavefront6targetE0EEEvT1_
	.p2align	8
	.type	_ZN7rocprim17ROCPRIM_400000_NS6detail17trampoline_kernelINS0_14default_configENS1_27scan_by_key_config_selectorIijEEZZNS1_16scan_by_key_implILNS1_25lookback_scan_determinismE0ELb0ES3_N6thrust23THRUST_200600_302600_NS6detail15normal_iteratorINS9_10device_ptrIiEEEENSB_INSC_IjEEEESG_jNS9_4plusIvEENS9_8equal_toIvEEjEE10hipError_tPvRmT2_T3_T4_T5_mT6_T7_P12ihipStream_tbENKUlT_T0_E_clISt17integral_constantIbLb1EES10_IbLb0EEEEDaSW_SX_EUlSW_E_NS1_11comp_targetILNS1_3genE0ELNS1_11target_archE4294967295ELNS1_3gpuE0ELNS1_3repE0EEENS1_30default_config_static_selectorELNS0_4arch9wavefront6targetE0EEEvT1_,@function
_ZN7rocprim17ROCPRIM_400000_NS6detail17trampoline_kernelINS0_14default_configENS1_27scan_by_key_config_selectorIijEEZZNS1_16scan_by_key_implILNS1_25lookback_scan_determinismE0ELb0ES3_N6thrust23THRUST_200600_302600_NS6detail15normal_iteratorINS9_10device_ptrIiEEEENSB_INSC_IjEEEESG_jNS9_4plusIvEENS9_8equal_toIvEEjEE10hipError_tPvRmT2_T3_T4_T5_mT6_T7_P12ihipStream_tbENKUlT_T0_E_clISt17integral_constantIbLb1EES10_IbLb0EEEEDaSW_SX_EUlSW_E_NS1_11comp_targetILNS1_3genE0ELNS1_11target_archE4294967295ELNS1_3gpuE0ELNS1_3repE0EEENS1_30default_config_static_selectorELNS0_4arch9wavefront6targetE0EEEvT1_: ; @_ZN7rocprim17ROCPRIM_400000_NS6detail17trampoline_kernelINS0_14default_configENS1_27scan_by_key_config_selectorIijEEZZNS1_16scan_by_key_implILNS1_25lookback_scan_determinismE0ELb0ES3_N6thrust23THRUST_200600_302600_NS6detail15normal_iteratorINS9_10device_ptrIiEEEENSB_INSC_IjEEEESG_jNS9_4plusIvEENS9_8equal_toIvEEjEE10hipError_tPvRmT2_T3_T4_T5_mT6_T7_P12ihipStream_tbENKUlT_T0_E_clISt17integral_constantIbLb1EES10_IbLb0EEEEDaSW_SX_EUlSW_E_NS1_11comp_targetILNS1_3genE0ELNS1_11target_archE4294967295ELNS1_3gpuE0ELNS1_3repE0EEENS1_30default_config_static_selectorELNS0_4arch9wavefront6targetE0EEEvT1_
; %bb.0:
	.section	.rodata,"a",@progbits
	.p2align	6, 0x0
	.amdhsa_kernel _ZN7rocprim17ROCPRIM_400000_NS6detail17trampoline_kernelINS0_14default_configENS1_27scan_by_key_config_selectorIijEEZZNS1_16scan_by_key_implILNS1_25lookback_scan_determinismE0ELb0ES3_N6thrust23THRUST_200600_302600_NS6detail15normal_iteratorINS9_10device_ptrIiEEEENSB_INSC_IjEEEESG_jNS9_4plusIvEENS9_8equal_toIvEEjEE10hipError_tPvRmT2_T3_T4_T5_mT6_T7_P12ihipStream_tbENKUlT_T0_E_clISt17integral_constantIbLb1EES10_IbLb0EEEEDaSW_SX_EUlSW_E_NS1_11comp_targetILNS1_3genE0ELNS1_11target_archE4294967295ELNS1_3gpuE0ELNS1_3repE0EEENS1_30default_config_static_selectorELNS0_4arch9wavefront6targetE0EEEvT1_
		.amdhsa_group_segment_fixed_size 0
		.amdhsa_private_segment_fixed_size 0
		.amdhsa_kernarg_size 112
		.amdhsa_user_sgpr_count 6
		.amdhsa_user_sgpr_private_segment_buffer 1
		.amdhsa_user_sgpr_dispatch_ptr 0
		.amdhsa_user_sgpr_queue_ptr 0
		.amdhsa_user_sgpr_kernarg_segment_ptr 1
		.amdhsa_user_sgpr_dispatch_id 0
		.amdhsa_user_sgpr_flat_scratch_init 0
		.amdhsa_user_sgpr_private_segment_size 0
		.amdhsa_wavefront_size32 1
		.amdhsa_uses_dynamic_stack 0
		.amdhsa_system_sgpr_private_segment_wavefront_offset 0
		.amdhsa_system_sgpr_workgroup_id_x 1
		.amdhsa_system_sgpr_workgroup_id_y 0
		.amdhsa_system_sgpr_workgroup_id_z 0
		.amdhsa_system_sgpr_workgroup_info 0
		.amdhsa_system_vgpr_workitem_id 0
		.amdhsa_next_free_vgpr 1
		.amdhsa_next_free_sgpr 1
		.amdhsa_reserve_vcc 0
		.amdhsa_reserve_flat_scratch 0
		.amdhsa_float_round_mode_32 0
		.amdhsa_float_round_mode_16_64 0
		.amdhsa_float_denorm_mode_32 3
		.amdhsa_float_denorm_mode_16_64 3
		.amdhsa_dx10_clamp 1
		.amdhsa_ieee_mode 1
		.amdhsa_fp16_overflow 0
		.amdhsa_workgroup_processor_mode 1
		.amdhsa_memory_ordered 1
		.amdhsa_forward_progress 1
		.amdhsa_shared_vgpr_count 0
		.amdhsa_exception_fp_ieee_invalid_op 0
		.amdhsa_exception_fp_denorm_src 0
		.amdhsa_exception_fp_ieee_div_zero 0
		.amdhsa_exception_fp_ieee_overflow 0
		.amdhsa_exception_fp_ieee_underflow 0
		.amdhsa_exception_fp_ieee_inexact 0
		.amdhsa_exception_int_div_zero 0
	.end_amdhsa_kernel
	.section	.text._ZN7rocprim17ROCPRIM_400000_NS6detail17trampoline_kernelINS0_14default_configENS1_27scan_by_key_config_selectorIijEEZZNS1_16scan_by_key_implILNS1_25lookback_scan_determinismE0ELb0ES3_N6thrust23THRUST_200600_302600_NS6detail15normal_iteratorINS9_10device_ptrIiEEEENSB_INSC_IjEEEESG_jNS9_4plusIvEENS9_8equal_toIvEEjEE10hipError_tPvRmT2_T3_T4_T5_mT6_T7_P12ihipStream_tbENKUlT_T0_E_clISt17integral_constantIbLb1EES10_IbLb0EEEEDaSW_SX_EUlSW_E_NS1_11comp_targetILNS1_3genE0ELNS1_11target_archE4294967295ELNS1_3gpuE0ELNS1_3repE0EEENS1_30default_config_static_selectorELNS0_4arch9wavefront6targetE0EEEvT1_,"axG",@progbits,_ZN7rocprim17ROCPRIM_400000_NS6detail17trampoline_kernelINS0_14default_configENS1_27scan_by_key_config_selectorIijEEZZNS1_16scan_by_key_implILNS1_25lookback_scan_determinismE0ELb0ES3_N6thrust23THRUST_200600_302600_NS6detail15normal_iteratorINS9_10device_ptrIiEEEENSB_INSC_IjEEEESG_jNS9_4plusIvEENS9_8equal_toIvEEjEE10hipError_tPvRmT2_T3_T4_T5_mT6_T7_P12ihipStream_tbENKUlT_T0_E_clISt17integral_constantIbLb1EES10_IbLb0EEEEDaSW_SX_EUlSW_E_NS1_11comp_targetILNS1_3genE0ELNS1_11target_archE4294967295ELNS1_3gpuE0ELNS1_3repE0EEENS1_30default_config_static_selectorELNS0_4arch9wavefront6targetE0EEEvT1_,comdat
.Lfunc_end1243:
	.size	_ZN7rocprim17ROCPRIM_400000_NS6detail17trampoline_kernelINS0_14default_configENS1_27scan_by_key_config_selectorIijEEZZNS1_16scan_by_key_implILNS1_25lookback_scan_determinismE0ELb0ES3_N6thrust23THRUST_200600_302600_NS6detail15normal_iteratorINS9_10device_ptrIiEEEENSB_INSC_IjEEEESG_jNS9_4plusIvEENS9_8equal_toIvEEjEE10hipError_tPvRmT2_T3_T4_T5_mT6_T7_P12ihipStream_tbENKUlT_T0_E_clISt17integral_constantIbLb1EES10_IbLb0EEEEDaSW_SX_EUlSW_E_NS1_11comp_targetILNS1_3genE0ELNS1_11target_archE4294967295ELNS1_3gpuE0ELNS1_3repE0EEENS1_30default_config_static_selectorELNS0_4arch9wavefront6targetE0EEEvT1_, .Lfunc_end1243-_ZN7rocprim17ROCPRIM_400000_NS6detail17trampoline_kernelINS0_14default_configENS1_27scan_by_key_config_selectorIijEEZZNS1_16scan_by_key_implILNS1_25lookback_scan_determinismE0ELb0ES3_N6thrust23THRUST_200600_302600_NS6detail15normal_iteratorINS9_10device_ptrIiEEEENSB_INSC_IjEEEESG_jNS9_4plusIvEENS9_8equal_toIvEEjEE10hipError_tPvRmT2_T3_T4_T5_mT6_T7_P12ihipStream_tbENKUlT_T0_E_clISt17integral_constantIbLb1EES10_IbLb0EEEEDaSW_SX_EUlSW_E_NS1_11comp_targetILNS1_3genE0ELNS1_11target_archE4294967295ELNS1_3gpuE0ELNS1_3repE0EEENS1_30default_config_static_selectorELNS0_4arch9wavefront6targetE0EEEvT1_
                                        ; -- End function
	.set _ZN7rocprim17ROCPRIM_400000_NS6detail17trampoline_kernelINS0_14default_configENS1_27scan_by_key_config_selectorIijEEZZNS1_16scan_by_key_implILNS1_25lookback_scan_determinismE0ELb0ES3_N6thrust23THRUST_200600_302600_NS6detail15normal_iteratorINS9_10device_ptrIiEEEENSB_INSC_IjEEEESG_jNS9_4plusIvEENS9_8equal_toIvEEjEE10hipError_tPvRmT2_T3_T4_T5_mT6_T7_P12ihipStream_tbENKUlT_T0_E_clISt17integral_constantIbLb1EES10_IbLb0EEEEDaSW_SX_EUlSW_E_NS1_11comp_targetILNS1_3genE0ELNS1_11target_archE4294967295ELNS1_3gpuE0ELNS1_3repE0EEENS1_30default_config_static_selectorELNS0_4arch9wavefront6targetE0EEEvT1_.num_vgpr, 0
	.set _ZN7rocprim17ROCPRIM_400000_NS6detail17trampoline_kernelINS0_14default_configENS1_27scan_by_key_config_selectorIijEEZZNS1_16scan_by_key_implILNS1_25lookback_scan_determinismE0ELb0ES3_N6thrust23THRUST_200600_302600_NS6detail15normal_iteratorINS9_10device_ptrIiEEEENSB_INSC_IjEEEESG_jNS9_4plusIvEENS9_8equal_toIvEEjEE10hipError_tPvRmT2_T3_T4_T5_mT6_T7_P12ihipStream_tbENKUlT_T0_E_clISt17integral_constantIbLb1EES10_IbLb0EEEEDaSW_SX_EUlSW_E_NS1_11comp_targetILNS1_3genE0ELNS1_11target_archE4294967295ELNS1_3gpuE0ELNS1_3repE0EEENS1_30default_config_static_selectorELNS0_4arch9wavefront6targetE0EEEvT1_.num_agpr, 0
	.set _ZN7rocprim17ROCPRIM_400000_NS6detail17trampoline_kernelINS0_14default_configENS1_27scan_by_key_config_selectorIijEEZZNS1_16scan_by_key_implILNS1_25lookback_scan_determinismE0ELb0ES3_N6thrust23THRUST_200600_302600_NS6detail15normal_iteratorINS9_10device_ptrIiEEEENSB_INSC_IjEEEESG_jNS9_4plusIvEENS9_8equal_toIvEEjEE10hipError_tPvRmT2_T3_T4_T5_mT6_T7_P12ihipStream_tbENKUlT_T0_E_clISt17integral_constantIbLb1EES10_IbLb0EEEEDaSW_SX_EUlSW_E_NS1_11comp_targetILNS1_3genE0ELNS1_11target_archE4294967295ELNS1_3gpuE0ELNS1_3repE0EEENS1_30default_config_static_selectorELNS0_4arch9wavefront6targetE0EEEvT1_.numbered_sgpr, 0
	.set _ZN7rocprim17ROCPRIM_400000_NS6detail17trampoline_kernelINS0_14default_configENS1_27scan_by_key_config_selectorIijEEZZNS1_16scan_by_key_implILNS1_25lookback_scan_determinismE0ELb0ES3_N6thrust23THRUST_200600_302600_NS6detail15normal_iteratorINS9_10device_ptrIiEEEENSB_INSC_IjEEEESG_jNS9_4plusIvEENS9_8equal_toIvEEjEE10hipError_tPvRmT2_T3_T4_T5_mT6_T7_P12ihipStream_tbENKUlT_T0_E_clISt17integral_constantIbLb1EES10_IbLb0EEEEDaSW_SX_EUlSW_E_NS1_11comp_targetILNS1_3genE0ELNS1_11target_archE4294967295ELNS1_3gpuE0ELNS1_3repE0EEENS1_30default_config_static_selectorELNS0_4arch9wavefront6targetE0EEEvT1_.num_named_barrier, 0
	.set _ZN7rocprim17ROCPRIM_400000_NS6detail17trampoline_kernelINS0_14default_configENS1_27scan_by_key_config_selectorIijEEZZNS1_16scan_by_key_implILNS1_25lookback_scan_determinismE0ELb0ES3_N6thrust23THRUST_200600_302600_NS6detail15normal_iteratorINS9_10device_ptrIiEEEENSB_INSC_IjEEEESG_jNS9_4plusIvEENS9_8equal_toIvEEjEE10hipError_tPvRmT2_T3_T4_T5_mT6_T7_P12ihipStream_tbENKUlT_T0_E_clISt17integral_constantIbLb1EES10_IbLb0EEEEDaSW_SX_EUlSW_E_NS1_11comp_targetILNS1_3genE0ELNS1_11target_archE4294967295ELNS1_3gpuE0ELNS1_3repE0EEENS1_30default_config_static_selectorELNS0_4arch9wavefront6targetE0EEEvT1_.private_seg_size, 0
	.set _ZN7rocprim17ROCPRIM_400000_NS6detail17trampoline_kernelINS0_14default_configENS1_27scan_by_key_config_selectorIijEEZZNS1_16scan_by_key_implILNS1_25lookback_scan_determinismE0ELb0ES3_N6thrust23THRUST_200600_302600_NS6detail15normal_iteratorINS9_10device_ptrIiEEEENSB_INSC_IjEEEESG_jNS9_4plusIvEENS9_8equal_toIvEEjEE10hipError_tPvRmT2_T3_T4_T5_mT6_T7_P12ihipStream_tbENKUlT_T0_E_clISt17integral_constantIbLb1EES10_IbLb0EEEEDaSW_SX_EUlSW_E_NS1_11comp_targetILNS1_3genE0ELNS1_11target_archE4294967295ELNS1_3gpuE0ELNS1_3repE0EEENS1_30default_config_static_selectorELNS0_4arch9wavefront6targetE0EEEvT1_.uses_vcc, 0
	.set _ZN7rocprim17ROCPRIM_400000_NS6detail17trampoline_kernelINS0_14default_configENS1_27scan_by_key_config_selectorIijEEZZNS1_16scan_by_key_implILNS1_25lookback_scan_determinismE0ELb0ES3_N6thrust23THRUST_200600_302600_NS6detail15normal_iteratorINS9_10device_ptrIiEEEENSB_INSC_IjEEEESG_jNS9_4plusIvEENS9_8equal_toIvEEjEE10hipError_tPvRmT2_T3_T4_T5_mT6_T7_P12ihipStream_tbENKUlT_T0_E_clISt17integral_constantIbLb1EES10_IbLb0EEEEDaSW_SX_EUlSW_E_NS1_11comp_targetILNS1_3genE0ELNS1_11target_archE4294967295ELNS1_3gpuE0ELNS1_3repE0EEENS1_30default_config_static_selectorELNS0_4arch9wavefront6targetE0EEEvT1_.uses_flat_scratch, 0
	.set _ZN7rocprim17ROCPRIM_400000_NS6detail17trampoline_kernelINS0_14default_configENS1_27scan_by_key_config_selectorIijEEZZNS1_16scan_by_key_implILNS1_25lookback_scan_determinismE0ELb0ES3_N6thrust23THRUST_200600_302600_NS6detail15normal_iteratorINS9_10device_ptrIiEEEENSB_INSC_IjEEEESG_jNS9_4plusIvEENS9_8equal_toIvEEjEE10hipError_tPvRmT2_T3_T4_T5_mT6_T7_P12ihipStream_tbENKUlT_T0_E_clISt17integral_constantIbLb1EES10_IbLb0EEEEDaSW_SX_EUlSW_E_NS1_11comp_targetILNS1_3genE0ELNS1_11target_archE4294967295ELNS1_3gpuE0ELNS1_3repE0EEENS1_30default_config_static_selectorELNS0_4arch9wavefront6targetE0EEEvT1_.has_dyn_sized_stack, 0
	.set _ZN7rocprim17ROCPRIM_400000_NS6detail17trampoline_kernelINS0_14default_configENS1_27scan_by_key_config_selectorIijEEZZNS1_16scan_by_key_implILNS1_25lookback_scan_determinismE0ELb0ES3_N6thrust23THRUST_200600_302600_NS6detail15normal_iteratorINS9_10device_ptrIiEEEENSB_INSC_IjEEEESG_jNS9_4plusIvEENS9_8equal_toIvEEjEE10hipError_tPvRmT2_T3_T4_T5_mT6_T7_P12ihipStream_tbENKUlT_T0_E_clISt17integral_constantIbLb1EES10_IbLb0EEEEDaSW_SX_EUlSW_E_NS1_11comp_targetILNS1_3genE0ELNS1_11target_archE4294967295ELNS1_3gpuE0ELNS1_3repE0EEENS1_30default_config_static_selectorELNS0_4arch9wavefront6targetE0EEEvT1_.has_recursion, 0
	.set _ZN7rocprim17ROCPRIM_400000_NS6detail17trampoline_kernelINS0_14default_configENS1_27scan_by_key_config_selectorIijEEZZNS1_16scan_by_key_implILNS1_25lookback_scan_determinismE0ELb0ES3_N6thrust23THRUST_200600_302600_NS6detail15normal_iteratorINS9_10device_ptrIiEEEENSB_INSC_IjEEEESG_jNS9_4plusIvEENS9_8equal_toIvEEjEE10hipError_tPvRmT2_T3_T4_T5_mT6_T7_P12ihipStream_tbENKUlT_T0_E_clISt17integral_constantIbLb1EES10_IbLb0EEEEDaSW_SX_EUlSW_E_NS1_11comp_targetILNS1_3genE0ELNS1_11target_archE4294967295ELNS1_3gpuE0ELNS1_3repE0EEENS1_30default_config_static_selectorELNS0_4arch9wavefront6targetE0EEEvT1_.has_indirect_call, 0
	.section	.AMDGPU.csdata,"",@progbits
; Kernel info:
; codeLenInByte = 0
; TotalNumSgprs: 0
; NumVgprs: 0
; ScratchSize: 0
; MemoryBound: 0
; FloatMode: 240
; IeeeMode: 1
; LDSByteSize: 0 bytes/workgroup (compile time only)
; SGPRBlocks: 0
; VGPRBlocks: 0
; NumSGPRsForWavesPerEU: 1
; NumVGPRsForWavesPerEU: 1
; Occupancy: 16
; WaveLimiterHint : 0
; COMPUTE_PGM_RSRC2:SCRATCH_EN: 0
; COMPUTE_PGM_RSRC2:USER_SGPR: 6
; COMPUTE_PGM_RSRC2:TRAP_HANDLER: 0
; COMPUTE_PGM_RSRC2:TGID_X_EN: 1
; COMPUTE_PGM_RSRC2:TGID_Y_EN: 0
; COMPUTE_PGM_RSRC2:TGID_Z_EN: 0
; COMPUTE_PGM_RSRC2:TIDIG_COMP_CNT: 0
	.section	.text._ZN7rocprim17ROCPRIM_400000_NS6detail17trampoline_kernelINS0_14default_configENS1_27scan_by_key_config_selectorIijEEZZNS1_16scan_by_key_implILNS1_25lookback_scan_determinismE0ELb0ES3_N6thrust23THRUST_200600_302600_NS6detail15normal_iteratorINS9_10device_ptrIiEEEENSB_INSC_IjEEEESG_jNS9_4plusIvEENS9_8equal_toIvEEjEE10hipError_tPvRmT2_T3_T4_T5_mT6_T7_P12ihipStream_tbENKUlT_T0_E_clISt17integral_constantIbLb1EES10_IbLb0EEEEDaSW_SX_EUlSW_E_NS1_11comp_targetILNS1_3genE10ELNS1_11target_archE1201ELNS1_3gpuE5ELNS1_3repE0EEENS1_30default_config_static_selectorELNS0_4arch9wavefront6targetE0EEEvT1_,"axG",@progbits,_ZN7rocprim17ROCPRIM_400000_NS6detail17trampoline_kernelINS0_14default_configENS1_27scan_by_key_config_selectorIijEEZZNS1_16scan_by_key_implILNS1_25lookback_scan_determinismE0ELb0ES3_N6thrust23THRUST_200600_302600_NS6detail15normal_iteratorINS9_10device_ptrIiEEEENSB_INSC_IjEEEESG_jNS9_4plusIvEENS9_8equal_toIvEEjEE10hipError_tPvRmT2_T3_T4_T5_mT6_T7_P12ihipStream_tbENKUlT_T0_E_clISt17integral_constantIbLb1EES10_IbLb0EEEEDaSW_SX_EUlSW_E_NS1_11comp_targetILNS1_3genE10ELNS1_11target_archE1201ELNS1_3gpuE5ELNS1_3repE0EEENS1_30default_config_static_selectorELNS0_4arch9wavefront6targetE0EEEvT1_,comdat
	.protected	_ZN7rocprim17ROCPRIM_400000_NS6detail17trampoline_kernelINS0_14default_configENS1_27scan_by_key_config_selectorIijEEZZNS1_16scan_by_key_implILNS1_25lookback_scan_determinismE0ELb0ES3_N6thrust23THRUST_200600_302600_NS6detail15normal_iteratorINS9_10device_ptrIiEEEENSB_INSC_IjEEEESG_jNS9_4plusIvEENS9_8equal_toIvEEjEE10hipError_tPvRmT2_T3_T4_T5_mT6_T7_P12ihipStream_tbENKUlT_T0_E_clISt17integral_constantIbLb1EES10_IbLb0EEEEDaSW_SX_EUlSW_E_NS1_11comp_targetILNS1_3genE10ELNS1_11target_archE1201ELNS1_3gpuE5ELNS1_3repE0EEENS1_30default_config_static_selectorELNS0_4arch9wavefront6targetE0EEEvT1_ ; -- Begin function _ZN7rocprim17ROCPRIM_400000_NS6detail17trampoline_kernelINS0_14default_configENS1_27scan_by_key_config_selectorIijEEZZNS1_16scan_by_key_implILNS1_25lookback_scan_determinismE0ELb0ES3_N6thrust23THRUST_200600_302600_NS6detail15normal_iteratorINS9_10device_ptrIiEEEENSB_INSC_IjEEEESG_jNS9_4plusIvEENS9_8equal_toIvEEjEE10hipError_tPvRmT2_T3_T4_T5_mT6_T7_P12ihipStream_tbENKUlT_T0_E_clISt17integral_constantIbLb1EES10_IbLb0EEEEDaSW_SX_EUlSW_E_NS1_11comp_targetILNS1_3genE10ELNS1_11target_archE1201ELNS1_3gpuE5ELNS1_3repE0EEENS1_30default_config_static_selectorELNS0_4arch9wavefront6targetE0EEEvT1_
	.globl	_ZN7rocprim17ROCPRIM_400000_NS6detail17trampoline_kernelINS0_14default_configENS1_27scan_by_key_config_selectorIijEEZZNS1_16scan_by_key_implILNS1_25lookback_scan_determinismE0ELb0ES3_N6thrust23THRUST_200600_302600_NS6detail15normal_iteratorINS9_10device_ptrIiEEEENSB_INSC_IjEEEESG_jNS9_4plusIvEENS9_8equal_toIvEEjEE10hipError_tPvRmT2_T3_T4_T5_mT6_T7_P12ihipStream_tbENKUlT_T0_E_clISt17integral_constantIbLb1EES10_IbLb0EEEEDaSW_SX_EUlSW_E_NS1_11comp_targetILNS1_3genE10ELNS1_11target_archE1201ELNS1_3gpuE5ELNS1_3repE0EEENS1_30default_config_static_selectorELNS0_4arch9wavefront6targetE0EEEvT1_
	.p2align	8
	.type	_ZN7rocprim17ROCPRIM_400000_NS6detail17trampoline_kernelINS0_14default_configENS1_27scan_by_key_config_selectorIijEEZZNS1_16scan_by_key_implILNS1_25lookback_scan_determinismE0ELb0ES3_N6thrust23THRUST_200600_302600_NS6detail15normal_iteratorINS9_10device_ptrIiEEEENSB_INSC_IjEEEESG_jNS9_4plusIvEENS9_8equal_toIvEEjEE10hipError_tPvRmT2_T3_T4_T5_mT6_T7_P12ihipStream_tbENKUlT_T0_E_clISt17integral_constantIbLb1EES10_IbLb0EEEEDaSW_SX_EUlSW_E_NS1_11comp_targetILNS1_3genE10ELNS1_11target_archE1201ELNS1_3gpuE5ELNS1_3repE0EEENS1_30default_config_static_selectorELNS0_4arch9wavefront6targetE0EEEvT1_,@function
_ZN7rocprim17ROCPRIM_400000_NS6detail17trampoline_kernelINS0_14default_configENS1_27scan_by_key_config_selectorIijEEZZNS1_16scan_by_key_implILNS1_25lookback_scan_determinismE0ELb0ES3_N6thrust23THRUST_200600_302600_NS6detail15normal_iteratorINS9_10device_ptrIiEEEENSB_INSC_IjEEEESG_jNS9_4plusIvEENS9_8equal_toIvEEjEE10hipError_tPvRmT2_T3_T4_T5_mT6_T7_P12ihipStream_tbENKUlT_T0_E_clISt17integral_constantIbLb1EES10_IbLb0EEEEDaSW_SX_EUlSW_E_NS1_11comp_targetILNS1_3genE10ELNS1_11target_archE1201ELNS1_3gpuE5ELNS1_3repE0EEENS1_30default_config_static_selectorELNS0_4arch9wavefront6targetE0EEEvT1_: ; @_ZN7rocprim17ROCPRIM_400000_NS6detail17trampoline_kernelINS0_14default_configENS1_27scan_by_key_config_selectorIijEEZZNS1_16scan_by_key_implILNS1_25lookback_scan_determinismE0ELb0ES3_N6thrust23THRUST_200600_302600_NS6detail15normal_iteratorINS9_10device_ptrIiEEEENSB_INSC_IjEEEESG_jNS9_4plusIvEENS9_8equal_toIvEEjEE10hipError_tPvRmT2_T3_T4_T5_mT6_T7_P12ihipStream_tbENKUlT_T0_E_clISt17integral_constantIbLb1EES10_IbLb0EEEEDaSW_SX_EUlSW_E_NS1_11comp_targetILNS1_3genE10ELNS1_11target_archE1201ELNS1_3gpuE5ELNS1_3repE0EEENS1_30default_config_static_selectorELNS0_4arch9wavefront6targetE0EEEvT1_
; %bb.0:
	.section	.rodata,"a",@progbits
	.p2align	6, 0x0
	.amdhsa_kernel _ZN7rocprim17ROCPRIM_400000_NS6detail17trampoline_kernelINS0_14default_configENS1_27scan_by_key_config_selectorIijEEZZNS1_16scan_by_key_implILNS1_25lookback_scan_determinismE0ELb0ES3_N6thrust23THRUST_200600_302600_NS6detail15normal_iteratorINS9_10device_ptrIiEEEENSB_INSC_IjEEEESG_jNS9_4plusIvEENS9_8equal_toIvEEjEE10hipError_tPvRmT2_T3_T4_T5_mT6_T7_P12ihipStream_tbENKUlT_T0_E_clISt17integral_constantIbLb1EES10_IbLb0EEEEDaSW_SX_EUlSW_E_NS1_11comp_targetILNS1_3genE10ELNS1_11target_archE1201ELNS1_3gpuE5ELNS1_3repE0EEENS1_30default_config_static_selectorELNS0_4arch9wavefront6targetE0EEEvT1_
		.amdhsa_group_segment_fixed_size 0
		.amdhsa_private_segment_fixed_size 0
		.amdhsa_kernarg_size 112
		.amdhsa_user_sgpr_count 6
		.amdhsa_user_sgpr_private_segment_buffer 1
		.amdhsa_user_sgpr_dispatch_ptr 0
		.amdhsa_user_sgpr_queue_ptr 0
		.amdhsa_user_sgpr_kernarg_segment_ptr 1
		.amdhsa_user_sgpr_dispatch_id 0
		.amdhsa_user_sgpr_flat_scratch_init 0
		.amdhsa_user_sgpr_private_segment_size 0
		.amdhsa_wavefront_size32 1
		.amdhsa_uses_dynamic_stack 0
		.amdhsa_system_sgpr_private_segment_wavefront_offset 0
		.amdhsa_system_sgpr_workgroup_id_x 1
		.amdhsa_system_sgpr_workgroup_id_y 0
		.amdhsa_system_sgpr_workgroup_id_z 0
		.amdhsa_system_sgpr_workgroup_info 0
		.amdhsa_system_vgpr_workitem_id 0
		.amdhsa_next_free_vgpr 1
		.amdhsa_next_free_sgpr 1
		.amdhsa_reserve_vcc 0
		.amdhsa_reserve_flat_scratch 0
		.amdhsa_float_round_mode_32 0
		.amdhsa_float_round_mode_16_64 0
		.amdhsa_float_denorm_mode_32 3
		.amdhsa_float_denorm_mode_16_64 3
		.amdhsa_dx10_clamp 1
		.amdhsa_ieee_mode 1
		.amdhsa_fp16_overflow 0
		.amdhsa_workgroup_processor_mode 1
		.amdhsa_memory_ordered 1
		.amdhsa_forward_progress 1
		.amdhsa_shared_vgpr_count 0
		.amdhsa_exception_fp_ieee_invalid_op 0
		.amdhsa_exception_fp_denorm_src 0
		.amdhsa_exception_fp_ieee_div_zero 0
		.amdhsa_exception_fp_ieee_overflow 0
		.amdhsa_exception_fp_ieee_underflow 0
		.amdhsa_exception_fp_ieee_inexact 0
		.amdhsa_exception_int_div_zero 0
	.end_amdhsa_kernel
	.section	.text._ZN7rocprim17ROCPRIM_400000_NS6detail17trampoline_kernelINS0_14default_configENS1_27scan_by_key_config_selectorIijEEZZNS1_16scan_by_key_implILNS1_25lookback_scan_determinismE0ELb0ES3_N6thrust23THRUST_200600_302600_NS6detail15normal_iteratorINS9_10device_ptrIiEEEENSB_INSC_IjEEEESG_jNS9_4plusIvEENS9_8equal_toIvEEjEE10hipError_tPvRmT2_T3_T4_T5_mT6_T7_P12ihipStream_tbENKUlT_T0_E_clISt17integral_constantIbLb1EES10_IbLb0EEEEDaSW_SX_EUlSW_E_NS1_11comp_targetILNS1_3genE10ELNS1_11target_archE1201ELNS1_3gpuE5ELNS1_3repE0EEENS1_30default_config_static_selectorELNS0_4arch9wavefront6targetE0EEEvT1_,"axG",@progbits,_ZN7rocprim17ROCPRIM_400000_NS6detail17trampoline_kernelINS0_14default_configENS1_27scan_by_key_config_selectorIijEEZZNS1_16scan_by_key_implILNS1_25lookback_scan_determinismE0ELb0ES3_N6thrust23THRUST_200600_302600_NS6detail15normal_iteratorINS9_10device_ptrIiEEEENSB_INSC_IjEEEESG_jNS9_4plusIvEENS9_8equal_toIvEEjEE10hipError_tPvRmT2_T3_T4_T5_mT6_T7_P12ihipStream_tbENKUlT_T0_E_clISt17integral_constantIbLb1EES10_IbLb0EEEEDaSW_SX_EUlSW_E_NS1_11comp_targetILNS1_3genE10ELNS1_11target_archE1201ELNS1_3gpuE5ELNS1_3repE0EEENS1_30default_config_static_selectorELNS0_4arch9wavefront6targetE0EEEvT1_,comdat
.Lfunc_end1244:
	.size	_ZN7rocprim17ROCPRIM_400000_NS6detail17trampoline_kernelINS0_14default_configENS1_27scan_by_key_config_selectorIijEEZZNS1_16scan_by_key_implILNS1_25lookback_scan_determinismE0ELb0ES3_N6thrust23THRUST_200600_302600_NS6detail15normal_iteratorINS9_10device_ptrIiEEEENSB_INSC_IjEEEESG_jNS9_4plusIvEENS9_8equal_toIvEEjEE10hipError_tPvRmT2_T3_T4_T5_mT6_T7_P12ihipStream_tbENKUlT_T0_E_clISt17integral_constantIbLb1EES10_IbLb0EEEEDaSW_SX_EUlSW_E_NS1_11comp_targetILNS1_3genE10ELNS1_11target_archE1201ELNS1_3gpuE5ELNS1_3repE0EEENS1_30default_config_static_selectorELNS0_4arch9wavefront6targetE0EEEvT1_, .Lfunc_end1244-_ZN7rocprim17ROCPRIM_400000_NS6detail17trampoline_kernelINS0_14default_configENS1_27scan_by_key_config_selectorIijEEZZNS1_16scan_by_key_implILNS1_25lookback_scan_determinismE0ELb0ES3_N6thrust23THRUST_200600_302600_NS6detail15normal_iteratorINS9_10device_ptrIiEEEENSB_INSC_IjEEEESG_jNS9_4plusIvEENS9_8equal_toIvEEjEE10hipError_tPvRmT2_T3_T4_T5_mT6_T7_P12ihipStream_tbENKUlT_T0_E_clISt17integral_constantIbLb1EES10_IbLb0EEEEDaSW_SX_EUlSW_E_NS1_11comp_targetILNS1_3genE10ELNS1_11target_archE1201ELNS1_3gpuE5ELNS1_3repE0EEENS1_30default_config_static_selectorELNS0_4arch9wavefront6targetE0EEEvT1_
                                        ; -- End function
	.set _ZN7rocprim17ROCPRIM_400000_NS6detail17trampoline_kernelINS0_14default_configENS1_27scan_by_key_config_selectorIijEEZZNS1_16scan_by_key_implILNS1_25lookback_scan_determinismE0ELb0ES3_N6thrust23THRUST_200600_302600_NS6detail15normal_iteratorINS9_10device_ptrIiEEEENSB_INSC_IjEEEESG_jNS9_4plusIvEENS9_8equal_toIvEEjEE10hipError_tPvRmT2_T3_T4_T5_mT6_T7_P12ihipStream_tbENKUlT_T0_E_clISt17integral_constantIbLb1EES10_IbLb0EEEEDaSW_SX_EUlSW_E_NS1_11comp_targetILNS1_3genE10ELNS1_11target_archE1201ELNS1_3gpuE5ELNS1_3repE0EEENS1_30default_config_static_selectorELNS0_4arch9wavefront6targetE0EEEvT1_.num_vgpr, 0
	.set _ZN7rocprim17ROCPRIM_400000_NS6detail17trampoline_kernelINS0_14default_configENS1_27scan_by_key_config_selectorIijEEZZNS1_16scan_by_key_implILNS1_25lookback_scan_determinismE0ELb0ES3_N6thrust23THRUST_200600_302600_NS6detail15normal_iteratorINS9_10device_ptrIiEEEENSB_INSC_IjEEEESG_jNS9_4plusIvEENS9_8equal_toIvEEjEE10hipError_tPvRmT2_T3_T4_T5_mT6_T7_P12ihipStream_tbENKUlT_T0_E_clISt17integral_constantIbLb1EES10_IbLb0EEEEDaSW_SX_EUlSW_E_NS1_11comp_targetILNS1_3genE10ELNS1_11target_archE1201ELNS1_3gpuE5ELNS1_3repE0EEENS1_30default_config_static_selectorELNS0_4arch9wavefront6targetE0EEEvT1_.num_agpr, 0
	.set _ZN7rocprim17ROCPRIM_400000_NS6detail17trampoline_kernelINS0_14default_configENS1_27scan_by_key_config_selectorIijEEZZNS1_16scan_by_key_implILNS1_25lookback_scan_determinismE0ELb0ES3_N6thrust23THRUST_200600_302600_NS6detail15normal_iteratorINS9_10device_ptrIiEEEENSB_INSC_IjEEEESG_jNS9_4plusIvEENS9_8equal_toIvEEjEE10hipError_tPvRmT2_T3_T4_T5_mT6_T7_P12ihipStream_tbENKUlT_T0_E_clISt17integral_constantIbLb1EES10_IbLb0EEEEDaSW_SX_EUlSW_E_NS1_11comp_targetILNS1_3genE10ELNS1_11target_archE1201ELNS1_3gpuE5ELNS1_3repE0EEENS1_30default_config_static_selectorELNS0_4arch9wavefront6targetE0EEEvT1_.numbered_sgpr, 0
	.set _ZN7rocprim17ROCPRIM_400000_NS6detail17trampoline_kernelINS0_14default_configENS1_27scan_by_key_config_selectorIijEEZZNS1_16scan_by_key_implILNS1_25lookback_scan_determinismE0ELb0ES3_N6thrust23THRUST_200600_302600_NS6detail15normal_iteratorINS9_10device_ptrIiEEEENSB_INSC_IjEEEESG_jNS9_4plusIvEENS9_8equal_toIvEEjEE10hipError_tPvRmT2_T3_T4_T5_mT6_T7_P12ihipStream_tbENKUlT_T0_E_clISt17integral_constantIbLb1EES10_IbLb0EEEEDaSW_SX_EUlSW_E_NS1_11comp_targetILNS1_3genE10ELNS1_11target_archE1201ELNS1_3gpuE5ELNS1_3repE0EEENS1_30default_config_static_selectorELNS0_4arch9wavefront6targetE0EEEvT1_.num_named_barrier, 0
	.set _ZN7rocprim17ROCPRIM_400000_NS6detail17trampoline_kernelINS0_14default_configENS1_27scan_by_key_config_selectorIijEEZZNS1_16scan_by_key_implILNS1_25lookback_scan_determinismE0ELb0ES3_N6thrust23THRUST_200600_302600_NS6detail15normal_iteratorINS9_10device_ptrIiEEEENSB_INSC_IjEEEESG_jNS9_4plusIvEENS9_8equal_toIvEEjEE10hipError_tPvRmT2_T3_T4_T5_mT6_T7_P12ihipStream_tbENKUlT_T0_E_clISt17integral_constantIbLb1EES10_IbLb0EEEEDaSW_SX_EUlSW_E_NS1_11comp_targetILNS1_3genE10ELNS1_11target_archE1201ELNS1_3gpuE5ELNS1_3repE0EEENS1_30default_config_static_selectorELNS0_4arch9wavefront6targetE0EEEvT1_.private_seg_size, 0
	.set _ZN7rocprim17ROCPRIM_400000_NS6detail17trampoline_kernelINS0_14default_configENS1_27scan_by_key_config_selectorIijEEZZNS1_16scan_by_key_implILNS1_25lookback_scan_determinismE0ELb0ES3_N6thrust23THRUST_200600_302600_NS6detail15normal_iteratorINS9_10device_ptrIiEEEENSB_INSC_IjEEEESG_jNS9_4plusIvEENS9_8equal_toIvEEjEE10hipError_tPvRmT2_T3_T4_T5_mT6_T7_P12ihipStream_tbENKUlT_T0_E_clISt17integral_constantIbLb1EES10_IbLb0EEEEDaSW_SX_EUlSW_E_NS1_11comp_targetILNS1_3genE10ELNS1_11target_archE1201ELNS1_3gpuE5ELNS1_3repE0EEENS1_30default_config_static_selectorELNS0_4arch9wavefront6targetE0EEEvT1_.uses_vcc, 0
	.set _ZN7rocprim17ROCPRIM_400000_NS6detail17trampoline_kernelINS0_14default_configENS1_27scan_by_key_config_selectorIijEEZZNS1_16scan_by_key_implILNS1_25lookback_scan_determinismE0ELb0ES3_N6thrust23THRUST_200600_302600_NS6detail15normal_iteratorINS9_10device_ptrIiEEEENSB_INSC_IjEEEESG_jNS9_4plusIvEENS9_8equal_toIvEEjEE10hipError_tPvRmT2_T3_T4_T5_mT6_T7_P12ihipStream_tbENKUlT_T0_E_clISt17integral_constantIbLb1EES10_IbLb0EEEEDaSW_SX_EUlSW_E_NS1_11comp_targetILNS1_3genE10ELNS1_11target_archE1201ELNS1_3gpuE5ELNS1_3repE0EEENS1_30default_config_static_selectorELNS0_4arch9wavefront6targetE0EEEvT1_.uses_flat_scratch, 0
	.set _ZN7rocprim17ROCPRIM_400000_NS6detail17trampoline_kernelINS0_14default_configENS1_27scan_by_key_config_selectorIijEEZZNS1_16scan_by_key_implILNS1_25lookback_scan_determinismE0ELb0ES3_N6thrust23THRUST_200600_302600_NS6detail15normal_iteratorINS9_10device_ptrIiEEEENSB_INSC_IjEEEESG_jNS9_4plusIvEENS9_8equal_toIvEEjEE10hipError_tPvRmT2_T3_T4_T5_mT6_T7_P12ihipStream_tbENKUlT_T0_E_clISt17integral_constantIbLb1EES10_IbLb0EEEEDaSW_SX_EUlSW_E_NS1_11comp_targetILNS1_3genE10ELNS1_11target_archE1201ELNS1_3gpuE5ELNS1_3repE0EEENS1_30default_config_static_selectorELNS0_4arch9wavefront6targetE0EEEvT1_.has_dyn_sized_stack, 0
	.set _ZN7rocprim17ROCPRIM_400000_NS6detail17trampoline_kernelINS0_14default_configENS1_27scan_by_key_config_selectorIijEEZZNS1_16scan_by_key_implILNS1_25lookback_scan_determinismE0ELb0ES3_N6thrust23THRUST_200600_302600_NS6detail15normal_iteratorINS9_10device_ptrIiEEEENSB_INSC_IjEEEESG_jNS9_4plusIvEENS9_8equal_toIvEEjEE10hipError_tPvRmT2_T3_T4_T5_mT6_T7_P12ihipStream_tbENKUlT_T0_E_clISt17integral_constantIbLb1EES10_IbLb0EEEEDaSW_SX_EUlSW_E_NS1_11comp_targetILNS1_3genE10ELNS1_11target_archE1201ELNS1_3gpuE5ELNS1_3repE0EEENS1_30default_config_static_selectorELNS0_4arch9wavefront6targetE0EEEvT1_.has_recursion, 0
	.set _ZN7rocprim17ROCPRIM_400000_NS6detail17trampoline_kernelINS0_14default_configENS1_27scan_by_key_config_selectorIijEEZZNS1_16scan_by_key_implILNS1_25lookback_scan_determinismE0ELb0ES3_N6thrust23THRUST_200600_302600_NS6detail15normal_iteratorINS9_10device_ptrIiEEEENSB_INSC_IjEEEESG_jNS9_4plusIvEENS9_8equal_toIvEEjEE10hipError_tPvRmT2_T3_T4_T5_mT6_T7_P12ihipStream_tbENKUlT_T0_E_clISt17integral_constantIbLb1EES10_IbLb0EEEEDaSW_SX_EUlSW_E_NS1_11comp_targetILNS1_3genE10ELNS1_11target_archE1201ELNS1_3gpuE5ELNS1_3repE0EEENS1_30default_config_static_selectorELNS0_4arch9wavefront6targetE0EEEvT1_.has_indirect_call, 0
	.section	.AMDGPU.csdata,"",@progbits
; Kernel info:
; codeLenInByte = 0
; TotalNumSgprs: 0
; NumVgprs: 0
; ScratchSize: 0
; MemoryBound: 0
; FloatMode: 240
; IeeeMode: 1
; LDSByteSize: 0 bytes/workgroup (compile time only)
; SGPRBlocks: 0
; VGPRBlocks: 0
; NumSGPRsForWavesPerEU: 1
; NumVGPRsForWavesPerEU: 1
; Occupancy: 16
; WaveLimiterHint : 0
; COMPUTE_PGM_RSRC2:SCRATCH_EN: 0
; COMPUTE_PGM_RSRC2:USER_SGPR: 6
; COMPUTE_PGM_RSRC2:TRAP_HANDLER: 0
; COMPUTE_PGM_RSRC2:TGID_X_EN: 1
; COMPUTE_PGM_RSRC2:TGID_Y_EN: 0
; COMPUTE_PGM_RSRC2:TGID_Z_EN: 0
; COMPUTE_PGM_RSRC2:TIDIG_COMP_CNT: 0
	.section	.text._ZN7rocprim17ROCPRIM_400000_NS6detail17trampoline_kernelINS0_14default_configENS1_27scan_by_key_config_selectorIijEEZZNS1_16scan_by_key_implILNS1_25lookback_scan_determinismE0ELb0ES3_N6thrust23THRUST_200600_302600_NS6detail15normal_iteratorINS9_10device_ptrIiEEEENSB_INSC_IjEEEESG_jNS9_4plusIvEENS9_8equal_toIvEEjEE10hipError_tPvRmT2_T3_T4_T5_mT6_T7_P12ihipStream_tbENKUlT_T0_E_clISt17integral_constantIbLb1EES10_IbLb0EEEEDaSW_SX_EUlSW_E_NS1_11comp_targetILNS1_3genE5ELNS1_11target_archE942ELNS1_3gpuE9ELNS1_3repE0EEENS1_30default_config_static_selectorELNS0_4arch9wavefront6targetE0EEEvT1_,"axG",@progbits,_ZN7rocprim17ROCPRIM_400000_NS6detail17trampoline_kernelINS0_14default_configENS1_27scan_by_key_config_selectorIijEEZZNS1_16scan_by_key_implILNS1_25lookback_scan_determinismE0ELb0ES3_N6thrust23THRUST_200600_302600_NS6detail15normal_iteratorINS9_10device_ptrIiEEEENSB_INSC_IjEEEESG_jNS9_4plusIvEENS9_8equal_toIvEEjEE10hipError_tPvRmT2_T3_T4_T5_mT6_T7_P12ihipStream_tbENKUlT_T0_E_clISt17integral_constantIbLb1EES10_IbLb0EEEEDaSW_SX_EUlSW_E_NS1_11comp_targetILNS1_3genE5ELNS1_11target_archE942ELNS1_3gpuE9ELNS1_3repE0EEENS1_30default_config_static_selectorELNS0_4arch9wavefront6targetE0EEEvT1_,comdat
	.protected	_ZN7rocprim17ROCPRIM_400000_NS6detail17trampoline_kernelINS0_14default_configENS1_27scan_by_key_config_selectorIijEEZZNS1_16scan_by_key_implILNS1_25lookback_scan_determinismE0ELb0ES3_N6thrust23THRUST_200600_302600_NS6detail15normal_iteratorINS9_10device_ptrIiEEEENSB_INSC_IjEEEESG_jNS9_4plusIvEENS9_8equal_toIvEEjEE10hipError_tPvRmT2_T3_T4_T5_mT6_T7_P12ihipStream_tbENKUlT_T0_E_clISt17integral_constantIbLb1EES10_IbLb0EEEEDaSW_SX_EUlSW_E_NS1_11comp_targetILNS1_3genE5ELNS1_11target_archE942ELNS1_3gpuE9ELNS1_3repE0EEENS1_30default_config_static_selectorELNS0_4arch9wavefront6targetE0EEEvT1_ ; -- Begin function _ZN7rocprim17ROCPRIM_400000_NS6detail17trampoline_kernelINS0_14default_configENS1_27scan_by_key_config_selectorIijEEZZNS1_16scan_by_key_implILNS1_25lookback_scan_determinismE0ELb0ES3_N6thrust23THRUST_200600_302600_NS6detail15normal_iteratorINS9_10device_ptrIiEEEENSB_INSC_IjEEEESG_jNS9_4plusIvEENS9_8equal_toIvEEjEE10hipError_tPvRmT2_T3_T4_T5_mT6_T7_P12ihipStream_tbENKUlT_T0_E_clISt17integral_constantIbLb1EES10_IbLb0EEEEDaSW_SX_EUlSW_E_NS1_11comp_targetILNS1_3genE5ELNS1_11target_archE942ELNS1_3gpuE9ELNS1_3repE0EEENS1_30default_config_static_selectorELNS0_4arch9wavefront6targetE0EEEvT1_
	.globl	_ZN7rocprim17ROCPRIM_400000_NS6detail17trampoline_kernelINS0_14default_configENS1_27scan_by_key_config_selectorIijEEZZNS1_16scan_by_key_implILNS1_25lookback_scan_determinismE0ELb0ES3_N6thrust23THRUST_200600_302600_NS6detail15normal_iteratorINS9_10device_ptrIiEEEENSB_INSC_IjEEEESG_jNS9_4plusIvEENS9_8equal_toIvEEjEE10hipError_tPvRmT2_T3_T4_T5_mT6_T7_P12ihipStream_tbENKUlT_T0_E_clISt17integral_constantIbLb1EES10_IbLb0EEEEDaSW_SX_EUlSW_E_NS1_11comp_targetILNS1_3genE5ELNS1_11target_archE942ELNS1_3gpuE9ELNS1_3repE0EEENS1_30default_config_static_selectorELNS0_4arch9wavefront6targetE0EEEvT1_
	.p2align	8
	.type	_ZN7rocprim17ROCPRIM_400000_NS6detail17trampoline_kernelINS0_14default_configENS1_27scan_by_key_config_selectorIijEEZZNS1_16scan_by_key_implILNS1_25lookback_scan_determinismE0ELb0ES3_N6thrust23THRUST_200600_302600_NS6detail15normal_iteratorINS9_10device_ptrIiEEEENSB_INSC_IjEEEESG_jNS9_4plusIvEENS9_8equal_toIvEEjEE10hipError_tPvRmT2_T3_T4_T5_mT6_T7_P12ihipStream_tbENKUlT_T0_E_clISt17integral_constantIbLb1EES10_IbLb0EEEEDaSW_SX_EUlSW_E_NS1_11comp_targetILNS1_3genE5ELNS1_11target_archE942ELNS1_3gpuE9ELNS1_3repE0EEENS1_30default_config_static_selectorELNS0_4arch9wavefront6targetE0EEEvT1_,@function
_ZN7rocprim17ROCPRIM_400000_NS6detail17trampoline_kernelINS0_14default_configENS1_27scan_by_key_config_selectorIijEEZZNS1_16scan_by_key_implILNS1_25lookback_scan_determinismE0ELb0ES3_N6thrust23THRUST_200600_302600_NS6detail15normal_iteratorINS9_10device_ptrIiEEEENSB_INSC_IjEEEESG_jNS9_4plusIvEENS9_8equal_toIvEEjEE10hipError_tPvRmT2_T3_T4_T5_mT6_T7_P12ihipStream_tbENKUlT_T0_E_clISt17integral_constantIbLb1EES10_IbLb0EEEEDaSW_SX_EUlSW_E_NS1_11comp_targetILNS1_3genE5ELNS1_11target_archE942ELNS1_3gpuE9ELNS1_3repE0EEENS1_30default_config_static_selectorELNS0_4arch9wavefront6targetE0EEEvT1_: ; @_ZN7rocprim17ROCPRIM_400000_NS6detail17trampoline_kernelINS0_14default_configENS1_27scan_by_key_config_selectorIijEEZZNS1_16scan_by_key_implILNS1_25lookback_scan_determinismE0ELb0ES3_N6thrust23THRUST_200600_302600_NS6detail15normal_iteratorINS9_10device_ptrIiEEEENSB_INSC_IjEEEESG_jNS9_4plusIvEENS9_8equal_toIvEEjEE10hipError_tPvRmT2_T3_T4_T5_mT6_T7_P12ihipStream_tbENKUlT_T0_E_clISt17integral_constantIbLb1EES10_IbLb0EEEEDaSW_SX_EUlSW_E_NS1_11comp_targetILNS1_3genE5ELNS1_11target_archE942ELNS1_3gpuE9ELNS1_3repE0EEENS1_30default_config_static_selectorELNS0_4arch9wavefront6targetE0EEEvT1_
; %bb.0:
	.section	.rodata,"a",@progbits
	.p2align	6, 0x0
	.amdhsa_kernel _ZN7rocprim17ROCPRIM_400000_NS6detail17trampoline_kernelINS0_14default_configENS1_27scan_by_key_config_selectorIijEEZZNS1_16scan_by_key_implILNS1_25lookback_scan_determinismE0ELb0ES3_N6thrust23THRUST_200600_302600_NS6detail15normal_iteratorINS9_10device_ptrIiEEEENSB_INSC_IjEEEESG_jNS9_4plusIvEENS9_8equal_toIvEEjEE10hipError_tPvRmT2_T3_T4_T5_mT6_T7_P12ihipStream_tbENKUlT_T0_E_clISt17integral_constantIbLb1EES10_IbLb0EEEEDaSW_SX_EUlSW_E_NS1_11comp_targetILNS1_3genE5ELNS1_11target_archE942ELNS1_3gpuE9ELNS1_3repE0EEENS1_30default_config_static_selectorELNS0_4arch9wavefront6targetE0EEEvT1_
		.amdhsa_group_segment_fixed_size 0
		.amdhsa_private_segment_fixed_size 0
		.amdhsa_kernarg_size 112
		.amdhsa_user_sgpr_count 6
		.amdhsa_user_sgpr_private_segment_buffer 1
		.amdhsa_user_sgpr_dispatch_ptr 0
		.amdhsa_user_sgpr_queue_ptr 0
		.amdhsa_user_sgpr_kernarg_segment_ptr 1
		.amdhsa_user_sgpr_dispatch_id 0
		.amdhsa_user_sgpr_flat_scratch_init 0
		.amdhsa_user_sgpr_private_segment_size 0
		.amdhsa_wavefront_size32 1
		.amdhsa_uses_dynamic_stack 0
		.amdhsa_system_sgpr_private_segment_wavefront_offset 0
		.amdhsa_system_sgpr_workgroup_id_x 1
		.amdhsa_system_sgpr_workgroup_id_y 0
		.amdhsa_system_sgpr_workgroup_id_z 0
		.amdhsa_system_sgpr_workgroup_info 0
		.amdhsa_system_vgpr_workitem_id 0
		.amdhsa_next_free_vgpr 1
		.amdhsa_next_free_sgpr 1
		.amdhsa_reserve_vcc 0
		.amdhsa_reserve_flat_scratch 0
		.amdhsa_float_round_mode_32 0
		.amdhsa_float_round_mode_16_64 0
		.amdhsa_float_denorm_mode_32 3
		.amdhsa_float_denorm_mode_16_64 3
		.amdhsa_dx10_clamp 1
		.amdhsa_ieee_mode 1
		.amdhsa_fp16_overflow 0
		.amdhsa_workgroup_processor_mode 1
		.amdhsa_memory_ordered 1
		.amdhsa_forward_progress 1
		.amdhsa_shared_vgpr_count 0
		.amdhsa_exception_fp_ieee_invalid_op 0
		.amdhsa_exception_fp_denorm_src 0
		.amdhsa_exception_fp_ieee_div_zero 0
		.amdhsa_exception_fp_ieee_overflow 0
		.amdhsa_exception_fp_ieee_underflow 0
		.amdhsa_exception_fp_ieee_inexact 0
		.amdhsa_exception_int_div_zero 0
	.end_amdhsa_kernel
	.section	.text._ZN7rocprim17ROCPRIM_400000_NS6detail17trampoline_kernelINS0_14default_configENS1_27scan_by_key_config_selectorIijEEZZNS1_16scan_by_key_implILNS1_25lookback_scan_determinismE0ELb0ES3_N6thrust23THRUST_200600_302600_NS6detail15normal_iteratorINS9_10device_ptrIiEEEENSB_INSC_IjEEEESG_jNS9_4plusIvEENS9_8equal_toIvEEjEE10hipError_tPvRmT2_T3_T4_T5_mT6_T7_P12ihipStream_tbENKUlT_T0_E_clISt17integral_constantIbLb1EES10_IbLb0EEEEDaSW_SX_EUlSW_E_NS1_11comp_targetILNS1_3genE5ELNS1_11target_archE942ELNS1_3gpuE9ELNS1_3repE0EEENS1_30default_config_static_selectorELNS0_4arch9wavefront6targetE0EEEvT1_,"axG",@progbits,_ZN7rocprim17ROCPRIM_400000_NS6detail17trampoline_kernelINS0_14default_configENS1_27scan_by_key_config_selectorIijEEZZNS1_16scan_by_key_implILNS1_25lookback_scan_determinismE0ELb0ES3_N6thrust23THRUST_200600_302600_NS6detail15normal_iteratorINS9_10device_ptrIiEEEENSB_INSC_IjEEEESG_jNS9_4plusIvEENS9_8equal_toIvEEjEE10hipError_tPvRmT2_T3_T4_T5_mT6_T7_P12ihipStream_tbENKUlT_T0_E_clISt17integral_constantIbLb1EES10_IbLb0EEEEDaSW_SX_EUlSW_E_NS1_11comp_targetILNS1_3genE5ELNS1_11target_archE942ELNS1_3gpuE9ELNS1_3repE0EEENS1_30default_config_static_selectorELNS0_4arch9wavefront6targetE0EEEvT1_,comdat
.Lfunc_end1245:
	.size	_ZN7rocprim17ROCPRIM_400000_NS6detail17trampoline_kernelINS0_14default_configENS1_27scan_by_key_config_selectorIijEEZZNS1_16scan_by_key_implILNS1_25lookback_scan_determinismE0ELb0ES3_N6thrust23THRUST_200600_302600_NS6detail15normal_iteratorINS9_10device_ptrIiEEEENSB_INSC_IjEEEESG_jNS9_4plusIvEENS9_8equal_toIvEEjEE10hipError_tPvRmT2_T3_T4_T5_mT6_T7_P12ihipStream_tbENKUlT_T0_E_clISt17integral_constantIbLb1EES10_IbLb0EEEEDaSW_SX_EUlSW_E_NS1_11comp_targetILNS1_3genE5ELNS1_11target_archE942ELNS1_3gpuE9ELNS1_3repE0EEENS1_30default_config_static_selectorELNS0_4arch9wavefront6targetE0EEEvT1_, .Lfunc_end1245-_ZN7rocprim17ROCPRIM_400000_NS6detail17trampoline_kernelINS0_14default_configENS1_27scan_by_key_config_selectorIijEEZZNS1_16scan_by_key_implILNS1_25lookback_scan_determinismE0ELb0ES3_N6thrust23THRUST_200600_302600_NS6detail15normal_iteratorINS9_10device_ptrIiEEEENSB_INSC_IjEEEESG_jNS9_4plusIvEENS9_8equal_toIvEEjEE10hipError_tPvRmT2_T3_T4_T5_mT6_T7_P12ihipStream_tbENKUlT_T0_E_clISt17integral_constantIbLb1EES10_IbLb0EEEEDaSW_SX_EUlSW_E_NS1_11comp_targetILNS1_3genE5ELNS1_11target_archE942ELNS1_3gpuE9ELNS1_3repE0EEENS1_30default_config_static_selectorELNS0_4arch9wavefront6targetE0EEEvT1_
                                        ; -- End function
	.set _ZN7rocprim17ROCPRIM_400000_NS6detail17trampoline_kernelINS0_14default_configENS1_27scan_by_key_config_selectorIijEEZZNS1_16scan_by_key_implILNS1_25lookback_scan_determinismE0ELb0ES3_N6thrust23THRUST_200600_302600_NS6detail15normal_iteratorINS9_10device_ptrIiEEEENSB_INSC_IjEEEESG_jNS9_4plusIvEENS9_8equal_toIvEEjEE10hipError_tPvRmT2_T3_T4_T5_mT6_T7_P12ihipStream_tbENKUlT_T0_E_clISt17integral_constantIbLb1EES10_IbLb0EEEEDaSW_SX_EUlSW_E_NS1_11comp_targetILNS1_3genE5ELNS1_11target_archE942ELNS1_3gpuE9ELNS1_3repE0EEENS1_30default_config_static_selectorELNS0_4arch9wavefront6targetE0EEEvT1_.num_vgpr, 0
	.set _ZN7rocprim17ROCPRIM_400000_NS6detail17trampoline_kernelINS0_14default_configENS1_27scan_by_key_config_selectorIijEEZZNS1_16scan_by_key_implILNS1_25lookback_scan_determinismE0ELb0ES3_N6thrust23THRUST_200600_302600_NS6detail15normal_iteratorINS9_10device_ptrIiEEEENSB_INSC_IjEEEESG_jNS9_4plusIvEENS9_8equal_toIvEEjEE10hipError_tPvRmT2_T3_T4_T5_mT6_T7_P12ihipStream_tbENKUlT_T0_E_clISt17integral_constantIbLb1EES10_IbLb0EEEEDaSW_SX_EUlSW_E_NS1_11comp_targetILNS1_3genE5ELNS1_11target_archE942ELNS1_3gpuE9ELNS1_3repE0EEENS1_30default_config_static_selectorELNS0_4arch9wavefront6targetE0EEEvT1_.num_agpr, 0
	.set _ZN7rocprim17ROCPRIM_400000_NS6detail17trampoline_kernelINS0_14default_configENS1_27scan_by_key_config_selectorIijEEZZNS1_16scan_by_key_implILNS1_25lookback_scan_determinismE0ELb0ES3_N6thrust23THRUST_200600_302600_NS6detail15normal_iteratorINS9_10device_ptrIiEEEENSB_INSC_IjEEEESG_jNS9_4plusIvEENS9_8equal_toIvEEjEE10hipError_tPvRmT2_T3_T4_T5_mT6_T7_P12ihipStream_tbENKUlT_T0_E_clISt17integral_constantIbLb1EES10_IbLb0EEEEDaSW_SX_EUlSW_E_NS1_11comp_targetILNS1_3genE5ELNS1_11target_archE942ELNS1_3gpuE9ELNS1_3repE0EEENS1_30default_config_static_selectorELNS0_4arch9wavefront6targetE0EEEvT1_.numbered_sgpr, 0
	.set _ZN7rocprim17ROCPRIM_400000_NS6detail17trampoline_kernelINS0_14default_configENS1_27scan_by_key_config_selectorIijEEZZNS1_16scan_by_key_implILNS1_25lookback_scan_determinismE0ELb0ES3_N6thrust23THRUST_200600_302600_NS6detail15normal_iteratorINS9_10device_ptrIiEEEENSB_INSC_IjEEEESG_jNS9_4plusIvEENS9_8equal_toIvEEjEE10hipError_tPvRmT2_T3_T4_T5_mT6_T7_P12ihipStream_tbENKUlT_T0_E_clISt17integral_constantIbLb1EES10_IbLb0EEEEDaSW_SX_EUlSW_E_NS1_11comp_targetILNS1_3genE5ELNS1_11target_archE942ELNS1_3gpuE9ELNS1_3repE0EEENS1_30default_config_static_selectorELNS0_4arch9wavefront6targetE0EEEvT1_.num_named_barrier, 0
	.set _ZN7rocprim17ROCPRIM_400000_NS6detail17trampoline_kernelINS0_14default_configENS1_27scan_by_key_config_selectorIijEEZZNS1_16scan_by_key_implILNS1_25lookback_scan_determinismE0ELb0ES3_N6thrust23THRUST_200600_302600_NS6detail15normal_iteratorINS9_10device_ptrIiEEEENSB_INSC_IjEEEESG_jNS9_4plusIvEENS9_8equal_toIvEEjEE10hipError_tPvRmT2_T3_T4_T5_mT6_T7_P12ihipStream_tbENKUlT_T0_E_clISt17integral_constantIbLb1EES10_IbLb0EEEEDaSW_SX_EUlSW_E_NS1_11comp_targetILNS1_3genE5ELNS1_11target_archE942ELNS1_3gpuE9ELNS1_3repE0EEENS1_30default_config_static_selectorELNS0_4arch9wavefront6targetE0EEEvT1_.private_seg_size, 0
	.set _ZN7rocprim17ROCPRIM_400000_NS6detail17trampoline_kernelINS0_14default_configENS1_27scan_by_key_config_selectorIijEEZZNS1_16scan_by_key_implILNS1_25lookback_scan_determinismE0ELb0ES3_N6thrust23THRUST_200600_302600_NS6detail15normal_iteratorINS9_10device_ptrIiEEEENSB_INSC_IjEEEESG_jNS9_4plusIvEENS9_8equal_toIvEEjEE10hipError_tPvRmT2_T3_T4_T5_mT6_T7_P12ihipStream_tbENKUlT_T0_E_clISt17integral_constantIbLb1EES10_IbLb0EEEEDaSW_SX_EUlSW_E_NS1_11comp_targetILNS1_3genE5ELNS1_11target_archE942ELNS1_3gpuE9ELNS1_3repE0EEENS1_30default_config_static_selectorELNS0_4arch9wavefront6targetE0EEEvT1_.uses_vcc, 0
	.set _ZN7rocprim17ROCPRIM_400000_NS6detail17trampoline_kernelINS0_14default_configENS1_27scan_by_key_config_selectorIijEEZZNS1_16scan_by_key_implILNS1_25lookback_scan_determinismE0ELb0ES3_N6thrust23THRUST_200600_302600_NS6detail15normal_iteratorINS9_10device_ptrIiEEEENSB_INSC_IjEEEESG_jNS9_4plusIvEENS9_8equal_toIvEEjEE10hipError_tPvRmT2_T3_T4_T5_mT6_T7_P12ihipStream_tbENKUlT_T0_E_clISt17integral_constantIbLb1EES10_IbLb0EEEEDaSW_SX_EUlSW_E_NS1_11comp_targetILNS1_3genE5ELNS1_11target_archE942ELNS1_3gpuE9ELNS1_3repE0EEENS1_30default_config_static_selectorELNS0_4arch9wavefront6targetE0EEEvT1_.uses_flat_scratch, 0
	.set _ZN7rocprim17ROCPRIM_400000_NS6detail17trampoline_kernelINS0_14default_configENS1_27scan_by_key_config_selectorIijEEZZNS1_16scan_by_key_implILNS1_25lookback_scan_determinismE0ELb0ES3_N6thrust23THRUST_200600_302600_NS6detail15normal_iteratorINS9_10device_ptrIiEEEENSB_INSC_IjEEEESG_jNS9_4plusIvEENS9_8equal_toIvEEjEE10hipError_tPvRmT2_T3_T4_T5_mT6_T7_P12ihipStream_tbENKUlT_T0_E_clISt17integral_constantIbLb1EES10_IbLb0EEEEDaSW_SX_EUlSW_E_NS1_11comp_targetILNS1_3genE5ELNS1_11target_archE942ELNS1_3gpuE9ELNS1_3repE0EEENS1_30default_config_static_selectorELNS0_4arch9wavefront6targetE0EEEvT1_.has_dyn_sized_stack, 0
	.set _ZN7rocprim17ROCPRIM_400000_NS6detail17trampoline_kernelINS0_14default_configENS1_27scan_by_key_config_selectorIijEEZZNS1_16scan_by_key_implILNS1_25lookback_scan_determinismE0ELb0ES3_N6thrust23THRUST_200600_302600_NS6detail15normal_iteratorINS9_10device_ptrIiEEEENSB_INSC_IjEEEESG_jNS9_4plusIvEENS9_8equal_toIvEEjEE10hipError_tPvRmT2_T3_T4_T5_mT6_T7_P12ihipStream_tbENKUlT_T0_E_clISt17integral_constantIbLb1EES10_IbLb0EEEEDaSW_SX_EUlSW_E_NS1_11comp_targetILNS1_3genE5ELNS1_11target_archE942ELNS1_3gpuE9ELNS1_3repE0EEENS1_30default_config_static_selectorELNS0_4arch9wavefront6targetE0EEEvT1_.has_recursion, 0
	.set _ZN7rocprim17ROCPRIM_400000_NS6detail17trampoline_kernelINS0_14default_configENS1_27scan_by_key_config_selectorIijEEZZNS1_16scan_by_key_implILNS1_25lookback_scan_determinismE0ELb0ES3_N6thrust23THRUST_200600_302600_NS6detail15normal_iteratorINS9_10device_ptrIiEEEENSB_INSC_IjEEEESG_jNS9_4plusIvEENS9_8equal_toIvEEjEE10hipError_tPvRmT2_T3_T4_T5_mT6_T7_P12ihipStream_tbENKUlT_T0_E_clISt17integral_constantIbLb1EES10_IbLb0EEEEDaSW_SX_EUlSW_E_NS1_11comp_targetILNS1_3genE5ELNS1_11target_archE942ELNS1_3gpuE9ELNS1_3repE0EEENS1_30default_config_static_selectorELNS0_4arch9wavefront6targetE0EEEvT1_.has_indirect_call, 0
	.section	.AMDGPU.csdata,"",@progbits
; Kernel info:
; codeLenInByte = 0
; TotalNumSgprs: 0
; NumVgprs: 0
; ScratchSize: 0
; MemoryBound: 0
; FloatMode: 240
; IeeeMode: 1
; LDSByteSize: 0 bytes/workgroup (compile time only)
; SGPRBlocks: 0
; VGPRBlocks: 0
; NumSGPRsForWavesPerEU: 1
; NumVGPRsForWavesPerEU: 1
; Occupancy: 16
; WaveLimiterHint : 0
; COMPUTE_PGM_RSRC2:SCRATCH_EN: 0
; COMPUTE_PGM_RSRC2:USER_SGPR: 6
; COMPUTE_PGM_RSRC2:TRAP_HANDLER: 0
; COMPUTE_PGM_RSRC2:TGID_X_EN: 1
; COMPUTE_PGM_RSRC2:TGID_Y_EN: 0
; COMPUTE_PGM_RSRC2:TGID_Z_EN: 0
; COMPUTE_PGM_RSRC2:TIDIG_COMP_CNT: 0
	.section	.text._ZN7rocprim17ROCPRIM_400000_NS6detail17trampoline_kernelINS0_14default_configENS1_27scan_by_key_config_selectorIijEEZZNS1_16scan_by_key_implILNS1_25lookback_scan_determinismE0ELb0ES3_N6thrust23THRUST_200600_302600_NS6detail15normal_iteratorINS9_10device_ptrIiEEEENSB_INSC_IjEEEESG_jNS9_4plusIvEENS9_8equal_toIvEEjEE10hipError_tPvRmT2_T3_T4_T5_mT6_T7_P12ihipStream_tbENKUlT_T0_E_clISt17integral_constantIbLb1EES10_IbLb0EEEEDaSW_SX_EUlSW_E_NS1_11comp_targetILNS1_3genE4ELNS1_11target_archE910ELNS1_3gpuE8ELNS1_3repE0EEENS1_30default_config_static_selectorELNS0_4arch9wavefront6targetE0EEEvT1_,"axG",@progbits,_ZN7rocprim17ROCPRIM_400000_NS6detail17trampoline_kernelINS0_14default_configENS1_27scan_by_key_config_selectorIijEEZZNS1_16scan_by_key_implILNS1_25lookback_scan_determinismE0ELb0ES3_N6thrust23THRUST_200600_302600_NS6detail15normal_iteratorINS9_10device_ptrIiEEEENSB_INSC_IjEEEESG_jNS9_4plusIvEENS9_8equal_toIvEEjEE10hipError_tPvRmT2_T3_T4_T5_mT6_T7_P12ihipStream_tbENKUlT_T0_E_clISt17integral_constantIbLb1EES10_IbLb0EEEEDaSW_SX_EUlSW_E_NS1_11comp_targetILNS1_3genE4ELNS1_11target_archE910ELNS1_3gpuE8ELNS1_3repE0EEENS1_30default_config_static_selectorELNS0_4arch9wavefront6targetE0EEEvT1_,comdat
	.protected	_ZN7rocprim17ROCPRIM_400000_NS6detail17trampoline_kernelINS0_14default_configENS1_27scan_by_key_config_selectorIijEEZZNS1_16scan_by_key_implILNS1_25lookback_scan_determinismE0ELb0ES3_N6thrust23THRUST_200600_302600_NS6detail15normal_iteratorINS9_10device_ptrIiEEEENSB_INSC_IjEEEESG_jNS9_4plusIvEENS9_8equal_toIvEEjEE10hipError_tPvRmT2_T3_T4_T5_mT6_T7_P12ihipStream_tbENKUlT_T0_E_clISt17integral_constantIbLb1EES10_IbLb0EEEEDaSW_SX_EUlSW_E_NS1_11comp_targetILNS1_3genE4ELNS1_11target_archE910ELNS1_3gpuE8ELNS1_3repE0EEENS1_30default_config_static_selectorELNS0_4arch9wavefront6targetE0EEEvT1_ ; -- Begin function _ZN7rocprim17ROCPRIM_400000_NS6detail17trampoline_kernelINS0_14default_configENS1_27scan_by_key_config_selectorIijEEZZNS1_16scan_by_key_implILNS1_25lookback_scan_determinismE0ELb0ES3_N6thrust23THRUST_200600_302600_NS6detail15normal_iteratorINS9_10device_ptrIiEEEENSB_INSC_IjEEEESG_jNS9_4plusIvEENS9_8equal_toIvEEjEE10hipError_tPvRmT2_T3_T4_T5_mT6_T7_P12ihipStream_tbENKUlT_T0_E_clISt17integral_constantIbLb1EES10_IbLb0EEEEDaSW_SX_EUlSW_E_NS1_11comp_targetILNS1_3genE4ELNS1_11target_archE910ELNS1_3gpuE8ELNS1_3repE0EEENS1_30default_config_static_selectorELNS0_4arch9wavefront6targetE0EEEvT1_
	.globl	_ZN7rocprim17ROCPRIM_400000_NS6detail17trampoline_kernelINS0_14default_configENS1_27scan_by_key_config_selectorIijEEZZNS1_16scan_by_key_implILNS1_25lookback_scan_determinismE0ELb0ES3_N6thrust23THRUST_200600_302600_NS6detail15normal_iteratorINS9_10device_ptrIiEEEENSB_INSC_IjEEEESG_jNS9_4plusIvEENS9_8equal_toIvEEjEE10hipError_tPvRmT2_T3_T4_T5_mT6_T7_P12ihipStream_tbENKUlT_T0_E_clISt17integral_constantIbLb1EES10_IbLb0EEEEDaSW_SX_EUlSW_E_NS1_11comp_targetILNS1_3genE4ELNS1_11target_archE910ELNS1_3gpuE8ELNS1_3repE0EEENS1_30default_config_static_selectorELNS0_4arch9wavefront6targetE0EEEvT1_
	.p2align	8
	.type	_ZN7rocprim17ROCPRIM_400000_NS6detail17trampoline_kernelINS0_14default_configENS1_27scan_by_key_config_selectorIijEEZZNS1_16scan_by_key_implILNS1_25lookback_scan_determinismE0ELb0ES3_N6thrust23THRUST_200600_302600_NS6detail15normal_iteratorINS9_10device_ptrIiEEEENSB_INSC_IjEEEESG_jNS9_4plusIvEENS9_8equal_toIvEEjEE10hipError_tPvRmT2_T3_T4_T5_mT6_T7_P12ihipStream_tbENKUlT_T0_E_clISt17integral_constantIbLb1EES10_IbLb0EEEEDaSW_SX_EUlSW_E_NS1_11comp_targetILNS1_3genE4ELNS1_11target_archE910ELNS1_3gpuE8ELNS1_3repE0EEENS1_30default_config_static_selectorELNS0_4arch9wavefront6targetE0EEEvT1_,@function
_ZN7rocprim17ROCPRIM_400000_NS6detail17trampoline_kernelINS0_14default_configENS1_27scan_by_key_config_selectorIijEEZZNS1_16scan_by_key_implILNS1_25lookback_scan_determinismE0ELb0ES3_N6thrust23THRUST_200600_302600_NS6detail15normal_iteratorINS9_10device_ptrIiEEEENSB_INSC_IjEEEESG_jNS9_4plusIvEENS9_8equal_toIvEEjEE10hipError_tPvRmT2_T3_T4_T5_mT6_T7_P12ihipStream_tbENKUlT_T0_E_clISt17integral_constantIbLb1EES10_IbLb0EEEEDaSW_SX_EUlSW_E_NS1_11comp_targetILNS1_3genE4ELNS1_11target_archE910ELNS1_3gpuE8ELNS1_3repE0EEENS1_30default_config_static_selectorELNS0_4arch9wavefront6targetE0EEEvT1_: ; @_ZN7rocprim17ROCPRIM_400000_NS6detail17trampoline_kernelINS0_14default_configENS1_27scan_by_key_config_selectorIijEEZZNS1_16scan_by_key_implILNS1_25lookback_scan_determinismE0ELb0ES3_N6thrust23THRUST_200600_302600_NS6detail15normal_iteratorINS9_10device_ptrIiEEEENSB_INSC_IjEEEESG_jNS9_4plusIvEENS9_8equal_toIvEEjEE10hipError_tPvRmT2_T3_T4_T5_mT6_T7_P12ihipStream_tbENKUlT_T0_E_clISt17integral_constantIbLb1EES10_IbLb0EEEEDaSW_SX_EUlSW_E_NS1_11comp_targetILNS1_3genE4ELNS1_11target_archE910ELNS1_3gpuE8ELNS1_3repE0EEENS1_30default_config_static_selectorELNS0_4arch9wavefront6targetE0EEEvT1_
; %bb.0:
	.section	.rodata,"a",@progbits
	.p2align	6, 0x0
	.amdhsa_kernel _ZN7rocprim17ROCPRIM_400000_NS6detail17trampoline_kernelINS0_14default_configENS1_27scan_by_key_config_selectorIijEEZZNS1_16scan_by_key_implILNS1_25lookback_scan_determinismE0ELb0ES3_N6thrust23THRUST_200600_302600_NS6detail15normal_iteratorINS9_10device_ptrIiEEEENSB_INSC_IjEEEESG_jNS9_4plusIvEENS9_8equal_toIvEEjEE10hipError_tPvRmT2_T3_T4_T5_mT6_T7_P12ihipStream_tbENKUlT_T0_E_clISt17integral_constantIbLb1EES10_IbLb0EEEEDaSW_SX_EUlSW_E_NS1_11comp_targetILNS1_3genE4ELNS1_11target_archE910ELNS1_3gpuE8ELNS1_3repE0EEENS1_30default_config_static_selectorELNS0_4arch9wavefront6targetE0EEEvT1_
		.amdhsa_group_segment_fixed_size 0
		.amdhsa_private_segment_fixed_size 0
		.amdhsa_kernarg_size 112
		.amdhsa_user_sgpr_count 6
		.amdhsa_user_sgpr_private_segment_buffer 1
		.amdhsa_user_sgpr_dispatch_ptr 0
		.amdhsa_user_sgpr_queue_ptr 0
		.amdhsa_user_sgpr_kernarg_segment_ptr 1
		.amdhsa_user_sgpr_dispatch_id 0
		.amdhsa_user_sgpr_flat_scratch_init 0
		.amdhsa_user_sgpr_private_segment_size 0
		.amdhsa_wavefront_size32 1
		.amdhsa_uses_dynamic_stack 0
		.amdhsa_system_sgpr_private_segment_wavefront_offset 0
		.amdhsa_system_sgpr_workgroup_id_x 1
		.amdhsa_system_sgpr_workgroup_id_y 0
		.amdhsa_system_sgpr_workgroup_id_z 0
		.amdhsa_system_sgpr_workgroup_info 0
		.amdhsa_system_vgpr_workitem_id 0
		.amdhsa_next_free_vgpr 1
		.amdhsa_next_free_sgpr 1
		.amdhsa_reserve_vcc 0
		.amdhsa_reserve_flat_scratch 0
		.amdhsa_float_round_mode_32 0
		.amdhsa_float_round_mode_16_64 0
		.amdhsa_float_denorm_mode_32 3
		.amdhsa_float_denorm_mode_16_64 3
		.amdhsa_dx10_clamp 1
		.amdhsa_ieee_mode 1
		.amdhsa_fp16_overflow 0
		.amdhsa_workgroup_processor_mode 1
		.amdhsa_memory_ordered 1
		.amdhsa_forward_progress 1
		.amdhsa_shared_vgpr_count 0
		.amdhsa_exception_fp_ieee_invalid_op 0
		.amdhsa_exception_fp_denorm_src 0
		.amdhsa_exception_fp_ieee_div_zero 0
		.amdhsa_exception_fp_ieee_overflow 0
		.amdhsa_exception_fp_ieee_underflow 0
		.amdhsa_exception_fp_ieee_inexact 0
		.amdhsa_exception_int_div_zero 0
	.end_amdhsa_kernel
	.section	.text._ZN7rocprim17ROCPRIM_400000_NS6detail17trampoline_kernelINS0_14default_configENS1_27scan_by_key_config_selectorIijEEZZNS1_16scan_by_key_implILNS1_25lookback_scan_determinismE0ELb0ES3_N6thrust23THRUST_200600_302600_NS6detail15normal_iteratorINS9_10device_ptrIiEEEENSB_INSC_IjEEEESG_jNS9_4plusIvEENS9_8equal_toIvEEjEE10hipError_tPvRmT2_T3_T4_T5_mT6_T7_P12ihipStream_tbENKUlT_T0_E_clISt17integral_constantIbLb1EES10_IbLb0EEEEDaSW_SX_EUlSW_E_NS1_11comp_targetILNS1_3genE4ELNS1_11target_archE910ELNS1_3gpuE8ELNS1_3repE0EEENS1_30default_config_static_selectorELNS0_4arch9wavefront6targetE0EEEvT1_,"axG",@progbits,_ZN7rocprim17ROCPRIM_400000_NS6detail17trampoline_kernelINS0_14default_configENS1_27scan_by_key_config_selectorIijEEZZNS1_16scan_by_key_implILNS1_25lookback_scan_determinismE0ELb0ES3_N6thrust23THRUST_200600_302600_NS6detail15normal_iteratorINS9_10device_ptrIiEEEENSB_INSC_IjEEEESG_jNS9_4plusIvEENS9_8equal_toIvEEjEE10hipError_tPvRmT2_T3_T4_T5_mT6_T7_P12ihipStream_tbENKUlT_T0_E_clISt17integral_constantIbLb1EES10_IbLb0EEEEDaSW_SX_EUlSW_E_NS1_11comp_targetILNS1_3genE4ELNS1_11target_archE910ELNS1_3gpuE8ELNS1_3repE0EEENS1_30default_config_static_selectorELNS0_4arch9wavefront6targetE0EEEvT1_,comdat
.Lfunc_end1246:
	.size	_ZN7rocprim17ROCPRIM_400000_NS6detail17trampoline_kernelINS0_14default_configENS1_27scan_by_key_config_selectorIijEEZZNS1_16scan_by_key_implILNS1_25lookback_scan_determinismE0ELb0ES3_N6thrust23THRUST_200600_302600_NS6detail15normal_iteratorINS9_10device_ptrIiEEEENSB_INSC_IjEEEESG_jNS9_4plusIvEENS9_8equal_toIvEEjEE10hipError_tPvRmT2_T3_T4_T5_mT6_T7_P12ihipStream_tbENKUlT_T0_E_clISt17integral_constantIbLb1EES10_IbLb0EEEEDaSW_SX_EUlSW_E_NS1_11comp_targetILNS1_3genE4ELNS1_11target_archE910ELNS1_3gpuE8ELNS1_3repE0EEENS1_30default_config_static_selectorELNS0_4arch9wavefront6targetE0EEEvT1_, .Lfunc_end1246-_ZN7rocprim17ROCPRIM_400000_NS6detail17trampoline_kernelINS0_14default_configENS1_27scan_by_key_config_selectorIijEEZZNS1_16scan_by_key_implILNS1_25lookback_scan_determinismE0ELb0ES3_N6thrust23THRUST_200600_302600_NS6detail15normal_iteratorINS9_10device_ptrIiEEEENSB_INSC_IjEEEESG_jNS9_4plusIvEENS9_8equal_toIvEEjEE10hipError_tPvRmT2_T3_T4_T5_mT6_T7_P12ihipStream_tbENKUlT_T0_E_clISt17integral_constantIbLb1EES10_IbLb0EEEEDaSW_SX_EUlSW_E_NS1_11comp_targetILNS1_3genE4ELNS1_11target_archE910ELNS1_3gpuE8ELNS1_3repE0EEENS1_30default_config_static_selectorELNS0_4arch9wavefront6targetE0EEEvT1_
                                        ; -- End function
	.set _ZN7rocprim17ROCPRIM_400000_NS6detail17trampoline_kernelINS0_14default_configENS1_27scan_by_key_config_selectorIijEEZZNS1_16scan_by_key_implILNS1_25lookback_scan_determinismE0ELb0ES3_N6thrust23THRUST_200600_302600_NS6detail15normal_iteratorINS9_10device_ptrIiEEEENSB_INSC_IjEEEESG_jNS9_4plusIvEENS9_8equal_toIvEEjEE10hipError_tPvRmT2_T3_T4_T5_mT6_T7_P12ihipStream_tbENKUlT_T0_E_clISt17integral_constantIbLb1EES10_IbLb0EEEEDaSW_SX_EUlSW_E_NS1_11comp_targetILNS1_3genE4ELNS1_11target_archE910ELNS1_3gpuE8ELNS1_3repE0EEENS1_30default_config_static_selectorELNS0_4arch9wavefront6targetE0EEEvT1_.num_vgpr, 0
	.set _ZN7rocprim17ROCPRIM_400000_NS6detail17trampoline_kernelINS0_14default_configENS1_27scan_by_key_config_selectorIijEEZZNS1_16scan_by_key_implILNS1_25lookback_scan_determinismE0ELb0ES3_N6thrust23THRUST_200600_302600_NS6detail15normal_iteratorINS9_10device_ptrIiEEEENSB_INSC_IjEEEESG_jNS9_4plusIvEENS9_8equal_toIvEEjEE10hipError_tPvRmT2_T3_T4_T5_mT6_T7_P12ihipStream_tbENKUlT_T0_E_clISt17integral_constantIbLb1EES10_IbLb0EEEEDaSW_SX_EUlSW_E_NS1_11comp_targetILNS1_3genE4ELNS1_11target_archE910ELNS1_3gpuE8ELNS1_3repE0EEENS1_30default_config_static_selectorELNS0_4arch9wavefront6targetE0EEEvT1_.num_agpr, 0
	.set _ZN7rocprim17ROCPRIM_400000_NS6detail17trampoline_kernelINS0_14default_configENS1_27scan_by_key_config_selectorIijEEZZNS1_16scan_by_key_implILNS1_25lookback_scan_determinismE0ELb0ES3_N6thrust23THRUST_200600_302600_NS6detail15normal_iteratorINS9_10device_ptrIiEEEENSB_INSC_IjEEEESG_jNS9_4plusIvEENS9_8equal_toIvEEjEE10hipError_tPvRmT2_T3_T4_T5_mT6_T7_P12ihipStream_tbENKUlT_T0_E_clISt17integral_constantIbLb1EES10_IbLb0EEEEDaSW_SX_EUlSW_E_NS1_11comp_targetILNS1_3genE4ELNS1_11target_archE910ELNS1_3gpuE8ELNS1_3repE0EEENS1_30default_config_static_selectorELNS0_4arch9wavefront6targetE0EEEvT1_.numbered_sgpr, 0
	.set _ZN7rocprim17ROCPRIM_400000_NS6detail17trampoline_kernelINS0_14default_configENS1_27scan_by_key_config_selectorIijEEZZNS1_16scan_by_key_implILNS1_25lookback_scan_determinismE0ELb0ES3_N6thrust23THRUST_200600_302600_NS6detail15normal_iteratorINS9_10device_ptrIiEEEENSB_INSC_IjEEEESG_jNS9_4plusIvEENS9_8equal_toIvEEjEE10hipError_tPvRmT2_T3_T4_T5_mT6_T7_P12ihipStream_tbENKUlT_T0_E_clISt17integral_constantIbLb1EES10_IbLb0EEEEDaSW_SX_EUlSW_E_NS1_11comp_targetILNS1_3genE4ELNS1_11target_archE910ELNS1_3gpuE8ELNS1_3repE0EEENS1_30default_config_static_selectorELNS0_4arch9wavefront6targetE0EEEvT1_.num_named_barrier, 0
	.set _ZN7rocprim17ROCPRIM_400000_NS6detail17trampoline_kernelINS0_14default_configENS1_27scan_by_key_config_selectorIijEEZZNS1_16scan_by_key_implILNS1_25lookback_scan_determinismE0ELb0ES3_N6thrust23THRUST_200600_302600_NS6detail15normal_iteratorINS9_10device_ptrIiEEEENSB_INSC_IjEEEESG_jNS9_4plusIvEENS9_8equal_toIvEEjEE10hipError_tPvRmT2_T3_T4_T5_mT6_T7_P12ihipStream_tbENKUlT_T0_E_clISt17integral_constantIbLb1EES10_IbLb0EEEEDaSW_SX_EUlSW_E_NS1_11comp_targetILNS1_3genE4ELNS1_11target_archE910ELNS1_3gpuE8ELNS1_3repE0EEENS1_30default_config_static_selectorELNS0_4arch9wavefront6targetE0EEEvT1_.private_seg_size, 0
	.set _ZN7rocprim17ROCPRIM_400000_NS6detail17trampoline_kernelINS0_14default_configENS1_27scan_by_key_config_selectorIijEEZZNS1_16scan_by_key_implILNS1_25lookback_scan_determinismE0ELb0ES3_N6thrust23THRUST_200600_302600_NS6detail15normal_iteratorINS9_10device_ptrIiEEEENSB_INSC_IjEEEESG_jNS9_4plusIvEENS9_8equal_toIvEEjEE10hipError_tPvRmT2_T3_T4_T5_mT6_T7_P12ihipStream_tbENKUlT_T0_E_clISt17integral_constantIbLb1EES10_IbLb0EEEEDaSW_SX_EUlSW_E_NS1_11comp_targetILNS1_3genE4ELNS1_11target_archE910ELNS1_3gpuE8ELNS1_3repE0EEENS1_30default_config_static_selectorELNS0_4arch9wavefront6targetE0EEEvT1_.uses_vcc, 0
	.set _ZN7rocprim17ROCPRIM_400000_NS6detail17trampoline_kernelINS0_14default_configENS1_27scan_by_key_config_selectorIijEEZZNS1_16scan_by_key_implILNS1_25lookback_scan_determinismE0ELb0ES3_N6thrust23THRUST_200600_302600_NS6detail15normal_iteratorINS9_10device_ptrIiEEEENSB_INSC_IjEEEESG_jNS9_4plusIvEENS9_8equal_toIvEEjEE10hipError_tPvRmT2_T3_T4_T5_mT6_T7_P12ihipStream_tbENKUlT_T0_E_clISt17integral_constantIbLb1EES10_IbLb0EEEEDaSW_SX_EUlSW_E_NS1_11comp_targetILNS1_3genE4ELNS1_11target_archE910ELNS1_3gpuE8ELNS1_3repE0EEENS1_30default_config_static_selectorELNS0_4arch9wavefront6targetE0EEEvT1_.uses_flat_scratch, 0
	.set _ZN7rocprim17ROCPRIM_400000_NS6detail17trampoline_kernelINS0_14default_configENS1_27scan_by_key_config_selectorIijEEZZNS1_16scan_by_key_implILNS1_25lookback_scan_determinismE0ELb0ES3_N6thrust23THRUST_200600_302600_NS6detail15normal_iteratorINS9_10device_ptrIiEEEENSB_INSC_IjEEEESG_jNS9_4plusIvEENS9_8equal_toIvEEjEE10hipError_tPvRmT2_T3_T4_T5_mT6_T7_P12ihipStream_tbENKUlT_T0_E_clISt17integral_constantIbLb1EES10_IbLb0EEEEDaSW_SX_EUlSW_E_NS1_11comp_targetILNS1_3genE4ELNS1_11target_archE910ELNS1_3gpuE8ELNS1_3repE0EEENS1_30default_config_static_selectorELNS0_4arch9wavefront6targetE0EEEvT1_.has_dyn_sized_stack, 0
	.set _ZN7rocprim17ROCPRIM_400000_NS6detail17trampoline_kernelINS0_14default_configENS1_27scan_by_key_config_selectorIijEEZZNS1_16scan_by_key_implILNS1_25lookback_scan_determinismE0ELb0ES3_N6thrust23THRUST_200600_302600_NS6detail15normal_iteratorINS9_10device_ptrIiEEEENSB_INSC_IjEEEESG_jNS9_4plusIvEENS9_8equal_toIvEEjEE10hipError_tPvRmT2_T3_T4_T5_mT6_T7_P12ihipStream_tbENKUlT_T0_E_clISt17integral_constantIbLb1EES10_IbLb0EEEEDaSW_SX_EUlSW_E_NS1_11comp_targetILNS1_3genE4ELNS1_11target_archE910ELNS1_3gpuE8ELNS1_3repE0EEENS1_30default_config_static_selectorELNS0_4arch9wavefront6targetE0EEEvT1_.has_recursion, 0
	.set _ZN7rocprim17ROCPRIM_400000_NS6detail17trampoline_kernelINS0_14default_configENS1_27scan_by_key_config_selectorIijEEZZNS1_16scan_by_key_implILNS1_25lookback_scan_determinismE0ELb0ES3_N6thrust23THRUST_200600_302600_NS6detail15normal_iteratorINS9_10device_ptrIiEEEENSB_INSC_IjEEEESG_jNS9_4plusIvEENS9_8equal_toIvEEjEE10hipError_tPvRmT2_T3_T4_T5_mT6_T7_P12ihipStream_tbENKUlT_T0_E_clISt17integral_constantIbLb1EES10_IbLb0EEEEDaSW_SX_EUlSW_E_NS1_11comp_targetILNS1_3genE4ELNS1_11target_archE910ELNS1_3gpuE8ELNS1_3repE0EEENS1_30default_config_static_selectorELNS0_4arch9wavefront6targetE0EEEvT1_.has_indirect_call, 0
	.section	.AMDGPU.csdata,"",@progbits
; Kernel info:
; codeLenInByte = 0
; TotalNumSgprs: 0
; NumVgprs: 0
; ScratchSize: 0
; MemoryBound: 0
; FloatMode: 240
; IeeeMode: 1
; LDSByteSize: 0 bytes/workgroup (compile time only)
; SGPRBlocks: 0
; VGPRBlocks: 0
; NumSGPRsForWavesPerEU: 1
; NumVGPRsForWavesPerEU: 1
; Occupancy: 16
; WaveLimiterHint : 0
; COMPUTE_PGM_RSRC2:SCRATCH_EN: 0
; COMPUTE_PGM_RSRC2:USER_SGPR: 6
; COMPUTE_PGM_RSRC2:TRAP_HANDLER: 0
; COMPUTE_PGM_RSRC2:TGID_X_EN: 1
; COMPUTE_PGM_RSRC2:TGID_Y_EN: 0
; COMPUTE_PGM_RSRC2:TGID_Z_EN: 0
; COMPUTE_PGM_RSRC2:TIDIG_COMP_CNT: 0
	.section	.text._ZN7rocprim17ROCPRIM_400000_NS6detail17trampoline_kernelINS0_14default_configENS1_27scan_by_key_config_selectorIijEEZZNS1_16scan_by_key_implILNS1_25lookback_scan_determinismE0ELb0ES3_N6thrust23THRUST_200600_302600_NS6detail15normal_iteratorINS9_10device_ptrIiEEEENSB_INSC_IjEEEESG_jNS9_4plusIvEENS9_8equal_toIvEEjEE10hipError_tPvRmT2_T3_T4_T5_mT6_T7_P12ihipStream_tbENKUlT_T0_E_clISt17integral_constantIbLb1EES10_IbLb0EEEEDaSW_SX_EUlSW_E_NS1_11comp_targetILNS1_3genE3ELNS1_11target_archE908ELNS1_3gpuE7ELNS1_3repE0EEENS1_30default_config_static_selectorELNS0_4arch9wavefront6targetE0EEEvT1_,"axG",@progbits,_ZN7rocprim17ROCPRIM_400000_NS6detail17trampoline_kernelINS0_14default_configENS1_27scan_by_key_config_selectorIijEEZZNS1_16scan_by_key_implILNS1_25lookback_scan_determinismE0ELb0ES3_N6thrust23THRUST_200600_302600_NS6detail15normal_iteratorINS9_10device_ptrIiEEEENSB_INSC_IjEEEESG_jNS9_4plusIvEENS9_8equal_toIvEEjEE10hipError_tPvRmT2_T3_T4_T5_mT6_T7_P12ihipStream_tbENKUlT_T0_E_clISt17integral_constantIbLb1EES10_IbLb0EEEEDaSW_SX_EUlSW_E_NS1_11comp_targetILNS1_3genE3ELNS1_11target_archE908ELNS1_3gpuE7ELNS1_3repE0EEENS1_30default_config_static_selectorELNS0_4arch9wavefront6targetE0EEEvT1_,comdat
	.protected	_ZN7rocprim17ROCPRIM_400000_NS6detail17trampoline_kernelINS0_14default_configENS1_27scan_by_key_config_selectorIijEEZZNS1_16scan_by_key_implILNS1_25lookback_scan_determinismE0ELb0ES3_N6thrust23THRUST_200600_302600_NS6detail15normal_iteratorINS9_10device_ptrIiEEEENSB_INSC_IjEEEESG_jNS9_4plusIvEENS9_8equal_toIvEEjEE10hipError_tPvRmT2_T3_T4_T5_mT6_T7_P12ihipStream_tbENKUlT_T0_E_clISt17integral_constantIbLb1EES10_IbLb0EEEEDaSW_SX_EUlSW_E_NS1_11comp_targetILNS1_3genE3ELNS1_11target_archE908ELNS1_3gpuE7ELNS1_3repE0EEENS1_30default_config_static_selectorELNS0_4arch9wavefront6targetE0EEEvT1_ ; -- Begin function _ZN7rocprim17ROCPRIM_400000_NS6detail17trampoline_kernelINS0_14default_configENS1_27scan_by_key_config_selectorIijEEZZNS1_16scan_by_key_implILNS1_25lookback_scan_determinismE0ELb0ES3_N6thrust23THRUST_200600_302600_NS6detail15normal_iteratorINS9_10device_ptrIiEEEENSB_INSC_IjEEEESG_jNS9_4plusIvEENS9_8equal_toIvEEjEE10hipError_tPvRmT2_T3_T4_T5_mT6_T7_P12ihipStream_tbENKUlT_T0_E_clISt17integral_constantIbLb1EES10_IbLb0EEEEDaSW_SX_EUlSW_E_NS1_11comp_targetILNS1_3genE3ELNS1_11target_archE908ELNS1_3gpuE7ELNS1_3repE0EEENS1_30default_config_static_selectorELNS0_4arch9wavefront6targetE0EEEvT1_
	.globl	_ZN7rocprim17ROCPRIM_400000_NS6detail17trampoline_kernelINS0_14default_configENS1_27scan_by_key_config_selectorIijEEZZNS1_16scan_by_key_implILNS1_25lookback_scan_determinismE0ELb0ES3_N6thrust23THRUST_200600_302600_NS6detail15normal_iteratorINS9_10device_ptrIiEEEENSB_INSC_IjEEEESG_jNS9_4plusIvEENS9_8equal_toIvEEjEE10hipError_tPvRmT2_T3_T4_T5_mT6_T7_P12ihipStream_tbENKUlT_T0_E_clISt17integral_constantIbLb1EES10_IbLb0EEEEDaSW_SX_EUlSW_E_NS1_11comp_targetILNS1_3genE3ELNS1_11target_archE908ELNS1_3gpuE7ELNS1_3repE0EEENS1_30default_config_static_selectorELNS0_4arch9wavefront6targetE0EEEvT1_
	.p2align	8
	.type	_ZN7rocprim17ROCPRIM_400000_NS6detail17trampoline_kernelINS0_14default_configENS1_27scan_by_key_config_selectorIijEEZZNS1_16scan_by_key_implILNS1_25lookback_scan_determinismE0ELb0ES3_N6thrust23THRUST_200600_302600_NS6detail15normal_iteratorINS9_10device_ptrIiEEEENSB_INSC_IjEEEESG_jNS9_4plusIvEENS9_8equal_toIvEEjEE10hipError_tPvRmT2_T3_T4_T5_mT6_T7_P12ihipStream_tbENKUlT_T0_E_clISt17integral_constantIbLb1EES10_IbLb0EEEEDaSW_SX_EUlSW_E_NS1_11comp_targetILNS1_3genE3ELNS1_11target_archE908ELNS1_3gpuE7ELNS1_3repE0EEENS1_30default_config_static_selectorELNS0_4arch9wavefront6targetE0EEEvT1_,@function
_ZN7rocprim17ROCPRIM_400000_NS6detail17trampoline_kernelINS0_14default_configENS1_27scan_by_key_config_selectorIijEEZZNS1_16scan_by_key_implILNS1_25lookback_scan_determinismE0ELb0ES3_N6thrust23THRUST_200600_302600_NS6detail15normal_iteratorINS9_10device_ptrIiEEEENSB_INSC_IjEEEESG_jNS9_4plusIvEENS9_8equal_toIvEEjEE10hipError_tPvRmT2_T3_T4_T5_mT6_T7_P12ihipStream_tbENKUlT_T0_E_clISt17integral_constantIbLb1EES10_IbLb0EEEEDaSW_SX_EUlSW_E_NS1_11comp_targetILNS1_3genE3ELNS1_11target_archE908ELNS1_3gpuE7ELNS1_3repE0EEENS1_30default_config_static_selectorELNS0_4arch9wavefront6targetE0EEEvT1_: ; @_ZN7rocprim17ROCPRIM_400000_NS6detail17trampoline_kernelINS0_14default_configENS1_27scan_by_key_config_selectorIijEEZZNS1_16scan_by_key_implILNS1_25lookback_scan_determinismE0ELb0ES3_N6thrust23THRUST_200600_302600_NS6detail15normal_iteratorINS9_10device_ptrIiEEEENSB_INSC_IjEEEESG_jNS9_4plusIvEENS9_8equal_toIvEEjEE10hipError_tPvRmT2_T3_T4_T5_mT6_T7_P12ihipStream_tbENKUlT_T0_E_clISt17integral_constantIbLb1EES10_IbLb0EEEEDaSW_SX_EUlSW_E_NS1_11comp_targetILNS1_3genE3ELNS1_11target_archE908ELNS1_3gpuE7ELNS1_3repE0EEENS1_30default_config_static_selectorELNS0_4arch9wavefront6targetE0EEEvT1_
; %bb.0:
	.section	.rodata,"a",@progbits
	.p2align	6, 0x0
	.amdhsa_kernel _ZN7rocprim17ROCPRIM_400000_NS6detail17trampoline_kernelINS0_14default_configENS1_27scan_by_key_config_selectorIijEEZZNS1_16scan_by_key_implILNS1_25lookback_scan_determinismE0ELb0ES3_N6thrust23THRUST_200600_302600_NS6detail15normal_iteratorINS9_10device_ptrIiEEEENSB_INSC_IjEEEESG_jNS9_4plusIvEENS9_8equal_toIvEEjEE10hipError_tPvRmT2_T3_T4_T5_mT6_T7_P12ihipStream_tbENKUlT_T0_E_clISt17integral_constantIbLb1EES10_IbLb0EEEEDaSW_SX_EUlSW_E_NS1_11comp_targetILNS1_3genE3ELNS1_11target_archE908ELNS1_3gpuE7ELNS1_3repE0EEENS1_30default_config_static_selectorELNS0_4arch9wavefront6targetE0EEEvT1_
		.amdhsa_group_segment_fixed_size 0
		.amdhsa_private_segment_fixed_size 0
		.amdhsa_kernarg_size 112
		.amdhsa_user_sgpr_count 6
		.amdhsa_user_sgpr_private_segment_buffer 1
		.amdhsa_user_sgpr_dispatch_ptr 0
		.amdhsa_user_sgpr_queue_ptr 0
		.amdhsa_user_sgpr_kernarg_segment_ptr 1
		.amdhsa_user_sgpr_dispatch_id 0
		.amdhsa_user_sgpr_flat_scratch_init 0
		.amdhsa_user_sgpr_private_segment_size 0
		.amdhsa_wavefront_size32 1
		.amdhsa_uses_dynamic_stack 0
		.amdhsa_system_sgpr_private_segment_wavefront_offset 0
		.amdhsa_system_sgpr_workgroup_id_x 1
		.amdhsa_system_sgpr_workgroup_id_y 0
		.amdhsa_system_sgpr_workgroup_id_z 0
		.amdhsa_system_sgpr_workgroup_info 0
		.amdhsa_system_vgpr_workitem_id 0
		.amdhsa_next_free_vgpr 1
		.amdhsa_next_free_sgpr 1
		.amdhsa_reserve_vcc 0
		.amdhsa_reserve_flat_scratch 0
		.amdhsa_float_round_mode_32 0
		.amdhsa_float_round_mode_16_64 0
		.amdhsa_float_denorm_mode_32 3
		.amdhsa_float_denorm_mode_16_64 3
		.amdhsa_dx10_clamp 1
		.amdhsa_ieee_mode 1
		.amdhsa_fp16_overflow 0
		.amdhsa_workgroup_processor_mode 1
		.amdhsa_memory_ordered 1
		.amdhsa_forward_progress 1
		.amdhsa_shared_vgpr_count 0
		.amdhsa_exception_fp_ieee_invalid_op 0
		.amdhsa_exception_fp_denorm_src 0
		.amdhsa_exception_fp_ieee_div_zero 0
		.amdhsa_exception_fp_ieee_overflow 0
		.amdhsa_exception_fp_ieee_underflow 0
		.amdhsa_exception_fp_ieee_inexact 0
		.amdhsa_exception_int_div_zero 0
	.end_amdhsa_kernel
	.section	.text._ZN7rocprim17ROCPRIM_400000_NS6detail17trampoline_kernelINS0_14default_configENS1_27scan_by_key_config_selectorIijEEZZNS1_16scan_by_key_implILNS1_25lookback_scan_determinismE0ELb0ES3_N6thrust23THRUST_200600_302600_NS6detail15normal_iteratorINS9_10device_ptrIiEEEENSB_INSC_IjEEEESG_jNS9_4plusIvEENS9_8equal_toIvEEjEE10hipError_tPvRmT2_T3_T4_T5_mT6_T7_P12ihipStream_tbENKUlT_T0_E_clISt17integral_constantIbLb1EES10_IbLb0EEEEDaSW_SX_EUlSW_E_NS1_11comp_targetILNS1_3genE3ELNS1_11target_archE908ELNS1_3gpuE7ELNS1_3repE0EEENS1_30default_config_static_selectorELNS0_4arch9wavefront6targetE0EEEvT1_,"axG",@progbits,_ZN7rocprim17ROCPRIM_400000_NS6detail17trampoline_kernelINS0_14default_configENS1_27scan_by_key_config_selectorIijEEZZNS1_16scan_by_key_implILNS1_25lookback_scan_determinismE0ELb0ES3_N6thrust23THRUST_200600_302600_NS6detail15normal_iteratorINS9_10device_ptrIiEEEENSB_INSC_IjEEEESG_jNS9_4plusIvEENS9_8equal_toIvEEjEE10hipError_tPvRmT2_T3_T4_T5_mT6_T7_P12ihipStream_tbENKUlT_T0_E_clISt17integral_constantIbLb1EES10_IbLb0EEEEDaSW_SX_EUlSW_E_NS1_11comp_targetILNS1_3genE3ELNS1_11target_archE908ELNS1_3gpuE7ELNS1_3repE0EEENS1_30default_config_static_selectorELNS0_4arch9wavefront6targetE0EEEvT1_,comdat
.Lfunc_end1247:
	.size	_ZN7rocprim17ROCPRIM_400000_NS6detail17trampoline_kernelINS0_14default_configENS1_27scan_by_key_config_selectorIijEEZZNS1_16scan_by_key_implILNS1_25lookback_scan_determinismE0ELb0ES3_N6thrust23THRUST_200600_302600_NS6detail15normal_iteratorINS9_10device_ptrIiEEEENSB_INSC_IjEEEESG_jNS9_4plusIvEENS9_8equal_toIvEEjEE10hipError_tPvRmT2_T3_T4_T5_mT6_T7_P12ihipStream_tbENKUlT_T0_E_clISt17integral_constantIbLb1EES10_IbLb0EEEEDaSW_SX_EUlSW_E_NS1_11comp_targetILNS1_3genE3ELNS1_11target_archE908ELNS1_3gpuE7ELNS1_3repE0EEENS1_30default_config_static_selectorELNS0_4arch9wavefront6targetE0EEEvT1_, .Lfunc_end1247-_ZN7rocprim17ROCPRIM_400000_NS6detail17trampoline_kernelINS0_14default_configENS1_27scan_by_key_config_selectorIijEEZZNS1_16scan_by_key_implILNS1_25lookback_scan_determinismE0ELb0ES3_N6thrust23THRUST_200600_302600_NS6detail15normal_iteratorINS9_10device_ptrIiEEEENSB_INSC_IjEEEESG_jNS9_4plusIvEENS9_8equal_toIvEEjEE10hipError_tPvRmT2_T3_T4_T5_mT6_T7_P12ihipStream_tbENKUlT_T0_E_clISt17integral_constantIbLb1EES10_IbLb0EEEEDaSW_SX_EUlSW_E_NS1_11comp_targetILNS1_3genE3ELNS1_11target_archE908ELNS1_3gpuE7ELNS1_3repE0EEENS1_30default_config_static_selectorELNS0_4arch9wavefront6targetE0EEEvT1_
                                        ; -- End function
	.set _ZN7rocprim17ROCPRIM_400000_NS6detail17trampoline_kernelINS0_14default_configENS1_27scan_by_key_config_selectorIijEEZZNS1_16scan_by_key_implILNS1_25lookback_scan_determinismE0ELb0ES3_N6thrust23THRUST_200600_302600_NS6detail15normal_iteratorINS9_10device_ptrIiEEEENSB_INSC_IjEEEESG_jNS9_4plusIvEENS9_8equal_toIvEEjEE10hipError_tPvRmT2_T3_T4_T5_mT6_T7_P12ihipStream_tbENKUlT_T0_E_clISt17integral_constantIbLb1EES10_IbLb0EEEEDaSW_SX_EUlSW_E_NS1_11comp_targetILNS1_3genE3ELNS1_11target_archE908ELNS1_3gpuE7ELNS1_3repE0EEENS1_30default_config_static_selectorELNS0_4arch9wavefront6targetE0EEEvT1_.num_vgpr, 0
	.set _ZN7rocprim17ROCPRIM_400000_NS6detail17trampoline_kernelINS0_14default_configENS1_27scan_by_key_config_selectorIijEEZZNS1_16scan_by_key_implILNS1_25lookback_scan_determinismE0ELb0ES3_N6thrust23THRUST_200600_302600_NS6detail15normal_iteratorINS9_10device_ptrIiEEEENSB_INSC_IjEEEESG_jNS9_4plusIvEENS9_8equal_toIvEEjEE10hipError_tPvRmT2_T3_T4_T5_mT6_T7_P12ihipStream_tbENKUlT_T0_E_clISt17integral_constantIbLb1EES10_IbLb0EEEEDaSW_SX_EUlSW_E_NS1_11comp_targetILNS1_3genE3ELNS1_11target_archE908ELNS1_3gpuE7ELNS1_3repE0EEENS1_30default_config_static_selectorELNS0_4arch9wavefront6targetE0EEEvT1_.num_agpr, 0
	.set _ZN7rocprim17ROCPRIM_400000_NS6detail17trampoline_kernelINS0_14default_configENS1_27scan_by_key_config_selectorIijEEZZNS1_16scan_by_key_implILNS1_25lookback_scan_determinismE0ELb0ES3_N6thrust23THRUST_200600_302600_NS6detail15normal_iteratorINS9_10device_ptrIiEEEENSB_INSC_IjEEEESG_jNS9_4plusIvEENS9_8equal_toIvEEjEE10hipError_tPvRmT2_T3_T4_T5_mT6_T7_P12ihipStream_tbENKUlT_T0_E_clISt17integral_constantIbLb1EES10_IbLb0EEEEDaSW_SX_EUlSW_E_NS1_11comp_targetILNS1_3genE3ELNS1_11target_archE908ELNS1_3gpuE7ELNS1_3repE0EEENS1_30default_config_static_selectorELNS0_4arch9wavefront6targetE0EEEvT1_.numbered_sgpr, 0
	.set _ZN7rocprim17ROCPRIM_400000_NS6detail17trampoline_kernelINS0_14default_configENS1_27scan_by_key_config_selectorIijEEZZNS1_16scan_by_key_implILNS1_25lookback_scan_determinismE0ELb0ES3_N6thrust23THRUST_200600_302600_NS6detail15normal_iteratorINS9_10device_ptrIiEEEENSB_INSC_IjEEEESG_jNS9_4plusIvEENS9_8equal_toIvEEjEE10hipError_tPvRmT2_T3_T4_T5_mT6_T7_P12ihipStream_tbENKUlT_T0_E_clISt17integral_constantIbLb1EES10_IbLb0EEEEDaSW_SX_EUlSW_E_NS1_11comp_targetILNS1_3genE3ELNS1_11target_archE908ELNS1_3gpuE7ELNS1_3repE0EEENS1_30default_config_static_selectorELNS0_4arch9wavefront6targetE0EEEvT1_.num_named_barrier, 0
	.set _ZN7rocprim17ROCPRIM_400000_NS6detail17trampoline_kernelINS0_14default_configENS1_27scan_by_key_config_selectorIijEEZZNS1_16scan_by_key_implILNS1_25lookback_scan_determinismE0ELb0ES3_N6thrust23THRUST_200600_302600_NS6detail15normal_iteratorINS9_10device_ptrIiEEEENSB_INSC_IjEEEESG_jNS9_4plusIvEENS9_8equal_toIvEEjEE10hipError_tPvRmT2_T3_T4_T5_mT6_T7_P12ihipStream_tbENKUlT_T0_E_clISt17integral_constantIbLb1EES10_IbLb0EEEEDaSW_SX_EUlSW_E_NS1_11comp_targetILNS1_3genE3ELNS1_11target_archE908ELNS1_3gpuE7ELNS1_3repE0EEENS1_30default_config_static_selectorELNS0_4arch9wavefront6targetE0EEEvT1_.private_seg_size, 0
	.set _ZN7rocprim17ROCPRIM_400000_NS6detail17trampoline_kernelINS0_14default_configENS1_27scan_by_key_config_selectorIijEEZZNS1_16scan_by_key_implILNS1_25lookback_scan_determinismE0ELb0ES3_N6thrust23THRUST_200600_302600_NS6detail15normal_iteratorINS9_10device_ptrIiEEEENSB_INSC_IjEEEESG_jNS9_4plusIvEENS9_8equal_toIvEEjEE10hipError_tPvRmT2_T3_T4_T5_mT6_T7_P12ihipStream_tbENKUlT_T0_E_clISt17integral_constantIbLb1EES10_IbLb0EEEEDaSW_SX_EUlSW_E_NS1_11comp_targetILNS1_3genE3ELNS1_11target_archE908ELNS1_3gpuE7ELNS1_3repE0EEENS1_30default_config_static_selectorELNS0_4arch9wavefront6targetE0EEEvT1_.uses_vcc, 0
	.set _ZN7rocprim17ROCPRIM_400000_NS6detail17trampoline_kernelINS0_14default_configENS1_27scan_by_key_config_selectorIijEEZZNS1_16scan_by_key_implILNS1_25lookback_scan_determinismE0ELb0ES3_N6thrust23THRUST_200600_302600_NS6detail15normal_iteratorINS9_10device_ptrIiEEEENSB_INSC_IjEEEESG_jNS9_4plusIvEENS9_8equal_toIvEEjEE10hipError_tPvRmT2_T3_T4_T5_mT6_T7_P12ihipStream_tbENKUlT_T0_E_clISt17integral_constantIbLb1EES10_IbLb0EEEEDaSW_SX_EUlSW_E_NS1_11comp_targetILNS1_3genE3ELNS1_11target_archE908ELNS1_3gpuE7ELNS1_3repE0EEENS1_30default_config_static_selectorELNS0_4arch9wavefront6targetE0EEEvT1_.uses_flat_scratch, 0
	.set _ZN7rocprim17ROCPRIM_400000_NS6detail17trampoline_kernelINS0_14default_configENS1_27scan_by_key_config_selectorIijEEZZNS1_16scan_by_key_implILNS1_25lookback_scan_determinismE0ELb0ES3_N6thrust23THRUST_200600_302600_NS6detail15normal_iteratorINS9_10device_ptrIiEEEENSB_INSC_IjEEEESG_jNS9_4plusIvEENS9_8equal_toIvEEjEE10hipError_tPvRmT2_T3_T4_T5_mT6_T7_P12ihipStream_tbENKUlT_T0_E_clISt17integral_constantIbLb1EES10_IbLb0EEEEDaSW_SX_EUlSW_E_NS1_11comp_targetILNS1_3genE3ELNS1_11target_archE908ELNS1_3gpuE7ELNS1_3repE0EEENS1_30default_config_static_selectorELNS0_4arch9wavefront6targetE0EEEvT1_.has_dyn_sized_stack, 0
	.set _ZN7rocprim17ROCPRIM_400000_NS6detail17trampoline_kernelINS0_14default_configENS1_27scan_by_key_config_selectorIijEEZZNS1_16scan_by_key_implILNS1_25lookback_scan_determinismE0ELb0ES3_N6thrust23THRUST_200600_302600_NS6detail15normal_iteratorINS9_10device_ptrIiEEEENSB_INSC_IjEEEESG_jNS9_4plusIvEENS9_8equal_toIvEEjEE10hipError_tPvRmT2_T3_T4_T5_mT6_T7_P12ihipStream_tbENKUlT_T0_E_clISt17integral_constantIbLb1EES10_IbLb0EEEEDaSW_SX_EUlSW_E_NS1_11comp_targetILNS1_3genE3ELNS1_11target_archE908ELNS1_3gpuE7ELNS1_3repE0EEENS1_30default_config_static_selectorELNS0_4arch9wavefront6targetE0EEEvT1_.has_recursion, 0
	.set _ZN7rocprim17ROCPRIM_400000_NS6detail17trampoline_kernelINS0_14default_configENS1_27scan_by_key_config_selectorIijEEZZNS1_16scan_by_key_implILNS1_25lookback_scan_determinismE0ELb0ES3_N6thrust23THRUST_200600_302600_NS6detail15normal_iteratorINS9_10device_ptrIiEEEENSB_INSC_IjEEEESG_jNS9_4plusIvEENS9_8equal_toIvEEjEE10hipError_tPvRmT2_T3_T4_T5_mT6_T7_P12ihipStream_tbENKUlT_T0_E_clISt17integral_constantIbLb1EES10_IbLb0EEEEDaSW_SX_EUlSW_E_NS1_11comp_targetILNS1_3genE3ELNS1_11target_archE908ELNS1_3gpuE7ELNS1_3repE0EEENS1_30default_config_static_selectorELNS0_4arch9wavefront6targetE0EEEvT1_.has_indirect_call, 0
	.section	.AMDGPU.csdata,"",@progbits
; Kernel info:
; codeLenInByte = 0
; TotalNumSgprs: 0
; NumVgprs: 0
; ScratchSize: 0
; MemoryBound: 0
; FloatMode: 240
; IeeeMode: 1
; LDSByteSize: 0 bytes/workgroup (compile time only)
; SGPRBlocks: 0
; VGPRBlocks: 0
; NumSGPRsForWavesPerEU: 1
; NumVGPRsForWavesPerEU: 1
; Occupancy: 16
; WaveLimiterHint : 0
; COMPUTE_PGM_RSRC2:SCRATCH_EN: 0
; COMPUTE_PGM_RSRC2:USER_SGPR: 6
; COMPUTE_PGM_RSRC2:TRAP_HANDLER: 0
; COMPUTE_PGM_RSRC2:TGID_X_EN: 1
; COMPUTE_PGM_RSRC2:TGID_Y_EN: 0
; COMPUTE_PGM_RSRC2:TGID_Z_EN: 0
; COMPUTE_PGM_RSRC2:TIDIG_COMP_CNT: 0
	.section	.text._ZN7rocprim17ROCPRIM_400000_NS6detail17trampoline_kernelINS0_14default_configENS1_27scan_by_key_config_selectorIijEEZZNS1_16scan_by_key_implILNS1_25lookback_scan_determinismE0ELb0ES3_N6thrust23THRUST_200600_302600_NS6detail15normal_iteratorINS9_10device_ptrIiEEEENSB_INSC_IjEEEESG_jNS9_4plusIvEENS9_8equal_toIvEEjEE10hipError_tPvRmT2_T3_T4_T5_mT6_T7_P12ihipStream_tbENKUlT_T0_E_clISt17integral_constantIbLb1EES10_IbLb0EEEEDaSW_SX_EUlSW_E_NS1_11comp_targetILNS1_3genE2ELNS1_11target_archE906ELNS1_3gpuE6ELNS1_3repE0EEENS1_30default_config_static_selectorELNS0_4arch9wavefront6targetE0EEEvT1_,"axG",@progbits,_ZN7rocprim17ROCPRIM_400000_NS6detail17trampoline_kernelINS0_14default_configENS1_27scan_by_key_config_selectorIijEEZZNS1_16scan_by_key_implILNS1_25lookback_scan_determinismE0ELb0ES3_N6thrust23THRUST_200600_302600_NS6detail15normal_iteratorINS9_10device_ptrIiEEEENSB_INSC_IjEEEESG_jNS9_4plusIvEENS9_8equal_toIvEEjEE10hipError_tPvRmT2_T3_T4_T5_mT6_T7_P12ihipStream_tbENKUlT_T0_E_clISt17integral_constantIbLb1EES10_IbLb0EEEEDaSW_SX_EUlSW_E_NS1_11comp_targetILNS1_3genE2ELNS1_11target_archE906ELNS1_3gpuE6ELNS1_3repE0EEENS1_30default_config_static_selectorELNS0_4arch9wavefront6targetE0EEEvT1_,comdat
	.protected	_ZN7rocprim17ROCPRIM_400000_NS6detail17trampoline_kernelINS0_14default_configENS1_27scan_by_key_config_selectorIijEEZZNS1_16scan_by_key_implILNS1_25lookback_scan_determinismE0ELb0ES3_N6thrust23THRUST_200600_302600_NS6detail15normal_iteratorINS9_10device_ptrIiEEEENSB_INSC_IjEEEESG_jNS9_4plusIvEENS9_8equal_toIvEEjEE10hipError_tPvRmT2_T3_T4_T5_mT6_T7_P12ihipStream_tbENKUlT_T0_E_clISt17integral_constantIbLb1EES10_IbLb0EEEEDaSW_SX_EUlSW_E_NS1_11comp_targetILNS1_3genE2ELNS1_11target_archE906ELNS1_3gpuE6ELNS1_3repE0EEENS1_30default_config_static_selectorELNS0_4arch9wavefront6targetE0EEEvT1_ ; -- Begin function _ZN7rocprim17ROCPRIM_400000_NS6detail17trampoline_kernelINS0_14default_configENS1_27scan_by_key_config_selectorIijEEZZNS1_16scan_by_key_implILNS1_25lookback_scan_determinismE0ELb0ES3_N6thrust23THRUST_200600_302600_NS6detail15normal_iteratorINS9_10device_ptrIiEEEENSB_INSC_IjEEEESG_jNS9_4plusIvEENS9_8equal_toIvEEjEE10hipError_tPvRmT2_T3_T4_T5_mT6_T7_P12ihipStream_tbENKUlT_T0_E_clISt17integral_constantIbLb1EES10_IbLb0EEEEDaSW_SX_EUlSW_E_NS1_11comp_targetILNS1_3genE2ELNS1_11target_archE906ELNS1_3gpuE6ELNS1_3repE0EEENS1_30default_config_static_selectorELNS0_4arch9wavefront6targetE0EEEvT1_
	.globl	_ZN7rocprim17ROCPRIM_400000_NS6detail17trampoline_kernelINS0_14default_configENS1_27scan_by_key_config_selectorIijEEZZNS1_16scan_by_key_implILNS1_25lookback_scan_determinismE0ELb0ES3_N6thrust23THRUST_200600_302600_NS6detail15normal_iteratorINS9_10device_ptrIiEEEENSB_INSC_IjEEEESG_jNS9_4plusIvEENS9_8equal_toIvEEjEE10hipError_tPvRmT2_T3_T4_T5_mT6_T7_P12ihipStream_tbENKUlT_T0_E_clISt17integral_constantIbLb1EES10_IbLb0EEEEDaSW_SX_EUlSW_E_NS1_11comp_targetILNS1_3genE2ELNS1_11target_archE906ELNS1_3gpuE6ELNS1_3repE0EEENS1_30default_config_static_selectorELNS0_4arch9wavefront6targetE0EEEvT1_
	.p2align	8
	.type	_ZN7rocprim17ROCPRIM_400000_NS6detail17trampoline_kernelINS0_14default_configENS1_27scan_by_key_config_selectorIijEEZZNS1_16scan_by_key_implILNS1_25lookback_scan_determinismE0ELb0ES3_N6thrust23THRUST_200600_302600_NS6detail15normal_iteratorINS9_10device_ptrIiEEEENSB_INSC_IjEEEESG_jNS9_4plusIvEENS9_8equal_toIvEEjEE10hipError_tPvRmT2_T3_T4_T5_mT6_T7_P12ihipStream_tbENKUlT_T0_E_clISt17integral_constantIbLb1EES10_IbLb0EEEEDaSW_SX_EUlSW_E_NS1_11comp_targetILNS1_3genE2ELNS1_11target_archE906ELNS1_3gpuE6ELNS1_3repE0EEENS1_30default_config_static_selectorELNS0_4arch9wavefront6targetE0EEEvT1_,@function
_ZN7rocprim17ROCPRIM_400000_NS6detail17trampoline_kernelINS0_14default_configENS1_27scan_by_key_config_selectorIijEEZZNS1_16scan_by_key_implILNS1_25lookback_scan_determinismE0ELb0ES3_N6thrust23THRUST_200600_302600_NS6detail15normal_iteratorINS9_10device_ptrIiEEEENSB_INSC_IjEEEESG_jNS9_4plusIvEENS9_8equal_toIvEEjEE10hipError_tPvRmT2_T3_T4_T5_mT6_T7_P12ihipStream_tbENKUlT_T0_E_clISt17integral_constantIbLb1EES10_IbLb0EEEEDaSW_SX_EUlSW_E_NS1_11comp_targetILNS1_3genE2ELNS1_11target_archE906ELNS1_3gpuE6ELNS1_3repE0EEENS1_30default_config_static_selectorELNS0_4arch9wavefront6targetE0EEEvT1_: ; @_ZN7rocprim17ROCPRIM_400000_NS6detail17trampoline_kernelINS0_14default_configENS1_27scan_by_key_config_selectorIijEEZZNS1_16scan_by_key_implILNS1_25lookback_scan_determinismE0ELb0ES3_N6thrust23THRUST_200600_302600_NS6detail15normal_iteratorINS9_10device_ptrIiEEEENSB_INSC_IjEEEESG_jNS9_4plusIvEENS9_8equal_toIvEEjEE10hipError_tPvRmT2_T3_T4_T5_mT6_T7_P12ihipStream_tbENKUlT_T0_E_clISt17integral_constantIbLb1EES10_IbLb0EEEEDaSW_SX_EUlSW_E_NS1_11comp_targetILNS1_3genE2ELNS1_11target_archE906ELNS1_3gpuE6ELNS1_3repE0EEENS1_30default_config_static_selectorELNS0_4arch9wavefront6targetE0EEEvT1_
; %bb.0:
	.section	.rodata,"a",@progbits
	.p2align	6, 0x0
	.amdhsa_kernel _ZN7rocprim17ROCPRIM_400000_NS6detail17trampoline_kernelINS0_14default_configENS1_27scan_by_key_config_selectorIijEEZZNS1_16scan_by_key_implILNS1_25lookback_scan_determinismE0ELb0ES3_N6thrust23THRUST_200600_302600_NS6detail15normal_iteratorINS9_10device_ptrIiEEEENSB_INSC_IjEEEESG_jNS9_4plusIvEENS9_8equal_toIvEEjEE10hipError_tPvRmT2_T3_T4_T5_mT6_T7_P12ihipStream_tbENKUlT_T0_E_clISt17integral_constantIbLb1EES10_IbLb0EEEEDaSW_SX_EUlSW_E_NS1_11comp_targetILNS1_3genE2ELNS1_11target_archE906ELNS1_3gpuE6ELNS1_3repE0EEENS1_30default_config_static_selectorELNS0_4arch9wavefront6targetE0EEEvT1_
		.amdhsa_group_segment_fixed_size 0
		.amdhsa_private_segment_fixed_size 0
		.amdhsa_kernarg_size 112
		.amdhsa_user_sgpr_count 6
		.amdhsa_user_sgpr_private_segment_buffer 1
		.amdhsa_user_sgpr_dispatch_ptr 0
		.amdhsa_user_sgpr_queue_ptr 0
		.amdhsa_user_sgpr_kernarg_segment_ptr 1
		.amdhsa_user_sgpr_dispatch_id 0
		.amdhsa_user_sgpr_flat_scratch_init 0
		.amdhsa_user_sgpr_private_segment_size 0
		.amdhsa_wavefront_size32 1
		.amdhsa_uses_dynamic_stack 0
		.amdhsa_system_sgpr_private_segment_wavefront_offset 0
		.amdhsa_system_sgpr_workgroup_id_x 1
		.amdhsa_system_sgpr_workgroup_id_y 0
		.amdhsa_system_sgpr_workgroup_id_z 0
		.amdhsa_system_sgpr_workgroup_info 0
		.amdhsa_system_vgpr_workitem_id 0
		.amdhsa_next_free_vgpr 1
		.amdhsa_next_free_sgpr 1
		.amdhsa_reserve_vcc 0
		.amdhsa_reserve_flat_scratch 0
		.amdhsa_float_round_mode_32 0
		.amdhsa_float_round_mode_16_64 0
		.amdhsa_float_denorm_mode_32 3
		.amdhsa_float_denorm_mode_16_64 3
		.amdhsa_dx10_clamp 1
		.amdhsa_ieee_mode 1
		.amdhsa_fp16_overflow 0
		.amdhsa_workgroup_processor_mode 1
		.amdhsa_memory_ordered 1
		.amdhsa_forward_progress 1
		.amdhsa_shared_vgpr_count 0
		.amdhsa_exception_fp_ieee_invalid_op 0
		.amdhsa_exception_fp_denorm_src 0
		.amdhsa_exception_fp_ieee_div_zero 0
		.amdhsa_exception_fp_ieee_overflow 0
		.amdhsa_exception_fp_ieee_underflow 0
		.amdhsa_exception_fp_ieee_inexact 0
		.amdhsa_exception_int_div_zero 0
	.end_amdhsa_kernel
	.section	.text._ZN7rocprim17ROCPRIM_400000_NS6detail17trampoline_kernelINS0_14default_configENS1_27scan_by_key_config_selectorIijEEZZNS1_16scan_by_key_implILNS1_25lookback_scan_determinismE0ELb0ES3_N6thrust23THRUST_200600_302600_NS6detail15normal_iteratorINS9_10device_ptrIiEEEENSB_INSC_IjEEEESG_jNS9_4plusIvEENS9_8equal_toIvEEjEE10hipError_tPvRmT2_T3_T4_T5_mT6_T7_P12ihipStream_tbENKUlT_T0_E_clISt17integral_constantIbLb1EES10_IbLb0EEEEDaSW_SX_EUlSW_E_NS1_11comp_targetILNS1_3genE2ELNS1_11target_archE906ELNS1_3gpuE6ELNS1_3repE0EEENS1_30default_config_static_selectorELNS0_4arch9wavefront6targetE0EEEvT1_,"axG",@progbits,_ZN7rocprim17ROCPRIM_400000_NS6detail17trampoline_kernelINS0_14default_configENS1_27scan_by_key_config_selectorIijEEZZNS1_16scan_by_key_implILNS1_25lookback_scan_determinismE0ELb0ES3_N6thrust23THRUST_200600_302600_NS6detail15normal_iteratorINS9_10device_ptrIiEEEENSB_INSC_IjEEEESG_jNS9_4plusIvEENS9_8equal_toIvEEjEE10hipError_tPvRmT2_T3_T4_T5_mT6_T7_P12ihipStream_tbENKUlT_T0_E_clISt17integral_constantIbLb1EES10_IbLb0EEEEDaSW_SX_EUlSW_E_NS1_11comp_targetILNS1_3genE2ELNS1_11target_archE906ELNS1_3gpuE6ELNS1_3repE0EEENS1_30default_config_static_selectorELNS0_4arch9wavefront6targetE0EEEvT1_,comdat
.Lfunc_end1248:
	.size	_ZN7rocprim17ROCPRIM_400000_NS6detail17trampoline_kernelINS0_14default_configENS1_27scan_by_key_config_selectorIijEEZZNS1_16scan_by_key_implILNS1_25lookback_scan_determinismE0ELb0ES3_N6thrust23THRUST_200600_302600_NS6detail15normal_iteratorINS9_10device_ptrIiEEEENSB_INSC_IjEEEESG_jNS9_4plusIvEENS9_8equal_toIvEEjEE10hipError_tPvRmT2_T3_T4_T5_mT6_T7_P12ihipStream_tbENKUlT_T0_E_clISt17integral_constantIbLb1EES10_IbLb0EEEEDaSW_SX_EUlSW_E_NS1_11comp_targetILNS1_3genE2ELNS1_11target_archE906ELNS1_3gpuE6ELNS1_3repE0EEENS1_30default_config_static_selectorELNS0_4arch9wavefront6targetE0EEEvT1_, .Lfunc_end1248-_ZN7rocprim17ROCPRIM_400000_NS6detail17trampoline_kernelINS0_14default_configENS1_27scan_by_key_config_selectorIijEEZZNS1_16scan_by_key_implILNS1_25lookback_scan_determinismE0ELb0ES3_N6thrust23THRUST_200600_302600_NS6detail15normal_iteratorINS9_10device_ptrIiEEEENSB_INSC_IjEEEESG_jNS9_4plusIvEENS9_8equal_toIvEEjEE10hipError_tPvRmT2_T3_T4_T5_mT6_T7_P12ihipStream_tbENKUlT_T0_E_clISt17integral_constantIbLb1EES10_IbLb0EEEEDaSW_SX_EUlSW_E_NS1_11comp_targetILNS1_3genE2ELNS1_11target_archE906ELNS1_3gpuE6ELNS1_3repE0EEENS1_30default_config_static_selectorELNS0_4arch9wavefront6targetE0EEEvT1_
                                        ; -- End function
	.set _ZN7rocprim17ROCPRIM_400000_NS6detail17trampoline_kernelINS0_14default_configENS1_27scan_by_key_config_selectorIijEEZZNS1_16scan_by_key_implILNS1_25lookback_scan_determinismE0ELb0ES3_N6thrust23THRUST_200600_302600_NS6detail15normal_iteratorINS9_10device_ptrIiEEEENSB_INSC_IjEEEESG_jNS9_4plusIvEENS9_8equal_toIvEEjEE10hipError_tPvRmT2_T3_T4_T5_mT6_T7_P12ihipStream_tbENKUlT_T0_E_clISt17integral_constantIbLb1EES10_IbLb0EEEEDaSW_SX_EUlSW_E_NS1_11comp_targetILNS1_3genE2ELNS1_11target_archE906ELNS1_3gpuE6ELNS1_3repE0EEENS1_30default_config_static_selectorELNS0_4arch9wavefront6targetE0EEEvT1_.num_vgpr, 0
	.set _ZN7rocprim17ROCPRIM_400000_NS6detail17trampoline_kernelINS0_14default_configENS1_27scan_by_key_config_selectorIijEEZZNS1_16scan_by_key_implILNS1_25lookback_scan_determinismE0ELb0ES3_N6thrust23THRUST_200600_302600_NS6detail15normal_iteratorINS9_10device_ptrIiEEEENSB_INSC_IjEEEESG_jNS9_4plusIvEENS9_8equal_toIvEEjEE10hipError_tPvRmT2_T3_T4_T5_mT6_T7_P12ihipStream_tbENKUlT_T0_E_clISt17integral_constantIbLb1EES10_IbLb0EEEEDaSW_SX_EUlSW_E_NS1_11comp_targetILNS1_3genE2ELNS1_11target_archE906ELNS1_3gpuE6ELNS1_3repE0EEENS1_30default_config_static_selectorELNS0_4arch9wavefront6targetE0EEEvT1_.num_agpr, 0
	.set _ZN7rocprim17ROCPRIM_400000_NS6detail17trampoline_kernelINS0_14default_configENS1_27scan_by_key_config_selectorIijEEZZNS1_16scan_by_key_implILNS1_25lookback_scan_determinismE0ELb0ES3_N6thrust23THRUST_200600_302600_NS6detail15normal_iteratorINS9_10device_ptrIiEEEENSB_INSC_IjEEEESG_jNS9_4plusIvEENS9_8equal_toIvEEjEE10hipError_tPvRmT2_T3_T4_T5_mT6_T7_P12ihipStream_tbENKUlT_T0_E_clISt17integral_constantIbLb1EES10_IbLb0EEEEDaSW_SX_EUlSW_E_NS1_11comp_targetILNS1_3genE2ELNS1_11target_archE906ELNS1_3gpuE6ELNS1_3repE0EEENS1_30default_config_static_selectorELNS0_4arch9wavefront6targetE0EEEvT1_.numbered_sgpr, 0
	.set _ZN7rocprim17ROCPRIM_400000_NS6detail17trampoline_kernelINS0_14default_configENS1_27scan_by_key_config_selectorIijEEZZNS1_16scan_by_key_implILNS1_25lookback_scan_determinismE0ELb0ES3_N6thrust23THRUST_200600_302600_NS6detail15normal_iteratorINS9_10device_ptrIiEEEENSB_INSC_IjEEEESG_jNS9_4plusIvEENS9_8equal_toIvEEjEE10hipError_tPvRmT2_T3_T4_T5_mT6_T7_P12ihipStream_tbENKUlT_T0_E_clISt17integral_constantIbLb1EES10_IbLb0EEEEDaSW_SX_EUlSW_E_NS1_11comp_targetILNS1_3genE2ELNS1_11target_archE906ELNS1_3gpuE6ELNS1_3repE0EEENS1_30default_config_static_selectorELNS0_4arch9wavefront6targetE0EEEvT1_.num_named_barrier, 0
	.set _ZN7rocprim17ROCPRIM_400000_NS6detail17trampoline_kernelINS0_14default_configENS1_27scan_by_key_config_selectorIijEEZZNS1_16scan_by_key_implILNS1_25lookback_scan_determinismE0ELb0ES3_N6thrust23THRUST_200600_302600_NS6detail15normal_iteratorINS9_10device_ptrIiEEEENSB_INSC_IjEEEESG_jNS9_4plusIvEENS9_8equal_toIvEEjEE10hipError_tPvRmT2_T3_T4_T5_mT6_T7_P12ihipStream_tbENKUlT_T0_E_clISt17integral_constantIbLb1EES10_IbLb0EEEEDaSW_SX_EUlSW_E_NS1_11comp_targetILNS1_3genE2ELNS1_11target_archE906ELNS1_3gpuE6ELNS1_3repE0EEENS1_30default_config_static_selectorELNS0_4arch9wavefront6targetE0EEEvT1_.private_seg_size, 0
	.set _ZN7rocprim17ROCPRIM_400000_NS6detail17trampoline_kernelINS0_14default_configENS1_27scan_by_key_config_selectorIijEEZZNS1_16scan_by_key_implILNS1_25lookback_scan_determinismE0ELb0ES3_N6thrust23THRUST_200600_302600_NS6detail15normal_iteratorINS9_10device_ptrIiEEEENSB_INSC_IjEEEESG_jNS9_4plusIvEENS9_8equal_toIvEEjEE10hipError_tPvRmT2_T3_T4_T5_mT6_T7_P12ihipStream_tbENKUlT_T0_E_clISt17integral_constantIbLb1EES10_IbLb0EEEEDaSW_SX_EUlSW_E_NS1_11comp_targetILNS1_3genE2ELNS1_11target_archE906ELNS1_3gpuE6ELNS1_3repE0EEENS1_30default_config_static_selectorELNS0_4arch9wavefront6targetE0EEEvT1_.uses_vcc, 0
	.set _ZN7rocprim17ROCPRIM_400000_NS6detail17trampoline_kernelINS0_14default_configENS1_27scan_by_key_config_selectorIijEEZZNS1_16scan_by_key_implILNS1_25lookback_scan_determinismE0ELb0ES3_N6thrust23THRUST_200600_302600_NS6detail15normal_iteratorINS9_10device_ptrIiEEEENSB_INSC_IjEEEESG_jNS9_4plusIvEENS9_8equal_toIvEEjEE10hipError_tPvRmT2_T3_T4_T5_mT6_T7_P12ihipStream_tbENKUlT_T0_E_clISt17integral_constantIbLb1EES10_IbLb0EEEEDaSW_SX_EUlSW_E_NS1_11comp_targetILNS1_3genE2ELNS1_11target_archE906ELNS1_3gpuE6ELNS1_3repE0EEENS1_30default_config_static_selectorELNS0_4arch9wavefront6targetE0EEEvT1_.uses_flat_scratch, 0
	.set _ZN7rocprim17ROCPRIM_400000_NS6detail17trampoline_kernelINS0_14default_configENS1_27scan_by_key_config_selectorIijEEZZNS1_16scan_by_key_implILNS1_25lookback_scan_determinismE0ELb0ES3_N6thrust23THRUST_200600_302600_NS6detail15normal_iteratorINS9_10device_ptrIiEEEENSB_INSC_IjEEEESG_jNS9_4plusIvEENS9_8equal_toIvEEjEE10hipError_tPvRmT2_T3_T4_T5_mT6_T7_P12ihipStream_tbENKUlT_T0_E_clISt17integral_constantIbLb1EES10_IbLb0EEEEDaSW_SX_EUlSW_E_NS1_11comp_targetILNS1_3genE2ELNS1_11target_archE906ELNS1_3gpuE6ELNS1_3repE0EEENS1_30default_config_static_selectorELNS0_4arch9wavefront6targetE0EEEvT1_.has_dyn_sized_stack, 0
	.set _ZN7rocprim17ROCPRIM_400000_NS6detail17trampoline_kernelINS0_14default_configENS1_27scan_by_key_config_selectorIijEEZZNS1_16scan_by_key_implILNS1_25lookback_scan_determinismE0ELb0ES3_N6thrust23THRUST_200600_302600_NS6detail15normal_iteratorINS9_10device_ptrIiEEEENSB_INSC_IjEEEESG_jNS9_4plusIvEENS9_8equal_toIvEEjEE10hipError_tPvRmT2_T3_T4_T5_mT6_T7_P12ihipStream_tbENKUlT_T0_E_clISt17integral_constantIbLb1EES10_IbLb0EEEEDaSW_SX_EUlSW_E_NS1_11comp_targetILNS1_3genE2ELNS1_11target_archE906ELNS1_3gpuE6ELNS1_3repE0EEENS1_30default_config_static_selectorELNS0_4arch9wavefront6targetE0EEEvT1_.has_recursion, 0
	.set _ZN7rocprim17ROCPRIM_400000_NS6detail17trampoline_kernelINS0_14default_configENS1_27scan_by_key_config_selectorIijEEZZNS1_16scan_by_key_implILNS1_25lookback_scan_determinismE0ELb0ES3_N6thrust23THRUST_200600_302600_NS6detail15normal_iteratorINS9_10device_ptrIiEEEENSB_INSC_IjEEEESG_jNS9_4plusIvEENS9_8equal_toIvEEjEE10hipError_tPvRmT2_T3_T4_T5_mT6_T7_P12ihipStream_tbENKUlT_T0_E_clISt17integral_constantIbLb1EES10_IbLb0EEEEDaSW_SX_EUlSW_E_NS1_11comp_targetILNS1_3genE2ELNS1_11target_archE906ELNS1_3gpuE6ELNS1_3repE0EEENS1_30default_config_static_selectorELNS0_4arch9wavefront6targetE0EEEvT1_.has_indirect_call, 0
	.section	.AMDGPU.csdata,"",@progbits
; Kernel info:
; codeLenInByte = 0
; TotalNumSgprs: 0
; NumVgprs: 0
; ScratchSize: 0
; MemoryBound: 0
; FloatMode: 240
; IeeeMode: 1
; LDSByteSize: 0 bytes/workgroup (compile time only)
; SGPRBlocks: 0
; VGPRBlocks: 0
; NumSGPRsForWavesPerEU: 1
; NumVGPRsForWavesPerEU: 1
; Occupancy: 16
; WaveLimiterHint : 0
; COMPUTE_PGM_RSRC2:SCRATCH_EN: 0
; COMPUTE_PGM_RSRC2:USER_SGPR: 6
; COMPUTE_PGM_RSRC2:TRAP_HANDLER: 0
; COMPUTE_PGM_RSRC2:TGID_X_EN: 1
; COMPUTE_PGM_RSRC2:TGID_Y_EN: 0
; COMPUTE_PGM_RSRC2:TGID_Z_EN: 0
; COMPUTE_PGM_RSRC2:TIDIG_COMP_CNT: 0
	.section	.text._ZN7rocprim17ROCPRIM_400000_NS6detail17trampoline_kernelINS0_14default_configENS1_27scan_by_key_config_selectorIijEEZZNS1_16scan_by_key_implILNS1_25lookback_scan_determinismE0ELb0ES3_N6thrust23THRUST_200600_302600_NS6detail15normal_iteratorINS9_10device_ptrIiEEEENSB_INSC_IjEEEESG_jNS9_4plusIvEENS9_8equal_toIvEEjEE10hipError_tPvRmT2_T3_T4_T5_mT6_T7_P12ihipStream_tbENKUlT_T0_E_clISt17integral_constantIbLb1EES10_IbLb0EEEEDaSW_SX_EUlSW_E_NS1_11comp_targetILNS1_3genE10ELNS1_11target_archE1200ELNS1_3gpuE4ELNS1_3repE0EEENS1_30default_config_static_selectorELNS0_4arch9wavefront6targetE0EEEvT1_,"axG",@progbits,_ZN7rocprim17ROCPRIM_400000_NS6detail17trampoline_kernelINS0_14default_configENS1_27scan_by_key_config_selectorIijEEZZNS1_16scan_by_key_implILNS1_25lookback_scan_determinismE0ELb0ES3_N6thrust23THRUST_200600_302600_NS6detail15normal_iteratorINS9_10device_ptrIiEEEENSB_INSC_IjEEEESG_jNS9_4plusIvEENS9_8equal_toIvEEjEE10hipError_tPvRmT2_T3_T4_T5_mT6_T7_P12ihipStream_tbENKUlT_T0_E_clISt17integral_constantIbLb1EES10_IbLb0EEEEDaSW_SX_EUlSW_E_NS1_11comp_targetILNS1_3genE10ELNS1_11target_archE1200ELNS1_3gpuE4ELNS1_3repE0EEENS1_30default_config_static_selectorELNS0_4arch9wavefront6targetE0EEEvT1_,comdat
	.protected	_ZN7rocprim17ROCPRIM_400000_NS6detail17trampoline_kernelINS0_14default_configENS1_27scan_by_key_config_selectorIijEEZZNS1_16scan_by_key_implILNS1_25lookback_scan_determinismE0ELb0ES3_N6thrust23THRUST_200600_302600_NS6detail15normal_iteratorINS9_10device_ptrIiEEEENSB_INSC_IjEEEESG_jNS9_4plusIvEENS9_8equal_toIvEEjEE10hipError_tPvRmT2_T3_T4_T5_mT6_T7_P12ihipStream_tbENKUlT_T0_E_clISt17integral_constantIbLb1EES10_IbLb0EEEEDaSW_SX_EUlSW_E_NS1_11comp_targetILNS1_3genE10ELNS1_11target_archE1200ELNS1_3gpuE4ELNS1_3repE0EEENS1_30default_config_static_selectorELNS0_4arch9wavefront6targetE0EEEvT1_ ; -- Begin function _ZN7rocprim17ROCPRIM_400000_NS6detail17trampoline_kernelINS0_14default_configENS1_27scan_by_key_config_selectorIijEEZZNS1_16scan_by_key_implILNS1_25lookback_scan_determinismE0ELb0ES3_N6thrust23THRUST_200600_302600_NS6detail15normal_iteratorINS9_10device_ptrIiEEEENSB_INSC_IjEEEESG_jNS9_4plusIvEENS9_8equal_toIvEEjEE10hipError_tPvRmT2_T3_T4_T5_mT6_T7_P12ihipStream_tbENKUlT_T0_E_clISt17integral_constantIbLb1EES10_IbLb0EEEEDaSW_SX_EUlSW_E_NS1_11comp_targetILNS1_3genE10ELNS1_11target_archE1200ELNS1_3gpuE4ELNS1_3repE0EEENS1_30default_config_static_selectorELNS0_4arch9wavefront6targetE0EEEvT1_
	.globl	_ZN7rocprim17ROCPRIM_400000_NS6detail17trampoline_kernelINS0_14default_configENS1_27scan_by_key_config_selectorIijEEZZNS1_16scan_by_key_implILNS1_25lookback_scan_determinismE0ELb0ES3_N6thrust23THRUST_200600_302600_NS6detail15normal_iteratorINS9_10device_ptrIiEEEENSB_INSC_IjEEEESG_jNS9_4plusIvEENS9_8equal_toIvEEjEE10hipError_tPvRmT2_T3_T4_T5_mT6_T7_P12ihipStream_tbENKUlT_T0_E_clISt17integral_constantIbLb1EES10_IbLb0EEEEDaSW_SX_EUlSW_E_NS1_11comp_targetILNS1_3genE10ELNS1_11target_archE1200ELNS1_3gpuE4ELNS1_3repE0EEENS1_30default_config_static_selectorELNS0_4arch9wavefront6targetE0EEEvT1_
	.p2align	8
	.type	_ZN7rocprim17ROCPRIM_400000_NS6detail17trampoline_kernelINS0_14default_configENS1_27scan_by_key_config_selectorIijEEZZNS1_16scan_by_key_implILNS1_25lookback_scan_determinismE0ELb0ES3_N6thrust23THRUST_200600_302600_NS6detail15normal_iteratorINS9_10device_ptrIiEEEENSB_INSC_IjEEEESG_jNS9_4plusIvEENS9_8equal_toIvEEjEE10hipError_tPvRmT2_T3_T4_T5_mT6_T7_P12ihipStream_tbENKUlT_T0_E_clISt17integral_constantIbLb1EES10_IbLb0EEEEDaSW_SX_EUlSW_E_NS1_11comp_targetILNS1_3genE10ELNS1_11target_archE1200ELNS1_3gpuE4ELNS1_3repE0EEENS1_30default_config_static_selectorELNS0_4arch9wavefront6targetE0EEEvT1_,@function
_ZN7rocprim17ROCPRIM_400000_NS6detail17trampoline_kernelINS0_14default_configENS1_27scan_by_key_config_selectorIijEEZZNS1_16scan_by_key_implILNS1_25lookback_scan_determinismE0ELb0ES3_N6thrust23THRUST_200600_302600_NS6detail15normal_iteratorINS9_10device_ptrIiEEEENSB_INSC_IjEEEESG_jNS9_4plusIvEENS9_8equal_toIvEEjEE10hipError_tPvRmT2_T3_T4_T5_mT6_T7_P12ihipStream_tbENKUlT_T0_E_clISt17integral_constantIbLb1EES10_IbLb0EEEEDaSW_SX_EUlSW_E_NS1_11comp_targetILNS1_3genE10ELNS1_11target_archE1200ELNS1_3gpuE4ELNS1_3repE0EEENS1_30default_config_static_selectorELNS0_4arch9wavefront6targetE0EEEvT1_: ; @_ZN7rocprim17ROCPRIM_400000_NS6detail17trampoline_kernelINS0_14default_configENS1_27scan_by_key_config_selectorIijEEZZNS1_16scan_by_key_implILNS1_25lookback_scan_determinismE0ELb0ES3_N6thrust23THRUST_200600_302600_NS6detail15normal_iteratorINS9_10device_ptrIiEEEENSB_INSC_IjEEEESG_jNS9_4plusIvEENS9_8equal_toIvEEjEE10hipError_tPvRmT2_T3_T4_T5_mT6_T7_P12ihipStream_tbENKUlT_T0_E_clISt17integral_constantIbLb1EES10_IbLb0EEEEDaSW_SX_EUlSW_E_NS1_11comp_targetILNS1_3genE10ELNS1_11target_archE1200ELNS1_3gpuE4ELNS1_3repE0EEENS1_30default_config_static_selectorELNS0_4arch9wavefront6targetE0EEEvT1_
; %bb.0:
	.section	.rodata,"a",@progbits
	.p2align	6, 0x0
	.amdhsa_kernel _ZN7rocprim17ROCPRIM_400000_NS6detail17trampoline_kernelINS0_14default_configENS1_27scan_by_key_config_selectorIijEEZZNS1_16scan_by_key_implILNS1_25lookback_scan_determinismE0ELb0ES3_N6thrust23THRUST_200600_302600_NS6detail15normal_iteratorINS9_10device_ptrIiEEEENSB_INSC_IjEEEESG_jNS9_4plusIvEENS9_8equal_toIvEEjEE10hipError_tPvRmT2_T3_T4_T5_mT6_T7_P12ihipStream_tbENKUlT_T0_E_clISt17integral_constantIbLb1EES10_IbLb0EEEEDaSW_SX_EUlSW_E_NS1_11comp_targetILNS1_3genE10ELNS1_11target_archE1200ELNS1_3gpuE4ELNS1_3repE0EEENS1_30default_config_static_selectorELNS0_4arch9wavefront6targetE0EEEvT1_
		.amdhsa_group_segment_fixed_size 0
		.amdhsa_private_segment_fixed_size 0
		.amdhsa_kernarg_size 112
		.amdhsa_user_sgpr_count 6
		.amdhsa_user_sgpr_private_segment_buffer 1
		.amdhsa_user_sgpr_dispatch_ptr 0
		.amdhsa_user_sgpr_queue_ptr 0
		.amdhsa_user_sgpr_kernarg_segment_ptr 1
		.amdhsa_user_sgpr_dispatch_id 0
		.amdhsa_user_sgpr_flat_scratch_init 0
		.amdhsa_user_sgpr_private_segment_size 0
		.amdhsa_wavefront_size32 1
		.amdhsa_uses_dynamic_stack 0
		.amdhsa_system_sgpr_private_segment_wavefront_offset 0
		.amdhsa_system_sgpr_workgroup_id_x 1
		.amdhsa_system_sgpr_workgroup_id_y 0
		.amdhsa_system_sgpr_workgroup_id_z 0
		.amdhsa_system_sgpr_workgroup_info 0
		.amdhsa_system_vgpr_workitem_id 0
		.amdhsa_next_free_vgpr 1
		.amdhsa_next_free_sgpr 1
		.amdhsa_reserve_vcc 0
		.amdhsa_reserve_flat_scratch 0
		.amdhsa_float_round_mode_32 0
		.amdhsa_float_round_mode_16_64 0
		.amdhsa_float_denorm_mode_32 3
		.amdhsa_float_denorm_mode_16_64 3
		.amdhsa_dx10_clamp 1
		.amdhsa_ieee_mode 1
		.amdhsa_fp16_overflow 0
		.amdhsa_workgroup_processor_mode 1
		.amdhsa_memory_ordered 1
		.amdhsa_forward_progress 1
		.amdhsa_shared_vgpr_count 0
		.amdhsa_exception_fp_ieee_invalid_op 0
		.amdhsa_exception_fp_denorm_src 0
		.amdhsa_exception_fp_ieee_div_zero 0
		.amdhsa_exception_fp_ieee_overflow 0
		.amdhsa_exception_fp_ieee_underflow 0
		.amdhsa_exception_fp_ieee_inexact 0
		.amdhsa_exception_int_div_zero 0
	.end_amdhsa_kernel
	.section	.text._ZN7rocprim17ROCPRIM_400000_NS6detail17trampoline_kernelINS0_14default_configENS1_27scan_by_key_config_selectorIijEEZZNS1_16scan_by_key_implILNS1_25lookback_scan_determinismE0ELb0ES3_N6thrust23THRUST_200600_302600_NS6detail15normal_iteratorINS9_10device_ptrIiEEEENSB_INSC_IjEEEESG_jNS9_4plusIvEENS9_8equal_toIvEEjEE10hipError_tPvRmT2_T3_T4_T5_mT6_T7_P12ihipStream_tbENKUlT_T0_E_clISt17integral_constantIbLb1EES10_IbLb0EEEEDaSW_SX_EUlSW_E_NS1_11comp_targetILNS1_3genE10ELNS1_11target_archE1200ELNS1_3gpuE4ELNS1_3repE0EEENS1_30default_config_static_selectorELNS0_4arch9wavefront6targetE0EEEvT1_,"axG",@progbits,_ZN7rocprim17ROCPRIM_400000_NS6detail17trampoline_kernelINS0_14default_configENS1_27scan_by_key_config_selectorIijEEZZNS1_16scan_by_key_implILNS1_25lookback_scan_determinismE0ELb0ES3_N6thrust23THRUST_200600_302600_NS6detail15normal_iteratorINS9_10device_ptrIiEEEENSB_INSC_IjEEEESG_jNS9_4plusIvEENS9_8equal_toIvEEjEE10hipError_tPvRmT2_T3_T4_T5_mT6_T7_P12ihipStream_tbENKUlT_T0_E_clISt17integral_constantIbLb1EES10_IbLb0EEEEDaSW_SX_EUlSW_E_NS1_11comp_targetILNS1_3genE10ELNS1_11target_archE1200ELNS1_3gpuE4ELNS1_3repE0EEENS1_30default_config_static_selectorELNS0_4arch9wavefront6targetE0EEEvT1_,comdat
.Lfunc_end1249:
	.size	_ZN7rocprim17ROCPRIM_400000_NS6detail17trampoline_kernelINS0_14default_configENS1_27scan_by_key_config_selectorIijEEZZNS1_16scan_by_key_implILNS1_25lookback_scan_determinismE0ELb0ES3_N6thrust23THRUST_200600_302600_NS6detail15normal_iteratorINS9_10device_ptrIiEEEENSB_INSC_IjEEEESG_jNS9_4plusIvEENS9_8equal_toIvEEjEE10hipError_tPvRmT2_T3_T4_T5_mT6_T7_P12ihipStream_tbENKUlT_T0_E_clISt17integral_constantIbLb1EES10_IbLb0EEEEDaSW_SX_EUlSW_E_NS1_11comp_targetILNS1_3genE10ELNS1_11target_archE1200ELNS1_3gpuE4ELNS1_3repE0EEENS1_30default_config_static_selectorELNS0_4arch9wavefront6targetE0EEEvT1_, .Lfunc_end1249-_ZN7rocprim17ROCPRIM_400000_NS6detail17trampoline_kernelINS0_14default_configENS1_27scan_by_key_config_selectorIijEEZZNS1_16scan_by_key_implILNS1_25lookback_scan_determinismE0ELb0ES3_N6thrust23THRUST_200600_302600_NS6detail15normal_iteratorINS9_10device_ptrIiEEEENSB_INSC_IjEEEESG_jNS9_4plusIvEENS9_8equal_toIvEEjEE10hipError_tPvRmT2_T3_T4_T5_mT6_T7_P12ihipStream_tbENKUlT_T0_E_clISt17integral_constantIbLb1EES10_IbLb0EEEEDaSW_SX_EUlSW_E_NS1_11comp_targetILNS1_3genE10ELNS1_11target_archE1200ELNS1_3gpuE4ELNS1_3repE0EEENS1_30default_config_static_selectorELNS0_4arch9wavefront6targetE0EEEvT1_
                                        ; -- End function
	.set _ZN7rocprim17ROCPRIM_400000_NS6detail17trampoline_kernelINS0_14default_configENS1_27scan_by_key_config_selectorIijEEZZNS1_16scan_by_key_implILNS1_25lookback_scan_determinismE0ELb0ES3_N6thrust23THRUST_200600_302600_NS6detail15normal_iteratorINS9_10device_ptrIiEEEENSB_INSC_IjEEEESG_jNS9_4plusIvEENS9_8equal_toIvEEjEE10hipError_tPvRmT2_T3_T4_T5_mT6_T7_P12ihipStream_tbENKUlT_T0_E_clISt17integral_constantIbLb1EES10_IbLb0EEEEDaSW_SX_EUlSW_E_NS1_11comp_targetILNS1_3genE10ELNS1_11target_archE1200ELNS1_3gpuE4ELNS1_3repE0EEENS1_30default_config_static_selectorELNS0_4arch9wavefront6targetE0EEEvT1_.num_vgpr, 0
	.set _ZN7rocprim17ROCPRIM_400000_NS6detail17trampoline_kernelINS0_14default_configENS1_27scan_by_key_config_selectorIijEEZZNS1_16scan_by_key_implILNS1_25lookback_scan_determinismE0ELb0ES3_N6thrust23THRUST_200600_302600_NS6detail15normal_iteratorINS9_10device_ptrIiEEEENSB_INSC_IjEEEESG_jNS9_4plusIvEENS9_8equal_toIvEEjEE10hipError_tPvRmT2_T3_T4_T5_mT6_T7_P12ihipStream_tbENKUlT_T0_E_clISt17integral_constantIbLb1EES10_IbLb0EEEEDaSW_SX_EUlSW_E_NS1_11comp_targetILNS1_3genE10ELNS1_11target_archE1200ELNS1_3gpuE4ELNS1_3repE0EEENS1_30default_config_static_selectorELNS0_4arch9wavefront6targetE0EEEvT1_.num_agpr, 0
	.set _ZN7rocprim17ROCPRIM_400000_NS6detail17trampoline_kernelINS0_14default_configENS1_27scan_by_key_config_selectorIijEEZZNS1_16scan_by_key_implILNS1_25lookback_scan_determinismE0ELb0ES3_N6thrust23THRUST_200600_302600_NS6detail15normal_iteratorINS9_10device_ptrIiEEEENSB_INSC_IjEEEESG_jNS9_4plusIvEENS9_8equal_toIvEEjEE10hipError_tPvRmT2_T3_T4_T5_mT6_T7_P12ihipStream_tbENKUlT_T0_E_clISt17integral_constantIbLb1EES10_IbLb0EEEEDaSW_SX_EUlSW_E_NS1_11comp_targetILNS1_3genE10ELNS1_11target_archE1200ELNS1_3gpuE4ELNS1_3repE0EEENS1_30default_config_static_selectorELNS0_4arch9wavefront6targetE0EEEvT1_.numbered_sgpr, 0
	.set _ZN7rocprim17ROCPRIM_400000_NS6detail17trampoline_kernelINS0_14default_configENS1_27scan_by_key_config_selectorIijEEZZNS1_16scan_by_key_implILNS1_25lookback_scan_determinismE0ELb0ES3_N6thrust23THRUST_200600_302600_NS6detail15normal_iteratorINS9_10device_ptrIiEEEENSB_INSC_IjEEEESG_jNS9_4plusIvEENS9_8equal_toIvEEjEE10hipError_tPvRmT2_T3_T4_T5_mT6_T7_P12ihipStream_tbENKUlT_T0_E_clISt17integral_constantIbLb1EES10_IbLb0EEEEDaSW_SX_EUlSW_E_NS1_11comp_targetILNS1_3genE10ELNS1_11target_archE1200ELNS1_3gpuE4ELNS1_3repE0EEENS1_30default_config_static_selectorELNS0_4arch9wavefront6targetE0EEEvT1_.num_named_barrier, 0
	.set _ZN7rocprim17ROCPRIM_400000_NS6detail17trampoline_kernelINS0_14default_configENS1_27scan_by_key_config_selectorIijEEZZNS1_16scan_by_key_implILNS1_25lookback_scan_determinismE0ELb0ES3_N6thrust23THRUST_200600_302600_NS6detail15normal_iteratorINS9_10device_ptrIiEEEENSB_INSC_IjEEEESG_jNS9_4plusIvEENS9_8equal_toIvEEjEE10hipError_tPvRmT2_T3_T4_T5_mT6_T7_P12ihipStream_tbENKUlT_T0_E_clISt17integral_constantIbLb1EES10_IbLb0EEEEDaSW_SX_EUlSW_E_NS1_11comp_targetILNS1_3genE10ELNS1_11target_archE1200ELNS1_3gpuE4ELNS1_3repE0EEENS1_30default_config_static_selectorELNS0_4arch9wavefront6targetE0EEEvT1_.private_seg_size, 0
	.set _ZN7rocprim17ROCPRIM_400000_NS6detail17trampoline_kernelINS0_14default_configENS1_27scan_by_key_config_selectorIijEEZZNS1_16scan_by_key_implILNS1_25lookback_scan_determinismE0ELb0ES3_N6thrust23THRUST_200600_302600_NS6detail15normal_iteratorINS9_10device_ptrIiEEEENSB_INSC_IjEEEESG_jNS9_4plusIvEENS9_8equal_toIvEEjEE10hipError_tPvRmT2_T3_T4_T5_mT6_T7_P12ihipStream_tbENKUlT_T0_E_clISt17integral_constantIbLb1EES10_IbLb0EEEEDaSW_SX_EUlSW_E_NS1_11comp_targetILNS1_3genE10ELNS1_11target_archE1200ELNS1_3gpuE4ELNS1_3repE0EEENS1_30default_config_static_selectorELNS0_4arch9wavefront6targetE0EEEvT1_.uses_vcc, 0
	.set _ZN7rocprim17ROCPRIM_400000_NS6detail17trampoline_kernelINS0_14default_configENS1_27scan_by_key_config_selectorIijEEZZNS1_16scan_by_key_implILNS1_25lookback_scan_determinismE0ELb0ES3_N6thrust23THRUST_200600_302600_NS6detail15normal_iteratorINS9_10device_ptrIiEEEENSB_INSC_IjEEEESG_jNS9_4plusIvEENS9_8equal_toIvEEjEE10hipError_tPvRmT2_T3_T4_T5_mT6_T7_P12ihipStream_tbENKUlT_T0_E_clISt17integral_constantIbLb1EES10_IbLb0EEEEDaSW_SX_EUlSW_E_NS1_11comp_targetILNS1_3genE10ELNS1_11target_archE1200ELNS1_3gpuE4ELNS1_3repE0EEENS1_30default_config_static_selectorELNS0_4arch9wavefront6targetE0EEEvT1_.uses_flat_scratch, 0
	.set _ZN7rocprim17ROCPRIM_400000_NS6detail17trampoline_kernelINS0_14default_configENS1_27scan_by_key_config_selectorIijEEZZNS1_16scan_by_key_implILNS1_25lookback_scan_determinismE0ELb0ES3_N6thrust23THRUST_200600_302600_NS6detail15normal_iteratorINS9_10device_ptrIiEEEENSB_INSC_IjEEEESG_jNS9_4plusIvEENS9_8equal_toIvEEjEE10hipError_tPvRmT2_T3_T4_T5_mT6_T7_P12ihipStream_tbENKUlT_T0_E_clISt17integral_constantIbLb1EES10_IbLb0EEEEDaSW_SX_EUlSW_E_NS1_11comp_targetILNS1_3genE10ELNS1_11target_archE1200ELNS1_3gpuE4ELNS1_3repE0EEENS1_30default_config_static_selectorELNS0_4arch9wavefront6targetE0EEEvT1_.has_dyn_sized_stack, 0
	.set _ZN7rocprim17ROCPRIM_400000_NS6detail17trampoline_kernelINS0_14default_configENS1_27scan_by_key_config_selectorIijEEZZNS1_16scan_by_key_implILNS1_25lookback_scan_determinismE0ELb0ES3_N6thrust23THRUST_200600_302600_NS6detail15normal_iteratorINS9_10device_ptrIiEEEENSB_INSC_IjEEEESG_jNS9_4plusIvEENS9_8equal_toIvEEjEE10hipError_tPvRmT2_T3_T4_T5_mT6_T7_P12ihipStream_tbENKUlT_T0_E_clISt17integral_constantIbLb1EES10_IbLb0EEEEDaSW_SX_EUlSW_E_NS1_11comp_targetILNS1_3genE10ELNS1_11target_archE1200ELNS1_3gpuE4ELNS1_3repE0EEENS1_30default_config_static_selectorELNS0_4arch9wavefront6targetE0EEEvT1_.has_recursion, 0
	.set _ZN7rocprim17ROCPRIM_400000_NS6detail17trampoline_kernelINS0_14default_configENS1_27scan_by_key_config_selectorIijEEZZNS1_16scan_by_key_implILNS1_25lookback_scan_determinismE0ELb0ES3_N6thrust23THRUST_200600_302600_NS6detail15normal_iteratorINS9_10device_ptrIiEEEENSB_INSC_IjEEEESG_jNS9_4plusIvEENS9_8equal_toIvEEjEE10hipError_tPvRmT2_T3_T4_T5_mT6_T7_P12ihipStream_tbENKUlT_T0_E_clISt17integral_constantIbLb1EES10_IbLb0EEEEDaSW_SX_EUlSW_E_NS1_11comp_targetILNS1_3genE10ELNS1_11target_archE1200ELNS1_3gpuE4ELNS1_3repE0EEENS1_30default_config_static_selectorELNS0_4arch9wavefront6targetE0EEEvT1_.has_indirect_call, 0
	.section	.AMDGPU.csdata,"",@progbits
; Kernel info:
; codeLenInByte = 0
; TotalNumSgprs: 0
; NumVgprs: 0
; ScratchSize: 0
; MemoryBound: 0
; FloatMode: 240
; IeeeMode: 1
; LDSByteSize: 0 bytes/workgroup (compile time only)
; SGPRBlocks: 0
; VGPRBlocks: 0
; NumSGPRsForWavesPerEU: 1
; NumVGPRsForWavesPerEU: 1
; Occupancy: 16
; WaveLimiterHint : 0
; COMPUTE_PGM_RSRC2:SCRATCH_EN: 0
; COMPUTE_PGM_RSRC2:USER_SGPR: 6
; COMPUTE_PGM_RSRC2:TRAP_HANDLER: 0
; COMPUTE_PGM_RSRC2:TGID_X_EN: 1
; COMPUTE_PGM_RSRC2:TGID_Y_EN: 0
; COMPUTE_PGM_RSRC2:TGID_Z_EN: 0
; COMPUTE_PGM_RSRC2:TIDIG_COMP_CNT: 0
	.section	.text._ZN7rocprim17ROCPRIM_400000_NS6detail17trampoline_kernelINS0_14default_configENS1_27scan_by_key_config_selectorIijEEZZNS1_16scan_by_key_implILNS1_25lookback_scan_determinismE0ELb0ES3_N6thrust23THRUST_200600_302600_NS6detail15normal_iteratorINS9_10device_ptrIiEEEENSB_INSC_IjEEEESG_jNS9_4plusIvEENS9_8equal_toIvEEjEE10hipError_tPvRmT2_T3_T4_T5_mT6_T7_P12ihipStream_tbENKUlT_T0_E_clISt17integral_constantIbLb1EES10_IbLb0EEEEDaSW_SX_EUlSW_E_NS1_11comp_targetILNS1_3genE9ELNS1_11target_archE1100ELNS1_3gpuE3ELNS1_3repE0EEENS1_30default_config_static_selectorELNS0_4arch9wavefront6targetE0EEEvT1_,"axG",@progbits,_ZN7rocprim17ROCPRIM_400000_NS6detail17trampoline_kernelINS0_14default_configENS1_27scan_by_key_config_selectorIijEEZZNS1_16scan_by_key_implILNS1_25lookback_scan_determinismE0ELb0ES3_N6thrust23THRUST_200600_302600_NS6detail15normal_iteratorINS9_10device_ptrIiEEEENSB_INSC_IjEEEESG_jNS9_4plusIvEENS9_8equal_toIvEEjEE10hipError_tPvRmT2_T3_T4_T5_mT6_T7_P12ihipStream_tbENKUlT_T0_E_clISt17integral_constantIbLb1EES10_IbLb0EEEEDaSW_SX_EUlSW_E_NS1_11comp_targetILNS1_3genE9ELNS1_11target_archE1100ELNS1_3gpuE3ELNS1_3repE0EEENS1_30default_config_static_selectorELNS0_4arch9wavefront6targetE0EEEvT1_,comdat
	.protected	_ZN7rocprim17ROCPRIM_400000_NS6detail17trampoline_kernelINS0_14default_configENS1_27scan_by_key_config_selectorIijEEZZNS1_16scan_by_key_implILNS1_25lookback_scan_determinismE0ELb0ES3_N6thrust23THRUST_200600_302600_NS6detail15normal_iteratorINS9_10device_ptrIiEEEENSB_INSC_IjEEEESG_jNS9_4plusIvEENS9_8equal_toIvEEjEE10hipError_tPvRmT2_T3_T4_T5_mT6_T7_P12ihipStream_tbENKUlT_T0_E_clISt17integral_constantIbLb1EES10_IbLb0EEEEDaSW_SX_EUlSW_E_NS1_11comp_targetILNS1_3genE9ELNS1_11target_archE1100ELNS1_3gpuE3ELNS1_3repE0EEENS1_30default_config_static_selectorELNS0_4arch9wavefront6targetE0EEEvT1_ ; -- Begin function _ZN7rocprim17ROCPRIM_400000_NS6detail17trampoline_kernelINS0_14default_configENS1_27scan_by_key_config_selectorIijEEZZNS1_16scan_by_key_implILNS1_25lookback_scan_determinismE0ELb0ES3_N6thrust23THRUST_200600_302600_NS6detail15normal_iteratorINS9_10device_ptrIiEEEENSB_INSC_IjEEEESG_jNS9_4plusIvEENS9_8equal_toIvEEjEE10hipError_tPvRmT2_T3_T4_T5_mT6_T7_P12ihipStream_tbENKUlT_T0_E_clISt17integral_constantIbLb1EES10_IbLb0EEEEDaSW_SX_EUlSW_E_NS1_11comp_targetILNS1_3genE9ELNS1_11target_archE1100ELNS1_3gpuE3ELNS1_3repE0EEENS1_30default_config_static_selectorELNS0_4arch9wavefront6targetE0EEEvT1_
	.globl	_ZN7rocprim17ROCPRIM_400000_NS6detail17trampoline_kernelINS0_14default_configENS1_27scan_by_key_config_selectorIijEEZZNS1_16scan_by_key_implILNS1_25lookback_scan_determinismE0ELb0ES3_N6thrust23THRUST_200600_302600_NS6detail15normal_iteratorINS9_10device_ptrIiEEEENSB_INSC_IjEEEESG_jNS9_4plusIvEENS9_8equal_toIvEEjEE10hipError_tPvRmT2_T3_T4_T5_mT6_T7_P12ihipStream_tbENKUlT_T0_E_clISt17integral_constantIbLb1EES10_IbLb0EEEEDaSW_SX_EUlSW_E_NS1_11comp_targetILNS1_3genE9ELNS1_11target_archE1100ELNS1_3gpuE3ELNS1_3repE0EEENS1_30default_config_static_selectorELNS0_4arch9wavefront6targetE0EEEvT1_
	.p2align	8
	.type	_ZN7rocprim17ROCPRIM_400000_NS6detail17trampoline_kernelINS0_14default_configENS1_27scan_by_key_config_selectorIijEEZZNS1_16scan_by_key_implILNS1_25lookback_scan_determinismE0ELb0ES3_N6thrust23THRUST_200600_302600_NS6detail15normal_iteratorINS9_10device_ptrIiEEEENSB_INSC_IjEEEESG_jNS9_4plusIvEENS9_8equal_toIvEEjEE10hipError_tPvRmT2_T3_T4_T5_mT6_T7_P12ihipStream_tbENKUlT_T0_E_clISt17integral_constantIbLb1EES10_IbLb0EEEEDaSW_SX_EUlSW_E_NS1_11comp_targetILNS1_3genE9ELNS1_11target_archE1100ELNS1_3gpuE3ELNS1_3repE0EEENS1_30default_config_static_selectorELNS0_4arch9wavefront6targetE0EEEvT1_,@function
_ZN7rocprim17ROCPRIM_400000_NS6detail17trampoline_kernelINS0_14default_configENS1_27scan_by_key_config_selectorIijEEZZNS1_16scan_by_key_implILNS1_25lookback_scan_determinismE0ELb0ES3_N6thrust23THRUST_200600_302600_NS6detail15normal_iteratorINS9_10device_ptrIiEEEENSB_INSC_IjEEEESG_jNS9_4plusIvEENS9_8equal_toIvEEjEE10hipError_tPvRmT2_T3_T4_T5_mT6_T7_P12ihipStream_tbENKUlT_T0_E_clISt17integral_constantIbLb1EES10_IbLb0EEEEDaSW_SX_EUlSW_E_NS1_11comp_targetILNS1_3genE9ELNS1_11target_archE1100ELNS1_3gpuE3ELNS1_3repE0EEENS1_30default_config_static_selectorELNS0_4arch9wavefront6targetE0EEEvT1_: ; @_ZN7rocprim17ROCPRIM_400000_NS6detail17trampoline_kernelINS0_14default_configENS1_27scan_by_key_config_selectorIijEEZZNS1_16scan_by_key_implILNS1_25lookback_scan_determinismE0ELb0ES3_N6thrust23THRUST_200600_302600_NS6detail15normal_iteratorINS9_10device_ptrIiEEEENSB_INSC_IjEEEESG_jNS9_4plusIvEENS9_8equal_toIvEEjEE10hipError_tPvRmT2_T3_T4_T5_mT6_T7_P12ihipStream_tbENKUlT_T0_E_clISt17integral_constantIbLb1EES10_IbLb0EEEEDaSW_SX_EUlSW_E_NS1_11comp_targetILNS1_3genE9ELNS1_11target_archE1100ELNS1_3gpuE3ELNS1_3repE0EEENS1_30default_config_static_selectorELNS0_4arch9wavefront6targetE0EEEvT1_
; %bb.0:
	.section	.rodata,"a",@progbits
	.p2align	6, 0x0
	.amdhsa_kernel _ZN7rocprim17ROCPRIM_400000_NS6detail17trampoline_kernelINS0_14default_configENS1_27scan_by_key_config_selectorIijEEZZNS1_16scan_by_key_implILNS1_25lookback_scan_determinismE0ELb0ES3_N6thrust23THRUST_200600_302600_NS6detail15normal_iteratorINS9_10device_ptrIiEEEENSB_INSC_IjEEEESG_jNS9_4plusIvEENS9_8equal_toIvEEjEE10hipError_tPvRmT2_T3_T4_T5_mT6_T7_P12ihipStream_tbENKUlT_T0_E_clISt17integral_constantIbLb1EES10_IbLb0EEEEDaSW_SX_EUlSW_E_NS1_11comp_targetILNS1_3genE9ELNS1_11target_archE1100ELNS1_3gpuE3ELNS1_3repE0EEENS1_30default_config_static_selectorELNS0_4arch9wavefront6targetE0EEEvT1_
		.amdhsa_group_segment_fixed_size 0
		.amdhsa_private_segment_fixed_size 0
		.amdhsa_kernarg_size 112
		.amdhsa_user_sgpr_count 6
		.amdhsa_user_sgpr_private_segment_buffer 1
		.amdhsa_user_sgpr_dispatch_ptr 0
		.amdhsa_user_sgpr_queue_ptr 0
		.amdhsa_user_sgpr_kernarg_segment_ptr 1
		.amdhsa_user_sgpr_dispatch_id 0
		.amdhsa_user_sgpr_flat_scratch_init 0
		.amdhsa_user_sgpr_private_segment_size 0
		.amdhsa_wavefront_size32 1
		.amdhsa_uses_dynamic_stack 0
		.amdhsa_system_sgpr_private_segment_wavefront_offset 0
		.amdhsa_system_sgpr_workgroup_id_x 1
		.amdhsa_system_sgpr_workgroup_id_y 0
		.amdhsa_system_sgpr_workgroup_id_z 0
		.amdhsa_system_sgpr_workgroup_info 0
		.amdhsa_system_vgpr_workitem_id 0
		.amdhsa_next_free_vgpr 1
		.amdhsa_next_free_sgpr 1
		.amdhsa_reserve_vcc 0
		.amdhsa_reserve_flat_scratch 0
		.amdhsa_float_round_mode_32 0
		.amdhsa_float_round_mode_16_64 0
		.amdhsa_float_denorm_mode_32 3
		.amdhsa_float_denorm_mode_16_64 3
		.amdhsa_dx10_clamp 1
		.amdhsa_ieee_mode 1
		.amdhsa_fp16_overflow 0
		.amdhsa_workgroup_processor_mode 1
		.amdhsa_memory_ordered 1
		.amdhsa_forward_progress 1
		.amdhsa_shared_vgpr_count 0
		.amdhsa_exception_fp_ieee_invalid_op 0
		.amdhsa_exception_fp_denorm_src 0
		.amdhsa_exception_fp_ieee_div_zero 0
		.amdhsa_exception_fp_ieee_overflow 0
		.amdhsa_exception_fp_ieee_underflow 0
		.amdhsa_exception_fp_ieee_inexact 0
		.amdhsa_exception_int_div_zero 0
	.end_amdhsa_kernel
	.section	.text._ZN7rocprim17ROCPRIM_400000_NS6detail17trampoline_kernelINS0_14default_configENS1_27scan_by_key_config_selectorIijEEZZNS1_16scan_by_key_implILNS1_25lookback_scan_determinismE0ELb0ES3_N6thrust23THRUST_200600_302600_NS6detail15normal_iteratorINS9_10device_ptrIiEEEENSB_INSC_IjEEEESG_jNS9_4plusIvEENS9_8equal_toIvEEjEE10hipError_tPvRmT2_T3_T4_T5_mT6_T7_P12ihipStream_tbENKUlT_T0_E_clISt17integral_constantIbLb1EES10_IbLb0EEEEDaSW_SX_EUlSW_E_NS1_11comp_targetILNS1_3genE9ELNS1_11target_archE1100ELNS1_3gpuE3ELNS1_3repE0EEENS1_30default_config_static_selectorELNS0_4arch9wavefront6targetE0EEEvT1_,"axG",@progbits,_ZN7rocprim17ROCPRIM_400000_NS6detail17trampoline_kernelINS0_14default_configENS1_27scan_by_key_config_selectorIijEEZZNS1_16scan_by_key_implILNS1_25lookback_scan_determinismE0ELb0ES3_N6thrust23THRUST_200600_302600_NS6detail15normal_iteratorINS9_10device_ptrIiEEEENSB_INSC_IjEEEESG_jNS9_4plusIvEENS9_8equal_toIvEEjEE10hipError_tPvRmT2_T3_T4_T5_mT6_T7_P12ihipStream_tbENKUlT_T0_E_clISt17integral_constantIbLb1EES10_IbLb0EEEEDaSW_SX_EUlSW_E_NS1_11comp_targetILNS1_3genE9ELNS1_11target_archE1100ELNS1_3gpuE3ELNS1_3repE0EEENS1_30default_config_static_selectorELNS0_4arch9wavefront6targetE0EEEvT1_,comdat
.Lfunc_end1250:
	.size	_ZN7rocprim17ROCPRIM_400000_NS6detail17trampoline_kernelINS0_14default_configENS1_27scan_by_key_config_selectorIijEEZZNS1_16scan_by_key_implILNS1_25lookback_scan_determinismE0ELb0ES3_N6thrust23THRUST_200600_302600_NS6detail15normal_iteratorINS9_10device_ptrIiEEEENSB_INSC_IjEEEESG_jNS9_4plusIvEENS9_8equal_toIvEEjEE10hipError_tPvRmT2_T3_T4_T5_mT6_T7_P12ihipStream_tbENKUlT_T0_E_clISt17integral_constantIbLb1EES10_IbLb0EEEEDaSW_SX_EUlSW_E_NS1_11comp_targetILNS1_3genE9ELNS1_11target_archE1100ELNS1_3gpuE3ELNS1_3repE0EEENS1_30default_config_static_selectorELNS0_4arch9wavefront6targetE0EEEvT1_, .Lfunc_end1250-_ZN7rocprim17ROCPRIM_400000_NS6detail17trampoline_kernelINS0_14default_configENS1_27scan_by_key_config_selectorIijEEZZNS1_16scan_by_key_implILNS1_25lookback_scan_determinismE0ELb0ES3_N6thrust23THRUST_200600_302600_NS6detail15normal_iteratorINS9_10device_ptrIiEEEENSB_INSC_IjEEEESG_jNS9_4plusIvEENS9_8equal_toIvEEjEE10hipError_tPvRmT2_T3_T4_T5_mT6_T7_P12ihipStream_tbENKUlT_T0_E_clISt17integral_constantIbLb1EES10_IbLb0EEEEDaSW_SX_EUlSW_E_NS1_11comp_targetILNS1_3genE9ELNS1_11target_archE1100ELNS1_3gpuE3ELNS1_3repE0EEENS1_30default_config_static_selectorELNS0_4arch9wavefront6targetE0EEEvT1_
                                        ; -- End function
	.set _ZN7rocprim17ROCPRIM_400000_NS6detail17trampoline_kernelINS0_14default_configENS1_27scan_by_key_config_selectorIijEEZZNS1_16scan_by_key_implILNS1_25lookback_scan_determinismE0ELb0ES3_N6thrust23THRUST_200600_302600_NS6detail15normal_iteratorINS9_10device_ptrIiEEEENSB_INSC_IjEEEESG_jNS9_4plusIvEENS9_8equal_toIvEEjEE10hipError_tPvRmT2_T3_T4_T5_mT6_T7_P12ihipStream_tbENKUlT_T0_E_clISt17integral_constantIbLb1EES10_IbLb0EEEEDaSW_SX_EUlSW_E_NS1_11comp_targetILNS1_3genE9ELNS1_11target_archE1100ELNS1_3gpuE3ELNS1_3repE0EEENS1_30default_config_static_selectorELNS0_4arch9wavefront6targetE0EEEvT1_.num_vgpr, 0
	.set _ZN7rocprim17ROCPRIM_400000_NS6detail17trampoline_kernelINS0_14default_configENS1_27scan_by_key_config_selectorIijEEZZNS1_16scan_by_key_implILNS1_25lookback_scan_determinismE0ELb0ES3_N6thrust23THRUST_200600_302600_NS6detail15normal_iteratorINS9_10device_ptrIiEEEENSB_INSC_IjEEEESG_jNS9_4plusIvEENS9_8equal_toIvEEjEE10hipError_tPvRmT2_T3_T4_T5_mT6_T7_P12ihipStream_tbENKUlT_T0_E_clISt17integral_constantIbLb1EES10_IbLb0EEEEDaSW_SX_EUlSW_E_NS1_11comp_targetILNS1_3genE9ELNS1_11target_archE1100ELNS1_3gpuE3ELNS1_3repE0EEENS1_30default_config_static_selectorELNS0_4arch9wavefront6targetE0EEEvT1_.num_agpr, 0
	.set _ZN7rocprim17ROCPRIM_400000_NS6detail17trampoline_kernelINS0_14default_configENS1_27scan_by_key_config_selectorIijEEZZNS1_16scan_by_key_implILNS1_25lookback_scan_determinismE0ELb0ES3_N6thrust23THRUST_200600_302600_NS6detail15normal_iteratorINS9_10device_ptrIiEEEENSB_INSC_IjEEEESG_jNS9_4plusIvEENS9_8equal_toIvEEjEE10hipError_tPvRmT2_T3_T4_T5_mT6_T7_P12ihipStream_tbENKUlT_T0_E_clISt17integral_constantIbLb1EES10_IbLb0EEEEDaSW_SX_EUlSW_E_NS1_11comp_targetILNS1_3genE9ELNS1_11target_archE1100ELNS1_3gpuE3ELNS1_3repE0EEENS1_30default_config_static_selectorELNS0_4arch9wavefront6targetE0EEEvT1_.numbered_sgpr, 0
	.set _ZN7rocprim17ROCPRIM_400000_NS6detail17trampoline_kernelINS0_14default_configENS1_27scan_by_key_config_selectorIijEEZZNS1_16scan_by_key_implILNS1_25lookback_scan_determinismE0ELb0ES3_N6thrust23THRUST_200600_302600_NS6detail15normal_iteratorINS9_10device_ptrIiEEEENSB_INSC_IjEEEESG_jNS9_4plusIvEENS9_8equal_toIvEEjEE10hipError_tPvRmT2_T3_T4_T5_mT6_T7_P12ihipStream_tbENKUlT_T0_E_clISt17integral_constantIbLb1EES10_IbLb0EEEEDaSW_SX_EUlSW_E_NS1_11comp_targetILNS1_3genE9ELNS1_11target_archE1100ELNS1_3gpuE3ELNS1_3repE0EEENS1_30default_config_static_selectorELNS0_4arch9wavefront6targetE0EEEvT1_.num_named_barrier, 0
	.set _ZN7rocprim17ROCPRIM_400000_NS6detail17trampoline_kernelINS0_14default_configENS1_27scan_by_key_config_selectorIijEEZZNS1_16scan_by_key_implILNS1_25lookback_scan_determinismE0ELb0ES3_N6thrust23THRUST_200600_302600_NS6detail15normal_iteratorINS9_10device_ptrIiEEEENSB_INSC_IjEEEESG_jNS9_4plusIvEENS9_8equal_toIvEEjEE10hipError_tPvRmT2_T3_T4_T5_mT6_T7_P12ihipStream_tbENKUlT_T0_E_clISt17integral_constantIbLb1EES10_IbLb0EEEEDaSW_SX_EUlSW_E_NS1_11comp_targetILNS1_3genE9ELNS1_11target_archE1100ELNS1_3gpuE3ELNS1_3repE0EEENS1_30default_config_static_selectorELNS0_4arch9wavefront6targetE0EEEvT1_.private_seg_size, 0
	.set _ZN7rocprim17ROCPRIM_400000_NS6detail17trampoline_kernelINS0_14default_configENS1_27scan_by_key_config_selectorIijEEZZNS1_16scan_by_key_implILNS1_25lookback_scan_determinismE0ELb0ES3_N6thrust23THRUST_200600_302600_NS6detail15normal_iteratorINS9_10device_ptrIiEEEENSB_INSC_IjEEEESG_jNS9_4plusIvEENS9_8equal_toIvEEjEE10hipError_tPvRmT2_T3_T4_T5_mT6_T7_P12ihipStream_tbENKUlT_T0_E_clISt17integral_constantIbLb1EES10_IbLb0EEEEDaSW_SX_EUlSW_E_NS1_11comp_targetILNS1_3genE9ELNS1_11target_archE1100ELNS1_3gpuE3ELNS1_3repE0EEENS1_30default_config_static_selectorELNS0_4arch9wavefront6targetE0EEEvT1_.uses_vcc, 0
	.set _ZN7rocprim17ROCPRIM_400000_NS6detail17trampoline_kernelINS0_14default_configENS1_27scan_by_key_config_selectorIijEEZZNS1_16scan_by_key_implILNS1_25lookback_scan_determinismE0ELb0ES3_N6thrust23THRUST_200600_302600_NS6detail15normal_iteratorINS9_10device_ptrIiEEEENSB_INSC_IjEEEESG_jNS9_4plusIvEENS9_8equal_toIvEEjEE10hipError_tPvRmT2_T3_T4_T5_mT6_T7_P12ihipStream_tbENKUlT_T0_E_clISt17integral_constantIbLb1EES10_IbLb0EEEEDaSW_SX_EUlSW_E_NS1_11comp_targetILNS1_3genE9ELNS1_11target_archE1100ELNS1_3gpuE3ELNS1_3repE0EEENS1_30default_config_static_selectorELNS0_4arch9wavefront6targetE0EEEvT1_.uses_flat_scratch, 0
	.set _ZN7rocprim17ROCPRIM_400000_NS6detail17trampoline_kernelINS0_14default_configENS1_27scan_by_key_config_selectorIijEEZZNS1_16scan_by_key_implILNS1_25lookback_scan_determinismE0ELb0ES3_N6thrust23THRUST_200600_302600_NS6detail15normal_iteratorINS9_10device_ptrIiEEEENSB_INSC_IjEEEESG_jNS9_4plusIvEENS9_8equal_toIvEEjEE10hipError_tPvRmT2_T3_T4_T5_mT6_T7_P12ihipStream_tbENKUlT_T0_E_clISt17integral_constantIbLb1EES10_IbLb0EEEEDaSW_SX_EUlSW_E_NS1_11comp_targetILNS1_3genE9ELNS1_11target_archE1100ELNS1_3gpuE3ELNS1_3repE0EEENS1_30default_config_static_selectorELNS0_4arch9wavefront6targetE0EEEvT1_.has_dyn_sized_stack, 0
	.set _ZN7rocprim17ROCPRIM_400000_NS6detail17trampoline_kernelINS0_14default_configENS1_27scan_by_key_config_selectorIijEEZZNS1_16scan_by_key_implILNS1_25lookback_scan_determinismE0ELb0ES3_N6thrust23THRUST_200600_302600_NS6detail15normal_iteratorINS9_10device_ptrIiEEEENSB_INSC_IjEEEESG_jNS9_4plusIvEENS9_8equal_toIvEEjEE10hipError_tPvRmT2_T3_T4_T5_mT6_T7_P12ihipStream_tbENKUlT_T0_E_clISt17integral_constantIbLb1EES10_IbLb0EEEEDaSW_SX_EUlSW_E_NS1_11comp_targetILNS1_3genE9ELNS1_11target_archE1100ELNS1_3gpuE3ELNS1_3repE0EEENS1_30default_config_static_selectorELNS0_4arch9wavefront6targetE0EEEvT1_.has_recursion, 0
	.set _ZN7rocprim17ROCPRIM_400000_NS6detail17trampoline_kernelINS0_14default_configENS1_27scan_by_key_config_selectorIijEEZZNS1_16scan_by_key_implILNS1_25lookback_scan_determinismE0ELb0ES3_N6thrust23THRUST_200600_302600_NS6detail15normal_iteratorINS9_10device_ptrIiEEEENSB_INSC_IjEEEESG_jNS9_4plusIvEENS9_8equal_toIvEEjEE10hipError_tPvRmT2_T3_T4_T5_mT6_T7_P12ihipStream_tbENKUlT_T0_E_clISt17integral_constantIbLb1EES10_IbLb0EEEEDaSW_SX_EUlSW_E_NS1_11comp_targetILNS1_3genE9ELNS1_11target_archE1100ELNS1_3gpuE3ELNS1_3repE0EEENS1_30default_config_static_selectorELNS0_4arch9wavefront6targetE0EEEvT1_.has_indirect_call, 0
	.section	.AMDGPU.csdata,"",@progbits
; Kernel info:
; codeLenInByte = 0
; TotalNumSgprs: 0
; NumVgprs: 0
; ScratchSize: 0
; MemoryBound: 0
; FloatMode: 240
; IeeeMode: 1
; LDSByteSize: 0 bytes/workgroup (compile time only)
; SGPRBlocks: 0
; VGPRBlocks: 0
; NumSGPRsForWavesPerEU: 1
; NumVGPRsForWavesPerEU: 1
; Occupancy: 16
; WaveLimiterHint : 0
; COMPUTE_PGM_RSRC2:SCRATCH_EN: 0
; COMPUTE_PGM_RSRC2:USER_SGPR: 6
; COMPUTE_PGM_RSRC2:TRAP_HANDLER: 0
; COMPUTE_PGM_RSRC2:TGID_X_EN: 1
; COMPUTE_PGM_RSRC2:TGID_Y_EN: 0
; COMPUTE_PGM_RSRC2:TGID_Z_EN: 0
; COMPUTE_PGM_RSRC2:TIDIG_COMP_CNT: 0
	.section	.text._ZN7rocprim17ROCPRIM_400000_NS6detail17trampoline_kernelINS0_14default_configENS1_27scan_by_key_config_selectorIijEEZZNS1_16scan_by_key_implILNS1_25lookback_scan_determinismE0ELb0ES3_N6thrust23THRUST_200600_302600_NS6detail15normal_iteratorINS9_10device_ptrIiEEEENSB_INSC_IjEEEESG_jNS9_4plusIvEENS9_8equal_toIvEEjEE10hipError_tPvRmT2_T3_T4_T5_mT6_T7_P12ihipStream_tbENKUlT_T0_E_clISt17integral_constantIbLb1EES10_IbLb0EEEEDaSW_SX_EUlSW_E_NS1_11comp_targetILNS1_3genE8ELNS1_11target_archE1030ELNS1_3gpuE2ELNS1_3repE0EEENS1_30default_config_static_selectorELNS0_4arch9wavefront6targetE0EEEvT1_,"axG",@progbits,_ZN7rocprim17ROCPRIM_400000_NS6detail17trampoline_kernelINS0_14default_configENS1_27scan_by_key_config_selectorIijEEZZNS1_16scan_by_key_implILNS1_25lookback_scan_determinismE0ELb0ES3_N6thrust23THRUST_200600_302600_NS6detail15normal_iteratorINS9_10device_ptrIiEEEENSB_INSC_IjEEEESG_jNS9_4plusIvEENS9_8equal_toIvEEjEE10hipError_tPvRmT2_T3_T4_T5_mT6_T7_P12ihipStream_tbENKUlT_T0_E_clISt17integral_constantIbLb1EES10_IbLb0EEEEDaSW_SX_EUlSW_E_NS1_11comp_targetILNS1_3genE8ELNS1_11target_archE1030ELNS1_3gpuE2ELNS1_3repE0EEENS1_30default_config_static_selectorELNS0_4arch9wavefront6targetE0EEEvT1_,comdat
	.protected	_ZN7rocprim17ROCPRIM_400000_NS6detail17trampoline_kernelINS0_14default_configENS1_27scan_by_key_config_selectorIijEEZZNS1_16scan_by_key_implILNS1_25lookback_scan_determinismE0ELb0ES3_N6thrust23THRUST_200600_302600_NS6detail15normal_iteratorINS9_10device_ptrIiEEEENSB_INSC_IjEEEESG_jNS9_4plusIvEENS9_8equal_toIvEEjEE10hipError_tPvRmT2_T3_T4_T5_mT6_T7_P12ihipStream_tbENKUlT_T0_E_clISt17integral_constantIbLb1EES10_IbLb0EEEEDaSW_SX_EUlSW_E_NS1_11comp_targetILNS1_3genE8ELNS1_11target_archE1030ELNS1_3gpuE2ELNS1_3repE0EEENS1_30default_config_static_selectorELNS0_4arch9wavefront6targetE0EEEvT1_ ; -- Begin function _ZN7rocprim17ROCPRIM_400000_NS6detail17trampoline_kernelINS0_14default_configENS1_27scan_by_key_config_selectorIijEEZZNS1_16scan_by_key_implILNS1_25lookback_scan_determinismE0ELb0ES3_N6thrust23THRUST_200600_302600_NS6detail15normal_iteratorINS9_10device_ptrIiEEEENSB_INSC_IjEEEESG_jNS9_4plusIvEENS9_8equal_toIvEEjEE10hipError_tPvRmT2_T3_T4_T5_mT6_T7_P12ihipStream_tbENKUlT_T0_E_clISt17integral_constantIbLb1EES10_IbLb0EEEEDaSW_SX_EUlSW_E_NS1_11comp_targetILNS1_3genE8ELNS1_11target_archE1030ELNS1_3gpuE2ELNS1_3repE0EEENS1_30default_config_static_selectorELNS0_4arch9wavefront6targetE0EEEvT1_
	.globl	_ZN7rocprim17ROCPRIM_400000_NS6detail17trampoline_kernelINS0_14default_configENS1_27scan_by_key_config_selectorIijEEZZNS1_16scan_by_key_implILNS1_25lookback_scan_determinismE0ELb0ES3_N6thrust23THRUST_200600_302600_NS6detail15normal_iteratorINS9_10device_ptrIiEEEENSB_INSC_IjEEEESG_jNS9_4plusIvEENS9_8equal_toIvEEjEE10hipError_tPvRmT2_T3_T4_T5_mT6_T7_P12ihipStream_tbENKUlT_T0_E_clISt17integral_constantIbLb1EES10_IbLb0EEEEDaSW_SX_EUlSW_E_NS1_11comp_targetILNS1_3genE8ELNS1_11target_archE1030ELNS1_3gpuE2ELNS1_3repE0EEENS1_30default_config_static_selectorELNS0_4arch9wavefront6targetE0EEEvT1_
	.p2align	8
	.type	_ZN7rocprim17ROCPRIM_400000_NS6detail17trampoline_kernelINS0_14default_configENS1_27scan_by_key_config_selectorIijEEZZNS1_16scan_by_key_implILNS1_25lookback_scan_determinismE0ELb0ES3_N6thrust23THRUST_200600_302600_NS6detail15normal_iteratorINS9_10device_ptrIiEEEENSB_INSC_IjEEEESG_jNS9_4plusIvEENS9_8equal_toIvEEjEE10hipError_tPvRmT2_T3_T4_T5_mT6_T7_P12ihipStream_tbENKUlT_T0_E_clISt17integral_constantIbLb1EES10_IbLb0EEEEDaSW_SX_EUlSW_E_NS1_11comp_targetILNS1_3genE8ELNS1_11target_archE1030ELNS1_3gpuE2ELNS1_3repE0EEENS1_30default_config_static_selectorELNS0_4arch9wavefront6targetE0EEEvT1_,@function
_ZN7rocprim17ROCPRIM_400000_NS6detail17trampoline_kernelINS0_14default_configENS1_27scan_by_key_config_selectorIijEEZZNS1_16scan_by_key_implILNS1_25lookback_scan_determinismE0ELb0ES3_N6thrust23THRUST_200600_302600_NS6detail15normal_iteratorINS9_10device_ptrIiEEEENSB_INSC_IjEEEESG_jNS9_4plusIvEENS9_8equal_toIvEEjEE10hipError_tPvRmT2_T3_T4_T5_mT6_T7_P12ihipStream_tbENKUlT_T0_E_clISt17integral_constantIbLb1EES10_IbLb0EEEEDaSW_SX_EUlSW_E_NS1_11comp_targetILNS1_3genE8ELNS1_11target_archE1030ELNS1_3gpuE2ELNS1_3repE0EEENS1_30default_config_static_selectorELNS0_4arch9wavefront6targetE0EEEvT1_: ; @_ZN7rocprim17ROCPRIM_400000_NS6detail17trampoline_kernelINS0_14default_configENS1_27scan_by_key_config_selectorIijEEZZNS1_16scan_by_key_implILNS1_25lookback_scan_determinismE0ELb0ES3_N6thrust23THRUST_200600_302600_NS6detail15normal_iteratorINS9_10device_ptrIiEEEENSB_INSC_IjEEEESG_jNS9_4plusIvEENS9_8equal_toIvEEjEE10hipError_tPvRmT2_T3_T4_T5_mT6_T7_P12ihipStream_tbENKUlT_T0_E_clISt17integral_constantIbLb1EES10_IbLb0EEEEDaSW_SX_EUlSW_E_NS1_11comp_targetILNS1_3genE8ELNS1_11target_archE1030ELNS1_3gpuE2ELNS1_3repE0EEENS1_30default_config_static_selectorELNS0_4arch9wavefront6targetE0EEEvT1_
; %bb.0:
	s_endpgm
	.section	.rodata,"a",@progbits
	.p2align	6, 0x0
	.amdhsa_kernel _ZN7rocprim17ROCPRIM_400000_NS6detail17trampoline_kernelINS0_14default_configENS1_27scan_by_key_config_selectorIijEEZZNS1_16scan_by_key_implILNS1_25lookback_scan_determinismE0ELb0ES3_N6thrust23THRUST_200600_302600_NS6detail15normal_iteratorINS9_10device_ptrIiEEEENSB_INSC_IjEEEESG_jNS9_4plusIvEENS9_8equal_toIvEEjEE10hipError_tPvRmT2_T3_T4_T5_mT6_T7_P12ihipStream_tbENKUlT_T0_E_clISt17integral_constantIbLb1EES10_IbLb0EEEEDaSW_SX_EUlSW_E_NS1_11comp_targetILNS1_3genE8ELNS1_11target_archE1030ELNS1_3gpuE2ELNS1_3repE0EEENS1_30default_config_static_selectorELNS0_4arch9wavefront6targetE0EEEvT1_
		.amdhsa_group_segment_fixed_size 0
		.amdhsa_private_segment_fixed_size 0
		.amdhsa_kernarg_size 112
		.amdhsa_user_sgpr_count 6
		.amdhsa_user_sgpr_private_segment_buffer 1
		.amdhsa_user_sgpr_dispatch_ptr 0
		.amdhsa_user_sgpr_queue_ptr 0
		.amdhsa_user_sgpr_kernarg_segment_ptr 1
		.amdhsa_user_sgpr_dispatch_id 0
		.amdhsa_user_sgpr_flat_scratch_init 0
		.amdhsa_user_sgpr_private_segment_size 0
		.amdhsa_wavefront_size32 1
		.amdhsa_uses_dynamic_stack 0
		.amdhsa_system_sgpr_private_segment_wavefront_offset 0
		.amdhsa_system_sgpr_workgroup_id_x 1
		.amdhsa_system_sgpr_workgroup_id_y 0
		.amdhsa_system_sgpr_workgroup_id_z 0
		.amdhsa_system_sgpr_workgroup_info 0
		.amdhsa_system_vgpr_workitem_id 0
		.amdhsa_next_free_vgpr 1
		.amdhsa_next_free_sgpr 1
		.amdhsa_reserve_vcc 0
		.amdhsa_reserve_flat_scratch 0
		.amdhsa_float_round_mode_32 0
		.amdhsa_float_round_mode_16_64 0
		.amdhsa_float_denorm_mode_32 3
		.amdhsa_float_denorm_mode_16_64 3
		.amdhsa_dx10_clamp 1
		.amdhsa_ieee_mode 1
		.amdhsa_fp16_overflow 0
		.amdhsa_workgroup_processor_mode 1
		.amdhsa_memory_ordered 1
		.amdhsa_forward_progress 1
		.amdhsa_shared_vgpr_count 0
		.amdhsa_exception_fp_ieee_invalid_op 0
		.amdhsa_exception_fp_denorm_src 0
		.amdhsa_exception_fp_ieee_div_zero 0
		.amdhsa_exception_fp_ieee_overflow 0
		.amdhsa_exception_fp_ieee_underflow 0
		.amdhsa_exception_fp_ieee_inexact 0
		.amdhsa_exception_int_div_zero 0
	.end_amdhsa_kernel
	.section	.text._ZN7rocprim17ROCPRIM_400000_NS6detail17trampoline_kernelINS0_14default_configENS1_27scan_by_key_config_selectorIijEEZZNS1_16scan_by_key_implILNS1_25lookback_scan_determinismE0ELb0ES3_N6thrust23THRUST_200600_302600_NS6detail15normal_iteratorINS9_10device_ptrIiEEEENSB_INSC_IjEEEESG_jNS9_4plusIvEENS9_8equal_toIvEEjEE10hipError_tPvRmT2_T3_T4_T5_mT6_T7_P12ihipStream_tbENKUlT_T0_E_clISt17integral_constantIbLb1EES10_IbLb0EEEEDaSW_SX_EUlSW_E_NS1_11comp_targetILNS1_3genE8ELNS1_11target_archE1030ELNS1_3gpuE2ELNS1_3repE0EEENS1_30default_config_static_selectorELNS0_4arch9wavefront6targetE0EEEvT1_,"axG",@progbits,_ZN7rocprim17ROCPRIM_400000_NS6detail17trampoline_kernelINS0_14default_configENS1_27scan_by_key_config_selectorIijEEZZNS1_16scan_by_key_implILNS1_25lookback_scan_determinismE0ELb0ES3_N6thrust23THRUST_200600_302600_NS6detail15normal_iteratorINS9_10device_ptrIiEEEENSB_INSC_IjEEEESG_jNS9_4plusIvEENS9_8equal_toIvEEjEE10hipError_tPvRmT2_T3_T4_T5_mT6_T7_P12ihipStream_tbENKUlT_T0_E_clISt17integral_constantIbLb1EES10_IbLb0EEEEDaSW_SX_EUlSW_E_NS1_11comp_targetILNS1_3genE8ELNS1_11target_archE1030ELNS1_3gpuE2ELNS1_3repE0EEENS1_30default_config_static_selectorELNS0_4arch9wavefront6targetE0EEEvT1_,comdat
.Lfunc_end1251:
	.size	_ZN7rocprim17ROCPRIM_400000_NS6detail17trampoline_kernelINS0_14default_configENS1_27scan_by_key_config_selectorIijEEZZNS1_16scan_by_key_implILNS1_25lookback_scan_determinismE0ELb0ES3_N6thrust23THRUST_200600_302600_NS6detail15normal_iteratorINS9_10device_ptrIiEEEENSB_INSC_IjEEEESG_jNS9_4plusIvEENS9_8equal_toIvEEjEE10hipError_tPvRmT2_T3_T4_T5_mT6_T7_P12ihipStream_tbENKUlT_T0_E_clISt17integral_constantIbLb1EES10_IbLb0EEEEDaSW_SX_EUlSW_E_NS1_11comp_targetILNS1_3genE8ELNS1_11target_archE1030ELNS1_3gpuE2ELNS1_3repE0EEENS1_30default_config_static_selectorELNS0_4arch9wavefront6targetE0EEEvT1_, .Lfunc_end1251-_ZN7rocprim17ROCPRIM_400000_NS6detail17trampoline_kernelINS0_14default_configENS1_27scan_by_key_config_selectorIijEEZZNS1_16scan_by_key_implILNS1_25lookback_scan_determinismE0ELb0ES3_N6thrust23THRUST_200600_302600_NS6detail15normal_iteratorINS9_10device_ptrIiEEEENSB_INSC_IjEEEESG_jNS9_4plusIvEENS9_8equal_toIvEEjEE10hipError_tPvRmT2_T3_T4_T5_mT6_T7_P12ihipStream_tbENKUlT_T0_E_clISt17integral_constantIbLb1EES10_IbLb0EEEEDaSW_SX_EUlSW_E_NS1_11comp_targetILNS1_3genE8ELNS1_11target_archE1030ELNS1_3gpuE2ELNS1_3repE0EEENS1_30default_config_static_selectorELNS0_4arch9wavefront6targetE0EEEvT1_
                                        ; -- End function
	.set _ZN7rocprim17ROCPRIM_400000_NS6detail17trampoline_kernelINS0_14default_configENS1_27scan_by_key_config_selectorIijEEZZNS1_16scan_by_key_implILNS1_25lookback_scan_determinismE0ELb0ES3_N6thrust23THRUST_200600_302600_NS6detail15normal_iteratorINS9_10device_ptrIiEEEENSB_INSC_IjEEEESG_jNS9_4plusIvEENS9_8equal_toIvEEjEE10hipError_tPvRmT2_T3_T4_T5_mT6_T7_P12ihipStream_tbENKUlT_T0_E_clISt17integral_constantIbLb1EES10_IbLb0EEEEDaSW_SX_EUlSW_E_NS1_11comp_targetILNS1_3genE8ELNS1_11target_archE1030ELNS1_3gpuE2ELNS1_3repE0EEENS1_30default_config_static_selectorELNS0_4arch9wavefront6targetE0EEEvT1_.num_vgpr, 0
	.set _ZN7rocprim17ROCPRIM_400000_NS6detail17trampoline_kernelINS0_14default_configENS1_27scan_by_key_config_selectorIijEEZZNS1_16scan_by_key_implILNS1_25lookback_scan_determinismE0ELb0ES3_N6thrust23THRUST_200600_302600_NS6detail15normal_iteratorINS9_10device_ptrIiEEEENSB_INSC_IjEEEESG_jNS9_4plusIvEENS9_8equal_toIvEEjEE10hipError_tPvRmT2_T3_T4_T5_mT6_T7_P12ihipStream_tbENKUlT_T0_E_clISt17integral_constantIbLb1EES10_IbLb0EEEEDaSW_SX_EUlSW_E_NS1_11comp_targetILNS1_3genE8ELNS1_11target_archE1030ELNS1_3gpuE2ELNS1_3repE0EEENS1_30default_config_static_selectorELNS0_4arch9wavefront6targetE0EEEvT1_.num_agpr, 0
	.set _ZN7rocprim17ROCPRIM_400000_NS6detail17trampoline_kernelINS0_14default_configENS1_27scan_by_key_config_selectorIijEEZZNS1_16scan_by_key_implILNS1_25lookback_scan_determinismE0ELb0ES3_N6thrust23THRUST_200600_302600_NS6detail15normal_iteratorINS9_10device_ptrIiEEEENSB_INSC_IjEEEESG_jNS9_4plusIvEENS9_8equal_toIvEEjEE10hipError_tPvRmT2_T3_T4_T5_mT6_T7_P12ihipStream_tbENKUlT_T0_E_clISt17integral_constantIbLb1EES10_IbLb0EEEEDaSW_SX_EUlSW_E_NS1_11comp_targetILNS1_3genE8ELNS1_11target_archE1030ELNS1_3gpuE2ELNS1_3repE0EEENS1_30default_config_static_selectorELNS0_4arch9wavefront6targetE0EEEvT1_.numbered_sgpr, 0
	.set _ZN7rocprim17ROCPRIM_400000_NS6detail17trampoline_kernelINS0_14default_configENS1_27scan_by_key_config_selectorIijEEZZNS1_16scan_by_key_implILNS1_25lookback_scan_determinismE0ELb0ES3_N6thrust23THRUST_200600_302600_NS6detail15normal_iteratorINS9_10device_ptrIiEEEENSB_INSC_IjEEEESG_jNS9_4plusIvEENS9_8equal_toIvEEjEE10hipError_tPvRmT2_T3_T4_T5_mT6_T7_P12ihipStream_tbENKUlT_T0_E_clISt17integral_constantIbLb1EES10_IbLb0EEEEDaSW_SX_EUlSW_E_NS1_11comp_targetILNS1_3genE8ELNS1_11target_archE1030ELNS1_3gpuE2ELNS1_3repE0EEENS1_30default_config_static_selectorELNS0_4arch9wavefront6targetE0EEEvT1_.num_named_barrier, 0
	.set _ZN7rocprim17ROCPRIM_400000_NS6detail17trampoline_kernelINS0_14default_configENS1_27scan_by_key_config_selectorIijEEZZNS1_16scan_by_key_implILNS1_25lookback_scan_determinismE0ELb0ES3_N6thrust23THRUST_200600_302600_NS6detail15normal_iteratorINS9_10device_ptrIiEEEENSB_INSC_IjEEEESG_jNS9_4plusIvEENS9_8equal_toIvEEjEE10hipError_tPvRmT2_T3_T4_T5_mT6_T7_P12ihipStream_tbENKUlT_T0_E_clISt17integral_constantIbLb1EES10_IbLb0EEEEDaSW_SX_EUlSW_E_NS1_11comp_targetILNS1_3genE8ELNS1_11target_archE1030ELNS1_3gpuE2ELNS1_3repE0EEENS1_30default_config_static_selectorELNS0_4arch9wavefront6targetE0EEEvT1_.private_seg_size, 0
	.set _ZN7rocprim17ROCPRIM_400000_NS6detail17trampoline_kernelINS0_14default_configENS1_27scan_by_key_config_selectorIijEEZZNS1_16scan_by_key_implILNS1_25lookback_scan_determinismE0ELb0ES3_N6thrust23THRUST_200600_302600_NS6detail15normal_iteratorINS9_10device_ptrIiEEEENSB_INSC_IjEEEESG_jNS9_4plusIvEENS9_8equal_toIvEEjEE10hipError_tPvRmT2_T3_T4_T5_mT6_T7_P12ihipStream_tbENKUlT_T0_E_clISt17integral_constantIbLb1EES10_IbLb0EEEEDaSW_SX_EUlSW_E_NS1_11comp_targetILNS1_3genE8ELNS1_11target_archE1030ELNS1_3gpuE2ELNS1_3repE0EEENS1_30default_config_static_selectorELNS0_4arch9wavefront6targetE0EEEvT1_.uses_vcc, 0
	.set _ZN7rocprim17ROCPRIM_400000_NS6detail17trampoline_kernelINS0_14default_configENS1_27scan_by_key_config_selectorIijEEZZNS1_16scan_by_key_implILNS1_25lookback_scan_determinismE0ELb0ES3_N6thrust23THRUST_200600_302600_NS6detail15normal_iteratorINS9_10device_ptrIiEEEENSB_INSC_IjEEEESG_jNS9_4plusIvEENS9_8equal_toIvEEjEE10hipError_tPvRmT2_T3_T4_T5_mT6_T7_P12ihipStream_tbENKUlT_T0_E_clISt17integral_constantIbLb1EES10_IbLb0EEEEDaSW_SX_EUlSW_E_NS1_11comp_targetILNS1_3genE8ELNS1_11target_archE1030ELNS1_3gpuE2ELNS1_3repE0EEENS1_30default_config_static_selectorELNS0_4arch9wavefront6targetE0EEEvT1_.uses_flat_scratch, 0
	.set _ZN7rocprim17ROCPRIM_400000_NS6detail17trampoline_kernelINS0_14default_configENS1_27scan_by_key_config_selectorIijEEZZNS1_16scan_by_key_implILNS1_25lookback_scan_determinismE0ELb0ES3_N6thrust23THRUST_200600_302600_NS6detail15normal_iteratorINS9_10device_ptrIiEEEENSB_INSC_IjEEEESG_jNS9_4plusIvEENS9_8equal_toIvEEjEE10hipError_tPvRmT2_T3_T4_T5_mT6_T7_P12ihipStream_tbENKUlT_T0_E_clISt17integral_constantIbLb1EES10_IbLb0EEEEDaSW_SX_EUlSW_E_NS1_11comp_targetILNS1_3genE8ELNS1_11target_archE1030ELNS1_3gpuE2ELNS1_3repE0EEENS1_30default_config_static_selectorELNS0_4arch9wavefront6targetE0EEEvT1_.has_dyn_sized_stack, 0
	.set _ZN7rocprim17ROCPRIM_400000_NS6detail17trampoline_kernelINS0_14default_configENS1_27scan_by_key_config_selectorIijEEZZNS1_16scan_by_key_implILNS1_25lookback_scan_determinismE0ELb0ES3_N6thrust23THRUST_200600_302600_NS6detail15normal_iteratorINS9_10device_ptrIiEEEENSB_INSC_IjEEEESG_jNS9_4plusIvEENS9_8equal_toIvEEjEE10hipError_tPvRmT2_T3_T4_T5_mT6_T7_P12ihipStream_tbENKUlT_T0_E_clISt17integral_constantIbLb1EES10_IbLb0EEEEDaSW_SX_EUlSW_E_NS1_11comp_targetILNS1_3genE8ELNS1_11target_archE1030ELNS1_3gpuE2ELNS1_3repE0EEENS1_30default_config_static_selectorELNS0_4arch9wavefront6targetE0EEEvT1_.has_recursion, 0
	.set _ZN7rocprim17ROCPRIM_400000_NS6detail17trampoline_kernelINS0_14default_configENS1_27scan_by_key_config_selectorIijEEZZNS1_16scan_by_key_implILNS1_25lookback_scan_determinismE0ELb0ES3_N6thrust23THRUST_200600_302600_NS6detail15normal_iteratorINS9_10device_ptrIiEEEENSB_INSC_IjEEEESG_jNS9_4plusIvEENS9_8equal_toIvEEjEE10hipError_tPvRmT2_T3_T4_T5_mT6_T7_P12ihipStream_tbENKUlT_T0_E_clISt17integral_constantIbLb1EES10_IbLb0EEEEDaSW_SX_EUlSW_E_NS1_11comp_targetILNS1_3genE8ELNS1_11target_archE1030ELNS1_3gpuE2ELNS1_3repE0EEENS1_30default_config_static_selectorELNS0_4arch9wavefront6targetE0EEEvT1_.has_indirect_call, 0
	.section	.AMDGPU.csdata,"",@progbits
; Kernel info:
; codeLenInByte = 4
; TotalNumSgprs: 0
; NumVgprs: 0
; ScratchSize: 0
; MemoryBound: 0
; FloatMode: 240
; IeeeMode: 1
; LDSByteSize: 0 bytes/workgroup (compile time only)
; SGPRBlocks: 0
; VGPRBlocks: 0
; NumSGPRsForWavesPerEU: 1
; NumVGPRsForWavesPerEU: 1
; Occupancy: 16
; WaveLimiterHint : 0
; COMPUTE_PGM_RSRC2:SCRATCH_EN: 0
; COMPUTE_PGM_RSRC2:USER_SGPR: 6
; COMPUTE_PGM_RSRC2:TRAP_HANDLER: 0
; COMPUTE_PGM_RSRC2:TGID_X_EN: 1
; COMPUTE_PGM_RSRC2:TGID_Y_EN: 0
; COMPUTE_PGM_RSRC2:TGID_Z_EN: 0
; COMPUTE_PGM_RSRC2:TIDIG_COMP_CNT: 0
	.section	.text._ZN7rocprim17ROCPRIM_400000_NS6detail30init_device_scan_by_key_kernelINS1_19lookback_scan_stateINS0_5tupleIJjbEEELb0ELb1EEEN6thrust23THRUST_200600_302600_NS6detail15normal_iteratorINS8_10device_ptrIiEEEEjNS1_16block_id_wrapperIjLb1EEEEEvT_jjPNSG_10value_typeET0_PNSt15iterator_traitsISJ_E10value_typeEmT1_T2_,"axG",@progbits,_ZN7rocprim17ROCPRIM_400000_NS6detail30init_device_scan_by_key_kernelINS1_19lookback_scan_stateINS0_5tupleIJjbEEELb0ELb1EEEN6thrust23THRUST_200600_302600_NS6detail15normal_iteratorINS8_10device_ptrIiEEEEjNS1_16block_id_wrapperIjLb1EEEEEvT_jjPNSG_10value_typeET0_PNSt15iterator_traitsISJ_E10value_typeEmT1_T2_,comdat
	.protected	_ZN7rocprim17ROCPRIM_400000_NS6detail30init_device_scan_by_key_kernelINS1_19lookback_scan_stateINS0_5tupleIJjbEEELb0ELb1EEEN6thrust23THRUST_200600_302600_NS6detail15normal_iteratorINS8_10device_ptrIiEEEEjNS1_16block_id_wrapperIjLb1EEEEEvT_jjPNSG_10value_typeET0_PNSt15iterator_traitsISJ_E10value_typeEmT1_T2_ ; -- Begin function _ZN7rocprim17ROCPRIM_400000_NS6detail30init_device_scan_by_key_kernelINS1_19lookback_scan_stateINS0_5tupleIJjbEEELb0ELb1EEEN6thrust23THRUST_200600_302600_NS6detail15normal_iteratorINS8_10device_ptrIiEEEEjNS1_16block_id_wrapperIjLb1EEEEEvT_jjPNSG_10value_typeET0_PNSt15iterator_traitsISJ_E10value_typeEmT1_T2_
	.globl	_ZN7rocprim17ROCPRIM_400000_NS6detail30init_device_scan_by_key_kernelINS1_19lookback_scan_stateINS0_5tupleIJjbEEELb0ELb1EEEN6thrust23THRUST_200600_302600_NS6detail15normal_iteratorINS8_10device_ptrIiEEEEjNS1_16block_id_wrapperIjLb1EEEEEvT_jjPNSG_10value_typeET0_PNSt15iterator_traitsISJ_E10value_typeEmT1_T2_
	.p2align	8
	.type	_ZN7rocprim17ROCPRIM_400000_NS6detail30init_device_scan_by_key_kernelINS1_19lookback_scan_stateINS0_5tupleIJjbEEELb0ELb1EEEN6thrust23THRUST_200600_302600_NS6detail15normal_iteratorINS8_10device_ptrIiEEEEjNS1_16block_id_wrapperIjLb1EEEEEvT_jjPNSG_10value_typeET0_PNSt15iterator_traitsISJ_E10value_typeEmT1_T2_,@function
_ZN7rocprim17ROCPRIM_400000_NS6detail30init_device_scan_by_key_kernelINS1_19lookback_scan_stateINS0_5tupleIJjbEEELb0ELb1EEEN6thrust23THRUST_200600_302600_NS6detail15normal_iteratorINS8_10device_ptrIiEEEEjNS1_16block_id_wrapperIjLb1EEEEEvT_jjPNSG_10value_typeET0_PNSt15iterator_traitsISJ_E10value_typeEmT1_T2_: ; @_ZN7rocprim17ROCPRIM_400000_NS6detail30init_device_scan_by_key_kernelINS1_19lookback_scan_stateINS0_5tupleIJjbEEELb0ELb1EEEN6thrust23THRUST_200600_302600_NS6detail15normal_iteratorINS8_10device_ptrIiEEEEjNS1_16block_id_wrapperIjLb1EEEEEvT_jjPNSG_10value_typeET0_PNSt15iterator_traitsISJ_E10value_typeEmT1_T2_
; %bb.0:
	s_clause 0x2
	s_load_dword s0, s[4:5], 0x4c
	s_load_dwordx8 s[8:15], s[4:5], 0x0
	s_load_dword s7, s[4:5], 0x40
	s_waitcnt lgkmcnt(0)
	s_and_b32 s16, s0, 0xffff
	s_cmp_eq_u64 s[12:13], 0
	v_mad_u64_u32 v[4:5], null, s6, s16, v[0:1]
	s_cbranch_scc1 .LBB1252_8
; %bb.1:
	s_cmp_lt_u32 s11, s10
	s_mov_b32 s1, 0
	s_cselect_b32 s0, s11, 0
	s_mov_b32 s2, exec_lo
	v_cmpx_eq_u32_e64 s0, v4
	s_cbranch_execz .LBB1252_7
; %bb.2:
	s_add_i32 s0, s11, 32
	v_mov_b32_e32 v6, 0
	s_lshl_b64 s[0:1], s[0:1], 4
	s_mov_b32 s3, exec_lo
	s_add_u32 s0, s8, s0
	s_addc_u32 s1, s9, s1
	v_mov_b32_e32 v0, s0
	v_mov_b32_e32 v1, s1
	;;#ASMSTART
	global_load_dwordx4 v[0:3], v[0:1] off glc dlc	
s_waitcnt vmcnt(0)
	;;#ASMEND
	v_and_b32_e32 v5, 0xff, v2
	v_cmpx_eq_u64_e32 0, v[5:6]
	s_cbranch_execz .LBB1252_6
; %bb.3:
	v_mov_b32_e32 v8, s1
	v_mov_b32_e32 v7, s0
	s_mov_b32 s0, 0
.LBB1252_4:                             ; =>This Inner Loop Header: Depth=1
	;;#ASMSTART
	global_load_dwordx4 v[0:3], v[7:8] off glc dlc	
s_waitcnt vmcnt(0)
	;;#ASMEND
	v_and_b32_e32 v5, 0xff, v2
	v_cmp_ne_u64_e32 vcc_lo, 0, v[5:6]
	s_or_b32 s0, vcc_lo, s0
	s_andn2_b32 exec_lo, exec_lo, s0
	s_cbranch_execnz .LBB1252_4
; %bb.5:
	s_or_b32 exec_lo, exec_lo, s0
.LBB1252_6:
	s_or_b32 exec_lo, exec_lo, s3
	v_mov_b32_e32 v2, 0
	global_store_dword v2, v0, s[12:13]
	global_store_byte v2, v1, s[12:13] offset:4
.LBB1252_7:
	s_or_b32 exec_lo, exec_lo, s2
.LBB1252_8:
	s_mov_b32 s0, exec_lo
	v_cmpx_eq_u32_e32 0, v4
	s_cbranch_execz .LBB1252_10
; %bb.9:
	s_load_dwordx2 s[2:3], s[4:5], 0x38
	v_mov_b32_e32 v0, 0
	s_waitcnt lgkmcnt(0)
	global_store_dword v0, v0, s[2:3]
.LBB1252_10:
	s_or_b32 exec_lo, exec_lo, s0
	s_mov_b32 s0, exec_lo
	v_cmpx_gt_u32_e64 s10, v4
	s_cbranch_execz .LBB1252_12
; %bb.11:
	v_add_nc_u32_e32 v0, 32, v4
	v_mov_b32_e32 v1, 0
	v_lshlrev_b64 v[5:6], 4, v[0:1]
	v_mov_b32_e32 v0, v1
	v_mov_b32_e32 v2, v1
	;; [unrolled: 1-line block ×3, first 2 shown]
	v_add_co_u32 v5, vcc_lo, s8, v5
	v_add_co_ci_u32_e64 v6, null, s9, v6, vcc_lo
	global_store_dwordx4 v[5:6], v[0:3], off
.LBB1252_12:
	s_or_b32 exec_lo, exec_lo, s0
	v_mov_b32_e32 v5, 0
	s_mov_b32 s0, exec_lo
	v_cmpx_gt_u32_e32 32, v4
	s_cbranch_execz .LBB1252_14
; %bb.13:
	v_lshlrev_b64 v[6:7], 4, v[4:5]
	v_mov_b32_e32 v2, 0xff
	v_mov_b32_e32 v0, v5
	;; [unrolled: 1-line block ×4, first 2 shown]
	v_add_co_u32 v6, vcc_lo, s8, v6
	v_add_co_ci_u32_e64 v7, null, s9, v7, vcc_lo
	global_store_dwordx4 v[6:7], v[0:3], off
.LBB1252_14:
	s_or_b32 exec_lo, exec_lo, s0
	s_load_dwordx2 s[2:3], s[4:5], 0x28
	s_mov_b32 s0, exec_lo
	s_waitcnt lgkmcnt(0)
	v_cmpx_gt_u64_e64 s[2:3], v[4:5]
	s_cbranch_execz .LBB1252_17
; %bb.15:
	s_clause 0x1
	s_load_dword s6, s[4:5], 0x30
	s_load_dwordx2 s[8:9], s[4:5], 0x20
	s_mov_b32 s1, 0
	v_lshlrev_b64 v[2:3], 2, v[4:5]
	s_mul_i32 s4, s7, s16
	s_waitcnt lgkmcnt(0)
	v_mad_u64_u32 v[0:1], null, s6, v4, 0
	s_add_i32 s0, s6, -1
	s_mul_hi_u32 s7, s6, s4
	s_lshl_b64 s[10:11], s[0:1], 2
	s_mul_i32 s6, s6, s4
	s_add_u32 s0, s14, s10
	s_addc_u32 s5, s15, s11
	v_lshlrev_b64 v[0:1], 2, v[0:1]
	s_lshl_b64 s[6:7], s[6:7], 2
	v_add_co_u32 v0, vcc_lo, s0, v0
	v_add_co_ci_u32_e64 v1, null, s5, v1, vcc_lo
	v_add_co_u32 v2, vcc_lo, s8, v2
	v_add_co_ci_u32_e64 v3, null, s9, v3, vcc_lo
	s_mov_b32 s5, s1
	s_lshl_b64 s[8:9], s[4:5], 2
	.p2align	6
.LBB1252_16:                            ; =>This Inner Loop Header: Depth=1
	global_load_dword v6, v[0:1], off
	v_add_co_u32 v4, vcc_lo, v4, s4
	v_add_co_ci_u32_e64 v5, null, 0, v5, vcc_lo
	v_add_co_u32 v0, vcc_lo, v0, s6
	v_add_co_ci_u32_e64 v1, null, s7, v1, vcc_lo
	v_cmp_le_u64_e32 vcc_lo, s[2:3], v[4:5]
	s_or_b32 s1, vcc_lo, s1
	s_waitcnt vmcnt(0)
	global_store_dword v[2:3], v6, off
	v_add_co_u32 v2, s0, v2, s8
	v_add_co_ci_u32_e64 v3, null, s9, v3, s0
	s_andn2_b32 exec_lo, exec_lo, s1
	s_cbranch_execnz .LBB1252_16
.LBB1252_17:
	s_endpgm
	.section	.rodata,"a",@progbits
	.p2align	6, 0x0
	.amdhsa_kernel _ZN7rocprim17ROCPRIM_400000_NS6detail30init_device_scan_by_key_kernelINS1_19lookback_scan_stateINS0_5tupleIJjbEEELb0ELb1EEEN6thrust23THRUST_200600_302600_NS6detail15normal_iteratorINS8_10device_ptrIiEEEEjNS1_16block_id_wrapperIjLb1EEEEEvT_jjPNSG_10value_typeET0_PNSt15iterator_traitsISJ_E10value_typeEmT1_T2_
		.amdhsa_group_segment_fixed_size 0
		.amdhsa_private_segment_fixed_size 0
		.amdhsa_kernarg_size 320
		.amdhsa_user_sgpr_count 6
		.amdhsa_user_sgpr_private_segment_buffer 1
		.amdhsa_user_sgpr_dispatch_ptr 0
		.amdhsa_user_sgpr_queue_ptr 0
		.amdhsa_user_sgpr_kernarg_segment_ptr 1
		.amdhsa_user_sgpr_dispatch_id 0
		.amdhsa_user_sgpr_flat_scratch_init 0
		.amdhsa_user_sgpr_private_segment_size 0
		.amdhsa_wavefront_size32 1
		.amdhsa_uses_dynamic_stack 0
		.amdhsa_system_sgpr_private_segment_wavefront_offset 0
		.amdhsa_system_sgpr_workgroup_id_x 1
		.amdhsa_system_sgpr_workgroup_id_y 0
		.amdhsa_system_sgpr_workgroup_id_z 0
		.amdhsa_system_sgpr_workgroup_info 0
		.amdhsa_system_vgpr_workitem_id 0
		.amdhsa_next_free_vgpr 9
		.amdhsa_next_free_sgpr 17
		.amdhsa_reserve_vcc 1
		.amdhsa_reserve_flat_scratch 0
		.amdhsa_float_round_mode_32 0
		.amdhsa_float_round_mode_16_64 0
		.amdhsa_float_denorm_mode_32 3
		.amdhsa_float_denorm_mode_16_64 3
		.amdhsa_dx10_clamp 1
		.amdhsa_ieee_mode 1
		.amdhsa_fp16_overflow 0
		.amdhsa_workgroup_processor_mode 1
		.amdhsa_memory_ordered 1
		.amdhsa_forward_progress 1
		.amdhsa_shared_vgpr_count 0
		.amdhsa_exception_fp_ieee_invalid_op 0
		.amdhsa_exception_fp_denorm_src 0
		.amdhsa_exception_fp_ieee_div_zero 0
		.amdhsa_exception_fp_ieee_overflow 0
		.amdhsa_exception_fp_ieee_underflow 0
		.amdhsa_exception_fp_ieee_inexact 0
		.amdhsa_exception_int_div_zero 0
	.end_amdhsa_kernel
	.section	.text._ZN7rocprim17ROCPRIM_400000_NS6detail30init_device_scan_by_key_kernelINS1_19lookback_scan_stateINS0_5tupleIJjbEEELb0ELb1EEEN6thrust23THRUST_200600_302600_NS6detail15normal_iteratorINS8_10device_ptrIiEEEEjNS1_16block_id_wrapperIjLb1EEEEEvT_jjPNSG_10value_typeET0_PNSt15iterator_traitsISJ_E10value_typeEmT1_T2_,"axG",@progbits,_ZN7rocprim17ROCPRIM_400000_NS6detail30init_device_scan_by_key_kernelINS1_19lookback_scan_stateINS0_5tupleIJjbEEELb0ELb1EEEN6thrust23THRUST_200600_302600_NS6detail15normal_iteratorINS8_10device_ptrIiEEEEjNS1_16block_id_wrapperIjLb1EEEEEvT_jjPNSG_10value_typeET0_PNSt15iterator_traitsISJ_E10value_typeEmT1_T2_,comdat
.Lfunc_end1252:
	.size	_ZN7rocprim17ROCPRIM_400000_NS6detail30init_device_scan_by_key_kernelINS1_19lookback_scan_stateINS0_5tupleIJjbEEELb0ELb1EEEN6thrust23THRUST_200600_302600_NS6detail15normal_iteratorINS8_10device_ptrIiEEEEjNS1_16block_id_wrapperIjLb1EEEEEvT_jjPNSG_10value_typeET0_PNSt15iterator_traitsISJ_E10value_typeEmT1_T2_, .Lfunc_end1252-_ZN7rocprim17ROCPRIM_400000_NS6detail30init_device_scan_by_key_kernelINS1_19lookback_scan_stateINS0_5tupleIJjbEEELb0ELb1EEEN6thrust23THRUST_200600_302600_NS6detail15normal_iteratorINS8_10device_ptrIiEEEEjNS1_16block_id_wrapperIjLb1EEEEEvT_jjPNSG_10value_typeET0_PNSt15iterator_traitsISJ_E10value_typeEmT1_T2_
                                        ; -- End function
	.set _ZN7rocprim17ROCPRIM_400000_NS6detail30init_device_scan_by_key_kernelINS1_19lookback_scan_stateINS0_5tupleIJjbEEELb0ELb1EEEN6thrust23THRUST_200600_302600_NS6detail15normal_iteratorINS8_10device_ptrIiEEEEjNS1_16block_id_wrapperIjLb1EEEEEvT_jjPNSG_10value_typeET0_PNSt15iterator_traitsISJ_E10value_typeEmT1_T2_.num_vgpr, 9
	.set _ZN7rocprim17ROCPRIM_400000_NS6detail30init_device_scan_by_key_kernelINS1_19lookback_scan_stateINS0_5tupleIJjbEEELb0ELb1EEEN6thrust23THRUST_200600_302600_NS6detail15normal_iteratorINS8_10device_ptrIiEEEEjNS1_16block_id_wrapperIjLb1EEEEEvT_jjPNSG_10value_typeET0_PNSt15iterator_traitsISJ_E10value_typeEmT1_T2_.num_agpr, 0
	.set _ZN7rocprim17ROCPRIM_400000_NS6detail30init_device_scan_by_key_kernelINS1_19lookback_scan_stateINS0_5tupleIJjbEEELb0ELb1EEEN6thrust23THRUST_200600_302600_NS6detail15normal_iteratorINS8_10device_ptrIiEEEEjNS1_16block_id_wrapperIjLb1EEEEEvT_jjPNSG_10value_typeET0_PNSt15iterator_traitsISJ_E10value_typeEmT1_T2_.numbered_sgpr, 17
	.set _ZN7rocprim17ROCPRIM_400000_NS6detail30init_device_scan_by_key_kernelINS1_19lookback_scan_stateINS0_5tupleIJjbEEELb0ELb1EEEN6thrust23THRUST_200600_302600_NS6detail15normal_iteratorINS8_10device_ptrIiEEEEjNS1_16block_id_wrapperIjLb1EEEEEvT_jjPNSG_10value_typeET0_PNSt15iterator_traitsISJ_E10value_typeEmT1_T2_.num_named_barrier, 0
	.set _ZN7rocprim17ROCPRIM_400000_NS6detail30init_device_scan_by_key_kernelINS1_19lookback_scan_stateINS0_5tupleIJjbEEELb0ELb1EEEN6thrust23THRUST_200600_302600_NS6detail15normal_iteratorINS8_10device_ptrIiEEEEjNS1_16block_id_wrapperIjLb1EEEEEvT_jjPNSG_10value_typeET0_PNSt15iterator_traitsISJ_E10value_typeEmT1_T2_.private_seg_size, 0
	.set _ZN7rocprim17ROCPRIM_400000_NS6detail30init_device_scan_by_key_kernelINS1_19lookback_scan_stateINS0_5tupleIJjbEEELb0ELb1EEEN6thrust23THRUST_200600_302600_NS6detail15normal_iteratorINS8_10device_ptrIiEEEEjNS1_16block_id_wrapperIjLb1EEEEEvT_jjPNSG_10value_typeET0_PNSt15iterator_traitsISJ_E10value_typeEmT1_T2_.uses_vcc, 1
	.set _ZN7rocprim17ROCPRIM_400000_NS6detail30init_device_scan_by_key_kernelINS1_19lookback_scan_stateINS0_5tupleIJjbEEELb0ELb1EEEN6thrust23THRUST_200600_302600_NS6detail15normal_iteratorINS8_10device_ptrIiEEEEjNS1_16block_id_wrapperIjLb1EEEEEvT_jjPNSG_10value_typeET0_PNSt15iterator_traitsISJ_E10value_typeEmT1_T2_.uses_flat_scratch, 0
	.set _ZN7rocprim17ROCPRIM_400000_NS6detail30init_device_scan_by_key_kernelINS1_19lookback_scan_stateINS0_5tupleIJjbEEELb0ELb1EEEN6thrust23THRUST_200600_302600_NS6detail15normal_iteratorINS8_10device_ptrIiEEEEjNS1_16block_id_wrapperIjLb1EEEEEvT_jjPNSG_10value_typeET0_PNSt15iterator_traitsISJ_E10value_typeEmT1_T2_.has_dyn_sized_stack, 0
	.set _ZN7rocprim17ROCPRIM_400000_NS6detail30init_device_scan_by_key_kernelINS1_19lookback_scan_stateINS0_5tupleIJjbEEELb0ELb1EEEN6thrust23THRUST_200600_302600_NS6detail15normal_iteratorINS8_10device_ptrIiEEEEjNS1_16block_id_wrapperIjLb1EEEEEvT_jjPNSG_10value_typeET0_PNSt15iterator_traitsISJ_E10value_typeEmT1_T2_.has_recursion, 0
	.set _ZN7rocprim17ROCPRIM_400000_NS6detail30init_device_scan_by_key_kernelINS1_19lookback_scan_stateINS0_5tupleIJjbEEELb0ELb1EEEN6thrust23THRUST_200600_302600_NS6detail15normal_iteratorINS8_10device_ptrIiEEEEjNS1_16block_id_wrapperIjLb1EEEEEvT_jjPNSG_10value_typeET0_PNSt15iterator_traitsISJ_E10value_typeEmT1_T2_.has_indirect_call, 0
	.section	.AMDGPU.csdata,"",@progbits
; Kernel info:
; codeLenInByte = 728
; TotalNumSgprs: 19
; NumVgprs: 9
; ScratchSize: 0
; MemoryBound: 0
; FloatMode: 240
; IeeeMode: 1
; LDSByteSize: 0 bytes/workgroup (compile time only)
; SGPRBlocks: 0
; VGPRBlocks: 1
; NumSGPRsForWavesPerEU: 19
; NumVGPRsForWavesPerEU: 9
; Occupancy: 16
; WaveLimiterHint : 0
; COMPUTE_PGM_RSRC2:SCRATCH_EN: 0
; COMPUTE_PGM_RSRC2:USER_SGPR: 6
; COMPUTE_PGM_RSRC2:TRAP_HANDLER: 0
; COMPUTE_PGM_RSRC2:TGID_X_EN: 1
; COMPUTE_PGM_RSRC2:TGID_Y_EN: 0
; COMPUTE_PGM_RSRC2:TGID_Z_EN: 0
; COMPUTE_PGM_RSRC2:TIDIG_COMP_CNT: 0
	.section	.text._ZN7rocprim17ROCPRIM_400000_NS6detail30init_device_scan_by_key_kernelINS1_19lookback_scan_stateINS0_5tupleIJjbEEELb0ELb1EEENS1_16block_id_wrapperIjLb1EEEEEvT_jjPNS9_10value_typeET0_,"axG",@progbits,_ZN7rocprim17ROCPRIM_400000_NS6detail30init_device_scan_by_key_kernelINS1_19lookback_scan_stateINS0_5tupleIJjbEEELb0ELb1EEENS1_16block_id_wrapperIjLb1EEEEEvT_jjPNS9_10value_typeET0_,comdat
	.protected	_ZN7rocprim17ROCPRIM_400000_NS6detail30init_device_scan_by_key_kernelINS1_19lookback_scan_stateINS0_5tupleIJjbEEELb0ELb1EEENS1_16block_id_wrapperIjLb1EEEEEvT_jjPNS9_10value_typeET0_ ; -- Begin function _ZN7rocprim17ROCPRIM_400000_NS6detail30init_device_scan_by_key_kernelINS1_19lookback_scan_stateINS0_5tupleIJjbEEELb0ELb1EEENS1_16block_id_wrapperIjLb1EEEEEvT_jjPNS9_10value_typeET0_
	.globl	_ZN7rocprim17ROCPRIM_400000_NS6detail30init_device_scan_by_key_kernelINS1_19lookback_scan_stateINS0_5tupleIJjbEEELb0ELb1EEENS1_16block_id_wrapperIjLb1EEEEEvT_jjPNS9_10value_typeET0_
	.p2align	8
	.type	_ZN7rocprim17ROCPRIM_400000_NS6detail30init_device_scan_by_key_kernelINS1_19lookback_scan_stateINS0_5tupleIJjbEEELb0ELb1EEENS1_16block_id_wrapperIjLb1EEEEEvT_jjPNS9_10value_typeET0_,@function
_ZN7rocprim17ROCPRIM_400000_NS6detail30init_device_scan_by_key_kernelINS1_19lookback_scan_stateINS0_5tupleIJjbEEELb0ELb1EEENS1_16block_id_wrapperIjLb1EEEEEvT_jjPNS9_10value_typeET0_: ; @_ZN7rocprim17ROCPRIM_400000_NS6detail30init_device_scan_by_key_kernelINS1_19lookback_scan_stateINS0_5tupleIJjbEEELb0ELb1EEENS1_16block_id_wrapperIjLb1EEEEEvT_jjPNS9_10value_typeET0_
; %bb.0:
	s_clause 0x1
	s_load_dword s0, s[4:5], 0x2c
	s_load_dwordx8 s[8:15], s[4:5], 0x0
	s_waitcnt lgkmcnt(0)
	s_and_b32 s0, s0, 0xffff
	s_cmp_eq_u64 s[12:13], 0
	v_mad_u64_u32 v[0:1], null, s6, s0, v[0:1]
	s_cbranch_scc1 .LBB1253_8
; %bb.1:
	s_cmp_lt_u32 s11, s10
	s_mov_b32 s1, 0
	s_cselect_b32 s0, s11, 0
	s_mov_b32 s2, exec_lo
	v_cmpx_eq_u32_e64 s0, v0
	s_cbranch_execz .LBB1253_7
; %bb.2:
	s_add_i32 s0, s11, 32
	v_mov_b32_e32 v5, 0
	s_lshl_b64 s[0:1], s[0:1], 4
	s_mov_b32 s3, exec_lo
	s_add_u32 s0, s8, s0
	s_addc_u32 s1, s9, s1
	v_mov_b32_e32 v2, s1
	v_mov_b32_e32 v1, s0
	;;#ASMSTART
	global_load_dwordx4 v[1:4], v[1:2] off glc dlc	
s_waitcnt vmcnt(0)
	;;#ASMEND
	v_and_b32_e32 v4, 0xff, v3
	v_cmpx_eq_u64_e32 0, v[4:5]
	s_cbranch_execz .LBB1253_6
; %bb.3:
	v_mov_b32_e32 v7, s1
	v_mov_b32_e32 v6, s0
	s_mov_b32 s0, 0
.LBB1253_4:                             ; =>This Inner Loop Header: Depth=1
	;;#ASMSTART
	global_load_dwordx4 v[1:4], v[6:7] off glc dlc	
s_waitcnt vmcnt(0)
	;;#ASMEND
	v_and_b32_e32 v4, 0xff, v3
	v_cmp_ne_u64_e32 vcc_lo, 0, v[4:5]
	s_or_b32 s0, vcc_lo, s0
	s_andn2_b32 exec_lo, exec_lo, s0
	s_cbranch_execnz .LBB1253_4
; %bb.5:
	s_or_b32 exec_lo, exec_lo, s0
.LBB1253_6:
	s_or_b32 exec_lo, exec_lo, s3
	v_mov_b32_e32 v3, 0
	global_store_dword v3, v1, s[12:13]
	global_store_byte v3, v2, s[12:13] offset:4
.LBB1253_7:
	s_or_b32 exec_lo, exec_lo, s2
.LBB1253_8:
	s_mov_b32 s0, exec_lo
	v_cmpx_eq_u32_e32 0, v0
	s_cbranch_execz .LBB1253_10
; %bb.9:
	v_mov_b32_e32 v1, 0
	global_store_dword v1, v1, s[14:15]
.LBB1253_10:
	s_or_b32 exec_lo, exec_lo, s0
	s_mov_b32 s0, exec_lo
	v_cmpx_gt_u32_e64 s10, v0
	s_cbranch_execz .LBB1253_12
; %bb.11:
	v_add_nc_u32_e32 v1, 32, v0
	v_mov_b32_e32 v2, 0
	v_lshlrev_b64 v[4:5], 4, v[1:2]
	v_mov_b32_e32 v1, v2
	v_mov_b32_e32 v3, v2
	v_add_co_u32 v6, vcc_lo, s8, v4
	v_add_co_ci_u32_e64 v7, null, s9, v5, vcc_lo
	v_mov_b32_e32 v4, v2
	global_store_dwordx4 v[6:7], v[1:4], off
.LBB1253_12:
	s_or_b32 exec_lo, exec_lo, s0
	s_mov_b32 s0, exec_lo
	v_cmpx_gt_u32_e32 32, v0
	s_cbranch_execz .LBB1253_14
; %bb.13:
	v_mov_b32_e32 v1, 0
	v_mov_b32_e32 v2, 0xff
	v_lshlrev_b64 v[3:4], 4, v[0:1]
	v_mov_b32_e32 v0, v1
	v_add_co_u32 v5, vcc_lo, s8, v3
	v_add_co_ci_u32_e64 v6, null, s9, v4, vcc_lo
	v_mov_b32_e32 v3, v1
	global_store_dwordx4 v[5:6], v[0:3], off
.LBB1253_14:
	s_endpgm
	.section	.rodata,"a",@progbits
	.p2align	6, 0x0
	.amdhsa_kernel _ZN7rocprim17ROCPRIM_400000_NS6detail30init_device_scan_by_key_kernelINS1_19lookback_scan_stateINS0_5tupleIJjbEEELb0ELb1EEENS1_16block_id_wrapperIjLb1EEEEEvT_jjPNS9_10value_typeET0_
		.amdhsa_group_segment_fixed_size 0
		.amdhsa_private_segment_fixed_size 0
		.amdhsa_kernarg_size 288
		.amdhsa_user_sgpr_count 6
		.amdhsa_user_sgpr_private_segment_buffer 1
		.amdhsa_user_sgpr_dispatch_ptr 0
		.amdhsa_user_sgpr_queue_ptr 0
		.amdhsa_user_sgpr_kernarg_segment_ptr 1
		.amdhsa_user_sgpr_dispatch_id 0
		.amdhsa_user_sgpr_flat_scratch_init 0
		.amdhsa_user_sgpr_private_segment_size 0
		.amdhsa_wavefront_size32 1
		.amdhsa_uses_dynamic_stack 0
		.amdhsa_system_sgpr_private_segment_wavefront_offset 0
		.amdhsa_system_sgpr_workgroup_id_x 1
		.amdhsa_system_sgpr_workgroup_id_y 0
		.amdhsa_system_sgpr_workgroup_id_z 0
		.amdhsa_system_sgpr_workgroup_info 0
		.amdhsa_system_vgpr_workitem_id 0
		.amdhsa_next_free_vgpr 8
		.amdhsa_next_free_sgpr 16
		.amdhsa_reserve_vcc 1
		.amdhsa_reserve_flat_scratch 0
		.amdhsa_float_round_mode_32 0
		.amdhsa_float_round_mode_16_64 0
		.amdhsa_float_denorm_mode_32 3
		.amdhsa_float_denorm_mode_16_64 3
		.amdhsa_dx10_clamp 1
		.amdhsa_ieee_mode 1
		.amdhsa_fp16_overflow 0
		.amdhsa_workgroup_processor_mode 1
		.amdhsa_memory_ordered 1
		.amdhsa_forward_progress 1
		.amdhsa_shared_vgpr_count 0
		.amdhsa_exception_fp_ieee_invalid_op 0
		.amdhsa_exception_fp_denorm_src 0
		.amdhsa_exception_fp_ieee_div_zero 0
		.amdhsa_exception_fp_ieee_overflow 0
		.amdhsa_exception_fp_ieee_underflow 0
		.amdhsa_exception_fp_ieee_inexact 0
		.amdhsa_exception_int_div_zero 0
	.end_amdhsa_kernel
	.section	.text._ZN7rocprim17ROCPRIM_400000_NS6detail30init_device_scan_by_key_kernelINS1_19lookback_scan_stateINS0_5tupleIJjbEEELb0ELb1EEENS1_16block_id_wrapperIjLb1EEEEEvT_jjPNS9_10value_typeET0_,"axG",@progbits,_ZN7rocprim17ROCPRIM_400000_NS6detail30init_device_scan_by_key_kernelINS1_19lookback_scan_stateINS0_5tupleIJjbEEELb0ELb1EEENS1_16block_id_wrapperIjLb1EEEEEvT_jjPNS9_10value_typeET0_,comdat
.Lfunc_end1253:
	.size	_ZN7rocprim17ROCPRIM_400000_NS6detail30init_device_scan_by_key_kernelINS1_19lookback_scan_stateINS0_5tupleIJjbEEELb0ELb1EEENS1_16block_id_wrapperIjLb1EEEEEvT_jjPNS9_10value_typeET0_, .Lfunc_end1253-_ZN7rocprim17ROCPRIM_400000_NS6detail30init_device_scan_by_key_kernelINS1_19lookback_scan_stateINS0_5tupleIJjbEEELb0ELb1EEENS1_16block_id_wrapperIjLb1EEEEEvT_jjPNS9_10value_typeET0_
                                        ; -- End function
	.set _ZN7rocprim17ROCPRIM_400000_NS6detail30init_device_scan_by_key_kernelINS1_19lookback_scan_stateINS0_5tupleIJjbEEELb0ELb1EEENS1_16block_id_wrapperIjLb1EEEEEvT_jjPNS9_10value_typeET0_.num_vgpr, 8
	.set _ZN7rocprim17ROCPRIM_400000_NS6detail30init_device_scan_by_key_kernelINS1_19lookback_scan_stateINS0_5tupleIJjbEEELb0ELb1EEENS1_16block_id_wrapperIjLb1EEEEEvT_jjPNS9_10value_typeET0_.num_agpr, 0
	.set _ZN7rocprim17ROCPRIM_400000_NS6detail30init_device_scan_by_key_kernelINS1_19lookback_scan_stateINS0_5tupleIJjbEEELb0ELb1EEENS1_16block_id_wrapperIjLb1EEEEEvT_jjPNS9_10value_typeET0_.numbered_sgpr, 16
	.set _ZN7rocprim17ROCPRIM_400000_NS6detail30init_device_scan_by_key_kernelINS1_19lookback_scan_stateINS0_5tupleIJjbEEELb0ELb1EEENS1_16block_id_wrapperIjLb1EEEEEvT_jjPNS9_10value_typeET0_.num_named_barrier, 0
	.set _ZN7rocprim17ROCPRIM_400000_NS6detail30init_device_scan_by_key_kernelINS1_19lookback_scan_stateINS0_5tupleIJjbEEELb0ELb1EEENS1_16block_id_wrapperIjLb1EEEEEvT_jjPNS9_10value_typeET0_.private_seg_size, 0
	.set _ZN7rocprim17ROCPRIM_400000_NS6detail30init_device_scan_by_key_kernelINS1_19lookback_scan_stateINS0_5tupleIJjbEEELb0ELb1EEENS1_16block_id_wrapperIjLb1EEEEEvT_jjPNS9_10value_typeET0_.uses_vcc, 1
	.set _ZN7rocprim17ROCPRIM_400000_NS6detail30init_device_scan_by_key_kernelINS1_19lookback_scan_stateINS0_5tupleIJjbEEELb0ELb1EEENS1_16block_id_wrapperIjLb1EEEEEvT_jjPNS9_10value_typeET0_.uses_flat_scratch, 0
	.set _ZN7rocprim17ROCPRIM_400000_NS6detail30init_device_scan_by_key_kernelINS1_19lookback_scan_stateINS0_5tupleIJjbEEELb0ELb1EEENS1_16block_id_wrapperIjLb1EEEEEvT_jjPNS9_10value_typeET0_.has_dyn_sized_stack, 0
	.set _ZN7rocprim17ROCPRIM_400000_NS6detail30init_device_scan_by_key_kernelINS1_19lookback_scan_stateINS0_5tupleIJjbEEELb0ELb1EEENS1_16block_id_wrapperIjLb1EEEEEvT_jjPNS9_10value_typeET0_.has_recursion, 0
	.set _ZN7rocprim17ROCPRIM_400000_NS6detail30init_device_scan_by_key_kernelINS1_19lookback_scan_stateINS0_5tupleIJjbEEELb0ELb1EEENS1_16block_id_wrapperIjLb1EEEEEvT_jjPNS9_10value_typeET0_.has_indirect_call, 0
	.section	.AMDGPU.csdata,"",@progbits
; Kernel info:
; codeLenInByte = 440
; TotalNumSgprs: 18
; NumVgprs: 8
; ScratchSize: 0
; MemoryBound: 0
; FloatMode: 240
; IeeeMode: 1
; LDSByteSize: 0 bytes/workgroup (compile time only)
; SGPRBlocks: 0
; VGPRBlocks: 0
; NumSGPRsForWavesPerEU: 18
; NumVGPRsForWavesPerEU: 8
; Occupancy: 16
; WaveLimiterHint : 0
; COMPUTE_PGM_RSRC2:SCRATCH_EN: 0
; COMPUTE_PGM_RSRC2:USER_SGPR: 6
; COMPUTE_PGM_RSRC2:TRAP_HANDLER: 0
; COMPUTE_PGM_RSRC2:TGID_X_EN: 1
; COMPUTE_PGM_RSRC2:TGID_Y_EN: 0
; COMPUTE_PGM_RSRC2:TGID_Z_EN: 0
; COMPUTE_PGM_RSRC2:TIDIG_COMP_CNT: 0
	.section	.text._ZN7rocprim17ROCPRIM_400000_NS6detail17trampoline_kernelINS0_14default_configENS1_27scan_by_key_config_selectorIijEEZZNS1_16scan_by_key_implILNS1_25lookback_scan_determinismE0ELb0ES3_N6thrust23THRUST_200600_302600_NS6detail15normal_iteratorINS9_10device_ptrIiEEEENSB_INSC_IjEEEESG_jNS9_4plusIvEENS9_8equal_toIvEEjEE10hipError_tPvRmT2_T3_T4_T5_mT6_T7_P12ihipStream_tbENKUlT_T0_E_clISt17integral_constantIbLb0EES10_IbLb1EEEEDaSW_SX_EUlSW_E_NS1_11comp_targetILNS1_3genE0ELNS1_11target_archE4294967295ELNS1_3gpuE0ELNS1_3repE0EEENS1_30default_config_static_selectorELNS0_4arch9wavefront6targetE0EEEvT1_,"axG",@progbits,_ZN7rocprim17ROCPRIM_400000_NS6detail17trampoline_kernelINS0_14default_configENS1_27scan_by_key_config_selectorIijEEZZNS1_16scan_by_key_implILNS1_25lookback_scan_determinismE0ELb0ES3_N6thrust23THRUST_200600_302600_NS6detail15normal_iteratorINS9_10device_ptrIiEEEENSB_INSC_IjEEEESG_jNS9_4plusIvEENS9_8equal_toIvEEjEE10hipError_tPvRmT2_T3_T4_T5_mT6_T7_P12ihipStream_tbENKUlT_T0_E_clISt17integral_constantIbLb0EES10_IbLb1EEEEDaSW_SX_EUlSW_E_NS1_11comp_targetILNS1_3genE0ELNS1_11target_archE4294967295ELNS1_3gpuE0ELNS1_3repE0EEENS1_30default_config_static_selectorELNS0_4arch9wavefront6targetE0EEEvT1_,comdat
	.protected	_ZN7rocprim17ROCPRIM_400000_NS6detail17trampoline_kernelINS0_14default_configENS1_27scan_by_key_config_selectorIijEEZZNS1_16scan_by_key_implILNS1_25lookback_scan_determinismE0ELb0ES3_N6thrust23THRUST_200600_302600_NS6detail15normal_iteratorINS9_10device_ptrIiEEEENSB_INSC_IjEEEESG_jNS9_4plusIvEENS9_8equal_toIvEEjEE10hipError_tPvRmT2_T3_T4_T5_mT6_T7_P12ihipStream_tbENKUlT_T0_E_clISt17integral_constantIbLb0EES10_IbLb1EEEEDaSW_SX_EUlSW_E_NS1_11comp_targetILNS1_3genE0ELNS1_11target_archE4294967295ELNS1_3gpuE0ELNS1_3repE0EEENS1_30default_config_static_selectorELNS0_4arch9wavefront6targetE0EEEvT1_ ; -- Begin function _ZN7rocprim17ROCPRIM_400000_NS6detail17trampoline_kernelINS0_14default_configENS1_27scan_by_key_config_selectorIijEEZZNS1_16scan_by_key_implILNS1_25lookback_scan_determinismE0ELb0ES3_N6thrust23THRUST_200600_302600_NS6detail15normal_iteratorINS9_10device_ptrIiEEEENSB_INSC_IjEEEESG_jNS9_4plusIvEENS9_8equal_toIvEEjEE10hipError_tPvRmT2_T3_T4_T5_mT6_T7_P12ihipStream_tbENKUlT_T0_E_clISt17integral_constantIbLb0EES10_IbLb1EEEEDaSW_SX_EUlSW_E_NS1_11comp_targetILNS1_3genE0ELNS1_11target_archE4294967295ELNS1_3gpuE0ELNS1_3repE0EEENS1_30default_config_static_selectorELNS0_4arch9wavefront6targetE0EEEvT1_
	.globl	_ZN7rocprim17ROCPRIM_400000_NS6detail17trampoline_kernelINS0_14default_configENS1_27scan_by_key_config_selectorIijEEZZNS1_16scan_by_key_implILNS1_25lookback_scan_determinismE0ELb0ES3_N6thrust23THRUST_200600_302600_NS6detail15normal_iteratorINS9_10device_ptrIiEEEENSB_INSC_IjEEEESG_jNS9_4plusIvEENS9_8equal_toIvEEjEE10hipError_tPvRmT2_T3_T4_T5_mT6_T7_P12ihipStream_tbENKUlT_T0_E_clISt17integral_constantIbLb0EES10_IbLb1EEEEDaSW_SX_EUlSW_E_NS1_11comp_targetILNS1_3genE0ELNS1_11target_archE4294967295ELNS1_3gpuE0ELNS1_3repE0EEENS1_30default_config_static_selectorELNS0_4arch9wavefront6targetE0EEEvT1_
	.p2align	8
	.type	_ZN7rocprim17ROCPRIM_400000_NS6detail17trampoline_kernelINS0_14default_configENS1_27scan_by_key_config_selectorIijEEZZNS1_16scan_by_key_implILNS1_25lookback_scan_determinismE0ELb0ES3_N6thrust23THRUST_200600_302600_NS6detail15normal_iteratorINS9_10device_ptrIiEEEENSB_INSC_IjEEEESG_jNS9_4plusIvEENS9_8equal_toIvEEjEE10hipError_tPvRmT2_T3_T4_T5_mT6_T7_P12ihipStream_tbENKUlT_T0_E_clISt17integral_constantIbLb0EES10_IbLb1EEEEDaSW_SX_EUlSW_E_NS1_11comp_targetILNS1_3genE0ELNS1_11target_archE4294967295ELNS1_3gpuE0ELNS1_3repE0EEENS1_30default_config_static_selectorELNS0_4arch9wavefront6targetE0EEEvT1_,@function
_ZN7rocprim17ROCPRIM_400000_NS6detail17trampoline_kernelINS0_14default_configENS1_27scan_by_key_config_selectorIijEEZZNS1_16scan_by_key_implILNS1_25lookback_scan_determinismE0ELb0ES3_N6thrust23THRUST_200600_302600_NS6detail15normal_iteratorINS9_10device_ptrIiEEEENSB_INSC_IjEEEESG_jNS9_4plusIvEENS9_8equal_toIvEEjEE10hipError_tPvRmT2_T3_T4_T5_mT6_T7_P12ihipStream_tbENKUlT_T0_E_clISt17integral_constantIbLb0EES10_IbLb1EEEEDaSW_SX_EUlSW_E_NS1_11comp_targetILNS1_3genE0ELNS1_11target_archE4294967295ELNS1_3gpuE0ELNS1_3repE0EEENS1_30default_config_static_selectorELNS0_4arch9wavefront6targetE0EEEvT1_: ; @_ZN7rocprim17ROCPRIM_400000_NS6detail17trampoline_kernelINS0_14default_configENS1_27scan_by_key_config_selectorIijEEZZNS1_16scan_by_key_implILNS1_25lookback_scan_determinismE0ELb0ES3_N6thrust23THRUST_200600_302600_NS6detail15normal_iteratorINS9_10device_ptrIiEEEENSB_INSC_IjEEEESG_jNS9_4plusIvEENS9_8equal_toIvEEjEE10hipError_tPvRmT2_T3_T4_T5_mT6_T7_P12ihipStream_tbENKUlT_T0_E_clISt17integral_constantIbLb0EES10_IbLb1EEEEDaSW_SX_EUlSW_E_NS1_11comp_targetILNS1_3genE0ELNS1_11target_archE4294967295ELNS1_3gpuE0ELNS1_3repE0EEENS1_30default_config_static_selectorELNS0_4arch9wavefront6targetE0EEEvT1_
; %bb.0:
	.section	.rodata,"a",@progbits
	.p2align	6, 0x0
	.amdhsa_kernel _ZN7rocprim17ROCPRIM_400000_NS6detail17trampoline_kernelINS0_14default_configENS1_27scan_by_key_config_selectorIijEEZZNS1_16scan_by_key_implILNS1_25lookback_scan_determinismE0ELb0ES3_N6thrust23THRUST_200600_302600_NS6detail15normal_iteratorINS9_10device_ptrIiEEEENSB_INSC_IjEEEESG_jNS9_4plusIvEENS9_8equal_toIvEEjEE10hipError_tPvRmT2_T3_T4_T5_mT6_T7_P12ihipStream_tbENKUlT_T0_E_clISt17integral_constantIbLb0EES10_IbLb1EEEEDaSW_SX_EUlSW_E_NS1_11comp_targetILNS1_3genE0ELNS1_11target_archE4294967295ELNS1_3gpuE0ELNS1_3repE0EEENS1_30default_config_static_selectorELNS0_4arch9wavefront6targetE0EEEvT1_
		.amdhsa_group_segment_fixed_size 0
		.amdhsa_private_segment_fixed_size 0
		.amdhsa_kernarg_size 112
		.amdhsa_user_sgpr_count 6
		.amdhsa_user_sgpr_private_segment_buffer 1
		.amdhsa_user_sgpr_dispatch_ptr 0
		.amdhsa_user_sgpr_queue_ptr 0
		.amdhsa_user_sgpr_kernarg_segment_ptr 1
		.amdhsa_user_sgpr_dispatch_id 0
		.amdhsa_user_sgpr_flat_scratch_init 0
		.amdhsa_user_sgpr_private_segment_size 0
		.amdhsa_wavefront_size32 1
		.amdhsa_uses_dynamic_stack 0
		.amdhsa_system_sgpr_private_segment_wavefront_offset 0
		.amdhsa_system_sgpr_workgroup_id_x 1
		.amdhsa_system_sgpr_workgroup_id_y 0
		.amdhsa_system_sgpr_workgroup_id_z 0
		.amdhsa_system_sgpr_workgroup_info 0
		.amdhsa_system_vgpr_workitem_id 0
		.amdhsa_next_free_vgpr 1
		.amdhsa_next_free_sgpr 1
		.amdhsa_reserve_vcc 0
		.amdhsa_reserve_flat_scratch 0
		.amdhsa_float_round_mode_32 0
		.amdhsa_float_round_mode_16_64 0
		.amdhsa_float_denorm_mode_32 3
		.amdhsa_float_denorm_mode_16_64 3
		.amdhsa_dx10_clamp 1
		.amdhsa_ieee_mode 1
		.amdhsa_fp16_overflow 0
		.amdhsa_workgroup_processor_mode 1
		.amdhsa_memory_ordered 1
		.amdhsa_forward_progress 1
		.amdhsa_shared_vgpr_count 0
		.amdhsa_exception_fp_ieee_invalid_op 0
		.amdhsa_exception_fp_denorm_src 0
		.amdhsa_exception_fp_ieee_div_zero 0
		.amdhsa_exception_fp_ieee_overflow 0
		.amdhsa_exception_fp_ieee_underflow 0
		.amdhsa_exception_fp_ieee_inexact 0
		.amdhsa_exception_int_div_zero 0
	.end_amdhsa_kernel
	.section	.text._ZN7rocprim17ROCPRIM_400000_NS6detail17trampoline_kernelINS0_14default_configENS1_27scan_by_key_config_selectorIijEEZZNS1_16scan_by_key_implILNS1_25lookback_scan_determinismE0ELb0ES3_N6thrust23THRUST_200600_302600_NS6detail15normal_iteratorINS9_10device_ptrIiEEEENSB_INSC_IjEEEESG_jNS9_4plusIvEENS9_8equal_toIvEEjEE10hipError_tPvRmT2_T3_T4_T5_mT6_T7_P12ihipStream_tbENKUlT_T0_E_clISt17integral_constantIbLb0EES10_IbLb1EEEEDaSW_SX_EUlSW_E_NS1_11comp_targetILNS1_3genE0ELNS1_11target_archE4294967295ELNS1_3gpuE0ELNS1_3repE0EEENS1_30default_config_static_selectorELNS0_4arch9wavefront6targetE0EEEvT1_,"axG",@progbits,_ZN7rocprim17ROCPRIM_400000_NS6detail17trampoline_kernelINS0_14default_configENS1_27scan_by_key_config_selectorIijEEZZNS1_16scan_by_key_implILNS1_25lookback_scan_determinismE0ELb0ES3_N6thrust23THRUST_200600_302600_NS6detail15normal_iteratorINS9_10device_ptrIiEEEENSB_INSC_IjEEEESG_jNS9_4plusIvEENS9_8equal_toIvEEjEE10hipError_tPvRmT2_T3_T4_T5_mT6_T7_P12ihipStream_tbENKUlT_T0_E_clISt17integral_constantIbLb0EES10_IbLb1EEEEDaSW_SX_EUlSW_E_NS1_11comp_targetILNS1_3genE0ELNS1_11target_archE4294967295ELNS1_3gpuE0ELNS1_3repE0EEENS1_30default_config_static_selectorELNS0_4arch9wavefront6targetE0EEEvT1_,comdat
.Lfunc_end1254:
	.size	_ZN7rocprim17ROCPRIM_400000_NS6detail17trampoline_kernelINS0_14default_configENS1_27scan_by_key_config_selectorIijEEZZNS1_16scan_by_key_implILNS1_25lookback_scan_determinismE0ELb0ES3_N6thrust23THRUST_200600_302600_NS6detail15normal_iteratorINS9_10device_ptrIiEEEENSB_INSC_IjEEEESG_jNS9_4plusIvEENS9_8equal_toIvEEjEE10hipError_tPvRmT2_T3_T4_T5_mT6_T7_P12ihipStream_tbENKUlT_T0_E_clISt17integral_constantIbLb0EES10_IbLb1EEEEDaSW_SX_EUlSW_E_NS1_11comp_targetILNS1_3genE0ELNS1_11target_archE4294967295ELNS1_3gpuE0ELNS1_3repE0EEENS1_30default_config_static_selectorELNS0_4arch9wavefront6targetE0EEEvT1_, .Lfunc_end1254-_ZN7rocprim17ROCPRIM_400000_NS6detail17trampoline_kernelINS0_14default_configENS1_27scan_by_key_config_selectorIijEEZZNS1_16scan_by_key_implILNS1_25lookback_scan_determinismE0ELb0ES3_N6thrust23THRUST_200600_302600_NS6detail15normal_iteratorINS9_10device_ptrIiEEEENSB_INSC_IjEEEESG_jNS9_4plusIvEENS9_8equal_toIvEEjEE10hipError_tPvRmT2_T3_T4_T5_mT6_T7_P12ihipStream_tbENKUlT_T0_E_clISt17integral_constantIbLb0EES10_IbLb1EEEEDaSW_SX_EUlSW_E_NS1_11comp_targetILNS1_3genE0ELNS1_11target_archE4294967295ELNS1_3gpuE0ELNS1_3repE0EEENS1_30default_config_static_selectorELNS0_4arch9wavefront6targetE0EEEvT1_
                                        ; -- End function
	.set _ZN7rocprim17ROCPRIM_400000_NS6detail17trampoline_kernelINS0_14default_configENS1_27scan_by_key_config_selectorIijEEZZNS1_16scan_by_key_implILNS1_25lookback_scan_determinismE0ELb0ES3_N6thrust23THRUST_200600_302600_NS6detail15normal_iteratorINS9_10device_ptrIiEEEENSB_INSC_IjEEEESG_jNS9_4plusIvEENS9_8equal_toIvEEjEE10hipError_tPvRmT2_T3_T4_T5_mT6_T7_P12ihipStream_tbENKUlT_T0_E_clISt17integral_constantIbLb0EES10_IbLb1EEEEDaSW_SX_EUlSW_E_NS1_11comp_targetILNS1_3genE0ELNS1_11target_archE4294967295ELNS1_3gpuE0ELNS1_3repE0EEENS1_30default_config_static_selectorELNS0_4arch9wavefront6targetE0EEEvT1_.num_vgpr, 0
	.set _ZN7rocprim17ROCPRIM_400000_NS6detail17trampoline_kernelINS0_14default_configENS1_27scan_by_key_config_selectorIijEEZZNS1_16scan_by_key_implILNS1_25lookback_scan_determinismE0ELb0ES3_N6thrust23THRUST_200600_302600_NS6detail15normal_iteratorINS9_10device_ptrIiEEEENSB_INSC_IjEEEESG_jNS9_4plusIvEENS9_8equal_toIvEEjEE10hipError_tPvRmT2_T3_T4_T5_mT6_T7_P12ihipStream_tbENKUlT_T0_E_clISt17integral_constantIbLb0EES10_IbLb1EEEEDaSW_SX_EUlSW_E_NS1_11comp_targetILNS1_3genE0ELNS1_11target_archE4294967295ELNS1_3gpuE0ELNS1_3repE0EEENS1_30default_config_static_selectorELNS0_4arch9wavefront6targetE0EEEvT1_.num_agpr, 0
	.set _ZN7rocprim17ROCPRIM_400000_NS6detail17trampoline_kernelINS0_14default_configENS1_27scan_by_key_config_selectorIijEEZZNS1_16scan_by_key_implILNS1_25lookback_scan_determinismE0ELb0ES3_N6thrust23THRUST_200600_302600_NS6detail15normal_iteratorINS9_10device_ptrIiEEEENSB_INSC_IjEEEESG_jNS9_4plusIvEENS9_8equal_toIvEEjEE10hipError_tPvRmT2_T3_T4_T5_mT6_T7_P12ihipStream_tbENKUlT_T0_E_clISt17integral_constantIbLb0EES10_IbLb1EEEEDaSW_SX_EUlSW_E_NS1_11comp_targetILNS1_3genE0ELNS1_11target_archE4294967295ELNS1_3gpuE0ELNS1_3repE0EEENS1_30default_config_static_selectorELNS0_4arch9wavefront6targetE0EEEvT1_.numbered_sgpr, 0
	.set _ZN7rocprim17ROCPRIM_400000_NS6detail17trampoline_kernelINS0_14default_configENS1_27scan_by_key_config_selectorIijEEZZNS1_16scan_by_key_implILNS1_25lookback_scan_determinismE0ELb0ES3_N6thrust23THRUST_200600_302600_NS6detail15normal_iteratorINS9_10device_ptrIiEEEENSB_INSC_IjEEEESG_jNS9_4plusIvEENS9_8equal_toIvEEjEE10hipError_tPvRmT2_T3_T4_T5_mT6_T7_P12ihipStream_tbENKUlT_T0_E_clISt17integral_constantIbLb0EES10_IbLb1EEEEDaSW_SX_EUlSW_E_NS1_11comp_targetILNS1_3genE0ELNS1_11target_archE4294967295ELNS1_3gpuE0ELNS1_3repE0EEENS1_30default_config_static_selectorELNS0_4arch9wavefront6targetE0EEEvT1_.num_named_barrier, 0
	.set _ZN7rocprim17ROCPRIM_400000_NS6detail17trampoline_kernelINS0_14default_configENS1_27scan_by_key_config_selectorIijEEZZNS1_16scan_by_key_implILNS1_25lookback_scan_determinismE0ELb0ES3_N6thrust23THRUST_200600_302600_NS6detail15normal_iteratorINS9_10device_ptrIiEEEENSB_INSC_IjEEEESG_jNS9_4plusIvEENS9_8equal_toIvEEjEE10hipError_tPvRmT2_T3_T4_T5_mT6_T7_P12ihipStream_tbENKUlT_T0_E_clISt17integral_constantIbLb0EES10_IbLb1EEEEDaSW_SX_EUlSW_E_NS1_11comp_targetILNS1_3genE0ELNS1_11target_archE4294967295ELNS1_3gpuE0ELNS1_3repE0EEENS1_30default_config_static_selectorELNS0_4arch9wavefront6targetE0EEEvT1_.private_seg_size, 0
	.set _ZN7rocprim17ROCPRIM_400000_NS6detail17trampoline_kernelINS0_14default_configENS1_27scan_by_key_config_selectorIijEEZZNS1_16scan_by_key_implILNS1_25lookback_scan_determinismE0ELb0ES3_N6thrust23THRUST_200600_302600_NS6detail15normal_iteratorINS9_10device_ptrIiEEEENSB_INSC_IjEEEESG_jNS9_4plusIvEENS9_8equal_toIvEEjEE10hipError_tPvRmT2_T3_T4_T5_mT6_T7_P12ihipStream_tbENKUlT_T0_E_clISt17integral_constantIbLb0EES10_IbLb1EEEEDaSW_SX_EUlSW_E_NS1_11comp_targetILNS1_3genE0ELNS1_11target_archE4294967295ELNS1_3gpuE0ELNS1_3repE0EEENS1_30default_config_static_selectorELNS0_4arch9wavefront6targetE0EEEvT1_.uses_vcc, 0
	.set _ZN7rocprim17ROCPRIM_400000_NS6detail17trampoline_kernelINS0_14default_configENS1_27scan_by_key_config_selectorIijEEZZNS1_16scan_by_key_implILNS1_25lookback_scan_determinismE0ELb0ES3_N6thrust23THRUST_200600_302600_NS6detail15normal_iteratorINS9_10device_ptrIiEEEENSB_INSC_IjEEEESG_jNS9_4plusIvEENS9_8equal_toIvEEjEE10hipError_tPvRmT2_T3_T4_T5_mT6_T7_P12ihipStream_tbENKUlT_T0_E_clISt17integral_constantIbLb0EES10_IbLb1EEEEDaSW_SX_EUlSW_E_NS1_11comp_targetILNS1_3genE0ELNS1_11target_archE4294967295ELNS1_3gpuE0ELNS1_3repE0EEENS1_30default_config_static_selectorELNS0_4arch9wavefront6targetE0EEEvT1_.uses_flat_scratch, 0
	.set _ZN7rocprim17ROCPRIM_400000_NS6detail17trampoline_kernelINS0_14default_configENS1_27scan_by_key_config_selectorIijEEZZNS1_16scan_by_key_implILNS1_25lookback_scan_determinismE0ELb0ES3_N6thrust23THRUST_200600_302600_NS6detail15normal_iteratorINS9_10device_ptrIiEEEENSB_INSC_IjEEEESG_jNS9_4plusIvEENS9_8equal_toIvEEjEE10hipError_tPvRmT2_T3_T4_T5_mT6_T7_P12ihipStream_tbENKUlT_T0_E_clISt17integral_constantIbLb0EES10_IbLb1EEEEDaSW_SX_EUlSW_E_NS1_11comp_targetILNS1_3genE0ELNS1_11target_archE4294967295ELNS1_3gpuE0ELNS1_3repE0EEENS1_30default_config_static_selectorELNS0_4arch9wavefront6targetE0EEEvT1_.has_dyn_sized_stack, 0
	.set _ZN7rocprim17ROCPRIM_400000_NS6detail17trampoline_kernelINS0_14default_configENS1_27scan_by_key_config_selectorIijEEZZNS1_16scan_by_key_implILNS1_25lookback_scan_determinismE0ELb0ES3_N6thrust23THRUST_200600_302600_NS6detail15normal_iteratorINS9_10device_ptrIiEEEENSB_INSC_IjEEEESG_jNS9_4plusIvEENS9_8equal_toIvEEjEE10hipError_tPvRmT2_T3_T4_T5_mT6_T7_P12ihipStream_tbENKUlT_T0_E_clISt17integral_constantIbLb0EES10_IbLb1EEEEDaSW_SX_EUlSW_E_NS1_11comp_targetILNS1_3genE0ELNS1_11target_archE4294967295ELNS1_3gpuE0ELNS1_3repE0EEENS1_30default_config_static_selectorELNS0_4arch9wavefront6targetE0EEEvT1_.has_recursion, 0
	.set _ZN7rocprim17ROCPRIM_400000_NS6detail17trampoline_kernelINS0_14default_configENS1_27scan_by_key_config_selectorIijEEZZNS1_16scan_by_key_implILNS1_25lookback_scan_determinismE0ELb0ES3_N6thrust23THRUST_200600_302600_NS6detail15normal_iteratorINS9_10device_ptrIiEEEENSB_INSC_IjEEEESG_jNS9_4plusIvEENS9_8equal_toIvEEjEE10hipError_tPvRmT2_T3_T4_T5_mT6_T7_P12ihipStream_tbENKUlT_T0_E_clISt17integral_constantIbLb0EES10_IbLb1EEEEDaSW_SX_EUlSW_E_NS1_11comp_targetILNS1_3genE0ELNS1_11target_archE4294967295ELNS1_3gpuE0ELNS1_3repE0EEENS1_30default_config_static_selectorELNS0_4arch9wavefront6targetE0EEEvT1_.has_indirect_call, 0
	.section	.AMDGPU.csdata,"",@progbits
; Kernel info:
; codeLenInByte = 0
; TotalNumSgprs: 0
; NumVgprs: 0
; ScratchSize: 0
; MemoryBound: 0
; FloatMode: 240
; IeeeMode: 1
; LDSByteSize: 0 bytes/workgroup (compile time only)
; SGPRBlocks: 0
; VGPRBlocks: 0
; NumSGPRsForWavesPerEU: 1
; NumVGPRsForWavesPerEU: 1
; Occupancy: 16
; WaveLimiterHint : 0
; COMPUTE_PGM_RSRC2:SCRATCH_EN: 0
; COMPUTE_PGM_RSRC2:USER_SGPR: 6
; COMPUTE_PGM_RSRC2:TRAP_HANDLER: 0
; COMPUTE_PGM_RSRC2:TGID_X_EN: 1
; COMPUTE_PGM_RSRC2:TGID_Y_EN: 0
; COMPUTE_PGM_RSRC2:TGID_Z_EN: 0
; COMPUTE_PGM_RSRC2:TIDIG_COMP_CNT: 0
	.section	.text._ZN7rocprim17ROCPRIM_400000_NS6detail17trampoline_kernelINS0_14default_configENS1_27scan_by_key_config_selectorIijEEZZNS1_16scan_by_key_implILNS1_25lookback_scan_determinismE0ELb0ES3_N6thrust23THRUST_200600_302600_NS6detail15normal_iteratorINS9_10device_ptrIiEEEENSB_INSC_IjEEEESG_jNS9_4plusIvEENS9_8equal_toIvEEjEE10hipError_tPvRmT2_T3_T4_T5_mT6_T7_P12ihipStream_tbENKUlT_T0_E_clISt17integral_constantIbLb0EES10_IbLb1EEEEDaSW_SX_EUlSW_E_NS1_11comp_targetILNS1_3genE10ELNS1_11target_archE1201ELNS1_3gpuE5ELNS1_3repE0EEENS1_30default_config_static_selectorELNS0_4arch9wavefront6targetE0EEEvT1_,"axG",@progbits,_ZN7rocprim17ROCPRIM_400000_NS6detail17trampoline_kernelINS0_14default_configENS1_27scan_by_key_config_selectorIijEEZZNS1_16scan_by_key_implILNS1_25lookback_scan_determinismE0ELb0ES3_N6thrust23THRUST_200600_302600_NS6detail15normal_iteratorINS9_10device_ptrIiEEEENSB_INSC_IjEEEESG_jNS9_4plusIvEENS9_8equal_toIvEEjEE10hipError_tPvRmT2_T3_T4_T5_mT6_T7_P12ihipStream_tbENKUlT_T0_E_clISt17integral_constantIbLb0EES10_IbLb1EEEEDaSW_SX_EUlSW_E_NS1_11comp_targetILNS1_3genE10ELNS1_11target_archE1201ELNS1_3gpuE5ELNS1_3repE0EEENS1_30default_config_static_selectorELNS0_4arch9wavefront6targetE0EEEvT1_,comdat
	.protected	_ZN7rocprim17ROCPRIM_400000_NS6detail17trampoline_kernelINS0_14default_configENS1_27scan_by_key_config_selectorIijEEZZNS1_16scan_by_key_implILNS1_25lookback_scan_determinismE0ELb0ES3_N6thrust23THRUST_200600_302600_NS6detail15normal_iteratorINS9_10device_ptrIiEEEENSB_INSC_IjEEEESG_jNS9_4plusIvEENS9_8equal_toIvEEjEE10hipError_tPvRmT2_T3_T4_T5_mT6_T7_P12ihipStream_tbENKUlT_T0_E_clISt17integral_constantIbLb0EES10_IbLb1EEEEDaSW_SX_EUlSW_E_NS1_11comp_targetILNS1_3genE10ELNS1_11target_archE1201ELNS1_3gpuE5ELNS1_3repE0EEENS1_30default_config_static_selectorELNS0_4arch9wavefront6targetE0EEEvT1_ ; -- Begin function _ZN7rocprim17ROCPRIM_400000_NS6detail17trampoline_kernelINS0_14default_configENS1_27scan_by_key_config_selectorIijEEZZNS1_16scan_by_key_implILNS1_25lookback_scan_determinismE0ELb0ES3_N6thrust23THRUST_200600_302600_NS6detail15normal_iteratorINS9_10device_ptrIiEEEENSB_INSC_IjEEEESG_jNS9_4plusIvEENS9_8equal_toIvEEjEE10hipError_tPvRmT2_T3_T4_T5_mT6_T7_P12ihipStream_tbENKUlT_T0_E_clISt17integral_constantIbLb0EES10_IbLb1EEEEDaSW_SX_EUlSW_E_NS1_11comp_targetILNS1_3genE10ELNS1_11target_archE1201ELNS1_3gpuE5ELNS1_3repE0EEENS1_30default_config_static_selectorELNS0_4arch9wavefront6targetE0EEEvT1_
	.globl	_ZN7rocprim17ROCPRIM_400000_NS6detail17trampoline_kernelINS0_14default_configENS1_27scan_by_key_config_selectorIijEEZZNS1_16scan_by_key_implILNS1_25lookback_scan_determinismE0ELb0ES3_N6thrust23THRUST_200600_302600_NS6detail15normal_iteratorINS9_10device_ptrIiEEEENSB_INSC_IjEEEESG_jNS9_4plusIvEENS9_8equal_toIvEEjEE10hipError_tPvRmT2_T3_T4_T5_mT6_T7_P12ihipStream_tbENKUlT_T0_E_clISt17integral_constantIbLb0EES10_IbLb1EEEEDaSW_SX_EUlSW_E_NS1_11comp_targetILNS1_3genE10ELNS1_11target_archE1201ELNS1_3gpuE5ELNS1_3repE0EEENS1_30default_config_static_selectorELNS0_4arch9wavefront6targetE0EEEvT1_
	.p2align	8
	.type	_ZN7rocprim17ROCPRIM_400000_NS6detail17trampoline_kernelINS0_14default_configENS1_27scan_by_key_config_selectorIijEEZZNS1_16scan_by_key_implILNS1_25lookback_scan_determinismE0ELb0ES3_N6thrust23THRUST_200600_302600_NS6detail15normal_iteratorINS9_10device_ptrIiEEEENSB_INSC_IjEEEESG_jNS9_4plusIvEENS9_8equal_toIvEEjEE10hipError_tPvRmT2_T3_T4_T5_mT6_T7_P12ihipStream_tbENKUlT_T0_E_clISt17integral_constantIbLb0EES10_IbLb1EEEEDaSW_SX_EUlSW_E_NS1_11comp_targetILNS1_3genE10ELNS1_11target_archE1201ELNS1_3gpuE5ELNS1_3repE0EEENS1_30default_config_static_selectorELNS0_4arch9wavefront6targetE0EEEvT1_,@function
_ZN7rocprim17ROCPRIM_400000_NS6detail17trampoline_kernelINS0_14default_configENS1_27scan_by_key_config_selectorIijEEZZNS1_16scan_by_key_implILNS1_25lookback_scan_determinismE0ELb0ES3_N6thrust23THRUST_200600_302600_NS6detail15normal_iteratorINS9_10device_ptrIiEEEENSB_INSC_IjEEEESG_jNS9_4plusIvEENS9_8equal_toIvEEjEE10hipError_tPvRmT2_T3_T4_T5_mT6_T7_P12ihipStream_tbENKUlT_T0_E_clISt17integral_constantIbLb0EES10_IbLb1EEEEDaSW_SX_EUlSW_E_NS1_11comp_targetILNS1_3genE10ELNS1_11target_archE1201ELNS1_3gpuE5ELNS1_3repE0EEENS1_30default_config_static_selectorELNS0_4arch9wavefront6targetE0EEEvT1_: ; @_ZN7rocprim17ROCPRIM_400000_NS6detail17trampoline_kernelINS0_14default_configENS1_27scan_by_key_config_selectorIijEEZZNS1_16scan_by_key_implILNS1_25lookback_scan_determinismE0ELb0ES3_N6thrust23THRUST_200600_302600_NS6detail15normal_iteratorINS9_10device_ptrIiEEEENSB_INSC_IjEEEESG_jNS9_4plusIvEENS9_8equal_toIvEEjEE10hipError_tPvRmT2_T3_T4_T5_mT6_T7_P12ihipStream_tbENKUlT_T0_E_clISt17integral_constantIbLb0EES10_IbLb1EEEEDaSW_SX_EUlSW_E_NS1_11comp_targetILNS1_3genE10ELNS1_11target_archE1201ELNS1_3gpuE5ELNS1_3repE0EEENS1_30default_config_static_selectorELNS0_4arch9wavefront6targetE0EEEvT1_
; %bb.0:
	.section	.rodata,"a",@progbits
	.p2align	6, 0x0
	.amdhsa_kernel _ZN7rocprim17ROCPRIM_400000_NS6detail17trampoline_kernelINS0_14default_configENS1_27scan_by_key_config_selectorIijEEZZNS1_16scan_by_key_implILNS1_25lookback_scan_determinismE0ELb0ES3_N6thrust23THRUST_200600_302600_NS6detail15normal_iteratorINS9_10device_ptrIiEEEENSB_INSC_IjEEEESG_jNS9_4plusIvEENS9_8equal_toIvEEjEE10hipError_tPvRmT2_T3_T4_T5_mT6_T7_P12ihipStream_tbENKUlT_T0_E_clISt17integral_constantIbLb0EES10_IbLb1EEEEDaSW_SX_EUlSW_E_NS1_11comp_targetILNS1_3genE10ELNS1_11target_archE1201ELNS1_3gpuE5ELNS1_3repE0EEENS1_30default_config_static_selectorELNS0_4arch9wavefront6targetE0EEEvT1_
		.amdhsa_group_segment_fixed_size 0
		.amdhsa_private_segment_fixed_size 0
		.amdhsa_kernarg_size 112
		.amdhsa_user_sgpr_count 6
		.amdhsa_user_sgpr_private_segment_buffer 1
		.amdhsa_user_sgpr_dispatch_ptr 0
		.amdhsa_user_sgpr_queue_ptr 0
		.amdhsa_user_sgpr_kernarg_segment_ptr 1
		.amdhsa_user_sgpr_dispatch_id 0
		.amdhsa_user_sgpr_flat_scratch_init 0
		.amdhsa_user_sgpr_private_segment_size 0
		.amdhsa_wavefront_size32 1
		.amdhsa_uses_dynamic_stack 0
		.amdhsa_system_sgpr_private_segment_wavefront_offset 0
		.amdhsa_system_sgpr_workgroup_id_x 1
		.amdhsa_system_sgpr_workgroup_id_y 0
		.amdhsa_system_sgpr_workgroup_id_z 0
		.amdhsa_system_sgpr_workgroup_info 0
		.amdhsa_system_vgpr_workitem_id 0
		.amdhsa_next_free_vgpr 1
		.amdhsa_next_free_sgpr 1
		.amdhsa_reserve_vcc 0
		.amdhsa_reserve_flat_scratch 0
		.amdhsa_float_round_mode_32 0
		.amdhsa_float_round_mode_16_64 0
		.amdhsa_float_denorm_mode_32 3
		.amdhsa_float_denorm_mode_16_64 3
		.amdhsa_dx10_clamp 1
		.amdhsa_ieee_mode 1
		.amdhsa_fp16_overflow 0
		.amdhsa_workgroup_processor_mode 1
		.amdhsa_memory_ordered 1
		.amdhsa_forward_progress 1
		.amdhsa_shared_vgpr_count 0
		.amdhsa_exception_fp_ieee_invalid_op 0
		.amdhsa_exception_fp_denorm_src 0
		.amdhsa_exception_fp_ieee_div_zero 0
		.amdhsa_exception_fp_ieee_overflow 0
		.amdhsa_exception_fp_ieee_underflow 0
		.amdhsa_exception_fp_ieee_inexact 0
		.amdhsa_exception_int_div_zero 0
	.end_amdhsa_kernel
	.section	.text._ZN7rocprim17ROCPRIM_400000_NS6detail17trampoline_kernelINS0_14default_configENS1_27scan_by_key_config_selectorIijEEZZNS1_16scan_by_key_implILNS1_25lookback_scan_determinismE0ELb0ES3_N6thrust23THRUST_200600_302600_NS6detail15normal_iteratorINS9_10device_ptrIiEEEENSB_INSC_IjEEEESG_jNS9_4plusIvEENS9_8equal_toIvEEjEE10hipError_tPvRmT2_T3_T4_T5_mT6_T7_P12ihipStream_tbENKUlT_T0_E_clISt17integral_constantIbLb0EES10_IbLb1EEEEDaSW_SX_EUlSW_E_NS1_11comp_targetILNS1_3genE10ELNS1_11target_archE1201ELNS1_3gpuE5ELNS1_3repE0EEENS1_30default_config_static_selectorELNS0_4arch9wavefront6targetE0EEEvT1_,"axG",@progbits,_ZN7rocprim17ROCPRIM_400000_NS6detail17trampoline_kernelINS0_14default_configENS1_27scan_by_key_config_selectorIijEEZZNS1_16scan_by_key_implILNS1_25lookback_scan_determinismE0ELb0ES3_N6thrust23THRUST_200600_302600_NS6detail15normal_iteratorINS9_10device_ptrIiEEEENSB_INSC_IjEEEESG_jNS9_4plusIvEENS9_8equal_toIvEEjEE10hipError_tPvRmT2_T3_T4_T5_mT6_T7_P12ihipStream_tbENKUlT_T0_E_clISt17integral_constantIbLb0EES10_IbLb1EEEEDaSW_SX_EUlSW_E_NS1_11comp_targetILNS1_3genE10ELNS1_11target_archE1201ELNS1_3gpuE5ELNS1_3repE0EEENS1_30default_config_static_selectorELNS0_4arch9wavefront6targetE0EEEvT1_,comdat
.Lfunc_end1255:
	.size	_ZN7rocprim17ROCPRIM_400000_NS6detail17trampoline_kernelINS0_14default_configENS1_27scan_by_key_config_selectorIijEEZZNS1_16scan_by_key_implILNS1_25lookback_scan_determinismE0ELb0ES3_N6thrust23THRUST_200600_302600_NS6detail15normal_iteratorINS9_10device_ptrIiEEEENSB_INSC_IjEEEESG_jNS9_4plusIvEENS9_8equal_toIvEEjEE10hipError_tPvRmT2_T3_T4_T5_mT6_T7_P12ihipStream_tbENKUlT_T0_E_clISt17integral_constantIbLb0EES10_IbLb1EEEEDaSW_SX_EUlSW_E_NS1_11comp_targetILNS1_3genE10ELNS1_11target_archE1201ELNS1_3gpuE5ELNS1_3repE0EEENS1_30default_config_static_selectorELNS0_4arch9wavefront6targetE0EEEvT1_, .Lfunc_end1255-_ZN7rocprim17ROCPRIM_400000_NS6detail17trampoline_kernelINS0_14default_configENS1_27scan_by_key_config_selectorIijEEZZNS1_16scan_by_key_implILNS1_25lookback_scan_determinismE0ELb0ES3_N6thrust23THRUST_200600_302600_NS6detail15normal_iteratorINS9_10device_ptrIiEEEENSB_INSC_IjEEEESG_jNS9_4plusIvEENS9_8equal_toIvEEjEE10hipError_tPvRmT2_T3_T4_T5_mT6_T7_P12ihipStream_tbENKUlT_T0_E_clISt17integral_constantIbLb0EES10_IbLb1EEEEDaSW_SX_EUlSW_E_NS1_11comp_targetILNS1_3genE10ELNS1_11target_archE1201ELNS1_3gpuE5ELNS1_3repE0EEENS1_30default_config_static_selectorELNS0_4arch9wavefront6targetE0EEEvT1_
                                        ; -- End function
	.set _ZN7rocprim17ROCPRIM_400000_NS6detail17trampoline_kernelINS0_14default_configENS1_27scan_by_key_config_selectorIijEEZZNS1_16scan_by_key_implILNS1_25lookback_scan_determinismE0ELb0ES3_N6thrust23THRUST_200600_302600_NS6detail15normal_iteratorINS9_10device_ptrIiEEEENSB_INSC_IjEEEESG_jNS9_4plusIvEENS9_8equal_toIvEEjEE10hipError_tPvRmT2_T3_T4_T5_mT6_T7_P12ihipStream_tbENKUlT_T0_E_clISt17integral_constantIbLb0EES10_IbLb1EEEEDaSW_SX_EUlSW_E_NS1_11comp_targetILNS1_3genE10ELNS1_11target_archE1201ELNS1_3gpuE5ELNS1_3repE0EEENS1_30default_config_static_selectorELNS0_4arch9wavefront6targetE0EEEvT1_.num_vgpr, 0
	.set _ZN7rocprim17ROCPRIM_400000_NS6detail17trampoline_kernelINS0_14default_configENS1_27scan_by_key_config_selectorIijEEZZNS1_16scan_by_key_implILNS1_25lookback_scan_determinismE0ELb0ES3_N6thrust23THRUST_200600_302600_NS6detail15normal_iteratorINS9_10device_ptrIiEEEENSB_INSC_IjEEEESG_jNS9_4plusIvEENS9_8equal_toIvEEjEE10hipError_tPvRmT2_T3_T4_T5_mT6_T7_P12ihipStream_tbENKUlT_T0_E_clISt17integral_constantIbLb0EES10_IbLb1EEEEDaSW_SX_EUlSW_E_NS1_11comp_targetILNS1_3genE10ELNS1_11target_archE1201ELNS1_3gpuE5ELNS1_3repE0EEENS1_30default_config_static_selectorELNS0_4arch9wavefront6targetE0EEEvT1_.num_agpr, 0
	.set _ZN7rocprim17ROCPRIM_400000_NS6detail17trampoline_kernelINS0_14default_configENS1_27scan_by_key_config_selectorIijEEZZNS1_16scan_by_key_implILNS1_25lookback_scan_determinismE0ELb0ES3_N6thrust23THRUST_200600_302600_NS6detail15normal_iteratorINS9_10device_ptrIiEEEENSB_INSC_IjEEEESG_jNS9_4plusIvEENS9_8equal_toIvEEjEE10hipError_tPvRmT2_T3_T4_T5_mT6_T7_P12ihipStream_tbENKUlT_T0_E_clISt17integral_constantIbLb0EES10_IbLb1EEEEDaSW_SX_EUlSW_E_NS1_11comp_targetILNS1_3genE10ELNS1_11target_archE1201ELNS1_3gpuE5ELNS1_3repE0EEENS1_30default_config_static_selectorELNS0_4arch9wavefront6targetE0EEEvT1_.numbered_sgpr, 0
	.set _ZN7rocprim17ROCPRIM_400000_NS6detail17trampoline_kernelINS0_14default_configENS1_27scan_by_key_config_selectorIijEEZZNS1_16scan_by_key_implILNS1_25lookback_scan_determinismE0ELb0ES3_N6thrust23THRUST_200600_302600_NS6detail15normal_iteratorINS9_10device_ptrIiEEEENSB_INSC_IjEEEESG_jNS9_4plusIvEENS9_8equal_toIvEEjEE10hipError_tPvRmT2_T3_T4_T5_mT6_T7_P12ihipStream_tbENKUlT_T0_E_clISt17integral_constantIbLb0EES10_IbLb1EEEEDaSW_SX_EUlSW_E_NS1_11comp_targetILNS1_3genE10ELNS1_11target_archE1201ELNS1_3gpuE5ELNS1_3repE0EEENS1_30default_config_static_selectorELNS0_4arch9wavefront6targetE0EEEvT1_.num_named_barrier, 0
	.set _ZN7rocprim17ROCPRIM_400000_NS6detail17trampoline_kernelINS0_14default_configENS1_27scan_by_key_config_selectorIijEEZZNS1_16scan_by_key_implILNS1_25lookback_scan_determinismE0ELb0ES3_N6thrust23THRUST_200600_302600_NS6detail15normal_iteratorINS9_10device_ptrIiEEEENSB_INSC_IjEEEESG_jNS9_4plusIvEENS9_8equal_toIvEEjEE10hipError_tPvRmT2_T3_T4_T5_mT6_T7_P12ihipStream_tbENKUlT_T0_E_clISt17integral_constantIbLb0EES10_IbLb1EEEEDaSW_SX_EUlSW_E_NS1_11comp_targetILNS1_3genE10ELNS1_11target_archE1201ELNS1_3gpuE5ELNS1_3repE0EEENS1_30default_config_static_selectorELNS0_4arch9wavefront6targetE0EEEvT1_.private_seg_size, 0
	.set _ZN7rocprim17ROCPRIM_400000_NS6detail17trampoline_kernelINS0_14default_configENS1_27scan_by_key_config_selectorIijEEZZNS1_16scan_by_key_implILNS1_25lookback_scan_determinismE0ELb0ES3_N6thrust23THRUST_200600_302600_NS6detail15normal_iteratorINS9_10device_ptrIiEEEENSB_INSC_IjEEEESG_jNS9_4plusIvEENS9_8equal_toIvEEjEE10hipError_tPvRmT2_T3_T4_T5_mT6_T7_P12ihipStream_tbENKUlT_T0_E_clISt17integral_constantIbLb0EES10_IbLb1EEEEDaSW_SX_EUlSW_E_NS1_11comp_targetILNS1_3genE10ELNS1_11target_archE1201ELNS1_3gpuE5ELNS1_3repE0EEENS1_30default_config_static_selectorELNS0_4arch9wavefront6targetE0EEEvT1_.uses_vcc, 0
	.set _ZN7rocprim17ROCPRIM_400000_NS6detail17trampoline_kernelINS0_14default_configENS1_27scan_by_key_config_selectorIijEEZZNS1_16scan_by_key_implILNS1_25lookback_scan_determinismE0ELb0ES3_N6thrust23THRUST_200600_302600_NS6detail15normal_iteratorINS9_10device_ptrIiEEEENSB_INSC_IjEEEESG_jNS9_4plusIvEENS9_8equal_toIvEEjEE10hipError_tPvRmT2_T3_T4_T5_mT6_T7_P12ihipStream_tbENKUlT_T0_E_clISt17integral_constantIbLb0EES10_IbLb1EEEEDaSW_SX_EUlSW_E_NS1_11comp_targetILNS1_3genE10ELNS1_11target_archE1201ELNS1_3gpuE5ELNS1_3repE0EEENS1_30default_config_static_selectorELNS0_4arch9wavefront6targetE0EEEvT1_.uses_flat_scratch, 0
	.set _ZN7rocprim17ROCPRIM_400000_NS6detail17trampoline_kernelINS0_14default_configENS1_27scan_by_key_config_selectorIijEEZZNS1_16scan_by_key_implILNS1_25lookback_scan_determinismE0ELb0ES3_N6thrust23THRUST_200600_302600_NS6detail15normal_iteratorINS9_10device_ptrIiEEEENSB_INSC_IjEEEESG_jNS9_4plusIvEENS9_8equal_toIvEEjEE10hipError_tPvRmT2_T3_T4_T5_mT6_T7_P12ihipStream_tbENKUlT_T0_E_clISt17integral_constantIbLb0EES10_IbLb1EEEEDaSW_SX_EUlSW_E_NS1_11comp_targetILNS1_3genE10ELNS1_11target_archE1201ELNS1_3gpuE5ELNS1_3repE0EEENS1_30default_config_static_selectorELNS0_4arch9wavefront6targetE0EEEvT1_.has_dyn_sized_stack, 0
	.set _ZN7rocprim17ROCPRIM_400000_NS6detail17trampoline_kernelINS0_14default_configENS1_27scan_by_key_config_selectorIijEEZZNS1_16scan_by_key_implILNS1_25lookback_scan_determinismE0ELb0ES3_N6thrust23THRUST_200600_302600_NS6detail15normal_iteratorINS9_10device_ptrIiEEEENSB_INSC_IjEEEESG_jNS9_4plusIvEENS9_8equal_toIvEEjEE10hipError_tPvRmT2_T3_T4_T5_mT6_T7_P12ihipStream_tbENKUlT_T0_E_clISt17integral_constantIbLb0EES10_IbLb1EEEEDaSW_SX_EUlSW_E_NS1_11comp_targetILNS1_3genE10ELNS1_11target_archE1201ELNS1_3gpuE5ELNS1_3repE0EEENS1_30default_config_static_selectorELNS0_4arch9wavefront6targetE0EEEvT1_.has_recursion, 0
	.set _ZN7rocprim17ROCPRIM_400000_NS6detail17trampoline_kernelINS0_14default_configENS1_27scan_by_key_config_selectorIijEEZZNS1_16scan_by_key_implILNS1_25lookback_scan_determinismE0ELb0ES3_N6thrust23THRUST_200600_302600_NS6detail15normal_iteratorINS9_10device_ptrIiEEEENSB_INSC_IjEEEESG_jNS9_4plusIvEENS9_8equal_toIvEEjEE10hipError_tPvRmT2_T3_T4_T5_mT6_T7_P12ihipStream_tbENKUlT_T0_E_clISt17integral_constantIbLb0EES10_IbLb1EEEEDaSW_SX_EUlSW_E_NS1_11comp_targetILNS1_3genE10ELNS1_11target_archE1201ELNS1_3gpuE5ELNS1_3repE0EEENS1_30default_config_static_selectorELNS0_4arch9wavefront6targetE0EEEvT1_.has_indirect_call, 0
	.section	.AMDGPU.csdata,"",@progbits
; Kernel info:
; codeLenInByte = 0
; TotalNumSgprs: 0
; NumVgprs: 0
; ScratchSize: 0
; MemoryBound: 0
; FloatMode: 240
; IeeeMode: 1
; LDSByteSize: 0 bytes/workgroup (compile time only)
; SGPRBlocks: 0
; VGPRBlocks: 0
; NumSGPRsForWavesPerEU: 1
; NumVGPRsForWavesPerEU: 1
; Occupancy: 16
; WaveLimiterHint : 0
; COMPUTE_PGM_RSRC2:SCRATCH_EN: 0
; COMPUTE_PGM_RSRC2:USER_SGPR: 6
; COMPUTE_PGM_RSRC2:TRAP_HANDLER: 0
; COMPUTE_PGM_RSRC2:TGID_X_EN: 1
; COMPUTE_PGM_RSRC2:TGID_Y_EN: 0
; COMPUTE_PGM_RSRC2:TGID_Z_EN: 0
; COMPUTE_PGM_RSRC2:TIDIG_COMP_CNT: 0
	.section	.text._ZN7rocprim17ROCPRIM_400000_NS6detail17trampoline_kernelINS0_14default_configENS1_27scan_by_key_config_selectorIijEEZZNS1_16scan_by_key_implILNS1_25lookback_scan_determinismE0ELb0ES3_N6thrust23THRUST_200600_302600_NS6detail15normal_iteratorINS9_10device_ptrIiEEEENSB_INSC_IjEEEESG_jNS9_4plusIvEENS9_8equal_toIvEEjEE10hipError_tPvRmT2_T3_T4_T5_mT6_T7_P12ihipStream_tbENKUlT_T0_E_clISt17integral_constantIbLb0EES10_IbLb1EEEEDaSW_SX_EUlSW_E_NS1_11comp_targetILNS1_3genE5ELNS1_11target_archE942ELNS1_3gpuE9ELNS1_3repE0EEENS1_30default_config_static_selectorELNS0_4arch9wavefront6targetE0EEEvT1_,"axG",@progbits,_ZN7rocprim17ROCPRIM_400000_NS6detail17trampoline_kernelINS0_14default_configENS1_27scan_by_key_config_selectorIijEEZZNS1_16scan_by_key_implILNS1_25lookback_scan_determinismE0ELb0ES3_N6thrust23THRUST_200600_302600_NS6detail15normal_iteratorINS9_10device_ptrIiEEEENSB_INSC_IjEEEESG_jNS9_4plusIvEENS9_8equal_toIvEEjEE10hipError_tPvRmT2_T3_T4_T5_mT6_T7_P12ihipStream_tbENKUlT_T0_E_clISt17integral_constantIbLb0EES10_IbLb1EEEEDaSW_SX_EUlSW_E_NS1_11comp_targetILNS1_3genE5ELNS1_11target_archE942ELNS1_3gpuE9ELNS1_3repE0EEENS1_30default_config_static_selectorELNS0_4arch9wavefront6targetE0EEEvT1_,comdat
	.protected	_ZN7rocprim17ROCPRIM_400000_NS6detail17trampoline_kernelINS0_14default_configENS1_27scan_by_key_config_selectorIijEEZZNS1_16scan_by_key_implILNS1_25lookback_scan_determinismE0ELb0ES3_N6thrust23THRUST_200600_302600_NS6detail15normal_iteratorINS9_10device_ptrIiEEEENSB_INSC_IjEEEESG_jNS9_4plusIvEENS9_8equal_toIvEEjEE10hipError_tPvRmT2_T3_T4_T5_mT6_T7_P12ihipStream_tbENKUlT_T0_E_clISt17integral_constantIbLb0EES10_IbLb1EEEEDaSW_SX_EUlSW_E_NS1_11comp_targetILNS1_3genE5ELNS1_11target_archE942ELNS1_3gpuE9ELNS1_3repE0EEENS1_30default_config_static_selectorELNS0_4arch9wavefront6targetE0EEEvT1_ ; -- Begin function _ZN7rocprim17ROCPRIM_400000_NS6detail17trampoline_kernelINS0_14default_configENS1_27scan_by_key_config_selectorIijEEZZNS1_16scan_by_key_implILNS1_25lookback_scan_determinismE0ELb0ES3_N6thrust23THRUST_200600_302600_NS6detail15normal_iteratorINS9_10device_ptrIiEEEENSB_INSC_IjEEEESG_jNS9_4plusIvEENS9_8equal_toIvEEjEE10hipError_tPvRmT2_T3_T4_T5_mT6_T7_P12ihipStream_tbENKUlT_T0_E_clISt17integral_constantIbLb0EES10_IbLb1EEEEDaSW_SX_EUlSW_E_NS1_11comp_targetILNS1_3genE5ELNS1_11target_archE942ELNS1_3gpuE9ELNS1_3repE0EEENS1_30default_config_static_selectorELNS0_4arch9wavefront6targetE0EEEvT1_
	.globl	_ZN7rocprim17ROCPRIM_400000_NS6detail17trampoline_kernelINS0_14default_configENS1_27scan_by_key_config_selectorIijEEZZNS1_16scan_by_key_implILNS1_25lookback_scan_determinismE0ELb0ES3_N6thrust23THRUST_200600_302600_NS6detail15normal_iteratorINS9_10device_ptrIiEEEENSB_INSC_IjEEEESG_jNS9_4plusIvEENS9_8equal_toIvEEjEE10hipError_tPvRmT2_T3_T4_T5_mT6_T7_P12ihipStream_tbENKUlT_T0_E_clISt17integral_constantIbLb0EES10_IbLb1EEEEDaSW_SX_EUlSW_E_NS1_11comp_targetILNS1_3genE5ELNS1_11target_archE942ELNS1_3gpuE9ELNS1_3repE0EEENS1_30default_config_static_selectorELNS0_4arch9wavefront6targetE0EEEvT1_
	.p2align	8
	.type	_ZN7rocprim17ROCPRIM_400000_NS6detail17trampoline_kernelINS0_14default_configENS1_27scan_by_key_config_selectorIijEEZZNS1_16scan_by_key_implILNS1_25lookback_scan_determinismE0ELb0ES3_N6thrust23THRUST_200600_302600_NS6detail15normal_iteratorINS9_10device_ptrIiEEEENSB_INSC_IjEEEESG_jNS9_4plusIvEENS9_8equal_toIvEEjEE10hipError_tPvRmT2_T3_T4_T5_mT6_T7_P12ihipStream_tbENKUlT_T0_E_clISt17integral_constantIbLb0EES10_IbLb1EEEEDaSW_SX_EUlSW_E_NS1_11comp_targetILNS1_3genE5ELNS1_11target_archE942ELNS1_3gpuE9ELNS1_3repE0EEENS1_30default_config_static_selectorELNS0_4arch9wavefront6targetE0EEEvT1_,@function
_ZN7rocprim17ROCPRIM_400000_NS6detail17trampoline_kernelINS0_14default_configENS1_27scan_by_key_config_selectorIijEEZZNS1_16scan_by_key_implILNS1_25lookback_scan_determinismE0ELb0ES3_N6thrust23THRUST_200600_302600_NS6detail15normal_iteratorINS9_10device_ptrIiEEEENSB_INSC_IjEEEESG_jNS9_4plusIvEENS9_8equal_toIvEEjEE10hipError_tPvRmT2_T3_T4_T5_mT6_T7_P12ihipStream_tbENKUlT_T0_E_clISt17integral_constantIbLb0EES10_IbLb1EEEEDaSW_SX_EUlSW_E_NS1_11comp_targetILNS1_3genE5ELNS1_11target_archE942ELNS1_3gpuE9ELNS1_3repE0EEENS1_30default_config_static_selectorELNS0_4arch9wavefront6targetE0EEEvT1_: ; @_ZN7rocprim17ROCPRIM_400000_NS6detail17trampoline_kernelINS0_14default_configENS1_27scan_by_key_config_selectorIijEEZZNS1_16scan_by_key_implILNS1_25lookback_scan_determinismE0ELb0ES3_N6thrust23THRUST_200600_302600_NS6detail15normal_iteratorINS9_10device_ptrIiEEEENSB_INSC_IjEEEESG_jNS9_4plusIvEENS9_8equal_toIvEEjEE10hipError_tPvRmT2_T3_T4_T5_mT6_T7_P12ihipStream_tbENKUlT_T0_E_clISt17integral_constantIbLb0EES10_IbLb1EEEEDaSW_SX_EUlSW_E_NS1_11comp_targetILNS1_3genE5ELNS1_11target_archE942ELNS1_3gpuE9ELNS1_3repE0EEENS1_30default_config_static_selectorELNS0_4arch9wavefront6targetE0EEEvT1_
; %bb.0:
	.section	.rodata,"a",@progbits
	.p2align	6, 0x0
	.amdhsa_kernel _ZN7rocprim17ROCPRIM_400000_NS6detail17trampoline_kernelINS0_14default_configENS1_27scan_by_key_config_selectorIijEEZZNS1_16scan_by_key_implILNS1_25lookback_scan_determinismE0ELb0ES3_N6thrust23THRUST_200600_302600_NS6detail15normal_iteratorINS9_10device_ptrIiEEEENSB_INSC_IjEEEESG_jNS9_4plusIvEENS9_8equal_toIvEEjEE10hipError_tPvRmT2_T3_T4_T5_mT6_T7_P12ihipStream_tbENKUlT_T0_E_clISt17integral_constantIbLb0EES10_IbLb1EEEEDaSW_SX_EUlSW_E_NS1_11comp_targetILNS1_3genE5ELNS1_11target_archE942ELNS1_3gpuE9ELNS1_3repE0EEENS1_30default_config_static_selectorELNS0_4arch9wavefront6targetE0EEEvT1_
		.amdhsa_group_segment_fixed_size 0
		.amdhsa_private_segment_fixed_size 0
		.amdhsa_kernarg_size 112
		.amdhsa_user_sgpr_count 6
		.amdhsa_user_sgpr_private_segment_buffer 1
		.amdhsa_user_sgpr_dispatch_ptr 0
		.amdhsa_user_sgpr_queue_ptr 0
		.amdhsa_user_sgpr_kernarg_segment_ptr 1
		.amdhsa_user_sgpr_dispatch_id 0
		.amdhsa_user_sgpr_flat_scratch_init 0
		.amdhsa_user_sgpr_private_segment_size 0
		.amdhsa_wavefront_size32 1
		.amdhsa_uses_dynamic_stack 0
		.amdhsa_system_sgpr_private_segment_wavefront_offset 0
		.amdhsa_system_sgpr_workgroup_id_x 1
		.amdhsa_system_sgpr_workgroup_id_y 0
		.amdhsa_system_sgpr_workgroup_id_z 0
		.amdhsa_system_sgpr_workgroup_info 0
		.amdhsa_system_vgpr_workitem_id 0
		.amdhsa_next_free_vgpr 1
		.amdhsa_next_free_sgpr 1
		.amdhsa_reserve_vcc 0
		.amdhsa_reserve_flat_scratch 0
		.amdhsa_float_round_mode_32 0
		.amdhsa_float_round_mode_16_64 0
		.amdhsa_float_denorm_mode_32 3
		.amdhsa_float_denorm_mode_16_64 3
		.amdhsa_dx10_clamp 1
		.amdhsa_ieee_mode 1
		.amdhsa_fp16_overflow 0
		.amdhsa_workgroup_processor_mode 1
		.amdhsa_memory_ordered 1
		.amdhsa_forward_progress 1
		.amdhsa_shared_vgpr_count 0
		.amdhsa_exception_fp_ieee_invalid_op 0
		.amdhsa_exception_fp_denorm_src 0
		.amdhsa_exception_fp_ieee_div_zero 0
		.amdhsa_exception_fp_ieee_overflow 0
		.amdhsa_exception_fp_ieee_underflow 0
		.amdhsa_exception_fp_ieee_inexact 0
		.amdhsa_exception_int_div_zero 0
	.end_amdhsa_kernel
	.section	.text._ZN7rocprim17ROCPRIM_400000_NS6detail17trampoline_kernelINS0_14default_configENS1_27scan_by_key_config_selectorIijEEZZNS1_16scan_by_key_implILNS1_25lookback_scan_determinismE0ELb0ES3_N6thrust23THRUST_200600_302600_NS6detail15normal_iteratorINS9_10device_ptrIiEEEENSB_INSC_IjEEEESG_jNS9_4plusIvEENS9_8equal_toIvEEjEE10hipError_tPvRmT2_T3_T4_T5_mT6_T7_P12ihipStream_tbENKUlT_T0_E_clISt17integral_constantIbLb0EES10_IbLb1EEEEDaSW_SX_EUlSW_E_NS1_11comp_targetILNS1_3genE5ELNS1_11target_archE942ELNS1_3gpuE9ELNS1_3repE0EEENS1_30default_config_static_selectorELNS0_4arch9wavefront6targetE0EEEvT1_,"axG",@progbits,_ZN7rocprim17ROCPRIM_400000_NS6detail17trampoline_kernelINS0_14default_configENS1_27scan_by_key_config_selectorIijEEZZNS1_16scan_by_key_implILNS1_25lookback_scan_determinismE0ELb0ES3_N6thrust23THRUST_200600_302600_NS6detail15normal_iteratorINS9_10device_ptrIiEEEENSB_INSC_IjEEEESG_jNS9_4plusIvEENS9_8equal_toIvEEjEE10hipError_tPvRmT2_T3_T4_T5_mT6_T7_P12ihipStream_tbENKUlT_T0_E_clISt17integral_constantIbLb0EES10_IbLb1EEEEDaSW_SX_EUlSW_E_NS1_11comp_targetILNS1_3genE5ELNS1_11target_archE942ELNS1_3gpuE9ELNS1_3repE0EEENS1_30default_config_static_selectorELNS0_4arch9wavefront6targetE0EEEvT1_,comdat
.Lfunc_end1256:
	.size	_ZN7rocprim17ROCPRIM_400000_NS6detail17trampoline_kernelINS0_14default_configENS1_27scan_by_key_config_selectorIijEEZZNS1_16scan_by_key_implILNS1_25lookback_scan_determinismE0ELb0ES3_N6thrust23THRUST_200600_302600_NS6detail15normal_iteratorINS9_10device_ptrIiEEEENSB_INSC_IjEEEESG_jNS9_4plusIvEENS9_8equal_toIvEEjEE10hipError_tPvRmT2_T3_T4_T5_mT6_T7_P12ihipStream_tbENKUlT_T0_E_clISt17integral_constantIbLb0EES10_IbLb1EEEEDaSW_SX_EUlSW_E_NS1_11comp_targetILNS1_3genE5ELNS1_11target_archE942ELNS1_3gpuE9ELNS1_3repE0EEENS1_30default_config_static_selectorELNS0_4arch9wavefront6targetE0EEEvT1_, .Lfunc_end1256-_ZN7rocprim17ROCPRIM_400000_NS6detail17trampoline_kernelINS0_14default_configENS1_27scan_by_key_config_selectorIijEEZZNS1_16scan_by_key_implILNS1_25lookback_scan_determinismE0ELb0ES3_N6thrust23THRUST_200600_302600_NS6detail15normal_iteratorINS9_10device_ptrIiEEEENSB_INSC_IjEEEESG_jNS9_4plusIvEENS9_8equal_toIvEEjEE10hipError_tPvRmT2_T3_T4_T5_mT6_T7_P12ihipStream_tbENKUlT_T0_E_clISt17integral_constantIbLb0EES10_IbLb1EEEEDaSW_SX_EUlSW_E_NS1_11comp_targetILNS1_3genE5ELNS1_11target_archE942ELNS1_3gpuE9ELNS1_3repE0EEENS1_30default_config_static_selectorELNS0_4arch9wavefront6targetE0EEEvT1_
                                        ; -- End function
	.set _ZN7rocprim17ROCPRIM_400000_NS6detail17trampoline_kernelINS0_14default_configENS1_27scan_by_key_config_selectorIijEEZZNS1_16scan_by_key_implILNS1_25lookback_scan_determinismE0ELb0ES3_N6thrust23THRUST_200600_302600_NS6detail15normal_iteratorINS9_10device_ptrIiEEEENSB_INSC_IjEEEESG_jNS9_4plusIvEENS9_8equal_toIvEEjEE10hipError_tPvRmT2_T3_T4_T5_mT6_T7_P12ihipStream_tbENKUlT_T0_E_clISt17integral_constantIbLb0EES10_IbLb1EEEEDaSW_SX_EUlSW_E_NS1_11comp_targetILNS1_3genE5ELNS1_11target_archE942ELNS1_3gpuE9ELNS1_3repE0EEENS1_30default_config_static_selectorELNS0_4arch9wavefront6targetE0EEEvT1_.num_vgpr, 0
	.set _ZN7rocprim17ROCPRIM_400000_NS6detail17trampoline_kernelINS0_14default_configENS1_27scan_by_key_config_selectorIijEEZZNS1_16scan_by_key_implILNS1_25lookback_scan_determinismE0ELb0ES3_N6thrust23THRUST_200600_302600_NS6detail15normal_iteratorINS9_10device_ptrIiEEEENSB_INSC_IjEEEESG_jNS9_4plusIvEENS9_8equal_toIvEEjEE10hipError_tPvRmT2_T3_T4_T5_mT6_T7_P12ihipStream_tbENKUlT_T0_E_clISt17integral_constantIbLb0EES10_IbLb1EEEEDaSW_SX_EUlSW_E_NS1_11comp_targetILNS1_3genE5ELNS1_11target_archE942ELNS1_3gpuE9ELNS1_3repE0EEENS1_30default_config_static_selectorELNS0_4arch9wavefront6targetE0EEEvT1_.num_agpr, 0
	.set _ZN7rocprim17ROCPRIM_400000_NS6detail17trampoline_kernelINS0_14default_configENS1_27scan_by_key_config_selectorIijEEZZNS1_16scan_by_key_implILNS1_25lookback_scan_determinismE0ELb0ES3_N6thrust23THRUST_200600_302600_NS6detail15normal_iteratorINS9_10device_ptrIiEEEENSB_INSC_IjEEEESG_jNS9_4plusIvEENS9_8equal_toIvEEjEE10hipError_tPvRmT2_T3_T4_T5_mT6_T7_P12ihipStream_tbENKUlT_T0_E_clISt17integral_constantIbLb0EES10_IbLb1EEEEDaSW_SX_EUlSW_E_NS1_11comp_targetILNS1_3genE5ELNS1_11target_archE942ELNS1_3gpuE9ELNS1_3repE0EEENS1_30default_config_static_selectorELNS0_4arch9wavefront6targetE0EEEvT1_.numbered_sgpr, 0
	.set _ZN7rocprim17ROCPRIM_400000_NS6detail17trampoline_kernelINS0_14default_configENS1_27scan_by_key_config_selectorIijEEZZNS1_16scan_by_key_implILNS1_25lookback_scan_determinismE0ELb0ES3_N6thrust23THRUST_200600_302600_NS6detail15normal_iteratorINS9_10device_ptrIiEEEENSB_INSC_IjEEEESG_jNS9_4plusIvEENS9_8equal_toIvEEjEE10hipError_tPvRmT2_T3_T4_T5_mT6_T7_P12ihipStream_tbENKUlT_T0_E_clISt17integral_constantIbLb0EES10_IbLb1EEEEDaSW_SX_EUlSW_E_NS1_11comp_targetILNS1_3genE5ELNS1_11target_archE942ELNS1_3gpuE9ELNS1_3repE0EEENS1_30default_config_static_selectorELNS0_4arch9wavefront6targetE0EEEvT1_.num_named_barrier, 0
	.set _ZN7rocprim17ROCPRIM_400000_NS6detail17trampoline_kernelINS0_14default_configENS1_27scan_by_key_config_selectorIijEEZZNS1_16scan_by_key_implILNS1_25lookback_scan_determinismE0ELb0ES3_N6thrust23THRUST_200600_302600_NS6detail15normal_iteratorINS9_10device_ptrIiEEEENSB_INSC_IjEEEESG_jNS9_4plusIvEENS9_8equal_toIvEEjEE10hipError_tPvRmT2_T3_T4_T5_mT6_T7_P12ihipStream_tbENKUlT_T0_E_clISt17integral_constantIbLb0EES10_IbLb1EEEEDaSW_SX_EUlSW_E_NS1_11comp_targetILNS1_3genE5ELNS1_11target_archE942ELNS1_3gpuE9ELNS1_3repE0EEENS1_30default_config_static_selectorELNS0_4arch9wavefront6targetE0EEEvT1_.private_seg_size, 0
	.set _ZN7rocprim17ROCPRIM_400000_NS6detail17trampoline_kernelINS0_14default_configENS1_27scan_by_key_config_selectorIijEEZZNS1_16scan_by_key_implILNS1_25lookback_scan_determinismE0ELb0ES3_N6thrust23THRUST_200600_302600_NS6detail15normal_iteratorINS9_10device_ptrIiEEEENSB_INSC_IjEEEESG_jNS9_4plusIvEENS9_8equal_toIvEEjEE10hipError_tPvRmT2_T3_T4_T5_mT6_T7_P12ihipStream_tbENKUlT_T0_E_clISt17integral_constantIbLb0EES10_IbLb1EEEEDaSW_SX_EUlSW_E_NS1_11comp_targetILNS1_3genE5ELNS1_11target_archE942ELNS1_3gpuE9ELNS1_3repE0EEENS1_30default_config_static_selectorELNS0_4arch9wavefront6targetE0EEEvT1_.uses_vcc, 0
	.set _ZN7rocprim17ROCPRIM_400000_NS6detail17trampoline_kernelINS0_14default_configENS1_27scan_by_key_config_selectorIijEEZZNS1_16scan_by_key_implILNS1_25lookback_scan_determinismE0ELb0ES3_N6thrust23THRUST_200600_302600_NS6detail15normal_iteratorINS9_10device_ptrIiEEEENSB_INSC_IjEEEESG_jNS9_4plusIvEENS9_8equal_toIvEEjEE10hipError_tPvRmT2_T3_T4_T5_mT6_T7_P12ihipStream_tbENKUlT_T0_E_clISt17integral_constantIbLb0EES10_IbLb1EEEEDaSW_SX_EUlSW_E_NS1_11comp_targetILNS1_3genE5ELNS1_11target_archE942ELNS1_3gpuE9ELNS1_3repE0EEENS1_30default_config_static_selectorELNS0_4arch9wavefront6targetE0EEEvT1_.uses_flat_scratch, 0
	.set _ZN7rocprim17ROCPRIM_400000_NS6detail17trampoline_kernelINS0_14default_configENS1_27scan_by_key_config_selectorIijEEZZNS1_16scan_by_key_implILNS1_25lookback_scan_determinismE0ELb0ES3_N6thrust23THRUST_200600_302600_NS6detail15normal_iteratorINS9_10device_ptrIiEEEENSB_INSC_IjEEEESG_jNS9_4plusIvEENS9_8equal_toIvEEjEE10hipError_tPvRmT2_T3_T4_T5_mT6_T7_P12ihipStream_tbENKUlT_T0_E_clISt17integral_constantIbLb0EES10_IbLb1EEEEDaSW_SX_EUlSW_E_NS1_11comp_targetILNS1_3genE5ELNS1_11target_archE942ELNS1_3gpuE9ELNS1_3repE0EEENS1_30default_config_static_selectorELNS0_4arch9wavefront6targetE0EEEvT1_.has_dyn_sized_stack, 0
	.set _ZN7rocprim17ROCPRIM_400000_NS6detail17trampoline_kernelINS0_14default_configENS1_27scan_by_key_config_selectorIijEEZZNS1_16scan_by_key_implILNS1_25lookback_scan_determinismE0ELb0ES3_N6thrust23THRUST_200600_302600_NS6detail15normal_iteratorINS9_10device_ptrIiEEEENSB_INSC_IjEEEESG_jNS9_4plusIvEENS9_8equal_toIvEEjEE10hipError_tPvRmT2_T3_T4_T5_mT6_T7_P12ihipStream_tbENKUlT_T0_E_clISt17integral_constantIbLb0EES10_IbLb1EEEEDaSW_SX_EUlSW_E_NS1_11comp_targetILNS1_3genE5ELNS1_11target_archE942ELNS1_3gpuE9ELNS1_3repE0EEENS1_30default_config_static_selectorELNS0_4arch9wavefront6targetE0EEEvT1_.has_recursion, 0
	.set _ZN7rocprim17ROCPRIM_400000_NS6detail17trampoline_kernelINS0_14default_configENS1_27scan_by_key_config_selectorIijEEZZNS1_16scan_by_key_implILNS1_25lookback_scan_determinismE0ELb0ES3_N6thrust23THRUST_200600_302600_NS6detail15normal_iteratorINS9_10device_ptrIiEEEENSB_INSC_IjEEEESG_jNS9_4plusIvEENS9_8equal_toIvEEjEE10hipError_tPvRmT2_T3_T4_T5_mT6_T7_P12ihipStream_tbENKUlT_T0_E_clISt17integral_constantIbLb0EES10_IbLb1EEEEDaSW_SX_EUlSW_E_NS1_11comp_targetILNS1_3genE5ELNS1_11target_archE942ELNS1_3gpuE9ELNS1_3repE0EEENS1_30default_config_static_selectorELNS0_4arch9wavefront6targetE0EEEvT1_.has_indirect_call, 0
	.section	.AMDGPU.csdata,"",@progbits
; Kernel info:
; codeLenInByte = 0
; TotalNumSgprs: 0
; NumVgprs: 0
; ScratchSize: 0
; MemoryBound: 0
; FloatMode: 240
; IeeeMode: 1
; LDSByteSize: 0 bytes/workgroup (compile time only)
; SGPRBlocks: 0
; VGPRBlocks: 0
; NumSGPRsForWavesPerEU: 1
; NumVGPRsForWavesPerEU: 1
; Occupancy: 16
; WaveLimiterHint : 0
; COMPUTE_PGM_RSRC2:SCRATCH_EN: 0
; COMPUTE_PGM_RSRC2:USER_SGPR: 6
; COMPUTE_PGM_RSRC2:TRAP_HANDLER: 0
; COMPUTE_PGM_RSRC2:TGID_X_EN: 1
; COMPUTE_PGM_RSRC2:TGID_Y_EN: 0
; COMPUTE_PGM_RSRC2:TGID_Z_EN: 0
; COMPUTE_PGM_RSRC2:TIDIG_COMP_CNT: 0
	.section	.text._ZN7rocprim17ROCPRIM_400000_NS6detail17trampoline_kernelINS0_14default_configENS1_27scan_by_key_config_selectorIijEEZZNS1_16scan_by_key_implILNS1_25lookback_scan_determinismE0ELb0ES3_N6thrust23THRUST_200600_302600_NS6detail15normal_iteratorINS9_10device_ptrIiEEEENSB_INSC_IjEEEESG_jNS9_4plusIvEENS9_8equal_toIvEEjEE10hipError_tPvRmT2_T3_T4_T5_mT6_T7_P12ihipStream_tbENKUlT_T0_E_clISt17integral_constantIbLb0EES10_IbLb1EEEEDaSW_SX_EUlSW_E_NS1_11comp_targetILNS1_3genE4ELNS1_11target_archE910ELNS1_3gpuE8ELNS1_3repE0EEENS1_30default_config_static_selectorELNS0_4arch9wavefront6targetE0EEEvT1_,"axG",@progbits,_ZN7rocprim17ROCPRIM_400000_NS6detail17trampoline_kernelINS0_14default_configENS1_27scan_by_key_config_selectorIijEEZZNS1_16scan_by_key_implILNS1_25lookback_scan_determinismE0ELb0ES3_N6thrust23THRUST_200600_302600_NS6detail15normal_iteratorINS9_10device_ptrIiEEEENSB_INSC_IjEEEESG_jNS9_4plusIvEENS9_8equal_toIvEEjEE10hipError_tPvRmT2_T3_T4_T5_mT6_T7_P12ihipStream_tbENKUlT_T0_E_clISt17integral_constantIbLb0EES10_IbLb1EEEEDaSW_SX_EUlSW_E_NS1_11comp_targetILNS1_3genE4ELNS1_11target_archE910ELNS1_3gpuE8ELNS1_3repE0EEENS1_30default_config_static_selectorELNS0_4arch9wavefront6targetE0EEEvT1_,comdat
	.protected	_ZN7rocprim17ROCPRIM_400000_NS6detail17trampoline_kernelINS0_14default_configENS1_27scan_by_key_config_selectorIijEEZZNS1_16scan_by_key_implILNS1_25lookback_scan_determinismE0ELb0ES3_N6thrust23THRUST_200600_302600_NS6detail15normal_iteratorINS9_10device_ptrIiEEEENSB_INSC_IjEEEESG_jNS9_4plusIvEENS9_8equal_toIvEEjEE10hipError_tPvRmT2_T3_T4_T5_mT6_T7_P12ihipStream_tbENKUlT_T0_E_clISt17integral_constantIbLb0EES10_IbLb1EEEEDaSW_SX_EUlSW_E_NS1_11comp_targetILNS1_3genE4ELNS1_11target_archE910ELNS1_3gpuE8ELNS1_3repE0EEENS1_30default_config_static_selectorELNS0_4arch9wavefront6targetE0EEEvT1_ ; -- Begin function _ZN7rocprim17ROCPRIM_400000_NS6detail17trampoline_kernelINS0_14default_configENS1_27scan_by_key_config_selectorIijEEZZNS1_16scan_by_key_implILNS1_25lookback_scan_determinismE0ELb0ES3_N6thrust23THRUST_200600_302600_NS6detail15normal_iteratorINS9_10device_ptrIiEEEENSB_INSC_IjEEEESG_jNS9_4plusIvEENS9_8equal_toIvEEjEE10hipError_tPvRmT2_T3_T4_T5_mT6_T7_P12ihipStream_tbENKUlT_T0_E_clISt17integral_constantIbLb0EES10_IbLb1EEEEDaSW_SX_EUlSW_E_NS1_11comp_targetILNS1_3genE4ELNS1_11target_archE910ELNS1_3gpuE8ELNS1_3repE0EEENS1_30default_config_static_selectorELNS0_4arch9wavefront6targetE0EEEvT1_
	.globl	_ZN7rocprim17ROCPRIM_400000_NS6detail17trampoline_kernelINS0_14default_configENS1_27scan_by_key_config_selectorIijEEZZNS1_16scan_by_key_implILNS1_25lookback_scan_determinismE0ELb0ES3_N6thrust23THRUST_200600_302600_NS6detail15normal_iteratorINS9_10device_ptrIiEEEENSB_INSC_IjEEEESG_jNS9_4plusIvEENS9_8equal_toIvEEjEE10hipError_tPvRmT2_T3_T4_T5_mT6_T7_P12ihipStream_tbENKUlT_T0_E_clISt17integral_constantIbLb0EES10_IbLb1EEEEDaSW_SX_EUlSW_E_NS1_11comp_targetILNS1_3genE4ELNS1_11target_archE910ELNS1_3gpuE8ELNS1_3repE0EEENS1_30default_config_static_selectorELNS0_4arch9wavefront6targetE0EEEvT1_
	.p2align	8
	.type	_ZN7rocprim17ROCPRIM_400000_NS6detail17trampoline_kernelINS0_14default_configENS1_27scan_by_key_config_selectorIijEEZZNS1_16scan_by_key_implILNS1_25lookback_scan_determinismE0ELb0ES3_N6thrust23THRUST_200600_302600_NS6detail15normal_iteratorINS9_10device_ptrIiEEEENSB_INSC_IjEEEESG_jNS9_4plusIvEENS9_8equal_toIvEEjEE10hipError_tPvRmT2_T3_T4_T5_mT6_T7_P12ihipStream_tbENKUlT_T0_E_clISt17integral_constantIbLb0EES10_IbLb1EEEEDaSW_SX_EUlSW_E_NS1_11comp_targetILNS1_3genE4ELNS1_11target_archE910ELNS1_3gpuE8ELNS1_3repE0EEENS1_30default_config_static_selectorELNS0_4arch9wavefront6targetE0EEEvT1_,@function
_ZN7rocprim17ROCPRIM_400000_NS6detail17trampoline_kernelINS0_14default_configENS1_27scan_by_key_config_selectorIijEEZZNS1_16scan_by_key_implILNS1_25lookback_scan_determinismE0ELb0ES3_N6thrust23THRUST_200600_302600_NS6detail15normal_iteratorINS9_10device_ptrIiEEEENSB_INSC_IjEEEESG_jNS9_4plusIvEENS9_8equal_toIvEEjEE10hipError_tPvRmT2_T3_T4_T5_mT6_T7_P12ihipStream_tbENKUlT_T0_E_clISt17integral_constantIbLb0EES10_IbLb1EEEEDaSW_SX_EUlSW_E_NS1_11comp_targetILNS1_3genE4ELNS1_11target_archE910ELNS1_3gpuE8ELNS1_3repE0EEENS1_30default_config_static_selectorELNS0_4arch9wavefront6targetE0EEEvT1_: ; @_ZN7rocprim17ROCPRIM_400000_NS6detail17trampoline_kernelINS0_14default_configENS1_27scan_by_key_config_selectorIijEEZZNS1_16scan_by_key_implILNS1_25lookback_scan_determinismE0ELb0ES3_N6thrust23THRUST_200600_302600_NS6detail15normal_iteratorINS9_10device_ptrIiEEEENSB_INSC_IjEEEESG_jNS9_4plusIvEENS9_8equal_toIvEEjEE10hipError_tPvRmT2_T3_T4_T5_mT6_T7_P12ihipStream_tbENKUlT_T0_E_clISt17integral_constantIbLb0EES10_IbLb1EEEEDaSW_SX_EUlSW_E_NS1_11comp_targetILNS1_3genE4ELNS1_11target_archE910ELNS1_3gpuE8ELNS1_3repE0EEENS1_30default_config_static_selectorELNS0_4arch9wavefront6targetE0EEEvT1_
; %bb.0:
	.section	.rodata,"a",@progbits
	.p2align	6, 0x0
	.amdhsa_kernel _ZN7rocprim17ROCPRIM_400000_NS6detail17trampoline_kernelINS0_14default_configENS1_27scan_by_key_config_selectorIijEEZZNS1_16scan_by_key_implILNS1_25lookback_scan_determinismE0ELb0ES3_N6thrust23THRUST_200600_302600_NS6detail15normal_iteratorINS9_10device_ptrIiEEEENSB_INSC_IjEEEESG_jNS9_4plusIvEENS9_8equal_toIvEEjEE10hipError_tPvRmT2_T3_T4_T5_mT6_T7_P12ihipStream_tbENKUlT_T0_E_clISt17integral_constantIbLb0EES10_IbLb1EEEEDaSW_SX_EUlSW_E_NS1_11comp_targetILNS1_3genE4ELNS1_11target_archE910ELNS1_3gpuE8ELNS1_3repE0EEENS1_30default_config_static_selectorELNS0_4arch9wavefront6targetE0EEEvT1_
		.amdhsa_group_segment_fixed_size 0
		.amdhsa_private_segment_fixed_size 0
		.amdhsa_kernarg_size 112
		.amdhsa_user_sgpr_count 6
		.amdhsa_user_sgpr_private_segment_buffer 1
		.amdhsa_user_sgpr_dispatch_ptr 0
		.amdhsa_user_sgpr_queue_ptr 0
		.amdhsa_user_sgpr_kernarg_segment_ptr 1
		.amdhsa_user_sgpr_dispatch_id 0
		.amdhsa_user_sgpr_flat_scratch_init 0
		.amdhsa_user_sgpr_private_segment_size 0
		.amdhsa_wavefront_size32 1
		.amdhsa_uses_dynamic_stack 0
		.amdhsa_system_sgpr_private_segment_wavefront_offset 0
		.amdhsa_system_sgpr_workgroup_id_x 1
		.amdhsa_system_sgpr_workgroup_id_y 0
		.amdhsa_system_sgpr_workgroup_id_z 0
		.amdhsa_system_sgpr_workgroup_info 0
		.amdhsa_system_vgpr_workitem_id 0
		.amdhsa_next_free_vgpr 1
		.amdhsa_next_free_sgpr 1
		.amdhsa_reserve_vcc 0
		.amdhsa_reserve_flat_scratch 0
		.amdhsa_float_round_mode_32 0
		.amdhsa_float_round_mode_16_64 0
		.amdhsa_float_denorm_mode_32 3
		.amdhsa_float_denorm_mode_16_64 3
		.amdhsa_dx10_clamp 1
		.amdhsa_ieee_mode 1
		.amdhsa_fp16_overflow 0
		.amdhsa_workgroup_processor_mode 1
		.amdhsa_memory_ordered 1
		.amdhsa_forward_progress 1
		.amdhsa_shared_vgpr_count 0
		.amdhsa_exception_fp_ieee_invalid_op 0
		.amdhsa_exception_fp_denorm_src 0
		.amdhsa_exception_fp_ieee_div_zero 0
		.amdhsa_exception_fp_ieee_overflow 0
		.amdhsa_exception_fp_ieee_underflow 0
		.amdhsa_exception_fp_ieee_inexact 0
		.amdhsa_exception_int_div_zero 0
	.end_amdhsa_kernel
	.section	.text._ZN7rocprim17ROCPRIM_400000_NS6detail17trampoline_kernelINS0_14default_configENS1_27scan_by_key_config_selectorIijEEZZNS1_16scan_by_key_implILNS1_25lookback_scan_determinismE0ELb0ES3_N6thrust23THRUST_200600_302600_NS6detail15normal_iteratorINS9_10device_ptrIiEEEENSB_INSC_IjEEEESG_jNS9_4plusIvEENS9_8equal_toIvEEjEE10hipError_tPvRmT2_T3_T4_T5_mT6_T7_P12ihipStream_tbENKUlT_T0_E_clISt17integral_constantIbLb0EES10_IbLb1EEEEDaSW_SX_EUlSW_E_NS1_11comp_targetILNS1_3genE4ELNS1_11target_archE910ELNS1_3gpuE8ELNS1_3repE0EEENS1_30default_config_static_selectorELNS0_4arch9wavefront6targetE0EEEvT1_,"axG",@progbits,_ZN7rocprim17ROCPRIM_400000_NS6detail17trampoline_kernelINS0_14default_configENS1_27scan_by_key_config_selectorIijEEZZNS1_16scan_by_key_implILNS1_25lookback_scan_determinismE0ELb0ES3_N6thrust23THRUST_200600_302600_NS6detail15normal_iteratorINS9_10device_ptrIiEEEENSB_INSC_IjEEEESG_jNS9_4plusIvEENS9_8equal_toIvEEjEE10hipError_tPvRmT2_T3_T4_T5_mT6_T7_P12ihipStream_tbENKUlT_T0_E_clISt17integral_constantIbLb0EES10_IbLb1EEEEDaSW_SX_EUlSW_E_NS1_11comp_targetILNS1_3genE4ELNS1_11target_archE910ELNS1_3gpuE8ELNS1_3repE0EEENS1_30default_config_static_selectorELNS0_4arch9wavefront6targetE0EEEvT1_,comdat
.Lfunc_end1257:
	.size	_ZN7rocprim17ROCPRIM_400000_NS6detail17trampoline_kernelINS0_14default_configENS1_27scan_by_key_config_selectorIijEEZZNS1_16scan_by_key_implILNS1_25lookback_scan_determinismE0ELb0ES3_N6thrust23THRUST_200600_302600_NS6detail15normal_iteratorINS9_10device_ptrIiEEEENSB_INSC_IjEEEESG_jNS9_4plusIvEENS9_8equal_toIvEEjEE10hipError_tPvRmT2_T3_T4_T5_mT6_T7_P12ihipStream_tbENKUlT_T0_E_clISt17integral_constantIbLb0EES10_IbLb1EEEEDaSW_SX_EUlSW_E_NS1_11comp_targetILNS1_3genE4ELNS1_11target_archE910ELNS1_3gpuE8ELNS1_3repE0EEENS1_30default_config_static_selectorELNS0_4arch9wavefront6targetE0EEEvT1_, .Lfunc_end1257-_ZN7rocprim17ROCPRIM_400000_NS6detail17trampoline_kernelINS0_14default_configENS1_27scan_by_key_config_selectorIijEEZZNS1_16scan_by_key_implILNS1_25lookback_scan_determinismE0ELb0ES3_N6thrust23THRUST_200600_302600_NS6detail15normal_iteratorINS9_10device_ptrIiEEEENSB_INSC_IjEEEESG_jNS9_4plusIvEENS9_8equal_toIvEEjEE10hipError_tPvRmT2_T3_T4_T5_mT6_T7_P12ihipStream_tbENKUlT_T0_E_clISt17integral_constantIbLb0EES10_IbLb1EEEEDaSW_SX_EUlSW_E_NS1_11comp_targetILNS1_3genE4ELNS1_11target_archE910ELNS1_3gpuE8ELNS1_3repE0EEENS1_30default_config_static_selectorELNS0_4arch9wavefront6targetE0EEEvT1_
                                        ; -- End function
	.set _ZN7rocprim17ROCPRIM_400000_NS6detail17trampoline_kernelINS0_14default_configENS1_27scan_by_key_config_selectorIijEEZZNS1_16scan_by_key_implILNS1_25lookback_scan_determinismE0ELb0ES3_N6thrust23THRUST_200600_302600_NS6detail15normal_iteratorINS9_10device_ptrIiEEEENSB_INSC_IjEEEESG_jNS9_4plusIvEENS9_8equal_toIvEEjEE10hipError_tPvRmT2_T3_T4_T5_mT6_T7_P12ihipStream_tbENKUlT_T0_E_clISt17integral_constantIbLb0EES10_IbLb1EEEEDaSW_SX_EUlSW_E_NS1_11comp_targetILNS1_3genE4ELNS1_11target_archE910ELNS1_3gpuE8ELNS1_3repE0EEENS1_30default_config_static_selectorELNS0_4arch9wavefront6targetE0EEEvT1_.num_vgpr, 0
	.set _ZN7rocprim17ROCPRIM_400000_NS6detail17trampoline_kernelINS0_14default_configENS1_27scan_by_key_config_selectorIijEEZZNS1_16scan_by_key_implILNS1_25lookback_scan_determinismE0ELb0ES3_N6thrust23THRUST_200600_302600_NS6detail15normal_iteratorINS9_10device_ptrIiEEEENSB_INSC_IjEEEESG_jNS9_4plusIvEENS9_8equal_toIvEEjEE10hipError_tPvRmT2_T3_T4_T5_mT6_T7_P12ihipStream_tbENKUlT_T0_E_clISt17integral_constantIbLb0EES10_IbLb1EEEEDaSW_SX_EUlSW_E_NS1_11comp_targetILNS1_3genE4ELNS1_11target_archE910ELNS1_3gpuE8ELNS1_3repE0EEENS1_30default_config_static_selectorELNS0_4arch9wavefront6targetE0EEEvT1_.num_agpr, 0
	.set _ZN7rocprim17ROCPRIM_400000_NS6detail17trampoline_kernelINS0_14default_configENS1_27scan_by_key_config_selectorIijEEZZNS1_16scan_by_key_implILNS1_25lookback_scan_determinismE0ELb0ES3_N6thrust23THRUST_200600_302600_NS6detail15normal_iteratorINS9_10device_ptrIiEEEENSB_INSC_IjEEEESG_jNS9_4plusIvEENS9_8equal_toIvEEjEE10hipError_tPvRmT2_T3_T4_T5_mT6_T7_P12ihipStream_tbENKUlT_T0_E_clISt17integral_constantIbLb0EES10_IbLb1EEEEDaSW_SX_EUlSW_E_NS1_11comp_targetILNS1_3genE4ELNS1_11target_archE910ELNS1_3gpuE8ELNS1_3repE0EEENS1_30default_config_static_selectorELNS0_4arch9wavefront6targetE0EEEvT1_.numbered_sgpr, 0
	.set _ZN7rocprim17ROCPRIM_400000_NS6detail17trampoline_kernelINS0_14default_configENS1_27scan_by_key_config_selectorIijEEZZNS1_16scan_by_key_implILNS1_25lookback_scan_determinismE0ELb0ES3_N6thrust23THRUST_200600_302600_NS6detail15normal_iteratorINS9_10device_ptrIiEEEENSB_INSC_IjEEEESG_jNS9_4plusIvEENS9_8equal_toIvEEjEE10hipError_tPvRmT2_T3_T4_T5_mT6_T7_P12ihipStream_tbENKUlT_T0_E_clISt17integral_constantIbLb0EES10_IbLb1EEEEDaSW_SX_EUlSW_E_NS1_11comp_targetILNS1_3genE4ELNS1_11target_archE910ELNS1_3gpuE8ELNS1_3repE0EEENS1_30default_config_static_selectorELNS0_4arch9wavefront6targetE0EEEvT1_.num_named_barrier, 0
	.set _ZN7rocprim17ROCPRIM_400000_NS6detail17trampoline_kernelINS0_14default_configENS1_27scan_by_key_config_selectorIijEEZZNS1_16scan_by_key_implILNS1_25lookback_scan_determinismE0ELb0ES3_N6thrust23THRUST_200600_302600_NS6detail15normal_iteratorINS9_10device_ptrIiEEEENSB_INSC_IjEEEESG_jNS9_4plusIvEENS9_8equal_toIvEEjEE10hipError_tPvRmT2_T3_T4_T5_mT6_T7_P12ihipStream_tbENKUlT_T0_E_clISt17integral_constantIbLb0EES10_IbLb1EEEEDaSW_SX_EUlSW_E_NS1_11comp_targetILNS1_3genE4ELNS1_11target_archE910ELNS1_3gpuE8ELNS1_3repE0EEENS1_30default_config_static_selectorELNS0_4arch9wavefront6targetE0EEEvT1_.private_seg_size, 0
	.set _ZN7rocprim17ROCPRIM_400000_NS6detail17trampoline_kernelINS0_14default_configENS1_27scan_by_key_config_selectorIijEEZZNS1_16scan_by_key_implILNS1_25lookback_scan_determinismE0ELb0ES3_N6thrust23THRUST_200600_302600_NS6detail15normal_iteratorINS9_10device_ptrIiEEEENSB_INSC_IjEEEESG_jNS9_4plusIvEENS9_8equal_toIvEEjEE10hipError_tPvRmT2_T3_T4_T5_mT6_T7_P12ihipStream_tbENKUlT_T0_E_clISt17integral_constantIbLb0EES10_IbLb1EEEEDaSW_SX_EUlSW_E_NS1_11comp_targetILNS1_3genE4ELNS1_11target_archE910ELNS1_3gpuE8ELNS1_3repE0EEENS1_30default_config_static_selectorELNS0_4arch9wavefront6targetE0EEEvT1_.uses_vcc, 0
	.set _ZN7rocprim17ROCPRIM_400000_NS6detail17trampoline_kernelINS0_14default_configENS1_27scan_by_key_config_selectorIijEEZZNS1_16scan_by_key_implILNS1_25lookback_scan_determinismE0ELb0ES3_N6thrust23THRUST_200600_302600_NS6detail15normal_iteratorINS9_10device_ptrIiEEEENSB_INSC_IjEEEESG_jNS9_4plusIvEENS9_8equal_toIvEEjEE10hipError_tPvRmT2_T3_T4_T5_mT6_T7_P12ihipStream_tbENKUlT_T0_E_clISt17integral_constantIbLb0EES10_IbLb1EEEEDaSW_SX_EUlSW_E_NS1_11comp_targetILNS1_3genE4ELNS1_11target_archE910ELNS1_3gpuE8ELNS1_3repE0EEENS1_30default_config_static_selectorELNS0_4arch9wavefront6targetE0EEEvT1_.uses_flat_scratch, 0
	.set _ZN7rocprim17ROCPRIM_400000_NS6detail17trampoline_kernelINS0_14default_configENS1_27scan_by_key_config_selectorIijEEZZNS1_16scan_by_key_implILNS1_25lookback_scan_determinismE0ELb0ES3_N6thrust23THRUST_200600_302600_NS6detail15normal_iteratorINS9_10device_ptrIiEEEENSB_INSC_IjEEEESG_jNS9_4plusIvEENS9_8equal_toIvEEjEE10hipError_tPvRmT2_T3_T4_T5_mT6_T7_P12ihipStream_tbENKUlT_T0_E_clISt17integral_constantIbLb0EES10_IbLb1EEEEDaSW_SX_EUlSW_E_NS1_11comp_targetILNS1_3genE4ELNS1_11target_archE910ELNS1_3gpuE8ELNS1_3repE0EEENS1_30default_config_static_selectorELNS0_4arch9wavefront6targetE0EEEvT1_.has_dyn_sized_stack, 0
	.set _ZN7rocprim17ROCPRIM_400000_NS6detail17trampoline_kernelINS0_14default_configENS1_27scan_by_key_config_selectorIijEEZZNS1_16scan_by_key_implILNS1_25lookback_scan_determinismE0ELb0ES3_N6thrust23THRUST_200600_302600_NS6detail15normal_iteratorINS9_10device_ptrIiEEEENSB_INSC_IjEEEESG_jNS9_4plusIvEENS9_8equal_toIvEEjEE10hipError_tPvRmT2_T3_T4_T5_mT6_T7_P12ihipStream_tbENKUlT_T0_E_clISt17integral_constantIbLb0EES10_IbLb1EEEEDaSW_SX_EUlSW_E_NS1_11comp_targetILNS1_3genE4ELNS1_11target_archE910ELNS1_3gpuE8ELNS1_3repE0EEENS1_30default_config_static_selectorELNS0_4arch9wavefront6targetE0EEEvT1_.has_recursion, 0
	.set _ZN7rocprim17ROCPRIM_400000_NS6detail17trampoline_kernelINS0_14default_configENS1_27scan_by_key_config_selectorIijEEZZNS1_16scan_by_key_implILNS1_25lookback_scan_determinismE0ELb0ES3_N6thrust23THRUST_200600_302600_NS6detail15normal_iteratorINS9_10device_ptrIiEEEENSB_INSC_IjEEEESG_jNS9_4plusIvEENS9_8equal_toIvEEjEE10hipError_tPvRmT2_T3_T4_T5_mT6_T7_P12ihipStream_tbENKUlT_T0_E_clISt17integral_constantIbLb0EES10_IbLb1EEEEDaSW_SX_EUlSW_E_NS1_11comp_targetILNS1_3genE4ELNS1_11target_archE910ELNS1_3gpuE8ELNS1_3repE0EEENS1_30default_config_static_selectorELNS0_4arch9wavefront6targetE0EEEvT1_.has_indirect_call, 0
	.section	.AMDGPU.csdata,"",@progbits
; Kernel info:
; codeLenInByte = 0
; TotalNumSgprs: 0
; NumVgprs: 0
; ScratchSize: 0
; MemoryBound: 0
; FloatMode: 240
; IeeeMode: 1
; LDSByteSize: 0 bytes/workgroup (compile time only)
; SGPRBlocks: 0
; VGPRBlocks: 0
; NumSGPRsForWavesPerEU: 1
; NumVGPRsForWavesPerEU: 1
; Occupancy: 16
; WaveLimiterHint : 0
; COMPUTE_PGM_RSRC2:SCRATCH_EN: 0
; COMPUTE_PGM_RSRC2:USER_SGPR: 6
; COMPUTE_PGM_RSRC2:TRAP_HANDLER: 0
; COMPUTE_PGM_RSRC2:TGID_X_EN: 1
; COMPUTE_PGM_RSRC2:TGID_Y_EN: 0
; COMPUTE_PGM_RSRC2:TGID_Z_EN: 0
; COMPUTE_PGM_RSRC2:TIDIG_COMP_CNT: 0
	.section	.text._ZN7rocprim17ROCPRIM_400000_NS6detail17trampoline_kernelINS0_14default_configENS1_27scan_by_key_config_selectorIijEEZZNS1_16scan_by_key_implILNS1_25lookback_scan_determinismE0ELb0ES3_N6thrust23THRUST_200600_302600_NS6detail15normal_iteratorINS9_10device_ptrIiEEEENSB_INSC_IjEEEESG_jNS9_4plusIvEENS9_8equal_toIvEEjEE10hipError_tPvRmT2_T3_T4_T5_mT6_T7_P12ihipStream_tbENKUlT_T0_E_clISt17integral_constantIbLb0EES10_IbLb1EEEEDaSW_SX_EUlSW_E_NS1_11comp_targetILNS1_3genE3ELNS1_11target_archE908ELNS1_3gpuE7ELNS1_3repE0EEENS1_30default_config_static_selectorELNS0_4arch9wavefront6targetE0EEEvT1_,"axG",@progbits,_ZN7rocprim17ROCPRIM_400000_NS6detail17trampoline_kernelINS0_14default_configENS1_27scan_by_key_config_selectorIijEEZZNS1_16scan_by_key_implILNS1_25lookback_scan_determinismE0ELb0ES3_N6thrust23THRUST_200600_302600_NS6detail15normal_iteratorINS9_10device_ptrIiEEEENSB_INSC_IjEEEESG_jNS9_4plusIvEENS9_8equal_toIvEEjEE10hipError_tPvRmT2_T3_T4_T5_mT6_T7_P12ihipStream_tbENKUlT_T0_E_clISt17integral_constantIbLb0EES10_IbLb1EEEEDaSW_SX_EUlSW_E_NS1_11comp_targetILNS1_3genE3ELNS1_11target_archE908ELNS1_3gpuE7ELNS1_3repE0EEENS1_30default_config_static_selectorELNS0_4arch9wavefront6targetE0EEEvT1_,comdat
	.protected	_ZN7rocprim17ROCPRIM_400000_NS6detail17trampoline_kernelINS0_14default_configENS1_27scan_by_key_config_selectorIijEEZZNS1_16scan_by_key_implILNS1_25lookback_scan_determinismE0ELb0ES3_N6thrust23THRUST_200600_302600_NS6detail15normal_iteratorINS9_10device_ptrIiEEEENSB_INSC_IjEEEESG_jNS9_4plusIvEENS9_8equal_toIvEEjEE10hipError_tPvRmT2_T3_T4_T5_mT6_T7_P12ihipStream_tbENKUlT_T0_E_clISt17integral_constantIbLb0EES10_IbLb1EEEEDaSW_SX_EUlSW_E_NS1_11comp_targetILNS1_3genE3ELNS1_11target_archE908ELNS1_3gpuE7ELNS1_3repE0EEENS1_30default_config_static_selectorELNS0_4arch9wavefront6targetE0EEEvT1_ ; -- Begin function _ZN7rocprim17ROCPRIM_400000_NS6detail17trampoline_kernelINS0_14default_configENS1_27scan_by_key_config_selectorIijEEZZNS1_16scan_by_key_implILNS1_25lookback_scan_determinismE0ELb0ES3_N6thrust23THRUST_200600_302600_NS6detail15normal_iteratorINS9_10device_ptrIiEEEENSB_INSC_IjEEEESG_jNS9_4plusIvEENS9_8equal_toIvEEjEE10hipError_tPvRmT2_T3_T4_T5_mT6_T7_P12ihipStream_tbENKUlT_T0_E_clISt17integral_constantIbLb0EES10_IbLb1EEEEDaSW_SX_EUlSW_E_NS1_11comp_targetILNS1_3genE3ELNS1_11target_archE908ELNS1_3gpuE7ELNS1_3repE0EEENS1_30default_config_static_selectorELNS0_4arch9wavefront6targetE0EEEvT1_
	.globl	_ZN7rocprim17ROCPRIM_400000_NS6detail17trampoline_kernelINS0_14default_configENS1_27scan_by_key_config_selectorIijEEZZNS1_16scan_by_key_implILNS1_25lookback_scan_determinismE0ELb0ES3_N6thrust23THRUST_200600_302600_NS6detail15normal_iteratorINS9_10device_ptrIiEEEENSB_INSC_IjEEEESG_jNS9_4plusIvEENS9_8equal_toIvEEjEE10hipError_tPvRmT2_T3_T4_T5_mT6_T7_P12ihipStream_tbENKUlT_T0_E_clISt17integral_constantIbLb0EES10_IbLb1EEEEDaSW_SX_EUlSW_E_NS1_11comp_targetILNS1_3genE3ELNS1_11target_archE908ELNS1_3gpuE7ELNS1_3repE0EEENS1_30default_config_static_selectorELNS0_4arch9wavefront6targetE0EEEvT1_
	.p2align	8
	.type	_ZN7rocprim17ROCPRIM_400000_NS6detail17trampoline_kernelINS0_14default_configENS1_27scan_by_key_config_selectorIijEEZZNS1_16scan_by_key_implILNS1_25lookback_scan_determinismE0ELb0ES3_N6thrust23THRUST_200600_302600_NS6detail15normal_iteratorINS9_10device_ptrIiEEEENSB_INSC_IjEEEESG_jNS9_4plusIvEENS9_8equal_toIvEEjEE10hipError_tPvRmT2_T3_T4_T5_mT6_T7_P12ihipStream_tbENKUlT_T0_E_clISt17integral_constantIbLb0EES10_IbLb1EEEEDaSW_SX_EUlSW_E_NS1_11comp_targetILNS1_3genE3ELNS1_11target_archE908ELNS1_3gpuE7ELNS1_3repE0EEENS1_30default_config_static_selectorELNS0_4arch9wavefront6targetE0EEEvT1_,@function
_ZN7rocprim17ROCPRIM_400000_NS6detail17trampoline_kernelINS0_14default_configENS1_27scan_by_key_config_selectorIijEEZZNS1_16scan_by_key_implILNS1_25lookback_scan_determinismE0ELb0ES3_N6thrust23THRUST_200600_302600_NS6detail15normal_iteratorINS9_10device_ptrIiEEEENSB_INSC_IjEEEESG_jNS9_4plusIvEENS9_8equal_toIvEEjEE10hipError_tPvRmT2_T3_T4_T5_mT6_T7_P12ihipStream_tbENKUlT_T0_E_clISt17integral_constantIbLb0EES10_IbLb1EEEEDaSW_SX_EUlSW_E_NS1_11comp_targetILNS1_3genE3ELNS1_11target_archE908ELNS1_3gpuE7ELNS1_3repE0EEENS1_30default_config_static_selectorELNS0_4arch9wavefront6targetE0EEEvT1_: ; @_ZN7rocprim17ROCPRIM_400000_NS6detail17trampoline_kernelINS0_14default_configENS1_27scan_by_key_config_selectorIijEEZZNS1_16scan_by_key_implILNS1_25lookback_scan_determinismE0ELb0ES3_N6thrust23THRUST_200600_302600_NS6detail15normal_iteratorINS9_10device_ptrIiEEEENSB_INSC_IjEEEESG_jNS9_4plusIvEENS9_8equal_toIvEEjEE10hipError_tPvRmT2_T3_T4_T5_mT6_T7_P12ihipStream_tbENKUlT_T0_E_clISt17integral_constantIbLb0EES10_IbLb1EEEEDaSW_SX_EUlSW_E_NS1_11comp_targetILNS1_3genE3ELNS1_11target_archE908ELNS1_3gpuE7ELNS1_3repE0EEENS1_30default_config_static_selectorELNS0_4arch9wavefront6targetE0EEEvT1_
; %bb.0:
	.section	.rodata,"a",@progbits
	.p2align	6, 0x0
	.amdhsa_kernel _ZN7rocprim17ROCPRIM_400000_NS6detail17trampoline_kernelINS0_14default_configENS1_27scan_by_key_config_selectorIijEEZZNS1_16scan_by_key_implILNS1_25lookback_scan_determinismE0ELb0ES3_N6thrust23THRUST_200600_302600_NS6detail15normal_iteratorINS9_10device_ptrIiEEEENSB_INSC_IjEEEESG_jNS9_4plusIvEENS9_8equal_toIvEEjEE10hipError_tPvRmT2_T3_T4_T5_mT6_T7_P12ihipStream_tbENKUlT_T0_E_clISt17integral_constantIbLb0EES10_IbLb1EEEEDaSW_SX_EUlSW_E_NS1_11comp_targetILNS1_3genE3ELNS1_11target_archE908ELNS1_3gpuE7ELNS1_3repE0EEENS1_30default_config_static_selectorELNS0_4arch9wavefront6targetE0EEEvT1_
		.amdhsa_group_segment_fixed_size 0
		.amdhsa_private_segment_fixed_size 0
		.amdhsa_kernarg_size 112
		.amdhsa_user_sgpr_count 6
		.amdhsa_user_sgpr_private_segment_buffer 1
		.amdhsa_user_sgpr_dispatch_ptr 0
		.amdhsa_user_sgpr_queue_ptr 0
		.amdhsa_user_sgpr_kernarg_segment_ptr 1
		.amdhsa_user_sgpr_dispatch_id 0
		.amdhsa_user_sgpr_flat_scratch_init 0
		.amdhsa_user_sgpr_private_segment_size 0
		.amdhsa_wavefront_size32 1
		.amdhsa_uses_dynamic_stack 0
		.amdhsa_system_sgpr_private_segment_wavefront_offset 0
		.amdhsa_system_sgpr_workgroup_id_x 1
		.amdhsa_system_sgpr_workgroup_id_y 0
		.amdhsa_system_sgpr_workgroup_id_z 0
		.amdhsa_system_sgpr_workgroup_info 0
		.amdhsa_system_vgpr_workitem_id 0
		.amdhsa_next_free_vgpr 1
		.amdhsa_next_free_sgpr 1
		.amdhsa_reserve_vcc 0
		.amdhsa_reserve_flat_scratch 0
		.amdhsa_float_round_mode_32 0
		.amdhsa_float_round_mode_16_64 0
		.amdhsa_float_denorm_mode_32 3
		.amdhsa_float_denorm_mode_16_64 3
		.amdhsa_dx10_clamp 1
		.amdhsa_ieee_mode 1
		.amdhsa_fp16_overflow 0
		.amdhsa_workgroup_processor_mode 1
		.amdhsa_memory_ordered 1
		.amdhsa_forward_progress 1
		.amdhsa_shared_vgpr_count 0
		.amdhsa_exception_fp_ieee_invalid_op 0
		.amdhsa_exception_fp_denorm_src 0
		.amdhsa_exception_fp_ieee_div_zero 0
		.amdhsa_exception_fp_ieee_overflow 0
		.amdhsa_exception_fp_ieee_underflow 0
		.amdhsa_exception_fp_ieee_inexact 0
		.amdhsa_exception_int_div_zero 0
	.end_amdhsa_kernel
	.section	.text._ZN7rocprim17ROCPRIM_400000_NS6detail17trampoline_kernelINS0_14default_configENS1_27scan_by_key_config_selectorIijEEZZNS1_16scan_by_key_implILNS1_25lookback_scan_determinismE0ELb0ES3_N6thrust23THRUST_200600_302600_NS6detail15normal_iteratorINS9_10device_ptrIiEEEENSB_INSC_IjEEEESG_jNS9_4plusIvEENS9_8equal_toIvEEjEE10hipError_tPvRmT2_T3_T4_T5_mT6_T7_P12ihipStream_tbENKUlT_T0_E_clISt17integral_constantIbLb0EES10_IbLb1EEEEDaSW_SX_EUlSW_E_NS1_11comp_targetILNS1_3genE3ELNS1_11target_archE908ELNS1_3gpuE7ELNS1_3repE0EEENS1_30default_config_static_selectorELNS0_4arch9wavefront6targetE0EEEvT1_,"axG",@progbits,_ZN7rocprim17ROCPRIM_400000_NS6detail17trampoline_kernelINS0_14default_configENS1_27scan_by_key_config_selectorIijEEZZNS1_16scan_by_key_implILNS1_25lookback_scan_determinismE0ELb0ES3_N6thrust23THRUST_200600_302600_NS6detail15normal_iteratorINS9_10device_ptrIiEEEENSB_INSC_IjEEEESG_jNS9_4plusIvEENS9_8equal_toIvEEjEE10hipError_tPvRmT2_T3_T4_T5_mT6_T7_P12ihipStream_tbENKUlT_T0_E_clISt17integral_constantIbLb0EES10_IbLb1EEEEDaSW_SX_EUlSW_E_NS1_11comp_targetILNS1_3genE3ELNS1_11target_archE908ELNS1_3gpuE7ELNS1_3repE0EEENS1_30default_config_static_selectorELNS0_4arch9wavefront6targetE0EEEvT1_,comdat
.Lfunc_end1258:
	.size	_ZN7rocprim17ROCPRIM_400000_NS6detail17trampoline_kernelINS0_14default_configENS1_27scan_by_key_config_selectorIijEEZZNS1_16scan_by_key_implILNS1_25lookback_scan_determinismE0ELb0ES3_N6thrust23THRUST_200600_302600_NS6detail15normal_iteratorINS9_10device_ptrIiEEEENSB_INSC_IjEEEESG_jNS9_4plusIvEENS9_8equal_toIvEEjEE10hipError_tPvRmT2_T3_T4_T5_mT6_T7_P12ihipStream_tbENKUlT_T0_E_clISt17integral_constantIbLb0EES10_IbLb1EEEEDaSW_SX_EUlSW_E_NS1_11comp_targetILNS1_3genE3ELNS1_11target_archE908ELNS1_3gpuE7ELNS1_3repE0EEENS1_30default_config_static_selectorELNS0_4arch9wavefront6targetE0EEEvT1_, .Lfunc_end1258-_ZN7rocprim17ROCPRIM_400000_NS6detail17trampoline_kernelINS0_14default_configENS1_27scan_by_key_config_selectorIijEEZZNS1_16scan_by_key_implILNS1_25lookback_scan_determinismE0ELb0ES3_N6thrust23THRUST_200600_302600_NS6detail15normal_iteratorINS9_10device_ptrIiEEEENSB_INSC_IjEEEESG_jNS9_4plusIvEENS9_8equal_toIvEEjEE10hipError_tPvRmT2_T3_T4_T5_mT6_T7_P12ihipStream_tbENKUlT_T0_E_clISt17integral_constantIbLb0EES10_IbLb1EEEEDaSW_SX_EUlSW_E_NS1_11comp_targetILNS1_3genE3ELNS1_11target_archE908ELNS1_3gpuE7ELNS1_3repE0EEENS1_30default_config_static_selectorELNS0_4arch9wavefront6targetE0EEEvT1_
                                        ; -- End function
	.set _ZN7rocprim17ROCPRIM_400000_NS6detail17trampoline_kernelINS0_14default_configENS1_27scan_by_key_config_selectorIijEEZZNS1_16scan_by_key_implILNS1_25lookback_scan_determinismE0ELb0ES3_N6thrust23THRUST_200600_302600_NS6detail15normal_iteratorINS9_10device_ptrIiEEEENSB_INSC_IjEEEESG_jNS9_4plusIvEENS9_8equal_toIvEEjEE10hipError_tPvRmT2_T3_T4_T5_mT6_T7_P12ihipStream_tbENKUlT_T0_E_clISt17integral_constantIbLb0EES10_IbLb1EEEEDaSW_SX_EUlSW_E_NS1_11comp_targetILNS1_3genE3ELNS1_11target_archE908ELNS1_3gpuE7ELNS1_3repE0EEENS1_30default_config_static_selectorELNS0_4arch9wavefront6targetE0EEEvT1_.num_vgpr, 0
	.set _ZN7rocprim17ROCPRIM_400000_NS6detail17trampoline_kernelINS0_14default_configENS1_27scan_by_key_config_selectorIijEEZZNS1_16scan_by_key_implILNS1_25lookback_scan_determinismE0ELb0ES3_N6thrust23THRUST_200600_302600_NS6detail15normal_iteratorINS9_10device_ptrIiEEEENSB_INSC_IjEEEESG_jNS9_4plusIvEENS9_8equal_toIvEEjEE10hipError_tPvRmT2_T3_T4_T5_mT6_T7_P12ihipStream_tbENKUlT_T0_E_clISt17integral_constantIbLb0EES10_IbLb1EEEEDaSW_SX_EUlSW_E_NS1_11comp_targetILNS1_3genE3ELNS1_11target_archE908ELNS1_3gpuE7ELNS1_3repE0EEENS1_30default_config_static_selectorELNS0_4arch9wavefront6targetE0EEEvT1_.num_agpr, 0
	.set _ZN7rocprim17ROCPRIM_400000_NS6detail17trampoline_kernelINS0_14default_configENS1_27scan_by_key_config_selectorIijEEZZNS1_16scan_by_key_implILNS1_25lookback_scan_determinismE0ELb0ES3_N6thrust23THRUST_200600_302600_NS6detail15normal_iteratorINS9_10device_ptrIiEEEENSB_INSC_IjEEEESG_jNS9_4plusIvEENS9_8equal_toIvEEjEE10hipError_tPvRmT2_T3_T4_T5_mT6_T7_P12ihipStream_tbENKUlT_T0_E_clISt17integral_constantIbLb0EES10_IbLb1EEEEDaSW_SX_EUlSW_E_NS1_11comp_targetILNS1_3genE3ELNS1_11target_archE908ELNS1_3gpuE7ELNS1_3repE0EEENS1_30default_config_static_selectorELNS0_4arch9wavefront6targetE0EEEvT1_.numbered_sgpr, 0
	.set _ZN7rocprim17ROCPRIM_400000_NS6detail17trampoline_kernelINS0_14default_configENS1_27scan_by_key_config_selectorIijEEZZNS1_16scan_by_key_implILNS1_25lookback_scan_determinismE0ELb0ES3_N6thrust23THRUST_200600_302600_NS6detail15normal_iteratorINS9_10device_ptrIiEEEENSB_INSC_IjEEEESG_jNS9_4plusIvEENS9_8equal_toIvEEjEE10hipError_tPvRmT2_T3_T4_T5_mT6_T7_P12ihipStream_tbENKUlT_T0_E_clISt17integral_constantIbLb0EES10_IbLb1EEEEDaSW_SX_EUlSW_E_NS1_11comp_targetILNS1_3genE3ELNS1_11target_archE908ELNS1_3gpuE7ELNS1_3repE0EEENS1_30default_config_static_selectorELNS0_4arch9wavefront6targetE0EEEvT1_.num_named_barrier, 0
	.set _ZN7rocprim17ROCPRIM_400000_NS6detail17trampoline_kernelINS0_14default_configENS1_27scan_by_key_config_selectorIijEEZZNS1_16scan_by_key_implILNS1_25lookback_scan_determinismE0ELb0ES3_N6thrust23THRUST_200600_302600_NS6detail15normal_iteratorINS9_10device_ptrIiEEEENSB_INSC_IjEEEESG_jNS9_4plusIvEENS9_8equal_toIvEEjEE10hipError_tPvRmT2_T3_T4_T5_mT6_T7_P12ihipStream_tbENKUlT_T0_E_clISt17integral_constantIbLb0EES10_IbLb1EEEEDaSW_SX_EUlSW_E_NS1_11comp_targetILNS1_3genE3ELNS1_11target_archE908ELNS1_3gpuE7ELNS1_3repE0EEENS1_30default_config_static_selectorELNS0_4arch9wavefront6targetE0EEEvT1_.private_seg_size, 0
	.set _ZN7rocprim17ROCPRIM_400000_NS6detail17trampoline_kernelINS0_14default_configENS1_27scan_by_key_config_selectorIijEEZZNS1_16scan_by_key_implILNS1_25lookback_scan_determinismE0ELb0ES3_N6thrust23THRUST_200600_302600_NS6detail15normal_iteratorINS9_10device_ptrIiEEEENSB_INSC_IjEEEESG_jNS9_4plusIvEENS9_8equal_toIvEEjEE10hipError_tPvRmT2_T3_T4_T5_mT6_T7_P12ihipStream_tbENKUlT_T0_E_clISt17integral_constantIbLb0EES10_IbLb1EEEEDaSW_SX_EUlSW_E_NS1_11comp_targetILNS1_3genE3ELNS1_11target_archE908ELNS1_3gpuE7ELNS1_3repE0EEENS1_30default_config_static_selectorELNS0_4arch9wavefront6targetE0EEEvT1_.uses_vcc, 0
	.set _ZN7rocprim17ROCPRIM_400000_NS6detail17trampoline_kernelINS0_14default_configENS1_27scan_by_key_config_selectorIijEEZZNS1_16scan_by_key_implILNS1_25lookback_scan_determinismE0ELb0ES3_N6thrust23THRUST_200600_302600_NS6detail15normal_iteratorINS9_10device_ptrIiEEEENSB_INSC_IjEEEESG_jNS9_4plusIvEENS9_8equal_toIvEEjEE10hipError_tPvRmT2_T3_T4_T5_mT6_T7_P12ihipStream_tbENKUlT_T0_E_clISt17integral_constantIbLb0EES10_IbLb1EEEEDaSW_SX_EUlSW_E_NS1_11comp_targetILNS1_3genE3ELNS1_11target_archE908ELNS1_3gpuE7ELNS1_3repE0EEENS1_30default_config_static_selectorELNS0_4arch9wavefront6targetE0EEEvT1_.uses_flat_scratch, 0
	.set _ZN7rocprim17ROCPRIM_400000_NS6detail17trampoline_kernelINS0_14default_configENS1_27scan_by_key_config_selectorIijEEZZNS1_16scan_by_key_implILNS1_25lookback_scan_determinismE0ELb0ES3_N6thrust23THRUST_200600_302600_NS6detail15normal_iteratorINS9_10device_ptrIiEEEENSB_INSC_IjEEEESG_jNS9_4plusIvEENS9_8equal_toIvEEjEE10hipError_tPvRmT2_T3_T4_T5_mT6_T7_P12ihipStream_tbENKUlT_T0_E_clISt17integral_constantIbLb0EES10_IbLb1EEEEDaSW_SX_EUlSW_E_NS1_11comp_targetILNS1_3genE3ELNS1_11target_archE908ELNS1_3gpuE7ELNS1_3repE0EEENS1_30default_config_static_selectorELNS0_4arch9wavefront6targetE0EEEvT1_.has_dyn_sized_stack, 0
	.set _ZN7rocprim17ROCPRIM_400000_NS6detail17trampoline_kernelINS0_14default_configENS1_27scan_by_key_config_selectorIijEEZZNS1_16scan_by_key_implILNS1_25lookback_scan_determinismE0ELb0ES3_N6thrust23THRUST_200600_302600_NS6detail15normal_iteratorINS9_10device_ptrIiEEEENSB_INSC_IjEEEESG_jNS9_4plusIvEENS9_8equal_toIvEEjEE10hipError_tPvRmT2_T3_T4_T5_mT6_T7_P12ihipStream_tbENKUlT_T0_E_clISt17integral_constantIbLb0EES10_IbLb1EEEEDaSW_SX_EUlSW_E_NS1_11comp_targetILNS1_3genE3ELNS1_11target_archE908ELNS1_3gpuE7ELNS1_3repE0EEENS1_30default_config_static_selectorELNS0_4arch9wavefront6targetE0EEEvT1_.has_recursion, 0
	.set _ZN7rocprim17ROCPRIM_400000_NS6detail17trampoline_kernelINS0_14default_configENS1_27scan_by_key_config_selectorIijEEZZNS1_16scan_by_key_implILNS1_25lookback_scan_determinismE0ELb0ES3_N6thrust23THRUST_200600_302600_NS6detail15normal_iteratorINS9_10device_ptrIiEEEENSB_INSC_IjEEEESG_jNS9_4plusIvEENS9_8equal_toIvEEjEE10hipError_tPvRmT2_T3_T4_T5_mT6_T7_P12ihipStream_tbENKUlT_T0_E_clISt17integral_constantIbLb0EES10_IbLb1EEEEDaSW_SX_EUlSW_E_NS1_11comp_targetILNS1_3genE3ELNS1_11target_archE908ELNS1_3gpuE7ELNS1_3repE0EEENS1_30default_config_static_selectorELNS0_4arch9wavefront6targetE0EEEvT1_.has_indirect_call, 0
	.section	.AMDGPU.csdata,"",@progbits
; Kernel info:
; codeLenInByte = 0
; TotalNumSgprs: 0
; NumVgprs: 0
; ScratchSize: 0
; MemoryBound: 0
; FloatMode: 240
; IeeeMode: 1
; LDSByteSize: 0 bytes/workgroup (compile time only)
; SGPRBlocks: 0
; VGPRBlocks: 0
; NumSGPRsForWavesPerEU: 1
; NumVGPRsForWavesPerEU: 1
; Occupancy: 16
; WaveLimiterHint : 0
; COMPUTE_PGM_RSRC2:SCRATCH_EN: 0
; COMPUTE_PGM_RSRC2:USER_SGPR: 6
; COMPUTE_PGM_RSRC2:TRAP_HANDLER: 0
; COMPUTE_PGM_RSRC2:TGID_X_EN: 1
; COMPUTE_PGM_RSRC2:TGID_Y_EN: 0
; COMPUTE_PGM_RSRC2:TGID_Z_EN: 0
; COMPUTE_PGM_RSRC2:TIDIG_COMP_CNT: 0
	.section	.text._ZN7rocprim17ROCPRIM_400000_NS6detail17trampoline_kernelINS0_14default_configENS1_27scan_by_key_config_selectorIijEEZZNS1_16scan_by_key_implILNS1_25lookback_scan_determinismE0ELb0ES3_N6thrust23THRUST_200600_302600_NS6detail15normal_iteratorINS9_10device_ptrIiEEEENSB_INSC_IjEEEESG_jNS9_4plusIvEENS9_8equal_toIvEEjEE10hipError_tPvRmT2_T3_T4_T5_mT6_T7_P12ihipStream_tbENKUlT_T0_E_clISt17integral_constantIbLb0EES10_IbLb1EEEEDaSW_SX_EUlSW_E_NS1_11comp_targetILNS1_3genE2ELNS1_11target_archE906ELNS1_3gpuE6ELNS1_3repE0EEENS1_30default_config_static_selectorELNS0_4arch9wavefront6targetE0EEEvT1_,"axG",@progbits,_ZN7rocprim17ROCPRIM_400000_NS6detail17trampoline_kernelINS0_14default_configENS1_27scan_by_key_config_selectorIijEEZZNS1_16scan_by_key_implILNS1_25lookback_scan_determinismE0ELb0ES3_N6thrust23THRUST_200600_302600_NS6detail15normal_iteratorINS9_10device_ptrIiEEEENSB_INSC_IjEEEESG_jNS9_4plusIvEENS9_8equal_toIvEEjEE10hipError_tPvRmT2_T3_T4_T5_mT6_T7_P12ihipStream_tbENKUlT_T0_E_clISt17integral_constantIbLb0EES10_IbLb1EEEEDaSW_SX_EUlSW_E_NS1_11comp_targetILNS1_3genE2ELNS1_11target_archE906ELNS1_3gpuE6ELNS1_3repE0EEENS1_30default_config_static_selectorELNS0_4arch9wavefront6targetE0EEEvT1_,comdat
	.protected	_ZN7rocprim17ROCPRIM_400000_NS6detail17trampoline_kernelINS0_14default_configENS1_27scan_by_key_config_selectorIijEEZZNS1_16scan_by_key_implILNS1_25lookback_scan_determinismE0ELb0ES3_N6thrust23THRUST_200600_302600_NS6detail15normal_iteratorINS9_10device_ptrIiEEEENSB_INSC_IjEEEESG_jNS9_4plusIvEENS9_8equal_toIvEEjEE10hipError_tPvRmT2_T3_T4_T5_mT6_T7_P12ihipStream_tbENKUlT_T0_E_clISt17integral_constantIbLb0EES10_IbLb1EEEEDaSW_SX_EUlSW_E_NS1_11comp_targetILNS1_3genE2ELNS1_11target_archE906ELNS1_3gpuE6ELNS1_3repE0EEENS1_30default_config_static_selectorELNS0_4arch9wavefront6targetE0EEEvT1_ ; -- Begin function _ZN7rocprim17ROCPRIM_400000_NS6detail17trampoline_kernelINS0_14default_configENS1_27scan_by_key_config_selectorIijEEZZNS1_16scan_by_key_implILNS1_25lookback_scan_determinismE0ELb0ES3_N6thrust23THRUST_200600_302600_NS6detail15normal_iteratorINS9_10device_ptrIiEEEENSB_INSC_IjEEEESG_jNS9_4plusIvEENS9_8equal_toIvEEjEE10hipError_tPvRmT2_T3_T4_T5_mT6_T7_P12ihipStream_tbENKUlT_T0_E_clISt17integral_constantIbLb0EES10_IbLb1EEEEDaSW_SX_EUlSW_E_NS1_11comp_targetILNS1_3genE2ELNS1_11target_archE906ELNS1_3gpuE6ELNS1_3repE0EEENS1_30default_config_static_selectorELNS0_4arch9wavefront6targetE0EEEvT1_
	.globl	_ZN7rocprim17ROCPRIM_400000_NS6detail17trampoline_kernelINS0_14default_configENS1_27scan_by_key_config_selectorIijEEZZNS1_16scan_by_key_implILNS1_25lookback_scan_determinismE0ELb0ES3_N6thrust23THRUST_200600_302600_NS6detail15normal_iteratorINS9_10device_ptrIiEEEENSB_INSC_IjEEEESG_jNS9_4plusIvEENS9_8equal_toIvEEjEE10hipError_tPvRmT2_T3_T4_T5_mT6_T7_P12ihipStream_tbENKUlT_T0_E_clISt17integral_constantIbLb0EES10_IbLb1EEEEDaSW_SX_EUlSW_E_NS1_11comp_targetILNS1_3genE2ELNS1_11target_archE906ELNS1_3gpuE6ELNS1_3repE0EEENS1_30default_config_static_selectorELNS0_4arch9wavefront6targetE0EEEvT1_
	.p2align	8
	.type	_ZN7rocprim17ROCPRIM_400000_NS6detail17trampoline_kernelINS0_14default_configENS1_27scan_by_key_config_selectorIijEEZZNS1_16scan_by_key_implILNS1_25lookback_scan_determinismE0ELb0ES3_N6thrust23THRUST_200600_302600_NS6detail15normal_iteratorINS9_10device_ptrIiEEEENSB_INSC_IjEEEESG_jNS9_4plusIvEENS9_8equal_toIvEEjEE10hipError_tPvRmT2_T3_T4_T5_mT6_T7_P12ihipStream_tbENKUlT_T0_E_clISt17integral_constantIbLb0EES10_IbLb1EEEEDaSW_SX_EUlSW_E_NS1_11comp_targetILNS1_3genE2ELNS1_11target_archE906ELNS1_3gpuE6ELNS1_3repE0EEENS1_30default_config_static_selectorELNS0_4arch9wavefront6targetE0EEEvT1_,@function
_ZN7rocprim17ROCPRIM_400000_NS6detail17trampoline_kernelINS0_14default_configENS1_27scan_by_key_config_selectorIijEEZZNS1_16scan_by_key_implILNS1_25lookback_scan_determinismE0ELb0ES3_N6thrust23THRUST_200600_302600_NS6detail15normal_iteratorINS9_10device_ptrIiEEEENSB_INSC_IjEEEESG_jNS9_4plusIvEENS9_8equal_toIvEEjEE10hipError_tPvRmT2_T3_T4_T5_mT6_T7_P12ihipStream_tbENKUlT_T0_E_clISt17integral_constantIbLb0EES10_IbLb1EEEEDaSW_SX_EUlSW_E_NS1_11comp_targetILNS1_3genE2ELNS1_11target_archE906ELNS1_3gpuE6ELNS1_3repE0EEENS1_30default_config_static_selectorELNS0_4arch9wavefront6targetE0EEEvT1_: ; @_ZN7rocprim17ROCPRIM_400000_NS6detail17trampoline_kernelINS0_14default_configENS1_27scan_by_key_config_selectorIijEEZZNS1_16scan_by_key_implILNS1_25lookback_scan_determinismE0ELb0ES3_N6thrust23THRUST_200600_302600_NS6detail15normal_iteratorINS9_10device_ptrIiEEEENSB_INSC_IjEEEESG_jNS9_4plusIvEENS9_8equal_toIvEEjEE10hipError_tPvRmT2_T3_T4_T5_mT6_T7_P12ihipStream_tbENKUlT_T0_E_clISt17integral_constantIbLb0EES10_IbLb1EEEEDaSW_SX_EUlSW_E_NS1_11comp_targetILNS1_3genE2ELNS1_11target_archE906ELNS1_3gpuE6ELNS1_3repE0EEENS1_30default_config_static_selectorELNS0_4arch9wavefront6targetE0EEEvT1_
; %bb.0:
	.section	.rodata,"a",@progbits
	.p2align	6, 0x0
	.amdhsa_kernel _ZN7rocprim17ROCPRIM_400000_NS6detail17trampoline_kernelINS0_14default_configENS1_27scan_by_key_config_selectorIijEEZZNS1_16scan_by_key_implILNS1_25lookback_scan_determinismE0ELb0ES3_N6thrust23THRUST_200600_302600_NS6detail15normal_iteratorINS9_10device_ptrIiEEEENSB_INSC_IjEEEESG_jNS9_4plusIvEENS9_8equal_toIvEEjEE10hipError_tPvRmT2_T3_T4_T5_mT6_T7_P12ihipStream_tbENKUlT_T0_E_clISt17integral_constantIbLb0EES10_IbLb1EEEEDaSW_SX_EUlSW_E_NS1_11comp_targetILNS1_3genE2ELNS1_11target_archE906ELNS1_3gpuE6ELNS1_3repE0EEENS1_30default_config_static_selectorELNS0_4arch9wavefront6targetE0EEEvT1_
		.amdhsa_group_segment_fixed_size 0
		.amdhsa_private_segment_fixed_size 0
		.amdhsa_kernarg_size 112
		.amdhsa_user_sgpr_count 6
		.amdhsa_user_sgpr_private_segment_buffer 1
		.amdhsa_user_sgpr_dispatch_ptr 0
		.amdhsa_user_sgpr_queue_ptr 0
		.amdhsa_user_sgpr_kernarg_segment_ptr 1
		.amdhsa_user_sgpr_dispatch_id 0
		.amdhsa_user_sgpr_flat_scratch_init 0
		.amdhsa_user_sgpr_private_segment_size 0
		.amdhsa_wavefront_size32 1
		.amdhsa_uses_dynamic_stack 0
		.amdhsa_system_sgpr_private_segment_wavefront_offset 0
		.amdhsa_system_sgpr_workgroup_id_x 1
		.amdhsa_system_sgpr_workgroup_id_y 0
		.amdhsa_system_sgpr_workgroup_id_z 0
		.amdhsa_system_sgpr_workgroup_info 0
		.amdhsa_system_vgpr_workitem_id 0
		.amdhsa_next_free_vgpr 1
		.amdhsa_next_free_sgpr 1
		.amdhsa_reserve_vcc 0
		.amdhsa_reserve_flat_scratch 0
		.amdhsa_float_round_mode_32 0
		.amdhsa_float_round_mode_16_64 0
		.amdhsa_float_denorm_mode_32 3
		.amdhsa_float_denorm_mode_16_64 3
		.amdhsa_dx10_clamp 1
		.amdhsa_ieee_mode 1
		.amdhsa_fp16_overflow 0
		.amdhsa_workgroup_processor_mode 1
		.amdhsa_memory_ordered 1
		.amdhsa_forward_progress 1
		.amdhsa_shared_vgpr_count 0
		.amdhsa_exception_fp_ieee_invalid_op 0
		.amdhsa_exception_fp_denorm_src 0
		.amdhsa_exception_fp_ieee_div_zero 0
		.amdhsa_exception_fp_ieee_overflow 0
		.amdhsa_exception_fp_ieee_underflow 0
		.amdhsa_exception_fp_ieee_inexact 0
		.amdhsa_exception_int_div_zero 0
	.end_amdhsa_kernel
	.section	.text._ZN7rocprim17ROCPRIM_400000_NS6detail17trampoline_kernelINS0_14default_configENS1_27scan_by_key_config_selectorIijEEZZNS1_16scan_by_key_implILNS1_25lookback_scan_determinismE0ELb0ES3_N6thrust23THRUST_200600_302600_NS6detail15normal_iteratorINS9_10device_ptrIiEEEENSB_INSC_IjEEEESG_jNS9_4plusIvEENS9_8equal_toIvEEjEE10hipError_tPvRmT2_T3_T4_T5_mT6_T7_P12ihipStream_tbENKUlT_T0_E_clISt17integral_constantIbLb0EES10_IbLb1EEEEDaSW_SX_EUlSW_E_NS1_11comp_targetILNS1_3genE2ELNS1_11target_archE906ELNS1_3gpuE6ELNS1_3repE0EEENS1_30default_config_static_selectorELNS0_4arch9wavefront6targetE0EEEvT1_,"axG",@progbits,_ZN7rocprim17ROCPRIM_400000_NS6detail17trampoline_kernelINS0_14default_configENS1_27scan_by_key_config_selectorIijEEZZNS1_16scan_by_key_implILNS1_25lookback_scan_determinismE0ELb0ES3_N6thrust23THRUST_200600_302600_NS6detail15normal_iteratorINS9_10device_ptrIiEEEENSB_INSC_IjEEEESG_jNS9_4plusIvEENS9_8equal_toIvEEjEE10hipError_tPvRmT2_T3_T4_T5_mT6_T7_P12ihipStream_tbENKUlT_T0_E_clISt17integral_constantIbLb0EES10_IbLb1EEEEDaSW_SX_EUlSW_E_NS1_11comp_targetILNS1_3genE2ELNS1_11target_archE906ELNS1_3gpuE6ELNS1_3repE0EEENS1_30default_config_static_selectorELNS0_4arch9wavefront6targetE0EEEvT1_,comdat
.Lfunc_end1259:
	.size	_ZN7rocprim17ROCPRIM_400000_NS6detail17trampoline_kernelINS0_14default_configENS1_27scan_by_key_config_selectorIijEEZZNS1_16scan_by_key_implILNS1_25lookback_scan_determinismE0ELb0ES3_N6thrust23THRUST_200600_302600_NS6detail15normal_iteratorINS9_10device_ptrIiEEEENSB_INSC_IjEEEESG_jNS9_4plusIvEENS9_8equal_toIvEEjEE10hipError_tPvRmT2_T3_T4_T5_mT6_T7_P12ihipStream_tbENKUlT_T0_E_clISt17integral_constantIbLb0EES10_IbLb1EEEEDaSW_SX_EUlSW_E_NS1_11comp_targetILNS1_3genE2ELNS1_11target_archE906ELNS1_3gpuE6ELNS1_3repE0EEENS1_30default_config_static_selectorELNS0_4arch9wavefront6targetE0EEEvT1_, .Lfunc_end1259-_ZN7rocprim17ROCPRIM_400000_NS6detail17trampoline_kernelINS0_14default_configENS1_27scan_by_key_config_selectorIijEEZZNS1_16scan_by_key_implILNS1_25lookback_scan_determinismE0ELb0ES3_N6thrust23THRUST_200600_302600_NS6detail15normal_iteratorINS9_10device_ptrIiEEEENSB_INSC_IjEEEESG_jNS9_4plusIvEENS9_8equal_toIvEEjEE10hipError_tPvRmT2_T3_T4_T5_mT6_T7_P12ihipStream_tbENKUlT_T0_E_clISt17integral_constantIbLb0EES10_IbLb1EEEEDaSW_SX_EUlSW_E_NS1_11comp_targetILNS1_3genE2ELNS1_11target_archE906ELNS1_3gpuE6ELNS1_3repE0EEENS1_30default_config_static_selectorELNS0_4arch9wavefront6targetE0EEEvT1_
                                        ; -- End function
	.set _ZN7rocprim17ROCPRIM_400000_NS6detail17trampoline_kernelINS0_14default_configENS1_27scan_by_key_config_selectorIijEEZZNS1_16scan_by_key_implILNS1_25lookback_scan_determinismE0ELb0ES3_N6thrust23THRUST_200600_302600_NS6detail15normal_iteratorINS9_10device_ptrIiEEEENSB_INSC_IjEEEESG_jNS9_4plusIvEENS9_8equal_toIvEEjEE10hipError_tPvRmT2_T3_T4_T5_mT6_T7_P12ihipStream_tbENKUlT_T0_E_clISt17integral_constantIbLb0EES10_IbLb1EEEEDaSW_SX_EUlSW_E_NS1_11comp_targetILNS1_3genE2ELNS1_11target_archE906ELNS1_3gpuE6ELNS1_3repE0EEENS1_30default_config_static_selectorELNS0_4arch9wavefront6targetE0EEEvT1_.num_vgpr, 0
	.set _ZN7rocprim17ROCPRIM_400000_NS6detail17trampoline_kernelINS0_14default_configENS1_27scan_by_key_config_selectorIijEEZZNS1_16scan_by_key_implILNS1_25lookback_scan_determinismE0ELb0ES3_N6thrust23THRUST_200600_302600_NS6detail15normal_iteratorINS9_10device_ptrIiEEEENSB_INSC_IjEEEESG_jNS9_4plusIvEENS9_8equal_toIvEEjEE10hipError_tPvRmT2_T3_T4_T5_mT6_T7_P12ihipStream_tbENKUlT_T0_E_clISt17integral_constantIbLb0EES10_IbLb1EEEEDaSW_SX_EUlSW_E_NS1_11comp_targetILNS1_3genE2ELNS1_11target_archE906ELNS1_3gpuE6ELNS1_3repE0EEENS1_30default_config_static_selectorELNS0_4arch9wavefront6targetE0EEEvT1_.num_agpr, 0
	.set _ZN7rocprim17ROCPRIM_400000_NS6detail17trampoline_kernelINS0_14default_configENS1_27scan_by_key_config_selectorIijEEZZNS1_16scan_by_key_implILNS1_25lookback_scan_determinismE0ELb0ES3_N6thrust23THRUST_200600_302600_NS6detail15normal_iteratorINS9_10device_ptrIiEEEENSB_INSC_IjEEEESG_jNS9_4plusIvEENS9_8equal_toIvEEjEE10hipError_tPvRmT2_T3_T4_T5_mT6_T7_P12ihipStream_tbENKUlT_T0_E_clISt17integral_constantIbLb0EES10_IbLb1EEEEDaSW_SX_EUlSW_E_NS1_11comp_targetILNS1_3genE2ELNS1_11target_archE906ELNS1_3gpuE6ELNS1_3repE0EEENS1_30default_config_static_selectorELNS0_4arch9wavefront6targetE0EEEvT1_.numbered_sgpr, 0
	.set _ZN7rocprim17ROCPRIM_400000_NS6detail17trampoline_kernelINS0_14default_configENS1_27scan_by_key_config_selectorIijEEZZNS1_16scan_by_key_implILNS1_25lookback_scan_determinismE0ELb0ES3_N6thrust23THRUST_200600_302600_NS6detail15normal_iteratorINS9_10device_ptrIiEEEENSB_INSC_IjEEEESG_jNS9_4plusIvEENS9_8equal_toIvEEjEE10hipError_tPvRmT2_T3_T4_T5_mT6_T7_P12ihipStream_tbENKUlT_T0_E_clISt17integral_constantIbLb0EES10_IbLb1EEEEDaSW_SX_EUlSW_E_NS1_11comp_targetILNS1_3genE2ELNS1_11target_archE906ELNS1_3gpuE6ELNS1_3repE0EEENS1_30default_config_static_selectorELNS0_4arch9wavefront6targetE0EEEvT1_.num_named_barrier, 0
	.set _ZN7rocprim17ROCPRIM_400000_NS6detail17trampoline_kernelINS0_14default_configENS1_27scan_by_key_config_selectorIijEEZZNS1_16scan_by_key_implILNS1_25lookback_scan_determinismE0ELb0ES3_N6thrust23THRUST_200600_302600_NS6detail15normal_iteratorINS9_10device_ptrIiEEEENSB_INSC_IjEEEESG_jNS9_4plusIvEENS9_8equal_toIvEEjEE10hipError_tPvRmT2_T3_T4_T5_mT6_T7_P12ihipStream_tbENKUlT_T0_E_clISt17integral_constantIbLb0EES10_IbLb1EEEEDaSW_SX_EUlSW_E_NS1_11comp_targetILNS1_3genE2ELNS1_11target_archE906ELNS1_3gpuE6ELNS1_3repE0EEENS1_30default_config_static_selectorELNS0_4arch9wavefront6targetE0EEEvT1_.private_seg_size, 0
	.set _ZN7rocprim17ROCPRIM_400000_NS6detail17trampoline_kernelINS0_14default_configENS1_27scan_by_key_config_selectorIijEEZZNS1_16scan_by_key_implILNS1_25lookback_scan_determinismE0ELb0ES3_N6thrust23THRUST_200600_302600_NS6detail15normal_iteratorINS9_10device_ptrIiEEEENSB_INSC_IjEEEESG_jNS9_4plusIvEENS9_8equal_toIvEEjEE10hipError_tPvRmT2_T3_T4_T5_mT6_T7_P12ihipStream_tbENKUlT_T0_E_clISt17integral_constantIbLb0EES10_IbLb1EEEEDaSW_SX_EUlSW_E_NS1_11comp_targetILNS1_3genE2ELNS1_11target_archE906ELNS1_3gpuE6ELNS1_3repE0EEENS1_30default_config_static_selectorELNS0_4arch9wavefront6targetE0EEEvT1_.uses_vcc, 0
	.set _ZN7rocprim17ROCPRIM_400000_NS6detail17trampoline_kernelINS0_14default_configENS1_27scan_by_key_config_selectorIijEEZZNS1_16scan_by_key_implILNS1_25lookback_scan_determinismE0ELb0ES3_N6thrust23THRUST_200600_302600_NS6detail15normal_iteratorINS9_10device_ptrIiEEEENSB_INSC_IjEEEESG_jNS9_4plusIvEENS9_8equal_toIvEEjEE10hipError_tPvRmT2_T3_T4_T5_mT6_T7_P12ihipStream_tbENKUlT_T0_E_clISt17integral_constantIbLb0EES10_IbLb1EEEEDaSW_SX_EUlSW_E_NS1_11comp_targetILNS1_3genE2ELNS1_11target_archE906ELNS1_3gpuE6ELNS1_3repE0EEENS1_30default_config_static_selectorELNS0_4arch9wavefront6targetE0EEEvT1_.uses_flat_scratch, 0
	.set _ZN7rocprim17ROCPRIM_400000_NS6detail17trampoline_kernelINS0_14default_configENS1_27scan_by_key_config_selectorIijEEZZNS1_16scan_by_key_implILNS1_25lookback_scan_determinismE0ELb0ES3_N6thrust23THRUST_200600_302600_NS6detail15normal_iteratorINS9_10device_ptrIiEEEENSB_INSC_IjEEEESG_jNS9_4plusIvEENS9_8equal_toIvEEjEE10hipError_tPvRmT2_T3_T4_T5_mT6_T7_P12ihipStream_tbENKUlT_T0_E_clISt17integral_constantIbLb0EES10_IbLb1EEEEDaSW_SX_EUlSW_E_NS1_11comp_targetILNS1_3genE2ELNS1_11target_archE906ELNS1_3gpuE6ELNS1_3repE0EEENS1_30default_config_static_selectorELNS0_4arch9wavefront6targetE0EEEvT1_.has_dyn_sized_stack, 0
	.set _ZN7rocprim17ROCPRIM_400000_NS6detail17trampoline_kernelINS0_14default_configENS1_27scan_by_key_config_selectorIijEEZZNS1_16scan_by_key_implILNS1_25lookback_scan_determinismE0ELb0ES3_N6thrust23THRUST_200600_302600_NS6detail15normal_iteratorINS9_10device_ptrIiEEEENSB_INSC_IjEEEESG_jNS9_4plusIvEENS9_8equal_toIvEEjEE10hipError_tPvRmT2_T3_T4_T5_mT6_T7_P12ihipStream_tbENKUlT_T0_E_clISt17integral_constantIbLb0EES10_IbLb1EEEEDaSW_SX_EUlSW_E_NS1_11comp_targetILNS1_3genE2ELNS1_11target_archE906ELNS1_3gpuE6ELNS1_3repE0EEENS1_30default_config_static_selectorELNS0_4arch9wavefront6targetE0EEEvT1_.has_recursion, 0
	.set _ZN7rocprim17ROCPRIM_400000_NS6detail17trampoline_kernelINS0_14default_configENS1_27scan_by_key_config_selectorIijEEZZNS1_16scan_by_key_implILNS1_25lookback_scan_determinismE0ELb0ES3_N6thrust23THRUST_200600_302600_NS6detail15normal_iteratorINS9_10device_ptrIiEEEENSB_INSC_IjEEEESG_jNS9_4plusIvEENS9_8equal_toIvEEjEE10hipError_tPvRmT2_T3_T4_T5_mT6_T7_P12ihipStream_tbENKUlT_T0_E_clISt17integral_constantIbLb0EES10_IbLb1EEEEDaSW_SX_EUlSW_E_NS1_11comp_targetILNS1_3genE2ELNS1_11target_archE906ELNS1_3gpuE6ELNS1_3repE0EEENS1_30default_config_static_selectorELNS0_4arch9wavefront6targetE0EEEvT1_.has_indirect_call, 0
	.section	.AMDGPU.csdata,"",@progbits
; Kernel info:
; codeLenInByte = 0
; TotalNumSgprs: 0
; NumVgprs: 0
; ScratchSize: 0
; MemoryBound: 0
; FloatMode: 240
; IeeeMode: 1
; LDSByteSize: 0 bytes/workgroup (compile time only)
; SGPRBlocks: 0
; VGPRBlocks: 0
; NumSGPRsForWavesPerEU: 1
; NumVGPRsForWavesPerEU: 1
; Occupancy: 16
; WaveLimiterHint : 0
; COMPUTE_PGM_RSRC2:SCRATCH_EN: 0
; COMPUTE_PGM_RSRC2:USER_SGPR: 6
; COMPUTE_PGM_RSRC2:TRAP_HANDLER: 0
; COMPUTE_PGM_RSRC2:TGID_X_EN: 1
; COMPUTE_PGM_RSRC2:TGID_Y_EN: 0
; COMPUTE_PGM_RSRC2:TGID_Z_EN: 0
; COMPUTE_PGM_RSRC2:TIDIG_COMP_CNT: 0
	.section	.text._ZN7rocprim17ROCPRIM_400000_NS6detail17trampoline_kernelINS0_14default_configENS1_27scan_by_key_config_selectorIijEEZZNS1_16scan_by_key_implILNS1_25lookback_scan_determinismE0ELb0ES3_N6thrust23THRUST_200600_302600_NS6detail15normal_iteratorINS9_10device_ptrIiEEEENSB_INSC_IjEEEESG_jNS9_4plusIvEENS9_8equal_toIvEEjEE10hipError_tPvRmT2_T3_T4_T5_mT6_T7_P12ihipStream_tbENKUlT_T0_E_clISt17integral_constantIbLb0EES10_IbLb1EEEEDaSW_SX_EUlSW_E_NS1_11comp_targetILNS1_3genE10ELNS1_11target_archE1200ELNS1_3gpuE4ELNS1_3repE0EEENS1_30default_config_static_selectorELNS0_4arch9wavefront6targetE0EEEvT1_,"axG",@progbits,_ZN7rocprim17ROCPRIM_400000_NS6detail17trampoline_kernelINS0_14default_configENS1_27scan_by_key_config_selectorIijEEZZNS1_16scan_by_key_implILNS1_25lookback_scan_determinismE0ELb0ES3_N6thrust23THRUST_200600_302600_NS6detail15normal_iteratorINS9_10device_ptrIiEEEENSB_INSC_IjEEEESG_jNS9_4plusIvEENS9_8equal_toIvEEjEE10hipError_tPvRmT2_T3_T4_T5_mT6_T7_P12ihipStream_tbENKUlT_T0_E_clISt17integral_constantIbLb0EES10_IbLb1EEEEDaSW_SX_EUlSW_E_NS1_11comp_targetILNS1_3genE10ELNS1_11target_archE1200ELNS1_3gpuE4ELNS1_3repE0EEENS1_30default_config_static_selectorELNS0_4arch9wavefront6targetE0EEEvT1_,comdat
	.protected	_ZN7rocprim17ROCPRIM_400000_NS6detail17trampoline_kernelINS0_14default_configENS1_27scan_by_key_config_selectorIijEEZZNS1_16scan_by_key_implILNS1_25lookback_scan_determinismE0ELb0ES3_N6thrust23THRUST_200600_302600_NS6detail15normal_iteratorINS9_10device_ptrIiEEEENSB_INSC_IjEEEESG_jNS9_4plusIvEENS9_8equal_toIvEEjEE10hipError_tPvRmT2_T3_T4_T5_mT6_T7_P12ihipStream_tbENKUlT_T0_E_clISt17integral_constantIbLb0EES10_IbLb1EEEEDaSW_SX_EUlSW_E_NS1_11comp_targetILNS1_3genE10ELNS1_11target_archE1200ELNS1_3gpuE4ELNS1_3repE0EEENS1_30default_config_static_selectorELNS0_4arch9wavefront6targetE0EEEvT1_ ; -- Begin function _ZN7rocprim17ROCPRIM_400000_NS6detail17trampoline_kernelINS0_14default_configENS1_27scan_by_key_config_selectorIijEEZZNS1_16scan_by_key_implILNS1_25lookback_scan_determinismE0ELb0ES3_N6thrust23THRUST_200600_302600_NS6detail15normal_iteratorINS9_10device_ptrIiEEEENSB_INSC_IjEEEESG_jNS9_4plusIvEENS9_8equal_toIvEEjEE10hipError_tPvRmT2_T3_T4_T5_mT6_T7_P12ihipStream_tbENKUlT_T0_E_clISt17integral_constantIbLb0EES10_IbLb1EEEEDaSW_SX_EUlSW_E_NS1_11comp_targetILNS1_3genE10ELNS1_11target_archE1200ELNS1_3gpuE4ELNS1_3repE0EEENS1_30default_config_static_selectorELNS0_4arch9wavefront6targetE0EEEvT1_
	.globl	_ZN7rocprim17ROCPRIM_400000_NS6detail17trampoline_kernelINS0_14default_configENS1_27scan_by_key_config_selectorIijEEZZNS1_16scan_by_key_implILNS1_25lookback_scan_determinismE0ELb0ES3_N6thrust23THRUST_200600_302600_NS6detail15normal_iteratorINS9_10device_ptrIiEEEENSB_INSC_IjEEEESG_jNS9_4plusIvEENS9_8equal_toIvEEjEE10hipError_tPvRmT2_T3_T4_T5_mT6_T7_P12ihipStream_tbENKUlT_T0_E_clISt17integral_constantIbLb0EES10_IbLb1EEEEDaSW_SX_EUlSW_E_NS1_11comp_targetILNS1_3genE10ELNS1_11target_archE1200ELNS1_3gpuE4ELNS1_3repE0EEENS1_30default_config_static_selectorELNS0_4arch9wavefront6targetE0EEEvT1_
	.p2align	8
	.type	_ZN7rocprim17ROCPRIM_400000_NS6detail17trampoline_kernelINS0_14default_configENS1_27scan_by_key_config_selectorIijEEZZNS1_16scan_by_key_implILNS1_25lookback_scan_determinismE0ELb0ES3_N6thrust23THRUST_200600_302600_NS6detail15normal_iteratorINS9_10device_ptrIiEEEENSB_INSC_IjEEEESG_jNS9_4plusIvEENS9_8equal_toIvEEjEE10hipError_tPvRmT2_T3_T4_T5_mT6_T7_P12ihipStream_tbENKUlT_T0_E_clISt17integral_constantIbLb0EES10_IbLb1EEEEDaSW_SX_EUlSW_E_NS1_11comp_targetILNS1_3genE10ELNS1_11target_archE1200ELNS1_3gpuE4ELNS1_3repE0EEENS1_30default_config_static_selectorELNS0_4arch9wavefront6targetE0EEEvT1_,@function
_ZN7rocprim17ROCPRIM_400000_NS6detail17trampoline_kernelINS0_14default_configENS1_27scan_by_key_config_selectorIijEEZZNS1_16scan_by_key_implILNS1_25lookback_scan_determinismE0ELb0ES3_N6thrust23THRUST_200600_302600_NS6detail15normal_iteratorINS9_10device_ptrIiEEEENSB_INSC_IjEEEESG_jNS9_4plusIvEENS9_8equal_toIvEEjEE10hipError_tPvRmT2_T3_T4_T5_mT6_T7_P12ihipStream_tbENKUlT_T0_E_clISt17integral_constantIbLb0EES10_IbLb1EEEEDaSW_SX_EUlSW_E_NS1_11comp_targetILNS1_3genE10ELNS1_11target_archE1200ELNS1_3gpuE4ELNS1_3repE0EEENS1_30default_config_static_selectorELNS0_4arch9wavefront6targetE0EEEvT1_: ; @_ZN7rocprim17ROCPRIM_400000_NS6detail17trampoline_kernelINS0_14default_configENS1_27scan_by_key_config_selectorIijEEZZNS1_16scan_by_key_implILNS1_25lookback_scan_determinismE0ELb0ES3_N6thrust23THRUST_200600_302600_NS6detail15normal_iteratorINS9_10device_ptrIiEEEENSB_INSC_IjEEEESG_jNS9_4plusIvEENS9_8equal_toIvEEjEE10hipError_tPvRmT2_T3_T4_T5_mT6_T7_P12ihipStream_tbENKUlT_T0_E_clISt17integral_constantIbLb0EES10_IbLb1EEEEDaSW_SX_EUlSW_E_NS1_11comp_targetILNS1_3genE10ELNS1_11target_archE1200ELNS1_3gpuE4ELNS1_3repE0EEENS1_30default_config_static_selectorELNS0_4arch9wavefront6targetE0EEEvT1_
; %bb.0:
	.section	.rodata,"a",@progbits
	.p2align	6, 0x0
	.amdhsa_kernel _ZN7rocprim17ROCPRIM_400000_NS6detail17trampoline_kernelINS0_14default_configENS1_27scan_by_key_config_selectorIijEEZZNS1_16scan_by_key_implILNS1_25lookback_scan_determinismE0ELb0ES3_N6thrust23THRUST_200600_302600_NS6detail15normal_iteratorINS9_10device_ptrIiEEEENSB_INSC_IjEEEESG_jNS9_4plusIvEENS9_8equal_toIvEEjEE10hipError_tPvRmT2_T3_T4_T5_mT6_T7_P12ihipStream_tbENKUlT_T0_E_clISt17integral_constantIbLb0EES10_IbLb1EEEEDaSW_SX_EUlSW_E_NS1_11comp_targetILNS1_3genE10ELNS1_11target_archE1200ELNS1_3gpuE4ELNS1_3repE0EEENS1_30default_config_static_selectorELNS0_4arch9wavefront6targetE0EEEvT1_
		.amdhsa_group_segment_fixed_size 0
		.amdhsa_private_segment_fixed_size 0
		.amdhsa_kernarg_size 112
		.amdhsa_user_sgpr_count 6
		.amdhsa_user_sgpr_private_segment_buffer 1
		.amdhsa_user_sgpr_dispatch_ptr 0
		.amdhsa_user_sgpr_queue_ptr 0
		.amdhsa_user_sgpr_kernarg_segment_ptr 1
		.amdhsa_user_sgpr_dispatch_id 0
		.amdhsa_user_sgpr_flat_scratch_init 0
		.amdhsa_user_sgpr_private_segment_size 0
		.amdhsa_wavefront_size32 1
		.amdhsa_uses_dynamic_stack 0
		.amdhsa_system_sgpr_private_segment_wavefront_offset 0
		.amdhsa_system_sgpr_workgroup_id_x 1
		.amdhsa_system_sgpr_workgroup_id_y 0
		.amdhsa_system_sgpr_workgroup_id_z 0
		.amdhsa_system_sgpr_workgroup_info 0
		.amdhsa_system_vgpr_workitem_id 0
		.amdhsa_next_free_vgpr 1
		.amdhsa_next_free_sgpr 1
		.amdhsa_reserve_vcc 0
		.amdhsa_reserve_flat_scratch 0
		.amdhsa_float_round_mode_32 0
		.amdhsa_float_round_mode_16_64 0
		.amdhsa_float_denorm_mode_32 3
		.amdhsa_float_denorm_mode_16_64 3
		.amdhsa_dx10_clamp 1
		.amdhsa_ieee_mode 1
		.amdhsa_fp16_overflow 0
		.amdhsa_workgroup_processor_mode 1
		.amdhsa_memory_ordered 1
		.amdhsa_forward_progress 1
		.amdhsa_shared_vgpr_count 0
		.amdhsa_exception_fp_ieee_invalid_op 0
		.amdhsa_exception_fp_denorm_src 0
		.amdhsa_exception_fp_ieee_div_zero 0
		.amdhsa_exception_fp_ieee_overflow 0
		.amdhsa_exception_fp_ieee_underflow 0
		.amdhsa_exception_fp_ieee_inexact 0
		.amdhsa_exception_int_div_zero 0
	.end_amdhsa_kernel
	.section	.text._ZN7rocprim17ROCPRIM_400000_NS6detail17trampoline_kernelINS0_14default_configENS1_27scan_by_key_config_selectorIijEEZZNS1_16scan_by_key_implILNS1_25lookback_scan_determinismE0ELb0ES3_N6thrust23THRUST_200600_302600_NS6detail15normal_iteratorINS9_10device_ptrIiEEEENSB_INSC_IjEEEESG_jNS9_4plusIvEENS9_8equal_toIvEEjEE10hipError_tPvRmT2_T3_T4_T5_mT6_T7_P12ihipStream_tbENKUlT_T0_E_clISt17integral_constantIbLb0EES10_IbLb1EEEEDaSW_SX_EUlSW_E_NS1_11comp_targetILNS1_3genE10ELNS1_11target_archE1200ELNS1_3gpuE4ELNS1_3repE0EEENS1_30default_config_static_selectorELNS0_4arch9wavefront6targetE0EEEvT1_,"axG",@progbits,_ZN7rocprim17ROCPRIM_400000_NS6detail17trampoline_kernelINS0_14default_configENS1_27scan_by_key_config_selectorIijEEZZNS1_16scan_by_key_implILNS1_25lookback_scan_determinismE0ELb0ES3_N6thrust23THRUST_200600_302600_NS6detail15normal_iteratorINS9_10device_ptrIiEEEENSB_INSC_IjEEEESG_jNS9_4plusIvEENS9_8equal_toIvEEjEE10hipError_tPvRmT2_T3_T4_T5_mT6_T7_P12ihipStream_tbENKUlT_T0_E_clISt17integral_constantIbLb0EES10_IbLb1EEEEDaSW_SX_EUlSW_E_NS1_11comp_targetILNS1_3genE10ELNS1_11target_archE1200ELNS1_3gpuE4ELNS1_3repE0EEENS1_30default_config_static_selectorELNS0_4arch9wavefront6targetE0EEEvT1_,comdat
.Lfunc_end1260:
	.size	_ZN7rocprim17ROCPRIM_400000_NS6detail17trampoline_kernelINS0_14default_configENS1_27scan_by_key_config_selectorIijEEZZNS1_16scan_by_key_implILNS1_25lookback_scan_determinismE0ELb0ES3_N6thrust23THRUST_200600_302600_NS6detail15normal_iteratorINS9_10device_ptrIiEEEENSB_INSC_IjEEEESG_jNS9_4plusIvEENS9_8equal_toIvEEjEE10hipError_tPvRmT2_T3_T4_T5_mT6_T7_P12ihipStream_tbENKUlT_T0_E_clISt17integral_constantIbLb0EES10_IbLb1EEEEDaSW_SX_EUlSW_E_NS1_11comp_targetILNS1_3genE10ELNS1_11target_archE1200ELNS1_3gpuE4ELNS1_3repE0EEENS1_30default_config_static_selectorELNS0_4arch9wavefront6targetE0EEEvT1_, .Lfunc_end1260-_ZN7rocprim17ROCPRIM_400000_NS6detail17trampoline_kernelINS0_14default_configENS1_27scan_by_key_config_selectorIijEEZZNS1_16scan_by_key_implILNS1_25lookback_scan_determinismE0ELb0ES3_N6thrust23THRUST_200600_302600_NS6detail15normal_iteratorINS9_10device_ptrIiEEEENSB_INSC_IjEEEESG_jNS9_4plusIvEENS9_8equal_toIvEEjEE10hipError_tPvRmT2_T3_T4_T5_mT6_T7_P12ihipStream_tbENKUlT_T0_E_clISt17integral_constantIbLb0EES10_IbLb1EEEEDaSW_SX_EUlSW_E_NS1_11comp_targetILNS1_3genE10ELNS1_11target_archE1200ELNS1_3gpuE4ELNS1_3repE0EEENS1_30default_config_static_selectorELNS0_4arch9wavefront6targetE0EEEvT1_
                                        ; -- End function
	.set _ZN7rocprim17ROCPRIM_400000_NS6detail17trampoline_kernelINS0_14default_configENS1_27scan_by_key_config_selectorIijEEZZNS1_16scan_by_key_implILNS1_25lookback_scan_determinismE0ELb0ES3_N6thrust23THRUST_200600_302600_NS6detail15normal_iteratorINS9_10device_ptrIiEEEENSB_INSC_IjEEEESG_jNS9_4plusIvEENS9_8equal_toIvEEjEE10hipError_tPvRmT2_T3_T4_T5_mT6_T7_P12ihipStream_tbENKUlT_T0_E_clISt17integral_constantIbLb0EES10_IbLb1EEEEDaSW_SX_EUlSW_E_NS1_11comp_targetILNS1_3genE10ELNS1_11target_archE1200ELNS1_3gpuE4ELNS1_3repE0EEENS1_30default_config_static_selectorELNS0_4arch9wavefront6targetE0EEEvT1_.num_vgpr, 0
	.set _ZN7rocprim17ROCPRIM_400000_NS6detail17trampoline_kernelINS0_14default_configENS1_27scan_by_key_config_selectorIijEEZZNS1_16scan_by_key_implILNS1_25lookback_scan_determinismE0ELb0ES3_N6thrust23THRUST_200600_302600_NS6detail15normal_iteratorINS9_10device_ptrIiEEEENSB_INSC_IjEEEESG_jNS9_4plusIvEENS9_8equal_toIvEEjEE10hipError_tPvRmT2_T3_T4_T5_mT6_T7_P12ihipStream_tbENKUlT_T0_E_clISt17integral_constantIbLb0EES10_IbLb1EEEEDaSW_SX_EUlSW_E_NS1_11comp_targetILNS1_3genE10ELNS1_11target_archE1200ELNS1_3gpuE4ELNS1_3repE0EEENS1_30default_config_static_selectorELNS0_4arch9wavefront6targetE0EEEvT1_.num_agpr, 0
	.set _ZN7rocprim17ROCPRIM_400000_NS6detail17trampoline_kernelINS0_14default_configENS1_27scan_by_key_config_selectorIijEEZZNS1_16scan_by_key_implILNS1_25lookback_scan_determinismE0ELb0ES3_N6thrust23THRUST_200600_302600_NS6detail15normal_iteratorINS9_10device_ptrIiEEEENSB_INSC_IjEEEESG_jNS9_4plusIvEENS9_8equal_toIvEEjEE10hipError_tPvRmT2_T3_T4_T5_mT6_T7_P12ihipStream_tbENKUlT_T0_E_clISt17integral_constantIbLb0EES10_IbLb1EEEEDaSW_SX_EUlSW_E_NS1_11comp_targetILNS1_3genE10ELNS1_11target_archE1200ELNS1_3gpuE4ELNS1_3repE0EEENS1_30default_config_static_selectorELNS0_4arch9wavefront6targetE0EEEvT1_.numbered_sgpr, 0
	.set _ZN7rocprim17ROCPRIM_400000_NS6detail17trampoline_kernelINS0_14default_configENS1_27scan_by_key_config_selectorIijEEZZNS1_16scan_by_key_implILNS1_25lookback_scan_determinismE0ELb0ES3_N6thrust23THRUST_200600_302600_NS6detail15normal_iteratorINS9_10device_ptrIiEEEENSB_INSC_IjEEEESG_jNS9_4plusIvEENS9_8equal_toIvEEjEE10hipError_tPvRmT2_T3_T4_T5_mT6_T7_P12ihipStream_tbENKUlT_T0_E_clISt17integral_constantIbLb0EES10_IbLb1EEEEDaSW_SX_EUlSW_E_NS1_11comp_targetILNS1_3genE10ELNS1_11target_archE1200ELNS1_3gpuE4ELNS1_3repE0EEENS1_30default_config_static_selectorELNS0_4arch9wavefront6targetE0EEEvT1_.num_named_barrier, 0
	.set _ZN7rocprim17ROCPRIM_400000_NS6detail17trampoline_kernelINS0_14default_configENS1_27scan_by_key_config_selectorIijEEZZNS1_16scan_by_key_implILNS1_25lookback_scan_determinismE0ELb0ES3_N6thrust23THRUST_200600_302600_NS6detail15normal_iteratorINS9_10device_ptrIiEEEENSB_INSC_IjEEEESG_jNS9_4plusIvEENS9_8equal_toIvEEjEE10hipError_tPvRmT2_T3_T4_T5_mT6_T7_P12ihipStream_tbENKUlT_T0_E_clISt17integral_constantIbLb0EES10_IbLb1EEEEDaSW_SX_EUlSW_E_NS1_11comp_targetILNS1_3genE10ELNS1_11target_archE1200ELNS1_3gpuE4ELNS1_3repE0EEENS1_30default_config_static_selectorELNS0_4arch9wavefront6targetE0EEEvT1_.private_seg_size, 0
	.set _ZN7rocprim17ROCPRIM_400000_NS6detail17trampoline_kernelINS0_14default_configENS1_27scan_by_key_config_selectorIijEEZZNS1_16scan_by_key_implILNS1_25lookback_scan_determinismE0ELb0ES3_N6thrust23THRUST_200600_302600_NS6detail15normal_iteratorINS9_10device_ptrIiEEEENSB_INSC_IjEEEESG_jNS9_4plusIvEENS9_8equal_toIvEEjEE10hipError_tPvRmT2_T3_T4_T5_mT6_T7_P12ihipStream_tbENKUlT_T0_E_clISt17integral_constantIbLb0EES10_IbLb1EEEEDaSW_SX_EUlSW_E_NS1_11comp_targetILNS1_3genE10ELNS1_11target_archE1200ELNS1_3gpuE4ELNS1_3repE0EEENS1_30default_config_static_selectorELNS0_4arch9wavefront6targetE0EEEvT1_.uses_vcc, 0
	.set _ZN7rocprim17ROCPRIM_400000_NS6detail17trampoline_kernelINS0_14default_configENS1_27scan_by_key_config_selectorIijEEZZNS1_16scan_by_key_implILNS1_25lookback_scan_determinismE0ELb0ES3_N6thrust23THRUST_200600_302600_NS6detail15normal_iteratorINS9_10device_ptrIiEEEENSB_INSC_IjEEEESG_jNS9_4plusIvEENS9_8equal_toIvEEjEE10hipError_tPvRmT2_T3_T4_T5_mT6_T7_P12ihipStream_tbENKUlT_T0_E_clISt17integral_constantIbLb0EES10_IbLb1EEEEDaSW_SX_EUlSW_E_NS1_11comp_targetILNS1_3genE10ELNS1_11target_archE1200ELNS1_3gpuE4ELNS1_3repE0EEENS1_30default_config_static_selectorELNS0_4arch9wavefront6targetE0EEEvT1_.uses_flat_scratch, 0
	.set _ZN7rocprim17ROCPRIM_400000_NS6detail17trampoline_kernelINS0_14default_configENS1_27scan_by_key_config_selectorIijEEZZNS1_16scan_by_key_implILNS1_25lookback_scan_determinismE0ELb0ES3_N6thrust23THRUST_200600_302600_NS6detail15normal_iteratorINS9_10device_ptrIiEEEENSB_INSC_IjEEEESG_jNS9_4plusIvEENS9_8equal_toIvEEjEE10hipError_tPvRmT2_T3_T4_T5_mT6_T7_P12ihipStream_tbENKUlT_T0_E_clISt17integral_constantIbLb0EES10_IbLb1EEEEDaSW_SX_EUlSW_E_NS1_11comp_targetILNS1_3genE10ELNS1_11target_archE1200ELNS1_3gpuE4ELNS1_3repE0EEENS1_30default_config_static_selectorELNS0_4arch9wavefront6targetE0EEEvT1_.has_dyn_sized_stack, 0
	.set _ZN7rocprim17ROCPRIM_400000_NS6detail17trampoline_kernelINS0_14default_configENS1_27scan_by_key_config_selectorIijEEZZNS1_16scan_by_key_implILNS1_25lookback_scan_determinismE0ELb0ES3_N6thrust23THRUST_200600_302600_NS6detail15normal_iteratorINS9_10device_ptrIiEEEENSB_INSC_IjEEEESG_jNS9_4plusIvEENS9_8equal_toIvEEjEE10hipError_tPvRmT2_T3_T4_T5_mT6_T7_P12ihipStream_tbENKUlT_T0_E_clISt17integral_constantIbLb0EES10_IbLb1EEEEDaSW_SX_EUlSW_E_NS1_11comp_targetILNS1_3genE10ELNS1_11target_archE1200ELNS1_3gpuE4ELNS1_3repE0EEENS1_30default_config_static_selectorELNS0_4arch9wavefront6targetE0EEEvT1_.has_recursion, 0
	.set _ZN7rocprim17ROCPRIM_400000_NS6detail17trampoline_kernelINS0_14default_configENS1_27scan_by_key_config_selectorIijEEZZNS1_16scan_by_key_implILNS1_25lookback_scan_determinismE0ELb0ES3_N6thrust23THRUST_200600_302600_NS6detail15normal_iteratorINS9_10device_ptrIiEEEENSB_INSC_IjEEEESG_jNS9_4plusIvEENS9_8equal_toIvEEjEE10hipError_tPvRmT2_T3_T4_T5_mT6_T7_P12ihipStream_tbENKUlT_T0_E_clISt17integral_constantIbLb0EES10_IbLb1EEEEDaSW_SX_EUlSW_E_NS1_11comp_targetILNS1_3genE10ELNS1_11target_archE1200ELNS1_3gpuE4ELNS1_3repE0EEENS1_30default_config_static_selectorELNS0_4arch9wavefront6targetE0EEEvT1_.has_indirect_call, 0
	.section	.AMDGPU.csdata,"",@progbits
; Kernel info:
; codeLenInByte = 0
; TotalNumSgprs: 0
; NumVgprs: 0
; ScratchSize: 0
; MemoryBound: 0
; FloatMode: 240
; IeeeMode: 1
; LDSByteSize: 0 bytes/workgroup (compile time only)
; SGPRBlocks: 0
; VGPRBlocks: 0
; NumSGPRsForWavesPerEU: 1
; NumVGPRsForWavesPerEU: 1
; Occupancy: 16
; WaveLimiterHint : 0
; COMPUTE_PGM_RSRC2:SCRATCH_EN: 0
; COMPUTE_PGM_RSRC2:USER_SGPR: 6
; COMPUTE_PGM_RSRC2:TRAP_HANDLER: 0
; COMPUTE_PGM_RSRC2:TGID_X_EN: 1
; COMPUTE_PGM_RSRC2:TGID_Y_EN: 0
; COMPUTE_PGM_RSRC2:TGID_Z_EN: 0
; COMPUTE_PGM_RSRC2:TIDIG_COMP_CNT: 0
	.section	.text._ZN7rocprim17ROCPRIM_400000_NS6detail17trampoline_kernelINS0_14default_configENS1_27scan_by_key_config_selectorIijEEZZNS1_16scan_by_key_implILNS1_25lookback_scan_determinismE0ELb0ES3_N6thrust23THRUST_200600_302600_NS6detail15normal_iteratorINS9_10device_ptrIiEEEENSB_INSC_IjEEEESG_jNS9_4plusIvEENS9_8equal_toIvEEjEE10hipError_tPvRmT2_T3_T4_T5_mT6_T7_P12ihipStream_tbENKUlT_T0_E_clISt17integral_constantIbLb0EES10_IbLb1EEEEDaSW_SX_EUlSW_E_NS1_11comp_targetILNS1_3genE9ELNS1_11target_archE1100ELNS1_3gpuE3ELNS1_3repE0EEENS1_30default_config_static_selectorELNS0_4arch9wavefront6targetE0EEEvT1_,"axG",@progbits,_ZN7rocprim17ROCPRIM_400000_NS6detail17trampoline_kernelINS0_14default_configENS1_27scan_by_key_config_selectorIijEEZZNS1_16scan_by_key_implILNS1_25lookback_scan_determinismE0ELb0ES3_N6thrust23THRUST_200600_302600_NS6detail15normal_iteratorINS9_10device_ptrIiEEEENSB_INSC_IjEEEESG_jNS9_4plusIvEENS9_8equal_toIvEEjEE10hipError_tPvRmT2_T3_T4_T5_mT6_T7_P12ihipStream_tbENKUlT_T0_E_clISt17integral_constantIbLb0EES10_IbLb1EEEEDaSW_SX_EUlSW_E_NS1_11comp_targetILNS1_3genE9ELNS1_11target_archE1100ELNS1_3gpuE3ELNS1_3repE0EEENS1_30default_config_static_selectorELNS0_4arch9wavefront6targetE0EEEvT1_,comdat
	.protected	_ZN7rocprim17ROCPRIM_400000_NS6detail17trampoline_kernelINS0_14default_configENS1_27scan_by_key_config_selectorIijEEZZNS1_16scan_by_key_implILNS1_25lookback_scan_determinismE0ELb0ES3_N6thrust23THRUST_200600_302600_NS6detail15normal_iteratorINS9_10device_ptrIiEEEENSB_INSC_IjEEEESG_jNS9_4plusIvEENS9_8equal_toIvEEjEE10hipError_tPvRmT2_T3_T4_T5_mT6_T7_P12ihipStream_tbENKUlT_T0_E_clISt17integral_constantIbLb0EES10_IbLb1EEEEDaSW_SX_EUlSW_E_NS1_11comp_targetILNS1_3genE9ELNS1_11target_archE1100ELNS1_3gpuE3ELNS1_3repE0EEENS1_30default_config_static_selectorELNS0_4arch9wavefront6targetE0EEEvT1_ ; -- Begin function _ZN7rocprim17ROCPRIM_400000_NS6detail17trampoline_kernelINS0_14default_configENS1_27scan_by_key_config_selectorIijEEZZNS1_16scan_by_key_implILNS1_25lookback_scan_determinismE0ELb0ES3_N6thrust23THRUST_200600_302600_NS6detail15normal_iteratorINS9_10device_ptrIiEEEENSB_INSC_IjEEEESG_jNS9_4plusIvEENS9_8equal_toIvEEjEE10hipError_tPvRmT2_T3_T4_T5_mT6_T7_P12ihipStream_tbENKUlT_T0_E_clISt17integral_constantIbLb0EES10_IbLb1EEEEDaSW_SX_EUlSW_E_NS1_11comp_targetILNS1_3genE9ELNS1_11target_archE1100ELNS1_3gpuE3ELNS1_3repE0EEENS1_30default_config_static_selectorELNS0_4arch9wavefront6targetE0EEEvT1_
	.globl	_ZN7rocprim17ROCPRIM_400000_NS6detail17trampoline_kernelINS0_14default_configENS1_27scan_by_key_config_selectorIijEEZZNS1_16scan_by_key_implILNS1_25lookback_scan_determinismE0ELb0ES3_N6thrust23THRUST_200600_302600_NS6detail15normal_iteratorINS9_10device_ptrIiEEEENSB_INSC_IjEEEESG_jNS9_4plusIvEENS9_8equal_toIvEEjEE10hipError_tPvRmT2_T3_T4_T5_mT6_T7_P12ihipStream_tbENKUlT_T0_E_clISt17integral_constantIbLb0EES10_IbLb1EEEEDaSW_SX_EUlSW_E_NS1_11comp_targetILNS1_3genE9ELNS1_11target_archE1100ELNS1_3gpuE3ELNS1_3repE0EEENS1_30default_config_static_selectorELNS0_4arch9wavefront6targetE0EEEvT1_
	.p2align	8
	.type	_ZN7rocprim17ROCPRIM_400000_NS6detail17trampoline_kernelINS0_14default_configENS1_27scan_by_key_config_selectorIijEEZZNS1_16scan_by_key_implILNS1_25lookback_scan_determinismE0ELb0ES3_N6thrust23THRUST_200600_302600_NS6detail15normal_iteratorINS9_10device_ptrIiEEEENSB_INSC_IjEEEESG_jNS9_4plusIvEENS9_8equal_toIvEEjEE10hipError_tPvRmT2_T3_T4_T5_mT6_T7_P12ihipStream_tbENKUlT_T0_E_clISt17integral_constantIbLb0EES10_IbLb1EEEEDaSW_SX_EUlSW_E_NS1_11comp_targetILNS1_3genE9ELNS1_11target_archE1100ELNS1_3gpuE3ELNS1_3repE0EEENS1_30default_config_static_selectorELNS0_4arch9wavefront6targetE0EEEvT1_,@function
_ZN7rocprim17ROCPRIM_400000_NS6detail17trampoline_kernelINS0_14default_configENS1_27scan_by_key_config_selectorIijEEZZNS1_16scan_by_key_implILNS1_25lookback_scan_determinismE0ELb0ES3_N6thrust23THRUST_200600_302600_NS6detail15normal_iteratorINS9_10device_ptrIiEEEENSB_INSC_IjEEEESG_jNS9_4plusIvEENS9_8equal_toIvEEjEE10hipError_tPvRmT2_T3_T4_T5_mT6_T7_P12ihipStream_tbENKUlT_T0_E_clISt17integral_constantIbLb0EES10_IbLb1EEEEDaSW_SX_EUlSW_E_NS1_11comp_targetILNS1_3genE9ELNS1_11target_archE1100ELNS1_3gpuE3ELNS1_3repE0EEENS1_30default_config_static_selectorELNS0_4arch9wavefront6targetE0EEEvT1_: ; @_ZN7rocprim17ROCPRIM_400000_NS6detail17trampoline_kernelINS0_14default_configENS1_27scan_by_key_config_selectorIijEEZZNS1_16scan_by_key_implILNS1_25lookback_scan_determinismE0ELb0ES3_N6thrust23THRUST_200600_302600_NS6detail15normal_iteratorINS9_10device_ptrIiEEEENSB_INSC_IjEEEESG_jNS9_4plusIvEENS9_8equal_toIvEEjEE10hipError_tPvRmT2_T3_T4_T5_mT6_T7_P12ihipStream_tbENKUlT_T0_E_clISt17integral_constantIbLb0EES10_IbLb1EEEEDaSW_SX_EUlSW_E_NS1_11comp_targetILNS1_3genE9ELNS1_11target_archE1100ELNS1_3gpuE3ELNS1_3repE0EEENS1_30default_config_static_selectorELNS0_4arch9wavefront6targetE0EEEvT1_
; %bb.0:
	.section	.rodata,"a",@progbits
	.p2align	6, 0x0
	.amdhsa_kernel _ZN7rocprim17ROCPRIM_400000_NS6detail17trampoline_kernelINS0_14default_configENS1_27scan_by_key_config_selectorIijEEZZNS1_16scan_by_key_implILNS1_25lookback_scan_determinismE0ELb0ES3_N6thrust23THRUST_200600_302600_NS6detail15normal_iteratorINS9_10device_ptrIiEEEENSB_INSC_IjEEEESG_jNS9_4plusIvEENS9_8equal_toIvEEjEE10hipError_tPvRmT2_T3_T4_T5_mT6_T7_P12ihipStream_tbENKUlT_T0_E_clISt17integral_constantIbLb0EES10_IbLb1EEEEDaSW_SX_EUlSW_E_NS1_11comp_targetILNS1_3genE9ELNS1_11target_archE1100ELNS1_3gpuE3ELNS1_3repE0EEENS1_30default_config_static_selectorELNS0_4arch9wavefront6targetE0EEEvT1_
		.amdhsa_group_segment_fixed_size 0
		.amdhsa_private_segment_fixed_size 0
		.amdhsa_kernarg_size 112
		.amdhsa_user_sgpr_count 6
		.amdhsa_user_sgpr_private_segment_buffer 1
		.amdhsa_user_sgpr_dispatch_ptr 0
		.amdhsa_user_sgpr_queue_ptr 0
		.amdhsa_user_sgpr_kernarg_segment_ptr 1
		.amdhsa_user_sgpr_dispatch_id 0
		.amdhsa_user_sgpr_flat_scratch_init 0
		.amdhsa_user_sgpr_private_segment_size 0
		.amdhsa_wavefront_size32 1
		.amdhsa_uses_dynamic_stack 0
		.amdhsa_system_sgpr_private_segment_wavefront_offset 0
		.amdhsa_system_sgpr_workgroup_id_x 1
		.amdhsa_system_sgpr_workgroup_id_y 0
		.amdhsa_system_sgpr_workgroup_id_z 0
		.amdhsa_system_sgpr_workgroup_info 0
		.amdhsa_system_vgpr_workitem_id 0
		.amdhsa_next_free_vgpr 1
		.amdhsa_next_free_sgpr 1
		.amdhsa_reserve_vcc 0
		.amdhsa_reserve_flat_scratch 0
		.amdhsa_float_round_mode_32 0
		.amdhsa_float_round_mode_16_64 0
		.amdhsa_float_denorm_mode_32 3
		.amdhsa_float_denorm_mode_16_64 3
		.amdhsa_dx10_clamp 1
		.amdhsa_ieee_mode 1
		.amdhsa_fp16_overflow 0
		.amdhsa_workgroup_processor_mode 1
		.amdhsa_memory_ordered 1
		.amdhsa_forward_progress 1
		.amdhsa_shared_vgpr_count 0
		.amdhsa_exception_fp_ieee_invalid_op 0
		.amdhsa_exception_fp_denorm_src 0
		.amdhsa_exception_fp_ieee_div_zero 0
		.amdhsa_exception_fp_ieee_overflow 0
		.amdhsa_exception_fp_ieee_underflow 0
		.amdhsa_exception_fp_ieee_inexact 0
		.amdhsa_exception_int_div_zero 0
	.end_amdhsa_kernel
	.section	.text._ZN7rocprim17ROCPRIM_400000_NS6detail17trampoline_kernelINS0_14default_configENS1_27scan_by_key_config_selectorIijEEZZNS1_16scan_by_key_implILNS1_25lookback_scan_determinismE0ELb0ES3_N6thrust23THRUST_200600_302600_NS6detail15normal_iteratorINS9_10device_ptrIiEEEENSB_INSC_IjEEEESG_jNS9_4plusIvEENS9_8equal_toIvEEjEE10hipError_tPvRmT2_T3_T4_T5_mT6_T7_P12ihipStream_tbENKUlT_T0_E_clISt17integral_constantIbLb0EES10_IbLb1EEEEDaSW_SX_EUlSW_E_NS1_11comp_targetILNS1_3genE9ELNS1_11target_archE1100ELNS1_3gpuE3ELNS1_3repE0EEENS1_30default_config_static_selectorELNS0_4arch9wavefront6targetE0EEEvT1_,"axG",@progbits,_ZN7rocprim17ROCPRIM_400000_NS6detail17trampoline_kernelINS0_14default_configENS1_27scan_by_key_config_selectorIijEEZZNS1_16scan_by_key_implILNS1_25lookback_scan_determinismE0ELb0ES3_N6thrust23THRUST_200600_302600_NS6detail15normal_iteratorINS9_10device_ptrIiEEEENSB_INSC_IjEEEESG_jNS9_4plusIvEENS9_8equal_toIvEEjEE10hipError_tPvRmT2_T3_T4_T5_mT6_T7_P12ihipStream_tbENKUlT_T0_E_clISt17integral_constantIbLb0EES10_IbLb1EEEEDaSW_SX_EUlSW_E_NS1_11comp_targetILNS1_3genE9ELNS1_11target_archE1100ELNS1_3gpuE3ELNS1_3repE0EEENS1_30default_config_static_selectorELNS0_4arch9wavefront6targetE0EEEvT1_,comdat
.Lfunc_end1261:
	.size	_ZN7rocprim17ROCPRIM_400000_NS6detail17trampoline_kernelINS0_14default_configENS1_27scan_by_key_config_selectorIijEEZZNS1_16scan_by_key_implILNS1_25lookback_scan_determinismE0ELb0ES3_N6thrust23THRUST_200600_302600_NS6detail15normal_iteratorINS9_10device_ptrIiEEEENSB_INSC_IjEEEESG_jNS9_4plusIvEENS9_8equal_toIvEEjEE10hipError_tPvRmT2_T3_T4_T5_mT6_T7_P12ihipStream_tbENKUlT_T0_E_clISt17integral_constantIbLb0EES10_IbLb1EEEEDaSW_SX_EUlSW_E_NS1_11comp_targetILNS1_3genE9ELNS1_11target_archE1100ELNS1_3gpuE3ELNS1_3repE0EEENS1_30default_config_static_selectorELNS0_4arch9wavefront6targetE0EEEvT1_, .Lfunc_end1261-_ZN7rocprim17ROCPRIM_400000_NS6detail17trampoline_kernelINS0_14default_configENS1_27scan_by_key_config_selectorIijEEZZNS1_16scan_by_key_implILNS1_25lookback_scan_determinismE0ELb0ES3_N6thrust23THRUST_200600_302600_NS6detail15normal_iteratorINS9_10device_ptrIiEEEENSB_INSC_IjEEEESG_jNS9_4plusIvEENS9_8equal_toIvEEjEE10hipError_tPvRmT2_T3_T4_T5_mT6_T7_P12ihipStream_tbENKUlT_T0_E_clISt17integral_constantIbLb0EES10_IbLb1EEEEDaSW_SX_EUlSW_E_NS1_11comp_targetILNS1_3genE9ELNS1_11target_archE1100ELNS1_3gpuE3ELNS1_3repE0EEENS1_30default_config_static_selectorELNS0_4arch9wavefront6targetE0EEEvT1_
                                        ; -- End function
	.set _ZN7rocprim17ROCPRIM_400000_NS6detail17trampoline_kernelINS0_14default_configENS1_27scan_by_key_config_selectorIijEEZZNS1_16scan_by_key_implILNS1_25lookback_scan_determinismE0ELb0ES3_N6thrust23THRUST_200600_302600_NS6detail15normal_iteratorINS9_10device_ptrIiEEEENSB_INSC_IjEEEESG_jNS9_4plusIvEENS9_8equal_toIvEEjEE10hipError_tPvRmT2_T3_T4_T5_mT6_T7_P12ihipStream_tbENKUlT_T0_E_clISt17integral_constantIbLb0EES10_IbLb1EEEEDaSW_SX_EUlSW_E_NS1_11comp_targetILNS1_3genE9ELNS1_11target_archE1100ELNS1_3gpuE3ELNS1_3repE0EEENS1_30default_config_static_selectorELNS0_4arch9wavefront6targetE0EEEvT1_.num_vgpr, 0
	.set _ZN7rocprim17ROCPRIM_400000_NS6detail17trampoline_kernelINS0_14default_configENS1_27scan_by_key_config_selectorIijEEZZNS1_16scan_by_key_implILNS1_25lookback_scan_determinismE0ELb0ES3_N6thrust23THRUST_200600_302600_NS6detail15normal_iteratorINS9_10device_ptrIiEEEENSB_INSC_IjEEEESG_jNS9_4plusIvEENS9_8equal_toIvEEjEE10hipError_tPvRmT2_T3_T4_T5_mT6_T7_P12ihipStream_tbENKUlT_T0_E_clISt17integral_constantIbLb0EES10_IbLb1EEEEDaSW_SX_EUlSW_E_NS1_11comp_targetILNS1_3genE9ELNS1_11target_archE1100ELNS1_3gpuE3ELNS1_3repE0EEENS1_30default_config_static_selectorELNS0_4arch9wavefront6targetE0EEEvT1_.num_agpr, 0
	.set _ZN7rocprim17ROCPRIM_400000_NS6detail17trampoline_kernelINS0_14default_configENS1_27scan_by_key_config_selectorIijEEZZNS1_16scan_by_key_implILNS1_25lookback_scan_determinismE0ELb0ES3_N6thrust23THRUST_200600_302600_NS6detail15normal_iteratorINS9_10device_ptrIiEEEENSB_INSC_IjEEEESG_jNS9_4plusIvEENS9_8equal_toIvEEjEE10hipError_tPvRmT2_T3_T4_T5_mT6_T7_P12ihipStream_tbENKUlT_T0_E_clISt17integral_constantIbLb0EES10_IbLb1EEEEDaSW_SX_EUlSW_E_NS1_11comp_targetILNS1_3genE9ELNS1_11target_archE1100ELNS1_3gpuE3ELNS1_3repE0EEENS1_30default_config_static_selectorELNS0_4arch9wavefront6targetE0EEEvT1_.numbered_sgpr, 0
	.set _ZN7rocprim17ROCPRIM_400000_NS6detail17trampoline_kernelINS0_14default_configENS1_27scan_by_key_config_selectorIijEEZZNS1_16scan_by_key_implILNS1_25lookback_scan_determinismE0ELb0ES3_N6thrust23THRUST_200600_302600_NS6detail15normal_iteratorINS9_10device_ptrIiEEEENSB_INSC_IjEEEESG_jNS9_4plusIvEENS9_8equal_toIvEEjEE10hipError_tPvRmT2_T3_T4_T5_mT6_T7_P12ihipStream_tbENKUlT_T0_E_clISt17integral_constantIbLb0EES10_IbLb1EEEEDaSW_SX_EUlSW_E_NS1_11comp_targetILNS1_3genE9ELNS1_11target_archE1100ELNS1_3gpuE3ELNS1_3repE0EEENS1_30default_config_static_selectorELNS0_4arch9wavefront6targetE0EEEvT1_.num_named_barrier, 0
	.set _ZN7rocprim17ROCPRIM_400000_NS6detail17trampoline_kernelINS0_14default_configENS1_27scan_by_key_config_selectorIijEEZZNS1_16scan_by_key_implILNS1_25lookback_scan_determinismE0ELb0ES3_N6thrust23THRUST_200600_302600_NS6detail15normal_iteratorINS9_10device_ptrIiEEEENSB_INSC_IjEEEESG_jNS9_4plusIvEENS9_8equal_toIvEEjEE10hipError_tPvRmT2_T3_T4_T5_mT6_T7_P12ihipStream_tbENKUlT_T0_E_clISt17integral_constantIbLb0EES10_IbLb1EEEEDaSW_SX_EUlSW_E_NS1_11comp_targetILNS1_3genE9ELNS1_11target_archE1100ELNS1_3gpuE3ELNS1_3repE0EEENS1_30default_config_static_selectorELNS0_4arch9wavefront6targetE0EEEvT1_.private_seg_size, 0
	.set _ZN7rocprim17ROCPRIM_400000_NS6detail17trampoline_kernelINS0_14default_configENS1_27scan_by_key_config_selectorIijEEZZNS1_16scan_by_key_implILNS1_25lookback_scan_determinismE0ELb0ES3_N6thrust23THRUST_200600_302600_NS6detail15normal_iteratorINS9_10device_ptrIiEEEENSB_INSC_IjEEEESG_jNS9_4plusIvEENS9_8equal_toIvEEjEE10hipError_tPvRmT2_T3_T4_T5_mT6_T7_P12ihipStream_tbENKUlT_T0_E_clISt17integral_constantIbLb0EES10_IbLb1EEEEDaSW_SX_EUlSW_E_NS1_11comp_targetILNS1_3genE9ELNS1_11target_archE1100ELNS1_3gpuE3ELNS1_3repE0EEENS1_30default_config_static_selectorELNS0_4arch9wavefront6targetE0EEEvT1_.uses_vcc, 0
	.set _ZN7rocprim17ROCPRIM_400000_NS6detail17trampoline_kernelINS0_14default_configENS1_27scan_by_key_config_selectorIijEEZZNS1_16scan_by_key_implILNS1_25lookback_scan_determinismE0ELb0ES3_N6thrust23THRUST_200600_302600_NS6detail15normal_iteratorINS9_10device_ptrIiEEEENSB_INSC_IjEEEESG_jNS9_4plusIvEENS9_8equal_toIvEEjEE10hipError_tPvRmT2_T3_T4_T5_mT6_T7_P12ihipStream_tbENKUlT_T0_E_clISt17integral_constantIbLb0EES10_IbLb1EEEEDaSW_SX_EUlSW_E_NS1_11comp_targetILNS1_3genE9ELNS1_11target_archE1100ELNS1_3gpuE3ELNS1_3repE0EEENS1_30default_config_static_selectorELNS0_4arch9wavefront6targetE0EEEvT1_.uses_flat_scratch, 0
	.set _ZN7rocprim17ROCPRIM_400000_NS6detail17trampoline_kernelINS0_14default_configENS1_27scan_by_key_config_selectorIijEEZZNS1_16scan_by_key_implILNS1_25lookback_scan_determinismE0ELb0ES3_N6thrust23THRUST_200600_302600_NS6detail15normal_iteratorINS9_10device_ptrIiEEEENSB_INSC_IjEEEESG_jNS9_4plusIvEENS9_8equal_toIvEEjEE10hipError_tPvRmT2_T3_T4_T5_mT6_T7_P12ihipStream_tbENKUlT_T0_E_clISt17integral_constantIbLb0EES10_IbLb1EEEEDaSW_SX_EUlSW_E_NS1_11comp_targetILNS1_3genE9ELNS1_11target_archE1100ELNS1_3gpuE3ELNS1_3repE0EEENS1_30default_config_static_selectorELNS0_4arch9wavefront6targetE0EEEvT1_.has_dyn_sized_stack, 0
	.set _ZN7rocprim17ROCPRIM_400000_NS6detail17trampoline_kernelINS0_14default_configENS1_27scan_by_key_config_selectorIijEEZZNS1_16scan_by_key_implILNS1_25lookback_scan_determinismE0ELb0ES3_N6thrust23THRUST_200600_302600_NS6detail15normal_iteratorINS9_10device_ptrIiEEEENSB_INSC_IjEEEESG_jNS9_4plusIvEENS9_8equal_toIvEEjEE10hipError_tPvRmT2_T3_T4_T5_mT6_T7_P12ihipStream_tbENKUlT_T0_E_clISt17integral_constantIbLb0EES10_IbLb1EEEEDaSW_SX_EUlSW_E_NS1_11comp_targetILNS1_3genE9ELNS1_11target_archE1100ELNS1_3gpuE3ELNS1_3repE0EEENS1_30default_config_static_selectorELNS0_4arch9wavefront6targetE0EEEvT1_.has_recursion, 0
	.set _ZN7rocprim17ROCPRIM_400000_NS6detail17trampoline_kernelINS0_14default_configENS1_27scan_by_key_config_selectorIijEEZZNS1_16scan_by_key_implILNS1_25lookback_scan_determinismE0ELb0ES3_N6thrust23THRUST_200600_302600_NS6detail15normal_iteratorINS9_10device_ptrIiEEEENSB_INSC_IjEEEESG_jNS9_4plusIvEENS9_8equal_toIvEEjEE10hipError_tPvRmT2_T3_T4_T5_mT6_T7_P12ihipStream_tbENKUlT_T0_E_clISt17integral_constantIbLb0EES10_IbLb1EEEEDaSW_SX_EUlSW_E_NS1_11comp_targetILNS1_3genE9ELNS1_11target_archE1100ELNS1_3gpuE3ELNS1_3repE0EEENS1_30default_config_static_selectorELNS0_4arch9wavefront6targetE0EEEvT1_.has_indirect_call, 0
	.section	.AMDGPU.csdata,"",@progbits
; Kernel info:
; codeLenInByte = 0
; TotalNumSgprs: 0
; NumVgprs: 0
; ScratchSize: 0
; MemoryBound: 0
; FloatMode: 240
; IeeeMode: 1
; LDSByteSize: 0 bytes/workgroup (compile time only)
; SGPRBlocks: 0
; VGPRBlocks: 0
; NumSGPRsForWavesPerEU: 1
; NumVGPRsForWavesPerEU: 1
; Occupancy: 16
; WaveLimiterHint : 0
; COMPUTE_PGM_RSRC2:SCRATCH_EN: 0
; COMPUTE_PGM_RSRC2:USER_SGPR: 6
; COMPUTE_PGM_RSRC2:TRAP_HANDLER: 0
; COMPUTE_PGM_RSRC2:TGID_X_EN: 1
; COMPUTE_PGM_RSRC2:TGID_Y_EN: 0
; COMPUTE_PGM_RSRC2:TGID_Z_EN: 0
; COMPUTE_PGM_RSRC2:TIDIG_COMP_CNT: 0
	.section	.text._ZN7rocprim17ROCPRIM_400000_NS6detail17trampoline_kernelINS0_14default_configENS1_27scan_by_key_config_selectorIijEEZZNS1_16scan_by_key_implILNS1_25lookback_scan_determinismE0ELb0ES3_N6thrust23THRUST_200600_302600_NS6detail15normal_iteratorINS9_10device_ptrIiEEEENSB_INSC_IjEEEESG_jNS9_4plusIvEENS9_8equal_toIvEEjEE10hipError_tPvRmT2_T3_T4_T5_mT6_T7_P12ihipStream_tbENKUlT_T0_E_clISt17integral_constantIbLb0EES10_IbLb1EEEEDaSW_SX_EUlSW_E_NS1_11comp_targetILNS1_3genE8ELNS1_11target_archE1030ELNS1_3gpuE2ELNS1_3repE0EEENS1_30default_config_static_selectorELNS0_4arch9wavefront6targetE0EEEvT1_,"axG",@progbits,_ZN7rocprim17ROCPRIM_400000_NS6detail17trampoline_kernelINS0_14default_configENS1_27scan_by_key_config_selectorIijEEZZNS1_16scan_by_key_implILNS1_25lookback_scan_determinismE0ELb0ES3_N6thrust23THRUST_200600_302600_NS6detail15normal_iteratorINS9_10device_ptrIiEEEENSB_INSC_IjEEEESG_jNS9_4plusIvEENS9_8equal_toIvEEjEE10hipError_tPvRmT2_T3_T4_T5_mT6_T7_P12ihipStream_tbENKUlT_T0_E_clISt17integral_constantIbLb0EES10_IbLb1EEEEDaSW_SX_EUlSW_E_NS1_11comp_targetILNS1_3genE8ELNS1_11target_archE1030ELNS1_3gpuE2ELNS1_3repE0EEENS1_30default_config_static_selectorELNS0_4arch9wavefront6targetE0EEEvT1_,comdat
	.protected	_ZN7rocprim17ROCPRIM_400000_NS6detail17trampoline_kernelINS0_14default_configENS1_27scan_by_key_config_selectorIijEEZZNS1_16scan_by_key_implILNS1_25lookback_scan_determinismE0ELb0ES3_N6thrust23THRUST_200600_302600_NS6detail15normal_iteratorINS9_10device_ptrIiEEEENSB_INSC_IjEEEESG_jNS9_4plusIvEENS9_8equal_toIvEEjEE10hipError_tPvRmT2_T3_T4_T5_mT6_T7_P12ihipStream_tbENKUlT_T0_E_clISt17integral_constantIbLb0EES10_IbLb1EEEEDaSW_SX_EUlSW_E_NS1_11comp_targetILNS1_3genE8ELNS1_11target_archE1030ELNS1_3gpuE2ELNS1_3repE0EEENS1_30default_config_static_selectorELNS0_4arch9wavefront6targetE0EEEvT1_ ; -- Begin function _ZN7rocprim17ROCPRIM_400000_NS6detail17trampoline_kernelINS0_14default_configENS1_27scan_by_key_config_selectorIijEEZZNS1_16scan_by_key_implILNS1_25lookback_scan_determinismE0ELb0ES3_N6thrust23THRUST_200600_302600_NS6detail15normal_iteratorINS9_10device_ptrIiEEEENSB_INSC_IjEEEESG_jNS9_4plusIvEENS9_8equal_toIvEEjEE10hipError_tPvRmT2_T3_T4_T5_mT6_T7_P12ihipStream_tbENKUlT_T0_E_clISt17integral_constantIbLb0EES10_IbLb1EEEEDaSW_SX_EUlSW_E_NS1_11comp_targetILNS1_3genE8ELNS1_11target_archE1030ELNS1_3gpuE2ELNS1_3repE0EEENS1_30default_config_static_selectorELNS0_4arch9wavefront6targetE0EEEvT1_
	.globl	_ZN7rocprim17ROCPRIM_400000_NS6detail17trampoline_kernelINS0_14default_configENS1_27scan_by_key_config_selectorIijEEZZNS1_16scan_by_key_implILNS1_25lookback_scan_determinismE0ELb0ES3_N6thrust23THRUST_200600_302600_NS6detail15normal_iteratorINS9_10device_ptrIiEEEENSB_INSC_IjEEEESG_jNS9_4plusIvEENS9_8equal_toIvEEjEE10hipError_tPvRmT2_T3_T4_T5_mT6_T7_P12ihipStream_tbENKUlT_T0_E_clISt17integral_constantIbLb0EES10_IbLb1EEEEDaSW_SX_EUlSW_E_NS1_11comp_targetILNS1_3genE8ELNS1_11target_archE1030ELNS1_3gpuE2ELNS1_3repE0EEENS1_30default_config_static_selectorELNS0_4arch9wavefront6targetE0EEEvT1_
	.p2align	8
	.type	_ZN7rocprim17ROCPRIM_400000_NS6detail17trampoline_kernelINS0_14default_configENS1_27scan_by_key_config_selectorIijEEZZNS1_16scan_by_key_implILNS1_25lookback_scan_determinismE0ELb0ES3_N6thrust23THRUST_200600_302600_NS6detail15normal_iteratorINS9_10device_ptrIiEEEENSB_INSC_IjEEEESG_jNS9_4plusIvEENS9_8equal_toIvEEjEE10hipError_tPvRmT2_T3_T4_T5_mT6_T7_P12ihipStream_tbENKUlT_T0_E_clISt17integral_constantIbLb0EES10_IbLb1EEEEDaSW_SX_EUlSW_E_NS1_11comp_targetILNS1_3genE8ELNS1_11target_archE1030ELNS1_3gpuE2ELNS1_3repE0EEENS1_30default_config_static_selectorELNS0_4arch9wavefront6targetE0EEEvT1_,@function
_ZN7rocprim17ROCPRIM_400000_NS6detail17trampoline_kernelINS0_14default_configENS1_27scan_by_key_config_selectorIijEEZZNS1_16scan_by_key_implILNS1_25lookback_scan_determinismE0ELb0ES3_N6thrust23THRUST_200600_302600_NS6detail15normal_iteratorINS9_10device_ptrIiEEEENSB_INSC_IjEEEESG_jNS9_4plusIvEENS9_8equal_toIvEEjEE10hipError_tPvRmT2_T3_T4_T5_mT6_T7_P12ihipStream_tbENKUlT_T0_E_clISt17integral_constantIbLb0EES10_IbLb1EEEEDaSW_SX_EUlSW_E_NS1_11comp_targetILNS1_3genE8ELNS1_11target_archE1030ELNS1_3gpuE2ELNS1_3repE0EEENS1_30default_config_static_selectorELNS0_4arch9wavefront6targetE0EEEvT1_: ; @_ZN7rocprim17ROCPRIM_400000_NS6detail17trampoline_kernelINS0_14default_configENS1_27scan_by_key_config_selectorIijEEZZNS1_16scan_by_key_implILNS1_25lookback_scan_determinismE0ELb0ES3_N6thrust23THRUST_200600_302600_NS6detail15normal_iteratorINS9_10device_ptrIiEEEENSB_INSC_IjEEEESG_jNS9_4plusIvEENS9_8equal_toIvEEjEE10hipError_tPvRmT2_T3_T4_T5_mT6_T7_P12ihipStream_tbENKUlT_T0_E_clISt17integral_constantIbLb0EES10_IbLb1EEEEDaSW_SX_EUlSW_E_NS1_11comp_targetILNS1_3genE8ELNS1_11target_archE1030ELNS1_3gpuE2ELNS1_3repE0EEENS1_30default_config_static_selectorELNS0_4arch9wavefront6targetE0EEEvT1_
; %bb.0:
	s_clause 0x1
	s_load_dwordx4 s[24:27], s[4:5], 0x28
	s_load_dwordx2 s[28:29], s[4:5], 0x38
	v_cmp_ne_u32_e64 s1, 0, v0
	v_cmp_eq_u32_e64 s0, 0, v0
	s_and_saveexec_b32 s2, s0
	s_cbranch_execz .LBB1262_4
; %bb.1:
	s_mov_b32 s6, exec_lo
	s_mov_b32 s3, exec_lo
	v_mbcnt_lo_u32_b32 v1, s6, 0
                                        ; implicit-def: $vgpr2
	v_cmpx_eq_u32_e32 0, v1
	s_cbranch_execz .LBB1262_3
; %bb.2:
	s_load_dwordx2 s[8:9], s[4:5], 0x68
	s_bcnt1_i32_b32 s6, s6
	v_mov_b32_e32 v2, 0
	v_mov_b32_e32 v3, s6
	s_waitcnt lgkmcnt(0)
	global_atomic_add v2, v2, v3, s[8:9] glc
.LBB1262_3:
	s_or_b32 exec_lo, exec_lo, s3
	s_waitcnt vmcnt(0)
	v_readfirstlane_b32 s3, v2
	v_mov_b32_e32 v2, 0
	v_add_nc_u32_e32 v1, s3, v1
	ds_write_b32 v2, v1
.LBB1262_4:
	s_or_b32 exec_lo, exec_lo, s2
	v_mov_b32_e32 v1, 0
	s_clause 0x2
	s_load_dwordx8 s[8:15], s[4:5], 0x0
	s_load_dword s30, s[4:5], 0x40
	s_load_dwordx8 s[16:23], s[4:5], 0x48
	s_waitcnt lgkmcnt(0)
	s_barrier
	buffer_gl0_inv
	ds_read_b32 v1, v1
	s_waitcnt lgkmcnt(0)
	s_barrier
	buffer_gl0_inv
	s_barrier
	buffer_gl0_inv
	s_lshl_b64 s[6:7], s[10:11], 2
	s_mul_i32 s2, s29, s30
	s_add_u32 s4, s8, s6
	s_addc_u32 s5, s9, s7
	s_mul_hi_u32 s3, s28, s30
	s_add_u32 s12, s12, s6
	v_readfirstlane_b32 s27, v1
	s_addc_u32 s13, s13, s7
	s_add_i32 s33, s3, s2
	s_cmp_lg_u64 s[20:21], 0
	s_mov_b32 s3, 0
	s_mul_i32 s2, s27, 0x300
	s_cselect_b32 s31, -1, 0
	s_lshl_b64 s[8:9], s[2:3], 2
	s_mul_i32 s2, s28, s30
	s_add_u32 s10, s4, s8
	s_addc_u32 s11, s5, s9
	s_add_u32 s5, s12, s8
	s_addc_u32 s30, s13, s9
	;; [unrolled: 2-line block ×3, first 2 shown]
	s_add_u32 s16, s16, -1
	s_addc_u32 s17, s17, -1
	s_mul_i32 s21, s16, 0xfffffd00
	v_cmp_ge_u64_e64 s20, s[12:13], s[16:17]
	s_and_b32 vcc_lo, exec_lo, s20
	s_cbranch_vccz .LBB1262_26
; %bb.5:
	v_mov_b32_e32 v1, s10
	v_mov_b32_e32 v2, s11
	s_add_i32 s33, s21, s26
	v_cmp_gt_u32_e64 s2, s33, v0
	flat_load_dword v2, v[1:2]
	s_waitcnt vmcnt(0) lgkmcnt(0)
	v_mov_b32_e32 v3, v2
	s_and_saveexec_b32 s3, s2
	s_cbranch_execz .LBB1262_7
; %bb.6:
	v_lshlrev_b32_e32 v1, 2, v0
	v_add_co_u32 v3, s4, s10, v1
	v_add_co_ci_u32_e64 v4, null, s11, 0, s4
	flat_load_dword v3, v[3:4]
.LBB1262_7:
	s_or_b32 exec_lo, exec_lo, s3
	v_or_b32_e32 v1, 0x100, v0
	v_mov_b32_e32 v4, v2
	v_cmp_gt_u32_e64 s3, s33, v1
	s_and_saveexec_b32 s4, s3
	s_cbranch_execz .LBB1262_9
; %bb.8:
	v_lshlrev_b32_e32 v1, 2, v0
	v_add_co_u32 v4, s16, s10, v1
	v_add_co_ci_u32_e64 v5, null, s11, 0, s16
	flat_load_dword v4, v[4:5] offset:1024
.LBB1262_9:
	s_or_b32 exec_lo, exec_lo, s4
	v_or_b32_e32 v1, 0x200, v0
	v_cmp_gt_u32_e64 s4, s33, v1
	v_lshlrev_b32_e32 v8, 2, v1
	s_and_saveexec_b32 s16, s4
	s_cbranch_execz .LBB1262_11
; %bb.10:
	v_add_co_u32 v1, s17, s10, v8
	v_add_co_ci_u32_e64 v2, null, s11, 0, s17
	flat_load_dword v2, v[1:2]
.LBB1262_11:
	s_or_b32 exec_lo, exec_lo, s16
	v_lshlrev_b32_e32 v9, 2, v0
	v_lshlrev_b32_e32 v1, 3, v0
	s_cmp_eq_u64 s[12:13], 0
	s_mov_b64 s[16:17], s[10:11]
	s_waitcnt vmcnt(0) lgkmcnt(0)
	ds_write2st64_b32 v9, v3, v4 offset1:4
	v_add_nc_u32_e32 v7, v9, v1
	ds_write_b32 v9, v2 offset:2048
	s_waitcnt lgkmcnt(0)
	s_barrier
	buffer_gl0_inv
	ds_read2_b32 v[4:5], v7 offset1:1
	ds_read_b32 v6, v7 offset:8
	s_cbranch_scc1 .LBB1262_15
; %bb.12:
	s_andn2_b32 vcc_lo, exec_lo, s31
	s_cbranch_vccnz .LBB1262_105
; %bb.13:
	s_lshl_b64 s[16:17], s[12:13], 2
	s_add_u32 s16, s22, s16
	s_addc_u32 s17, s23, s17
	s_add_u32 s16, s16, -4
	s_addc_u32 s17, s17, -1
	s_cbranch_execnz .LBB1262_15
.LBB1262_14:
	s_add_u32 s16, s10, -4
	s_addc_u32 s17, s11, -1
.LBB1262_15:
	v_mov_b32_e32 v2, s16
	v_mov_b32_e32 v3, s17
	flat_load_dword v13, v[2:3]
	v_sub_nc_u32_e32 v2, v7, v1
	s_waitcnt lgkmcnt(1)
	ds_write_b32 v2, v6 offset:3072
	s_waitcnt vmcnt(0) lgkmcnt(0)
	s_barrier
	buffer_gl0_inv
	s_and_saveexec_b32 s16, s1
; %bb.16:
	v_sub_nc_u32_e32 v1, 0, v1
	v_add_nc_u32_e32 v1, v7, v1
	ds_read_b32 v13, v1 offset:3068
; %bb.17:
	s_or_b32 exec_lo, exec_lo, s16
	v_mov_b32_e32 v1, 0
	s_waitcnt lgkmcnt(0)
	s_barrier
	buffer_gl0_inv
	v_mov_b32_e32 v2, v1
	v_mov_b32_e32 v3, v1
	s_and_saveexec_b32 s16, s2
	s_cbranch_execnz .LBB1262_103
; %bb.18:
	s_or_b32 exec_lo, exec_lo, s16
	s_and_saveexec_b32 s2, s3
	s_cbranch_execnz .LBB1262_104
.LBB1262_19:
	s_or_b32 exec_lo, exec_lo, s2
	s_and_saveexec_b32 s2, s4
	s_cbranch_execz .LBB1262_21
.LBB1262_20:
	v_add_co_u32 v10, s3, s5, v8
	v_add_co_ci_u32_e64 v11, null, s30, 0, s3
	flat_load_dword v3, v[10:11]
.LBB1262_21:
	s_or_b32 exec_lo, exec_lo, s2
	s_waitcnt vmcnt(0) lgkmcnt(0)
	ds_write2st64_b32 v9, v1, v2 offset1:4
	ds_write_b32 v9, v3 offset:2048
	v_mov_b32_e32 v9, 0
	v_mov_b32_e32 v11, 0
	v_mul_u32_u24_e32 v8, 3, v0
	v_mov_b32_e32 v10, 0
	v_mov_b32_e32 v12, 0
	s_mov_b32 s16, 0
	s_mov_b32 s3, 0
	s_mov_b32 s17, exec_lo
	s_waitcnt lgkmcnt(0)
	s_barrier
	buffer_gl0_inv
                                        ; implicit-def: $sgpr4
                                        ; implicit-def: $vgpr2
	v_cmpx_gt_u32_e64 s33, v8
	s_cbranch_execz .LBB1262_25
; %bb.22:
	ds_read_b32 v9, v7
	v_cmp_ne_u32_e32 vcc_lo, v13, v4
	v_mov_b32_e32 v11, 0
	v_add_nc_u32_e32 v1, 1, v8
	v_mov_b32_e32 v12, 0
	s_mov_b32 s2, 0
	v_cndmask_b32_e64 v10, 0, 1, vcc_lo
	s_mov_b32 s3, exec_lo
                                        ; implicit-def: $sgpr4
                                        ; implicit-def: $vgpr2
	v_cmpx_gt_u32_e64 s33, v1
	s_xor_b32 s3, exec_lo, s3
	s_cbranch_execz .LBB1262_24
; %bb.23:
	ds_read2_b32 v[1:2], v7 offset0:1 offset1:2
	v_add_nc_u32_e32 v3, 2, v8
	v_cmp_ne_u32_e64 s2, v4, v5
	v_cmp_ne_u32_e64 s4, v5, v6
	v_cmp_gt_u32_e32 vcc_lo, s33, v3
	v_cndmask_b32_e64 v12, 0, 1, s2
	s_and_b32 s2, vcc_lo, exec_lo
	s_waitcnt lgkmcnt(0)
	v_mov_b32_e32 v11, v1
.LBB1262_24:
	s_or_b32 exec_lo, exec_lo, s3
	s_and_b32 s3, s2, exec_lo
.LBB1262_25:
	s_or_b32 exec_lo, exec_lo, s17
	v_lshlrev_b32_e32 v18, 2, v0
	v_lshlrev_b32_e32 v19, 3, v0
	s_and_b32 vcc_lo, exec_lo, s16
	s_cbranch_vccnz .LBB1262_27
	s_branch .LBB1262_35
.LBB1262_26:
                                        ; implicit-def: $sgpr4
                                        ; implicit-def: $vgpr2
                                        ; implicit-def: $vgpr9_vgpr10
                                        ; implicit-def: $vgpr11_vgpr12
	v_lshlrev_b32_e32 v18, 2, v0
	v_lshlrev_b32_e32 v19, 3, v0
	s_cbranch_execz .LBB1262_35
.LBB1262_27:
	v_add_co_u32 v1, s2, s10, v18
	v_add_co_ci_u32_e64 v2, null, s11, 0, s2
	s_cmp_eq_u64 s[12:13], 0
	v_add_co_u32 v3, vcc_lo, 0x800, v1
	v_add_co_ci_u32_e64 v4, null, 0, v2, vcc_lo
	s_clause 0x2
	flat_load_dword v5, v[1:2]
	flat_load_dword v2, v[1:2] offset:1024
	flat_load_dword v3, v[3:4]
	v_add_nc_u32_e32 v1, v18, v19
	s_waitcnt vmcnt(1) lgkmcnt(1)
	ds_write2st64_b32 v18, v5, v2 offset1:4
	s_waitcnt vmcnt(0) lgkmcnt(1)
	ds_write_b32 v18, v3 offset:2048
	s_waitcnt lgkmcnt(0)
	s_barrier
	buffer_gl0_inv
	ds_read2_b32 v[3:4], v1 offset1:1
	ds_read_b32 v5, v1 offset:8
	s_cbranch_scc1 .LBB1262_32
; %bb.28:
	s_andn2_b32 vcc_lo, exec_lo, s31
	s_cbranch_vccnz .LBB1262_106
; %bb.29:
	s_lshl_b64 s[2:3], s[12:13], 2
	s_add_u32 s2, s22, s2
	s_addc_u32 s3, s23, s3
	s_add_u32 s2, s2, -4
	s_addc_u32 s3, s3, -1
	s_cbranch_execnz .LBB1262_31
.LBB1262_30:
	s_add_u32 s2, s10, -4
	s_addc_u32 s3, s11, -1
.LBB1262_31:
	s_mov_b64 s[10:11], s[2:3]
.LBB1262_32:
	v_mov_b32_e32 v6, s10
	v_mov_b32_e32 v7, s11
	v_sub_nc_u32_e32 v2, v1, v19
	flat_load_dword v6, v[6:7]
	s_waitcnt lgkmcnt(1)
	ds_write_b32 v2, v5 offset:3072
	s_waitcnt vmcnt(0) lgkmcnt(0)
	s_barrier
	buffer_gl0_inv
	s_and_saveexec_b32 s2, s1
; %bb.33:
	v_sub_nc_u32_e32 v2, 0, v19
	v_add_nc_u32_e32 v2, v1, v2
	ds_read_b32 v6, v2 offset:3068
; %bb.34:
	s_or_b32 exec_lo, exec_lo, s2
	v_add_co_u32 v7, s2, s5, v18
	v_add_co_ci_u32_e64 v8, null, s30, 0, s2
	s_waitcnt lgkmcnt(0)
	v_add_co_u32 v9, vcc_lo, 0x800, v7
	v_add_co_ci_u32_e64 v10, null, 0, v8, vcc_lo
	s_barrier
	buffer_gl0_inv
	s_clause 0x2
	flat_load_dword v2, v[7:8]
	flat_load_dword v7, v[7:8] offset:1024
	flat_load_dword v8, v[9:10]
	v_cmp_ne_u32_e32 vcc_lo, v6, v3
	v_cmp_ne_u32_e64 s4, v4, v5
	s_mov_b32 s3, -1
	s_waitcnt vmcnt(1) lgkmcnt(1)
	ds_write2st64_b32 v18, v2, v7 offset1:4
	s_waitcnt vmcnt(0) lgkmcnt(1)
	ds_write_b32 v18, v8 offset:2048
	s_waitcnt lgkmcnt(0)
	s_barrier
	buffer_gl0_inv
	ds_read2_b32 v[7:8], v1 offset1:1
	ds_read_b32 v2, v1 offset:8
	v_cndmask_b32_e64 v10, 0, 1, vcc_lo
	v_cmp_ne_u32_e32 vcc_lo, v3, v4
	v_cndmask_b32_e64 v12, 0, 1, vcc_lo
	s_waitcnt lgkmcnt(1)
	v_mov_b32_e32 v9, v7
	v_mov_b32_e32 v11, v8
.LBB1262_35:
	v_mov_b32_e32 v13, 0
	v_mov_b32_e32 v14, 0
	s_and_saveexec_b32 s2, s3
	s_cbranch_execz .LBB1262_37
; %bb.36:
	v_cndmask_b32_e64 v14, 0, 1, s4
	s_waitcnt lgkmcnt(0)
	v_mov_b32_e32 v13, v2
.LBB1262_37:
	s_or_b32 exec_lo, exec_lo, s2
	v_or_b32_e32 v23, v12, v14
	v_mbcnt_lo_u32_b32 v20, -1, 0
	v_lshrrev_b32_e32 v21, 5, v0
	v_or_b32_e32 v22, 31, v0
	s_cmp_lg_u32 s27, 0
	s_mov_b32 s4, 0
	s_waitcnt lgkmcnt(0)
	s_barrier
	buffer_gl0_inv
	s_cbranch_scc0 .LBB1262_63
; %bb.38:
	v_and_b32_e32 v2, 0xff, v23
	v_mov_b32_e32 v1, 0
	s_mov_b32 s5, 1
	v_and_b32_e32 v8, 15, v20
	v_cmp_gt_u64_e64 s2, s[4:5], v[11:12]
	v_cmp_gt_u64_e64 s3, s[4:5], v[13:14]
	v_cmp_eq_u64_e32 vcc_lo, 0, v[1:2]
	v_cndmask_b32_e64 v3, 0, v9, s2
	v_cndmask_b32_e32 v2, 1, v10, vcc_lo
	v_add_nc_u32_e32 v3, v3, v11
	v_and_b32_e32 v4, 0xff, v2
	v_and_b32_e32 v6, 1, v2
	v_cndmask_b32_e64 v3, 0, v3, s3
	v_mov_b32_dpp v5, v4 row_shr:1 row_mask:0xf bank_mask:0xf
	v_cmp_eq_u32_e32 vcc_lo, 1, v6
	v_add_nc_u32_e32 v3, v3, v13
	v_and_b32_e32 v5, 1, v5
	v_mov_b32_dpp v7, v3 row_shr:1 row_mask:0xf bank_mask:0xf
	v_cndmask_b32_e64 v5, v5, 1, vcc_lo
	v_cmp_eq_u16_e32 vcc_lo, 0, v4
	v_cndmask_b32_e32 v6, 0, v7, vcc_lo
	v_cmp_eq_u32_e32 vcc_lo, 0, v8
	v_cndmask_b32_e32 v4, v5, v4, vcc_lo
	v_cndmask_b32_e32 v2, v5, v2, vcc_lo
	v_cndmask_b32_e64 v6, v6, 0, vcc_lo
	v_mov_b32_dpp v5, v4 row_shr:2 row_mask:0xf bank_mask:0xf
	v_and_b32_e32 v7, 1, v2
	v_add_nc_u32_e32 v3, v6, v3
	v_cmp_eq_u16_sdwa s4, v2, v1 src0_sel:BYTE_0 src1_sel:DWORD
	v_and_b32_e32 v5, 1, v5
	v_cmp_eq_u32_e32 vcc_lo, 1, v7
	v_cndmask_b32_e64 v5, v5, 1, vcc_lo
	v_cmp_lt_u32_e32 vcc_lo, 1, v8
	v_cndmask_b32_e32 v7, v2, v5, vcc_lo
	v_cndmask_b32_e32 v4, v4, v5, vcc_lo
	v_mov_b32_dpp v2, v3 row_shr:2 row_mask:0xf bank_mask:0xf
	s_and_b32 vcc_lo, vcc_lo, s4
	v_and_b32_e32 v6, 1, v7
	v_mov_b32_dpp v5, v4 row_shr:4 row_mask:0xf bank_mask:0xf
	v_cndmask_b32_e32 v2, 0, v2, vcc_lo
	v_cmp_eq_u16_sdwa s4, v7, v1 src0_sel:BYTE_0 src1_sel:DWORD
	v_cmp_eq_u32_e32 vcc_lo, 1, v6
	v_and_b32_e32 v5, 1, v5
	v_add_nc_u32_e32 v2, v2, v3
	v_cndmask_b32_e64 v5, v5, 1, vcc_lo
	v_cmp_lt_u32_e32 vcc_lo, 3, v8
	v_cndmask_b32_e32 v3, v7, v5, vcc_lo
	v_cndmask_b32_e32 v4, v4, v5, vcc_lo
	v_mov_b32_dpp v5, v2 row_shr:4 row_mask:0xf bank_mask:0xf
	s_and_b32 vcc_lo, vcc_lo, s4
	v_and_b32_e32 v7, 1, v3
	v_mov_b32_dpp v6, v4 row_shr:8 row_mask:0xf bank_mask:0xf
	v_cndmask_b32_e32 v5, 0, v5, vcc_lo
	v_cmp_eq_u16_sdwa s4, v3, v1 src0_sel:BYTE_0 src1_sel:DWORD
	v_cmp_eq_u32_e32 vcc_lo, 1, v7
	v_and_b32_e32 v6, 1, v6
	v_add_nc_u32_e32 v2, v5, v2
	v_bfe_i32 v7, v20, 4, 1
	v_cndmask_b32_e64 v5, v6, 1, vcc_lo
	v_cmp_lt_u32_e32 vcc_lo, 7, v8
	v_mov_b32_dpp v6, v2 row_shr:8 row_mask:0xf bank_mask:0xf
	s_and_b32 s4, vcc_lo, s4
	v_cndmask_b32_e32 v4, v4, v5, vcc_lo
	v_cndmask_b32_e64 v6, 0, v6, s4
	v_cndmask_b32_e32 v3, v3, v5, vcc_lo
	ds_swizzle_b32 v5, v4 offset:swizzle(BROADCAST,32,15)
	v_add_nc_u32_e32 v2, v6, v2
	v_and_b32_e32 v8, 1, v3
	v_cmp_eq_u16_sdwa vcc_lo, v3, v1 src0_sel:BYTE_0 src1_sel:DWORD
	v_and_b32_e32 v3, 16, v20
	ds_swizzle_b32 v6, v2 offset:swizzle(BROADCAST,32,15)
	v_cmp_eq_u32_e64 s4, 0, v3
	s_waitcnt lgkmcnt(1)
	v_and_b32_e32 v5, 1, v5
	s_waitcnt lgkmcnt(0)
	v_cndmask_b32_e32 v1, 0, v6, vcc_lo
	v_cmp_eq_u32_e32 vcc_lo, 1, v8
	v_and_b32_e32 v1, v7, v1
	v_cndmask_b32_e64 v5, v5, 1, vcc_lo
	v_add_nc_u32_e32 v3, v1, v2
	v_cndmask_b32_e64 v4, v5, v4, s4
	v_lshlrev_b32_e32 v5, 3, v21
	s_mov_b32 s4, exec_lo
	v_cmpx_eq_u32_e64 v0, v22
	s_cbranch_execz .LBB1262_40
; %bb.39:
	ds_write_b32 v5, v3
	ds_write_b8 v5, v4 offset:4
.LBB1262_40:
	s_or_b32 exec_lo, exec_lo, s4
	s_mov_b32 s4, exec_lo
	s_waitcnt lgkmcnt(0)
	s_barrier
	buffer_gl0_inv
	v_cmpx_gt_u32_e32 8, v0
	s_cbranch_execz .LBB1262_46
; %bb.41:
	ds_read_b64 v[1:2], v19
	v_and_b32_e32 v6, 7, v20
	s_mov_b32 s5, exec_lo
	s_waitcnt lgkmcnt(0)
	v_and_b32_e32 v7, 0xffffff00, v2
	v_mov_b32_dpp v15, v1 row_shr:1 row_mask:0xf bank_mask:0xf
	v_mov_b32_dpp v16, v2 row_shr:1 row_mask:0xf bank_mask:0xf
	v_mov_b32_e32 v8, v2
	v_cmpx_ne_u32_e32 0, v6
	s_cbranch_execz .LBB1262_43
; %bb.42:
	v_mov_b32_e32 v8, 0
	v_and_b32_e32 v17, 1, v2
	v_and_b32_e32 v16, 1, v16
	v_cmp_eq_u16_sdwa vcc_lo, v2, v8 src0_sel:BYTE_0 src1_sel:DWORD
	v_cndmask_b32_e32 v2, 0, v15, vcc_lo
	v_cmp_eq_u32_e32 vcc_lo, 1, v17
	v_add_nc_u32_e32 v1, v2, v1
	v_cndmask_b32_e64 v15, v16, 1, vcc_lo
	v_or_b32_sdwa v8, v7, v15 dst_sel:DWORD dst_unused:UNUSED_PAD src0_sel:DWORD src1_sel:WORD_0
	v_mov_b32_e32 v2, v15
.LBB1262_43:
	s_or_b32 exec_lo, exec_lo, s5
	v_mov_b32_dpp v15, v1 row_shr:2 row_mask:0xf bank_mask:0xf
	v_mov_b32_dpp v16, v8 row_shr:2 row_mask:0xf bank_mask:0xf
	s_mov_b32 s5, exec_lo
	v_cmpx_lt_u32_e32 1, v6
	s_cbranch_execz .LBB1262_45
; %bb.44:
	v_mov_b32_e32 v8, 0
	v_and_b32_e32 v17, 1, v2
	v_and_b32_e32 v16, 1, v16
	v_cmp_eq_u16_sdwa vcc_lo, v2, v8 src0_sel:BYTE_0 src1_sel:DWORD
	v_cndmask_b32_e32 v2, 0, v15, vcc_lo
	v_cmp_eq_u32_e32 vcc_lo, 1, v17
	v_add_nc_u32_e32 v1, v2, v1
	v_cndmask_b32_e64 v15, v16, 1, vcc_lo
	v_or_b32_sdwa v8, v7, v15 dst_sel:DWORD dst_unused:UNUSED_PAD src0_sel:DWORD src1_sel:WORD_0
	v_mov_b32_e32 v2, v15
.LBB1262_45:
	s_or_b32 exec_lo, exec_lo, s5
	v_mov_b32_dpp v7, v8 row_shr:4 row_mask:0xf bank_mask:0xf
	v_and_b32_e32 v15, 1, v2
	v_mov_b32_e32 v8, 0
	v_and_b32_e32 v7, 1, v7
	v_cmp_eq_u32_e32 vcc_lo, 1, v15
	v_cmp_eq_u16_sdwa s5, v2, v8 src0_sel:BYTE_0 src1_sel:DWORD
	v_cndmask_b32_e64 v7, v7, 1, vcc_lo
	v_cmp_lt_u32_e32 vcc_lo, 3, v6
	v_mov_b32_dpp v6, v1 row_shr:4 row_mask:0xf bank_mask:0xf
	v_cndmask_b32_e32 v2, v2, v7, vcc_lo
	s_and_b32 vcc_lo, vcc_lo, s5
	v_cndmask_b32_e32 v6, 0, v6, vcc_lo
	v_add_nc_u32_e32 v1, v6, v1
	ds_write_b32 v19, v1
	ds_write_b8 v19, v2 offset:4
.LBB1262_46:
	s_or_b32 exec_lo, exec_lo, s4
	v_mov_b32_e32 v24, 0
	v_mov_b32_e32 v25, 0
	s_mov_b32 s5, exec_lo
	v_cmp_gt_u32_e32 vcc_lo, 32, v0
	s_waitcnt lgkmcnt(0)
	s_barrier
	buffer_gl0_inv
	v_cmpx_lt_u32_e32 31, v0
	s_cbranch_execz .LBB1262_48
; %bb.47:
	v_add_nc_u32_e32 v1, -8, v5
	v_cmp_eq_u32_e64 s4, 0, v4
	v_and_b32_e32 v2, 1, v4
	ds_read_b32 v24, v1
	v_add_nc_u32_e32 v1, -4, v5
	ds_read_u8 v25, v1
	s_waitcnt lgkmcnt(1)
	v_cndmask_b32_e64 v1, 0, v24, s4
	v_cmp_eq_u32_e64 s4, 1, v2
	v_add_nc_u32_e32 v3, v1, v3
	s_waitcnt lgkmcnt(0)
	v_cndmask_b32_e64 v4, v25, 1, s4
.LBB1262_48:
	s_or_b32 exec_lo, exec_lo, s5
	v_sub_co_u32 v1, s4, v20, 1
	v_cmp_gt_i32_e64 s5, 0, v1
	v_cndmask_b32_e64 v1, v1, v20, s5
	v_lshlrev_b32_e32 v1, 2, v1
	ds_bpermute_b32 v26, v1, v3
	ds_bpermute_b32 v27, v1, v4
	s_and_saveexec_b32 s12, vcc_lo
	s_cbranch_execz .LBB1262_68
; %bb.49:
	v_mov_b32_e32 v4, 0
	ds_read_b64 v[1:2], v4 offset:56
	s_and_saveexec_b32 s5, s4
	s_cbranch_execz .LBB1262_51
; %bb.50:
	s_add_i32 s10, s27, 32
	s_mov_b32 s11, 0
	v_mov_b32_e32 v3, 1
	s_lshl_b64 s[10:11], s[10:11], 4
	s_add_u32 s10, s24, s10
	s_addc_u32 s11, s25, s11
	v_mov_b32_e32 v5, s10
	v_mov_b32_e32 v6, s11
	s_waitcnt lgkmcnt(0)
	;;#ASMSTART
	global_store_dwordx4 v[5:6], v[1:4] off	
s_waitcnt vmcnt(0)
	;;#ASMEND
.LBB1262_51:
	s_or_b32 exec_lo, exec_lo, s5
	v_xad_u32 v15, v20, -1, s27
	s_mov_b32 s10, 0
	v_add_nc_u32_e32 v3, 32, v15
	v_lshlrev_b64 v[5:6], 4, v[3:4]
	v_add_co_u32 v16, vcc_lo, s24, v5
	v_add_co_ci_u32_e64 v17, null, s25, v6, vcc_lo
	;;#ASMSTART
	global_load_dwordx4 v[5:8], v[16:17] off glc dlc	
s_waitcnt vmcnt(0)
	;;#ASMEND
	v_and_b32_e32 v6, 0xff, v6
	v_cmp_eq_u16_sdwa s11, v7, v4 src0_sel:BYTE_0 src1_sel:DWORD
	s_and_saveexec_b32 s5, s11
	s_cbranch_execz .LBB1262_55
; %bb.52:
	v_mov_b32_e32 v3, 0
.LBB1262_53:                            ; =>This Inner Loop Header: Depth=1
	;;#ASMSTART
	global_load_dwordx4 v[5:8], v[16:17] off glc dlc	
s_waitcnt vmcnt(0)
	;;#ASMEND
	v_cmp_ne_u16_sdwa s11, v7, v3 src0_sel:BYTE_0 src1_sel:DWORD
	s_or_b32 s10, s11, s10
	s_andn2_b32 exec_lo, exec_lo, s10
	s_cbranch_execnz .LBB1262_53
; %bb.54:
	s_or_b32 exec_lo, exec_lo, s10
	v_and_b32_e32 v6, 0xff, v6
.LBB1262_55:
	s_or_b32 exec_lo, exec_lo, s5
	v_cmp_ne_u32_e32 vcc_lo, 31, v20
	v_mov_b32_e32 v28, 2
	v_lshlrev_b32_e64 v29, v20, -1
	v_and_b32_e32 v8, 1, v6
	s_mov_b32 s10, 0
	v_add_co_ci_u32_e64 v3, null, 0, v20, vcc_lo
	v_cmp_eq_u16_sdwa s5, v7, v28 src0_sel:BYTE_0 src1_sel:DWORD
	v_cmp_eq_u32_e32 vcc_lo, 1, v8
	s_mov_b32 s11, 1
	v_lshlrev_b32_e32 v17, 2, v3
	v_add_nc_u32_e32 v37, 8, v20
	v_and_or_b32 v4, s5, v29, 0x80000000
	v_cmp_gt_u64_e64 s5, s[10:11], v[5:6]
	v_lshl_or_b32 v38, v20, 2, 64
	ds_bpermute_b32 v3, v17, v6
	ds_bpermute_b32 v16, v17, v5
	v_ffbl_b32_e32 v4, v4
	v_add_nc_u32_e32 v39, 16, v20
	s_waitcnt lgkmcnt(1)
	v_and_b32_e32 v3, 1, v3
	v_cndmask_b32_e64 v3, v3, 1, vcc_lo
	v_cmp_gt_u32_e32 vcc_lo, 30, v20
	v_and_b32_e32 v31, 0xffff, v3
	v_cndmask_b32_e64 v8, 0, 2, vcc_lo
	v_cmp_lt_u32_e32 vcc_lo, v20, v4
	v_add_lshl_u32 v30, v8, v20, 2
	v_cndmask_b32_e32 v8, v6, v31, vcc_lo
	v_cndmask_b32_e32 v3, v6, v3, vcc_lo
	s_and_b32 vcc_lo, vcc_lo, s5
	s_waitcnt lgkmcnt(0)
	v_cndmask_b32_e32 v6, 0, v16, vcc_lo
	ds_bpermute_b32 v31, v30, v8
	v_and_b32_e32 v16, 1, v3
	v_add_nc_u32_e32 v5, v6, v5
	v_cmp_eq_u32_e32 vcc_lo, 1, v16
	v_mov_b32_e32 v16, 0
	ds_bpermute_b32 v6, v30, v5
	v_cmp_eq_u16_sdwa s5, v3, v16 src0_sel:BYTE_0 src1_sel:DWORD
	s_waitcnt lgkmcnt(1)
	v_and_b32_e32 v32, 1, v31
	v_add_nc_u32_e32 v31, 2, v20
	v_cndmask_b32_e64 v33, v32, 1, vcc_lo
	v_cmp_gt_u32_e32 vcc_lo, 28, v20
	v_and_b32_e32 v34, 0xffff, v33
	v_cndmask_b32_e64 v32, 0, 4, vcc_lo
	v_cmp_gt_u32_e32 vcc_lo, v31, v4
	v_add_lshl_u32 v32, v32, v20, 2
	v_cndmask_b32_e32 v8, v34, v8, vcc_lo
	v_cndmask_b32_e32 v35, v33, v3, vcc_lo
	s_waitcnt lgkmcnt(0)
	v_cndmask_b32_e64 v3, 0, v6, s5
	v_add_nc_u32_e32 v33, 4, v20
	ds_bpermute_b32 v6, v32, v8
	v_and_b32_e32 v34, 1, v35
	v_cndmask_b32_e64 v3, v3, 0, vcc_lo
	v_cmp_eq_u16_sdwa s5, v35, v16 src0_sel:BYTE_0 src1_sel:DWORD
	v_cmp_eq_u32_e32 vcc_lo, 1, v34
	v_add_nc_u32_e32 v3, v3, v5
	ds_bpermute_b32 v5, v32, v3
	s_waitcnt lgkmcnt(1)
	v_and_b32_e32 v6, 1, v6
	v_cndmask_b32_e64 v6, v6, 1, vcc_lo
	v_cmp_gt_u32_e32 vcc_lo, 24, v20
	v_and_b32_e32 v36, 0xffff, v6
	v_cndmask_b32_e64 v34, 0, 8, vcc_lo
	v_cmp_gt_u32_e32 vcc_lo, v33, v4
	s_waitcnt lgkmcnt(0)
	v_cndmask_b32_e64 v5, 0, v5, s5
	v_add_lshl_u32 v34, v34, v20, 2
	v_cndmask_b32_e32 v8, v36, v8, vcc_lo
	v_cndmask_b32_e32 v6, v6, v35, vcc_lo
	v_cndmask_b32_e64 v5, v5, 0, vcc_lo
	ds_bpermute_b32 v35, v34, v8
	v_and_b32_e32 v36, 1, v6
	v_add_nc_u32_e32 v3, v5, v3
	v_cmp_eq_u32_e32 vcc_lo, 1, v36
	ds_bpermute_b32 v5, v34, v3
	s_waitcnt lgkmcnt(1)
	v_and_b32_e32 v35, 1, v35
	v_cndmask_b32_e64 v35, v35, 1, vcc_lo
	v_cmp_eq_u16_sdwa vcc_lo, v6, v16 src0_sel:BYTE_0 src1_sel:DWORD
	v_and_b32_e32 v36, 0xffff, v35
	s_waitcnt lgkmcnt(0)
	v_cndmask_b32_e32 v5, 0, v5, vcc_lo
	v_cmp_gt_u32_e32 vcc_lo, v37, v4
	v_cndmask_b32_e64 v5, v5, 0, vcc_lo
	v_cndmask_b32_e32 v8, v36, v8, vcc_lo
	v_cndmask_b32_e32 v6, v35, v6, vcc_lo
	v_add_nc_u32_e32 v3, v5, v3
	ds_bpermute_b32 v5, v38, v8
	v_and_b32_e32 v35, 1, v6
	v_cmp_eq_u16_sdwa vcc_lo, v6, v16 src0_sel:BYTE_0 src1_sel:DWORD
	ds_bpermute_b32 v8, v38, v3
	s_waitcnt lgkmcnt(1)
	v_and_b32_e32 v5, 1, v5
	s_waitcnt lgkmcnt(0)
	v_cndmask_b32_e32 v8, 0, v8, vcc_lo
	v_cmp_eq_u32_e32 vcc_lo, 1, v35
	v_cndmask_b32_e64 v5, v5, 1, vcc_lo
	v_cmp_gt_u32_e32 vcc_lo, v39, v4
	v_cndmask_b32_e32 v4, v5, v6, vcc_lo
	v_cndmask_b32_e64 v5, v8, 0, vcc_lo
	v_add_nc_u32_e32 v3, v5, v3
	s_branch .LBB1262_59
.LBB1262_56:                            ;   in Loop: Header=BB1262_59 Depth=1
	s_or_b32 exec_lo, exec_lo, s13
	v_and_b32_e32 v6, 0xff, v6
.LBB1262_57:                            ;   in Loop: Header=BB1262_59 Depth=1
	s_or_b32 exec_lo, exec_lo, s5
	ds_bpermute_b32 v3, v17, v6
	v_cmp_eq_u16_sdwa s5, v7, v28 src0_sel:BYTE_0 src1_sel:DWORD
	v_and_b32_e32 v4, 1, v6
	v_subrev_nc_u32_e32 v15, 32, v15
	v_and_or_b32 v8, s5, v29, 0x80000000
	v_cmp_eq_u32_e32 vcc_lo, 1, v4
	v_cmp_gt_u64_e64 s5, s[10:11], v[5:6]
	v_ffbl_b32_e32 v4, v8
	ds_bpermute_b32 v8, v17, v5
	s_waitcnt lgkmcnt(1)
	v_and_b32_e32 v3, 1, v3
	v_cndmask_b32_e64 v3, v3, 1, vcc_lo
	v_cmp_lt_u32_e32 vcc_lo, v20, v4
	v_and_b32_e32 v40, 0xffff, v3
	v_cndmask_b32_e32 v3, v6, v3, vcc_lo
	v_cndmask_b32_e32 v40, v6, v40, vcc_lo
	s_and_b32 vcc_lo, vcc_lo, s5
	v_cmp_eq_u16_sdwa s5, v3, v16 src0_sel:BYTE_0 src1_sel:DWORD
	s_waitcnt lgkmcnt(0)
	v_cndmask_b32_e32 v6, 0, v8, vcc_lo
	v_and_b32_e32 v8, 1, v3
	ds_bpermute_b32 v41, v30, v40
	v_add_nc_u32_e32 v5, v6, v5
	v_cmp_eq_u32_e32 vcc_lo, 1, v8
	ds_bpermute_b32 v6, v30, v5
	s_waitcnt lgkmcnt(1)
	v_and_b32_e32 v41, 1, v41
	v_cndmask_b32_e64 v8, v41, 1, vcc_lo
	v_cmp_gt_u32_e32 vcc_lo, v31, v4
	v_and_b32_e32 v41, 0xffff, v8
	v_cndmask_b32_e32 v8, v8, v3, vcc_lo
	s_waitcnt lgkmcnt(0)
	v_cndmask_b32_e64 v3, 0, v6, s5
	v_cndmask_b32_e32 v40, v41, v40, vcc_lo
	v_and_b32_e32 v41, 1, v8
	v_cndmask_b32_e64 v3, v3, 0, vcc_lo
	v_cmp_eq_u16_sdwa s5, v8, v16 src0_sel:BYTE_0 src1_sel:DWORD
	ds_bpermute_b32 v6, v32, v40
	v_cmp_eq_u32_e32 vcc_lo, 1, v41
	v_add_nc_u32_e32 v3, v3, v5
	ds_bpermute_b32 v5, v32, v3
	s_waitcnt lgkmcnt(1)
	v_and_b32_e32 v6, 1, v6
	v_cndmask_b32_e64 v6, v6, 1, vcc_lo
	v_cmp_gt_u32_e32 vcc_lo, v33, v4
	s_waitcnt lgkmcnt(0)
	v_cndmask_b32_e64 v5, 0, v5, s5
	s_mov_b32 s5, 0
	v_and_b32_e32 v41, 0xffff, v6
	v_cndmask_b32_e32 v6, v6, v8, vcc_lo
	v_cndmask_b32_e64 v5, v5, 0, vcc_lo
	v_cndmask_b32_e32 v8, v41, v40, vcc_lo
	v_and_b32_e32 v41, 1, v6
	v_add_nc_u32_e32 v3, v5, v3
	ds_bpermute_b32 v40, v34, v8
	v_cmp_eq_u32_e32 vcc_lo, 1, v41
	ds_bpermute_b32 v5, v34, v3
	s_waitcnt lgkmcnt(1)
	v_and_b32_e32 v40, 1, v40
	v_cndmask_b32_e64 v40, v40, 1, vcc_lo
	v_cmp_eq_u16_sdwa vcc_lo, v6, v16 src0_sel:BYTE_0 src1_sel:DWORD
	v_and_b32_e32 v41, 0xffff, v40
	s_waitcnt lgkmcnt(0)
	v_cndmask_b32_e32 v5, 0, v5, vcc_lo
	v_cmp_gt_u32_e32 vcc_lo, v37, v4
	v_cndmask_b32_e64 v5, v5, 0, vcc_lo
	v_cndmask_b32_e32 v8, v41, v8, vcc_lo
	v_cndmask_b32_e32 v6, v40, v6, vcc_lo
	v_add_nc_u32_e32 v3, v5, v3
	ds_bpermute_b32 v5, v38, v8
	v_and_b32_e32 v40, 1, v6
	ds_bpermute_b32 v8, v38, v3
	v_cmp_eq_u32_e32 vcc_lo, 1, v40
	s_waitcnt lgkmcnt(1)
	v_cndmask_b32_e64 v5, v5, 1, vcc_lo
	v_cmp_eq_u16_sdwa vcc_lo, v6, v16 src0_sel:BYTE_0 src1_sel:DWORD
	s_waitcnt lgkmcnt(0)
	v_cndmask_b32_e32 v8, 0, v8, vcc_lo
	v_cmp_gt_u32_e32 vcc_lo, v39, v4
	v_cndmask_b32_e32 v4, v5, v6, vcc_lo
	v_cndmask_b32_e64 v5, v8, 0, vcc_lo
	v_cmp_eq_u16_sdwa vcc_lo, v35, v16 src0_sel:BYTE_0 src1_sel:DWORD
	v_and_b32_e32 v4, 1, v4
	v_add_nc_u32_e32 v3, v5, v3
	v_and_b32_e32 v5, 1, v35
	v_cndmask_b32_e32 v3, 0, v3, vcc_lo
	v_cmp_eq_u32_e32 vcc_lo, 1, v5
	v_add_nc_u32_e32 v3, v3, v36
	v_cndmask_b32_e64 v4, v4, 1, vcc_lo
.LBB1262_58:                            ;   in Loop: Header=BB1262_59 Depth=1
	s_and_b32 vcc_lo, exec_lo, s5
	s_cbranch_vccnz .LBB1262_64
.LBB1262_59:                            ; =>This Loop Header: Depth=1
                                        ;     Child Loop BB1262_62 Depth 2
	v_cmp_ne_u16_sdwa s5, v7, v28 src0_sel:BYTE_0 src1_sel:DWORD
	v_mov_b32_e32 v35, v4
	v_mov_b32_e32 v36, v3
                                        ; implicit-def: $vgpr4
                                        ; implicit-def: $vgpr3
                                        ; implicit-def: $vgpr7
	s_cmp_lg_u32 s5, exec_lo
	s_mov_b32 s5, -1
	s_cbranch_scc1 .LBB1262_58
; %bb.60:                               ;   in Loop: Header=BB1262_59 Depth=1
	v_lshlrev_b64 v[3:4], 4, v[15:16]
	v_add_co_u32 v3, vcc_lo, s24, v3
	v_add_co_ci_u32_e64 v4, null, s25, v4, vcc_lo
	;;#ASMSTART
	global_load_dwordx4 v[5:8], v[3:4] off glc dlc	
s_waitcnt vmcnt(0)
	;;#ASMEND
	v_and_b32_e32 v6, 0xff, v6
	v_cmp_eq_u16_sdwa s13, v7, v16 src0_sel:BYTE_0 src1_sel:DWORD
	s_and_saveexec_b32 s5, s13
	s_cbranch_execz .LBB1262_57
; %bb.61:                               ;   in Loop: Header=BB1262_59 Depth=1
	s_mov_b32 s13, 0
.LBB1262_62:                            ;   Parent Loop BB1262_59 Depth=1
                                        ; =>  This Inner Loop Header: Depth=2
	;;#ASMSTART
	global_load_dwordx4 v[5:8], v[3:4] off glc dlc	
s_waitcnt vmcnt(0)
	;;#ASMEND
	v_cmp_ne_u16_sdwa s16, v7, v16 src0_sel:BYTE_0 src1_sel:DWORD
	s_or_b32 s13, s16, s13
	s_andn2_b32 exec_lo, exec_lo, s13
	s_cbranch_execnz .LBB1262_62
	s_branch .LBB1262_56
.LBB1262_63:
                                        ; implicit-def: $vgpr7
                                        ; implicit-def: $vgpr5
                                        ; implicit-def: $vgpr6
	s_cbranch_execnz .LBB1262_69
	s_branch .LBB1262_86
.LBB1262_64:
	s_and_saveexec_b32 s5, s4
	s_cbranch_execz .LBB1262_66
; %bb.65:
	v_mov_b32_e32 v4, 0
	v_and_b32_e32 v3, 1, v2
	s_mov_b32 s11, 0
	s_add_i32 s10, s27, 32
	v_and_b32_e32 v5, 1, v35
	v_cmp_eq_u32_sdwa vcc_lo, v2, v4 src0_sel:BYTE_0 src1_sel:DWORD
	s_lshl_b64 s[10:11], s[10:11], 4
	s_add_u32 s10, s24, s10
	s_addc_u32 s11, s25, s11
	v_cndmask_b32_e32 v2, 0, v36, vcc_lo
	v_cmp_eq_u32_e32 vcc_lo, 1, v3
	v_mov_b32_e32 v3, 2
	v_add_nc_u32_e32 v1, v2, v1
	v_cndmask_b32_e64 v2, v5, 1, vcc_lo
	v_mov_b32_e32 v5, s10
	v_mov_b32_e32 v6, s11
	;;#ASMSTART
	global_store_dwordx4 v[5:6], v[1:4] off	
s_waitcnt vmcnt(0)
	;;#ASMEND
.LBB1262_66:
	s_or_b32 exec_lo, exec_lo, s5
	s_and_b32 exec_lo, exec_lo, s0
	s_cbranch_execz .LBB1262_68
; %bb.67:
	v_mov_b32_e32 v1, 0
	ds_write_b32 v1, v36 offset:56
	ds_write_b8 v1, v35 offset:60
.LBB1262_68:
	s_or_b32 exec_lo, exec_lo, s12
	v_mov_b32_e32 v1, 0
	s_waitcnt lgkmcnt(0)
	v_cndmask_b32_e64 v2, v27, v25, s4
	v_and_b32_e32 v4, 1, v10
	s_barrier
	buffer_gl0_inv
	ds_read_b32 v3, v1 offset:56
	v_and_b32_e32 v2, 1, v2
	v_cmp_eq_u32_e32 vcc_lo, 1, v4
	v_cndmask_b32_e64 v5, v26, v24, s4
	s_mov_b32 s5, 1
	s_mov_b32 s4, 0
	v_cndmask_b32_e64 v2, v2, 1, vcc_lo
	v_cmp_gt_u64_e32 vcc_lo, s[4:5], v[9:10]
	v_cndmask_b32_e64 v2, v2, v10, s0
	v_cndmask_b32_e32 v4, 0, v5, vcc_lo
	v_cmp_eq_u16_sdwa vcc_lo, v2, v1 src0_sel:BYTE_0 src1_sel:DWORD
	v_cndmask_b32_e64 v4, v4, 0, s0
	s_waitcnt lgkmcnt(0)
	v_cndmask_b32_e32 v1, 0, v3, vcc_lo
	v_add3_u32 v7, v4, v9, v1
	v_cndmask_b32_e64 v1, 0, v7, s2
	v_add_nc_u32_e32 v5, v1, v11
	v_cndmask_b32_e64 v1, 0, v5, s3
	v_add_nc_u32_e32 v6, v1, v13
	s_branch .LBB1262_86
.LBB1262_69:
	s_cmp_lg_u64 s[28:29], 0
	s_cselect_b32 s2, -1, 0
	s_cmp_lg_u64 s[18:19], 0
	s_cselect_b32 s3, -1, 0
	s_and_b32 s2, s2, s3
	s_and_b32 s3, s0, s2
	s_and_saveexec_b32 s2, s3
	s_cbranch_execz .LBB1262_71
; %bb.70:
	v_mov_b32_e32 v1, 0
	s_mov_b32 s4, 0
	s_mov_b32 s5, 1
	s_clause 0x1
	global_load_dword v2, v1, s[18:19]
	global_load_ubyte v3, v1, s[18:19] offset:4
	v_cmp_gt_u64_e32 vcc_lo, s[4:5], v[9:10]
	s_waitcnt vmcnt(1)
	v_cndmask_b32_e32 v4, 0, v2, vcc_lo
	v_and_b32_e32 v2, 1, v10
	s_waitcnt vmcnt(0)
	v_and_b32_e32 v3, 1, v3
	v_add_nc_u32_e32 v9, v4, v9
	v_cmp_eq_u64_e32 vcc_lo, 0, v[1:2]
	v_cndmask_b32_e32 v10, 1, v3, vcc_lo
.LBB1262_71:
	s_or_b32 exec_lo, exec_lo, s2
	v_and_b32_e32 v2, 0xff, v23
	v_mov_b32_e32 v1, 0
	s_mov_b32 s4, 0
	s_mov_b32 s5, 1
	v_and_b32_e32 v7, 15, v20
	v_cmp_eq_u64_e32 vcc_lo, 0, v[1:2]
	v_cmp_eq_u32_e64 s3, 0, v7
	v_cndmask_b32_e32 v2, 1, v10, vcc_lo
	v_cmp_gt_u64_e32 vcc_lo, s[4:5], v[11:12]
	v_and_b32_e32 v3, 0xff, v2
	v_and_b32_e32 v6, 1, v2
	v_cndmask_b32_e32 v5, 0, v9, vcc_lo
	v_mov_b32_dpp v4, v3 row_shr:1 row_mask:0xf bank_mask:0xf
	v_cmp_eq_u32_e64 s2, 1, v6
	v_add_nc_u32_e32 v5, v5, v11
	v_and_b32_e32 v4, 1, v4
	v_cndmask_b32_e64 v4, v4, 1, s2
	v_cmp_gt_u64_e64 s2, s[4:5], v[13:14]
	v_cmp_eq_u16_e64 s4, 0, v3
	v_cndmask_b32_e64 v8, v4, v3, s3
	v_cndmask_b32_e64 v2, v4, v2, s3
	;; [unrolled: 1-line block ×3, first 2 shown]
	v_mov_b32_dpp v4, v8 row_shr:2 row_mask:0xf bank_mask:0xf
	v_and_b32_e32 v14, 1, v2
	v_add_nc_u32_e32 v6, v6, v13
	v_and_b32_e32 v4, 1, v4
	v_mov_b32_dpp v12, v6 row_shr:1 row_mask:0xf bank_mask:0xf
	v_cndmask_b32_e64 v3, 0, v12, s4
	v_cmp_eq_u32_e64 s4, 1, v14
	v_cndmask_b32_e64 v3, v3, 0, s3
	v_cndmask_b32_e64 v4, v4, 1, s4
	v_cmp_lt_u32_e64 s4, 1, v7
	v_cmp_eq_u16_sdwa s3, v2, v1 src0_sel:BYTE_0 src1_sel:DWORD
	v_add_nc_u32_e32 v3, v3, v6
	v_cndmask_b32_e64 v12, v2, v4, s4
	v_cndmask_b32_e64 v4, v8, v4, s4
	s_and_b32 s3, s4, s3
	v_mov_b32_dpp v2, v3 row_shr:2 row_mask:0xf bank_mask:0xf
	v_and_b32_e32 v14, 1, v12
	v_mov_b32_dpp v8, v4 row_shr:4 row_mask:0xf bank_mask:0xf
	v_cmp_eq_u16_sdwa s4, v12, v1 src0_sel:BYTE_0 src1_sel:DWORD
	v_cndmask_b32_e64 v2, 0, v2, s3
	v_cmp_eq_u32_e64 s3, 1, v14
	v_and_b32_e32 v8, 1, v8
	v_add_nc_u32_e32 v2, v2, v3
	v_cndmask_b32_e64 v8, v8, 1, s3
	v_cmp_lt_u32_e64 s3, 3, v7
	v_cndmask_b32_e64 v3, v12, v8, s3
	v_cndmask_b32_e64 v4, v4, v8, s3
	v_mov_b32_dpp v8, v2 row_shr:4 row_mask:0xf bank_mask:0xf
	s_and_b32 s3, s3, s4
	v_and_b32_e32 v14, 1, v3
	v_mov_b32_dpp v12, v4 row_shr:8 row_mask:0xf bank_mask:0xf
	v_cndmask_b32_e64 v8, 0, v8, s3
	v_cmp_eq_u16_sdwa s4, v3, v1 src0_sel:BYTE_0 src1_sel:DWORD
	v_cmp_eq_u32_e64 s3, 1, v14
	v_and_b32_e32 v12, 1, v12
	v_add_nc_u32_e32 v2, v8, v2
	v_cndmask_b32_e64 v8, v12, 1, s3
	v_cmp_lt_u32_e64 s3, 7, v7
	v_mov_b32_dpp v7, v2 row_shr:8 row_mask:0xf bank_mask:0xf
	v_bfe_i32 v12, v20, 4, 1
	s_and_b32 s4, s3, s4
	v_cndmask_b32_e64 v4, v4, v8, s3
	v_cndmask_b32_e64 v7, 0, v7, s4
	;; [unrolled: 1-line block ×3, first 2 shown]
	s_mov_b32 s4, exec_lo
	v_add_nc_u32_e32 v2, v7, v2
	ds_swizzle_b32 v7, v4 offset:swizzle(BROADCAST,32,15)
	v_and_b32_e32 v14, 1, v3
	v_cmp_eq_u16_sdwa s3, v3, v1 src0_sel:BYTE_0 src1_sel:DWORD
	v_and_b32_e32 v3, 16, v20
	ds_swizzle_b32 v8, v2 offset:swizzle(BROADCAST,32,15)
	s_waitcnt lgkmcnt(1)
	v_and_b32_e32 v7, 1, v7
	s_waitcnt lgkmcnt(0)
	v_cndmask_b32_e64 v1, 0, v8, s3
	v_cmp_eq_u32_e64 s3, 1, v14
	v_and_b32_e32 v1, v12, v1
	v_cndmask_b32_e64 v7, v7, 1, s3
	v_cmp_eq_u32_e64 s3, 0, v3
	v_add_nc_u32_e32 v3, v1, v2
	v_cndmask_b32_e64 v4, v7, v4, s3
	v_cmpx_eq_u32_e64 v0, v22
	s_cbranch_execz .LBB1262_73
; %bb.72:
	v_lshlrev_b32_e32 v1, 3, v21
	ds_write_b32 v1, v3
	ds_write_b8 v1, v4 offset:4
.LBB1262_73:
	s_or_b32 exec_lo, exec_lo, s4
	s_mov_b32 s4, exec_lo
	s_waitcnt lgkmcnt(0)
	s_barrier
	buffer_gl0_inv
	v_cmpx_gt_u32_e32 8, v0
	s_cbranch_execz .LBB1262_79
; %bb.74:
	ds_read_b64 v[1:2], v19
	v_and_b32_e32 v7, 7, v20
	s_mov_b32 s5, exec_lo
	s_waitcnt lgkmcnt(0)
	v_and_b32_e32 v8, 0xffffff00, v2
	v_mov_b32_dpp v14, v1 row_shr:1 row_mask:0xf bank_mask:0xf
	v_mov_b32_dpp v15, v2 row_shr:1 row_mask:0xf bank_mask:0xf
	v_mov_b32_e32 v12, v2
	v_cmpx_ne_u32_e32 0, v7
	s_cbranch_execz .LBB1262_76
; %bb.75:
	v_mov_b32_e32 v12, 0
	v_and_b32_e32 v16, 1, v2
	v_and_b32_e32 v15, 1, v15
	v_cmp_eq_u16_sdwa s3, v2, v12 src0_sel:BYTE_0 src1_sel:DWORD
	v_cndmask_b32_e64 v2, 0, v14, s3
	v_cmp_eq_u32_e64 s3, 1, v16
	v_add_nc_u32_e32 v1, v2, v1
	v_cndmask_b32_e64 v14, v15, 1, s3
	v_or_b32_sdwa v12, v8, v14 dst_sel:DWORD dst_unused:UNUSED_PAD src0_sel:DWORD src1_sel:WORD_0
	v_mov_b32_e32 v2, v14
.LBB1262_76:
	s_or_b32 exec_lo, exec_lo, s5
	v_mov_b32_dpp v14, v1 row_shr:2 row_mask:0xf bank_mask:0xf
	v_mov_b32_dpp v15, v12 row_shr:2 row_mask:0xf bank_mask:0xf
	s_mov_b32 s5, exec_lo
	v_cmpx_lt_u32_e32 1, v7
	s_cbranch_execz .LBB1262_78
; %bb.77:
	v_mov_b32_e32 v12, 0
	v_and_b32_e32 v16, 1, v2
	v_and_b32_e32 v15, 1, v15
	v_cmp_eq_u16_sdwa s3, v2, v12 src0_sel:BYTE_0 src1_sel:DWORD
	v_cndmask_b32_e64 v2, 0, v14, s3
	v_cmp_eq_u32_e64 s3, 1, v16
	v_add_nc_u32_e32 v1, v2, v1
	v_cndmask_b32_e64 v14, v15, 1, s3
	v_or_b32_sdwa v12, v8, v14 dst_sel:DWORD dst_unused:UNUSED_PAD src0_sel:DWORD src1_sel:WORD_0
	v_mov_b32_e32 v2, v14
.LBB1262_78:
	s_or_b32 exec_lo, exec_lo, s5
	v_mov_b32_dpp v8, v12 row_shr:4 row_mask:0xf bank_mask:0xf
	v_and_b32_e32 v14, 1, v2
	v_mov_b32_e32 v12, 0
	v_and_b32_e32 v8, 1, v8
	v_cmp_eq_u32_e64 s3, 1, v14
	v_cmp_eq_u16_sdwa s5, v2, v12 src0_sel:BYTE_0 src1_sel:DWORD
	v_cndmask_b32_e64 v8, v8, 1, s3
	v_cmp_lt_u32_e64 s3, 3, v7
	v_mov_b32_dpp v7, v1 row_shr:4 row_mask:0xf bank_mask:0xf
	v_cndmask_b32_e64 v2, v2, v8, s3
	s_and_b32 s3, s3, s5
	v_cndmask_b32_e64 v7, 0, v7, s3
	v_add_nc_u32_e32 v1, v7, v1
	ds_write_b32 v19, v1
	ds_write_b8 v19, v2 offset:4
.LBB1262_79:
	s_or_b32 exec_lo, exec_lo, s4
	v_mov_b32_e32 v1, 0
	s_mov_b32 s4, exec_lo
	s_waitcnt lgkmcnt(0)
	s_barrier
	buffer_gl0_inv
	v_cmpx_lt_u32_e32 31, v0
	s_cbranch_execz .LBB1262_81
; %bb.80:
	v_lshl_add_u32 v1, v21, 3, -8
	v_cmp_eq_u32_e64 s3, 0, v4
	ds_read_b32 v1, v1
	s_waitcnt lgkmcnt(0)
	v_cndmask_b32_e64 v2, 0, v1, s3
	v_add_nc_u32_e32 v3, v2, v3
.LBB1262_81:
	s_or_b32 exec_lo, exec_lo, s4
	v_add_nc_u32_e32 v2, -1, v20
	s_mov_b32 s4, 0
	v_cmp_gt_i32_e64 s3, 0, v2
	v_cndmask_b32_e64 v2, v2, v20, s3
	v_lshlrev_b32_e32 v2, 2, v2
	ds_bpermute_b32 v2, v2, v3
	s_and_saveexec_b32 s3, s1
	s_cbranch_execz .LBB1262_83
; %bb.82:
	v_cmp_eq_u32_e64 s1, 0, v20
	s_mov_b32 s5, 1
	;;#ASMSTART
	;;#ASMEND
	s_waitcnt lgkmcnt(0)
	v_cndmask_b32_e64 v1, v2, v1, s1
	v_cmp_gt_u64_e64 s1, s[4:5], v[9:10]
	v_cndmask_b32_e64 v1, 0, v1, s1
	v_add_nc_u32_e32 v9, v1, v9
	v_cndmask_b32_e32 v1, 0, v9, vcc_lo
	v_add_nc_u32_e32 v5, v1, v11
	v_cndmask_b32_e64 v1, 0, v5, s2
	v_add_nc_u32_e32 v6, v1, v13
.LBB1262_83:
	s_or_b32 exec_lo, exec_lo, s3
	s_and_saveexec_b32 s1, s0
	s_cbranch_execz .LBB1262_85
; %bb.84:
	v_mov_b32_e32 v4, 0
	s_add_u32 s2, s24, 0x200
	s_addc_u32 s3, s25, 0
	v_mov_b32_e32 v3, 2
	v_mov_b32_e32 v8, s3
	ds_read_b32 v1, v4 offset:56
	s_waitcnt lgkmcnt(1)
	ds_read_u8 v2, v4 offset:60
	v_mov_b32_e32 v7, s2
	s_waitcnt lgkmcnt(0)
	;;#ASMSTART
	global_store_dwordx4 v[7:8], v[1:4] off	
s_waitcnt vmcnt(0)
	;;#ASMEND
.LBB1262_85:
	s_or_b32 exec_lo, exec_lo, s1
	v_mov_b32_e32 v7, v9
.LBB1262_86:
	s_add_u32 s0, s14, s6
	v_mov_b32_e32 v3, 0
	s_addc_u32 s1, s15, s7
	s_add_u32 s0, s0, s8
	s_addc_u32 s1, s1, s9
	s_and_b32 vcc_lo, exec_lo, s20
	s_cbranch_vccz .LBB1262_98
; %bb.87:
	v_mul_u32_u24_e32 v1, 3, v0
	v_mov_b32_e32 v4, 0
	s_waitcnt lgkmcnt(0)
	v_mov_b32_e32 v2, 0
	s_add_i32 s21, s21, s26
	s_mov_b32 s2, exec_lo
	v_cmpx_gt_u32_e64 s21, v1
	s_cbranch_execz .LBB1262_93
; %bb.88:
	v_add_nc_u32_e32 v3, 1, v1
	v_mov_b32_e32 v2, 0
	v_mov_b32_e32 v4, 0
	s_mov_b32 s3, exec_lo
	v_cmpx_gt_u32_e64 s21, v3
	s_cbranch_execz .LBB1262_92
; %bb.89:
	v_add_nc_u32_e32 v2, 2, v1
	v_cmp_gt_u32_e32 vcc_lo, s21, v2
	v_mov_b32_e32 v2, 0
	s_and_saveexec_b32 s4, vcc_lo
; %bb.90:
	v_mov_b32_e32 v2, v6
; %bb.91:
	s_or_b32 exec_lo, exec_lo, s4
	v_mov_b32_e32 v4, v5
.LBB1262_92:
	s_or_b32 exec_lo, exec_lo, s3
	v_mov_b32_e32 v3, v7
.LBB1262_93:
	s_or_b32 exec_lo, exec_lo, s2
	v_lshlrev_b32_e32 v8, 2, v1
	s_barrier
	buffer_gl0_inv
	v_sub_nc_u32_e32 v1, v8, v19
	ds_write2_b32 v8, v3, v4 offset1:1
	ds_write_b32 v8, v2 offset:8
	s_waitcnt lgkmcnt(0)
	s_barrier
	buffer_gl0_inv
	ds_read2st64_b32 v[1:2], v1 offset0:4 offset1:8
	v_add_co_u32 v3, s2, s0, v18
	v_add_co_ci_u32_e64 v4, null, s1, 0, s2
	s_mov_b32 s2, exec_lo
	v_cmpx_gt_u32_e64 s21, v0
	s_cbranch_execz .LBB1262_95
; %bb.94:
	v_sub_nc_u32_e32 v9, 0, v19
	v_add_nc_u32_e32 v8, v8, v9
	ds_read_b32 v8, v8
	s_waitcnt lgkmcnt(0)
	flat_store_dword v[3:4], v8
.LBB1262_95:
	s_or_b32 exec_lo, exec_lo, s2
	v_or_b32_e32 v8, 0x100, v0
	s_mov_b32 s2, exec_lo
	v_cmpx_gt_u32_e64 s21, v8
	s_cbranch_execz .LBB1262_97
; %bb.96:
	s_waitcnt lgkmcnt(0)
	flat_store_dword v[3:4], v1 offset:1024
.LBB1262_97:
	s_or_b32 exec_lo, exec_lo, s2
	s_waitcnt lgkmcnt(0)
	v_or_b32_e32 v1, 0x200, v0
	v_cmp_gt_u32_e64 s2, s21, v1
	s_branch .LBB1262_100
.LBB1262_98:
	s_mov_b32 s2, 0
                                        ; implicit-def: $vgpr2
	s_cbranch_execz .LBB1262_100
; %bb.99:
	v_mul_u32_u24_e32 v1, 12, v0
	s_waitcnt lgkmcnt(0)
	s_waitcnt_vscnt null, 0x0
	s_barrier
	buffer_gl0_inv
	s_or_b32 s2, s2, exec_lo
	v_sub_nc_u32_e32 v2, v1, v19
	ds_write2_b32 v1, v7, v5 offset1:1
	ds_write_b32 v1, v6 offset:8
	s_waitcnt lgkmcnt(0)
	s_barrier
	buffer_gl0_inv
	ds_read2st64_b32 v[3:4], v2 offset1:4
	ds_read_b32 v2, v2 offset:2048
	v_add_co_u32 v5, s3, s0, v18
	v_add_co_ci_u32_e64 v6, null, s1, 0, s3
	s_waitcnt lgkmcnt(1)
	flat_store_dword v[5:6], v3
	flat_store_dword v[5:6], v4 offset:1024
.LBB1262_100:
	s_and_saveexec_b32 s3, s2
	s_cbranch_execnz .LBB1262_102
; %bb.101:
	s_endpgm
.LBB1262_102:
	v_lshlrev_b32_e32 v0, 2, v0
	v_add_co_u32 v0, s0, s0, v0
	v_add_co_ci_u32_e64 v1, null, s1, 0, s0
	v_add_co_u32 v0, vcc_lo, 0x800, v0
	v_add_co_ci_u32_e64 v1, null, 0, v1, vcc_lo
	s_waitcnt lgkmcnt(0)
	flat_store_dword v[0:1], v2
	s_endpgm
.LBB1262_103:
	v_add_co_u32 v2, s2, s5, v9
	v_add_co_ci_u32_e64 v3, null, s30, 0, s2
	v_mov_b32_e32 v11, v1
	v_mov_b32_e32 v12, v1
	flat_load_dword v10, v[2:3]
	s_waitcnt vmcnt(0) lgkmcnt(0)
	v_mov_b32_e32 v1, v10
	v_mov_b32_e32 v2, v11
	v_mov_b32_e32 v3, v12
	s_or_b32 exec_lo, exec_lo, s16
	s_and_saveexec_b32 s2, s3
	s_cbranch_execz .LBB1262_19
.LBB1262_104:
	v_add_co_u32 v10, s3, s5, v9
	v_add_co_ci_u32_e64 v11, null, s30, 0, s3
	flat_load_dword v2, v[10:11] offset:1024
	s_or_b32 exec_lo, exec_lo, s2
	s_and_saveexec_b32 s2, s4
	s_cbranch_execnz .LBB1262_20
	s_branch .LBB1262_21
.LBB1262_105:
                                        ; implicit-def: $sgpr16_sgpr17
	s_branch .LBB1262_14
.LBB1262_106:
                                        ; implicit-def: $sgpr2_sgpr3
	s_branch .LBB1262_30
	.section	.rodata,"a",@progbits
	.p2align	6, 0x0
	.amdhsa_kernel _ZN7rocprim17ROCPRIM_400000_NS6detail17trampoline_kernelINS0_14default_configENS1_27scan_by_key_config_selectorIijEEZZNS1_16scan_by_key_implILNS1_25lookback_scan_determinismE0ELb0ES3_N6thrust23THRUST_200600_302600_NS6detail15normal_iteratorINS9_10device_ptrIiEEEENSB_INSC_IjEEEESG_jNS9_4plusIvEENS9_8equal_toIvEEjEE10hipError_tPvRmT2_T3_T4_T5_mT6_T7_P12ihipStream_tbENKUlT_T0_E_clISt17integral_constantIbLb0EES10_IbLb1EEEEDaSW_SX_EUlSW_E_NS1_11comp_targetILNS1_3genE8ELNS1_11target_archE1030ELNS1_3gpuE2ELNS1_3repE0EEENS1_30default_config_static_selectorELNS0_4arch9wavefront6targetE0EEEvT1_
		.amdhsa_group_segment_fixed_size 5120
		.amdhsa_private_segment_fixed_size 0
		.amdhsa_kernarg_size 112
		.amdhsa_user_sgpr_count 6
		.amdhsa_user_sgpr_private_segment_buffer 1
		.amdhsa_user_sgpr_dispatch_ptr 0
		.amdhsa_user_sgpr_queue_ptr 0
		.amdhsa_user_sgpr_kernarg_segment_ptr 1
		.amdhsa_user_sgpr_dispatch_id 0
		.amdhsa_user_sgpr_flat_scratch_init 0
		.amdhsa_user_sgpr_private_segment_size 0
		.amdhsa_wavefront_size32 1
		.amdhsa_uses_dynamic_stack 0
		.amdhsa_system_sgpr_private_segment_wavefront_offset 0
		.amdhsa_system_sgpr_workgroup_id_x 1
		.amdhsa_system_sgpr_workgroup_id_y 0
		.amdhsa_system_sgpr_workgroup_id_z 0
		.amdhsa_system_sgpr_workgroup_info 0
		.amdhsa_system_vgpr_workitem_id 0
		.amdhsa_next_free_vgpr 42
		.amdhsa_next_free_sgpr 34
		.amdhsa_reserve_vcc 1
		.amdhsa_reserve_flat_scratch 1
		.amdhsa_float_round_mode_32 0
		.amdhsa_float_round_mode_16_64 0
		.amdhsa_float_denorm_mode_32 3
		.amdhsa_float_denorm_mode_16_64 3
		.amdhsa_dx10_clamp 1
		.amdhsa_ieee_mode 1
		.amdhsa_fp16_overflow 0
		.amdhsa_workgroup_processor_mode 1
		.amdhsa_memory_ordered 1
		.amdhsa_forward_progress 1
		.amdhsa_shared_vgpr_count 0
		.amdhsa_exception_fp_ieee_invalid_op 0
		.amdhsa_exception_fp_denorm_src 0
		.amdhsa_exception_fp_ieee_div_zero 0
		.amdhsa_exception_fp_ieee_overflow 0
		.amdhsa_exception_fp_ieee_underflow 0
		.amdhsa_exception_fp_ieee_inexact 0
		.amdhsa_exception_int_div_zero 0
	.end_amdhsa_kernel
	.section	.text._ZN7rocprim17ROCPRIM_400000_NS6detail17trampoline_kernelINS0_14default_configENS1_27scan_by_key_config_selectorIijEEZZNS1_16scan_by_key_implILNS1_25lookback_scan_determinismE0ELb0ES3_N6thrust23THRUST_200600_302600_NS6detail15normal_iteratorINS9_10device_ptrIiEEEENSB_INSC_IjEEEESG_jNS9_4plusIvEENS9_8equal_toIvEEjEE10hipError_tPvRmT2_T3_T4_T5_mT6_T7_P12ihipStream_tbENKUlT_T0_E_clISt17integral_constantIbLb0EES10_IbLb1EEEEDaSW_SX_EUlSW_E_NS1_11comp_targetILNS1_3genE8ELNS1_11target_archE1030ELNS1_3gpuE2ELNS1_3repE0EEENS1_30default_config_static_selectorELNS0_4arch9wavefront6targetE0EEEvT1_,"axG",@progbits,_ZN7rocprim17ROCPRIM_400000_NS6detail17trampoline_kernelINS0_14default_configENS1_27scan_by_key_config_selectorIijEEZZNS1_16scan_by_key_implILNS1_25lookback_scan_determinismE0ELb0ES3_N6thrust23THRUST_200600_302600_NS6detail15normal_iteratorINS9_10device_ptrIiEEEENSB_INSC_IjEEEESG_jNS9_4plusIvEENS9_8equal_toIvEEjEE10hipError_tPvRmT2_T3_T4_T5_mT6_T7_P12ihipStream_tbENKUlT_T0_E_clISt17integral_constantIbLb0EES10_IbLb1EEEEDaSW_SX_EUlSW_E_NS1_11comp_targetILNS1_3genE8ELNS1_11target_archE1030ELNS1_3gpuE2ELNS1_3repE0EEENS1_30default_config_static_selectorELNS0_4arch9wavefront6targetE0EEEvT1_,comdat
.Lfunc_end1262:
	.size	_ZN7rocprim17ROCPRIM_400000_NS6detail17trampoline_kernelINS0_14default_configENS1_27scan_by_key_config_selectorIijEEZZNS1_16scan_by_key_implILNS1_25lookback_scan_determinismE0ELb0ES3_N6thrust23THRUST_200600_302600_NS6detail15normal_iteratorINS9_10device_ptrIiEEEENSB_INSC_IjEEEESG_jNS9_4plusIvEENS9_8equal_toIvEEjEE10hipError_tPvRmT2_T3_T4_T5_mT6_T7_P12ihipStream_tbENKUlT_T0_E_clISt17integral_constantIbLb0EES10_IbLb1EEEEDaSW_SX_EUlSW_E_NS1_11comp_targetILNS1_3genE8ELNS1_11target_archE1030ELNS1_3gpuE2ELNS1_3repE0EEENS1_30default_config_static_selectorELNS0_4arch9wavefront6targetE0EEEvT1_, .Lfunc_end1262-_ZN7rocprim17ROCPRIM_400000_NS6detail17trampoline_kernelINS0_14default_configENS1_27scan_by_key_config_selectorIijEEZZNS1_16scan_by_key_implILNS1_25lookback_scan_determinismE0ELb0ES3_N6thrust23THRUST_200600_302600_NS6detail15normal_iteratorINS9_10device_ptrIiEEEENSB_INSC_IjEEEESG_jNS9_4plusIvEENS9_8equal_toIvEEjEE10hipError_tPvRmT2_T3_T4_T5_mT6_T7_P12ihipStream_tbENKUlT_T0_E_clISt17integral_constantIbLb0EES10_IbLb1EEEEDaSW_SX_EUlSW_E_NS1_11comp_targetILNS1_3genE8ELNS1_11target_archE1030ELNS1_3gpuE2ELNS1_3repE0EEENS1_30default_config_static_selectorELNS0_4arch9wavefront6targetE0EEEvT1_
                                        ; -- End function
	.set _ZN7rocprim17ROCPRIM_400000_NS6detail17trampoline_kernelINS0_14default_configENS1_27scan_by_key_config_selectorIijEEZZNS1_16scan_by_key_implILNS1_25lookback_scan_determinismE0ELb0ES3_N6thrust23THRUST_200600_302600_NS6detail15normal_iteratorINS9_10device_ptrIiEEEENSB_INSC_IjEEEESG_jNS9_4plusIvEENS9_8equal_toIvEEjEE10hipError_tPvRmT2_T3_T4_T5_mT6_T7_P12ihipStream_tbENKUlT_T0_E_clISt17integral_constantIbLb0EES10_IbLb1EEEEDaSW_SX_EUlSW_E_NS1_11comp_targetILNS1_3genE8ELNS1_11target_archE1030ELNS1_3gpuE2ELNS1_3repE0EEENS1_30default_config_static_selectorELNS0_4arch9wavefront6targetE0EEEvT1_.num_vgpr, 42
	.set _ZN7rocprim17ROCPRIM_400000_NS6detail17trampoline_kernelINS0_14default_configENS1_27scan_by_key_config_selectorIijEEZZNS1_16scan_by_key_implILNS1_25lookback_scan_determinismE0ELb0ES3_N6thrust23THRUST_200600_302600_NS6detail15normal_iteratorINS9_10device_ptrIiEEEENSB_INSC_IjEEEESG_jNS9_4plusIvEENS9_8equal_toIvEEjEE10hipError_tPvRmT2_T3_T4_T5_mT6_T7_P12ihipStream_tbENKUlT_T0_E_clISt17integral_constantIbLb0EES10_IbLb1EEEEDaSW_SX_EUlSW_E_NS1_11comp_targetILNS1_3genE8ELNS1_11target_archE1030ELNS1_3gpuE2ELNS1_3repE0EEENS1_30default_config_static_selectorELNS0_4arch9wavefront6targetE0EEEvT1_.num_agpr, 0
	.set _ZN7rocprim17ROCPRIM_400000_NS6detail17trampoline_kernelINS0_14default_configENS1_27scan_by_key_config_selectorIijEEZZNS1_16scan_by_key_implILNS1_25lookback_scan_determinismE0ELb0ES3_N6thrust23THRUST_200600_302600_NS6detail15normal_iteratorINS9_10device_ptrIiEEEENSB_INSC_IjEEEESG_jNS9_4plusIvEENS9_8equal_toIvEEjEE10hipError_tPvRmT2_T3_T4_T5_mT6_T7_P12ihipStream_tbENKUlT_T0_E_clISt17integral_constantIbLb0EES10_IbLb1EEEEDaSW_SX_EUlSW_E_NS1_11comp_targetILNS1_3genE8ELNS1_11target_archE1030ELNS1_3gpuE2ELNS1_3repE0EEENS1_30default_config_static_selectorELNS0_4arch9wavefront6targetE0EEEvT1_.numbered_sgpr, 34
	.set _ZN7rocprim17ROCPRIM_400000_NS6detail17trampoline_kernelINS0_14default_configENS1_27scan_by_key_config_selectorIijEEZZNS1_16scan_by_key_implILNS1_25lookback_scan_determinismE0ELb0ES3_N6thrust23THRUST_200600_302600_NS6detail15normal_iteratorINS9_10device_ptrIiEEEENSB_INSC_IjEEEESG_jNS9_4plusIvEENS9_8equal_toIvEEjEE10hipError_tPvRmT2_T3_T4_T5_mT6_T7_P12ihipStream_tbENKUlT_T0_E_clISt17integral_constantIbLb0EES10_IbLb1EEEEDaSW_SX_EUlSW_E_NS1_11comp_targetILNS1_3genE8ELNS1_11target_archE1030ELNS1_3gpuE2ELNS1_3repE0EEENS1_30default_config_static_selectorELNS0_4arch9wavefront6targetE0EEEvT1_.num_named_barrier, 0
	.set _ZN7rocprim17ROCPRIM_400000_NS6detail17trampoline_kernelINS0_14default_configENS1_27scan_by_key_config_selectorIijEEZZNS1_16scan_by_key_implILNS1_25lookback_scan_determinismE0ELb0ES3_N6thrust23THRUST_200600_302600_NS6detail15normal_iteratorINS9_10device_ptrIiEEEENSB_INSC_IjEEEESG_jNS9_4plusIvEENS9_8equal_toIvEEjEE10hipError_tPvRmT2_T3_T4_T5_mT6_T7_P12ihipStream_tbENKUlT_T0_E_clISt17integral_constantIbLb0EES10_IbLb1EEEEDaSW_SX_EUlSW_E_NS1_11comp_targetILNS1_3genE8ELNS1_11target_archE1030ELNS1_3gpuE2ELNS1_3repE0EEENS1_30default_config_static_selectorELNS0_4arch9wavefront6targetE0EEEvT1_.private_seg_size, 0
	.set _ZN7rocprim17ROCPRIM_400000_NS6detail17trampoline_kernelINS0_14default_configENS1_27scan_by_key_config_selectorIijEEZZNS1_16scan_by_key_implILNS1_25lookback_scan_determinismE0ELb0ES3_N6thrust23THRUST_200600_302600_NS6detail15normal_iteratorINS9_10device_ptrIiEEEENSB_INSC_IjEEEESG_jNS9_4plusIvEENS9_8equal_toIvEEjEE10hipError_tPvRmT2_T3_T4_T5_mT6_T7_P12ihipStream_tbENKUlT_T0_E_clISt17integral_constantIbLb0EES10_IbLb1EEEEDaSW_SX_EUlSW_E_NS1_11comp_targetILNS1_3genE8ELNS1_11target_archE1030ELNS1_3gpuE2ELNS1_3repE0EEENS1_30default_config_static_selectorELNS0_4arch9wavefront6targetE0EEEvT1_.uses_vcc, 1
	.set _ZN7rocprim17ROCPRIM_400000_NS6detail17trampoline_kernelINS0_14default_configENS1_27scan_by_key_config_selectorIijEEZZNS1_16scan_by_key_implILNS1_25lookback_scan_determinismE0ELb0ES3_N6thrust23THRUST_200600_302600_NS6detail15normal_iteratorINS9_10device_ptrIiEEEENSB_INSC_IjEEEESG_jNS9_4plusIvEENS9_8equal_toIvEEjEE10hipError_tPvRmT2_T3_T4_T5_mT6_T7_P12ihipStream_tbENKUlT_T0_E_clISt17integral_constantIbLb0EES10_IbLb1EEEEDaSW_SX_EUlSW_E_NS1_11comp_targetILNS1_3genE8ELNS1_11target_archE1030ELNS1_3gpuE2ELNS1_3repE0EEENS1_30default_config_static_selectorELNS0_4arch9wavefront6targetE0EEEvT1_.uses_flat_scratch, 1
	.set _ZN7rocprim17ROCPRIM_400000_NS6detail17trampoline_kernelINS0_14default_configENS1_27scan_by_key_config_selectorIijEEZZNS1_16scan_by_key_implILNS1_25lookback_scan_determinismE0ELb0ES3_N6thrust23THRUST_200600_302600_NS6detail15normal_iteratorINS9_10device_ptrIiEEEENSB_INSC_IjEEEESG_jNS9_4plusIvEENS9_8equal_toIvEEjEE10hipError_tPvRmT2_T3_T4_T5_mT6_T7_P12ihipStream_tbENKUlT_T0_E_clISt17integral_constantIbLb0EES10_IbLb1EEEEDaSW_SX_EUlSW_E_NS1_11comp_targetILNS1_3genE8ELNS1_11target_archE1030ELNS1_3gpuE2ELNS1_3repE0EEENS1_30default_config_static_selectorELNS0_4arch9wavefront6targetE0EEEvT1_.has_dyn_sized_stack, 0
	.set _ZN7rocprim17ROCPRIM_400000_NS6detail17trampoline_kernelINS0_14default_configENS1_27scan_by_key_config_selectorIijEEZZNS1_16scan_by_key_implILNS1_25lookback_scan_determinismE0ELb0ES3_N6thrust23THRUST_200600_302600_NS6detail15normal_iteratorINS9_10device_ptrIiEEEENSB_INSC_IjEEEESG_jNS9_4plusIvEENS9_8equal_toIvEEjEE10hipError_tPvRmT2_T3_T4_T5_mT6_T7_P12ihipStream_tbENKUlT_T0_E_clISt17integral_constantIbLb0EES10_IbLb1EEEEDaSW_SX_EUlSW_E_NS1_11comp_targetILNS1_3genE8ELNS1_11target_archE1030ELNS1_3gpuE2ELNS1_3repE0EEENS1_30default_config_static_selectorELNS0_4arch9wavefront6targetE0EEEvT1_.has_recursion, 0
	.set _ZN7rocprim17ROCPRIM_400000_NS6detail17trampoline_kernelINS0_14default_configENS1_27scan_by_key_config_selectorIijEEZZNS1_16scan_by_key_implILNS1_25lookback_scan_determinismE0ELb0ES3_N6thrust23THRUST_200600_302600_NS6detail15normal_iteratorINS9_10device_ptrIiEEEENSB_INSC_IjEEEESG_jNS9_4plusIvEENS9_8equal_toIvEEjEE10hipError_tPvRmT2_T3_T4_T5_mT6_T7_P12ihipStream_tbENKUlT_T0_E_clISt17integral_constantIbLb0EES10_IbLb1EEEEDaSW_SX_EUlSW_E_NS1_11comp_targetILNS1_3genE8ELNS1_11target_archE1030ELNS1_3gpuE2ELNS1_3repE0EEENS1_30default_config_static_selectorELNS0_4arch9wavefront6targetE0EEEvT1_.has_indirect_call, 0
	.section	.AMDGPU.csdata,"",@progbits
; Kernel info:
; codeLenInByte = 6332
; TotalNumSgprs: 36
; NumVgprs: 42
; ScratchSize: 0
; MemoryBound: 0
; FloatMode: 240
; IeeeMode: 1
; LDSByteSize: 5120 bytes/workgroup (compile time only)
; SGPRBlocks: 0
; VGPRBlocks: 5
; NumSGPRsForWavesPerEU: 36
; NumVGPRsForWavesPerEU: 42
; Occupancy: 16
; WaveLimiterHint : 1
; COMPUTE_PGM_RSRC2:SCRATCH_EN: 0
; COMPUTE_PGM_RSRC2:USER_SGPR: 6
; COMPUTE_PGM_RSRC2:TRAP_HANDLER: 0
; COMPUTE_PGM_RSRC2:TGID_X_EN: 1
; COMPUTE_PGM_RSRC2:TGID_Y_EN: 0
; COMPUTE_PGM_RSRC2:TGID_Z_EN: 0
; COMPUTE_PGM_RSRC2:TIDIG_COMP_CNT: 0
	.section	.text._ZN6thrust23THRUST_200600_302600_NS11hip_rocprim14__parallel_for6kernelILj256ENS1_11__transform17unary_transform_fINS0_7pointerIiNS1_3tagENS0_11use_defaultES8_EENS0_10device_ptrItEENS4_14no_stencil_tagENS0_8identityIiEENS4_21always_true_predicateEEElLj1EEEvT0_T1_SI_,"axG",@progbits,_ZN6thrust23THRUST_200600_302600_NS11hip_rocprim14__parallel_for6kernelILj256ENS1_11__transform17unary_transform_fINS0_7pointerIiNS1_3tagENS0_11use_defaultES8_EENS0_10device_ptrItEENS4_14no_stencil_tagENS0_8identityIiEENS4_21always_true_predicateEEElLj1EEEvT0_T1_SI_,comdat
	.protected	_ZN6thrust23THRUST_200600_302600_NS11hip_rocprim14__parallel_for6kernelILj256ENS1_11__transform17unary_transform_fINS0_7pointerIiNS1_3tagENS0_11use_defaultES8_EENS0_10device_ptrItEENS4_14no_stencil_tagENS0_8identityIiEENS4_21always_true_predicateEEElLj1EEEvT0_T1_SI_ ; -- Begin function _ZN6thrust23THRUST_200600_302600_NS11hip_rocprim14__parallel_for6kernelILj256ENS1_11__transform17unary_transform_fINS0_7pointerIiNS1_3tagENS0_11use_defaultES8_EENS0_10device_ptrItEENS4_14no_stencil_tagENS0_8identityIiEENS4_21always_true_predicateEEElLj1EEEvT0_T1_SI_
	.globl	_ZN6thrust23THRUST_200600_302600_NS11hip_rocprim14__parallel_for6kernelILj256ENS1_11__transform17unary_transform_fINS0_7pointerIiNS1_3tagENS0_11use_defaultES8_EENS0_10device_ptrItEENS4_14no_stencil_tagENS0_8identityIiEENS4_21always_true_predicateEEElLj1EEEvT0_T1_SI_
	.p2align	8
	.type	_ZN6thrust23THRUST_200600_302600_NS11hip_rocprim14__parallel_for6kernelILj256ENS1_11__transform17unary_transform_fINS0_7pointerIiNS1_3tagENS0_11use_defaultES8_EENS0_10device_ptrItEENS4_14no_stencil_tagENS0_8identityIiEENS4_21always_true_predicateEEElLj1EEEvT0_T1_SI_,@function
_ZN6thrust23THRUST_200600_302600_NS11hip_rocprim14__parallel_for6kernelILj256ENS1_11__transform17unary_transform_fINS0_7pointerIiNS1_3tagENS0_11use_defaultES8_EENS0_10device_ptrItEENS4_14no_stencil_tagENS0_8identityIiEENS4_21always_true_predicateEEElLj1EEEvT0_T1_SI_: ; @_ZN6thrust23THRUST_200600_302600_NS11hip_rocprim14__parallel_for6kernelILj256ENS1_11__transform17unary_transform_fINS0_7pointerIiNS1_3tagENS0_11use_defaultES8_EENS0_10device_ptrItEENS4_14no_stencil_tagENS0_8identityIiEENS4_21always_true_predicateEEElLj1EEEvT0_T1_SI_
; %bb.0:
	s_clause 0x1
	s_load_dwordx4 s[8:11], s[4:5], 0x18
	s_load_dwordx4 s[0:3], s[4:5], 0x0
	s_lshl_b32 s4, s6, 8
	s_waitcnt lgkmcnt(0)
	s_add_u32 s4, s10, s4
	s_addc_u32 s5, s11, 0
	s_sub_u32 s6, s8, s4
	s_subb_u32 s7, s9, s5
	v_cmp_gt_i64_e64 s7, 0x100, s[6:7]
	s_and_b32 s7, s7, exec_lo
	s_cselect_b32 s7, s6, 0x100
	s_mov_b32 s6, -1
	s_cmpk_eq_i32 s7, 0x100
	s_cbranch_scc0 .LBB1263_3
; %bb.1:
	s_andn2_b32 vcc_lo, exec_lo, s6
	s_cbranch_vccz .LBB1263_6
.LBB1263_2:
	s_endpgm
.LBB1263_3:
	s_mov_b32 s6, exec_lo
	v_cmpx_gt_u32_e64 s7, v0
	s_cbranch_execz .LBB1263_5
; %bb.4:
	v_add_co_u32 v1, s7, s4, v0
	v_add_co_ci_u32_e64 v2, null, s5, 0, s7
	v_lshlrev_b64 v[3:4], 2, v[1:2]
	v_lshlrev_b64 v[1:2], 1, v[1:2]
	v_add_co_u32 v3, vcc_lo, s0, v3
	v_add_co_ci_u32_e64 v4, null, s1, v4, vcc_lo
	v_add_co_u32 v1, vcc_lo, s2, v1
	v_add_co_ci_u32_e64 v2, null, s3, v2, vcc_lo
	flat_load_dword v3, v[3:4]
	s_waitcnt vmcnt(0) lgkmcnt(0)
	flat_store_short v[1:2], v3
.LBB1263_5:
	s_or_b32 exec_lo, exec_lo, s6
	s_cbranch_execnz .LBB1263_2
.LBB1263_6:
	v_add_co_u32 v0, s4, s4, v0
	v_add_co_ci_u32_e64 v1, null, s5, 0, s4
	v_lshlrev_b64 v[2:3], 2, v[0:1]
	v_lshlrev_b64 v[0:1], 1, v[0:1]
	v_add_co_u32 v2, vcc_lo, s0, v2
	v_add_co_ci_u32_e64 v3, null, s1, v3, vcc_lo
	v_add_co_u32 v0, vcc_lo, s2, v0
	v_add_co_ci_u32_e64 v1, null, s3, v1, vcc_lo
	flat_load_dword v2, v[2:3]
	s_waitcnt vmcnt(0) lgkmcnt(0)
	flat_store_short v[0:1], v2
	s_endpgm
	.section	.rodata,"a",@progbits
	.p2align	6, 0x0
	.amdhsa_kernel _ZN6thrust23THRUST_200600_302600_NS11hip_rocprim14__parallel_for6kernelILj256ENS1_11__transform17unary_transform_fINS0_7pointerIiNS1_3tagENS0_11use_defaultES8_EENS0_10device_ptrItEENS4_14no_stencil_tagENS0_8identityIiEENS4_21always_true_predicateEEElLj1EEEvT0_T1_SI_
		.amdhsa_group_segment_fixed_size 0
		.amdhsa_private_segment_fixed_size 0
		.amdhsa_kernarg_size 40
		.amdhsa_user_sgpr_count 6
		.amdhsa_user_sgpr_private_segment_buffer 1
		.amdhsa_user_sgpr_dispatch_ptr 0
		.amdhsa_user_sgpr_queue_ptr 0
		.amdhsa_user_sgpr_kernarg_segment_ptr 1
		.amdhsa_user_sgpr_dispatch_id 0
		.amdhsa_user_sgpr_flat_scratch_init 0
		.amdhsa_user_sgpr_private_segment_size 0
		.amdhsa_wavefront_size32 1
		.amdhsa_uses_dynamic_stack 0
		.amdhsa_system_sgpr_private_segment_wavefront_offset 0
		.amdhsa_system_sgpr_workgroup_id_x 1
		.amdhsa_system_sgpr_workgroup_id_y 0
		.amdhsa_system_sgpr_workgroup_id_z 0
		.amdhsa_system_sgpr_workgroup_info 0
		.amdhsa_system_vgpr_workitem_id 0
		.amdhsa_next_free_vgpr 5
		.amdhsa_next_free_sgpr 12
		.amdhsa_reserve_vcc 1
		.amdhsa_reserve_flat_scratch 0
		.amdhsa_float_round_mode_32 0
		.amdhsa_float_round_mode_16_64 0
		.amdhsa_float_denorm_mode_32 3
		.amdhsa_float_denorm_mode_16_64 3
		.amdhsa_dx10_clamp 1
		.amdhsa_ieee_mode 1
		.amdhsa_fp16_overflow 0
		.amdhsa_workgroup_processor_mode 1
		.amdhsa_memory_ordered 1
		.amdhsa_forward_progress 1
		.amdhsa_shared_vgpr_count 0
		.amdhsa_exception_fp_ieee_invalid_op 0
		.amdhsa_exception_fp_denorm_src 0
		.amdhsa_exception_fp_ieee_div_zero 0
		.amdhsa_exception_fp_ieee_overflow 0
		.amdhsa_exception_fp_ieee_underflow 0
		.amdhsa_exception_fp_ieee_inexact 0
		.amdhsa_exception_int_div_zero 0
	.end_amdhsa_kernel
	.section	.text._ZN6thrust23THRUST_200600_302600_NS11hip_rocprim14__parallel_for6kernelILj256ENS1_11__transform17unary_transform_fINS0_7pointerIiNS1_3tagENS0_11use_defaultES8_EENS0_10device_ptrItEENS4_14no_stencil_tagENS0_8identityIiEENS4_21always_true_predicateEEElLj1EEEvT0_T1_SI_,"axG",@progbits,_ZN6thrust23THRUST_200600_302600_NS11hip_rocprim14__parallel_for6kernelILj256ENS1_11__transform17unary_transform_fINS0_7pointerIiNS1_3tagENS0_11use_defaultES8_EENS0_10device_ptrItEENS4_14no_stencil_tagENS0_8identityIiEENS4_21always_true_predicateEEElLj1EEEvT0_T1_SI_,comdat
.Lfunc_end1263:
	.size	_ZN6thrust23THRUST_200600_302600_NS11hip_rocprim14__parallel_for6kernelILj256ENS1_11__transform17unary_transform_fINS0_7pointerIiNS1_3tagENS0_11use_defaultES8_EENS0_10device_ptrItEENS4_14no_stencil_tagENS0_8identityIiEENS4_21always_true_predicateEEElLj1EEEvT0_T1_SI_, .Lfunc_end1263-_ZN6thrust23THRUST_200600_302600_NS11hip_rocprim14__parallel_for6kernelILj256ENS1_11__transform17unary_transform_fINS0_7pointerIiNS1_3tagENS0_11use_defaultES8_EENS0_10device_ptrItEENS4_14no_stencil_tagENS0_8identityIiEENS4_21always_true_predicateEEElLj1EEEvT0_T1_SI_
                                        ; -- End function
	.set _ZN6thrust23THRUST_200600_302600_NS11hip_rocprim14__parallel_for6kernelILj256ENS1_11__transform17unary_transform_fINS0_7pointerIiNS1_3tagENS0_11use_defaultES8_EENS0_10device_ptrItEENS4_14no_stencil_tagENS0_8identityIiEENS4_21always_true_predicateEEElLj1EEEvT0_T1_SI_.num_vgpr, 5
	.set _ZN6thrust23THRUST_200600_302600_NS11hip_rocprim14__parallel_for6kernelILj256ENS1_11__transform17unary_transform_fINS0_7pointerIiNS1_3tagENS0_11use_defaultES8_EENS0_10device_ptrItEENS4_14no_stencil_tagENS0_8identityIiEENS4_21always_true_predicateEEElLj1EEEvT0_T1_SI_.num_agpr, 0
	.set _ZN6thrust23THRUST_200600_302600_NS11hip_rocprim14__parallel_for6kernelILj256ENS1_11__transform17unary_transform_fINS0_7pointerIiNS1_3tagENS0_11use_defaultES8_EENS0_10device_ptrItEENS4_14no_stencil_tagENS0_8identityIiEENS4_21always_true_predicateEEElLj1EEEvT0_T1_SI_.numbered_sgpr, 12
	.set _ZN6thrust23THRUST_200600_302600_NS11hip_rocprim14__parallel_for6kernelILj256ENS1_11__transform17unary_transform_fINS0_7pointerIiNS1_3tagENS0_11use_defaultES8_EENS0_10device_ptrItEENS4_14no_stencil_tagENS0_8identityIiEENS4_21always_true_predicateEEElLj1EEEvT0_T1_SI_.num_named_barrier, 0
	.set _ZN6thrust23THRUST_200600_302600_NS11hip_rocprim14__parallel_for6kernelILj256ENS1_11__transform17unary_transform_fINS0_7pointerIiNS1_3tagENS0_11use_defaultES8_EENS0_10device_ptrItEENS4_14no_stencil_tagENS0_8identityIiEENS4_21always_true_predicateEEElLj1EEEvT0_T1_SI_.private_seg_size, 0
	.set _ZN6thrust23THRUST_200600_302600_NS11hip_rocprim14__parallel_for6kernelILj256ENS1_11__transform17unary_transform_fINS0_7pointerIiNS1_3tagENS0_11use_defaultES8_EENS0_10device_ptrItEENS4_14no_stencil_tagENS0_8identityIiEENS4_21always_true_predicateEEElLj1EEEvT0_T1_SI_.uses_vcc, 1
	.set _ZN6thrust23THRUST_200600_302600_NS11hip_rocprim14__parallel_for6kernelILj256ENS1_11__transform17unary_transform_fINS0_7pointerIiNS1_3tagENS0_11use_defaultES8_EENS0_10device_ptrItEENS4_14no_stencil_tagENS0_8identityIiEENS4_21always_true_predicateEEElLj1EEEvT0_T1_SI_.uses_flat_scratch, 0
	.set _ZN6thrust23THRUST_200600_302600_NS11hip_rocprim14__parallel_for6kernelILj256ENS1_11__transform17unary_transform_fINS0_7pointerIiNS1_3tagENS0_11use_defaultES8_EENS0_10device_ptrItEENS4_14no_stencil_tagENS0_8identityIiEENS4_21always_true_predicateEEElLj1EEEvT0_T1_SI_.has_dyn_sized_stack, 0
	.set _ZN6thrust23THRUST_200600_302600_NS11hip_rocprim14__parallel_for6kernelILj256ENS1_11__transform17unary_transform_fINS0_7pointerIiNS1_3tagENS0_11use_defaultES8_EENS0_10device_ptrItEENS4_14no_stencil_tagENS0_8identityIiEENS4_21always_true_predicateEEElLj1EEEvT0_T1_SI_.has_recursion, 0
	.set _ZN6thrust23THRUST_200600_302600_NS11hip_rocprim14__parallel_for6kernelILj256ENS1_11__transform17unary_transform_fINS0_7pointerIiNS1_3tagENS0_11use_defaultES8_EENS0_10device_ptrItEENS4_14no_stencil_tagENS0_8identityIiEENS4_21always_true_predicateEEElLj1EEEvT0_T1_SI_.has_indirect_call, 0
	.section	.AMDGPU.csdata,"",@progbits
; Kernel info:
; codeLenInByte = 288
; TotalNumSgprs: 14
; NumVgprs: 5
; ScratchSize: 0
; MemoryBound: 0
; FloatMode: 240
; IeeeMode: 1
; LDSByteSize: 0 bytes/workgroup (compile time only)
; SGPRBlocks: 0
; VGPRBlocks: 0
; NumSGPRsForWavesPerEU: 14
; NumVGPRsForWavesPerEU: 5
; Occupancy: 16
; WaveLimiterHint : 0
; COMPUTE_PGM_RSRC2:SCRATCH_EN: 0
; COMPUTE_PGM_RSRC2:USER_SGPR: 6
; COMPUTE_PGM_RSRC2:TRAP_HANDLER: 0
; COMPUTE_PGM_RSRC2:TGID_X_EN: 1
; COMPUTE_PGM_RSRC2:TGID_Y_EN: 0
; COMPUTE_PGM_RSRC2:TGID_Z_EN: 0
; COMPUTE_PGM_RSRC2:TIDIG_COMP_CNT: 0
	.section	.text._ZN6thrust23THRUST_200600_302600_NS11hip_rocprim14__parallel_for6kernelILj256ENS1_20__uninitialized_fill7functorINS0_10device_ptrItEEtEEmLj1EEEvT0_T1_SA_,"axG",@progbits,_ZN6thrust23THRUST_200600_302600_NS11hip_rocprim14__parallel_for6kernelILj256ENS1_20__uninitialized_fill7functorINS0_10device_ptrItEEtEEmLj1EEEvT0_T1_SA_,comdat
	.protected	_ZN6thrust23THRUST_200600_302600_NS11hip_rocprim14__parallel_for6kernelILj256ENS1_20__uninitialized_fill7functorINS0_10device_ptrItEEtEEmLj1EEEvT0_T1_SA_ ; -- Begin function _ZN6thrust23THRUST_200600_302600_NS11hip_rocprim14__parallel_for6kernelILj256ENS1_20__uninitialized_fill7functorINS0_10device_ptrItEEtEEmLj1EEEvT0_T1_SA_
	.globl	_ZN6thrust23THRUST_200600_302600_NS11hip_rocprim14__parallel_for6kernelILj256ENS1_20__uninitialized_fill7functorINS0_10device_ptrItEEtEEmLj1EEEvT0_T1_SA_
	.p2align	8
	.type	_ZN6thrust23THRUST_200600_302600_NS11hip_rocprim14__parallel_for6kernelILj256ENS1_20__uninitialized_fill7functorINS0_10device_ptrItEEtEEmLj1EEEvT0_T1_SA_,@function
_ZN6thrust23THRUST_200600_302600_NS11hip_rocprim14__parallel_for6kernelILj256ENS1_20__uninitialized_fill7functorINS0_10device_ptrItEEtEEmLj1EEEvT0_T1_SA_: ; @_ZN6thrust23THRUST_200600_302600_NS11hip_rocprim14__parallel_for6kernelILj256ENS1_20__uninitialized_fill7functorINS0_10device_ptrItEEtEEmLj1EEEvT0_T1_SA_
; %bb.0:
	s_clause 0x2
	s_load_dwordx4 s[8:11], s[4:5], 0x10
	s_load_dwordx2 s[0:1], s[4:5], 0x0
	s_load_dword s7, s[4:5], 0x8
	s_lshl_b32 s2, s6, 8
	s_waitcnt lgkmcnt(0)
	s_add_u32 s2, s10, s2
	s_addc_u32 s3, s11, 0
	s_sub_u32 s4, s8, s2
	s_subb_u32 s5, s9, s3
	v_cmp_lt_u64_e64 s5, 0xff, s[4:5]
	s_and_b32 vcc_lo, exec_lo, s5
	s_mov_b32 s5, -1
	s_cbranch_vccz .LBB1264_3
; %bb.1:
	s_andn2_b32 vcc_lo, exec_lo, s5
	s_cbranch_vccz .LBB1264_6
.LBB1264_2:
	s_endpgm
.LBB1264_3:
	v_cmp_gt_u32_e32 vcc_lo, s4, v0
	s_and_saveexec_b32 s4, vcc_lo
	s_cbranch_execz .LBB1264_5
; %bb.4:
	v_lshlrev_b32_e32 v1, 1, v0
	s_lshl_b64 s[8:9], s[2:3], 1
	v_mov_b32_e32 v3, s7
	s_add_u32 s5, s0, s8
	s_addc_u32 s6, s1, s9
	v_add_co_u32 v1, s5, s5, v1
	v_add_co_ci_u32_e64 v2, null, s6, 0, s5
	flat_store_short v[1:2], v3
.LBB1264_5:
	s_or_b32 exec_lo, exec_lo, s4
	s_cbranch_execnz .LBB1264_2
.LBB1264_6:
	v_lshlrev_b32_e32 v0, 1, v0
	s_lshl_b64 s[2:3], s[2:3], 1
	v_mov_b32_e32 v2, s7
	s_add_u32 s0, s0, s2
	s_addc_u32 s1, s1, s3
	v_add_co_u32 v0, s0, s0, v0
	v_add_co_ci_u32_e64 v1, null, s1, 0, s0
	flat_store_short v[0:1], v2
	s_endpgm
	.section	.rodata,"a",@progbits
	.p2align	6, 0x0
	.amdhsa_kernel _ZN6thrust23THRUST_200600_302600_NS11hip_rocprim14__parallel_for6kernelILj256ENS1_20__uninitialized_fill7functorINS0_10device_ptrItEEtEEmLj1EEEvT0_T1_SA_
		.amdhsa_group_segment_fixed_size 0
		.amdhsa_private_segment_fixed_size 0
		.amdhsa_kernarg_size 32
		.amdhsa_user_sgpr_count 6
		.amdhsa_user_sgpr_private_segment_buffer 1
		.amdhsa_user_sgpr_dispatch_ptr 0
		.amdhsa_user_sgpr_queue_ptr 0
		.amdhsa_user_sgpr_kernarg_segment_ptr 1
		.amdhsa_user_sgpr_dispatch_id 0
		.amdhsa_user_sgpr_flat_scratch_init 0
		.amdhsa_user_sgpr_private_segment_size 0
		.amdhsa_wavefront_size32 1
		.amdhsa_uses_dynamic_stack 0
		.amdhsa_system_sgpr_private_segment_wavefront_offset 0
		.amdhsa_system_sgpr_workgroup_id_x 1
		.amdhsa_system_sgpr_workgroup_id_y 0
		.amdhsa_system_sgpr_workgroup_id_z 0
		.amdhsa_system_sgpr_workgroup_info 0
		.amdhsa_system_vgpr_workitem_id 0
		.amdhsa_next_free_vgpr 4
		.amdhsa_next_free_sgpr 12
		.amdhsa_reserve_vcc 1
		.amdhsa_reserve_flat_scratch 0
		.amdhsa_float_round_mode_32 0
		.amdhsa_float_round_mode_16_64 0
		.amdhsa_float_denorm_mode_32 3
		.amdhsa_float_denorm_mode_16_64 3
		.amdhsa_dx10_clamp 1
		.amdhsa_ieee_mode 1
		.amdhsa_fp16_overflow 0
		.amdhsa_workgroup_processor_mode 1
		.amdhsa_memory_ordered 1
		.amdhsa_forward_progress 1
		.amdhsa_shared_vgpr_count 0
		.amdhsa_exception_fp_ieee_invalid_op 0
		.amdhsa_exception_fp_denorm_src 0
		.amdhsa_exception_fp_ieee_div_zero 0
		.amdhsa_exception_fp_ieee_overflow 0
		.amdhsa_exception_fp_ieee_underflow 0
		.amdhsa_exception_fp_ieee_inexact 0
		.amdhsa_exception_int_div_zero 0
	.end_amdhsa_kernel
	.section	.text._ZN6thrust23THRUST_200600_302600_NS11hip_rocprim14__parallel_for6kernelILj256ENS1_20__uninitialized_fill7functorINS0_10device_ptrItEEtEEmLj1EEEvT0_T1_SA_,"axG",@progbits,_ZN6thrust23THRUST_200600_302600_NS11hip_rocprim14__parallel_for6kernelILj256ENS1_20__uninitialized_fill7functorINS0_10device_ptrItEEtEEmLj1EEEvT0_T1_SA_,comdat
.Lfunc_end1264:
	.size	_ZN6thrust23THRUST_200600_302600_NS11hip_rocprim14__parallel_for6kernelILj256ENS1_20__uninitialized_fill7functorINS0_10device_ptrItEEtEEmLj1EEEvT0_T1_SA_, .Lfunc_end1264-_ZN6thrust23THRUST_200600_302600_NS11hip_rocprim14__parallel_for6kernelILj256ENS1_20__uninitialized_fill7functorINS0_10device_ptrItEEtEEmLj1EEEvT0_T1_SA_
                                        ; -- End function
	.set _ZN6thrust23THRUST_200600_302600_NS11hip_rocprim14__parallel_for6kernelILj256ENS1_20__uninitialized_fill7functorINS0_10device_ptrItEEtEEmLj1EEEvT0_T1_SA_.num_vgpr, 4
	.set _ZN6thrust23THRUST_200600_302600_NS11hip_rocprim14__parallel_for6kernelILj256ENS1_20__uninitialized_fill7functorINS0_10device_ptrItEEtEEmLj1EEEvT0_T1_SA_.num_agpr, 0
	.set _ZN6thrust23THRUST_200600_302600_NS11hip_rocprim14__parallel_for6kernelILj256ENS1_20__uninitialized_fill7functorINS0_10device_ptrItEEtEEmLj1EEEvT0_T1_SA_.numbered_sgpr, 12
	.set _ZN6thrust23THRUST_200600_302600_NS11hip_rocprim14__parallel_for6kernelILj256ENS1_20__uninitialized_fill7functorINS0_10device_ptrItEEtEEmLj1EEEvT0_T1_SA_.num_named_barrier, 0
	.set _ZN6thrust23THRUST_200600_302600_NS11hip_rocprim14__parallel_for6kernelILj256ENS1_20__uninitialized_fill7functorINS0_10device_ptrItEEtEEmLj1EEEvT0_T1_SA_.private_seg_size, 0
	.set _ZN6thrust23THRUST_200600_302600_NS11hip_rocprim14__parallel_for6kernelILj256ENS1_20__uninitialized_fill7functorINS0_10device_ptrItEEtEEmLj1EEEvT0_T1_SA_.uses_vcc, 1
	.set _ZN6thrust23THRUST_200600_302600_NS11hip_rocprim14__parallel_for6kernelILj256ENS1_20__uninitialized_fill7functorINS0_10device_ptrItEEtEEmLj1EEEvT0_T1_SA_.uses_flat_scratch, 0
	.set _ZN6thrust23THRUST_200600_302600_NS11hip_rocprim14__parallel_for6kernelILj256ENS1_20__uninitialized_fill7functorINS0_10device_ptrItEEtEEmLj1EEEvT0_T1_SA_.has_dyn_sized_stack, 0
	.set _ZN6thrust23THRUST_200600_302600_NS11hip_rocprim14__parallel_for6kernelILj256ENS1_20__uninitialized_fill7functorINS0_10device_ptrItEEtEEmLj1EEEvT0_T1_SA_.has_recursion, 0
	.set _ZN6thrust23THRUST_200600_302600_NS11hip_rocprim14__parallel_for6kernelILj256ENS1_20__uninitialized_fill7functorINS0_10device_ptrItEEtEEmLj1EEEvT0_T1_SA_.has_indirect_call, 0
	.section	.AMDGPU.csdata,"",@progbits
; Kernel info:
; codeLenInByte = 200
; TotalNumSgprs: 14
; NumVgprs: 4
; ScratchSize: 0
; MemoryBound: 0
; FloatMode: 240
; IeeeMode: 1
; LDSByteSize: 0 bytes/workgroup (compile time only)
; SGPRBlocks: 0
; VGPRBlocks: 0
; NumSGPRsForWavesPerEU: 14
; NumVGPRsForWavesPerEU: 4
; Occupancy: 16
; WaveLimiterHint : 0
; COMPUTE_PGM_RSRC2:SCRATCH_EN: 0
; COMPUTE_PGM_RSRC2:USER_SGPR: 6
; COMPUTE_PGM_RSRC2:TRAP_HANDLER: 0
; COMPUTE_PGM_RSRC2:TGID_X_EN: 1
; COMPUTE_PGM_RSRC2:TGID_Y_EN: 0
; COMPUTE_PGM_RSRC2:TGID_Z_EN: 0
; COMPUTE_PGM_RSRC2:TIDIG_COMP_CNT: 0
	.section	.text._ZN7rocprim17ROCPRIM_400000_NS6detail30init_device_scan_by_key_kernelINS1_19lookback_scan_stateINS0_5tupleIJtbEEELb0ELb1EEEN6thrust23THRUST_200600_302600_NS6detail15normal_iteratorINS8_10device_ptrIiEEEEjNS1_16block_id_wrapperIjLb0EEEEEvT_jjPNSG_10value_typeET0_PNSt15iterator_traitsISJ_E10value_typeEmT1_T2_,"axG",@progbits,_ZN7rocprim17ROCPRIM_400000_NS6detail30init_device_scan_by_key_kernelINS1_19lookback_scan_stateINS0_5tupleIJtbEEELb0ELb1EEEN6thrust23THRUST_200600_302600_NS6detail15normal_iteratorINS8_10device_ptrIiEEEEjNS1_16block_id_wrapperIjLb0EEEEEvT_jjPNSG_10value_typeET0_PNSt15iterator_traitsISJ_E10value_typeEmT1_T2_,comdat
	.protected	_ZN7rocprim17ROCPRIM_400000_NS6detail30init_device_scan_by_key_kernelINS1_19lookback_scan_stateINS0_5tupleIJtbEEELb0ELb1EEEN6thrust23THRUST_200600_302600_NS6detail15normal_iteratorINS8_10device_ptrIiEEEEjNS1_16block_id_wrapperIjLb0EEEEEvT_jjPNSG_10value_typeET0_PNSt15iterator_traitsISJ_E10value_typeEmT1_T2_ ; -- Begin function _ZN7rocprim17ROCPRIM_400000_NS6detail30init_device_scan_by_key_kernelINS1_19lookback_scan_stateINS0_5tupleIJtbEEELb0ELb1EEEN6thrust23THRUST_200600_302600_NS6detail15normal_iteratorINS8_10device_ptrIiEEEEjNS1_16block_id_wrapperIjLb0EEEEEvT_jjPNSG_10value_typeET0_PNSt15iterator_traitsISJ_E10value_typeEmT1_T2_
	.globl	_ZN7rocprim17ROCPRIM_400000_NS6detail30init_device_scan_by_key_kernelINS1_19lookback_scan_stateINS0_5tupleIJtbEEELb0ELb1EEEN6thrust23THRUST_200600_302600_NS6detail15normal_iteratorINS8_10device_ptrIiEEEEjNS1_16block_id_wrapperIjLb0EEEEEvT_jjPNSG_10value_typeET0_PNSt15iterator_traitsISJ_E10value_typeEmT1_T2_
	.p2align	8
	.type	_ZN7rocprim17ROCPRIM_400000_NS6detail30init_device_scan_by_key_kernelINS1_19lookback_scan_stateINS0_5tupleIJtbEEELb0ELb1EEEN6thrust23THRUST_200600_302600_NS6detail15normal_iteratorINS8_10device_ptrIiEEEEjNS1_16block_id_wrapperIjLb0EEEEEvT_jjPNSG_10value_typeET0_PNSt15iterator_traitsISJ_E10value_typeEmT1_T2_,@function
_ZN7rocprim17ROCPRIM_400000_NS6detail30init_device_scan_by_key_kernelINS1_19lookback_scan_stateINS0_5tupleIJtbEEELb0ELb1EEEN6thrust23THRUST_200600_302600_NS6detail15normal_iteratorINS8_10device_ptrIiEEEEjNS1_16block_id_wrapperIjLb0EEEEEvT_jjPNSG_10value_typeET0_PNSt15iterator_traitsISJ_E10value_typeEmT1_T2_: ; @_ZN7rocprim17ROCPRIM_400000_NS6detail30init_device_scan_by_key_kernelINS1_19lookback_scan_stateINS0_5tupleIJtbEEELb0ELb1EEEN6thrust23THRUST_200600_302600_NS6detail15normal_iteratorINS8_10device_ptrIiEEEEjNS1_16block_id_wrapperIjLb0EEEEEvT_jjPNSG_10value_typeET0_PNSt15iterator_traitsISJ_E10value_typeEmT1_T2_
; %bb.0:
	s_clause 0x2
	s_load_dword s0, s[4:5], 0x44
	s_load_dwordx8 s[8:15], s[4:5], 0x0
	s_load_dword s7, s[4:5], 0x38
	s_waitcnt lgkmcnt(0)
	s_and_b32 s16, s0, 0xffff
	s_cmp_eq_u64 s[12:13], 0
	v_mad_u64_u32 v[0:1], null, s6, s16, v[0:1]
	s_cbranch_scc1 .LBB1265_6
; %bb.1:
	s_cmp_lt_u32 s11, s10
	s_mov_b32 s1, 0
	s_cselect_b32 s0, s11, 0
	s_mov_b32 s2, exec_lo
	v_cmpx_eq_u32_e64 s0, v0
	s_cbranch_execz .LBB1265_5
; %bb.2:
	s_add_i32 s0, s11, 32
	v_mov_b32_e32 v3, 0
	s_lshl_b64 s[0:1], s[0:1], 3
	s_add_u32 s0, s8, s0
	s_addc_u32 s1, s9, s1
	global_load_dwordx2 v[1:2], v3, s[0:1] glc dlc
	s_waitcnt vmcnt(0)
	v_and_b32_e32 v4, 0xff, v2
	v_cmp_ne_u64_e32 vcc_lo, 0, v[3:4]
	s_cbranch_vccnz .LBB1265_4
.LBB1265_3:                             ; =>This Inner Loop Header: Depth=1
	global_load_dwordx2 v[1:2], v3, s[0:1] glc dlc
	s_waitcnt vmcnt(0)
	v_and_b32_e32 v4, 0xff, v2
	v_cmp_eq_u64_e32 vcc_lo, 0, v[3:4]
	s_cbranch_vccnz .LBB1265_3
.LBB1265_4:
	v_mov_b32_e32 v2, 0
	global_store_short v2, v1, s[12:13]
	global_store_byte_d16_hi v2, v1, s[12:13] offset:2
.LBB1265_5:
	s_or_b32 exec_lo, exec_lo, s2
.LBB1265_6:
	s_mov_b32 s0, exec_lo
	v_cmpx_gt_u32_e64 s10, v0
	s_cbranch_execz .LBB1265_8
; %bb.7:
	v_add_nc_u32_e32 v1, 32, v0
	v_mov_b32_e32 v2, 0
	v_lshlrev_b64 v[3:4], 3, v[1:2]
	v_mov_b32_e32 v1, v2
	v_add_co_u32 v3, vcc_lo, s8, v3
	v_add_co_ci_u32_e64 v4, null, s9, v4, vcc_lo
	global_store_dwordx2 v[3:4], v[1:2], off
.LBB1265_8:
	s_or_b32 exec_lo, exec_lo, s0
	v_mov_b32_e32 v1, 0
	s_mov_b32 s0, exec_lo
	v_cmpx_gt_u32_e32 32, v0
	s_cbranch_execz .LBB1265_10
; %bb.9:
	v_lshlrev_b64 v[2:3], 3, v[0:1]
	v_mov_b32_e32 v4, 0xff
	v_add_co_u32 v5, vcc_lo, s8, v2
	v_add_co_ci_u32_e64 v6, null, s9, v3, vcc_lo
	v_mov_b32_e32 v3, v1
	global_store_dwordx2 v[5:6], v[3:4], off
.LBB1265_10:
	s_or_b32 exec_lo, exec_lo, s0
	s_load_dwordx2 s[2:3], s[4:5], 0x28
	s_mov_b32 s0, exec_lo
	s_waitcnt lgkmcnt(0)
	v_cmpx_gt_u64_e64 s[2:3], v[0:1]
	s_cbranch_execz .LBB1265_13
; %bb.11:
	s_clause 0x1
	s_load_dword s6, s[4:5], 0x30
	s_load_dwordx2 s[8:9], s[4:5], 0x20
	s_mov_b32 s1, 0
	v_lshlrev_b64 v[4:5], 2, v[0:1]
	s_mul_i32 s4, s7, s16
	s_waitcnt lgkmcnt(0)
	v_mad_u64_u32 v[2:3], null, s6, v0, 0
	s_add_i32 s0, s6, -1
	s_mul_hi_u32 s7, s6, s4
	s_lshl_b64 s[10:11], s[0:1], 2
	s_mul_i32 s6, s6, s4
	s_add_u32 s0, s14, s10
	s_addc_u32 s5, s15, s11
	v_lshlrev_b64 v[2:3], 2, v[2:3]
	s_lshl_b64 s[6:7], s[6:7], 2
	v_add_co_u32 v2, vcc_lo, s0, v2
	v_add_co_ci_u32_e64 v3, null, s5, v3, vcc_lo
	v_add_co_u32 v4, vcc_lo, s8, v4
	v_add_co_ci_u32_e64 v5, null, s9, v5, vcc_lo
	s_mov_b32 s5, s1
	s_lshl_b64 s[8:9], s[4:5], 2
	.p2align	6
.LBB1265_12:                            ; =>This Inner Loop Header: Depth=1
	global_load_dword v6, v[2:3], off
	v_add_co_u32 v0, vcc_lo, v0, s4
	v_add_co_ci_u32_e64 v1, null, 0, v1, vcc_lo
	v_add_co_u32 v2, vcc_lo, v2, s6
	v_add_co_ci_u32_e64 v3, null, s7, v3, vcc_lo
	v_cmp_le_u64_e32 vcc_lo, s[2:3], v[0:1]
	s_or_b32 s1, vcc_lo, s1
	s_waitcnt vmcnt(0)
	global_store_dword v[4:5], v6, off
	v_add_co_u32 v4, s0, v4, s8
	v_add_co_ci_u32_e64 v5, null, s9, v5, s0
	s_andn2_b32 exec_lo, exec_lo, s1
	s_cbranch_execnz .LBB1265_12
.LBB1265_13:
	s_endpgm
	.section	.rodata,"a",@progbits
	.p2align	6, 0x0
	.amdhsa_kernel _ZN7rocprim17ROCPRIM_400000_NS6detail30init_device_scan_by_key_kernelINS1_19lookback_scan_stateINS0_5tupleIJtbEEELb0ELb1EEEN6thrust23THRUST_200600_302600_NS6detail15normal_iteratorINS8_10device_ptrIiEEEEjNS1_16block_id_wrapperIjLb0EEEEEvT_jjPNSG_10value_typeET0_PNSt15iterator_traitsISJ_E10value_typeEmT1_T2_
		.amdhsa_group_segment_fixed_size 0
		.amdhsa_private_segment_fixed_size 0
		.amdhsa_kernarg_size 312
		.amdhsa_user_sgpr_count 6
		.amdhsa_user_sgpr_private_segment_buffer 1
		.amdhsa_user_sgpr_dispatch_ptr 0
		.amdhsa_user_sgpr_queue_ptr 0
		.amdhsa_user_sgpr_kernarg_segment_ptr 1
		.amdhsa_user_sgpr_dispatch_id 0
		.amdhsa_user_sgpr_flat_scratch_init 0
		.amdhsa_user_sgpr_private_segment_size 0
		.amdhsa_wavefront_size32 1
		.amdhsa_uses_dynamic_stack 0
		.amdhsa_system_sgpr_private_segment_wavefront_offset 0
		.amdhsa_system_sgpr_workgroup_id_x 1
		.amdhsa_system_sgpr_workgroup_id_y 0
		.amdhsa_system_sgpr_workgroup_id_z 0
		.amdhsa_system_sgpr_workgroup_info 0
		.amdhsa_system_vgpr_workitem_id 0
		.amdhsa_next_free_vgpr 7
		.amdhsa_next_free_sgpr 17
		.amdhsa_reserve_vcc 1
		.amdhsa_reserve_flat_scratch 0
		.amdhsa_float_round_mode_32 0
		.amdhsa_float_round_mode_16_64 0
		.amdhsa_float_denorm_mode_32 3
		.amdhsa_float_denorm_mode_16_64 3
		.amdhsa_dx10_clamp 1
		.amdhsa_ieee_mode 1
		.amdhsa_fp16_overflow 0
		.amdhsa_workgroup_processor_mode 1
		.amdhsa_memory_ordered 1
		.amdhsa_forward_progress 1
		.amdhsa_shared_vgpr_count 0
		.amdhsa_exception_fp_ieee_invalid_op 0
		.amdhsa_exception_fp_denorm_src 0
		.amdhsa_exception_fp_ieee_div_zero 0
		.amdhsa_exception_fp_ieee_overflow 0
		.amdhsa_exception_fp_ieee_underflow 0
		.amdhsa_exception_fp_ieee_inexact 0
		.amdhsa_exception_int_div_zero 0
	.end_amdhsa_kernel
	.section	.text._ZN7rocprim17ROCPRIM_400000_NS6detail30init_device_scan_by_key_kernelINS1_19lookback_scan_stateINS0_5tupleIJtbEEELb0ELb1EEEN6thrust23THRUST_200600_302600_NS6detail15normal_iteratorINS8_10device_ptrIiEEEEjNS1_16block_id_wrapperIjLb0EEEEEvT_jjPNSG_10value_typeET0_PNSt15iterator_traitsISJ_E10value_typeEmT1_T2_,"axG",@progbits,_ZN7rocprim17ROCPRIM_400000_NS6detail30init_device_scan_by_key_kernelINS1_19lookback_scan_stateINS0_5tupleIJtbEEELb0ELb1EEEN6thrust23THRUST_200600_302600_NS6detail15normal_iteratorINS8_10device_ptrIiEEEEjNS1_16block_id_wrapperIjLb0EEEEEvT_jjPNSG_10value_typeET0_PNSt15iterator_traitsISJ_E10value_typeEmT1_T2_,comdat
.Lfunc_end1265:
	.size	_ZN7rocprim17ROCPRIM_400000_NS6detail30init_device_scan_by_key_kernelINS1_19lookback_scan_stateINS0_5tupleIJtbEEELb0ELb1EEEN6thrust23THRUST_200600_302600_NS6detail15normal_iteratorINS8_10device_ptrIiEEEEjNS1_16block_id_wrapperIjLb0EEEEEvT_jjPNSG_10value_typeET0_PNSt15iterator_traitsISJ_E10value_typeEmT1_T2_, .Lfunc_end1265-_ZN7rocprim17ROCPRIM_400000_NS6detail30init_device_scan_by_key_kernelINS1_19lookback_scan_stateINS0_5tupleIJtbEEELb0ELb1EEEN6thrust23THRUST_200600_302600_NS6detail15normal_iteratorINS8_10device_ptrIiEEEEjNS1_16block_id_wrapperIjLb0EEEEEvT_jjPNSG_10value_typeET0_PNSt15iterator_traitsISJ_E10value_typeEmT1_T2_
                                        ; -- End function
	.set _ZN7rocprim17ROCPRIM_400000_NS6detail30init_device_scan_by_key_kernelINS1_19lookback_scan_stateINS0_5tupleIJtbEEELb0ELb1EEEN6thrust23THRUST_200600_302600_NS6detail15normal_iteratorINS8_10device_ptrIiEEEEjNS1_16block_id_wrapperIjLb0EEEEEvT_jjPNSG_10value_typeET0_PNSt15iterator_traitsISJ_E10value_typeEmT1_T2_.num_vgpr, 7
	.set _ZN7rocprim17ROCPRIM_400000_NS6detail30init_device_scan_by_key_kernelINS1_19lookback_scan_stateINS0_5tupleIJtbEEELb0ELb1EEEN6thrust23THRUST_200600_302600_NS6detail15normal_iteratorINS8_10device_ptrIiEEEEjNS1_16block_id_wrapperIjLb0EEEEEvT_jjPNSG_10value_typeET0_PNSt15iterator_traitsISJ_E10value_typeEmT1_T2_.num_agpr, 0
	.set _ZN7rocprim17ROCPRIM_400000_NS6detail30init_device_scan_by_key_kernelINS1_19lookback_scan_stateINS0_5tupleIJtbEEELb0ELb1EEEN6thrust23THRUST_200600_302600_NS6detail15normal_iteratorINS8_10device_ptrIiEEEEjNS1_16block_id_wrapperIjLb0EEEEEvT_jjPNSG_10value_typeET0_PNSt15iterator_traitsISJ_E10value_typeEmT1_T2_.numbered_sgpr, 17
	.set _ZN7rocprim17ROCPRIM_400000_NS6detail30init_device_scan_by_key_kernelINS1_19lookback_scan_stateINS0_5tupleIJtbEEELb0ELb1EEEN6thrust23THRUST_200600_302600_NS6detail15normal_iteratorINS8_10device_ptrIiEEEEjNS1_16block_id_wrapperIjLb0EEEEEvT_jjPNSG_10value_typeET0_PNSt15iterator_traitsISJ_E10value_typeEmT1_T2_.num_named_barrier, 0
	.set _ZN7rocprim17ROCPRIM_400000_NS6detail30init_device_scan_by_key_kernelINS1_19lookback_scan_stateINS0_5tupleIJtbEEELb0ELb1EEEN6thrust23THRUST_200600_302600_NS6detail15normal_iteratorINS8_10device_ptrIiEEEEjNS1_16block_id_wrapperIjLb0EEEEEvT_jjPNSG_10value_typeET0_PNSt15iterator_traitsISJ_E10value_typeEmT1_T2_.private_seg_size, 0
	.set _ZN7rocprim17ROCPRIM_400000_NS6detail30init_device_scan_by_key_kernelINS1_19lookback_scan_stateINS0_5tupleIJtbEEELb0ELb1EEEN6thrust23THRUST_200600_302600_NS6detail15normal_iteratorINS8_10device_ptrIiEEEEjNS1_16block_id_wrapperIjLb0EEEEEvT_jjPNSG_10value_typeET0_PNSt15iterator_traitsISJ_E10value_typeEmT1_T2_.uses_vcc, 1
	.set _ZN7rocprim17ROCPRIM_400000_NS6detail30init_device_scan_by_key_kernelINS1_19lookback_scan_stateINS0_5tupleIJtbEEELb0ELb1EEEN6thrust23THRUST_200600_302600_NS6detail15normal_iteratorINS8_10device_ptrIiEEEEjNS1_16block_id_wrapperIjLb0EEEEEvT_jjPNSG_10value_typeET0_PNSt15iterator_traitsISJ_E10value_typeEmT1_T2_.uses_flat_scratch, 0
	.set _ZN7rocprim17ROCPRIM_400000_NS6detail30init_device_scan_by_key_kernelINS1_19lookback_scan_stateINS0_5tupleIJtbEEELb0ELb1EEEN6thrust23THRUST_200600_302600_NS6detail15normal_iteratorINS8_10device_ptrIiEEEEjNS1_16block_id_wrapperIjLb0EEEEEvT_jjPNSG_10value_typeET0_PNSt15iterator_traitsISJ_E10value_typeEmT1_T2_.has_dyn_sized_stack, 0
	.set _ZN7rocprim17ROCPRIM_400000_NS6detail30init_device_scan_by_key_kernelINS1_19lookback_scan_stateINS0_5tupleIJtbEEELb0ELb1EEEN6thrust23THRUST_200600_302600_NS6detail15normal_iteratorINS8_10device_ptrIiEEEEjNS1_16block_id_wrapperIjLb0EEEEEvT_jjPNSG_10value_typeET0_PNSt15iterator_traitsISJ_E10value_typeEmT1_T2_.has_recursion, 0
	.set _ZN7rocprim17ROCPRIM_400000_NS6detail30init_device_scan_by_key_kernelINS1_19lookback_scan_stateINS0_5tupleIJtbEEELb0ELb1EEEN6thrust23THRUST_200600_302600_NS6detail15normal_iteratorINS8_10device_ptrIiEEEEjNS1_16block_id_wrapperIjLb0EEEEEvT_jjPNSG_10value_typeET0_PNSt15iterator_traitsISJ_E10value_typeEmT1_T2_.has_indirect_call, 0
	.section	.AMDGPU.csdata,"",@progbits
; Kernel info:
; codeLenInByte = 600
; TotalNumSgprs: 19
; NumVgprs: 7
; ScratchSize: 0
; MemoryBound: 0
; FloatMode: 240
; IeeeMode: 1
; LDSByteSize: 0 bytes/workgroup (compile time only)
; SGPRBlocks: 0
; VGPRBlocks: 0
; NumSGPRsForWavesPerEU: 19
; NumVGPRsForWavesPerEU: 7
; Occupancy: 16
; WaveLimiterHint : 0
; COMPUTE_PGM_RSRC2:SCRATCH_EN: 0
; COMPUTE_PGM_RSRC2:USER_SGPR: 6
; COMPUTE_PGM_RSRC2:TRAP_HANDLER: 0
; COMPUTE_PGM_RSRC2:TGID_X_EN: 1
; COMPUTE_PGM_RSRC2:TGID_Y_EN: 0
; COMPUTE_PGM_RSRC2:TGID_Z_EN: 0
; COMPUTE_PGM_RSRC2:TIDIG_COMP_CNT: 0
	.section	.text._ZN7rocprim17ROCPRIM_400000_NS6detail30init_device_scan_by_key_kernelINS1_19lookback_scan_stateINS0_5tupleIJtbEEELb0ELb1EEENS1_16block_id_wrapperIjLb0EEEEEvT_jjPNS9_10value_typeET0_,"axG",@progbits,_ZN7rocprim17ROCPRIM_400000_NS6detail30init_device_scan_by_key_kernelINS1_19lookback_scan_stateINS0_5tupleIJtbEEELb0ELb1EEENS1_16block_id_wrapperIjLb0EEEEEvT_jjPNS9_10value_typeET0_,comdat
	.protected	_ZN7rocprim17ROCPRIM_400000_NS6detail30init_device_scan_by_key_kernelINS1_19lookback_scan_stateINS0_5tupleIJtbEEELb0ELb1EEENS1_16block_id_wrapperIjLb0EEEEEvT_jjPNS9_10value_typeET0_ ; -- Begin function _ZN7rocprim17ROCPRIM_400000_NS6detail30init_device_scan_by_key_kernelINS1_19lookback_scan_stateINS0_5tupleIJtbEEELb0ELb1EEENS1_16block_id_wrapperIjLb0EEEEEvT_jjPNS9_10value_typeET0_
	.globl	_ZN7rocprim17ROCPRIM_400000_NS6detail30init_device_scan_by_key_kernelINS1_19lookback_scan_stateINS0_5tupleIJtbEEELb0ELb1EEENS1_16block_id_wrapperIjLb0EEEEEvT_jjPNS9_10value_typeET0_
	.p2align	8
	.type	_ZN7rocprim17ROCPRIM_400000_NS6detail30init_device_scan_by_key_kernelINS1_19lookback_scan_stateINS0_5tupleIJtbEEELb0ELb1EEENS1_16block_id_wrapperIjLb0EEEEEvT_jjPNS9_10value_typeET0_,@function
_ZN7rocprim17ROCPRIM_400000_NS6detail30init_device_scan_by_key_kernelINS1_19lookback_scan_stateINS0_5tupleIJtbEEELb0ELb1EEENS1_16block_id_wrapperIjLb0EEEEEvT_jjPNS9_10value_typeET0_: ; @_ZN7rocprim17ROCPRIM_400000_NS6detail30init_device_scan_by_key_kernelINS1_19lookback_scan_stateINS0_5tupleIJtbEEELb0ELb1EEENS1_16block_id_wrapperIjLb0EEEEEvT_jjPNS9_10value_typeET0_
; %bb.0:
	s_clause 0x2
	s_load_dword s7, s[4:5], 0x2c
	s_load_dwordx2 s[8:9], s[4:5], 0x10
	s_load_dwordx4 s[0:3], s[4:5], 0x0
	s_waitcnt lgkmcnt(0)
	s_and_b32 s4, s7, 0xffff
	s_cmp_eq_u64 s[8:9], 0
	v_mad_u64_u32 v[0:1], null, s6, s4, v[0:1]
	s_cbranch_scc1 .LBB1266_6
; %bb.1:
	s_cmp_lt_u32 s3, s2
	s_mov_b32 s5, 0
	s_cselect_b32 s4, s3, 0
	s_mov_b32 s6, exec_lo
	v_cmpx_eq_u32_e64 s4, v0
	s_cbranch_execz .LBB1266_5
; %bb.2:
	s_add_i32 s4, s3, 32
	v_mov_b32_e32 v3, 0
	s_lshl_b64 s[4:5], s[4:5], 3
	s_add_u32 s4, s0, s4
	s_addc_u32 s5, s1, s5
	global_load_dwordx2 v[1:2], v3, s[4:5] glc dlc
	s_waitcnt vmcnt(0)
	v_and_b32_e32 v4, 0xff, v2
	v_cmp_ne_u64_e32 vcc_lo, 0, v[3:4]
	s_cbranch_vccnz .LBB1266_4
.LBB1266_3:                             ; =>This Inner Loop Header: Depth=1
	global_load_dwordx2 v[1:2], v3, s[4:5] glc dlc
	s_waitcnt vmcnt(0)
	v_and_b32_e32 v4, 0xff, v2
	v_cmp_eq_u64_e32 vcc_lo, 0, v[3:4]
	s_cbranch_vccnz .LBB1266_3
.LBB1266_4:
	v_mov_b32_e32 v2, 0
	global_store_short v2, v1, s[8:9]
	global_store_byte_d16_hi v2, v1, s[8:9] offset:2
.LBB1266_5:
	s_or_b32 exec_lo, exec_lo, s6
.LBB1266_6:
	v_cmp_gt_u32_e32 vcc_lo, s2, v0
	s_and_saveexec_b32 s2, vcc_lo
	s_cbranch_execz .LBB1266_8
; %bb.7:
	v_add_nc_u32_e32 v1, 32, v0
	v_mov_b32_e32 v2, 0
	v_lshlrev_b64 v[3:4], 3, v[1:2]
	v_mov_b32_e32 v1, v2
	v_add_co_u32 v3, vcc_lo, s0, v3
	v_add_co_ci_u32_e64 v4, null, s1, v4, vcc_lo
	global_store_dwordx2 v[3:4], v[1:2], off
.LBB1266_8:
	s_or_b32 exec_lo, exec_lo, s2
	s_mov_b32 s2, exec_lo
	v_cmpx_gt_u32_e32 32, v0
	s_cbranch_execz .LBB1266_10
; %bb.9:
	v_mov_b32_e32 v1, 0
	v_mov_b32_e32 v4, 0xff
	v_lshlrev_b64 v[2:3], 3, v[0:1]
	v_add_co_u32 v5, vcc_lo, s0, v2
	v_add_co_ci_u32_e64 v6, null, s1, v3, vcc_lo
	v_mov_b32_e32 v3, v1
	global_store_dwordx2 v[5:6], v[3:4], off
.LBB1266_10:
	s_endpgm
	.section	.rodata,"a",@progbits
	.p2align	6, 0x0
	.amdhsa_kernel _ZN7rocprim17ROCPRIM_400000_NS6detail30init_device_scan_by_key_kernelINS1_19lookback_scan_stateINS0_5tupleIJtbEEELb0ELb1EEENS1_16block_id_wrapperIjLb0EEEEEvT_jjPNS9_10value_typeET0_
		.amdhsa_group_segment_fixed_size 0
		.amdhsa_private_segment_fixed_size 0
		.amdhsa_kernarg_size 288
		.amdhsa_user_sgpr_count 6
		.amdhsa_user_sgpr_private_segment_buffer 1
		.amdhsa_user_sgpr_dispatch_ptr 0
		.amdhsa_user_sgpr_queue_ptr 0
		.amdhsa_user_sgpr_kernarg_segment_ptr 1
		.amdhsa_user_sgpr_dispatch_id 0
		.amdhsa_user_sgpr_flat_scratch_init 0
		.amdhsa_user_sgpr_private_segment_size 0
		.amdhsa_wavefront_size32 1
		.amdhsa_uses_dynamic_stack 0
		.amdhsa_system_sgpr_private_segment_wavefront_offset 0
		.amdhsa_system_sgpr_workgroup_id_x 1
		.amdhsa_system_sgpr_workgroup_id_y 0
		.amdhsa_system_sgpr_workgroup_id_z 0
		.amdhsa_system_sgpr_workgroup_info 0
		.amdhsa_system_vgpr_workitem_id 0
		.amdhsa_next_free_vgpr 7
		.amdhsa_next_free_sgpr 10
		.amdhsa_reserve_vcc 1
		.amdhsa_reserve_flat_scratch 0
		.amdhsa_float_round_mode_32 0
		.amdhsa_float_round_mode_16_64 0
		.amdhsa_float_denorm_mode_32 3
		.amdhsa_float_denorm_mode_16_64 3
		.amdhsa_dx10_clamp 1
		.amdhsa_ieee_mode 1
		.amdhsa_fp16_overflow 0
		.amdhsa_workgroup_processor_mode 1
		.amdhsa_memory_ordered 1
		.amdhsa_forward_progress 1
		.amdhsa_shared_vgpr_count 0
		.amdhsa_exception_fp_ieee_invalid_op 0
		.amdhsa_exception_fp_denorm_src 0
		.amdhsa_exception_fp_ieee_div_zero 0
		.amdhsa_exception_fp_ieee_overflow 0
		.amdhsa_exception_fp_ieee_underflow 0
		.amdhsa_exception_fp_ieee_inexact 0
		.amdhsa_exception_int_div_zero 0
	.end_amdhsa_kernel
	.section	.text._ZN7rocprim17ROCPRIM_400000_NS6detail30init_device_scan_by_key_kernelINS1_19lookback_scan_stateINS0_5tupleIJtbEEELb0ELb1EEENS1_16block_id_wrapperIjLb0EEEEEvT_jjPNS9_10value_typeET0_,"axG",@progbits,_ZN7rocprim17ROCPRIM_400000_NS6detail30init_device_scan_by_key_kernelINS1_19lookback_scan_stateINS0_5tupleIJtbEEELb0ELb1EEENS1_16block_id_wrapperIjLb0EEEEEvT_jjPNS9_10value_typeET0_,comdat
.Lfunc_end1266:
	.size	_ZN7rocprim17ROCPRIM_400000_NS6detail30init_device_scan_by_key_kernelINS1_19lookback_scan_stateINS0_5tupleIJtbEEELb0ELb1EEENS1_16block_id_wrapperIjLb0EEEEEvT_jjPNS9_10value_typeET0_, .Lfunc_end1266-_ZN7rocprim17ROCPRIM_400000_NS6detail30init_device_scan_by_key_kernelINS1_19lookback_scan_stateINS0_5tupleIJtbEEELb0ELb1EEENS1_16block_id_wrapperIjLb0EEEEEvT_jjPNS9_10value_typeET0_
                                        ; -- End function
	.set _ZN7rocprim17ROCPRIM_400000_NS6detail30init_device_scan_by_key_kernelINS1_19lookback_scan_stateINS0_5tupleIJtbEEELb0ELb1EEENS1_16block_id_wrapperIjLb0EEEEEvT_jjPNS9_10value_typeET0_.num_vgpr, 7
	.set _ZN7rocprim17ROCPRIM_400000_NS6detail30init_device_scan_by_key_kernelINS1_19lookback_scan_stateINS0_5tupleIJtbEEELb0ELb1EEENS1_16block_id_wrapperIjLb0EEEEEvT_jjPNS9_10value_typeET0_.num_agpr, 0
	.set _ZN7rocprim17ROCPRIM_400000_NS6detail30init_device_scan_by_key_kernelINS1_19lookback_scan_stateINS0_5tupleIJtbEEELb0ELb1EEENS1_16block_id_wrapperIjLb0EEEEEvT_jjPNS9_10value_typeET0_.numbered_sgpr, 10
	.set _ZN7rocprim17ROCPRIM_400000_NS6detail30init_device_scan_by_key_kernelINS1_19lookback_scan_stateINS0_5tupleIJtbEEELb0ELb1EEENS1_16block_id_wrapperIjLb0EEEEEvT_jjPNS9_10value_typeET0_.num_named_barrier, 0
	.set _ZN7rocprim17ROCPRIM_400000_NS6detail30init_device_scan_by_key_kernelINS1_19lookback_scan_stateINS0_5tupleIJtbEEELb0ELb1EEENS1_16block_id_wrapperIjLb0EEEEEvT_jjPNS9_10value_typeET0_.private_seg_size, 0
	.set _ZN7rocprim17ROCPRIM_400000_NS6detail30init_device_scan_by_key_kernelINS1_19lookback_scan_stateINS0_5tupleIJtbEEELb0ELb1EEENS1_16block_id_wrapperIjLb0EEEEEvT_jjPNS9_10value_typeET0_.uses_vcc, 1
	.set _ZN7rocprim17ROCPRIM_400000_NS6detail30init_device_scan_by_key_kernelINS1_19lookback_scan_stateINS0_5tupleIJtbEEELb0ELb1EEENS1_16block_id_wrapperIjLb0EEEEEvT_jjPNS9_10value_typeET0_.uses_flat_scratch, 0
	.set _ZN7rocprim17ROCPRIM_400000_NS6detail30init_device_scan_by_key_kernelINS1_19lookback_scan_stateINS0_5tupleIJtbEEELb0ELb1EEENS1_16block_id_wrapperIjLb0EEEEEvT_jjPNS9_10value_typeET0_.has_dyn_sized_stack, 0
	.set _ZN7rocprim17ROCPRIM_400000_NS6detail30init_device_scan_by_key_kernelINS1_19lookback_scan_stateINS0_5tupleIJtbEEELb0ELb1EEENS1_16block_id_wrapperIjLb0EEEEEvT_jjPNS9_10value_typeET0_.has_recursion, 0
	.set _ZN7rocprim17ROCPRIM_400000_NS6detail30init_device_scan_by_key_kernelINS1_19lookback_scan_stateINS0_5tupleIJtbEEELb0ELb1EEENS1_16block_id_wrapperIjLb0EEEEEvT_jjPNS9_10value_typeET0_.has_indirect_call, 0
	.section	.AMDGPU.csdata,"",@progbits
; Kernel info:
; codeLenInByte = 308
; TotalNumSgprs: 12
; NumVgprs: 7
; ScratchSize: 0
; MemoryBound: 0
; FloatMode: 240
; IeeeMode: 1
; LDSByteSize: 0 bytes/workgroup (compile time only)
; SGPRBlocks: 0
; VGPRBlocks: 0
; NumSGPRsForWavesPerEU: 12
; NumVGPRsForWavesPerEU: 7
; Occupancy: 16
; WaveLimiterHint : 0
; COMPUTE_PGM_RSRC2:SCRATCH_EN: 0
; COMPUTE_PGM_RSRC2:USER_SGPR: 6
; COMPUTE_PGM_RSRC2:TRAP_HANDLER: 0
; COMPUTE_PGM_RSRC2:TGID_X_EN: 1
; COMPUTE_PGM_RSRC2:TGID_Y_EN: 0
; COMPUTE_PGM_RSRC2:TGID_Z_EN: 0
; COMPUTE_PGM_RSRC2:TIDIG_COMP_CNT: 0
	.section	.text._ZN7rocprim17ROCPRIM_400000_NS6detail17trampoline_kernelINS0_14default_configENS1_27scan_by_key_config_selectorIitEEZZNS1_16scan_by_key_implILNS1_25lookback_scan_determinismE0ELb0ES3_N6thrust23THRUST_200600_302600_NS6detail15normal_iteratorINS9_10device_ptrIiEEEENSB_INSC_ItEEEESG_tNS9_4plusIvEENS9_8equal_toIvEEtEE10hipError_tPvRmT2_T3_T4_T5_mT6_T7_P12ihipStream_tbENKUlT_T0_E_clISt17integral_constantIbLb0EES11_EEDaSW_SX_EUlSW_E_NS1_11comp_targetILNS1_3genE0ELNS1_11target_archE4294967295ELNS1_3gpuE0ELNS1_3repE0EEENS1_30default_config_static_selectorELNS0_4arch9wavefront6targetE0EEEvT1_,"axG",@progbits,_ZN7rocprim17ROCPRIM_400000_NS6detail17trampoline_kernelINS0_14default_configENS1_27scan_by_key_config_selectorIitEEZZNS1_16scan_by_key_implILNS1_25lookback_scan_determinismE0ELb0ES3_N6thrust23THRUST_200600_302600_NS6detail15normal_iteratorINS9_10device_ptrIiEEEENSB_INSC_ItEEEESG_tNS9_4plusIvEENS9_8equal_toIvEEtEE10hipError_tPvRmT2_T3_T4_T5_mT6_T7_P12ihipStream_tbENKUlT_T0_E_clISt17integral_constantIbLb0EES11_EEDaSW_SX_EUlSW_E_NS1_11comp_targetILNS1_3genE0ELNS1_11target_archE4294967295ELNS1_3gpuE0ELNS1_3repE0EEENS1_30default_config_static_selectorELNS0_4arch9wavefront6targetE0EEEvT1_,comdat
	.protected	_ZN7rocprim17ROCPRIM_400000_NS6detail17trampoline_kernelINS0_14default_configENS1_27scan_by_key_config_selectorIitEEZZNS1_16scan_by_key_implILNS1_25lookback_scan_determinismE0ELb0ES3_N6thrust23THRUST_200600_302600_NS6detail15normal_iteratorINS9_10device_ptrIiEEEENSB_INSC_ItEEEESG_tNS9_4plusIvEENS9_8equal_toIvEEtEE10hipError_tPvRmT2_T3_T4_T5_mT6_T7_P12ihipStream_tbENKUlT_T0_E_clISt17integral_constantIbLb0EES11_EEDaSW_SX_EUlSW_E_NS1_11comp_targetILNS1_3genE0ELNS1_11target_archE4294967295ELNS1_3gpuE0ELNS1_3repE0EEENS1_30default_config_static_selectorELNS0_4arch9wavefront6targetE0EEEvT1_ ; -- Begin function _ZN7rocprim17ROCPRIM_400000_NS6detail17trampoline_kernelINS0_14default_configENS1_27scan_by_key_config_selectorIitEEZZNS1_16scan_by_key_implILNS1_25lookback_scan_determinismE0ELb0ES3_N6thrust23THRUST_200600_302600_NS6detail15normal_iteratorINS9_10device_ptrIiEEEENSB_INSC_ItEEEESG_tNS9_4plusIvEENS9_8equal_toIvEEtEE10hipError_tPvRmT2_T3_T4_T5_mT6_T7_P12ihipStream_tbENKUlT_T0_E_clISt17integral_constantIbLb0EES11_EEDaSW_SX_EUlSW_E_NS1_11comp_targetILNS1_3genE0ELNS1_11target_archE4294967295ELNS1_3gpuE0ELNS1_3repE0EEENS1_30default_config_static_selectorELNS0_4arch9wavefront6targetE0EEEvT1_
	.globl	_ZN7rocprim17ROCPRIM_400000_NS6detail17trampoline_kernelINS0_14default_configENS1_27scan_by_key_config_selectorIitEEZZNS1_16scan_by_key_implILNS1_25lookback_scan_determinismE0ELb0ES3_N6thrust23THRUST_200600_302600_NS6detail15normal_iteratorINS9_10device_ptrIiEEEENSB_INSC_ItEEEESG_tNS9_4plusIvEENS9_8equal_toIvEEtEE10hipError_tPvRmT2_T3_T4_T5_mT6_T7_P12ihipStream_tbENKUlT_T0_E_clISt17integral_constantIbLb0EES11_EEDaSW_SX_EUlSW_E_NS1_11comp_targetILNS1_3genE0ELNS1_11target_archE4294967295ELNS1_3gpuE0ELNS1_3repE0EEENS1_30default_config_static_selectorELNS0_4arch9wavefront6targetE0EEEvT1_
	.p2align	8
	.type	_ZN7rocprim17ROCPRIM_400000_NS6detail17trampoline_kernelINS0_14default_configENS1_27scan_by_key_config_selectorIitEEZZNS1_16scan_by_key_implILNS1_25lookback_scan_determinismE0ELb0ES3_N6thrust23THRUST_200600_302600_NS6detail15normal_iteratorINS9_10device_ptrIiEEEENSB_INSC_ItEEEESG_tNS9_4plusIvEENS9_8equal_toIvEEtEE10hipError_tPvRmT2_T3_T4_T5_mT6_T7_P12ihipStream_tbENKUlT_T0_E_clISt17integral_constantIbLb0EES11_EEDaSW_SX_EUlSW_E_NS1_11comp_targetILNS1_3genE0ELNS1_11target_archE4294967295ELNS1_3gpuE0ELNS1_3repE0EEENS1_30default_config_static_selectorELNS0_4arch9wavefront6targetE0EEEvT1_,@function
_ZN7rocprim17ROCPRIM_400000_NS6detail17trampoline_kernelINS0_14default_configENS1_27scan_by_key_config_selectorIitEEZZNS1_16scan_by_key_implILNS1_25lookback_scan_determinismE0ELb0ES3_N6thrust23THRUST_200600_302600_NS6detail15normal_iteratorINS9_10device_ptrIiEEEENSB_INSC_ItEEEESG_tNS9_4plusIvEENS9_8equal_toIvEEtEE10hipError_tPvRmT2_T3_T4_T5_mT6_T7_P12ihipStream_tbENKUlT_T0_E_clISt17integral_constantIbLb0EES11_EEDaSW_SX_EUlSW_E_NS1_11comp_targetILNS1_3genE0ELNS1_11target_archE4294967295ELNS1_3gpuE0ELNS1_3repE0EEENS1_30default_config_static_selectorELNS0_4arch9wavefront6targetE0EEEvT1_: ; @_ZN7rocprim17ROCPRIM_400000_NS6detail17trampoline_kernelINS0_14default_configENS1_27scan_by_key_config_selectorIitEEZZNS1_16scan_by_key_implILNS1_25lookback_scan_determinismE0ELb0ES3_N6thrust23THRUST_200600_302600_NS6detail15normal_iteratorINS9_10device_ptrIiEEEENSB_INSC_ItEEEESG_tNS9_4plusIvEENS9_8equal_toIvEEtEE10hipError_tPvRmT2_T3_T4_T5_mT6_T7_P12ihipStream_tbENKUlT_T0_E_clISt17integral_constantIbLb0EES11_EEDaSW_SX_EUlSW_E_NS1_11comp_targetILNS1_3genE0ELNS1_11target_archE4294967295ELNS1_3gpuE0ELNS1_3repE0EEENS1_30default_config_static_selectorELNS0_4arch9wavefront6targetE0EEEvT1_
; %bb.0:
	.section	.rodata,"a",@progbits
	.p2align	6, 0x0
	.amdhsa_kernel _ZN7rocprim17ROCPRIM_400000_NS6detail17trampoline_kernelINS0_14default_configENS1_27scan_by_key_config_selectorIitEEZZNS1_16scan_by_key_implILNS1_25lookback_scan_determinismE0ELb0ES3_N6thrust23THRUST_200600_302600_NS6detail15normal_iteratorINS9_10device_ptrIiEEEENSB_INSC_ItEEEESG_tNS9_4plusIvEENS9_8equal_toIvEEtEE10hipError_tPvRmT2_T3_T4_T5_mT6_T7_P12ihipStream_tbENKUlT_T0_E_clISt17integral_constantIbLb0EES11_EEDaSW_SX_EUlSW_E_NS1_11comp_targetILNS1_3genE0ELNS1_11target_archE4294967295ELNS1_3gpuE0ELNS1_3repE0EEENS1_30default_config_static_selectorELNS0_4arch9wavefront6targetE0EEEvT1_
		.amdhsa_group_segment_fixed_size 0
		.amdhsa_private_segment_fixed_size 0
		.amdhsa_kernarg_size 112
		.amdhsa_user_sgpr_count 6
		.amdhsa_user_sgpr_private_segment_buffer 1
		.amdhsa_user_sgpr_dispatch_ptr 0
		.amdhsa_user_sgpr_queue_ptr 0
		.amdhsa_user_sgpr_kernarg_segment_ptr 1
		.amdhsa_user_sgpr_dispatch_id 0
		.amdhsa_user_sgpr_flat_scratch_init 0
		.amdhsa_user_sgpr_private_segment_size 0
		.amdhsa_wavefront_size32 1
		.amdhsa_uses_dynamic_stack 0
		.amdhsa_system_sgpr_private_segment_wavefront_offset 0
		.amdhsa_system_sgpr_workgroup_id_x 1
		.amdhsa_system_sgpr_workgroup_id_y 0
		.amdhsa_system_sgpr_workgroup_id_z 0
		.amdhsa_system_sgpr_workgroup_info 0
		.amdhsa_system_vgpr_workitem_id 0
		.amdhsa_next_free_vgpr 1
		.amdhsa_next_free_sgpr 1
		.amdhsa_reserve_vcc 0
		.amdhsa_reserve_flat_scratch 0
		.amdhsa_float_round_mode_32 0
		.amdhsa_float_round_mode_16_64 0
		.amdhsa_float_denorm_mode_32 3
		.amdhsa_float_denorm_mode_16_64 3
		.amdhsa_dx10_clamp 1
		.amdhsa_ieee_mode 1
		.amdhsa_fp16_overflow 0
		.amdhsa_workgroup_processor_mode 1
		.amdhsa_memory_ordered 1
		.amdhsa_forward_progress 1
		.amdhsa_shared_vgpr_count 0
		.amdhsa_exception_fp_ieee_invalid_op 0
		.amdhsa_exception_fp_denorm_src 0
		.amdhsa_exception_fp_ieee_div_zero 0
		.amdhsa_exception_fp_ieee_overflow 0
		.amdhsa_exception_fp_ieee_underflow 0
		.amdhsa_exception_fp_ieee_inexact 0
		.amdhsa_exception_int_div_zero 0
	.end_amdhsa_kernel
	.section	.text._ZN7rocprim17ROCPRIM_400000_NS6detail17trampoline_kernelINS0_14default_configENS1_27scan_by_key_config_selectorIitEEZZNS1_16scan_by_key_implILNS1_25lookback_scan_determinismE0ELb0ES3_N6thrust23THRUST_200600_302600_NS6detail15normal_iteratorINS9_10device_ptrIiEEEENSB_INSC_ItEEEESG_tNS9_4plusIvEENS9_8equal_toIvEEtEE10hipError_tPvRmT2_T3_T4_T5_mT6_T7_P12ihipStream_tbENKUlT_T0_E_clISt17integral_constantIbLb0EES11_EEDaSW_SX_EUlSW_E_NS1_11comp_targetILNS1_3genE0ELNS1_11target_archE4294967295ELNS1_3gpuE0ELNS1_3repE0EEENS1_30default_config_static_selectorELNS0_4arch9wavefront6targetE0EEEvT1_,"axG",@progbits,_ZN7rocprim17ROCPRIM_400000_NS6detail17trampoline_kernelINS0_14default_configENS1_27scan_by_key_config_selectorIitEEZZNS1_16scan_by_key_implILNS1_25lookback_scan_determinismE0ELb0ES3_N6thrust23THRUST_200600_302600_NS6detail15normal_iteratorINS9_10device_ptrIiEEEENSB_INSC_ItEEEESG_tNS9_4plusIvEENS9_8equal_toIvEEtEE10hipError_tPvRmT2_T3_T4_T5_mT6_T7_P12ihipStream_tbENKUlT_T0_E_clISt17integral_constantIbLb0EES11_EEDaSW_SX_EUlSW_E_NS1_11comp_targetILNS1_3genE0ELNS1_11target_archE4294967295ELNS1_3gpuE0ELNS1_3repE0EEENS1_30default_config_static_selectorELNS0_4arch9wavefront6targetE0EEEvT1_,comdat
.Lfunc_end1267:
	.size	_ZN7rocprim17ROCPRIM_400000_NS6detail17trampoline_kernelINS0_14default_configENS1_27scan_by_key_config_selectorIitEEZZNS1_16scan_by_key_implILNS1_25lookback_scan_determinismE0ELb0ES3_N6thrust23THRUST_200600_302600_NS6detail15normal_iteratorINS9_10device_ptrIiEEEENSB_INSC_ItEEEESG_tNS9_4plusIvEENS9_8equal_toIvEEtEE10hipError_tPvRmT2_T3_T4_T5_mT6_T7_P12ihipStream_tbENKUlT_T0_E_clISt17integral_constantIbLb0EES11_EEDaSW_SX_EUlSW_E_NS1_11comp_targetILNS1_3genE0ELNS1_11target_archE4294967295ELNS1_3gpuE0ELNS1_3repE0EEENS1_30default_config_static_selectorELNS0_4arch9wavefront6targetE0EEEvT1_, .Lfunc_end1267-_ZN7rocprim17ROCPRIM_400000_NS6detail17trampoline_kernelINS0_14default_configENS1_27scan_by_key_config_selectorIitEEZZNS1_16scan_by_key_implILNS1_25lookback_scan_determinismE0ELb0ES3_N6thrust23THRUST_200600_302600_NS6detail15normal_iteratorINS9_10device_ptrIiEEEENSB_INSC_ItEEEESG_tNS9_4plusIvEENS9_8equal_toIvEEtEE10hipError_tPvRmT2_T3_T4_T5_mT6_T7_P12ihipStream_tbENKUlT_T0_E_clISt17integral_constantIbLb0EES11_EEDaSW_SX_EUlSW_E_NS1_11comp_targetILNS1_3genE0ELNS1_11target_archE4294967295ELNS1_3gpuE0ELNS1_3repE0EEENS1_30default_config_static_selectorELNS0_4arch9wavefront6targetE0EEEvT1_
                                        ; -- End function
	.set _ZN7rocprim17ROCPRIM_400000_NS6detail17trampoline_kernelINS0_14default_configENS1_27scan_by_key_config_selectorIitEEZZNS1_16scan_by_key_implILNS1_25lookback_scan_determinismE0ELb0ES3_N6thrust23THRUST_200600_302600_NS6detail15normal_iteratorINS9_10device_ptrIiEEEENSB_INSC_ItEEEESG_tNS9_4plusIvEENS9_8equal_toIvEEtEE10hipError_tPvRmT2_T3_T4_T5_mT6_T7_P12ihipStream_tbENKUlT_T0_E_clISt17integral_constantIbLb0EES11_EEDaSW_SX_EUlSW_E_NS1_11comp_targetILNS1_3genE0ELNS1_11target_archE4294967295ELNS1_3gpuE0ELNS1_3repE0EEENS1_30default_config_static_selectorELNS0_4arch9wavefront6targetE0EEEvT1_.num_vgpr, 0
	.set _ZN7rocprim17ROCPRIM_400000_NS6detail17trampoline_kernelINS0_14default_configENS1_27scan_by_key_config_selectorIitEEZZNS1_16scan_by_key_implILNS1_25lookback_scan_determinismE0ELb0ES3_N6thrust23THRUST_200600_302600_NS6detail15normal_iteratorINS9_10device_ptrIiEEEENSB_INSC_ItEEEESG_tNS9_4plusIvEENS9_8equal_toIvEEtEE10hipError_tPvRmT2_T3_T4_T5_mT6_T7_P12ihipStream_tbENKUlT_T0_E_clISt17integral_constantIbLb0EES11_EEDaSW_SX_EUlSW_E_NS1_11comp_targetILNS1_3genE0ELNS1_11target_archE4294967295ELNS1_3gpuE0ELNS1_3repE0EEENS1_30default_config_static_selectorELNS0_4arch9wavefront6targetE0EEEvT1_.num_agpr, 0
	.set _ZN7rocprim17ROCPRIM_400000_NS6detail17trampoline_kernelINS0_14default_configENS1_27scan_by_key_config_selectorIitEEZZNS1_16scan_by_key_implILNS1_25lookback_scan_determinismE0ELb0ES3_N6thrust23THRUST_200600_302600_NS6detail15normal_iteratorINS9_10device_ptrIiEEEENSB_INSC_ItEEEESG_tNS9_4plusIvEENS9_8equal_toIvEEtEE10hipError_tPvRmT2_T3_T4_T5_mT6_T7_P12ihipStream_tbENKUlT_T0_E_clISt17integral_constantIbLb0EES11_EEDaSW_SX_EUlSW_E_NS1_11comp_targetILNS1_3genE0ELNS1_11target_archE4294967295ELNS1_3gpuE0ELNS1_3repE0EEENS1_30default_config_static_selectorELNS0_4arch9wavefront6targetE0EEEvT1_.numbered_sgpr, 0
	.set _ZN7rocprim17ROCPRIM_400000_NS6detail17trampoline_kernelINS0_14default_configENS1_27scan_by_key_config_selectorIitEEZZNS1_16scan_by_key_implILNS1_25lookback_scan_determinismE0ELb0ES3_N6thrust23THRUST_200600_302600_NS6detail15normal_iteratorINS9_10device_ptrIiEEEENSB_INSC_ItEEEESG_tNS9_4plusIvEENS9_8equal_toIvEEtEE10hipError_tPvRmT2_T3_T4_T5_mT6_T7_P12ihipStream_tbENKUlT_T0_E_clISt17integral_constantIbLb0EES11_EEDaSW_SX_EUlSW_E_NS1_11comp_targetILNS1_3genE0ELNS1_11target_archE4294967295ELNS1_3gpuE0ELNS1_3repE0EEENS1_30default_config_static_selectorELNS0_4arch9wavefront6targetE0EEEvT1_.num_named_barrier, 0
	.set _ZN7rocprim17ROCPRIM_400000_NS6detail17trampoline_kernelINS0_14default_configENS1_27scan_by_key_config_selectorIitEEZZNS1_16scan_by_key_implILNS1_25lookback_scan_determinismE0ELb0ES3_N6thrust23THRUST_200600_302600_NS6detail15normal_iteratorINS9_10device_ptrIiEEEENSB_INSC_ItEEEESG_tNS9_4plusIvEENS9_8equal_toIvEEtEE10hipError_tPvRmT2_T3_T4_T5_mT6_T7_P12ihipStream_tbENKUlT_T0_E_clISt17integral_constantIbLb0EES11_EEDaSW_SX_EUlSW_E_NS1_11comp_targetILNS1_3genE0ELNS1_11target_archE4294967295ELNS1_3gpuE0ELNS1_3repE0EEENS1_30default_config_static_selectorELNS0_4arch9wavefront6targetE0EEEvT1_.private_seg_size, 0
	.set _ZN7rocprim17ROCPRIM_400000_NS6detail17trampoline_kernelINS0_14default_configENS1_27scan_by_key_config_selectorIitEEZZNS1_16scan_by_key_implILNS1_25lookback_scan_determinismE0ELb0ES3_N6thrust23THRUST_200600_302600_NS6detail15normal_iteratorINS9_10device_ptrIiEEEENSB_INSC_ItEEEESG_tNS9_4plusIvEENS9_8equal_toIvEEtEE10hipError_tPvRmT2_T3_T4_T5_mT6_T7_P12ihipStream_tbENKUlT_T0_E_clISt17integral_constantIbLb0EES11_EEDaSW_SX_EUlSW_E_NS1_11comp_targetILNS1_3genE0ELNS1_11target_archE4294967295ELNS1_3gpuE0ELNS1_3repE0EEENS1_30default_config_static_selectorELNS0_4arch9wavefront6targetE0EEEvT1_.uses_vcc, 0
	.set _ZN7rocprim17ROCPRIM_400000_NS6detail17trampoline_kernelINS0_14default_configENS1_27scan_by_key_config_selectorIitEEZZNS1_16scan_by_key_implILNS1_25lookback_scan_determinismE0ELb0ES3_N6thrust23THRUST_200600_302600_NS6detail15normal_iteratorINS9_10device_ptrIiEEEENSB_INSC_ItEEEESG_tNS9_4plusIvEENS9_8equal_toIvEEtEE10hipError_tPvRmT2_T3_T4_T5_mT6_T7_P12ihipStream_tbENKUlT_T0_E_clISt17integral_constantIbLb0EES11_EEDaSW_SX_EUlSW_E_NS1_11comp_targetILNS1_3genE0ELNS1_11target_archE4294967295ELNS1_3gpuE0ELNS1_3repE0EEENS1_30default_config_static_selectorELNS0_4arch9wavefront6targetE0EEEvT1_.uses_flat_scratch, 0
	.set _ZN7rocprim17ROCPRIM_400000_NS6detail17trampoline_kernelINS0_14default_configENS1_27scan_by_key_config_selectorIitEEZZNS1_16scan_by_key_implILNS1_25lookback_scan_determinismE0ELb0ES3_N6thrust23THRUST_200600_302600_NS6detail15normal_iteratorINS9_10device_ptrIiEEEENSB_INSC_ItEEEESG_tNS9_4plusIvEENS9_8equal_toIvEEtEE10hipError_tPvRmT2_T3_T4_T5_mT6_T7_P12ihipStream_tbENKUlT_T0_E_clISt17integral_constantIbLb0EES11_EEDaSW_SX_EUlSW_E_NS1_11comp_targetILNS1_3genE0ELNS1_11target_archE4294967295ELNS1_3gpuE0ELNS1_3repE0EEENS1_30default_config_static_selectorELNS0_4arch9wavefront6targetE0EEEvT1_.has_dyn_sized_stack, 0
	.set _ZN7rocprim17ROCPRIM_400000_NS6detail17trampoline_kernelINS0_14default_configENS1_27scan_by_key_config_selectorIitEEZZNS1_16scan_by_key_implILNS1_25lookback_scan_determinismE0ELb0ES3_N6thrust23THRUST_200600_302600_NS6detail15normal_iteratorINS9_10device_ptrIiEEEENSB_INSC_ItEEEESG_tNS9_4plusIvEENS9_8equal_toIvEEtEE10hipError_tPvRmT2_T3_T4_T5_mT6_T7_P12ihipStream_tbENKUlT_T0_E_clISt17integral_constantIbLb0EES11_EEDaSW_SX_EUlSW_E_NS1_11comp_targetILNS1_3genE0ELNS1_11target_archE4294967295ELNS1_3gpuE0ELNS1_3repE0EEENS1_30default_config_static_selectorELNS0_4arch9wavefront6targetE0EEEvT1_.has_recursion, 0
	.set _ZN7rocprim17ROCPRIM_400000_NS6detail17trampoline_kernelINS0_14default_configENS1_27scan_by_key_config_selectorIitEEZZNS1_16scan_by_key_implILNS1_25lookback_scan_determinismE0ELb0ES3_N6thrust23THRUST_200600_302600_NS6detail15normal_iteratorINS9_10device_ptrIiEEEENSB_INSC_ItEEEESG_tNS9_4plusIvEENS9_8equal_toIvEEtEE10hipError_tPvRmT2_T3_T4_T5_mT6_T7_P12ihipStream_tbENKUlT_T0_E_clISt17integral_constantIbLb0EES11_EEDaSW_SX_EUlSW_E_NS1_11comp_targetILNS1_3genE0ELNS1_11target_archE4294967295ELNS1_3gpuE0ELNS1_3repE0EEENS1_30default_config_static_selectorELNS0_4arch9wavefront6targetE0EEEvT1_.has_indirect_call, 0
	.section	.AMDGPU.csdata,"",@progbits
; Kernel info:
; codeLenInByte = 0
; TotalNumSgprs: 0
; NumVgprs: 0
; ScratchSize: 0
; MemoryBound: 0
; FloatMode: 240
; IeeeMode: 1
; LDSByteSize: 0 bytes/workgroup (compile time only)
; SGPRBlocks: 0
; VGPRBlocks: 0
; NumSGPRsForWavesPerEU: 1
; NumVGPRsForWavesPerEU: 1
; Occupancy: 16
; WaveLimiterHint : 0
; COMPUTE_PGM_RSRC2:SCRATCH_EN: 0
; COMPUTE_PGM_RSRC2:USER_SGPR: 6
; COMPUTE_PGM_RSRC2:TRAP_HANDLER: 0
; COMPUTE_PGM_RSRC2:TGID_X_EN: 1
; COMPUTE_PGM_RSRC2:TGID_Y_EN: 0
; COMPUTE_PGM_RSRC2:TGID_Z_EN: 0
; COMPUTE_PGM_RSRC2:TIDIG_COMP_CNT: 0
	.section	.text._ZN7rocprim17ROCPRIM_400000_NS6detail17trampoline_kernelINS0_14default_configENS1_27scan_by_key_config_selectorIitEEZZNS1_16scan_by_key_implILNS1_25lookback_scan_determinismE0ELb0ES3_N6thrust23THRUST_200600_302600_NS6detail15normal_iteratorINS9_10device_ptrIiEEEENSB_INSC_ItEEEESG_tNS9_4plusIvEENS9_8equal_toIvEEtEE10hipError_tPvRmT2_T3_T4_T5_mT6_T7_P12ihipStream_tbENKUlT_T0_E_clISt17integral_constantIbLb0EES11_EEDaSW_SX_EUlSW_E_NS1_11comp_targetILNS1_3genE10ELNS1_11target_archE1201ELNS1_3gpuE5ELNS1_3repE0EEENS1_30default_config_static_selectorELNS0_4arch9wavefront6targetE0EEEvT1_,"axG",@progbits,_ZN7rocprim17ROCPRIM_400000_NS6detail17trampoline_kernelINS0_14default_configENS1_27scan_by_key_config_selectorIitEEZZNS1_16scan_by_key_implILNS1_25lookback_scan_determinismE0ELb0ES3_N6thrust23THRUST_200600_302600_NS6detail15normal_iteratorINS9_10device_ptrIiEEEENSB_INSC_ItEEEESG_tNS9_4plusIvEENS9_8equal_toIvEEtEE10hipError_tPvRmT2_T3_T4_T5_mT6_T7_P12ihipStream_tbENKUlT_T0_E_clISt17integral_constantIbLb0EES11_EEDaSW_SX_EUlSW_E_NS1_11comp_targetILNS1_3genE10ELNS1_11target_archE1201ELNS1_3gpuE5ELNS1_3repE0EEENS1_30default_config_static_selectorELNS0_4arch9wavefront6targetE0EEEvT1_,comdat
	.protected	_ZN7rocprim17ROCPRIM_400000_NS6detail17trampoline_kernelINS0_14default_configENS1_27scan_by_key_config_selectorIitEEZZNS1_16scan_by_key_implILNS1_25lookback_scan_determinismE0ELb0ES3_N6thrust23THRUST_200600_302600_NS6detail15normal_iteratorINS9_10device_ptrIiEEEENSB_INSC_ItEEEESG_tNS9_4plusIvEENS9_8equal_toIvEEtEE10hipError_tPvRmT2_T3_T4_T5_mT6_T7_P12ihipStream_tbENKUlT_T0_E_clISt17integral_constantIbLb0EES11_EEDaSW_SX_EUlSW_E_NS1_11comp_targetILNS1_3genE10ELNS1_11target_archE1201ELNS1_3gpuE5ELNS1_3repE0EEENS1_30default_config_static_selectorELNS0_4arch9wavefront6targetE0EEEvT1_ ; -- Begin function _ZN7rocprim17ROCPRIM_400000_NS6detail17trampoline_kernelINS0_14default_configENS1_27scan_by_key_config_selectorIitEEZZNS1_16scan_by_key_implILNS1_25lookback_scan_determinismE0ELb0ES3_N6thrust23THRUST_200600_302600_NS6detail15normal_iteratorINS9_10device_ptrIiEEEENSB_INSC_ItEEEESG_tNS9_4plusIvEENS9_8equal_toIvEEtEE10hipError_tPvRmT2_T3_T4_T5_mT6_T7_P12ihipStream_tbENKUlT_T0_E_clISt17integral_constantIbLb0EES11_EEDaSW_SX_EUlSW_E_NS1_11comp_targetILNS1_3genE10ELNS1_11target_archE1201ELNS1_3gpuE5ELNS1_3repE0EEENS1_30default_config_static_selectorELNS0_4arch9wavefront6targetE0EEEvT1_
	.globl	_ZN7rocprim17ROCPRIM_400000_NS6detail17trampoline_kernelINS0_14default_configENS1_27scan_by_key_config_selectorIitEEZZNS1_16scan_by_key_implILNS1_25lookback_scan_determinismE0ELb0ES3_N6thrust23THRUST_200600_302600_NS6detail15normal_iteratorINS9_10device_ptrIiEEEENSB_INSC_ItEEEESG_tNS9_4plusIvEENS9_8equal_toIvEEtEE10hipError_tPvRmT2_T3_T4_T5_mT6_T7_P12ihipStream_tbENKUlT_T0_E_clISt17integral_constantIbLb0EES11_EEDaSW_SX_EUlSW_E_NS1_11comp_targetILNS1_3genE10ELNS1_11target_archE1201ELNS1_3gpuE5ELNS1_3repE0EEENS1_30default_config_static_selectorELNS0_4arch9wavefront6targetE0EEEvT1_
	.p2align	8
	.type	_ZN7rocprim17ROCPRIM_400000_NS6detail17trampoline_kernelINS0_14default_configENS1_27scan_by_key_config_selectorIitEEZZNS1_16scan_by_key_implILNS1_25lookback_scan_determinismE0ELb0ES3_N6thrust23THRUST_200600_302600_NS6detail15normal_iteratorINS9_10device_ptrIiEEEENSB_INSC_ItEEEESG_tNS9_4plusIvEENS9_8equal_toIvEEtEE10hipError_tPvRmT2_T3_T4_T5_mT6_T7_P12ihipStream_tbENKUlT_T0_E_clISt17integral_constantIbLb0EES11_EEDaSW_SX_EUlSW_E_NS1_11comp_targetILNS1_3genE10ELNS1_11target_archE1201ELNS1_3gpuE5ELNS1_3repE0EEENS1_30default_config_static_selectorELNS0_4arch9wavefront6targetE0EEEvT1_,@function
_ZN7rocprim17ROCPRIM_400000_NS6detail17trampoline_kernelINS0_14default_configENS1_27scan_by_key_config_selectorIitEEZZNS1_16scan_by_key_implILNS1_25lookback_scan_determinismE0ELb0ES3_N6thrust23THRUST_200600_302600_NS6detail15normal_iteratorINS9_10device_ptrIiEEEENSB_INSC_ItEEEESG_tNS9_4plusIvEENS9_8equal_toIvEEtEE10hipError_tPvRmT2_T3_T4_T5_mT6_T7_P12ihipStream_tbENKUlT_T0_E_clISt17integral_constantIbLb0EES11_EEDaSW_SX_EUlSW_E_NS1_11comp_targetILNS1_3genE10ELNS1_11target_archE1201ELNS1_3gpuE5ELNS1_3repE0EEENS1_30default_config_static_selectorELNS0_4arch9wavefront6targetE0EEEvT1_: ; @_ZN7rocprim17ROCPRIM_400000_NS6detail17trampoline_kernelINS0_14default_configENS1_27scan_by_key_config_selectorIitEEZZNS1_16scan_by_key_implILNS1_25lookback_scan_determinismE0ELb0ES3_N6thrust23THRUST_200600_302600_NS6detail15normal_iteratorINS9_10device_ptrIiEEEENSB_INSC_ItEEEESG_tNS9_4plusIvEENS9_8equal_toIvEEtEE10hipError_tPvRmT2_T3_T4_T5_mT6_T7_P12ihipStream_tbENKUlT_T0_E_clISt17integral_constantIbLb0EES11_EEDaSW_SX_EUlSW_E_NS1_11comp_targetILNS1_3genE10ELNS1_11target_archE1201ELNS1_3gpuE5ELNS1_3repE0EEENS1_30default_config_static_selectorELNS0_4arch9wavefront6targetE0EEEvT1_
; %bb.0:
	.section	.rodata,"a",@progbits
	.p2align	6, 0x0
	.amdhsa_kernel _ZN7rocprim17ROCPRIM_400000_NS6detail17trampoline_kernelINS0_14default_configENS1_27scan_by_key_config_selectorIitEEZZNS1_16scan_by_key_implILNS1_25lookback_scan_determinismE0ELb0ES3_N6thrust23THRUST_200600_302600_NS6detail15normal_iteratorINS9_10device_ptrIiEEEENSB_INSC_ItEEEESG_tNS9_4plusIvEENS9_8equal_toIvEEtEE10hipError_tPvRmT2_T3_T4_T5_mT6_T7_P12ihipStream_tbENKUlT_T0_E_clISt17integral_constantIbLb0EES11_EEDaSW_SX_EUlSW_E_NS1_11comp_targetILNS1_3genE10ELNS1_11target_archE1201ELNS1_3gpuE5ELNS1_3repE0EEENS1_30default_config_static_selectorELNS0_4arch9wavefront6targetE0EEEvT1_
		.amdhsa_group_segment_fixed_size 0
		.amdhsa_private_segment_fixed_size 0
		.amdhsa_kernarg_size 112
		.amdhsa_user_sgpr_count 6
		.amdhsa_user_sgpr_private_segment_buffer 1
		.amdhsa_user_sgpr_dispatch_ptr 0
		.amdhsa_user_sgpr_queue_ptr 0
		.amdhsa_user_sgpr_kernarg_segment_ptr 1
		.amdhsa_user_sgpr_dispatch_id 0
		.amdhsa_user_sgpr_flat_scratch_init 0
		.amdhsa_user_sgpr_private_segment_size 0
		.amdhsa_wavefront_size32 1
		.amdhsa_uses_dynamic_stack 0
		.amdhsa_system_sgpr_private_segment_wavefront_offset 0
		.amdhsa_system_sgpr_workgroup_id_x 1
		.amdhsa_system_sgpr_workgroup_id_y 0
		.amdhsa_system_sgpr_workgroup_id_z 0
		.amdhsa_system_sgpr_workgroup_info 0
		.amdhsa_system_vgpr_workitem_id 0
		.amdhsa_next_free_vgpr 1
		.amdhsa_next_free_sgpr 1
		.amdhsa_reserve_vcc 0
		.amdhsa_reserve_flat_scratch 0
		.amdhsa_float_round_mode_32 0
		.amdhsa_float_round_mode_16_64 0
		.amdhsa_float_denorm_mode_32 3
		.amdhsa_float_denorm_mode_16_64 3
		.amdhsa_dx10_clamp 1
		.amdhsa_ieee_mode 1
		.amdhsa_fp16_overflow 0
		.amdhsa_workgroup_processor_mode 1
		.amdhsa_memory_ordered 1
		.amdhsa_forward_progress 1
		.amdhsa_shared_vgpr_count 0
		.amdhsa_exception_fp_ieee_invalid_op 0
		.amdhsa_exception_fp_denorm_src 0
		.amdhsa_exception_fp_ieee_div_zero 0
		.amdhsa_exception_fp_ieee_overflow 0
		.amdhsa_exception_fp_ieee_underflow 0
		.amdhsa_exception_fp_ieee_inexact 0
		.amdhsa_exception_int_div_zero 0
	.end_amdhsa_kernel
	.section	.text._ZN7rocprim17ROCPRIM_400000_NS6detail17trampoline_kernelINS0_14default_configENS1_27scan_by_key_config_selectorIitEEZZNS1_16scan_by_key_implILNS1_25lookback_scan_determinismE0ELb0ES3_N6thrust23THRUST_200600_302600_NS6detail15normal_iteratorINS9_10device_ptrIiEEEENSB_INSC_ItEEEESG_tNS9_4plusIvEENS9_8equal_toIvEEtEE10hipError_tPvRmT2_T3_T4_T5_mT6_T7_P12ihipStream_tbENKUlT_T0_E_clISt17integral_constantIbLb0EES11_EEDaSW_SX_EUlSW_E_NS1_11comp_targetILNS1_3genE10ELNS1_11target_archE1201ELNS1_3gpuE5ELNS1_3repE0EEENS1_30default_config_static_selectorELNS0_4arch9wavefront6targetE0EEEvT1_,"axG",@progbits,_ZN7rocprim17ROCPRIM_400000_NS6detail17trampoline_kernelINS0_14default_configENS1_27scan_by_key_config_selectorIitEEZZNS1_16scan_by_key_implILNS1_25lookback_scan_determinismE0ELb0ES3_N6thrust23THRUST_200600_302600_NS6detail15normal_iteratorINS9_10device_ptrIiEEEENSB_INSC_ItEEEESG_tNS9_4plusIvEENS9_8equal_toIvEEtEE10hipError_tPvRmT2_T3_T4_T5_mT6_T7_P12ihipStream_tbENKUlT_T0_E_clISt17integral_constantIbLb0EES11_EEDaSW_SX_EUlSW_E_NS1_11comp_targetILNS1_3genE10ELNS1_11target_archE1201ELNS1_3gpuE5ELNS1_3repE0EEENS1_30default_config_static_selectorELNS0_4arch9wavefront6targetE0EEEvT1_,comdat
.Lfunc_end1268:
	.size	_ZN7rocprim17ROCPRIM_400000_NS6detail17trampoline_kernelINS0_14default_configENS1_27scan_by_key_config_selectorIitEEZZNS1_16scan_by_key_implILNS1_25lookback_scan_determinismE0ELb0ES3_N6thrust23THRUST_200600_302600_NS6detail15normal_iteratorINS9_10device_ptrIiEEEENSB_INSC_ItEEEESG_tNS9_4plusIvEENS9_8equal_toIvEEtEE10hipError_tPvRmT2_T3_T4_T5_mT6_T7_P12ihipStream_tbENKUlT_T0_E_clISt17integral_constantIbLb0EES11_EEDaSW_SX_EUlSW_E_NS1_11comp_targetILNS1_3genE10ELNS1_11target_archE1201ELNS1_3gpuE5ELNS1_3repE0EEENS1_30default_config_static_selectorELNS0_4arch9wavefront6targetE0EEEvT1_, .Lfunc_end1268-_ZN7rocprim17ROCPRIM_400000_NS6detail17trampoline_kernelINS0_14default_configENS1_27scan_by_key_config_selectorIitEEZZNS1_16scan_by_key_implILNS1_25lookback_scan_determinismE0ELb0ES3_N6thrust23THRUST_200600_302600_NS6detail15normal_iteratorINS9_10device_ptrIiEEEENSB_INSC_ItEEEESG_tNS9_4plusIvEENS9_8equal_toIvEEtEE10hipError_tPvRmT2_T3_T4_T5_mT6_T7_P12ihipStream_tbENKUlT_T0_E_clISt17integral_constantIbLb0EES11_EEDaSW_SX_EUlSW_E_NS1_11comp_targetILNS1_3genE10ELNS1_11target_archE1201ELNS1_3gpuE5ELNS1_3repE0EEENS1_30default_config_static_selectorELNS0_4arch9wavefront6targetE0EEEvT1_
                                        ; -- End function
	.set _ZN7rocprim17ROCPRIM_400000_NS6detail17trampoline_kernelINS0_14default_configENS1_27scan_by_key_config_selectorIitEEZZNS1_16scan_by_key_implILNS1_25lookback_scan_determinismE0ELb0ES3_N6thrust23THRUST_200600_302600_NS6detail15normal_iteratorINS9_10device_ptrIiEEEENSB_INSC_ItEEEESG_tNS9_4plusIvEENS9_8equal_toIvEEtEE10hipError_tPvRmT2_T3_T4_T5_mT6_T7_P12ihipStream_tbENKUlT_T0_E_clISt17integral_constantIbLb0EES11_EEDaSW_SX_EUlSW_E_NS1_11comp_targetILNS1_3genE10ELNS1_11target_archE1201ELNS1_3gpuE5ELNS1_3repE0EEENS1_30default_config_static_selectorELNS0_4arch9wavefront6targetE0EEEvT1_.num_vgpr, 0
	.set _ZN7rocprim17ROCPRIM_400000_NS6detail17trampoline_kernelINS0_14default_configENS1_27scan_by_key_config_selectorIitEEZZNS1_16scan_by_key_implILNS1_25lookback_scan_determinismE0ELb0ES3_N6thrust23THRUST_200600_302600_NS6detail15normal_iteratorINS9_10device_ptrIiEEEENSB_INSC_ItEEEESG_tNS9_4plusIvEENS9_8equal_toIvEEtEE10hipError_tPvRmT2_T3_T4_T5_mT6_T7_P12ihipStream_tbENKUlT_T0_E_clISt17integral_constantIbLb0EES11_EEDaSW_SX_EUlSW_E_NS1_11comp_targetILNS1_3genE10ELNS1_11target_archE1201ELNS1_3gpuE5ELNS1_3repE0EEENS1_30default_config_static_selectorELNS0_4arch9wavefront6targetE0EEEvT1_.num_agpr, 0
	.set _ZN7rocprim17ROCPRIM_400000_NS6detail17trampoline_kernelINS0_14default_configENS1_27scan_by_key_config_selectorIitEEZZNS1_16scan_by_key_implILNS1_25lookback_scan_determinismE0ELb0ES3_N6thrust23THRUST_200600_302600_NS6detail15normal_iteratorINS9_10device_ptrIiEEEENSB_INSC_ItEEEESG_tNS9_4plusIvEENS9_8equal_toIvEEtEE10hipError_tPvRmT2_T3_T4_T5_mT6_T7_P12ihipStream_tbENKUlT_T0_E_clISt17integral_constantIbLb0EES11_EEDaSW_SX_EUlSW_E_NS1_11comp_targetILNS1_3genE10ELNS1_11target_archE1201ELNS1_3gpuE5ELNS1_3repE0EEENS1_30default_config_static_selectorELNS0_4arch9wavefront6targetE0EEEvT1_.numbered_sgpr, 0
	.set _ZN7rocprim17ROCPRIM_400000_NS6detail17trampoline_kernelINS0_14default_configENS1_27scan_by_key_config_selectorIitEEZZNS1_16scan_by_key_implILNS1_25lookback_scan_determinismE0ELb0ES3_N6thrust23THRUST_200600_302600_NS6detail15normal_iteratorINS9_10device_ptrIiEEEENSB_INSC_ItEEEESG_tNS9_4plusIvEENS9_8equal_toIvEEtEE10hipError_tPvRmT2_T3_T4_T5_mT6_T7_P12ihipStream_tbENKUlT_T0_E_clISt17integral_constantIbLb0EES11_EEDaSW_SX_EUlSW_E_NS1_11comp_targetILNS1_3genE10ELNS1_11target_archE1201ELNS1_3gpuE5ELNS1_3repE0EEENS1_30default_config_static_selectorELNS0_4arch9wavefront6targetE0EEEvT1_.num_named_barrier, 0
	.set _ZN7rocprim17ROCPRIM_400000_NS6detail17trampoline_kernelINS0_14default_configENS1_27scan_by_key_config_selectorIitEEZZNS1_16scan_by_key_implILNS1_25lookback_scan_determinismE0ELb0ES3_N6thrust23THRUST_200600_302600_NS6detail15normal_iteratorINS9_10device_ptrIiEEEENSB_INSC_ItEEEESG_tNS9_4plusIvEENS9_8equal_toIvEEtEE10hipError_tPvRmT2_T3_T4_T5_mT6_T7_P12ihipStream_tbENKUlT_T0_E_clISt17integral_constantIbLb0EES11_EEDaSW_SX_EUlSW_E_NS1_11comp_targetILNS1_3genE10ELNS1_11target_archE1201ELNS1_3gpuE5ELNS1_3repE0EEENS1_30default_config_static_selectorELNS0_4arch9wavefront6targetE0EEEvT1_.private_seg_size, 0
	.set _ZN7rocprim17ROCPRIM_400000_NS6detail17trampoline_kernelINS0_14default_configENS1_27scan_by_key_config_selectorIitEEZZNS1_16scan_by_key_implILNS1_25lookback_scan_determinismE0ELb0ES3_N6thrust23THRUST_200600_302600_NS6detail15normal_iteratorINS9_10device_ptrIiEEEENSB_INSC_ItEEEESG_tNS9_4plusIvEENS9_8equal_toIvEEtEE10hipError_tPvRmT2_T3_T4_T5_mT6_T7_P12ihipStream_tbENKUlT_T0_E_clISt17integral_constantIbLb0EES11_EEDaSW_SX_EUlSW_E_NS1_11comp_targetILNS1_3genE10ELNS1_11target_archE1201ELNS1_3gpuE5ELNS1_3repE0EEENS1_30default_config_static_selectorELNS0_4arch9wavefront6targetE0EEEvT1_.uses_vcc, 0
	.set _ZN7rocprim17ROCPRIM_400000_NS6detail17trampoline_kernelINS0_14default_configENS1_27scan_by_key_config_selectorIitEEZZNS1_16scan_by_key_implILNS1_25lookback_scan_determinismE0ELb0ES3_N6thrust23THRUST_200600_302600_NS6detail15normal_iteratorINS9_10device_ptrIiEEEENSB_INSC_ItEEEESG_tNS9_4plusIvEENS9_8equal_toIvEEtEE10hipError_tPvRmT2_T3_T4_T5_mT6_T7_P12ihipStream_tbENKUlT_T0_E_clISt17integral_constantIbLb0EES11_EEDaSW_SX_EUlSW_E_NS1_11comp_targetILNS1_3genE10ELNS1_11target_archE1201ELNS1_3gpuE5ELNS1_3repE0EEENS1_30default_config_static_selectorELNS0_4arch9wavefront6targetE0EEEvT1_.uses_flat_scratch, 0
	.set _ZN7rocprim17ROCPRIM_400000_NS6detail17trampoline_kernelINS0_14default_configENS1_27scan_by_key_config_selectorIitEEZZNS1_16scan_by_key_implILNS1_25lookback_scan_determinismE0ELb0ES3_N6thrust23THRUST_200600_302600_NS6detail15normal_iteratorINS9_10device_ptrIiEEEENSB_INSC_ItEEEESG_tNS9_4plusIvEENS9_8equal_toIvEEtEE10hipError_tPvRmT2_T3_T4_T5_mT6_T7_P12ihipStream_tbENKUlT_T0_E_clISt17integral_constantIbLb0EES11_EEDaSW_SX_EUlSW_E_NS1_11comp_targetILNS1_3genE10ELNS1_11target_archE1201ELNS1_3gpuE5ELNS1_3repE0EEENS1_30default_config_static_selectorELNS0_4arch9wavefront6targetE0EEEvT1_.has_dyn_sized_stack, 0
	.set _ZN7rocprim17ROCPRIM_400000_NS6detail17trampoline_kernelINS0_14default_configENS1_27scan_by_key_config_selectorIitEEZZNS1_16scan_by_key_implILNS1_25lookback_scan_determinismE0ELb0ES3_N6thrust23THRUST_200600_302600_NS6detail15normal_iteratorINS9_10device_ptrIiEEEENSB_INSC_ItEEEESG_tNS9_4plusIvEENS9_8equal_toIvEEtEE10hipError_tPvRmT2_T3_T4_T5_mT6_T7_P12ihipStream_tbENKUlT_T0_E_clISt17integral_constantIbLb0EES11_EEDaSW_SX_EUlSW_E_NS1_11comp_targetILNS1_3genE10ELNS1_11target_archE1201ELNS1_3gpuE5ELNS1_3repE0EEENS1_30default_config_static_selectorELNS0_4arch9wavefront6targetE0EEEvT1_.has_recursion, 0
	.set _ZN7rocprim17ROCPRIM_400000_NS6detail17trampoline_kernelINS0_14default_configENS1_27scan_by_key_config_selectorIitEEZZNS1_16scan_by_key_implILNS1_25lookback_scan_determinismE0ELb0ES3_N6thrust23THRUST_200600_302600_NS6detail15normal_iteratorINS9_10device_ptrIiEEEENSB_INSC_ItEEEESG_tNS9_4plusIvEENS9_8equal_toIvEEtEE10hipError_tPvRmT2_T3_T4_T5_mT6_T7_P12ihipStream_tbENKUlT_T0_E_clISt17integral_constantIbLb0EES11_EEDaSW_SX_EUlSW_E_NS1_11comp_targetILNS1_3genE10ELNS1_11target_archE1201ELNS1_3gpuE5ELNS1_3repE0EEENS1_30default_config_static_selectorELNS0_4arch9wavefront6targetE0EEEvT1_.has_indirect_call, 0
	.section	.AMDGPU.csdata,"",@progbits
; Kernel info:
; codeLenInByte = 0
; TotalNumSgprs: 0
; NumVgprs: 0
; ScratchSize: 0
; MemoryBound: 0
; FloatMode: 240
; IeeeMode: 1
; LDSByteSize: 0 bytes/workgroup (compile time only)
; SGPRBlocks: 0
; VGPRBlocks: 0
; NumSGPRsForWavesPerEU: 1
; NumVGPRsForWavesPerEU: 1
; Occupancy: 16
; WaveLimiterHint : 0
; COMPUTE_PGM_RSRC2:SCRATCH_EN: 0
; COMPUTE_PGM_RSRC2:USER_SGPR: 6
; COMPUTE_PGM_RSRC2:TRAP_HANDLER: 0
; COMPUTE_PGM_RSRC2:TGID_X_EN: 1
; COMPUTE_PGM_RSRC2:TGID_Y_EN: 0
; COMPUTE_PGM_RSRC2:TGID_Z_EN: 0
; COMPUTE_PGM_RSRC2:TIDIG_COMP_CNT: 0
	.section	.text._ZN7rocprim17ROCPRIM_400000_NS6detail17trampoline_kernelINS0_14default_configENS1_27scan_by_key_config_selectorIitEEZZNS1_16scan_by_key_implILNS1_25lookback_scan_determinismE0ELb0ES3_N6thrust23THRUST_200600_302600_NS6detail15normal_iteratorINS9_10device_ptrIiEEEENSB_INSC_ItEEEESG_tNS9_4plusIvEENS9_8equal_toIvEEtEE10hipError_tPvRmT2_T3_T4_T5_mT6_T7_P12ihipStream_tbENKUlT_T0_E_clISt17integral_constantIbLb0EES11_EEDaSW_SX_EUlSW_E_NS1_11comp_targetILNS1_3genE5ELNS1_11target_archE942ELNS1_3gpuE9ELNS1_3repE0EEENS1_30default_config_static_selectorELNS0_4arch9wavefront6targetE0EEEvT1_,"axG",@progbits,_ZN7rocprim17ROCPRIM_400000_NS6detail17trampoline_kernelINS0_14default_configENS1_27scan_by_key_config_selectorIitEEZZNS1_16scan_by_key_implILNS1_25lookback_scan_determinismE0ELb0ES3_N6thrust23THRUST_200600_302600_NS6detail15normal_iteratorINS9_10device_ptrIiEEEENSB_INSC_ItEEEESG_tNS9_4plusIvEENS9_8equal_toIvEEtEE10hipError_tPvRmT2_T3_T4_T5_mT6_T7_P12ihipStream_tbENKUlT_T0_E_clISt17integral_constantIbLb0EES11_EEDaSW_SX_EUlSW_E_NS1_11comp_targetILNS1_3genE5ELNS1_11target_archE942ELNS1_3gpuE9ELNS1_3repE0EEENS1_30default_config_static_selectorELNS0_4arch9wavefront6targetE0EEEvT1_,comdat
	.protected	_ZN7rocprim17ROCPRIM_400000_NS6detail17trampoline_kernelINS0_14default_configENS1_27scan_by_key_config_selectorIitEEZZNS1_16scan_by_key_implILNS1_25lookback_scan_determinismE0ELb0ES3_N6thrust23THRUST_200600_302600_NS6detail15normal_iteratorINS9_10device_ptrIiEEEENSB_INSC_ItEEEESG_tNS9_4plusIvEENS9_8equal_toIvEEtEE10hipError_tPvRmT2_T3_T4_T5_mT6_T7_P12ihipStream_tbENKUlT_T0_E_clISt17integral_constantIbLb0EES11_EEDaSW_SX_EUlSW_E_NS1_11comp_targetILNS1_3genE5ELNS1_11target_archE942ELNS1_3gpuE9ELNS1_3repE0EEENS1_30default_config_static_selectorELNS0_4arch9wavefront6targetE0EEEvT1_ ; -- Begin function _ZN7rocprim17ROCPRIM_400000_NS6detail17trampoline_kernelINS0_14default_configENS1_27scan_by_key_config_selectorIitEEZZNS1_16scan_by_key_implILNS1_25lookback_scan_determinismE0ELb0ES3_N6thrust23THRUST_200600_302600_NS6detail15normal_iteratorINS9_10device_ptrIiEEEENSB_INSC_ItEEEESG_tNS9_4plusIvEENS9_8equal_toIvEEtEE10hipError_tPvRmT2_T3_T4_T5_mT6_T7_P12ihipStream_tbENKUlT_T0_E_clISt17integral_constantIbLb0EES11_EEDaSW_SX_EUlSW_E_NS1_11comp_targetILNS1_3genE5ELNS1_11target_archE942ELNS1_3gpuE9ELNS1_3repE0EEENS1_30default_config_static_selectorELNS0_4arch9wavefront6targetE0EEEvT1_
	.globl	_ZN7rocprim17ROCPRIM_400000_NS6detail17trampoline_kernelINS0_14default_configENS1_27scan_by_key_config_selectorIitEEZZNS1_16scan_by_key_implILNS1_25lookback_scan_determinismE0ELb0ES3_N6thrust23THRUST_200600_302600_NS6detail15normal_iteratorINS9_10device_ptrIiEEEENSB_INSC_ItEEEESG_tNS9_4plusIvEENS9_8equal_toIvEEtEE10hipError_tPvRmT2_T3_T4_T5_mT6_T7_P12ihipStream_tbENKUlT_T0_E_clISt17integral_constantIbLb0EES11_EEDaSW_SX_EUlSW_E_NS1_11comp_targetILNS1_3genE5ELNS1_11target_archE942ELNS1_3gpuE9ELNS1_3repE0EEENS1_30default_config_static_selectorELNS0_4arch9wavefront6targetE0EEEvT1_
	.p2align	8
	.type	_ZN7rocprim17ROCPRIM_400000_NS6detail17trampoline_kernelINS0_14default_configENS1_27scan_by_key_config_selectorIitEEZZNS1_16scan_by_key_implILNS1_25lookback_scan_determinismE0ELb0ES3_N6thrust23THRUST_200600_302600_NS6detail15normal_iteratorINS9_10device_ptrIiEEEENSB_INSC_ItEEEESG_tNS9_4plusIvEENS9_8equal_toIvEEtEE10hipError_tPvRmT2_T3_T4_T5_mT6_T7_P12ihipStream_tbENKUlT_T0_E_clISt17integral_constantIbLb0EES11_EEDaSW_SX_EUlSW_E_NS1_11comp_targetILNS1_3genE5ELNS1_11target_archE942ELNS1_3gpuE9ELNS1_3repE0EEENS1_30default_config_static_selectorELNS0_4arch9wavefront6targetE0EEEvT1_,@function
_ZN7rocprim17ROCPRIM_400000_NS6detail17trampoline_kernelINS0_14default_configENS1_27scan_by_key_config_selectorIitEEZZNS1_16scan_by_key_implILNS1_25lookback_scan_determinismE0ELb0ES3_N6thrust23THRUST_200600_302600_NS6detail15normal_iteratorINS9_10device_ptrIiEEEENSB_INSC_ItEEEESG_tNS9_4plusIvEENS9_8equal_toIvEEtEE10hipError_tPvRmT2_T3_T4_T5_mT6_T7_P12ihipStream_tbENKUlT_T0_E_clISt17integral_constantIbLb0EES11_EEDaSW_SX_EUlSW_E_NS1_11comp_targetILNS1_3genE5ELNS1_11target_archE942ELNS1_3gpuE9ELNS1_3repE0EEENS1_30default_config_static_selectorELNS0_4arch9wavefront6targetE0EEEvT1_: ; @_ZN7rocprim17ROCPRIM_400000_NS6detail17trampoline_kernelINS0_14default_configENS1_27scan_by_key_config_selectorIitEEZZNS1_16scan_by_key_implILNS1_25lookback_scan_determinismE0ELb0ES3_N6thrust23THRUST_200600_302600_NS6detail15normal_iteratorINS9_10device_ptrIiEEEENSB_INSC_ItEEEESG_tNS9_4plusIvEENS9_8equal_toIvEEtEE10hipError_tPvRmT2_T3_T4_T5_mT6_T7_P12ihipStream_tbENKUlT_T0_E_clISt17integral_constantIbLb0EES11_EEDaSW_SX_EUlSW_E_NS1_11comp_targetILNS1_3genE5ELNS1_11target_archE942ELNS1_3gpuE9ELNS1_3repE0EEENS1_30default_config_static_selectorELNS0_4arch9wavefront6targetE0EEEvT1_
; %bb.0:
	.section	.rodata,"a",@progbits
	.p2align	6, 0x0
	.amdhsa_kernel _ZN7rocprim17ROCPRIM_400000_NS6detail17trampoline_kernelINS0_14default_configENS1_27scan_by_key_config_selectorIitEEZZNS1_16scan_by_key_implILNS1_25lookback_scan_determinismE0ELb0ES3_N6thrust23THRUST_200600_302600_NS6detail15normal_iteratorINS9_10device_ptrIiEEEENSB_INSC_ItEEEESG_tNS9_4plusIvEENS9_8equal_toIvEEtEE10hipError_tPvRmT2_T3_T4_T5_mT6_T7_P12ihipStream_tbENKUlT_T0_E_clISt17integral_constantIbLb0EES11_EEDaSW_SX_EUlSW_E_NS1_11comp_targetILNS1_3genE5ELNS1_11target_archE942ELNS1_3gpuE9ELNS1_3repE0EEENS1_30default_config_static_selectorELNS0_4arch9wavefront6targetE0EEEvT1_
		.amdhsa_group_segment_fixed_size 0
		.amdhsa_private_segment_fixed_size 0
		.amdhsa_kernarg_size 112
		.amdhsa_user_sgpr_count 6
		.amdhsa_user_sgpr_private_segment_buffer 1
		.amdhsa_user_sgpr_dispatch_ptr 0
		.amdhsa_user_sgpr_queue_ptr 0
		.amdhsa_user_sgpr_kernarg_segment_ptr 1
		.amdhsa_user_sgpr_dispatch_id 0
		.amdhsa_user_sgpr_flat_scratch_init 0
		.amdhsa_user_sgpr_private_segment_size 0
		.amdhsa_wavefront_size32 1
		.amdhsa_uses_dynamic_stack 0
		.amdhsa_system_sgpr_private_segment_wavefront_offset 0
		.amdhsa_system_sgpr_workgroup_id_x 1
		.amdhsa_system_sgpr_workgroup_id_y 0
		.amdhsa_system_sgpr_workgroup_id_z 0
		.amdhsa_system_sgpr_workgroup_info 0
		.amdhsa_system_vgpr_workitem_id 0
		.amdhsa_next_free_vgpr 1
		.amdhsa_next_free_sgpr 1
		.amdhsa_reserve_vcc 0
		.amdhsa_reserve_flat_scratch 0
		.amdhsa_float_round_mode_32 0
		.amdhsa_float_round_mode_16_64 0
		.amdhsa_float_denorm_mode_32 3
		.amdhsa_float_denorm_mode_16_64 3
		.amdhsa_dx10_clamp 1
		.amdhsa_ieee_mode 1
		.amdhsa_fp16_overflow 0
		.amdhsa_workgroup_processor_mode 1
		.amdhsa_memory_ordered 1
		.amdhsa_forward_progress 1
		.amdhsa_shared_vgpr_count 0
		.amdhsa_exception_fp_ieee_invalid_op 0
		.amdhsa_exception_fp_denorm_src 0
		.amdhsa_exception_fp_ieee_div_zero 0
		.amdhsa_exception_fp_ieee_overflow 0
		.amdhsa_exception_fp_ieee_underflow 0
		.amdhsa_exception_fp_ieee_inexact 0
		.amdhsa_exception_int_div_zero 0
	.end_amdhsa_kernel
	.section	.text._ZN7rocprim17ROCPRIM_400000_NS6detail17trampoline_kernelINS0_14default_configENS1_27scan_by_key_config_selectorIitEEZZNS1_16scan_by_key_implILNS1_25lookback_scan_determinismE0ELb0ES3_N6thrust23THRUST_200600_302600_NS6detail15normal_iteratorINS9_10device_ptrIiEEEENSB_INSC_ItEEEESG_tNS9_4plusIvEENS9_8equal_toIvEEtEE10hipError_tPvRmT2_T3_T4_T5_mT6_T7_P12ihipStream_tbENKUlT_T0_E_clISt17integral_constantIbLb0EES11_EEDaSW_SX_EUlSW_E_NS1_11comp_targetILNS1_3genE5ELNS1_11target_archE942ELNS1_3gpuE9ELNS1_3repE0EEENS1_30default_config_static_selectorELNS0_4arch9wavefront6targetE0EEEvT1_,"axG",@progbits,_ZN7rocprim17ROCPRIM_400000_NS6detail17trampoline_kernelINS0_14default_configENS1_27scan_by_key_config_selectorIitEEZZNS1_16scan_by_key_implILNS1_25lookback_scan_determinismE0ELb0ES3_N6thrust23THRUST_200600_302600_NS6detail15normal_iteratorINS9_10device_ptrIiEEEENSB_INSC_ItEEEESG_tNS9_4plusIvEENS9_8equal_toIvEEtEE10hipError_tPvRmT2_T3_T4_T5_mT6_T7_P12ihipStream_tbENKUlT_T0_E_clISt17integral_constantIbLb0EES11_EEDaSW_SX_EUlSW_E_NS1_11comp_targetILNS1_3genE5ELNS1_11target_archE942ELNS1_3gpuE9ELNS1_3repE0EEENS1_30default_config_static_selectorELNS0_4arch9wavefront6targetE0EEEvT1_,comdat
.Lfunc_end1269:
	.size	_ZN7rocprim17ROCPRIM_400000_NS6detail17trampoline_kernelINS0_14default_configENS1_27scan_by_key_config_selectorIitEEZZNS1_16scan_by_key_implILNS1_25lookback_scan_determinismE0ELb0ES3_N6thrust23THRUST_200600_302600_NS6detail15normal_iteratorINS9_10device_ptrIiEEEENSB_INSC_ItEEEESG_tNS9_4plusIvEENS9_8equal_toIvEEtEE10hipError_tPvRmT2_T3_T4_T5_mT6_T7_P12ihipStream_tbENKUlT_T0_E_clISt17integral_constantIbLb0EES11_EEDaSW_SX_EUlSW_E_NS1_11comp_targetILNS1_3genE5ELNS1_11target_archE942ELNS1_3gpuE9ELNS1_3repE0EEENS1_30default_config_static_selectorELNS0_4arch9wavefront6targetE0EEEvT1_, .Lfunc_end1269-_ZN7rocprim17ROCPRIM_400000_NS6detail17trampoline_kernelINS0_14default_configENS1_27scan_by_key_config_selectorIitEEZZNS1_16scan_by_key_implILNS1_25lookback_scan_determinismE0ELb0ES3_N6thrust23THRUST_200600_302600_NS6detail15normal_iteratorINS9_10device_ptrIiEEEENSB_INSC_ItEEEESG_tNS9_4plusIvEENS9_8equal_toIvEEtEE10hipError_tPvRmT2_T3_T4_T5_mT6_T7_P12ihipStream_tbENKUlT_T0_E_clISt17integral_constantIbLb0EES11_EEDaSW_SX_EUlSW_E_NS1_11comp_targetILNS1_3genE5ELNS1_11target_archE942ELNS1_3gpuE9ELNS1_3repE0EEENS1_30default_config_static_selectorELNS0_4arch9wavefront6targetE0EEEvT1_
                                        ; -- End function
	.set _ZN7rocprim17ROCPRIM_400000_NS6detail17trampoline_kernelINS0_14default_configENS1_27scan_by_key_config_selectorIitEEZZNS1_16scan_by_key_implILNS1_25lookback_scan_determinismE0ELb0ES3_N6thrust23THRUST_200600_302600_NS6detail15normal_iteratorINS9_10device_ptrIiEEEENSB_INSC_ItEEEESG_tNS9_4plusIvEENS9_8equal_toIvEEtEE10hipError_tPvRmT2_T3_T4_T5_mT6_T7_P12ihipStream_tbENKUlT_T0_E_clISt17integral_constantIbLb0EES11_EEDaSW_SX_EUlSW_E_NS1_11comp_targetILNS1_3genE5ELNS1_11target_archE942ELNS1_3gpuE9ELNS1_3repE0EEENS1_30default_config_static_selectorELNS0_4arch9wavefront6targetE0EEEvT1_.num_vgpr, 0
	.set _ZN7rocprim17ROCPRIM_400000_NS6detail17trampoline_kernelINS0_14default_configENS1_27scan_by_key_config_selectorIitEEZZNS1_16scan_by_key_implILNS1_25lookback_scan_determinismE0ELb0ES3_N6thrust23THRUST_200600_302600_NS6detail15normal_iteratorINS9_10device_ptrIiEEEENSB_INSC_ItEEEESG_tNS9_4plusIvEENS9_8equal_toIvEEtEE10hipError_tPvRmT2_T3_T4_T5_mT6_T7_P12ihipStream_tbENKUlT_T0_E_clISt17integral_constantIbLb0EES11_EEDaSW_SX_EUlSW_E_NS1_11comp_targetILNS1_3genE5ELNS1_11target_archE942ELNS1_3gpuE9ELNS1_3repE0EEENS1_30default_config_static_selectorELNS0_4arch9wavefront6targetE0EEEvT1_.num_agpr, 0
	.set _ZN7rocprim17ROCPRIM_400000_NS6detail17trampoline_kernelINS0_14default_configENS1_27scan_by_key_config_selectorIitEEZZNS1_16scan_by_key_implILNS1_25lookback_scan_determinismE0ELb0ES3_N6thrust23THRUST_200600_302600_NS6detail15normal_iteratorINS9_10device_ptrIiEEEENSB_INSC_ItEEEESG_tNS9_4plusIvEENS9_8equal_toIvEEtEE10hipError_tPvRmT2_T3_T4_T5_mT6_T7_P12ihipStream_tbENKUlT_T0_E_clISt17integral_constantIbLb0EES11_EEDaSW_SX_EUlSW_E_NS1_11comp_targetILNS1_3genE5ELNS1_11target_archE942ELNS1_3gpuE9ELNS1_3repE0EEENS1_30default_config_static_selectorELNS0_4arch9wavefront6targetE0EEEvT1_.numbered_sgpr, 0
	.set _ZN7rocprim17ROCPRIM_400000_NS6detail17trampoline_kernelINS0_14default_configENS1_27scan_by_key_config_selectorIitEEZZNS1_16scan_by_key_implILNS1_25lookback_scan_determinismE0ELb0ES3_N6thrust23THRUST_200600_302600_NS6detail15normal_iteratorINS9_10device_ptrIiEEEENSB_INSC_ItEEEESG_tNS9_4plusIvEENS9_8equal_toIvEEtEE10hipError_tPvRmT2_T3_T4_T5_mT6_T7_P12ihipStream_tbENKUlT_T0_E_clISt17integral_constantIbLb0EES11_EEDaSW_SX_EUlSW_E_NS1_11comp_targetILNS1_3genE5ELNS1_11target_archE942ELNS1_3gpuE9ELNS1_3repE0EEENS1_30default_config_static_selectorELNS0_4arch9wavefront6targetE0EEEvT1_.num_named_barrier, 0
	.set _ZN7rocprim17ROCPRIM_400000_NS6detail17trampoline_kernelINS0_14default_configENS1_27scan_by_key_config_selectorIitEEZZNS1_16scan_by_key_implILNS1_25lookback_scan_determinismE0ELb0ES3_N6thrust23THRUST_200600_302600_NS6detail15normal_iteratorINS9_10device_ptrIiEEEENSB_INSC_ItEEEESG_tNS9_4plusIvEENS9_8equal_toIvEEtEE10hipError_tPvRmT2_T3_T4_T5_mT6_T7_P12ihipStream_tbENKUlT_T0_E_clISt17integral_constantIbLb0EES11_EEDaSW_SX_EUlSW_E_NS1_11comp_targetILNS1_3genE5ELNS1_11target_archE942ELNS1_3gpuE9ELNS1_3repE0EEENS1_30default_config_static_selectorELNS0_4arch9wavefront6targetE0EEEvT1_.private_seg_size, 0
	.set _ZN7rocprim17ROCPRIM_400000_NS6detail17trampoline_kernelINS0_14default_configENS1_27scan_by_key_config_selectorIitEEZZNS1_16scan_by_key_implILNS1_25lookback_scan_determinismE0ELb0ES3_N6thrust23THRUST_200600_302600_NS6detail15normal_iteratorINS9_10device_ptrIiEEEENSB_INSC_ItEEEESG_tNS9_4plusIvEENS9_8equal_toIvEEtEE10hipError_tPvRmT2_T3_T4_T5_mT6_T7_P12ihipStream_tbENKUlT_T0_E_clISt17integral_constantIbLb0EES11_EEDaSW_SX_EUlSW_E_NS1_11comp_targetILNS1_3genE5ELNS1_11target_archE942ELNS1_3gpuE9ELNS1_3repE0EEENS1_30default_config_static_selectorELNS0_4arch9wavefront6targetE0EEEvT1_.uses_vcc, 0
	.set _ZN7rocprim17ROCPRIM_400000_NS6detail17trampoline_kernelINS0_14default_configENS1_27scan_by_key_config_selectorIitEEZZNS1_16scan_by_key_implILNS1_25lookback_scan_determinismE0ELb0ES3_N6thrust23THRUST_200600_302600_NS6detail15normal_iteratorINS9_10device_ptrIiEEEENSB_INSC_ItEEEESG_tNS9_4plusIvEENS9_8equal_toIvEEtEE10hipError_tPvRmT2_T3_T4_T5_mT6_T7_P12ihipStream_tbENKUlT_T0_E_clISt17integral_constantIbLb0EES11_EEDaSW_SX_EUlSW_E_NS1_11comp_targetILNS1_3genE5ELNS1_11target_archE942ELNS1_3gpuE9ELNS1_3repE0EEENS1_30default_config_static_selectorELNS0_4arch9wavefront6targetE0EEEvT1_.uses_flat_scratch, 0
	.set _ZN7rocprim17ROCPRIM_400000_NS6detail17trampoline_kernelINS0_14default_configENS1_27scan_by_key_config_selectorIitEEZZNS1_16scan_by_key_implILNS1_25lookback_scan_determinismE0ELb0ES3_N6thrust23THRUST_200600_302600_NS6detail15normal_iteratorINS9_10device_ptrIiEEEENSB_INSC_ItEEEESG_tNS9_4plusIvEENS9_8equal_toIvEEtEE10hipError_tPvRmT2_T3_T4_T5_mT6_T7_P12ihipStream_tbENKUlT_T0_E_clISt17integral_constantIbLb0EES11_EEDaSW_SX_EUlSW_E_NS1_11comp_targetILNS1_3genE5ELNS1_11target_archE942ELNS1_3gpuE9ELNS1_3repE0EEENS1_30default_config_static_selectorELNS0_4arch9wavefront6targetE0EEEvT1_.has_dyn_sized_stack, 0
	.set _ZN7rocprim17ROCPRIM_400000_NS6detail17trampoline_kernelINS0_14default_configENS1_27scan_by_key_config_selectorIitEEZZNS1_16scan_by_key_implILNS1_25lookback_scan_determinismE0ELb0ES3_N6thrust23THRUST_200600_302600_NS6detail15normal_iteratorINS9_10device_ptrIiEEEENSB_INSC_ItEEEESG_tNS9_4plusIvEENS9_8equal_toIvEEtEE10hipError_tPvRmT2_T3_T4_T5_mT6_T7_P12ihipStream_tbENKUlT_T0_E_clISt17integral_constantIbLb0EES11_EEDaSW_SX_EUlSW_E_NS1_11comp_targetILNS1_3genE5ELNS1_11target_archE942ELNS1_3gpuE9ELNS1_3repE0EEENS1_30default_config_static_selectorELNS0_4arch9wavefront6targetE0EEEvT1_.has_recursion, 0
	.set _ZN7rocprim17ROCPRIM_400000_NS6detail17trampoline_kernelINS0_14default_configENS1_27scan_by_key_config_selectorIitEEZZNS1_16scan_by_key_implILNS1_25lookback_scan_determinismE0ELb0ES3_N6thrust23THRUST_200600_302600_NS6detail15normal_iteratorINS9_10device_ptrIiEEEENSB_INSC_ItEEEESG_tNS9_4plusIvEENS9_8equal_toIvEEtEE10hipError_tPvRmT2_T3_T4_T5_mT6_T7_P12ihipStream_tbENKUlT_T0_E_clISt17integral_constantIbLb0EES11_EEDaSW_SX_EUlSW_E_NS1_11comp_targetILNS1_3genE5ELNS1_11target_archE942ELNS1_3gpuE9ELNS1_3repE0EEENS1_30default_config_static_selectorELNS0_4arch9wavefront6targetE0EEEvT1_.has_indirect_call, 0
	.section	.AMDGPU.csdata,"",@progbits
; Kernel info:
; codeLenInByte = 0
; TotalNumSgprs: 0
; NumVgprs: 0
; ScratchSize: 0
; MemoryBound: 0
; FloatMode: 240
; IeeeMode: 1
; LDSByteSize: 0 bytes/workgroup (compile time only)
; SGPRBlocks: 0
; VGPRBlocks: 0
; NumSGPRsForWavesPerEU: 1
; NumVGPRsForWavesPerEU: 1
; Occupancy: 16
; WaveLimiterHint : 0
; COMPUTE_PGM_RSRC2:SCRATCH_EN: 0
; COMPUTE_PGM_RSRC2:USER_SGPR: 6
; COMPUTE_PGM_RSRC2:TRAP_HANDLER: 0
; COMPUTE_PGM_RSRC2:TGID_X_EN: 1
; COMPUTE_PGM_RSRC2:TGID_Y_EN: 0
; COMPUTE_PGM_RSRC2:TGID_Z_EN: 0
; COMPUTE_PGM_RSRC2:TIDIG_COMP_CNT: 0
	.section	.text._ZN7rocprim17ROCPRIM_400000_NS6detail17trampoline_kernelINS0_14default_configENS1_27scan_by_key_config_selectorIitEEZZNS1_16scan_by_key_implILNS1_25lookback_scan_determinismE0ELb0ES3_N6thrust23THRUST_200600_302600_NS6detail15normal_iteratorINS9_10device_ptrIiEEEENSB_INSC_ItEEEESG_tNS9_4plusIvEENS9_8equal_toIvEEtEE10hipError_tPvRmT2_T3_T4_T5_mT6_T7_P12ihipStream_tbENKUlT_T0_E_clISt17integral_constantIbLb0EES11_EEDaSW_SX_EUlSW_E_NS1_11comp_targetILNS1_3genE4ELNS1_11target_archE910ELNS1_3gpuE8ELNS1_3repE0EEENS1_30default_config_static_selectorELNS0_4arch9wavefront6targetE0EEEvT1_,"axG",@progbits,_ZN7rocprim17ROCPRIM_400000_NS6detail17trampoline_kernelINS0_14default_configENS1_27scan_by_key_config_selectorIitEEZZNS1_16scan_by_key_implILNS1_25lookback_scan_determinismE0ELb0ES3_N6thrust23THRUST_200600_302600_NS6detail15normal_iteratorINS9_10device_ptrIiEEEENSB_INSC_ItEEEESG_tNS9_4plusIvEENS9_8equal_toIvEEtEE10hipError_tPvRmT2_T3_T4_T5_mT6_T7_P12ihipStream_tbENKUlT_T0_E_clISt17integral_constantIbLb0EES11_EEDaSW_SX_EUlSW_E_NS1_11comp_targetILNS1_3genE4ELNS1_11target_archE910ELNS1_3gpuE8ELNS1_3repE0EEENS1_30default_config_static_selectorELNS0_4arch9wavefront6targetE0EEEvT1_,comdat
	.protected	_ZN7rocprim17ROCPRIM_400000_NS6detail17trampoline_kernelINS0_14default_configENS1_27scan_by_key_config_selectorIitEEZZNS1_16scan_by_key_implILNS1_25lookback_scan_determinismE0ELb0ES3_N6thrust23THRUST_200600_302600_NS6detail15normal_iteratorINS9_10device_ptrIiEEEENSB_INSC_ItEEEESG_tNS9_4plusIvEENS9_8equal_toIvEEtEE10hipError_tPvRmT2_T3_T4_T5_mT6_T7_P12ihipStream_tbENKUlT_T0_E_clISt17integral_constantIbLb0EES11_EEDaSW_SX_EUlSW_E_NS1_11comp_targetILNS1_3genE4ELNS1_11target_archE910ELNS1_3gpuE8ELNS1_3repE0EEENS1_30default_config_static_selectorELNS0_4arch9wavefront6targetE0EEEvT1_ ; -- Begin function _ZN7rocprim17ROCPRIM_400000_NS6detail17trampoline_kernelINS0_14default_configENS1_27scan_by_key_config_selectorIitEEZZNS1_16scan_by_key_implILNS1_25lookback_scan_determinismE0ELb0ES3_N6thrust23THRUST_200600_302600_NS6detail15normal_iteratorINS9_10device_ptrIiEEEENSB_INSC_ItEEEESG_tNS9_4plusIvEENS9_8equal_toIvEEtEE10hipError_tPvRmT2_T3_T4_T5_mT6_T7_P12ihipStream_tbENKUlT_T0_E_clISt17integral_constantIbLb0EES11_EEDaSW_SX_EUlSW_E_NS1_11comp_targetILNS1_3genE4ELNS1_11target_archE910ELNS1_3gpuE8ELNS1_3repE0EEENS1_30default_config_static_selectorELNS0_4arch9wavefront6targetE0EEEvT1_
	.globl	_ZN7rocprim17ROCPRIM_400000_NS6detail17trampoline_kernelINS0_14default_configENS1_27scan_by_key_config_selectorIitEEZZNS1_16scan_by_key_implILNS1_25lookback_scan_determinismE0ELb0ES3_N6thrust23THRUST_200600_302600_NS6detail15normal_iteratorINS9_10device_ptrIiEEEENSB_INSC_ItEEEESG_tNS9_4plusIvEENS9_8equal_toIvEEtEE10hipError_tPvRmT2_T3_T4_T5_mT6_T7_P12ihipStream_tbENKUlT_T0_E_clISt17integral_constantIbLb0EES11_EEDaSW_SX_EUlSW_E_NS1_11comp_targetILNS1_3genE4ELNS1_11target_archE910ELNS1_3gpuE8ELNS1_3repE0EEENS1_30default_config_static_selectorELNS0_4arch9wavefront6targetE0EEEvT1_
	.p2align	8
	.type	_ZN7rocprim17ROCPRIM_400000_NS6detail17trampoline_kernelINS0_14default_configENS1_27scan_by_key_config_selectorIitEEZZNS1_16scan_by_key_implILNS1_25lookback_scan_determinismE0ELb0ES3_N6thrust23THRUST_200600_302600_NS6detail15normal_iteratorINS9_10device_ptrIiEEEENSB_INSC_ItEEEESG_tNS9_4plusIvEENS9_8equal_toIvEEtEE10hipError_tPvRmT2_T3_T4_T5_mT6_T7_P12ihipStream_tbENKUlT_T0_E_clISt17integral_constantIbLb0EES11_EEDaSW_SX_EUlSW_E_NS1_11comp_targetILNS1_3genE4ELNS1_11target_archE910ELNS1_3gpuE8ELNS1_3repE0EEENS1_30default_config_static_selectorELNS0_4arch9wavefront6targetE0EEEvT1_,@function
_ZN7rocprim17ROCPRIM_400000_NS6detail17trampoline_kernelINS0_14default_configENS1_27scan_by_key_config_selectorIitEEZZNS1_16scan_by_key_implILNS1_25lookback_scan_determinismE0ELb0ES3_N6thrust23THRUST_200600_302600_NS6detail15normal_iteratorINS9_10device_ptrIiEEEENSB_INSC_ItEEEESG_tNS9_4plusIvEENS9_8equal_toIvEEtEE10hipError_tPvRmT2_T3_T4_T5_mT6_T7_P12ihipStream_tbENKUlT_T0_E_clISt17integral_constantIbLb0EES11_EEDaSW_SX_EUlSW_E_NS1_11comp_targetILNS1_3genE4ELNS1_11target_archE910ELNS1_3gpuE8ELNS1_3repE0EEENS1_30default_config_static_selectorELNS0_4arch9wavefront6targetE0EEEvT1_: ; @_ZN7rocprim17ROCPRIM_400000_NS6detail17trampoline_kernelINS0_14default_configENS1_27scan_by_key_config_selectorIitEEZZNS1_16scan_by_key_implILNS1_25lookback_scan_determinismE0ELb0ES3_N6thrust23THRUST_200600_302600_NS6detail15normal_iteratorINS9_10device_ptrIiEEEENSB_INSC_ItEEEESG_tNS9_4plusIvEENS9_8equal_toIvEEtEE10hipError_tPvRmT2_T3_T4_T5_mT6_T7_P12ihipStream_tbENKUlT_T0_E_clISt17integral_constantIbLb0EES11_EEDaSW_SX_EUlSW_E_NS1_11comp_targetILNS1_3genE4ELNS1_11target_archE910ELNS1_3gpuE8ELNS1_3repE0EEENS1_30default_config_static_selectorELNS0_4arch9wavefront6targetE0EEEvT1_
; %bb.0:
	.section	.rodata,"a",@progbits
	.p2align	6, 0x0
	.amdhsa_kernel _ZN7rocprim17ROCPRIM_400000_NS6detail17trampoline_kernelINS0_14default_configENS1_27scan_by_key_config_selectorIitEEZZNS1_16scan_by_key_implILNS1_25lookback_scan_determinismE0ELb0ES3_N6thrust23THRUST_200600_302600_NS6detail15normal_iteratorINS9_10device_ptrIiEEEENSB_INSC_ItEEEESG_tNS9_4plusIvEENS9_8equal_toIvEEtEE10hipError_tPvRmT2_T3_T4_T5_mT6_T7_P12ihipStream_tbENKUlT_T0_E_clISt17integral_constantIbLb0EES11_EEDaSW_SX_EUlSW_E_NS1_11comp_targetILNS1_3genE4ELNS1_11target_archE910ELNS1_3gpuE8ELNS1_3repE0EEENS1_30default_config_static_selectorELNS0_4arch9wavefront6targetE0EEEvT1_
		.amdhsa_group_segment_fixed_size 0
		.amdhsa_private_segment_fixed_size 0
		.amdhsa_kernarg_size 112
		.amdhsa_user_sgpr_count 6
		.amdhsa_user_sgpr_private_segment_buffer 1
		.amdhsa_user_sgpr_dispatch_ptr 0
		.amdhsa_user_sgpr_queue_ptr 0
		.amdhsa_user_sgpr_kernarg_segment_ptr 1
		.amdhsa_user_sgpr_dispatch_id 0
		.amdhsa_user_sgpr_flat_scratch_init 0
		.amdhsa_user_sgpr_private_segment_size 0
		.amdhsa_wavefront_size32 1
		.amdhsa_uses_dynamic_stack 0
		.amdhsa_system_sgpr_private_segment_wavefront_offset 0
		.amdhsa_system_sgpr_workgroup_id_x 1
		.amdhsa_system_sgpr_workgroup_id_y 0
		.amdhsa_system_sgpr_workgroup_id_z 0
		.amdhsa_system_sgpr_workgroup_info 0
		.amdhsa_system_vgpr_workitem_id 0
		.amdhsa_next_free_vgpr 1
		.amdhsa_next_free_sgpr 1
		.amdhsa_reserve_vcc 0
		.amdhsa_reserve_flat_scratch 0
		.amdhsa_float_round_mode_32 0
		.amdhsa_float_round_mode_16_64 0
		.amdhsa_float_denorm_mode_32 3
		.amdhsa_float_denorm_mode_16_64 3
		.amdhsa_dx10_clamp 1
		.amdhsa_ieee_mode 1
		.amdhsa_fp16_overflow 0
		.amdhsa_workgroup_processor_mode 1
		.amdhsa_memory_ordered 1
		.amdhsa_forward_progress 1
		.amdhsa_shared_vgpr_count 0
		.amdhsa_exception_fp_ieee_invalid_op 0
		.amdhsa_exception_fp_denorm_src 0
		.amdhsa_exception_fp_ieee_div_zero 0
		.amdhsa_exception_fp_ieee_overflow 0
		.amdhsa_exception_fp_ieee_underflow 0
		.amdhsa_exception_fp_ieee_inexact 0
		.amdhsa_exception_int_div_zero 0
	.end_amdhsa_kernel
	.section	.text._ZN7rocprim17ROCPRIM_400000_NS6detail17trampoline_kernelINS0_14default_configENS1_27scan_by_key_config_selectorIitEEZZNS1_16scan_by_key_implILNS1_25lookback_scan_determinismE0ELb0ES3_N6thrust23THRUST_200600_302600_NS6detail15normal_iteratorINS9_10device_ptrIiEEEENSB_INSC_ItEEEESG_tNS9_4plusIvEENS9_8equal_toIvEEtEE10hipError_tPvRmT2_T3_T4_T5_mT6_T7_P12ihipStream_tbENKUlT_T0_E_clISt17integral_constantIbLb0EES11_EEDaSW_SX_EUlSW_E_NS1_11comp_targetILNS1_3genE4ELNS1_11target_archE910ELNS1_3gpuE8ELNS1_3repE0EEENS1_30default_config_static_selectorELNS0_4arch9wavefront6targetE0EEEvT1_,"axG",@progbits,_ZN7rocprim17ROCPRIM_400000_NS6detail17trampoline_kernelINS0_14default_configENS1_27scan_by_key_config_selectorIitEEZZNS1_16scan_by_key_implILNS1_25lookback_scan_determinismE0ELb0ES3_N6thrust23THRUST_200600_302600_NS6detail15normal_iteratorINS9_10device_ptrIiEEEENSB_INSC_ItEEEESG_tNS9_4plusIvEENS9_8equal_toIvEEtEE10hipError_tPvRmT2_T3_T4_T5_mT6_T7_P12ihipStream_tbENKUlT_T0_E_clISt17integral_constantIbLb0EES11_EEDaSW_SX_EUlSW_E_NS1_11comp_targetILNS1_3genE4ELNS1_11target_archE910ELNS1_3gpuE8ELNS1_3repE0EEENS1_30default_config_static_selectorELNS0_4arch9wavefront6targetE0EEEvT1_,comdat
.Lfunc_end1270:
	.size	_ZN7rocprim17ROCPRIM_400000_NS6detail17trampoline_kernelINS0_14default_configENS1_27scan_by_key_config_selectorIitEEZZNS1_16scan_by_key_implILNS1_25lookback_scan_determinismE0ELb0ES3_N6thrust23THRUST_200600_302600_NS6detail15normal_iteratorINS9_10device_ptrIiEEEENSB_INSC_ItEEEESG_tNS9_4plusIvEENS9_8equal_toIvEEtEE10hipError_tPvRmT2_T3_T4_T5_mT6_T7_P12ihipStream_tbENKUlT_T0_E_clISt17integral_constantIbLb0EES11_EEDaSW_SX_EUlSW_E_NS1_11comp_targetILNS1_3genE4ELNS1_11target_archE910ELNS1_3gpuE8ELNS1_3repE0EEENS1_30default_config_static_selectorELNS0_4arch9wavefront6targetE0EEEvT1_, .Lfunc_end1270-_ZN7rocprim17ROCPRIM_400000_NS6detail17trampoline_kernelINS0_14default_configENS1_27scan_by_key_config_selectorIitEEZZNS1_16scan_by_key_implILNS1_25lookback_scan_determinismE0ELb0ES3_N6thrust23THRUST_200600_302600_NS6detail15normal_iteratorINS9_10device_ptrIiEEEENSB_INSC_ItEEEESG_tNS9_4plusIvEENS9_8equal_toIvEEtEE10hipError_tPvRmT2_T3_T4_T5_mT6_T7_P12ihipStream_tbENKUlT_T0_E_clISt17integral_constantIbLb0EES11_EEDaSW_SX_EUlSW_E_NS1_11comp_targetILNS1_3genE4ELNS1_11target_archE910ELNS1_3gpuE8ELNS1_3repE0EEENS1_30default_config_static_selectorELNS0_4arch9wavefront6targetE0EEEvT1_
                                        ; -- End function
	.set _ZN7rocprim17ROCPRIM_400000_NS6detail17trampoline_kernelINS0_14default_configENS1_27scan_by_key_config_selectorIitEEZZNS1_16scan_by_key_implILNS1_25lookback_scan_determinismE0ELb0ES3_N6thrust23THRUST_200600_302600_NS6detail15normal_iteratorINS9_10device_ptrIiEEEENSB_INSC_ItEEEESG_tNS9_4plusIvEENS9_8equal_toIvEEtEE10hipError_tPvRmT2_T3_T4_T5_mT6_T7_P12ihipStream_tbENKUlT_T0_E_clISt17integral_constantIbLb0EES11_EEDaSW_SX_EUlSW_E_NS1_11comp_targetILNS1_3genE4ELNS1_11target_archE910ELNS1_3gpuE8ELNS1_3repE0EEENS1_30default_config_static_selectorELNS0_4arch9wavefront6targetE0EEEvT1_.num_vgpr, 0
	.set _ZN7rocprim17ROCPRIM_400000_NS6detail17trampoline_kernelINS0_14default_configENS1_27scan_by_key_config_selectorIitEEZZNS1_16scan_by_key_implILNS1_25lookback_scan_determinismE0ELb0ES3_N6thrust23THRUST_200600_302600_NS6detail15normal_iteratorINS9_10device_ptrIiEEEENSB_INSC_ItEEEESG_tNS9_4plusIvEENS9_8equal_toIvEEtEE10hipError_tPvRmT2_T3_T4_T5_mT6_T7_P12ihipStream_tbENKUlT_T0_E_clISt17integral_constantIbLb0EES11_EEDaSW_SX_EUlSW_E_NS1_11comp_targetILNS1_3genE4ELNS1_11target_archE910ELNS1_3gpuE8ELNS1_3repE0EEENS1_30default_config_static_selectorELNS0_4arch9wavefront6targetE0EEEvT1_.num_agpr, 0
	.set _ZN7rocprim17ROCPRIM_400000_NS6detail17trampoline_kernelINS0_14default_configENS1_27scan_by_key_config_selectorIitEEZZNS1_16scan_by_key_implILNS1_25lookback_scan_determinismE0ELb0ES3_N6thrust23THRUST_200600_302600_NS6detail15normal_iteratorINS9_10device_ptrIiEEEENSB_INSC_ItEEEESG_tNS9_4plusIvEENS9_8equal_toIvEEtEE10hipError_tPvRmT2_T3_T4_T5_mT6_T7_P12ihipStream_tbENKUlT_T0_E_clISt17integral_constantIbLb0EES11_EEDaSW_SX_EUlSW_E_NS1_11comp_targetILNS1_3genE4ELNS1_11target_archE910ELNS1_3gpuE8ELNS1_3repE0EEENS1_30default_config_static_selectorELNS0_4arch9wavefront6targetE0EEEvT1_.numbered_sgpr, 0
	.set _ZN7rocprim17ROCPRIM_400000_NS6detail17trampoline_kernelINS0_14default_configENS1_27scan_by_key_config_selectorIitEEZZNS1_16scan_by_key_implILNS1_25lookback_scan_determinismE0ELb0ES3_N6thrust23THRUST_200600_302600_NS6detail15normal_iteratorINS9_10device_ptrIiEEEENSB_INSC_ItEEEESG_tNS9_4plusIvEENS9_8equal_toIvEEtEE10hipError_tPvRmT2_T3_T4_T5_mT6_T7_P12ihipStream_tbENKUlT_T0_E_clISt17integral_constantIbLb0EES11_EEDaSW_SX_EUlSW_E_NS1_11comp_targetILNS1_3genE4ELNS1_11target_archE910ELNS1_3gpuE8ELNS1_3repE0EEENS1_30default_config_static_selectorELNS0_4arch9wavefront6targetE0EEEvT1_.num_named_barrier, 0
	.set _ZN7rocprim17ROCPRIM_400000_NS6detail17trampoline_kernelINS0_14default_configENS1_27scan_by_key_config_selectorIitEEZZNS1_16scan_by_key_implILNS1_25lookback_scan_determinismE0ELb0ES3_N6thrust23THRUST_200600_302600_NS6detail15normal_iteratorINS9_10device_ptrIiEEEENSB_INSC_ItEEEESG_tNS9_4plusIvEENS9_8equal_toIvEEtEE10hipError_tPvRmT2_T3_T4_T5_mT6_T7_P12ihipStream_tbENKUlT_T0_E_clISt17integral_constantIbLb0EES11_EEDaSW_SX_EUlSW_E_NS1_11comp_targetILNS1_3genE4ELNS1_11target_archE910ELNS1_3gpuE8ELNS1_3repE0EEENS1_30default_config_static_selectorELNS0_4arch9wavefront6targetE0EEEvT1_.private_seg_size, 0
	.set _ZN7rocprim17ROCPRIM_400000_NS6detail17trampoline_kernelINS0_14default_configENS1_27scan_by_key_config_selectorIitEEZZNS1_16scan_by_key_implILNS1_25lookback_scan_determinismE0ELb0ES3_N6thrust23THRUST_200600_302600_NS6detail15normal_iteratorINS9_10device_ptrIiEEEENSB_INSC_ItEEEESG_tNS9_4plusIvEENS9_8equal_toIvEEtEE10hipError_tPvRmT2_T3_T4_T5_mT6_T7_P12ihipStream_tbENKUlT_T0_E_clISt17integral_constantIbLb0EES11_EEDaSW_SX_EUlSW_E_NS1_11comp_targetILNS1_3genE4ELNS1_11target_archE910ELNS1_3gpuE8ELNS1_3repE0EEENS1_30default_config_static_selectorELNS0_4arch9wavefront6targetE0EEEvT1_.uses_vcc, 0
	.set _ZN7rocprim17ROCPRIM_400000_NS6detail17trampoline_kernelINS0_14default_configENS1_27scan_by_key_config_selectorIitEEZZNS1_16scan_by_key_implILNS1_25lookback_scan_determinismE0ELb0ES3_N6thrust23THRUST_200600_302600_NS6detail15normal_iteratorINS9_10device_ptrIiEEEENSB_INSC_ItEEEESG_tNS9_4plusIvEENS9_8equal_toIvEEtEE10hipError_tPvRmT2_T3_T4_T5_mT6_T7_P12ihipStream_tbENKUlT_T0_E_clISt17integral_constantIbLb0EES11_EEDaSW_SX_EUlSW_E_NS1_11comp_targetILNS1_3genE4ELNS1_11target_archE910ELNS1_3gpuE8ELNS1_3repE0EEENS1_30default_config_static_selectorELNS0_4arch9wavefront6targetE0EEEvT1_.uses_flat_scratch, 0
	.set _ZN7rocprim17ROCPRIM_400000_NS6detail17trampoline_kernelINS0_14default_configENS1_27scan_by_key_config_selectorIitEEZZNS1_16scan_by_key_implILNS1_25lookback_scan_determinismE0ELb0ES3_N6thrust23THRUST_200600_302600_NS6detail15normal_iteratorINS9_10device_ptrIiEEEENSB_INSC_ItEEEESG_tNS9_4plusIvEENS9_8equal_toIvEEtEE10hipError_tPvRmT2_T3_T4_T5_mT6_T7_P12ihipStream_tbENKUlT_T0_E_clISt17integral_constantIbLb0EES11_EEDaSW_SX_EUlSW_E_NS1_11comp_targetILNS1_3genE4ELNS1_11target_archE910ELNS1_3gpuE8ELNS1_3repE0EEENS1_30default_config_static_selectorELNS0_4arch9wavefront6targetE0EEEvT1_.has_dyn_sized_stack, 0
	.set _ZN7rocprim17ROCPRIM_400000_NS6detail17trampoline_kernelINS0_14default_configENS1_27scan_by_key_config_selectorIitEEZZNS1_16scan_by_key_implILNS1_25lookback_scan_determinismE0ELb0ES3_N6thrust23THRUST_200600_302600_NS6detail15normal_iteratorINS9_10device_ptrIiEEEENSB_INSC_ItEEEESG_tNS9_4plusIvEENS9_8equal_toIvEEtEE10hipError_tPvRmT2_T3_T4_T5_mT6_T7_P12ihipStream_tbENKUlT_T0_E_clISt17integral_constantIbLb0EES11_EEDaSW_SX_EUlSW_E_NS1_11comp_targetILNS1_3genE4ELNS1_11target_archE910ELNS1_3gpuE8ELNS1_3repE0EEENS1_30default_config_static_selectorELNS0_4arch9wavefront6targetE0EEEvT1_.has_recursion, 0
	.set _ZN7rocprim17ROCPRIM_400000_NS6detail17trampoline_kernelINS0_14default_configENS1_27scan_by_key_config_selectorIitEEZZNS1_16scan_by_key_implILNS1_25lookback_scan_determinismE0ELb0ES3_N6thrust23THRUST_200600_302600_NS6detail15normal_iteratorINS9_10device_ptrIiEEEENSB_INSC_ItEEEESG_tNS9_4plusIvEENS9_8equal_toIvEEtEE10hipError_tPvRmT2_T3_T4_T5_mT6_T7_P12ihipStream_tbENKUlT_T0_E_clISt17integral_constantIbLb0EES11_EEDaSW_SX_EUlSW_E_NS1_11comp_targetILNS1_3genE4ELNS1_11target_archE910ELNS1_3gpuE8ELNS1_3repE0EEENS1_30default_config_static_selectorELNS0_4arch9wavefront6targetE0EEEvT1_.has_indirect_call, 0
	.section	.AMDGPU.csdata,"",@progbits
; Kernel info:
; codeLenInByte = 0
; TotalNumSgprs: 0
; NumVgprs: 0
; ScratchSize: 0
; MemoryBound: 0
; FloatMode: 240
; IeeeMode: 1
; LDSByteSize: 0 bytes/workgroup (compile time only)
; SGPRBlocks: 0
; VGPRBlocks: 0
; NumSGPRsForWavesPerEU: 1
; NumVGPRsForWavesPerEU: 1
; Occupancy: 16
; WaveLimiterHint : 0
; COMPUTE_PGM_RSRC2:SCRATCH_EN: 0
; COMPUTE_PGM_RSRC2:USER_SGPR: 6
; COMPUTE_PGM_RSRC2:TRAP_HANDLER: 0
; COMPUTE_PGM_RSRC2:TGID_X_EN: 1
; COMPUTE_PGM_RSRC2:TGID_Y_EN: 0
; COMPUTE_PGM_RSRC2:TGID_Z_EN: 0
; COMPUTE_PGM_RSRC2:TIDIG_COMP_CNT: 0
	.section	.text._ZN7rocprim17ROCPRIM_400000_NS6detail17trampoline_kernelINS0_14default_configENS1_27scan_by_key_config_selectorIitEEZZNS1_16scan_by_key_implILNS1_25lookback_scan_determinismE0ELb0ES3_N6thrust23THRUST_200600_302600_NS6detail15normal_iteratorINS9_10device_ptrIiEEEENSB_INSC_ItEEEESG_tNS9_4plusIvEENS9_8equal_toIvEEtEE10hipError_tPvRmT2_T3_T4_T5_mT6_T7_P12ihipStream_tbENKUlT_T0_E_clISt17integral_constantIbLb0EES11_EEDaSW_SX_EUlSW_E_NS1_11comp_targetILNS1_3genE3ELNS1_11target_archE908ELNS1_3gpuE7ELNS1_3repE0EEENS1_30default_config_static_selectorELNS0_4arch9wavefront6targetE0EEEvT1_,"axG",@progbits,_ZN7rocprim17ROCPRIM_400000_NS6detail17trampoline_kernelINS0_14default_configENS1_27scan_by_key_config_selectorIitEEZZNS1_16scan_by_key_implILNS1_25lookback_scan_determinismE0ELb0ES3_N6thrust23THRUST_200600_302600_NS6detail15normal_iteratorINS9_10device_ptrIiEEEENSB_INSC_ItEEEESG_tNS9_4plusIvEENS9_8equal_toIvEEtEE10hipError_tPvRmT2_T3_T4_T5_mT6_T7_P12ihipStream_tbENKUlT_T0_E_clISt17integral_constantIbLb0EES11_EEDaSW_SX_EUlSW_E_NS1_11comp_targetILNS1_3genE3ELNS1_11target_archE908ELNS1_3gpuE7ELNS1_3repE0EEENS1_30default_config_static_selectorELNS0_4arch9wavefront6targetE0EEEvT1_,comdat
	.protected	_ZN7rocprim17ROCPRIM_400000_NS6detail17trampoline_kernelINS0_14default_configENS1_27scan_by_key_config_selectorIitEEZZNS1_16scan_by_key_implILNS1_25lookback_scan_determinismE0ELb0ES3_N6thrust23THRUST_200600_302600_NS6detail15normal_iteratorINS9_10device_ptrIiEEEENSB_INSC_ItEEEESG_tNS9_4plusIvEENS9_8equal_toIvEEtEE10hipError_tPvRmT2_T3_T4_T5_mT6_T7_P12ihipStream_tbENKUlT_T0_E_clISt17integral_constantIbLb0EES11_EEDaSW_SX_EUlSW_E_NS1_11comp_targetILNS1_3genE3ELNS1_11target_archE908ELNS1_3gpuE7ELNS1_3repE0EEENS1_30default_config_static_selectorELNS0_4arch9wavefront6targetE0EEEvT1_ ; -- Begin function _ZN7rocprim17ROCPRIM_400000_NS6detail17trampoline_kernelINS0_14default_configENS1_27scan_by_key_config_selectorIitEEZZNS1_16scan_by_key_implILNS1_25lookback_scan_determinismE0ELb0ES3_N6thrust23THRUST_200600_302600_NS6detail15normal_iteratorINS9_10device_ptrIiEEEENSB_INSC_ItEEEESG_tNS9_4plusIvEENS9_8equal_toIvEEtEE10hipError_tPvRmT2_T3_T4_T5_mT6_T7_P12ihipStream_tbENKUlT_T0_E_clISt17integral_constantIbLb0EES11_EEDaSW_SX_EUlSW_E_NS1_11comp_targetILNS1_3genE3ELNS1_11target_archE908ELNS1_3gpuE7ELNS1_3repE0EEENS1_30default_config_static_selectorELNS0_4arch9wavefront6targetE0EEEvT1_
	.globl	_ZN7rocprim17ROCPRIM_400000_NS6detail17trampoline_kernelINS0_14default_configENS1_27scan_by_key_config_selectorIitEEZZNS1_16scan_by_key_implILNS1_25lookback_scan_determinismE0ELb0ES3_N6thrust23THRUST_200600_302600_NS6detail15normal_iteratorINS9_10device_ptrIiEEEENSB_INSC_ItEEEESG_tNS9_4plusIvEENS9_8equal_toIvEEtEE10hipError_tPvRmT2_T3_T4_T5_mT6_T7_P12ihipStream_tbENKUlT_T0_E_clISt17integral_constantIbLb0EES11_EEDaSW_SX_EUlSW_E_NS1_11comp_targetILNS1_3genE3ELNS1_11target_archE908ELNS1_3gpuE7ELNS1_3repE0EEENS1_30default_config_static_selectorELNS0_4arch9wavefront6targetE0EEEvT1_
	.p2align	8
	.type	_ZN7rocprim17ROCPRIM_400000_NS6detail17trampoline_kernelINS0_14default_configENS1_27scan_by_key_config_selectorIitEEZZNS1_16scan_by_key_implILNS1_25lookback_scan_determinismE0ELb0ES3_N6thrust23THRUST_200600_302600_NS6detail15normal_iteratorINS9_10device_ptrIiEEEENSB_INSC_ItEEEESG_tNS9_4plusIvEENS9_8equal_toIvEEtEE10hipError_tPvRmT2_T3_T4_T5_mT6_T7_P12ihipStream_tbENKUlT_T0_E_clISt17integral_constantIbLb0EES11_EEDaSW_SX_EUlSW_E_NS1_11comp_targetILNS1_3genE3ELNS1_11target_archE908ELNS1_3gpuE7ELNS1_3repE0EEENS1_30default_config_static_selectorELNS0_4arch9wavefront6targetE0EEEvT1_,@function
_ZN7rocprim17ROCPRIM_400000_NS6detail17trampoline_kernelINS0_14default_configENS1_27scan_by_key_config_selectorIitEEZZNS1_16scan_by_key_implILNS1_25lookback_scan_determinismE0ELb0ES3_N6thrust23THRUST_200600_302600_NS6detail15normal_iteratorINS9_10device_ptrIiEEEENSB_INSC_ItEEEESG_tNS9_4plusIvEENS9_8equal_toIvEEtEE10hipError_tPvRmT2_T3_T4_T5_mT6_T7_P12ihipStream_tbENKUlT_T0_E_clISt17integral_constantIbLb0EES11_EEDaSW_SX_EUlSW_E_NS1_11comp_targetILNS1_3genE3ELNS1_11target_archE908ELNS1_3gpuE7ELNS1_3repE0EEENS1_30default_config_static_selectorELNS0_4arch9wavefront6targetE0EEEvT1_: ; @_ZN7rocprim17ROCPRIM_400000_NS6detail17trampoline_kernelINS0_14default_configENS1_27scan_by_key_config_selectorIitEEZZNS1_16scan_by_key_implILNS1_25lookback_scan_determinismE0ELb0ES3_N6thrust23THRUST_200600_302600_NS6detail15normal_iteratorINS9_10device_ptrIiEEEENSB_INSC_ItEEEESG_tNS9_4plusIvEENS9_8equal_toIvEEtEE10hipError_tPvRmT2_T3_T4_T5_mT6_T7_P12ihipStream_tbENKUlT_T0_E_clISt17integral_constantIbLb0EES11_EEDaSW_SX_EUlSW_E_NS1_11comp_targetILNS1_3genE3ELNS1_11target_archE908ELNS1_3gpuE7ELNS1_3repE0EEENS1_30default_config_static_selectorELNS0_4arch9wavefront6targetE0EEEvT1_
; %bb.0:
	.section	.rodata,"a",@progbits
	.p2align	6, 0x0
	.amdhsa_kernel _ZN7rocprim17ROCPRIM_400000_NS6detail17trampoline_kernelINS0_14default_configENS1_27scan_by_key_config_selectorIitEEZZNS1_16scan_by_key_implILNS1_25lookback_scan_determinismE0ELb0ES3_N6thrust23THRUST_200600_302600_NS6detail15normal_iteratorINS9_10device_ptrIiEEEENSB_INSC_ItEEEESG_tNS9_4plusIvEENS9_8equal_toIvEEtEE10hipError_tPvRmT2_T3_T4_T5_mT6_T7_P12ihipStream_tbENKUlT_T0_E_clISt17integral_constantIbLb0EES11_EEDaSW_SX_EUlSW_E_NS1_11comp_targetILNS1_3genE3ELNS1_11target_archE908ELNS1_3gpuE7ELNS1_3repE0EEENS1_30default_config_static_selectorELNS0_4arch9wavefront6targetE0EEEvT1_
		.amdhsa_group_segment_fixed_size 0
		.amdhsa_private_segment_fixed_size 0
		.amdhsa_kernarg_size 112
		.amdhsa_user_sgpr_count 6
		.amdhsa_user_sgpr_private_segment_buffer 1
		.amdhsa_user_sgpr_dispatch_ptr 0
		.amdhsa_user_sgpr_queue_ptr 0
		.amdhsa_user_sgpr_kernarg_segment_ptr 1
		.amdhsa_user_sgpr_dispatch_id 0
		.amdhsa_user_sgpr_flat_scratch_init 0
		.amdhsa_user_sgpr_private_segment_size 0
		.amdhsa_wavefront_size32 1
		.amdhsa_uses_dynamic_stack 0
		.amdhsa_system_sgpr_private_segment_wavefront_offset 0
		.amdhsa_system_sgpr_workgroup_id_x 1
		.amdhsa_system_sgpr_workgroup_id_y 0
		.amdhsa_system_sgpr_workgroup_id_z 0
		.amdhsa_system_sgpr_workgroup_info 0
		.amdhsa_system_vgpr_workitem_id 0
		.amdhsa_next_free_vgpr 1
		.amdhsa_next_free_sgpr 1
		.amdhsa_reserve_vcc 0
		.amdhsa_reserve_flat_scratch 0
		.amdhsa_float_round_mode_32 0
		.amdhsa_float_round_mode_16_64 0
		.amdhsa_float_denorm_mode_32 3
		.amdhsa_float_denorm_mode_16_64 3
		.amdhsa_dx10_clamp 1
		.amdhsa_ieee_mode 1
		.amdhsa_fp16_overflow 0
		.amdhsa_workgroup_processor_mode 1
		.amdhsa_memory_ordered 1
		.amdhsa_forward_progress 1
		.amdhsa_shared_vgpr_count 0
		.amdhsa_exception_fp_ieee_invalid_op 0
		.amdhsa_exception_fp_denorm_src 0
		.amdhsa_exception_fp_ieee_div_zero 0
		.amdhsa_exception_fp_ieee_overflow 0
		.amdhsa_exception_fp_ieee_underflow 0
		.amdhsa_exception_fp_ieee_inexact 0
		.amdhsa_exception_int_div_zero 0
	.end_amdhsa_kernel
	.section	.text._ZN7rocprim17ROCPRIM_400000_NS6detail17trampoline_kernelINS0_14default_configENS1_27scan_by_key_config_selectorIitEEZZNS1_16scan_by_key_implILNS1_25lookback_scan_determinismE0ELb0ES3_N6thrust23THRUST_200600_302600_NS6detail15normal_iteratorINS9_10device_ptrIiEEEENSB_INSC_ItEEEESG_tNS9_4plusIvEENS9_8equal_toIvEEtEE10hipError_tPvRmT2_T3_T4_T5_mT6_T7_P12ihipStream_tbENKUlT_T0_E_clISt17integral_constantIbLb0EES11_EEDaSW_SX_EUlSW_E_NS1_11comp_targetILNS1_3genE3ELNS1_11target_archE908ELNS1_3gpuE7ELNS1_3repE0EEENS1_30default_config_static_selectorELNS0_4arch9wavefront6targetE0EEEvT1_,"axG",@progbits,_ZN7rocprim17ROCPRIM_400000_NS6detail17trampoline_kernelINS0_14default_configENS1_27scan_by_key_config_selectorIitEEZZNS1_16scan_by_key_implILNS1_25lookback_scan_determinismE0ELb0ES3_N6thrust23THRUST_200600_302600_NS6detail15normal_iteratorINS9_10device_ptrIiEEEENSB_INSC_ItEEEESG_tNS9_4plusIvEENS9_8equal_toIvEEtEE10hipError_tPvRmT2_T3_T4_T5_mT6_T7_P12ihipStream_tbENKUlT_T0_E_clISt17integral_constantIbLb0EES11_EEDaSW_SX_EUlSW_E_NS1_11comp_targetILNS1_3genE3ELNS1_11target_archE908ELNS1_3gpuE7ELNS1_3repE0EEENS1_30default_config_static_selectorELNS0_4arch9wavefront6targetE0EEEvT1_,comdat
.Lfunc_end1271:
	.size	_ZN7rocprim17ROCPRIM_400000_NS6detail17trampoline_kernelINS0_14default_configENS1_27scan_by_key_config_selectorIitEEZZNS1_16scan_by_key_implILNS1_25lookback_scan_determinismE0ELb0ES3_N6thrust23THRUST_200600_302600_NS6detail15normal_iteratorINS9_10device_ptrIiEEEENSB_INSC_ItEEEESG_tNS9_4plusIvEENS9_8equal_toIvEEtEE10hipError_tPvRmT2_T3_T4_T5_mT6_T7_P12ihipStream_tbENKUlT_T0_E_clISt17integral_constantIbLb0EES11_EEDaSW_SX_EUlSW_E_NS1_11comp_targetILNS1_3genE3ELNS1_11target_archE908ELNS1_3gpuE7ELNS1_3repE0EEENS1_30default_config_static_selectorELNS0_4arch9wavefront6targetE0EEEvT1_, .Lfunc_end1271-_ZN7rocprim17ROCPRIM_400000_NS6detail17trampoline_kernelINS0_14default_configENS1_27scan_by_key_config_selectorIitEEZZNS1_16scan_by_key_implILNS1_25lookback_scan_determinismE0ELb0ES3_N6thrust23THRUST_200600_302600_NS6detail15normal_iteratorINS9_10device_ptrIiEEEENSB_INSC_ItEEEESG_tNS9_4plusIvEENS9_8equal_toIvEEtEE10hipError_tPvRmT2_T3_T4_T5_mT6_T7_P12ihipStream_tbENKUlT_T0_E_clISt17integral_constantIbLb0EES11_EEDaSW_SX_EUlSW_E_NS1_11comp_targetILNS1_3genE3ELNS1_11target_archE908ELNS1_3gpuE7ELNS1_3repE0EEENS1_30default_config_static_selectorELNS0_4arch9wavefront6targetE0EEEvT1_
                                        ; -- End function
	.set _ZN7rocprim17ROCPRIM_400000_NS6detail17trampoline_kernelINS0_14default_configENS1_27scan_by_key_config_selectorIitEEZZNS1_16scan_by_key_implILNS1_25lookback_scan_determinismE0ELb0ES3_N6thrust23THRUST_200600_302600_NS6detail15normal_iteratorINS9_10device_ptrIiEEEENSB_INSC_ItEEEESG_tNS9_4plusIvEENS9_8equal_toIvEEtEE10hipError_tPvRmT2_T3_T4_T5_mT6_T7_P12ihipStream_tbENKUlT_T0_E_clISt17integral_constantIbLb0EES11_EEDaSW_SX_EUlSW_E_NS1_11comp_targetILNS1_3genE3ELNS1_11target_archE908ELNS1_3gpuE7ELNS1_3repE0EEENS1_30default_config_static_selectorELNS0_4arch9wavefront6targetE0EEEvT1_.num_vgpr, 0
	.set _ZN7rocprim17ROCPRIM_400000_NS6detail17trampoline_kernelINS0_14default_configENS1_27scan_by_key_config_selectorIitEEZZNS1_16scan_by_key_implILNS1_25lookback_scan_determinismE0ELb0ES3_N6thrust23THRUST_200600_302600_NS6detail15normal_iteratorINS9_10device_ptrIiEEEENSB_INSC_ItEEEESG_tNS9_4plusIvEENS9_8equal_toIvEEtEE10hipError_tPvRmT2_T3_T4_T5_mT6_T7_P12ihipStream_tbENKUlT_T0_E_clISt17integral_constantIbLb0EES11_EEDaSW_SX_EUlSW_E_NS1_11comp_targetILNS1_3genE3ELNS1_11target_archE908ELNS1_3gpuE7ELNS1_3repE0EEENS1_30default_config_static_selectorELNS0_4arch9wavefront6targetE0EEEvT1_.num_agpr, 0
	.set _ZN7rocprim17ROCPRIM_400000_NS6detail17trampoline_kernelINS0_14default_configENS1_27scan_by_key_config_selectorIitEEZZNS1_16scan_by_key_implILNS1_25lookback_scan_determinismE0ELb0ES3_N6thrust23THRUST_200600_302600_NS6detail15normal_iteratorINS9_10device_ptrIiEEEENSB_INSC_ItEEEESG_tNS9_4plusIvEENS9_8equal_toIvEEtEE10hipError_tPvRmT2_T3_T4_T5_mT6_T7_P12ihipStream_tbENKUlT_T0_E_clISt17integral_constantIbLb0EES11_EEDaSW_SX_EUlSW_E_NS1_11comp_targetILNS1_3genE3ELNS1_11target_archE908ELNS1_3gpuE7ELNS1_3repE0EEENS1_30default_config_static_selectorELNS0_4arch9wavefront6targetE0EEEvT1_.numbered_sgpr, 0
	.set _ZN7rocprim17ROCPRIM_400000_NS6detail17trampoline_kernelINS0_14default_configENS1_27scan_by_key_config_selectorIitEEZZNS1_16scan_by_key_implILNS1_25lookback_scan_determinismE0ELb0ES3_N6thrust23THRUST_200600_302600_NS6detail15normal_iteratorINS9_10device_ptrIiEEEENSB_INSC_ItEEEESG_tNS9_4plusIvEENS9_8equal_toIvEEtEE10hipError_tPvRmT2_T3_T4_T5_mT6_T7_P12ihipStream_tbENKUlT_T0_E_clISt17integral_constantIbLb0EES11_EEDaSW_SX_EUlSW_E_NS1_11comp_targetILNS1_3genE3ELNS1_11target_archE908ELNS1_3gpuE7ELNS1_3repE0EEENS1_30default_config_static_selectorELNS0_4arch9wavefront6targetE0EEEvT1_.num_named_barrier, 0
	.set _ZN7rocprim17ROCPRIM_400000_NS6detail17trampoline_kernelINS0_14default_configENS1_27scan_by_key_config_selectorIitEEZZNS1_16scan_by_key_implILNS1_25lookback_scan_determinismE0ELb0ES3_N6thrust23THRUST_200600_302600_NS6detail15normal_iteratorINS9_10device_ptrIiEEEENSB_INSC_ItEEEESG_tNS9_4plusIvEENS9_8equal_toIvEEtEE10hipError_tPvRmT2_T3_T4_T5_mT6_T7_P12ihipStream_tbENKUlT_T0_E_clISt17integral_constantIbLb0EES11_EEDaSW_SX_EUlSW_E_NS1_11comp_targetILNS1_3genE3ELNS1_11target_archE908ELNS1_3gpuE7ELNS1_3repE0EEENS1_30default_config_static_selectorELNS0_4arch9wavefront6targetE0EEEvT1_.private_seg_size, 0
	.set _ZN7rocprim17ROCPRIM_400000_NS6detail17trampoline_kernelINS0_14default_configENS1_27scan_by_key_config_selectorIitEEZZNS1_16scan_by_key_implILNS1_25lookback_scan_determinismE0ELb0ES3_N6thrust23THRUST_200600_302600_NS6detail15normal_iteratorINS9_10device_ptrIiEEEENSB_INSC_ItEEEESG_tNS9_4plusIvEENS9_8equal_toIvEEtEE10hipError_tPvRmT2_T3_T4_T5_mT6_T7_P12ihipStream_tbENKUlT_T0_E_clISt17integral_constantIbLb0EES11_EEDaSW_SX_EUlSW_E_NS1_11comp_targetILNS1_3genE3ELNS1_11target_archE908ELNS1_3gpuE7ELNS1_3repE0EEENS1_30default_config_static_selectorELNS0_4arch9wavefront6targetE0EEEvT1_.uses_vcc, 0
	.set _ZN7rocprim17ROCPRIM_400000_NS6detail17trampoline_kernelINS0_14default_configENS1_27scan_by_key_config_selectorIitEEZZNS1_16scan_by_key_implILNS1_25lookback_scan_determinismE0ELb0ES3_N6thrust23THRUST_200600_302600_NS6detail15normal_iteratorINS9_10device_ptrIiEEEENSB_INSC_ItEEEESG_tNS9_4plusIvEENS9_8equal_toIvEEtEE10hipError_tPvRmT2_T3_T4_T5_mT6_T7_P12ihipStream_tbENKUlT_T0_E_clISt17integral_constantIbLb0EES11_EEDaSW_SX_EUlSW_E_NS1_11comp_targetILNS1_3genE3ELNS1_11target_archE908ELNS1_3gpuE7ELNS1_3repE0EEENS1_30default_config_static_selectorELNS0_4arch9wavefront6targetE0EEEvT1_.uses_flat_scratch, 0
	.set _ZN7rocprim17ROCPRIM_400000_NS6detail17trampoline_kernelINS0_14default_configENS1_27scan_by_key_config_selectorIitEEZZNS1_16scan_by_key_implILNS1_25lookback_scan_determinismE0ELb0ES3_N6thrust23THRUST_200600_302600_NS6detail15normal_iteratorINS9_10device_ptrIiEEEENSB_INSC_ItEEEESG_tNS9_4plusIvEENS9_8equal_toIvEEtEE10hipError_tPvRmT2_T3_T4_T5_mT6_T7_P12ihipStream_tbENKUlT_T0_E_clISt17integral_constantIbLb0EES11_EEDaSW_SX_EUlSW_E_NS1_11comp_targetILNS1_3genE3ELNS1_11target_archE908ELNS1_3gpuE7ELNS1_3repE0EEENS1_30default_config_static_selectorELNS0_4arch9wavefront6targetE0EEEvT1_.has_dyn_sized_stack, 0
	.set _ZN7rocprim17ROCPRIM_400000_NS6detail17trampoline_kernelINS0_14default_configENS1_27scan_by_key_config_selectorIitEEZZNS1_16scan_by_key_implILNS1_25lookback_scan_determinismE0ELb0ES3_N6thrust23THRUST_200600_302600_NS6detail15normal_iteratorINS9_10device_ptrIiEEEENSB_INSC_ItEEEESG_tNS9_4plusIvEENS9_8equal_toIvEEtEE10hipError_tPvRmT2_T3_T4_T5_mT6_T7_P12ihipStream_tbENKUlT_T0_E_clISt17integral_constantIbLb0EES11_EEDaSW_SX_EUlSW_E_NS1_11comp_targetILNS1_3genE3ELNS1_11target_archE908ELNS1_3gpuE7ELNS1_3repE0EEENS1_30default_config_static_selectorELNS0_4arch9wavefront6targetE0EEEvT1_.has_recursion, 0
	.set _ZN7rocprim17ROCPRIM_400000_NS6detail17trampoline_kernelINS0_14default_configENS1_27scan_by_key_config_selectorIitEEZZNS1_16scan_by_key_implILNS1_25lookback_scan_determinismE0ELb0ES3_N6thrust23THRUST_200600_302600_NS6detail15normal_iteratorINS9_10device_ptrIiEEEENSB_INSC_ItEEEESG_tNS9_4plusIvEENS9_8equal_toIvEEtEE10hipError_tPvRmT2_T3_T4_T5_mT6_T7_P12ihipStream_tbENKUlT_T0_E_clISt17integral_constantIbLb0EES11_EEDaSW_SX_EUlSW_E_NS1_11comp_targetILNS1_3genE3ELNS1_11target_archE908ELNS1_3gpuE7ELNS1_3repE0EEENS1_30default_config_static_selectorELNS0_4arch9wavefront6targetE0EEEvT1_.has_indirect_call, 0
	.section	.AMDGPU.csdata,"",@progbits
; Kernel info:
; codeLenInByte = 0
; TotalNumSgprs: 0
; NumVgprs: 0
; ScratchSize: 0
; MemoryBound: 0
; FloatMode: 240
; IeeeMode: 1
; LDSByteSize: 0 bytes/workgroup (compile time only)
; SGPRBlocks: 0
; VGPRBlocks: 0
; NumSGPRsForWavesPerEU: 1
; NumVGPRsForWavesPerEU: 1
; Occupancy: 16
; WaveLimiterHint : 0
; COMPUTE_PGM_RSRC2:SCRATCH_EN: 0
; COMPUTE_PGM_RSRC2:USER_SGPR: 6
; COMPUTE_PGM_RSRC2:TRAP_HANDLER: 0
; COMPUTE_PGM_RSRC2:TGID_X_EN: 1
; COMPUTE_PGM_RSRC2:TGID_Y_EN: 0
; COMPUTE_PGM_RSRC2:TGID_Z_EN: 0
; COMPUTE_PGM_RSRC2:TIDIG_COMP_CNT: 0
	.section	.text._ZN7rocprim17ROCPRIM_400000_NS6detail17trampoline_kernelINS0_14default_configENS1_27scan_by_key_config_selectorIitEEZZNS1_16scan_by_key_implILNS1_25lookback_scan_determinismE0ELb0ES3_N6thrust23THRUST_200600_302600_NS6detail15normal_iteratorINS9_10device_ptrIiEEEENSB_INSC_ItEEEESG_tNS9_4plusIvEENS9_8equal_toIvEEtEE10hipError_tPvRmT2_T3_T4_T5_mT6_T7_P12ihipStream_tbENKUlT_T0_E_clISt17integral_constantIbLb0EES11_EEDaSW_SX_EUlSW_E_NS1_11comp_targetILNS1_3genE2ELNS1_11target_archE906ELNS1_3gpuE6ELNS1_3repE0EEENS1_30default_config_static_selectorELNS0_4arch9wavefront6targetE0EEEvT1_,"axG",@progbits,_ZN7rocprim17ROCPRIM_400000_NS6detail17trampoline_kernelINS0_14default_configENS1_27scan_by_key_config_selectorIitEEZZNS1_16scan_by_key_implILNS1_25lookback_scan_determinismE0ELb0ES3_N6thrust23THRUST_200600_302600_NS6detail15normal_iteratorINS9_10device_ptrIiEEEENSB_INSC_ItEEEESG_tNS9_4plusIvEENS9_8equal_toIvEEtEE10hipError_tPvRmT2_T3_T4_T5_mT6_T7_P12ihipStream_tbENKUlT_T0_E_clISt17integral_constantIbLb0EES11_EEDaSW_SX_EUlSW_E_NS1_11comp_targetILNS1_3genE2ELNS1_11target_archE906ELNS1_3gpuE6ELNS1_3repE0EEENS1_30default_config_static_selectorELNS0_4arch9wavefront6targetE0EEEvT1_,comdat
	.protected	_ZN7rocprim17ROCPRIM_400000_NS6detail17trampoline_kernelINS0_14default_configENS1_27scan_by_key_config_selectorIitEEZZNS1_16scan_by_key_implILNS1_25lookback_scan_determinismE0ELb0ES3_N6thrust23THRUST_200600_302600_NS6detail15normal_iteratorINS9_10device_ptrIiEEEENSB_INSC_ItEEEESG_tNS9_4plusIvEENS9_8equal_toIvEEtEE10hipError_tPvRmT2_T3_T4_T5_mT6_T7_P12ihipStream_tbENKUlT_T0_E_clISt17integral_constantIbLb0EES11_EEDaSW_SX_EUlSW_E_NS1_11comp_targetILNS1_3genE2ELNS1_11target_archE906ELNS1_3gpuE6ELNS1_3repE0EEENS1_30default_config_static_selectorELNS0_4arch9wavefront6targetE0EEEvT1_ ; -- Begin function _ZN7rocprim17ROCPRIM_400000_NS6detail17trampoline_kernelINS0_14default_configENS1_27scan_by_key_config_selectorIitEEZZNS1_16scan_by_key_implILNS1_25lookback_scan_determinismE0ELb0ES3_N6thrust23THRUST_200600_302600_NS6detail15normal_iteratorINS9_10device_ptrIiEEEENSB_INSC_ItEEEESG_tNS9_4plusIvEENS9_8equal_toIvEEtEE10hipError_tPvRmT2_T3_T4_T5_mT6_T7_P12ihipStream_tbENKUlT_T0_E_clISt17integral_constantIbLb0EES11_EEDaSW_SX_EUlSW_E_NS1_11comp_targetILNS1_3genE2ELNS1_11target_archE906ELNS1_3gpuE6ELNS1_3repE0EEENS1_30default_config_static_selectorELNS0_4arch9wavefront6targetE0EEEvT1_
	.globl	_ZN7rocprim17ROCPRIM_400000_NS6detail17trampoline_kernelINS0_14default_configENS1_27scan_by_key_config_selectorIitEEZZNS1_16scan_by_key_implILNS1_25lookback_scan_determinismE0ELb0ES3_N6thrust23THRUST_200600_302600_NS6detail15normal_iteratorINS9_10device_ptrIiEEEENSB_INSC_ItEEEESG_tNS9_4plusIvEENS9_8equal_toIvEEtEE10hipError_tPvRmT2_T3_T4_T5_mT6_T7_P12ihipStream_tbENKUlT_T0_E_clISt17integral_constantIbLb0EES11_EEDaSW_SX_EUlSW_E_NS1_11comp_targetILNS1_3genE2ELNS1_11target_archE906ELNS1_3gpuE6ELNS1_3repE0EEENS1_30default_config_static_selectorELNS0_4arch9wavefront6targetE0EEEvT1_
	.p2align	8
	.type	_ZN7rocprim17ROCPRIM_400000_NS6detail17trampoline_kernelINS0_14default_configENS1_27scan_by_key_config_selectorIitEEZZNS1_16scan_by_key_implILNS1_25lookback_scan_determinismE0ELb0ES3_N6thrust23THRUST_200600_302600_NS6detail15normal_iteratorINS9_10device_ptrIiEEEENSB_INSC_ItEEEESG_tNS9_4plusIvEENS9_8equal_toIvEEtEE10hipError_tPvRmT2_T3_T4_T5_mT6_T7_P12ihipStream_tbENKUlT_T0_E_clISt17integral_constantIbLb0EES11_EEDaSW_SX_EUlSW_E_NS1_11comp_targetILNS1_3genE2ELNS1_11target_archE906ELNS1_3gpuE6ELNS1_3repE0EEENS1_30default_config_static_selectorELNS0_4arch9wavefront6targetE0EEEvT1_,@function
_ZN7rocprim17ROCPRIM_400000_NS6detail17trampoline_kernelINS0_14default_configENS1_27scan_by_key_config_selectorIitEEZZNS1_16scan_by_key_implILNS1_25lookback_scan_determinismE0ELb0ES3_N6thrust23THRUST_200600_302600_NS6detail15normal_iteratorINS9_10device_ptrIiEEEENSB_INSC_ItEEEESG_tNS9_4plusIvEENS9_8equal_toIvEEtEE10hipError_tPvRmT2_T3_T4_T5_mT6_T7_P12ihipStream_tbENKUlT_T0_E_clISt17integral_constantIbLb0EES11_EEDaSW_SX_EUlSW_E_NS1_11comp_targetILNS1_3genE2ELNS1_11target_archE906ELNS1_3gpuE6ELNS1_3repE0EEENS1_30default_config_static_selectorELNS0_4arch9wavefront6targetE0EEEvT1_: ; @_ZN7rocprim17ROCPRIM_400000_NS6detail17trampoline_kernelINS0_14default_configENS1_27scan_by_key_config_selectorIitEEZZNS1_16scan_by_key_implILNS1_25lookback_scan_determinismE0ELb0ES3_N6thrust23THRUST_200600_302600_NS6detail15normal_iteratorINS9_10device_ptrIiEEEENSB_INSC_ItEEEESG_tNS9_4plusIvEENS9_8equal_toIvEEtEE10hipError_tPvRmT2_T3_T4_T5_mT6_T7_P12ihipStream_tbENKUlT_T0_E_clISt17integral_constantIbLb0EES11_EEDaSW_SX_EUlSW_E_NS1_11comp_targetILNS1_3genE2ELNS1_11target_archE906ELNS1_3gpuE6ELNS1_3repE0EEENS1_30default_config_static_selectorELNS0_4arch9wavefront6targetE0EEEvT1_
; %bb.0:
	.section	.rodata,"a",@progbits
	.p2align	6, 0x0
	.amdhsa_kernel _ZN7rocprim17ROCPRIM_400000_NS6detail17trampoline_kernelINS0_14default_configENS1_27scan_by_key_config_selectorIitEEZZNS1_16scan_by_key_implILNS1_25lookback_scan_determinismE0ELb0ES3_N6thrust23THRUST_200600_302600_NS6detail15normal_iteratorINS9_10device_ptrIiEEEENSB_INSC_ItEEEESG_tNS9_4plusIvEENS9_8equal_toIvEEtEE10hipError_tPvRmT2_T3_T4_T5_mT6_T7_P12ihipStream_tbENKUlT_T0_E_clISt17integral_constantIbLb0EES11_EEDaSW_SX_EUlSW_E_NS1_11comp_targetILNS1_3genE2ELNS1_11target_archE906ELNS1_3gpuE6ELNS1_3repE0EEENS1_30default_config_static_selectorELNS0_4arch9wavefront6targetE0EEEvT1_
		.amdhsa_group_segment_fixed_size 0
		.amdhsa_private_segment_fixed_size 0
		.amdhsa_kernarg_size 112
		.amdhsa_user_sgpr_count 6
		.amdhsa_user_sgpr_private_segment_buffer 1
		.amdhsa_user_sgpr_dispatch_ptr 0
		.amdhsa_user_sgpr_queue_ptr 0
		.amdhsa_user_sgpr_kernarg_segment_ptr 1
		.amdhsa_user_sgpr_dispatch_id 0
		.amdhsa_user_sgpr_flat_scratch_init 0
		.amdhsa_user_sgpr_private_segment_size 0
		.amdhsa_wavefront_size32 1
		.amdhsa_uses_dynamic_stack 0
		.amdhsa_system_sgpr_private_segment_wavefront_offset 0
		.amdhsa_system_sgpr_workgroup_id_x 1
		.amdhsa_system_sgpr_workgroup_id_y 0
		.amdhsa_system_sgpr_workgroup_id_z 0
		.amdhsa_system_sgpr_workgroup_info 0
		.amdhsa_system_vgpr_workitem_id 0
		.amdhsa_next_free_vgpr 1
		.amdhsa_next_free_sgpr 1
		.amdhsa_reserve_vcc 0
		.amdhsa_reserve_flat_scratch 0
		.amdhsa_float_round_mode_32 0
		.amdhsa_float_round_mode_16_64 0
		.amdhsa_float_denorm_mode_32 3
		.amdhsa_float_denorm_mode_16_64 3
		.amdhsa_dx10_clamp 1
		.amdhsa_ieee_mode 1
		.amdhsa_fp16_overflow 0
		.amdhsa_workgroup_processor_mode 1
		.amdhsa_memory_ordered 1
		.amdhsa_forward_progress 1
		.amdhsa_shared_vgpr_count 0
		.amdhsa_exception_fp_ieee_invalid_op 0
		.amdhsa_exception_fp_denorm_src 0
		.amdhsa_exception_fp_ieee_div_zero 0
		.amdhsa_exception_fp_ieee_overflow 0
		.amdhsa_exception_fp_ieee_underflow 0
		.amdhsa_exception_fp_ieee_inexact 0
		.amdhsa_exception_int_div_zero 0
	.end_amdhsa_kernel
	.section	.text._ZN7rocprim17ROCPRIM_400000_NS6detail17trampoline_kernelINS0_14default_configENS1_27scan_by_key_config_selectorIitEEZZNS1_16scan_by_key_implILNS1_25lookback_scan_determinismE0ELb0ES3_N6thrust23THRUST_200600_302600_NS6detail15normal_iteratorINS9_10device_ptrIiEEEENSB_INSC_ItEEEESG_tNS9_4plusIvEENS9_8equal_toIvEEtEE10hipError_tPvRmT2_T3_T4_T5_mT6_T7_P12ihipStream_tbENKUlT_T0_E_clISt17integral_constantIbLb0EES11_EEDaSW_SX_EUlSW_E_NS1_11comp_targetILNS1_3genE2ELNS1_11target_archE906ELNS1_3gpuE6ELNS1_3repE0EEENS1_30default_config_static_selectorELNS0_4arch9wavefront6targetE0EEEvT1_,"axG",@progbits,_ZN7rocprim17ROCPRIM_400000_NS6detail17trampoline_kernelINS0_14default_configENS1_27scan_by_key_config_selectorIitEEZZNS1_16scan_by_key_implILNS1_25lookback_scan_determinismE0ELb0ES3_N6thrust23THRUST_200600_302600_NS6detail15normal_iteratorINS9_10device_ptrIiEEEENSB_INSC_ItEEEESG_tNS9_4plusIvEENS9_8equal_toIvEEtEE10hipError_tPvRmT2_T3_T4_T5_mT6_T7_P12ihipStream_tbENKUlT_T0_E_clISt17integral_constantIbLb0EES11_EEDaSW_SX_EUlSW_E_NS1_11comp_targetILNS1_3genE2ELNS1_11target_archE906ELNS1_3gpuE6ELNS1_3repE0EEENS1_30default_config_static_selectorELNS0_4arch9wavefront6targetE0EEEvT1_,comdat
.Lfunc_end1272:
	.size	_ZN7rocprim17ROCPRIM_400000_NS6detail17trampoline_kernelINS0_14default_configENS1_27scan_by_key_config_selectorIitEEZZNS1_16scan_by_key_implILNS1_25lookback_scan_determinismE0ELb0ES3_N6thrust23THRUST_200600_302600_NS6detail15normal_iteratorINS9_10device_ptrIiEEEENSB_INSC_ItEEEESG_tNS9_4plusIvEENS9_8equal_toIvEEtEE10hipError_tPvRmT2_T3_T4_T5_mT6_T7_P12ihipStream_tbENKUlT_T0_E_clISt17integral_constantIbLb0EES11_EEDaSW_SX_EUlSW_E_NS1_11comp_targetILNS1_3genE2ELNS1_11target_archE906ELNS1_3gpuE6ELNS1_3repE0EEENS1_30default_config_static_selectorELNS0_4arch9wavefront6targetE0EEEvT1_, .Lfunc_end1272-_ZN7rocprim17ROCPRIM_400000_NS6detail17trampoline_kernelINS0_14default_configENS1_27scan_by_key_config_selectorIitEEZZNS1_16scan_by_key_implILNS1_25lookback_scan_determinismE0ELb0ES3_N6thrust23THRUST_200600_302600_NS6detail15normal_iteratorINS9_10device_ptrIiEEEENSB_INSC_ItEEEESG_tNS9_4plusIvEENS9_8equal_toIvEEtEE10hipError_tPvRmT2_T3_T4_T5_mT6_T7_P12ihipStream_tbENKUlT_T0_E_clISt17integral_constantIbLb0EES11_EEDaSW_SX_EUlSW_E_NS1_11comp_targetILNS1_3genE2ELNS1_11target_archE906ELNS1_3gpuE6ELNS1_3repE0EEENS1_30default_config_static_selectorELNS0_4arch9wavefront6targetE0EEEvT1_
                                        ; -- End function
	.set _ZN7rocprim17ROCPRIM_400000_NS6detail17trampoline_kernelINS0_14default_configENS1_27scan_by_key_config_selectorIitEEZZNS1_16scan_by_key_implILNS1_25lookback_scan_determinismE0ELb0ES3_N6thrust23THRUST_200600_302600_NS6detail15normal_iteratorINS9_10device_ptrIiEEEENSB_INSC_ItEEEESG_tNS9_4plusIvEENS9_8equal_toIvEEtEE10hipError_tPvRmT2_T3_T4_T5_mT6_T7_P12ihipStream_tbENKUlT_T0_E_clISt17integral_constantIbLb0EES11_EEDaSW_SX_EUlSW_E_NS1_11comp_targetILNS1_3genE2ELNS1_11target_archE906ELNS1_3gpuE6ELNS1_3repE0EEENS1_30default_config_static_selectorELNS0_4arch9wavefront6targetE0EEEvT1_.num_vgpr, 0
	.set _ZN7rocprim17ROCPRIM_400000_NS6detail17trampoline_kernelINS0_14default_configENS1_27scan_by_key_config_selectorIitEEZZNS1_16scan_by_key_implILNS1_25lookback_scan_determinismE0ELb0ES3_N6thrust23THRUST_200600_302600_NS6detail15normal_iteratorINS9_10device_ptrIiEEEENSB_INSC_ItEEEESG_tNS9_4plusIvEENS9_8equal_toIvEEtEE10hipError_tPvRmT2_T3_T4_T5_mT6_T7_P12ihipStream_tbENKUlT_T0_E_clISt17integral_constantIbLb0EES11_EEDaSW_SX_EUlSW_E_NS1_11comp_targetILNS1_3genE2ELNS1_11target_archE906ELNS1_3gpuE6ELNS1_3repE0EEENS1_30default_config_static_selectorELNS0_4arch9wavefront6targetE0EEEvT1_.num_agpr, 0
	.set _ZN7rocprim17ROCPRIM_400000_NS6detail17trampoline_kernelINS0_14default_configENS1_27scan_by_key_config_selectorIitEEZZNS1_16scan_by_key_implILNS1_25lookback_scan_determinismE0ELb0ES3_N6thrust23THRUST_200600_302600_NS6detail15normal_iteratorINS9_10device_ptrIiEEEENSB_INSC_ItEEEESG_tNS9_4plusIvEENS9_8equal_toIvEEtEE10hipError_tPvRmT2_T3_T4_T5_mT6_T7_P12ihipStream_tbENKUlT_T0_E_clISt17integral_constantIbLb0EES11_EEDaSW_SX_EUlSW_E_NS1_11comp_targetILNS1_3genE2ELNS1_11target_archE906ELNS1_3gpuE6ELNS1_3repE0EEENS1_30default_config_static_selectorELNS0_4arch9wavefront6targetE0EEEvT1_.numbered_sgpr, 0
	.set _ZN7rocprim17ROCPRIM_400000_NS6detail17trampoline_kernelINS0_14default_configENS1_27scan_by_key_config_selectorIitEEZZNS1_16scan_by_key_implILNS1_25lookback_scan_determinismE0ELb0ES3_N6thrust23THRUST_200600_302600_NS6detail15normal_iteratorINS9_10device_ptrIiEEEENSB_INSC_ItEEEESG_tNS9_4plusIvEENS9_8equal_toIvEEtEE10hipError_tPvRmT2_T3_T4_T5_mT6_T7_P12ihipStream_tbENKUlT_T0_E_clISt17integral_constantIbLb0EES11_EEDaSW_SX_EUlSW_E_NS1_11comp_targetILNS1_3genE2ELNS1_11target_archE906ELNS1_3gpuE6ELNS1_3repE0EEENS1_30default_config_static_selectorELNS0_4arch9wavefront6targetE0EEEvT1_.num_named_barrier, 0
	.set _ZN7rocprim17ROCPRIM_400000_NS6detail17trampoline_kernelINS0_14default_configENS1_27scan_by_key_config_selectorIitEEZZNS1_16scan_by_key_implILNS1_25lookback_scan_determinismE0ELb0ES3_N6thrust23THRUST_200600_302600_NS6detail15normal_iteratorINS9_10device_ptrIiEEEENSB_INSC_ItEEEESG_tNS9_4plusIvEENS9_8equal_toIvEEtEE10hipError_tPvRmT2_T3_T4_T5_mT6_T7_P12ihipStream_tbENKUlT_T0_E_clISt17integral_constantIbLb0EES11_EEDaSW_SX_EUlSW_E_NS1_11comp_targetILNS1_3genE2ELNS1_11target_archE906ELNS1_3gpuE6ELNS1_3repE0EEENS1_30default_config_static_selectorELNS0_4arch9wavefront6targetE0EEEvT1_.private_seg_size, 0
	.set _ZN7rocprim17ROCPRIM_400000_NS6detail17trampoline_kernelINS0_14default_configENS1_27scan_by_key_config_selectorIitEEZZNS1_16scan_by_key_implILNS1_25lookback_scan_determinismE0ELb0ES3_N6thrust23THRUST_200600_302600_NS6detail15normal_iteratorINS9_10device_ptrIiEEEENSB_INSC_ItEEEESG_tNS9_4plusIvEENS9_8equal_toIvEEtEE10hipError_tPvRmT2_T3_T4_T5_mT6_T7_P12ihipStream_tbENKUlT_T0_E_clISt17integral_constantIbLb0EES11_EEDaSW_SX_EUlSW_E_NS1_11comp_targetILNS1_3genE2ELNS1_11target_archE906ELNS1_3gpuE6ELNS1_3repE0EEENS1_30default_config_static_selectorELNS0_4arch9wavefront6targetE0EEEvT1_.uses_vcc, 0
	.set _ZN7rocprim17ROCPRIM_400000_NS6detail17trampoline_kernelINS0_14default_configENS1_27scan_by_key_config_selectorIitEEZZNS1_16scan_by_key_implILNS1_25lookback_scan_determinismE0ELb0ES3_N6thrust23THRUST_200600_302600_NS6detail15normal_iteratorINS9_10device_ptrIiEEEENSB_INSC_ItEEEESG_tNS9_4plusIvEENS9_8equal_toIvEEtEE10hipError_tPvRmT2_T3_T4_T5_mT6_T7_P12ihipStream_tbENKUlT_T0_E_clISt17integral_constantIbLb0EES11_EEDaSW_SX_EUlSW_E_NS1_11comp_targetILNS1_3genE2ELNS1_11target_archE906ELNS1_3gpuE6ELNS1_3repE0EEENS1_30default_config_static_selectorELNS0_4arch9wavefront6targetE0EEEvT1_.uses_flat_scratch, 0
	.set _ZN7rocprim17ROCPRIM_400000_NS6detail17trampoline_kernelINS0_14default_configENS1_27scan_by_key_config_selectorIitEEZZNS1_16scan_by_key_implILNS1_25lookback_scan_determinismE0ELb0ES3_N6thrust23THRUST_200600_302600_NS6detail15normal_iteratorINS9_10device_ptrIiEEEENSB_INSC_ItEEEESG_tNS9_4plusIvEENS9_8equal_toIvEEtEE10hipError_tPvRmT2_T3_T4_T5_mT6_T7_P12ihipStream_tbENKUlT_T0_E_clISt17integral_constantIbLb0EES11_EEDaSW_SX_EUlSW_E_NS1_11comp_targetILNS1_3genE2ELNS1_11target_archE906ELNS1_3gpuE6ELNS1_3repE0EEENS1_30default_config_static_selectorELNS0_4arch9wavefront6targetE0EEEvT1_.has_dyn_sized_stack, 0
	.set _ZN7rocprim17ROCPRIM_400000_NS6detail17trampoline_kernelINS0_14default_configENS1_27scan_by_key_config_selectorIitEEZZNS1_16scan_by_key_implILNS1_25lookback_scan_determinismE0ELb0ES3_N6thrust23THRUST_200600_302600_NS6detail15normal_iteratorINS9_10device_ptrIiEEEENSB_INSC_ItEEEESG_tNS9_4plusIvEENS9_8equal_toIvEEtEE10hipError_tPvRmT2_T3_T4_T5_mT6_T7_P12ihipStream_tbENKUlT_T0_E_clISt17integral_constantIbLb0EES11_EEDaSW_SX_EUlSW_E_NS1_11comp_targetILNS1_3genE2ELNS1_11target_archE906ELNS1_3gpuE6ELNS1_3repE0EEENS1_30default_config_static_selectorELNS0_4arch9wavefront6targetE0EEEvT1_.has_recursion, 0
	.set _ZN7rocprim17ROCPRIM_400000_NS6detail17trampoline_kernelINS0_14default_configENS1_27scan_by_key_config_selectorIitEEZZNS1_16scan_by_key_implILNS1_25lookback_scan_determinismE0ELb0ES3_N6thrust23THRUST_200600_302600_NS6detail15normal_iteratorINS9_10device_ptrIiEEEENSB_INSC_ItEEEESG_tNS9_4plusIvEENS9_8equal_toIvEEtEE10hipError_tPvRmT2_T3_T4_T5_mT6_T7_P12ihipStream_tbENKUlT_T0_E_clISt17integral_constantIbLb0EES11_EEDaSW_SX_EUlSW_E_NS1_11comp_targetILNS1_3genE2ELNS1_11target_archE906ELNS1_3gpuE6ELNS1_3repE0EEENS1_30default_config_static_selectorELNS0_4arch9wavefront6targetE0EEEvT1_.has_indirect_call, 0
	.section	.AMDGPU.csdata,"",@progbits
; Kernel info:
; codeLenInByte = 0
; TotalNumSgprs: 0
; NumVgprs: 0
; ScratchSize: 0
; MemoryBound: 0
; FloatMode: 240
; IeeeMode: 1
; LDSByteSize: 0 bytes/workgroup (compile time only)
; SGPRBlocks: 0
; VGPRBlocks: 0
; NumSGPRsForWavesPerEU: 1
; NumVGPRsForWavesPerEU: 1
; Occupancy: 16
; WaveLimiterHint : 0
; COMPUTE_PGM_RSRC2:SCRATCH_EN: 0
; COMPUTE_PGM_RSRC2:USER_SGPR: 6
; COMPUTE_PGM_RSRC2:TRAP_HANDLER: 0
; COMPUTE_PGM_RSRC2:TGID_X_EN: 1
; COMPUTE_PGM_RSRC2:TGID_Y_EN: 0
; COMPUTE_PGM_RSRC2:TGID_Z_EN: 0
; COMPUTE_PGM_RSRC2:TIDIG_COMP_CNT: 0
	.section	.text._ZN7rocprim17ROCPRIM_400000_NS6detail17trampoline_kernelINS0_14default_configENS1_27scan_by_key_config_selectorIitEEZZNS1_16scan_by_key_implILNS1_25lookback_scan_determinismE0ELb0ES3_N6thrust23THRUST_200600_302600_NS6detail15normal_iteratorINS9_10device_ptrIiEEEENSB_INSC_ItEEEESG_tNS9_4plusIvEENS9_8equal_toIvEEtEE10hipError_tPvRmT2_T3_T4_T5_mT6_T7_P12ihipStream_tbENKUlT_T0_E_clISt17integral_constantIbLb0EES11_EEDaSW_SX_EUlSW_E_NS1_11comp_targetILNS1_3genE10ELNS1_11target_archE1200ELNS1_3gpuE4ELNS1_3repE0EEENS1_30default_config_static_selectorELNS0_4arch9wavefront6targetE0EEEvT1_,"axG",@progbits,_ZN7rocprim17ROCPRIM_400000_NS6detail17trampoline_kernelINS0_14default_configENS1_27scan_by_key_config_selectorIitEEZZNS1_16scan_by_key_implILNS1_25lookback_scan_determinismE0ELb0ES3_N6thrust23THRUST_200600_302600_NS6detail15normal_iteratorINS9_10device_ptrIiEEEENSB_INSC_ItEEEESG_tNS9_4plusIvEENS9_8equal_toIvEEtEE10hipError_tPvRmT2_T3_T4_T5_mT6_T7_P12ihipStream_tbENKUlT_T0_E_clISt17integral_constantIbLb0EES11_EEDaSW_SX_EUlSW_E_NS1_11comp_targetILNS1_3genE10ELNS1_11target_archE1200ELNS1_3gpuE4ELNS1_3repE0EEENS1_30default_config_static_selectorELNS0_4arch9wavefront6targetE0EEEvT1_,comdat
	.protected	_ZN7rocprim17ROCPRIM_400000_NS6detail17trampoline_kernelINS0_14default_configENS1_27scan_by_key_config_selectorIitEEZZNS1_16scan_by_key_implILNS1_25lookback_scan_determinismE0ELb0ES3_N6thrust23THRUST_200600_302600_NS6detail15normal_iteratorINS9_10device_ptrIiEEEENSB_INSC_ItEEEESG_tNS9_4plusIvEENS9_8equal_toIvEEtEE10hipError_tPvRmT2_T3_T4_T5_mT6_T7_P12ihipStream_tbENKUlT_T0_E_clISt17integral_constantIbLb0EES11_EEDaSW_SX_EUlSW_E_NS1_11comp_targetILNS1_3genE10ELNS1_11target_archE1200ELNS1_3gpuE4ELNS1_3repE0EEENS1_30default_config_static_selectorELNS0_4arch9wavefront6targetE0EEEvT1_ ; -- Begin function _ZN7rocprim17ROCPRIM_400000_NS6detail17trampoline_kernelINS0_14default_configENS1_27scan_by_key_config_selectorIitEEZZNS1_16scan_by_key_implILNS1_25lookback_scan_determinismE0ELb0ES3_N6thrust23THRUST_200600_302600_NS6detail15normal_iteratorINS9_10device_ptrIiEEEENSB_INSC_ItEEEESG_tNS9_4plusIvEENS9_8equal_toIvEEtEE10hipError_tPvRmT2_T3_T4_T5_mT6_T7_P12ihipStream_tbENKUlT_T0_E_clISt17integral_constantIbLb0EES11_EEDaSW_SX_EUlSW_E_NS1_11comp_targetILNS1_3genE10ELNS1_11target_archE1200ELNS1_3gpuE4ELNS1_3repE0EEENS1_30default_config_static_selectorELNS0_4arch9wavefront6targetE0EEEvT1_
	.globl	_ZN7rocprim17ROCPRIM_400000_NS6detail17trampoline_kernelINS0_14default_configENS1_27scan_by_key_config_selectorIitEEZZNS1_16scan_by_key_implILNS1_25lookback_scan_determinismE0ELb0ES3_N6thrust23THRUST_200600_302600_NS6detail15normal_iteratorINS9_10device_ptrIiEEEENSB_INSC_ItEEEESG_tNS9_4plusIvEENS9_8equal_toIvEEtEE10hipError_tPvRmT2_T3_T4_T5_mT6_T7_P12ihipStream_tbENKUlT_T0_E_clISt17integral_constantIbLb0EES11_EEDaSW_SX_EUlSW_E_NS1_11comp_targetILNS1_3genE10ELNS1_11target_archE1200ELNS1_3gpuE4ELNS1_3repE0EEENS1_30default_config_static_selectorELNS0_4arch9wavefront6targetE0EEEvT1_
	.p2align	8
	.type	_ZN7rocprim17ROCPRIM_400000_NS6detail17trampoline_kernelINS0_14default_configENS1_27scan_by_key_config_selectorIitEEZZNS1_16scan_by_key_implILNS1_25lookback_scan_determinismE0ELb0ES3_N6thrust23THRUST_200600_302600_NS6detail15normal_iteratorINS9_10device_ptrIiEEEENSB_INSC_ItEEEESG_tNS9_4plusIvEENS9_8equal_toIvEEtEE10hipError_tPvRmT2_T3_T4_T5_mT6_T7_P12ihipStream_tbENKUlT_T0_E_clISt17integral_constantIbLb0EES11_EEDaSW_SX_EUlSW_E_NS1_11comp_targetILNS1_3genE10ELNS1_11target_archE1200ELNS1_3gpuE4ELNS1_3repE0EEENS1_30default_config_static_selectorELNS0_4arch9wavefront6targetE0EEEvT1_,@function
_ZN7rocprim17ROCPRIM_400000_NS6detail17trampoline_kernelINS0_14default_configENS1_27scan_by_key_config_selectorIitEEZZNS1_16scan_by_key_implILNS1_25lookback_scan_determinismE0ELb0ES3_N6thrust23THRUST_200600_302600_NS6detail15normal_iteratorINS9_10device_ptrIiEEEENSB_INSC_ItEEEESG_tNS9_4plusIvEENS9_8equal_toIvEEtEE10hipError_tPvRmT2_T3_T4_T5_mT6_T7_P12ihipStream_tbENKUlT_T0_E_clISt17integral_constantIbLb0EES11_EEDaSW_SX_EUlSW_E_NS1_11comp_targetILNS1_3genE10ELNS1_11target_archE1200ELNS1_3gpuE4ELNS1_3repE0EEENS1_30default_config_static_selectorELNS0_4arch9wavefront6targetE0EEEvT1_: ; @_ZN7rocprim17ROCPRIM_400000_NS6detail17trampoline_kernelINS0_14default_configENS1_27scan_by_key_config_selectorIitEEZZNS1_16scan_by_key_implILNS1_25lookback_scan_determinismE0ELb0ES3_N6thrust23THRUST_200600_302600_NS6detail15normal_iteratorINS9_10device_ptrIiEEEENSB_INSC_ItEEEESG_tNS9_4plusIvEENS9_8equal_toIvEEtEE10hipError_tPvRmT2_T3_T4_T5_mT6_T7_P12ihipStream_tbENKUlT_T0_E_clISt17integral_constantIbLb0EES11_EEDaSW_SX_EUlSW_E_NS1_11comp_targetILNS1_3genE10ELNS1_11target_archE1200ELNS1_3gpuE4ELNS1_3repE0EEENS1_30default_config_static_selectorELNS0_4arch9wavefront6targetE0EEEvT1_
; %bb.0:
	.section	.rodata,"a",@progbits
	.p2align	6, 0x0
	.amdhsa_kernel _ZN7rocprim17ROCPRIM_400000_NS6detail17trampoline_kernelINS0_14default_configENS1_27scan_by_key_config_selectorIitEEZZNS1_16scan_by_key_implILNS1_25lookback_scan_determinismE0ELb0ES3_N6thrust23THRUST_200600_302600_NS6detail15normal_iteratorINS9_10device_ptrIiEEEENSB_INSC_ItEEEESG_tNS9_4plusIvEENS9_8equal_toIvEEtEE10hipError_tPvRmT2_T3_T4_T5_mT6_T7_P12ihipStream_tbENKUlT_T0_E_clISt17integral_constantIbLb0EES11_EEDaSW_SX_EUlSW_E_NS1_11comp_targetILNS1_3genE10ELNS1_11target_archE1200ELNS1_3gpuE4ELNS1_3repE0EEENS1_30default_config_static_selectorELNS0_4arch9wavefront6targetE0EEEvT1_
		.amdhsa_group_segment_fixed_size 0
		.amdhsa_private_segment_fixed_size 0
		.amdhsa_kernarg_size 112
		.amdhsa_user_sgpr_count 6
		.amdhsa_user_sgpr_private_segment_buffer 1
		.amdhsa_user_sgpr_dispatch_ptr 0
		.amdhsa_user_sgpr_queue_ptr 0
		.amdhsa_user_sgpr_kernarg_segment_ptr 1
		.amdhsa_user_sgpr_dispatch_id 0
		.amdhsa_user_sgpr_flat_scratch_init 0
		.amdhsa_user_sgpr_private_segment_size 0
		.amdhsa_wavefront_size32 1
		.amdhsa_uses_dynamic_stack 0
		.amdhsa_system_sgpr_private_segment_wavefront_offset 0
		.amdhsa_system_sgpr_workgroup_id_x 1
		.amdhsa_system_sgpr_workgroup_id_y 0
		.amdhsa_system_sgpr_workgroup_id_z 0
		.amdhsa_system_sgpr_workgroup_info 0
		.amdhsa_system_vgpr_workitem_id 0
		.amdhsa_next_free_vgpr 1
		.amdhsa_next_free_sgpr 1
		.amdhsa_reserve_vcc 0
		.amdhsa_reserve_flat_scratch 0
		.amdhsa_float_round_mode_32 0
		.amdhsa_float_round_mode_16_64 0
		.amdhsa_float_denorm_mode_32 3
		.amdhsa_float_denorm_mode_16_64 3
		.amdhsa_dx10_clamp 1
		.amdhsa_ieee_mode 1
		.amdhsa_fp16_overflow 0
		.amdhsa_workgroup_processor_mode 1
		.amdhsa_memory_ordered 1
		.amdhsa_forward_progress 1
		.amdhsa_shared_vgpr_count 0
		.amdhsa_exception_fp_ieee_invalid_op 0
		.amdhsa_exception_fp_denorm_src 0
		.amdhsa_exception_fp_ieee_div_zero 0
		.amdhsa_exception_fp_ieee_overflow 0
		.amdhsa_exception_fp_ieee_underflow 0
		.amdhsa_exception_fp_ieee_inexact 0
		.amdhsa_exception_int_div_zero 0
	.end_amdhsa_kernel
	.section	.text._ZN7rocprim17ROCPRIM_400000_NS6detail17trampoline_kernelINS0_14default_configENS1_27scan_by_key_config_selectorIitEEZZNS1_16scan_by_key_implILNS1_25lookback_scan_determinismE0ELb0ES3_N6thrust23THRUST_200600_302600_NS6detail15normal_iteratorINS9_10device_ptrIiEEEENSB_INSC_ItEEEESG_tNS9_4plusIvEENS9_8equal_toIvEEtEE10hipError_tPvRmT2_T3_T4_T5_mT6_T7_P12ihipStream_tbENKUlT_T0_E_clISt17integral_constantIbLb0EES11_EEDaSW_SX_EUlSW_E_NS1_11comp_targetILNS1_3genE10ELNS1_11target_archE1200ELNS1_3gpuE4ELNS1_3repE0EEENS1_30default_config_static_selectorELNS0_4arch9wavefront6targetE0EEEvT1_,"axG",@progbits,_ZN7rocprim17ROCPRIM_400000_NS6detail17trampoline_kernelINS0_14default_configENS1_27scan_by_key_config_selectorIitEEZZNS1_16scan_by_key_implILNS1_25lookback_scan_determinismE0ELb0ES3_N6thrust23THRUST_200600_302600_NS6detail15normal_iteratorINS9_10device_ptrIiEEEENSB_INSC_ItEEEESG_tNS9_4plusIvEENS9_8equal_toIvEEtEE10hipError_tPvRmT2_T3_T4_T5_mT6_T7_P12ihipStream_tbENKUlT_T0_E_clISt17integral_constantIbLb0EES11_EEDaSW_SX_EUlSW_E_NS1_11comp_targetILNS1_3genE10ELNS1_11target_archE1200ELNS1_3gpuE4ELNS1_3repE0EEENS1_30default_config_static_selectorELNS0_4arch9wavefront6targetE0EEEvT1_,comdat
.Lfunc_end1273:
	.size	_ZN7rocprim17ROCPRIM_400000_NS6detail17trampoline_kernelINS0_14default_configENS1_27scan_by_key_config_selectorIitEEZZNS1_16scan_by_key_implILNS1_25lookback_scan_determinismE0ELb0ES3_N6thrust23THRUST_200600_302600_NS6detail15normal_iteratorINS9_10device_ptrIiEEEENSB_INSC_ItEEEESG_tNS9_4plusIvEENS9_8equal_toIvEEtEE10hipError_tPvRmT2_T3_T4_T5_mT6_T7_P12ihipStream_tbENKUlT_T0_E_clISt17integral_constantIbLb0EES11_EEDaSW_SX_EUlSW_E_NS1_11comp_targetILNS1_3genE10ELNS1_11target_archE1200ELNS1_3gpuE4ELNS1_3repE0EEENS1_30default_config_static_selectorELNS0_4arch9wavefront6targetE0EEEvT1_, .Lfunc_end1273-_ZN7rocprim17ROCPRIM_400000_NS6detail17trampoline_kernelINS0_14default_configENS1_27scan_by_key_config_selectorIitEEZZNS1_16scan_by_key_implILNS1_25lookback_scan_determinismE0ELb0ES3_N6thrust23THRUST_200600_302600_NS6detail15normal_iteratorINS9_10device_ptrIiEEEENSB_INSC_ItEEEESG_tNS9_4plusIvEENS9_8equal_toIvEEtEE10hipError_tPvRmT2_T3_T4_T5_mT6_T7_P12ihipStream_tbENKUlT_T0_E_clISt17integral_constantIbLb0EES11_EEDaSW_SX_EUlSW_E_NS1_11comp_targetILNS1_3genE10ELNS1_11target_archE1200ELNS1_3gpuE4ELNS1_3repE0EEENS1_30default_config_static_selectorELNS0_4arch9wavefront6targetE0EEEvT1_
                                        ; -- End function
	.set _ZN7rocprim17ROCPRIM_400000_NS6detail17trampoline_kernelINS0_14default_configENS1_27scan_by_key_config_selectorIitEEZZNS1_16scan_by_key_implILNS1_25lookback_scan_determinismE0ELb0ES3_N6thrust23THRUST_200600_302600_NS6detail15normal_iteratorINS9_10device_ptrIiEEEENSB_INSC_ItEEEESG_tNS9_4plusIvEENS9_8equal_toIvEEtEE10hipError_tPvRmT2_T3_T4_T5_mT6_T7_P12ihipStream_tbENKUlT_T0_E_clISt17integral_constantIbLb0EES11_EEDaSW_SX_EUlSW_E_NS1_11comp_targetILNS1_3genE10ELNS1_11target_archE1200ELNS1_3gpuE4ELNS1_3repE0EEENS1_30default_config_static_selectorELNS0_4arch9wavefront6targetE0EEEvT1_.num_vgpr, 0
	.set _ZN7rocprim17ROCPRIM_400000_NS6detail17trampoline_kernelINS0_14default_configENS1_27scan_by_key_config_selectorIitEEZZNS1_16scan_by_key_implILNS1_25lookback_scan_determinismE0ELb0ES3_N6thrust23THRUST_200600_302600_NS6detail15normal_iteratorINS9_10device_ptrIiEEEENSB_INSC_ItEEEESG_tNS9_4plusIvEENS9_8equal_toIvEEtEE10hipError_tPvRmT2_T3_T4_T5_mT6_T7_P12ihipStream_tbENKUlT_T0_E_clISt17integral_constantIbLb0EES11_EEDaSW_SX_EUlSW_E_NS1_11comp_targetILNS1_3genE10ELNS1_11target_archE1200ELNS1_3gpuE4ELNS1_3repE0EEENS1_30default_config_static_selectorELNS0_4arch9wavefront6targetE0EEEvT1_.num_agpr, 0
	.set _ZN7rocprim17ROCPRIM_400000_NS6detail17trampoline_kernelINS0_14default_configENS1_27scan_by_key_config_selectorIitEEZZNS1_16scan_by_key_implILNS1_25lookback_scan_determinismE0ELb0ES3_N6thrust23THRUST_200600_302600_NS6detail15normal_iteratorINS9_10device_ptrIiEEEENSB_INSC_ItEEEESG_tNS9_4plusIvEENS9_8equal_toIvEEtEE10hipError_tPvRmT2_T3_T4_T5_mT6_T7_P12ihipStream_tbENKUlT_T0_E_clISt17integral_constantIbLb0EES11_EEDaSW_SX_EUlSW_E_NS1_11comp_targetILNS1_3genE10ELNS1_11target_archE1200ELNS1_3gpuE4ELNS1_3repE0EEENS1_30default_config_static_selectorELNS0_4arch9wavefront6targetE0EEEvT1_.numbered_sgpr, 0
	.set _ZN7rocprim17ROCPRIM_400000_NS6detail17trampoline_kernelINS0_14default_configENS1_27scan_by_key_config_selectorIitEEZZNS1_16scan_by_key_implILNS1_25lookback_scan_determinismE0ELb0ES3_N6thrust23THRUST_200600_302600_NS6detail15normal_iteratorINS9_10device_ptrIiEEEENSB_INSC_ItEEEESG_tNS9_4plusIvEENS9_8equal_toIvEEtEE10hipError_tPvRmT2_T3_T4_T5_mT6_T7_P12ihipStream_tbENKUlT_T0_E_clISt17integral_constantIbLb0EES11_EEDaSW_SX_EUlSW_E_NS1_11comp_targetILNS1_3genE10ELNS1_11target_archE1200ELNS1_3gpuE4ELNS1_3repE0EEENS1_30default_config_static_selectorELNS0_4arch9wavefront6targetE0EEEvT1_.num_named_barrier, 0
	.set _ZN7rocprim17ROCPRIM_400000_NS6detail17trampoline_kernelINS0_14default_configENS1_27scan_by_key_config_selectorIitEEZZNS1_16scan_by_key_implILNS1_25lookback_scan_determinismE0ELb0ES3_N6thrust23THRUST_200600_302600_NS6detail15normal_iteratorINS9_10device_ptrIiEEEENSB_INSC_ItEEEESG_tNS9_4plusIvEENS9_8equal_toIvEEtEE10hipError_tPvRmT2_T3_T4_T5_mT6_T7_P12ihipStream_tbENKUlT_T0_E_clISt17integral_constantIbLb0EES11_EEDaSW_SX_EUlSW_E_NS1_11comp_targetILNS1_3genE10ELNS1_11target_archE1200ELNS1_3gpuE4ELNS1_3repE0EEENS1_30default_config_static_selectorELNS0_4arch9wavefront6targetE0EEEvT1_.private_seg_size, 0
	.set _ZN7rocprim17ROCPRIM_400000_NS6detail17trampoline_kernelINS0_14default_configENS1_27scan_by_key_config_selectorIitEEZZNS1_16scan_by_key_implILNS1_25lookback_scan_determinismE0ELb0ES3_N6thrust23THRUST_200600_302600_NS6detail15normal_iteratorINS9_10device_ptrIiEEEENSB_INSC_ItEEEESG_tNS9_4plusIvEENS9_8equal_toIvEEtEE10hipError_tPvRmT2_T3_T4_T5_mT6_T7_P12ihipStream_tbENKUlT_T0_E_clISt17integral_constantIbLb0EES11_EEDaSW_SX_EUlSW_E_NS1_11comp_targetILNS1_3genE10ELNS1_11target_archE1200ELNS1_3gpuE4ELNS1_3repE0EEENS1_30default_config_static_selectorELNS0_4arch9wavefront6targetE0EEEvT1_.uses_vcc, 0
	.set _ZN7rocprim17ROCPRIM_400000_NS6detail17trampoline_kernelINS0_14default_configENS1_27scan_by_key_config_selectorIitEEZZNS1_16scan_by_key_implILNS1_25lookback_scan_determinismE0ELb0ES3_N6thrust23THRUST_200600_302600_NS6detail15normal_iteratorINS9_10device_ptrIiEEEENSB_INSC_ItEEEESG_tNS9_4plusIvEENS9_8equal_toIvEEtEE10hipError_tPvRmT2_T3_T4_T5_mT6_T7_P12ihipStream_tbENKUlT_T0_E_clISt17integral_constantIbLb0EES11_EEDaSW_SX_EUlSW_E_NS1_11comp_targetILNS1_3genE10ELNS1_11target_archE1200ELNS1_3gpuE4ELNS1_3repE0EEENS1_30default_config_static_selectorELNS0_4arch9wavefront6targetE0EEEvT1_.uses_flat_scratch, 0
	.set _ZN7rocprim17ROCPRIM_400000_NS6detail17trampoline_kernelINS0_14default_configENS1_27scan_by_key_config_selectorIitEEZZNS1_16scan_by_key_implILNS1_25lookback_scan_determinismE0ELb0ES3_N6thrust23THRUST_200600_302600_NS6detail15normal_iteratorINS9_10device_ptrIiEEEENSB_INSC_ItEEEESG_tNS9_4plusIvEENS9_8equal_toIvEEtEE10hipError_tPvRmT2_T3_T4_T5_mT6_T7_P12ihipStream_tbENKUlT_T0_E_clISt17integral_constantIbLb0EES11_EEDaSW_SX_EUlSW_E_NS1_11comp_targetILNS1_3genE10ELNS1_11target_archE1200ELNS1_3gpuE4ELNS1_3repE0EEENS1_30default_config_static_selectorELNS0_4arch9wavefront6targetE0EEEvT1_.has_dyn_sized_stack, 0
	.set _ZN7rocprim17ROCPRIM_400000_NS6detail17trampoline_kernelINS0_14default_configENS1_27scan_by_key_config_selectorIitEEZZNS1_16scan_by_key_implILNS1_25lookback_scan_determinismE0ELb0ES3_N6thrust23THRUST_200600_302600_NS6detail15normal_iteratorINS9_10device_ptrIiEEEENSB_INSC_ItEEEESG_tNS9_4plusIvEENS9_8equal_toIvEEtEE10hipError_tPvRmT2_T3_T4_T5_mT6_T7_P12ihipStream_tbENKUlT_T0_E_clISt17integral_constantIbLb0EES11_EEDaSW_SX_EUlSW_E_NS1_11comp_targetILNS1_3genE10ELNS1_11target_archE1200ELNS1_3gpuE4ELNS1_3repE0EEENS1_30default_config_static_selectorELNS0_4arch9wavefront6targetE0EEEvT1_.has_recursion, 0
	.set _ZN7rocprim17ROCPRIM_400000_NS6detail17trampoline_kernelINS0_14default_configENS1_27scan_by_key_config_selectorIitEEZZNS1_16scan_by_key_implILNS1_25lookback_scan_determinismE0ELb0ES3_N6thrust23THRUST_200600_302600_NS6detail15normal_iteratorINS9_10device_ptrIiEEEENSB_INSC_ItEEEESG_tNS9_4plusIvEENS9_8equal_toIvEEtEE10hipError_tPvRmT2_T3_T4_T5_mT6_T7_P12ihipStream_tbENKUlT_T0_E_clISt17integral_constantIbLb0EES11_EEDaSW_SX_EUlSW_E_NS1_11comp_targetILNS1_3genE10ELNS1_11target_archE1200ELNS1_3gpuE4ELNS1_3repE0EEENS1_30default_config_static_selectorELNS0_4arch9wavefront6targetE0EEEvT1_.has_indirect_call, 0
	.section	.AMDGPU.csdata,"",@progbits
; Kernel info:
; codeLenInByte = 0
; TotalNumSgprs: 0
; NumVgprs: 0
; ScratchSize: 0
; MemoryBound: 0
; FloatMode: 240
; IeeeMode: 1
; LDSByteSize: 0 bytes/workgroup (compile time only)
; SGPRBlocks: 0
; VGPRBlocks: 0
; NumSGPRsForWavesPerEU: 1
; NumVGPRsForWavesPerEU: 1
; Occupancy: 16
; WaveLimiterHint : 0
; COMPUTE_PGM_RSRC2:SCRATCH_EN: 0
; COMPUTE_PGM_RSRC2:USER_SGPR: 6
; COMPUTE_PGM_RSRC2:TRAP_HANDLER: 0
; COMPUTE_PGM_RSRC2:TGID_X_EN: 1
; COMPUTE_PGM_RSRC2:TGID_Y_EN: 0
; COMPUTE_PGM_RSRC2:TGID_Z_EN: 0
; COMPUTE_PGM_RSRC2:TIDIG_COMP_CNT: 0
	.section	.text._ZN7rocprim17ROCPRIM_400000_NS6detail17trampoline_kernelINS0_14default_configENS1_27scan_by_key_config_selectorIitEEZZNS1_16scan_by_key_implILNS1_25lookback_scan_determinismE0ELb0ES3_N6thrust23THRUST_200600_302600_NS6detail15normal_iteratorINS9_10device_ptrIiEEEENSB_INSC_ItEEEESG_tNS9_4plusIvEENS9_8equal_toIvEEtEE10hipError_tPvRmT2_T3_T4_T5_mT6_T7_P12ihipStream_tbENKUlT_T0_E_clISt17integral_constantIbLb0EES11_EEDaSW_SX_EUlSW_E_NS1_11comp_targetILNS1_3genE9ELNS1_11target_archE1100ELNS1_3gpuE3ELNS1_3repE0EEENS1_30default_config_static_selectorELNS0_4arch9wavefront6targetE0EEEvT1_,"axG",@progbits,_ZN7rocprim17ROCPRIM_400000_NS6detail17trampoline_kernelINS0_14default_configENS1_27scan_by_key_config_selectorIitEEZZNS1_16scan_by_key_implILNS1_25lookback_scan_determinismE0ELb0ES3_N6thrust23THRUST_200600_302600_NS6detail15normal_iteratorINS9_10device_ptrIiEEEENSB_INSC_ItEEEESG_tNS9_4plusIvEENS9_8equal_toIvEEtEE10hipError_tPvRmT2_T3_T4_T5_mT6_T7_P12ihipStream_tbENKUlT_T0_E_clISt17integral_constantIbLb0EES11_EEDaSW_SX_EUlSW_E_NS1_11comp_targetILNS1_3genE9ELNS1_11target_archE1100ELNS1_3gpuE3ELNS1_3repE0EEENS1_30default_config_static_selectorELNS0_4arch9wavefront6targetE0EEEvT1_,comdat
	.protected	_ZN7rocprim17ROCPRIM_400000_NS6detail17trampoline_kernelINS0_14default_configENS1_27scan_by_key_config_selectorIitEEZZNS1_16scan_by_key_implILNS1_25lookback_scan_determinismE0ELb0ES3_N6thrust23THRUST_200600_302600_NS6detail15normal_iteratorINS9_10device_ptrIiEEEENSB_INSC_ItEEEESG_tNS9_4plusIvEENS9_8equal_toIvEEtEE10hipError_tPvRmT2_T3_T4_T5_mT6_T7_P12ihipStream_tbENKUlT_T0_E_clISt17integral_constantIbLb0EES11_EEDaSW_SX_EUlSW_E_NS1_11comp_targetILNS1_3genE9ELNS1_11target_archE1100ELNS1_3gpuE3ELNS1_3repE0EEENS1_30default_config_static_selectorELNS0_4arch9wavefront6targetE0EEEvT1_ ; -- Begin function _ZN7rocprim17ROCPRIM_400000_NS6detail17trampoline_kernelINS0_14default_configENS1_27scan_by_key_config_selectorIitEEZZNS1_16scan_by_key_implILNS1_25lookback_scan_determinismE0ELb0ES3_N6thrust23THRUST_200600_302600_NS6detail15normal_iteratorINS9_10device_ptrIiEEEENSB_INSC_ItEEEESG_tNS9_4plusIvEENS9_8equal_toIvEEtEE10hipError_tPvRmT2_T3_T4_T5_mT6_T7_P12ihipStream_tbENKUlT_T0_E_clISt17integral_constantIbLb0EES11_EEDaSW_SX_EUlSW_E_NS1_11comp_targetILNS1_3genE9ELNS1_11target_archE1100ELNS1_3gpuE3ELNS1_3repE0EEENS1_30default_config_static_selectorELNS0_4arch9wavefront6targetE0EEEvT1_
	.globl	_ZN7rocprim17ROCPRIM_400000_NS6detail17trampoline_kernelINS0_14default_configENS1_27scan_by_key_config_selectorIitEEZZNS1_16scan_by_key_implILNS1_25lookback_scan_determinismE0ELb0ES3_N6thrust23THRUST_200600_302600_NS6detail15normal_iteratorINS9_10device_ptrIiEEEENSB_INSC_ItEEEESG_tNS9_4plusIvEENS9_8equal_toIvEEtEE10hipError_tPvRmT2_T3_T4_T5_mT6_T7_P12ihipStream_tbENKUlT_T0_E_clISt17integral_constantIbLb0EES11_EEDaSW_SX_EUlSW_E_NS1_11comp_targetILNS1_3genE9ELNS1_11target_archE1100ELNS1_3gpuE3ELNS1_3repE0EEENS1_30default_config_static_selectorELNS0_4arch9wavefront6targetE0EEEvT1_
	.p2align	8
	.type	_ZN7rocprim17ROCPRIM_400000_NS6detail17trampoline_kernelINS0_14default_configENS1_27scan_by_key_config_selectorIitEEZZNS1_16scan_by_key_implILNS1_25lookback_scan_determinismE0ELb0ES3_N6thrust23THRUST_200600_302600_NS6detail15normal_iteratorINS9_10device_ptrIiEEEENSB_INSC_ItEEEESG_tNS9_4plusIvEENS9_8equal_toIvEEtEE10hipError_tPvRmT2_T3_T4_T5_mT6_T7_P12ihipStream_tbENKUlT_T0_E_clISt17integral_constantIbLb0EES11_EEDaSW_SX_EUlSW_E_NS1_11comp_targetILNS1_3genE9ELNS1_11target_archE1100ELNS1_3gpuE3ELNS1_3repE0EEENS1_30default_config_static_selectorELNS0_4arch9wavefront6targetE0EEEvT1_,@function
_ZN7rocprim17ROCPRIM_400000_NS6detail17trampoline_kernelINS0_14default_configENS1_27scan_by_key_config_selectorIitEEZZNS1_16scan_by_key_implILNS1_25lookback_scan_determinismE0ELb0ES3_N6thrust23THRUST_200600_302600_NS6detail15normal_iteratorINS9_10device_ptrIiEEEENSB_INSC_ItEEEESG_tNS9_4plusIvEENS9_8equal_toIvEEtEE10hipError_tPvRmT2_T3_T4_T5_mT6_T7_P12ihipStream_tbENKUlT_T0_E_clISt17integral_constantIbLb0EES11_EEDaSW_SX_EUlSW_E_NS1_11comp_targetILNS1_3genE9ELNS1_11target_archE1100ELNS1_3gpuE3ELNS1_3repE0EEENS1_30default_config_static_selectorELNS0_4arch9wavefront6targetE0EEEvT1_: ; @_ZN7rocprim17ROCPRIM_400000_NS6detail17trampoline_kernelINS0_14default_configENS1_27scan_by_key_config_selectorIitEEZZNS1_16scan_by_key_implILNS1_25lookback_scan_determinismE0ELb0ES3_N6thrust23THRUST_200600_302600_NS6detail15normal_iteratorINS9_10device_ptrIiEEEENSB_INSC_ItEEEESG_tNS9_4plusIvEENS9_8equal_toIvEEtEE10hipError_tPvRmT2_T3_T4_T5_mT6_T7_P12ihipStream_tbENKUlT_T0_E_clISt17integral_constantIbLb0EES11_EEDaSW_SX_EUlSW_E_NS1_11comp_targetILNS1_3genE9ELNS1_11target_archE1100ELNS1_3gpuE3ELNS1_3repE0EEENS1_30default_config_static_selectorELNS0_4arch9wavefront6targetE0EEEvT1_
; %bb.0:
	.section	.rodata,"a",@progbits
	.p2align	6, 0x0
	.amdhsa_kernel _ZN7rocprim17ROCPRIM_400000_NS6detail17trampoline_kernelINS0_14default_configENS1_27scan_by_key_config_selectorIitEEZZNS1_16scan_by_key_implILNS1_25lookback_scan_determinismE0ELb0ES3_N6thrust23THRUST_200600_302600_NS6detail15normal_iteratorINS9_10device_ptrIiEEEENSB_INSC_ItEEEESG_tNS9_4plusIvEENS9_8equal_toIvEEtEE10hipError_tPvRmT2_T3_T4_T5_mT6_T7_P12ihipStream_tbENKUlT_T0_E_clISt17integral_constantIbLb0EES11_EEDaSW_SX_EUlSW_E_NS1_11comp_targetILNS1_3genE9ELNS1_11target_archE1100ELNS1_3gpuE3ELNS1_3repE0EEENS1_30default_config_static_selectorELNS0_4arch9wavefront6targetE0EEEvT1_
		.amdhsa_group_segment_fixed_size 0
		.amdhsa_private_segment_fixed_size 0
		.amdhsa_kernarg_size 112
		.amdhsa_user_sgpr_count 6
		.amdhsa_user_sgpr_private_segment_buffer 1
		.amdhsa_user_sgpr_dispatch_ptr 0
		.amdhsa_user_sgpr_queue_ptr 0
		.amdhsa_user_sgpr_kernarg_segment_ptr 1
		.amdhsa_user_sgpr_dispatch_id 0
		.amdhsa_user_sgpr_flat_scratch_init 0
		.amdhsa_user_sgpr_private_segment_size 0
		.amdhsa_wavefront_size32 1
		.amdhsa_uses_dynamic_stack 0
		.amdhsa_system_sgpr_private_segment_wavefront_offset 0
		.amdhsa_system_sgpr_workgroup_id_x 1
		.amdhsa_system_sgpr_workgroup_id_y 0
		.amdhsa_system_sgpr_workgroup_id_z 0
		.amdhsa_system_sgpr_workgroup_info 0
		.amdhsa_system_vgpr_workitem_id 0
		.amdhsa_next_free_vgpr 1
		.amdhsa_next_free_sgpr 1
		.amdhsa_reserve_vcc 0
		.amdhsa_reserve_flat_scratch 0
		.amdhsa_float_round_mode_32 0
		.amdhsa_float_round_mode_16_64 0
		.amdhsa_float_denorm_mode_32 3
		.amdhsa_float_denorm_mode_16_64 3
		.amdhsa_dx10_clamp 1
		.amdhsa_ieee_mode 1
		.amdhsa_fp16_overflow 0
		.amdhsa_workgroup_processor_mode 1
		.amdhsa_memory_ordered 1
		.amdhsa_forward_progress 1
		.amdhsa_shared_vgpr_count 0
		.amdhsa_exception_fp_ieee_invalid_op 0
		.amdhsa_exception_fp_denorm_src 0
		.amdhsa_exception_fp_ieee_div_zero 0
		.amdhsa_exception_fp_ieee_overflow 0
		.amdhsa_exception_fp_ieee_underflow 0
		.amdhsa_exception_fp_ieee_inexact 0
		.amdhsa_exception_int_div_zero 0
	.end_amdhsa_kernel
	.section	.text._ZN7rocprim17ROCPRIM_400000_NS6detail17trampoline_kernelINS0_14default_configENS1_27scan_by_key_config_selectorIitEEZZNS1_16scan_by_key_implILNS1_25lookback_scan_determinismE0ELb0ES3_N6thrust23THRUST_200600_302600_NS6detail15normal_iteratorINS9_10device_ptrIiEEEENSB_INSC_ItEEEESG_tNS9_4plusIvEENS9_8equal_toIvEEtEE10hipError_tPvRmT2_T3_T4_T5_mT6_T7_P12ihipStream_tbENKUlT_T0_E_clISt17integral_constantIbLb0EES11_EEDaSW_SX_EUlSW_E_NS1_11comp_targetILNS1_3genE9ELNS1_11target_archE1100ELNS1_3gpuE3ELNS1_3repE0EEENS1_30default_config_static_selectorELNS0_4arch9wavefront6targetE0EEEvT1_,"axG",@progbits,_ZN7rocprim17ROCPRIM_400000_NS6detail17trampoline_kernelINS0_14default_configENS1_27scan_by_key_config_selectorIitEEZZNS1_16scan_by_key_implILNS1_25lookback_scan_determinismE0ELb0ES3_N6thrust23THRUST_200600_302600_NS6detail15normal_iteratorINS9_10device_ptrIiEEEENSB_INSC_ItEEEESG_tNS9_4plusIvEENS9_8equal_toIvEEtEE10hipError_tPvRmT2_T3_T4_T5_mT6_T7_P12ihipStream_tbENKUlT_T0_E_clISt17integral_constantIbLb0EES11_EEDaSW_SX_EUlSW_E_NS1_11comp_targetILNS1_3genE9ELNS1_11target_archE1100ELNS1_3gpuE3ELNS1_3repE0EEENS1_30default_config_static_selectorELNS0_4arch9wavefront6targetE0EEEvT1_,comdat
.Lfunc_end1274:
	.size	_ZN7rocprim17ROCPRIM_400000_NS6detail17trampoline_kernelINS0_14default_configENS1_27scan_by_key_config_selectorIitEEZZNS1_16scan_by_key_implILNS1_25lookback_scan_determinismE0ELb0ES3_N6thrust23THRUST_200600_302600_NS6detail15normal_iteratorINS9_10device_ptrIiEEEENSB_INSC_ItEEEESG_tNS9_4plusIvEENS9_8equal_toIvEEtEE10hipError_tPvRmT2_T3_T4_T5_mT6_T7_P12ihipStream_tbENKUlT_T0_E_clISt17integral_constantIbLb0EES11_EEDaSW_SX_EUlSW_E_NS1_11comp_targetILNS1_3genE9ELNS1_11target_archE1100ELNS1_3gpuE3ELNS1_3repE0EEENS1_30default_config_static_selectorELNS0_4arch9wavefront6targetE0EEEvT1_, .Lfunc_end1274-_ZN7rocprim17ROCPRIM_400000_NS6detail17trampoline_kernelINS0_14default_configENS1_27scan_by_key_config_selectorIitEEZZNS1_16scan_by_key_implILNS1_25lookback_scan_determinismE0ELb0ES3_N6thrust23THRUST_200600_302600_NS6detail15normal_iteratorINS9_10device_ptrIiEEEENSB_INSC_ItEEEESG_tNS9_4plusIvEENS9_8equal_toIvEEtEE10hipError_tPvRmT2_T3_T4_T5_mT6_T7_P12ihipStream_tbENKUlT_T0_E_clISt17integral_constantIbLb0EES11_EEDaSW_SX_EUlSW_E_NS1_11comp_targetILNS1_3genE9ELNS1_11target_archE1100ELNS1_3gpuE3ELNS1_3repE0EEENS1_30default_config_static_selectorELNS0_4arch9wavefront6targetE0EEEvT1_
                                        ; -- End function
	.set _ZN7rocprim17ROCPRIM_400000_NS6detail17trampoline_kernelINS0_14default_configENS1_27scan_by_key_config_selectorIitEEZZNS1_16scan_by_key_implILNS1_25lookback_scan_determinismE0ELb0ES3_N6thrust23THRUST_200600_302600_NS6detail15normal_iteratorINS9_10device_ptrIiEEEENSB_INSC_ItEEEESG_tNS9_4plusIvEENS9_8equal_toIvEEtEE10hipError_tPvRmT2_T3_T4_T5_mT6_T7_P12ihipStream_tbENKUlT_T0_E_clISt17integral_constantIbLb0EES11_EEDaSW_SX_EUlSW_E_NS1_11comp_targetILNS1_3genE9ELNS1_11target_archE1100ELNS1_3gpuE3ELNS1_3repE0EEENS1_30default_config_static_selectorELNS0_4arch9wavefront6targetE0EEEvT1_.num_vgpr, 0
	.set _ZN7rocprim17ROCPRIM_400000_NS6detail17trampoline_kernelINS0_14default_configENS1_27scan_by_key_config_selectorIitEEZZNS1_16scan_by_key_implILNS1_25lookback_scan_determinismE0ELb0ES3_N6thrust23THRUST_200600_302600_NS6detail15normal_iteratorINS9_10device_ptrIiEEEENSB_INSC_ItEEEESG_tNS9_4plusIvEENS9_8equal_toIvEEtEE10hipError_tPvRmT2_T3_T4_T5_mT6_T7_P12ihipStream_tbENKUlT_T0_E_clISt17integral_constantIbLb0EES11_EEDaSW_SX_EUlSW_E_NS1_11comp_targetILNS1_3genE9ELNS1_11target_archE1100ELNS1_3gpuE3ELNS1_3repE0EEENS1_30default_config_static_selectorELNS0_4arch9wavefront6targetE0EEEvT1_.num_agpr, 0
	.set _ZN7rocprim17ROCPRIM_400000_NS6detail17trampoline_kernelINS0_14default_configENS1_27scan_by_key_config_selectorIitEEZZNS1_16scan_by_key_implILNS1_25lookback_scan_determinismE0ELb0ES3_N6thrust23THRUST_200600_302600_NS6detail15normal_iteratorINS9_10device_ptrIiEEEENSB_INSC_ItEEEESG_tNS9_4plusIvEENS9_8equal_toIvEEtEE10hipError_tPvRmT2_T3_T4_T5_mT6_T7_P12ihipStream_tbENKUlT_T0_E_clISt17integral_constantIbLb0EES11_EEDaSW_SX_EUlSW_E_NS1_11comp_targetILNS1_3genE9ELNS1_11target_archE1100ELNS1_3gpuE3ELNS1_3repE0EEENS1_30default_config_static_selectorELNS0_4arch9wavefront6targetE0EEEvT1_.numbered_sgpr, 0
	.set _ZN7rocprim17ROCPRIM_400000_NS6detail17trampoline_kernelINS0_14default_configENS1_27scan_by_key_config_selectorIitEEZZNS1_16scan_by_key_implILNS1_25lookback_scan_determinismE0ELb0ES3_N6thrust23THRUST_200600_302600_NS6detail15normal_iteratorINS9_10device_ptrIiEEEENSB_INSC_ItEEEESG_tNS9_4plusIvEENS9_8equal_toIvEEtEE10hipError_tPvRmT2_T3_T4_T5_mT6_T7_P12ihipStream_tbENKUlT_T0_E_clISt17integral_constantIbLb0EES11_EEDaSW_SX_EUlSW_E_NS1_11comp_targetILNS1_3genE9ELNS1_11target_archE1100ELNS1_3gpuE3ELNS1_3repE0EEENS1_30default_config_static_selectorELNS0_4arch9wavefront6targetE0EEEvT1_.num_named_barrier, 0
	.set _ZN7rocprim17ROCPRIM_400000_NS6detail17trampoline_kernelINS0_14default_configENS1_27scan_by_key_config_selectorIitEEZZNS1_16scan_by_key_implILNS1_25lookback_scan_determinismE0ELb0ES3_N6thrust23THRUST_200600_302600_NS6detail15normal_iteratorINS9_10device_ptrIiEEEENSB_INSC_ItEEEESG_tNS9_4plusIvEENS9_8equal_toIvEEtEE10hipError_tPvRmT2_T3_T4_T5_mT6_T7_P12ihipStream_tbENKUlT_T0_E_clISt17integral_constantIbLb0EES11_EEDaSW_SX_EUlSW_E_NS1_11comp_targetILNS1_3genE9ELNS1_11target_archE1100ELNS1_3gpuE3ELNS1_3repE0EEENS1_30default_config_static_selectorELNS0_4arch9wavefront6targetE0EEEvT1_.private_seg_size, 0
	.set _ZN7rocprim17ROCPRIM_400000_NS6detail17trampoline_kernelINS0_14default_configENS1_27scan_by_key_config_selectorIitEEZZNS1_16scan_by_key_implILNS1_25lookback_scan_determinismE0ELb0ES3_N6thrust23THRUST_200600_302600_NS6detail15normal_iteratorINS9_10device_ptrIiEEEENSB_INSC_ItEEEESG_tNS9_4plusIvEENS9_8equal_toIvEEtEE10hipError_tPvRmT2_T3_T4_T5_mT6_T7_P12ihipStream_tbENKUlT_T0_E_clISt17integral_constantIbLb0EES11_EEDaSW_SX_EUlSW_E_NS1_11comp_targetILNS1_3genE9ELNS1_11target_archE1100ELNS1_3gpuE3ELNS1_3repE0EEENS1_30default_config_static_selectorELNS0_4arch9wavefront6targetE0EEEvT1_.uses_vcc, 0
	.set _ZN7rocprim17ROCPRIM_400000_NS6detail17trampoline_kernelINS0_14default_configENS1_27scan_by_key_config_selectorIitEEZZNS1_16scan_by_key_implILNS1_25lookback_scan_determinismE0ELb0ES3_N6thrust23THRUST_200600_302600_NS6detail15normal_iteratorINS9_10device_ptrIiEEEENSB_INSC_ItEEEESG_tNS9_4plusIvEENS9_8equal_toIvEEtEE10hipError_tPvRmT2_T3_T4_T5_mT6_T7_P12ihipStream_tbENKUlT_T0_E_clISt17integral_constantIbLb0EES11_EEDaSW_SX_EUlSW_E_NS1_11comp_targetILNS1_3genE9ELNS1_11target_archE1100ELNS1_3gpuE3ELNS1_3repE0EEENS1_30default_config_static_selectorELNS0_4arch9wavefront6targetE0EEEvT1_.uses_flat_scratch, 0
	.set _ZN7rocprim17ROCPRIM_400000_NS6detail17trampoline_kernelINS0_14default_configENS1_27scan_by_key_config_selectorIitEEZZNS1_16scan_by_key_implILNS1_25lookback_scan_determinismE0ELb0ES3_N6thrust23THRUST_200600_302600_NS6detail15normal_iteratorINS9_10device_ptrIiEEEENSB_INSC_ItEEEESG_tNS9_4plusIvEENS9_8equal_toIvEEtEE10hipError_tPvRmT2_T3_T4_T5_mT6_T7_P12ihipStream_tbENKUlT_T0_E_clISt17integral_constantIbLb0EES11_EEDaSW_SX_EUlSW_E_NS1_11comp_targetILNS1_3genE9ELNS1_11target_archE1100ELNS1_3gpuE3ELNS1_3repE0EEENS1_30default_config_static_selectorELNS0_4arch9wavefront6targetE0EEEvT1_.has_dyn_sized_stack, 0
	.set _ZN7rocprim17ROCPRIM_400000_NS6detail17trampoline_kernelINS0_14default_configENS1_27scan_by_key_config_selectorIitEEZZNS1_16scan_by_key_implILNS1_25lookback_scan_determinismE0ELb0ES3_N6thrust23THRUST_200600_302600_NS6detail15normal_iteratorINS9_10device_ptrIiEEEENSB_INSC_ItEEEESG_tNS9_4plusIvEENS9_8equal_toIvEEtEE10hipError_tPvRmT2_T3_T4_T5_mT6_T7_P12ihipStream_tbENKUlT_T0_E_clISt17integral_constantIbLb0EES11_EEDaSW_SX_EUlSW_E_NS1_11comp_targetILNS1_3genE9ELNS1_11target_archE1100ELNS1_3gpuE3ELNS1_3repE0EEENS1_30default_config_static_selectorELNS0_4arch9wavefront6targetE0EEEvT1_.has_recursion, 0
	.set _ZN7rocprim17ROCPRIM_400000_NS6detail17trampoline_kernelINS0_14default_configENS1_27scan_by_key_config_selectorIitEEZZNS1_16scan_by_key_implILNS1_25lookback_scan_determinismE0ELb0ES3_N6thrust23THRUST_200600_302600_NS6detail15normal_iteratorINS9_10device_ptrIiEEEENSB_INSC_ItEEEESG_tNS9_4plusIvEENS9_8equal_toIvEEtEE10hipError_tPvRmT2_T3_T4_T5_mT6_T7_P12ihipStream_tbENKUlT_T0_E_clISt17integral_constantIbLb0EES11_EEDaSW_SX_EUlSW_E_NS1_11comp_targetILNS1_3genE9ELNS1_11target_archE1100ELNS1_3gpuE3ELNS1_3repE0EEENS1_30default_config_static_selectorELNS0_4arch9wavefront6targetE0EEEvT1_.has_indirect_call, 0
	.section	.AMDGPU.csdata,"",@progbits
; Kernel info:
; codeLenInByte = 0
; TotalNumSgprs: 0
; NumVgprs: 0
; ScratchSize: 0
; MemoryBound: 0
; FloatMode: 240
; IeeeMode: 1
; LDSByteSize: 0 bytes/workgroup (compile time only)
; SGPRBlocks: 0
; VGPRBlocks: 0
; NumSGPRsForWavesPerEU: 1
; NumVGPRsForWavesPerEU: 1
; Occupancy: 16
; WaveLimiterHint : 0
; COMPUTE_PGM_RSRC2:SCRATCH_EN: 0
; COMPUTE_PGM_RSRC2:USER_SGPR: 6
; COMPUTE_PGM_RSRC2:TRAP_HANDLER: 0
; COMPUTE_PGM_RSRC2:TGID_X_EN: 1
; COMPUTE_PGM_RSRC2:TGID_Y_EN: 0
; COMPUTE_PGM_RSRC2:TGID_Z_EN: 0
; COMPUTE_PGM_RSRC2:TIDIG_COMP_CNT: 0
	.section	.text._ZN7rocprim17ROCPRIM_400000_NS6detail17trampoline_kernelINS0_14default_configENS1_27scan_by_key_config_selectorIitEEZZNS1_16scan_by_key_implILNS1_25lookback_scan_determinismE0ELb0ES3_N6thrust23THRUST_200600_302600_NS6detail15normal_iteratorINS9_10device_ptrIiEEEENSB_INSC_ItEEEESG_tNS9_4plusIvEENS9_8equal_toIvEEtEE10hipError_tPvRmT2_T3_T4_T5_mT6_T7_P12ihipStream_tbENKUlT_T0_E_clISt17integral_constantIbLb0EES11_EEDaSW_SX_EUlSW_E_NS1_11comp_targetILNS1_3genE8ELNS1_11target_archE1030ELNS1_3gpuE2ELNS1_3repE0EEENS1_30default_config_static_selectorELNS0_4arch9wavefront6targetE0EEEvT1_,"axG",@progbits,_ZN7rocprim17ROCPRIM_400000_NS6detail17trampoline_kernelINS0_14default_configENS1_27scan_by_key_config_selectorIitEEZZNS1_16scan_by_key_implILNS1_25lookback_scan_determinismE0ELb0ES3_N6thrust23THRUST_200600_302600_NS6detail15normal_iteratorINS9_10device_ptrIiEEEENSB_INSC_ItEEEESG_tNS9_4plusIvEENS9_8equal_toIvEEtEE10hipError_tPvRmT2_T3_T4_T5_mT6_T7_P12ihipStream_tbENKUlT_T0_E_clISt17integral_constantIbLb0EES11_EEDaSW_SX_EUlSW_E_NS1_11comp_targetILNS1_3genE8ELNS1_11target_archE1030ELNS1_3gpuE2ELNS1_3repE0EEENS1_30default_config_static_selectorELNS0_4arch9wavefront6targetE0EEEvT1_,comdat
	.protected	_ZN7rocprim17ROCPRIM_400000_NS6detail17trampoline_kernelINS0_14default_configENS1_27scan_by_key_config_selectorIitEEZZNS1_16scan_by_key_implILNS1_25lookback_scan_determinismE0ELb0ES3_N6thrust23THRUST_200600_302600_NS6detail15normal_iteratorINS9_10device_ptrIiEEEENSB_INSC_ItEEEESG_tNS9_4plusIvEENS9_8equal_toIvEEtEE10hipError_tPvRmT2_T3_T4_T5_mT6_T7_P12ihipStream_tbENKUlT_T0_E_clISt17integral_constantIbLb0EES11_EEDaSW_SX_EUlSW_E_NS1_11comp_targetILNS1_3genE8ELNS1_11target_archE1030ELNS1_3gpuE2ELNS1_3repE0EEENS1_30default_config_static_selectorELNS0_4arch9wavefront6targetE0EEEvT1_ ; -- Begin function _ZN7rocprim17ROCPRIM_400000_NS6detail17trampoline_kernelINS0_14default_configENS1_27scan_by_key_config_selectorIitEEZZNS1_16scan_by_key_implILNS1_25lookback_scan_determinismE0ELb0ES3_N6thrust23THRUST_200600_302600_NS6detail15normal_iteratorINS9_10device_ptrIiEEEENSB_INSC_ItEEEESG_tNS9_4plusIvEENS9_8equal_toIvEEtEE10hipError_tPvRmT2_T3_T4_T5_mT6_T7_P12ihipStream_tbENKUlT_T0_E_clISt17integral_constantIbLb0EES11_EEDaSW_SX_EUlSW_E_NS1_11comp_targetILNS1_3genE8ELNS1_11target_archE1030ELNS1_3gpuE2ELNS1_3repE0EEENS1_30default_config_static_selectorELNS0_4arch9wavefront6targetE0EEEvT1_
	.globl	_ZN7rocprim17ROCPRIM_400000_NS6detail17trampoline_kernelINS0_14default_configENS1_27scan_by_key_config_selectorIitEEZZNS1_16scan_by_key_implILNS1_25lookback_scan_determinismE0ELb0ES3_N6thrust23THRUST_200600_302600_NS6detail15normal_iteratorINS9_10device_ptrIiEEEENSB_INSC_ItEEEESG_tNS9_4plusIvEENS9_8equal_toIvEEtEE10hipError_tPvRmT2_T3_T4_T5_mT6_T7_P12ihipStream_tbENKUlT_T0_E_clISt17integral_constantIbLb0EES11_EEDaSW_SX_EUlSW_E_NS1_11comp_targetILNS1_3genE8ELNS1_11target_archE1030ELNS1_3gpuE2ELNS1_3repE0EEENS1_30default_config_static_selectorELNS0_4arch9wavefront6targetE0EEEvT1_
	.p2align	8
	.type	_ZN7rocprim17ROCPRIM_400000_NS6detail17trampoline_kernelINS0_14default_configENS1_27scan_by_key_config_selectorIitEEZZNS1_16scan_by_key_implILNS1_25lookback_scan_determinismE0ELb0ES3_N6thrust23THRUST_200600_302600_NS6detail15normal_iteratorINS9_10device_ptrIiEEEENSB_INSC_ItEEEESG_tNS9_4plusIvEENS9_8equal_toIvEEtEE10hipError_tPvRmT2_T3_T4_T5_mT6_T7_P12ihipStream_tbENKUlT_T0_E_clISt17integral_constantIbLb0EES11_EEDaSW_SX_EUlSW_E_NS1_11comp_targetILNS1_3genE8ELNS1_11target_archE1030ELNS1_3gpuE2ELNS1_3repE0EEENS1_30default_config_static_selectorELNS0_4arch9wavefront6targetE0EEEvT1_,@function
_ZN7rocprim17ROCPRIM_400000_NS6detail17trampoline_kernelINS0_14default_configENS1_27scan_by_key_config_selectorIitEEZZNS1_16scan_by_key_implILNS1_25lookback_scan_determinismE0ELb0ES3_N6thrust23THRUST_200600_302600_NS6detail15normal_iteratorINS9_10device_ptrIiEEEENSB_INSC_ItEEEESG_tNS9_4plusIvEENS9_8equal_toIvEEtEE10hipError_tPvRmT2_T3_T4_T5_mT6_T7_P12ihipStream_tbENKUlT_T0_E_clISt17integral_constantIbLb0EES11_EEDaSW_SX_EUlSW_E_NS1_11comp_targetILNS1_3genE8ELNS1_11target_archE1030ELNS1_3gpuE2ELNS1_3repE0EEENS1_30default_config_static_selectorELNS0_4arch9wavefront6targetE0EEEvT1_: ; @_ZN7rocprim17ROCPRIM_400000_NS6detail17trampoline_kernelINS0_14default_configENS1_27scan_by_key_config_selectorIitEEZZNS1_16scan_by_key_implILNS1_25lookback_scan_determinismE0ELb0ES3_N6thrust23THRUST_200600_302600_NS6detail15normal_iteratorINS9_10device_ptrIiEEEENSB_INSC_ItEEEESG_tNS9_4plusIvEENS9_8equal_toIvEEtEE10hipError_tPvRmT2_T3_T4_T5_mT6_T7_P12ihipStream_tbENKUlT_T0_E_clISt17integral_constantIbLb0EES11_EEDaSW_SX_EUlSW_E_NS1_11comp_targetILNS1_3genE8ELNS1_11target_archE1030ELNS1_3gpuE2ELNS1_3repE0EEENS1_30default_config_static_selectorELNS0_4arch9wavefront6targetE0EEEvT1_
; %bb.0:
	s_clause 0x3
	s_load_dwordx8 s[8:15], s[4:5], 0x0
	s_load_dwordx2 s[28:29], s[4:5], 0x38
	s_load_dword s7, s[4:5], 0x40
	s_load_dwordx8 s[16:23], s[4:5], 0x48
	s_mov_b32 s1, 0
	s_load_dwordx4 s[24:27], s[4:5], 0x28
	s_waitcnt lgkmcnt(0)
	s_barrier
	buffer_gl0_inv
	s_lshl_b64 s[2:3], s[10:11], 2
	s_add_u32 s8, s8, s2
	s_addc_u32 s9, s9, s3
	s_lshl_b64 s[10:11], s[10:11], 1
	s_mul_i32 s0, s29, s7
	s_mul_hi_u32 s2, s28, s7
	s_add_u32 s30, s12, s10
	s_addc_u32 s33, s13, s11
	s_add_i32 s35, s2, s0
	s_cmp_lg_u64 s[20:21], 0
	s_mul_i32 s0, s6, 0x1c0
	s_cselect_b32 s34, -1, 0
	s_lshl_b64 s[2:3], s[0:1], 2
	s_add_u32 s8, s8, s2
	s_addc_u32 s9, s9, s3
	s_lshl_b64 s[12:13], s[0:1], 1
	s_mul_i32 s0, s28, s7
	s_add_u32 s31, s30, s12
	s_addc_u32 s33, s33, s13
	s_add_u32 s20, s0, s6
	s_addc_u32 s21, s35, 0
	s_add_u32 s2, s16, -1
	s_addc_u32 s3, s17, -1
	s_mul_i32 s27, s2, 0xfffffe40
	v_cmp_ge_u64_e64 s30, s[20:21], s[2:3]
	s_and_b32 vcc_lo, exec_lo, s30
	s_cbranch_vccz .LBB1275_42
; %bb.1:
	v_mov_b32_e32 v1, s8
	v_mov_b32_e32 v2, s9
	s_add_i32 s35, s27, s26
	v_cmp_gt_u32_e64 s7, s35, v0
	flat_load_dword v1, v[1:2]
	s_waitcnt vmcnt(0) lgkmcnt(0)
	v_mov_b32_e32 v2, v1
	s_and_saveexec_b32 s0, s7
	s_cbranch_execz .LBB1275_3
; %bb.2:
	v_lshlrev_b32_e32 v2, 2, v0
	v_add_co_u32 v2, s1, s8, v2
	v_add_co_ci_u32_e64 v3, null, s9, 0, s1
	flat_load_dword v2, v[2:3]
.LBB1275_3:
	s_or_b32 exec_lo, exec_lo, s0
	v_or_b32_e32 v3, 64, v0
	v_cmp_gt_u32_e64 s5, s35, v3
	v_mov_b32_e32 v3, v1
	s_and_saveexec_b32 s0, s5
	s_cbranch_execz .LBB1275_5
; %bb.4:
	v_lshlrev_b32_e32 v3, 2, v0
	v_add_co_u32 v3, s1, s8, v3
	v_add_co_ci_u32_e64 v4, null, s9, 0, s1
	flat_load_dword v3, v[3:4] offset:256
.LBB1275_5:
	s_or_b32 exec_lo, exec_lo, s0
	v_or_b32_e32 v4, 0x80, v0
	v_cmp_gt_u32_e64 s4, s35, v4
	v_mov_b32_e32 v4, v1
	s_and_saveexec_b32 s0, s4
	s_cbranch_execz .LBB1275_7
; %bb.6:
	v_lshlrev_b32_e32 v4, 2, v0
	v_add_co_u32 v4, s1, s8, v4
	v_add_co_ci_u32_e64 v5, null, s9, 0, s1
	flat_load_dword v4, v[4:5] offset:512
.LBB1275_7:
	s_or_b32 exec_lo, exec_lo, s0
	v_or_b32_e32 v5, 0xc0, v0
	v_cmp_gt_u32_e64 s3, s35, v5
	v_mov_b32_e32 v5, v1
	s_and_saveexec_b32 s0, s3
	s_cbranch_execz .LBB1275_9
; %bb.8:
	v_lshlrev_b32_e32 v5, 2, v0
	v_add_co_u32 v5, s1, s8, v5
	v_add_co_ci_u32_e64 v6, null, s9, 0, s1
	flat_load_dword v5, v[5:6] offset:768
.LBB1275_9:
	s_or_b32 exec_lo, exec_lo, s0
	v_or_b32_e32 v6, 0x100, v0
	v_cmp_gt_u32_e64 s2, s35, v6
	v_mov_b32_e32 v6, v1
	s_and_saveexec_b32 s0, s2
	s_cbranch_execz .LBB1275_11
; %bb.10:
	v_lshlrev_b32_e32 v6, 2, v0
	v_add_co_u32 v6, s1, s8, v6
	v_add_co_ci_u32_e64 v7, null, s9, 0, s1
	flat_load_dword v6, v[6:7] offset:1024
.LBB1275_11:
	s_or_b32 exec_lo, exec_lo, s0
	v_or_b32_e32 v7, 0x140, v0
	v_cmp_gt_u32_e64 s1, s35, v7
	v_mov_b32_e32 v7, v1
	s_and_saveexec_b32 s0, s1
	s_cbranch_execz .LBB1275_13
; %bb.12:
	v_lshlrev_b32_e32 v7, 2, v0
	v_add_co_u32 v7, s16, s8, v7
	v_add_co_ci_u32_e64 v8, null, s9, 0, s16
	flat_load_dword v7, v[7:8] offset:1280
.LBB1275_13:
	s_or_b32 exec_lo, exec_lo, s0
	v_or_b32_e32 v8, 0x180, v0
	s_mov_b32 s16, exec_lo
	v_cmp_gt_u32_e64 s0, s35, v8
	v_cmpx_le_u32_e64 s35, v8
	s_xor_b32 s16, exec_lo, s16
	s_andn2_saveexec_b32 s16, s16
	s_cbranch_execz .LBB1275_15
; %bb.14:
	v_lshlrev_b32_e32 v1, 2, v0
	v_add_co_u32 v8, s17, s8, v1
	v_add_co_ci_u32_e64 v9, null, s9, 0, s17
	flat_load_dword v1, v[8:9] offset:1536
.LBB1275_15:
	s_or_b32 exec_lo, exec_lo, s16
	v_lshlrev_b32_e32 v8, 2, v0
	s_cmp_eq_u64 s[20:21], 0
	s_mov_b64 s[16:17], s[8:9]
	s_waitcnt vmcnt(0) lgkmcnt(0)
	ds_write2st64_b32 v8, v2, v3 offset1:1
	ds_write2st64_b32 v8, v4, v5 offset0:2 offset1:3
	ds_write2st64_b32 v8, v6, v7 offset0:4 offset1:5
	v_mad_u32_u24 v2, v0, 24, v8
	ds_write_b32 v8, v1 offset:1536
	s_waitcnt lgkmcnt(0)
	s_barrier
	buffer_gl0_inv
	ds_read2_b32 v[15:16], v2 offset1:1
	ds_read2_b32 v[13:14], v2 offset0:2 offset1:3
	ds_read2_b32 v[11:12], v2 offset0:4 offset1:5
	ds_read_b32 v18, v2 offset:24
	s_cbranch_scc1 .LBB1275_19
; %bb.16:
	s_andn2_b32 vcc_lo, exec_lo, s34
	s_cbranch_vccnz .LBB1275_177
; %bb.17:
	s_lshl_b64 s[16:17], s[20:21], 2
	s_add_u32 s16, s22, s16
	s_addc_u32 s17, s23, s17
	s_add_u32 s16, s16, -4
	s_addc_u32 s17, s17, -1
	s_cbranch_execnz .LBB1275_19
.LBB1275_18:
	s_add_u32 s16, s8, -4
	s_addc_u32 s17, s9, -1
.LBB1275_19:
	v_mov_b32_e32 v3, s16
	v_mov_b32_e32 v4, s17
	v_mad_i32_i24 v2, 0xffffffe8, v0, v2
	s_mov_b32 s16, exec_lo
	flat_load_dword v1, v[3:4]
	s_waitcnt lgkmcnt(1)
	ds_write_b32 v2, v18 offset:1792
	s_waitcnt vmcnt(0) lgkmcnt(0)
	s_barrier
	buffer_gl0_inv
	v_cmpx_ne_u32_e32 0, v0
; %bb.20:
	ds_read_b32 v1, v2 offset:1788
; %bb.21:
	s_or_b32 exec_lo, exec_lo, s16
	v_mov_b32_e32 v5, 0
	v_lshlrev_b32_e32 v3, 1, v0
	s_waitcnt lgkmcnt(0)
	s_barrier
	buffer_gl0_inv
	v_mov_b32_e32 v6, v5
	v_mov_b32_e32 v7, v5
	v_mov_b32_e32 v8, v5
	s_and_saveexec_b32 s16, s7
	s_cbranch_execnz .LBB1275_171
; %bb.22:
	s_or_b32 exec_lo, exec_lo, s16
	s_and_saveexec_b32 s7, s5
	s_cbranch_execnz .LBB1275_172
.LBB1275_23:
	s_or_b32 exec_lo, exec_lo, s7
	s_and_saveexec_b32 s5, s4
	s_cbranch_execnz .LBB1275_173
.LBB1275_24:
	s_or_b32 exec_lo, exec_lo, s5
	s_and_saveexec_b32 s4, s3
	s_cbranch_execnz .LBB1275_174
.LBB1275_25:
	s_or_b32 exec_lo, exec_lo, s4
	s_and_saveexec_b32 s3, s2
	s_cbranch_execnz .LBB1275_175
.LBB1275_26:
	s_or_b32 exec_lo, exec_lo, s3
	s_and_saveexec_b32 s2, s1
	s_cbranch_execnz .LBB1275_176
.LBB1275_27:
	s_or_b32 exec_lo, exec_lo, s2
	s_and_saveexec_b32 s1, s0
	s_cbranch_execz .LBB1275_29
.LBB1275_28:
	v_add_co_u32 v3, s0, s31, v3
	v_add_co_ci_u32_e64 v4, null, s33, 0, s0
	flat_load_short_d16 v8, v[3:4] offset:768
.LBB1275_29:
	s_or_b32 exec_lo, exec_lo, s1
	v_lshlrev_b32_e32 v3, 1, v0
	v_mov_b32_e32 v4, 0
	v_mul_u32_u24_e32 v21, 7, v0
	s_mov_b32 s0, 0
	s_mov_b32 s1, 0
	v_sub_nc_u32_e32 v9, v2, v3
	v_mov_b32_e32 v2, v4
	v_mov_b32_e32 v17, v4
	;; [unrolled: 1-line block ×3, first 2 shown]
	s_mov_b32 s3, exec_lo
	s_waitcnt vmcnt(0) lgkmcnt(0)
	ds_write_b16 v9, v5
	ds_write_b16_d16_hi v9, v5 offset:128
	ds_write_b16 v9, v6 offset:256
	ds_write_b16_d16_hi v9, v6 offset:384
	ds_write_b16 v9, v7 offset:512
	ds_write_b16_d16_hi v9, v7 offset:640
	ds_write_b16 v9, v8 offset:768
	v_mov_b32_e32 v5, v4
	v_mov_b32_e32 v6, v4
	;; [unrolled: 1-line block ×3, first 2 shown]
	s_waitcnt lgkmcnt(0)
	s_barrier
	buffer_gl0_inv
                                        ; implicit-def: $sgpr2
                                        ; implicit-def: $vgpr19
	v_cmpx_gt_u32_e64 s35, v21
	s_cbranch_execz .LBB1275_41
; %bb.30:
	v_mad_u32_u24 v2, v0, 12, v9
	v_mov_b32_e32 v4, 0
	v_cmp_eq_u32_e32 vcc_lo, v1, v15
	s_mov_b32 s4, 0
	s_mov_b32 s1, exec_lo
	ds_read_u16 v17, v2
	v_add_nc_u32_e32 v2, 1, v21
	v_cndmask_b32_e64 v20, 0x10000, 0, vcc_lo
	v_mov_b32_e32 v5, v4
	v_mov_b32_e32 v6, v4
	;; [unrolled: 1-line block ×4, first 2 shown]
                                        ; implicit-def: $sgpr2
                                        ; implicit-def: $vgpr19
	v_cmpx_gt_u32_e64 s35, v2
	s_cbranch_execz .LBB1275_40
; %bb.31:
	v_mul_u32_u24_e32 v1, 12, v0
	v_cmp_eq_u32_e32 vcc_lo, v15, v16
	v_mov_b32_e32 v3, 0
	v_add_nc_u32_e32 v5, 2, v21
	s_mov_b32 s5, 0
	v_add_nc_u32_e32 v1, v9, v1
                                        ; implicit-def: $sgpr2
                                        ; implicit-def: $vgpr19
	v_mov_b32_e32 v4, v3
	v_mov_b32_e32 v2, v3
	ds_read_b96 v[8:10], v1 offset:2
	v_cndmask_b32_e64 v1, 0x10000, 0, vcc_lo
	v_cmp_gt_u32_e32 vcc_lo, s35, v5
	s_waitcnt lgkmcnt(0)
	v_and_or_b32 v1, 0xffff, v8, v1
	v_mov_b32_e32 v7, v4
	v_mov_b32_e32 v6, v3
	v_mov_b32_e32 v5, v2
	v_mov_b32_e32 v4, v1
	s_and_saveexec_b32 s4, vcc_lo
	s_cbranch_execz .LBB1275_39
; %bb.32:
	v_cmp_eq_u32_e32 vcc_lo, v16, v13
	v_add_nc_u32_e32 v5, 3, v21
	v_mov_b32_e32 v4, v3
	s_mov_b32 s7, 0
                                        ; implicit-def: $sgpr2
                                        ; implicit-def: $vgpr19
	v_cndmask_b32_e64 v2, 0x10000, 0, vcc_lo
	v_cmp_gt_u32_e32 vcc_lo, s35, v5
	v_or_b32_sdwa v2, v2, v8 dst_sel:DWORD dst_unused:UNUSED_PAD src0_sel:DWORD src1_sel:WORD_1
	v_mov_b32_e32 v7, v4
	v_mov_b32_e32 v6, v3
	;; [unrolled: 1-line block ×4, first 2 shown]
	s_and_saveexec_b32 s5, vcc_lo
	s_cbranch_execz .LBB1275_38
; %bb.33:
	v_cmp_eq_u32_e32 vcc_lo, v13, v14
	v_add_nc_u32_e32 v4, 4, v21
	s_mov_b32 s16, 0
	v_mov_b32_e32 v8, 0
                                        ; implicit-def: $sgpr2
                                        ; implicit-def: $vgpr19
	v_cndmask_b32_e64 v3, 0x10000, 0, vcc_lo
	v_cmp_gt_u32_e32 vcc_lo, s35, v4
	v_mov_b32_e32 v4, s16
	v_and_or_b32 v3, 0xffff, v9, v3
	s_and_saveexec_b32 s7, vcc_lo
	s_cbranch_execz .LBB1275_37
; %bb.34:
	v_cmp_eq_u32_e32 vcc_lo, v14, v11
	v_add_nc_u32_e32 v5, 5, v21
	v_mov_b32_e32 v8, 0
	s_mov_b32 s17, 0
	s_mov_b32 s16, exec_lo
	v_cndmask_b32_e64 v4, 0x10000, 0, vcc_lo
                                        ; implicit-def: $sgpr2
                                        ; implicit-def: $vgpr19
	v_or_b32_sdwa v4, v4, v9 dst_sel:DWORD dst_unused:UNUSED_PAD src0_sel:DWORD src1_sel:WORD_1
	v_cmpx_gt_u32_e64 s35, v5
	s_xor_b32 s16, exec_lo, s16
	s_cbranch_execz .LBB1275_36
; %bb.35:
	v_cmp_eq_u32_e32 vcc_lo, v11, v12
	v_add_nc_u32_e32 v5, 6, v21
	v_lshrrev_b32_e32 v19, 16, v10
	v_cmp_ne_u32_e64 s2, v12, v18
	v_cndmask_b32_e64 v6, 0x10000, 0, vcc_lo
	v_cmp_gt_u32_e32 vcc_lo, s35, v5
	v_and_or_b32 v8, 0xffff, v10, v6
	s_and_b32 s17, vcc_lo, exec_lo
.LBB1275_36:
	s_or_b32 exec_lo, exec_lo, s16
	s_and_b32 s16, s17, exec_lo
.LBB1275_37:
	s_or_b32 exec_lo, exec_lo, s7
	v_mov_b32_e32 v7, v4
	v_mov_b32_e32 v6, v3
	;; [unrolled: 1-line block ×5, first 2 shown]
	s_and_b32 s7, s16, exec_lo
.LBB1275_38:
	s_or_b32 exec_lo, exec_lo, s5
	s_and_b32 s5, s7, exec_lo
.LBB1275_39:
	s_or_b32 exec_lo, exec_lo, s4
	s_and_b32 s4, s5, exec_lo
.LBB1275_40:
	s_or_b32 exec_lo, exec_lo, s1
	s_waitcnt lgkmcnt(0)
	v_or_b32_e32 v2, v20, v17
	s_and_b32 s1, s4, exec_lo
	v_mov_b32_e32 v17, v2
.LBB1275_41:
	s_or_b32 exec_lo, exec_lo, s3
	s_and_b32 vcc_lo, exec_lo, s0
	s_cbranch_vccnz .LBB1275_43
	s_branch .LBB1275_51
.LBB1275_42:
                                        ; implicit-def: $sgpr2
                                        ; implicit-def: $vgpr4_vgpr5_vgpr6_vgpr7
                                        ; implicit-def: $vgpr19
                                        ; implicit-def: $vgpr2
                                        ; implicit-def: $vgpr17
                                        ; implicit-def: $vgpr3
	s_cbranch_execz .LBB1275_51
.LBB1275_43:
	v_lshlrev_b32_e32 v3, 2, v0
	s_cmp_eq_u64 s[20:21], 0
	v_add_co_u32 v1, s0, s8, v3
	v_add_co_ci_u32_e64 v2, null, s9, 0, s0
	v_mad_u32_u24 v12, v0, 24, v3
	s_clause 0x6
	flat_load_dword v4, v[1:2]
	flat_load_dword v5, v[1:2] offset:256
	flat_load_dword v6, v[1:2] offset:512
	flat_load_dword v7, v[1:2] offset:768
	flat_load_dword v8, v[1:2] offset:1024
	flat_load_dword v9, v[1:2] offset:1280
	flat_load_dword v1, v[1:2] offset:1536
	s_waitcnt vmcnt(5) lgkmcnt(5)
	ds_write2st64_b32 v3, v4, v5 offset1:1
	s_waitcnt vmcnt(3) lgkmcnt(4)
	ds_write2st64_b32 v3, v6, v7 offset0:2 offset1:3
	s_waitcnt vmcnt(1) lgkmcnt(3)
	ds_write2st64_b32 v3, v8, v9 offset0:4 offset1:5
	s_waitcnt vmcnt(0) lgkmcnt(3)
	ds_write_b32 v3, v1 offset:1536
	s_waitcnt lgkmcnt(0)
	s_barrier
	buffer_gl0_inv
	ds_read2_b32 v[7:8], v12 offset0:2 offset1:3
	ds_read2_b32 v[3:4], v12 offset1:1
	ds_read2_b32 v[1:2], v12 offset0:3 offset1:4
	ds_read2_b32 v[9:10], v12 offset0:1 offset1:2
	ds_read2_b32 v[5:6], v12 offset0:5 offset1:6
	s_cbranch_scc1 .LBB1275_48
; %bb.44:
	s_andn2_b32 vcc_lo, exec_lo, s34
	s_cbranch_vccnz .LBB1275_178
; %bb.45:
	s_lshl_b64 s[0:1], s[20:21], 2
	s_add_u32 s0, s22, s0
	s_addc_u32 s1, s23, s1
	s_add_u32 s0, s0, -4
	s_addc_u32 s1, s1, -1
	s_cbranch_execnz .LBB1275_47
.LBB1275_46:
	s_add_u32 s0, s8, -4
	s_addc_u32 s1, s9, -1
.LBB1275_47:
	s_mov_b64 s[8:9], s[0:1]
.LBB1275_48:
	v_mov_b32_e32 v14, s9
	v_mov_b32_e32 v13, s8
	v_mad_i32_i24 v12, 0xffffffe8, v0, v12
	s_mov_b32 s0, exec_lo
	flat_load_dword v11, v[13:14]
	s_waitcnt lgkmcnt(1)
	ds_write_b32 v12, v6 offset:1792
	s_waitcnt vmcnt(0) lgkmcnt(0)
	s_barrier
	buffer_gl0_inv
	v_cmpx_ne_u32_e32 0, v0
; %bb.49:
	ds_read_b32 v11, v12 offset:1788
; %bb.50:
	s_or_b32 exec_lo, exec_lo, s0
	v_lshlrev_b32_e32 v15, 1, v0
	s_waitcnt lgkmcnt(0)
	s_barrier
	buffer_gl0_inv
	v_cmp_eq_u32_e32 vcc_lo, v11, v3
	v_add_co_u32 v13, s0, s31, v15
	v_add_co_ci_u32_e64 v14, null, s33, 0, s0
	v_sub_nc_u32_e32 v12, v12, v15
	v_cmp_ne_u32_e64 s2, v5, v6
	v_cndmask_b32_e64 v6, 0x10000, 0, vcc_lo
	s_clause 0x6
	flat_load_ushort v16, v[13:14]
	flat_load_ushort v17, v[13:14] offset:128
	flat_load_ushort v18, v[13:14] offset:256
	;; [unrolled: 1-line block ×6, first 2 shown]
	v_cmp_ne_u32_e32 vcc_lo, v3, v9
	v_mad_u32_u24 v15, v0, 12, v12
	s_mov_b32 s1, -1
	s_waitcnt vmcnt(6) lgkmcnt(6)
	ds_write_b16 v12, v16
	s_waitcnt vmcnt(5) lgkmcnt(6)
	ds_write_b16 v12, v17 offset:128
	s_waitcnt vmcnt(4) lgkmcnt(6)
	ds_write_b16 v12, v18 offset:256
	;; [unrolled: 2-line block ×6, first 2 shown]
	s_waitcnt lgkmcnt(0)
	s_barrier
	buffer_gl0_inv
	ds_read_b96 v[12:14], v15
	ds_read_u16 v19, v15 offset:12
	v_cndmask_b32_e64 v3, 0, 0x10000, vcc_lo
	v_cmp_ne_u32_e32 vcc_lo, v7, v1
	v_cndmask_b32_e64 v1, 0, 0x10000, vcc_lo
	v_cmp_ne_u32_e32 vcc_lo, v8, v2
	;; [unrolled: 2-line block ×3, first 2 shown]
	v_cndmask_b32_e64 v4, 0, 0x10000, vcc_lo
	v_cmp_eq_u32_e32 vcc_lo, v2, v5
	s_waitcnt lgkmcnt(1)
	v_and_or_b32 v2, 0xffff, v12, v6
	v_and_or_b32 v7, 0xffff, v14, v7
	v_or_b32_sdwa v6, v1, v13 dst_sel:DWORD dst_unused:UNUSED_PAD src0_sel:DWORD src1_sel:WORD_1
	v_and_or_b32 v5, 0xffff, v13, v4
	v_cndmask_b32_e64 v8, 0x10000, 0, vcc_lo
	v_or_b32_sdwa v4, v3, v12 dst_sel:DWORD dst_unused:UNUSED_PAD src0_sel:DWORD src1_sel:WORD_1
	v_mov_b32_e32 v17, v2
	v_or_b32_sdwa v3, v8, v14 dst_sel:DWORD dst_unused:UNUSED_PAD src0_sel:DWORD src1_sel:WORD_1
.LBB1275_51:
	v_mov_b32_e32 v15, 0
	s_and_saveexec_b32 s0, s1
	s_cbranch_execz .LBB1275_53
; %bb.52:
	v_cndmask_b32_e64 v1, 0, 0x10000, s2
	v_mov_b32_e32 v17, v2
	s_waitcnt lgkmcnt(0)
	v_or_b32_sdwa v15, v1, v19 dst_sel:DWORD dst_unused:UNUSED_PAD src0_sel:DWORD src1_sel:WORD_0
.LBB1275_53:
	s_or_b32 exec_lo, exec_lo, s0
	v_cmp_gt_u32_e64 s5, 0x10000, v4
	v_cmp_gt_u32_e64 s4, 0x10000, v5
	;; [unrolled: 1-line block ×6, first 2 shown]
	v_mbcnt_lo_u32_b32 v16, -1, 0
	s_cmp_lg_u32 s6, 0
	s_waitcnt lgkmcnt(0)
	s_barrier
	buffer_gl0_inv
	s_cbranch_scc0 .LBB1275_107
; %bb.54:
	v_cndmask_b32_e64 v1, 0, v17, s5
	v_or_b32_e32 v2, v3, v15
	v_lshrrev_b32_e32 v18, 16, v17
	s_mov_b32 s7, exec_lo
	v_add_nc_u16 v1, v1, v4
	v_or3_b32 v2, v2, v7, v6
	v_cndmask_b32_e64 v1, 0, v1, s4
	v_or3_b32 v2, v2, v5, v4
	v_add_nc_u16 v1, v1, v5
	v_and_b32_e32 v2, 0xff0000, v2
	v_cndmask_b32_e64 v1, 0, v1, s3
	v_cmp_eq_u32_e32 vcc_lo, 0, v2
	v_add_nc_u16 v1, v1, v6
	v_cndmask_b32_e32 v2, 1, v18, vcc_lo
	v_cndmask_b32_e64 v1, 0, v1, s2
	v_and_b32_e32 v9, 0xff, v2
	v_add_nc_u16 v1, v1, v7
	v_cndmask_b32_e64 v1, 0, v1, s1
	v_add_nc_u16 v1, v1, v3
	v_cndmask_b32_e64 v1, 0, v1, s0
	v_add_nc_u16 v1, v1, v15
	v_and_b32_e32 v8, 0xffff, v1
	v_lshl_or_b32 v10, v9, 16, v8
	v_and_b32_e32 v8, 15, v16
	v_mov_b32_dpp v11, v10 row_shr:1 row_mask:0xf bank_mask:0xf
	v_cmpx_ne_u32_e32 0, v8
	s_cbranch_execz .LBB1275_56
; %bb.55:
	v_mov_b32_e32 v10, 1
	v_and_b32_e32 v2, 1, v2
	v_cmp_eq_u16_e32 vcc_lo, 0, v9
	v_and_b32_sdwa v10, v11, v10 dst_sel:DWORD dst_unused:UNUSED_PAD src0_sel:WORD_1 src1_sel:DWORD
	v_cndmask_b32_e32 v9, 0, v11, vcc_lo
	v_cmp_eq_u32_e32 vcc_lo, 1, v2
	v_add_nc_u16 v1, v9, v1
	v_cndmask_b32_e64 v2, v10, 1, vcc_lo
	v_lshlrev_b32_e32 v9, 16, v2
	v_or_b32_sdwa v10, v9, v1 dst_sel:DWORD dst_unused:UNUSED_PAD src0_sel:DWORD src1_sel:WORD_0
.LBB1275_56:
	s_or_b32 exec_lo, exec_lo, s7
	v_lshrrev_b32_e32 v9, 16, v10
	v_mov_b32_dpp v11, v10 row_shr:2 row_mask:0xf bank_mask:0xf
	s_mov_b32 s7, exec_lo
	v_cmpx_lt_u32_e32 1, v8
	s_cbranch_execz .LBB1275_58
; %bb.57:
	v_mov_b32_e32 v2, 1
	v_and_b32_e32 v9, 0x10000, v10
	v_cmp_gt_u32_e32 vcc_lo, 0x10000, v10
	v_and_b32_sdwa v2, v11, v2 dst_sel:DWORD dst_unused:UNUSED_PAD src0_sel:WORD_1 src1_sel:DWORD
	v_cndmask_b32_e32 v10, 0, v11, vcc_lo
	v_cmp_ne_u32_e32 vcc_lo, 0, v9
	v_add_nc_u16 v1, v10, v1
	v_cndmask_b32_e64 v2, v2, 1, vcc_lo
	v_lshlrev_b32_e32 v9, 16, v2
	v_or_b32_sdwa v10, v9, v1 dst_sel:DWORD dst_unused:UNUSED_PAD src0_sel:DWORD src1_sel:WORD_0
	v_mov_b32_e32 v9, v2
.LBB1275_58:
	s_or_b32 exec_lo, exec_lo, s7
	v_mov_b32_dpp v11, v10 row_shr:4 row_mask:0xf bank_mask:0xf
	s_mov_b32 s7, exec_lo
	v_cmpx_lt_u32_e32 3, v8
	s_cbranch_execz .LBB1275_60
; %bb.59:
	v_mov_b32_e32 v2, 1
	v_and_b32_e32 v10, 1, v9
	v_cmp_eq_u16_e32 vcc_lo, 0, v9
	v_and_b32_sdwa v2, v11, v2 dst_sel:DWORD dst_unused:UNUSED_PAD src0_sel:WORD_1 src1_sel:DWORD
	v_cndmask_b32_e32 v9, 0, v11, vcc_lo
	v_cmp_eq_u32_e32 vcc_lo, 1, v10
	v_add_nc_u16 v1, v9, v1
	v_cndmask_b32_e64 v2, v2, 1, vcc_lo
	v_lshlrev_b32_e32 v9, 16, v2
	v_or_b32_sdwa v10, v9, v1 dst_sel:DWORD dst_unused:UNUSED_PAD src0_sel:DWORD src1_sel:WORD_0
	v_mov_b32_e32 v9, v2
.LBB1275_60:
	s_or_b32 exec_lo, exec_lo, s7
	v_mov_b32_dpp v11, v10 row_shr:8 row_mask:0xf bank_mask:0xf
	s_mov_b32 s7, exec_lo
	v_cmpx_lt_u32_e32 7, v8
	s_cbranch_execz .LBB1275_62
; %bb.61:
	v_mov_b32_e32 v2, 1
	v_and_b32_e32 v8, 1, v9
	v_cmp_eq_u16_e32 vcc_lo, 0, v9
	v_and_b32_sdwa v2, v11, v2 dst_sel:DWORD dst_unused:UNUSED_PAD src0_sel:WORD_1 src1_sel:DWORD
	v_cndmask_b32_e32 v9, 0, v11, vcc_lo
	v_cmp_eq_u32_e32 vcc_lo, 1, v8
	v_add_nc_u16 v1, v9, v1
	v_cndmask_b32_e64 v2, v2, 1, vcc_lo
	v_lshlrev_b32_e32 v8, 16, v2
	v_mov_b32_e32 v9, v2
	v_or_b32_sdwa v10, v8, v1 dst_sel:DWORD dst_unused:UNUSED_PAD src0_sel:DWORD src1_sel:WORD_0
.LBB1275_62:
	s_or_b32 exec_lo, exec_lo, s7
	ds_swizzle_b32 v8, v10 offset:swizzle(BROADCAST,32,15)
	v_and_b32_e32 v10, 16, v16
	s_mov_b32 s7, exec_lo
	v_cmpx_ne_u32_e32 0, v10
	s_cbranch_execz .LBB1275_64
; %bb.63:
	v_mov_b32_e32 v2, 1
	v_cmp_eq_u16_e32 vcc_lo, 0, v9
	v_and_b32_e32 v9, 1, v9
	s_waitcnt lgkmcnt(0)
	v_and_b32_sdwa v2, v8, v2 dst_sel:DWORD dst_unused:UNUSED_PAD src0_sel:WORD_1 src1_sel:DWORD
	v_cndmask_b32_e32 v10, 0, v8, vcc_lo
	v_cmp_eq_u32_e32 vcc_lo, 1, v9
	v_add_nc_u16 v1, v10, v1
	v_cndmask_b32_e64 v2, v2, 1, vcc_lo
.LBB1275_64:
	s_or_b32 exec_lo, exec_lo, s7
	s_waitcnt lgkmcnt(0)
	v_or_b32_e32 v8, 31, v0
	v_lshrrev_b32_e32 v9, 5, v0
	v_cmp_eq_u32_e32 vcc_lo, v0, v8
	v_lshlrev_b32_e32 v8, 2, v9
	s_and_saveexec_b32 s7, vcc_lo
	s_cbranch_execz .LBB1275_66
; %bb.65:
	ds_write_b16 v8, v1
	ds_write_b8 v8, v2 offset:2
.LBB1275_66:
	s_or_b32 exec_lo, exec_lo, s7
	s_mov_b32 s7, exec_lo
	s_waitcnt lgkmcnt(0)
	s_barrier
	buffer_gl0_inv
	v_cmpx_gt_u32_e32 2, v0
	s_cbranch_execz .LBB1275_70
; %bb.67:
	v_lshlrev_b32_e32 v9, 2, v0
	v_and_b32_e32 v13, 1, v16
	s_mov_b32 s8, exec_lo
	ds_read_b32 v10, v9
	s_waitcnt lgkmcnt(0)
	v_lshrrev_b32_e32 v11, 16, v10
	v_mov_b32_dpp v12, v10 row_shr:1 row_mask:0xf bank_mask:0xf
	v_cmpx_eq_u32_e32 1, v13
	s_cbranch_execz .LBB1275_69
; %bb.68:
	v_mov_b32_e32 v13, 0
	v_mov_b32_e32 v14, 1
	v_cmp_eq_u16_sdwa vcc_lo, v11, v13 src0_sel:BYTE_0 src1_sel:DWORD
	v_and_b32_e32 v13, 0x10000, v10
	v_cndmask_b32_e32 v11, 0, v12, vcc_lo
	v_and_b32_sdwa v12, v12, v14 dst_sel:DWORD dst_unused:UNUSED_PAD src0_sel:WORD_1 src1_sel:DWORD
	v_cmp_ne_u32_e32 vcc_lo, 0, v13
	v_add_nc_u16 v10, v11, v10
	v_cndmask_b32_e64 v11, v12, 1, vcc_lo
.LBB1275_69:
	s_or_b32 exec_lo, exec_lo, s8
	ds_write_b16 v9, v10
	ds_write_b8 v9, v11 offset:2
.LBB1275_70:
	s_or_b32 exec_lo, exec_lo, s7
	v_mov_b32_e32 v19, 0
	v_mov_b32_e32 v20, 0
	s_mov_b32 s8, exec_lo
	v_cmp_gt_u32_e32 vcc_lo, 32, v0
	s_waitcnt lgkmcnt(0)
	s_barrier
	buffer_gl0_inv
	v_cmpx_lt_u32_e32 31, v0
	s_cbranch_execz .LBB1275_72
; %bb.71:
	v_add_nc_u32_e32 v9, -4, v8
	v_add_nc_u32_e32 v8, -2, v8
	ds_read_u16 v19, v9
	ds_read_u8 v20, v8
	v_mov_b32_e32 v8, 0
	v_cmp_eq_u16_sdwa s7, v2, v8 src0_sel:BYTE_0 src1_sel:DWORD
	v_and_b32_e32 v2, 1, v2
	s_waitcnt lgkmcnt(1)
	v_cndmask_b32_e64 v8, 0, v19, s7
	v_cmp_eq_u32_e64 s7, 1, v2
	v_add_nc_u16 v1, v8, v1
	s_waitcnt lgkmcnt(0)
	v_cndmask_b32_e64 v2, v20, 1, s7
.LBB1275_72:
	s_or_b32 exec_lo, exec_lo, s8
	v_sub_co_u32 v8, s7, v16, 1
	v_and_b32_e32 v2, 0xff, v2
	v_and_b32_e32 v1, 0xffff, v1
	v_cmp_gt_i32_e64 s8, 0, v8
	v_lshl_or_b32 v1, v2, 16, v1
	v_cndmask_b32_e64 v8, v8, v16, s8
	v_lshlrev_b32_e32 v2, 2, v8
	ds_bpermute_b32 v21, v2, v1
	s_and_saveexec_b32 s8, vcc_lo
	s_cbranch_execz .LBB1275_112
; %bb.73:
	v_mov_b32_e32 v12, 0
	ds_read_b32 v1, v12 offset:4
	s_and_saveexec_b32 s9, s7
	s_cbranch_execz .LBB1275_75
; %bb.74:
	s_add_i32 s16, s6, 32
	s_mov_b32 s17, 0
	v_mov_b32_e32 v2, 1
	s_lshl_b64 s[16:17], s[16:17], 3
	s_add_u32 s16, s24, s16
	s_addc_u32 s17, s25, s17
	s_waitcnt lgkmcnt(0)
	global_store_dwordx2 v12, v[1:2], s[16:17]
.LBB1275_75:
	s_or_b32 exec_lo, exec_lo, s9
	v_xad_u32 v8, v16, -1, s6
	s_mov_b32 s16, 0
	v_add_nc_u32_e32 v11, 32, v8
	v_lshlrev_b64 v[9:10], 3, v[11:12]
	v_add_co_u32 v13, vcc_lo, s24, v9
	v_add_co_ci_u32_e64 v14, null, s25, v10, vcc_lo
	global_load_dwordx2 v[10:11], v[13:14], off glc dlc
	s_waitcnt vmcnt(0)
	v_cmp_eq_u16_sdwa s17, v11, v12 src0_sel:BYTE_0 src1_sel:DWORD
	s_and_saveexec_b32 s9, s17
	s_cbranch_execz .LBB1275_79
; %bb.76:
	v_mov_b32_e32 v2, 0
.LBB1275_77:                            ; =>This Inner Loop Header: Depth=1
	global_load_dwordx2 v[10:11], v[13:14], off glc dlc
	s_waitcnt vmcnt(0)
	v_cmp_ne_u16_sdwa s17, v11, v2 src0_sel:BYTE_0 src1_sel:DWORD
	s_or_b32 s16, s17, s16
	s_andn2_b32 exec_lo, exec_lo, s16
	s_cbranch_execnz .LBB1275_77
; %bb.78:
	s_or_b32 exec_lo, exec_lo, s16
.LBB1275_79:
	s_or_b32 exec_lo, exec_lo, s9
	v_cmp_ne_u32_e32 vcc_lo, 31, v16
	v_and_b32_e32 v28, 0xffffff, v10
	v_mov_b32_e32 v9, 2
	v_lshlrev_b32_e64 v14, v16, -1
	v_lshrrev_b32_e32 v12, 16, v10
	v_add_co_ci_u32_e64 v2, null, 0, v16, vcc_lo
	v_cmp_eq_u16_sdwa s9, v11, v9 src0_sel:BYTE_0 src1_sel:DWORD
	v_bfe_u32 v13, v10, 16, 8
	v_lshlrev_b32_e32 v2, 2, v2
	v_and_or_b32 v9, s9, v14, 0x80000000
	s_mov_b32 s9, exec_lo
	ds_bpermute_b32 v22, v2, v28
	v_ffbl_b32_e32 v9, v9
	v_cmpx_lt_u32_e64 v16, v9
	s_cbranch_execz .LBB1275_81
; %bb.80:
	v_and_b32_e32 v12, 0xff0000, v10
	v_mov_b32_e32 v13, 1
	v_and_b32_e32 v23, 0x10000, v12
	v_cmp_eq_u32_e32 vcc_lo, 0, v12
	s_waitcnt lgkmcnt(0)
	v_and_b32_sdwa v13, v22, v13 dst_sel:DWORD dst_unused:UNUSED_PAD src0_sel:WORD_1 src1_sel:DWORD
	v_cndmask_b32_e32 v22, 0, v22, vcc_lo
	v_cmp_ne_u32_e32 vcc_lo, 0, v23
	v_add_nc_u16 v10, v22, v10
	v_cndmask_b32_e64 v12, v13, 1, vcc_lo
	v_lshlrev_b32_e32 v13, 16, v12
	v_or_b32_sdwa v28, v13, v10 dst_sel:DWORD dst_unused:UNUSED_PAD src0_sel:DWORD src1_sel:WORD_0
	v_mov_b32_e32 v13, v12
.LBB1275_81:
	s_or_b32 exec_lo, exec_lo, s9
	v_cmp_gt_u32_e32 vcc_lo, 30, v16
	v_add_nc_u32_e32 v23, 2, v16
	s_mov_b32 s9, exec_lo
	s_waitcnt lgkmcnt(0)
	v_cndmask_b32_e64 v22, 0, 2, vcc_lo
	v_add_lshl_u32 v22, v22, v16, 2
	ds_bpermute_b32 v24, v22, v28
	v_cmpx_le_u32_e64 v23, v9
	s_cbranch_execz .LBB1275_83
; %bb.82:
	v_mov_b32_e32 v12, 1
	v_and_b32_e32 v25, 1, v13
	v_cmp_eq_u16_e32 vcc_lo, 0, v13
	s_waitcnt lgkmcnt(0)
	v_and_b32_sdwa v12, v24, v12 dst_sel:DWORD dst_unused:UNUSED_PAD src0_sel:WORD_1 src1_sel:DWORD
	v_cndmask_b32_e32 v13, 0, v24, vcc_lo
	v_cmp_eq_u32_e32 vcc_lo, 1, v25
	v_add_nc_u16 v10, v13, v10
	v_cndmask_b32_e64 v12, v12, 1, vcc_lo
	v_lshlrev_b32_e32 v13, 16, v12
	v_or_b32_sdwa v28, v13, v10 dst_sel:DWORD dst_unused:UNUSED_PAD src0_sel:DWORD src1_sel:WORD_0
	v_mov_b32_e32 v13, v12
.LBB1275_83:
	s_or_b32 exec_lo, exec_lo, s9
	v_cmp_gt_u32_e32 vcc_lo, 28, v16
	v_add_nc_u32_e32 v25, 4, v16
	s_mov_b32 s9, exec_lo
	s_waitcnt lgkmcnt(0)
	v_cndmask_b32_e64 v24, 0, 4, vcc_lo
	v_add_lshl_u32 v24, v24, v16, 2
	ds_bpermute_b32 v26, v24, v28
	v_cmpx_le_u32_e64 v25, v9
	s_cbranch_execz .LBB1275_85
; %bb.84:
	v_mov_b32_e32 v12, 1
	v_and_b32_e32 v27, 1, v13
	v_cmp_eq_u16_e32 vcc_lo, 0, v13
	s_waitcnt lgkmcnt(0)
	v_and_b32_sdwa v12, v26, v12 dst_sel:DWORD dst_unused:UNUSED_PAD src0_sel:WORD_1 src1_sel:DWORD
	v_cndmask_b32_e32 v13, 0, v26, vcc_lo
	v_cmp_eq_u32_e32 vcc_lo, 1, v27
	v_add_nc_u16 v10, v13, v10
	v_cndmask_b32_e64 v12, v12, 1, vcc_lo
	v_lshlrev_b32_e32 v13, 16, v12
	v_or_b32_sdwa v28, v13, v10 dst_sel:DWORD dst_unused:UNUSED_PAD src0_sel:DWORD src1_sel:WORD_0
	v_mov_b32_e32 v13, v12
.LBB1275_85:
	s_or_b32 exec_lo, exec_lo, s9
	v_cmp_gt_u32_e32 vcc_lo, 24, v16
	v_add_nc_u32_e32 v27, 8, v16
	s_mov_b32 s9, exec_lo
	s_waitcnt lgkmcnt(0)
	v_cndmask_b32_e64 v26, 0, 8, vcc_lo
	v_add_lshl_u32 v26, v26, v16, 2
	ds_bpermute_b32 v29, v26, v28
	v_cmpx_le_u32_e64 v27, v9
	s_cbranch_execz .LBB1275_87
; %bb.86:
	v_mov_b32_e32 v12, 1
	v_and_b32_e32 v28, 1, v13
	v_cmp_eq_u16_e32 vcc_lo, 0, v13
	s_waitcnt lgkmcnt(0)
	v_and_b32_sdwa v12, v29, v12 dst_sel:DWORD dst_unused:UNUSED_PAD src0_sel:WORD_1 src1_sel:DWORD
	v_cndmask_b32_e32 v13, 0, v29, vcc_lo
	v_cmp_eq_u32_e32 vcc_lo, 1, v28
	v_add_nc_u16 v10, v13, v10
	v_cndmask_b32_e64 v12, v12, 1, vcc_lo
	v_lshlrev_b32_e32 v13, 16, v12
	v_or_b32_sdwa v28, v13, v10 dst_sel:DWORD dst_unused:UNUSED_PAD src0_sel:DWORD src1_sel:WORD_0
	v_mov_b32_e32 v13, v12
.LBB1275_87:
	s_or_b32 exec_lo, exec_lo, s9
	v_lshl_or_b32 v30, v16, 2, 64
	v_add_nc_u32_e32 v31, 16, v16
	s_mov_b32 s9, exec_lo
	ds_bpermute_b32 v28, v30, v28
	v_cmpx_le_u32_e64 v31, v9
	s_cbranch_execz .LBB1275_89
; %bb.88:
	v_mov_b32_e32 v9, 1
	v_cmp_eq_u16_e32 vcc_lo, 0, v13
	v_and_b32_e32 v13, 1, v13
	s_waitcnt lgkmcnt(0)
	v_and_b32_sdwa v9, v28, v9 dst_sel:DWORD dst_unused:UNUSED_PAD src0_sel:WORD_1 src1_sel:DWORD
	v_cndmask_b32_e32 v12, 0, v28, vcc_lo
	v_cmp_eq_u32_e32 vcc_lo, 1, v13
	v_add_nc_u16 v10, v12, v10
	v_cndmask_b32_e64 v12, v9, 1, vcc_lo
.LBB1275_89:
	s_or_b32 exec_lo, exec_lo, s9
	v_mov_b32_e32 v9, 0
	v_mov_b32_e32 v32, 2
	;; [unrolled: 1-line block ×3, first 2 shown]
	s_branch .LBB1275_92
.LBB1275_90:                            ;   in Loop: Header=BB1275_92 Depth=1
	s_or_b32 exec_lo, exec_lo, s9
	v_cmp_eq_u16_sdwa vcc_lo, v28, v9 src0_sel:BYTE_0 src1_sel:DWORD
	v_and_b32_e32 v12, 1, v28
	v_and_b32_e32 v13, 1, v13
	v_subrev_nc_u32_e32 v8, 32, v8
	s_mov_b32 s9, 0
	v_cndmask_b32_e32 v10, 0, v10, vcc_lo
	v_cmp_eq_u32_e32 vcc_lo, 1, v12
	v_add_nc_u16 v10, v10, v29
	v_cndmask_b32_e64 v12, v13, 1, vcc_lo
.LBB1275_91:                            ;   in Loop: Header=BB1275_92 Depth=1
	s_and_b32 vcc_lo, exec_lo, s9
	s_cbranch_vccnz .LBB1275_108
.LBB1275_92:                            ; =>This Loop Header: Depth=1
                                        ;     Child Loop BB1275_95 Depth 2
	v_cmp_ne_u16_sdwa s9, v11, v32 src0_sel:BYTE_0 src1_sel:DWORD
	s_waitcnt lgkmcnt(0)
	v_mov_b32_e32 v28, v12
	v_mov_b32_e32 v29, v10
                                        ; implicit-def: $vgpr12
                                        ; implicit-def: $vgpr10
	s_cmp_lg_u32 s9, exec_lo
	s_mov_b32 s9, -1
	s_cbranch_scc1 .LBB1275_91
; %bb.93:                               ;   in Loop: Header=BB1275_92 Depth=1
	v_lshlrev_b64 v[10:11], 3, v[8:9]
	v_add_co_u32 v12, vcc_lo, s24, v10
	v_add_co_ci_u32_e64 v13, null, s25, v11, vcc_lo
	global_load_dwordx2 v[10:11], v[12:13], off glc dlc
	s_waitcnt vmcnt(0)
	v_cmp_eq_u16_sdwa s16, v11, v9 src0_sel:BYTE_0 src1_sel:DWORD
	s_and_saveexec_b32 s9, s16
	s_cbranch_execz .LBB1275_97
; %bb.94:                               ;   in Loop: Header=BB1275_92 Depth=1
	s_mov_b32 s16, 0
.LBB1275_95:                            ;   Parent Loop BB1275_92 Depth=1
                                        ; =>  This Inner Loop Header: Depth=2
	global_load_dwordx2 v[10:11], v[12:13], off glc dlc
	s_waitcnt vmcnt(0)
	v_cmp_ne_u16_sdwa s17, v11, v9 src0_sel:BYTE_0 src1_sel:DWORD
	s_or_b32 s16, s17, s16
	s_andn2_b32 exec_lo, exec_lo, s16
	s_cbranch_execnz .LBB1275_95
; %bb.96:                               ;   in Loop: Header=BB1275_92 Depth=1
	s_or_b32 exec_lo, exec_lo, s16
.LBB1275_97:                            ;   in Loop: Header=BB1275_92 Depth=1
	s_or_b32 exec_lo, exec_lo, s9
	v_and_b32_e32 v35, 0xffffff, v10
	v_cmp_eq_u16_sdwa s9, v11, v32 src0_sel:BYTE_0 src1_sel:DWORD
	v_lshrrev_b32_e32 v13, 16, v10
	v_bfe_u32 v34, v10, 16, 8
	ds_bpermute_b32 v36, v2, v35
	v_and_or_b32 v12, s9, v14, 0x80000000
	s_mov_b32 s9, exec_lo
	v_ffbl_b32_e32 v12, v12
	v_cmpx_lt_u32_e64 v16, v12
	s_cbranch_execz .LBB1275_99
; %bb.98:                               ;   in Loop: Header=BB1275_92 Depth=1
	v_and_b32_e32 v13, 0xff0000, v10
	s_waitcnt lgkmcnt(0)
	v_and_b32_sdwa v35, v36, v33 dst_sel:DWORD dst_unused:UNUSED_PAD src0_sel:WORD_1 src1_sel:DWORD
	v_and_b32_e32 v34, 0x10000, v13
	v_cmp_eq_u32_e32 vcc_lo, 0, v13
	v_cndmask_b32_e32 v36, 0, v36, vcc_lo
	v_cmp_ne_u32_e32 vcc_lo, 0, v34
	v_add_nc_u16 v10, v36, v10
	v_cndmask_b32_e64 v13, v35, 1, vcc_lo
	v_lshlrev_b32_e32 v34, 16, v13
	v_or_b32_sdwa v35, v34, v10 dst_sel:DWORD dst_unused:UNUSED_PAD src0_sel:DWORD src1_sel:WORD_0
	v_mov_b32_e32 v34, v13
.LBB1275_99:                            ;   in Loop: Header=BB1275_92 Depth=1
	s_or_b32 exec_lo, exec_lo, s9
	s_waitcnt lgkmcnt(0)
	ds_bpermute_b32 v36, v22, v35
	s_mov_b32 s9, exec_lo
	v_cmpx_le_u32_e64 v23, v12
	s_cbranch_execz .LBB1275_101
; %bb.100:                              ;   in Loop: Header=BB1275_92 Depth=1
	v_and_b32_e32 v13, 1, v34
	v_cmp_eq_u16_e32 vcc_lo, 0, v34
	s_waitcnt lgkmcnt(0)
	v_and_b32_sdwa v35, v36, v33 dst_sel:DWORD dst_unused:UNUSED_PAD src0_sel:WORD_1 src1_sel:DWORD
	v_cndmask_b32_e32 v34, 0, v36, vcc_lo
	v_cmp_eq_u32_e32 vcc_lo, 1, v13
	v_add_nc_u16 v10, v34, v10
	v_cndmask_b32_e64 v13, v35, 1, vcc_lo
	v_lshlrev_b32_e32 v34, 16, v13
	v_or_b32_sdwa v35, v34, v10 dst_sel:DWORD dst_unused:UNUSED_PAD src0_sel:DWORD src1_sel:WORD_0
	v_mov_b32_e32 v34, v13
.LBB1275_101:                           ;   in Loop: Header=BB1275_92 Depth=1
	s_or_b32 exec_lo, exec_lo, s9
	s_waitcnt lgkmcnt(0)
	ds_bpermute_b32 v36, v24, v35
	s_mov_b32 s9, exec_lo
	v_cmpx_le_u32_e64 v25, v12
	s_cbranch_execz .LBB1275_103
; %bb.102:                              ;   in Loop: Header=BB1275_92 Depth=1
	v_and_b32_e32 v13, 1, v34
	v_cmp_eq_u16_e32 vcc_lo, 0, v34
	s_waitcnt lgkmcnt(0)
	v_and_b32_sdwa v35, v36, v33 dst_sel:DWORD dst_unused:UNUSED_PAD src0_sel:WORD_1 src1_sel:DWORD
	v_cndmask_b32_e32 v34, 0, v36, vcc_lo
	v_cmp_eq_u32_e32 vcc_lo, 1, v13
	v_add_nc_u16 v10, v34, v10
	v_cndmask_b32_e64 v13, v35, 1, vcc_lo
	v_lshlrev_b32_e32 v34, 16, v13
	v_or_b32_sdwa v35, v34, v10 dst_sel:DWORD dst_unused:UNUSED_PAD src0_sel:DWORD src1_sel:WORD_0
	v_mov_b32_e32 v34, v13
.LBB1275_103:                           ;   in Loop: Header=BB1275_92 Depth=1
	;; [unrolled: 19-line block ×3, first 2 shown]
	s_or_b32 exec_lo, exec_lo, s9
	ds_bpermute_b32 v35, v30, v35
	s_mov_b32 s9, exec_lo
	v_cmpx_le_u32_e64 v31, v12
	s_cbranch_execz .LBB1275_90
; %bb.106:                              ;   in Loop: Header=BB1275_92 Depth=1
	v_cmp_eq_u16_e32 vcc_lo, 0, v34
	v_and_b32_e32 v13, 1, v34
	s_waitcnt lgkmcnt(0)
	v_lshrrev_b32_e32 v34, 16, v35
	v_cndmask_b32_e32 v12, 0, v35, vcc_lo
	v_cmp_eq_u32_e32 vcc_lo, 1, v13
	v_add_nc_u16 v10, v12, v10
	v_cndmask_b32_e64 v13, v34, 1, vcc_lo
	s_branch .LBB1275_90
.LBB1275_107:
                                        ; implicit-def: $vgpr14
                                        ; implicit-def: $vgpr8
                                        ; implicit-def: $vgpr9
                                        ; implicit-def: $vgpr10
                                        ; implicit-def: $vgpr11
                                        ; implicit-def: $vgpr12
                                        ; implicit-def: $vgpr13
	s_cbranch_execnz .LBB1275_113
	s_branch .LBB1275_138
.LBB1275_108:
	s_and_saveexec_b32 s9, s7
	s_cbranch_execz .LBB1275_110
; %bb.109:
	v_and_b32_e32 v2, 0xff0000, v1
	v_mov_b32_e32 v8, 1
	v_and_b32_e32 v9, 0x10000, v1
	s_mov_b32 s17, 0
	s_add_i32 s16, s6, 32
	v_cmp_eq_u32_e32 vcc_lo, 0, v2
	v_and_b32_sdwa v8, v28, v8 dst_sel:WORD_1 dst_unused:UNUSED_PAD src0_sel:DWORD src1_sel:DWORD
	s_lshl_b64 s[16:17], s[16:17], 3
	s_add_u32 s16, s24, s16
	v_cndmask_b32_e32 v2, 0, v29, vcc_lo
	v_cmp_eq_u32_e32 vcc_lo, 0, v9
	s_addc_u32 s17, s25, s17
	v_add_nc_u16 v1, v2, v1
	v_cndmask_b32_e32 v2, 0x10000, v8, vcc_lo
	v_mov_b32_e32 v8, 0
	v_or_b32_sdwa v1, v2, v1 dst_sel:DWORD dst_unused:UNUSED_PAD src0_sel:DWORD src1_sel:WORD_0
	v_mov_b32_e32 v2, 2
	global_store_dwordx2 v8, v[1:2], s[16:17]
.LBB1275_110:
	s_or_b32 exec_lo, exec_lo, s9
	v_cmp_eq_u32_e32 vcc_lo, 0, v0
	s_and_b32 exec_lo, exec_lo, vcc_lo
	s_cbranch_execz .LBB1275_112
; %bb.111:
	v_mov_b32_e32 v1, 0
	ds_write_b16 v1, v29 offset:4
	ds_write_b8 v1, v28 offset:6
.LBB1275_112:
	s_or_b32 exec_lo, exec_lo, s8
	s_mov_b32 vcc_lo, s7
	v_mov_b32_e32 v1, 0
	s_waitcnt lgkmcnt(0)
	v_cndmask_b32_sdwa v2, v21, v20, vcc_lo dst_sel:DWORD dst_unused:UNUSED_PAD src0_sel:WORD_1 src1_sel:DWORD
	v_cndmask_b32_e64 v8, v21, v19, s7
	v_and_b32_e32 v10, 0x10000, v17
	v_cmp_gt_u32_e32 vcc_lo, 0x10000, v17
	s_waitcnt_vscnt null, 0x0
	s_barrier
	buffer_gl0_inv
	ds_read_b32 v9, v1 offset:4
	v_and_b32_e32 v2, 1, v2
	v_cndmask_b32_e32 v8, 0, v8, vcc_lo
	v_cmp_ne_u32_e32 vcc_lo, 0, v10
	v_cndmask_b32_e64 v2, v2, 1, vcc_lo
	v_cmp_eq_u32_e32 vcc_lo, 0, v0
	v_cndmask_b32_e32 v2, v2, v18, vcc_lo
	v_cndmask_b32_e64 v8, v8, 0, vcc_lo
	v_cmp_eq_u16_sdwa vcc_lo, v2, v1 src0_sel:BYTE_0 src1_sel:DWORD
	v_add_nc_u16 v8, v8, v17
	s_waitcnt lgkmcnt(0)
	v_cndmask_b32_e32 v1, 0, v9, vcc_lo
	v_add_nc_u16 v1, v8, v1
	v_cndmask_b32_e64 v2, 0, v1, s5
	v_and_b32_e32 v14, 0xffff, v1
	v_add_nc_u16 v8, v2, v4
	v_cndmask_b32_e64 v2, 0, v8, s4
	v_add_nc_u16 v9, v2, v5
	v_cndmask_b32_e64 v2, 0, v9, s3
	;; [unrolled: 2-line block ×5, first 2 shown]
	v_add_nc_u16 v2, v2, v15
	v_and_b32_e32 v13, 0xffff, v2
	s_branch .LBB1275_138
.LBB1275_113:
	s_cmp_lg_u64 s[28:29], 0
	v_cmp_eq_u32_e64 s0, 0, v0
	s_cselect_b32 s1, -1, 0
	s_cmp_lg_u64 s[18:19], 0
	v_cmp_ne_u32_e32 vcc_lo, 0, v0
	s_cselect_b32 s2, -1, 0
	s_and_b32 s1, s1, s2
	s_and_b32 s1, s0, s1
	s_and_saveexec_b32 s2, s1
	s_cbranch_execz .LBB1275_115
; %bb.114:
	v_mov_b32_e32 v1, 0
	v_mov_b32_e32 v8, 1
	v_cmp_gt_u32_e64 s1, 0x10000, v17
	v_and_b32_e32 v9, 0x10000, v17
	s_clause 0x1
	global_load_ushort v2, v1, s[18:19]
	global_load_ubyte v1, v1, s[18:19] offset:2
	s_waitcnt vmcnt(1)
	v_cndmask_b32_e64 v2, 0, v2, s1
	s_waitcnt vmcnt(0)
	v_and_b32_sdwa v1, v1, v8 dst_sel:WORD_1 dst_unused:UNUSED_PAD src0_sel:DWORD src1_sel:DWORD
	v_cmp_eq_u32_e64 s1, 0, v9
	v_add_nc_u16 v2, v2, v17
	v_cndmask_b32_e64 v1, 0x10000, v1, s1
	v_or_b32_sdwa v17, v1, v2 dst_sel:DWORD dst_unused:UNUSED_PAD src0_sel:DWORD src1_sel:WORD_0
.LBB1275_115:
	s_or_b32 exec_lo, exec_lo, s2
	v_cmp_gt_u32_e64 s1, 0x10000, v4
	v_cmp_gt_u32_e64 s2, 0x10000, v5
	;; [unrolled: 1-line block ×4, first 2 shown]
	v_or_b32_e32 v2, v5, v7
	v_cndmask_b32_e64 v1, 0, v17, s1
	v_cmp_gt_u32_e64 s5, 0x10000, v3
	v_cmp_gt_u32_e64 s6, 0x10000, v15
	v_and_b32_e32 v14, 15, v16
	s_mov_b32 s8, exec_lo
	v_add_nc_u16 v8, v1, v4
	v_cndmask_b32_e64 v1, 0, v8, s2
	v_add_nc_u16 v9, v1, v5
	v_cndmask_b32_e64 v1, 0, v9, s3
	;; [unrolled: 2-line block ×3, first 2 shown]
	v_add_nc_u16 v11, v1, v7
	v_or3_b32 v1, v4, v6, v2
	v_cndmask_b32_e64 v2, 0, v11, s5
	v_or3_b32 v1, v1, v3, v15
	v_add_nc_u16 v12, v2, v3
	v_and_b32_e32 v1, 0xff0000, v1
	v_lshrrev_b32_e32 v2, 16, v17
	v_cndmask_b32_e64 v13, 0, v12, s6
	v_cmp_eq_u32_e64 s7, 0, v1
	v_add_nc_u16 v1, v13, v15
	v_cndmask_b32_e64 v2, 1, v2, s7
	v_and_b32_e32 v13, 0xffff, v1
	v_and_b32_e32 v18, 0xff, v2
	v_lshl_or_b32 v19, v18, 16, v13
	v_mov_b32_dpp v20, v19 row_shr:1 row_mask:0xf bank_mask:0xf
	v_cmpx_ne_u32_e32 0, v14
	s_cbranch_execz .LBB1275_117
; %bb.116:
	v_mov_b32_e32 v19, 1
	v_and_b32_e32 v2, 1, v2
	v_cmp_eq_u16_e64 s7, 0, v18
	v_and_b32_sdwa v19, v20, v19 dst_sel:DWORD dst_unused:UNUSED_PAD src0_sel:WORD_1 src1_sel:DWORD
	v_cndmask_b32_e64 v18, 0, v20, s7
	v_cmp_eq_u32_e64 s7, 1, v2
	v_add_nc_u16 v1, v1, v18
	v_cndmask_b32_e64 v2, v19, 1, s7
	v_lshlrev_b32_e32 v18, 16, v2
	v_or_b32_sdwa v19, v18, v1 dst_sel:DWORD dst_unused:UNUSED_PAD src0_sel:DWORD src1_sel:WORD_0
.LBB1275_117:
	s_or_b32 exec_lo, exec_lo, s8
	v_lshrrev_b32_e32 v18, 16, v19
	v_mov_b32_dpp v20, v19 row_shr:2 row_mask:0xf bank_mask:0xf
	s_mov_b32 s8, exec_lo
	v_cmpx_lt_u32_e32 1, v14
	s_cbranch_execz .LBB1275_119
; %bb.118:
	v_mov_b32_e32 v2, 1
	v_and_b32_e32 v18, 0x10000, v19
	v_cmp_gt_u32_e64 s7, 0x10000, v19
	v_and_b32_sdwa v2, v20, v2 dst_sel:DWORD dst_unused:UNUSED_PAD src0_sel:WORD_1 src1_sel:DWORD
	v_cndmask_b32_e64 v19, 0, v20, s7
	v_cmp_ne_u32_e64 s7, 0, v18
	v_add_nc_u16 v1, v19, v1
	v_cndmask_b32_e64 v2, v2, 1, s7
	v_lshlrev_b32_e32 v18, 16, v2
	v_or_b32_sdwa v19, v18, v1 dst_sel:DWORD dst_unused:UNUSED_PAD src0_sel:DWORD src1_sel:WORD_0
	v_mov_b32_e32 v18, v2
.LBB1275_119:
	s_or_b32 exec_lo, exec_lo, s8
	v_mov_b32_dpp v20, v19 row_shr:4 row_mask:0xf bank_mask:0xf
	s_mov_b32 s8, exec_lo
	v_cmpx_lt_u32_e32 3, v14
	s_cbranch_execz .LBB1275_121
; %bb.120:
	v_mov_b32_e32 v2, 1
	v_and_b32_e32 v19, 1, v18
	v_cmp_eq_u16_e64 s7, 0, v18
	v_and_b32_sdwa v2, v20, v2 dst_sel:DWORD dst_unused:UNUSED_PAD src0_sel:WORD_1 src1_sel:DWORD
	v_cndmask_b32_e64 v18, 0, v20, s7
	v_cmp_eq_u32_e64 s7, 1, v19
	v_add_nc_u16 v1, v18, v1
	v_cndmask_b32_e64 v2, v2, 1, s7
	v_lshlrev_b32_e32 v18, 16, v2
	v_or_b32_sdwa v19, v18, v1 dst_sel:DWORD dst_unused:UNUSED_PAD src0_sel:DWORD src1_sel:WORD_0
	v_mov_b32_e32 v18, v2
.LBB1275_121:
	s_or_b32 exec_lo, exec_lo, s8
	v_mov_b32_dpp v20, v19 row_shr:8 row_mask:0xf bank_mask:0xf
	s_mov_b32 s8, exec_lo
	v_cmpx_lt_u32_e32 7, v14
	s_cbranch_execz .LBB1275_123
; %bb.122:
	v_mov_b32_e32 v2, 1
	v_and_b32_e32 v14, 1, v18
	v_cmp_eq_u16_e64 s7, 0, v18
	v_and_b32_sdwa v2, v20, v2 dst_sel:DWORD dst_unused:UNUSED_PAD src0_sel:WORD_1 src1_sel:DWORD
	v_cndmask_b32_e64 v18, 0, v20, s7
	v_cmp_eq_u32_e64 s7, 1, v14
	v_add_nc_u16 v1, v18, v1
	v_cndmask_b32_e64 v2, v2, 1, s7
	v_lshlrev_b32_e32 v14, 16, v2
	v_mov_b32_e32 v18, v2
	v_or_b32_sdwa v19, v14, v1 dst_sel:DWORD dst_unused:UNUSED_PAD src0_sel:DWORD src1_sel:WORD_0
.LBB1275_123:
	s_or_b32 exec_lo, exec_lo, s8
	ds_swizzle_b32 v14, v19 offset:swizzle(BROADCAST,32,15)
	v_and_b32_e32 v19, 16, v16
	s_mov_b32 s8, exec_lo
	v_cmpx_ne_u32_e32 0, v19
	s_cbranch_execz .LBB1275_125
; %bb.124:
	v_mov_b32_e32 v2, 1
	v_cmp_eq_u16_e64 s7, 0, v18
	v_and_b32_e32 v18, 1, v18
	s_waitcnt lgkmcnt(0)
	v_and_b32_sdwa v2, v14, v2 dst_sel:DWORD dst_unused:UNUSED_PAD src0_sel:WORD_1 src1_sel:DWORD
	v_cndmask_b32_e64 v19, 0, v14, s7
	v_cmp_eq_u32_e64 s7, 1, v18
	v_add_nc_u16 v1, v19, v1
	v_cndmask_b32_e64 v2, v2, 1, s7
.LBB1275_125:
	s_or_b32 exec_lo, exec_lo, s8
	s_waitcnt lgkmcnt(0)
	v_or_b32_e32 v14, 31, v0
	v_lshrrev_b32_e32 v18, 5, v0
	v_cmp_eq_u32_e64 s7, v0, v14
	v_lshlrev_b32_e32 v14, 2, v18
	s_and_saveexec_b32 s8, s7
	s_cbranch_execz .LBB1275_127
; %bb.126:
	ds_write_b16 v14, v1
	ds_write_b8 v14, v2 offset:2
.LBB1275_127:
	s_or_b32 exec_lo, exec_lo, s8
	s_mov_b32 s8, exec_lo
	s_waitcnt lgkmcnt(0)
	s_barrier
	buffer_gl0_inv
	v_cmpx_gt_u32_e32 2, v0
	s_cbranch_execz .LBB1275_131
; %bb.128:
	v_lshlrev_b32_e32 v18, 2, v0
	v_and_b32_e32 v22, 1, v16
	s_mov_b32 s9, exec_lo
	ds_read_b32 v19, v18
	s_waitcnt lgkmcnt(0)
	v_lshrrev_b32_e32 v20, 16, v19
	v_mov_b32_dpp v21, v19 row_shr:1 row_mask:0xf bank_mask:0xf
	v_cmpx_eq_u32_e32 1, v22
	s_cbranch_execz .LBB1275_130
; %bb.129:
	v_mov_b32_e32 v22, 0
	v_mov_b32_e32 v23, 1
	v_cmp_eq_u16_sdwa s7, v20, v22 src0_sel:BYTE_0 src1_sel:DWORD
	v_and_b32_e32 v22, 0x10000, v19
	v_cndmask_b32_e64 v20, 0, v21, s7
	v_and_b32_sdwa v21, v21, v23 dst_sel:DWORD dst_unused:UNUSED_PAD src0_sel:WORD_1 src1_sel:DWORD
	v_cmp_ne_u32_e64 s7, 0, v22
	v_add_nc_u16 v19, v20, v19
	v_cndmask_b32_e64 v20, v21, 1, s7
.LBB1275_130:
	s_or_b32 exec_lo, exec_lo, s9
	ds_write_b16 v18, v19
	ds_write_b8 v18, v20 offset:2
.LBB1275_131:
	s_or_b32 exec_lo, exec_lo, s8
	v_mov_b32_e32 v18, 0
	s_mov_b32 s8, exec_lo
	s_waitcnt lgkmcnt(0)
	s_barrier
	buffer_gl0_inv
	v_cmpx_lt_u32_e32 31, v0
	s_cbranch_execz .LBB1275_133
; %bb.132:
	v_add_nc_u32_e32 v18, -4, v14
	v_add_nc_u32_e32 v14, -2, v14
	v_mov_b32_e32 v19, 0
	ds_read_u16 v18, v18
	ds_read_u8 v14, v14
	v_cmp_eq_u16_sdwa s7, v2, v19 src0_sel:BYTE_0 src1_sel:DWORD
	v_and_b32_e32 v2, 1, v2
	s_waitcnt lgkmcnt(1)
	v_cndmask_b32_e64 v19, 0, v18, s7
	v_cmp_eq_u32_e64 s7, 1, v2
	v_add_nc_u16 v1, v19, v1
	s_waitcnt lgkmcnt(0)
	v_cndmask_b32_e64 v2, v14, 1, s7
.LBB1275_133:
	s_or_b32 exec_lo, exec_lo, s8
	v_add_nc_u32_e32 v14, -1, v16
	v_and_b32_e32 v2, 0xff, v2
	v_and_b32_e32 v1, 0xffff, v1
	v_cmp_gt_i32_e64 s7, 0, v14
	v_lshl_or_b32 v1, v2, 16, v1
	v_cndmask_b32_e64 v14, v14, v16, s7
	v_lshlrev_b32_e32 v2, 2, v14
	ds_bpermute_b32 v1, v2, v1
	s_and_saveexec_b32 s8, vcc_lo
	s_cbranch_execz .LBB1275_135
; %bb.134:
	v_cmp_eq_u32_e64 s7, 0, v16
	v_cmp_gt_u32_e32 vcc_lo, 0x10000, v17
	v_mov_b32_e32 v2, 0
	;;#ASMSTART
	;;#ASMEND
	s_waitcnt lgkmcnt(0)
	v_cndmask_b32_e64 v1, v1, v18, s7
	v_cndmask_b32_sdwa v1, v2, v1, vcc_lo dst_sel:DWORD dst_unused:UNUSED_PAD src0_sel:DWORD src1_sel:WORD_0
	v_add_nc_u32_e32 v17, v1, v17
	v_cndmask_b32_e64 v1, 0, v17, s1
	v_add_nc_u16 v8, v1, v4
	v_cndmask_b32_e64 v1, 0, v8, s2
	v_add_nc_u16 v9, v1, v5
	;; [unrolled: 2-line block ×6, first 2 shown]
	v_and_b32_e32 v13, 0xffff, v1
.LBB1275_135:
	s_or_b32 exec_lo, exec_lo, s8
	s_and_saveexec_b32 s1, s0
	s_cbranch_execz .LBB1275_137
; %bb.136:
	v_mov_b32_e32 v3, 0
	s_waitcnt lgkmcnt(0)
	ds_read_u8 v1, v3 offset:6
	ds_read_u16 v2, v3 offset:4
	s_waitcnt lgkmcnt(1)
	v_lshlrev_b32_e32 v1, 16, v1
	s_waitcnt lgkmcnt(0)
	v_or_b32_e32 v1, v1, v2
	v_mov_b32_e32 v2, 2
	global_store_dwordx2 v3, v[1:2], s[24:25] offset:256
.LBB1275_137:
	s_or_b32 exec_lo, exec_lo, s1
	v_mov_b32_e32 v14, v17
.LBB1275_138:
	s_add_u32 s0, s14, s10
	v_mov_b32_e32 v5, 0
	s_addc_u32 s1, s15, s11
	s_add_u32 s0, s0, s12
	s_addc_u32 s1, s1, s13
	s_and_b32 vcc_lo, exec_lo, s30
	s_cbranch_vccz .LBB1275_166
; %bb.139:
	s_waitcnt lgkmcnt(0)
	v_mov_b32_e32 v1, 0
	v_mul_u32_u24_e32 v4, 7, v0
	s_add_i32 s27, s27, s26
	s_mov_b32 s2, exec_lo
	v_mov_b32_e32 v2, v1
	v_mov_b32_e32 v3, v1
	v_cmpx_gt_u32_e64 s27, v4
	s_cbranch_execz .LBB1275_153
; %bb.140:
	v_add_nc_u32_e32 v3, 1, v4
	v_and_b32_e32 v1, 0xffff, v14
	v_mov_b32_e32 v5, 0
	v_mov_b32_e32 v2, 0
	v_cmp_gt_u32_e32 vcc_lo, s27, v3
	v_mov_b32_e32 v3, 0
	s_and_saveexec_b32 s3, vcc_lo
	s_cbranch_execz .LBB1275_152
; %bb.141:
	v_add_nc_u32_e32 v5, 2, v4
	v_perm_b32 v1, v8, v1, 0x5040100
	v_mov_b32_e32 v3, 0
	v_mov_b32_e32 v2, 0
	v_cmp_gt_u32_e32 vcc_lo, s27, v5
	v_mov_b32_e32 v5, 0
	s_and_saveexec_b32 s4, vcc_lo
	s_cbranch_execz .LBB1275_151
; %bb.142:
	v_add_nc_u32_e32 v5, 3, v4
	v_bfi_b32 v2, 0xffff, v9, 0
	v_mov_b32_e32 v3, 0
	v_cmp_gt_u32_e32 vcc_lo, s27, v5
	v_mov_b32_e32 v5, 0
	s_and_saveexec_b32 s5, vcc_lo
	s_cbranch_execz .LBB1275_150
; %bb.143:
	v_add_nc_u32_e32 v5, 4, v4
	v_perm_b32 v2, v10, v2, 0x5040100
	v_mov_b32_e32 v3, 0
	v_cmp_gt_u32_e32 vcc_lo, s27, v5
	v_mov_b32_e32 v5, 0
	s_and_saveexec_b32 s6, vcc_lo
	s_cbranch_execz .LBB1275_149
; %bb.144:
	v_add_nc_u32_e32 v5, 5, v4
	v_bfi_b32 v3, 0xffff, v11, 0
	v_cmp_gt_u32_e32 vcc_lo, s27, v5
	v_mov_b32_e32 v5, 0
	s_and_saveexec_b32 s7, vcc_lo
	s_cbranch_execz .LBB1275_148
; %bb.145:
	v_add_nc_u32_e32 v5, 6, v4
	v_perm_b32 v3, v12, v3, 0x5040100
	v_cmp_gt_u32_e32 vcc_lo, s27, v5
	v_mov_b32_e32 v5, 0
	s_and_saveexec_b32 s8, vcc_lo
; %bb.146:
	v_mov_b32_e32 v5, v13
; %bb.147:
	s_or_b32 exec_lo, exec_lo, s8
.LBB1275_148:
	s_or_b32 exec_lo, exec_lo, s7
.LBB1275_149:
	s_or_b32 exec_lo, exec_lo, s6
.LBB1275_150:
	s_or_b32 exec_lo, exec_lo, s5
.LBB1275_151:
	s_or_b32 exec_lo, exec_lo, s4
.LBB1275_152:
	s_or_b32 exec_lo, exec_lo, s3
.LBB1275_153:
	s_or_b32 exec_lo, exec_lo, s2
	v_lshlrev_b32_e32 v15, 1, v4
	s_waitcnt_vscnt null, 0x0
	s_barrier
	buffer_gl0_inv
	ds_write_b96 v15, v[1:3]
	v_mad_i32_i24 v1, v0, -12, v15
	ds_write_b16 v15, v5 offset:12
	s_waitcnt lgkmcnt(0)
	s_barrier
	buffer_gl0_inv
	ds_read_u16 v16, v1 offset:128
	ds_read_u16 v7, v1 offset:256
	;; [unrolled: 1-line block ×6, first 2 shown]
	v_lshlrev_b32_e32 v1, 1, v0
	v_add_co_u32 v1, s2, s0, v1
	v_add_co_ci_u32_e64 v2, null, s1, 0, s2
	s_mov_b32 s2, exec_lo
	v_cmpx_gt_u32_e64 s27, v0
	s_cbranch_execz .LBB1275_155
; %bb.154:
	v_mul_i32_i24_e32 v17, -12, v0
	v_add_nc_u32_e32 v15, v15, v17
	ds_read_u16 v15, v15
	s_waitcnt lgkmcnt(0)
	flat_store_short v[1:2], v15
.LBB1275_155:
	s_or_b32 exec_lo, exec_lo, s2
	v_or_b32_e32 v15, 64, v0
	s_mov_b32 s2, exec_lo
	v_cmpx_gt_u32_e64 s27, v15
	s_cbranch_execz .LBB1275_157
; %bb.156:
	s_waitcnt lgkmcnt(5)
	flat_store_short v[1:2], v16 offset:128
.LBB1275_157:
	s_or_b32 exec_lo, exec_lo, s2
	v_or_b32_e32 v15, 0x80, v0
	s_mov_b32 s2, exec_lo
	v_cmpx_gt_u32_e64 s27, v15
	s_cbranch_execz .LBB1275_159
; %bb.158:
	s_waitcnt lgkmcnt(4)
	flat_store_short v[1:2], v7 offset:256
.LBB1275_159:
	s_or_b32 exec_lo, exec_lo, s2
	s_waitcnt lgkmcnt(4)
	v_or_b32_e32 v7, 0xc0, v0
	s_mov_b32 s2, exec_lo
	v_cmpx_gt_u32_e64 s27, v7
	s_cbranch_execz .LBB1275_161
; %bb.160:
	s_waitcnt lgkmcnt(3)
	flat_store_short v[1:2], v6 offset:384
.LBB1275_161:
	s_or_b32 exec_lo, exec_lo, s2
	s_waitcnt lgkmcnt(3)
	;; [unrolled: 10-line block ×3, first 2 shown]
	v_or_b32_e32 v5, 0x140, v0
	s_mov_b32 s2, exec_lo
	v_cmpx_gt_u32_e64 s27, v5
	s_cbranch_execz .LBB1275_165
; %bb.164:
	s_waitcnt lgkmcnt(1)
	flat_store_short v[1:2], v4 offset:640
.LBB1275_165:
	s_or_b32 exec_lo, exec_lo, s2
	v_or_b32_e32 v1, 0x180, v0
	v_cmp_gt_u32_e64 s2, s27, v1
	s_branch .LBB1275_168
.LBB1275_166:
	s_mov_b32 s2, 0
                                        ; implicit-def: $vgpr3
	s_cbranch_execz .LBB1275_168
; %bb.167:
	s_waitcnt lgkmcnt(1)
	v_mul_u32_u24_e32 v4, 14, v0
	s_waitcnt lgkmcnt(0)
	v_perm_b32 v3, v12, v11, 0x5040100
	v_perm_b32 v2, v10, v9, 0x5040100
	;; [unrolled: 1-line block ×3, first 2 shown]
	v_mul_i32_i24_e32 v5, -12, v0
	s_waitcnt_vscnt null, 0x0
	s_barrier
	buffer_gl0_inv
	ds_write_b96 v4, v[1:3]
	v_mad_u32_u24 v1, v0, 14, v5
	ds_write_b16 v4, v13 offset:12
	s_waitcnt lgkmcnt(0)
	s_barrier
	buffer_gl0_inv
	ds_read_u16 v4, v1
	ds_read_u16 v5, v1 offset:128
	ds_read_u16 v6, v1 offset:256
	;; [unrolled: 1-line block ×6, first 2 shown]
	v_lshlrev_b32_e32 v1, 1, v0
	s_or_b32 s2, s2, exec_lo
	v_add_co_u32 v1, s3, s0, v1
	v_add_co_ci_u32_e64 v2, null, s1, 0, s3
	s_waitcnt lgkmcnt(6)
	flat_store_short v[1:2], v4
	s_waitcnt lgkmcnt(6)
	flat_store_short v[1:2], v5 offset:128
	s_waitcnt lgkmcnt(6)
	flat_store_short v[1:2], v6 offset:256
	;; [unrolled: 2-line block ×5, first 2 shown]
.LBB1275_168:
	s_and_saveexec_b32 s3, s2
	s_cbranch_execnz .LBB1275_170
; %bb.169:
	s_endpgm
.LBB1275_170:
	v_lshlrev_b32_e32 v0, 1, v0
	v_add_co_u32 v0, s0, s0, v0
	s_waitcnt lgkmcnt(0)
	v_add_co_ci_u32_e64 v1, null, s1, 0, s0
	flat_store_short v[0:1], v3 offset:768
	s_endpgm
.LBB1275_171:
	v_add_co_u32 v7, s7, s31, v3
	v_add_co_ci_u32_e64 v8, null, s33, 0, s7
	v_mov_b32_e32 v6, v5
	v_mov_b32_e32 v9, v5
	flat_load_short_d16 v6, v[7:8]
	v_mov_b32_e32 v7, v5
	v_mov_b32_e32 v8, v5
	s_waitcnt vmcnt(0) lgkmcnt(0)
	v_mov_b32_e32 v5, v6
	v_mov_b32_e32 v6, v7
	;; [unrolled: 1-line block ×4, first 2 shown]
	s_or_b32 exec_lo, exec_lo, s16
	s_and_saveexec_b32 s7, s5
	s_cbranch_execz .LBB1275_23
.LBB1275_172:
	v_add_co_u32 v9, s5, s31, v3
	v_add_co_ci_u32_e64 v10, null, s33, 0, s5
	flat_load_short_d16_hi v5, v[9:10] offset:128
	s_or_b32 exec_lo, exec_lo, s7
	s_and_saveexec_b32 s5, s4
	s_cbranch_execz .LBB1275_24
.LBB1275_173:
	v_add_co_u32 v9, s4, s31, v3
	v_add_co_ci_u32_e64 v10, null, s33, 0, s4
	flat_load_short_d16 v6, v[9:10] offset:256
	s_or_b32 exec_lo, exec_lo, s5
	s_and_saveexec_b32 s4, s3
	s_cbranch_execz .LBB1275_25
.LBB1275_174:
	v_add_co_u32 v9, s3, s31, v3
	v_add_co_ci_u32_e64 v10, null, s33, 0, s3
	s_waitcnt vmcnt(0) lgkmcnt(0)
	flat_load_short_d16_hi v6, v[9:10] offset:384
	s_or_b32 exec_lo, exec_lo, s4
	s_and_saveexec_b32 s3, s2
	s_cbranch_execz .LBB1275_26
.LBB1275_175:
	v_add_co_u32 v9, s2, s31, v3
	v_add_co_ci_u32_e64 v10, null, s33, 0, s2
	flat_load_short_d16 v7, v[9:10] offset:512
	s_or_b32 exec_lo, exec_lo, s3
	s_and_saveexec_b32 s2, s1
	s_cbranch_execz .LBB1275_27
.LBB1275_176:
	v_add_co_u32 v9, s1, s31, v3
	v_add_co_ci_u32_e64 v10, null, s33, 0, s1
	s_waitcnt vmcnt(0) lgkmcnt(0)
	flat_load_short_d16_hi v7, v[9:10] offset:640
	s_or_b32 exec_lo, exec_lo, s2
	s_and_saveexec_b32 s1, s0
	s_cbranch_execnz .LBB1275_28
	s_branch .LBB1275_29
.LBB1275_177:
                                        ; implicit-def: $sgpr16_sgpr17
	s_branch .LBB1275_18
.LBB1275_178:
                                        ; implicit-def: $sgpr0_sgpr1
	s_branch .LBB1275_46
	.section	.rodata,"a",@progbits
	.p2align	6, 0x0
	.amdhsa_kernel _ZN7rocprim17ROCPRIM_400000_NS6detail17trampoline_kernelINS0_14default_configENS1_27scan_by_key_config_selectorIitEEZZNS1_16scan_by_key_implILNS1_25lookback_scan_determinismE0ELb0ES3_N6thrust23THRUST_200600_302600_NS6detail15normal_iteratorINS9_10device_ptrIiEEEENSB_INSC_ItEEEESG_tNS9_4plusIvEENS9_8equal_toIvEEtEE10hipError_tPvRmT2_T3_T4_T5_mT6_T7_P12ihipStream_tbENKUlT_T0_E_clISt17integral_constantIbLb0EES11_EEDaSW_SX_EUlSW_E_NS1_11comp_targetILNS1_3genE8ELNS1_11target_archE1030ELNS1_3gpuE2ELNS1_3repE0EEENS1_30default_config_static_selectorELNS0_4arch9wavefront6targetE0EEEvT1_
		.amdhsa_group_segment_fixed_size 2304
		.amdhsa_private_segment_fixed_size 0
		.amdhsa_kernarg_size 112
		.amdhsa_user_sgpr_count 6
		.amdhsa_user_sgpr_private_segment_buffer 1
		.amdhsa_user_sgpr_dispatch_ptr 0
		.amdhsa_user_sgpr_queue_ptr 0
		.amdhsa_user_sgpr_kernarg_segment_ptr 1
		.amdhsa_user_sgpr_dispatch_id 0
		.amdhsa_user_sgpr_flat_scratch_init 0
		.amdhsa_user_sgpr_private_segment_size 0
		.amdhsa_wavefront_size32 1
		.amdhsa_uses_dynamic_stack 0
		.amdhsa_system_sgpr_private_segment_wavefront_offset 0
		.amdhsa_system_sgpr_workgroup_id_x 1
		.amdhsa_system_sgpr_workgroup_id_y 0
		.amdhsa_system_sgpr_workgroup_id_z 0
		.amdhsa_system_sgpr_workgroup_info 0
		.amdhsa_system_vgpr_workitem_id 0
		.amdhsa_next_free_vgpr 37
		.amdhsa_next_free_sgpr 36
		.amdhsa_reserve_vcc 1
		.amdhsa_reserve_flat_scratch 1
		.amdhsa_float_round_mode_32 0
		.amdhsa_float_round_mode_16_64 0
		.amdhsa_float_denorm_mode_32 3
		.amdhsa_float_denorm_mode_16_64 3
		.amdhsa_dx10_clamp 1
		.amdhsa_ieee_mode 1
		.amdhsa_fp16_overflow 0
		.amdhsa_workgroup_processor_mode 1
		.amdhsa_memory_ordered 1
		.amdhsa_forward_progress 1
		.amdhsa_shared_vgpr_count 0
		.amdhsa_exception_fp_ieee_invalid_op 0
		.amdhsa_exception_fp_denorm_src 0
		.amdhsa_exception_fp_ieee_div_zero 0
		.amdhsa_exception_fp_ieee_overflow 0
		.amdhsa_exception_fp_ieee_underflow 0
		.amdhsa_exception_fp_ieee_inexact 0
		.amdhsa_exception_int_div_zero 0
	.end_amdhsa_kernel
	.section	.text._ZN7rocprim17ROCPRIM_400000_NS6detail17trampoline_kernelINS0_14default_configENS1_27scan_by_key_config_selectorIitEEZZNS1_16scan_by_key_implILNS1_25lookback_scan_determinismE0ELb0ES3_N6thrust23THRUST_200600_302600_NS6detail15normal_iteratorINS9_10device_ptrIiEEEENSB_INSC_ItEEEESG_tNS9_4plusIvEENS9_8equal_toIvEEtEE10hipError_tPvRmT2_T3_T4_T5_mT6_T7_P12ihipStream_tbENKUlT_T0_E_clISt17integral_constantIbLb0EES11_EEDaSW_SX_EUlSW_E_NS1_11comp_targetILNS1_3genE8ELNS1_11target_archE1030ELNS1_3gpuE2ELNS1_3repE0EEENS1_30default_config_static_selectorELNS0_4arch9wavefront6targetE0EEEvT1_,"axG",@progbits,_ZN7rocprim17ROCPRIM_400000_NS6detail17trampoline_kernelINS0_14default_configENS1_27scan_by_key_config_selectorIitEEZZNS1_16scan_by_key_implILNS1_25lookback_scan_determinismE0ELb0ES3_N6thrust23THRUST_200600_302600_NS6detail15normal_iteratorINS9_10device_ptrIiEEEENSB_INSC_ItEEEESG_tNS9_4plusIvEENS9_8equal_toIvEEtEE10hipError_tPvRmT2_T3_T4_T5_mT6_T7_P12ihipStream_tbENKUlT_T0_E_clISt17integral_constantIbLb0EES11_EEDaSW_SX_EUlSW_E_NS1_11comp_targetILNS1_3genE8ELNS1_11target_archE1030ELNS1_3gpuE2ELNS1_3repE0EEENS1_30default_config_static_selectorELNS0_4arch9wavefront6targetE0EEEvT1_,comdat
.Lfunc_end1275:
	.size	_ZN7rocprim17ROCPRIM_400000_NS6detail17trampoline_kernelINS0_14default_configENS1_27scan_by_key_config_selectorIitEEZZNS1_16scan_by_key_implILNS1_25lookback_scan_determinismE0ELb0ES3_N6thrust23THRUST_200600_302600_NS6detail15normal_iteratorINS9_10device_ptrIiEEEENSB_INSC_ItEEEESG_tNS9_4plusIvEENS9_8equal_toIvEEtEE10hipError_tPvRmT2_T3_T4_T5_mT6_T7_P12ihipStream_tbENKUlT_T0_E_clISt17integral_constantIbLb0EES11_EEDaSW_SX_EUlSW_E_NS1_11comp_targetILNS1_3genE8ELNS1_11target_archE1030ELNS1_3gpuE2ELNS1_3repE0EEENS1_30default_config_static_selectorELNS0_4arch9wavefront6targetE0EEEvT1_, .Lfunc_end1275-_ZN7rocprim17ROCPRIM_400000_NS6detail17trampoline_kernelINS0_14default_configENS1_27scan_by_key_config_selectorIitEEZZNS1_16scan_by_key_implILNS1_25lookback_scan_determinismE0ELb0ES3_N6thrust23THRUST_200600_302600_NS6detail15normal_iteratorINS9_10device_ptrIiEEEENSB_INSC_ItEEEESG_tNS9_4plusIvEENS9_8equal_toIvEEtEE10hipError_tPvRmT2_T3_T4_T5_mT6_T7_P12ihipStream_tbENKUlT_T0_E_clISt17integral_constantIbLb0EES11_EEDaSW_SX_EUlSW_E_NS1_11comp_targetILNS1_3genE8ELNS1_11target_archE1030ELNS1_3gpuE2ELNS1_3repE0EEENS1_30default_config_static_selectorELNS0_4arch9wavefront6targetE0EEEvT1_
                                        ; -- End function
	.set _ZN7rocprim17ROCPRIM_400000_NS6detail17trampoline_kernelINS0_14default_configENS1_27scan_by_key_config_selectorIitEEZZNS1_16scan_by_key_implILNS1_25lookback_scan_determinismE0ELb0ES3_N6thrust23THRUST_200600_302600_NS6detail15normal_iteratorINS9_10device_ptrIiEEEENSB_INSC_ItEEEESG_tNS9_4plusIvEENS9_8equal_toIvEEtEE10hipError_tPvRmT2_T3_T4_T5_mT6_T7_P12ihipStream_tbENKUlT_T0_E_clISt17integral_constantIbLb0EES11_EEDaSW_SX_EUlSW_E_NS1_11comp_targetILNS1_3genE8ELNS1_11target_archE1030ELNS1_3gpuE2ELNS1_3repE0EEENS1_30default_config_static_selectorELNS0_4arch9wavefront6targetE0EEEvT1_.num_vgpr, 37
	.set _ZN7rocprim17ROCPRIM_400000_NS6detail17trampoline_kernelINS0_14default_configENS1_27scan_by_key_config_selectorIitEEZZNS1_16scan_by_key_implILNS1_25lookback_scan_determinismE0ELb0ES3_N6thrust23THRUST_200600_302600_NS6detail15normal_iteratorINS9_10device_ptrIiEEEENSB_INSC_ItEEEESG_tNS9_4plusIvEENS9_8equal_toIvEEtEE10hipError_tPvRmT2_T3_T4_T5_mT6_T7_P12ihipStream_tbENKUlT_T0_E_clISt17integral_constantIbLb0EES11_EEDaSW_SX_EUlSW_E_NS1_11comp_targetILNS1_3genE8ELNS1_11target_archE1030ELNS1_3gpuE2ELNS1_3repE0EEENS1_30default_config_static_selectorELNS0_4arch9wavefront6targetE0EEEvT1_.num_agpr, 0
	.set _ZN7rocprim17ROCPRIM_400000_NS6detail17trampoline_kernelINS0_14default_configENS1_27scan_by_key_config_selectorIitEEZZNS1_16scan_by_key_implILNS1_25lookback_scan_determinismE0ELb0ES3_N6thrust23THRUST_200600_302600_NS6detail15normal_iteratorINS9_10device_ptrIiEEEENSB_INSC_ItEEEESG_tNS9_4plusIvEENS9_8equal_toIvEEtEE10hipError_tPvRmT2_T3_T4_T5_mT6_T7_P12ihipStream_tbENKUlT_T0_E_clISt17integral_constantIbLb0EES11_EEDaSW_SX_EUlSW_E_NS1_11comp_targetILNS1_3genE8ELNS1_11target_archE1030ELNS1_3gpuE2ELNS1_3repE0EEENS1_30default_config_static_selectorELNS0_4arch9wavefront6targetE0EEEvT1_.numbered_sgpr, 36
	.set _ZN7rocprim17ROCPRIM_400000_NS6detail17trampoline_kernelINS0_14default_configENS1_27scan_by_key_config_selectorIitEEZZNS1_16scan_by_key_implILNS1_25lookback_scan_determinismE0ELb0ES3_N6thrust23THRUST_200600_302600_NS6detail15normal_iteratorINS9_10device_ptrIiEEEENSB_INSC_ItEEEESG_tNS9_4plusIvEENS9_8equal_toIvEEtEE10hipError_tPvRmT2_T3_T4_T5_mT6_T7_P12ihipStream_tbENKUlT_T0_E_clISt17integral_constantIbLb0EES11_EEDaSW_SX_EUlSW_E_NS1_11comp_targetILNS1_3genE8ELNS1_11target_archE1030ELNS1_3gpuE2ELNS1_3repE0EEENS1_30default_config_static_selectorELNS0_4arch9wavefront6targetE0EEEvT1_.num_named_barrier, 0
	.set _ZN7rocprim17ROCPRIM_400000_NS6detail17trampoline_kernelINS0_14default_configENS1_27scan_by_key_config_selectorIitEEZZNS1_16scan_by_key_implILNS1_25lookback_scan_determinismE0ELb0ES3_N6thrust23THRUST_200600_302600_NS6detail15normal_iteratorINS9_10device_ptrIiEEEENSB_INSC_ItEEEESG_tNS9_4plusIvEENS9_8equal_toIvEEtEE10hipError_tPvRmT2_T3_T4_T5_mT6_T7_P12ihipStream_tbENKUlT_T0_E_clISt17integral_constantIbLb0EES11_EEDaSW_SX_EUlSW_E_NS1_11comp_targetILNS1_3genE8ELNS1_11target_archE1030ELNS1_3gpuE2ELNS1_3repE0EEENS1_30default_config_static_selectorELNS0_4arch9wavefront6targetE0EEEvT1_.private_seg_size, 0
	.set _ZN7rocprim17ROCPRIM_400000_NS6detail17trampoline_kernelINS0_14default_configENS1_27scan_by_key_config_selectorIitEEZZNS1_16scan_by_key_implILNS1_25lookback_scan_determinismE0ELb0ES3_N6thrust23THRUST_200600_302600_NS6detail15normal_iteratorINS9_10device_ptrIiEEEENSB_INSC_ItEEEESG_tNS9_4plusIvEENS9_8equal_toIvEEtEE10hipError_tPvRmT2_T3_T4_T5_mT6_T7_P12ihipStream_tbENKUlT_T0_E_clISt17integral_constantIbLb0EES11_EEDaSW_SX_EUlSW_E_NS1_11comp_targetILNS1_3genE8ELNS1_11target_archE1030ELNS1_3gpuE2ELNS1_3repE0EEENS1_30default_config_static_selectorELNS0_4arch9wavefront6targetE0EEEvT1_.uses_vcc, 1
	.set _ZN7rocprim17ROCPRIM_400000_NS6detail17trampoline_kernelINS0_14default_configENS1_27scan_by_key_config_selectorIitEEZZNS1_16scan_by_key_implILNS1_25lookback_scan_determinismE0ELb0ES3_N6thrust23THRUST_200600_302600_NS6detail15normal_iteratorINS9_10device_ptrIiEEEENSB_INSC_ItEEEESG_tNS9_4plusIvEENS9_8equal_toIvEEtEE10hipError_tPvRmT2_T3_T4_T5_mT6_T7_P12ihipStream_tbENKUlT_T0_E_clISt17integral_constantIbLb0EES11_EEDaSW_SX_EUlSW_E_NS1_11comp_targetILNS1_3genE8ELNS1_11target_archE1030ELNS1_3gpuE2ELNS1_3repE0EEENS1_30default_config_static_selectorELNS0_4arch9wavefront6targetE0EEEvT1_.uses_flat_scratch, 1
	.set _ZN7rocprim17ROCPRIM_400000_NS6detail17trampoline_kernelINS0_14default_configENS1_27scan_by_key_config_selectorIitEEZZNS1_16scan_by_key_implILNS1_25lookback_scan_determinismE0ELb0ES3_N6thrust23THRUST_200600_302600_NS6detail15normal_iteratorINS9_10device_ptrIiEEEENSB_INSC_ItEEEESG_tNS9_4plusIvEENS9_8equal_toIvEEtEE10hipError_tPvRmT2_T3_T4_T5_mT6_T7_P12ihipStream_tbENKUlT_T0_E_clISt17integral_constantIbLb0EES11_EEDaSW_SX_EUlSW_E_NS1_11comp_targetILNS1_3genE8ELNS1_11target_archE1030ELNS1_3gpuE2ELNS1_3repE0EEENS1_30default_config_static_selectorELNS0_4arch9wavefront6targetE0EEEvT1_.has_dyn_sized_stack, 0
	.set _ZN7rocprim17ROCPRIM_400000_NS6detail17trampoline_kernelINS0_14default_configENS1_27scan_by_key_config_selectorIitEEZZNS1_16scan_by_key_implILNS1_25lookback_scan_determinismE0ELb0ES3_N6thrust23THRUST_200600_302600_NS6detail15normal_iteratorINS9_10device_ptrIiEEEENSB_INSC_ItEEEESG_tNS9_4plusIvEENS9_8equal_toIvEEtEE10hipError_tPvRmT2_T3_T4_T5_mT6_T7_P12ihipStream_tbENKUlT_T0_E_clISt17integral_constantIbLb0EES11_EEDaSW_SX_EUlSW_E_NS1_11comp_targetILNS1_3genE8ELNS1_11target_archE1030ELNS1_3gpuE2ELNS1_3repE0EEENS1_30default_config_static_selectorELNS0_4arch9wavefront6targetE0EEEvT1_.has_recursion, 0
	.set _ZN7rocprim17ROCPRIM_400000_NS6detail17trampoline_kernelINS0_14default_configENS1_27scan_by_key_config_selectorIitEEZZNS1_16scan_by_key_implILNS1_25lookback_scan_determinismE0ELb0ES3_N6thrust23THRUST_200600_302600_NS6detail15normal_iteratorINS9_10device_ptrIiEEEENSB_INSC_ItEEEESG_tNS9_4plusIvEENS9_8equal_toIvEEtEE10hipError_tPvRmT2_T3_T4_T5_mT6_T7_P12ihipStream_tbENKUlT_T0_E_clISt17integral_constantIbLb0EES11_EEDaSW_SX_EUlSW_E_NS1_11comp_targetILNS1_3genE8ELNS1_11target_archE1030ELNS1_3gpuE2ELNS1_3repE0EEENS1_30default_config_static_selectorELNS0_4arch9wavefront6targetE0EEEvT1_.has_indirect_call, 0
	.section	.AMDGPU.csdata,"",@progbits
; Kernel info:
; codeLenInByte = 8160
; TotalNumSgprs: 38
; NumVgprs: 37
; ScratchSize: 0
; MemoryBound: 0
; FloatMode: 240
; IeeeMode: 1
; LDSByteSize: 2304 bytes/workgroup (compile time only)
; SGPRBlocks: 0
; VGPRBlocks: 4
; NumSGPRsForWavesPerEU: 38
; NumVGPRsForWavesPerEU: 37
; Occupancy: 16
; WaveLimiterHint : 1
; COMPUTE_PGM_RSRC2:SCRATCH_EN: 0
; COMPUTE_PGM_RSRC2:USER_SGPR: 6
; COMPUTE_PGM_RSRC2:TRAP_HANDLER: 0
; COMPUTE_PGM_RSRC2:TGID_X_EN: 1
; COMPUTE_PGM_RSRC2:TGID_Y_EN: 0
; COMPUTE_PGM_RSRC2:TGID_Z_EN: 0
; COMPUTE_PGM_RSRC2:TIDIG_COMP_CNT: 0
	.section	.text._ZN7rocprim17ROCPRIM_400000_NS6detail30init_device_scan_by_key_kernelINS1_19lookback_scan_stateINS0_5tupleIJtbEEELb1ELb1EEEN6thrust23THRUST_200600_302600_NS6detail15normal_iteratorINS8_10device_ptrIiEEEEjNS1_16block_id_wrapperIjLb1EEEEEvT_jjPNSG_10value_typeET0_PNSt15iterator_traitsISJ_E10value_typeEmT1_T2_,"axG",@progbits,_ZN7rocprim17ROCPRIM_400000_NS6detail30init_device_scan_by_key_kernelINS1_19lookback_scan_stateINS0_5tupleIJtbEEELb1ELb1EEEN6thrust23THRUST_200600_302600_NS6detail15normal_iteratorINS8_10device_ptrIiEEEEjNS1_16block_id_wrapperIjLb1EEEEEvT_jjPNSG_10value_typeET0_PNSt15iterator_traitsISJ_E10value_typeEmT1_T2_,comdat
	.protected	_ZN7rocprim17ROCPRIM_400000_NS6detail30init_device_scan_by_key_kernelINS1_19lookback_scan_stateINS0_5tupleIJtbEEELb1ELb1EEEN6thrust23THRUST_200600_302600_NS6detail15normal_iteratorINS8_10device_ptrIiEEEEjNS1_16block_id_wrapperIjLb1EEEEEvT_jjPNSG_10value_typeET0_PNSt15iterator_traitsISJ_E10value_typeEmT1_T2_ ; -- Begin function _ZN7rocprim17ROCPRIM_400000_NS6detail30init_device_scan_by_key_kernelINS1_19lookback_scan_stateINS0_5tupleIJtbEEELb1ELb1EEEN6thrust23THRUST_200600_302600_NS6detail15normal_iteratorINS8_10device_ptrIiEEEEjNS1_16block_id_wrapperIjLb1EEEEEvT_jjPNSG_10value_typeET0_PNSt15iterator_traitsISJ_E10value_typeEmT1_T2_
	.globl	_ZN7rocprim17ROCPRIM_400000_NS6detail30init_device_scan_by_key_kernelINS1_19lookback_scan_stateINS0_5tupleIJtbEEELb1ELb1EEEN6thrust23THRUST_200600_302600_NS6detail15normal_iteratorINS8_10device_ptrIiEEEEjNS1_16block_id_wrapperIjLb1EEEEEvT_jjPNSG_10value_typeET0_PNSt15iterator_traitsISJ_E10value_typeEmT1_T2_
	.p2align	8
	.type	_ZN7rocprim17ROCPRIM_400000_NS6detail30init_device_scan_by_key_kernelINS1_19lookback_scan_stateINS0_5tupleIJtbEEELb1ELb1EEEN6thrust23THRUST_200600_302600_NS6detail15normal_iteratorINS8_10device_ptrIiEEEEjNS1_16block_id_wrapperIjLb1EEEEEvT_jjPNSG_10value_typeET0_PNSt15iterator_traitsISJ_E10value_typeEmT1_T2_,@function
_ZN7rocprim17ROCPRIM_400000_NS6detail30init_device_scan_by_key_kernelINS1_19lookback_scan_stateINS0_5tupleIJtbEEELb1ELb1EEEN6thrust23THRUST_200600_302600_NS6detail15normal_iteratorINS8_10device_ptrIiEEEEjNS1_16block_id_wrapperIjLb1EEEEEvT_jjPNSG_10value_typeET0_PNSt15iterator_traitsISJ_E10value_typeEmT1_T2_: ; @_ZN7rocprim17ROCPRIM_400000_NS6detail30init_device_scan_by_key_kernelINS1_19lookback_scan_stateINS0_5tupleIJtbEEELb1ELb1EEEN6thrust23THRUST_200600_302600_NS6detail15normal_iteratorINS8_10device_ptrIiEEEEjNS1_16block_id_wrapperIjLb1EEEEEvT_jjPNSG_10value_typeET0_PNSt15iterator_traitsISJ_E10value_typeEmT1_T2_
; %bb.0:
	s_clause 0x2
	s_load_dword s0, s[4:5], 0x4c
	s_load_dwordx8 s[8:15], s[4:5], 0x0
	s_load_dword s7, s[4:5], 0x40
	s_waitcnt lgkmcnt(0)
	s_and_b32 s16, s0, 0xffff
	s_cmp_eq_u64 s[12:13], 0
	v_mad_u64_u32 v[0:1], null, s6, s16, v[0:1]
	s_cbranch_scc1 .LBB1276_9
; %bb.1:
	s_cmp_lt_u32 s11, s10
	s_mov_b32 s1, 0
	s_cselect_b32 s0, s11, 0
	s_mov_b32 s2, exec_lo
	v_cmpx_eq_u32_e64 s0, v0
	s_cbranch_execz .LBB1276_8
; %bb.2:
	s_add_i32 s0, s11, 32
	v_mov_b32_e32 v1, 0
	s_lshl_b64 s[0:1], s[0:1], 3
	s_add_u32 s0, s8, s0
	s_addc_u32 s1, s9, s1
	global_load_dwordx2 v[3:4], v1, s[0:1] glc dlc
	s_waitcnt vmcnt(0)
	v_and_b32_e32 v2, 0xff, v4
	v_cmp_ne_u64_e32 vcc_lo, 0, v[1:2]
	s_cbranch_vccnz .LBB1276_7
; %bb.3:
	s_mov_b32 s3, 1
.LBB1276_4:                             ; =>This Loop Header: Depth=1
                                        ;     Child Loop BB1276_5 Depth 2
	s_mov_b32 s6, s3
.LBB1276_5:                             ;   Parent Loop BB1276_4 Depth=1
                                        ; =>  This Inner Loop Header: Depth=2
	s_add_i32 s6, s6, -1
	s_sleep 1
	s_cmp_eq_u32 s6, 0
	s_cbranch_scc0 .LBB1276_5
; %bb.6:                                ;   in Loop: Header=BB1276_4 Depth=1
	global_load_dwordx2 v[3:4], v1, s[0:1] glc dlc
	s_cmp_lt_u32 s3, 32
	s_cselect_b32 s6, -1, 0
	s_cmp_lg_u32 s6, 0
	s_addc_u32 s3, s3, 0
	s_waitcnt vmcnt(0)
	v_and_b32_e32 v2, 0xff, v4
	v_cmp_ne_u64_e32 vcc_lo, 0, v[1:2]
	s_cbranch_vccz .LBB1276_4
.LBB1276_7:
	v_mov_b32_e32 v1, 0
	global_store_short v1, v3, s[12:13]
	global_store_byte_d16_hi v1, v3, s[12:13] offset:2
.LBB1276_8:
	s_or_b32 exec_lo, exec_lo, s2
.LBB1276_9:
	s_mov_b32 s0, exec_lo
	v_cmpx_eq_u32_e32 0, v0
	s_cbranch_execz .LBB1276_11
; %bb.10:
	s_load_dwordx2 s[2:3], s[4:5], 0x38
	v_mov_b32_e32 v1, 0
	s_waitcnt lgkmcnt(0)
	global_store_dword v1, v1, s[2:3]
.LBB1276_11:
	s_or_b32 exec_lo, exec_lo, s0
	s_mov_b32 s0, exec_lo
	v_cmpx_gt_u32_e64 s10, v0
	s_cbranch_execz .LBB1276_13
; %bb.12:
	v_add_nc_u32_e32 v1, 32, v0
	v_mov_b32_e32 v2, 0
	v_lshlrev_b64 v[3:4], 3, v[1:2]
	v_mov_b32_e32 v1, v2
	v_add_co_u32 v3, vcc_lo, s8, v3
	v_add_co_ci_u32_e64 v4, null, s9, v4, vcc_lo
	global_store_dwordx2 v[3:4], v[1:2], off
.LBB1276_13:
	s_or_b32 exec_lo, exec_lo, s0
	v_mov_b32_e32 v1, 0
	s_mov_b32 s0, exec_lo
	v_cmpx_gt_u32_e32 32, v0
	s_cbranch_execz .LBB1276_15
; %bb.14:
	v_lshlrev_b64 v[2:3], 3, v[0:1]
	v_mov_b32_e32 v4, 0xff
	v_add_co_u32 v5, vcc_lo, s8, v2
	v_add_co_ci_u32_e64 v6, null, s9, v3, vcc_lo
	v_mov_b32_e32 v3, v1
	global_store_dwordx2 v[5:6], v[3:4], off
.LBB1276_15:
	s_or_b32 exec_lo, exec_lo, s0
	s_load_dwordx2 s[2:3], s[4:5], 0x28
	s_mov_b32 s0, exec_lo
	s_waitcnt lgkmcnt(0)
	v_cmpx_gt_u64_e64 s[2:3], v[0:1]
	s_cbranch_execz .LBB1276_18
; %bb.16:
	s_clause 0x1
	s_load_dword s6, s[4:5], 0x30
	s_load_dwordx2 s[8:9], s[4:5], 0x20
	s_mov_b32 s1, 0
	v_lshlrev_b64 v[4:5], 2, v[0:1]
	s_mul_i32 s4, s7, s16
	s_waitcnt lgkmcnt(0)
	v_mad_u64_u32 v[2:3], null, s6, v0, 0
	s_add_i32 s0, s6, -1
	s_mul_hi_u32 s7, s6, s4
	s_lshl_b64 s[10:11], s[0:1], 2
	s_mul_i32 s6, s6, s4
	s_add_u32 s0, s14, s10
	s_addc_u32 s5, s15, s11
	v_lshlrev_b64 v[2:3], 2, v[2:3]
	s_lshl_b64 s[6:7], s[6:7], 2
	v_add_co_u32 v2, vcc_lo, s0, v2
	v_add_co_ci_u32_e64 v3, null, s5, v3, vcc_lo
	v_add_co_u32 v4, vcc_lo, s8, v4
	v_add_co_ci_u32_e64 v5, null, s9, v5, vcc_lo
	s_mov_b32 s5, s1
	s_lshl_b64 s[8:9], s[4:5], 2
	.p2align	6
.LBB1276_17:                            ; =>This Inner Loop Header: Depth=1
	global_load_dword v6, v[2:3], off
	v_add_co_u32 v0, vcc_lo, v0, s4
	v_add_co_ci_u32_e64 v1, null, 0, v1, vcc_lo
	v_add_co_u32 v2, vcc_lo, v2, s6
	v_add_co_ci_u32_e64 v3, null, s7, v3, vcc_lo
	v_cmp_le_u64_e32 vcc_lo, s[2:3], v[0:1]
	s_or_b32 s1, vcc_lo, s1
	s_waitcnt vmcnt(0)
	global_store_dword v[4:5], v6, off
	v_add_co_u32 v4, s0, v4, s8
	v_add_co_ci_u32_e64 v5, null, s9, v5, s0
	s_andn2_b32 exec_lo, exec_lo, s1
	s_cbranch_execnz .LBB1276_17
.LBB1276_18:
	s_endpgm
	.section	.rodata,"a",@progbits
	.p2align	6, 0x0
	.amdhsa_kernel _ZN7rocprim17ROCPRIM_400000_NS6detail30init_device_scan_by_key_kernelINS1_19lookback_scan_stateINS0_5tupleIJtbEEELb1ELb1EEEN6thrust23THRUST_200600_302600_NS6detail15normal_iteratorINS8_10device_ptrIiEEEEjNS1_16block_id_wrapperIjLb1EEEEEvT_jjPNSG_10value_typeET0_PNSt15iterator_traitsISJ_E10value_typeEmT1_T2_
		.amdhsa_group_segment_fixed_size 0
		.amdhsa_private_segment_fixed_size 0
		.amdhsa_kernarg_size 320
		.amdhsa_user_sgpr_count 6
		.amdhsa_user_sgpr_private_segment_buffer 1
		.amdhsa_user_sgpr_dispatch_ptr 0
		.amdhsa_user_sgpr_queue_ptr 0
		.amdhsa_user_sgpr_kernarg_segment_ptr 1
		.amdhsa_user_sgpr_dispatch_id 0
		.amdhsa_user_sgpr_flat_scratch_init 0
		.amdhsa_user_sgpr_private_segment_size 0
		.amdhsa_wavefront_size32 1
		.amdhsa_uses_dynamic_stack 0
		.amdhsa_system_sgpr_private_segment_wavefront_offset 0
		.amdhsa_system_sgpr_workgroup_id_x 1
		.amdhsa_system_sgpr_workgroup_id_y 0
		.amdhsa_system_sgpr_workgroup_id_z 0
		.amdhsa_system_sgpr_workgroup_info 0
		.amdhsa_system_vgpr_workitem_id 0
		.amdhsa_next_free_vgpr 7
		.amdhsa_next_free_sgpr 17
		.amdhsa_reserve_vcc 1
		.amdhsa_reserve_flat_scratch 0
		.amdhsa_float_round_mode_32 0
		.amdhsa_float_round_mode_16_64 0
		.amdhsa_float_denorm_mode_32 3
		.amdhsa_float_denorm_mode_16_64 3
		.amdhsa_dx10_clamp 1
		.amdhsa_ieee_mode 1
		.amdhsa_fp16_overflow 0
		.amdhsa_workgroup_processor_mode 1
		.amdhsa_memory_ordered 1
		.amdhsa_forward_progress 1
		.amdhsa_shared_vgpr_count 0
		.amdhsa_exception_fp_ieee_invalid_op 0
		.amdhsa_exception_fp_denorm_src 0
		.amdhsa_exception_fp_ieee_div_zero 0
		.amdhsa_exception_fp_ieee_overflow 0
		.amdhsa_exception_fp_ieee_underflow 0
		.amdhsa_exception_fp_ieee_inexact 0
		.amdhsa_exception_int_div_zero 0
	.end_amdhsa_kernel
	.section	.text._ZN7rocprim17ROCPRIM_400000_NS6detail30init_device_scan_by_key_kernelINS1_19lookback_scan_stateINS0_5tupleIJtbEEELb1ELb1EEEN6thrust23THRUST_200600_302600_NS6detail15normal_iteratorINS8_10device_ptrIiEEEEjNS1_16block_id_wrapperIjLb1EEEEEvT_jjPNSG_10value_typeET0_PNSt15iterator_traitsISJ_E10value_typeEmT1_T2_,"axG",@progbits,_ZN7rocprim17ROCPRIM_400000_NS6detail30init_device_scan_by_key_kernelINS1_19lookback_scan_stateINS0_5tupleIJtbEEELb1ELb1EEEN6thrust23THRUST_200600_302600_NS6detail15normal_iteratorINS8_10device_ptrIiEEEEjNS1_16block_id_wrapperIjLb1EEEEEvT_jjPNSG_10value_typeET0_PNSt15iterator_traitsISJ_E10value_typeEmT1_T2_,comdat
.Lfunc_end1276:
	.size	_ZN7rocprim17ROCPRIM_400000_NS6detail30init_device_scan_by_key_kernelINS1_19lookback_scan_stateINS0_5tupleIJtbEEELb1ELb1EEEN6thrust23THRUST_200600_302600_NS6detail15normal_iteratorINS8_10device_ptrIiEEEEjNS1_16block_id_wrapperIjLb1EEEEEvT_jjPNSG_10value_typeET0_PNSt15iterator_traitsISJ_E10value_typeEmT1_T2_, .Lfunc_end1276-_ZN7rocprim17ROCPRIM_400000_NS6detail30init_device_scan_by_key_kernelINS1_19lookback_scan_stateINS0_5tupleIJtbEEELb1ELb1EEEN6thrust23THRUST_200600_302600_NS6detail15normal_iteratorINS8_10device_ptrIiEEEEjNS1_16block_id_wrapperIjLb1EEEEEvT_jjPNSG_10value_typeET0_PNSt15iterator_traitsISJ_E10value_typeEmT1_T2_
                                        ; -- End function
	.set _ZN7rocprim17ROCPRIM_400000_NS6detail30init_device_scan_by_key_kernelINS1_19lookback_scan_stateINS0_5tupleIJtbEEELb1ELb1EEEN6thrust23THRUST_200600_302600_NS6detail15normal_iteratorINS8_10device_ptrIiEEEEjNS1_16block_id_wrapperIjLb1EEEEEvT_jjPNSG_10value_typeET0_PNSt15iterator_traitsISJ_E10value_typeEmT1_T2_.num_vgpr, 7
	.set _ZN7rocprim17ROCPRIM_400000_NS6detail30init_device_scan_by_key_kernelINS1_19lookback_scan_stateINS0_5tupleIJtbEEELb1ELb1EEEN6thrust23THRUST_200600_302600_NS6detail15normal_iteratorINS8_10device_ptrIiEEEEjNS1_16block_id_wrapperIjLb1EEEEEvT_jjPNSG_10value_typeET0_PNSt15iterator_traitsISJ_E10value_typeEmT1_T2_.num_agpr, 0
	.set _ZN7rocprim17ROCPRIM_400000_NS6detail30init_device_scan_by_key_kernelINS1_19lookback_scan_stateINS0_5tupleIJtbEEELb1ELb1EEEN6thrust23THRUST_200600_302600_NS6detail15normal_iteratorINS8_10device_ptrIiEEEEjNS1_16block_id_wrapperIjLb1EEEEEvT_jjPNSG_10value_typeET0_PNSt15iterator_traitsISJ_E10value_typeEmT1_T2_.numbered_sgpr, 17
	.set _ZN7rocprim17ROCPRIM_400000_NS6detail30init_device_scan_by_key_kernelINS1_19lookback_scan_stateINS0_5tupleIJtbEEELb1ELb1EEEN6thrust23THRUST_200600_302600_NS6detail15normal_iteratorINS8_10device_ptrIiEEEEjNS1_16block_id_wrapperIjLb1EEEEEvT_jjPNSG_10value_typeET0_PNSt15iterator_traitsISJ_E10value_typeEmT1_T2_.num_named_barrier, 0
	.set _ZN7rocprim17ROCPRIM_400000_NS6detail30init_device_scan_by_key_kernelINS1_19lookback_scan_stateINS0_5tupleIJtbEEELb1ELb1EEEN6thrust23THRUST_200600_302600_NS6detail15normal_iteratorINS8_10device_ptrIiEEEEjNS1_16block_id_wrapperIjLb1EEEEEvT_jjPNSG_10value_typeET0_PNSt15iterator_traitsISJ_E10value_typeEmT1_T2_.private_seg_size, 0
	.set _ZN7rocprim17ROCPRIM_400000_NS6detail30init_device_scan_by_key_kernelINS1_19lookback_scan_stateINS0_5tupleIJtbEEELb1ELb1EEEN6thrust23THRUST_200600_302600_NS6detail15normal_iteratorINS8_10device_ptrIiEEEEjNS1_16block_id_wrapperIjLb1EEEEEvT_jjPNSG_10value_typeET0_PNSt15iterator_traitsISJ_E10value_typeEmT1_T2_.uses_vcc, 1
	.set _ZN7rocprim17ROCPRIM_400000_NS6detail30init_device_scan_by_key_kernelINS1_19lookback_scan_stateINS0_5tupleIJtbEEELb1ELb1EEEN6thrust23THRUST_200600_302600_NS6detail15normal_iteratorINS8_10device_ptrIiEEEEjNS1_16block_id_wrapperIjLb1EEEEEvT_jjPNSG_10value_typeET0_PNSt15iterator_traitsISJ_E10value_typeEmT1_T2_.uses_flat_scratch, 0
	.set _ZN7rocprim17ROCPRIM_400000_NS6detail30init_device_scan_by_key_kernelINS1_19lookback_scan_stateINS0_5tupleIJtbEEELb1ELb1EEEN6thrust23THRUST_200600_302600_NS6detail15normal_iteratorINS8_10device_ptrIiEEEEjNS1_16block_id_wrapperIjLb1EEEEEvT_jjPNSG_10value_typeET0_PNSt15iterator_traitsISJ_E10value_typeEmT1_T2_.has_dyn_sized_stack, 0
	.set _ZN7rocprim17ROCPRIM_400000_NS6detail30init_device_scan_by_key_kernelINS1_19lookback_scan_stateINS0_5tupleIJtbEEELb1ELb1EEEN6thrust23THRUST_200600_302600_NS6detail15normal_iteratorINS8_10device_ptrIiEEEEjNS1_16block_id_wrapperIjLb1EEEEEvT_jjPNSG_10value_typeET0_PNSt15iterator_traitsISJ_E10value_typeEmT1_T2_.has_recursion, 0
	.set _ZN7rocprim17ROCPRIM_400000_NS6detail30init_device_scan_by_key_kernelINS1_19lookback_scan_stateINS0_5tupleIJtbEEELb1ELb1EEEN6thrust23THRUST_200600_302600_NS6detail15normal_iteratorINS8_10device_ptrIiEEEEjNS1_16block_id_wrapperIjLb1EEEEEvT_jjPNSG_10value_typeET0_PNSt15iterator_traitsISJ_E10value_typeEmT1_T2_.has_indirect_call, 0
	.section	.AMDGPU.csdata,"",@progbits
; Kernel info:
; codeLenInByte = 664
; TotalNumSgprs: 19
; NumVgprs: 7
; ScratchSize: 0
; MemoryBound: 0
; FloatMode: 240
; IeeeMode: 1
; LDSByteSize: 0 bytes/workgroup (compile time only)
; SGPRBlocks: 0
; VGPRBlocks: 0
; NumSGPRsForWavesPerEU: 19
; NumVGPRsForWavesPerEU: 7
; Occupancy: 16
; WaveLimiterHint : 0
; COMPUTE_PGM_RSRC2:SCRATCH_EN: 0
; COMPUTE_PGM_RSRC2:USER_SGPR: 6
; COMPUTE_PGM_RSRC2:TRAP_HANDLER: 0
; COMPUTE_PGM_RSRC2:TGID_X_EN: 1
; COMPUTE_PGM_RSRC2:TGID_Y_EN: 0
; COMPUTE_PGM_RSRC2:TGID_Z_EN: 0
; COMPUTE_PGM_RSRC2:TIDIG_COMP_CNT: 0
	.section	.text._ZN7rocprim17ROCPRIM_400000_NS6detail30init_device_scan_by_key_kernelINS1_19lookback_scan_stateINS0_5tupleIJtbEEELb1ELb1EEENS1_16block_id_wrapperIjLb1EEEEEvT_jjPNS9_10value_typeET0_,"axG",@progbits,_ZN7rocprim17ROCPRIM_400000_NS6detail30init_device_scan_by_key_kernelINS1_19lookback_scan_stateINS0_5tupleIJtbEEELb1ELb1EEENS1_16block_id_wrapperIjLb1EEEEEvT_jjPNS9_10value_typeET0_,comdat
	.protected	_ZN7rocprim17ROCPRIM_400000_NS6detail30init_device_scan_by_key_kernelINS1_19lookback_scan_stateINS0_5tupleIJtbEEELb1ELb1EEENS1_16block_id_wrapperIjLb1EEEEEvT_jjPNS9_10value_typeET0_ ; -- Begin function _ZN7rocprim17ROCPRIM_400000_NS6detail30init_device_scan_by_key_kernelINS1_19lookback_scan_stateINS0_5tupleIJtbEEELb1ELb1EEENS1_16block_id_wrapperIjLb1EEEEEvT_jjPNS9_10value_typeET0_
	.globl	_ZN7rocprim17ROCPRIM_400000_NS6detail30init_device_scan_by_key_kernelINS1_19lookback_scan_stateINS0_5tupleIJtbEEELb1ELb1EEENS1_16block_id_wrapperIjLb1EEEEEvT_jjPNS9_10value_typeET0_
	.p2align	8
	.type	_ZN7rocprim17ROCPRIM_400000_NS6detail30init_device_scan_by_key_kernelINS1_19lookback_scan_stateINS0_5tupleIJtbEEELb1ELb1EEENS1_16block_id_wrapperIjLb1EEEEEvT_jjPNS9_10value_typeET0_,@function
_ZN7rocprim17ROCPRIM_400000_NS6detail30init_device_scan_by_key_kernelINS1_19lookback_scan_stateINS0_5tupleIJtbEEELb1ELb1EEENS1_16block_id_wrapperIjLb1EEEEEvT_jjPNS9_10value_typeET0_: ; @_ZN7rocprim17ROCPRIM_400000_NS6detail30init_device_scan_by_key_kernelINS1_19lookback_scan_stateINS0_5tupleIJtbEEELb1ELb1EEENS1_16block_id_wrapperIjLb1EEEEEvT_jjPNS9_10value_typeET0_
; %bb.0:
	s_clause 0x1
	s_load_dword s0, s[4:5], 0x2c
	s_load_dwordx8 s[8:15], s[4:5], 0x0
	s_waitcnt lgkmcnt(0)
	s_and_b32 s0, s0, 0xffff
	s_cmp_eq_u64 s[12:13], 0
	v_mad_u64_u32 v[0:1], null, s6, s0, v[0:1]
	s_cbranch_scc1 .LBB1277_9
; %bb.1:
	s_cmp_lt_u32 s11, s10
	s_mov_b32 s1, 0
	s_cselect_b32 s0, s11, 0
	s_mov_b32 s2, exec_lo
	v_cmpx_eq_u32_e64 s0, v0
	s_cbranch_execz .LBB1277_8
; %bb.2:
	s_add_i32 s0, s11, 32
	v_mov_b32_e32 v1, 0
	s_lshl_b64 s[0:1], s[0:1], 3
	s_add_u32 s0, s8, s0
	s_addc_u32 s1, s9, s1
	global_load_dwordx2 v[3:4], v1, s[0:1] glc dlc
	s_waitcnt vmcnt(0)
	v_and_b32_e32 v2, 0xff, v4
	v_cmp_ne_u64_e32 vcc_lo, 0, v[1:2]
	s_cbranch_vccnz .LBB1277_7
; %bb.3:
	s_mov_b32 s3, 1
.LBB1277_4:                             ; =>This Loop Header: Depth=1
                                        ;     Child Loop BB1277_5 Depth 2
	s_mov_b32 s4, s3
.LBB1277_5:                             ;   Parent Loop BB1277_4 Depth=1
                                        ; =>  This Inner Loop Header: Depth=2
	s_add_i32 s4, s4, -1
	s_sleep 1
	s_cmp_eq_u32 s4, 0
	s_cbranch_scc0 .LBB1277_5
; %bb.6:                                ;   in Loop: Header=BB1277_4 Depth=1
	global_load_dwordx2 v[3:4], v1, s[0:1] glc dlc
	s_cmp_lt_u32 s3, 32
	s_cselect_b32 s4, -1, 0
	s_cmp_lg_u32 s4, 0
	s_addc_u32 s3, s3, 0
	s_waitcnt vmcnt(0)
	v_and_b32_e32 v2, 0xff, v4
	v_cmp_ne_u64_e32 vcc_lo, 0, v[1:2]
	s_cbranch_vccz .LBB1277_4
.LBB1277_7:
	v_mov_b32_e32 v1, 0
	global_store_short v1, v3, s[12:13]
	global_store_byte_d16_hi v1, v3, s[12:13] offset:2
.LBB1277_8:
	s_or_b32 exec_lo, exec_lo, s2
.LBB1277_9:
	s_mov_b32 s0, exec_lo
	v_cmpx_eq_u32_e32 0, v0
	s_cbranch_execz .LBB1277_11
; %bb.10:
	v_mov_b32_e32 v1, 0
	global_store_dword v1, v1, s[14:15]
.LBB1277_11:
	s_or_b32 exec_lo, exec_lo, s0
	s_mov_b32 s0, exec_lo
	v_cmpx_gt_u32_e64 s10, v0
	s_cbranch_execz .LBB1277_13
; %bb.12:
	v_add_nc_u32_e32 v1, 32, v0
	v_mov_b32_e32 v2, 0
	v_lshlrev_b64 v[3:4], 3, v[1:2]
	v_mov_b32_e32 v1, v2
	v_add_co_u32 v3, vcc_lo, s8, v3
	v_add_co_ci_u32_e64 v4, null, s9, v4, vcc_lo
	global_store_dwordx2 v[3:4], v[1:2], off
.LBB1277_13:
	s_or_b32 exec_lo, exec_lo, s0
	s_mov_b32 s0, exec_lo
	v_cmpx_gt_u32_e32 32, v0
	s_cbranch_execz .LBB1277_15
; %bb.14:
	v_mov_b32_e32 v1, 0
	v_mov_b32_e32 v4, 0xff
	v_lshlrev_b64 v[2:3], 3, v[0:1]
	v_add_co_u32 v5, vcc_lo, s8, v2
	v_add_co_ci_u32_e64 v6, null, s9, v3, vcc_lo
	v_mov_b32_e32 v3, v1
	global_store_dwordx2 v[5:6], v[3:4], off
.LBB1277_15:
	s_endpgm
	.section	.rodata,"a",@progbits
	.p2align	6, 0x0
	.amdhsa_kernel _ZN7rocprim17ROCPRIM_400000_NS6detail30init_device_scan_by_key_kernelINS1_19lookback_scan_stateINS0_5tupleIJtbEEELb1ELb1EEENS1_16block_id_wrapperIjLb1EEEEEvT_jjPNS9_10value_typeET0_
		.amdhsa_group_segment_fixed_size 0
		.amdhsa_private_segment_fixed_size 0
		.amdhsa_kernarg_size 288
		.amdhsa_user_sgpr_count 6
		.amdhsa_user_sgpr_private_segment_buffer 1
		.amdhsa_user_sgpr_dispatch_ptr 0
		.amdhsa_user_sgpr_queue_ptr 0
		.amdhsa_user_sgpr_kernarg_segment_ptr 1
		.amdhsa_user_sgpr_dispatch_id 0
		.amdhsa_user_sgpr_flat_scratch_init 0
		.amdhsa_user_sgpr_private_segment_size 0
		.amdhsa_wavefront_size32 1
		.amdhsa_uses_dynamic_stack 0
		.amdhsa_system_sgpr_private_segment_wavefront_offset 0
		.amdhsa_system_sgpr_workgroup_id_x 1
		.amdhsa_system_sgpr_workgroup_id_y 0
		.amdhsa_system_sgpr_workgroup_id_z 0
		.amdhsa_system_sgpr_workgroup_info 0
		.amdhsa_system_vgpr_workitem_id 0
		.amdhsa_next_free_vgpr 7
		.amdhsa_next_free_sgpr 16
		.amdhsa_reserve_vcc 1
		.amdhsa_reserve_flat_scratch 0
		.amdhsa_float_round_mode_32 0
		.amdhsa_float_round_mode_16_64 0
		.amdhsa_float_denorm_mode_32 3
		.amdhsa_float_denorm_mode_16_64 3
		.amdhsa_dx10_clamp 1
		.amdhsa_ieee_mode 1
		.amdhsa_fp16_overflow 0
		.amdhsa_workgroup_processor_mode 1
		.amdhsa_memory_ordered 1
		.amdhsa_forward_progress 1
		.amdhsa_shared_vgpr_count 0
		.amdhsa_exception_fp_ieee_invalid_op 0
		.amdhsa_exception_fp_denorm_src 0
		.amdhsa_exception_fp_ieee_div_zero 0
		.amdhsa_exception_fp_ieee_overflow 0
		.amdhsa_exception_fp_ieee_underflow 0
		.amdhsa_exception_fp_ieee_inexact 0
		.amdhsa_exception_int_div_zero 0
	.end_amdhsa_kernel
	.section	.text._ZN7rocprim17ROCPRIM_400000_NS6detail30init_device_scan_by_key_kernelINS1_19lookback_scan_stateINS0_5tupleIJtbEEELb1ELb1EEENS1_16block_id_wrapperIjLb1EEEEEvT_jjPNS9_10value_typeET0_,"axG",@progbits,_ZN7rocprim17ROCPRIM_400000_NS6detail30init_device_scan_by_key_kernelINS1_19lookback_scan_stateINS0_5tupleIJtbEEELb1ELb1EEENS1_16block_id_wrapperIjLb1EEEEEvT_jjPNS9_10value_typeET0_,comdat
.Lfunc_end1277:
	.size	_ZN7rocprim17ROCPRIM_400000_NS6detail30init_device_scan_by_key_kernelINS1_19lookback_scan_stateINS0_5tupleIJtbEEELb1ELb1EEENS1_16block_id_wrapperIjLb1EEEEEvT_jjPNS9_10value_typeET0_, .Lfunc_end1277-_ZN7rocprim17ROCPRIM_400000_NS6detail30init_device_scan_by_key_kernelINS1_19lookback_scan_stateINS0_5tupleIJtbEEELb1ELb1EEENS1_16block_id_wrapperIjLb1EEEEEvT_jjPNS9_10value_typeET0_
                                        ; -- End function
	.set _ZN7rocprim17ROCPRIM_400000_NS6detail30init_device_scan_by_key_kernelINS1_19lookback_scan_stateINS0_5tupleIJtbEEELb1ELb1EEENS1_16block_id_wrapperIjLb1EEEEEvT_jjPNS9_10value_typeET0_.num_vgpr, 7
	.set _ZN7rocprim17ROCPRIM_400000_NS6detail30init_device_scan_by_key_kernelINS1_19lookback_scan_stateINS0_5tupleIJtbEEELb1ELb1EEENS1_16block_id_wrapperIjLb1EEEEEvT_jjPNS9_10value_typeET0_.num_agpr, 0
	.set _ZN7rocprim17ROCPRIM_400000_NS6detail30init_device_scan_by_key_kernelINS1_19lookback_scan_stateINS0_5tupleIJtbEEELb1ELb1EEENS1_16block_id_wrapperIjLb1EEEEEvT_jjPNS9_10value_typeET0_.numbered_sgpr, 16
	.set _ZN7rocprim17ROCPRIM_400000_NS6detail30init_device_scan_by_key_kernelINS1_19lookback_scan_stateINS0_5tupleIJtbEEELb1ELb1EEENS1_16block_id_wrapperIjLb1EEEEEvT_jjPNS9_10value_typeET0_.num_named_barrier, 0
	.set _ZN7rocprim17ROCPRIM_400000_NS6detail30init_device_scan_by_key_kernelINS1_19lookback_scan_stateINS0_5tupleIJtbEEELb1ELb1EEENS1_16block_id_wrapperIjLb1EEEEEvT_jjPNS9_10value_typeET0_.private_seg_size, 0
	.set _ZN7rocprim17ROCPRIM_400000_NS6detail30init_device_scan_by_key_kernelINS1_19lookback_scan_stateINS0_5tupleIJtbEEELb1ELb1EEENS1_16block_id_wrapperIjLb1EEEEEvT_jjPNS9_10value_typeET0_.uses_vcc, 1
	.set _ZN7rocprim17ROCPRIM_400000_NS6detail30init_device_scan_by_key_kernelINS1_19lookback_scan_stateINS0_5tupleIJtbEEELb1ELb1EEENS1_16block_id_wrapperIjLb1EEEEEvT_jjPNS9_10value_typeET0_.uses_flat_scratch, 0
	.set _ZN7rocprim17ROCPRIM_400000_NS6detail30init_device_scan_by_key_kernelINS1_19lookback_scan_stateINS0_5tupleIJtbEEELb1ELb1EEENS1_16block_id_wrapperIjLb1EEEEEvT_jjPNS9_10value_typeET0_.has_dyn_sized_stack, 0
	.set _ZN7rocprim17ROCPRIM_400000_NS6detail30init_device_scan_by_key_kernelINS1_19lookback_scan_stateINS0_5tupleIJtbEEELb1ELb1EEENS1_16block_id_wrapperIjLb1EEEEEvT_jjPNS9_10value_typeET0_.has_recursion, 0
	.set _ZN7rocprim17ROCPRIM_400000_NS6detail30init_device_scan_by_key_kernelINS1_19lookback_scan_stateINS0_5tupleIJtbEEELb1ELb1EEENS1_16block_id_wrapperIjLb1EEEEEvT_jjPNS9_10value_typeET0_.has_indirect_call, 0
	.section	.AMDGPU.csdata,"",@progbits
; Kernel info:
; codeLenInByte = 372
; TotalNumSgprs: 18
; NumVgprs: 7
; ScratchSize: 0
; MemoryBound: 0
; FloatMode: 240
; IeeeMode: 1
; LDSByteSize: 0 bytes/workgroup (compile time only)
; SGPRBlocks: 0
; VGPRBlocks: 0
; NumSGPRsForWavesPerEU: 18
; NumVGPRsForWavesPerEU: 7
; Occupancy: 16
; WaveLimiterHint : 0
; COMPUTE_PGM_RSRC2:SCRATCH_EN: 0
; COMPUTE_PGM_RSRC2:USER_SGPR: 6
; COMPUTE_PGM_RSRC2:TRAP_HANDLER: 0
; COMPUTE_PGM_RSRC2:TGID_X_EN: 1
; COMPUTE_PGM_RSRC2:TGID_Y_EN: 0
; COMPUTE_PGM_RSRC2:TGID_Z_EN: 0
; COMPUTE_PGM_RSRC2:TIDIG_COMP_CNT: 0
	.section	.text._ZN7rocprim17ROCPRIM_400000_NS6detail17trampoline_kernelINS0_14default_configENS1_27scan_by_key_config_selectorIitEEZZNS1_16scan_by_key_implILNS1_25lookback_scan_determinismE0ELb0ES3_N6thrust23THRUST_200600_302600_NS6detail15normal_iteratorINS9_10device_ptrIiEEEENSB_INSC_ItEEEESG_tNS9_4plusIvEENS9_8equal_toIvEEtEE10hipError_tPvRmT2_T3_T4_T5_mT6_T7_P12ihipStream_tbENKUlT_T0_E_clISt17integral_constantIbLb1EES11_EEDaSW_SX_EUlSW_E_NS1_11comp_targetILNS1_3genE0ELNS1_11target_archE4294967295ELNS1_3gpuE0ELNS1_3repE0EEENS1_30default_config_static_selectorELNS0_4arch9wavefront6targetE0EEEvT1_,"axG",@progbits,_ZN7rocprim17ROCPRIM_400000_NS6detail17trampoline_kernelINS0_14default_configENS1_27scan_by_key_config_selectorIitEEZZNS1_16scan_by_key_implILNS1_25lookback_scan_determinismE0ELb0ES3_N6thrust23THRUST_200600_302600_NS6detail15normal_iteratorINS9_10device_ptrIiEEEENSB_INSC_ItEEEESG_tNS9_4plusIvEENS9_8equal_toIvEEtEE10hipError_tPvRmT2_T3_T4_T5_mT6_T7_P12ihipStream_tbENKUlT_T0_E_clISt17integral_constantIbLb1EES11_EEDaSW_SX_EUlSW_E_NS1_11comp_targetILNS1_3genE0ELNS1_11target_archE4294967295ELNS1_3gpuE0ELNS1_3repE0EEENS1_30default_config_static_selectorELNS0_4arch9wavefront6targetE0EEEvT1_,comdat
	.protected	_ZN7rocprim17ROCPRIM_400000_NS6detail17trampoline_kernelINS0_14default_configENS1_27scan_by_key_config_selectorIitEEZZNS1_16scan_by_key_implILNS1_25lookback_scan_determinismE0ELb0ES3_N6thrust23THRUST_200600_302600_NS6detail15normal_iteratorINS9_10device_ptrIiEEEENSB_INSC_ItEEEESG_tNS9_4plusIvEENS9_8equal_toIvEEtEE10hipError_tPvRmT2_T3_T4_T5_mT6_T7_P12ihipStream_tbENKUlT_T0_E_clISt17integral_constantIbLb1EES11_EEDaSW_SX_EUlSW_E_NS1_11comp_targetILNS1_3genE0ELNS1_11target_archE4294967295ELNS1_3gpuE0ELNS1_3repE0EEENS1_30default_config_static_selectorELNS0_4arch9wavefront6targetE0EEEvT1_ ; -- Begin function _ZN7rocprim17ROCPRIM_400000_NS6detail17trampoline_kernelINS0_14default_configENS1_27scan_by_key_config_selectorIitEEZZNS1_16scan_by_key_implILNS1_25lookback_scan_determinismE0ELb0ES3_N6thrust23THRUST_200600_302600_NS6detail15normal_iteratorINS9_10device_ptrIiEEEENSB_INSC_ItEEEESG_tNS9_4plusIvEENS9_8equal_toIvEEtEE10hipError_tPvRmT2_T3_T4_T5_mT6_T7_P12ihipStream_tbENKUlT_T0_E_clISt17integral_constantIbLb1EES11_EEDaSW_SX_EUlSW_E_NS1_11comp_targetILNS1_3genE0ELNS1_11target_archE4294967295ELNS1_3gpuE0ELNS1_3repE0EEENS1_30default_config_static_selectorELNS0_4arch9wavefront6targetE0EEEvT1_
	.globl	_ZN7rocprim17ROCPRIM_400000_NS6detail17trampoline_kernelINS0_14default_configENS1_27scan_by_key_config_selectorIitEEZZNS1_16scan_by_key_implILNS1_25lookback_scan_determinismE0ELb0ES3_N6thrust23THRUST_200600_302600_NS6detail15normal_iteratorINS9_10device_ptrIiEEEENSB_INSC_ItEEEESG_tNS9_4plusIvEENS9_8equal_toIvEEtEE10hipError_tPvRmT2_T3_T4_T5_mT6_T7_P12ihipStream_tbENKUlT_T0_E_clISt17integral_constantIbLb1EES11_EEDaSW_SX_EUlSW_E_NS1_11comp_targetILNS1_3genE0ELNS1_11target_archE4294967295ELNS1_3gpuE0ELNS1_3repE0EEENS1_30default_config_static_selectorELNS0_4arch9wavefront6targetE0EEEvT1_
	.p2align	8
	.type	_ZN7rocprim17ROCPRIM_400000_NS6detail17trampoline_kernelINS0_14default_configENS1_27scan_by_key_config_selectorIitEEZZNS1_16scan_by_key_implILNS1_25lookback_scan_determinismE0ELb0ES3_N6thrust23THRUST_200600_302600_NS6detail15normal_iteratorINS9_10device_ptrIiEEEENSB_INSC_ItEEEESG_tNS9_4plusIvEENS9_8equal_toIvEEtEE10hipError_tPvRmT2_T3_T4_T5_mT6_T7_P12ihipStream_tbENKUlT_T0_E_clISt17integral_constantIbLb1EES11_EEDaSW_SX_EUlSW_E_NS1_11comp_targetILNS1_3genE0ELNS1_11target_archE4294967295ELNS1_3gpuE0ELNS1_3repE0EEENS1_30default_config_static_selectorELNS0_4arch9wavefront6targetE0EEEvT1_,@function
_ZN7rocprim17ROCPRIM_400000_NS6detail17trampoline_kernelINS0_14default_configENS1_27scan_by_key_config_selectorIitEEZZNS1_16scan_by_key_implILNS1_25lookback_scan_determinismE0ELb0ES3_N6thrust23THRUST_200600_302600_NS6detail15normal_iteratorINS9_10device_ptrIiEEEENSB_INSC_ItEEEESG_tNS9_4plusIvEENS9_8equal_toIvEEtEE10hipError_tPvRmT2_T3_T4_T5_mT6_T7_P12ihipStream_tbENKUlT_T0_E_clISt17integral_constantIbLb1EES11_EEDaSW_SX_EUlSW_E_NS1_11comp_targetILNS1_3genE0ELNS1_11target_archE4294967295ELNS1_3gpuE0ELNS1_3repE0EEENS1_30default_config_static_selectorELNS0_4arch9wavefront6targetE0EEEvT1_: ; @_ZN7rocprim17ROCPRIM_400000_NS6detail17trampoline_kernelINS0_14default_configENS1_27scan_by_key_config_selectorIitEEZZNS1_16scan_by_key_implILNS1_25lookback_scan_determinismE0ELb0ES3_N6thrust23THRUST_200600_302600_NS6detail15normal_iteratorINS9_10device_ptrIiEEEENSB_INSC_ItEEEESG_tNS9_4plusIvEENS9_8equal_toIvEEtEE10hipError_tPvRmT2_T3_T4_T5_mT6_T7_P12ihipStream_tbENKUlT_T0_E_clISt17integral_constantIbLb1EES11_EEDaSW_SX_EUlSW_E_NS1_11comp_targetILNS1_3genE0ELNS1_11target_archE4294967295ELNS1_3gpuE0ELNS1_3repE0EEENS1_30default_config_static_selectorELNS0_4arch9wavefront6targetE0EEEvT1_
; %bb.0:
	.section	.rodata,"a",@progbits
	.p2align	6, 0x0
	.amdhsa_kernel _ZN7rocprim17ROCPRIM_400000_NS6detail17trampoline_kernelINS0_14default_configENS1_27scan_by_key_config_selectorIitEEZZNS1_16scan_by_key_implILNS1_25lookback_scan_determinismE0ELb0ES3_N6thrust23THRUST_200600_302600_NS6detail15normal_iteratorINS9_10device_ptrIiEEEENSB_INSC_ItEEEESG_tNS9_4plusIvEENS9_8equal_toIvEEtEE10hipError_tPvRmT2_T3_T4_T5_mT6_T7_P12ihipStream_tbENKUlT_T0_E_clISt17integral_constantIbLb1EES11_EEDaSW_SX_EUlSW_E_NS1_11comp_targetILNS1_3genE0ELNS1_11target_archE4294967295ELNS1_3gpuE0ELNS1_3repE0EEENS1_30default_config_static_selectorELNS0_4arch9wavefront6targetE0EEEvT1_
		.amdhsa_group_segment_fixed_size 0
		.amdhsa_private_segment_fixed_size 0
		.amdhsa_kernarg_size 112
		.amdhsa_user_sgpr_count 6
		.amdhsa_user_sgpr_private_segment_buffer 1
		.amdhsa_user_sgpr_dispatch_ptr 0
		.amdhsa_user_sgpr_queue_ptr 0
		.amdhsa_user_sgpr_kernarg_segment_ptr 1
		.amdhsa_user_sgpr_dispatch_id 0
		.amdhsa_user_sgpr_flat_scratch_init 0
		.amdhsa_user_sgpr_private_segment_size 0
		.amdhsa_wavefront_size32 1
		.amdhsa_uses_dynamic_stack 0
		.amdhsa_system_sgpr_private_segment_wavefront_offset 0
		.amdhsa_system_sgpr_workgroup_id_x 1
		.amdhsa_system_sgpr_workgroup_id_y 0
		.amdhsa_system_sgpr_workgroup_id_z 0
		.amdhsa_system_sgpr_workgroup_info 0
		.amdhsa_system_vgpr_workitem_id 0
		.amdhsa_next_free_vgpr 1
		.amdhsa_next_free_sgpr 1
		.amdhsa_reserve_vcc 0
		.amdhsa_reserve_flat_scratch 0
		.amdhsa_float_round_mode_32 0
		.amdhsa_float_round_mode_16_64 0
		.amdhsa_float_denorm_mode_32 3
		.amdhsa_float_denorm_mode_16_64 3
		.amdhsa_dx10_clamp 1
		.amdhsa_ieee_mode 1
		.amdhsa_fp16_overflow 0
		.amdhsa_workgroup_processor_mode 1
		.amdhsa_memory_ordered 1
		.amdhsa_forward_progress 1
		.amdhsa_shared_vgpr_count 0
		.amdhsa_exception_fp_ieee_invalid_op 0
		.amdhsa_exception_fp_denorm_src 0
		.amdhsa_exception_fp_ieee_div_zero 0
		.amdhsa_exception_fp_ieee_overflow 0
		.amdhsa_exception_fp_ieee_underflow 0
		.amdhsa_exception_fp_ieee_inexact 0
		.amdhsa_exception_int_div_zero 0
	.end_amdhsa_kernel
	.section	.text._ZN7rocprim17ROCPRIM_400000_NS6detail17trampoline_kernelINS0_14default_configENS1_27scan_by_key_config_selectorIitEEZZNS1_16scan_by_key_implILNS1_25lookback_scan_determinismE0ELb0ES3_N6thrust23THRUST_200600_302600_NS6detail15normal_iteratorINS9_10device_ptrIiEEEENSB_INSC_ItEEEESG_tNS9_4plusIvEENS9_8equal_toIvEEtEE10hipError_tPvRmT2_T3_T4_T5_mT6_T7_P12ihipStream_tbENKUlT_T0_E_clISt17integral_constantIbLb1EES11_EEDaSW_SX_EUlSW_E_NS1_11comp_targetILNS1_3genE0ELNS1_11target_archE4294967295ELNS1_3gpuE0ELNS1_3repE0EEENS1_30default_config_static_selectorELNS0_4arch9wavefront6targetE0EEEvT1_,"axG",@progbits,_ZN7rocprim17ROCPRIM_400000_NS6detail17trampoline_kernelINS0_14default_configENS1_27scan_by_key_config_selectorIitEEZZNS1_16scan_by_key_implILNS1_25lookback_scan_determinismE0ELb0ES3_N6thrust23THRUST_200600_302600_NS6detail15normal_iteratorINS9_10device_ptrIiEEEENSB_INSC_ItEEEESG_tNS9_4plusIvEENS9_8equal_toIvEEtEE10hipError_tPvRmT2_T3_T4_T5_mT6_T7_P12ihipStream_tbENKUlT_T0_E_clISt17integral_constantIbLb1EES11_EEDaSW_SX_EUlSW_E_NS1_11comp_targetILNS1_3genE0ELNS1_11target_archE4294967295ELNS1_3gpuE0ELNS1_3repE0EEENS1_30default_config_static_selectorELNS0_4arch9wavefront6targetE0EEEvT1_,comdat
.Lfunc_end1278:
	.size	_ZN7rocprim17ROCPRIM_400000_NS6detail17trampoline_kernelINS0_14default_configENS1_27scan_by_key_config_selectorIitEEZZNS1_16scan_by_key_implILNS1_25lookback_scan_determinismE0ELb0ES3_N6thrust23THRUST_200600_302600_NS6detail15normal_iteratorINS9_10device_ptrIiEEEENSB_INSC_ItEEEESG_tNS9_4plusIvEENS9_8equal_toIvEEtEE10hipError_tPvRmT2_T3_T4_T5_mT6_T7_P12ihipStream_tbENKUlT_T0_E_clISt17integral_constantIbLb1EES11_EEDaSW_SX_EUlSW_E_NS1_11comp_targetILNS1_3genE0ELNS1_11target_archE4294967295ELNS1_3gpuE0ELNS1_3repE0EEENS1_30default_config_static_selectorELNS0_4arch9wavefront6targetE0EEEvT1_, .Lfunc_end1278-_ZN7rocprim17ROCPRIM_400000_NS6detail17trampoline_kernelINS0_14default_configENS1_27scan_by_key_config_selectorIitEEZZNS1_16scan_by_key_implILNS1_25lookback_scan_determinismE0ELb0ES3_N6thrust23THRUST_200600_302600_NS6detail15normal_iteratorINS9_10device_ptrIiEEEENSB_INSC_ItEEEESG_tNS9_4plusIvEENS9_8equal_toIvEEtEE10hipError_tPvRmT2_T3_T4_T5_mT6_T7_P12ihipStream_tbENKUlT_T0_E_clISt17integral_constantIbLb1EES11_EEDaSW_SX_EUlSW_E_NS1_11comp_targetILNS1_3genE0ELNS1_11target_archE4294967295ELNS1_3gpuE0ELNS1_3repE0EEENS1_30default_config_static_selectorELNS0_4arch9wavefront6targetE0EEEvT1_
                                        ; -- End function
	.set _ZN7rocprim17ROCPRIM_400000_NS6detail17trampoline_kernelINS0_14default_configENS1_27scan_by_key_config_selectorIitEEZZNS1_16scan_by_key_implILNS1_25lookback_scan_determinismE0ELb0ES3_N6thrust23THRUST_200600_302600_NS6detail15normal_iteratorINS9_10device_ptrIiEEEENSB_INSC_ItEEEESG_tNS9_4plusIvEENS9_8equal_toIvEEtEE10hipError_tPvRmT2_T3_T4_T5_mT6_T7_P12ihipStream_tbENKUlT_T0_E_clISt17integral_constantIbLb1EES11_EEDaSW_SX_EUlSW_E_NS1_11comp_targetILNS1_3genE0ELNS1_11target_archE4294967295ELNS1_3gpuE0ELNS1_3repE0EEENS1_30default_config_static_selectorELNS0_4arch9wavefront6targetE0EEEvT1_.num_vgpr, 0
	.set _ZN7rocprim17ROCPRIM_400000_NS6detail17trampoline_kernelINS0_14default_configENS1_27scan_by_key_config_selectorIitEEZZNS1_16scan_by_key_implILNS1_25lookback_scan_determinismE0ELb0ES3_N6thrust23THRUST_200600_302600_NS6detail15normal_iteratorINS9_10device_ptrIiEEEENSB_INSC_ItEEEESG_tNS9_4plusIvEENS9_8equal_toIvEEtEE10hipError_tPvRmT2_T3_T4_T5_mT6_T7_P12ihipStream_tbENKUlT_T0_E_clISt17integral_constantIbLb1EES11_EEDaSW_SX_EUlSW_E_NS1_11comp_targetILNS1_3genE0ELNS1_11target_archE4294967295ELNS1_3gpuE0ELNS1_3repE0EEENS1_30default_config_static_selectorELNS0_4arch9wavefront6targetE0EEEvT1_.num_agpr, 0
	.set _ZN7rocprim17ROCPRIM_400000_NS6detail17trampoline_kernelINS0_14default_configENS1_27scan_by_key_config_selectorIitEEZZNS1_16scan_by_key_implILNS1_25lookback_scan_determinismE0ELb0ES3_N6thrust23THRUST_200600_302600_NS6detail15normal_iteratorINS9_10device_ptrIiEEEENSB_INSC_ItEEEESG_tNS9_4plusIvEENS9_8equal_toIvEEtEE10hipError_tPvRmT2_T3_T4_T5_mT6_T7_P12ihipStream_tbENKUlT_T0_E_clISt17integral_constantIbLb1EES11_EEDaSW_SX_EUlSW_E_NS1_11comp_targetILNS1_3genE0ELNS1_11target_archE4294967295ELNS1_3gpuE0ELNS1_3repE0EEENS1_30default_config_static_selectorELNS0_4arch9wavefront6targetE0EEEvT1_.numbered_sgpr, 0
	.set _ZN7rocprim17ROCPRIM_400000_NS6detail17trampoline_kernelINS0_14default_configENS1_27scan_by_key_config_selectorIitEEZZNS1_16scan_by_key_implILNS1_25lookback_scan_determinismE0ELb0ES3_N6thrust23THRUST_200600_302600_NS6detail15normal_iteratorINS9_10device_ptrIiEEEENSB_INSC_ItEEEESG_tNS9_4plusIvEENS9_8equal_toIvEEtEE10hipError_tPvRmT2_T3_T4_T5_mT6_T7_P12ihipStream_tbENKUlT_T0_E_clISt17integral_constantIbLb1EES11_EEDaSW_SX_EUlSW_E_NS1_11comp_targetILNS1_3genE0ELNS1_11target_archE4294967295ELNS1_3gpuE0ELNS1_3repE0EEENS1_30default_config_static_selectorELNS0_4arch9wavefront6targetE0EEEvT1_.num_named_barrier, 0
	.set _ZN7rocprim17ROCPRIM_400000_NS6detail17trampoline_kernelINS0_14default_configENS1_27scan_by_key_config_selectorIitEEZZNS1_16scan_by_key_implILNS1_25lookback_scan_determinismE0ELb0ES3_N6thrust23THRUST_200600_302600_NS6detail15normal_iteratorINS9_10device_ptrIiEEEENSB_INSC_ItEEEESG_tNS9_4plusIvEENS9_8equal_toIvEEtEE10hipError_tPvRmT2_T3_T4_T5_mT6_T7_P12ihipStream_tbENKUlT_T0_E_clISt17integral_constantIbLb1EES11_EEDaSW_SX_EUlSW_E_NS1_11comp_targetILNS1_3genE0ELNS1_11target_archE4294967295ELNS1_3gpuE0ELNS1_3repE0EEENS1_30default_config_static_selectorELNS0_4arch9wavefront6targetE0EEEvT1_.private_seg_size, 0
	.set _ZN7rocprim17ROCPRIM_400000_NS6detail17trampoline_kernelINS0_14default_configENS1_27scan_by_key_config_selectorIitEEZZNS1_16scan_by_key_implILNS1_25lookback_scan_determinismE0ELb0ES3_N6thrust23THRUST_200600_302600_NS6detail15normal_iteratorINS9_10device_ptrIiEEEENSB_INSC_ItEEEESG_tNS9_4plusIvEENS9_8equal_toIvEEtEE10hipError_tPvRmT2_T3_T4_T5_mT6_T7_P12ihipStream_tbENKUlT_T0_E_clISt17integral_constantIbLb1EES11_EEDaSW_SX_EUlSW_E_NS1_11comp_targetILNS1_3genE0ELNS1_11target_archE4294967295ELNS1_3gpuE0ELNS1_3repE0EEENS1_30default_config_static_selectorELNS0_4arch9wavefront6targetE0EEEvT1_.uses_vcc, 0
	.set _ZN7rocprim17ROCPRIM_400000_NS6detail17trampoline_kernelINS0_14default_configENS1_27scan_by_key_config_selectorIitEEZZNS1_16scan_by_key_implILNS1_25lookback_scan_determinismE0ELb0ES3_N6thrust23THRUST_200600_302600_NS6detail15normal_iteratorINS9_10device_ptrIiEEEENSB_INSC_ItEEEESG_tNS9_4plusIvEENS9_8equal_toIvEEtEE10hipError_tPvRmT2_T3_T4_T5_mT6_T7_P12ihipStream_tbENKUlT_T0_E_clISt17integral_constantIbLb1EES11_EEDaSW_SX_EUlSW_E_NS1_11comp_targetILNS1_3genE0ELNS1_11target_archE4294967295ELNS1_3gpuE0ELNS1_3repE0EEENS1_30default_config_static_selectorELNS0_4arch9wavefront6targetE0EEEvT1_.uses_flat_scratch, 0
	.set _ZN7rocprim17ROCPRIM_400000_NS6detail17trampoline_kernelINS0_14default_configENS1_27scan_by_key_config_selectorIitEEZZNS1_16scan_by_key_implILNS1_25lookback_scan_determinismE0ELb0ES3_N6thrust23THRUST_200600_302600_NS6detail15normal_iteratorINS9_10device_ptrIiEEEENSB_INSC_ItEEEESG_tNS9_4plusIvEENS9_8equal_toIvEEtEE10hipError_tPvRmT2_T3_T4_T5_mT6_T7_P12ihipStream_tbENKUlT_T0_E_clISt17integral_constantIbLb1EES11_EEDaSW_SX_EUlSW_E_NS1_11comp_targetILNS1_3genE0ELNS1_11target_archE4294967295ELNS1_3gpuE0ELNS1_3repE0EEENS1_30default_config_static_selectorELNS0_4arch9wavefront6targetE0EEEvT1_.has_dyn_sized_stack, 0
	.set _ZN7rocprim17ROCPRIM_400000_NS6detail17trampoline_kernelINS0_14default_configENS1_27scan_by_key_config_selectorIitEEZZNS1_16scan_by_key_implILNS1_25lookback_scan_determinismE0ELb0ES3_N6thrust23THRUST_200600_302600_NS6detail15normal_iteratorINS9_10device_ptrIiEEEENSB_INSC_ItEEEESG_tNS9_4plusIvEENS9_8equal_toIvEEtEE10hipError_tPvRmT2_T3_T4_T5_mT6_T7_P12ihipStream_tbENKUlT_T0_E_clISt17integral_constantIbLb1EES11_EEDaSW_SX_EUlSW_E_NS1_11comp_targetILNS1_3genE0ELNS1_11target_archE4294967295ELNS1_3gpuE0ELNS1_3repE0EEENS1_30default_config_static_selectorELNS0_4arch9wavefront6targetE0EEEvT1_.has_recursion, 0
	.set _ZN7rocprim17ROCPRIM_400000_NS6detail17trampoline_kernelINS0_14default_configENS1_27scan_by_key_config_selectorIitEEZZNS1_16scan_by_key_implILNS1_25lookback_scan_determinismE0ELb0ES3_N6thrust23THRUST_200600_302600_NS6detail15normal_iteratorINS9_10device_ptrIiEEEENSB_INSC_ItEEEESG_tNS9_4plusIvEENS9_8equal_toIvEEtEE10hipError_tPvRmT2_T3_T4_T5_mT6_T7_P12ihipStream_tbENKUlT_T0_E_clISt17integral_constantIbLb1EES11_EEDaSW_SX_EUlSW_E_NS1_11comp_targetILNS1_3genE0ELNS1_11target_archE4294967295ELNS1_3gpuE0ELNS1_3repE0EEENS1_30default_config_static_selectorELNS0_4arch9wavefront6targetE0EEEvT1_.has_indirect_call, 0
	.section	.AMDGPU.csdata,"",@progbits
; Kernel info:
; codeLenInByte = 0
; TotalNumSgprs: 0
; NumVgprs: 0
; ScratchSize: 0
; MemoryBound: 0
; FloatMode: 240
; IeeeMode: 1
; LDSByteSize: 0 bytes/workgroup (compile time only)
; SGPRBlocks: 0
; VGPRBlocks: 0
; NumSGPRsForWavesPerEU: 1
; NumVGPRsForWavesPerEU: 1
; Occupancy: 16
; WaveLimiterHint : 0
; COMPUTE_PGM_RSRC2:SCRATCH_EN: 0
; COMPUTE_PGM_RSRC2:USER_SGPR: 6
; COMPUTE_PGM_RSRC2:TRAP_HANDLER: 0
; COMPUTE_PGM_RSRC2:TGID_X_EN: 1
; COMPUTE_PGM_RSRC2:TGID_Y_EN: 0
; COMPUTE_PGM_RSRC2:TGID_Z_EN: 0
; COMPUTE_PGM_RSRC2:TIDIG_COMP_CNT: 0
	.section	.text._ZN7rocprim17ROCPRIM_400000_NS6detail17trampoline_kernelINS0_14default_configENS1_27scan_by_key_config_selectorIitEEZZNS1_16scan_by_key_implILNS1_25lookback_scan_determinismE0ELb0ES3_N6thrust23THRUST_200600_302600_NS6detail15normal_iteratorINS9_10device_ptrIiEEEENSB_INSC_ItEEEESG_tNS9_4plusIvEENS9_8equal_toIvEEtEE10hipError_tPvRmT2_T3_T4_T5_mT6_T7_P12ihipStream_tbENKUlT_T0_E_clISt17integral_constantIbLb1EES11_EEDaSW_SX_EUlSW_E_NS1_11comp_targetILNS1_3genE10ELNS1_11target_archE1201ELNS1_3gpuE5ELNS1_3repE0EEENS1_30default_config_static_selectorELNS0_4arch9wavefront6targetE0EEEvT1_,"axG",@progbits,_ZN7rocprim17ROCPRIM_400000_NS6detail17trampoline_kernelINS0_14default_configENS1_27scan_by_key_config_selectorIitEEZZNS1_16scan_by_key_implILNS1_25lookback_scan_determinismE0ELb0ES3_N6thrust23THRUST_200600_302600_NS6detail15normal_iteratorINS9_10device_ptrIiEEEENSB_INSC_ItEEEESG_tNS9_4plusIvEENS9_8equal_toIvEEtEE10hipError_tPvRmT2_T3_T4_T5_mT6_T7_P12ihipStream_tbENKUlT_T0_E_clISt17integral_constantIbLb1EES11_EEDaSW_SX_EUlSW_E_NS1_11comp_targetILNS1_3genE10ELNS1_11target_archE1201ELNS1_3gpuE5ELNS1_3repE0EEENS1_30default_config_static_selectorELNS0_4arch9wavefront6targetE0EEEvT1_,comdat
	.protected	_ZN7rocprim17ROCPRIM_400000_NS6detail17trampoline_kernelINS0_14default_configENS1_27scan_by_key_config_selectorIitEEZZNS1_16scan_by_key_implILNS1_25lookback_scan_determinismE0ELb0ES3_N6thrust23THRUST_200600_302600_NS6detail15normal_iteratorINS9_10device_ptrIiEEEENSB_INSC_ItEEEESG_tNS9_4plusIvEENS9_8equal_toIvEEtEE10hipError_tPvRmT2_T3_T4_T5_mT6_T7_P12ihipStream_tbENKUlT_T0_E_clISt17integral_constantIbLb1EES11_EEDaSW_SX_EUlSW_E_NS1_11comp_targetILNS1_3genE10ELNS1_11target_archE1201ELNS1_3gpuE5ELNS1_3repE0EEENS1_30default_config_static_selectorELNS0_4arch9wavefront6targetE0EEEvT1_ ; -- Begin function _ZN7rocprim17ROCPRIM_400000_NS6detail17trampoline_kernelINS0_14default_configENS1_27scan_by_key_config_selectorIitEEZZNS1_16scan_by_key_implILNS1_25lookback_scan_determinismE0ELb0ES3_N6thrust23THRUST_200600_302600_NS6detail15normal_iteratorINS9_10device_ptrIiEEEENSB_INSC_ItEEEESG_tNS9_4plusIvEENS9_8equal_toIvEEtEE10hipError_tPvRmT2_T3_T4_T5_mT6_T7_P12ihipStream_tbENKUlT_T0_E_clISt17integral_constantIbLb1EES11_EEDaSW_SX_EUlSW_E_NS1_11comp_targetILNS1_3genE10ELNS1_11target_archE1201ELNS1_3gpuE5ELNS1_3repE0EEENS1_30default_config_static_selectorELNS0_4arch9wavefront6targetE0EEEvT1_
	.globl	_ZN7rocprim17ROCPRIM_400000_NS6detail17trampoline_kernelINS0_14default_configENS1_27scan_by_key_config_selectorIitEEZZNS1_16scan_by_key_implILNS1_25lookback_scan_determinismE0ELb0ES3_N6thrust23THRUST_200600_302600_NS6detail15normal_iteratorINS9_10device_ptrIiEEEENSB_INSC_ItEEEESG_tNS9_4plusIvEENS9_8equal_toIvEEtEE10hipError_tPvRmT2_T3_T4_T5_mT6_T7_P12ihipStream_tbENKUlT_T0_E_clISt17integral_constantIbLb1EES11_EEDaSW_SX_EUlSW_E_NS1_11comp_targetILNS1_3genE10ELNS1_11target_archE1201ELNS1_3gpuE5ELNS1_3repE0EEENS1_30default_config_static_selectorELNS0_4arch9wavefront6targetE0EEEvT1_
	.p2align	8
	.type	_ZN7rocprim17ROCPRIM_400000_NS6detail17trampoline_kernelINS0_14default_configENS1_27scan_by_key_config_selectorIitEEZZNS1_16scan_by_key_implILNS1_25lookback_scan_determinismE0ELb0ES3_N6thrust23THRUST_200600_302600_NS6detail15normal_iteratorINS9_10device_ptrIiEEEENSB_INSC_ItEEEESG_tNS9_4plusIvEENS9_8equal_toIvEEtEE10hipError_tPvRmT2_T3_T4_T5_mT6_T7_P12ihipStream_tbENKUlT_T0_E_clISt17integral_constantIbLb1EES11_EEDaSW_SX_EUlSW_E_NS1_11comp_targetILNS1_3genE10ELNS1_11target_archE1201ELNS1_3gpuE5ELNS1_3repE0EEENS1_30default_config_static_selectorELNS0_4arch9wavefront6targetE0EEEvT1_,@function
_ZN7rocprim17ROCPRIM_400000_NS6detail17trampoline_kernelINS0_14default_configENS1_27scan_by_key_config_selectorIitEEZZNS1_16scan_by_key_implILNS1_25lookback_scan_determinismE0ELb0ES3_N6thrust23THRUST_200600_302600_NS6detail15normal_iteratorINS9_10device_ptrIiEEEENSB_INSC_ItEEEESG_tNS9_4plusIvEENS9_8equal_toIvEEtEE10hipError_tPvRmT2_T3_T4_T5_mT6_T7_P12ihipStream_tbENKUlT_T0_E_clISt17integral_constantIbLb1EES11_EEDaSW_SX_EUlSW_E_NS1_11comp_targetILNS1_3genE10ELNS1_11target_archE1201ELNS1_3gpuE5ELNS1_3repE0EEENS1_30default_config_static_selectorELNS0_4arch9wavefront6targetE0EEEvT1_: ; @_ZN7rocprim17ROCPRIM_400000_NS6detail17trampoline_kernelINS0_14default_configENS1_27scan_by_key_config_selectorIitEEZZNS1_16scan_by_key_implILNS1_25lookback_scan_determinismE0ELb0ES3_N6thrust23THRUST_200600_302600_NS6detail15normal_iteratorINS9_10device_ptrIiEEEENSB_INSC_ItEEEESG_tNS9_4plusIvEENS9_8equal_toIvEEtEE10hipError_tPvRmT2_T3_T4_T5_mT6_T7_P12ihipStream_tbENKUlT_T0_E_clISt17integral_constantIbLb1EES11_EEDaSW_SX_EUlSW_E_NS1_11comp_targetILNS1_3genE10ELNS1_11target_archE1201ELNS1_3gpuE5ELNS1_3repE0EEENS1_30default_config_static_selectorELNS0_4arch9wavefront6targetE0EEEvT1_
; %bb.0:
	.section	.rodata,"a",@progbits
	.p2align	6, 0x0
	.amdhsa_kernel _ZN7rocprim17ROCPRIM_400000_NS6detail17trampoline_kernelINS0_14default_configENS1_27scan_by_key_config_selectorIitEEZZNS1_16scan_by_key_implILNS1_25lookback_scan_determinismE0ELb0ES3_N6thrust23THRUST_200600_302600_NS6detail15normal_iteratorINS9_10device_ptrIiEEEENSB_INSC_ItEEEESG_tNS9_4plusIvEENS9_8equal_toIvEEtEE10hipError_tPvRmT2_T3_T4_T5_mT6_T7_P12ihipStream_tbENKUlT_T0_E_clISt17integral_constantIbLb1EES11_EEDaSW_SX_EUlSW_E_NS1_11comp_targetILNS1_3genE10ELNS1_11target_archE1201ELNS1_3gpuE5ELNS1_3repE0EEENS1_30default_config_static_selectorELNS0_4arch9wavefront6targetE0EEEvT1_
		.amdhsa_group_segment_fixed_size 0
		.amdhsa_private_segment_fixed_size 0
		.amdhsa_kernarg_size 112
		.amdhsa_user_sgpr_count 6
		.amdhsa_user_sgpr_private_segment_buffer 1
		.amdhsa_user_sgpr_dispatch_ptr 0
		.amdhsa_user_sgpr_queue_ptr 0
		.amdhsa_user_sgpr_kernarg_segment_ptr 1
		.amdhsa_user_sgpr_dispatch_id 0
		.amdhsa_user_sgpr_flat_scratch_init 0
		.amdhsa_user_sgpr_private_segment_size 0
		.amdhsa_wavefront_size32 1
		.amdhsa_uses_dynamic_stack 0
		.amdhsa_system_sgpr_private_segment_wavefront_offset 0
		.amdhsa_system_sgpr_workgroup_id_x 1
		.amdhsa_system_sgpr_workgroup_id_y 0
		.amdhsa_system_sgpr_workgroup_id_z 0
		.amdhsa_system_sgpr_workgroup_info 0
		.amdhsa_system_vgpr_workitem_id 0
		.amdhsa_next_free_vgpr 1
		.amdhsa_next_free_sgpr 1
		.amdhsa_reserve_vcc 0
		.amdhsa_reserve_flat_scratch 0
		.amdhsa_float_round_mode_32 0
		.amdhsa_float_round_mode_16_64 0
		.amdhsa_float_denorm_mode_32 3
		.amdhsa_float_denorm_mode_16_64 3
		.amdhsa_dx10_clamp 1
		.amdhsa_ieee_mode 1
		.amdhsa_fp16_overflow 0
		.amdhsa_workgroup_processor_mode 1
		.amdhsa_memory_ordered 1
		.amdhsa_forward_progress 1
		.amdhsa_shared_vgpr_count 0
		.amdhsa_exception_fp_ieee_invalid_op 0
		.amdhsa_exception_fp_denorm_src 0
		.amdhsa_exception_fp_ieee_div_zero 0
		.amdhsa_exception_fp_ieee_overflow 0
		.amdhsa_exception_fp_ieee_underflow 0
		.amdhsa_exception_fp_ieee_inexact 0
		.amdhsa_exception_int_div_zero 0
	.end_amdhsa_kernel
	.section	.text._ZN7rocprim17ROCPRIM_400000_NS6detail17trampoline_kernelINS0_14default_configENS1_27scan_by_key_config_selectorIitEEZZNS1_16scan_by_key_implILNS1_25lookback_scan_determinismE0ELb0ES3_N6thrust23THRUST_200600_302600_NS6detail15normal_iteratorINS9_10device_ptrIiEEEENSB_INSC_ItEEEESG_tNS9_4plusIvEENS9_8equal_toIvEEtEE10hipError_tPvRmT2_T3_T4_T5_mT6_T7_P12ihipStream_tbENKUlT_T0_E_clISt17integral_constantIbLb1EES11_EEDaSW_SX_EUlSW_E_NS1_11comp_targetILNS1_3genE10ELNS1_11target_archE1201ELNS1_3gpuE5ELNS1_3repE0EEENS1_30default_config_static_selectorELNS0_4arch9wavefront6targetE0EEEvT1_,"axG",@progbits,_ZN7rocprim17ROCPRIM_400000_NS6detail17trampoline_kernelINS0_14default_configENS1_27scan_by_key_config_selectorIitEEZZNS1_16scan_by_key_implILNS1_25lookback_scan_determinismE0ELb0ES3_N6thrust23THRUST_200600_302600_NS6detail15normal_iteratorINS9_10device_ptrIiEEEENSB_INSC_ItEEEESG_tNS9_4plusIvEENS9_8equal_toIvEEtEE10hipError_tPvRmT2_T3_T4_T5_mT6_T7_P12ihipStream_tbENKUlT_T0_E_clISt17integral_constantIbLb1EES11_EEDaSW_SX_EUlSW_E_NS1_11comp_targetILNS1_3genE10ELNS1_11target_archE1201ELNS1_3gpuE5ELNS1_3repE0EEENS1_30default_config_static_selectorELNS0_4arch9wavefront6targetE0EEEvT1_,comdat
.Lfunc_end1279:
	.size	_ZN7rocprim17ROCPRIM_400000_NS6detail17trampoline_kernelINS0_14default_configENS1_27scan_by_key_config_selectorIitEEZZNS1_16scan_by_key_implILNS1_25lookback_scan_determinismE0ELb0ES3_N6thrust23THRUST_200600_302600_NS6detail15normal_iteratorINS9_10device_ptrIiEEEENSB_INSC_ItEEEESG_tNS9_4plusIvEENS9_8equal_toIvEEtEE10hipError_tPvRmT2_T3_T4_T5_mT6_T7_P12ihipStream_tbENKUlT_T0_E_clISt17integral_constantIbLb1EES11_EEDaSW_SX_EUlSW_E_NS1_11comp_targetILNS1_3genE10ELNS1_11target_archE1201ELNS1_3gpuE5ELNS1_3repE0EEENS1_30default_config_static_selectorELNS0_4arch9wavefront6targetE0EEEvT1_, .Lfunc_end1279-_ZN7rocprim17ROCPRIM_400000_NS6detail17trampoline_kernelINS0_14default_configENS1_27scan_by_key_config_selectorIitEEZZNS1_16scan_by_key_implILNS1_25lookback_scan_determinismE0ELb0ES3_N6thrust23THRUST_200600_302600_NS6detail15normal_iteratorINS9_10device_ptrIiEEEENSB_INSC_ItEEEESG_tNS9_4plusIvEENS9_8equal_toIvEEtEE10hipError_tPvRmT2_T3_T4_T5_mT6_T7_P12ihipStream_tbENKUlT_T0_E_clISt17integral_constantIbLb1EES11_EEDaSW_SX_EUlSW_E_NS1_11comp_targetILNS1_3genE10ELNS1_11target_archE1201ELNS1_3gpuE5ELNS1_3repE0EEENS1_30default_config_static_selectorELNS0_4arch9wavefront6targetE0EEEvT1_
                                        ; -- End function
	.set _ZN7rocprim17ROCPRIM_400000_NS6detail17trampoline_kernelINS0_14default_configENS1_27scan_by_key_config_selectorIitEEZZNS1_16scan_by_key_implILNS1_25lookback_scan_determinismE0ELb0ES3_N6thrust23THRUST_200600_302600_NS6detail15normal_iteratorINS9_10device_ptrIiEEEENSB_INSC_ItEEEESG_tNS9_4plusIvEENS9_8equal_toIvEEtEE10hipError_tPvRmT2_T3_T4_T5_mT6_T7_P12ihipStream_tbENKUlT_T0_E_clISt17integral_constantIbLb1EES11_EEDaSW_SX_EUlSW_E_NS1_11comp_targetILNS1_3genE10ELNS1_11target_archE1201ELNS1_3gpuE5ELNS1_3repE0EEENS1_30default_config_static_selectorELNS0_4arch9wavefront6targetE0EEEvT1_.num_vgpr, 0
	.set _ZN7rocprim17ROCPRIM_400000_NS6detail17trampoline_kernelINS0_14default_configENS1_27scan_by_key_config_selectorIitEEZZNS1_16scan_by_key_implILNS1_25lookback_scan_determinismE0ELb0ES3_N6thrust23THRUST_200600_302600_NS6detail15normal_iteratorINS9_10device_ptrIiEEEENSB_INSC_ItEEEESG_tNS9_4plusIvEENS9_8equal_toIvEEtEE10hipError_tPvRmT2_T3_T4_T5_mT6_T7_P12ihipStream_tbENKUlT_T0_E_clISt17integral_constantIbLb1EES11_EEDaSW_SX_EUlSW_E_NS1_11comp_targetILNS1_3genE10ELNS1_11target_archE1201ELNS1_3gpuE5ELNS1_3repE0EEENS1_30default_config_static_selectorELNS0_4arch9wavefront6targetE0EEEvT1_.num_agpr, 0
	.set _ZN7rocprim17ROCPRIM_400000_NS6detail17trampoline_kernelINS0_14default_configENS1_27scan_by_key_config_selectorIitEEZZNS1_16scan_by_key_implILNS1_25lookback_scan_determinismE0ELb0ES3_N6thrust23THRUST_200600_302600_NS6detail15normal_iteratorINS9_10device_ptrIiEEEENSB_INSC_ItEEEESG_tNS9_4plusIvEENS9_8equal_toIvEEtEE10hipError_tPvRmT2_T3_T4_T5_mT6_T7_P12ihipStream_tbENKUlT_T0_E_clISt17integral_constantIbLb1EES11_EEDaSW_SX_EUlSW_E_NS1_11comp_targetILNS1_3genE10ELNS1_11target_archE1201ELNS1_3gpuE5ELNS1_3repE0EEENS1_30default_config_static_selectorELNS0_4arch9wavefront6targetE0EEEvT1_.numbered_sgpr, 0
	.set _ZN7rocprim17ROCPRIM_400000_NS6detail17trampoline_kernelINS0_14default_configENS1_27scan_by_key_config_selectorIitEEZZNS1_16scan_by_key_implILNS1_25lookback_scan_determinismE0ELb0ES3_N6thrust23THRUST_200600_302600_NS6detail15normal_iteratorINS9_10device_ptrIiEEEENSB_INSC_ItEEEESG_tNS9_4plusIvEENS9_8equal_toIvEEtEE10hipError_tPvRmT2_T3_T4_T5_mT6_T7_P12ihipStream_tbENKUlT_T0_E_clISt17integral_constantIbLb1EES11_EEDaSW_SX_EUlSW_E_NS1_11comp_targetILNS1_3genE10ELNS1_11target_archE1201ELNS1_3gpuE5ELNS1_3repE0EEENS1_30default_config_static_selectorELNS0_4arch9wavefront6targetE0EEEvT1_.num_named_barrier, 0
	.set _ZN7rocprim17ROCPRIM_400000_NS6detail17trampoline_kernelINS0_14default_configENS1_27scan_by_key_config_selectorIitEEZZNS1_16scan_by_key_implILNS1_25lookback_scan_determinismE0ELb0ES3_N6thrust23THRUST_200600_302600_NS6detail15normal_iteratorINS9_10device_ptrIiEEEENSB_INSC_ItEEEESG_tNS9_4plusIvEENS9_8equal_toIvEEtEE10hipError_tPvRmT2_T3_T4_T5_mT6_T7_P12ihipStream_tbENKUlT_T0_E_clISt17integral_constantIbLb1EES11_EEDaSW_SX_EUlSW_E_NS1_11comp_targetILNS1_3genE10ELNS1_11target_archE1201ELNS1_3gpuE5ELNS1_3repE0EEENS1_30default_config_static_selectorELNS0_4arch9wavefront6targetE0EEEvT1_.private_seg_size, 0
	.set _ZN7rocprim17ROCPRIM_400000_NS6detail17trampoline_kernelINS0_14default_configENS1_27scan_by_key_config_selectorIitEEZZNS1_16scan_by_key_implILNS1_25lookback_scan_determinismE0ELb0ES3_N6thrust23THRUST_200600_302600_NS6detail15normal_iteratorINS9_10device_ptrIiEEEENSB_INSC_ItEEEESG_tNS9_4plusIvEENS9_8equal_toIvEEtEE10hipError_tPvRmT2_T3_T4_T5_mT6_T7_P12ihipStream_tbENKUlT_T0_E_clISt17integral_constantIbLb1EES11_EEDaSW_SX_EUlSW_E_NS1_11comp_targetILNS1_3genE10ELNS1_11target_archE1201ELNS1_3gpuE5ELNS1_3repE0EEENS1_30default_config_static_selectorELNS0_4arch9wavefront6targetE0EEEvT1_.uses_vcc, 0
	.set _ZN7rocprim17ROCPRIM_400000_NS6detail17trampoline_kernelINS0_14default_configENS1_27scan_by_key_config_selectorIitEEZZNS1_16scan_by_key_implILNS1_25lookback_scan_determinismE0ELb0ES3_N6thrust23THRUST_200600_302600_NS6detail15normal_iteratorINS9_10device_ptrIiEEEENSB_INSC_ItEEEESG_tNS9_4plusIvEENS9_8equal_toIvEEtEE10hipError_tPvRmT2_T3_T4_T5_mT6_T7_P12ihipStream_tbENKUlT_T0_E_clISt17integral_constantIbLb1EES11_EEDaSW_SX_EUlSW_E_NS1_11comp_targetILNS1_3genE10ELNS1_11target_archE1201ELNS1_3gpuE5ELNS1_3repE0EEENS1_30default_config_static_selectorELNS0_4arch9wavefront6targetE0EEEvT1_.uses_flat_scratch, 0
	.set _ZN7rocprim17ROCPRIM_400000_NS6detail17trampoline_kernelINS0_14default_configENS1_27scan_by_key_config_selectorIitEEZZNS1_16scan_by_key_implILNS1_25lookback_scan_determinismE0ELb0ES3_N6thrust23THRUST_200600_302600_NS6detail15normal_iteratorINS9_10device_ptrIiEEEENSB_INSC_ItEEEESG_tNS9_4plusIvEENS9_8equal_toIvEEtEE10hipError_tPvRmT2_T3_T4_T5_mT6_T7_P12ihipStream_tbENKUlT_T0_E_clISt17integral_constantIbLb1EES11_EEDaSW_SX_EUlSW_E_NS1_11comp_targetILNS1_3genE10ELNS1_11target_archE1201ELNS1_3gpuE5ELNS1_3repE0EEENS1_30default_config_static_selectorELNS0_4arch9wavefront6targetE0EEEvT1_.has_dyn_sized_stack, 0
	.set _ZN7rocprim17ROCPRIM_400000_NS6detail17trampoline_kernelINS0_14default_configENS1_27scan_by_key_config_selectorIitEEZZNS1_16scan_by_key_implILNS1_25lookback_scan_determinismE0ELb0ES3_N6thrust23THRUST_200600_302600_NS6detail15normal_iteratorINS9_10device_ptrIiEEEENSB_INSC_ItEEEESG_tNS9_4plusIvEENS9_8equal_toIvEEtEE10hipError_tPvRmT2_T3_T4_T5_mT6_T7_P12ihipStream_tbENKUlT_T0_E_clISt17integral_constantIbLb1EES11_EEDaSW_SX_EUlSW_E_NS1_11comp_targetILNS1_3genE10ELNS1_11target_archE1201ELNS1_3gpuE5ELNS1_3repE0EEENS1_30default_config_static_selectorELNS0_4arch9wavefront6targetE0EEEvT1_.has_recursion, 0
	.set _ZN7rocprim17ROCPRIM_400000_NS6detail17trampoline_kernelINS0_14default_configENS1_27scan_by_key_config_selectorIitEEZZNS1_16scan_by_key_implILNS1_25lookback_scan_determinismE0ELb0ES3_N6thrust23THRUST_200600_302600_NS6detail15normal_iteratorINS9_10device_ptrIiEEEENSB_INSC_ItEEEESG_tNS9_4plusIvEENS9_8equal_toIvEEtEE10hipError_tPvRmT2_T3_T4_T5_mT6_T7_P12ihipStream_tbENKUlT_T0_E_clISt17integral_constantIbLb1EES11_EEDaSW_SX_EUlSW_E_NS1_11comp_targetILNS1_3genE10ELNS1_11target_archE1201ELNS1_3gpuE5ELNS1_3repE0EEENS1_30default_config_static_selectorELNS0_4arch9wavefront6targetE0EEEvT1_.has_indirect_call, 0
	.section	.AMDGPU.csdata,"",@progbits
; Kernel info:
; codeLenInByte = 0
; TotalNumSgprs: 0
; NumVgprs: 0
; ScratchSize: 0
; MemoryBound: 0
; FloatMode: 240
; IeeeMode: 1
; LDSByteSize: 0 bytes/workgroup (compile time only)
; SGPRBlocks: 0
; VGPRBlocks: 0
; NumSGPRsForWavesPerEU: 1
; NumVGPRsForWavesPerEU: 1
; Occupancy: 16
; WaveLimiterHint : 0
; COMPUTE_PGM_RSRC2:SCRATCH_EN: 0
; COMPUTE_PGM_RSRC2:USER_SGPR: 6
; COMPUTE_PGM_RSRC2:TRAP_HANDLER: 0
; COMPUTE_PGM_RSRC2:TGID_X_EN: 1
; COMPUTE_PGM_RSRC2:TGID_Y_EN: 0
; COMPUTE_PGM_RSRC2:TGID_Z_EN: 0
; COMPUTE_PGM_RSRC2:TIDIG_COMP_CNT: 0
	.section	.text._ZN7rocprim17ROCPRIM_400000_NS6detail17trampoline_kernelINS0_14default_configENS1_27scan_by_key_config_selectorIitEEZZNS1_16scan_by_key_implILNS1_25lookback_scan_determinismE0ELb0ES3_N6thrust23THRUST_200600_302600_NS6detail15normal_iteratorINS9_10device_ptrIiEEEENSB_INSC_ItEEEESG_tNS9_4plusIvEENS9_8equal_toIvEEtEE10hipError_tPvRmT2_T3_T4_T5_mT6_T7_P12ihipStream_tbENKUlT_T0_E_clISt17integral_constantIbLb1EES11_EEDaSW_SX_EUlSW_E_NS1_11comp_targetILNS1_3genE5ELNS1_11target_archE942ELNS1_3gpuE9ELNS1_3repE0EEENS1_30default_config_static_selectorELNS0_4arch9wavefront6targetE0EEEvT1_,"axG",@progbits,_ZN7rocprim17ROCPRIM_400000_NS6detail17trampoline_kernelINS0_14default_configENS1_27scan_by_key_config_selectorIitEEZZNS1_16scan_by_key_implILNS1_25lookback_scan_determinismE0ELb0ES3_N6thrust23THRUST_200600_302600_NS6detail15normal_iteratorINS9_10device_ptrIiEEEENSB_INSC_ItEEEESG_tNS9_4plusIvEENS9_8equal_toIvEEtEE10hipError_tPvRmT2_T3_T4_T5_mT6_T7_P12ihipStream_tbENKUlT_T0_E_clISt17integral_constantIbLb1EES11_EEDaSW_SX_EUlSW_E_NS1_11comp_targetILNS1_3genE5ELNS1_11target_archE942ELNS1_3gpuE9ELNS1_3repE0EEENS1_30default_config_static_selectorELNS0_4arch9wavefront6targetE0EEEvT1_,comdat
	.protected	_ZN7rocprim17ROCPRIM_400000_NS6detail17trampoline_kernelINS0_14default_configENS1_27scan_by_key_config_selectorIitEEZZNS1_16scan_by_key_implILNS1_25lookback_scan_determinismE0ELb0ES3_N6thrust23THRUST_200600_302600_NS6detail15normal_iteratorINS9_10device_ptrIiEEEENSB_INSC_ItEEEESG_tNS9_4plusIvEENS9_8equal_toIvEEtEE10hipError_tPvRmT2_T3_T4_T5_mT6_T7_P12ihipStream_tbENKUlT_T0_E_clISt17integral_constantIbLb1EES11_EEDaSW_SX_EUlSW_E_NS1_11comp_targetILNS1_3genE5ELNS1_11target_archE942ELNS1_3gpuE9ELNS1_3repE0EEENS1_30default_config_static_selectorELNS0_4arch9wavefront6targetE0EEEvT1_ ; -- Begin function _ZN7rocprim17ROCPRIM_400000_NS6detail17trampoline_kernelINS0_14default_configENS1_27scan_by_key_config_selectorIitEEZZNS1_16scan_by_key_implILNS1_25lookback_scan_determinismE0ELb0ES3_N6thrust23THRUST_200600_302600_NS6detail15normal_iteratorINS9_10device_ptrIiEEEENSB_INSC_ItEEEESG_tNS9_4plusIvEENS9_8equal_toIvEEtEE10hipError_tPvRmT2_T3_T4_T5_mT6_T7_P12ihipStream_tbENKUlT_T0_E_clISt17integral_constantIbLb1EES11_EEDaSW_SX_EUlSW_E_NS1_11comp_targetILNS1_3genE5ELNS1_11target_archE942ELNS1_3gpuE9ELNS1_3repE0EEENS1_30default_config_static_selectorELNS0_4arch9wavefront6targetE0EEEvT1_
	.globl	_ZN7rocprim17ROCPRIM_400000_NS6detail17trampoline_kernelINS0_14default_configENS1_27scan_by_key_config_selectorIitEEZZNS1_16scan_by_key_implILNS1_25lookback_scan_determinismE0ELb0ES3_N6thrust23THRUST_200600_302600_NS6detail15normal_iteratorINS9_10device_ptrIiEEEENSB_INSC_ItEEEESG_tNS9_4plusIvEENS9_8equal_toIvEEtEE10hipError_tPvRmT2_T3_T4_T5_mT6_T7_P12ihipStream_tbENKUlT_T0_E_clISt17integral_constantIbLb1EES11_EEDaSW_SX_EUlSW_E_NS1_11comp_targetILNS1_3genE5ELNS1_11target_archE942ELNS1_3gpuE9ELNS1_3repE0EEENS1_30default_config_static_selectorELNS0_4arch9wavefront6targetE0EEEvT1_
	.p2align	8
	.type	_ZN7rocprim17ROCPRIM_400000_NS6detail17trampoline_kernelINS0_14default_configENS1_27scan_by_key_config_selectorIitEEZZNS1_16scan_by_key_implILNS1_25lookback_scan_determinismE0ELb0ES3_N6thrust23THRUST_200600_302600_NS6detail15normal_iteratorINS9_10device_ptrIiEEEENSB_INSC_ItEEEESG_tNS9_4plusIvEENS9_8equal_toIvEEtEE10hipError_tPvRmT2_T3_T4_T5_mT6_T7_P12ihipStream_tbENKUlT_T0_E_clISt17integral_constantIbLb1EES11_EEDaSW_SX_EUlSW_E_NS1_11comp_targetILNS1_3genE5ELNS1_11target_archE942ELNS1_3gpuE9ELNS1_3repE0EEENS1_30default_config_static_selectorELNS0_4arch9wavefront6targetE0EEEvT1_,@function
_ZN7rocprim17ROCPRIM_400000_NS6detail17trampoline_kernelINS0_14default_configENS1_27scan_by_key_config_selectorIitEEZZNS1_16scan_by_key_implILNS1_25lookback_scan_determinismE0ELb0ES3_N6thrust23THRUST_200600_302600_NS6detail15normal_iteratorINS9_10device_ptrIiEEEENSB_INSC_ItEEEESG_tNS9_4plusIvEENS9_8equal_toIvEEtEE10hipError_tPvRmT2_T3_T4_T5_mT6_T7_P12ihipStream_tbENKUlT_T0_E_clISt17integral_constantIbLb1EES11_EEDaSW_SX_EUlSW_E_NS1_11comp_targetILNS1_3genE5ELNS1_11target_archE942ELNS1_3gpuE9ELNS1_3repE0EEENS1_30default_config_static_selectorELNS0_4arch9wavefront6targetE0EEEvT1_: ; @_ZN7rocprim17ROCPRIM_400000_NS6detail17trampoline_kernelINS0_14default_configENS1_27scan_by_key_config_selectorIitEEZZNS1_16scan_by_key_implILNS1_25lookback_scan_determinismE0ELb0ES3_N6thrust23THRUST_200600_302600_NS6detail15normal_iteratorINS9_10device_ptrIiEEEENSB_INSC_ItEEEESG_tNS9_4plusIvEENS9_8equal_toIvEEtEE10hipError_tPvRmT2_T3_T4_T5_mT6_T7_P12ihipStream_tbENKUlT_T0_E_clISt17integral_constantIbLb1EES11_EEDaSW_SX_EUlSW_E_NS1_11comp_targetILNS1_3genE5ELNS1_11target_archE942ELNS1_3gpuE9ELNS1_3repE0EEENS1_30default_config_static_selectorELNS0_4arch9wavefront6targetE0EEEvT1_
; %bb.0:
	.section	.rodata,"a",@progbits
	.p2align	6, 0x0
	.amdhsa_kernel _ZN7rocprim17ROCPRIM_400000_NS6detail17trampoline_kernelINS0_14default_configENS1_27scan_by_key_config_selectorIitEEZZNS1_16scan_by_key_implILNS1_25lookback_scan_determinismE0ELb0ES3_N6thrust23THRUST_200600_302600_NS6detail15normal_iteratorINS9_10device_ptrIiEEEENSB_INSC_ItEEEESG_tNS9_4plusIvEENS9_8equal_toIvEEtEE10hipError_tPvRmT2_T3_T4_T5_mT6_T7_P12ihipStream_tbENKUlT_T0_E_clISt17integral_constantIbLb1EES11_EEDaSW_SX_EUlSW_E_NS1_11comp_targetILNS1_3genE5ELNS1_11target_archE942ELNS1_3gpuE9ELNS1_3repE0EEENS1_30default_config_static_selectorELNS0_4arch9wavefront6targetE0EEEvT1_
		.amdhsa_group_segment_fixed_size 0
		.amdhsa_private_segment_fixed_size 0
		.amdhsa_kernarg_size 112
		.amdhsa_user_sgpr_count 6
		.amdhsa_user_sgpr_private_segment_buffer 1
		.amdhsa_user_sgpr_dispatch_ptr 0
		.amdhsa_user_sgpr_queue_ptr 0
		.amdhsa_user_sgpr_kernarg_segment_ptr 1
		.amdhsa_user_sgpr_dispatch_id 0
		.amdhsa_user_sgpr_flat_scratch_init 0
		.amdhsa_user_sgpr_private_segment_size 0
		.amdhsa_wavefront_size32 1
		.amdhsa_uses_dynamic_stack 0
		.amdhsa_system_sgpr_private_segment_wavefront_offset 0
		.amdhsa_system_sgpr_workgroup_id_x 1
		.amdhsa_system_sgpr_workgroup_id_y 0
		.amdhsa_system_sgpr_workgroup_id_z 0
		.amdhsa_system_sgpr_workgroup_info 0
		.amdhsa_system_vgpr_workitem_id 0
		.amdhsa_next_free_vgpr 1
		.amdhsa_next_free_sgpr 1
		.amdhsa_reserve_vcc 0
		.amdhsa_reserve_flat_scratch 0
		.amdhsa_float_round_mode_32 0
		.amdhsa_float_round_mode_16_64 0
		.amdhsa_float_denorm_mode_32 3
		.amdhsa_float_denorm_mode_16_64 3
		.amdhsa_dx10_clamp 1
		.amdhsa_ieee_mode 1
		.amdhsa_fp16_overflow 0
		.amdhsa_workgroup_processor_mode 1
		.amdhsa_memory_ordered 1
		.amdhsa_forward_progress 1
		.amdhsa_shared_vgpr_count 0
		.amdhsa_exception_fp_ieee_invalid_op 0
		.amdhsa_exception_fp_denorm_src 0
		.amdhsa_exception_fp_ieee_div_zero 0
		.amdhsa_exception_fp_ieee_overflow 0
		.amdhsa_exception_fp_ieee_underflow 0
		.amdhsa_exception_fp_ieee_inexact 0
		.amdhsa_exception_int_div_zero 0
	.end_amdhsa_kernel
	.section	.text._ZN7rocprim17ROCPRIM_400000_NS6detail17trampoline_kernelINS0_14default_configENS1_27scan_by_key_config_selectorIitEEZZNS1_16scan_by_key_implILNS1_25lookback_scan_determinismE0ELb0ES3_N6thrust23THRUST_200600_302600_NS6detail15normal_iteratorINS9_10device_ptrIiEEEENSB_INSC_ItEEEESG_tNS9_4plusIvEENS9_8equal_toIvEEtEE10hipError_tPvRmT2_T3_T4_T5_mT6_T7_P12ihipStream_tbENKUlT_T0_E_clISt17integral_constantIbLb1EES11_EEDaSW_SX_EUlSW_E_NS1_11comp_targetILNS1_3genE5ELNS1_11target_archE942ELNS1_3gpuE9ELNS1_3repE0EEENS1_30default_config_static_selectorELNS0_4arch9wavefront6targetE0EEEvT1_,"axG",@progbits,_ZN7rocprim17ROCPRIM_400000_NS6detail17trampoline_kernelINS0_14default_configENS1_27scan_by_key_config_selectorIitEEZZNS1_16scan_by_key_implILNS1_25lookback_scan_determinismE0ELb0ES3_N6thrust23THRUST_200600_302600_NS6detail15normal_iteratorINS9_10device_ptrIiEEEENSB_INSC_ItEEEESG_tNS9_4plusIvEENS9_8equal_toIvEEtEE10hipError_tPvRmT2_T3_T4_T5_mT6_T7_P12ihipStream_tbENKUlT_T0_E_clISt17integral_constantIbLb1EES11_EEDaSW_SX_EUlSW_E_NS1_11comp_targetILNS1_3genE5ELNS1_11target_archE942ELNS1_3gpuE9ELNS1_3repE0EEENS1_30default_config_static_selectorELNS0_4arch9wavefront6targetE0EEEvT1_,comdat
.Lfunc_end1280:
	.size	_ZN7rocprim17ROCPRIM_400000_NS6detail17trampoline_kernelINS0_14default_configENS1_27scan_by_key_config_selectorIitEEZZNS1_16scan_by_key_implILNS1_25lookback_scan_determinismE0ELb0ES3_N6thrust23THRUST_200600_302600_NS6detail15normal_iteratorINS9_10device_ptrIiEEEENSB_INSC_ItEEEESG_tNS9_4plusIvEENS9_8equal_toIvEEtEE10hipError_tPvRmT2_T3_T4_T5_mT6_T7_P12ihipStream_tbENKUlT_T0_E_clISt17integral_constantIbLb1EES11_EEDaSW_SX_EUlSW_E_NS1_11comp_targetILNS1_3genE5ELNS1_11target_archE942ELNS1_3gpuE9ELNS1_3repE0EEENS1_30default_config_static_selectorELNS0_4arch9wavefront6targetE0EEEvT1_, .Lfunc_end1280-_ZN7rocprim17ROCPRIM_400000_NS6detail17trampoline_kernelINS0_14default_configENS1_27scan_by_key_config_selectorIitEEZZNS1_16scan_by_key_implILNS1_25lookback_scan_determinismE0ELb0ES3_N6thrust23THRUST_200600_302600_NS6detail15normal_iteratorINS9_10device_ptrIiEEEENSB_INSC_ItEEEESG_tNS9_4plusIvEENS9_8equal_toIvEEtEE10hipError_tPvRmT2_T3_T4_T5_mT6_T7_P12ihipStream_tbENKUlT_T0_E_clISt17integral_constantIbLb1EES11_EEDaSW_SX_EUlSW_E_NS1_11comp_targetILNS1_3genE5ELNS1_11target_archE942ELNS1_3gpuE9ELNS1_3repE0EEENS1_30default_config_static_selectorELNS0_4arch9wavefront6targetE0EEEvT1_
                                        ; -- End function
	.set _ZN7rocprim17ROCPRIM_400000_NS6detail17trampoline_kernelINS0_14default_configENS1_27scan_by_key_config_selectorIitEEZZNS1_16scan_by_key_implILNS1_25lookback_scan_determinismE0ELb0ES3_N6thrust23THRUST_200600_302600_NS6detail15normal_iteratorINS9_10device_ptrIiEEEENSB_INSC_ItEEEESG_tNS9_4plusIvEENS9_8equal_toIvEEtEE10hipError_tPvRmT2_T3_T4_T5_mT6_T7_P12ihipStream_tbENKUlT_T0_E_clISt17integral_constantIbLb1EES11_EEDaSW_SX_EUlSW_E_NS1_11comp_targetILNS1_3genE5ELNS1_11target_archE942ELNS1_3gpuE9ELNS1_3repE0EEENS1_30default_config_static_selectorELNS0_4arch9wavefront6targetE0EEEvT1_.num_vgpr, 0
	.set _ZN7rocprim17ROCPRIM_400000_NS6detail17trampoline_kernelINS0_14default_configENS1_27scan_by_key_config_selectorIitEEZZNS1_16scan_by_key_implILNS1_25lookback_scan_determinismE0ELb0ES3_N6thrust23THRUST_200600_302600_NS6detail15normal_iteratorINS9_10device_ptrIiEEEENSB_INSC_ItEEEESG_tNS9_4plusIvEENS9_8equal_toIvEEtEE10hipError_tPvRmT2_T3_T4_T5_mT6_T7_P12ihipStream_tbENKUlT_T0_E_clISt17integral_constantIbLb1EES11_EEDaSW_SX_EUlSW_E_NS1_11comp_targetILNS1_3genE5ELNS1_11target_archE942ELNS1_3gpuE9ELNS1_3repE0EEENS1_30default_config_static_selectorELNS0_4arch9wavefront6targetE0EEEvT1_.num_agpr, 0
	.set _ZN7rocprim17ROCPRIM_400000_NS6detail17trampoline_kernelINS0_14default_configENS1_27scan_by_key_config_selectorIitEEZZNS1_16scan_by_key_implILNS1_25lookback_scan_determinismE0ELb0ES3_N6thrust23THRUST_200600_302600_NS6detail15normal_iteratorINS9_10device_ptrIiEEEENSB_INSC_ItEEEESG_tNS9_4plusIvEENS9_8equal_toIvEEtEE10hipError_tPvRmT2_T3_T4_T5_mT6_T7_P12ihipStream_tbENKUlT_T0_E_clISt17integral_constantIbLb1EES11_EEDaSW_SX_EUlSW_E_NS1_11comp_targetILNS1_3genE5ELNS1_11target_archE942ELNS1_3gpuE9ELNS1_3repE0EEENS1_30default_config_static_selectorELNS0_4arch9wavefront6targetE0EEEvT1_.numbered_sgpr, 0
	.set _ZN7rocprim17ROCPRIM_400000_NS6detail17trampoline_kernelINS0_14default_configENS1_27scan_by_key_config_selectorIitEEZZNS1_16scan_by_key_implILNS1_25lookback_scan_determinismE0ELb0ES3_N6thrust23THRUST_200600_302600_NS6detail15normal_iteratorINS9_10device_ptrIiEEEENSB_INSC_ItEEEESG_tNS9_4plusIvEENS9_8equal_toIvEEtEE10hipError_tPvRmT2_T3_T4_T5_mT6_T7_P12ihipStream_tbENKUlT_T0_E_clISt17integral_constantIbLb1EES11_EEDaSW_SX_EUlSW_E_NS1_11comp_targetILNS1_3genE5ELNS1_11target_archE942ELNS1_3gpuE9ELNS1_3repE0EEENS1_30default_config_static_selectorELNS0_4arch9wavefront6targetE0EEEvT1_.num_named_barrier, 0
	.set _ZN7rocprim17ROCPRIM_400000_NS6detail17trampoline_kernelINS0_14default_configENS1_27scan_by_key_config_selectorIitEEZZNS1_16scan_by_key_implILNS1_25lookback_scan_determinismE0ELb0ES3_N6thrust23THRUST_200600_302600_NS6detail15normal_iteratorINS9_10device_ptrIiEEEENSB_INSC_ItEEEESG_tNS9_4plusIvEENS9_8equal_toIvEEtEE10hipError_tPvRmT2_T3_T4_T5_mT6_T7_P12ihipStream_tbENKUlT_T0_E_clISt17integral_constantIbLb1EES11_EEDaSW_SX_EUlSW_E_NS1_11comp_targetILNS1_3genE5ELNS1_11target_archE942ELNS1_3gpuE9ELNS1_3repE0EEENS1_30default_config_static_selectorELNS0_4arch9wavefront6targetE0EEEvT1_.private_seg_size, 0
	.set _ZN7rocprim17ROCPRIM_400000_NS6detail17trampoline_kernelINS0_14default_configENS1_27scan_by_key_config_selectorIitEEZZNS1_16scan_by_key_implILNS1_25lookback_scan_determinismE0ELb0ES3_N6thrust23THRUST_200600_302600_NS6detail15normal_iteratorINS9_10device_ptrIiEEEENSB_INSC_ItEEEESG_tNS9_4plusIvEENS9_8equal_toIvEEtEE10hipError_tPvRmT2_T3_T4_T5_mT6_T7_P12ihipStream_tbENKUlT_T0_E_clISt17integral_constantIbLb1EES11_EEDaSW_SX_EUlSW_E_NS1_11comp_targetILNS1_3genE5ELNS1_11target_archE942ELNS1_3gpuE9ELNS1_3repE0EEENS1_30default_config_static_selectorELNS0_4arch9wavefront6targetE0EEEvT1_.uses_vcc, 0
	.set _ZN7rocprim17ROCPRIM_400000_NS6detail17trampoline_kernelINS0_14default_configENS1_27scan_by_key_config_selectorIitEEZZNS1_16scan_by_key_implILNS1_25lookback_scan_determinismE0ELb0ES3_N6thrust23THRUST_200600_302600_NS6detail15normal_iteratorINS9_10device_ptrIiEEEENSB_INSC_ItEEEESG_tNS9_4plusIvEENS9_8equal_toIvEEtEE10hipError_tPvRmT2_T3_T4_T5_mT6_T7_P12ihipStream_tbENKUlT_T0_E_clISt17integral_constantIbLb1EES11_EEDaSW_SX_EUlSW_E_NS1_11comp_targetILNS1_3genE5ELNS1_11target_archE942ELNS1_3gpuE9ELNS1_3repE0EEENS1_30default_config_static_selectorELNS0_4arch9wavefront6targetE0EEEvT1_.uses_flat_scratch, 0
	.set _ZN7rocprim17ROCPRIM_400000_NS6detail17trampoline_kernelINS0_14default_configENS1_27scan_by_key_config_selectorIitEEZZNS1_16scan_by_key_implILNS1_25lookback_scan_determinismE0ELb0ES3_N6thrust23THRUST_200600_302600_NS6detail15normal_iteratorINS9_10device_ptrIiEEEENSB_INSC_ItEEEESG_tNS9_4plusIvEENS9_8equal_toIvEEtEE10hipError_tPvRmT2_T3_T4_T5_mT6_T7_P12ihipStream_tbENKUlT_T0_E_clISt17integral_constantIbLb1EES11_EEDaSW_SX_EUlSW_E_NS1_11comp_targetILNS1_3genE5ELNS1_11target_archE942ELNS1_3gpuE9ELNS1_3repE0EEENS1_30default_config_static_selectorELNS0_4arch9wavefront6targetE0EEEvT1_.has_dyn_sized_stack, 0
	.set _ZN7rocprim17ROCPRIM_400000_NS6detail17trampoline_kernelINS0_14default_configENS1_27scan_by_key_config_selectorIitEEZZNS1_16scan_by_key_implILNS1_25lookback_scan_determinismE0ELb0ES3_N6thrust23THRUST_200600_302600_NS6detail15normal_iteratorINS9_10device_ptrIiEEEENSB_INSC_ItEEEESG_tNS9_4plusIvEENS9_8equal_toIvEEtEE10hipError_tPvRmT2_T3_T4_T5_mT6_T7_P12ihipStream_tbENKUlT_T0_E_clISt17integral_constantIbLb1EES11_EEDaSW_SX_EUlSW_E_NS1_11comp_targetILNS1_3genE5ELNS1_11target_archE942ELNS1_3gpuE9ELNS1_3repE0EEENS1_30default_config_static_selectorELNS0_4arch9wavefront6targetE0EEEvT1_.has_recursion, 0
	.set _ZN7rocprim17ROCPRIM_400000_NS6detail17trampoline_kernelINS0_14default_configENS1_27scan_by_key_config_selectorIitEEZZNS1_16scan_by_key_implILNS1_25lookback_scan_determinismE0ELb0ES3_N6thrust23THRUST_200600_302600_NS6detail15normal_iteratorINS9_10device_ptrIiEEEENSB_INSC_ItEEEESG_tNS9_4plusIvEENS9_8equal_toIvEEtEE10hipError_tPvRmT2_T3_T4_T5_mT6_T7_P12ihipStream_tbENKUlT_T0_E_clISt17integral_constantIbLb1EES11_EEDaSW_SX_EUlSW_E_NS1_11comp_targetILNS1_3genE5ELNS1_11target_archE942ELNS1_3gpuE9ELNS1_3repE0EEENS1_30default_config_static_selectorELNS0_4arch9wavefront6targetE0EEEvT1_.has_indirect_call, 0
	.section	.AMDGPU.csdata,"",@progbits
; Kernel info:
; codeLenInByte = 0
; TotalNumSgprs: 0
; NumVgprs: 0
; ScratchSize: 0
; MemoryBound: 0
; FloatMode: 240
; IeeeMode: 1
; LDSByteSize: 0 bytes/workgroup (compile time only)
; SGPRBlocks: 0
; VGPRBlocks: 0
; NumSGPRsForWavesPerEU: 1
; NumVGPRsForWavesPerEU: 1
; Occupancy: 16
; WaveLimiterHint : 0
; COMPUTE_PGM_RSRC2:SCRATCH_EN: 0
; COMPUTE_PGM_RSRC2:USER_SGPR: 6
; COMPUTE_PGM_RSRC2:TRAP_HANDLER: 0
; COMPUTE_PGM_RSRC2:TGID_X_EN: 1
; COMPUTE_PGM_RSRC2:TGID_Y_EN: 0
; COMPUTE_PGM_RSRC2:TGID_Z_EN: 0
; COMPUTE_PGM_RSRC2:TIDIG_COMP_CNT: 0
	.section	.text._ZN7rocprim17ROCPRIM_400000_NS6detail17trampoline_kernelINS0_14default_configENS1_27scan_by_key_config_selectorIitEEZZNS1_16scan_by_key_implILNS1_25lookback_scan_determinismE0ELb0ES3_N6thrust23THRUST_200600_302600_NS6detail15normal_iteratorINS9_10device_ptrIiEEEENSB_INSC_ItEEEESG_tNS9_4plusIvEENS9_8equal_toIvEEtEE10hipError_tPvRmT2_T3_T4_T5_mT6_T7_P12ihipStream_tbENKUlT_T0_E_clISt17integral_constantIbLb1EES11_EEDaSW_SX_EUlSW_E_NS1_11comp_targetILNS1_3genE4ELNS1_11target_archE910ELNS1_3gpuE8ELNS1_3repE0EEENS1_30default_config_static_selectorELNS0_4arch9wavefront6targetE0EEEvT1_,"axG",@progbits,_ZN7rocprim17ROCPRIM_400000_NS6detail17trampoline_kernelINS0_14default_configENS1_27scan_by_key_config_selectorIitEEZZNS1_16scan_by_key_implILNS1_25lookback_scan_determinismE0ELb0ES3_N6thrust23THRUST_200600_302600_NS6detail15normal_iteratorINS9_10device_ptrIiEEEENSB_INSC_ItEEEESG_tNS9_4plusIvEENS9_8equal_toIvEEtEE10hipError_tPvRmT2_T3_T4_T5_mT6_T7_P12ihipStream_tbENKUlT_T0_E_clISt17integral_constantIbLb1EES11_EEDaSW_SX_EUlSW_E_NS1_11comp_targetILNS1_3genE4ELNS1_11target_archE910ELNS1_3gpuE8ELNS1_3repE0EEENS1_30default_config_static_selectorELNS0_4arch9wavefront6targetE0EEEvT1_,comdat
	.protected	_ZN7rocprim17ROCPRIM_400000_NS6detail17trampoline_kernelINS0_14default_configENS1_27scan_by_key_config_selectorIitEEZZNS1_16scan_by_key_implILNS1_25lookback_scan_determinismE0ELb0ES3_N6thrust23THRUST_200600_302600_NS6detail15normal_iteratorINS9_10device_ptrIiEEEENSB_INSC_ItEEEESG_tNS9_4plusIvEENS9_8equal_toIvEEtEE10hipError_tPvRmT2_T3_T4_T5_mT6_T7_P12ihipStream_tbENKUlT_T0_E_clISt17integral_constantIbLb1EES11_EEDaSW_SX_EUlSW_E_NS1_11comp_targetILNS1_3genE4ELNS1_11target_archE910ELNS1_3gpuE8ELNS1_3repE0EEENS1_30default_config_static_selectorELNS0_4arch9wavefront6targetE0EEEvT1_ ; -- Begin function _ZN7rocprim17ROCPRIM_400000_NS6detail17trampoline_kernelINS0_14default_configENS1_27scan_by_key_config_selectorIitEEZZNS1_16scan_by_key_implILNS1_25lookback_scan_determinismE0ELb0ES3_N6thrust23THRUST_200600_302600_NS6detail15normal_iteratorINS9_10device_ptrIiEEEENSB_INSC_ItEEEESG_tNS9_4plusIvEENS9_8equal_toIvEEtEE10hipError_tPvRmT2_T3_T4_T5_mT6_T7_P12ihipStream_tbENKUlT_T0_E_clISt17integral_constantIbLb1EES11_EEDaSW_SX_EUlSW_E_NS1_11comp_targetILNS1_3genE4ELNS1_11target_archE910ELNS1_3gpuE8ELNS1_3repE0EEENS1_30default_config_static_selectorELNS0_4arch9wavefront6targetE0EEEvT1_
	.globl	_ZN7rocprim17ROCPRIM_400000_NS6detail17trampoline_kernelINS0_14default_configENS1_27scan_by_key_config_selectorIitEEZZNS1_16scan_by_key_implILNS1_25lookback_scan_determinismE0ELb0ES3_N6thrust23THRUST_200600_302600_NS6detail15normal_iteratorINS9_10device_ptrIiEEEENSB_INSC_ItEEEESG_tNS9_4plusIvEENS9_8equal_toIvEEtEE10hipError_tPvRmT2_T3_T4_T5_mT6_T7_P12ihipStream_tbENKUlT_T0_E_clISt17integral_constantIbLb1EES11_EEDaSW_SX_EUlSW_E_NS1_11comp_targetILNS1_3genE4ELNS1_11target_archE910ELNS1_3gpuE8ELNS1_3repE0EEENS1_30default_config_static_selectorELNS0_4arch9wavefront6targetE0EEEvT1_
	.p2align	8
	.type	_ZN7rocprim17ROCPRIM_400000_NS6detail17trampoline_kernelINS0_14default_configENS1_27scan_by_key_config_selectorIitEEZZNS1_16scan_by_key_implILNS1_25lookback_scan_determinismE0ELb0ES3_N6thrust23THRUST_200600_302600_NS6detail15normal_iteratorINS9_10device_ptrIiEEEENSB_INSC_ItEEEESG_tNS9_4plusIvEENS9_8equal_toIvEEtEE10hipError_tPvRmT2_T3_T4_T5_mT6_T7_P12ihipStream_tbENKUlT_T0_E_clISt17integral_constantIbLb1EES11_EEDaSW_SX_EUlSW_E_NS1_11comp_targetILNS1_3genE4ELNS1_11target_archE910ELNS1_3gpuE8ELNS1_3repE0EEENS1_30default_config_static_selectorELNS0_4arch9wavefront6targetE0EEEvT1_,@function
_ZN7rocprim17ROCPRIM_400000_NS6detail17trampoline_kernelINS0_14default_configENS1_27scan_by_key_config_selectorIitEEZZNS1_16scan_by_key_implILNS1_25lookback_scan_determinismE0ELb0ES3_N6thrust23THRUST_200600_302600_NS6detail15normal_iteratorINS9_10device_ptrIiEEEENSB_INSC_ItEEEESG_tNS9_4plusIvEENS9_8equal_toIvEEtEE10hipError_tPvRmT2_T3_T4_T5_mT6_T7_P12ihipStream_tbENKUlT_T0_E_clISt17integral_constantIbLb1EES11_EEDaSW_SX_EUlSW_E_NS1_11comp_targetILNS1_3genE4ELNS1_11target_archE910ELNS1_3gpuE8ELNS1_3repE0EEENS1_30default_config_static_selectorELNS0_4arch9wavefront6targetE0EEEvT1_: ; @_ZN7rocprim17ROCPRIM_400000_NS6detail17trampoline_kernelINS0_14default_configENS1_27scan_by_key_config_selectorIitEEZZNS1_16scan_by_key_implILNS1_25lookback_scan_determinismE0ELb0ES3_N6thrust23THRUST_200600_302600_NS6detail15normal_iteratorINS9_10device_ptrIiEEEENSB_INSC_ItEEEESG_tNS9_4plusIvEENS9_8equal_toIvEEtEE10hipError_tPvRmT2_T3_T4_T5_mT6_T7_P12ihipStream_tbENKUlT_T0_E_clISt17integral_constantIbLb1EES11_EEDaSW_SX_EUlSW_E_NS1_11comp_targetILNS1_3genE4ELNS1_11target_archE910ELNS1_3gpuE8ELNS1_3repE0EEENS1_30default_config_static_selectorELNS0_4arch9wavefront6targetE0EEEvT1_
; %bb.0:
	.section	.rodata,"a",@progbits
	.p2align	6, 0x0
	.amdhsa_kernel _ZN7rocprim17ROCPRIM_400000_NS6detail17trampoline_kernelINS0_14default_configENS1_27scan_by_key_config_selectorIitEEZZNS1_16scan_by_key_implILNS1_25lookback_scan_determinismE0ELb0ES3_N6thrust23THRUST_200600_302600_NS6detail15normal_iteratorINS9_10device_ptrIiEEEENSB_INSC_ItEEEESG_tNS9_4plusIvEENS9_8equal_toIvEEtEE10hipError_tPvRmT2_T3_T4_T5_mT6_T7_P12ihipStream_tbENKUlT_T0_E_clISt17integral_constantIbLb1EES11_EEDaSW_SX_EUlSW_E_NS1_11comp_targetILNS1_3genE4ELNS1_11target_archE910ELNS1_3gpuE8ELNS1_3repE0EEENS1_30default_config_static_selectorELNS0_4arch9wavefront6targetE0EEEvT1_
		.amdhsa_group_segment_fixed_size 0
		.amdhsa_private_segment_fixed_size 0
		.amdhsa_kernarg_size 112
		.amdhsa_user_sgpr_count 6
		.amdhsa_user_sgpr_private_segment_buffer 1
		.amdhsa_user_sgpr_dispatch_ptr 0
		.amdhsa_user_sgpr_queue_ptr 0
		.amdhsa_user_sgpr_kernarg_segment_ptr 1
		.amdhsa_user_sgpr_dispatch_id 0
		.amdhsa_user_sgpr_flat_scratch_init 0
		.amdhsa_user_sgpr_private_segment_size 0
		.amdhsa_wavefront_size32 1
		.amdhsa_uses_dynamic_stack 0
		.amdhsa_system_sgpr_private_segment_wavefront_offset 0
		.amdhsa_system_sgpr_workgroup_id_x 1
		.amdhsa_system_sgpr_workgroup_id_y 0
		.amdhsa_system_sgpr_workgroup_id_z 0
		.amdhsa_system_sgpr_workgroup_info 0
		.amdhsa_system_vgpr_workitem_id 0
		.amdhsa_next_free_vgpr 1
		.amdhsa_next_free_sgpr 1
		.amdhsa_reserve_vcc 0
		.amdhsa_reserve_flat_scratch 0
		.amdhsa_float_round_mode_32 0
		.amdhsa_float_round_mode_16_64 0
		.amdhsa_float_denorm_mode_32 3
		.amdhsa_float_denorm_mode_16_64 3
		.amdhsa_dx10_clamp 1
		.amdhsa_ieee_mode 1
		.amdhsa_fp16_overflow 0
		.amdhsa_workgroup_processor_mode 1
		.amdhsa_memory_ordered 1
		.amdhsa_forward_progress 1
		.amdhsa_shared_vgpr_count 0
		.amdhsa_exception_fp_ieee_invalid_op 0
		.amdhsa_exception_fp_denorm_src 0
		.amdhsa_exception_fp_ieee_div_zero 0
		.amdhsa_exception_fp_ieee_overflow 0
		.amdhsa_exception_fp_ieee_underflow 0
		.amdhsa_exception_fp_ieee_inexact 0
		.amdhsa_exception_int_div_zero 0
	.end_amdhsa_kernel
	.section	.text._ZN7rocprim17ROCPRIM_400000_NS6detail17trampoline_kernelINS0_14default_configENS1_27scan_by_key_config_selectorIitEEZZNS1_16scan_by_key_implILNS1_25lookback_scan_determinismE0ELb0ES3_N6thrust23THRUST_200600_302600_NS6detail15normal_iteratorINS9_10device_ptrIiEEEENSB_INSC_ItEEEESG_tNS9_4plusIvEENS9_8equal_toIvEEtEE10hipError_tPvRmT2_T3_T4_T5_mT6_T7_P12ihipStream_tbENKUlT_T0_E_clISt17integral_constantIbLb1EES11_EEDaSW_SX_EUlSW_E_NS1_11comp_targetILNS1_3genE4ELNS1_11target_archE910ELNS1_3gpuE8ELNS1_3repE0EEENS1_30default_config_static_selectorELNS0_4arch9wavefront6targetE0EEEvT1_,"axG",@progbits,_ZN7rocprim17ROCPRIM_400000_NS6detail17trampoline_kernelINS0_14default_configENS1_27scan_by_key_config_selectorIitEEZZNS1_16scan_by_key_implILNS1_25lookback_scan_determinismE0ELb0ES3_N6thrust23THRUST_200600_302600_NS6detail15normal_iteratorINS9_10device_ptrIiEEEENSB_INSC_ItEEEESG_tNS9_4plusIvEENS9_8equal_toIvEEtEE10hipError_tPvRmT2_T3_T4_T5_mT6_T7_P12ihipStream_tbENKUlT_T0_E_clISt17integral_constantIbLb1EES11_EEDaSW_SX_EUlSW_E_NS1_11comp_targetILNS1_3genE4ELNS1_11target_archE910ELNS1_3gpuE8ELNS1_3repE0EEENS1_30default_config_static_selectorELNS0_4arch9wavefront6targetE0EEEvT1_,comdat
.Lfunc_end1281:
	.size	_ZN7rocprim17ROCPRIM_400000_NS6detail17trampoline_kernelINS0_14default_configENS1_27scan_by_key_config_selectorIitEEZZNS1_16scan_by_key_implILNS1_25lookback_scan_determinismE0ELb0ES3_N6thrust23THRUST_200600_302600_NS6detail15normal_iteratorINS9_10device_ptrIiEEEENSB_INSC_ItEEEESG_tNS9_4plusIvEENS9_8equal_toIvEEtEE10hipError_tPvRmT2_T3_T4_T5_mT6_T7_P12ihipStream_tbENKUlT_T0_E_clISt17integral_constantIbLb1EES11_EEDaSW_SX_EUlSW_E_NS1_11comp_targetILNS1_3genE4ELNS1_11target_archE910ELNS1_3gpuE8ELNS1_3repE0EEENS1_30default_config_static_selectorELNS0_4arch9wavefront6targetE0EEEvT1_, .Lfunc_end1281-_ZN7rocprim17ROCPRIM_400000_NS6detail17trampoline_kernelINS0_14default_configENS1_27scan_by_key_config_selectorIitEEZZNS1_16scan_by_key_implILNS1_25lookback_scan_determinismE0ELb0ES3_N6thrust23THRUST_200600_302600_NS6detail15normal_iteratorINS9_10device_ptrIiEEEENSB_INSC_ItEEEESG_tNS9_4plusIvEENS9_8equal_toIvEEtEE10hipError_tPvRmT2_T3_T4_T5_mT6_T7_P12ihipStream_tbENKUlT_T0_E_clISt17integral_constantIbLb1EES11_EEDaSW_SX_EUlSW_E_NS1_11comp_targetILNS1_3genE4ELNS1_11target_archE910ELNS1_3gpuE8ELNS1_3repE0EEENS1_30default_config_static_selectorELNS0_4arch9wavefront6targetE0EEEvT1_
                                        ; -- End function
	.set _ZN7rocprim17ROCPRIM_400000_NS6detail17trampoline_kernelINS0_14default_configENS1_27scan_by_key_config_selectorIitEEZZNS1_16scan_by_key_implILNS1_25lookback_scan_determinismE0ELb0ES3_N6thrust23THRUST_200600_302600_NS6detail15normal_iteratorINS9_10device_ptrIiEEEENSB_INSC_ItEEEESG_tNS9_4plusIvEENS9_8equal_toIvEEtEE10hipError_tPvRmT2_T3_T4_T5_mT6_T7_P12ihipStream_tbENKUlT_T0_E_clISt17integral_constantIbLb1EES11_EEDaSW_SX_EUlSW_E_NS1_11comp_targetILNS1_3genE4ELNS1_11target_archE910ELNS1_3gpuE8ELNS1_3repE0EEENS1_30default_config_static_selectorELNS0_4arch9wavefront6targetE0EEEvT1_.num_vgpr, 0
	.set _ZN7rocprim17ROCPRIM_400000_NS6detail17trampoline_kernelINS0_14default_configENS1_27scan_by_key_config_selectorIitEEZZNS1_16scan_by_key_implILNS1_25lookback_scan_determinismE0ELb0ES3_N6thrust23THRUST_200600_302600_NS6detail15normal_iteratorINS9_10device_ptrIiEEEENSB_INSC_ItEEEESG_tNS9_4plusIvEENS9_8equal_toIvEEtEE10hipError_tPvRmT2_T3_T4_T5_mT6_T7_P12ihipStream_tbENKUlT_T0_E_clISt17integral_constantIbLb1EES11_EEDaSW_SX_EUlSW_E_NS1_11comp_targetILNS1_3genE4ELNS1_11target_archE910ELNS1_3gpuE8ELNS1_3repE0EEENS1_30default_config_static_selectorELNS0_4arch9wavefront6targetE0EEEvT1_.num_agpr, 0
	.set _ZN7rocprim17ROCPRIM_400000_NS6detail17trampoline_kernelINS0_14default_configENS1_27scan_by_key_config_selectorIitEEZZNS1_16scan_by_key_implILNS1_25lookback_scan_determinismE0ELb0ES3_N6thrust23THRUST_200600_302600_NS6detail15normal_iteratorINS9_10device_ptrIiEEEENSB_INSC_ItEEEESG_tNS9_4plusIvEENS9_8equal_toIvEEtEE10hipError_tPvRmT2_T3_T4_T5_mT6_T7_P12ihipStream_tbENKUlT_T0_E_clISt17integral_constantIbLb1EES11_EEDaSW_SX_EUlSW_E_NS1_11comp_targetILNS1_3genE4ELNS1_11target_archE910ELNS1_3gpuE8ELNS1_3repE0EEENS1_30default_config_static_selectorELNS0_4arch9wavefront6targetE0EEEvT1_.numbered_sgpr, 0
	.set _ZN7rocprim17ROCPRIM_400000_NS6detail17trampoline_kernelINS0_14default_configENS1_27scan_by_key_config_selectorIitEEZZNS1_16scan_by_key_implILNS1_25lookback_scan_determinismE0ELb0ES3_N6thrust23THRUST_200600_302600_NS6detail15normal_iteratorINS9_10device_ptrIiEEEENSB_INSC_ItEEEESG_tNS9_4plusIvEENS9_8equal_toIvEEtEE10hipError_tPvRmT2_T3_T4_T5_mT6_T7_P12ihipStream_tbENKUlT_T0_E_clISt17integral_constantIbLb1EES11_EEDaSW_SX_EUlSW_E_NS1_11comp_targetILNS1_3genE4ELNS1_11target_archE910ELNS1_3gpuE8ELNS1_3repE0EEENS1_30default_config_static_selectorELNS0_4arch9wavefront6targetE0EEEvT1_.num_named_barrier, 0
	.set _ZN7rocprim17ROCPRIM_400000_NS6detail17trampoline_kernelINS0_14default_configENS1_27scan_by_key_config_selectorIitEEZZNS1_16scan_by_key_implILNS1_25lookback_scan_determinismE0ELb0ES3_N6thrust23THRUST_200600_302600_NS6detail15normal_iteratorINS9_10device_ptrIiEEEENSB_INSC_ItEEEESG_tNS9_4plusIvEENS9_8equal_toIvEEtEE10hipError_tPvRmT2_T3_T4_T5_mT6_T7_P12ihipStream_tbENKUlT_T0_E_clISt17integral_constantIbLb1EES11_EEDaSW_SX_EUlSW_E_NS1_11comp_targetILNS1_3genE4ELNS1_11target_archE910ELNS1_3gpuE8ELNS1_3repE0EEENS1_30default_config_static_selectorELNS0_4arch9wavefront6targetE0EEEvT1_.private_seg_size, 0
	.set _ZN7rocprim17ROCPRIM_400000_NS6detail17trampoline_kernelINS0_14default_configENS1_27scan_by_key_config_selectorIitEEZZNS1_16scan_by_key_implILNS1_25lookback_scan_determinismE0ELb0ES3_N6thrust23THRUST_200600_302600_NS6detail15normal_iteratorINS9_10device_ptrIiEEEENSB_INSC_ItEEEESG_tNS9_4plusIvEENS9_8equal_toIvEEtEE10hipError_tPvRmT2_T3_T4_T5_mT6_T7_P12ihipStream_tbENKUlT_T0_E_clISt17integral_constantIbLb1EES11_EEDaSW_SX_EUlSW_E_NS1_11comp_targetILNS1_3genE4ELNS1_11target_archE910ELNS1_3gpuE8ELNS1_3repE0EEENS1_30default_config_static_selectorELNS0_4arch9wavefront6targetE0EEEvT1_.uses_vcc, 0
	.set _ZN7rocprim17ROCPRIM_400000_NS6detail17trampoline_kernelINS0_14default_configENS1_27scan_by_key_config_selectorIitEEZZNS1_16scan_by_key_implILNS1_25lookback_scan_determinismE0ELb0ES3_N6thrust23THRUST_200600_302600_NS6detail15normal_iteratorINS9_10device_ptrIiEEEENSB_INSC_ItEEEESG_tNS9_4plusIvEENS9_8equal_toIvEEtEE10hipError_tPvRmT2_T3_T4_T5_mT6_T7_P12ihipStream_tbENKUlT_T0_E_clISt17integral_constantIbLb1EES11_EEDaSW_SX_EUlSW_E_NS1_11comp_targetILNS1_3genE4ELNS1_11target_archE910ELNS1_3gpuE8ELNS1_3repE0EEENS1_30default_config_static_selectorELNS0_4arch9wavefront6targetE0EEEvT1_.uses_flat_scratch, 0
	.set _ZN7rocprim17ROCPRIM_400000_NS6detail17trampoline_kernelINS0_14default_configENS1_27scan_by_key_config_selectorIitEEZZNS1_16scan_by_key_implILNS1_25lookback_scan_determinismE0ELb0ES3_N6thrust23THRUST_200600_302600_NS6detail15normal_iteratorINS9_10device_ptrIiEEEENSB_INSC_ItEEEESG_tNS9_4plusIvEENS9_8equal_toIvEEtEE10hipError_tPvRmT2_T3_T4_T5_mT6_T7_P12ihipStream_tbENKUlT_T0_E_clISt17integral_constantIbLb1EES11_EEDaSW_SX_EUlSW_E_NS1_11comp_targetILNS1_3genE4ELNS1_11target_archE910ELNS1_3gpuE8ELNS1_3repE0EEENS1_30default_config_static_selectorELNS0_4arch9wavefront6targetE0EEEvT1_.has_dyn_sized_stack, 0
	.set _ZN7rocprim17ROCPRIM_400000_NS6detail17trampoline_kernelINS0_14default_configENS1_27scan_by_key_config_selectorIitEEZZNS1_16scan_by_key_implILNS1_25lookback_scan_determinismE0ELb0ES3_N6thrust23THRUST_200600_302600_NS6detail15normal_iteratorINS9_10device_ptrIiEEEENSB_INSC_ItEEEESG_tNS9_4plusIvEENS9_8equal_toIvEEtEE10hipError_tPvRmT2_T3_T4_T5_mT6_T7_P12ihipStream_tbENKUlT_T0_E_clISt17integral_constantIbLb1EES11_EEDaSW_SX_EUlSW_E_NS1_11comp_targetILNS1_3genE4ELNS1_11target_archE910ELNS1_3gpuE8ELNS1_3repE0EEENS1_30default_config_static_selectorELNS0_4arch9wavefront6targetE0EEEvT1_.has_recursion, 0
	.set _ZN7rocprim17ROCPRIM_400000_NS6detail17trampoline_kernelINS0_14default_configENS1_27scan_by_key_config_selectorIitEEZZNS1_16scan_by_key_implILNS1_25lookback_scan_determinismE0ELb0ES3_N6thrust23THRUST_200600_302600_NS6detail15normal_iteratorINS9_10device_ptrIiEEEENSB_INSC_ItEEEESG_tNS9_4plusIvEENS9_8equal_toIvEEtEE10hipError_tPvRmT2_T3_T4_T5_mT6_T7_P12ihipStream_tbENKUlT_T0_E_clISt17integral_constantIbLb1EES11_EEDaSW_SX_EUlSW_E_NS1_11comp_targetILNS1_3genE4ELNS1_11target_archE910ELNS1_3gpuE8ELNS1_3repE0EEENS1_30default_config_static_selectorELNS0_4arch9wavefront6targetE0EEEvT1_.has_indirect_call, 0
	.section	.AMDGPU.csdata,"",@progbits
; Kernel info:
; codeLenInByte = 0
; TotalNumSgprs: 0
; NumVgprs: 0
; ScratchSize: 0
; MemoryBound: 0
; FloatMode: 240
; IeeeMode: 1
; LDSByteSize: 0 bytes/workgroup (compile time only)
; SGPRBlocks: 0
; VGPRBlocks: 0
; NumSGPRsForWavesPerEU: 1
; NumVGPRsForWavesPerEU: 1
; Occupancy: 16
; WaveLimiterHint : 0
; COMPUTE_PGM_RSRC2:SCRATCH_EN: 0
; COMPUTE_PGM_RSRC2:USER_SGPR: 6
; COMPUTE_PGM_RSRC2:TRAP_HANDLER: 0
; COMPUTE_PGM_RSRC2:TGID_X_EN: 1
; COMPUTE_PGM_RSRC2:TGID_Y_EN: 0
; COMPUTE_PGM_RSRC2:TGID_Z_EN: 0
; COMPUTE_PGM_RSRC2:TIDIG_COMP_CNT: 0
	.section	.text._ZN7rocprim17ROCPRIM_400000_NS6detail17trampoline_kernelINS0_14default_configENS1_27scan_by_key_config_selectorIitEEZZNS1_16scan_by_key_implILNS1_25lookback_scan_determinismE0ELb0ES3_N6thrust23THRUST_200600_302600_NS6detail15normal_iteratorINS9_10device_ptrIiEEEENSB_INSC_ItEEEESG_tNS9_4plusIvEENS9_8equal_toIvEEtEE10hipError_tPvRmT2_T3_T4_T5_mT6_T7_P12ihipStream_tbENKUlT_T0_E_clISt17integral_constantIbLb1EES11_EEDaSW_SX_EUlSW_E_NS1_11comp_targetILNS1_3genE3ELNS1_11target_archE908ELNS1_3gpuE7ELNS1_3repE0EEENS1_30default_config_static_selectorELNS0_4arch9wavefront6targetE0EEEvT1_,"axG",@progbits,_ZN7rocprim17ROCPRIM_400000_NS6detail17trampoline_kernelINS0_14default_configENS1_27scan_by_key_config_selectorIitEEZZNS1_16scan_by_key_implILNS1_25lookback_scan_determinismE0ELb0ES3_N6thrust23THRUST_200600_302600_NS6detail15normal_iteratorINS9_10device_ptrIiEEEENSB_INSC_ItEEEESG_tNS9_4plusIvEENS9_8equal_toIvEEtEE10hipError_tPvRmT2_T3_T4_T5_mT6_T7_P12ihipStream_tbENKUlT_T0_E_clISt17integral_constantIbLb1EES11_EEDaSW_SX_EUlSW_E_NS1_11comp_targetILNS1_3genE3ELNS1_11target_archE908ELNS1_3gpuE7ELNS1_3repE0EEENS1_30default_config_static_selectorELNS0_4arch9wavefront6targetE0EEEvT1_,comdat
	.protected	_ZN7rocprim17ROCPRIM_400000_NS6detail17trampoline_kernelINS0_14default_configENS1_27scan_by_key_config_selectorIitEEZZNS1_16scan_by_key_implILNS1_25lookback_scan_determinismE0ELb0ES3_N6thrust23THRUST_200600_302600_NS6detail15normal_iteratorINS9_10device_ptrIiEEEENSB_INSC_ItEEEESG_tNS9_4plusIvEENS9_8equal_toIvEEtEE10hipError_tPvRmT2_T3_T4_T5_mT6_T7_P12ihipStream_tbENKUlT_T0_E_clISt17integral_constantIbLb1EES11_EEDaSW_SX_EUlSW_E_NS1_11comp_targetILNS1_3genE3ELNS1_11target_archE908ELNS1_3gpuE7ELNS1_3repE0EEENS1_30default_config_static_selectorELNS0_4arch9wavefront6targetE0EEEvT1_ ; -- Begin function _ZN7rocprim17ROCPRIM_400000_NS6detail17trampoline_kernelINS0_14default_configENS1_27scan_by_key_config_selectorIitEEZZNS1_16scan_by_key_implILNS1_25lookback_scan_determinismE0ELb0ES3_N6thrust23THRUST_200600_302600_NS6detail15normal_iteratorINS9_10device_ptrIiEEEENSB_INSC_ItEEEESG_tNS9_4plusIvEENS9_8equal_toIvEEtEE10hipError_tPvRmT2_T3_T4_T5_mT6_T7_P12ihipStream_tbENKUlT_T0_E_clISt17integral_constantIbLb1EES11_EEDaSW_SX_EUlSW_E_NS1_11comp_targetILNS1_3genE3ELNS1_11target_archE908ELNS1_3gpuE7ELNS1_3repE0EEENS1_30default_config_static_selectorELNS0_4arch9wavefront6targetE0EEEvT1_
	.globl	_ZN7rocprim17ROCPRIM_400000_NS6detail17trampoline_kernelINS0_14default_configENS1_27scan_by_key_config_selectorIitEEZZNS1_16scan_by_key_implILNS1_25lookback_scan_determinismE0ELb0ES3_N6thrust23THRUST_200600_302600_NS6detail15normal_iteratorINS9_10device_ptrIiEEEENSB_INSC_ItEEEESG_tNS9_4plusIvEENS9_8equal_toIvEEtEE10hipError_tPvRmT2_T3_T4_T5_mT6_T7_P12ihipStream_tbENKUlT_T0_E_clISt17integral_constantIbLb1EES11_EEDaSW_SX_EUlSW_E_NS1_11comp_targetILNS1_3genE3ELNS1_11target_archE908ELNS1_3gpuE7ELNS1_3repE0EEENS1_30default_config_static_selectorELNS0_4arch9wavefront6targetE0EEEvT1_
	.p2align	8
	.type	_ZN7rocprim17ROCPRIM_400000_NS6detail17trampoline_kernelINS0_14default_configENS1_27scan_by_key_config_selectorIitEEZZNS1_16scan_by_key_implILNS1_25lookback_scan_determinismE0ELb0ES3_N6thrust23THRUST_200600_302600_NS6detail15normal_iteratorINS9_10device_ptrIiEEEENSB_INSC_ItEEEESG_tNS9_4plusIvEENS9_8equal_toIvEEtEE10hipError_tPvRmT2_T3_T4_T5_mT6_T7_P12ihipStream_tbENKUlT_T0_E_clISt17integral_constantIbLb1EES11_EEDaSW_SX_EUlSW_E_NS1_11comp_targetILNS1_3genE3ELNS1_11target_archE908ELNS1_3gpuE7ELNS1_3repE0EEENS1_30default_config_static_selectorELNS0_4arch9wavefront6targetE0EEEvT1_,@function
_ZN7rocprim17ROCPRIM_400000_NS6detail17trampoline_kernelINS0_14default_configENS1_27scan_by_key_config_selectorIitEEZZNS1_16scan_by_key_implILNS1_25lookback_scan_determinismE0ELb0ES3_N6thrust23THRUST_200600_302600_NS6detail15normal_iteratorINS9_10device_ptrIiEEEENSB_INSC_ItEEEESG_tNS9_4plusIvEENS9_8equal_toIvEEtEE10hipError_tPvRmT2_T3_T4_T5_mT6_T7_P12ihipStream_tbENKUlT_T0_E_clISt17integral_constantIbLb1EES11_EEDaSW_SX_EUlSW_E_NS1_11comp_targetILNS1_3genE3ELNS1_11target_archE908ELNS1_3gpuE7ELNS1_3repE0EEENS1_30default_config_static_selectorELNS0_4arch9wavefront6targetE0EEEvT1_: ; @_ZN7rocprim17ROCPRIM_400000_NS6detail17trampoline_kernelINS0_14default_configENS1_27scan_by_key_config_selectorIitEEZZNS1_16scan_by_key_implILNS1_25lookback_scan_determinismE0ELb0ES3_N6thrust23THRUST_200600_302600_NS6detail15normal_iteratorINS9_10device_ptrIiEEEENSB_INSC_ItEEEESG_tNS9_4plusIvEENS9_8equal_toIvEEtEE10hipError_tPvRmT2_T3_T4_T5_mT6_T7_P12ihipStream_tbENKUlT_T0_E_clISt17integral_constantIbLb1EES11_EEDaSW_SX_EUlSW_E_NS1_11comp_targetILNS1_3genE3ELNS1_11target_archE908ELNS1_3gpuE7ELNS1_3repE0EEENS1_30default_config_static_selectorELNS0_4arch9wavefront6targetE0EEEvT1_
; %bb.0:
	.section	.rodata,"a",@progbits
	.p2align	6, 0x0
	.amdhsa_kernel _ZN7rocprim17ROCPRIM_400000_NS6detail17trampoline_kernelINS0_14default_configENS1_27scan_by_key_config_selectorIitEEZZNS1_16scan_by_key_implILNS1_25lookback_scan_determinismE0ELb0ES3_N6thrust23THRUST_200600_302600_NS6detail15normal_iteratorINS9_10device_ptrIiEEEENSB_INSC_ItEEEESG_tNS9_4plusIvEENS9_8equal_toIvEEtEE10hipError_tPvRmT2_T3_T4_T5_mT6_T7_P12ihipStream_tbENKUlT_T0_E_clISt17integral_constantIbLb1EES11_EEDaSW_SX_EUlSW_E_NS1_11comp_targetILNS1_3genE3ELNS1_11target_archE908ELNS1_3gpuE7ELNS1_3repE0EEENS1_30default_config_static_selectorELNS0_4arch9wavefront6targetE0EEEvT1_
		.amdhsa_group_segment_fixed_size 0
		.amdhsa_private_segment_fixed_size 0
		.amdhsa_kernarg_size 112
		.amdhsa_user_sgpr_count 6
		.amdhsa_user_sgpr_private_segment_buffer 1
		.amdhsa_user_sgpr_dispatch_ptr 0
		.amdhsa_user_sgpr_queue_ptr 0
		.amdhsa_user_sgpr_kernarg_segment_ptr 1
		.amdhsa_user_sgpr_dispatch_id 0
		.amdhsa_user_sgpr_flat_scratch_init 0
		.amdhsa_user_sgpr_private_segment_size 0
		.amdhsa_wavefront_size32 1
		.amdhsa_uses_dynamic_stack 0
		.amdhsa_system_sgpr_private_segment_wavefront_offset 0
		.amdhsa_system_sgpr_workgroup_id_x 1
		.amdhsa_system_sgpr_workgroup_id_y 0
		.amdhsa_system_sgpr_workgroup_id_z 0
		.amdhsa_system_sgpr_workgroup_info 0
		.amdhsa_system_vgpr_workitem_id 0
		.amdhsa_next_free_vgpr 1
		.amdhsa_next_free_sgpr 1
		.amdhsa_reserve_vcc 0
		.amdhsa_reserve_flat_scratch 0
		.amdhsa_float_round_mode_32 0
		.amdhsa_float_round_mode_16_64 0
		.amdhsa_float_denorm_mode_32 3
		.amdhsa_float_denorm_mode_16_64 3
		.amdhsa_dx10_clamp 1
		.amdhsa_ieee_mode 1
		.amdhsa_fp16_overflow 0
		.amdhsa_workgroup_processor_mode 1
		.amdhsa_memory_ordered 1
		.amdhsa_forward_progress 1
		.amdhsa_shared_vgpr_count 0
		.amdhsa_exception_fp_ieee_invalid_op 0
		.amdhsa_exception_fp_denorm_src 0
		.amdhsa_exception_fp_ieee_div_zero 0
		.amdhsa_exception_fp_ieee_overflow 0
		.amdhsa_exception_fp_ieee_underflow 0
		.amdhsa_exception_fp_ieee_inexact 0
		.amdhsa_exception_int_div_zero 0
	.end_amdhsa_kernel
	.section	.text._ZN7rocprim17ROCPRIM_400000_NS6detail17trampoline_kernelINS0_14default_configENS1_27scan_by_key_config_selectorIitEEZZNS1_16scan_by_key_implILNS1_25lookback_scan_determinismE0ELb0ES3_N6thrust23THRUST_200600_302600_NS6detail15normal_iteratorINS9_10device_ptrIiEEEENSB_INSC_ItEEEESG_tNS9_4plusIvEENS9_8equal_toIvEEtEE10hipError_tPvRmT2_T3_T4_T5_mT6_T7_P12ihipStream_tbENKUlT_T0_E_clISt17integral_constantIbLb1EES11_EEDaSW_SX_EUlSW_E_NS1_11comp_targetILNS1_3genE3ELNS1_11target_archE908ELNS1_3gpuE7ELNS1_3repE0EEENS1_30default_config_static_selectorELNS0_4arch9wavefront6targetE0EEEvT1_,"axG",@progbits,_ZN7rocprim17ROCPRIM_400000_NS6detail17trampoline_kernelINS0_14default_configENS1_27scan_by_key_config_selectorIitEEZZNS1_16scan_by_key_implILNS1_25lookback_scan_determinismE0ELb0ES3_N6thrust23THRUST_200600_302600_NS6detail15normal_iteratorINS9_10device_ptrIiEEEENSB_INSC_ItEEEESG_tNS9_4plusIvEENS9_8equal_toIvEEtEE10hipError_tPvRmT2_T3_T4_T5_mT6_T7_P12ihipStream_tbENKUlT_T0_E_clISt17integral_constantIbLb1EES11_EEDaSW_SX_EUlSW_E_NS1_11comp_targetILNS1_3genE3ELNS1_11target_archE908ELNS1_3gpuE7ELNS1_3repE0EEENS1_30default_config_static_selectorELNS0_4arch9wavefront6targetE0EEEvT1_,comdat
.Lfunc_end1282:
	.size	_ZN7rocprim17ROCPRIM_400000_NS6detail17trampoline_kernelINS0_14default_configENS1_27scan_by_key_config_selectorIitEEZZNS1_16scan_by_key_implILNS1_25lookback_scan_determinismE0ELb0ES3_N6thrust23THRUST_200600_302600_NS6detail15normal_iteratorINS9_10device_ptrIiEEEENSB_INSC_ItEEEESG_tNS9_4plusIvEENS9_8equal_toIvEEtEE10hipError_tPvRmT2_T3_T4_T5_mT6_T7_P12ihipStream_tbENKUlT_T0_E_clISt17integral_constantIbLb1EES11_EEDaSW_SX_EUlSW_E_NS1_11comp_targetILNS1_3genE3ELNS1_11target_archE908ELNS1_3gpuE7ELNS1_3repE0EEENS1_30default_config_static_selectorELNS0_4arch9wavefront6targetE0EEEvT1_, .Lfunc_end1282-_ZN7rocprim17ROCPRIM_400000_NS6detail17trampoline_kernelINS0_14default_configENS1_27scan_by_key_config_selectorIitEEZZNS1_16scan_by_key_implILNS1_25lookback_scan_determinismE0ELb0ES3_N6thrust23THRUST_200600_302600_NS6detail15normal_iteratorINS9_10device_ptrIiEEEENSB_INSC_ItEEEESG_tNS9_4plusIvEENS9_8equal_toIvEEtEE10hipError_tPvRmT2_T3_T4_T5_mT6_T7_P12ihipStream_tbENKUlT_T0_E_clISt17integral_constantIbLb1EES11_EEDaSW_SX_EUlSW_E_NS1_11comp_targetILNS1_3genE3ELNS1_11target_archE908ELNS1_3gpuE7ELNS1_3repE0EEENS1_30default_config_static_selectorELNS0_4arch9wavefront6targetE0EEEvT1_
                                        ; -- End function
	.set _ZN7rocprim17ROCPRIM_400000_NS6detail17trampoline_kernelINS0_14default_configENS1_27scan_by_key_config_selectorIitEEZZNS1_16scan_by_key_implILNS1_25lookback_scan_determinismE0ELb0ES3_N6thrust23THRUST_200600_302600_NS6detail15normal_iteratorINS9_10device_ptrIiEEEENSB_INSC_ItEEEESG_tNS9_4plusIvEENS9_8equal_toIvEEtEE10hipError_tPvRmT2_T3_T4_T5_mT6_T7_P12ihipStream_tbENKUlT_T0_E_clISt17integral_constantIbLb1EES11_EEDaSW_SX_EUlSW_E_NS1_11comp_targetILNS1_3genE3ELNS1_11target_archE908ELNS1_3gpuE7ELNS1_3repE0EEENS1_30default_config_static_selectorELNS0_4arch9wavefront6targetE0EEEvT1_.num_vgpr, 0
	.set _ZN7rocprim17ROCPRIM_400000_NS6detail17trampoline_kernelINS0_14default_configENS1_27scan_by_key_config_selectorIitEEZZNS1_16scan_by_key_implILNS1_25lookback_scan_determinismE0ELb0ES3_N6thrust23THRUST_200600_302600_NS6detail15normal_iteratorINS9_10device_ptrIiEEEENSB_INSC_ItEEEESG_tNS9_4plusIvEENS9_8equal_toIvEEtEE10hipError_tPvRmT2_T3_T4_T5_mT6_T7_P12ihipStream_tbENKUlT_T0_E_clISt17integral_constantIbLb1EES11_EEDaSW_SX_EUlSW_E_NS1_11comp_targetILNS1_3genE3ELNS1_11target_archE908ELNS1_3gpuE7ELNS1_3repE0EEENS1_30default_config_static_selectorELNS0_4arch9wavefront6targetE0EEEvT1_.num_agpr, 0
	.set _ZN7rocprim17ROCPRIM_400000_NS6detail17trampoline_kernelINS0_14default_configENS1_27scan_by_key_config_selectorIitEEZZNS1_16scan_by_key_implILNS1_25lookback_scan_determinismE0ELb0ES3_N6thrust23THRUST_200600_302600_NS6detail15normal_iteratorINS9_10device_ptrIiEEEENSB_INSC_ItEEEESG_tNS9_4plusIvEENS9_8equal_toIvEEtEE10hipError_tPvRmT2_T3_T4_T5_mT6_T7_P12ihipStream_tbENKUlT_T0_E_clISt17integral_constantIbLb1EES11_EEDaSW_SX_EUlSW_E_NS1_11comp_targetILNS1_3genE3ELNS1_11target_archE908ELNS1_3gpuE7ELNS1_3repE0EEENS1_30default_config_static_selectorELNS0_4arch9wavefront6targetE0EEEvT1_.numbered_sgpr, 0
	.set _ZN7rocprim17ROCPRIM_400000_NS6detail17trampoline_kernelINS0_14default_configENS1_27scan_by_key_config_selectorIitEEZZNS1_16scan_by_key_implILNS1_25lookback_scan_determinismE0ELb0ES3_N6thrust23THRUST_200600_302600_NS6detail15normal_iteratorINS9_10device_ptrIiEEEENSB_INSC_ItEEEESG_tNS9_4plusIvEENS9_8equal_toIvEEtEE10hipError_tPvRmT2_T3_T4_T5_mT6_T7_P12ihipStream_tbENKUlT_T0_E_clISt17integral_constantIbLb1EES11_EEDaSW_SX_EUlSW_E_NS1_11comp_targetILNS1_3genE3ELNS1_11target_archE908ELNS1_3gpuE7ELNS1_3repE0EEENS1_30default_config_static_selectorELNS0_4arch9wavefront6targetE0EEEvT1_.num_named_barrier, 0
	.set _ZN7rocprim17ROCPRIM_400000_NS6detail17trampoline_kernelINS0_14default_configENS1_27scan_by_key_config_selectorIitEEZZNS1_16scan_by_key_implILNS1_25lookback_scan_determinismE0ELb0ES3_N6thrust23THRUST_200600_302600_NS6detail15normal_iteratorINS9_10device_ptrIiEEEENSB_INSC_ItEEEESG_tNS9_4plusIvEENS9_8equal_toIvEEtEE10hipError_tPvRmT2_T3_T4_T5_mT6_T7_P12ihipStream_tbENKUlT_T0_E_clISt17integral_constantIbLb1EES11_EEDaSW_SX_EUlSW_E_NS1_11comp_targetILNS1_3genE3ELNS1_11target_archE908ELNS1_3gpuE7ELNS1_3repE0EEENS1_30default_config_static_selectorELNS0_4arch9wavefront6targetE0EEEvT1_.private_seg_size, 0
	.set _ZN7rocprim17ROCPRIM_400000_NS6detail17trampoline_kernelINS0_14default_configENS1_27scan_by_key_config_selectorIitEEZZNS1_16scan_by_key_implILNS1_25lookback_scan_determinismE0ELb0ES3_N6thrust23THRUST_200600_302600_NS6detail15normal_iteratorINS9_10device_ptrIiEEEENSB_INSC_ItEEEESG_tNS9_4plusIvEENS9_8equal_toIvEEtEE10hipError_tPvRmT2_T3_T4_T5_mT6_T7_P12ihipStream_tbENKUlT_T0_E_clISt17integral_constantIbLb1EES11_EEDaSW_SX_EUlSW_E_NS1_11comp_targetILNS1_3genE3ELNS1_11target_archE908ELNS1_3gpuE7ELNS1_3repE0EEENS1_30default_config_static_selectorELNS0_4arch9wavefront6targetE0EEEvT1_.uses_vcc, 0
	.set _ZN7rocprim17ROCPRIM_400000_NS6detail17trampoline_kernelINS0_14default_configENS1_27scan_by_key_config_selectorIitEEZZNS1_16scan_by_key_implILNS1_25lookback_scan_determinismE0ELb0ES3_N6thrust23THRUST_200600_302600_NS6detail15normal_iteratorINS9_10device_ptrIiEEEENSB_INSC_ItEEEESG_tNS9_4plusIvEENS9_8equal_toIvEEtEE10hipError_tPvRmT2_T3_T4_T5_mT6_T7_P12ihipStream_tbENKUlT_T0_E_clISt17integral_constantIbLb1EES11_EEDaSW_SX_EUlSW_E_NS1_11comp_targetILNS1_3genE3ELNS1_11target_archE908ELNS1_3gpuE7ELNS1_3repE0EEENS1_30default_config_static_selectorELNS0_4arch9wavefront6targetE0EEEvT1_.uses_flat_scratch, 0
	.set _ZN7rocprim17ROCPRIM_400000_NS6detail17trampoline_kernelINS0_14default_configENS1_27scan_by_key_config_selectorIitEEZZNS1_16scan_by_key_implILNS1_25lookback_scan_determinismE0ELb0ES3_N6thrust23THRUST_200600_302600_NS6detail15normal_iteratorINS9_10device_ptrIiEEEENSB_INSC_ItEEEESG_tNS9_4plusIvEENS9_8equal_toIvEEtEE10hipError_tPvRmT2_T3_T4_T5_mT6_T7_P12ihipStream_tbENKUlT_T0_E_clISt17integral_constantIbLb1EES11_EEDaSW_SX_EUlSW_E_NS1_11comp_targetILNS1_3genE3ELNS1_11target_archE908ELNS1_3gpuE7ELNS1_3repE0EEENS1_30default_config_static_selectorELNS0_4arch9wavefront6targetE0EEEvT1_.has_dyn_sized_stack, 0
	.set _ZN7rocprim17ROCPRIM_400000_NS6detail17trampoline_kernelINS0_14default_configENS1_27scan_by_key_config_selectorIitEEZZNS1_16scan_by_key_implILNS1_25lookback_scan_determinismE0ELb0ES3_N6thrust23THRUST_200600_302600_NS6detail15normal_iteratorINS9_10device_ptrIiEEEENSB_INSC_ItEEEESG_tNS9_4plusIvEENS9_8equal_toIvEEtEE10hipError_tPvRmT2_T3_T4_T5_mT6_T7_P12ihipStream_tbENKUlT_T0_E_clISt17integral_constantIbLb1EES11_EEDaSW_SX_EUlSW_E_NS1_11comp_targetILNS1_3genE3ELNS1_11target_archE908ELNS1_3gpuE7ELNS1_3repE0EEENS1_30default_config_static_selectorELNS0_4arch9wavefront6targetE0EEEvT1_.has_recursion, 0
	.set _ZN7rocprim17ROCPRIM_400000_NS6detail17trampoline_kernelINS0_14default_configENS1_27scan_by_key_config_selectorIitEEZZNS1_16scan_by_key_implILNS1_25lookback_scan_determinismE0ELb0ES3_N6thrust23THRUST_200600_302600_NS6detail15normal_iteratorINS9_10device_ptrIiEEEENSB_INSC_ItEEEESG_tNS9_4plusIvEENS9_8equal_toIvEEtEE10hipError_tPvRmT2_T3_T4_T5_mT6_T7_P12ihipStream_tbENKUlT_T0_E_clISt17integral_constantIbLb1EES11_EEDaSW_SX_EUlSW_E_NS1_11comp_targetILNS1_3genE3ELNS1_11target_archE908ELNS1_3gpuE7ELNS1_3repE0EEENS1_30default_config_static_selectorELNS0_4arch9wavefront6targetE0EEEvT1_.has_indirect_call, 0
	.section	.AMDGPU.csdata,"",@progbits
; Kernel info:
; codeLenInByte = 0
; TotalNumSgprs: 0
; NumVgprs: 0
; ScratchSize: 0
; MemoryBound: 0
; FloatMode: 240
; IeeeMode: 1
; LDSByteSize: 0 bytes/workgroup (compile time only)
; SGPRBlocks: 0
; VGPRBlocks: 0
; NumSGPRsForWavesPerEU: 1
; NumVGPRsForWavesPerEU: 1
; Occupancy: 16
; WaveLimiterHint : 0
; COMPUTE_PGM_RSRC2:SCRATCH_EN: 0
; COMPUTE_PGM_RSRC2:USER_SGPR: 6
; COMPUTE_PGM_RSRC2:TRAP_HANDLER: 0
; COMPUTE_PGM_RSRC2:TGID_X_EN: 1
; COMPUTE_PGM_RSRC2:TGID_Y_EN: 0
; COMPUTE_PGM_RSRC2:TGID_Z_EN: 0
; COMPUTE_PGM_RSRC2:TIDIG_COMP_CNT: 0
	.section	.text._ZN7rocprim17ROCPRIM_400000_NS6detail17trampoline_kernelINS0_14default_configENS1_27scan_by_key_config_selectorIitEEZZNS1_16scan_by_key_implILNS1_25lookback_scan_determinismE0ELb0ES3_N6thrust23THRUST_200600_302600_NS6detail15normal_iteratorINS9_10device_ptrIiEEEENSB_INSC_ItEEEESG_tNS9_4plusIvEENS9_8equal_toIvEEtEE10hipError_tPvRmT2_T3_T4_T5_mT6_T7_P12ihipStream_tbENKUlT_T0_E_clISt17integral_constantIbLb1EES11_EEDaSW_SX_EUlSW_E_NS1_11comp_targetILNS1_3genE2ELNS1_11target_archE906ELNS1_3gpuE6ELNS1_3repE0EEENS1_30default_config_static_selectorELNS0_4arch9wavefront6targetE0EEEvT1_,"axG",@progbits,_ZN7rocprim17ROCPRIM_400000_NS6detail17trampoline_kernelINS0_14default_configENS1_27scan_by_key_config_selectorIitEEZZNS1_16scan_by_key_implILNS1_25lookback_scan_determinismE0ELb0ES3_N6thrust23THRUST_200600_302600_NS6detail15normal_iteratorINS9_10device_ptrIiEEEENSB_INSC_ItEEEESG_tNS9_4plusIvEENS9_8equal_toIvEEtEE10hipError_tPvRmT2_T3_T4_T5_mT6_T7_P12ihipStream_tbENKUlT_T0_E_clISt17integral_constantIbLb1EES11_EEDaSW_SX_EUlSW_E_NS1_11comp_targetILNS1_3genE2ELNS1_11target_archE906ELNS1_3gpuE6ELNS1_3repE0EEENS1_30default_config_static_selectorELNS0_4arch9wavefront6targetE0EEEvT1_,comdat
	.protected	_ZN7rocprim17ROCPRIM_400000_NS6detail17trampoline_kernelINS0_14default_configENS1_27scan_by_key_config_selectorIitEEZZNS1_16scan_by_key_implILNS1_25lookback_scan_determinismE0ELb0ES3_N6thrust23THRUST_200600_302600_NS6detail15normal_iteratorINS9_10device_ptrIiEEEENSB_INSC_ItEEEESG_tNS9_4plusIvEENS9_8equal_toIvEEtEE10hipError_tPvRmT2_T3_T4_T5_mT6_T7_P12ihipStream_tbENKUlT_T0_E_clISt17integral_constantIbLb1EES11_EEDaSW_SX_EUlSW_E_NS1_11comp_targetILNS1_3genE2ELNS1_11target_archE906ELNS1_3gpuE6ELNS1_3repE0EEENS1_30default_config_static_selectorELNS0_4arch9wavefront6targetE0EEEvT1_ ; -- Begin function _ZN7rocprim17ROCPRIM_400000_NS6detail17trampoline_kernelINS0_14default_configENS1_27scan_by_key_config_selectorIitEEZZNS1_16scan_by_key_implILNS1_25lookback_scan_determinismE0ELb0ES3_N6thrust23THRUST_200600_302600_NS6detail15normal_iteratorINS9_10device_ptrIiEEEENSB_INSC_ItEEEESG_tNS9_4plusIvEENS9_8equal_toIvEEtEE10hipError_tPvRmT2_T3_T4_T5_mT6_T7_P12ihipStream_tbENKUlT_T0_E_clISt17integral_constantIbLb1EES11_EEDaSW_SX_EUlSW_E_NS1_11comp_targetILNS1_3genE2ELNS1_11target_archE906ELNS1_3gpuE6ELNS1_3repE0EEENS1_30default_config_static_selectorELNS0_4arch9wavefront6targetE0EEEvT1_
	.globl	_ZN7rocprim17ROCPRIM_400000_NS6detail17trampoline_kernelINS0_14default_configENS1_27scan_by_key_config_selectorIitEEZZNS1_16scan_by_key_implILNS1_25lookback_scan_determinismE0ELb0ES3_N6thrust23THRUST_200600_302600_NS6detail15normal_iteratorINS9_10device_ptrIiEEEENSB_INSC_ItEEEESG_tNS9_4plusIvEENS9_8equal_toIvEEtEE10hipError_tPvRmT2_T3_T4_T5_mT6_T7_P12ihipStream_tbENKUlT_T0_E_clISt17integral_constantIbLb1EES11_EEDaSW_SX_EUlSW_E_NS1_11comp_targetILNS1_3genE2ELNS1_11target_archE906ELNS1_3gpuE6ELNS1_3repE0EEENS1_30default_config_static_selectorELNS0_4arch9wavefront6targetE0EEEvT1_
	.p2align	8
	.type	_ZN7rocprim17ROCPRIM_400000_NS6detail17trampoline_kernelINS0_14default_configENS1_27scan_by_key_config_selectorIitEEZZNS1_16scan_by_key_implILNS1_25lookback_scan_determinismE0ELb0ES3_N6thrust23THRUST_200600_302600_NS6detail15normal_iteratorINS9_10device_ptrIiEEEENSB_INSC_ItEEEESG_tNS9_4plusIvEENS9_8equal_toIvEEtEE10hipError_tPvRmT2_T3_T4_T5_mT6_T7_P12ihipStream_tbENKUlT_T0_E_clISt17integral_constantIbLb1EES11_EEDaSW_SX_EUlSW_E_NS1_11comp_targetILNS1_3genE2ELNS1_11target_archE906ELNS1_3gpuE6ELNS1_3repE0EEENS1_30default_config_static_selectorELNS0_4arch9wavefront6targetE0EEEvT1_,@function
_ZN7rocprim17ROCPRIM_400000_NS6detail17trampoline_kernelINS0_14default_configENS1_27scan_by_key_config_selectorIitEEZZNS1_16scan_by_key_implILNS1_25lookback_scan_determinismE0ELb0ES3_N6thrust23THRUST_200600_302600_NS6detail15normal_iteratorINS9_10device_ptrIiEEEENSB_INSC_ItEEEESG_tNS9_4plusIvEENS9_8equal_toIvEEtEE10hipError_tPvRmT2_T3_T4_T5_mT6_T7_P12ihipStream_tbENKUlT_T0_E_clISt17integral_constantIbLb1EES11_EEDaSW_SX_EUlSW_E_NS1_11comp_targetILNS1_3genE2ELNS1_11target_archE906ELNS1_3gpuE6ELNS1_3repE0EEENS1_30default_config_static_selectorELNS0_4arch9wavefront6targetE0EEEvT1_: ; @_ZN7rocprim17ROCPRIM_400000_NS6detail17trampoline_kernelINS0_14default_configENS1_27scan_by_key_config_selectorIitEEZZNS1_16scan_by_key_implILNS1_25lookback_scan_determinismE0ELb0ES3_N6thrust23THRUST_200600_302600_NS6detail15normal_iteratorINS9_10device_ptrIiEEEENSB_INSC_ItEEEESG_tNS9_4plusIvEENS9_8equal_toIvEEtEE10hipError_tPvRmT2_T3_T4_T5_mT6_T7_P12ihipStream_tbENKUlT_T0_E_clISt17integral_constantIbLb1EES11_EEDaSW_SX_EUlSW_E_NS1_11comp_targetILNS1_3genE2ELNS1_11target_archE906ELNS1_3gpuE6ELNS1_3repE0EEENS1_30default_config_static_selectorELNS0_4arch9wavefront6targetE0EEEvT1_
; %bb.0:
	.section	.rodata,"a",@progbits
	.p2align	6, 0x0
	.amdhsa_kernel _ZN7rocprim17ROCPRIM_400000_NS6detail17trampoline_kernelINS0_14default_configENS1_27scan_by_key_config_selectorIitEEZZNS1_16scan_by_key_implILNS1_25lookback_scan_determinismE0ELb0ES3_N6thrust23THRUST_200600_302600_NS6detail15normal_iteratorINS9_10device_ptrIiEEEENSB_INSC_ItEEEESG_tNS9_4plusIvEENS9_8equal_toIvEEtEE10hipError_tPvRmT2_T3_T4_T5_mT6_T7_P12ihipStream_tbENKUlT_T0_E_clISt17integral_constantIbLb1EES11_EEDaSW_SX_EUlSW_E_NS1_11comp_targetILNS1_3genE2ELNS1_11target_archE906ELNS1_3gpuE6ELNS1_3repE0EEENS1_30default_config_static_selectorELNS0_4arch9wavefront6targetE0EEEvT1_
		.amdhsa_group_segment_fixed_size 0
		.amdhsa_private_segment_fixed_size 0
		.amdhsa_kernarg_size 112
		.amdhsa_user_sgpr_count 6
		.amdhsa_user_sgpr_private_segment_buffer 1
		.amdhsa_user_sgpr_dispatch_ptr 0
		.amdhsa_user_sgpr_queue_ptr 0
		.amdhsa_user_sgpr_kernarg_segment_ptr 1
		.amdhsa_user_sgpr_dispatch_id 0
		.amdhsa_user_sgpr_flat_scratch_init 0
		.amdhsa_user_sgpr_private_segment_size 0
		.amdhsa_wavefront_size32 1
		.amdhsa_uses_dynamic_stack 0
		.amdhsa_system_sgpr_private_segment_wavefront_offset 0
		.amdhsa_system_sgpr_workgroup_id_x 1
		.amdhsa_system_sgpr_workgroup_id_y 0
		.amdhsa_system_sgpr_workgroup_id_z 0
		.amdhsa_system_sgpr_workgroup_info 0
		.amdhsa_system_vgpr_workitem_id 0
		.amdhsa_next_free_vgpr 1
		.amdhsa_next_free_sgpr 1
		.amdhsa_reserve_vcc 0
		.amdhsa_reserve_flat_scratch 0
		.amdhsa_float_round_mode_32 0
		.amdhsa_float_round_mode_16_64 0
		.amdhsa_float_denorm_mode_32 3
		.amdhsa_float_denorm_mode_16_64 3
		.amdhsa_dx10_clamp 1
		.amdhsa_ieee_mode 1
		.amdhsa_fp16_overflow 0
		.amdhsa_workgroup_processor_mode 1
		.amdhsa_memory_ordered 1
		.amdhsa_forward_progress 1
		.amdhsa_shared_vgpr_count 0
		.amdhsa_exception_fp_ieee_invalid_op 0
		.amdhsa_exception_fp_denorm_src 0
		.amdhsa_exception_fp_ieee_div_zero 0
		.amdhsa_exception_fp_ieee_overflow 0
		.amdhsa_exception_fp_ieee_underflow 0
		.amdhsa_exception_fp_ieee_inexact 0
		.amdhsa_exception_int_div_zero 0
	.end_amdhsa_kernel
	.section	.text._ZN7rocprim17ROCPRIM_400000_NS6detail17trampoline_kernelINS0_14default_configENS1_27scan_by_key_config_selectorIitEEZZNS1_16scan_by_key_implILNS1_25lookback_scan_determinismE0ELb0ES3_N6thrust23THRUST_200600_302600_NS6detail15normal_iteratorINS9_10device_ptrIiEEEENSB_INSC_ItEEEESG_tNS9_4plusIvEENS9_8equal_toIvEEtEE10hipError_tPvRmT2_T3_T4_T5_mT6_T7_P12ihipStream_tbENKUlT_T0_E_clISt17integral_constantIbLb1EES11_EEDaSW_SX_EUlSW_E_NS1_11comp_targetILNS1_3genE2ELNS1_11target_archE906ELNS1_3gpuE6ELNS1_3repE0EEENS1_30default_config_static_selectorELNS0_4arch9wavefront6targetE0EEEvT1_,"axG",@progbits,_ZN7rocprim17ROCPRIM_400000_NS6detail17trampoline_kernelINS0_14default_configENS1_27scan_by_key_config_selectorIitEEZZNS1_16scan_by_key_implILNS1_25lookback_scan_determinismE0ELb0ES3_N6thrust23THRUST_200600_302600_NS6detail15normal_iteratorINS9_10device_ptrIiEEEENSB_INSC_ItEEEESG_tNS9_4plusIvEENS9_8equal_toIvEEtEE10hipError_tPvRmT2_T3_T4_T5_mT6_T7_P12ihipStream_tbENKUlT_T0_E_clISt17integral_constantIbLb1EES11_EEDaSW_SX_EUlSW_E_NS1_11comp_targetILNS1_3genE2ELNS1_11target_archE906ELNS1_3gpuE6ELNS1_3repE0EEENS1_30default_config_static_selectorELNS0_4arch9wavefront6targetE0EEEvT1_,comdat
.Lfunc_end1283:
	.size	_ZN7rocprim17ROCPRIM_400000_NS6detail17trampoline_kernelINS0_14default_configENS1_27scan_by_key_config_selectorIitEEZZNS1_16scan_by_key_implILNS1_25lookback_scan_determinismE0ELb0ES3_N6thrust23THRUST_200600_302600_NS6detail15normal_iteratorINS9_10device_ptrIiEEEENSB_INSC_ItEEEESG_tNS9_4plusIvEENS9_8equal_toIvEEtEE10hipError_tPvRmT2_T3_T4_T5_mT6_T7_P12ihipStream_tbENKUlT_T0_E_clISt17integral_constantIbLb1EES11_EEDaSW_SX_EUlSW_E_NS1_11comp_targetILNS1_3genE2ELNS1_11target_archE906ELNS1_3gpuE6ELNS1_3repE0EEENS1_30default_config_static_selectorELNS0_4arch9wavefront6targetE0EEEvT1_, .Lfunc_end1283-_ZN7rocprim17ROCPRIM_400000_NS6detail17trampoline_kernelINS0_14default_configENS1_27scan_by_key_config_selectorIitEEZZNS1_16scan_by_key_implILNS1_25lookback_scan_determinismE0ELb0ES3_N6thrust23THRUST_200600_302600_NS6detail15normal_iteratorINS9_10device_ptrIiEEEENSB_INSC_ItEEEESG_tNS9_4plusIvEENS9_8equal_toIvEEtEE10hipError_tPvRmT2_T3_T4_T5_mT6_T7_P12ihipStream_tbENKUlT_T0_E_clISt17integral_constantIbLb1EES11_EEDaSW_SX_EUlSW_E_NS1_11comp_targetILNS1_3genE2ELNS1_11target_archE906ELNS1_3gpuE6ELNS1_3repE0EEENS1_30default_config_static_selectorELNS0_4arch9wavefront6targetE0EEEvT1_
                                        ; -- End function
	.set _ZN7rocprim17ROCPRIM_400000_NS6detail17trampoline_kernelINS0_14default_configENS1_27scan_by_key_config_selectorIitEEZZNS1_16scan_by_key_implILNS1_25lookback_scan_determinismE0ELb0ES3_N6thrust23THRUST_200600_302600_NS6detail15normal_iteratorINS9_10device_ptrIiEEEENSB_INSC_ItEEEESG_tNS9_4plusIvEENS9_8equal_toIvEEtEE10hipError_tPvRmT2_T3_T4_T5_mT6_T7_P12ihipStream_tbENKUlT_T0_E_clISt17integral_constantIbLb1EES11_EEDaSW_SX_EUlSW_E_NS1_11comp_targetILNS1_3genE2ELNS1_11target_archE906ELNS1_3gpuE6ELNS1_3repE0EEENS1_30default_config_static_selectorELNS0_4arch9wavefront6targetE0EEEvT1_.num_vgpr, 0
	.set _ZN7rocprim17ROCPRIM_400000_NS6detail17trampoline_kernelINS0_14default_configENS1_27scan_by_key_config_selectorIitEEZZNS1_16scan_by_key_implILNS1_25lookback_scan_determinismE0ELb0ES3_N6thrust23THRUST_200600_302600_NS6detail15normal_iteratorINS9_10device_ptrIiEEEENSB_INSC_ItEEEESG_tNS9_4plusIvEENS9_8equal_toIvEEtEE10hipError_tPvRmT2_T3_T4_T5_mT6_T7_P12ihipStream_tbENKUlT_T0_E_clISt17integral_constantIbLb1EES11_EEDaSW_SX_EUlSW_E_NS1_11comp_targetILNS1_3genE2ELNS1_11target_archE906ELNS1_3gpuE6ELNS1_3repE0EEENS1_30default_config_static_selectorELNS0_4arch9wavefront6targetE0EEEvT1_.num_agpr, 0
	.set _ZN7rocprim17ROCPRIM_400000_NS6detail17trampoline_kernelINS0_14default_configENS1_27scan_by_key_config_selectorIitEEZZNS1_16scan_by_key_implILNS1_25lookback_scan_determinismE0ELb0ES3_N6thrust23THRUST_200600_302600_NS6detail15normal_iteratorINS9_10device_ptrIiEEEENSB_INSC_ItEEEESG_tNS9_4plusIvEENS9_8equal_toIvEEtEE10hipError_tPvRmT2_T3_T4_T5_mT6_T7_P12ihipStream_tbENKUlT_T0_E_clISt17integral_constantIbLb1EES11_EEDaSW_SX_EUlSW_E_NS1_11comp_targetILNS1_3genE2ELNS1_11target_archE906ELNS1_3gpuE6ELNS1_3repE0EEENS1_30default_config_static_selectorELNS0_4arch9wavefront6targetE0EEEvT1_.numbered_sgpr, 0
	.set _ZN7rocprim17ROCPRIM_400000_NS6detail17trampoline_kernelINS0_14default_configENS1_27scan_by_key_config_selectorIitEEZZNS1_16scan_by_key_implILNS1_25lookback_scan_determinismE0ELb0ES3_N6thrust23THRUST_200600_302600_NS6detail15normal_iteratorINS9_10device_ptrIiEEEENSB_INSC_ItEEEESG_tNS9_4plusIvEENS9_8equal_toIvEEtEE10hipError_tPvRmT2_T3_T4_T5_mT6_T7_P12ihipStream_tbENKUlT_T0_E_clISt17integral_constantIbLb1EES11_EEDaSW_SX_EUlSW_E_NS1_11comp_targetILNS1_3genE2ELNS1_11target_archE906ELNS1_3gpuE6ELNS1_3repE0EEENS1_30default_config_static_selectorELNS0_4arch9wavefront6targetE0EEEvT1_.num_named_barrier, 0
	.set _ZN7rocprim17ROCPRIM_400000_NS6detail17trampoline_kernelINS0_14default_configENS1_27scan_by_key_config_selectorIitEEZZNS1_16scan_by_key_implILNS1_25lookback_scan_determinismE0ELb0ES3_N6thrust23THRUST_200600_302600_NS6detail15normal_iteratorINS9_10device_ptrIiEEEENSB_INSC_ItEEEESG_tNS9_4plusIvEENS9_8equal_toIvEEtEE10hipError_tPvRmT2_T3_T4_T5_mT6_T7_P12ihipStream_tbENKUlT_T0_E_clISt17integral_constantIbLb1EES11_EEDaSW_SX_EUlSW_E_NS1_11comp_targetILNS1_3genE2ELNS1_11target_archE906ELNS1_3gpuE6ELNS1_3repE0EEENS1_30default_config_static_selectorELNS0_4arch9wavefront6targetE0EEEvT1_.private_seg_size, 0
	.set _ZN7rocprim17ROCPRIM_400000_NS6detail17trampoline_kernelINS0_14default_configENS1_27scan_by_key_config_selectorIitEEZZNS1_16scan_by_key_implILNS1_25lookback_scan_determinismE0ELb0ES3_N6thrust23THRUST_200600_302600_NS6detail15normal_iteratorINS9_10device_ptrIiEEEENSB_INSC_ItEEEESG_tNS9_4plusIvEENS9_8equal_toIvEEtEE10hipError_tPvRmT2_T3_T4_T5_mT6_T7_P12ihipStream_tbENKUlT_T0_E_clISt17integral_constantIbLb1EES11_EEDaSW_SX_EUlSW_E_NS1_11comp_targetILNS1_3genE2ELNS1_11target_archE906ELNS1_3gpuE6ELNS1_3repE0EEENS1_30default_config_static_selectorELNS0_4arch9wavefront6targetE0EEEvT1_.uses_vcc, 0
	.set _ZN7rocprim17ROCPRIM_400000_NS6detail17trampoline_kernelINS0_14default_configENS1_27scan_by_key_config_selectorIitEEZZNS1_16scan_by_key_implILNS1_25lookback_scan_determinismE0ELb0ES3_N6thrust23THRUST_200600_302600_NS6detail15normal_iteratorINS9_10device_ptrIiEEEENSB_INSC_ItEEEESG_tNS9_4plusIvEENS9_8equal_toIvEEtEE10hipError_tPvRmT2_T3_T4_T5_mT6_T7_P12ihipStream_tbENKUlT_T0_E_clISt17integral_constantIbLb1EES11_EEDaSW_SX_EUlSW_E_NS1_11comp_targetILNS1_3genE2ELNS1_11target_archE906ELNS1_3gpuE6ELNS1_3repE0EEENS1_30default_config_static_selectorELNS0_4arch9wavefront6targetE0EEEvT1_.uses_flat_scratch, 0
	.set _ZN7rocprim17ROCPRIM_400000_NS6detail17trampoline_kernelINS0_14default_configENS1_27scan_by_key_config_selectorIitEEZZNS1_16scan_by_key_implILNS1_25lookback_scan_determinismE0ELb0ES3_N6thrust23THRUST_200600_302600_NS6detail15normal_iteratorINS9_10device_ptrIiEEEENSB_INSC_ItEEEESG_tNS9_4plusIvEENS9_8equal_toIvEEtEE10hipError_tPvRmT2_T3_T4_T5_mT6_T7_P12ihipStream_tbENKUlT_T0_E_clISt17integral_constantIbLb1EES11_EEDaSW_SX_EUlSW_E_NS1_11comp_targetILNS1_3genE2ELNS1_11target_archE906ELNS1_3gpuE6ELNS1_3repE0EEENS1_30default_config_static_selectorELNS0_4arch9wavefront6targetE0EEEvT1_.has_dyn_sized_stack, 0
	.set _ZN7rocprim17ROCPRIM_400000_NS6detail17trampoline_kernelINS0_14default_configENS1_27scan_by_key_config_selectorIitEEZZNS1_16scan_by_key_implILNS1_25lookback_scan_determinismE0ELb0ES3_N6thrust23THRUST_200600_302600_NS6detail15normal_iteratorINS9_10device_ptrIiEEEENSB_INSC_ItEEEESG_tNS9_4plusIvEENS9_8equal_toIvEEtEE10hipError_tPvRmT2_T3_T4_T5_mT6_T7_P12ihipStream_tbENKUlT_T0_E_clISt17integral_constantIbLb1EES11_EEDaSW_SX_EUlSW_E_NS1_11comp_targetILNS1_3genE2ELNS1_11target_archE906ELNS1_3gpuE6ELNS1_3repE0EEENS1_30default_config_static_selectorELNS0_4arch9wavefront6targetE0EEEvT1_.has_recursion, 0
	.set _ZN7rocprim17ROCPRIM_400000_NS6detail17trampoline_kernelINS0_14default_configENS1_27scan_by_key_config_selectorIitEEZZNS1_16scan_by_key_implILNS1_25lookback_scan_determinismE0ELb0ES3_N6thrust23THRUST_200600_302600_NS6detail15normal_iteratorINS9_10device_ptrIiEEEENSB_INSC_ItEEEESG_tNS9_4plusIvEENS9_8equal_toIvEEtEE10hipError_tPvRmT2_T3_T4_T5_mT6_T7_P12ihipStream_tbENKUlT_T0_E_clISt17integral_constantIbLb1EES11_EEDaSW_SX_EUlSW_E_NS1_11comp_targetILNS1_3genE2ELNS1_11target_archE906ELNS1_3gpuE6ELNS1_3repE0EEENS1_30default_config_static_selectorELNS0_4arch9wavefront6targetE0EEEvT1_.has_indirect_call, 0
	.section	.AMDGPU.csdata,"",@progbits
; Kernel info:
; codeLenInByte = 0
; TotalNumSgprs: 0
; NumVgprs: 0
; ScratchSize: 0
; MemoryBound: 0
; FloatMode: 240
; IeeeMode: 1
; LDSByteSize: 0 bytes/workgroup (compile time only)
; SGPRBlocks: 0
; VGPRBlocks: 0
; NumSGPRsForWavesPerEU: 1
; NumVGPRsForWavesPerEU: 1
; Occupancy: 16
; WaveLimiterHint : 0
; COMPUTE_PGM_RSRC2:SCRATCH_EN: 0
; COMPUTE_PGM_RSRC2:USER_SGPR: 6
; COMPUTE_PGM_RSRC2:TRAP_HANDLER: 0
; COMPUTE_PGM_RSRC2:TGID_X_EN: 1
; COMPUTE_PGM_RSRC2:TGID_Y_EN: 0
; COMPUTE_PGM_RSRC2:TGID_Z_EN: 0
; COMPUTE_PGM_RSRC2:TIDIG_COMP_CNT: 0
	.section	.text._ZN7rocprim17ROCPRIM_400000_NS6detail17trampoline_kernelINS0_14default_configENS1_27scan_by_key_config_selectorIitEEZZNS1_16scan_by_key_implILNS1_25lookback_scan_determinismE0ELb0ES3_N6thrust23THRUST_200600_302600_NS6detail15normal_iteratorINS9_10device_ptrIiEEEENSB_INSC_ItEEEESG_tNS9_4plusIvEENS9_8equal_toIvEEtEE10hipError_tPvRmT2_T3_T4_T5_mT6_T7_P12ihipStream_tbENKUlT_T0_E_clISt17integral_constantIbLb1EES11_EEDaSW_SX_EUlSW_E_NS1_11comp_targetILNS1_3genE10ELNS1_11target_archE1200ELNS1_3gpuE4ELNS1_3repE0EEENS1_30default_config_static_selectorELNS0_4arch9wavefront6targetE0EEEvT1_,"axG",@progbits,_ZN7rocprim17ROCPRIM_400000_NS6detail17trampoline_kernelINS0_14default_configENS1_27scan_by_key_config_selectorIitEEZZNS1_16scan_by_key_implILNS1_25lookback_scan_determinismE0ELb0ES3_N6thrust23THRUST_200600_302600_NS6detail15normal_iteratorINS9_10device_ptrIiEEEENSB_INSC_ItEEEESG_tNS9_4plusIvEENS9_8equal_toIvEEtEE10hipError_tPvRmT2_T3_T4_T5_mT6_T7_P12ihipStream_tbENKUlT_T0_E_clISt17integral_constantIbLb1EES11_EEDaSW_SX_EUlSW_E_NS1_11comp_targetILNS1_3genE10ELNS1_11target_archE1200ELNS1_3gpuE4ELNS1_3repE0EEENS1_30default_config_static_selectorELNS0_4arch9wavefront6targetE0EEEvT1_,comdat
	.protected	_ZN7rocprim17ROCPRIM_400000_NS6detail17trampoline_kernelINS0_14default_configENS1_27scan_by_key_config_selectorIitEEZZNS1_16scan_by_key_implILNS1_25lookback_scan_determinismE0ELb0ES3_N6thrust23THRUST_200600_302600_NS6detail15normal_iteratorINS9_10device_ptrIiEEEENSB_INSC_ItEEEESG_tNS9_4plusIvEENS9_8equal_toIvEEtEE10hipError_tPvRmT2_T3_T4_T5_mT6_T7_P12ihipStream_tbENKUlT_T0_E_clISt17integral_constantIbLb1EES11_EEDaSW_SX_EUlSW_E_NS1_11comp_targetILNS1_3genE10ELNS1_11target_archE1200ELNS1_3gpuE4ELNS1_3repE0EEENS1_30default_config_static_selectorELNS0_4arch9wavefront6targetE0EEEvT1_ ; -- Begin function _ZN7rocprim17ROCPRIM_400000_NS6detail17trampoline_kernelINS0_14default_configENS1_27scan_by_key_config_selectorIitEEZZNS1_16scan_by_key_implILNS1_25lookback_scan_determinismE0ELb0ES3_N6thrust23THRUST_200600_302600_NS6detail15normal_iteratorINS9_10device_ptrIiEEEENSB_INSC_ItEEEESG_tNS9_4plusIvEENS9_8equal_toIvEEtEE10hipError_tPvRmT2_T3_T4_T5_mT6_T7_P12ihipStream_tbENKUlT_T0_E_clISt17integral_constantIbLb1EES11_EEDaSW_SX_EUlSW_E_NS1_11comp_targetILNS1_3genE10ELNS1_11target_archE1200ELNS1_3gpuE4ELNS1_3repE0EEENS1_30default_config_static_selectorELNS0_4arch9wavefront6targetE0EEEvT1_
	.globl	_ZN7rocprim17ROCPRIM_400000_NS6detail17trampoline_kernelINS0_14default_configENS1_27scan_by_key_config_selectorIitEEZZNS1_16scan_by_key_implILNS1_25lookback_scan_determinismE0ELb0ES3_N6thrust23THRUST_200600_302600_NS6detail15normal_iteratorINS9_10device_ptrIiEEEENSB_INSC_ItEEEESG_tNS9_4plusIvEENS9_8equal_toIvEEtEE10hipError_tPvRmT2_T3_T4_T5_mT6_T7_P12ihipStream_tbENKUlT_T0_E_clISt17integral_constantIbLb1EES11_EEDaSW_SX_EUlSW_E_NS1_11comp_targetILNS1_3genE10ELNS1_11target_archE1200ELNS1_3gpuE4ELNS1_3repE0EEENS1_30default_config_static_selectorELNS0_4arch9wavefront6targetE0EEEvT1_
	.p2align	8
	.type	_ZN7rocprim17ROCPRIM_400000_NS6detail17trampoline_kernelINS0_14default_configENS1_27scan_by_key_config_selectorIitEEZZNS1_16scan_by_key_implILNS1_25lookback_scan_determinismE0ELb0ES3_N6thrust23THRUST_200600_302600_NS6detail15normal_iteratorINS9_10device_ptrIiEEEENSB_INSC_ItEEEESG_tNS9_4plusIvEENS9_8equal_toIvEEtEE10hipError_tPvRmT2_T3_T4_T5_mT6_T7_P12ihipStream_tbENKUlT_T0_E_clISt17integral_constantIbLb1EES11_EEDaSW_SX_EUlSW_E_NS1_11comp_targetILNS1_3genE10ELNS1_11target_archE1200ELNS1_3gpuE4ELNS1_3repE0EEENS1_30default_config_static_selectorELNS0_4arch9wavefront6targetE0EEEvT1_,@function
_ZN7rocprim17ROCPRIM_400000_NS6detail17trampoline_kernelINS0_14default_configENS1_27scan_by_key_config_selectorIitEEZZNS1_16scan_by_key_implILNS1_25lookback_scan_determinismE0ELb0ES3_N6thrust23THRUST_200600_302600_NS6detail15normal_iteratorINS9_10device_ptrIiEEEENSB_INSC_ItEEEESG_tNS9_4plusIvEENS9_8equal_toIvEEtEE10hipError_tPvRmT2_T3_T4_T5_mT6_T7_P12ihipStream_tbENKUlT_T0_E_clISt17integral_constantIbLb1EES11_EEDaSW_SX_EUlSW_E_NS1_11comp_targetILNS1_3genE10ELNS1_11target_archE1200ELNS1_3gpuE4ELNS1_3repE0EEENS1_30default_config_static_selectorELNS0_4arch9wavefront6targetE0EEEvT1_: ; @_ZN7rocprim17ROCPRIM_400000_NS6detail17trampoline_kernelINS0_14default_configENS1_27scan_by_key_config_selectorIitEEZZNS1_16scan_by_key_implILNS1_25lookback_scan_determinismE0ELb0ES3_N6thrust23THRUST_200600_302600_NS6detail15normal_iteratorINS9_10device_ptrIiEEEENSB_INSC_ItEEEESG_tNS9_4plusIvEENS9_8equal_toIvEEtEE10hipError_tPvRmT2_T3_T4_T5_mT6_T7_P12ihipStream_tbENKUlT_T0_E_clISt17integral_constantIbLb1EES11_EEDaSW_SX_EUlSW_E_NS1_11comp_targetILNS1_3genE10ELNS1_11target_archE1200ELNS1_3gpuE4ELNS1_3repE0EEENS1_30default_config_static_selectorELNS0_4arch9wavefront6targetE0EEEvT1_
; %bb.0:
	.section	.rodata,"a",@progbits
	.p2align	6, 0x0
	.amdhsa_kernel _ZN7rocprim17ROCPRIM_400000_NS6detail17trampoline_kernelINS0_14default_configENS1_27scan_by_key_config_selectorIitEEZZNS1_16scan_by_key_implILNS1_25lookback_scan_determinismE0ELb0ES3_N6thrust23THRUST_200600_302600_NS6detail15normal_iteratorINS9_10device_ptrIiEEEENSB_INSC_ItEEEESG_tNS9_4plusIvEENS9_8equal_toIvEEtEE10hipError_tPvRmT2_T3_T4_T5_mT6_T7_P12ihipStream_tbENKUlT_T0_E_clISt17integral_constantIbLb1EES11_EEDaSW_SX_EUlSW_E_NS1_11comp_targetILNS1_3genE10ELNS1_11target_archE1200ELNS1_3gpuE4ELNS1_3repE0EEENS1_30default_config_static_selectorELNS0_4arch9wavefront6targetE0EEEvT1_
		.amdhsa_group_segment_fixed_size 0
		.amdhsa_private_segment_fixed_size 0
		.amdhsa_kernarg_size 112
		.amdhsa_user_sgpr_count 6
		.amdhsa_user_sgpr_private_segment_buffer 1
		.amdhsa_user_sgpr_dispatch_ptr 0
		.amdhsa_user_sgpr_queue_ptr 0
		.amdhsa_user_sgpr_kernarg_segment_ptr 1
		.amdhsa_user_sgpr_dispatch_id 0
		.amdhsa_user_sgpr_flat_scratch_init 0
		.amdhsa_user_sgpr_private_segment_size 0
		.amdhsa_wavefront_size32 1
		.amdhsa_uses_dynamic_stack 0
		.amdhsa_system_sgpr_private_segment_wavefront_offset 0
		.amdhsa_system_sgpr_workgroup_id_x 1
		.amdhsa_system_sgpr_workgroup_id_y 0
		.amdhsa_system_sgpr_workgroup_id_z 0
		.amdhsa_system_sgpr_workgroup_info 0
		.amdhsa_system_vgpr_workitem_id 0
		.amdhsa_next_free_vgpr 1
		.amdhsa_next_free_sgpr 1
		.amdhsa_reserve_vcc 0
		.amdhsa_reserve_flat_scratch 0
		.amdhsa_float_round_mode_32 0
		.amdhsa_float_round_mode_16_64 0
		.amdhsa_float_denorm_mode_32 3
		.amdhsa_float_denorm_mode_16_64 3
		.amdhsa_dx10_clamp 1
		.amdhsa_ieee_mode 1
		.amdhsa_fp16_overflow 0
		.amdhsa_workgroup_processor_mode 1
		.amdhsa_memory_ordered 1
		.amdhsa_forward_progress 1
		.amdhsa_shared_vgpr_count 0
		.amdhsa_exception_fp_ieee_invalid_op 0
		.amdhsa_exception_fp_denorm_src 0
		.amdhsa_exception_fp_ieee_div_zero 0
		.amdhsa_exception_fp_ieee_overflow 0
		.amdhsa_exception_fp_ieee_underflow 0
		.amdhsa_exception_fp_ieee_inexact 0
		.amdhsa_exception_int_div_zero 0
	.end_amdhsa_kernel
	.section	.text._ZN7rocprim17ROCPRIM_400000_NS6detail17trampoline_kernelINS0_14default_configENS1_27scan_by_key_config_selectorIitEEZZNS1_16scan_by_key_implILNS1_25lookback_scan_determinismE0ELb0ES3_N6thrust23THRUST_200600_302600_NS6detail15normal_iteratorINS9_10device_ptrIiEEEENSB_INSC_ItEEEESG_tNS9_4plusIvEENS9_8equal_toIvEEtEE10hipError_tPvRmT2_T3_T4_T5_mT6_T7_P12ihipStream_tbENKUlT_T0_E_clISt17integral_constantIbLb1EES11_EEDaSW_SX_EUlSW_E_NS1_11comp_targetILNS1_3genE10ELNS1_11target_archE1200ELNS1_3gpuE4ELNS1_3repE0EEENS1_30default_config_static_selectorELNS0_4arch9wavefront6targetE0EEEvT1_,"axG",@progbits,_ZN7rocprim17ROCPRIM_400000_NS6detail17trampoline_kernelINS0_14default_configENS1_27scan_by_key_config_selectorIitEEZZNS1_16scan_by_key_implILNS1_25lookback_scan_determinismE0ELb0ES3_N6thrust23THRUST_200600_302600_NS6detail15normal_iteratorINS9_10device_ptrIiEEEENSB_INSC_ItEEEESG_tNS9_4plusIvEENS9_8equal_toIvEEtEE10hipError_tPvRmT2_T3_T4_T5_mT6_T7_P12ihipStream_tbENKUlT_T0_E_clISt17integral_constantIbLb1EES11_EEDaSW_SX_EUlSW_E_NS1_11comp_targetILNS1_3genE10ELNS1_11target_archE1200ELNS1_3gpuE4ELNS1_3repE0EEENS1_30default_config_static_selectorELNS0_4arch9wavefront6targetE0EEEvT1_,comdat
.Lfunc_end1284:
	.size	_ZN7rocprim17ROCPRIM_400000_NS6detail17trampoline_kernelINS0_14default_configENS1_27scan_by_key_config_selectorIitEEZZNS1_16scan_by_key_implILNS1_25lookback_scan_determinismE0ELb0ES3_N6thrust23THRUST_200600_302600_NS6detail15normal_iteratorINS9_10device_ptrIiEEEENSB_INSC_ItEEEESG_tNS9_4plusIvEENS9_8equal_toIvEEtEE10hipError_tPvRmT2_T3_T4_T5_mT6_T7_P12ihipStream_tbENKUlT_T0_E_clISt17integral_constantIbLb1EES11_EEDaSW_SX_EUlSW_E_NS1_11comp_targetILNS1_3genE10ELNS1_11target_archE1200ELNS1_3gpuE4ELNS1_3repE0EEENS1_30default_config_static_selectorELNS0_4arch9wavefront6targetE0EEEvT1_, .Lfunc_end1284-_ZN7rocprim17ROCPRIM_400000_NS6detail17trampoline_kernelINS0_14default_configENS1_27scan_by_key_config_selectorIitEEZZNS1_16scan_by_key_implILNS1_25lookback_scan_determinismE0ELb0ES3_N6thrust23THRUST_200600_302600_NS6detail15normal_iteratorINS9_10device_ptrIiEEEENSB_INSC_ItEEEESG_tNS9_4plusIvEENS9_8equal_toIvEEtEE10hipError_tPvRmT2_T3_T4_T5_mT6_T7_P12ihipStream_tbENKUlT_T0_E_clISt17integral_constantIbLb1EES11_EEDaSW_SX_EUlSW_E_NS1_11comp_targetILNS1_3genE10ELNS1_11target_archE1200ELNS1_3gpuE4ELNS1_3repE0EEENS1_30default_config_static_selectorELNS0_4arch9wavefront6targetE0EEEvT1_
                                        ; -- End function
	.set _ZN7rocprim17ROCPRIM_400000_NS6detail17trampoline_kernelINS0_14default_configENS1_27scan_by_key_config_selectorIitEEZZNS1_16scan_by_key_implILNS1_25lookback_scan_determinismE0ELb0ES3_N6thrust23THRUST_200600_302600_NS6detail15normal_iteratorINS9_10device_ptrIiEEEENSB_INSC_ItEEEESG_tNS9_4plusIvEENS9_8equal_toIvEEtEE10hipError_tPvRmT2_T3_T4_T5_mT6_T7_P12ihipStream_tbENKUlT_T0_E_clISt17integral_constantIbLb1EES11_EEDaSW_SX_EUlSW_E_NS1_11comp_targetILNS1_3genE10ELNS1_11target_archE1200ELNS1_3gpuE4ELNS1_3repE0EEENS1_30default_config_static_selectorELNS0_4arch9wavefront6targetE0EEEvT1_.num_vgpr, 0
	.set _ZN7rocprim17ROCPRIM_400000_NS6detail17trampoline_kernelINS0_14default_configENS1_27scan_by_key_config_selectorIitEEZZNS1_16scan_by_key_implILNS1_25lookback_scan_determinismE0ELb0ES3_N6thrust23THRUST_200600_302600_NS6detail15normal_iteratorINS9_10device_ptrIiEEEENSB_INSC_ItEEEESG_tNS9_4plusIvEENS9_8equal_toIvEEtEE10hipError_tPvRmT2_T3_T4_T5_mT6_T7_P12ihipStream_tbENKUlT_T0_E_clISt17integral_constantIbLb1EES11_EEDaSW_SX_EUlSW_E_NS1_11comp_targetILNS1_3genE10ELNS1_11target_archE1200ELNS1_3gpuE4ELNS1_3repE0EEENS1_30default_config_static_selectorELNS0_4arch9wavefront6targetE0EEEvT1_.num_agpr, 0
	.set _ZN7rocprim17ROCPRIM_400000_NS6detail17trampoline_kernelINS0_14default_configENS1_27scan_by_key_config_selectorIitEEZZNS1_16scan_by_key_implILNS1_25lookback_scan_determinismE0ELb0ES3_N6thrust23THRUST_200600_302600_NS6detail15normal_iteratorINS9_10device_ptrIiEEEENSB_INSC_ItEEEESG_tNS9_4plusIvEENS9_8equal_toIvEEtEE10hipError_tPvRmT2_T3_T4_T5_mT6_T7_P12ihipStream_tbENKUlT_T0_E_clISt17integral_constantIbLb1EES11_EEDaSW_SX_EUlSW_E_NS1_11comp_targetILNS1_3genE10ELNS1_11target_archE1200ELNS1_3gpuE4ELNS1_3repE0EEENS1_30default_config_static_selectorELNS0_4arch9wavefront6targetE0EEEvT1_.numbered_sgpr, 0
	.set _ZN7rocprim17ROCPRIM_400000_NS6detail17trampoline_kernelINS0_14default_configENS1_27scan_by_key_config_selectorIitEEZZNS1_16scan_by_key_implILNS1_25lookback_scan_determinismE0ELb0ES3_N6thrust23THRUST_200600_302600_NS6detail15normal_iteratorINS9_10device_ptrIiEEEENSB_INSC_ItEEEESG_tNS9_4plusIvEENS9_8equal_toIvEEtEE10hipError_tPvRmT2_T3_T4_T5_mT6_T7_P12ihipStream_tbENKUlT_T0_E_clISt17integral_constantIbLb1EES11_EEDaSW_SX_EUlSW_E_NS1_11comp_targetILNS1_3genE10ELNS1_11target_archE1200ELNS1_3gpuE4ELNS1_3repE0EEENS1_30default_config_static_selectorELNS0_4arch9wavefront6targetE0EEEvT1_.num_named_barrier, 0
	.set _ZN7rocprim17ROCPRIM_400000_NS6detail17trampoline_kernelINS0_14default_configENS1_27scan_by_key_config_selectorIitEEZZNS1_16scan_by_key_implILNS1_25lookback_scan_determinismE0ELb0ES3_N6thrust23THRUST_200600_302600_NS6detail15normal_iteratorINS9_10device_ptrIiEEEENSB_INSC_ItEEEESG_tNS9_4plusIvEENS9_8equal_toIvEEtEE10hipError_tPvRmT2_T3_T4_T5_mT6_T7_P12ihipStream_tbENKUlT_T0_E_clISt17integral_constantIbLb1EES11_EEDaSW_SX_EUlSW_E_NS1_11comp_targetILNS1_3genE10ELNS1_11target_archE1200ELNS1_3gpuE4ELNS1_3repE0EEENS1_30default_config_static_selectorELNS0_4arch9wavefront6targetE0EEEvT1_.private_seg_size, 0
	.set _ZN7rocprim17ROCPRIM_400000_NS6detail17trampoline_kernelINS0_14default_configENS1_27scan_by_key_config_selectorIitEEZZNS1_16scan_by_key_implILNS1_25lookback_scan_determinismE0ELb0ES3_N6thrust23THRUST_200600_302600_NS6detail15normal_iteratorINS9_10device_ptrIiEEEENSB_INSC_ItEEEESG_tNS9_4plusIvEENS9_8equal_toIvEEtEE10hipError_tPvRmT2_T3_T4_T5_mT6_T7_P12ihipStream_tbENKUlT_T0_E_clISt17integral_constantIbLb1EES11_EEDaSW_SX_EUlSW_E_NS1_11comp_targetILNS1_3genE10ELNS1_11target_archE1200ELNS1_3gpuE4ELNS1_3repE0EEENS1_30default_config_static_selectorELNS0_4arch9wavefront6targetE0EEEvT1_.uses_vcc, 0
	.set _ZN7rocprim17ROCPRIM_400000_NS6detail17trampoline_kernelINS0_14default_configENS1_27scan_by_key_config_selectorIitEEZZNS1_16scan_by_key_implILNS1_25lookback_scan_determinismE0ELb0ES3_N6thrust23THRUST_200600_302600_NS6detail15normal_iteratorINS9_10device_ptrIiEEEENSB_INSC_ItEEEESG_tNS9_4plusIvEENS9_8equal_toIvEEtEE10hipError_tPvRmT2_T3_T4_T5_mT6_T7_P12ihipStream_tbENKUlT_T0_E_clISt17integral_constantIbLb1EES11_EEDaSW_SX_EUlSW_E_NS1_11comp_targetILNS1_3genE10ELNS1_11target_archE1200ELNS1_3gpuE4ELNS1_3repE0EEENS1_30default_config_static_selectorELNS0_4arch9wavefront6targetE0EEEvT1_.uses_flat_scratch, 0
	.set _ZN7rocprim17ROCPRIM_400000_NS6detail17trampoline_kernelINS0_14default_configENS1_27scan_by_key_config_selectorIitEEZZNS1_16scan_by_key_implILNS1_25lookback_scan_determinismE0ELb0ES3_N6thrust23THRUST_200600_302600_NS6detail15normal_iteratorINS9_10device_ptrIiEEEENSB_INSC_ItEEEESG_tNS9_4plusIvEENS9_8equal_toIvEEtEE10hipError_tPvRmT2_T3_T4_T5_mT6_T7_P12ihipStream_tbENKUlT_T0_E_clISt17integral_constantIbLb1EES11_EEDaSW_SX_EUlSW_E_NS1_11comp_targetILNS1_3genE10ELNS1_11target_archE1200ELNS1_3gpuE4ELNS1_3repE0EEENS1_30default_config_static_selectorELNS0_4arch9wavefront6targetE0EEEvT1_.has_dyn_sized_stack, 0
	.set _ZN7rocprim17ROCPRIM_400000_NS6detail17trampoline_kernelINS0_14default_configENS1_27scan_by_key_config_selectorIitEEZZNS1_16scan_by_key_implILNS1_25lookback_scan_determinismE0ELb0ES3_N6thrust23THRUST_200600_302600_NS6detail15normal_iteratorINS9_10device_ptrIiEEEENSB_INSC_ItEEEESG_tNS9_4plusIvEENS9_8equal_toIvEEtEE10hipError_tPvRmT2_T3_T4_T5_mT6_T7_P12ihipStream_tbENKUlT_T0_E_clISt17integral_constantIbLb1EES11_EEDaSW_SX_EUlSW_E_NS1_11comp_targetILNS1_3genE10ELNS1_11target_archE1200ELNS1_3gpuE4ELNS1_3repE0EEENS1_30default_config_static_selectorELNS0_4arch9wavefront6targetE0EEEvT1_.has_recursion, 0
	.set _ZN7rocprim17ROCPRIM_400000_NS6detail17trampoline_kernelINS0_14default_configENS1_27scan_by_key_config_selectorIitEEZZNS1_16scan_by_key_implILNS1_25lookback_scan_determinismE0ELb0ES3_N6thrust23THRUST_200600_302600_NS6detail15normal_iteratorINS9_10device_ptrIiEEEENSB_INSC_ItEEEESG_tNS9_4plusIvEENS9_8equal_toIvEEtEE10hipError_tPvRmT2_T3_T4_T5_mT6_T7_P12ihipStream_tbENKUlT_T0_E_clISt17integral_constantIbLb1EES11_EEDaSW_SX_EUlSW_E_NS1_11comp_targetILNS1_3genE10ELNS1_11target_archE1200ELNS1_3gpuE4ELNS1_3repE0EEENS1_30default_config_static_selectorELNS0_4arch9wavefront6targetE0EEEvT1_.has_indirect_call, 0
	.section	.AMDGPU.csdata,"",@progbits
; Kernel info:
; codeLenInByte = 0
; TotalNumSgprs: 0
; NumVgprs: 0
; ScratchSize: 0
; MemoryBound: 0
; FloatMode: 240
; IeeeMode: 1
; LDSByteSize: 0 bytes/workgroup (compile time only)
; SGPRBlocks: 0
; VGPRBlocks: 0
; NumSGPRsForWavesPerEU: 1
; NumVGPRsForWavesPerEU: 1
; Occupancy: 16
; WaveLimiterHint : 0
; COMPUTE_PGM_RSRC2:SCRATCH_EN: 0
; COMPUTE_PGM_RSRC2:USER_SGPR: 6
; COMPUTE_PGM_RSRC2:TRAP_HANDLER: 0
; COMPUTE_PGM_RSRC2:TGID_X_EN: 1
; COMPUTE_PGM_RSRC2:TGID_Y_EN: 0
; COMPUTE_PGM_RSRC2:TGID_Z_EN: 0
; COMPUTE_PGM_RSRC2:TIDIG_COMP_CNT: 0
	.section	.text._ZN7rocprim17ROCPRIM_400000_NS6detail17trampoline_kernelINS0_14default_configENS1_27scan_by_key_config_selectorIitEEZZNS1_16scan_by_key_implILNS1_25lookback_scan_determinismE0ELb0ES3_N6thrust23THRUST_200600_302600_NS6detail15normal_iteratorINS9_10device_ptrIiEEEENSB_INSC_ItEEEESG_tNS9_4plusIvEENS9_8equal_toIvEEtEE10hipError_tPvRmT2_T3_T4_T5_mT6_T7_P12ihipStream_tbENKUlT_T0_E_clISt17integral_constantIbLb1EES11_EEDaSW_SX_EUlSW_E_NS1_11comp_targetILNS1_3genE9ELNS1_11target_archE1100ELNS1_3gpuE3ELNS1_3repE0EEENS1_30default_config_static_selectorELNS0_4arch9wavefront6targetE0EEEvT1_,"axG",@progbits,_ZN7rocprim17ROCPRIM_400000_NS6detail17trampoline_kernelINS0_14default_configENS1_27scan_by_key_config_selectorIitEEZZNS1_16scan_by_key_implILNS1_25lookback_scan_determinismE0ELb0ES3_N6thrust23THRUST_200600_302600_NS6detail15normal_iteratorINS9_10device_ptrIiEEEENSB_INSC_ItEEEESG_tNS9_4plusIvEENS9_8equal_toIvEEtEE10hipError_tPvRmT2_T3_T4_T5_mT6_T7_P12ihipStream_tbENKUlT_T0_E_clISt17integral_constantIbLb1EES11_EEDaSW_SX_EUlSW_E_NS1_11comp_targetILNS1_3genE9ELNS1_11target_archE1100ELNS1_3gpuE3ELNS1_3repE0EEENS1_30default_config_static_selectorELNS0_4arch9wavefront6targetE0EEEvT1_,comdat
	.protected	_ZN7rocprim17ROCPRIM_400000_NS6detail17trampoline_kernelINS0_14default_configENS1_27scan_by_key_config_selectorIitEEZZNS1_16scan_by_key_implILNS1_25lookback_scan_determinismE0ELb0ES3_N6thrust23THRUST_200600_302600_NS6detail15normal_iteratorINS9_10device_ptrIiEEEENSB_INSC_ItEEEESG_tNS9_4plusIvEENS9_8equal_toIvEEtEE10hipError_tPvRmT2_T3_T4_T5_mT6_T7_P12ihipStream_tbENKUlT_T0_E_clISt17integral_constantIbLb1EES11_EEDaSW_SX_EUlSW_E_NS1_11comp_targetILNS1_3genE9ELNS1_11target_archE1100ELNS1_3gpuE3ELNS1_3repE0EEENS1_30default_config_static_selectorELNS0_4arch9wavefront6targetE0EEEvT1_ ; -- Begin function _ZN7rocprim17ROCPRIM_400000_NS6detail17trampoline_kernelINS0_14default_configENS1_27scan_by_key_config_selectorIitEEZZNS1_16scan_by_key_implILNS1_25lookback_scan_determinismE0ELb0ES3_N6thrust23THRUST_200600_302600_NS6detail15normal_iteratorINS9_10device_ptrIiEEEENSB_INSC_ItEEEESG_tNS9_4plusIvEENS9_8equal_toIvEEtEE10hipError_tPvRmT2_T3_T4_T5_mT6_T7_P12ihipStream_tbENKUlT_T0_E_clISt17integral_constantIbLb1EES11_EEDaSW_SX_EUlSW_E_NS1_11comp_targetILNS1_3genE9ELNS1_11target_archE1100ELNS1_3gpuE3ELNS1_3repE0EEENS1_30default_config_static_selectorELNS0_4arch9wavefront6targetE0EEEvT1_
	.globl	_ZN7rocprim17ROCPRIM_400000_NS6detail17trampoline_kernelINS0_14default_configENS1_27scan_by_key_config_selectorIitEEZZNS1_16scan_by_key_implILNS1_25lookback_scan_determinismE0ELb0ES3_N6thrust23THRUST_200600_302600_NS6detail15normal_iteratorINS9_10device_ptrIiEEEENSB_INSC_ItEEEESG_tNS9_4plusIvEENS9_8equal_toIvEEtEE10hipError_tPvRmT2_T3_T4_T5_mT6_T7_P12ihipStream_tbENKUlT_T0_E_clISt17integral_constantIbLb1EES11_EEDaSW_SX_EUlSW_E_NS1_11comp_targetILNS1_3genE9ELNS1_11target_archE1100ELNS1_3gpuE3ELNS1_3repE0EEENS1_30default_config_static_selectorELNS0_4arch9wavefront6targetE0EEEvT1_
	.p2align	8
	.type	_ZN7rocprim17ROCPRIM_400000_NS6detail17trampoline_kernelINS0_14default_configENS1_27scan_by_key_config_selectorIitEEZZNS1_16scan_by_key_implILNS1_25lookback_scan_determinismE0ELb0ES3_N6thrust23THRUST_200600_302600_NS6detail15normal_iteratorINS9_10device_ptrIiEEEENSB_INSC_ItEEEESG_tNS9_4plusIvEENS9_8equal_toIvEEtEE10hipError_tPvRmT2_T3_T4_T5_mT6_T7_P12ihipStream_tbENKUlT_T0_E_clISt17integral_constantIbLb1EES11_EEDaSW_SX_EUlSW_E_NS1_11comp_targetILNS1_3genE9ELNS1_11target_archE1100ELNS1_3gpuE3ELNS1_3repE0EEENS1_30default_config_static_selectorELNS0_4arch9wavefront6targetE0EEEvT1_,@function
_ZN7rocprim17ROCPRIM_400000_NS6detail17trampoline_kernelINS0_14default_configENS1_27scan_by_key_config_selectorIitEEZZNS1_16scan_by_key_implILNS1_25lookback_scan_determinismE0ELb0ES3_N6thrust23THRUST_200600_302600_NS6detail15normal_iteratorINS9_10device_ptrIiEEEENSB_INSC_ItEEEESG_tNS9_4plusIvEENS9_8equal_toIvEEtEE10hipError_tPvRmT2_T3_T4_T5_mT6_T7_P12ihipStream_tbENKUlT_T0_E_clISt17integral_constantIbLb1EES11_EEDaSW_SX_EUlSW_E_NS1_11comp_targetILNS1_3genE9ELNS1_11target_archE1100ELNS1_3gpuE3ELNS1_3repE0EEENS1_30default_config_static_selectorELNS0_4arch9wavefront6targetE0EEEvT1_: ; @_ZN7rocprim17ROCPRIM_400000_NS6detail17trampoline_kernelINS0_14default_configENS1_27scan_by_key_config_selectorIitEEZZNS1_16scan_by_key_implILNS1_25lookback_scan_determinismE0ELb0ES3_N6thrust23THRUST_200600_302600_NS6detail15normal_iteratorINS9_10device_ptrIiEEEENSB_INSC_ItEEEESG_tNS9_4plusIvEENS9_8equal_toIvEEtEE10hipError_tPvRmT2_T3_T4_T5_mT6_T7_P12ihipStream_tbENKUlT_T0_E_clISt17integral_constantIbLb1EES11_EEDaSW_SX_EUlSW_E_NS1_11comp_targetILNS1_3genE9ELNS1_11target_archE1100ELNS1_3gpuE3ELNS1_3repE0EEENS1_30default_config_static_selectorELNS0_4arch9wavefront6targetE0EEEvT1_
; %bb.0:
	.section	.rodata,"a",@progbits
	.p2align	6, 0x0
	.amdhsa_kernel _ZN7rocprim17ROCPRIM_400000_NS6detail17trampoline_kernelINS0_14default_configENS1_27scan_by_key_config_selectorIitEEZZNS1_16scan_by_key_implILNS1_25lookback_scan_determinismE0ELb0ES3_N6thrust23THRUST_200600_302600_NS6detail15normal_iteratorINS9_10device_ptrIiEEEENSB_INSC_ItEEEESG_tNS9_4plusIvEENS9_8equal_toIvEEtEE10hipError_tPvRmT2_T3_T4_T5_mT6_T7_P12ihipStream_tbENKUlT_T0_E_clISt17integral_constantIbLb1EES11_EEDaSW_SX_EUlSW_E_NS1_11comp_targetILNS1_3genE9ELNS1_11target_archE1100ELNS1_3gpuE3ELNS1_3repE0EEENS1_30default_config_static_selectorELNS0_4arch9wavefront6targetE0EEEvT1_
		.amdhsa_group_segment_fixed_size 0
		.amdhsa_private_segment_fixed_size 0
		.amdhsa_kernarg_size 112
		.amdhsa_user_sgpr_count 6
		.amdhsa_user_sgpr_private_segment_buffer 1
		.amdhsa_user_sgpr_dispatch_ptr 0
		.amdhsa_user_sgpr_queue_ptr 0
		.amdhsa_user_sgpr_kernarg_segment_ptr 1
		.amdhsa_user_sgpr_dispatch_id 0
		.amdhsa_user_sgpr_flat_scratch_init 0
		.amdhsa_user_sgpr_private_segment_size 0
		.amdhsa_wavefront_size32 1
		.amdhsa_uses_dynamic_stack 0
		.amdhsa_system_sgpr_private_segment_wavefront_offset 0
		.amdhsa_system_sgpr_workgroup_id_x 1
		.amdhsa_system_sgpr_workgroup_id_y 0
		.amdhsa_system_sgpr_workgroup_id_z 0
		.amdhsa_system_sgpr_workgroup_info 0
		.amdhsa_system_vgpr_workitem_id 0
		.amdhsa_next_free_vgpr 1
		.amdhsa_next_free_sgpr 1
		.amdhsa_reserve_vcc 0
		.amdhsa_reserve_flat_scratch 0
		.amdhsa_float_round_mode_32 0
		.amdhsa_float_round_mode_16_64 0
		.amdhsa_float_denorm_mode_32 3
		.amdhsa_float_denorm_mode_16_64 3
		.amdhsa_dx10_clamp 1
		.amdhsa_ieee_mode 1
		.amdhsa_fp16_overflow 0
		.amdhsa_workgroup_processor_mode 1
		.amdhsa_memory_ordered 1
		.amdhsa_forward_progress 1
		.amdhsa_shared_vgpr_count 0
		.amdhsa_exception_fp_ieee_invalid_op 0
		.amdhsa_exception_fp_denorm_src 0
		.amdhsa_exception_fp_ieee_div_zero 0
		.amdhsa_exception_fp_ieee_overflow 0
		.amdhsa_exception_fp_ieee_underflow 0
		.amdhsa_exception_fp_ieee_inexact 0
		.amdhsa_exception_int_div_zero 0
	.end_amdhsa_kernel
	.section	.text._ZN7rocprim17ROCPRIM_400000_NS6detail17trampoline_kernelINS0_14default_configENS1_27scan_by_key_config_selectorIitEEZZNS1_16scan_by_key_implILNS1_25lookback_scan_determinismE0ELb0ES3_N6thrust23THRUST_200600_302600_NS6detail15normal_iteratorINS9_10device_ptrIiEEEENSB_INSC_ItEEEESG_tNS9_4plusIvEENS9_8equal_toIvEEtEE10hipError_tPvRmT2_T3_T4_T5_mT6_T7_P12ihipStream_tbENKUlT_T0_E_clISt17integral_constantIbLb1EES11_EEDaSW_SX_EUlSW_E_NS1_11comp_targetILNS1_3genE9ELNS1_11target_archE1100ELNS1_3gpuE3ELNS1_3repE0EEENS1_30default_config_static_selectorELNS0_4arch9wavefront6targetE0EEEvT1_,"axG",@progbits,_ZN7rocprim17ROCPRIM_400000_NS6detail17trampoline_kernelINS0_14default_configENS1_27scan_by_key_config_selectorIitEEZZNS1_16scan_by_key_implILNS1_25lookback_scan_determinismE0ELb0ES3_N6thrust23THRUST_200600_302600_NS6detail15normal_iteratorINS9_10device_ptrIiEEEENSB_INSC_ItEEEESG_tNS9_4plusIvEENS9_8equal_toIvEEtEE10hipError_tPvRmT2_T3_T4_T5_mT6_T7_P12ihipStream_tbENKUlT_T0_E_clISt17integral_constantIbLb1EES11_EEDaSW_SX_EUlSW_E_NS1_11comp_targetILNS1_3genE9ELNS1_11target_archE1100ELNS1_3gpuE3ELNS1_3repE0EEENS1_30default_config_static_selectorELNS0_4arch9wavefront6targetE0EEEvT1_,comdat
.Lfunc_end1285:
	.size	_ZN7rocprim17ROCPRIM_400000_NS6detail17trampoline_kernelINS0_14default_configENS1_27scan_by_key_config_selectorIitEEZZNS1_16scan_by_key_implILNS1_25lookback_scan_determinismE0ELb0ES3_N6thrust23THRUST_200600_302600_NS6detail15normal_iteratorINS9_10device_ptrIiEEEENSB_INSC_ItEEEESG_tNS9_4plusIvEENS9_8equal_toIvEEtEE10hipError_tPvRmT2_T3_T4_T5_mT6_T7_P12ihipStream_tbENKUlT_T0_E_clISt17integral_constantIbLb1EES11_EEDaSW_SX_EUlSW_E_NS1_11comp_targetILNS1_3genE9ELNS1_11target_archE1100ELNS1_3gpuE3ELNS1_3repE0EEENS1_30default_config_static_selectorELNS0_4arch9wavefront6targetE0EEEvT1_, .Lfunc_end1285-_ZN7rocprim17ROCPRIM_400000_NS6detail17trampoline_kernelINS0_14default_configENS1_27scan_by_key_config_selectorIitEEZZNS1_16scan_by_key_implILNS1_25lookback_scan_determinismE0ELb0ES3_N6thrust23THRUST_200600_302600_NS6detail15normal_iteratorINS9_10device_ptrIiEEEENSB_INSC_ItEEEESG_tNS9_4plusIvEENS9_8equal_toIvEEtEE10hipError_tPvRmT2_T3_T4_T5_mT6_T7_P12ihipStream_tbENKUlT_T0_E_clISt17integral_constantIbLb1EES11_EEDaSW_SX_EUlSW_E_NS1_11comp_targetILNS1_3genE9ELNS1_11target_archE1100ELNS1_3gpuE3ELNS1_3repE0EEENS1_30default_config_static_selectorELNS0_4arch9wavefront6targetE0EEEvT1_
                                        ; -- End function
	.set _ZN7rocprim17ROCPRIM_400000_NS6detail17trampoline_kernelINS0_14default_configENS1_27scan_by_key_config_selectorIitEEZZNS1_16scan_by_key_implILNS1_25lookback_scan_determinismE0ELb0ES3_N6thrust23THRUST_200600_302600_NS6detail15normal_iteratorINS9_10device_ptrIiEEEENSB_INSC_ItEEEESG_tNS9_4plusIvEENS9_8equal_toIvEEtEE10hipError_tPvRmT2_T3_T4_T5_mT6_T7_P12ihipStream_tbENKUlT_T0_E_clISt17integral_constantIbLb1EES11_EEDaSW_SX_EUlSW_E_NS1_11comp_targetILNS1_3genE9ELNS1_11target_archE1100ELNS1_3gpuE3ELNS1_3repE0EEENS1_30default_config_static_selectorELNS0_4arch9wavefront6targetE0EEEvT1_.num_vgpr, 0
	.set _ZN7rocprim17ROCPRIM_400000_NS6detail17trampoline_kernelINS0_14default_configENS1_27scan_by_key_config_selectorIitEEZZNS1_16scan_by_key_implILNS1_25lookback_scan_determinismE0ELb0ES3_N6thrust23THRUST_200600_302600_NS6detail15normal_iteratorINS9_10device_ptrIiEEEENSB_INSC_ItEEEESG_tNS9_4plusIvEENS9_8equal_toIvEEtEE10hipError_tPvRmT2_T3_T4_T5_mT6_T7_P12ihipStream_tbENKUlT_T0_E_clISt17integral_constantIbLb1EES11_EEDaSW_SX_EUlSW_E_NS1_11comp_targetILNS1_3genE9ELNS1_11target_archE1100ELNS1_3gpuE3ELNS1_3repE0EEENS1_30default_config_static_selectorELNS0_4arch9wavefront6targetE0EEEvT1_.num_agpr, 0
	.set _ZN7rocprim17ROCPRIM_400000_NS6detail17trampoline_kernelINS0_14default_configENS1_27scan_by_key_config_selectorIitEEZZNS1_16scan_by_key_implILNS1_25lookback_scan_determinismE0ELb0ES3_N6thrust23THRUST_200600_302600_NS6detail15normal_iteratorINS9_10device_ptrIiEEEENSB_INSC_ItEEEESG_tNS9_4plusIvEENS9_8equal_toIvEEtEE10hipError_tPvRmT2_T3_T4_T5_mT6_T7_P12ihipStream_tbENKUlT_T0_E_clISt17integral_constantIbLb1EES11_EEDaSW_SX_EUlSW_E_NS1_11comp_targetILNS1_3genE9ELNS1_11target_archE1100ELNS1_3gpuE3ELNS1_3repE0EEENS1_30default_config_static_selectorELNS0_4arch9wavefront6targetE0EEEvT1_.numbered_sgpr, 0
	.set _ZN7rocprim17ROCPRIM_400000_NS6detail17trampoline_kernelINS0_14default_configENS1_27scan_by_key_config_selectorIitEEZZNS1_16scan_by_key_implILNS1_25lookback_scan_determinismE0ELb0ES3_N6thrust23THRUST_200600_302600_NS6detail15normal_iteratorINS9_10device_ptrIiEEEENSB_INSC_ItEEEESG_tNS9_4plusIvEENS9_8equal_toIvEEtEE10hipError_tPvRmT2_T3_T4_T5_mT6_T7_P12ihipStream_tbENKUlT_T0_E_clISt17integral_constantIbLb1EES11_EEDaSW_SX_EUlSW_E_NS1_11comp_targetILNS1_3genE9ELNS1_11target_archE1100ELNS1_3gpuE3ELNS1_3repE0EEENS1_30default_config_static_selectorELNS0_4arch9wavefront6targetE0EEEvT1_.num_named_barrier, 0
	.set _ZN7rocprim17ROCPRIM_400000_NS6detail17trampoline_kernelINS0_14default_configENS1_27scan_by_key_config_selectorIitEEZZNS1_16scan_by_key_implILNS1_25lookback_scan_determinismE0ELb0ES3_N6thrust23THRUST_200600_302600_NS6detail15normal_iteratorINS9_10device_ptrIiEEEENSB_INSC_ItEEEESG_tNS9_4plusIvEENS9_8equal_toIvEEtEE10hipError_tPvRmT2_T3_T4_T5_mT6_T7_P12ihipStream_tbENKUlT_T0_E_clISt17integral_constantIbLb1EES11_EEDaSW_SX_EUlSW_E_NS1_11comp_targetILNS1_3genE9ELNS1_11target_archE1100ELNS1_3gpuE3ELNS1_3repE0EEENS1_30default_config_static_selectorELNS0_4arch9wavefront6targetE0EEEvT1_.private_seg_size, 0
	.set _ZN7rocprim17ROCPRIM_400000_NS6detail17trampoline_kernelINS0_14default_configENS1_27scan_by_key_config_selectorIitEEZZNS1_16scan_by_key_implILNS1_25lookback_scan_determinismE0ELb0ES3_N6thrust23THRUST_200600_302600_NS6detail15normal_iteratorINS9_10device_ptrIiEEEENSB_INSC_ItEEEESG_tNS9_4plusIvEENS9_8equal_toIvEEtEE10hipError_tPvRmT2_T3_T4_T5_mT6_T7_P12ihipStream_tbENKUlT_T0_E_clISt17integral_constantIbLb1EES11_EEDaSW_SX_EUlSW_E_NS1_11comp_targetILNS1_3genE9ELNS1_11target_archE1100ELNS1_3gpuE3ELNS1_3repE0EEENS1_30default_config_static_selectorELNS0_4arch9wavefront6targetE0EEEvT1_.uses_vcc, 0
	.set _ZN7rocprim17ROCPRIM_400000_NS6detail17trampoline_kernelINS0_14default_configENS1_27scan_by_key_config_selectorIitEEZZNS1_16scan_by_key_implILNS1_25lookback_scan_determinismE0ELb0ES3_N6thrust23THRUST_200600_302600_NS6detail15normal_iteratorINS9_10device_ptrIiEEEENSB_INSC_ItEEEESG_tNS9_4plusIvEENS9_8equal_toIvEEtEE10hipError_tPvRmT2_T3_T4_T5_mT6_T7_P12ihipStream_tbENKUlT_T0_E_clISt17integral_constantIbLb1EES11_EEDaSW_SX_EUlSW_E_NS1_11comp_targetILNS1_3genE9ELNS1_11target_archE1100ELNS1_3gpuE3ELNS1_3repE0EEENS1_30default_config_static_selectorELNS0_4arch9wavefront6targetE0EEEvT1_.uses_flat_scratch, 0
	.set _ZN7rocprim17ROCPRIM_400000_NS6detail17trampoline_kernelINS0_14default_configENS1_27scan_by_key_config_selectorIitEEZZNS1_16scan_by_key_implILNS1_25lookback_scan_determinismE0ELb0ES3_N6thrust23THRUST_200600_302600_NS6detail15normal_iteratorINS9_10device_ptrIiEEEENSB_INSC_ItEEEESG_tNS9_4plusIvEENS9_8equal_toIvEEtEE10hipError_tPvRmT2_T3_T4_T5_mT6_T7_P12ihipStream_tbENKUlT_T0_E_clISt17integral_constantIbLb1EES11_EEDaSW_SX_EUlSW_E_NS1_11comp_targetILNS1_3genE9ELNS1_11target_archE1100ELNS1_3gpuE3ELNS1_3repE0EEENS1_30default_config_static_selectorELNS0_4arch9wavefront6targetE0EEEvT1_.has_dyn_sized_stack, 0
	.set _ZN7rocprim17ROCPRIM_400000_NS6detail17trampoline_kernelINS0_14default_configENS1_27scan_by_key_config_selectorIitEEZZNS1_16scan_by_key_implILNS1_25lookback_scan_determinismE0ELb0ES3_N6thrust23THRUST_200600_302600_NS6detail15normal_iteratorINS9_10device_ptrIiEEEENSB_INSC_ItEEEESG_tNS9_4plusIvEENS9_8equal_toIvEEtEE10hipError_tPvRmT2_T3_T4_T5_mT6_T7_P12ihipStream_tbENKUlT_T0_E_clISt17integral_constantIbLb1EES11_EEDaSW_SX_EUlSW_E_NS1_11comp_targetILNS1_3genE9ELNS1_11target_archE1100ELNS1_3gpuE3ELNS1_3repE0EEENS1_30default_config_static_selectorELNS0_4arch9wavefront6targetE0EEEvT1_.has_recursion, 0
	.set _ZN7rocprim17ROCPRIM_400000_NS6detail17trampoline_kernelINS0_14default_configENS1_27scan_by_key_config_selectorIitEEZZNS1_16scan_by_key_implILNS1_25lookback_scan_determinismE0ELb0ES3_N6thrust23THRUST_200600_302600_NS6detail15normal_iteratorINS9_10device_ptrIiEEEENSB_INSC_ItEEEESG_tNS9_4plusIvEENS9_8equal_toIvEEtEE10hipError_tPvRmT2_T3_T4_T5_mT6_T7_P12ihipStream_tbENKUlT_T0_E_clISt17integral_constantIbLb1EES11_EEDaSW_SX_EUlSW_E_NS1_11comp_targetILNS1_3genE9ELNS1_11target_archE1100ELNS1_3gpuE3ELNS1_3repE0EEENS1_30default_config_static_selectorELNS0_4arch9wavefront6targetE0EEEvT1_.has_indirect_call, 0
	.section	.AMDGPU.csdata,"",@progbits
; Kernel info:
; codeLenInByte = 0
; TotalNumSgprs: 0
; NumVgprs: 0
; ScratchSize: 0
; MemoryBound: 0
; FloatMode: 240
; IeeeMode: 1
; LDSByteSize: 0 bytes/workgroup (compile time only)
; SGPRBlocks: 0
; VGPRBlocks: 0
; NumSGPRsForWavesPerEU: 1
; NumVGPRsForWavesPerEU: 1
; Occupancy: 16
; WaveLimiterHint : 0
; COMPUTE_PGM_RSRC2:SCRATCH_EN: 0
; COMPUTE_PGM_RSRC2:USER_SGPR: 6
; COMPUTE_PGM_RSRC2:TRAP_HANDLER: 0
; COMPUTE_PGM_RSRC2:TGID_X_EN: 1
; COMPUTE_PGM_RSRC2:TGID_Y_EN: 0
; COMPUTE_PGM_RSRC2:TGID_Z_EN: 0
; COMPUTE_PGM_RSRC2:TIDIG_COMP_CNT: 0
	.section	.text._ZN7rocprim17ROCPRIM_400000_NS6detail17trampoline_kernelINS0_14default_configENS1_27scan_by_key_config_selectorIitEEZZNS1_16scan_by_key_implILNS1_25lookback_scan_determinismE0ELb0ES3_N6thrust23THRUST_200600_302600_NS6detail15normal_iteratorINS9_10device_ptrIiEEEENSB_INSC_ItEEEESG_tNS9_4plusIvEENS9_8equal_toIvEEtEE10hipError_tPvRmT2_T3_T4_T5_mT6_T7_P12ihipStream_tbENKUlT_T0_E_clISt17integral_constantIbLb1EES11_EEDaSW_SX_EUlSW_E_NS1_11comp_targetILNS1_3genE8ELNS1_11target_archE1030ELNS1_3gpuE2ELNS1_3repE0EEENS1_30default_config_static_selectorELNS0_4arch9wavefront6targetE0EEEvT1_,"axG",@progbits,_ZN7rocprim17ROCPRIM_400000_NS6detail17trampoline_kernelINS0_14default_configENS1_27scan_by_key_config_selectorIitEEZZNS1_16scan_by_key_implILNS1_25lookback_scan_determinismE0ELb0ES3_N6thrust23THRUST_200600_302600_NS6detail15normal_iteratorINS9_10device_ptrIiEEEENSB_INSC_ItEEEESG_tNS9_4plusIvEENS9_8equal_toIvEEtEE10hipError_tPvRmT2_T3_T4_T5_mT6_T7_P12ihipStream_tbENKUlT_T0_E_clISt17integral_constantIbLb1EES11_EEDaSW_SX_EUlSW_E_NS1_11comp_targetILNS1_3genE8ELNS1_11target_archE1030ELNS1_3gpuE2ELNS1_3repE0EEENS1_30default_config_static_selectorELNS0_4arch9wavefront6targetE0EEEvT1_,comdat
	.protected	_ZN7rocprim17ROCPRIM_400000_NS6detail17trampoline_kernelINS0_14default_configENS1_27scan_by_key_config_selectorIitEEZZNS1_16scan_by_key_implILNS1_25lookback_scan_determinismE0ELb0ES3_N6thrust23THRUST_200600_302600_NS6detail15normal_iteratorINS9_10device_ptrIiEEEENSB_INSC_ItEEEESG_tNS9_4plusIvEENS9_8equal_toIvEEtEE10hipError_tPvRmT2_T3_T4_T5_mT6_T7_P12ihipStream_tbENKUlT_T0_E_clISt17integral_constantIbLb1EES11_EEDaSW_SX_EUlSW_E_NS1_11comp_targetILNS1_3genE8ELNS1_11target_archE1030ELNS1_3gpuE2ELNS1_3repE0EEENS1_30default_config_static_selectorELNS0_4arch9wavefront6targetE0EEEvT1_ ; -- Begin function _ZN7rocprim17ROCPRIM_400000_NS6detail17trampoline_kernelINS0_14default_configENS1_27scan_by_key_config_selectorIitEEZZNS1_16scan_by_key_implILNS1_25lookback_scan_determinismE0ELb0ES3_N6thrust23THRUST_200600_302600_NS6detail15normal_iteratorINS9_10device_ptrIiEEEENSB_INSC_ItEEEESG_tNS9_4plusIvEENS9_8equal_toIvEEtEE10hipError_tPvRmT2_T3_T4_T5_mT6_T7_P12ihipStream_tbENKUlT_T0_E_clISt17integral_constantIbLb1EES11_EEDaSW_SX_EUlSW_E_NS1_11comp_targetILNS1_3genE8ELNS1_11target_archE1030ELNS1_3gpuE2ELNS1_3repE0EEENS1_30default_config_static_selectorELNS0_4arch9wavefront6targetE0EEEvT1_
	.globl	_ZN7rocprim17ROCPRIM_400000_NS6detail17trampoline_kernelINS0_14default_configENS1_27scan_by_key_config_selectorIitEEZZNS1_16scan_by_key_implILNS1_25lookback_scan_determinismE0ELb0ES3_N6thrust23THRUST_200600_302600_NS6detail15normal_iteratorINS9_10device_ptrIiEEEENSB_INSC_ItEEEESG_tNS9_4plusIvEENS9_8equal_toIvEEtEE10hipError_tPvRmT2_T3_T4_T5_mT6_T7_P12ihipStream_tbENKUlT_T0_E_clISt17integral_constantIbLb1EES11_EEDaSW_SX_EUlSW_E_NS1_11comp_targetILNS1_3genE8ELNS1_11target_archE1030ELNS1_3gpuE2ELNS1_3repE0EEENS1_30default_config_static_selectorELNS0_4arch9wavefront6targetE0EEEvT1_
	.p2align	8
	.type	_ZN7rocprim17ROCPRIM_400000_NS6detail17trampoline_kernelINS0_14default_configENS1_27scan_by_key_config_selectorIitEEZZNS1_16scan_by_key_implILNS1_25lookback_scan_determinismE0ELb0ES3_N6thrust23THRUST_200600_302600_NS6detail15normal_iteratorINS9_10device_ptrIiEEEENSB_INSC_ItEEEESG_tNS9_4plusIvEENS9_8equal_toIvEEtEE10hipError_tPvRmT2_T3_T4_T5_mT6_T7_P12ihipStream_tbENKUlT_T0_E_clISt17integral_constantIbLb1EES11_EEDaSW_SX_EUlSW_E_NS1_11comp_targetILNS1_3genE8ELNS1_11target_archE1030ELNS1_3gpuE2ELNS1_3repE0EEENS1_30default_config_static_selectorELNS0_4arch9wavefront6targetE0EEEvT1_,@function
_ZN7rocprim17ROCPRIM_400000_NS6detail17trampoline_kernelINS0_14default_configENS1_27scan_by_key_config_selectorIitEEZZNS1_16scan_by_key_implILNS1_25lookback_scan_determinismE0ELb0ES3_N6thrust23THRUST_200600_302600_NS6detail15normal_iteratorINS9_10device_ptrIiEEEENSB_INSC_ItEEEESG_tNS9_4plusIvEENS9_8equal_toIvEEtEE10hipError_tPvRmT2_T3_T4_T5_mT6_T7_P12ihipStream_tbENKUlT_T0_E_clISt17integral_constantIbLb1EES11_EEDaSW_SX_EUlSW_E_NS1_11comp_targetILNS1_3genE8ELNS1_11target_archE1030ELNS1_3gpuE2ELNS1_3repE0EEENS1_30default_config_static_selectorELNS0_4arch9wavefront6targetE0EEEvT1_: ; @_ZN7rocprim17ROCPRIM_400000_NS6detail17trampoline_kernelINS0_14default_configENS1_27scan_by_key_config_selectorIitEEZZNS1_16scan_by_key_implILNS1_25lookback_scan_determinismE0ELb0ES3_N6thrust23THRUST_200600_302600_NS6detail15normal_iteratorINS9_10device_ptrIiEEEENSB_INSC_ItEEEESG_tNS9_4plusIvEENS9_8equal_toIvEEtEE10hipError_tPvRmT2_T3_T4_T5_mT6_T7_P12ihipStream_tbENKUlT_T0_E_clISt17integral_constantIbLb1EES11_EEDaSW_SX_EUlSW_E_NS1_11comp_targetILNS1_3genE8ELNS1_11target_archE1030ELNS1_3gpuE2ELNS1_3repE0EEENS1_30default_config_static_selectorELNS0_4arch9wavefront6targetE0EEEvT1_
; %bb.0:
	s_endpgm
	.section	.rodata,"a",@progbits
	.p2align	6, 0x0
	.amdhsa_kernel _ZN7rocprim17ROCPRIM_400000_NS6detail17trampoline_kernelINS0_14default_configENS1_27scan_by_key_config_selectorIitEEZZNS1_16scan_by_key_implILNS1_25lookback_scan_determinismE0ELb0ES3_N6thrust23THRUST_200600_302600_NS6detail15normal_iteratorINS9_10device_ptrIiEEEENSB_INSC_ItEEEESG_tNS9_4plusIvEENS9_8equal_toIvEEtEE10hipError_tPvRmT2_T3_T4_T5_mT6_T7_P12ihipStream_tbENKUlT_T0_E_clISt17integral_constantIbLb1EES11_EEDaSW_SX_EUlSW_E_NS1_11comp_targetILNS1_3genE8ELNS1_11target_archE1030ELNS1_3gpuE2ELNS1_3repE0EEENS1_30default_config_static_selectorELNS0_4arch9wavefront6targetE0EEEvT1_
		.amdhsa_group_segment_fixed_size 0
		.amdhsa_private_segment_fixed_size 0
		.amdhsa_kernarg_size 112
		.amdhsa_user_sgpr_count 6
		.amdhsa_user_sgpr_private_segment_buffer 1
		.amdhsa_user_sgpr_dispatch_ptr 0
		.amdhsa_user_sgpr_queue_ptr 0
		.amdhsa_user_sgpr_kernarg_segment_ptr 1
		.amdhsa_user_sgpr_dispatch_id 0
		.amdhsa_user_sgpr_flat_scratch_init 0
		.amdhsa_user_sgpr_private_segment_size 0
		.amdhsa_wavefront_size32 1
		.amdhsa_uses_dynamic_stack 0
		.amdhsa_system_sgpr_private_segment_wavefront_offset 0
		.amdhsa_system_sgpr_workgroup_id_x 1
		.amdhsa_system_sgpr_workgroup_id_y 0
		.amdhsa_system_sgpr_workgroup_id_z 0
		.amdhsa_system_sgpr_workgroup_info 0
		.amdhsa_system_vgpr_workitem_id 0
		.amdhsa_next_free_vgpr 1
		.amdhsa_next_free_sgpr 1
		.amdhsa_reserve_vcc 0
		.amdhsa_reserve_flat_scratch 0
		.amdhsa_float_round_mode_32 0
		.amdhsa_float_round_mode_16_64 0
		.amdhsa_float_denorm_mode_32 3
		.amdhsa_float_denorm_mode_16_64 3
		.amdhsa_dx10_clamp 1
		.amdhsa_ieee_mode 1
		.amdhsa_fp16_overflow 0
		.amdhsa_workgroup_processor_mode 1
		.amdhsa_memory_ordered 1
		.amdhsa_forward_progress 1
		.amdhsa_shared_vgpr_count 0
		.amdhsa_exception_fp_ieee_invalid_op 0
		.amdhsa_exception_fp_denorm_src 0
		.amdhsa_exception_fp_ieee_div_zero 0
		.amdhsa_exception_fp_ieee_overflow 0
		.amdhsa_exception_fp_ieee_underflow 0
		.amdhsa_exception_fp_ieee_inexact 0
		.amdhsa_exception_int_div_zero 0
	.end_amdhsa_kernel
	.section	.text._ZN7rocprim17ROCPRIM_400000_NS6detail17trampoline_kernelINS0_14default_configENS1_27scan_by_key_config_selectorIitEEZZNS1_16scan_by_key_implILNS1_25lookback_scan_determinismE0ELb0ES3_N6thrust23THRUST_200600_302600_NS6detail15normal_iteratorINS9_10device_ptrIiEEEENSB_INSC_ItEEEESG_tNS9_4plusIvEENS9_8equal_toIvEEtEE10hipError_tPvRmT2_T3_T4_T5_mT6_T7_P12ihipStream_tbENKUlT_T0_E_clISt17integral_constantIbLb1EES11_EEDaSW_SX_EUlSW_E_NS1_11comp_targetILNS1_3genE8ELNS1_11target_archE1030ELNS1_3gpuE2ELNS1_3repE0EEENS1_30default_config_static_selectorELNS0_4arch9wavefront6targetE0EEEvT1_,"axG",@progbits,_ZN7rocprim17ROCPRIM_400000_NS6detail17trampoline_kernelINS0_14default_configENS1_27scan_by_key_config_selectorIitEEZZNS1_16scan_by_key_implILNS1_25lookback_scan_determinismE0ELb0ES3_N6thrust23THRUST_200600_302600_NS6detail15normal_iteratorINS9_10device_ptrIiEEEENSB_INSC_ItEEEESG_tNS9_4plusIvEENS9_8equal_toIvEEtEE10hipError_tPvRmT2_T3_T4_T5_mT6_T7_P12ihipStream_tbENKUlT_T0_E_clISt17integral_constantIbLb1EES11_EEDaSW_SX_EUlSW_E_NS1_11comp_targetILNS1_3genE8ELNS1_11target_archE1030ELNS1_3gpuE2ELNS1_3repE0EEENS1_30default_config_static_selectorELNS0_4arch9wavefront6targetE0EEEvT1_,comdat
.Lfunc_end1286:
	.size	_ZN7rocprim17ROCPRIM_400000_NS6detail17trampoline_kernelINS0_14default_configENS1_27scan_by_key_config_selectorIitEEZZNS1_16scan_by_key_implILNS1_25lookback_scan_determinismE0ELb0ES3_N6thrust23THRUST_200600_302600_NS6detail15normal_iteratorINS9_10device_ptrIiEEEENSB_INSC_ItEEEESG_tNS9_4plusIvEENS9_8equal_toIvEEtEE10hipError_tPvRmT2_T3_T4_T5_mT6_T7_P12ihipStream_tbENKUlT_T0_E_clISt17integral_constantIbLb1EES11_EEDaSW_SX_EUlSW_E_NS1_11comp_targetILNS1_3genE8ELNS1_11target_archE1030ELNS1_3gpuE2ELNS1_3repE0EEENS1_30default_config_static_selectorELNS0_4arch9wavefront6targetE0EEEvT1_, .Lfunc_end1286-_ZN7rocprim17ROCPRIM_400000_NS6detail17trampoline_kernelINS0_14default_configENS1_27scan_by_key_config_selectorIitEEZZNS1_16scan_by_key_implILNS1_25lookback_scan_determinismE0ELb0ES3_N6thrust23THRUST_200600_302600_NS6detail15normal_iteratorINS9_10device_ptrIiEEEENSB_INSC_ItEEEESG_tNS9_4plusIvEENS9_8equal_toIvEEtEE10hipError_tPvRmT2_T3_T4_T5_mT6_T7_P12ihipStream_tbENKUlT_T0_E_clISt17integral_constantIbLb1EES11_EEDaSW_SX_EUlSW_E_NS1_11comp_targetILNS1_3genE8ELNS1_11target_archE1030ELNS1_3gpuE2ELNS1_3repE0EEENS1_30default_config_static_selectorELNS0_4arch9wavefront6targetE0EEEvT1_
                                        ; -- End function
	.set _ZN7rocprim17ROCPRIM_400000_NS6detail17trampoline_kernelINS0_14default_configENS1_27scan_by_key_config_selectorIitEEZZNS1_16scan_by_key_implILNS1_25lookback_scan_determinismE0ELb0ES3_N6thrust23THRUST_200600_302600_NS6detail15normal_iteratorINS9_10device_ptrIiEEEENSB_INSC_ItEEEESG_tNS9_4plusIvEENS9_8equal_toIvEEtEE10hipError_tPvRmT2_T3_T4_T5_mT6_T7_P12ihipStream_tbENKUlT_T0_E_clISt17integral_constantIbLb1EES11_EEDaSW_SX_EUlSW_E_NS1_11comp_targetILNS1_3genE8ELNS1_11target_archE1030ELNS1_3gpuE2ELNS1_3repE0EEENS1_30default_config_static_selectorELNS0_4arch9wavefront6targetE0EEEvT1_.num_vgpr, 0
	.set _ZN7rocprim17ROCPRIM_400000_NS6detail17trampoline_kernelINS0_14default_configENS1_27scan_by_key_config_selectorIitEEZZNS1_16scan_by_key_implILNS1_25lookback_scan_determinismE0ELb0ES3_N6thrust23THRUST_200600_302600_NS6detail15normal_iteratorINS9_10device_ptrIiEEEENSB_INSC_ItEEEESG_tNS9_4plusIvEENS9_8equal_toIvEEtEE10hipError_tPvRmT2_T3_T4_T5_mT6_T7_P12ihipStream_tbENKUlT_T0_E_clISt17integral_constantIbLb1EES11_EEDaSW_SX_EUlSW_E_NS1_11comp_targetILNS1_3genE8ELNS1_11target_archE1030ELNS1_3gpuE2ELNS1_3repE0EEENS1_30default_config_static_selectorELNS0_4arch9wavefront6targetE0EEEvT1_.num_agpr, 0
	.set _ZN7rocprim17ROCPRIM_400000_NS6detail17trampoline_kernelINS0_14default_configENS1_27scan_by_key_config_selectorIitEEZZNS1_16scan_by_key_implILNS1_25lookback_scan_determinismE0ELb0ES3_N6thrust23THRUST_200600_302600_NS6detail15normal_iteratorINS9_10device_ptrIiEEEENSB_INSC_ItEEEESG_tNS9_4plusIvEENS9_8equal_toIvEEtEE10hipError_tPvRmT2_T3_T4_T5_mT6_T7_P12ihipStream_tbENKUlT_T0_E_clISt17integral_constantIbLb1EES11_EEDaSW_SX_EUlSW_E_NS1_11comp_targetILNS1_3genE8ELNS1_11target_archE1030ELNS1_3gpuE2ELNS1_3repE0EEENS1_30default_config_static_selectorELNS0_4arch9wavefront6targetE0EEEvT1_.numbered_sgpr, 0
	.set _ZN7rocprim17ROCPRIM_400000_NS6detail17trampoline_kernelINS0_14default_configENS1_27scan_by_key_config_selectorIitEEZZNS1_16scan_by_key_implILNS1_25lookback_scan_determinismE0ELb0ES3_N6thrust23THRUST_200600_302600_NS6detail15normal_iteratorINS9_10device_ptrIiEEEENSB_INSC_ItEEEESG_tNS9_4plusIvEENS9_8equal_toIvEEtEE10hipError_tPvRmT2_T3_T4_T5_mT6_T7_P12ihipStream_tbENKUlT_T0_E_clISt17integral_constantIbLb1EES11_EEDaSW_SX_EUlSW_E_NS1_11comp_targetILNS1_3genE8ELNS1_11target_archE1030ELNS1_3gpuE2ELNS1_3repE0EEENS1_30default_config_static_selectorELNS0_4arch9wavefront6targetE0EEEvT1_.num_named_barrier, 0
	.set _ZN7rocprim17ROCPRIM_400000_NS6detail17trampoline_kernelINS0_14default_configENS1_27scan_by_key_config_selectorIitEEZZNS1_16scan_by_key_implILNS1_25lookback_scan_determinismE0ELb0ES3_N6thrust23THRUST_200600_302600_NS6detail15normal_iteratorINS9_10device_ptrIiEEEENSB_INSC_ItEEEESG_tNS9_4plusIvEENS9_8equal_toIvEEtEE10hipError_tPvRmT2_T3_T4_T5_mT6_T7_P12ihipStream_tbENKUlT_T0_E_clISt17integral_constantIbLb1EES11_EEDaSW_SX_EUlSW_E_NS1_11comp_targetILNS1_3genE8ELNS1_11target_archE1030ELNS1_3gpuE2ELNS1_3repE0EEENS1_30default_config_static_selectorELNS0_4arch9wavefront6targetE0EEEvT1_.private_seg_size, 0
	.set _ZN7rocprim17ROCPRIM_400000_NS6detail17trampoline_kernelINS0_14default_configENS1_27scan_by_key_config_selectorIitEEZZNS1_16scan_by_key_implILNS1_25lookback_scan_determinismE0ELb0ES3_N6thrust23THRUST_200600_302600_NS6detail15normal_iteratorINS9_10device_ptrIiEEEENSB_INSC_ItEEEESG_tNS9_4plusIvEENS9_8equal_toIvEEtEE10hipError_tPvRmT2_T3_T4_T5_mT6_T7_P12ihipStream_tbENKUlT_T0_E_clISt17integral_constantIbLb1EES11_EEDaSW_SX_EUlSW_E_NS1_11comp_targetILNS1_3genE8ELNS1_11target_archE1030ELNS1_3gpuE2ELNS1_3repE0EEENS1_30default_config_static_selectorELNS0_4arch9wavefront6targetE0EEEvT1_.uses_vcc, 0
	.set _ZN7rocprim17ROCPRIM_400000_NS6detail17trampoline_kernelINS0_14default_configENS1_27scan_by_key_config_selectorIitEEZZNS1_16scan_by_key_implILNS1_25lookback_scan_determinismE0ELb0ES3_N6thrust23THRUST_200600_302600_NS6detail15normal_iteratorINS9_10device_ptrIiEEEENSB_INSC_ItEEEESG_tNS9_4plusIvEENS9_8equal_toIvEEtEE10hipError_tPvRmT2_T3_T4_T5_mT6_T7_P12ihipStream_tbENKUlT_T0_E_clISt17integral_constantIbLb1EES11_EEDaSW_SX_EUlSW_E_NS1_11comp_targetILNS1_3genE8ELNS1_11target_archE1030ELNS1_3gpuE2ELNS1_3repE0EEENS1_30default_config_static_selectorELNS0_4arch9wavefront6targetE0EEEvT1_.uses_flat_scratch, 0
	.set _ZN7rocprim17ROCPRIM_400000_NS6detail17trampoline_kernelINS0_14default_configENS1_27scan_by_key_config_selectorIitEEZZNS1_16scan_by_key_implILNS1_25lookback_scan_determinismE0ELb0ES3_N6thrust23THRUST_200600_302600_NS6detail15normal_iteratorINS9_10device_ptrIiEEEENSB_INSC_ItEEEESG_tNS9_4plusIvEENS9_8equal_toIvEEtEE10hipError_tPvRmT2_T3_T4_T5_mT6_T7_P12ihipStream_tbENKUlT_T0_E_clISt17integral_constantIbLb1EES11_EEDaSW_SX_EUlSW_E_NS1_11comp_targetILNS1_3genE8ELNS1_11target_archE1030ELNS1_3gpuE2ELNS1_3repE0EEENS1_30default_config_static_selectorELNS0_4arch9wavefront6targetE0EEEvT1_.has_dyn_sized_stack, 0
	.set _ZN7rocprim17ROCPRIM_400000_NS6detail17trampoline_kernelINS0_14default_configENS1_27scan_by_key_config_selectorIitEEZZNS1_16scan_by_key_implILNS1_25lookback_scan_determinismE0ELb0ES3_N6thrust23THRUST_200600_302600_NS6detail15normal_iteratorINS9_10device_ptrIiEEEENSB_INSC_ItEEEESG_tNS9_4plusIvEENS9_8equal_toIvEEtEE10hipError_tPvRmT2_T3_T4_T5_mT6_T7_P12ihipStream_tbENKUlT_T0_E_clISt17integral_constantIbLb1EES11_EEDaSW_SX_EUlSW_E_NS1_11comp_targetILNS1_3genE8ELNS1_11target_archE1030ELNS1_3gpuE2ELNS1_3repE0EEENS1_30default_config_static_selectorELNS0_4arch9wavefront6targetE0EEEvT1_.has_recursion, 0
	.set _ZN7rocprim17ROCPRIM_400000_NS6detail17trampoline_kernelINS0_14default_configENS1_27scan_by_key_config_selectorIitEEZZNS1_16scan_by_key_implILNS1_25lookback_scan_determinismE0ELb0ES3_N6thrust23THRUST_200600_302600_NS6detail15normal_iteratorINS9_10device_ptrIiEEEENSB_INSC_ItEEEESG_tNS9_4plusIvEENS9_8equal_toIvEEtEE10hipError_tPvRmT2_T3_T4_T5_mT6_T7_P12ihipStream_tbENKUlT_T0_E_clISt17integral_constantIbLb1EES11_EEDaSW_SX_EUlSW_E_NS1_11comp_targetILNS1_3genE8ELNS1_11target_archE1030ELNS1_3gpuE2ELNS1_3repE0EEENS1_30default_config_static_selectorELNS0_4arch9wavefront6targetE0EEEvT1_.has_indirect_call, 0
	.section	.AMDGPU.csdata,"",@progbits
; Kernel info:
; codeLenInByte = 4
; TotalNumSgprs: 0
; NumVgprs: 0
; ScratchSize: 0
; MemoryBound: 0
; FloatMode: 240
; IeeeMode: 1
; LDSByteSize: 0 bytes/workgroup (compile time only)
; SGPRBlocks: 0
; VGPRBlocks: 0
; NumSGPRsForWavesPerEU: 1
; NumVGPRsForWavesPerEU: 1
; Occupancy: 16
; WaveLimiterHint : 0
; COMPUTE_PGM_RSRC2:SCRATCH_EN: 0
; COMPUTE_PGM_RSRC2:USER_SGPR: 6
; COMPUTE_PGM_RSRC2:TRAP_HANDLER: 0
; COMPUTE_PGM_RSRC2:TGID_X_EN: 1
; COMPUTE_PGM_RSRC2:TGID_Y_EN: 0
; COMPUTE_PGM_RSRC2:TGID_Z_EN: 0
; COMPUTE_PGM_RSRC2:TIDIG_COMP_CNT: 0
	.section	.text._ZN7rocprim17ROCPRIM_400000_NS6detail30init_device_scan_by_key_kernelINS1_19lookback_scan_stateINS0_5tupleIJtbEEELb1ELb1EEEN6thrust23THRUST_200600_302600_NS6detail15normal_iteratorINS8_10device_ptrIiEEEEjNS1_16block_id_wrapperIjLb0EEEEEvT_jjPNSG_10value_typeET0_PNSt15iterator_traitsISJ_E10value_typeEmT1_T2_,"axG",@progbits,_ZN7rocprim17ROCPRIM_400000_NS6detail30init_device_scan_by_key_kernelINS1_19lookback_scan_stateINS0_5tupleIJtbEEELb1ELb1EEEN6thrust23THRUST_200600_302600_NS6detail15normal_iteratorINS8_10device_ptrIiEEEEjNS1_16block_id_wrapperIjLb0EEEEEvT_jjPNSG_10value_typeET0_PNSt15iterator_traitsISJ_E10value_typeEmT1_T2_,comdat
	.protected	_ZN7rocprim17ROCPRIM_400000_NS6detail30init_device_scan_by_key_kernelINS1_19lookback_scan_stateINS0_5tupleIJtbEEELb1ELb1EEEN6thrust23THRUST_200600_302600_NS6detail15normal_iteratorINS8_10device_ptrIiEEEEjNS1_16block_id_wrapperIjLb0EEEEEvT_jjPNSG_10value_typeET0_PNSt15iterator_traitsISJ_E10value_typeEmT1_T2_ ; -- Begin function _ZN7rocprim17ROCPRIM_400000_NS6detail30init_device_scan_by_key_kernelINS1_19lookback_scan_stateINS0_5tupleIJtbEEELb1ELb1EEEN6thrust23THRUST_200600_302600_NS6detail15normal_iteratorINS8_10device_ptrIiEEEEjNS1_16block_id_wrapperIjLb0EEEEEvT_jjPNSG_10value_typeET0_PNSt15iterator_traitsISJ_E10value_typeEmT1_T2_
	.globl	_ZN7rocprim17ROCPRIM_400000_NS6detail30init_device_scan_by_key_kernelINS1_19lookback_scan_stateINS0_5tupleIJtbEEELb1ELb1EEEN6thrust23THRUST_200600_302600_NS6detail15normal_iteratorINS8_10device_ptrIiEEEEjNS1_16block_id_wrapperIjLb0EEEEEvT_jjPNSG_10value_typeET0_PNSt15iterator_traitsISJ_E10value_typeEmT1_T2_
	.p2align	8
	.type	_ZN7rocprim17ROCPRIM_400000_NS6detail30init_device_scan_by_key_kernelINS1_19lookback_scan_stateINS0_5tupleIJtbEEELb1ELb1EEEN6thrust23THRUST_200600_302600_NS6detail15normal_iteratorINS8_10device_ptrIiEEEEjNS1_16block_id_wrapperIjLb0EEEEEvT_jjPNSG_10value_typeET0_PNSt15iterator_traitsISJ_E10value_typeEmT1_T2_,@function
_ZN7rocprim17ROCPRIM_400000_NS6detail30init_device_scan_by_key_kernelINS1_19lookback_scan_stateINS0_5tupleIJtbEEELb1ELb1EEEN6thrust23THRUST_200600_302600_NS6detail15normal_iteratorINS8_10device_ptrIiEEEEjNS1_16block_id_wrapperIjLb0EEEEEvT_jjPNSG_10value_typeET0_PNSt15iterator_traitsISJ_E10value_typeEmT1_T2_: ; @_ZN7rocprim17ROCPRIM_400000_NS6detail30init_device_scan_by_key_kernelINS1_19lookback_scan_stateINS0_5tupleIJtbEEELb1ELb1EEEN6thrust23THRUST_200600_302600_NS6detail15normal_iteratorINS8_10device_ptrIiEEEEjNS1_16block_id_wrapperIjLb0EEEEEvT_jjPNSG_10value_typeET0_PNSt15iterator_traitsISJ_E10value_typeEmT1_T2_
; %bb.0:
	s_clause 0x2
	s_load_dword s0, s[4:5], 0x44
	s_load_dwordx8 s[8:15], s[4:5], 0x0
	s_load_dword s7, s[4:5], 0x38
	s_waitcnt lgkmcnt(0)
	s_and_b32 s16, s0, 0xffff
	s_cmp_eq_u64 s[12:13], 0
	v_mad_u64_u32 v[0:1], null, s6, s16, v[0:1]
	s_cbranch_scc1 .LBB1287_9
; %bb.1:
	s_cmp_lt_u32 s11, s10
	s_mov_b32 s1, 0
	s_cselect_b32 s0, s11, 0
	s_mov_b32 s2, exec_lo
	v_cmpx_eq_u32_e64 s0, v0
	s_cbranch_execz .LBB1287_8
; %bb.2:
	s_add_i32 s0, s11, 32
	v_mov_b32_e32 v1, 0
	s_lshl_b64 s[0:1], s[0:1], 3
	s_add_u32 s0, s8, s0
	s_addc_u32 s1, s9, s1
	global_load_dwordx2 v[3:4], v1, s[0:1] glc dlc
	s_waitcnt vmcnt(0)
	v_and_b32_e32 v2, 0xff, v4
	v_cmp_ne_u64_e32 vcc_lo, 0, v[1:2]
	s_cbranch_vccnz .LBB1287_7
; %bb.3:
	s_mov_b32 s3, 1
.LBB1287_4:                             ; =>This Loop Header: Depth=1
                                        ;     Child Loop BB1287_5 Depth 2
	s_mov_b32 s6, s3
.LBB1287_5:                             ;   Parent Loop BB1287_4 Depth=1
                                        ; =>  This Inner Loop Header: Depth=2
	s_add_i32 s6, s6, -1
	s_sleep 1
	s_cmp_eq_u32 s6, 0
	s_cbranch_scc0 .LBB1287_5
; %bb.6:                                ;   in Loop: Header=BB1287_4 Depth=1
	global_load_dwordx2 v[3:4], v1, s[0:1] glc dlc
	s_cmp_lt_u32 s3, 32
	s_cselect_b32 s6, -1, 0
	s_cmp_lg_u32 s6, 0
	s_addc_u32 s3, s3, 0
	s_waitcnt vmcnt(0)
	v_and_b32_e32 v2, 0xff, v4
	v_cmp_ne_u64_e32 vcc_lo, 0, v[1:2]
	s_cbranch_vccz .LBB1287_4
.LBB1287_7:
	v_mov_b32_e32 v1, 0
	global_store_short v1, v3, s[12:13]
	global_store_byte_d16_hi v1, v3, s[12:13] offset:2
.LBB1287_8:
	s_or_b32 exec_lo, exec_lo, s2
.LBB1287_9:
	s_mov_b32 s0, exec_lo
	v_cmpx_gt_u32_e64 s10, v0
	s_cbranch_execz .LBB1287_11
; %bb.10:
	v_add_nc_u32_e32 v1, 32, v0
	v_mov_b32_e32 v2, 0
	v_lshlrev_b64 v[3:4], 3, v[1:2]
	v_mov_b32_e32 v1, v2
	v_add_co_u32 v3, vcc_lo, s8, v3
	v_add_co_ci_u32_e64 v4, null, s9, v4, vcc_lo
	global_store_dwordx2 v[3:4], v[1:2], off
.LBB1287_11:
	s_or_b32 exec_lo, exec_lo, s0
	v_mov_b32_e32 v1, 0
	s_mov_b32 s0, exec_lo
	v_cmpx_gt_u32_e32 32, v0
	s_cbranch_execz .LBB1287_13
; %bb.12:
	v_lshlrev_b64 v[2:3], 3, v[0:1]
	v_mov_b32_e32 v4, 0xff
	v_add_co_u32 v5, vcc_lo, s8, v2
	v_add_co_ci_u32_e64 v6, null, s9, v3, vcc_lo
	v_mov_b32_e32 v3, v1
	global_store_dwordx2 v[5:6], v[3:4], off
.LBB1287_13:
	s_or_b32 exec_lo, exec_lo, s0
	s_load_dwordx2 s[2:3], s[4:5], 0x28
	s_mov_b32 s0, exec_lo
	s_waitcnt lgkmcnt(0)
	v_cmpx_gt_u64_e64 s[2:3], v[0:1]
	s_cbranch_execz .LBB1287_16
; %bb.14:
	s_clause 0x1
	s_load_dword s6, s[4:5], 0x30
	s_load_dwordx2 s[8:9], s[4:5], 0x20
	s_mov_b32 s1, 0
	v_lshlrev_b64 v[4:5], 2, v[0:1]
	s_mul_i32 s4, s7, s16
	s_waitcnt lgkmcnt(0)
	v_mad_u64_u32 v[2:3], null, s6, v0, 0
	s_add_i32 s0, s6, -1
	s_mul_hi_u32 s7, s6, s4
	s_lshl_b64 s[10:11], s[0:1], 2
	s_mul_i32 s6, s6, s4
	s_add_u32 s0, s14, s10
	s_addc_u32 s5, s15, s11
	v_lshlrev_b64 v[2:3], 2, v[2:3]
	s_lshl_b64 s[6:7], s[6:7], 2
	v_add_co_u32 v2, vcc_lo, s0, v2
	v_add_co_ci_u32_e64 v3, null, s5, v3, vcc_lo
	v_add_co_u32 v4, vcc_lo, s8, v4
	v_add_co_ci_u32_e64 v5, null, s9, v5, vcc_lo
	s_mov_b32 s5, s1
	s_lshl_b64 s[8:9], s[4:5], 2
	.p2align	6
.LBB1287_15:                            ; =>This Inner Loop Header: Depth=1
	global_load_dword v6, v[2:3], off
	v_add_co_u32 v0, vcc_lo, v0, s4
	v_add_co_ci_u32_e64 v1, null, 0, v1, vcc_lo
	v_add_co_u32 v2, vcc_lo, v2, s6
	v_add_co_ci_u32_e64 v3, null, s7, v3, vcc_lo
	v_cmp_le_u64_e32 vcc_lo, s[2:3], v[0:1]
	s_or_b32 s1, vcc_lo, s1
	s_waitcnt vmcnt(0)
	global_store_dword v[4:5], v6, off
	v_add_co_u32 v4, s0, v4, s8
	v_add_co_ci_u32_e64 v5, null, s9, v5, s0
	s_andn2_b32 exec_lo, exec_lo, s1
	s_cbranch_execnz .LBB1287_15
.LBB1287_16:
	s_endpgm
	.section	.rodata,"a",@progbits
	.p2align	6, 0x0
	.amdhsa_kernel _ZN7rocprim17ROCPRIM_400000_NS6detail30init_device_scan_by_key_kernelINS1_19lookback_scan_stateINS0_5tupleIJtbEEELb1ELb1EEEN6thrust23THRUST_200600_302600_NS6detail15normal_iteratorINS8_10device_ptrIiEEEEjNS1_16block_id_wrapperIjLb0EEEEEvT_jjPNSG_10value_typeET0_PNSt15iterator_traitsISJ_E10value_typeEmT1_T2_
		.amdhsa_group_segment_fixed_size 0
		.amdhsa_private_segment_fixed_size 0
		.amdhsa_kernarg_size 312
		.amdhsa_user_sgpr_count 6
		.amdhsa_user_sgpr_private_segment_buffer 1
		.amdhsa_user_sgpr_dispatch_ptr 0
		.amdhsa_user_sgpr_queue_ptr 0
		.amdhsa_user_sgpr_kernarg_segment_ptr 1
		.amdhsa_user_sgpr_dispatch_id 0
		.amdhsa_user_sgpr_flat_scratch_init 0
		.amdhsa_user_sgpr_private_segment_size 0
		.amdhsa_wavefront_size32 1
		.amdhsa_uses_dynamic_stack 0
		.amdhsa_system_sgpr_private_segment_wavefront_offset 0
		.amdhsa_system_sgpr_workgroup_id_x 1
		.amdhsa_system_sgpr_workgroup_id_y 0
		.amdhsa_system_sgpr_workgroup_id_z 0
		.amdhsa_system_sgpr_workgroup_info 0
		.amdhsa_system_vgpr_workitem_id 0
		.amdhsa_next_free_vgpr 7
		.amdhsa_next_free_sgpr 17
		.amdhsa_reserve_vcc 1
		.amdhsa_reserve_flat_scratch 0
		.amdhsa_float_round_mode_32 0
		.amdhsa_float_round_mode_16_64 0
		.amdhsa_float_denorm_mode_32 3
		.amdhsa_float_denorm_mode_16_64 3
		.amdhsa_dx10_clamp 1
		.amdhsa_ieee_mode 1
		.amdhsa_fp16_overflow 0
		.amdhsa_workgroup_processor_mode 1
		.amdhsa_memory_ordered 1
		.amdhsa_forward_progress 1
		.amdhsa_shared_vgpr_count 0
		.amdhsa_exception_fp_ieee_invalid_op 0
		.amdhsa_exception_fp_denorm_src 0
		.amdhsa_exception_fp_ieee_div_zero 0
		.amdhsa_exception_fp_ieee_overflow 0
		.amdhsa_exception_fp_ieee_underflow 0
		.amdhsa_exception_fp_ieee_inexact 0
		.amdhsa_exception_int_div_zero 0
	.end_amdhsa_kernel
	.section	.text._ZN7rocprim17ROCPRIM_400000_NS6detail30init_device_scan_by_key_kernelINS1_19lookback_scan_stateINS0_5tupleIJtbEEELb1ELb1EEEN6thrust23THRUST_200600_302600_NS6detail15normal_iteratorINS8_10device_ptrIiEEEEjNS1_16block_id_wrapperIjLb0EEEEEvT_jjPNSG_10value_typeET0_PNSt15iterator_traitsISJ_E10value_typeEmT1_T2_,"axG",@progbits,_ZN7rocprim17ROCPRIM_400000_NS6detail30init_device_scan_by_key_kernelINS1_19lookback_scan_stateINS0_5tupleIJtbEEELb1ELb1EEEN6thrust23THRUST_200600_302600_NS6detail15normal_iteratorINS8_10device_ptrIiEEEEjNS1_16block_id_wrapperIjLb0EEEEEvT_jjPNSG_10value_typeET0_PNSt15iterator_traitsISJ_E10value_typeEmT1_T2_,comdat
.Lfunc_end1287:
	.size	_ZN7rocprim17ROCPRIM_400000_NS6detail30init_device_scan_by_key_kernelINS1_19lookback_scan_stateINS0_5tupleIJtbEEELb1ELb1EEEN6thrust23THRUST_200600_302600_NS6detail15normal_iteratorINS8_10device_ptrIiEEEEjNS1_16block_id_wrapperIjLb0EEEEEvT_jjPNSG_10value_typeET0_PNSt15iterator_traitsISJ_E10value_typeEmT1_T2_, .Lfunc_end1287-_ZN7rocprim17ROCPRIM_400000_NS6detail30init_device_scan_by_key_kernelINS1_19lookback_scan_stateINS0_5tupleIJtbEEELb1ELb1EEEN6thrust23THRUST_200600_302600_NS6detail15normal_iteratorINS8_10device_ptrIiEEEEjNS1_16block_id_wrapperIjLb0EEEEEvT_jjPNSG_10value_typeET0_PNSt15iterator_traitsISJ_E10value_typeEmT1_T2_
                                        ; -- End function
	.set _ZN7rocprim17ROCPRIM_400000_NS6detail30init_device_scan_by_key_kernelINS1_19lookback_scan_stateINS0_5tupleIJtbEEELb1ELb1EEEN6thrust23THRUST_200600_302600_NS6detail15normal_iteratorINS8_10device_ptrIiEEEEjNS1_16block_id_wrapperIjLb0EEEEEvT_jjPNSG_10value_typeET0_PNSt15iterator_traitsISJ_E10value_typeEmT1_T2_.num_vgpr, 7
	.set _ZN7rocprim17ROCPRIM_400000_NS6detail30init_device_scan_by_key_kernelINS1_19lookback_scan_stateINS0_5tupleIJtbEEELb1ELb1EEEN6thrust23THRUST_200600_302600_NS6detail15normal_iteratorINS8_10device_ptrIiEEEEjNS1_16block_id_wrapperIjLb0EEEEEvT_jjPNSG_10value_typeET0_PNSt15iterator_traitsISJ_E10value_typeEmT1_T2_.num_agpr, 0
	.set _ZN7rocprim17ROCPRIM_400000_NS6detail30init_device_scan_by_key_kernelINS1_19lookback_scan_stateINS0_5tupleIJtbEEELb1ELb1EEEN6thrust23THRUST_200600_302600_NS6detail15normal_iteratorINS8_10device_ptrIiEEEEjNS1_16block_id_wrapperIjLb0EEEEEvT_jjPNSG_10value_typeET0_PNSt15iterator_traitsISJ_E10value_typeEmT1_T2_.numbered_sgpr, 17
	.set _ZN7rocprim17ROCPRIM_400000_NS6detail30init_device_scan_by_key_kernelINS1_19lookback_scan_stateINS0_5tupleIJtbEEELb1ELb1EEEN6thrust23THRUST_200600_302600_NS6detail15normal_iteratorINS8_10device_ptrIiEEEEjNS1_16block_id_wrapperIjLb0EEEEEvT_jjPNSG_10value_typeET0_PNSt15iterator_traitsISJ_E10value_typeEmT1_T2_.num_named_barrier, 0
	.set _ZN7rocprim17ROCPRIM_400000_NS6detail30init_device_scan_by_key_kernelINS1_19lookback_scan_stateINS0_5tupleIJtbEEELb1ELb1EEEN6thrust23THRUST_200600_302600_NS6detail15normal_iteratorINS8_10device_ptrIiEEEEjNS1_16block_id_wrapperIjLb0EEEEEvT_jjPNSG_10value_typeET0_PNSt15iterator_traitsISJ_E10value_typeEmT1_T2_.private_seg_size, 0
	.set _ZN7rocprim17ROCPRIM_400000_NS6detail30init_device_scan_by_key_kernelINS1_19lookback_scan_stateINS0_5tupleIJtbEEELb1ELb1EEEN6thrust23THRUST_200600_302600_NS6detail15normal_iteratorINS8_10device_ptrIiEEEEjNS1_16block_id_wrapperIjLb0EEEEEvT_jjPNSG_10value_typeET0_PNSt15iterator_traitsISJ_E10value_typeEmT1_T2_.uses_vcc, 1
	.set _ZN7rocprim17ROCPRIM_400000_NS6detail30init_device_scan_by_key_kernelINS1_19lookback_scan_stateINS0_5tupleIJtbEEELb1ELb1EEEN6thrust23THRUST_200600_302600_NS6detail15normal_iteratorINS8_10device_ptrIiEEEEjNS1_16block_id_wrapperIjLb0EEEEEvT_jjPNSG_10value_typeET0_PNSt15iterator_traitsISJ_E10value_typeEmT1_T2_.uses_flat_scratch, 0
	.set _ZN7rocprim17ROCPRIM_400000_NS6detail30init_device_scan_by_key_kernelINS1_19lookback_scan_stateINS0_5tupleIJtbEEELb1ELb1EEEN6thrust23THRUST_200600_302600_NS6detail15normal_iteratorINS8_10device_ptrIiEEEEjNS1_16block_id_wrapperIjLb0EEEEEvT_jjPNSG_10value_typeET0_PNSt15iterator_traitsISJ_E10value_typeEmT1_T2_.has_dyn_sized_stack, 0
	.set _ZN7rocprim17ROCPRIM_400000_NS6detail30init_device_scan_by_key_kernelINS1_19lookback_scan_stateINS0_5tupleIJtbEEELb1ELb1EEEN6thrust23THRUST_200600_302600_NS6detail15normal_iteratorINS8_10device_ptrIiEEEEjNS1_16block_id_wrapperIjLb0EEEEEvT_jjPNSG_10value_typeET0_PNSt15iterator_traitsISJ_E10value_typeEmT1_T2_.has_recursion, 0
	.set _ZN7rocprim17ROCPRIM_400000_NS6detail30init_device_scan_by_key_kernelINS1_19lookback_scan_stateINS0_5tupleIJtbEEELb1ELb1EEEN6thrust23THRUST_200600_302600_NS6detail15normal_iteratorINS8_10device_ptrIiEEEEjNS1_16block_id_wrapperIjLb0EEEEEvT_jjPNSG_10value_typeET0_PNSt15iterator_traitsISJ_E10value_typeEmT1_T2_.has_indirect_call, 0
	.section	.AMDGPU.csdata,"",@progbits
; Kernel info:
; codeLenInByte = 600
; TotalNumSgprs: 19
; NumVgprs: 7
; ScratchSize: 0
; MemoryBound: 0
; FloatMode: 240
; IeeeMode: 1
; LDSByteSize: 0 bytes/workgroup (compile time only)
; SGPRBlocks: 0
; VGPRBlocks: 0
; NumSGPRsForWavesPerEU: 19
; NumVGPRsForWavesPerEU: 7
; Occupancy: 16
; WaveLimiterHint : 0
; COMPUTE_PGM_RSRC2:SCRATCH_EN: 0
; COMPUTE_PGM_RSRC2:USER_SGPR: 6
; COMPUTE_PGM_RSRC2:TRAP_HANDLER: 0
; COMPUTE_PGM_RSRC2:TGID_X_EN: 1
; COMPUTE_PGM_RSRC2:TGID_Y_EN: 0
; COMPUTE_PGM_RSRC2:TGID_Z_EN: 0
; COMPUTE_PGM_RSRC2:TIDIG_COMP_CNT: 0
	.section	.text._ZN7rocprim17ROCPRIM_400000_NS6detail30init_device_scan_by_key_kernelINS1_19lookback_scan_stateINS0_5tupleIJtbEEELb1ELb1EEENS1_16block_id_wrapperIjLb0EEEEEvT_jjPNS9_10value_typeET0_,"axG",@progbits,_ZN7rocprim17ROCPRIM_400000_NS6detail30init_device_scan_by_key_kernelINS1_19lookback_scan_stateINS0_5tupleIJtbEEELb1ELb1EEENS1_16block_id_wrapperIjLb0EEEEEvT_jjPNS9_10value_typeET0_,comdat
	.protected	_ZN7rocprim17ROCPRIM_400000_NS6detail30init_device_scan_by_key_kernelINS1_19lookback_scan_stateINS0_5tupleIJtbEEELb1ELb1EEENS1_16block_id_wrapperIjLb0EEEEEvT_jjPNS9_10value_typeET0_ ; -- Begin function _ZN7rocprim17ROCPRIM_400000_NS6detail30init_device_scan_by_key_kernelINS1_19lookback_scan_stateINS0_5tupleIJtbEEELb1ELb1EEENS1_16block_id_wrapperIjLb0EEEEEvT_jjPNS9_10value_typeET0_
	.globl	_ZN7rocprim17ROCPRIM_400000_NS6detail30init_device_scan_by_key_kernelINS1_19lookback_scan_stateINS0_5tupleIJtbEEELb1ELb1EEENS1_16block_id_wrapperIjLb0EEEEEvT_jjPNS9_10value_typeET0_
	.p2align	8
	.type	_ZN7rocprim17ROCPRIM_400000_NS6detail30init_device_scan_by_key_kernelINS1_19lookback_scan_stateINS0_5tupleIJtbEEELb1ELb1EEENS1_16block_id_wrapperIjLb0EEEEEvT_jjPNS9_10value_typeET0_,@function
_ZN7rocprim17ROCPRIM_400000_NS6detail30init_device_scan_by_key_kernelINS1_19lookback_scan_stateINS0_5tupleIJtbEEELb1ELb1EEENS1_16block_id_wrapperIjLb0EEEEEvT_jjPNS9_10value_typeET0_: ; @_ZN7rocprim17ROCPRIM_400000_NS6detail30init_device_scan_by_key_kernelINS1_19lookback_scan_stateINS0_5tupleIJtbEEELb1ELb1EEENS1_16block_id_wrapperIjLb0EEEEEvT_jjPNS9_10value_typeET0_
; %bb.0:
	s_clause 0x2
	s_load_dword s7, s[4:5], 0x2c
	s_load_dwordx2 s[8:9], s[4:5], 0x10
	s_load_dwordx4 s[0:3], s[4:5], 0x0
	s_waitcnt lgkmcnt(0)
	s_and_b32 s4, s7, 0xffff
	s_cmp_eq_u64 s[8:9], 0
	v_mad_u64_u32 v[0:1], null, s6, s4, v[0:1]
	s_cbranch_scc1 .LBB1288_9
; %bb.1:
	s_cmp_lt_u32 s3, s2
	s_mov_b32 s5, 0
	s_cselect_b32 s4, s3, 0
	s_mov_b32 s6, exec_lo
	v_cmpx_eq_u32_e64 s4, v0
	s_cbranch_execz .LBB1288_8
; %bb.2:
	s_add_i32 s4, s3, 32
	v_mov_b32_e32 v1, 0
	s_lshl_b64 s[4:5], s[4:5], 3
	s_add_u32 s4, s0, s4
	s_addc_u32 s5, s1, s5
	global_load_dwordx2 v[3:4], v1, s[4:5] glc dlc
	s_waitcnt vmcnt(0)
	v_and_b32_e32 v2, 0xff, v4
	v_cmp_ne_u64_e32 vcc_lo, 0, v[1:2]
	s_cbranch_vccnz .LBB1288_7
; %bb.3:
	s_mov_b32 s3, 1
.LBB1288_4:                             ; =>This Loop Header: Depth=1
                                        ;     Child Loop BB1288_5 Depth 2
	s_mov_b32 s7, s3
.LBB1288_5:                             ;   Parent Loop BB1288_4 Depth=1
                                        ; =>  This Inner Loop Header: Depth=2
	s_add_i32 s7, s7, -1
	s_sleep 1
	s_cmp_eq_u32 s7, 0
	s_cbranch_scc0 .LBB1288_5
; %bb.6:                                ;   in Loop: Header=BB1288_4 Depth=1
	global_load_dwordx2 v[3:4], v1, s[4:5] glc dlc
	s_cmp_lt_u32 s3, 32
	s_cselect_b32 s7, -1, 0
	s_cmp_lg_u32 s7, 0
	s_addc_u32 s3, s3, 0
	s_waitcnt vmcnt(0)
	v_and_b32_e32 v2, 0xff, v4
	v_cmp_ne_u64_e32 vcc_lo, 0, v[1:2]
	s_cbranch_vccz .LBB1288_4
.LBB1288_7:
	v_mov_b32_e32 v1, 0
	global_store_short v1, v3, s[8:9]
	global_store_byte_d16_hi v1, v3, s[8:9] offset:2
.LBB1288_8:
	s_or_b32 exec_lo, exec_lo, s6
.LBB1288_9:
	v_cmp_gt_u32_e32 vcc_lo, s2, v0
	s_and_saveexec_b32 s2, vcc_lo
	s_cbranch_execz .LBB1288_11
; %bb.10:
	v_add_nc_u32_e32 v1, 32, v0
	v_mov_b32_e32 v2, 0
	v_lshlrev_b64 v[3:4], 3, v[1:2]
	v_mov_b32_e32 v1, v2
	v_add_co_u32 v3, vcc_lo, s0, v3
	v_add_co_ci_u32_e64 v4, null, s1, v4, vcc_lo
	global_store_dwordx2 v[3:4], v[1:2], off
.LBB1288_11:
	s_or_b32 exec_lo, exec_lo, s2
	s_mov_b32 s2, exec_lo
	v_cmpx_gt_u32_e32 32, v0
	s_cbranch_execz .LBB1288_13
; %bb.12:
	v_mov_b32_e32 v1, 0
	v_mov_b32_e32 v4, 0xff
	v_lshlrev_b64 v[2:3], 3, v[0:1]
	v_add_co_u32 v5, vcc_lo, s0, v2
	v_add_co_ci_u32_e64 v6, null, s1, v3, vcc_lo
	v_mov_b32_e32 v3, v1
	global_store_dwordx2 v[5:6], v[3:4], off
.LBB1288_13:
	s_endpgm
	.section	.rodata,"a",@progbits
	.p2align	6, 0x0
	.amdhsa_kernel _ZN7rocprim17ROCPRIM_400000_NS6detail30init_device_scan_by_key_kernelINS1_19lookback_scan_stateINS0_5tupleIJtbEEELb1ELb1EEENS1_16block_id_wrapperIjLb0EEEEEvT_jjPNS9_10value_typeET0_
		.amdhsa_group_segment_fixed_size 0
		.amdhsa_private_segment_fixed_size 0
		.amdhsa_kernarg_size 288
		.amdhsa_user_sgpr_count 6
		.amdhsa_user_sgpr_private_segment_buffer 1
		.amdhsa_user_sgpr_dispatch_ptr 0
		.amdhsa_user_sgpr_queue_ptr 0
		.amdhsa_user_sgpr_kernarg_segment_ptr 1
		.amdhsa_user_sgpr_dispatch_id 0
		.amdhsa_user_sgpr_flat_scratch_init 0
		.amdhsa_user_sgpr_private_segment_size 0
		.amdhsa_wavefront_size32 1
		.amdhsa_uses_dynamic_stack 0
		.amdhsa_system_sgpr_private_segment_wavefront_offset 0
		.amdhsa_system_sgpr_workgroup_id_x 1
		.amdhsa_system_sgpr_workgroup_id_y 0
		.amdhsa_system_sgpr_workgroup_id_z 0
		.amdhsa_system_sgpr_workgroup_info 0
		.amdhsa_system_vgpr_workitem_id 0
		.amdhsa_next_free_vgpr 7
		.amdhsa_next_free_sgpr 10
		.amdhsa_reserve_vcc 1
		.amdhsa_reserve_flat_scratch 0
		.amdhsa_float_round_mode_32 0
		.amdhsa_float_round_mode_16_64 0
		.amdhsa_float_denorm_mode_32 3
		.amdhsa_float_denorm_mode_16_64 3
		.amdhsa_dx10_clamp 1
		.amdhsa_ieee_mode 1
		.amdhsa_fp16_overflow 0
		.amdhsa_workgroup_processor_mode 1
		.amdhsa_memory_ordered 1
		.amdhsa_forward_progress 1
		.amdhsa_shared_vgpr_count 0
		.amdhsa_exception_fp_ieee_invalid_op 0
		.amdhsa_exception_fp_denorm_src 0
		.amdhsa_exception_fp_ieee_div_zero 0
		.amdhsa_exception_fp_ieee_overflow 0
		.amdhsa_exception_fp_ieee_underflow 0
		.amdhsa_exception_fp_ieee_inexact 0
		.amdhsa_exception_int_div_zero 0
	.end_amdhsa_kernel
	.section	.text._ZN7rocprim17ROCPRIM_400000_NS6detail30init_device_scan_by_key_kernelINS1_19lookback_scan_stateINS0_5tupleIJtbEEELb1ELb1EEENS1_16block_id_wrapperIjLb0EEEEEvT_jjPNS9_10value_typeET0_,"axG",@progbits,_ZN7rocprim17ROCPRIM_400000_NS6detail30init_device_scan_by_key_kernelINS1_19lookback_scan_stateINS0_5tupleIJtbEEELb1ELb1EEENS1_16block_id_wrapperIjLb0EEEEEvT_jjPNS9_10value_typeET0_,comdat
.Lfunc_end1288:
	.size	_ZN7rocprim17ROCPRIM_400000_NS6detail30init_device_scan_by_key_kernelINS1_19lookback_scan_stateINS0_5tupleIJtbEEELb1ELb1EEENS1_16block_id_wrapperIjLb0EEEEEvT_jjPNS9_10value_typeET0_, .Lfunc_end1288-_ZN7rocprim17ROCPRIM_400000_NS6detail30init_device_scan_by_key_kernelINS1_19lookback_scan_stateINS0_5tupleIJtbEEELb1ELb1EEENS1_16block_id_wrapperIjLb0EEEEEvT_jjPNS9_10value_typeET0_
                                        ; -- End function
	.set _ZN7rocprim17ROCPRIM_400000_NS6detail30init_device_scan_by_key_kernelINS1_19lookback_scan_stateINS0_5tupleIJtbEEELb1ELb1EEENS1_16block_id_wrapperIjLb0EEEEEvT_jjPNS9_10value_typeET0_.num_vgpr, 7
	.set _ZN7rocprim17ROCPRIM_400000_NS6detail30init_device_scan_by_key_kernelINS1_19lookback_scan_stateINS0_5tupleIJtbEEELb1ELb1EEENS1_16block_id_wrapperIjLb0EEEEEvT_jjPNS9_10value_typeET0_.num_agpr, 0
	.set _ZN7rocprim17ROCPRIM_400000_NS6detail30init_device_scan_by_key_kernelINS1_19lookback_scan_stateINS0_5tupleIJtbEEELb1ELb1EEENS1_16block_id_wrapperIjLb0EEEEEvT_jjPNS9_10value_typeET0_.numbered_sgpr, 10
	.set _ZN7rocprim17ROCPRIM_400000_NS6detail30init_device_scan_by_key_kernelINS1_19lookback_scan_stateINS0_5tupleIJtbEEELb1ELb1EEENS1_16block_id_wrapperIjLb0EEEEEvT_jjPNS9_10value_typeET0_.num_named_barrier, 0
	.set _ZN7rocprim17ROCPRIM_400000_NS6detail30init_device_scan_by_key_kernelINS1_19lookback_scan_stateINS0_5tupleIJtbEEELb1ELb1EEENS1_16block_id_wrapperIjLb0EEEEEvT_jjPNS9_10value_typeET0_.private_seg_size, 0
	.set _ZN7rocprim17ROCPRIM_400000_NS6detail30init_device_scan_by_key_kernelINS1_19lookback_scan_stateINS0_5tupleIJtbEEELb1ELb1EEENS1_16block_id_wrapperIjLb0EEEEEvT_jjPNS9_10value_typeET0_.uses_vcc, 1
	.set _ZN7rocprim17ROCPRIM_400000_NS6detail30init_device_scan_by_key_kernelINS1_19lookback_scan_stateINS0_5tupleIJtbEEELb1ELb1EEENS1_16block_id_wrapperIjLb0EEEEEvT_jjPNS9_10value_typeET0_.uses_flat_scratch, 0
	.set _ZN7rocprim17ROCPRIM_400000_NS6detail30init_device_scan_by_key_kernelINS1_19lookback_scan_stateINS0_5tupleIJtbEEELb1ELb1EEENS1_16block_id_wrapperIjLb0EEEEEvT_jjPNS9_10value_typeET0_.has_dyn_sized_stack, 0
	.set _ZN7rocprim17ROCPRIM_400000_NS6detail30init_device_scan_by_key_kernelINS1_19lookback_scan_stateINS0_5tupleIJtbEEELb1ELb1EEENS1_16block_id_wrapperIjLb0EEEEEvT_jjPNS9_10value_typeET0_.has_recursion, 0
	.set _ZN7rocprim17ROCPRIM_400000_NS6detail30init_device_scan_by_key_kernelINS1_19lookback_scan_stateINS0_5tupleIJtbEEELb1ELb1EEENS1_16block_id_wrapperIjLb0EEEEEvT_jjPNS9_10value_typeET0_.has_indirect_call, 0
	.section	.AMDGPU.csdata,"",@progbits
; Kernel info:
; codeLenInByte = 348
; TotalNumSgprs: 12
; NumVgprs: 7
; ScratchSize: 0
; MemoryBound: 0
; FloatMode: 240
; IeeeMode: 1
; LDSByteSize: 0 bytes/workgroup (compile time only)
; SGPRBlocks: 0
; VGPRBlocks: 0
; NumSGPRsForWavesPerEU: 12
; NumVGPRsForWavesPerEU: 7
; Occupancy: 16
; WaveLimiterHint : 0
; COMPUTE_PGM_RSRC2:SCRATCH_EN: 0
; COMPUTE_PGM_RSRC2:USER_SGPR: 6
; COMPUTE_PGM_RSRC2:TRAP_HANDLER: 0
; COMPUTE_PGM_RSRC2:TGID_X_EN: 1
; COMPUTE_PGM_RSRC2:TGID_Y_EN: 0
; COMPUTE_PGM_RSRC2:TGID_Z_EN: 0
; COMPUTE_PGM_RSRC2:TIDIG_COMP_CNT: 0
	.section	.text._ZN7rocprim17ROCPRIM_400000_NS6detail17trampoline_kernelINS0_14default_configENS1_27scan_by_key_config_selectorIitEEZZNS1_16scan_by_key_implILNS1_25lookback_scan_determinismE0ELb0ES3_N6thrust23THRUST_200600_302600_NS6detail15normal_iteratorINS9_10device_ptrIiEEEENSB_INSC_ItEEEESG_tNS9_4plusIvEENS9_8equal_toIvEEtEE10hipError_tPvRmT2_T3_T4_T5_mT6_T7_P12ihipStream_tbENKUlT_T0_E_clISt17integral_constantIbLb1EES10_IbLb0EEEEDaSW_SX_EUlSW_E_NS1_11comp_targetILNS1_3genE0ELNS1_11target_archE4294967295ELNS1_3gpuE0ELNS1_3repE0EEENS1_30default_config_static_selectorELNS0_4arch9wavefront6targetE0EEEvT1_,"axG",@progbits,_ZN7rocprim17ROCPRIM_400000_NS6detail17trampoline_kernelINS0_14default_configENS1_27scan_by_key_config_selectorIitEEZZNS1_16scan_by_key_implILNS1_25lookback_scan_determinismE0ELb0ES3_N6thrust23THRUST_200600_302600_NS6detail15normal_iteratorINS9_10device_ptrIiEEEENSB_INSC_ItEEEESG_tNS9_4plusIvEENS9_8equal_toIvEEtEE10hipError_tPvRmT2_T3_T4_T5_mT6_T7_P12ihipStream_tbENKUlT_T0_E_clISt17integral_constantIbLb1EES10_IbLb0EEEEDaSW_SX_EUlSW_E_NS1_11comp_targetILNS1_3genE0ELNS1_11target_archE4294967295ELNS1_3gpuE0ELNS1_3repE0EEENS1_30default_config_static_selectorELNS0_4arch9wavefront6targetE0EEEvT1_,comdat
	.protected	_ZN7rocprim17ROCPRIM_400000_NS6detail17trampoline_kernelINS0_14default_configENS1_27scan_by_key_config_selectorIitEEZZNS1_16scan_by_key_implILNS1_25lookback_scan_determinismE0ELb0ES3_N6thrust23THRUST_200600_302600_NS6detail15normal_iteratorINS9_10device_ptrIiEEEENSB_INSC_ItEEEESG_tNS9_4plusIvEENS9_8equal_toIvEEtEE10hipError_tPvRmT2_T3_T4_T5_mT6_T7_P12ihipStream_tbENKUlT_T0_E_clISt17integral_constantIbLb1EES10_IbLb0EEEEDaSW_SX_EUlSW_E_NS1_11comp_targetILNS1_3genE0ELNS1_11target_archE4294967295ELNS1_3gpuE0ELNS1_3repE0EEENS1_30default_config_static_selectorELNS0_4arch9wavefront6targetE0EEEvT1_ ; -- Begin function _ZN7rocprim17ROCPRIM_400000_NS6detail17trampoline_kernelINS0_14default_configENS1_27scan_by_key_config_selectorIitEEZZNS1_16scan_by_key_implILNS1_25lookback_scan_determinismE0ELb0ES3_N6thrust23THRUST_200600_302600_NS6detail15normal_iteratorINS9_10device_ptrIiEEEENSB_INSC_ItEEEESG_tNS9_4plusIvEENS9_8equal_toIvEEtEE10hipError_tPvRmT2_T3_T4_T5_mT6_T7_P12ihipStream_tbENKUlT_T0_E_clISt17integral_constantIbLb1EES10_IbLb0EEEEDaSW_SX_EUlSW_E_NS1_11comp_targetILNS1_3genE0ELNS1_11target_archE4294967295ELNS1_3gpuE0ELNS1_3repE0EEENS1_30default_config_static_selectorELNS0_4arch9wavefront6targetE0EEEvT1_
	.globl	_ZN7rocprim17ROCPRIM_400000_NS6detail17trampoline_kernelINS0_14default_configENS1_27scan_by_key_config_selectorIitEEZZNS1_16scan_by_key_implILNS1_25lookback_scan_determinismE0ELb0ES3_N6thrust23THRUST_200600_302600_NS6detail15normal_iteratorINS9_10device_ptrIiEEEENSB_INSC_ItEEEESG_tNS9_4plusIvEENS9_8equal_toIvEEtEE10hipError_tPvRmT2_T3_T4_T5_mT6_T7_P12ihipStream_tbENKUlT_T0_E_clISt17integral_constantIbLb1EES10_IbLb0EEEEDaSW_SX_EUlSW_E_NS1_11comp_targetILNS1_3genE0ELNS1_11target_archE4294967295ELNS1_3gpuE0ELNS1_3repE0EEENS1_30default_config_static_selectorELNS0_4arch9wavefront6targetE0EEEvT1_
	.p2align	8
	.type	_ZN7rocprim17ROCPRIM_400000_NS6detail17trampoline_kernelINS0_14default_configENS1_27scan_by_key_config_selectorIitEEZZNS1_16scan_by_key_implILNS1_25lookback_scan_determinismE0ELb0ES3_N6thrust23THRUST_200600_302600_NS6detail15normal_iteratorINS9_10device_ptrIiEEEENSB_INSC_ItEEEESG_tNS9_4plusIvEENS9_8equal_toIvEEtEE10hipError_tPvRmT2_T3_T4_T5_mT6_T7_P12ihipStream_tbENKUlT_T0_E_clISt17integral_constantIbLb1EES10_IbLb0EEEEDaSW_SX_EUlSW_E_NS1_11comp_targetILNS1_3genE0ELNS1_11target_archE4294967295ELNS1_3gpuE0ELNS1_3repE0EEENS1_30default_config_static_selectorELNS0_4arch9wavefront6targetE0EEEvT1_,@function
_ZN7rocprim17ROCPRIM_400000_NS6detail17trampoline_kernelINS0_14default_configENS1_27scan_by_key_config_selectorIitEEZZNS1_16scan_by_key_implILNS1_25lookback_scan_determinismE0ELb0ES3_N6thrust23THRUST_200600_302600_NS6detail15normal_iteratorINS9_10device_ptrIiEEEENSB_INSC_ItEEEESG_tNS9_4plusIvEENS9_8equal_toIvEEtEE10hipError_tPvRmT2_T3_T4_T5_mT6_T7_P12ihipStream_tbENKUlT_T0_E_clISt17integral_constantIbLb1EES10_IbLb0EEEEDaSW_SX_EUlSW_E_NS1_11comp_targetILNS1_3genE0ELNS1_11target_archE4294967295ELNS1_3gpuE0ELNS1_3repE0EEENS1_30default_config_static_selectorELNS0_4arch9wavefront6targetE0EEEvT1_: ; @_ZN7rocprim17ROCPRIM_400000_NS6detail17trampoline_kernelINS0_14default_configENS1_27scan_by_key_config_selectorIitEEZZNS1_16scan_by_key_implILNS1_25lookback_scan_determinismE0ELb0ES3_N6thrust23THRUST_200600_302600_NS6detail15normal_iteratorINS9_10device_ptrIiEEEENSB_INSC_ItEEEESG_tNS9_4plusIvEENS9_8equal_toIvEEtEE10hipError_tPvRmT2_T3_T4_T5_mT6_T7_P12ihipStream_tbENKUlT_T0_E_clISt17integral_constantIbLb1EES10_IbLb0EEEEDaSW_SX_EUlSW_E_NS1_11comp_targetILNS1_3genE0ELNS1_11target_archE4294967295ELNS1_3gpuE0ELNS1_3repE0EEENS1_30default_config_static_selectorELNS0_4arch9wavefront6targetE0EEEvT1_
; %bb.0:
	.section	.rodata,"a",@progbits
	.p2align	6, 0x0
	.amdhsa_kernel _ZN7rocprim17ROCPRIM_400000_NS6detail17trampoline_kernelINS0_14default_configENS1_27scan_by_key_config_selectorIitEEZZNS1_16scan_by_key_implILNS1_25lookback_scan_determinismE0ELb0ES3_N6thrust23THRUST_200600_302600_NS6detail15normal_iteratorINS9_10device_ptrIiEEEENSB_INSC_ItEEEESG_tNS9_4plusIvEENS9_8equal_toIvEEtEE10hipError_tPvRmT2_T3_T4_T5_mT6_T7_P12ihipStream_tbENKUlT_T0_E_clISt17integral_constantIbLb1EES10_IbLb0EEEEDaSW_SX_EUlSW_E_NS1_11comp_targetILNS1_3genE0ELNS1_11target_archE4294967295ELNS1_3gpuE0ELNS1_3repE0EEENS1_30default_config_static_selectorELNS0_4arch9wavefront6targetE0EEEvT1_
		.amdhsa_group_segment_fixed_size 0
		.amdhsa_private_segment_fixed_size 0
		.amdhsa_kernarg_size 112
		.amdhsa_user_sgpr_count 6
		.amdhsa_user_sgpr_private_segment_buffer 1
		.amdhsa_user_sgpr_dispatch_ptr 0
		.amdhsa_user_sgpr_queue_ptr 0
		.amdhsa_user_sgpr_kernarg_segment_ptr 1
		.amdhsa_user_sgpr_dispatch_id 0
		.amdhsa_user_sgpr_flat_scratch_init 0
		.amdhsa_user_sgpr_private_segment_size 0
		.amdhsa_wavefront_size32 1
		.amdhsa_uses_dynamic_stack 0
		.amdhsa_system_sgpr_private_segment_wavefront_offset 0
		.amdhsa_system_sgpr_workgroup_id_x 1
		.amdhsa_system_sgpr_workgroup_id_y 0
		.amdhsa_system_sgpr_workgroup_id_z 0
		.amdhsa_system_sgpr_workgroup_info 0
		.amdhsa_system_vgpr_workitem_id 0
		.amdhsa_next_free_vgpr 1
		.amdhsa_next_free_sgpr 1
		.amdhsa_reserve_vcc 0
		.amdhsa_reserve_flat_scratch 0
		.amdhsa_float_round_mode_32 0
		.amdhsa_float_round_mode_16_64 0
		.amdhsa_float_denorm_mode_32 3
		.amdhsa_float_denorm_mode_16_64 3
		.amdhsa_dx10_clamp 1
		.amdhsa_ieee_mode 1
		.amdhsa_fp16_overflow 0
		.amdhsa_workgroup_processor_mode 1
		.amdhsa_memory_ordered 1
		.amdhsa_forward_progress 1
		.amdhsa_shared_vgpr_count 0
		.amdhsa_exception_fp_ieee_invalid_op 0
		.amdhsa_exception_fp_denorm_src 0
		.amdhsa_exception_fp_ieee_div_zero 0
		.amdhsa_exception_fp_ieee_overflow 0
		.amdhsa_exception_fp_ieee_underflow 0
		.amdhsa_exception_fp_ieee_inexact 0
		.amdhsa_exception_int_div_zero 0
	.end_amdhsa_kernel
	.section	.text._ZN7rocprim17ROCPRIM_400000_NS6detail17trampoline_kernelINS0_14default_configENS1_27scan_by_key_config_selectorIitEEZZNS1_16scan_by_key_implILNS1_25lookback_scan_determinismE0ELb0ES3_N6thrust23THRUST_200600_302600_NS6detail15normal_iteratorINS9_10device_ptrIiEEEENSB_INSC_ItEEEESG_tNS9_4plusIvEENS9_8equal_toIvEEtEE10hipError_tPvRmT2_T3_T4_T5_mT6_T7_P12ihipStream_tbENKUlT_T0_E_clISt17integral_constantIbLb1EES10_IbLb0EEEEDaSW_SX_EUlSW_E_NS1_11comp_targetILNS1_3genE0ELNS1_11target_archE4294967295ELNS1_3gpuE0ELNS1_3repE0EEENS1_30default_config_static_selectorELNS0_4arch9wavefront6targetE0EEEvT1_,"axG",@progbits,_ZN7rocprim17ROCPRIM_400000_NS6detail17trampoline_kernelINS0_14default_configENS1_27scan_by_key_config_selectorIitEEZZNS1_16scan_by_key_implILNS1_25lookback_scan_determinismE0ELb0ES3_N6thrust23THRUST_200600_302600_NS6detail15normal_iteratorINS9_10device_ptrIiEEEENSB_INSC_ItEEEESG_tNS9_4plusIvEENS9_8equal_toIvEEtEE10hipError_tPvRmT2_T3_T4_T5_mT6_T7_P12ihipStream_tbENKUlT_T0_E_clISt17integral_constantIbLb1EES10_IbLb0EEEEDaSW_SX_EUlSW_E_NS1_11comp_targetILNS1_3genE0ELNS1_11target_archE4294967295ELNS1_3gpuE0ELNS1_3repE0EEENS1_30default_config_static_selectorELNS0_4arch9wavefront6targetE0EEEvT1_,comdat
.Lfunc_end1289:
	.size	_ZN7rocprim17ROCPRIM_400000_NS6detail17trampoline_kernelINS0_14default_configENS1_27scan_by_key_config_selectorIitEEZZNS1_16scan_by_key_implILNS1_25lookback_scan_determinismE0ELb0ES3_N6thrust23THRUST_200600_302600_NS6detail15normal_iteratorINS9_10device_ptrIiEEEENSB_INSC_ItEEEESG_tNS9_4plusIvEENS9_8equal_toIvEEtEE10hipError_tPvRmT2_T3_T4_T5_mT6_T7_P12ihipStream_tbENKUlT_T0_E_clISt17integral_constantIbLb1EES10_IbLb0EEEEDaSW_SX_EUlSW_E_NS1_11comp_targetILNS1_3genE0ELNS1_11target_archE4294967295ELNS1_3gpuE0ELNS1_3repE0EEENS1_30default_config_static_selectorELNS0_4arch9wavefront6targetE0EEEvT1_, .Lfunc_end1289-_ZN7rocprim17ROCPRIM_400000_NS6detail17trampoline_kernelINS0_14default_configENS1_27scan_by_key_config_selectorIitEEZZNS1_16scan_by_key_implILNS1_25lookback_scan_determinismE0ELb0ES3_N6thrust23THRUST_200600_302600_NS6detail15normal_iteratorINS9_10device_ptrIiEEEENSB_INSC_ItEEEESG_tNS9_4plusIvEENS9_8equal_toIvEEtEE10hipError_tPvRmT2_T3_T4_T5_mT6_T7_P12ihipStream_tbENKUlT_T0_E_clISt17integral_constantIbLb1EES10_IbLb0EEEEDaSW_SX_EUlSW_E_NS1_11comp_targetILNS1_3genE0ELNS1_11target_archE4294967295ELNS1_3gpuE0ELNS1_3repE0EEENS1_30default_config_static_selectorELNS0_4arch9wavefront6targetE0EEEvT1_
                                        ; -- End function
	.set _ZN7rocprim17ROCPRIM_400000_NS6detail17trampoline_kernelINS0_14default_configENS1_27scan_by_key_config_selectorIitEEZZNS1_16scan_by_key_implILNS1_25lookback_scan_determinismE0ELb0ES3_N6thrust23THRUST_200600_302600_NS6detail15normal_iteratorINS9_10device_ptrIiEEEENSB_INSC_ItEEEESG_tNS9_4plusIvEENS9_8equal_toIvEEtEE10hipError_tPvRmT2_T3_T4_T5_mT6_T7_P12ihipStream_tbENKUlT_T0_E_clISt17integral_constantIbLb1EES10_IbLb0EEEEDaSW_SX_EUlSW_E_NS1_11comp_targetILNS1_3genE0ELNS1_11target_archE4294967295ELNS1_3gpuE0ELNS1_3repE0EEENS1_30default_config_static_selectorELNS0_4arch9wavefront6targetE0EEEvT1_.num_vgpr, 0
	.set _ZN7rocprim17ROCPRIM_400000_NS6detail17trampoline_kernelINS0_14default_configENS1_27scan_by_key_config_selectorIitEEZZNS1_16scan_by_key_implILNS1_25lookback_scan_determinismE0ELb0ES3_N6thrust23THRUST_200600_302600_NS6detail15normal_iteratorINS9_10device_ptrIiEEEENSB_INSC_ItEEEESG_tNS9_4plusIvEENS9_8equal_toIvEEtEE10hipError_tPvRmT2_T3_T4_T5_mT6_T7_P12ihipStream_tbENKUlT_T0_E_clISt17integral_constantIbLb1EES10_IbLb0EEEEDaSW_SX_EUlSW_E_NS1_11comp_targetILNS1_3genE0ELNS1_11target_archE4294967295ELNS1_3gpuE0ELNS1_3repE0EEENS1_30default_config_static_selectorELNS0_4arch9wavefront6targetE0EEEvT1_.num_agpr, 0
	.set _ZN7rocprim17ROCPRIM_400000_NS6detail17trampoline_kernelINS0_14default_configENS1_27scan_by_key_config_selectorIitEEZZNS1_16scan_by_key_implILNS1_25lookback_scan_determinismE0ELb0ES3_N6thrust23THRUST_200600_302600_NS6detail15normal_iteratorINS9_10device_ptrIiEEEENSB_INSC_ItEEEESG_tNS9_4plusIvEENS9_8equal_toIvEEtEE10hipError_tPvRmT2_T3_T4_T5_mT6_T7_P12ihipStream_tbENKUlT_T0_E_clISt17integral_constantIbLb1EES10_IbLb0EEEEDaSW_SX_EUlSW_E_NS1_11comp_targetILNS1_3genE0ELNS1_11target_archE4294967295ELNS1_3gpuE0ELNS1_3repE0EEENS1_30default_config_static_selectorELNS0_4arch9wavefront6targetE0EEEvT1_.numbered_sgpr, 0
	.set _ZN7rocprim17ROCPRIM_400000_NS6detail17trampoline_kernelINS0_14default_configENS1_27scan_by_key_config_selectorIitEEZZNS1_16scan_by_key_implILNS1_25lookback_scan_determinismE0ELb0ES3_N6thrust23THRUST_200600_302600_NS6detail15normal_iteratorINS9_10device_ptrIiEEEENSB_INSC_ItEEEESG_tNS9_4plusIvEENS9_8equal_toIvEEtEE10hipError_tPvRmT2_T3_T4_T5_mT6_T7_P12ihipStream_tbENKUlT_T0_E_clISt17integral_constantIbLb1EES10_IbLb0EEEEDaSW_SX_EUlSW_E_NS1_11comp_targetILNS1_3genE0ELNS1_11target_archE4294967295ELNS1_3gpuE0ELNS1_3repE0EEENS1_30default_config_static_selectorELNS0_4arch9wavefront6targetE0EEEvT1_.num_named_barrier, 0
	.set _ZN7rocprim17ROCPRIM_400000_NS6detail17trampoline_kernelINS0_14default_configENS1_27scan_by_key_config_selectorIitEEZZNS1_16scan_by_key_implILNS1_25lookback_scan_determinismE0ELb0ES3_N6thrust23THRUST_200600_302600_NS6detail15normal_iteratorINS9_10device_ptrIiEEEENSB_INSC_ItEEEESG_tNS9_4plusIvEENS9_8equal_toIvEEtEE10hipError_tPvRmT2_T3_T4_T5_mT6_T7_P12ihipStream_tbENKUlT_T0_E_clISt17integral_constantIbLb1EES10_IbLb0EEEEDaSW_SX_EUlSW_E_NS1_11comp_targetILNS1_3genE0ELNS1_11target_archE4294967295ELNS1_3gpuE0ELNS1_3repE0EEENS1_30default_config_static_selectorELNS0_4arch9wavefront6targetE0EEEvT1_.private_seg_size, 0
	.set _ZN7rocprim17ROCPRIM_400000_NS6detail17trampoline_kernelINS0_14default_configENS1_27scan_by_key_config_selectorIitEEZZNS1_16scan_by_key_implILNS1_25lookback_scan_determinismE0ELb0ES3_N6thrust23THRUST_200600_302600_NS6detail15normal_iteratorINS9_10device_ptrIiEEEENSB_INSC_ItEEEESG_tNS9_4plusIvEENS9_8equal_toIvEEtEE10hipError_tPvRmT2_T3_T4_T5_mT6_T7_P12ihipStream_tbENKUlT_T0_E_clISt17integral_constantIbLb1EES10_IbLb0EEEEDaSW_SX_EUlSW_E_NS1_11comp_targetILNS1_3genE0ELNS1_11target_archE4294967295ELNS1_3gpuE0ELNS1_3repE0EEENS1_30default_config_static_selectorELNS0_4arch9wavefront6targetE0EEEvT1_.uses_vcc, 0
	.set _ZN7rocprim17ROCPRIM_400000_NS6detail17trampoline_kernelINS0_14default_configENS1_27scan_by_key_config_selectorIitEEZZNS1_16scan_by_key_implILNS1_25lookback_scan_determinismE0ELb0ES3_N6thrust23THRUST_200600_302600_NS6detail15normal_iteratorINS9_10device_ptrIiEEEENSB_INSC_ItEEEESG_tNS9_4plusIvEENS9_8equal_toIvEEtEE10hipError_tPvRmT2_T3_T4_T5_mT6_T7_P12ihipStream_tbENKUlT_T0_E_clISt17integral_constantIbLb1EES10_IbLb0EEEEDaSW_SX_EUlSW_E_NS1_11comp_targetILNS1_3genE0ELNS1_11target_archE4294967295ELNS1_3gpuE0ELNS1_3repE0EEENS1_30default_config_static_selectorELNS0_4arch9wavefront6targetE0EEEvT1_.uses_flat_scratch, 0
	.set _ZN7rocprim17ROCPRIM_400000_NS6detail17trampoline_kernelINS0_14default_configENS1_27scan_by_key_config_selectorIitEEZZNS1_16scan_by_key_implILNS1_25lookback_scan_determinismE0ELb0ES3_N6thrust23THRUST_200600_302600_NS6detail15normal_iteratorINS9_10device_ptrIiEEEENSB_INSC_ItEEEESG_tNS9_4plusIvEENS9_8equal_toIvEEtEE10hipError_tPvRmT2_T3_T4_T5_mT6_T7_P12ihipStream_tbENKUlT_T0_E_clISt17integral_constantIbLb1EES10_IbLb0EEEEDaSW_SX_EUlSW_E_NS1_11comp_targetILNS1_3genE0ELNS1_11target_archE4294967295ELNS1_3gpuE0ELNS1_3repE0EEENS1_30default_config_static_selectorELNS0_4arch9wavefront6targetE0EEEvT1_.has_dyn_sized_stack, 0
	.set _ZN7rocprim17ROCPRIM_400000_NS6detail17trampoline_kernelINS0_14default_configENS1_27scan_by_key_config_selectorIitEEZZNS1_16scan_by_key_implILNS1_25lookback_scan_determinismE0ELb0ES3_N6thrust23THRUST_200600_302600_NS6detail15normal_iteratorINS9_10device_ptrIiEEEENSB_INSC_ItEEEESG_tNS9_4plusIvEENS9_8equal_toIvEEtEE10hipError_tPvRmT2_T3_T4_T5_mT6_T7_P12ihipStream_tbENKUlT_T0_E_clISt17integral_constantIbLb1EES10_IbLb0EEEEDaSW_SX_EUlSW_E_NS1_11comp_targetILNS1_3genE0ELNS1_11target_archE4294967295ELNS1_3gpuE0ELNS1_3repE0EEENS1_30default_config_static_selectorELNS0_4arch9wavefront6targetE0EEEvT1_.has_recursion, 0
	.set _ZN7rocprim17ROCPRIM_400000_NS6detail17trampoline_kernelINS0_14default_configENS1_27scan_by_key_config_selectorIitEEZZNS1_16scan_by_key_implILNS1_25lookback_scan_determinismE0ELb0ES3_N6thrust23THRUST_200600_302600_NS6detail15normal_iteratorINS9_10device_ptrIiEEEENSB_INSC_ItEEEESG_tNS9_4plusIvEENS9_8equal_toIvEEtEE10hipError_tPvRmT2_T3_T4_T5_mT6_T7_P12ihipStream_tbENKUlT_T0_E_clISt17integral_constantIbLb1EES10_IbLb0EEEEDaSW_SX_EUlSW_E_NS1_11comp_targetILNS1_3genE0ELNS1_11target_archE4294967295ELNS1_3gpuE0ELNS1_3repE0EEENS1_30default_config_static_selectorELNS0_4arch9wavefront6targetE0EEEvT1_.has_indirect_call, 0
	.section	.AMDGPU.csdata,"",@progbits
; Kernel info:
; codeLenInByte = 0
; TotalNumSgprs: 0
; NumVgprs: 0
; ScratchSize: 0
; MemoryBound: 0
; FloatMode: 240
; IeeeMode: 1
; LDSByteSize: 0 bytes/workgroup (compile time only)
; SGPRBlocks: 0
; VGPRBlocks: 0
; NumSGPRsForWavesPerEU: 1
; NumVGPRsForWavesPerEU: 1
; Occupancy: 16
; WaveLimiterHint : 0
; COMPUTE_PGM_RSRC2:SCRATCH_EN: 0
; COMPUTE_PGM_RSRC2:USER_SGPR: 6
; COMPUTE_PGM_RSRC2:TRAP_HANDLER: 0
; COMPUTE_PGM_RSRC2:TGID_X_EN: 1
; COMPUTE_PGM_RSRC2:TGID_Y_EN: 0
; COMPUTE_PGM_RSRC2:TGID_Z_EN: 0
; COMPUTE_PGM_RSRC2:TIDIG_COMP_CNT: 0
	.section	.text._ZN7rocprim17ROCPRIM_400000_NS6detail17trampoline_kernelINS0_14default_configENS1_27scan_by_key_config_selectorIitEEZZNS1_16scan_by_key_implILNS1_25lookback_scan_determinismE0ELb0ES3_N6thrust23THRUST_200600_302600_NS6detail15normal_iteratorINS9_10device_ptrIiEEEENSB_INSC_ItEEEESG_tNS9_4plusIvEENS9_8equal_toIvEEtEE10hipError_tPvRmT2_T3_T4_T5_mT6_T7_P12ihipStream_tbENKUlT_T0_E_clISt17integral_constantIbLb1EES10_IbLb0EEEEDaSW_SX_EUlSW_E_NS1_11comp_targetILNS1_3genE10ELNS1_11target_archE1201ELNS1_3gpuE5ELNS1_3repE0EEENS1_30default_config_static_selectorELNS0_4arch9wavefront6targetE0EEEvT1_,"axG",@progbits,_ZN7rocprim17ROCPRIM_400000_NS6detail17trampoline_kernelINS0_14default_configENS1_27scan_by_key_config_selectorIitEEZZNS1_16scan_by_key_implILNS1_25lookback_scan_determinismE0ELb0ES3_N6thrust23THRUST_200600_302600_NS6detail15normal_iteratorINS9_10device_ptrIiEEEENSB_INSC_ItEEEESG_tNS9_4plusIvEENS9_8equal_toIvEEtEE10hipError_tPvRmT2_T3_T4_T5_mT6_T7_P12ihipStream_tbENKUlT_T0_E_clISt17integral_constantIbLb1EES10_IbLb0EEEEDaSW_SX_EUlSW_E_NS1_11comp_targetILNS1_3genE10ELNS1_11target_archE1201ELNS1_3gpuE5ELNS1_3repE0EEENS1_30default_config_static_selectorELNS0_4arch9wavefront6targetE0EEEvT1_,comdat
	.protected	_ZN7rocprim17ROCPRIM_400000_NS6detail17trampoline_kernelINS0_14default_configENS1_27scan_by_key_config_selectorIitEEZZNS1_16scan_by_key_implILNS1_25lookback_scan_determinismE0ELb0ES3_N6thrust23THRUST_200600_302600_NS6detail15normal_iteratorINS9_10device_ptrIiEEEENSB_INSC_ItEEEESG_tNS9_4plusIvEENS9_8equal_toIvEEtEE10hipError_tPvRmT2_T3_T4_T5_mT6_T7_P12ihipStream_tbENKUlT_T0_E_clISt17integral_constantIbLb1EES10_IbLb0EEEEDaSW_SX_EUlSW_E_NS1_11comp_targetILNS1_3genE10ELNS1_11target_archE1201ELNS1_3gpuE5ELNS1_3repE0EEENS1_30default_config_static_selectorELNS0_4arch9wavefront6targetE0EEEvT1_ ; -- Begin function _ZN7rocprim17ROCPRIM_400000_NS6detail17trampoline_kernelINS0_14default_configENS1_27scan_by_key_config_selectorIitEEZZNS1_16scan_by_key_implILNS1_25lookback_scan_determinismE0ELb0ES3_N6thrust23THRUST_200600_302600_NS6detail15normal_iteratorINS9_10device_ptrIiEEEENSB_INSC_ItEEEESG_tNS9_4plusIvEENS9_8equal_toIvEEtEE10hipError_tPvRmT2_T3_T4_T5_mT6_T7_P12ihipStream_tbENKUlT_T0_E_clISt17integral_constantIbLb1EES10_IbLb0EEEEDaSW_SX_EUlSW_E_NS1_11comp_targetILNS1_3genE10ELNS1_11target_archE1201ELNS1_3gpuE5ELNS1_3repE0EEENS1_30default_config_static_selectorELNS0_4arch9wavefront6targetE0EEEvT1_
	.globl	_ZN7rocprim17ROCPRIM_400000_NS6detail17trampoline_kernelINS0_14default_configENS1_27scan_by_key_config_selectorIitEEZZNS1_16scan_by_key_implILNS1_25lookback_scan_determinismE0ELb0ES3_N6thrust23THRUST_200600_302600_NS6detail15normal_iteratorINS9_10device_ptrIiEEEENSB_INSC_ItEEEESG_tNS9_4plusIvEENS9_8equal_toIvEEtEE10hipError_tPvRmT2_T3_T4_T5_mT6_T7_P12ihipStream_tbENKUlT_T0_E_clISt17integral_constantIbLb1EES10_IbLb0EEEEDaSW_SX_EUlSW_E_NS1_11comp_targetILNS1_3genE10ELNS1_11target_archE1201ELNS1_3gpuE5ELNS1_3repE0EEENS1_30default_config_static_selectorELNS0_4arch9wavefront6targetE0EEEvT1_
	.p2align	8
	.type	_ZN7rocprim17ROCPRIM_400000_NS6detail17trampoline_kernelINS0_14default_configENS1_27scan_by_key_config_selectorIitEEZZNS1_16scan_by_key_implILNS1_25lookback_scan_determinismE0ELb0ES3_N6thrust23THRUST_200600_302600_NS6detail15normal_iteratorINS9_10device_ptrIiEEEENSB_INSC_ItEEEESG_tNS9_4plusIvEENS9_8equal_toIvEEtEE10hipError_tPvRmT2_T3_T4_T5_mT6_T7_P12ihipStream_tbENKUlT_T0_E_clISt17integral_constantIbLb1EES10_IbLb0EEEEDaSW_SX_EUlSW_E_NS1_11comp_targetILNS1_3genE10ELNS1_11target_archE1201ELNS1_3gpuE5ELNS1_3repE0EEENS1_30default_config_static_selectorELNS0_4arch9wavefront6targetE0EEEvT1_,@function
_ZN7rocprim17ROCPRIM_400000_NS6detail17trampoline_kernelINS0_14default_configENS1_27scan_by_key_config_selectorIitEEZZNS1_16scan_by_key_implILNS1_25lookback_scan_determinismE0ELb0ES3_N6thrust23THRUST_200600_302600_NS6detail15normal_iteratorINS9_10device_ptrIiEEEENSB_INSC_ItEEEESG_tNS9_4plusIvEENS9_8equal_toIvEEtEE10hipError_tPvRmT2_T3_T4_T5_mT6_T7_P12ihipStream_tbENKUlT_T0_E_clISt17integral_constantIbLb1EES10_IbLb0EEEEDaSW_SX_EUlSW_E_NS1_11comp_targetILNS1_3genE10ELNS1_11target_archE1201ELNS1_3gpuE5ELNS1_3repE0EEENS1_30default_config_static_selectorELNS0_4arch9wavefront6targetE0EEEvT1_: ; @_ZN7rocprim17ROCPRIM_400000_NS6detail17trampoline_kernelINS0_14default_configENS1_27scan_by_key_config_selectorIitEEZZNS1_16scan_by_key_implILNS1_25lookback_scan_determinismE0ELb0ES3_N6thrust23THRUST_200600_302600_NS6detail15normal_iteratorINS9_10device_ptrIiEEEENSB_INSC_ItEEEESG_tNS9_4plusIvEENS9_8equal_toIvEEtEE10hipError_tPvRmT2_T3_T4_T5_mT6_T7_P12ihipStream_tbENKUlT_T0_E_clISt17integral_constantIbLb1EES10_IbLb0EEEEDaSW_SX_EUlSW_E_NS1_11comp_targetILNS1_3genE10ELNS1_11target_archE1201ELNS1_3gpuE5ELNS1_3repE0EEENS1_30default_config_static_selectorELNS0_4arch9wavefront6targetE0EEEvT1_
; %bb.0:
	.section	.rodata,"a",@progbits
	.p2align	6, 0x0
	.amdhsa_kernel _ZN7rocprim17ROCPRIM_400000_NS6detail17trampoline_kernelINS0_14default_configENS1_27scan_by_key_config_selectorIitEEZZNS1_16scan_by_key_implILNS1_25lookback_scan_determinismE0ELb0ES3_N6thrust23THRUST_200600_302600_NS6detail15normal_iteratorINS9_10device_ptrIiEEEENSB_INSC_ItEEEESG_tNS9_4plusIvEENS9_8equal_toIvEEtEE10hipError_tPvRmT2_T3_T4_T5_mT6_T7_P12ihipStream_tbENKUlT_T0_E_clISt17integral_constantIbLb1EES10_IbLb0EEEEDaSW_SX_EUlSW_E_NS1_11comp_targetILNS1_3genE10ELNS1_11target_archE1201ELNS1_3gpuE5ELNS1_3repE0EEENS1_30default_config_static_selectorELNS0_4arch9wavefront6targetE0EEEvT1_
		.amdhsa_group_segment_fixed_size 0
		.amdhsa_private_segment_fixed_size 0
		.amdhsa_kernarg_size 112
		.amdhsa_user_sgpr_count 6
		.amdhsa_user_sgpr_private_segment_buffer 1
		.amdhsa_user_sgpr_dispatch_ptr 0
		.amdhsa_user_sgpr_queue_ptr 0
		.amdhsa_user_sgpr_kernarg_segment_ptr 1
		.amdhsa_user_sgpr_dispatch_id 0
		.amdhsa_user_sgpr_flat_scratch_init 0
		.amdhsa_user_sgpr_private_segment_size 0
		.amdhsa_wavefront_size32 1
		.amdhsa_uses_dynamic_stack 0
		.amdhsa_system_sgpr_private_segment_wavefront_offset 0
		.amdhsa_system_sgpr_workgroup_id_x 1
		.amdhsa_system_sgpr_workgroup_id_y 0
		.amdhsa_system_sgpr_workgroup_id_z 0
		.amdhsa_system_sgpr_workgroup_info 0
		.amdhsa_system_vgpr_workitem_id 0
		.amdhsa_next_free_vgpr 1
		.amdhsa_next_free_sgpr 1
		.amdhsa_reserve_vcc 0
		.amdhsa_reserve_flat_scratch 0
		.amdhsa_float_round_mode_32 0
		.amdhsa_float_round_mode_16_64 0
		.amdhsa_float_denorm_mode_32 3
		.amdhsa_float_denorm_mode_16_64 3
		.amdhsa_dx10_clamp 1
		.amdhsa_ieee_mode 1
		.amdhsa_fp16_overflow 0
		.amdhsa_workgroup_processor_mode 1
		.amdhsa_memory_ordered 1
		.amdhsa_forward_progress 1
		.amdhsa_shared_vgpr_count 0
		.amdhsa_exception_fp_ieee_invalid_op 0
		.amdhsa_exception_fp_denorm_src 0
		.amdhsa_exception_fp_ieee_div_zero 0
		.amdhsa_exception_fp_ieee_overflow 0
		.amdhsa_exception_fp_ieee_underflow 0
		.amdhsa_exception_fp_ieee_inexact 0
		.amdhsa_exception_int_div_zero 0
	.end_amdhsa_kernel
	.section	.text._ZN7rocprim17ROCPRIM_400000_NS6detail17trampoline_kernelINS0_14default_configENS1_27scan_by_key_config_selectorIitEEZZNS1_16scan_by_key_implILNS1_25lookback_scan_determinismE0ELb0ES3_N6thrust23THRUST_200600_302600_NS6detail15normal_iteratorINS9_10device_ptrIiEEEENSB_INSC_ItEEEESG_tNS9_4plusIvEENS9_8equal_toIvEEtEE10hipError_tPvRmT2_T3_T4_T5_mT6_T7_P12ihipStream_tbENKUlT_T0_E_clISt17integral_constantIbLb1EES10_IbLb0EEEEDaSW_SX_EUlSW_E_NS1_11comp_targetILNS1_3genE10ELNS1_11target_archE1201ELNS1_3gpuE5ELNS1_3repE0EEENS1_30default_config_static_selectorELNS0_4arch9wavefront6targetE0EEEvT1_,"axG",@progbits,_ZN7rocprim17ROCPRIM_400000_NS6detail17trampoline_kernelINS0_14default_configENS1_27scan_by_key_config_selectorIitEEZZNS1_16scan_by_key_implILNS1_25lookback_scan_determinismE0ELb0ES3_N6thrust23THRUST_200600_302600_NS6detail15normal_iteratorINS9_10device_ptrIiEEEENSB_INSC_ItEEEESG_tNS9_4plusIvEENS9_8equal_toIvEEtEE10hipError_tPvRmT2_T3_T4_T5_mT6_T7_P12ihipStream_tbENKUlT_T0_E_clISt17integral_constantIbLb1EES10_IbLb0EEEEDaSW_SX_EUlSW_E_NS1_11comp_targetILNS1_3genE10ELNS1_11target_archE1201ELNS1_3gpuE5ELNS1_3repE0EEENS1_30default_config_static_selectorELNS0_4arch9wavefront6targetE0EEEvT1_,comdat
.Lfunc_end1290:
	.size	_ZN7rocprim17ROCPRIM_400000_NS6detail17trampoline_kernelINS0_14default_configENS1_27scan_by_key_config_selectorIitEEZZNS1_16scan_by_key_implILNS1_25lookback_scan_determinismE0ELb0ES3_N6thrust23THRUST_200600_302600_NS6detail15normal_iteratorINS9_10device_ptrIiEEEENSB_INSC_ItEEEESG_tNS9_4plusIvEENS9_8equal_toIvEEtEE10hipError_tPvRmT2_T3_T4_T5_mT6_T7_P12ihipStream_tbENKUlT_T0_E_clISt17integral_constantIbLb1EES10_IbLb0EEEEDaSW_SX_EUlSW_E_NS1_11comp_targetILNS1_3genE10ELNS1_11target_archE1201ELNS1_3gpuE5ELNS1_3repE0EEENS1_30default_config_static_selectorELNS0_4arch9wavefront6targetE0EEEvT1_, .Lfunc_end1290-_ZN7rocprim17ROCPRIM_400000_NS6detail17trampoline_kernelINS0_14default_configENS1_27scan_by_key_config_selectorIitEEZZNS1_16scan_by_key_implILNS1_25lookback_scan_determinismE0ELb0ES3_N6thrust23THRUST_200600_302600_NS6detail15normal_iteratorINS9_10device_ptrIiEEEENSB_INSC_ItEEEESG_tNS9_4plusIvEENS9_8equal_toIvEEtEE10hipError_tPvRmT2_T3_T4_T5_mT6_T7_P12ihipStream_tbENKUlT_T0_E_clISt17integral_constantIbLb1EES10_IbLb0EEEEDaSW_SX_EUlSW_E_NS1_11comp_targetILNS1_3genE10ELNS1_11target_archE1201ELNS1_3gpuE5ELNS1_3repE0EEENS1_30default_config_static_selectorELNS0_4arch9wavefront6targetE0EEEvT1_
                                        ; -- End function
	.set _ZN7rocprim17ROCPRIM_400000_NS6detail17trampoline_kernelINS0_14default_configENS1_27scan_by_key_config_selectorIitEEZZNS1_16scan_by_key_implILNS1_25lookback_scan_determinismE0ELb0ES3_N6thrust23THRUST_200600_302600_NS6detail15normal_iteratorINS9_10device_ptrIiEEEENSB_INSC_ItEEEESG_tNS9_4plusIvEENS9_8equal_toIvEEtEE10hipError_tPvRmT2_T3_T4_T5_mT6_T7_P12ihipStream_tbENKUlT_T0_E_clISt17integral_constantIbLb1EES10_IbLb0EEEEDaSW_SX_EUlSW_E_NS1_11comp_targetILNS1_3genE10ELNS1_11target_archE1201ELNS1_3gpuE5ELNS1_3repE0EEENS1_30default_config_static_selectorELNS0_4arch9wavefront6targetE0EEEvT1_.num_vgpr, 0
	.set _ZN7rocprim17ROCPRIM_400000_NS6detail17trampoline_kernelINS0_14default_configENS1_27scan_by_key_config_selectorIitEEZZNS1_16scan_by_key_implILNS1_25lookback_scan_determinismE0ELb0ES3_N6thrust23THRUST_200600_302600_NS6detail15normal_iteratorINS9_10device_ptrIiEEEENSB_INSC_ItEEEESG_tNS9_4plusIvEENS9_8equal_toIvEEtEE10hipError_tPvRmT2_T3_T4_T5_mT6_T7_P12ihipStream_tbENKUlT_T0_E_clISt17integral_constantIbLb1EES10_IbLb0EEEEDaSW_SX_EUlSW_E_NS1_11comp_targetILNS1_3genE10ELNS1_11target_archE1201ELNS1_3gpuE5ELNS1_3repE0EEENS1_30default_config_static_selectorELNS0_4arch9wavefront6targetE0EEEvT1_.num_agpr, 0
	.set _ZN7rocprim17ROCPRIM_400000_NS6detail17trampoline_kernelINS0_14default_configENS1_27scan_by_key_config_selectorIitEEZZNS1_16scan_by_key_implILNS1_25lookback_scan_determinismE0ELb0ES3_N6thrust23THRUST_200600_302600_NS6detail15normal_iteratorINS9_10device_ptrIiEEEENSB_INSC_ItEEEESG_tNS9_4plusIvEENS9_8equal_toIvEEtEE10hipError_tPvRmT2_T3_T4_T5_mT6_T7_P12ihipStream_tbENKUlT_T0_E_clISt17integral_constantIbLb1EES10_IbLb0EEEEDaSW_SX_EUlSW_E_NS1_11comp_targetILNS1_3genE10ELNS1_11target_archE1201ELNS1_3gpuE5ELNS1_3repE0EEENS1_30default_config_static_selectorELNS0_4arch9wavefront6targetE0EEEvT1_.numbered_sgpr, 0
	.set _ZN7rocprim17ROCPRIM_400000_NS6detail17trampoline_kernelINS0_14default_configENS1_27scan_by_key_config_selectorIitEEZZNS1_16scan_by_key_implILNS1_25lookback_scan_determinismE0ELb0ES3_N6thrust23THRUST_200600_302600_NS6detail15normal_iteratorINS9_10device_ptrIiEEEENSB_INSC_ItEEEESG_tNS9_4plusIvEENS9_8equal_toIvEEtEE10hipError_tPvRmT2_T3_T4_T5_mT6_T7_P12ihipStream_tbENKUlT_T0_E_clISt17integral_constantIbLb1EES10_IbLb0EEEEDaSW_SX_EUlSW_E_NS1_11comp_targetILNS1_3genE10ELNS1_11target_archE1201ELNS1_3gpuE5ELNS1_3repE0EEENS1_30default_config_static_selectorELNS0_4arch9wavefront6targetE0EEEvT1_.num_named_barrier, 0
	.set _ZN7rocprim17ROCPRIM_400000_NS6detail17trampoline_kernelINS0_14default_configENS1_27scan_by_key_config_selectorIitEEZZNS1_16scan_by_key_implILNS1_25lookback_scan_determinismE0ELb0ES3_N6thrust23THRUST_200600_302600_NS6detail15normal_iteratorINS9_10device_ptrIiEEEENSB_INSC_ItEEEESG_tNS9_4plusIvEENS9_8equal_toIvEEtEE10hipError_tPvRmT2_T3_T4_T5_mT6_T7_P12ihipStream_tbENKUlT_T0_E_clISt17integral_constantIbLb1EES10_IbLb0EEEEDaSW_SX_EUlSW_E_NS1_11comp_targetILNS1_3genE10ELNS1_11target_archE1201ELNS1_3gpuE5ELNS1_3repE0EEENS1_30default_config_static_selectorELNS0_4arch9wavefront6targetE0EEEvT1_.private_seg_size, 0
	.set _ZN7rocprim17ROCPRIM_400000_NS6detail17trampoline_kernelINS0_14default_configENS1_27scan_by_key_config_selectorIitEEZZNS1_16scan_by_key_implILNS1_25lookback_scan_determinismE0ELb0ES3_N6thrust23THRUST_200600_302600_NS6detail15normal_iteratorINS9_10device_ptrIiEEEENSB_INSC_ItEEEESG_tNS9_4plusIvEENS9_8equal_toIvEEtEE10hipError_tPvRmT2_T3_T4_T5_mT6_T7_P12ihipStream_tbENKUlT_T0_E_clISt17integral_constantIbLb1EES10_IbLb0EEEEDaSW_SX_EUlSW_E_NS1_11comp_targetILNS1_3genE10ELNS1_11target_archE1201ELNS1_3gpuE5ELNS1_3repE0EEENS1_30default_config_static_selectorELNS0_4arch9wavefront6targetE0EEEvT1_.uses_vcc, 0
	.set _ZN7rocprim17ROCPRIM_400000_NS6detail17trampoline_kernelINS0_14default_configENS1_27scan_by_key_config_selectorIitEEZZNS1_16scan_by_key_implILNS1_25lookback_scan_determinismE0ELb0ES3_N6thrust23THRUST_200600_302600_NS6detail15normal_iteratorINS9_10device_ptrIiEEEENSB_INSC_ItEEEESG_tNS9_4plusIvEENS9_8equal_toIvEEtEE10hipError_tPvRmT2_T3_T4_T5_mT6_T7_P12ihipStream_tbENKUlT_T0_E_clISt17integral_constantIbLb1EES10_IbLb0EEEEDaSW_SX_EUlSW_E_NS1_11comp_targetILNS1_3genE10ELNS1_11target_archE1201ELNS1_3gpuE5ELNS1_3repE0EEENS1_30default_config_static_selectorELNS0_4arch9wavefront6targetE0EEEvT1_.uses_flat_scratch, 0
	.set _ZN7rocprim17ROCPRIM_400000_NS6detail17trampoline_kernelINS0_14default_configENS1_27scan_by_key_config_selectorIitEEZZNS1_16scan_by_key_implILNS1_25lookback_scan_determinismE0ELb0ES3_N6thrust23THRUST_200600_302600_NS6detail15normal_iteratorINS9_10device_ptrIiEEEENSB_INSC_ItEEEESG_tNS9_4plusIvEENS9_8equal_toIvEEtEE10hipError_tPvRmT2_T3_T4_T5_mT6_T7_P12ihipStream_tbENKUlT_T0_E_clISt17integral_constantIbLb1EES10_IbLb0EEEEDaSW_SX_EUlSW_E_NS1_11comp_targetILNS1_3genE10ELNS1_11target_archE1201ELNS1_3gpuE5ELNS1_3repE0EEENS1_30default_config_static_selectorELNS0_4arch9wavefront6targetE0EEEvT1_.has_dyn_sized_stack, 0
	.set _ZN7rocprim17ROCPRIM_400000_NS6detail17trampoline_kernelINS0_14default_configENS1_27scan_by_key_config_selectorIitEEZZNS1_16scan_by_key_implILNS1_25lookback_scan_determinismE0ELb0ES3_N6thrust23THRUST_200600_302600_NS6detail15normal_iteratorINS9_10device_ptrIiEEEENSB_INSC_ItEEEESG_tNS9_4plusIvEENS9_8equal_toIvEEtEE10hipError_tPvRmT2_T3_T4_T5_mT6_T7_P12ihipStream_tbENKUlT_T0_E_clISt17integral_constantIbLb1EES10_IbLb0EEEEDaSW_SX_EUlSW_E_NS1_11comp_targetILNS1_3genE10ELNS1_11target_archE1201ELNS1_3gpuE5ELNS1_3repE0EEENS1_30default_config_static_selectorELNS0_4arch9wavefront6targetE0EEEvT1_.has_recursion, 0
	.set _ZN7rocprim17ROCPRIM_400000_NS6detail17trampoline_kernelINS0_14default_configENS1_27scan_by_key_config_selectorIitEEZZNS1_16scan_by_key_implILNS1_25lookback_scan_determinismE0ELb0ES3_N6thrust23THRUST_200600_302600_NS6detail15normal_iteratorINS9_10device_ptrIiEEEENSB_INSC_ItEEEESG_tNS9_4plusIvEENS9_8equal_toIvEEtEE10hipError_tPvRmT2_T3_T4_T5_mT6_T7_P12ihipStream_tbENKUlT_T0_E_clISt17integral_constantIbLb1EES10_IbLb0EEEEDaSW_SX_EUlSW_E_NS1_11comp_targetILNS1_3genE10ELNS1_11target_archE1201ELNS1_3gpuE5ELNS1_3repE0EEENS1_30default_config_static_selectorELNS0_4arch9wavefront6targetE0EEEvT1_.has_indirect_call, 0
	.section	.AMDGPU.csdata,"",@progbits
; Kernel info:
; codeLenInByte = 0
; TotalNumSgprs: 0
; NumVgprs: 0
; ScratchSize: 0
; MemoryBound: 0
; FloatMode: 240
; IeeeMode: 1
; LDSByteSize: 0 bytes/workgroup (compile time only)
; SGPRBlocks: 0
; VGPRBlocks: 0
; NumSGPRsForWavesPerEU: 1
; NumVGPRsForWavesPerEU: 1
; Occupancy: 16
; WaveLimiterHint : 0
; COMPUTE_PGM_RSRC2:SCRATCH_EN: 0
; COMPUTE_PGM_RSRC2:USER_SGPR: 6
; COMPUTE_PGM_RSRC2:TRAP_HANDLER: 0
; COMPUTE_PGM_RSRC2:TGID_X_EN: 1
; COMPUTE_PGM_RSRC2:TGID_Y_EN: 0
; COMPUTE_PGM_RSRC2:TGID_Z_EN: 0
; COMPUTE_PGM_RSRC2:TIDIG_COMP_CNT: 0
	.section	.text._ZN7rocprim17ROCPRIM_400000_NS6detail17trampoline_kernelINS0_14default_configENS1_27scan_by_key_config_selectorIitEEZZNS1_16scan_by_key_implILNS1_25lookback_scan_determinismE0ELb0ES3_N6thrust23THRUST_200600_302600_NS6detail15normal_iteratorINS9_10device_ptrIiEEEENSB_INSC_ItEEEESG_tNS9_4plusIvEENS9_8equal_toIvEEtEE10hipError_tPvRmT2_T3_T4_T5_mT6_T7_P12ihipStream_tbENKUlT_T0_E_clISt17integral_constantIbLb1EES10_IbLb0EEEEDaSW_SX_EUlSW_E_NS1_11comp_targetILNS1_3genE5ELNS1_11target_archE942ELNS1_3gpuE9ELNS1_3repE0EEENS1_30default_config_static_selectorELNS0_4arch9wavefront6targetE0EEEvT1_,"axG",@progbits,_ZN7rocprim17ROCPRIM_400000_NS6detail17trampoline_kernelINS0_14default_configENS1_27scan_by_key_config_selectorIitEEZZNS1_16scan_by_key_implILNS1_25lookback_scan_determinismE0ELb0ES3_N6thrust23THRUST_200600_302600_NS6detail15normal_iteratorINS9_10device_ptrIiEEEENSB_INSC_ItEEEESG_tNS9_4plusIvEENS9_8equal_toIvEEtEE10hipError_tPvRmT2_T3_T4_T5_mT6_T7_P12ihipStream_tbENKUlT_T0_E_clISt17integral_constantIbLb1EES10_IbLb0EEEEDaSW_SX_EUlSW_E_NS1_11comp_targetILNS1_3genE5ELNS1_11target_archE942ELNS1_3gpuE9ELNS1_3repE0EEENS1_30default_config_static_selectorELNS0_4arch9wavefront6targetE0EEEvT1_,comdat
	.protected	_ZN7rocprim17ROCPRIM_400000_NS6detail17trampoline_kernelINS0_14default_configENS1_27scan_by_key_config_selectorIitEEZZNS1_16scan_by_key_implILNS1_25lookback_scan_determinismE0ELb0ES3_N6thrust23THRUST_200600_302600_NS6detail15normal_iteratorINS9_10device_ptrIiEEEENSB_INSC_ItEEEESG_tNS9_4plusIvEENS9_8equal_toIvEEtEE10hipError_tPvRmT2_T3_T4_T5_mT6_T7_P12ihipStream_tbENKUlT_T0_E_clISt17integral_constantIbLb1EES10_IbLb0EEEEDaSW_SX_EUlSW_E_NS1_11comp_targetILNS1_3genE5ELNS1_11target_archE942ELNS1_3gpuE9ELNS1_3repE0EEENS1_30default_config_static_selectorELNS0_4arch9wavefront6targetE0EEEvT1_ ; -- Begin function _ZN7rocprim17ROCPRIM_400000_NS6detail17trampoline_kernelINS0_14default_configENS1_27scan_by_key_config_selectorIitEEZZNS1_16scan_by_key_implILNS1_25lookback_scan_determinismE0ELb0ES3_N6thrust23THRUST_200600_302600_NS6detail15normal_iteratorINS9_10device_ptrIiEEEENSB_INSC_ItEEEESG_tNS9_4plusIvEENS9_8equal_toIvEEtEE10hipError_tPvRmT2_T3_T4_T5_mT6_T7_P12ihipStream_tbENKUlT_T0_E_clISt17integral_constantIbLb1EES10_IbLb0EEEEDaSW_SX_EUlSW_E_NS1_11comp_targetILNS1_3genE5ELNS1_11target_archE942ELNS1_3gpuE9ELNS1_3repE0EEENS1_30default_config_static_selectorELNS0_4arch9wavefront6targetE0EEEvT1_
	.globl	_ZN7rocprim17ROCPRIM_400000_NS6detail17trampoline_kernelINS0_14default_configENS1_27scan_by_key_config_selectorIitEEZZNS1_16scan_by_key_implILNS1_25lookback_scan_determinismE0ELb0ES3_N6thrust23THRUST_200600_302600_NS6detail15normal_iteratorINS9_10device_ptrIiEEEENSB_INSC_ItEEEESG_tNS9_4plusIvEENS9_8equal_toIvEEtEE10hipError_tPvRmT2_T3_T4_T5_mT6_T7_P12ihipStream_tbENKUlT_T0_E_clISt17integral_constantIbLb1EES10_IbLb0EEEEDaSW_SX_EUlSW_E_NS1_11comp_targetILNS1_3genE5ELNS1_11target_archE942ELNS1_3gpuE9ELNS1_3repE0EEENS1_30default_config_static_selectorELNS0_4arch9wavefront6targetE0EEEvT1_
	.p2align	8
	.type	_ZN7rocprim17ROCPRIM_400000_NS6detail17trampoline_kernelINS0_14default_configENS1_27scan_by_key_config_selectorIitEEZZNS1_16scan_by_key_implILNS1_25lookback_scan_determinismE0ELb0ES3_N6thrust23THRUST_200600_302600_NS6detail15normal_iteratorINS9_10device_ptrIiEEEENSB_INSC_ItEEEESG_tNS9_4plusIvEENS9_8equal_toIvEEtEE10hipError_tPvRmT2_T3_T4_T5_mT6_T7_P12ihipStream_tbENKUlT_T0_E_clISt17integral_constantIbLb1EES10_IbLb0EEEEDaSW_SX_EUlSW_E_NS1_11comp_targetILNS1_3genE5ELNS1_11target_archE942ELNS1_3gpuE9ELNS1_3repE0EEENS1_30default_config_static_selectorELNS0_4arch9wavefront6targetE0EEEvT1_,@function
_ZN7rocprim17ROCPRIM_400000_NS6detail17trampoline_kernelINS0_14default_configENS1_27scan_by_key_config_selectorIitEEZZNS1_16scan_by_key_implILNS1_25lookback_scan_determinismE0ELb0ES3_N6thrust23THRUST_200600_302600_NS6detail15normal_iteratorINS9_10device_ptrIiEEEENSB_INSC_ItEEEESG_tNS9_4plusIvEENS9_8equal_toIvEEtEE10hipError_tPvRmT2_T3_T4_T5_mT6_T7_P12ihipStream_tbENKUlT_T0_E_clISt17integral_constantIbLb1EES10_IbLb0EEEEDaSW_SX_EUlSW_E_NS1_11comp_targetILNS1_3genE5ELNS1_11target_archE942ELNS1_3gpuE9ELNS1_3repE0EEENS1_30default_config_static_selectorELNS0_4arch9wavefront6targetE0EEEvT1_: ; @_ZN7rocprim17ROCPRIM_400000_NS6detail17trampoline_kernelINS0_14default_configENS1_27scan_by_key_config_selectorIitEEZZNS1_16scan_by_key_implILNS1_25lookback_scan_determinismE0ELb0ES3_N6thrust23THRUST_200600_302600_NS6detail15normal_iteratorINS9_10device_ptrIiEEEENSB_INSC_ItEEEESG_tNS9_4plusIvEENS9_8equal_toIvEEtEE10hipError_tPvRmT2_T3_T4_T5_mT6_T7_P12ihipStream_tbENKUlT_T0_E_clISt17integral_constantIbLb1EES10_IbLb0EEEEDaSW_SX_EUlSW_E_NS1_11comp_targetILNS1_3genE5ELNS1_11target_archE942ELNS1_3gpuE9ELNS1_3repE0EEENS1_30default_config_static_selectorELNS0_4arch9wavefront6targetE0EEEvT1_
; %bb.0:
	.section	.rodata,"a",@progbits
	.p2align	6, 0x0
	.amdhsa_kernel _ZN7rocprim17ROCPRIM_400000_NS6detail17trampoline_kernelINS0_14default_configENS1_27scan_by_key_config_selectorIitEEZZNS1_16scan_by_key_implILNS1_25lookback_scan_determinismE0ELb0ES3_N6thrust23THRUST_200600_302600_NS6detail15normal_iteratorINS9_10device_ptrIiEEEENSB_INSC_ItEEEESG_tNS9_4plusIvEENS9_8equal_toIvEEtEE10hipError_tPvRmT2_T3_T4_T5_mT6_T7_P12ihipStream_tbENKUlT_T0_E_clISt17integral_constantIbLb1EES10_IbLb0EEEEDaSW_SX_EUlSW_E_NS1_11comp_targetILNS1_3genE5ELNS1_11target_archE942ELNS1_3gpuE9ELNS1_3repE0EEENS1_30default_config_static_selectorELNS0_4arch9wavefront6targetE0EEEvT1_
		.amdhsa_group_segment_fixed_size 0
		.amdhsa_private_segment_fixed_size 0
		.amdhsa_kernarg_size 112
		.amdhsa_user_sgpr_count 6
		.amdhsa_user_sgpr_private_segment_buffer 1
		.amdhsa_user_sgpr_dispatch_ptr 0
		.amdhsa_user_sgpr_queue_ptr 0
		.amdhsa_user_sgpr_kernarg_segment_ptr 1
		.amdhsa_user_sgpr_dispatch_id 0
		.amdhsa_user_sgpr_flat_scratch_init 0
		.amdhsa_user_sgpr_private_segment_size 0
		.amdhsa_wavefront_size32 1
		.amdhsa_uses_dynamic_stack 0
		.amdhsa_system_sgpr_private_segment_wavefront_offset 0
		.amdhsa_system_sgpr_workgroup_id_x 1
		.amdhsa_system_sgpr_workgroup_id_y 0
		.amdhsa_system_sgpr_workgroup_id_z 0
		.amdhsa_system_sgpr_workgroup_info 0
		.amdhsa_system_vgpr_workitem_id 0
		.amdhsa_next_free_vgpr 1
		.amdhsa_next_free_sgpr 1
		.amdhsa_reserve_vcc 0
		.amdhsa_reserve_flat_scratch 0
		.amdhsa_float_round_mode_32 0
		.amdhsa_float_round_mode_16_64 0
		.amdhsa_float_denorm_mode_32 3
		.amdhsa_float_denorm_mode_16_64 3
		.amdhsa_dx10_clamp 1
		.amdhsa_ieee_mode 1
		.amdhsa_fp16_overflow 0
		.amdhsa_workgroup_processor_mode 1
		.amdhsa_memory_ordered 1
		.amdhsa_forward_progress 1
		.amdhsa_shared_vgpr_count 0
		.amdhsa_exception_fp_ieee_invalid_op 0
		.amdhsa_exception_fp_denorm_src 0
		.amdhsa_exception_fp_ieee_div_zero 0
		.amdhsa_exception_fp_ieee_overflow 0
		.amdhsa_exception_fp_ieee_underflow 0
		.amdhsa_exception_fp_ieee_inexact 0
		.amdhsa_exception_int_div_zero 0
	.end_amdhsa_kernel
	.section	.text._ZN7rocprim17ROCPRIM_400000_NS6detail17trampoline_kernelINS0_14default_configENS1_27scan_by_key_config_selectorIitEEZZNS1_16scan_by_key_implILNS1_25lookback_scan_determinismE0ELb0ES3_N6thrust23THRUST_200600_302600_NS6detail15normal_iteratorINS9_10device_ptrIiEEEENSB_INSC_ItEEEESG_tNS9_4plusIvEENS9_8equal_toIvEEtEE10hipError_tPvRmT2_T3_T4_T5_mT6_T7_P12ihipStream_tbENKUlT_T0_E_clISt17integral_constantIbLb1EES10_IbLb0EEEEDaSW_SX_EUlSW_E_NS1_11comp_targetILNS1_3genE5ELNS1_11target_archE942ELNS1_3gpuE9ELNS1_3repE0EEENS1_30default_config_static_selectorELNS0_4arch9wavefront6targetE0EEEvT1_,"axG",@progbits,_ZN7rocprim17ROCPRIM_400000_NS6detail17trampoline_kernelINS0_14default_configENS1_27scan_by_key_config_selectorIitEEZZNS1_16scan_by_key_implILNS1_25lookback_scan_determinismE0ELb0ES3_N6thrust23THRUST_200600_302600_NS6detail15normal_iteratorINS9_10device_ptrIiEEEENSB_INSC_ItEEEESG_tNS9_4plusIvEENS9_8equal_toIvEEtEE10hipError_tPvRmT2_T3_T4_T5_mT6_T7_P12ihipStream_tbENKUlT_T0_E_clISt17integral_constantIbLb1EES10_IbLb0EEEEDaSW_SX_EUlSW_E_NS1_11comp_targetILNS1_3genE5ELNS1_11target_archE942ELNS1_3gpuE9ELNS1_3repE0EEENS1_30default_config_static_selectorELNS0_4arch9wavefront6targetE0EEEvT1_,comdat
.Lfunc_end1291:
	.size	_ZN7rocprim17ROCPRIM_400000_NS6detail17trampoline_kernelINS0_14default_configENS1_27scan_by_key_config_selectorIitEEZZNS1_16scan_by_key_implILNS1_25lookback_scan_determinismE0ELb0ES3_N6thrust23THRUST_200600_302600_NS6detail15normal_iteratorINS9_10device_ptrIiEEEENSB_INSC_ItEEEESG_tNS9_4plusIvEENS9_8equal_toIvEEtEE10hipError_tPvRmT2_T3_T4_T5_mT6_T7_P12ihipStream_tbENKUlT_T0_E_clISt17integral_constantIbLb1EES10_IbLb0EEEEDaSW_SX_EUlSW_E_NS1_11comp_targetILNS1_3genE5ELNS1_11target_archE942ELNS1_3gpuE9ELNS1_3repE0EEENS1_30default_config_static_selectorELNS0_4arch9wavefront6targetE0EEEvT1_, .Lfunc_end1291-_ZN7rocprim17ROCPRIM_400000_NS6detail17trampoline_kernelINS0_14default_configENS1_27scan_by_key_config_selectorIitEEZZNS1_16scan_by_key_implILNS1_25lookback_scan_determinismE0ELb0ES3_N6thrust23THRUST_200600_302600_NS6detail15normal_iteratorINS9_10device_ptrIiEEEENSB_INSC_ItEEEESG_tNS9_4plusIvEENS9_8equal_toIvEEtEE10hipError_tPvRmT2_T3_T4_T5_mT6_T7_P12ihipStream_tbENKUlT_T0_E_clISt17integral_constantIbLb1EES10_IbLb0EEEEDaSW_SX_EUlSW_E_NS1_11comp_targetILNS1_3genE5ELNS1_11target_archE942ELNS1_3gpuE9ELNS1_3repE0EEENS1_30default_config_static_selectorELNS0_4arch9wavefront6targetE0EEEvT1_
                                        ; -- End function
	.set _ZN7rocprim17ROCPRIM_400000_NS6detail17trampoline_kernelINS0_14default_configENS1_27scan_by_key_config_selectorIitEEZZNS1_16scan_by_key_implILNS1_25lookback_scan_determinismE0ELb0ES3_N6thrust23THRUST_200600_302600_NS6detail15normal_iteratorINS9_10device_ptrIiEEEENSB_INSC_ItEEEESG_tNS9_4plusIvEENS9_8equal_toIvEEtEE10hipError_tPvRmT2_T3_T4_T5_mT6_T7_P12ihipStream_tbENKUlT_T0_E_clISt17integral_constantIbLb1EES10_IbLb0EEEEDaSW_SX_EUlSW_E_NS1_11comp_targetILNS1_3genE5ELNS1_11target_archE942ELNS1_3gpuE9ELNS1_3repE0EEENS1_30default_config_static_selectorELNS0_4arch9wavefront6targetE0EEEvT1_.num_vgpr, 0
	.set _ZN7rocprim17ROCPRIM_400000_NS6detail17trampoline_kernelINS0_14default_configENS1_27scan_by_key_config_selectorIitEEZZNS1_16scan_by_key_implILNS1_25lookback_scan_determinismE0ELb0ES3_N6thrust23THRUST_200600_302600_NS6detail15normal_iteratorINS9_10device_ptrIiEEEENSB_INSC_ItEEEESG_tNS9_4plusIvEENS9_8equal_toIvEEtEE10hipError_tPvRmT2_T3_T4_T5_mT6_T7_P12ihipStream_tbENKUlT_T0_E_clISt17integral_constantIbLb1EES10_IbLb0EEEEDaSW_SX_EUlSW_E_NS1_11comp_targetILNS1_3genE5ELNS1_11target_archE942ELNS1_3gpuE9ELNS1_3repE0EEENS1_30default_config_static_selectorELNS0_4arch9wavefront6targetE0EEEvT1_.num_agpr, 0
	.set _ZN7rocprim17ROCPRIM_400000_NS6detail17trampoline_kernelINS0_14default_configENS1_27scan_by_key_config_selectorIitEEZZNS1_16scan_by_key_implILNS1_25lookback_scan_determinismE0ELb0ES3_N6thrust23THRUST_200600_302600_NS6detail15normal_iteratorINS9_10device_ptrIiEEEENSB_INSC_ItEEEESG_tNS9_4plusIvEENS9_8equal_toIvEEtEE10hipError_tPvRmT2_T3_T4_T5_mT6_T7_P12ihipStream_tbENKUlT_T0_E_clISt17integral_constantIbLb1EES10_IbLb0EEEEDaSW_SX_EUlSW_E_NS1_11comp_targetILNS1_3genE5ELNS1_11target_archE942ELNS1_3gpuE9ELNS1_3repE0EEENS1_30default_config_static_selectorELNS0_4arch9wavefront6targetE0EEEvT1_.numbered_sgpr, 0
	.set _ZN7rocprim17ROCPRIM_400000_NS6detail17trampoline_kernelINS0_14default_configENS1_27scan_by_key_config_selectorIitEEZZNS1_16scan_by_key_implILNS1_25lookback_scan_determinismE0ELb0ES3_N6thrust23THRUST_200600_302600_NS6detail15normal_iteratorINS9_10device_ptrIiEEEENSB_INSC_ItEEEESG_tNS9_4plusIvEENS9_8equal_toIvEEtEE10hipError_tPvRmT2_T3_T4_T5_mT6_T7_P12ihipStream_tbENKUlT_T0_E_clISt17integral_constantIbLb1EES10_IbLb0EEEEDaSW_SX_EUlSW_E_NS1_11comp_targetILNS1_3genE5ELNS1_11target_archE942ELNS1_3gpuE9ELNS1_3repE0EEENS1_30default_config_static_selectorELNS0_4arch9wavefront6targetE0EEEvT1_.num_named_barrier, 0
	.set _ZN7rocprim17ROCPRIM_400000_NS6detail17trampoline_kernelINS0_14default_configENS1_27scan_by_key_config_selectorIitEEZZNS1_16scan_by_key_implILNS1_25lookback_scan_determinismE0ELb0ES3_N6thrust23THRUST_200600_302600_NS6detail15normal_iteratorINS9_10device_ptrIiEEEENSB_INSC_ItEEEESG_tNS9_4plusIvEENS9_8equal_toIvEEtEE10hipError_tPvRmT2_T3_T4_T5_mT6_T7_P12ihipStream_tbENKUlT_T0_E_clISt17integral_constantIbLb1EES10_IbLb0EEEEDaSW_SX_EUlSW_E_NS1_11comp_targetILNS1_3genE5ELNS1_11target_archE942ELNS1_3gpuE9ELNS1_3repE0EEENS1_30default_config_static_selectorELNS0_4arch9wavefront6targetE0EEEvT1_.private_seg_size, 0
	.set _ZN7rocprim17ROCPRIM_400000_NS6detail17trampoline_kernelINS0_14default_configENS1_27scan_by_key_config_selectorIitEEZZNS1_16scan_by_key_implILNS1_25lookback_scan_determinismE0ELb0ES3_N6thrust23THRUST_200600_302600_NS6detail15normal_iteratorINS9_10device_ptrIiEEEENSB_INSC_ItEEEESG_tNS9_4plusIvEENS9_8equal_toIvEEtEE10hipError_tPvRmT2_T3_T4_T5_mT6_T7_P12ihipStream_tbENKUlT_T0_E_clISt17integral_constantIbLb1EES10_IbLb0EEEEDaSW_SX_EUlSW_E_NS1_11comp_targetILNS1_3genE5ELNS1_11target_archE942ELNS1_3gpuE9ELNS1_3repE0EEENS1_30default_config_static_selectorELNS0_4arch9wavefront6targetE0EEEvT1_.uses_vcc, 0
	.set _ZN7rocprim17ROCPRIM_400000_NS6detail17trampoline_kernelINS0_14default_configENS1_27scan_by_key_config_selectorIitEEZZNS1_16scan_by_key_implILNS1_25lookback_scan_determinismE0ELb0ES3_N6thrust23THRUST_200600_302600_NS6detail15normal_iteratorINS9_10device_ptrIiEEEENSB_INSC_ItEEEESG_tNS9_4plusIvEENS9_8equal_toIvEEtEE10hipError_tPvRmT2_T3_T4_T5_mT6_T7_P12ihipStream_tbENKUlT_T0_E_clISt17integral_constantIbLb1EES10_IbLb0EEEEDaSW_SX_EUlSW_E_NS1_11comp_targetILNS1_3genE5ELNS1_11target_archE942ELNS1_3gpuE9ELNS1_3repE0EEENS1_30default_config_static_selectorELNS0_4arch9wavefront6targetE0EEEvT1_.uses_flat_scratch, 0
	.set _ZN7rocprim17ROCPRIM_400000_NS6detail17trampoline_kernelINS0_14default_configENS1_27scan_by_key_config_selectorIitEEZZNS1_16scan_by_key_implILNS1_25lookback_scan_determinismE0ELb0ES3_N6thrust23THRUST_200600_302600_NS6detail15normal_iteratorINS9_10device_ptrIiEEEENSB_INSC_ItEEEESG_tNS9_4plusIvEENS9_8equal_toIvEEtEE10hipError_tPvRmT2_T3_T4_T5_mT6_T7_P12ihipStream_tbENKUlT_T0_E_clISt17integral_constantIbLb1EES10_IbLb0EEEEDaSW_SX_EUlSW_E_NS1_11comp_targetILNS1_3genE5ELNS1_11target_archE942ELNS1_3gpuE9ELNS1_3repE0EEENS1_30default_config_static_selectorELNS0_4arch9wavefront6targetE0EEEvT1_.has_dyn_sized_stack, 0
	.set _ZN7rocprim17ROCPRIM_400000_NS6detail17trampoline_kernelINS0_14default_configENS1_27scan_by_key_config_selectorIitEEZZNS1_16scan_by_key_implILNS1_25lookback_scan_determinismE0ELb0ES3_N6thrust23THRUST_200600_302600_NS6detail15normal_iteratorINS9_10device_ptrIiEEEENSB_INSC_ItEEEESG_tNS9_4plusIvEENS9_8equal_toIvEEtEE10hipError_tPvRmT2_T3_T4_T5_mT6_T7_P12ihipStream_tbENKUlT_T0_E_clISt17integral_constantIbLb1EES10_IbLb0EEEEDaSW_SX_EUlSW_E_NS1_11comp_targetILNS1_3genE5ELNS1_11target_archE942ELNS1_3gpuE9ELNS1_3repE0EEENS1_30default_config_static_selectorELNS0_4arch9wavefront6targetE0EEEvT1_.has_recursion, 0
	.set _ZN7rocprim17ROCPRIM_400000_NS6detail17trampoline_kernelINS0_14default_configENS1_27scan_by_key_config_selectorIitEEZZNS1_16scan_by_key_implILNS1_25lookback_scan_determinismE0ELb0ES3_N6thrust23THRUST_200600_302600_NS6detail15normal_iteratorINS9_10device_ptrIiEEEENSB_INSC_ItEEEESG_tNS9_4plusIvEENS9_8equal_toIvEEtEE10hipError_tPvRmT2_T3_T4_T5_mT6_T7_P12ihipStream_tbENKUlT_T0_E_clISt17integral_constantIbLb1EES10_IbLb0EEEEDaSW_SX_EUlSW_E_NS1_11comp_targetILNS1_3genE5ELNS1_11target_archE942ELNS1_3gpuE9ELNS1_3repE0EEENS1_30default_config_static_selectorELNS0_4arch9wavefront6targetE0EEEvT1_.has_indirect_call, 0
	.section	.AMDGPU.csdata,"",@progbits
; Kernel info:
; codeLenInByte = 0
; TotalNumSgprs: 0
; NumVgprs: 0
; ScratchSize: 0
; MemoryBound: 0
; FloatMode: 240
; IeeeMode: 1
; LDSByteSize: 0 bytes/workgroup (compile time only)
; SGPRBlocks: 0
; VGPRBlocks: 0
; NumSGPRsForWavesPerEU: 1
; NumVGPRsForWavesPerEU: 1
; Occupancy: 16
; WaveLimiterHint : 0
; COMPUTE_PGM_RSRC2:SCRATCH_EN: 0
; COMPUTE_PGM_RSRC2:USER_SGPR: 6
; COMPUTE_PGM_RSRC2:TRAP_HANDLER: 0
; COMPUTE_PGM_RSRC2:TGID_X_EN: 1
; COMPUTE_PGM_RSRC2:TGID_Y_EN: 0
; COMPUTE_PGM_RSRC2:TGID_Z_EN: 0
; COMPUTE_PGM_RSRC2:TIDIG_COMP_CNT: 0
	.section	.text._ZN7rocprim17ROCPRIM_400000_NS6detail17trampoline_kernelINS0_14default_configENS1_27scan_by_key_config_selectorIitEEZZNS1_16scan_by_key_implILNS1_25lookback_scan_determinismE0ELb0ES3_N6thrust23THRUST_200600_302600_NS6detail15normal_iteratorINS9_10device_ptrIiEEEENSB_INSC_ItEEEESG_tNS9_4plusIvEENS9_8equal_toIvEEtEE10hipError_tPvRmT2_T3_T4_T5_mT6_T7_P12ihipStream_tbENKUlT_T0_E_clISt17integral_constantIbLb1EES10_IbLb0EEEEDaSW_SX_EUlSW_E_NS1_11comp_targetILNS1_3genE4ELNS1_11target_archE910ELNS1_3gpuE8ELNS1_3repE0EEENS1_30default_config_static_selectorELNS0_4arch9wavefront6targetE0EEEvT1_,"axG",@progbits,_ZN7rocprim17ROCPRIM_400000_NS6detail17trampoline_kernelINS0_14default_configENS1_27scan_by_key_config_selectorIitEEZZNS1_16scan_by_key_implILNS1_25lookback_scan_determinismE0ELb0ES3_N6thrust23THRUST_200600_302600_NS6detail15normal_iteratorINS9_10device_ptrIiEEEENSB_INSC_ItEEEESG_tNS9_4plusIvEENS9_8equal_toIvEEtEE10hipError_tPvRmT2_T3_T4_T5_mT6_T7_P12ihipStream_tbENKUlT_T0_E_clISt17integral_constantIbLb1EES10_IbLb0EEEEDaSW_SX_EUlSW_E_NS1_11comp_targetILNS1_3genE4ELNS1_11target_archE910ELNS1_3gpuE8ELNS1_3repE0EEENS1_30default_config_static_selectorELNS0_4arch9wavefront6targetE0EEEvT1_,comdat
	.protected	_ZN7rocprim17ROCPRIM_400000_NS6detail17trampoline_kernelINS0_14default_configENS1_27scan_by_key_config_selectorIitEEZZNS1_16scan_by_key_implILNS1_25lookback_scan_determinismE0ELb0ES3_N6thrust23THRUST_200600_302600_NS6detail15normal_iteratorINS9_10device_ptrIiEEEENSB_INSC_ItEEEESG_tNS9_4plusIvEENS9_8equal_toIvEEtEE10hipError_tPvRmT2_T3_T4_T5_mT6_T7_P12ihipStream_tbENKUlT_T0_E_clISt17integral_constantIbLb1EES10_IbLb0EEEEDaSW_SX_EUlSW_E_NS1_11comp_targetILNS1_3genE4ELNS1_11target_archE910ELNS1_3gpuE8ELNS1_3repE0EEENS1_30default_config_static_selectorELNS0_4arch9wavefront6targetE0EEEvT1_ ; -- Begin function _ZN7rocprim17ROCPRIM_400000_NS6detail17trampoline_kernelINS0_14default_configENS1_27scan_by_key_config_selectorIitEEZZNS1_16scan_by_key_implILNS1_25lookback_scan_determinismE0ELb0ES3_N6thrust23THRUST_200600_302600_NS6detail15normal_iteratorINS9_10device_ptrIiEEEENSB_INSC_ItEEEESG_tNS9_4plusIvEENS9_8equal_toIvEEtEE10hipError_tPvRmT2_T3_T4_T5_mT6_T7_P12ihipStream_tbENKUlT_T0_E_clISt17integral_constantIbLb1EES10_IbLb0EEEEDaSW_SX_EUlSW_E_NS1_11comp_targetILNS1_3genE4ELNS1_11target_archE910ELNS1_3gpuE8ELNS1_3repE0EEENS1_30default_config_static_selectorELNS0_4arch9wavefront6targetE0EEEvT1_
	.globl	_ZN7rocprim17ROCPRIM_400000_NS6detail17trampoline_kernelINS0_14default_configENS1_27scan_by_key_config_selectorIitEEZZNS1_16scan_by_key_implILNS1_25lookback_scan_determinismE0ELb0ES3_N6thrust23THRUST_200600_302600_NS6detail15normal_iteratorINS9_10device_ptrIiEEEENSB_INSC_ItEEEESG_tNS9_4plusIvEENS9_8equal_toIvEEtEE10hipError_tPvRmT2_T3_T4_T5_mT6_T7_P12ihipStream_tbENKUlT_T0_E_clISt17integral_constantIbLb1EES10_IbLb0EEEEDaSW_SX_EUlSW_E_NS1_11comp_targetILNS1_3genE4ELNS1_11target_archE910ELNS1_3gpuE8ELNS1_3repE0EEENS1_30default_config_static_selectorELNS0_4arch9wavefront6targetE0EEEvT1_
	.p2align	8
	.type	_ZN7rocprim17ROCPRIM_400000_NS6detail17trampoline_kernelINS0_14default_configENS1_27scan_by_key_config_selectorIitEEZZNS1_16scan_by_key_implILNS1_25lookback_scan_determinismE0ELb0ES3_N6thrust23THRUST_200600_302600_NS6detail15normal_iteratorINS9_10device_ptrIiEEEENSB_INSC_ItEEEESG_tNS9_4plusIvEENS9_8equal_toIvEEtEE10hipError_tPvRmT2_T3_T4_T5_mT6_T7_P12ihipStream_tbENKUlT_T0_E_clISt17integral_constantIbLb1EES10_IbLb0EEEEDaSW_SX_EUlSW_E_NS1_11comp_targetILNS1_3genE4ELNS1_11target_archE910ELNS1_3gpuE8ELNS1_3repE0EEENS1_30default_config_static_selectorELNS0_4arch9wavefront6targetE0EEEvT1_,@function
_ZN7rocprim17ROCPRIM_400000_NS6detail17trampoline_kernelINS0_14default_configENS1_27scan_by_key_config_selectorIitEEZZNS1_16scan_by_key_implILNS1_25lookback_scan_determinismE0ELb0ES3_N6thrust23THRUST_200600_302600_NS6detail15normal_iteratorINS9_10device_ptrIiEEEENSB_INSC_ItEEEESG_tNS9_4plusIvEENS9_8equal_toIvEEtEE10hipError_tPvRmT2_T3_T4_T5_mT6_T7_P12ihipStream_tbENKUlT_T0_E_clISt17integral_constantIbLb1EES10_IbLb0EEEEDaSW_SX_EUlSW_E_NS1_11comp_targetILNS1_3genE4ELNS1_11target_archE910ELNS1_3gpuE8ELNS1_3repE0EEENS1_30default_config_static_selectorELNS0_4arch9wavefront6targetE0EEEvT1_: ; @_ZN7rocprim17ROCPRIM_400000_NS6detail17trampoline_kernelINS0_14default_configENS1_27scan_by_key_config_selectorIitEEZZNS1_16scan_by_key_implILNS1_25lookback_scan_determinismE0ELb0ES3_N6thrust23THRUST_200600_302600_NS6detail15normal_iteratorINS9_10device_ptrIiEEEENSB_INSC_ItEEEESG_tNS9_4plusIvEENS9_8equal_toIvEEtEE10hipError_tPvRmT2_T3_T4_T5_mT6_T7_P12ihipStream_tbENKUlT_T0_E_clISt17integral_constantIbLb1EES10_IbLb0EEEEDaSW_SX_EUlSW_E_NS1_11comp_targetILNS1_3genE4ELNS1_11target_archE910ELNS1_3gpuE8ELNS1_3repE0EEENS1_30default_config_static_selectorELNS0_4arch9wavefront6targetE0EEEvT1_
; %bb.0:
	.section	.rodata,"a",@progbits
	.p2align	6, 0x0
	.amdhsa_kernel _ZN7rocprim17ROCPRIM_400000_NS6detail17trampoline_kernelINS0_14default_configENS1_27scan_by_key_config_selectorIitEEZZNS1_16scan_by_key_implILNS1_25lookback_scan_determinismE0ELb0ES3_N6thrust23THRUST_200600_302600_NS6detail15normal_iteratorINS9_10device_ptrIiEEEENSB_INSC_ItEEEESG_tNS9_4plusIvEENS9_8equal_toIvEEtEE10hipError_tPvRmT2_T3_T4_T5_mT6_T7_P12ihipStream_tbENKUlT_T0_E_clISt17integral_constantIbLb1EES10_IbLb0EEEEDaSW_SX_EUlSW_E_NS1_11comp_targetILNS1_3genE4ELNS1_11target_archE910ELNS1_3gpuE8ELNS1_3repE0EEENS1_30default_config_static_selectorELNS0_4arch9wavefront6targetE0EEEvT1_
		.amdhsa_group_segment_fixed_size 0
		.amdhsa_private_segment_fixed_size 0
		.amdhsa_kernarg_size 112
		.amdhsa_user_sgpr_count 6
		.amdhsa_user_sgpr_private_segment_buffer 1
		.amdhsa_user_sgpr_dispatch_ptr 0
		.amdhsa_user_sgpr_queue_ptr 0
		.amdhsa_user_sgpr_kernarg_segment_ptr 1
		.amdhsa_user_sgpr_dispatch_id 0
		.amdhsa_user_sgpr_flat_scratch_init 0
		.amdhsa_user_sgpr_private_segment_size 0
		.amdhsa_wavefront_size32 1
		.amdhsa_uses_dynamic_stack 0
		.amdhsa_system_sgpr_private_segment_wavefront_offset 0
		.amdhsa_system_sgpr_workgroup_id_x 1
		.amdhsa_system_sgpr_workgroup_id_y 0
		.amdhsa_system_sgpr_workgroup_id_z 0
		.amdhsa_system_sgpr_workgroup_info 0
		.amdhsa_system_vgpr_workitem_id 0
		.amdhsa_next_free_vgpr 1
		.amdhsa_next_free_sgpr 1
		.amdhsa_reserve_vcc 0
		.amdhsa_reserve_flat_scratch 0
		.amdhsa_float_round_mode_32 0
		.amdhsa_float_round_mode_16_64 0
		.amdhsa_float_denorm_mode_32 3
		.amdhsa_float_denorm_mode_16_64 3
		.amdhsa_dx10_clamp 1
		.amdhsa_ieee_mode 1
		.amdhsa_fp16_overflow 0
		.amdhsa_workgroup_processor_mode 1
		.amdhsa_memory_ordered 1
		.amdhsa_forward_progress 1
		.amdhsa_shared_vgpr_count 0
		.amdhsa_exception_fp_ieee_invalid_op 0
		.amdhsa_exception_fp_denorm_src 0
		.amdhsa_exception_fp_ieee_div_zero 0
		.amdhsa_exception_fp_ieee_overflow 0
		.amdhsa_exception_fp_ieee_underflow 0
		.amdhsa_exception_fp_ieee_inexact 0
		.amdhsa_exception_int_div_zero 0
	.end_amdhsa_kernel
	.section	.text._ZN7rocprim17ROCPRIM_400000_NS6detail17trampoline_kernelINS0_14default_configENS1_27scan_by_key_config_selectorIitEEZZNS1_16scan_by_key_implILNS1_25lookback_scan_determinismE0ELb0ES3_N6thrust23THRUST_200600_302600_NS6detail15normal_iteratorINS9_10device_ptrIiEEEENSB_INSC_ItEEEESG_tNS9_4plusIvEENS9_8equal_toIvEEtEE10hipError_tPvRmT2_T3_T4_T5_mT6_T7_P12ihipStream_tbENKUlT_T0_E_clISt17integral_constantIbLb1EES10_IbLb0EEEEDaSW_SX_EUlSW_E_NS1_11comp_targetILNS1_3genE4ELNS1_11target_archE910ELNS1_3gpuE8ELNS1_3repE0EEENS1_30default_config_static_selectorELNS0_4arch9wavefront6targetE0EEEvT1_,"axG",@progbits,_ZN7rocprim17ROCPRIM_400000_NS6detail17trampoline_kernelINS0_14default_configENS1_27scan_by_key_config_selectorIitEEZZNS1_16scan_by_key_implILNS1_25lookback_scan_determinismE0ELb0ES3_N6thrust23THRUST_200600_302600_NS6detail15normal_iteratorINS9_10device_ptrIiEEEENSB_INSC_ItEEEESG_tNS9_4plusIvEENS9_8equal_toIvEEtEE10hipError_tPvRmT2_T3_T4_T5_mT6_T7_P12ihipStream_tbENKUlT_T0_E_clISt17integral_constantIbLb1EES10_IbLb0EEEEDaSW_SX_EUlSW_E_NS1_11comp_targetILNS1_3genE4ELNS1_11target_archE910ELNS1_3gpuE8ELNS1_3repE0EEENS1_30default_config_static_selectorELNS0_4arch9wavefront6targetE0EEEvT1_,comdat
.Lfunc_end1292:
	.size	_ZN7rocprim17ROCPRIM_400000_NS6detail17trampoline_kernelINS0_14default_configENS1_27scan_by_key_config_selectorIitEEZZNS1_16scan_by_key_implILNS1_25lookback_scan_determinismE0ELb0ES3_N6thrust23THRUST_200600_302600_NS6detail15normal_iteratorINS9_10device_ptrIiEEEENSB_INSC_ItEEEESG_tNS9_4plusIvEENS9_8equal_toIvEEtEE10hipError_tPvRmT2_T3_T4_T5_mT6_T7_P12ihipStream_tbENKUlT_T0_E_clISt17integral_constantIbLb1EES10_IbLb0EEEEDaSW_SX_EUlSW_E_NS1_11comp_targetILNS1_3genE4ELNS1_11target_archE910ELNS1_3gpuE8ELNS1_3repE0EEENS1_30default_config_static_selectorELNS0_4arch9wavefront6targetE0EEEvT1_, .Lfunc_end1292-_ZN7rocprim17ROCPRIM_400000_NS6detail17trampoline_kernelINS0_14default_configENS1_27scan_by_key_config_selectorIitEEZZNS1_16scan_by_key_implILNS1_25lookback_scan_determinismE0ELb0ES3_N6thrust23THRUST_200600_302600_NS6detail15normal_iteratorINS9_10device_ptrIiEEEENSB_INSC_ItEEEESG_tNS9_4plusIvEENS9_8equal_toIvEEtEE10hipError_tPvRmT2_T3_T4_T5_mT6_T7_P12ihipStream_tbENKUlT_T0_E_clISt17integral_constantIbLb1EES10_IbLb0EEEEDaSW_SX_EUlSW_E_NS1_11comp_targetILNS1_3genE4ELNS1_11target_archE910ELNS1_3gpuE8ELNS1_3repE0EEENS1_30default_config_static_selectorELNS0_4arch9wavefront6targetE0EEEvT1_
                                        ; -- End function
	.set _ZN7rocprim17ROCPRIM_400000_NS6detail17trampoline_kernelINS0_14default_configENS1_27scan_by_key_config_selectorIitEEZZNS1_16scan_by_key_implILNS1_25lookback_scan_determinismE0ELb0ES3_N6thrust23THRUST_200600_302600_NS6detail15normal_iteratorINS9_10device_ptrIiEEEENSB_INSC_ItEEEESG_tNS9_4plusIvEENS9_8equal_toIvEEtEE10hipError_tPvRmT2_T3_T4_T5_mT6_T7_P12ihipStream_tbENKUlT_T0_E_clISt17integral_constantIbLb1EES10_IbLb0EEEEDaSW_SX_EUlSW_E_NS1_11comp_targetILNS1_3genE4ELNS1_11target_archE910ELNS1_3gpuE8ELNS1_3repE0EEENS1_30default_config_static_selectorELNS0_4arch9wavefront6targetE0EEEvT1_.num_vgpr, 0
	.set _ZN7rocprim17ROCPRIM_400000_NS6detail17trampoline_kernelINS0_14default_configENS1_27scan_by_key_config_selectorIitEEZZNS1_16scan_by_key_implILNS1_25lookback_scan_determinismE0ELb0ES3_N6thrust23THRUST_200600_302600_NS6detail15normal_iteratorINS9_10device_ptrIiEEEENSB_INSC_ItEEEESG_tNS9_4plusIvEENS9_8equal_toIvEEtEE10hipError_tPvRmT2_T3_T4_T5_mT6_T7_P12ihipStream_tbENKUlT_T0_E_clISt17integral_constantIbLb1EES10_IbLb0EEEEDaSW_SX_EUlSW_E_NS1_11comp_targetILNS1_3genE4ELNS1_11target_archE910ELNS1_3gpuE8ELNS1_3repE0EEENS1_30default_config_static_selectorELNS0_4arch9wavefront6targetE0EEEvT1_.num_agpr, 0
	.set _ZN7rocprim17ROCPRIM_400000_NS6detail17trampoline_kernelINS0_14default_configENS1_27scan_by_key_config_selectorIitEEZZNS1_16scan_by_key_implILNS1_25lookback_scan_determinismE0ELb0ES3_N6thrust23THRUST_200600_302600_NS6detail15normal_iteratorINS9_10device_ptrIiEEEENSB_INSC_ItEEEESG_tNS9_4plusIvEENS9_8equal_toIvEEtEE10hipError_tPvRmT2_T3_T4_T5_mT6_T7_P12ihipStream_tbENKUlT_T0_E_clISt17integral_constantIbLb1EES10_IbLb0EEEEDaSW_SX_EUlSW_E_NS1_11comp_targetILNS1_3genE4ELNS1_11target_archE910ELNS1_3gpuE8ELNS1_3repE0EEENS1_30default_config_static_selectorELNS0_4arch9wavefront6targetE0EEEvT1_.numbered_sgpr, 0
	.set _ZN7rocprim17ROCPRIM_400000_NS6detail17trampoline_kernelINS0_14default_configENS1_27scan_by_key_config_selectorIitEEZZNS1_16scan_by_key_implILNS1_25lookback_scan_determinismE0ELb0ES3_N6thrust23THRUST_200600_302600_NS6detail15normal_iteratorINS9_10device_ptrIiEEEENSB_INSC_ItEEEESG_tNS9_4plusIvEENS9_8equal_toIvEEtEE10hipError_tPvRmT2_T3_T4_T5_mT6_T7_P12ihipStream_tbENKUlT_T0_E_clISt17integral_constantIbLb1EES10_IbLb0EEEEDaSW_SX_EUlSW_E_NS1_11comp_targetILNS1_3genE4ELNS1_11target_archE910ELNS1_3gpuE8ELNS1_3repE0EEENS1_30default_config_static_selectorELNS0_4arch9wavefront6targetE0EEEvT1_.num_named_barrier, 0
	.set _ZN7rocprim17ROCPRIM_400000_NS6detail17trampoline_kernelINS0_14default_configENS1_27scan_by_key_config_selectorIitEEZZNS1_16scan_by_key_implILNS1_25lookback_scan_determinismE0ELb0ES3_N6thrust23THRUST_200600_302600_NS6detail15normal_iteratorINS9_10device_ptrIiEEEENSB_INSC_ItEEEESG_tNS9_4plusIvEENS9_8equal_toIvEEtEE10hipError_tPvRmT2_T3_T4_T5_mT6_T7_P12ihipStream_tbENKUlT_T0_E_clISt17integral_constantIbLb1EES10_IbLb0EEEEDaSW_SX_EUlSW_E_NS1_11comp_targetILNS1_3genE4ELNS1_11target_archE910ELNS1_3gpuE8ELNS1_3repE0EEENS1_30default_config_static_selectorELNS0_4arch9wavefront6targetE0EEEvT1_.private_seg_size, 0
	.set _ZN7rocprim17ROCPRIM_400000_NS6detail17trampoline_kernelINS0_14default_configENS1_27scan_by_key_config_selectorIitEEZZNS1_16scan_by_key_implILNS1_25lookback_scan_determinismE0ELb0ES3_N6thrust23THRUST_200600_302600_NS6detail15normal_iteratorINS9_10device_ptrIiEEEENSB_INSC_ItEEEESG_tNS9_4plusIvEENS9_8equal_toIvEEtEE10hipError_tPvRmT2_T3_T4_T5_mT6_T7_P12ihipStream_tbENKUlT_T0_E_clISt17integral_constantIbLb1EES10_IbLb0EEEEDaSW_SX_EUlSW_E_NS1_11comp_targetILNS1_3genE4ELNS1_11target_archE910ELNS1_3gpuE8ELNS1_3repE0EEENS1_30default_config_static_selectorELNS0_4arch9wavefront6targetE0EEEvT1_.uses_vcc, 0
	.set _ZN7rocprim17ROCPRIM_400000_NS6detail17trampoline_kernelINS0_14default_configENS1_27scan_by_key_config_selectorIitEEZZNS1_16scan_by_key_implILNS1_25lookback_scan_determinismE0ELb0ES3_N6thrust23THRUST_200600_302600_NS6detail15normal_iteratorINS9_10device_ptrIiEEEENSB_INSC_ItEEEESG_tNS9_4plusIvEENS9_8equal_toIvEEtEE10hipError_tPvRmT2_T3_T4_T5_mT6_T7_P12ihipStream_tbENKUlT_T0_E_clISt17integral_constantIbLb1EES10_IbLb0EEEEDaSW_SX_EUlSW_E_NS1_11comp_targetILNS1_3genE4ELNS1_11target_archE910ELNS1_3gpuE8ELNS1_3repE0EEENS1_30default_config_static_selectorELNS0_4arch9wavefront6targetE0EEEvT1_.uses_flat_scratch, 0
	.set _ZN7rocprim17ROCPRIM_400000_NS6detail17trampoline_kernelINS0_14default_configENS1_27scan_by_key_config_selectorIitEEZZNS1_16scan_by_key_implILNS1_25lookback_scan_determinismE0ELb0ES3_N6thrust23THRUST_200600_302600_NS6detail15normal_iteratorINS9_10device_ptrIiEEEENSB_INSC_ItEEEESG_tNS9_4plusIvEENS9_8equal_toIvEEtEE10hipError_tPvRmT2_T3_T4_T5_mT6_T7_P12ihipStream_tbENKUlT_T0_E_clISt17integral_constantIbLb1EES10_IbLb0EEEEDaSW_SX_EUlSW_E_NS1_11comp_targetILNS1_3genE4ELNS1_11target_archE910ELNS1_3gpuE8ELNS1_3repE0EEENS1_30default_config_static_selectorELNS0_4arch9wavefront6targetE0EEEvT1_.has_dyn_sized_stack, 0
	.set _ZN7rocprim17ROCPRIM_400000_NS6detail17trampoline_kernelINS0_14default_configENS1_27scan_by_key_config_selectorIitEEZZNS1_16scan_by_key_implILNS1_25lookback_scan_determinismE0ELb0ES3_N6thrust23THRUST_200600_302600_NS6detail15normal_iteratorINS9_10device_ptrIiEEEENSB_INSC_ItEEEESG_tNS9_4plusIvEENS9_8equal_toIvEEtEE10hipError_tPvRmT2_T3_T4_T5_mT6_T7_P12ihipStream_tbENKUlT_T0_E_clISt17integral_constantIbLb1EES10_IbLb0EEEEDaSW_SX_EUlSW_E_NS1_11comp_targetILNS1_3genE4ELNS1_11target_archE910ELNS1_3gpuE8ELNS1_3repE0EEENS1_30default_config_static_selectorELNS0_4arch9wavefront6targetE0EEEvT1_.has_recursion, 0
	.set _ZN7rocprim17ROCPRIM_400000_NS6detail17trampoline_kernelINS0_14default_configENS1_27scan_by_key_config_selectorIitEEZZNS1_16scan_by_key_implILNS1_25lookback_scan_determinismE0ELb0ES3_N6thrust23THRUST_200600_302600_NS6detail15normal_iteratorINS9_10device_ptrIiEEEENSB_INSC_ItEEEESG_tNS9_4plusIvEENS9_8equal_toIvEEtEE10hipError_tPvRmT2_T3_T4_T5_mT6_T7_P12ihipStream_tbENKUlT_T0_E_clISt17integral_constantIbLb1EES10_IbLb0EEEEDaSW_SX_EUlSW_E_NS1_11comp_targetILNS1_3genE4ELNS1_11target_archE910ELNS1_3gpuE8ELNS1_3repE0EEENS1_30default_config_static_selectorELNS0_4arch9wavefront6targetE0EEEvT1_.has_indirect_call, 0
	.section	.AMDGPU.csdata,"",@progbits
; Kernel info:
; codeLenInByte = 0
; TotalNumSgprs: 0
; NumVgprs: 0
; ScratchSize: 0
; MemoryBound: 0
; FloatMode: 240
; IeeeMode: 1
; LDSByteSize: 0 bytes/workgroup (compile time only)
; SGPRBlocks: 0
; VGPRBlocks: 0
; NumSGPRsForWavesPerEU: 1
; NumVGPRsForWavesPerEU: 1
; Occupancy: 16
; WaveLimiterHint : 0
; COMPUTE_PGM_RSRC2:SCRATCH_EN: 0
; COMPUTE_PGM_RSRC2:USER_SGPR: 6
; COMPUTE_PGM_RSRC2:TRAP_HANDLER: 0
; COMPUTE_PGM_RSRC2:TGID_X_EN: 1
; COMPUTE_PGM_RSRC2:TGID_Y_EN: 0
; COMPUTE_PGM_RSRC2:TGID_Z_EN: 0
; COMPUTE_PGM_RSRC2:TIDIG_COMP_CNT: 0
	.section	.text._ZN7rocprim17ROCPRIM_400000_NS6detail17trampoline_kernelINS0_14default_configENS1_27scan_by_key_config_selectorIitEEZZNS1_16scan_by_key_implILNS1_25lookback_scan_determinismE0ELb0ES3_N6thrust23THRUST_200600_302600_NS6detail15normal_iteratorINS9_10device_ptrIiEEEENSB_INSC_ItEEEESG_tNS9_4plusIvEENS9_8equal_toIvEEtEE10hipError_tPvRmT2_T3_T4_T5_mT6_T7_P12ihipStream_tbENKUlT_T0_E_clISt17integral_constantIbLb1EES10_IbLb0EEEEDaSW_SX_EUlSW_E_NS1_11comp_targetILNS1_3genE3ELNS1_11target_archE908ELNS1_3gpuE7ELNS1_3repE0EEENS1_30default_config_static_selectorELNS0_4arch9wavefront6targetE0EEEvT1_,"axG",@progbits,_ZN7rocprim17ROCPRIM_400000_NS6detail17trampoline_kernelINS0_14default_configENS1_27scan_by_key_config_selectorIitEEZZNS1_16scan_by_key_implILNS1_25lookback_scan_determinismE0ELb0ES3_N6thrust23THRUST_200600_302600_NS6detail15normal_iteratorINS9_10device_ptrIiEEEENSB_INSC_ItEEEESG_tNS9_4plusIvEENS9_8equal_toIvEEtEE10hipError_tPvRmT2_T3_T4_T5_mT6_T7_P12ihipStream_tbENKUlT_T0_E_clISt17integral_constantIbLb1EES10_IbLb0EEEEDaSW_SX_EUlSW_E_NS1_11comp_targetILNS1_3genE3ELNS1_11target_archE908ELNS1_3gpuE7ELNS1_3repE0EEENS1_30default_config_static_selectorELNS0_4arch9wavefront6targetE0EEEvT1_,comdat
	.protected	_ZN7rocprim17ROCPRIM_400000_NS6detail17trampoline_kernelINS0_14default_configENS1_27scan_by_key_config_selectorIitEEZZNS1_16scan_by_key_implILNS1_25lookback_scan_determinismE0ELb0ES3_N6thrust23THRUST_200600_302600_NS6detail15normal_iteratorINS9_10device_ptrIiEEEENSB_INSC_ItEEEESG_tNS9_4plusIvEENS9_8equal_toIvEEtEE10hipError_tPvRmT2_T3_T4_T5_mT6_T7_P12ihipStream_tbENKUlT_T0_E_clISt17integral_constantIbLb1EES10_IbLb0EEEEDaSW_SX_EUlSW_E_NS1_11comp_targetILNS1_3genE3ELNS1_11target_archE908ELNS1_3gpuE7ELNS1_3repE0EEENS1_30default_config_static_selectorELNS0_4arch9wavefront6targetE0EEEvT1_ ; -- Begin function _ZN7rocprim17ROCPRIM_400000_NS6detail17trampoline_kernelINS0_14default_configENS1_27scan_by_key_config_selectorIitEEZZNS1_16scan_by_key_implILNS1_25lookback_scan_determinismE0ELb0ES3_N6thrust23THRUST_200600_302600_NS6detail15normal_iteratorINS9_10device_ptrIiEEEENSB_INSC_ItEEEESG_tNS9_4plusIvEENS9_8equal_toIvEEtEE10hipError_tPvRmT2_T3_T4_T5_mT6_T7_P12ihipStream_tbENKUlT_T0_E_clISt17integral_constantIbLb1EES10_IbLb0EEEEDaSW_SX_EUlSW_E_NS1_11comp_targetILNS1_3genE3ELNS1_11target_archE908ELNS1_3gpuE7ELNS1_3repE0EEENS1_30default_config_static_selectorELNS0_4arch9wavefront6targetE0EEEvT1_
	.globl	_ZN7rocprim17ROCPRIM_400000_NS6detail17trampoline_kernelINS0_14default_configENS1_27scan_by_key_config_selectorIitEEZZNS1_16scan_by_key_implILNS1_25lookback_scan_determinismE0ELb0ES3_N6thrust23THRUST_200600_302600_NS6detail15normal_iteratorINS9_10device_ptrIiEEEENSB_INSC_ItEEEESG_tNS9_4plusIvEENS9_8equal_toIvEEtEE10hipError_tPvRmT2_T3_T4_T5_mT6_T7_P12ihipStream_tbENKUlT_T0_E_clISt17integral_constantIbLb1EES10_IbLb0EEEEDaSW_SX_EUlSW_E_NS1_11comp_targetILNS1_3genE3ELNS1_11target_archE908ELNS1_3gpuE7ELNS1_3repE0EEENS1_30default_config_static_selectorELNS0_4arch9wavefront6targetE0EEEvT1_
	.p2align	8
	.type	_ZN7rocprim17ROCPRIM_400000_NS6detail17trampoline_kernelINS0_14default_configENS1_27scan_by_key_config_selectorIitEEZZNS1_16scan_by_key_implILNS1_25lookback_scan_determinismE0ELb0ES3_N6thrust23THRUST_200600_302600_NS6detail15normal_iteratorINS9_10device_ptrIiEEEENSB_INSC_ItEEEESG_tNS9_4plusIvEENS9_8equal_toIvEEtEE10hipError_tPvRmT2_T3_T4_T5_mT6_T7_P12ihipStream_tbENKUlT_T0_E_clISt17integral_constantIbLb1EES10_IbLb0EEEEDaSW_SX_EUlSW_E_NS1_11comp_targetILNS1_3genE3ELNS1_11target_archE908ELNS1_3gpuE7ELNS1_3repE0EEENS1_30default_config_static_selectorELNS0_4arch9wavefront6targetE0EEEvT1_,@function
_ZN7rocprim17ROCPRIM_400000_NS6detail17trampoline_kernelINS0_14default_configENS1_27scan_by_key_config_selectorIitEEZZNS1_16scan_by_key_implILNS1_25lookback_scan_determinismE0ELb0ES3_N6thrust23THRUST_200600_302600_NS6detail15normal_iteratorINS9_10device_ptrIiEEEENSB_INSC_ItEEEESG_tNS9_4plusIvEENS9_8equal_toIvEEtEE10hipError_tPvRmT2_T3_T4_T5_mT6_T7_P12ihipStream_tbENKUlT_T0_E_clISt17integral_constantIbLb1EES10_IbLb0EEEEDaSW_SX_EUlSW_E_NS1_11comp_targetILNS1_3genE3ELNS1_11target_archE908ELNS1_3gpuE7ELNS1_3repE0EEENS1_30default_config_static_selectorELNS0_4arch9wavefront6targetE0EEEvT1_: ; @_ZN7rocprim17ROCPRIM_400000_NS6detail17trampoline_kernelINS0_14default_configENS1_27scan_by_key_config_selectorIitEEZZNS1_16scan_by_key_implILNS1_25lookback_scan_determinismE0ELb0ES3_N6thrust23THRUST_200600_302600_NS6detail15normal_iteratorINS9_10device_ptrIiEEEENSB_INSC_ItEEEESG_tNS9_4plusIvEENS9_8equal_toIvEEtEE10hipError_tPvRmT2_T3_T4_T5_mT6_T7_P12ihipStream_tbENKUlT_T0_E_clISt17integral_constantIbLb1EES10_IbLb0EEEEDaSW_SX_EUlSW_E_NS1_11comp_targetILNS1_3genE3ELNS1_11target_archE908ELNS1_3gpuE7ELNS1_3repE0EEENS1_30default_config_static_selectorELNS0_4arch9wavefront6targetE0EEEvT1_
; %bb.0:
	.section	.rodata,"a",@progbits
	.p2align	6, 0x0
	.amdhsa_kernel _ZN7rocprim17ROCPRIM_400000_NS6detail17trampoline_kernelINS0_14default_configENS1_27scan_by_key_config_selectorIitEEZZNS1_16scan_by_key_implILNS1_25lookback_scan_determinismE0ELb0ES3_N6thrust23THRUST_200600_302600_NS6detail15normal_iteratorINS9_10device_ptrIiEEEENSB_INSC_ItEEEESG_tNS9_4plusIvEENS9_8equal_toIvEEtEE10hipError_tPvRmT2_T3_T4_T5_mT6_T7_P12ihipStream_tbENKUlT_T0_E_clISt17integral_constantIbLb1EES10_IbLb0EEEEDaSW_SX_EUlSW_E_NS1_11comp_targetILNS1_3genE3ELNS1_11target_archE908ELNS1_3gpuE7ELNS1_3repE0EEENS1_30default_config_static_selectorELNS0_4arch9wavefront6targetE0EEEvT1_
		.amdhsa_group_segment_fixed_size 0
		.amdhsa_private_segment_fixed_size 0
		.amdhsa_kernarg_size 112
		.amdhsa_user_sgpr_count 6
		.amdhsa_user_sgpr_private_segment_buffer 1
		.amdhsa_user_sgpr_dispatch_ptr 0
		.amdhsa_user_sgpr_queue_ptr 0
		.amdhsa_user_sgpr_kernarg_segment_ptr 1
		.amdhsa_user_sgpr_dispatch_id 0
		.amdhsa_user_sgpr_flat_scratch_init 0
		.amdhsa_user_sgpr_private_segment_size 0
		.amdhsa_wavefront_size32 1
		.amdhsa_uses_dynamic_stack 0
		.amdhsa_system_sgpr_private_segment_wavefront_offset 0
		.amdhsa_system_sgpr_workgroup_id_x 1
		.amdhsa_system_sgpr_workgroup_id_y 0
		.amdhsa_system_sgpr_workgroup_id_z 0
		.amdhsa_system_sgpr_workgroup_info 0
		.amdhsa_system_vgpr_workitem_id 0
		.amdhsa_next_free_vgpr 1
		.amdhsa_next_free_sgpr 1
		.amdhsa_reserve_vcc 0
		.amdhsa_reserve_flat_scratch 0
		.amdhsa_float_round_mode_32 0
		.amdhsa_float_round_mode_16_64 0
		.amdhsa_float_denorm_mode_32 3
		.amdhsa_float_denorm_mode_16_64 3
		.amdhsa_dx10_clamp 1
		.amdhsa_ieee_mode 1
		.amdhsa_fp16_overflow 0
		.amdhsa_workgroup_processor_mode 1
		.amdhsa_memory_ordered 1
		.amdhsa_forward_progress 1
		.amdhsa_shared_vgpr_count 0
		.amdhsa_exception_fp_ieee_invalid_op 0
		.amdhsa_exception_fp_denorm_src 0
		.amdhsa_exception_fp_ieee_div_zero 0
		.amdhsa_exception_fp_ieee_overflow 0
		.amdhsa_exception_fp_ieee_underflow 0
		.amdhsa_exception_fp_ieee_inexact 0
		.amdhsa_exception_int_div_zero 0
	.end_amdhsa_kernel
	.section	.text._ZN7rocprim17ROCPRIM_400000_NS6detail17trampoline_kernelINS0_14default_configENS1_27scan_by_key_config_selectorIitEEZZNS1_16scan_by_key_implILNS1_25lookback_scan_determinismE0ELb0ES3_N6thrust23THRUST_200600_302600_NS6detail15normal_iteratorINS9_10device_ptrIiEEEENSB_INSC_ItEEEESG_tNS9_4plusIvEENS9_8equal_toIvEEtEE10hipError_tPvRmT2_T3_T4_T5_mT6_T7_P12ihipStream_tbENKUlT_T0_E_clISt17integral_constantIbLb1EES10_IbLb0EEEEDaSW_SX_EUlSW_E_NS1_11comp_targetILNS1_3genE3ELNS1_11target_archE908ELNS1_3gpuE7ELNS1_3repE0EEENS1_30default_config_static_selectorELNS0_4arch9wavefront6targetE0EEEvT1_,"axG",@progbits,_ZN7rocprim17ROCPRIM_400000_NS6detail17trampoline_kernelINS0_14default_configENS1_27scan_by_key_config_selectorIitEEZZNS1_16scan_by_key_implILNS1_25lookback_scan_determinismE0ELb0ES3_N6thrust23THRUST_200600_302600_NS6detail15normal_iteratorINS9_10device_ptrIiEEEENSB_INSC_ItEEEESG_tNS9_4plusIvEENS9_8equal_toIvEEtEE10hipError_tPvRmT2_T3_T4_T5_mT6_T7_P12ihipStream_tbENKUlT_T0_E_clISt17integral_constantIbLb1EES10_IbLb0EEEEDaSW_SX_EUlSW_E_NS1_11comp_targetILNS1_3genE3ELNS1_11target_archE908ELNS1_3gpuE7ELNS1_3repE0EEENS1_30default_config_static_selectorELNS0_4arch9wavefront6targetE0EEEvT1_,comdat
.Lfunc_end1293:
	.size	_ZN7rocprim17ROCPRIM_400000_NS6detail17trampoline_kernelINS0_14default_configENS1_27scan_by_key_config_selectorIitEEZZNS1_16scan_by_key_implILNS1_25lookback_scan_determinismE0ELb0ES3_N6thrust23THRUST_200600_302600_NS6detail15normal_iteratorINS9_10device_ptrIiEEEENSB_INSC_ItEEEESG_tNS9_4plusIvEENS9_8equal_toIvEEtEE10hipError_tPvRmT2_T3_T4_T5_mT6_T7_P12ihipStream_tbENKUlT_T0_E_clISt17integral_constantIbLb1EES10_IbLb0EEEEDaSW_SX_EUlSW_E_NS1_11comp_targetILNS1_3genE3ELNS1_11target_archE908ELNS1_3gpuE7ELNS1_3repE0EEENS1_30default_config_static_selectorELNS0_4arch9wavefront6targetE0EEEvT1_, .Lfunc_end1293-_ZN7rocprim17ROCPRIM_400000_NS6detail17trampoline_kernelINS0_14default_configENS1_27scan_by_key_config_selectorIitEEZZNS1_16scan_by_key_implILNS1_25lookback_scan_determinismE0ELb0ES3_N6thrust23THRUST_200600_302600_NS6detail15normal_iteratorINS9_10device_ptrIiEEEENSB_INSC_ItEEEESG_tNS9_4plusIvEENS9_8equal_toIvEEtEE10hipError_tPvRmT2_T3_T4_T5_mT6_T7_P12ihipStream_tbENKUlT_T0_E_clISt17integral_constantIbLb1EES10_IbLb0EEEEDaSW_SX_EUlSW_E_NS1_11comp_targetILNS1_3genE3ELNS1_11target_archE908ELNS1_3gpuE7ELNS1_3repE0EEENS1_30default_config_static_selectorELNS0_4arch9wavefront6targetE0EEEvT1_
                                        ; -- End function
	.set _ZN7rocprim17ROCPRIM_400000_NS6detail17trampoline_kernelINS0_14default_configENS1_27scan_by_key_config_selectorIitEEZZNS1_16scan_by_key_implILNS1_25lookback_scan_determinismE0ELb0ES3_N6thrust23THRUST_200600_302600_NS6detail15normal_iteratorINS9_10device_ptrIiEEEENSB_INSC_ItEEEESG_tNS9_4plusIvEENS9_8equal_toIvEEtEE10hipError_tPvRmT2_T3_T4_T5_mT6_T7_P12ihipStream_tbENKUlT_T0_E_clISt17integral_constantIbLb1EES10_IbLb0EEEEDaSW_SX_EUlSW_E_NS1_11comp_targetILNS1_3genE3ELNS1_11target_archE908ELNS1_3gpuE7ELNS1_3repE0EEENS1_30default_config_static_selectorELNS0_4arch9wavefront6targetE0EEEvT1_.num_vgpr, 0
	.set _ZN7rocprim17ROCPRIM_400000_NS6detail17trampoline_kernelINS0_14default_configENS1_27scan_by_key_config_selectorIitEEZZNS1_16scan_by_key_implILNS1_25lookback_scan_determinismE0ELb0ES3_N6thrust23THRUST_200600_302600_NS6detail15normal_iteratorINS9_10device_ptrIiEEEENSB_INSC_ItEEEESG_tNS9_4plusIvEENS9_8equal_toIvEEtEE10hipError_tPvRmT2_T3_T4_T5_mT6_T7_P12ihipStream_tbENKUlT_T0_E_clISt17integral_constantIbLb1EES10_IbLb0EEEEDaSW_SX_EUlSW_E_NS1_11comp_targetILNS1_3genE3ELNS1_11target_archE908ELNS1_3gpuE7ELNS1_3repE0EEENS1_30default_config_static_selectorELNS0_4arch9wavefront6targetE0EEEvT1_.num_agpr, 0
	.set _ZN7rocprim17ROCPRIM_400000_NS6detail17trampoline_kernelINS0_14default_configENS1_27scan_by_key_config_selectorIitEEZZNS1_16scan_by_key_implILNS1_25lookback_scan_determinismE0ELb0ES3_N6thrust23THRUST_200600_302600_NS6detail15normal_iteratorINS9_10device_ptrIiEEEENSB_INSC_ItEEEESG_tNS9_4plusIvEENS9_8equal_toIvEEtEE10hipError_tPvRmT2_T3_T4_T5_mT6_T7_P12ihipStream_tbENKUlT_T0_E_clISt17integral_constantIbLb1EES10_IbLb0EEEEDaSW_SX_EUlSW_E_NS1_11comp_targetILNS1_3genE3ELNS1_11target_archE908ELNS1_3gpuE7ELNS1_3repE0EEENS1_30default_config_static_selectorELNS0_4arch9wavefront6targetE0EEEvT1_.numbered_sgpr, 0
	.set _ZN7rocprim17ROCPRIM_400000_NS6detail17trampoline_kernelINS0_14default_configENS1_27scan_by_key_config_selectorIitEEZZNS1_16scan_by_key_implILNS1_25lookback_scan_determinismE0ELb0ES3_N6thrust23THRUST_200600_302600_NS6detail15normal_iteratorINS9_10device_ptrIiEEEENSB_INSC_ItEEEESG_tNS9_4plusIvEENS9_8equal_toIvEEtEE10hipError_tPvRmT2_T3_T4_T5_mT6_T7_P12ihipStream_tbENKUlT_T0_E_clISt17integral_constantIbLb1EES10_IbLb0EEEEDaSW_SX_EUlSW_E_NS1_11comp_targetILNS1_3genE3ELNS1_11target_archE908ELNS1_3gpuE7ELNS1_3repE0EEENS1_30default_config_static_selectorELNS0_4arch9wavefront6targetE0EEEvT1_.num_named_barrier, 0
	.set _ZN7rocprim17ROCPRIM_400000_NS6detail17trampoline_kernelINS0_14default_configENS1_27scan_by_key_config_selectorIitEEZZNS1_16scan_by_key_implILNS1_25lookback_scan_determinismE0ELb0ES3_N6thrust23THRUST_200600_302600_NS6detail15normal_iteratorINS9_10device_ptrIiEEEENSB_INSC_ItEEEESG_tNS9_4plusIvEENS9_8equal_toIvEEtEE10hipError_tPvRmT2_T3_T4_T5_mT6_T7_P12ihipStream_tbENKUlT_T0_E_clISt17integral_constantIbLb1EES10_IbLb0EEEEDaSW_SX_EUlSW_E_NS1_11comp_targetILNS1_3genE3ELNS1_11target_archE908ELNS1_3gpuE7ELNS1_3repE0EEENS1_30default_config_static_selectorELNS0_4arch9wavefront6targetE0EEEvT1_.private_seg_size, 0
	.set _ZN7rocprim17ROCPRIM_400000_NS6detail17trampoline_kernelINS0_14default_configENS1_27scan_by_key_config_selectorIitEEZZNS1_16scan_by_key_implILNS1_25lookback_scan_determinismE0ELb0ES3_N6thrust23THRUST_200600_302600_NS6detail15normal_iteratorINS9_10device_ptrIiEEEENSB_INSC_ItEEEESG_tNS9_4plusIvEENS9_8equal_toIvEEtEE10hipError_tPvRmT2_T3_T4_T5_mT6_T7_P12ihipStream_tbENKUlT_T0_E_clISt17integral_constantIbLb1EES10_IbLb0EEEEDaSW_SX_EUlSW_E_NS1_11comp_targetILNS1_3genE3ELNS1_11target_archE908ELNS1_3gpuE7ELNS1_3repE0EEENS1_30default_config_static_selectorELNS0_4arch9wavefront6targetE0EEEvT1_.uses_vcc, 0
	.set _ZN7rocprim17ROCPRIM_400000_NS6detail17trampoline_kernelINS0_14default_configENS1_27scan_by_key_config_selectorIitEEZZNS1_16scan_by_key_implILNS1_25lookback_scan_determinismE0ELb0ES3_N6thrust23THRUST_200600_302600_NS6detail15normal_iteratorINS9_10device_ptrIiEEEENSB_INSC_ItEEEESG_tNS9_4plusIvEENS9_8equal_toIvEEtEE10hipError_tPvRmT2_T3_T4_T5_mT6_T7_P12ihipStream_tbENKUlT_T0_E_clISt17integral_constantIbLb1EES10_IbLb0EEEEDaSW_SX_EUlSW_E_NS1_11comp_targetILNS1_3genE3ELNS1_11target_archE908ELNS1_3gpuE7ELNS1_3repE0EEENS1_30default_config_static_selectorELNS0_4arch9wavefront6targetE0EEEvT1_.uses_flat_scratch, 0
	.set _ZN7rocprim17ROCPRIM_400000_NS6detail17trampoline_kernelINS0_14default_configENS1_27scan_by_key_config_selectorIitEEZZNS1_16scan_by_key_implILNS1_25lookback_scan_determinismE0ELb0ES3_N6thrust23THRUST_200600_302600_NS6detail15normal_iteratorINS9_10device_ptrIiEEEENSB_INSC_ItEEEESG_tNS9_4plusIvEENS9_8equal_toIvEEtEE10hipError_tPvRmT2_T3_T4_T5_mT6_T7_P12ihipStream_tbENKUlT_T0_E_clISt17integral_constantIbLb1EES10_IbLb0EEEEDaSW_SX_EUlSW_E_NS1_11comp_targetILNS1_3genE3ELNS1_11target_archE908ELNS1_3gpuE7ELNS1_3repE0EEENS1_30default_config_static_selectorELNS0_4arch9wavefront6targetE0EEEvT1_.has_dyn_sized_stack, 0
	.set _ZN7rocprim17ROCPRIM_400000_NS6detail17trampoline_kernelINS0_14default_configENS1_27scan_by_key_config_selectorIitEEZZNS1_16scan_by_key_implILNS1_25lookback_scan_determinismE0ELb0ES3_N6thrust23THRUST_200600_302600_NS6detail15normal_iteratorINS9_10device_ptrIiEEEENSB_INSC_ItEEEESG_tNS9_4plusIvEENS9_8equal_toIvEEtEE10hipError_tPvRmT2_T3_T4_T5_mT6_T7_P12ihipStream_tbENKUlT_T0_E_clISt17integral_constantIbLb1EES10_IbLb0EEEEDaSW_SX_EUlSW_E_NS1_11comp_targetILNS1_3genE3ELNS1_11target_archE908ELNS1_3gpuE7ELNS1_3repE0EEENS1_30default_config_static_selectorELNS0_4arch9wavefront6targetE0EEEvT1_.has_recursion, 0
	.set _ZN7rocprim17ROCPRIM_400000_NS6detail17trampoline_kernelINS0_14default_configENS1_27scan_by_key_config_selectorIitEEZZNS1_16scan_by_key_implILNS1_25lookback_scan_determinismE0ELb0ES3_N6thrust23THRUST_200600_302600_NS6detail15normal_iteratorINS9_10device_ptrIiEEEENSB_INSC_ItEEEESG_tNS9_4plusIvEENS9_8equal_toIvEEtEE10hipError_tPvRmT2_T3_T4_T5_mT6_T7_P12ihipStream_tbENKUlT_T0_E_clISt17integral_constantIbLb1EES10_IbLb0EEEEDaSW_SX_EUlSW_E_NS1_11comp_targetILNS1_3genE3ELNS1_11target_archE908ELNS1_3gpuE7ELNS1_3repE0EEENS1_30default_config_static_selectorELNS0_4arch9wavefront6targetE0EEEvT1_.has_indirect_call, 0
	.section	.AMDGPU.csdata,"",@progbits
; Kernel info:
; codeLenInByte = 0
; TotalNumSgprs: 0
; NumVgprs: 0
; ScratchSize: 0
; MemoryBound: 0
; FloatMode: 240
; IeeeMode: 1
; LDSByteSize: 0 bytes/workgroup (compile time only)
; SGPRBlocks: 0
; VGPRBlocks: 0
; NumSGPRsForWavesPerEU: 1
; NumVGPRsForWavesPerEU: 1
; Occupancy: 16
; WaveLimiterHint : 0
; COMPUTE_PGM_RSRC2:SCRATCH_EN: 0
; COMPUTE_PGM_RSRC2:USER_SGPR: 6
; COMPUTE_PGM_RSRC2:TRAP_HANDLER: 0
; COMPUTE_PGM_RSRC2:TGID_X_EN: 1
; COMPUTE_PGM_RSRC2:TGID_Y_EN: 0
; COMPUTE_PGM_RSRC2:TGID_Z_EN: 0
; COMPUTE_PGM_RSRC2:TIDIG_COMP_CNT: 0
	.section	.text._ZN7rocprim17ROCPRIM_400000_NS6detail17trampoline_kernelINS0_14default_configENS1_27scan_by_key_config_selectorIitEEZZNS1_16scan_by_key_implILNS1_25lookback_scan_determinismE0ELb0ES3_N6thrust23THRUST_200600_302600_NS6detail15normal_iteratorINS9_10device_ptrIiEEEENSB_INSC_ItEEEESG_tNS9_4plusIvEENS9_8equal_toIvEEtEE10hipError_tPvRmT2_T3_T4_T5_mT6_T7_P12ihipStream_tbENKUlT_T0_E_clISt17integral_constantIbLb1EES10_IbLb0EEEEDaSW_SX_EUlSW_E_NS1_11comp_targetILNS1_3genE2ELNS1_11target_archE906ELNS1_3gpuE6ELNS1_3repE0EEENS1_30default_config_static_selectorELNS0_4arch9wavefront6targetE0EEEvT1_,"axG",@progbits,_ZN7rocprim17ROCPRIM_400000_NS6detail17trampoline_kernelINS0_14default_configENS1_27scan_by_key_config_selectorIitEEZZNS1_16scan_by_key_implILNS1_25lookback_scan_determinismE0ELb0ES3_N6thrust23THRUST_200600_302600_NS6detail15normal_iteratorINS9_10device_ptrIiEEEENSB_INSC_ItEEEESG_tNS9_4plusIvEENS9_8equal_toIvEEtEE10hipError_tPvRmT2_T3_T4_T5_mT6_T7_P12ihipStream_tbENKUlT_T0_E_clISt17integral_constantIbLb1EES10_IbLb0EEEEDaSW_SX_EUlSW_E_NS1_11comp_targetILNS1_3genE2ELNS1_11target_archE906ELNS1_3gpuE6ELNS1_3repE0EEENS1_30default_config_static_selectorELNS0_4arch9wavefront6targetE0EEEvT1_,comdat
	.protected	_ZN7rocprim17ROCPRIM_400000_NS6detail17trampoline_kernelINS0_14default_configENS1_27scan_by_key_config_selectorIitEEZZNS1_16scan_by_key_implILNS1_25lookback_scan_determinismE0ELb0ES3_N6thrust23THRUST_200600_302600_NS6detail15normal_iteratorINS9_10device_ptrIiEEEENSB_INSC_ItEEEESG_tNS9_4plusIvEENS9_8equal_toIvEEtEE10hipError_tPvRmT2_T3_T4_T5_mT6_T7_P12ihipStream_tbENKUlT_T0_E_clISt17integral_constantIbLb1EES10_IbLb0EEEEDaSW_SX_EUlSW_E_NS1_11comp_targetILNS1_3genE2ELNS1_11target_archE906ELNS1_3gpuE6ELNS1_3repE0EEENS1_30default_config_static_selectorELNS0_4arch9wavefront6targetE0EEEvT1_ ; -- Begin function _ZN7rocprim17ROCPRIM_400000_NS6detail17trampoline_kernelINS0_14default_configENS1_27scan_by_key_config_selectorIitEEZZNS1_16scan_by_key_implILNS1_25lookback_scan_determinismE0ELb0ES3_N6thrust23THRUST_200600_302600_NS6detail15normal_iteratorINS9_10device_ptrIiEEEENSB_INSC_ItEEEESG_tNS9_4plusIvEENS9_8equal_toIvEEtEE10hipError_tPvRmT2_T3_T4_T5_mT6_T7_P12ihipStream_tbENKUlT_T0_E_clISt17integral_constantIbLb1EES10_IbLb0EEEEDaSW_SX_EUlSW_E_NS1_11comp_targetILNS1_3genE2ELNS1_11target_archE906ELNS1_3gpuE6ELNS1_3repE0EEENS1_30default_config_static_selectorELNS0_4arch9wavefront6targetE0EEEvT1_
	.globl	_ZN7rocprim17ROCPRIM_400000_NS6detail17trampoline_kernelINS0_14default_configENS1_27scan_by_key_config_selectorIitEEZZNS1_16scan_by_key_implILNS1_25lookback_scan_determinismE0ELb0ES3_N6thrust23THRUST_200600_302600_NS6detail15normal_iteratorINS9_10device_ptrIiEEEENSB_INSC_ItEEEESG_tNS9_4plusIvEENS9_8equal_toIvEEtEE10hipError_tPvRmT2_T3_T4_T5_mT6_T7_P12ihipStream_tbENKUlT_T0_E_clISt17integral_constantIbLb1EES10_IbLb0EEEEDaSW_SX_EUlSW_E_NS1_11comp_targetILNS1_3genE2ELNS1_11target_archE906ELNS1_3gpuE6ELNS1_3repE0EEENS1_30default_config_static_selectorELNS0_4arch9wavefront6targetE0EEEvT1_
	.p2align	8
	.type	_ZN7rocprim17ROCPRIM_400000_NS6detail17trampoline_kernelINS0_14default_configENS1_27scan_by_key_config_selectorIitEEZZNS1_16scan_by_key_implILNS1_25lookback_scan_determinismE0ELb0ES3_N6thrust23THRUST_200600_302600_NS6detail15normal_iteratorINS9_10device_ptrIiEEEENSB_INSC_ItEEEESG_tNS9_4plusIvEENS9_8equal_toIvEEtEE10hipError_tPvRmT2_T3_T4_T5_mT6_T7_P12ihipStream_tbENKUlT_T0_E_clISt17integral_constantIbLb1EES10_IbLb0EEEEDaSW_SX_EUlSW_E_NS1_11comp_targetILNS1_3genE2ELNS1_11target_archE906ELNS1_3gpuE6ELNS1_3repE0EEENS1_30default_config_static_selectorELNS0_4arch9wavefront6targetE0EEEvT1_,@function
_ZN7rocprim17ROCPRIM_400000_NS6detail17trampoline_kernelINS0_14default_configENS1_27scan_by_key_config_selectorIitEEZZNS1_16scan_by_key_implILNS1_25lookback_scan_determinismE0ELb0ES3_N6thrust23THRUST_200600_302600_NS6detail15normal_iteratorINS9_10device_ptrIiEEEENSB_INSC_ItEEEESG_tNS9_4plusIvEENS9_8equal_toIvEEtEE10hipError_tPvRmT2_T3_T4_T5_mT6_T7_P12ihipStream_tbENKUlT_T0_E_clISt17integral_constantIbLb1EES10_IbLb0EEEEDaSW_SX_EUlSW_E_NS1_11comp_targetILNS1_3genE2ELNS1_11target_archE906ELNS1_3gpuE6ELNS1_3repE0EEENS1_30default_config_static_selectorELNS0_4arch9wavefront6targetE0EEEvT1_: ; @_ZN7rocprim17ROCPRIM_400000_NS6detail17trampoline_kernelINS0_14default_configENS1_27scan_by_key_config_selectorIitEEZZNS1_16scan_by_key_implILNS1_25lookback_scan_determinismE0ELb0ES3_N6thrust23THRUST_200600_302600_NS6detail15normal_iteratorINS9_10device_ptrIiEEEENSB_INSC_ItEEEESG_tNS9_4plusIvEENS9_8equal_toIvEEtEE10hipError_tPvRmT2_T3_T4_T5_mT6_T7_P12ihipStream_tbENKUlT_T0_E_clISt17integral_constantIbLb1EES10_IbLb0EEEEDaSW_SX_EUlSW_E_NS1_11comp_targetILNS1_3genE2ELNS1_11target_archE906ELNS1_3gpuE6ELNS1_3repE0EEENS1_30default_config_static_selectorELNS0_4arch9wavefront6targetE0EEEvT1_
; %bb.0:
	.section	.rodata,"a",@progbits
	.p2align	6, 0x0
	.amdhsa_kernel _ZN7rocprim17ROCPRIM_400000_NS6detail17trampoline_kernelINS0_14default_configENS1_27scan_by_key_config_selectorIitEEZZNS1_16scan_by_key_implILNS1_25lookback_scan_determinismE0ELb0ES3_N6thrust23THRUST_200600_302600_NS6detail15normal_iteratorINS9_10device_ptrIiEEEENSB_INSC_ItEEEESG_tNS9_4plusIvEENS9_8equal_toIvEEtEE10hipError_tPvRmT2_T3_T4_T5_mT6_T7_P12ihipStream_tbENKUlT_T0_E_clISt17integral_constantIbLb1EES10_IbLb0EEEEDaSW_SX_EUlSW_E_NS1_11comp_targetILNS1_3genE2ELNS1_11target_archE906ELNS1_3gpuE6ELNS1_3repE0EEENS1_30default_config_static_selectorELNS0_4arch9wavefront6targetE0EEEvT1_
		.amdhsa_group_segment_fixed_size 0
		.amdhsa_private_segment_fixed_size 0
		.amdhsa_kernarg_size 112
		.amdhsa_user_sgpr_count 6
		.amdhsa_user_sgpr_private_segment_buffer 1
		.amdhsa_user_sgpr_dispatch_ptr 0
		.amdhsa_user_sgpr_queue_ptr 0
		.amdhsa_user_sgpr_kernarg_segment_ptr 1
		.amdhsa_user_sgpr_dispatch_id 0
		.amdhsa_user_sgpr_flat_scratch_init 0
		.amdhsa_user_sgpr_private_segment_size 0
		.amdhsa_wavefront_size32 1
		.amdhsa_uses_dynamic_stack 0
		.amdhsa_system_sgpr_private_segment_wavefront_offset 0
		.amdhsa_system_sgpr_workgroup_id_x 1
		.amdhsa_system_sgpr_workgroup_id_y 0
		.amdhsa_system_sgpr_workgroup_id_z 0
		.amdhsa_system_sgpr_workgroup_info 0
		.amdhsa_system_vgpr_workitem_id 0
		.amdhsa_next_free_vgpr 1
		.amdhsa_next_free_sgpr 1
		.amdhsa_reserve_vcc 0
		.amdhsa_reserve_flat_scratch 0
		.amdhsa_float_round_mode_32 0
		.amdhsa_float_round_mode_16_64 0
		.amdhsa_float_denorm_mode_32 3
		.amdhsa_float_denorm_mode_16_64 3
		.amdhsa_dx10_clamp 1
		.amdhsa_ieee_mode 1
		.amdhsa_fp16_overflow 0
		.amdhsa_workgroup_processor_mode 1
		.amdhsa_memory_ordered 1
		.amdhsa_forward_progress 1
		.amdhsa_shared_vgpr_count 0
		.amdhsa_exception_fp_ieee_invalid_op 0
		.amdhsa_exception_fp_denorm_src 0
		.amdhsa_exception_fp_ieee_div_zero 0
		.amdhsa_exception_fp_ieee_overflow 0
		.amdhsa_exception_fp_ieee_underflow 0
		.amdhsa_exception_fp_ieee_inexact 0
		.amdhsa_exception_int_div_zero 0
	.end_amdhsa_kernel
	.section	.text._ZN7rocprim17ROCPRIM_400000_NS6detail17trampoline_kernelINS0_14default_configENS1_27scan_by_key_config_selectorIitEEZZNS1_16scan_by_key_implILNS1_25lookback_scan_determinismE0ELb0ES3_N6thrust23THRUST_200600_302600_NS6detail15normal_iteratorINS9_10device_ptrIiEEEENSB_INSC_ItEEEESG_tNS9_4plusIvEENS9_8equal_toIvEEtEE10hipError_tPvRmT2_T3_T4_T5_mT6_T7_P12ihipStream_tbENKUlT_T0_E_clISt17integral_constantIbLb1EES10_IbLb0EEEEDaSW_SX_EUlSW_E_NS1_11comp_targetILNS1_3genE2ELNS1_11target_archE906ELNS1_3gpuE6ELNS1_3repE0EEENS1_30default_config_static_selectorELNS0_4arch9wavefront6targetE0EEEvT1_,"axG",@progbits,_ZN7rocprim17ROCPRIM_400000_NS6detail17trampoline_kernelINS0_14default_configENS1_27scan_by_key_config_selectorIitEEZZNS1_16scan_by_key_implILNS1_25lookback_scan_determinismE0ELb0ES3_N6thrust23THRUST_200600_302600_NS6detail15normal_iteratorINS9_10device_ptrIiEEEENSB_INSC_ItEEEESG_tNS9_4plusIvEENS9_8equal_toIvEEtEE10hipError_tPvRmT2_T3_T4_T5_mT6_T7_P12ihipStream_tbENKUlT_T0_E_clISt17integral_constantIbLb1EES10_IbLb0EEEEDaSW_SX_EUlSW_E_NS1_11comp_targetILNS1_3genE2ELNS1_11target_archE906ELNS1_3gpuE6ELNS1_3repE0EEENS1_30default_config_static_selectorELNS0_4arch9wavefront6targetE0EEEvT1_,comdat
.Lfunc_end1294:
	.size	_ZN7rocprim17ROCPRIM_400000_NS6detail17trampoline_kernelINS0_14default_configENS1_27scan_by_key_config_selectorIitEEZZNS1_16scan_by_key_implILNS1_25lookback_scan_determinismE0ELb0ES3_N6thrust23THRUST_200600_302600_NS6detail15normal_iteratorINS9_10device_ptrIiEEEENSB_INSC_ItEEEESG_tNS9_4plusIvEENS9_8equal_toIvEEtEE10hipError_tPvRmT2_T3_T4_T5_mT6_T7_P12ihipStream_tbENKUlT_T0_E_clISt17integral_constantIbLb1EES10_IbLb0EEEEDaSW_SX_EUlSW_E_NS1_11comp_targetILNS1_3genE2ELNS1_11target_archE906ELNS1_3gpuE6ELNS1_3repE0EEENS1_30default_config_static_selectorELNS0_4arch9wavefront6targetE0EEEvT1_, .Lfunc_end1294-_ZN7rocprim17ROCPRIM_400000_NS6detail17trampoline_kernelINS0_14default_configENS1_27scan_by_key_config_selectorIitEEZZNS1_16scan_by_key_implILNS1_25lookback_scan_determinismE0ELb0ES3_N6thrust23THRUST_200600_302600_NS6detail15normal_iteratorINS9_10device_ptrIiEEEENSB_INSC_ItEEEESG_tNS9_4plusIvEENS9_8equal_toIvEEtEE10hipError_tPvRmT2_T3_T4_T5_mT6_T7_P12ihipStream_tbENKUlT_T0_E_clISt17integral_constantIbLb1EES10_IbLb0EEEEDaSW_SX_EUlSW_E_NS1_11comp_targetILNS1_3genE2ELNS1_11target_archE906ELNS1_3gpuE6ELNS1_3repE0EEENS1_30default_config_static_selectorELNS0_4arch9wavefront6targetE0EEEvT1_
                                        ; -- End function
	.set _ZN7rocprim17ROCPRIM_400000_NS6detail17trampoline_kernelINS0_14default_configENS1_27scan_by_key_config_selectorIitEEZZNS1_16scan_by_key_implILNS1_25lookback_scan_determinismE0ELb0ES3_N6thrust23THRUST_200600_302600_NS6detail15normal_iteratorINS9_10device_ptrIiEEEENSB_INSC_ItEEEESG_tNS9_4plusIvEENS9_8equal_toIvEEtEE10hipError_tPvRmT2_T3_T4_T5_mT6_T7_P12ihipStream_tbENKUlT_T0_E_clISt17integral_constantIbLb1EES10_IbLb0EEEEDaSW_SX_EUlSW_E_NS1_11comp_targetILNS1_3genE2ELNS1_11target_archE906ELNS1_3gpuE6ELNS1_3repE0EEENS1_30default_config_static_selectorELNS0_4arch9wavefront6targetE0EEEvT1_.num_vgpr, 0
	.set _ZN7rocprim17ROCPRIM_400000_NS6detail17trampoline_kernelINS0_14default_configENS1_27scan_by_key_config_selectorIitEEZZNS1_16scan_by_key_implILNS1_25lookback_scan_determinismE0ELb0ES3_N6thrust23THRUST_200600_302600_NS6detail15normal_iteratorINS9_10device_ptrIiEEEENSB_INSC_ItEEEESG_tNS9_4plusIvEENS9_8equal_toIvEEtEE10hipError_tPvRmT2_T3_T4_T5_mT6_T7_P12ihipStream_tbENKUlT_T0_E_clISt17integral_constantIbLb1EES10_IbLb0EEEEDaSW_SX_EUlSW_E_NS1_11comp_targetILNS1_3genE2ELNS1_11target_archE906ELNS1_3gpuE6ELNS1_3repE0EEENS1_30default_config_static_selectorELNS0_4arch9wavefront6targetE0EEEvT1_.num_agpr, 0
	.set _ZN7rocprim17ROCPRIM_400000_NS6detail17trampoline_kernelINS0_14default_configENS1_27scan_by_key_config_selectorIitEEZZNS1_16scan_by_key_implILNS1_25lookback_scan_determinismE0ELb0ES3_N6thrust23THRUST_200600_302600_NS6detail15normal_iteratorINS9_10device_ptrIiEEEENSB_INSC_ItEEEESG_tNS9_4plusIvEENS9_8equal_toIvEEtEE10hipError_tPvRmT2_T3_T4_T5_mT6_T7_P12ihipStream_tbENKUlT_T0_E_clISt17integral_constantIbLb1EES10_IbLb0EEEEDaSW_SX_EUlSW_E_NS1_11comp_targetILNS1_3genE2ELNS1_11target_archE906ELNS1_3gpuE6ELNS1_3repE0EEENS1_30default_config_static_selectorELNS0_4arch9wavefront6targetE0EEEvT1_.numbered_sgpr, 0
	.set _ZN7rocprim17ROCPRIM_400000_NS6detail17trampoline_kernelINS0_14default_configENS1_27scan_by_key_config_selectorIitEEZZNS1_16scan_by_key_implILNS1_25lookback_scan_determinismE0ELb0ES3_N6thrust23THRUST_200600_302600_NS6detail15normal_iteratorINS9_10device_ptrIiEEEENSB_INSC_ItEEEESG_tNS9_4plusIvEENS9_8equal_toIvEEtEE10hipError_tPvRmT2_T3_T4_T5_mT6_T7_P12ihipStream_tbENKUlT_T0_E_clISt17integral_constantIbLb1EES10_IbLb0EEEEDaSW_SX_EUlSW_E_NS1_11comp_targetILNS1_3genE2ELNS1_11target_archE906ELNS1_3gpuE6ELNS1_3repE0EEENS1_30default_config_static_selectorELNS0_4arch9wavefront6targetE0EEEvT1_.num_named_barrier, 0
	.set _ZN7rocprim17ROCPRIM_400000_NS6detail17trampoline_kernelINS0_14default_configENS1_27scan_by_key_config_selectorIitEEZZNS1_16scan_by_key_implILNS1_25lookback_scan_determinismE0ELb0ES3_N6thrust23THRUST_200600_302600_NS6detail15normal_iteratorINS9_10device_ptrIiEEEENSB_INSC_ItEEEESG_tNS9_4plusIvEENS9_8equal_toIvEEtEE10hipError_tPvRmT2_T3_T4_T5_mT6_T7_P12ihipStream_tbENKUlT_T0_E_clISt17integral_constantIbLb1EES10_IbLb0EEEEDaSW_SX_EUlSW_E_NS1_11comp_targetILNS1_3genE2ELNS1_11target_archE906ELNS1_3gpuE6ELNS1_3repE0EEENS1_30default_config_static_selectorELNS0_4arch9wavefront6targetE0EEEvT1_.private_seg_size, 0
	.set _ZN7rocprim17ROCPRIM_400000_NS6detail17trampoline_kernelINS0_14default_configENS1_27scan_by_key_config_selectorIitEEZZNS1_16scan_by_key_implILNS1_25lookback_scan_determinismE0ELb0ES3_N6thrust23THRUST_200600_302600_NS6detail15normal_iteratorINS9_10device_ptrIiEEEENSB_INSC_ItEEEESG_tNS9_4plusIvEENS9_8equal_toIvEEtEE10hipError_tPvRmT2_T3_T4_T5_mT6_T7_P12ihipStream_tbENKUlT_T0_E_clISt17integral_constantIbLb1EES10_IbLb0EEEEDaSW_SX_EUlSW_E_NS1_11comp_targetILNS1_3genE2ELNS1_11target_archE906ELNS1_3gpuE6ELNS1_3repE0EEENS1_30default_config_static_selectorELNS0_4arch9wavefront6targetE0EEEvT1_.uses_vcc, 0
	.set _ZN7rocprim17ROCPRIM_400000_NS6detail17trampoline_kernelINS0_14default_configENS1_27scan_by_key_config_selectorIitEEZZNS1_16scan_by_key_implILNS1_25lookback_scan_determinismE0ELb0ES3_N6thrust23THRUST_200600_302600_NS6detail15normal_iteratorINS9_10device_ptrIiEEEENSB_INSC_ItEEEESG_tNS9_4plusIvEENS9_8equal_toIvEEtEE10hipError_tPvRmT2_T3_T4_T5_mT6_T7_P12ihipStream_tbENKUlT_T0_E_clISt17integral_constantIbLb1EES10_IbLb0EEEEDaSW_SX_EUlSW_E_NS1_11comp_targetILNS1_3genE2ELNS1_11target_archE906ELNS1_3gpuE6ELNS1_3repE0EEENS1_30default_config_static_selectorELNS0_4arch9wavefront6targetE0EEEvT1_.uses_flat_scratch, 0
	.set _ZN7rocprim17ROCPRIM_400000_NS6detail17trampoline_kernelINS0_14default_configENS1_27scan_by_key_config_selectorIitEEZZNS1_16scan_by_key_implILNS1_25lookback_scan_determinismE0ELb0ES3_N6thrust23THRUST_200600_302600_NS6detail15normal_iteratorINS9_10device_ptrIiEEEENSB_INSC_ItEEEESG_tNS9_4plusIvEENS9_8equal_toIvEEtEE10hipError_tPvRmT2_T3_T4_T5_mT6_T7_P12ihipStream_tbENKUlT_T0_E_clISt17integral_constantIbLb1EES10_IbLb0EEEEDaSW_SX_EUlSW_E_NS1_11comp_targetILNS1_3genE2ELNS1_11target_archE906ELNS1_3gpuE6ELNS1_3repE0EEENS1_30default_config_static_selectorELNS0_4arch9wavefront6targetE0EEEvT1_.has_dyn_sized_stack, 0
	.set _ZN7rocprim17ROCPRIM_400000_NS6detail17trampoline_kernelINS0_14default_configENS1_27scan_by_key_config_selectorIitEEZZNS1_16scan_by_key_implILNS1_25lookback_scan_determinismE0ELb0ES3_N6thrust23THRUST_200600_302600_NS6detail15normal_iteratorINS9_10device_ptrIiEEEENSB_INSC_ItEEEESG_tNS9_4plusIvEENS9_8equal_toIvEEtEE10hipError_tPvRmT2_T3_T4_T5_mT6_T7_P12ihipStream_tbENKUlT_T0_E_clISt17integral_constantIbLb1EES10_IbLb0EEEEDaSW_SX_EUlSW_E_NS1_11comp_targetILNS1_3genE2ELNS1_11target_archE906ELNS1_3gpuE6ELNS1_3repE0EEENS1_30default_config_static_selectorELNS0_4arch9wavefront6targetE0EEEvT1_.has_recursion, 0
	.set _ZN7rocprim17ROCPRIM_400000_NS6detail17trampoline_kernelINS0_14default_configENS1_27scan_by_key_config_selectorIitEEZZNS1_16scan_by_key_implILNS1_25lookback_scan_determinismE0ELb0ES3_N6thrust23THRUST_200600_302600_NS6detail15normal_iteratorINS9_10device_ptrIiEEEENSB_INSC_ItEEEESG_tNS9_4plusIvEENS9_8equal_toIvEEtEE10hipError_tPvRmT2_T3_T4_T5_mT6_T7_P12ihipStream_tbENKUlT_T0_E_clISt17integral_constantIbLb1EES10_IbLb0EEEEDaSW_SX_EUlSW_E_NS1_11comp_targetILNS1_3genE2ELNS1_11target_archE906ELNS1_3gpuE6ELNS1_3repE0EEENS1_30default_config_static_selectorELNS0_4arch9wavefront6targetE0EEEvT1_.has_indirect_call, 0
	.section	.AMDGPU.csdata,"",@progbits
; Kernel info:
; codeLenInByte = 0
; TotalNumSgprs: 0
; NumVgprs: 0
; ScratchSize: 0
; MemoryBound: 0
; FloatMode: 240
; IeeeMode: 1
; LDSByteSize: 0 bytes/workgroup (compile time only)
; SGPRBlocks: 0
; VGPRBlocks: 0
; NumSGPRsForWavesPerEU: 1
; NumVGPRsForWavesPerEU: 1
; Occupancy: 16
; WaveLimiterHint : 0
; COMPUTE_PGM_RSRC2:SCRATCH_EN: 0
; COMPUTE_PGM_RSRC2:USER_SGPR: 6
; COMPUTE_PGM_RSRC2:TRAP_HANDLER: 0
; COMPUTE_PGM_RSRC2:TGID_X_EN: 1
; COMPUTE_PGM_RSRC2:TGID_Y_EN: 0
; COMPUTE_PGM_RSRC2:TGID_Z_EN: 0
; COMPUTE_PGM_RSRC2:TIDIG_COMP_CNT: 0
	.section	.text._ZN7rocprim17ROCPRIM_400000_NS6detail17trampoline_kernelINS0_14default_configENS1_27scan_by_key_config_selectorIitEEZZNS1_16scan_by_key_implILNS1_25lookback_scan_determinismE0ELb0ES3_N6thrust23THRUST_200600_302600_NS6detail15normal_iteratorINS9_10device_ptrIiEEEENSB_INSC_ItEEEESG_tNS9_4plusIvEENS9_8equal_toIvEEtEE10hipError_tPvRmT2_T3_T4_T5_mT6_T7_P12ihipStream_tbENKUlT_T0_E_clISt17integral_constantIbLb1EES10_IbLb0EEEEDaSW_SX_EUlSW_E_NS1_11comp_targetILNS1_3genE10ELNS1_11target_archE1200ELNS1_3gpuE4ELNS1_3repE0EEENS1_30default_config_static_selectorELNS0_4arch9wavefront6targetE0EEEvT1_,"axG",@progbits,_ZN7rocprim17ROCPRIM_400000_NS6detail17trampoline_kernelINS0_14default_configENS1_27scan_by_key_config_selectorIitEEZZNS1_16scan_by_key_implILNS1_25lookback_scan_determinismE0ELb0ES3_N6thrust23THRUST_200600_302600_NS6detail15normal_iteratorINS9_10device_ptrIiEEEENSB_INSC_ItEEEESG_tNS9_4plusIvEENS9_8equal_toIvEEtEE10hipError_tPvRmT2_T3_T4_T5_mT6_T7_P12ihipStream_tbENKUlT_T0_E_clISt17integral_constantIbLb1EES10_IbLb0EEEEDaSW_SX_EUlSW_E_NS1_11comp_targetILNS1_3genE10ELNS1_11target_archE1200ELNS1_3gpuE4ELNS1_3repE0EEENS1_30default_config_static_selectorELNS0_4arch9wavefront6targetE0EEEvT1_,comdat
	.protected	_ZN7rocprim17ROCPRIM_400000_NS6detail17trampoline_kernelINS0_14default_configENS1_27scan_by_key_config_selectorIitEEZZNS1_16scan_by_key_implILNS1_25lookback_scan_determinismE0ELb0ES3_N6thrust23THRUST_200600_302600_NS6detail15normal_iteratorINS9_10device_ptrIiEEEENSB_INSC_ItEEEESG_tNS9_4plusIvEENS9_8equal_toIvEEtEE10hipError_tPvRmT2_T3_T4_T5_mT6_T7_P12ihipStream_tbENKUlT_T0_E_clISt17integral_constantIbLb1EES10_IbLb0EEEEDaSW_SX_EUlSW_E_NS1_11comp_targetILNS1_3genE10ELNS1_11target_archE1200ELNS1_3gpuE4ELNS1_3repE0EEENS1_30default_config_static_selectorELNS0_4arch9wavefront6targetE0EEEvT1_ ; -- Begin function _ZN7rocprim17ROCPRIM_400000_NS6detail17trampoline_kernelINS0_14default_configENS1_27scan_by_key_config_selectorIitEEZZNS1_16scan_by_key_implILNS1_25lookback_scan_determinismE0ELb0ES3_N6thrust23THRUST_200600_302600_NS6detail15normal_iteratorINS9_10device_ptrIiEEEENSB_INSC_ItEEEESG_tNS9_4plusIvEENS9_8equal_toIvEEtEE10hipError_tPvRmT2_T3_T4_T5_mT6_T7_P12ihipStream_tbENKUlT_T0_E_clISt17integral_constantIbLb1EES10_IbLb0EEEEDaSW_SX_EUlSW_E_NS1_11comp_targetILNS1_3genE10ELNS1_11target_archE1200ELNS1_3gpuE4ELNS1_3repE0EEENS1_30default_config_static_selectorELNS0_4arch9wavefront6targetE0EEEvT1_
	.globl	_ZN7rocprim17ROCPRIM_400000_NS6detail17trampoline_kernelINS0_14default_configENS1_27scan_by_key_config_selectorIitEEZZNS1_16scan_by_key_implILNS1_25lookback_scan_determinismE0ELb0ES3_N6thrust23THRUST_200600_302600_NS6detail15normal_iteratorINS9_10device_ptrIiEEEENSB_INSC_ItEEEESG_tNS9_4plusIvEENS9_8equal_toIvEEtEE10hipError_tPvRmT2_T3_T4_T5_mT6_T7_P12ihipStream_tbENKUlT_T0_E_clISt17integral_constantIbLb1EES10_IbLb0EEEEDaSW_SX_EUlSW_E_NS1_11comp_targetILNS1_3genE10ELNS1_11target_archE1200ELNS1_3gpuE4ELNS1_3repE0EEENS1_30default_config_static_selectorELNS0_4arch9wavefront6targetE0EEEvT1_
	.p2align	8
	.type	_ZN7rocprim17ROCPRIM_400000_NS6detail17trampoline_kernelINS0_14default_configENS1_27scan_by_key_config_selectorIitEEZZNS1_16scan_by_key_implILNS1_25lookback_scan_determinismE0ELb0ES3_N6thrust23THRUST_200600_302600_NS6detail15normal_iteratorINS9_10device_ptrIiEEEENSB_INSC_ItEEEESG_tNS9_4plusIvEENS9_8equal_toIvEEtEE10hipError_tPvRmT2_T3_T4_T5_mT6_T7_P12ihipStream_tbENKUlT_T0_E_clISt17integral_constantIbLb1EES10_IbLb0EEEEDaSW_SX_EUlSW_E_NS1_11comp_targetILNS1_3genE10ELNS1_11target_archE1200ELNS1_3gpuE4ELNS1_3repE0EEENS1_30default_config_static_selectorELNS0_4arch9wavefront6targetE0EEEvT1_,@function
_ZN7rocprim17ROCPRIM_400000_NS6detail17trampoline_kernelINS0_14default_configENS1_27scan_by_key_config_selectorIitEEZZNS1_16scan_by_key_implILNS1_25lookback_scan_determinismE0ELb0ES3_N6thrust23THRUST_200600_302600_NS6detail15normal_iteratorINS9_10device_ptrIiEEEENSB_INSC_ItEEEESG_tNS9_4plusIvEENS9_8equal_toIvEEtEE10hipError_tPvRmT2_T3_T4_T5_mT6_T7_P12ihipStream_tbENKUlT_T0_E_clISt17integral_constantIbLb1EES10_IbLb0EEEEDaSW_SX_EUlSW_E_NS1_11comp_targetILNS1_3genE10ELNS1_11target_archE1200ELNS1_3gpuE4ELNS1_3repE0EEENS1_30default_config_static_selectorELNS0_4arch9wavefront6targetE0EEEvT1_: ; @_ZN7rocprim17ROCPRIM_400000_NS6detail17trampoline_kernelINS0_14default_configENS1_27scan_by_key_config_selectorIitEEZZNS1_16scan_by_key_implILNS1_25lookback_scan_determinismE0ELb0ES3_N6thrust23THRUST_200600_302600_NS6detail15normal_iteratorINS9_10device_ptrIiEEEENSB_INSC_ItEEEESG_tNS9_4plusIvEENS9_8equal_toIvEEtEE10hipError_tPvRmT2_T3_T4_T5_mT6_T7_P12ihipStream_tbENKUlT_T0_E_clISt17integral_constantIbLb1EES10_IbLb0EEEEDaSW_SX_EUlSW_E_NS1_11comp_targetILNS1_3genE10ELNS1_11target_archE1200ELNS1_3gpuE4ELNS1_3repE0EEENS1_30default_config_static_selectorELNS0_4arch9wavefront6targetE0EEEvT1_
; %bb.0:
	.section	.rodata,"a",@progbits
	.p2align	6, 0x0
	.amdhsa_kernel _ZN7rocprim17ROCPRIM_400000_NS6detail17trampoline_kernelINS0_14default_configENS1_27scan_by_key_config_selectorIitEEZZNS1_16scan_by_key_implILNS1_25lookback_scan_determinismE0ELb0ES3_N6thrust23THRUST_200600_302600_NS6detail15normal_iteratorINS9_10device_ptrIiEEEENSB_INSC_ItEEEESG_tNS9_4plusIvEENS9_8equal_toIvEEtEE10hipError_tPvRmT2_T3_T4_T5_mT6_T7_P12ihipStream_tbENKUlT_T0_E_clISt17integral_constantIbLb1EES10_IbLb0EEEEDaSW_SX_EUlSW_E_NS1_11comp_targetILNS1_3genE10ELNS1_11target_archE1200ELNS1_3gpuE4ELNS1_3repE0EEENS1_30default_config_static_selectorELNS0_4arch9wavefront6targetE0EEEvT1_
		.amdhsa_group_segment_fixed_size 0
		.amdhsa_private_segment_fixed_size 0
		.amdhsa_kernarg_size 112
		.amdhsa_user_sgpr_count 6
		.amdhsa_user_sgpr_private_segment_buffer 1
		.amdhsa_user_sgpr_dispatch_ptr 0
		.amdhsa_user_sgpr_queue_ptr 0
		.amdhsa_user_sgpr_kernarg_segment_ptr 1
		.amdhsa_user_sgpr_dispatch_id 0
		.amdhsa_user_sgpr_flat_scratch_init 0
		.amdhsa_user_sgpr_private_segment_size 0
		.amdhsa_wavefront_size32 1
		.amdhsa_uses_dynamic_stack 0
		.amdhsa_system_sgpr_private_segment_wavefront_offset 0
		.amdhsa_system_sgpr_workgroup_id_x 1
		.amdhsa_system_sgpr_workgroup_id_y 0
		.amdhsa_system_sgpr_workgroup_id_z 0
		.amdhsa_system_sgpr_workgroup_info 0
		.amdhsa_system_vgpr_workitem_id 0
		.amdhsa_next_free_vgpr 1
		.amdhsa_next_free_sgpr 1
		.amdhsa_reserve_vcc 0
		.amdhsa_reserve_flat_scratch 0
		.amdhsa_float_round_mode_32 0
		.amdhsa_float_round_mode_16_64 0
		.amdhsa_float_denorm_mode_32 3
		.amdhsa_float_denorm_mode_16_64 3
		.amdhsa_dx10_clamp 1
		.amdhsa_ieee_mode 1
		.amdhsa_fp16_overflow 0
		.amdhsa_workgroup_processor_mode 1
		.amdhsa_memory_ordered 1
		.amdhsa_forward_progress 1
		.amdhsa_shared_vgpr_count 0
		.amdhsa_exception_fp_ieee_invalid_op 0
		.amdhsa_exception_fp_denorm_src 0
		.amdhsa_exception_fp_ieee_div_zero 0
		.amdhsa_exception_fp_ieee_overflow 0
		.amdhsa_exception_fp_ieee_underflow 0
		.amdhsa_exception_fp_ieee_inexact 0
		.amdhsa_exception_int_div_zero 0
	.end_amdhsa_kernel
	.section	.text._ZN7rocprim17ROCPRIM_400000_NS6detail17trampoline_kernelINS0_14default_configENS1_27scan_by_key_config_selectorIitEEZZNS1_16scan_by_key_implILNS1_25lookback_scan_determinismE0ELb0ES3_N6thrust23THRUST_200600_302600_NS6detail15normal_iteratorINS9_10device_ptrIiEEEENSB_INSC_ItEEEESG_tNS9_4plusIvEENS9_8equal_toIvEEtEE10hipError_tPvRmT2_T3_T4_T5_mT6_T7_P12ihipStream_tbENKUlT_T0_E_clISt17integral_constantIbLb1EES10_IbLb0EEEEDaSW_SX_EUlSW_E_NS1_11comp_targetILNS1_3genE10ELNS1_11target_archE1200ELNS1_3gpuE4ELNS1_3repE0EEENS1_30default_config_static_selectorELNS0_4arch9wavefront6targetE0EEEvT1_,"axG",@progbits,_ZN7rocprim17ROCPRIM_400000_NS6detail17trampoline_kernelINS0_14default_configENS1_27scan_by_key_config_selectorIitEEZZNS1_16scan_by_key_implILNS1_25lookback_scan_determinismE0ELb0ES3_N6thrust23THRUST_200600_302600_NS6detail15normal_iteratorINS9_10device_ptrIiEEEENSB_INSC_ItEEEESG_tNS9_4plusIvEENS9_8equal_toIvEEtEE10hipError_tPvRmT2_T3_T4_T5_mT6_T7_P12ihipStream_tbENKUlT_T0_E_clISt17integral_constantIbLb1EES10_IbLb0EEEEDaSW_SX_EUlSW_E_NS1_11comp_targetILNS1_3genE10ELNS1_11target_archE1200ELNS1_3gpuE4ELNS1_3repE0EEENS1_30default_config_static_selectorELNS0_4arch9wavefront6targetE0EEEvT1_,comdat
.Lfunc_end1295:
	.size	_ZN7rocprim17ROCPRIM_400000_NS6detail17trampoline_kernelINS0_14default_configENS1_27scan_by_key_config_selectorIitEEZZNS1_16scan_by_key_implILNS1_25lookback_scan_determinismE0ELb0ES3_N6thrust23THRUST_200600_302600_NS6detail15normal_iteratorINS9_10device_ptrIiEEEENSB_INSC_ItEEEESG_tNS9_4plusIvEENS9_8equal_toIvEEtEE10hipError_tPvRmT2_T3_T4_T5_mT6_T7_P12ihipStream_tbENKUlT_T0_E_clISt17integral_constantIbLb1EES10_IbLb0EEEEDaSW_SX_EUlSW_E_NS1_11comp_targetILNS1_3genE10ELNS1_11target_archE1200ELNS1_3gpuE4ELNS1_3repE0EEENS1_30default_config_static_selectorELNS0_4arch9wavefront6targetE0EEEvT1_, .Lfunc_end1295-_ZN7rocprim17ROCPRIM_400000_NS6detail17trampoline_kernelINS0_14default_configENS1_27scan_by_key_config_selectorIitEEZZNS1_16scan_by_key_implILNS1_25lookback_scan_determinismE0ELb0ES3_N6thrust23THRUST_200600_302600_NS6detail15normal_iteratorINS9_10device_ptrIiEEEENSB_INSC_ItEEEESG_tNS9_4plusIvEENS9_8equal_toIvEEtEE10hipError_tPvRmT2_T3_T4_T5_mT6_T7_P12ihipStream_tbENKUlT_T0_E_clISt17integral_constantIbLb1EES10_IbLb0EEEEDaSW_SX_EUlSW_E_NS1_11comp_targetILNS1_3genE10ELNS1_11target_archE1200ELNS1_3gpuE4ELNS1_3repE0EEENS1_30default_config_static_selectorELNS0_4arch9wavefront6targetE0EEEvT1_
                                        ; -- End function
	.set _ZN7rocprim17ROCPRIM_400000_NS6detail17trampoline_kernelINS0_14default_configENS1_27scan_by_key_config_selectorIitEEZZNS1_16scan_by_key_implILNS1_25lookback_scan_determinismE0ELb0ES3_N6thrust23THRUST_200600_302600_NS6detail15normal_iteratorINS9_10device_ptrIiEEEENSB_INSC_ItEEEESG_tNS9_4plusIvEENS9_8equal_toIvEEtEE10hipError_tPvRmT2_T3_T4_T5_mT6_T7_P12ihipStream_tbENKUlT_T0_E_clISt17integral_constantIbLb1EES10_IbLb0EEEEDaSW_SX_EUlSW_E_NS1_11comp_targetILNS1_3genE10ELNS1_11target_archE1200ELNS1_3gpuE4ELNS1_3repE0EEENS1_30default_config_static_selectorELNS0_4arch9wavefront6targetE0EEEvT1_.num_vgpr, 0
	.set _ZN7rocprim17ROCPRIM_400000_NS6detail17trampoline_kernelINS0_14default_configENS1_27scan_by_key_config_selectorIitEEZZNS1_16scan_by_key_implILNS1_25lookback_scan_determinismE0ELb0ES3_N6thrust23THRUST_200600_302600_NS6detail15normal_iteratorINS9_10device_ptrIiEEEENSB_INSC_ItEEEESG_tNS9_4plusIvEENS9_8equal_toIvEEtEE10hipError_tPvRmT2_T3_T4_T5_mT6_T7_P12ihipStream_tbENKUlT_T0_E_clISt17integral_constantIbLb1EES10_IbLb0EEEEDaSW_SX_EUlSW_E_NS1_11comp_targetILNS1_3genE10ELNS1_11target_archE1200ELNS1_3gpuE4ELNS1_3repE0EEENS1_30default_config_static_selectorELNS0_4arch9wavefront6targetE0EEEvT1_.num_agpr, 0
	.set _ZN7rocprim17ROCPRIM_400000_NS6detail17trampoline_kernelINS0_14default_configENS1_27scan_by_key_config_selectorIitEEZZNS1_16scan_by_key_implILNS1_25lookback_scan_determinismE0ELb0ES3_N6thrust23THRUST_200600_302600_NS6detail15normal_iteratorINS9_10device_ptrIiEEEENSB_INSC_ItEEEESG_tNS9_4plusIvEENS9_8equal_toIvEEtEE10hipError_tPvRmT2_T3_T4_T5_mT6_T7_P12ihipStream_tbENKUlT_T0_E_clISt17integral_constantIbLb1EES10_IbLb0EEEEDaSW_SX_EUlSW_E_NS1_11comp_targetILNS1_3genE10ELNS1_11target_archE1200ELNS1_3gpuE4ELNS1_3repE0EEENS1_30default_config_static_selectorELNS0_4arch9wavefront6targetE0EEEvT1_.numbered_sgpr, 0
	.set _ZN7rocprim17ROCPRIM_400000_NS6detail17trampoline_kernelINS0_14default_configENS1_27scan_by_key_config_selectorIitEEZZNS1_16scan_by_key_implILNS1_25lookback_scan_determinismE0ELb0ES3_N6thrust23THRUST_200600_302600_NS6detail15normal_iteratorINS9_10device_ptrIiEEEENSB_INSC_ItEEEESG_tNS9_4plusIvEENS9_8equal_toIvEEtEE10hipError_tPvRmT2_T3_T4_T5_mT6_T7_P12ihipStream_tbENKUlT_T0_E_clISt17integral_constantIbLb1EES10_IbLb0EEEEDaSW_SX_EUlSW_E_NS1_11comp_targetILNS1_3genE10ELNS1_11target_archE1200ELNS1_3gpuE4ELNS1_3repE0EEENS1_30default_config_static_selectorELNS0_4arch9wavefront6targetE0EEEvT1_.num_named_barrier, 0
	.set _ZN7rocprim17ROCPRIM_400000_NS6detail17trampoline_kernelINS0_14default_configENS1_27scan_by_key_config_selectorIitEEZZNS1_16scan_by_key_implILNS1_25lookback_scan_determinismE0ELb0ES3_N6thrust23THRUST_200600_302600_NS6detail15normal_iteratorINS9_10device_ptrIiEEEENSB_INSC_ItEEEESG_tNS9_4plusIvEENS9_8equal_toIvEEtEE10hipError_tPvRmT2_T3_T4_T5_mT6_T7_P12ihipStream_tbENKUlT_T0_E_clISt17integral_constantIbLb1EES10_IbLb0EEEEDaSW_SX_EUlSW_E_NS1_11comp_targetILNS1_3genE10ELNS1_11target_archE1200ELNS1_3gpuE4ELNS1_3repE0EEENS1_30default_config_static_selectorELNS0_4arch9wavefront6targetE0EEEvT1_.private_seg_size, 0
	.set _ZN7rocprim17ROCPRIM_400000_NS6detail17trampoline_kernelINS0_14default_configENS1_27scan_by_key_config_selectorIitEEZZNS1_16scan_by_key_implILNS1_25lookback_scan_determinismE0ELb0ES3_N6thrust23THRUST_200600_302600_NS6detail15normal_iteratorINS9_10device_ptrIiEEEENSB_INSC_ItEEEESG_tNS9_4plusIvEENS9_8equal_toIvEEtEE10hipError_tPvRmT2_T3_T4_T5_mT6_T7_P12ihipStream_tbENKUlT_T0_E_clISt17integral_constantIbLb1EES10_IbLb0EEEEDaSW_SX_EUlSW_E_NS1_11comp_targetILNS1_3genE10ELNS1_11target_archE1200ELNS1_3gpuE4ELNS1_3repE0EEENS1_30default_config_static_selectorELNS0_4arch9wavefront6targetE0EEEvT1_.uses_vcc, 0
	.set _ZN7rocprim17ROCPRIM_400000_NS6detail17trampoline_kernelINS0_14default_configENS1_27scan_by_key_config_selectorIitEEZZNS1_16scan_by_key_implILNS1_25lookback_scan_determinismE0ELb0ES3_N6thrust23THRUST_200600_302600_NS6detail15normal_iteratorINS9_10device_ptrIiEEEENSB_INSC_ItEEEESG_tNS9_4plusIvEENS9_8equal_toIvEEtEE10hipError_tPvRmT2_T3_T4_T5_mT6_T7_P12ihipStream_tbENKUlT_T0_E_clISt17integral_constantIbLb1EES10_IbLb0EEEEDaSW_SX_EUlSW_E_NS1_11comp_targetILNS1_3genE10ELNS1_11target_archE1200ELNS1_3gpuE4ELNS1_3repE0EEENS1_30default_config_static_selectorELNS0_4arch9wavefront6targetE0EEEvT1_.uses_flat_scratch, 0
	.set _ZN7rocprim17ROCPRIM_400000_NS6detail17trampoline_kernelINS0_14default_configENS1_27scan_by_key_config_selectorIitEEZZNS1_16scan_by_key_implILNS1_25lookback_scan_determinismE0ELb0ES3_N6thrust23THRUST_200600_302600_NS6detail15normal_iteratorINS9_10device_ptrIiEEEENSB_INSC_ItEEEESG_tNS9_4plusIvEENS9_8equal_toIvEEtEE10hipError_tPvRmT2_T3_T4_T5_mT6_T7_P12ihipStream_tbENKUlT_T0_E_clISt17integral_constantIbLb1EES10_IbLb0EEEEDaSW_SX_EUlSW_E_NS1_11comp_targetILNS1_3genE10ELNS1_11target_archE1200ELNS1_3gpuE4ELNS1_3repE0EEENS1_30default_config_static_selectorELNS0_4arch9wavefront6targetE0EEEvT1_.has_dyn_sized_stack, 0
	.set _ZN7rocprim17ROCPRIM_400000_NS6detail17trampoline_kernelINS0_14default_configENS1_27scan_by_key_config_selectorIitEEZZNS1_16scan_by_key_implILNS1_25lookback_scan_determinismE0ELb0ES3_N6thrust23THRUST_200600_302600_NS6detail15normal_iteratorINS9_10device_ptrIiEEEENSB_INSC_ItEEEESG_tNS9_4plusIvEENS9_8equal_toIvEEtEE10hipError_tPvRmT2_T3_T4_T5_mT6_T7_P12ihipStream_tbENKUlT_T0_E_clISt17integral_constantIbLb1EES10_IbLb0EEEEDaSW_SX_EUlSW_E_NS1_11comp_targetILNS1_3genE10ELNS1_11target_archE1200ELNS1_3gpuE4ELNS1_3repE0EEENS1_30default_config_static_selectorELNS0_4arch9wavefront6targetE0EEEvT1_.has_recursion, 0
	.set _ZN7rocprim17ROCPRIM_400000_NS6detail17trampoline_kernelINS0_14default_configENS1_27scan_by_key_config_selectorIitEEZZNS1_16scan_by_key_implILNS1_25lookback_scan_determinismE0ELb0ES3_N6thrust23THRUST_200600_302600_NS6detail15normal_iteratorINS9_10device_ptrIiEEEENSB_INSC_ItEEEESG_tNS9_4plusIvEENS9_8equal_toIvEEtEE10hipError_tPvRmT2_T3_T4_T5_mT6_T7_P12ihipStream_tbENKUlT_T0_E_clISt17integral_constantIbLb1EES10_IbLb0EEEEDaSW_SX_EUlSW_E_NS1_11comp_targetILNS1_3genE10ELNS1_11target_archE1200ELNS1_3gpuE4ELNS1_3repE0EEENS1_30default_config_static_selectorELNS0_4arch9wavefront6targetE0EEEvT1_.has_indirect_call, 0
	.section	.AMDGPU.csdata,"",@progbits
; Kernel info:
; codeLenInByte = 0
; TotalNumSgprs: 0
; NumVgprs: 0
; ScratchSize: 0
; MemoryBound: 0
; FloatMode: 240
; IeeeMode: 1
; LDSByteSize: 0 bytes/workgroup (compile time only)
; SGPRBlocks: 0
; VGPRBlocks: 0
; NumSGPRsForWavesPerEU: 1
; NumVGPRsForWavesPerEU: 1
; Occupancy: 16
; WaveLimiterHint : 0
; COMPUTE_PGM_RSRC2:SCRATCH_EN: 0
; COMPUTE_PGM_RSRC2:USER_SGPR: 6
; COMPUTE_PGM_RSRC2:TRAP_HANDLER: 0
; COMPUTE_PGM_RSRC2:TGID_X_EN: 1
; COMPUTE_PGM_RSRC2:TGID_Y_EN: 0
; COMPUTE_PGM_RSRC2:TGID_Z_EN: 0
; COMPUTE_PGM_RSRC2:TIDIG_COMP_CNT: 0
	.section	.text._ZN7rocprim17ROCPRIM_400000_NS6detail17trampoline_kernelINS0_14default_configENS1_27scan_by_key_config_selectorIitEEZZNS1_16scan_by_key_implILNS1_25lookback_scan_determinismE0ELb0ES3_N6thrust23THRUST_200600_302600_NS6detail15normal_iteratorINS9_10device_ptrIiEEEENSB_INSC_ItEEEESG_tNS9_4plusIvEENS9_8equal_toIvEEtEE10hipError_tPvRmT2_T3_T4_T5_mT6_T7_P12ihipStream_tbENKUlT_T0_E_clISt17integral_constantIbLb1EES10_IbLb0EEEEDaSW_SX_EUlSW_E_NS1_11comp_targetILNS1_3genE9ELNS1_11target_archE1100ELNS1_3gpuE3ELNS1_3repE0EEENS1_30default_config_static_selectorELNS0_4arch9wavefront6targetE0EEEvT1_,"axG",@progbits,_ZN7rocprim17ROCPRIM_400000_NS6detail17trampoline_kernelINS0_14default_configENS1_27scan_by_key_config_selectorIitEEZZNS1_16scan_by_key_implILNS1_25lookback_scan_determinismE0ELb0ES3_N6thrust23THRUST_200600_302600_NS6detail15normal_iteratorINS9_10device_ptrIiEEEENSB_INSC_ItEEEESG_tNS9_4plusIvEENS9_8equal_toIvEEtEE10hipError_tPvRmT2_T3_T4_T5_mT6_T7_P12ihipStream_tbENKUlT_T0_E_clISt17integral_constantIbLb1EES10_IbLb0EEEEDaSW_SX_EUlSW_E_NS1_11comp_targetILNS1_3genE9ELNS1_11target_archE1100ELNS1_3gpuE3ELNS1_3repE0EEENS1_30default_config_static_selectorELNS0_4arch9wavefront6targetE0EEEvT1_,comdat
	.protected	_ZN7rocprim17ROCPRIM_400000_NS6detail17trampoline_kernelINS0_14default_configENS1_27scan_by_key_config_selectorIitEEZZNS1_16scan_by_key_implILNS1_25lookback_scan_determinismE0ELb0ES3_N6thrust23THRUST_200600_302600_NS6detail15normal_iteratorINS9_10device_ptrIiEEEENSB_INSC_ItEEEESG_tNS9_4plusIvEENS9_8equal_toIvEEtEE10hipError_tPvRmT2_T3_T4_T5_mT6_T7_P12ihipStream_tbENKUlT_T0_E_clISt17integral_constantIbLb1EES10_IbLb0EEEEDaSW_SX_EUlSW_E_NS1_11comp_targetILNS1_3genE9ELNS1_11target_archE1100ELNS1_3gpuE3ELNS1_3repE0EEENS1_30default_config_static_selectorELNS0_4arch9wavefront6targetE0EEEvT1_ ; -- Begin function _ZN7rocprim17ROCPRIM_400000_NS6detail17trampoline_kernelINS0_14default_configENS1_27scan_by_key_config_selectorIitEEZZNS1_16scan_by_key_implILNS1_25lookback_scan_determinismE0ELb0ES3_N6thrust23THRUST_200600_302600_NS6detail15normal_iteratorINS9_10device_ptrIiEEEENSB_INSC_ItEEEESG_tNS9_4plusIvEENS9_8equal_toIvEEtEE10hipError_tPvRmT2_T3_T4_T5_mT6_T7_P12ihipStream_tbENKUlT_T0_E_clISt17integral_constantIbLb1EES10_IbLb0EEEEDaSW_SX_EUlSW_E_NS1_11comp_targetILNS1_3genE9ELNS1_11target_archE1100ELNS1_3gpuE3ELNS1_3repE0EEENS1_30default_config_static_selectorELNS0_4arch9wavefront6targetE0EEEvT1_
	.globl	_ZN7rocprim17ROCPRIM_400000_NS6detail17trampoline_kernelINS0_14default_configENS1_27scan_by_key_config_selectorIitEEZZNS1_16scan_by_key_implILNS1_25lookback_scan_determinismE0ELb0ES3_N6thrust23THRUST_200600_302600_NS6detail15normal_iteratorINS9_10device_ptrIiEEEENSB_INSC_ItEEEESG_tNS9_4plusIvEENS9_8equal_toIvEEtEE10hipError_tPvRmT2_T3_T4_T5_mT6_T7_P12ihipStream_tbENKUlT_T0_E_clISt17integral_constantIbLb1EES10_IbLb0EEEEDaSW_SX_EUlSW_E_NS1_11comp_targetILNS1_3genE9ELNS1_11target_archE1100ELNS1_3gpuE3ELNS1_3repE0EEENS1_30default_config_static_selectorELNS0_4arch9wavefront6targetE0EEEvT1_
	.p2align	8
	.type	_ZN7rocprim17ROCPRIM_400000_NS6detail17trampoline_kernelINS0_14default_configENS1_27scan_by_key_config_selectorIitEEZZNS1_16scan_by_key_implILNS1_25lookback_scan_determinismE0ELb0ES3_N6thrust23THRUST_200600_302600_NS6detail15normal_iteratorINS9_10device_ptrIiEEEENSB_INSC_ItEEEESG_tNS9_4plusIvEENS9_8equal_toIvEEtEE10hipError_tPvRmT2_T3_T4_T5_mT6_T7_P12ihipStream_tbENKUlT_T0_E_clISt17integral_constantIbLb1EES10_IbLb0EEEEDaSW_SX_EUlSW_E_NS1_11comp_targetILNS1_3genE9ELNS1_11target_archE1100ELNS1_3gpuE3ELNS1_3repE0EEENS1_30default_config_static_selectorELNS0_4arch9wavefront6targetE0EEEvT1_,@function
_ZN7rocprim17ROCPRIM_400000_NS6detail17trampoline_kernelINS0_14default_configENS1_27scan_by_key_config_selectorIitEEZZNS1_16scan_by_key_implILNS1_25lookback_scan_determinismE0ELb0ES3_N6thrust23THRUST_200600_302600_NS6detail15normal_iteratorINS9_10device_ptrIiEEEENSB_INSC_ItEEEESG_tNS9_4plusIvEENS9_8equal_toIvEEtEE10hipError_tPvRmT2_T3_T4_T5_mT6_T7_P12ihipStream_tbENKUlT_T0_E_clISt17integral_constantIbLb1EES10_IbLb0EEEEDaSW_SX_EUlSW_E_NS1_11comp_targetILNS1_3genE9ELNS1_11target_archE1100ELNS1_3gpuE3ELNS1_3repE0EEENS1_30default_config_static_selectorELNS0_4arch9wavefront6targetE0EEEvT1_: ; @_ZN7rocprim17ROCPRIM_400000_NS6detail17trampoline_kernelINS0_14default_configENS1_27scan_by_key_config_selectorIitEEZZNS1_16scan_by_key_implILNS1_25lookback_scan_determinismE0ELb0ES3_N6thrust23THRUST_200600_302600_NS6detail15normal_iteratorINS9_10device_ptrIiEEEENSB_INSC_ItEEEESG_tNS9_4plusIvEENS9_8equal_toIvEEtEE10hipError_tPvRmT2_T3_T4_T5_mT6_T7_P12ihipStream_tbENKUlT_T0_E_clISt17integral_constantIbLb1EES10_IbLb0EEEEDaSW_SX_EUlSW_E_NS1_11comp_targetILNS1_3genE9ELNS1_11target_archE1100ELNS1_3gpuE3ELNS1_3repE0EEENS1_30default_config_static_selectorELNS0_4arch9wavefront6targetE0EEEvT1_
; %bb.0:
	.section	.rodata,"a",@progbits
	.p2align	6, 0x0
	.amdhsa_kernel _ZN7rocprim17ROCPRIM_400000_NS6detail17trampoline_kernelINS0_14default_configENS1_27scan_by_key_config_selectorIitEEZZNS1_16scan_by_key_implILNS1_25lookback_scan_determinismE0ELb0ES3_N6thrust23THRUST_200600_302600_NS6detail15normal_iteratorINS9_10device_ptrIiEEEENSB_INSC_ItEEEESG_tNS9_4plusIvEENS9_8equal_toIvEEtEE10hipError_tPvRmT2_T3_T4_T5_mT6_T7_P12ihipStream_tbENKUlT_T0_E_clISt17integral_constantIbLb1EES10_IbLb0EEEEDaSW_SX_EUlSW_E_NS1_11comp_targetILNS1_3genE9ELNS1_11target_archE1100ELNS1_3gpuE3ELNS1_3repE0EEENS1_30default_config_static_selectorELNS0_4arch9wavefront6targetE0EEEvT1_
		.amdhsa_group_segment_fixed_size 0
		.amdhsa_private_segment_fixed_size 0
		.amdhsa_kernarg_size 112
		.amdhsa_user_sgpr_count 6
		.amdhsa_user_sgpr_private_segment_buffer 1
		.amdhsa_user_sgpr_dispatch_ptr 0
		.amdhsa_user_sgpr_queue_ptr 0
		.amdhsa_user_sgpr_kernarg_segment_ptr 1
		.amdhsa_user_sgpr_dispatch_id 0
		.amdhsa_user_sgpr_flat_scratch_init 0
		.amdhsa_user_sgpr_private_segment_size 0
		.amdhsa_wavefront_size32 1
		.amdhsa_uses_dynamic_stack 0
		.amdhsa_system_sgpr_private_segment_wavefront_offset 0
		.amdhsa_system_sgpr_workgroup_id_x 1
		.amdhsa_system_sgpr_workgroup_id_y 0
		.amdhsa_system_sgpr_workgroup_id_z 0
		.amdhsa_system_sgpr_workgroup_info 0
		.amdhsa_system_vgpr_workitem_id 0
		.amdhsa_next_free_vgpr 1
		.amdhsa_next_free_sgpr 1
		.amdhsa_reserve_vcc 0
		.amdhsa_reserve_flat_scratch 0
		.amdhsa_float_round_mode_32 0
		.amdhsa_float_round_mode_16_64 0
		.amdhsa_float_denorm_mode_32 3
		.amdhsa_float_denorm_mode_16_64 3
		.amdhsa_dx10_clamp 1
		.amdhsa_ieee_mode 1
		.amdhsa_fp16_overflow 0
		.amdhsa_workgroup_processor_mode 1
		.amdhsa_memory_ordered 1
		.amdhsa_forward_progress 1
		.amdhsa_shared_vgpr_count 0
		.amdhsa_exception_fp_ieee_invalid_op 0
		.amdhsa_exception_fp_denorm_src 0
		.amdhsa_exception_fp_ieee_div_zero 0
		.amdhsa_exception_fp_ieee_overflow 0
		.amdhsa_exception_fp_ieee_underflow 0
		.amdhsa_exception_fp_ieee_inexact 0
		.amdhsa_exception_int_div_zero 0
	.end_amdhsa_kernel
	.section	.text._ZN7rocprim17ROCPRIM_400000_NS6detail17trampoline_kernelINS0_14default_configENS1_27scan_by_key_config_selectorIitEEZZNS1_16scan_by_key_implILNS1_25lookback_scan_determinismE0ELb0ES3_N6thrust23THRUST_200600_302600_NS6detail15normal_iteratorINS9_10device_ptrIiEEEENSB_INSC_ItEEEESG_tNS9_4plusIvEENS9_8equal_toIvEEtEE10hipError_tPvRmT2_T3_T4_T5_mT6_T7_P12ihipStream_tbENKUlT_T0_E_clISt17integral_constantIbLb1EES10_IbLb0EEEEDaSW_SX_EUlSW_E_NS1_11comp_targetILNS1_3genE9ELNS1_11target_archE1100ELNS1_3gpuE3ELNS1_3repE0EEENS1_30default_config_static_selectorELNS0_4arch9wavefront6targetE0EEEvT1_,"axG",@progbits,_ZN7rocprim17ROCPRIM_400000_NS6detail17trampoline_kernelINS0_14default_configENS1_27scan_by_key_config_selectorIitEEZZNS1_16scan_by_key_implILNS1_25lookback_scan_determinismE0ELb0ES3_N6thrust23THRUST_200600_302600_NS6detail15normal_iteratorINS9_10device_ptrIiEEEENSB_INSC_ItEEEESG_tNS9_4plusIvEENS9_8equal_toIvEEtEE10hipError_tPvRmT2_T3_T4_T5_mT6_T7_P12ihipStream_tbENKUlT_T0_E_clISt17integral_constantIbLb1EES10_IbLb0EEEEDaSW_SX_EUlSW_E_NS1_11comp_targetILNS1_3genE9ELNS1_11target_archE1100ELNS1_3gpuE3ELNS1_3repE0EEENS1_30default_config_static_selectorELNS0_4arch9wavefront6targetE0EEEvT1_,comdat
.Lfunc_end1296:
	.size	_ZN7rocprim17ROCPRIM_400000_NS6detail17trampoline_kernelINS0_14default_configENS1_27scan_by_key_config_selectorIitEEZZNS1_16scan_by_key_implILNS1_25lookback_scan_determinismE0ELb0ES3_N6thrust23THRUST_200600_302600_NS6detail15normal_iteratorINS9_10device_ptrIiEEEENSB_INSC_ItEEEESG_tNS9_4plusIvEENS9_8equal_toIvEEtEE10hipError_tPvRmT2_T3_T4_T5_mT6_T7_P12ihipStream_tbENKUlT_T0_E_clISt17integral_constantIbLb1EES10_IbLb0EEEEDaSW_SX_EUlSW_E_NS1_11comp_targetILNS1_3genE9ELNS1_11target_archE1100ELNS1_3gpuE3ELNS1_3repE0EEENS1_30default_config_static_selectorELNS0_4arch9wavefront6targetE0EEEvT1_, .Lfunc_end1296-_ZN7rocprim17ROCPRIM_400000_NS6detail17trampoline_kernelINS0_14default_configENS1_27scan_by_key_config_selectorIitEEZZNS1_16scan_by_key_implILNS1_25lookback_scan_determinismE0ELb0ES3_N6thrust23THRUST_200600_302600_NS6detail15normal_iteratorINS9_10device_ptrIiEEEENSB_INSC_ItEEEESG_tNS9_4plusIvEENS9_8equal_toIvEEtEE10hipError_tPvRmT2_T3_T4_T5_mT6_T7_P12ihipStream_tbENKUlT_T0_E_clISt17integral_constantIbLb1EES10_IbLb0EEEEDaSW_SX_EUlSW_E_NS1_11comp_targetILNS1_3genE9ELNS1_11target_archE1100ELNS1_3gpuE3ELNS1_3repE0EEENS1_30default_config_static_selectorELNS0_4arch9wavefront6targetE0EEEvT1_
                                        ; -- End function
	.set _ZN7rocprim17ROCPRIM_400000_NS6detail17trampoline_kernelINS0_14default_configENS1_27scan_by_key_config_selectorIitEEZZNS1_16scan_by_key_implILNS1_25lookback_scan_determinismE0ELb0ES3_N6thrust23THRUST_200600_302600_NS6detail15normal_iteratorINS9_10device_ptrIiEEEENSB_INSC_ItEEEESG_tNS9_4plusIvEENS9_8equal_toIvEEtEE10hipError_tPvRmT2_T3_T4_T5_mT6_T7_P12ihipStream_tbENKUlT_T0_E_clISt17integral_constantIbLb1EES10_IbLb0EEEEDaSW_SX_EUlSW_E_NS1_11comp_targetILNS1_3genE9ELNS1_11target_archE1100ELNS1_3gpuE3ELNS1_3repE0EEENS1_30default_config_static_selectorELNS0_4arch9wavefront6targetE0EEEvT1_.num_vgpr, 0
	.set _ZN7rocprim17ROCPRIM_400000_NS6detail17trampoline_kernelINS0_14default_configENS1_27scan_by_key_config_selectorIitEEZZNS1_16scan_by_key_implILNS1_25lookback_scan_determinismE0ELb0ES3_N6thrust23THRUST_200600_302600_NS6detail15normal_iteratorINS9_10device_ptrIiEEEENSB_INSC_ItEEEESG_tNS9_4plusIvEENS9_8equal_toIvEEtEE10hipError_tPvRmT2_T3_T4_T5_mT6_T7_P12ihipStream_tbENKUlT_T0_E_clISt17integral_constantIbLb1EES10_IbLb0EEEEDaSW_SX_EUlSW_E_NS1_11comp_targetILNS1_3genE9ELNS1_11target_archE1100ELNS1_3gpuE3ELNS1_3repE0EEENS1_30default_config_static_selectorELNS0_4arch9wavefront6targetE0EEEvT1_.num_agpr, 0
	.set _ZN7rocprim17ROCPRIM_400000_NS6detail17trampoline_kernelINS0_14default_configENS1_27scan_by_key_config_selectorIitEEZZNS1_16scan_by_key_implILNS1_25lookback_scan_determinismE0ELb0ES3_N6thrust23THRUST_200600_302600_NS6detail15normal_iteratorINS9_10device_ptrIiEEEENSB_INSC_ItEEEESG_tNS9_4plusIvEENS9_8equal_toIvEEtEE10hipError_tPvRmT2_T3_T4_T5_mT6_T7_P12ihipStream_tbENKUlT_T0_E_clISt17integral_constantIbLb1EES10_IbLb0EEEEDaSW_SX_EUlSW_E_NS1_11comp_targetILNS1_3genE9ELNS1_11target_archE1100ELNS1_3gpuE3ELNS1_3repE0EEENS1_30default_config_static_selectorELNS0_4arch9wavefront6targetE0EEEvT1_.numbered_sgpr, 0
	.set _ZN7rocprim17ROCPRIM_400000_NS6detail17trampoline_kernelINS0_14default_configENS1_27scan_by_key_config_selectorIitEEZZNS1_16scan_by_key_implILNS1_25lookback_scan_determinismE0ELb0ES3_N6thrust23THRUST_200600_302600_NS6detail15normal_iteratorINS9_10device_ptrIiEEEENSB_INSC_ItEEEESG_tNS9_4plusIvEENS9_8equal_toIvEEtEE10hipError_tPvRmT2_T3_T4_T5_mT6_T7_P12ihipStream_tbENKUlT_T0_E_clISt17integral_constantIbLb1EES10_IbLb0EEEEDaSW_SX_EUlSW_E_NS1_11comp_targetILNS1_3genE9ELNS1_11target_archE1100ELNS1_3gpuE3ELNS1_3repE0EEENS1_30default_config_static_selectorELNS0_4arch9wavefront6targetE0EEEvT1_.num_named_barrier, 0
	.set _ZN7rocprim17ROCPRIM_400000_NS6detail17trampoline_kernelINS0_14default_configENS1_27scan_by_key_config_selectorIitEEZZNS1_16scan_by_key_implILNS1_25lookback_scan_determinismE0ELb0ES3_N6thrust23THRUST_200600_302600_NS6detail15normal_iteratorINS9_10device_ptrIiEEEENSB_INSC_ItEEEESG_tNS9_4plusIvEENS9_8equal_toIvEEtEE10hipError_tPvRmT2_T3_T4_T5_mT6_T7_P12ihipStream_tbENKUlT_T0_E_clISt17integral_constantIbLb1EES10_IbLb0EEEEDaSW_SX_EUlSW_E_NS1_11comp_targetILNS1_3genE9ELNS1_11target_archE1100ELNS1_3gpuE3ELNS1_3repE0EEENS1_30default_config_static_selectorELNS0_4arch9wavefront6targetE0EEEvT1_.private_seg_size, 0
	.set _ZN7rocprim17ROCPRIM_400000_NS6detail17trampoline_kernelINS0_14default_configENS1_27scan_by_key_config_selectorIitEEZZNS1_16scan_by_key_implILNS1_25lookback_scan_determinismE0ELb0ES3_N6thrust23THRUST_200600_302600_NS6detail15normal_iteratorINS9_10device_ptrIiEEEENSB_INSC_ItEEEESG_tNS9_4plusIvEENS9_8equal_toIvEEtEE10hipError_tPvRmT2_T3_T4_T5_mT6_T7_P12ihipStream_tbENKUlT_T0_E_clISt17integral_constantIbLb1EES10_IbLb0EEEEDaSW_SX_EUlSW_E_NS1_11comp_targetILNS1_3genE9ELNS1_11target_archE1100ELNS1_3gpuE3ELNS1_3repE0EEENS1_30default_config_static_selectorELNS0_4arch9wavefront6targetE0EEEvT1_.uses_vcc, 0
	.set _ZN7rocprim17ROCPRIM_400000_NS6detail17trampoline_kernelINS0_14default_configENS1_27scan_by_key_config_selectorIitEEZZNS1_16scan_by_key_implILNS1_25lookback_scan_determinismE0ELb0ES3_N6thrust23THRUST_200600_302600_NS6detail15normal_iteratorINS9_10device_ptrIiEEEENSB_INSC_ItEEEESG_tNS9_4plusIvEENS9_8equal_toIvEEtEE10hipError_tPvRmT2_T3_T4_T5_mT6_T7_P12ihipStream_tbENKUlT_T0_E_clISt17integral_constantIbLb1EES10_IbLb0EEEEDaSW_SX_EUlSW_E_NS1_11comp_targetILNS1_3genE9ELNS1_11target_archE1100ELNS1_3gpuE3ELNS1_3repE0EEENS1_30default_config_static_selectorELNS0_4arch9wavefront6targetE0EEEvT1_.uses_flat_scratch, 0
	.set _ZN7rocprim17ROCPRIM_400000_NS6detail17trampoline_kernelINS0_14default_configENS1_27scan_by_key_config_selectorIitEEZZNS1_16scan_by_key_implILNS1_25lookback_scan_determinismE0ELb0ES3_N6thrust23THRUST_200600_302600_NS6detail15normal_iteratorINS9_10device_ptrIiEEEENSB_INSC_ItEEEESG_tNS9_4plusIvEENS9_8equal_toIvEEtEE10hipError_tPvRmT2_T3_T4_T5_mT6_T7_P12ihipStream_tbENKUlT_T0_E_clISt17integral_constantIbLb1EES10_IbLb0EEEEDaSW_SX_EUlSW_E_NS1_11comp_targetILNS1_3genE9ELNS1_11target_archE1100ELNS1_3gpuE3ELNS1_3repE0EEENS1_30default_config_static_selectorELNS0_4arch9wavefront6targetE0EEEvT1_.has_dyn_sized_stack, 0
	.set _ZN7rocprim17ROCPRIM_400000_NS6detail17trampoline_kernelINS0_14default_configENS1_27scan_by_key_config_selectorIitEEZZNS1_16scan_by_key_implILNS1_25lookback_scan_determinismE0ELb0ES3_N6thrust23THRUST_200600_302600_NS6detail15normal_iteratorINS9_10device_ptrIiEEEENSB_INSC_ItEEEESG_tNS9_4plusIvEENS9_8equal_toIvEEtEE10hipError_tPvRmT2_T3_T4_T5_mT6_T7_P12ihipStream_tbENKUlT_T0_E_clISt17integral_constantIbLb1EES10_IbLb0EEEEDaSW_SX_EUlSW_E_NS1_11comp_targetILNS1_3genE9ELNS1_11target_archE1100ELNS1_3gpuE3ELNS1_3repE0EEENS1_30default_config_static_selectorELNS0_4arch9wavefront6targetE0EEEvT1_.has_recursion, 0
	.set _ZN7rocprim17ROCPRIM_400000_NS6detail17trampoline_kernelINS0_14default_configENS1_27scan_by_key_config_selectorIitEEZZNS1_16scan_by_key_implILNS1_25lookback_scan_determinismE0ELb0ES3_N6thrust23THRUST_200600_302600_NS6detail15normal_iteratorINS9_10device_ptrIiEEEENSB_INSC_ItEEEESG_tNS9_4plusIvEENS9_8equal_toIvEEtEE10hipError_tPvRmT2_T3_T4_T5_mT6_T7_P12ihipStream_tbENKUlT_T0_E_clISt17integral_constantIbLb1EES10_IbLb0EEEEDaSW_SX_EUlSW_E_NS1_11comp_targetILNS1_3genE9ELNS1_11target_archE1100ELNS1_3gpuE3ELNS1_3repE0EEENS1_30default_config_static_selectorELNS0_4arch9wavefront6targetE0EEEvT1_.has_indirect_call, 0
	.section	.AMDGPU.csdata,"",@progbits
; Kernel info:
; codeLenInByte = 0
; TotalNumSgprs: 0
; NumVgprs: 0
; ScratchSize: 0
; MemoryBound: 0
; FloatMode: 240
; IeeeMode: 1
; LDSByteSize: 0 bytes/workgroup (compile time only)
; SGPRBlocks: 0
; VGPRBlocks: 0
; NumSGPRsForWavesPerEU: 1
; NumVGPRsForWavesPerEU: 1
; Occupancy: 16
; WaveLimiterHint : 0
; COMPUTE_PGM_RSRC2:SCRATCH_EN: 0
; COMPUTE_PGM_RSRC2:USER_SGPR: 6
; COMPUTE_PGM_RSRC2:TRAP_HANDLER: 0
; COMPUTE_PGM_RSRC2:TGID_X_EN: 1
; COMPUTE_PGM_RSRC2:TGID_Y_EN: 0
; COMPUTE_PGM_RSRC2:TGID_Z_EN: 0
; COMPUTE_PGM_RSRC2:TIDIG_COMP_CNT: 0
	.section	.text._ZN7rocprim17ROCPRIM_400000_NS6detail17trampoline_kernelINS0_14default_configENS1_27scan_by_key_config_selectorIitEEZZNS1_16scan_by_key_implILNS1_25lookback_scan_determinismE0ELb0ES3_N6thrust23THRUST_200600_302600_NS6detail15normal_iteratorINS9_10device_ptrIiEEEENSB_INSC_ItEEEESG_tNS9_4plusIvEENS9_8equal_toIvEEtEE10hipError_tPvRmT2_T3_T4_T5_mT6_T7_P12ihipStream_tbENKUlT_T0_E_clISt17integral_constantIbLb1EES10_IbLb0EEEEDaSW_SX_EUlSW_E_NS1_11comp_targetILNS1_3genE8ELNS1_11target_archE1030ELNS1_3gpuE2ELNS1_3repE0EEENS1_30default_config_static_selectorELNS0_4arch9wavefront6targetE0EEEvT1_,"axG",@progbits,_ZN7rocprim17ROCPRIM_400000_NS6detail17trampoline_kernelINS0_14default_configENS1_27scan_by_key_config_selectorIitEEZZNS1_16scan_by_key_implILNS1_25lookback_scan_determinismE0ELb0ES3_N6thrust23THRUST_200600_302600_NS6detail15normal_iteratorINS9_10device_ptrIiEEEENSB_INSC_ItEEEESG_tNS9_4plusIvEENS9_8equal_toIvEEtEE10hipError_tPvRmT2_T3_T4_T5_mT6_T7_P12ihipStream_tbENKUlT_T0_E_clISt17integral_constantIbLb1EES10_IbLb0EEEEDaSW_SX_EUlSW_E_NS1_11comp_targetILNS1_3genE8ELNS1_11target_archE1030ELNS1_3gpuE2ELNS1_3repE0EEENS1_30default_config_static_selectorELNS0_4arch9wavefront6targetE0EEEvT1_,comdat
	.protected	_ZN7rocprim17ROCPRIM_400000_NS6detail17trampoline_kernelINS0_14default_configENS1_27scan_by_key_config_selectorIitEEZZNS1_16scan_by_key_implILNS1_25lookback_scan_determinismE0ELb0ES3_N6thrust23THRUST_200600_302600_NS6detail15normal_iteratorINS9_10device_ptrIiEEEENSB_INSC_ItEEEESG_tNS9_4plusIvEENS9_8equal_toIvEEtEE10hipError_tPvRmT2_T3_T4_T5_mT6_T7_P12ihipStream_tbENKUlT_T0_E_clISt17integral_constantIbLb1EES10_IbLb0EEEEDaSW_SX_EUlSW_E_NS1_11comp_targetILNS1_3genE8ELNS1_11target_archE1030ELNS1_3gpuE2ELNS1_3repE0EEENS1_30default_config_static_selectorELNS0_4arch9wavefront6targetE0EEEvT1_ ; -- Begin function _ZN7rocprim17ROCPRIM_400000_NS6detail17trampoline_kernelINS0_14default_configENS1_27scan_by_key_config_selectorIitEEZZNS1_16scan_by_key_implILNS1_25lookback_scan_determinismE0ELb0ES3_N6thrust23THRUST_200600_302600_NS6detail15normal_iteratorINS9_10device_ptrIiEEEENSB_INSC_ItEEEESG_tNS9_4plusIvEENS9_8equal_toIvEEtEE10hipError_tPvRmT2_T3_T4_T5_mT6_T7_P12ihipStream_tbENKUlT_T0_E_clISt17integral_constantIbLb1EES10_IbLb0EEEEDaSW_SX_EUlSW_E_NS1_11comp_targetILNS1_3genE8ELNS1_11target_archE1030ELNS1_3gpuE2ELNS1_3repE0EEENS1_30default_config_static_selectorELNS0_4arch9wavefront6targetE0EEEvT1_
	.globl	_ZN7rocprim17ROCPRIM_400000_NS6detail17trampoline_kernelINS0_14default_configENS1_27scan_by_key_config_selectorIitEEZZNS1_16scan_by_key_implILNS1_25lookback_scan_determinismE0ELb0ES3_N6thrust23THRUST_200600_302600_NS6detail15normal_iteratorINS9_10device_ptrIiEEEENSB_INSC_ItEEEESG_tNS9_4plusIvEENS9_8equal_toIvEEtEE10hipError_tPvRmT2_T3_T4_T5_mT6_T7_P12ihipStream_tbENKUlT_T0_E_clISt17integral_constantIbLb1EES10_IbLb0EEEEDaSW_SX_EUlSW_E_NS1_11comp_targetILNS1_3genE8ELNS1_11target_archE1030ELNS1_3gpuE2ELNS1_3repE0EEENS1_30default_config_static_selectorELNS0_4arch9wavefront6targetE0EEEvT1_
	.p2align	8
	.type	_ZN7rocprim17ROCPRIM_400000_NS6detail17trampoline_kernelINS0_14default_configENS1_27scan_by_key_config_selectorIitEEZZNS1_16scan_by_key_implILNS1_25lookback_scan_determinismE0ELb0ES3_N6thrust23THRUST_200600_302600_NS6detail15normal_iteratorINS9_10device_ptrIiEEEENSB_INSC_ItEEEESG_tNS9_4plusIvEENS9_8equal_toIvEEtEE10hipError_tPvRmT2_T3_T4_T5_mT6_T7_P12ihipStream_tbENKUlT_T0_E_clISt17integral_constantIbLb1EES10_IbLb0EEEEDaSW_SX_EUlSW_E_NS1_11comp_targetILNS1_3genE8ELNS1_11target_archE1030ELNS1_3gpuE2ELNS1_3repE0EEENS1_30default_config_static_selectorELNS0_4arch9wavefront6targetE0EEEvT1_,@function
_ZN7rocprim17ROCPRIM_400000_NS6detail17trampoline_kernelINS0_14default_configENS1_27scan_by_key_config_selectorIitEEZZNS1_16scan_by_key_implILNS1_25lookback_scan_determinismE0ELb0ES3_N6thrust23THRUST_200600_302600_NS6detail15normal_iteratorINS9_10device_ptrIiEEEENSB_INSC_ItEEEESG_tNS9_4plusIvEENS9_8equal_toIvEEtEE10hipError_tPvRmT2_T3_T4_T5_mT6_T7_P12ihipStream_tbENKUlT_T0_E_clISt17integral_constantIbLb1EES10_IbLb0EEEEDaSW_SX_EUlSW_E_NS1_11comp_targetILNS1_3genE8ELNS1_11target_archE1030ELNS1_3gpuE2ELNS1_3repE0EEENS1_30default_config_static_selectorELNS0_4arch9wavefront6targetE0EEEvT1_: ; @_ZN7rocprim17ROCPRIM_400000_NS6detail17trampoline_kernelINS0_14default_configENS1_27scan_by_key_config_selectorIitEEZZNS1_16scan_by_key_implILNS1_25lookback_scan_determinismE0ELb0ES3_N6thrust23THRUST_200600_302600_NS6detail15normal_iteratorINS9_10device_ptrIiEEEENSB_INSC_ItEEEESG_tNS9_4plusIvEENS9_8equal_toIvEEtEE10hipError_tPvRmT2_T3_T4_T5_mT6_T7_P12ihipStream_tbENKUlT_T0_E_clISt17integral_constantIbLb1EES10_IbLb0EEEEDaSW_SX_EUlSW_E_NS1_11comp_targetILNS1_3genE8ELNS1_11target_archE1030ELNS1_3gpuE2ELNS1_3repE0EEENS1_30default_config_static_selectorELNS0_4arch9wavefront6targetE0EEEvT1_
; %bb.0:
	s_endpgm
	.section	.rodata,"a",@progbits
	.p2align	6, 0x0
	.amdhsa_kernel _ZN7rocprim17ROCPRIM_400000_NS6detail17trampoline_kernelINS0_14default_configENS1_27scan_by_key_config_selectorIitEEZZNS1_16scan_by_key_implILNS1_25lookback_scan_determinismE0ELb0ES3_N6thrust23THRUST_200600_302600_NS6detail15normal_iteratorINS9_10device_ptrIiEEEENSB_INSC_ItEEEESG_tNS9_4plusIvEENS9_8equal_toIvEEtEE10hipError_tPvRmT2_T3_T4_T5_mT6_T7_P12ihipStream_tbENKUlT_T0_E_clISt17integral_constantIbLb1EES10_IbLb0EEEEDaSW_SX_EUlSW_E_NS1_11comp_targetILNS1_3genE8ELNS1_11target_archE1030ELNS1_3gpuE2ELNS1_3repE0EEENS1_30default_config_static_selectorELNS0_4arch9wavefront6targetE0EEEvT1_
		.amdhsa_group_segment_fixed_size 0
		.amdhsa_private_segment_fixed_size 0
		.amdhsa_kernarg_size 112
		.amdhsa_user_sgpr_count 6
		.amdhsa_user_sgpr_private_segment_buffer 1
		.amdhsa_user_sgpr_dispatch_ptr 0
		.amdhsa_user_sgpr_queue_ptr 0
		.amdhsa_user_sgpr_kernarg_segment_ptr 1
		.amdhsa_user_sgpr_dispatch_id 0
		.amdhsa_user_sgpr_flat_scratch_init 0
		.amdhsa_user_sgpr_private_segment_size 0
		.amdhsa_wavefront_size32 1
		.amdhsa_uses_dynamic_stack 0
		.amdhsa_system_sgpr_private_segment_wavefront_offset 0
		.amdhsa_system_sgpr_workgroup_id_x 1
		.amdhsa_system_sgpr_workgroup_id_y 0
		.amdhsa_system_sgpr_workgroup_id_z 0
		.amdhsa_system_sgpr_workgroup_info 0
		.amdhsa_system_vgpr_workitem_id 0
		.amdhsa_next_free_vgpr 1
		.amdhsa_next_free_sgpr 1
		.amdhsa_reserve_vcc 0
		.amdhsa_reserve_flat_scratch 0
		.amdhsa_float_round_mode_32 0
		.amdhsa_float_round_mode_16_64 0
		.amdhsa_float_denorm_mode_32 3
		.amdhsa_float_denorm_mode_16_64 3
		.amdhsa_dx10_clamp 1
		.amdhsa_ieee_mode 1
		.amdhsa_fp16_overflow 0
		.amdhsa_workgroup_processor_mode 1
		.amdhsa_memory_ordered 1
		.amdhsa_forward_progress 1
		.amdhsa_shared_vgpr_count 0
		.amdhsa_exception_fp_ieee_invalid_op 0
		.amdhsa_exception_fp_denorm_src 0
		.amdhsa_exception_fp_ieee_div_zero 0
		.amdhsa_exception_fp_ieee_overflow 0
		.amdhsa_exception_fp_ieee_underflow 0
		.amdhsa_exception_fp_ieee_inexact 0
		.amdhsa_exception_int_div_zero 0
	.end_amdhsa_kernel
	.section	.text._ZN7rocprim17ROCPRIM_400000_NS6detail17trampoline_kernelINS0_14default_configENS1_27scan_by_key_config_selectorIitEEZZNS1_16scan_by_key_implILNS1_25lookback_scan_determinismE0ELb0ES3_N6thrust23THRUST_200600_302600_NS6detail15normal_iteratorINS9_10device_ptrIiEEEENSB_INSC_ItEEEESG_tNS9_4plusIvEENS9_8equal_toIvEEtEE10hipError_tPvRmT2_T3_T4_T5_mT6_T7_P12ihipStream_tbENKUlT_T0_E_clISt17integral_constantIbLb1EES10_IbLb0EEEEDaSW_SX_EUlSW_E_NS1_11comp_targetILNS1_3genE8ELNS1_11target_archE1030ELNS1_3gpuE2ELNS1_3repE0EEENS1_30default_config_static_selectorELNS0_4arch9wavefront6targetE0EEEvT1_,"axG",@progbits,_ZN7rocprim17ROCPRIM_400000_NS6detail17trampoline_kernelINS0_14default_configENS1_27scan_by_key_config_selectorIitEEZZNS1_16scan_by_key_implILNS1_25lookback_scan_determinismE0ELb0ES3_N6thrust23THRUST_200600_302600_NS6detail15normal_iteratorINS9_10device_ptrIiEEEENSB_INSC_ItEEEESG_tNS9_4plusIvEENS9_8equal_toIvEEtEE10hipError_tPvRmT2_T3_T4_T5_mT6_T7_P12ihipStream_tbENKUlT_T0_E_clISt17integral_constantIbLb1EES10_IbLb0EEEEDaSW_SX_EUlSW_E_NS1_11comp_targetILNS1_3genE8ELNS1_11target_archE1030ELNS1_3gpuE2ELNS1_3repE0EEENS1_30default_config_static_selectorELNS0_4arch9wavefront6targetE0EEEvT1_,comdat
.Lfunc_end1297:
	.size	_ZN7rocprim17ROCPRIM_400000_NS6detail17trampoline_kernelINS0_14default_configENS1_27scan_by_key_config_selectorIitEEZZNS1_16scan_by_key_implILNS1_25lookback_scan_determinismE0ELb0ES3_N6thrust23THRUST_200600_302600_NS6detail15normal_iteratorINS9_10device_ptrIiEEEENSB_INSC_ItEEEESG_tNS9_4plusIvEENS9_8equal_toIvEEtEE10hipError_tPvRmT2_T3_T4_T5_mT6_T7_P12ihipStream_tbENKUlT_T0_E_clISt17integral_constantIbLb1EES10_IbLb0EEEEDaSW_SX_EUlSW_E_NS1_11comp_targetILNS1_3genE8ELNS1_11target_archE1030ELNS1_3gpuE2ELNS1_3repE0EEENS1_30default_config_static_selectorELNS0_4arch9wavefront6targetE0EEEvT1_, .Lfunc_end1297-_ZN7rocprim17ROCPRIM_400000_NS6detail17trampoline_kernelINS0_14default_configENS1_27scan_by_key_config_selectorIitEEZZNS1_16scan_by_key_implILNS1_25lookback_scan_determinismE0ELb0ES3_N6thrust23THRUST_200600_302600_NS6detail15normal_iteratorINS9_10device_ptrIiEEEENSB_INSC_ItEEEESG_tNS9_4plusIvEENS9_8equal_toIvEEtEE10hipError_tPvRmT2_T3_T4_T5_mT6_T7_P12ihipStream_tbENKUlT_T0_E_clISt17integral_constantIbLb1EES10_IbLb0EEEEDaSW_SX_EUlSW_E_NS1_11comp_targetILNS1_3genE8ELNS1_11target_archE1030ELNS1_3gpuE2ELNS1_3repE0EEENS1_30default_config_static_selectorELNS0_4arch9wavefront6targetE0EEEvT1_
                                        ; -- End function
	.set _ZN7rocprim17ROCPRIM_400000_NS6detail17trampoline_kernelINS0_14default_configENS1_27scan_by_key_config_selectorIitEEZZNS1_16scan_by_key_implILNS1_25lookback_scan_determinismE0ELb0ES3_N6thrust23THRUST_200600_302600_NS6detail15normal_iteratorINS9_10device_ptrIiEEEENSB_INSC_ItEEEESG_tNS9_4plusIvEENS9_8equal_toIvEEtEE10hipError_tPvRmT2_T3_T4_T5_mT6_T7_P12ihipStream_tbENKUlT_T0_E_clISt17integral_constantIbLb1EES10_IbLb0EEEEDaSW_SX_EUlSW_E_NS1_11comp_targetILNS1_3genE8ELNS1_11target_archE1030ELNS1_3gpuE2ELNS1_3repE0EEENS1_30default_config_static_selectorELNS0_4arch9wavefront6targetE0EEEvT1_.num_vgpr, 0
	.set _ZN7rocprim17ROCPRIM_400000_NS6detail17trampoline_kernelINS0_14default_configENS1_27scan_by_key_config_selectorIitEEZZNS1_16scan_by_key_implILNS1_25lookback_scan_determinismE0ELb0ES3_N6thrust23THRUST_200600_302600_NS6detail15normal_iteratorINS9_10device_ptrIiEEEENSB_INSC_ItEEEESG_tNS9_4plusIvEENS9_8equal_toIvEEtEE10hipError_tPvRmT2_T3_T4_T5_mT6_T7_P12ihipStream_tbENKUlT_T0_E_clISt17integral_constantIbLb1EES10_IbLb0EEEEDaSW_SX_EUlSW_E_NS1_11comp_targetILNS1_3genE8ELNS1_11target_archE1030ELNS1_3gpuE2ELNS1_3repE0EEENS1_30default_config_static_selectorELNS0_4arch9wavefront6targetE0EEEvT1_.num_agpr, 0
	.set _ZN7rocprim17ROCPRIM_400000_NS6detail17trampoline_kernelINS0_14default_configENS1_27scan_by_key_config_selectorIitEEZZNS1_16scan_by_key_implILNS1_25lookback_scan_determinismE0ELb0ES3_N6thrust23THRUST_200600_302600_NS6detail15normal_iteratorINS9_10device_ptrIiEEEENSB_INSC_ItEEEESG_tNS9_4plusIvEENS9_8equal_toIvEEtEE10hipError_tPvRmT2_T3_T4_T5_mT6_T7_P12ihipStream_tbENKUlT_T0_E_clISt17integral_constantIbLb1EES10_IbLb0EEEEDaSW_SX_EUlSW_E_NS1_11comp_targetILNS1_3genE8ELNS1_11target_archE1030ELNS1_3gpuE2ELNS1_3repE0EEENS1_30default_config_static_selectorELNS0_4arch9wavefront6targetE0EEEvT1_.numbered_sgpr, 0
	.set _ZN7rocprim17ROCPRIM_400000_NS6detail17trampoline_kernelINS0_14default_configENS1_27scan_by_key_config_selectorIitEEZZNS1_16scan_by_key_implILNS1_25lookback_scan_determinismE0ELb0ES3_N6thrust23THRUST_200600_302600_NS6detail15normal_iteratorINS9_10device_ptrIiEEEENSB_INSC_ItEEEESG_tNS9_4plusIvEENS9_8equal_toIvEEtEE10hipError_tPvRmT2_T3_T4_T5_mT6_T7_P12ihipStream_tbENKUlT_T0_E_clISt17integral_constantIbLb1EES10_IbLb0EEEEDaSW_SX_EUlSW_E_NS1_11comp_targetILNS1_3genE8ELNS1_11target_archE1030ELNS1_3gpuE2ELNS1_3repE0EEENS1_30default_config_static_selectorELNS0_4arch9wavefront6targetE0EEEvT1_.num_named_barrier, 0
	.set _ZN7rocprim17ROCPRIM_400000_NS6detail17trampoline_kernelINS0_14default_configENS1_27scan_by_key_config_selectorIitEEZZNS1_16scan_by_key_implILNS1_25lookback_scan_determinismE0ELb0ES3_N6thrust23THRUST_200600_302600_NS6detail15normal_iteratorINS9_10device_ptrIiEEEENSB_INSC_ItEEEESG_tNS9_4plusIvEENS9_8equal_toIvEEtEE10hipError_tPvRmT2_T3_T4_T5_mT6_T7_P12ihipStream_tbENKUlT_T0_E_clISt17integral_constantIbLb1EES10_IbLb0EEEEDaSW_SX_EUlSW_E_NS1_11comp_targetILNS1_3genE8ELNS1_11target_archE1030ELNS1_3gpuE2ELNS1_3repE0EEENS1_30default_config_static_selectorELNS0_4arch9wavefront6targetE0EEEvT1_.private_seg_size, 0
	.set _ZN7rocprim17ROCPRIM_400000_NS6detail17trampoline_kernelINS0_14default_configENS1_27scan_by_key_config_selectorIitEEZZNS1_16scan_by_key_implILNS1_25lookback_scan_determinismE0ELb0ES3_N6thrust23THRUST_200600_302600_NS6detail15normal_iteratorINS9_10device_ptrIiEEEENSB_INSC_ItEEEESG_tNS9_4plusIvEENS9_8equal_toIvEEtEE10hipError_tPvRmT2_T3_T4_T5_mT6_T7_P12ihipStream_tbENKUlT_T0_E_clISt17integral_constantIbLb1EES10_IbLb0EEEEDaSW_SX_EUlSW_E_NS1_11comp_targetILNS1_3genE8ELNS1_11target_archE1030ELNS1_3gpuE2ELNS1_3repE0EEENS1_30default_config_static_selectorELNS0_4arch9wavefront6targetE0EEEvT1_.uses_vcc, 0
	.set _ZN7rocprim17ROCPRIM_400000_NS6detail17trampoline_kernelINS0_14default_configENS1_27scan_by_key_config_selectorIitEEZZNS1_16scan_by_key_implILNS1_25lookback_scan_determinismE0ELb0ES3_N6thrust23THRUST_200600_302600_NS6detail15normal_iteratorINS9_10device_ptrIiEEEENSB_INSC_ItEEEESG_tNS9_4plusIvEENS9_8equal_toIvEEtEE10hipError_tPvRmT2_T3_T4_T5_mT6_T7_P12ihipStream_tbENKUlT_T0_E_clISt17integral_constantIbLb1EES10_IbLb0EEEEDaSW_SX_EUlSW_E_NS1_11comp_targetILNS1_3genE8ELNS1_11target_archE1030ELNS1_3gpuE2ELNS1_3repE0EEENS1_30default_config_static_selectorELNS0_4arch9wavefront6targetE0EEEvT1_.uses_flat_scratch, 0
	.set _ZN7rocprim17ROCPRIM_400000_NS6detail17trampoline_kernelINS0_14default_configENS1_27scan_by_key_config_selectorIitEEZZNS1_16scan_by_key_implILNS1_25lookback_scan_determinismE0ELb0ES3_N6thrust23THRUST_200600_302600_NS6detail15normal_iteratorINS9_10device_ptrIiEEEENSB_INSC_ItEEEESG_tNS9_4plusIvEENS9_8equal_toIvEEtEE10hipError_tPvRmT2_T3_T4_T5_mT6_T7_P12ihipStream_tbENKUlT_T0_E_clISt17integral_constantIbLb1EES10_IbLb0EEEEDaSW_SX_EUlSW_E_NS1_11comp_targetILNS1_3genE8ELNS1_11target_archE1030ELNS1_3gpuE2ELNS1_3repE0EEENS1_30default_config_static_selectorELNS0_4arch9wavefront6targetE0EEEvT1_.has_dyn_sized_stack, 0
	.set _ZN7rocprim17ROCPRIM_400000_NS6detail17trampoline_kernelINS0_14default_configENS1_27scan_by_key_config_selectorIitEEZZNS1_16scan_by_key_implILNS1_25lookback_scan_determinismE0ELb0ES3_N6thrust23THRUST_200600_302600_NS6detail15normal_iteratorINS9_10device_ptrIiEEEENSB_INSC_ItEEEESG_tNS9_4plusIvEENS9_8equal_toIvEEtEE10hipError_tPvRmT2_T3_T4_T5_mT6_T7_P12ihipStream_tbENKUlT_T0_E_clISt17integral_constantIbLb1EES10_IbLb0EEEEDaSW_SX_EUlSW_E_NS1_11comp_targetILNS1_3genE8ELNS1_11target_archE1030ELNS1_3gpuE2ELNS1_3repE0EEENS1_30default_config_static_selectorELNS0_4arch9wavefront6targetE0EEEvT1_.has_recursion, 0
	.set _ZN7rocprim17ROCPRIM_400000_NS6detail17trampoline_kernelINS0_14default_configENS1_27scan_by_key_config_selectorIitEEZZNS1_16scan_by_key_implILNS1_25lookback_scan_determinismE0ELb0ES3_N6thrust23THRUST_200600_302600_NS6detail15normal_iteratorINS9_10device_ptrIiEEEENSB_INSC_ItEEEESG_tNS9_4plusIvEENS9_8equal_toIvEEtEE10hipError_tPvRmT2_T3_T4_T5_mT6_T7_P12ihipStream_tbENKUlT_T0_E_clISt17integral_constantIbLb1EES10_IbLb0EEEEDaSW_SX_EUlSW_E_NS1_11comp_targetILNS1_3genE8ELNS1_11target_archE1030ELNS1_3gpuE2ELNS1_3repE0EEENS1_30default_config_static_selectorELNS0_4arch9wavefront6targetE0EEEvT1_.has_indirect_call, 0
	.section	.AMDGPU.csdata,"",@progbits
; Kernel info:
; codeLenInByte = 4
; TotalNumSgprs: 0
; NumVgprs: 0
; ScratchSize: 0
; MemoryBound: 0
; FloatMode: 240
; IeeeMode: 1
; LDSByteSize: 0 bytes/workgroup (compile time only)
; SGPRBlocks: 0
; VGPRBlocks: 0
; NumSGPRsForWavesPerEU: 1
; NumVGPRsForWavesPerEU: 1
; Occupancy: 16
; WaveLimiterHint : 0
; COMPUTE_PGM_RSRC2:SCRATCH_EN: 0
; COMPUTE_PGM_RSRC2:USER_SGPR: 6
; COMPUTE_PGM_RSRC2:TRAP_HANDLER: 0
; COMPUTE_PGM_RSRC2:TGID_X_EN: 1
; COMPUTE_PGM_RSRC2:TGID_Y_EN: 0
; COMPUTE_PGM_RSRC2:TGID_Z_EN: 0
; COMPUTE_PGM_RSRC2:TIDIG_COMP_CNT: 0
	.section	.text._ZN7rocprim17ROCPRIM_400000_NS6detail30init_device_scan_by_key_kernelINS1_19lookback_scan_stateINS0_5tupleIJtbEEELb0ELb1EEEN6thrust23THRUST_200600_302600_NS6detail15normal_iteratorINS8_10device_ptrIiEEEEjNS1_16block_id_wrapperIjLb1EEEEEvT_jjPNSG_10value_typeET0_PNSt15iterator_traitsISJ_E10value_typeEmT1_T2_,"axG",@progbits,_ZN7rocprim17ROCPRIM_400000_NS6detail30init_device_scan_by_key_kernelINS1_19lookback_scan_stateINS0_5tupleIJtbEEELb0ELb1EEEN6thrust23THRUST_200600_302600_NS6detail15normal_iteratorINS8_10device_ptrIiEEEEjNS1_16block_id_wrapperIjLb1EEEEEvT_jjPNSG_10value_typeET0_PNSt15iterator_traitsISJ_E10value_typeEmT1_T2_,comdat
	.protected	_ZN7rocprim17ROCPRIM_400000_NS6detail30init_device_scan_by_key_kernelINS1_19lookback_scan_stateINS0_5tupleIJtbEEELb0ELb1EEEN6thrust23THRUST_200600_302600_NS6detail15normal_iteratorINS8_10device_ptrIiEEEEjNS1_16block_id_wrapperIjLb1EEEEEvT_jjPNSG_10value_typeET0_PNSt15iterator_traitsISJ_E10value_typeEmT1_T2_ ; -- Begin function _ZN7rocprim17ROCPRIM_400000_NS6detail30init_device_scan_by_key_kernelINS1_19lookback_scan_stateINS0_5tupleIJtbEEELb0ELb1EEEN6thrust23THRUST_200600_302600_NS6detail15normal_iteratorINS8_10device_ptrIiEEEEjNS1_16block_id_wrapperIjLb1EEEEEvT_jjPNSG_10value_typeET0_PNSt15iterator_traitsISJ_E10value_typeEmT1_T2_
	.globl	_ZN7rocprim17ROCPRIM_400000_NS6detail30init_device_scan_by_key_kernelINS1_19lookback_scan_stateINS0_5tupleIJtbEEELb0ELb1EEEN6thrust23THRUST_200600_302600_NS6detail15normal_iteratorINS8_10device_ptrIiEEEEjNS1_16block_id_wrapperIjLb1EEEEEvT_jjPNSG_10value_typeET0_PNSt15iterator_traitsISJ_E10value_typeEmT1_T2_
	.p2align	8
	.type	_ZN7rocprim17ROCPRIM_400000_NS6detail30init_device_scan_by_key_kernelINS1_19lookback_scan_stateINS0_5tupleIJtbEEELb0ELb1EEEN6thrust23THRUST_200600_302600_NS6detail15normal_iteratorINS8_10device_ptrIiEEEEjNS1_16block_id_wrapperIjLb1EEEEEvT_jjPNSG_10value_typeET0_PNSt15iterator_traitsISJ_E10value_typeEmT1_T2_,@function
_ZN7rocprim17ROCPRIM_400000_NS6detail30init_device_scan_by_key_kernelINS1_19lookback_scan_stateINS0_5tupleIJtbEEELb0ELb1EEEN6thrust23THRUST_200600_302600_NS6detail15normal_iteratorINS8_10device_ptrIiEEEEjNS1_16block_id_wrapperIjLb1EEEEEvT_jjPNSG_10value_typeET0_PNSt15iterator_traitsISJ_E10value_typeEmT1_T2_: ; @_ZN7rocprim17ROCPRIM_400000_NS6detail30init_device_scan_by_key_kernelINS1_19lookback_scan_stateINS0_5tupleIJtbEEELb0ELb1EEEN6thrust23THRUST_200600_302600_NS6detail15normal_iteratorINS8_10device_ptrIiEEEEjNS1_16block_id_wrapperIjLb1EEEEEvT_jjPNSG_10value_typeET0_PNSt15iterator_traitsISJ_E10value_typeEmT1_T2_
; %bb.0:
	s_clause 0x2
	s_load_dword s0, s[4:5], 0x4c
	s_load_dwordx8 s[8:15], s[4:5], 0x0
	s_load_dword s7, s[4:5], 0x40
	s_waitcnt lgkmcnt(0)
	s_and_b32 s16, s0, 0xffff
	s_cmp_eq_u64 s[12:13], 0
	v_mad_u64_u32 v[0:1], null, s6, s16, v[0:1]
	s_cbranch_scc1 .LBB1298_6
; %bb.1:
	s_cmp_lt_u32 s11, s10
	s_mov_b32 s1, 0
	s_cselect_b32 s0, s11, 0
	s_mov_b32 s2, exec_lo
	v_cmpx_eq_u32_e64 s0, v0
	s_cbranch_execz .LBB1298_5
; %bb.2:
	s_add_i32 s0, s11, 32
	v_mov_b32_e32 v3, 0
	s_lshl_b64 s[0:1], s[0:1], 3
	s_add_u32 s0, s8, s0
	s_addc_u32 s1, s9, s1
	global_load_dwordx2 v[1:2], v3, s[0:1] glc dlc
	s_waitcnt vmcnt(0)
	v_and_b32_e32 v4, 0xff, v2
	v_cmp_ne_u64_e32 vcc_lo, 0, v[3:4]
	s_cbranch_vccnz .LBB1298_4
.LBB1298_3:                             ; =>This Inner Loop Header: Depth=1
	global_load_dwordx2 v[1:2], v3, s[0:1] glc dlc
	s_waitcnt vmcnt(0)
	v_and_b32_e32 v4, 0xff, v2
	v_cmp_eq_u64_e32 vcc_lo, 0, v[3:4]
	s_cbranch_vccnz .LBB1298_3
.LBB1298_4:
	v_mov_b32_e32 v2, 0
	global_store_short v2, v1, s[12:13]
	global_store_byte_d16_hi v2, v1, s[12:13] offset:2
.LBB1298_5:
	s_or_b32 exec_lo, exec_lo, s2
.LBB1298_6:
	s_mov_b32 s0, exec_lo
	v_cmpx_eq_u32_e32 0, v0
	s_cbranch_execz .LBB1298_8
; %bb.7:
	s_load_dwordx2 s[2:3], s[4:5], 0x38
	v_mov_b32_e32 v1, 0
	s_waitcnt lgkmcnt(0)
	global_store_dword v1, v1, s[2:3]
.LBB1298_8:
	s_or_b32 exec_lo, exec_lo, s0
	s_mov_b32 s0, exec_lo
	v_cmpx_gt_u32_e64 s10, v0
	s_cbranch_execz .LBB1298_10
; %bb.9:
	v_add_nc_u32_e32 v1, 32, v0
	v_mov_b32_e32 v2, 0
	v_lshlrev_b64 v[3:4], 3, v[1:2]
	v_mov_b32_e32 v1, v2
	v_add_co_u32 v3, vcc_lo, s8, v3
	v_add_co_ci_u32_e64 v4, null, s9, v4, vcc_lo
	global_store_dwordx2 v[3:4], v[1:2], off
.LBB1298_10:
	s_or_b32 exec_lo, exec_lo, s0
	v_mov_b32_e32 v1, 0
	s_mov_b32 s0, exec_lo
	v_cmpx_gt_u32_e32 32, v0
	s_cbranch_execz .LBB1298_12
; %bb.11:
	v_lshlrev_b64 v[2:3], 3, v[0:1]
	v_mov_b32_e32 v4, 0xff
	v_add_co_u32 v5, vcc_lo, s8, v2
	v_add_co_ci_u32_e64 v6, null, s9, v3, vcc_lo
	v_mov_b32_e32 v3, v1
	global_store_dwordx2 v[5:6], v[3:4], off
.LBB1298_12:
	s_or_b32 exec_lo, exec_lo, s0
	s_load_dwordx2 s[2:3], s[4:5], 0x28
	s_mov_b32 s0, exec_lo
	s_waitcnt lgkmcnt(0)
	v_cmpx_gt_u64_e64 s[2:3], v[0:1]
	s_cbranch_execz .LBB1298_15
; %bb.13:
	s_clause 0x1
	s_load_dword s6, s[4:5], 0x30
	s_load_dwordx2 s[8:9], s[4:5], 0x20
	s_mov_b32 s1, 0
	v_lshlrev_b64 v[4:5], 2, v[0:1]
	s_mul_i32 s4, s7, s16
	s_waitcnt lgkmcnt(0)
	v_mad_u64_u32 v[2:3], null, s6, v0, 0
	s_add_i32 s0, s6, -1
	s_mul_hi_u32 s7, s6, s4
	s_lshl_b64 s[10:11], s[0:1], 2
	s_mul_i32 s6, s6, s4
	s_add_u32 s0, s14, s10
	s_addc_u32 s5, s15, s11
	v_lshlrev_b64 v[2:3], 2, v[2:3]
	s_lshl_b64 s[6:7], s[6:7], 2
	v_add_co_u32 v2, vcc_lo, s0, v2
	v_add_co_ci_u32_e64 v3, null, s5, v3, vcc_lo
	v_add_co_u32 v4, vcc_lo, s8, v4
	v_add_co_ci_u32_e64 v5, null, s9, v5, vcc_lo
	s_mov_b32 s5, s1
	s_lshl_b64 s[8:9], s[4:5], 2
	.p2align	6
.LBB1298_14:                            ; =>This Inner Loop Header: Depth=1
	global_load_dword v6, v[2:3], off
	v_add_co_u32 v0, vcc_lo, v0, s4
	v_add_co_ci_u32_e64 v1, null, 0, v1, vcc_lo
	v_add_co_u32 v2, vcc_lo, v2, s6
	v_add_co_ci_u32_e64 v3, null, s7, v3, vcc_lo
	v_cmp_le_u64_e32 vcc_lo, s[2:3], v[0:1]
	s_or_b32 s1, vcc_lo, s1
	s_waitcnt vmcnt(0)
	global_store_dword v[4:5], v6, off
	v_add_co_u32 v4, s0, v4, s8
	v_add_co_ci_u32_e64 v5, null, s9, v5, s0
	s_andn2_b32 exec_lo, exec_lo, s1
	s_cbranch_execnz .LBB1298_14
.LBB1298_15:
	s_endpgm
	.section	.rodata,"a",@progbits
	.p2align	6, 0x0
	.amdhsa_kernel _ZN7rocprim17ROCPRIM_400000_NS6detail30init_device_scan_by_key_kernelINS1_19lookback_scan_stateINS0_5tupleIJtbEEELb0ELb1EEEN6thrust23THRUST_200600_302600_NS6detail15normal_iteratorINS8_10device_ptrIiEEEEjNS1_16block_id_wrapperIjLb1EEEEEvT_jjPNSG_10value_typeET0_PNSt15iterator_traitsISJ_E10value_typeEmT1_T2_
		.amdhsa_group_segment_fixed_size 0
		.amdhsa_private_segment_fixed_size 0
		.amdhsa_kernarg_size 320
		.amdhsa_user_sgpr_count 6
		.amdhsa_user_sgpr_private_segment_buffer 1
		.amdhsa_user_sgpr_dispatch_ptr 0
		.amdhsa_user_sgpr_queue_ptr 0
		.amdhsa_user_sgpr_kernarg_segment_ptr 1
		.amdhsa_user_sgpr_dispatch_id 0
		.amdhsa_user_sgpr_flat_scratch_init 0
		.amdhsa_user_sgpr_private_segment_size 0
		.amdhsa_wavefront_size32 1
		.amdhsa_uses_dynamic_stack 0
		.amdhsa_system_sgpr_private_segment_wavefront_offset 0
		.amdhsa_system_sgpr_workgroup_id_x 1
		.amdhsa_system_sgpr_workgroup_id_y 0
		.amdhsa_system_sgpr_workgroup_id_z 0
		.amdhsa_system_sgpr_workgroup_info 0
		.amdhsa_system_vgpr_workitem_id 0
		.amdhsa_next_free_vgpr 7
		.amdhsa_next_free_sgpr 17
		.amdhsa_reserve_vcc 1
		.amdhsa_reserve_flat_scratch 0
		.amdhsa_float_round_mode_32 0
		.amdhsa_float_round_mode_16_64 0
		.amdhsa_float_denorm_mode_32 3
		.amdhsa_float_denorm_mode_16_64 3
		.amdhsa_dx10_clamp 1
		.amdhsa_ieee_mode 1
		.amdhsa_fp16_overflow 0
		.amdhsa_workgroup_processor_mode 1
		.amdhsa_memory_ordered 1
		.amdhsa_forward_progress 1
		.amdhsa_shared_vgpr_count 0
		.amdhsa_exception_fp_ieee_invalid_op 0
		.amdhsa_exception_fp_denorm_src 0
		.amdhsa_exception_fp_ieee_div_zero 0
		.amdhsa_exception_fp_ieee_overflow 0
		.amdhsa_exception_fp_ieee_underflow 0
		.amdhsa_exception_fp_ieee_inexact 0
		.amdhsa_exception_int_div_zero 0
	.end_amdhsa_kernel
	.section	.text._ZN7rocprim17ROCPRIM_400000_NS6detail30init_device_scan_by_key_kernelINS1_19lookback_scan_stateINS0_5tupleIJtbEEELb0ELb1EEEN6thrust23THRUST_200600_302600_NS6detail15normal_iteratorINS8_10device_ptrIiEEEEjNS1_16block_id_wrapperIjLb1EEEEEvT_jjPNSG_10value_typeET0_PNSt15iterator_traitsISJ_E10value_typeEmT1_T2_,"axG",@progbits,_ZN7rocprim17ROCPRIM_400000_NS6detail30init_device_scan_by_key_kernelINS1_19lookback_scan_stateINS0_5tupleIJtbEEELb0ELb1EEEN6thrust23THRUST_200600_302600_NS6detail15normal_iteratorINS8_10device_ptrIiEEEEjNS1_16block_id_wrapperIjLb1EEEEEvT_jjPNSG_10value_typeET0_PNSt15iterator_traitsISJ_E10value_typeEmT1_T2_,comdat
.Lfunc_end1298:
	.size	_ZN7rocprim17ROCPRIM_400000_NS6detail30init_device_scan_by_key_kernelINS1_19lookback_scan_stateINS0_5tupleIJtbEEELb0ELb1EEEN6thrust23THRUST_200600_302600_NS6detail15normal_iteratorINS8_10device_ptrIiEEEEjNS1_16block_id_wrapperIjLb1EEEEEvT_jjPNSG_10value_typeET0_PNSt15iterator_traitsISJ_E10value_typeEmT1_T2_, .Lfunc_end1298-_ZN7rocprim17ROCPRIM_400000_NS6detail30init_device_scan_by_key_kernelINS1_19lookback_scan_stateINS0_5tupleIJtbEEELb0ELb1EEEN6thrust23THRUST_200600_302600_NS6detail15normal_iteratorINS8_10device_ptrIiEEEEjNS1_16block_id_wrapperIjLb1EEEEEvT_jjPNSG_10value_typeET0_PNSt15iterator_traitsISJ_E10value_typeEmT1_T2_
                                        ; -- End function
	.set _ZN7rocprim17ROCPRIM_400000_NS6detail30init_device_scan_by_key_kernelINS1_19lookback_scan_stateINS0_5tupleIJtbEEELb0ELb1EEEN6thrust23THRUST_200600_302600_NS6detail15normal_iteratorINS8_10device_ptrIiEEEEjNS1_16block_id_wrapperIjLb1EEEEEvT_jjPNSG_10value_typeET0_PNSt15iterator_traitsISJ_E10value_typeEmT1_T2_.num_vgpr, 7
	.set _ZN7rocprim17ROCPRIM_400000_NS6detail30init_device_scan_by_key_kernelINS1_19lookback_scan_stateINS0_5tupleIJtbEEELb0ELb1EEEN6thrust23THRUST_200600_302600_NS6detail15normal_iteratorINS8_10device_ptrIiEEEEjNS1_16block_id_wrapperIjLb1EEEEEvT_jjPNSG_10value_typeET0_PNSt15iterator_traitsISJ_E10value_typeEmT1_T2_.num_agpr, 0
	.set _ZN7rocprim17ROCPRIM_400000_NS6detail30init_device_scan_by_key_kernelINS1_19lookback_scan_stateINS0_5tupleIJtbEEELb0ELb1EEEN6thrust23THRUST_200600_302600_NS6detail15normal_iteratorINS8_10device_ptrIiEEEEjNS1_16block_id_wrapperIjLb1EEEEEvT_jjPNSG_10value_typeET0_PNSt15iterator_traitsISJ_E10value_typeEmT1_T2_.numbered_sgpr, 17
	.set _ZN7rocprim17ROCPRIM_400000_NS6detail30init_device_scan_by_key_kernelINS1_19lookback_scan_stateINS0_5tupleIJtbEEELb0ELb1EEEN6thrust23THRUST_200600_302600_NS6detail15normal_iteratorINS8_10device_ptrIiEEEEjNS1_16block_id_wrapperIjLb1EEEEEvT_jjPNSG_10value_typeET0_PNSt15iterator_traitsISJ_E10value_typeEmT1_T2_.num_named_barrier, 0
	.set _ZN7rocprim17ROCPRIM_400000_NS6detail30init_device_scan_by_key_kernelINS1_19lookback_scan_stateINS0_5tupleIJtbEEELb0ELb1EEEN6thrust23THRUST_200600_302600_NS6detail15normal_iteratorINS8_10device_ptrIiEEEEjNS1_16block_id_wrapperIjLb1EEEEEvT_jjPNSG_10value_typeET0_PNSt15iterator_traitsISJ_E10value_typeEmT1_T2_.private_seg_size, 0
	.set _ZN7rocprim17ROCPRIM_400000_NS6detail30init_device_scan_by_key_kernelINS1_19lookback_scan_stateINS0_5tupleIJtbEEELb0ELb1EEEN6thrust23THRUST_200600_302600_NS6detail15normal_iteratorINS8_10device_ptrIiEEEEjNS1_16block_id_wrapperIjLb1EEEEEvT_jjPNSG_10value_typeET0_PNSt15iterator_traitsISJ_E10value_typeEmT1_T2_.uses_vcc, 1
	.set _ZN7rocprim17ROCPRIM_400000_NS6detail30init_device_scan_by_key_kernelINS1_19lookback_scan_stateINS0_5tupleIJtbEEELb0ELb1EEEN6thrust23THRUST_200600_302600_NS6detail15normal_iteratorINS8_10device_ptrIiEEEEjNS1_16block_id_wrapperIjLb1EEEEEvT_jjPNSG_10value_typeET0_PNSt15iterator_traitsISJ_E10value_typeEmT1_T2_.uses_flat_scratch, 0
	.set _ZN7rocprim17ROCPRIM_400000_NS6detail30init_device_scan_by_key_kernelINS1_19lookback_scan_stateINS0_5tupleIJtbEEELb0ELb1EEEN6thrust23THRUST_200600_302600_NS6detail15normal_iteratorINS8_10device_ptrIiEEEEjNS1_16block_id_wrapperIjLb1EEEEEvT_jjPNSG_10value_typeET0_PNSt15iterator_traitsISJ_E10value_typeEmT1_T2_.has_dyn_sized_stack, 0
	.set _ZN7rocprim17ROCPRIM_400000_NS6detail30init_device_scan_by_key_kernelINS1_19lookback_scan_stateINS0_5tupleIJtbEEELb0ELb1EEEN6thrust23THRUST_200600_302600_NS6detail15normal_iteratorINS8_10device_ptrIiEEEEjNS1_16block_id_wrapperIjLb1EEEEEvT_jjPNSG_10value_typeET0_PNSt15iterator_traitsISJ_E10value_typeEmT1_T2_.has_recursion, 0
	.set _ZN7rocprim17ROCPRIM_400000_NS6detail30init_device_scan_by_key_kernelINS1_19lookback_scan_stateINS0_5tupleIJtbEEELb0ELb1EEEN6thrust23THRUST_200600_302600_NS6detail15normal_iteratorINS8_10device_ptrIiEEEEjNS1_16block_id_wrapperIjLb1EEEEEvT_jjPNSG_10value_typeET0_PNSt15iterator_traitsISJ_E10value_typeEmT1_T2_.has_indirect_call, 0
	.section	.AMDGPU.csdata,"",@progbits
; Kernel info:
; codeLenInByte = 600
; TotalNumSgprs: 19
; NumVgprs: 7
; ScratchSize: 0
; MemoryBound: 0
; FloatMode: 240
; IeeeMode: 1
; LDSByteSize: 0 bytes/workgroup (compile time only)
; SGPRBlocks: 0
; VGPRBlocks: 0
; NumSGPRsForWavesPerEU: 19
; NumVGPRsForWavesPerEU: 7
; Occupancy: 16
; WaveLimiterHint : 0
; COMPUTE_PGM_RSRC2:SCRATCH_EN: 0
; COMPUTE_PGM_RSRC2:USER_SGPR: 6
; COMPUTE_PGM_RSRC2:TRAP_HANDLER: 0
; COMPUTE_PGM_RSRC2:TGID_X_EN: 1
; COMPUTE_PGM_RSRC2:TGID_Y_EN: 0
; COMPUTE_PGM_RSRC2:TGID_Z_EN: 0
; COMPUTE_PGM_RSRC2:TIDIG_COMP_CNT: 0
	.section	.text._ZN7rocprim17ROCPRIM_400000_NS6detail30init_device_scan_by_key_kernelINS1_19lookback_scan_stateINS0_5tupleIJtbEEELb0ELb1EEENS1_16block_id_wrapperIjLb1EEEEEvT_jjPNS9_10value_typeET0_,"axG",@progbits,_ZN7rocprim17ROCPRIM_400000_NS6detail30init_device_scan_by_key_kernelINS1_19lookback_scan_stateINS0_5tupleIJtbEEELb0ELb1EEENS1_16block_id_wrapperIjLb1EEEEEvT_jjPNS9_10value_typeET0_,comdat
	.protected	_ZN7rocprim17ROCPRIM_400000_NS6detail30init_device_scan_by_key_kernelINS1_19lookback_scan_stateINS0_5tupleIJtbEEELb0ELb1EEENS1_16block_id_wrapperIjLb1EEEEEvT_jjPNS9_10value_typeET0_ ; -- Begin function _ZN7rocprim17ROCPRIM_400000_NS6detail30init_device_scan_by_key_kernelINS1_19lookback_scan_stateINS0_5tupleIJtbEEELb0ELb1EEENS1_16block_id_wrapperIjLb1EEEEEvT_jjPNS9_10value_typeET0_
	.globl	_ZN7rocprim17ROCPRIM_400000_NS6detail30init_device_scan_by_key_kernelINS1_19lookback_scan_stateINS0_5tupleIJtbEEELb0ELb1EEENS1_16block_id_wrapperIjLb1EEEEEvT_jjPNS9_10value_typeET0_
	.p2align	8
	.type	_ZN7rocprim17ROCPRIM_400000_NS6detail30init_device_scan_by_key_kernelINS1_19lookback_scan_stateINS0_5tupleIJtbEEELb0ELb1EEENS1_16block_id_wrapperIjLb1EEEEEvT_jjPNS9_10value_typeET0_,@function
_ZN7rocprim17ROCPRIM_400000_NS6detail30init_device_scan_by_key_kernelINS1_19lookback_scan_stateINS0_5tupleIJtbEEELb0ELb1EEENS1_16block_id_wrapperIjLb1EEEEEvT_jjPNS9_10value_typeET0_: ; @_ZN7rocprim17ROCPRIM_400000_NS6detail30init_device_scan_by_key_kernelINS1_19lookback_scan_stateINS0_5tupleIJtbEEELb0ELb1EEENS1_16block_id_wrapperIjLb1EEEEEvT_jjPNS9_10value_typeET0_
; %bb.0:
	s_clause 0x1
	s_load_dword s0, s[4:5], 0x2c
	s_load_dwordx8 s[8:15], s[4:5], 0x0
	s_waitcnt lgkmcnt(0)
	s_and_b32 s0, s0, 0xffff
	s_cmp_eq_u64 s[12:13], 0
	v_mad_u64_u32 v[0:1], null, s6, s0, v[0:1]
	s_cbranch_scc1 .LBB1299_6
; %bb.1:
	s_cmp_lt_u32 s11, s10
	s_mov_b32 s1, 0
	s_cselect_b32 s0, s11, 0
	s_mov_b32 s2, exec_lo
	v_cmpx_eq_u32_e64 s0, v0
	s_cbranch_execz .LBB1299_5
; %bb.2:
	s_add_i32 s0, s11, 32
	v_mov_b32_e32 v3, 0
	s_lshl_b64 s[0:1], s[0:1], 3
	s_add_u32 s0, s8, s0
	s_addc_u32 s1, s9, s1
	global_load_dwordx2 v[1:2], v3, s[0:1] glc dlc
	s_waitcnt vmcnt(0)
	v_and_b32_e32 v4, 0xff, v2
	v_cmp_ne_u64_e32 vcc_lo, 0, v[3:4]
	s_cbranch_vccnz .LBB1299_4
.LBB1299_3:                             ; =>This Inner Loop Header: Depth=1
	global_load_dwordx2 v[1:2], v3, s[0:1] glc dlc
	s_waitcnt vmcnt(0)
	v_and_b32_e32 v4, 0xff, v2
	v_cmp_eq_u64_e32 vcc_lo, 0, v[3:4]
	s_cbranch_vccnz .LBB1299_3
.LBB1299_4:
	v_mov_b32_e32 v2, 0
	global_store_short v2, v1, s[12:13]
	global_store_byte_d16_hi v2, v1, s[12:13] offset:2
.LBB1299_5:
	s_or_b32 exec_lo, exec_lo, s2
.LBB1299_6:
	s_mov_b32 s0, exec_lo
	v_cmpx_eq_u32_e32 0, v0
	s_cbranch_execz .LBB1299_8
; %bb.7:
	v_mov_b32_e32 v1, 0
	global_store_dword v1, v1, s[14:15]
.LBB1299_8:
	s_or_b32 exec_lo, exec_lo, s0
	s_mov_b32 s0, exec_lo
	v_cmpx_gt_u32_e64 s10, v0
	s_cbranch_execz .LBB1299_10
; %bb.9:
	v_add_nc_u32_e32 v1, 32, v0
	v_mov_b32_e32 v2, 0
	v_lshlrev_b64 v[3:4], 3, v[1:2]
	v_mov_b32_e32 v1, v2
	v_add_co_u32 v3, vcc_lo, s8, v3
	v_add_co_ci_u32_e64 v4, null, s9, v4, vcc_lo
	global_store_dwordx2 v[3:4], v[1:2], off
.LBB1299_10:
	s_or_b32 exec_lo, exec_lo, s0
	s_mov_b32 s0, exec_lo
	v_cmpx_gt_u32_e32 32, v0
	s_cbranch_execz .LBB1299_12
; %bb.11:
	v_mov_b32_e32 v1, 0
	v_mov_b32_e32 v4, 0xff
	v_lshlrev_b64 v[2:3], 3, v[0:1]
	v_add_co_u32 v5, vcc_lo, s8, v2
	v_add_co_ci_u32_e64 v6, null, s9, v3, vcc_lo
	v_mov_b32_e32 v3, v1
	global_store_dwordx2 v[5:6], v[3:4], off
.LBB1299_12:
	s_endpgm
	.section	.rodata,"a",@progbits
	.p2align	6, 0x0
	.amdhsa_kernel _ZN7rocprim17ROCPRIM_400000_NS6detail30init_device_scan_by_key_kernelINS1_19lookback_scan_stateINS0_5tupleIJtbEEELb0ELb1EEENS1_16block_id_wrapperIjLb1EEEEEvT_jjPNS9_10value_typeET0_
		.amdhsa_group_segment_fixed_size 0
		.amdhsa_private_segment_fixed_size 0
		.amdhsa_kernarg_size 288
		.amdhsa_user_sgpr_count 6
		.amdhsa_user_sgpr_private_segment_buffer 1
		.amdhsa_user_sgpr_dispatch_ptr 0
		.amdhsa_user_sgpr_queue_ptr 0
		.amdhsa_user_sgpr_kernarg_segment_ptr 1
		.amdhsa_user_sgpr_dispatch_id 0
		.amdhsa_user_sgpr_flat_scratch_init 0
		.amdhsa_user_sgpr_private_segment_size 0
		.amdhsa_wavefront_size32 1
		.amdhsa_uses_dynamic_stack 0
		.amdhsa_system_sgpr_private_segment_wavefront_offset 0
		.amdhsa_system_sgpr_workgroup_id_x 1
		.amdhsa_system_sgpr_workgroup_id_y 0
		.amdhsa_system_sgpr_workgroup_id_z 0
		.amdhsa_system_sgpr_workgroup_info 0
		.amdhsa_system_vgpr_workitem_id 0
		.amdhsa_next_free_vgpr 7
		.amdhsa_next_free_sgpr 16
		.amdhsa_reserve_vcc 1
		.amdhsa_reserve_flat_scratch 0
		.amdhsa_float_round_mode_32 0
		.amdhsa_float_round_mode_16_64 0
		.amdhsa_float_denorm_mode_32 3
		.amdhsa_float_denorm_mode_16_64 3
		.amdhsa_dx10_clamp 1
		.amdhsa_ieee_mode 1
		.amdhsa_fp16_overflow 0
		.amdhsa_workgroup_processor_mode 1
		.amdhsa_memory_ordered 1
		.amdhsa_forward_progress 1
		.amdhsa_shared_vgpr_count 0
		.amdhsa_exception_fp_ieee_invalid_op 0
		.amdhsa_exception_fp_denorm_src 0
		.amdhsa_exception_fp_ieee_div_zero 0
		.amdhsa_exception_fp_ieee_overflow 0
		.amdhsa_exception_fp_ieee_underflow 0
		.amdhsa_exception_fp_ieee_inexact 0
		.amdhsa_exception_int_div_zero 0
	.end_amdhsa_kernel
	.section	.text._ZN7rocprim17ROCPRIM_400000_NS6detail30init_device_scan_by_key_kernelINS1_19lookback_scan_stateINS0_5tupleIJtbEEELb0ELb1EEENS1_16block_id_wrapperIjLb1EEEEEvT_jjPNS9_10value_typeET0_,"axG",@progbits,_ZN7rocprim17ROCPRIM_400000_NS6detail30init_device_scan_by_key_kernelINS1_19lookback_scan_stateINS0_5tupleIJtbEEELb0ELb1EEENS1_16block_id_wrapperIjLb1EEEEEvT_jjPNS9_10value_typeET0_,comdat
.Lfunc_end1299:
	.size	_ZN7rocprim17ROCPRIM_400000_NS6detail30init_device_scan_by_key_kernelINS1_19lookback_scan_stateINS0_5tupleIJtbEEELb0ELb1EEENS1_16block_id_wrapperIjLb1EEEEEvT_jjPNS9_10value_typeET0_, .Lfunc_end1299-_ZN7rocprim17ROCPRIM_400000_NS6detail30init_device_scan_by_key_kernelINS1_19lookback_scan_stateINS0_5tupleIJtbEEELb0ELb1EEENS1_16block_id_wrapperIjLb1EEEEEvT_jjPNS9_10value_typeET0_
                                        ; -- End function
	.set _ZN7rocprim17ROCPRIM_400000_NS6detail30init_device_scan_by_key_kernelINS1_19lookback_scan_stateINS0_5tupleIJtbEEELb0ELb1EEENS1_16block_id_wrapperIjLb1EEEEEvT_jjPNS9_10value_typeET0_.num_vgpr, 7
	.set _ZN7rocprim17ROCPRIM_400000_NS6detail30init_device_scan_by_key_kernelINS1_19lookback_scan_stateINS0_5tupleIJtbEEELb0ELb1EEENS1_16block_id_wrapperIjLb1EEEEEvT_jjPNS9_10value_typeET0_.num_agpr, 0
	.set _ZN7rocprim17ROCPRIM_400000_NS6detail30init_device_scan_by_key_kernelINS1_19lookback_scan_stateINS0_5tupleIJtbEEELb0ELb1EEENS1_16block_id_wrapperIjLb1EEEEEvT_jjPNS9_10value_typeET0_.numbered_sgpr, 16
	.set _ZN7rocprim17ROCPRIM_400000_NS6detail30init_device_scan_by_key_kernelINS1_19lookback_scan_stateINS0_5tupleIJtbEEELb0ELb1EEENS1_16block_id_wrapperIjLb1EEEEEvT_jjPNS9_10value_typeET0_.num_named_barrier, 0
	.set _ZN7rocprim17ROCPRIM_400000_NS6detail30init_device_scan_by_key_kernelINS1_19lookback_scan_stateINS0_5tupleIJtbEEELb0ELb1EEENS1_16block_id_wrapperIjLb1EEEEEvT_jjPNS9_10value_typeET0_.private_seg_size, 0
	.set _ZN7rocprim17ROCPRIM_400000_NS6detail30init_device_scan_by_key_kernelINS1_19lookback_scan_stateINS0_5tupleIJtbEEELb0ELb1EEENS1_16block_id_wrapperIjLb1EEEEEvT_jjPNS9_10value_typeET0_.uses_vcc, 1
	.set _ZN7rocprim17ROCPRIM_400000_NS6detail30init_device_scan_by_key_kernelINS1_19lookback_scan_stateINS0_5tupleIJtbEEELb0ELb1EEENS1_16block_id_wrapperIjLb1EEEEEvT_jjPNS9_10value_typeET0_.uses_flat_scratch, 0
	.set _ZN7rocprim17ROCPRIM_400000_NS6detail30init_device_scan_by_key_kernelINS1_19lookback_scan_stateINS0_5tupleIJtbEEELb0ELb1EEENS1_16block_id_wrapperIjLb1EEEEEvT_jjPNS9_10value_typeET0_.has_dyn_sized_stack, 0
	.set _ZN7rocprim17ROCPRIM_400000_NS6detail30init_device_scan_by_key_kernelINS1_19lookback_scan_stateINS0_5tupleIJtbEEELb0ELb1EEENS1_16block_id_wrapperIjLb1EEEEEvT_jjPNS9_10value_typeET0_.has_recursion, 0
	.set _ZN7rocprim17ROCPRIM_400000_NS6detail30init_device_scan_by_key_kernelINS1_19lookback_scan_stateINS0_5tupleIJtbEEELb0ELb1EEENS1_16block_id_wrapperIjLb1EEEEEvT_jjPNS9_10value_typeET0_.has_indirect_call, 0
	.section	.AMDGPU.csdata,"",@progbits
; Kernel info:
; codeLenInByte = 332
; TotalNumSgprs: 18
; NumVgprs: 7
; ScratchSize: 0
; MemoryBound: 0
; FloatMode: 240
; IeeeMode: 1
; LDSByteSize: 0 bytes/workgroup (compile time only)
; SGPRBlocks: 0
; VGPRBlocks: 0
; NumSGPRsForWavesPerEU: 18
; NumVGPRsForWavesPerEU: 7
; Occupancy: 16
; WaveLimiterHint : 0
; COMPUTE_PGM_RSRC2:SCRATCH_EN: 0
; COMPUTE_PGM_RSRC2:USER_SGPR: 6
; COMPUTE_PGM_RSRC2:TRAP_HANDLER: 0
; COMPUTE_PGM_RSRC2:TGID_X_EN: 1
; COMPUTE_PGM_RSRC2:TGID_Y_EN: 0
; COMPUTE_PGM_RSRC2:TGID_Z_EN: 0
; COMPUTE_PGM_RSRC2:TIDIG_COMP_CNT: 0
	.section	.text._ZN7rocprim17ROCPRIM_400000_NS6detail17trampoline_kernelINS0_14default_configENS1_27scan_by_key_config_selectorIitEEZZNS1_16scan_by_key_implILNS1_25lookback_scan_determinismE0ELb0ES3_N6thrust23THRUST_200600_302600_NS6detail15normal_iteratorINS9_10device_ptrIiEEEENSB_INSC_ItEEEESG_tNS9_4plusIvEENS9_8equal_toIvEEtEE10hipError_tPvRmT2_T3_T4_T5_mT6_T7_P12ihipStream_tbENKUlT_T0_E_clISt17integral_constantIbLb0EES10_IbLb1EEEEDaSW_SX_EUlSW_E_NS1_11comp_targetILNS1_3genE0ELNS1_11target_archE4294967295ELNS1_3gpuE0ELNS1_3repE0EEENS1_30default_config_static_selectorELNS0_4arch9wavefront6targetE0EEEvT1_,"axG",@progbits,_ZN7rocprim17ROCPRIM_400000_NS6detail17trampoline_kernelINS0_14default_configENS1_27scan_by_key_config_selectorIitEEZZNS1_16scan_by_key_implILNS1_25lookback_scan_determinismE0ELb0ES3_N6thrust23THRUST_200600_302600_NS6detail15normal_iteratorINS9_10device_ptrIiEEEENSB_INSC_ItEEEESG_tNS9_4plusIvEENS9_8equal_toIvEEtEE10hipError_tPvRmT2_T3_T4_T5_mT6_T7_P12ihipStream_tbENKUlT_T0_E_clISt17integral_constantIbLb0EES10_IbLb1EEEEDaSW_SX_EUlSW_E_NS1_11comp_targetILNS1_3genE0ELNS1_11target_archE4294967295ELNS1_3gpuE0ELNS1_3repE0EEENS1_30default_config_static_selectorELNS0_4arch9wavefront6targetE0EEEvT1_,comdat
	.protected	_ZN7rocprim17ROCPRIM_400000_NS6detail17trampoline_kernelINS0_14default_configENS1_27scan_by_key_config_selectorIitEEZZNS1_16scan_by_key_implILNS1_25lookback_scan_determinismE0ELb0ES3_N6thrust23THRUST_200600_302600_NS6detail15normal_iteratorINS9_10device_ptrIiEEEENSB_INSC_ItEEEESG_tNS9_4plusIvEENS9_8equal_toIvEEtEE10hipError_tPvRmT2_T3_T4_T5_mT6_T7_P12ihipStream_tbENKUlT_T0_E_clISt17integral_constantIbLb0EES10_IbLb1EEEEDaSW_SX_EUlSW_E_NS1_11comp_targetILNS1_3genE0ELNS1_11target_archE4294967295ELNS1_3gpuE0ELNS1_3repE0EEENS1_30default_config_static_selectorELNS0_4arch9wavefront6targetE0EEEvT1_ ; -- Begin function _ZN7rocprim17ROCPRIM_400000_NS6detail17trampoline_kernelINS0_14default_configENS1_27scan_by_key_config_selectorIitEEZZNS1_16scan_by_key_implILNS1_25lookback_scan_determinismE0ELb0ES3_N6thrust23THRUST_200600_302600_NS6detail15normal_iteratorINS9_10device_ptrIiEEEENSB_INSC_ItEEEESG_tNS9_4plusIvEENS9_8equal_toIvEEtEE10hipError_tPvRmT2_T3_T4_T5_mT6_T7_P12ihipStream_tbENKUlT_T0_E_clISt17integral_constantIbLb0EES10_IbLb1EEEEDaSW_SX_EUlSW_E_NS1_11comp_targetILNS1_3genE0ELNS1_11target_archE4294967295ELNS1_3gpuE0ELNS1_3repE0EEENS1_30default_config_static_selectorELNS0_4arch9wavefront6targetE0EEEvT1_
	.globl	_ZN7rocprim17ROCPRIM_400000_NS6detail17trampoline_kernelINS0_14default_configENS1_27scan_by_key_config_selectorIitEEZZNS1_16scan_by_key_implILNS1_25lookback_scan_determinismE0ELb0ES3_N6thrust23THRUST_200600_302600_NS6detail15normal_iteratorINS9_10device_ptrIiEEEENSB_INSC_ItEEEESG_tNS9_4plusIvEENS9_8equal_toIvEEtEE10hipError_tPvRmT2_T3_T4_T5_mT6_T7_P12ihipStream_tbENKUlT_T0_E_clISt17integral_constantIbLb0EES10_IbLb1EEEEDaSW_SX_EUlSW_E_NS1_11comp_targetILNS1_3genE0ELNS1_11target_archE4294967295ELNS1_3gpuE0ELNS1_3repE0EEENS1_30default_config_static_selectorELNS0_4arch9wavefront6targetE0EEEvT1_
	.p2align	8
	.type	_ZN7rocprim17ROCPRIM_400000_NS6detail17trampoline_kernelINS0_14default_configENS1_27scan_by_key_config_selectorIitEEZZNS1_16scan_by_key_implILNS1_25lookback_scan_determinismE0ELb0ES3_N6thrust23THRUST_200600_302600_NS6detail15normal_iteratorINS9_10device_ptrIiEEEENSB_INSC_ItEEEESG_tNS9_4plusIvEENS9_8equal_toIvEEtEE10hipError_tPvRmT2_T3_T4_T5_mT6_T7_P12ihipStream_tbENKUlT_T0_E_clISt17integral_constantIbLb0EES10_IbLb1EEEEDaSW_SX_EUlSW_E_NS1_11comp_targetILNS1_3genE0ELNS1_11target_archE4294967295ELNS1_3gpuE0ELNS1_3repE0EEENS1_30default_config_static_selectorELNS0_4arch9wavefront6targetE0EEEvT1_,@function
_ZN7rocprim17ROCPRIM_400000_NS6detail17trampoline_kernelINS0_14default_configENS1_27scan_by_key_config_selectorIitEEZZNS1_16scan_by_key_implILNS1_25lookback_scan_determinismE0ELb0ES3_N6thrust23THRUST_200600_302600_NS6detail15normal_iteratorINS9_10device_ptrIiEEEENSB_INSC_ItEEEESG_tNS9_4plusIvEENS9_8equal_toIvEEtEE10hipError_tPvRmT2_T3_T4_T5_mT6_T7_P12ihipStream_tbENKUlT_T0_E_clISt17integral_constantIbLb0EES10_IbLb1EEEEDaSW_SX_EUlSW_E_NS1_11comp_targetILNS1_3genE0ELNS1_11target_archE4294967295ELNS1_3gpuE0ELNS1_3repE0EEENS1_30default_config_static_selectorELNS0_4arch9wavefront6targetE0EEEvT1_: ; @_ZN7rocprim17ROCPRIM_400000_NS6detail17trampoline_kernelINS0_14default_configENS1_27scan_by_key_config_selectorIitEEZZNS1_16scan_by_key_implILNS1_25lookback_scan_determinismE0ELb0ES3_N6thrust23THRUST_200600_302600_NS6detail15normal_iteratorINS9_10device_ptrIiEEEENSB_INSC_ItEEEESG_tNS9_4plusIvEENS9_8equal_toIvEEtEE10hipError_tPvRmT2_T3_T4_T5_mT6_T7_P12ihipStream_tbENKUlT_T0_E_clISt17integral_constantIbLb0EES10_IbLb1EEEEDaSW_SX_EUlSW_E_NS1_11comp_targetILNS1_3genE0ELNS1_11target_archE4294967295ELNS1_3gpuE0ELNS1_3repE0EEENS1_30default_config_static_selectorELNS0_4arch9wavefront6targetE0EEEvT1_
; %bb.0:
	.section	.rodata,"a",@progbits
	.p2align	6, 0x0
	.amdhsa_kernel _ZN7rocprim17ROCPRIM_400000_NS6detail17trampoline_kernelINS0_14default_configENS1_27scan_by_key_config_selectorIitEEZZNS1_16scan_by_key_implILNS1_25lookback_scan_determinismE0ELb0ES3_N6thrust23THRUST_200600_302600_NS6detail15normal_iteratorINS9_10device_ptrIiEEEENSB_INSC_ItEEEESG_tNS9_4plusIvEENS9_8equal_toIvEEtEE10hipError_tPvRmT2_T3_T4_T5_mT6_T7_P12ihipStream_tbENKUlT_T0_E_clISt17integral_constantIbLb0EES10_IbLb1EEEEDaSW_SX_EUlSW_E_NS1_11comp_targetILNS1_3genE0ELNS1_11target_archE4294967295ELNS1_3gpuE0ELNS1_3repE0EEENS1_30default_config_static_selectorELNS0_4arch9wavefront6targetE0EEEvT1_
		.amdhsa_group_segment_fixed_size 0
		.amdhsa_private_segment_fixed_size 0
		.amdhsa_kernarg_size 112
		.amdhsa_user_sgpr_count 6
		.amdhsa_user_sgpr_private_segment_buffer 1
		.amdhsa_user_sgpr_dispatch_ptr 0
		.amdhsa_user_sgpr_queue_ptr 0
		.amdhsa_user_sgpr_kernarg_segment_ptr 1
		.amdhsa_user_sgpr_dispatch_id 0
		.amdhsa_user_sgpr_flat_scratch_init 0
		.amdhsa_user_sgpr_private_segment_size 0
		.amdhsa_wavefront_size32 1
		.amdhsa_uses_dynamic_stack 0
		.amdhsa_system_sgpr_private_segment_wavefront_offset 0
		.amdhsa_system_sgpr_workgroup_id_x 1
		.amdhsa_system_sgpr_workgroup_id_y 0
		.amdhsa_system_sgpr_workgroup_id_z 0
		.amdhsa_system_sgpr_workgroup_info 0
		.amdhsa_system_vgpr_workitem_id 0
		.amdhsa_next_free_vgpr 1
		.amdhsa_next_free_sgpr 1
		.amdhsa_reserve_vcc 0
		.amdhsa_reserve_flat_scratch 0
		.amdhsa_float_round_mode_32 0
		.amdhsa_float_round_mode_16_64 0
		.amdhsa_float_denorm_mode_32 3
		.amdhsa_float_denorm_mode_16_64 3
		.amdhsa_dx10_clamp 1
		.amdhsa_ieee_mode 1
		.amdhsa_fp16_overflow 0
		.amdhsa_workgroup_processor_mode 1
		.amdhsa_memory_ordered 1
		.amdhsa_forward_progress 1
		.amdhsa_shared_vgpr_count 0
		.amdhsa_exception_fp_ieee_invalid_op 0
		.amdhsa_exception_fp_denorm_src 0
		.amdhsa_exception_fp_ieee_div_zero 0
		.amdhsa_exception_fp_ieee_overflow 0
		.amdhsa_exception_fp_ieee_underflow 0
		.amdhsa_exception_fp_ieee_inexact 0
		.amdhsa_exception_int_div_zero 0
	.end_amdhsa_kernel
	.section	.text._ZN7rocprim17ROCPRIM_400000_NS6detail17trampoline_kernelINS0_14default_configENS1_27scan_by_key_config_selectorIitEEZZNS1_16scan_by_key_implILNS1_25lookback_scan_determinismE0ELb0ES3_N6thrust23THRUST_200600_302600_NS6detail15normal_iteratorINS9_10device_ptrIiEEEENSB_INSC_ItEEEESG_tNS9_4plusIvEENS9_8equal_toIvEEtEE10hipError_tPvRmT2_T3_T4_T5_mT6_T7_P12ihipStream_tbENKUlT_T0_E_clISt17integral_constantIbLb0EES10_IbLb1EEEEDaSW_SX_EUlSW_E_NS1_11comp_targetILNS1_3genE0ELNS1_11target_archE4294967295ELNS1_3gpuE0ELNS1_3repE0EEENS1_30default_config_static_selectorELNS0_4arch9wavefront6targetE0EEEvT1_,"axG",@progbits,_ZN7rocprim17ROCPRIM_400000_NS6detail17trampoline_kernelINS0_14default_configENS1_27scan_by_key_config_selectorIitEEZZNS1_16scan_by_key_implILNS1_25lookback_scan_determinismE0ELb0ES3_N6thrust23THRUST_200600_302600_NS6detail15normal_iteratorINS9_10device_ptrIiEEEENSB_INSC_ItEEEESG_tNS9_4plusIvEENS9_8equal_toIvEEtEE10hipError_tPvRmT2_T3_T4_T5_mT6_T7_P12ihipStream_tbENKUlT_T0_E_clISt17integral_constantIbLb0EES10_IbLb1EEEEDaSW_SX_EUlSW_E_NS1_11comp_targetILNS1_3genE0ELNS1_11target_archE4294967295ELNS1_3gpuE0ELNS1_3repE0EEENS1_30default_config_static_selectorELNS0_4arch9wavefront6targetE0EEEvT1_,comdat
.Lfunc_end1300:
	.size	_ZN7rocprim17ROCPRIM_400000_NS6detail17trampoline_kernelINS0_14default_configENS1_27scan_by_key_config_selectorIitEEZZNS1_16scan_by_key_implILNS1_25lookback_scan_determinismE0ELb0ES3_N6thrust23THRUST_200600_302600_NS6detail15normal_iteratorINS9_10device_ptrIiEEEENSB_INSC_ItEEEESG_tNS9_4plusIvEENS9_8equal_toIvEEtEE10hipError_tPvRmT2_T3_T4_T5_mT6_T7_P12ihipStream_tbENKUlT_T0_E_clISt17integral_constantIbLb0EES10_IbLb1EEEEDaSW_SX_EUlSW_E_NS1_11comp_targetILNS1_3genE0ELNS1_11target_archE4294967295ELNS1_3gpuE0ELNS1_3repE0EEENS1_30default_config_static_selectorELNS0_4arch9wavefront6targetE0EEEvT1_, .Lfunc_end1300-_ZN7rocprim17ROCPRIM_400000_NS6detail17trampoline_kernelINS0_14default_configENS1_27scan_by_key_config_selectorIitEEZZNS1_16scan_by_key_implILNS1_25lookback_scan_determinismE0ELb0ES3_N6thrust23THRUST_200600_302600_NS6detail15normal_iteratorINS9_10device_ptrIiEEEENSB_INSC_ItEEEESG_tNS9_4plusIvEENS9_8equal_toIvEEtEE10hipError_tPvRmT2_T3_T4_T5_mT6_T7_P12ihipStream_tbENKUlT_T0_E_clISt17integral_constantIbLb0EES10_IbLb1EEEEDaSW_SX_EUlSW_E_NS1_11comp_targetILNS1_3genE0ELNS1_11target_archE4294967295ELNS1_3gpuE0ELNS1_3repE0EEENS1_30default_config_static_selectorELNS0_4arch9wavefront6targetE0EEEvT1_
                                        ; -- End function
	.set _ZN7rocprim17ROCPRIM_400000_NS6detail17trampoline_kernelINS0_14default_configENS1_27scan_by_key_config_selectorIitEEZZNS1_16scan_by_key_implILNS1_25lookback_scan_determinismE0ELb0ES3_N6thrust23THRUST_200600_302600_NS6detail15normal_iteratorINS9_10device_ptrIiEEEENSB_INSC_ItEEEESG_tNS9_4plusIvEENS9_8equal_toIvEEtEE10hipError_tPvRmT2_T3_T4_T5_mT6_T7_P12ihipStream_tbENKUlT_T0_E_clISt17integral_constantIbLb0EES10_IbLb1EEEEDaSW_SX_EUlSW_E_NS1_11comp_targetILNS1_3genE0ELNS1_11target_archE4294967295ELNS1_3gpuE0ELNS1_3repE0EEENS1_30default_config_static_selectorELNS0_4arch9wavefront6targetE0EEEvT1_.num_vgpr, 0
	.set _ZN7rocprim17ROCPRIM_400000_NS6detail17trampoline_kernelINS0_14default_configENS1_27scan_by_key_config_selectorIitEEZZNS1_16scan_by_key_implILNS1_25lookback_scan_determinismE0ELb0ES3_N6thrust23THRUST_200600_302600_NS6detail15normal_iteratorINS9_10device_ptrIiEEEENSB_INSC_ItEEEESG_tNS9_4plusIvEENS9_8equal_toIvEEtEE10hipError_tPvRmT2_T3_T4_T5_mT6_T7_P12ihipStream_tbENKUlT_T0_E_clISt17integral_constantIbLb0EES10_IbLb1EEEEDaSW_SX_EUlSW_E_NS1_11comp_targetILNS1_3genE0ELNS1_11target_archE4294967295ELNS1_3gpuE0ELNS1_3repE0EEENS1_30default_config_static_selectorELNS0_4arch9wavefront6targetE0EEEvT1_.num_agpr, 0
	.set _ZN7rocprim17ROCPRIM_400000_NS6detail17trampoline_kernelINS0_14default_configENS1_27scan_by_key_config_selectorIitEEZZNS1_16scan_by_key_implILNS1_25lookback_scan_determinismE0ELb0ES3_N6thrust23THRUST_200600_302600_NS6detail15normal_iteratorINS9_10device_ptrIiEEEENSB_INSC_ItEEEESG_tNS9_4plusIvEENS9_8equal_toIvEEtEE10hipError_tPvRmT2_T3_T4_T5_mT6_T7_P12ihipStream_tbENKUlT_T0_E_clISt17integral_constantIbLb0EES10_IbLb1EEEEDaSW_SX_EUlSW_E_NS1_11comp_targetILNS1_3genE0ELNS1_11target_archE4294967295ELNS1_3gpuE0ELNS1_3repE0EEENS1_30default_config_static_selectorELNS0_4arch9wavefront6targetE0EEEvT1_.numbered_sgpr, 0
	.set _ZN7rocprim17ROCPRIM_400000_NS6detail17trampoline_kernelINS0_14default_configENS1_27scan_by_key_config_selectorIitEEZZNS1_16scan_by_key_implILNS1_25lookback_scan_determinismE0ELb0ES3_N6thrust23THRUST_200600_302600_NS6detail15normal_iteratorINS9_10device_ptrIiEEEENSB_INSC_ItEEEESG_tNS9_4plusIvEENS9_8equal_toIvEEtEE10hipError_tPvRmT2_T3_T4_T5_mT6_T7_P12ihipStream_tbENKUlT_T0_E_clISt17integral_constantIbLb0EES10_IbLb1EEEEDaSW_SX_EUlSW_E_NS1_11comp_targetILNS1_3genE0ELNS1_11target_archE4294967295ELNS1_3gpuE0ELNS1_3repE0EEENS1_30default_config_static_selectorELNS0_4arch9wavefront6targetE0EEEvT1_.num_named_barrier, 0
	.set _ZN7rocprim17ROCPRIM_400000_NS6detail17trampoline_kernelINS0_14default_configENS1_27scan_by_key_config_selectorIitEEZZNS1_16scan_by_key_implILNS1_25lookback_scan_determinismE0ELb0ES3_N6thrust23THRUST_200600_302600_NS6detail15normal_iteratorINS9_10device_ptrIiEEEENSB_INSC_ItEEEESG_tNS9_4plusIvEENS9_8equal_toIvEEtEE10hipError_tPvRmT2_T3_T4_T5_mT6_T7_P12ihipStream_tbENKUlT_T0_E_clISt17integral_constantIbLb0EES10_IbLb1EEEEDaSW_SX_EUlSW_E_NS1_11comp_targetILNS1_3genE0ELNS1_11target_archE4294967295ELNS1_3gpuE0ELNS1_3repE0EEENS1_30default_config_static_selectorELNS0_4arch9wavefront6targetE0EEEvT1_.private_seg_size, 0
	.set _ZN7rocprim17ROCPRIM_400000_NS6detail17trampoline_kernelINS0_14default_configENS1_27scan_by_key_config_selectorIitEEZZNS1_16scan_by_key_implILNS1_25lookback_scan_determinismE0ELb0ES3_N6thrust23THRUST_200600_302600_NS6detail15normal_iteratorINS9_10device_ptrIiEEEENSB_INSC_ItEEEESG_tNS9_4plusIvEENS9_8equal_toIvEEtEE10hipError_tPvRmT2_T3_T4_T5_mT6_T7_P12ihipStream_tbENKUlT_T0_E_clISt17integral_constantIbLb0EES10_IbLb1EEEEDaSW_SX_EUlSW_E_NS1_11comp_targetILNS1_3genE0ELNS1_11target_archE4294967295ELNS1_3gpuE0ELNS1_3repE0EEENS1_30default_config_static_selectorELNS0_4arch9wavefront6targetE0EEEvT1_.uses_vcc, 0
	.set _ZN7rocprim17ROCPRIM_400000_NS6detail17trampoline_kernelINS0_14default_configENS1_27scan_by_key_config_selectorIitEEZZNS1_16scan_by_key_implILNS1_25lookback_scan_determinismE0ELb0ES3_N6thrust23THRUST_200600_302600_NS6detail15normal_iteratorINS9_10device_ptrIiEEEENSB_INSC_ItEEEESG_tNS9_4plusIvEENS9_8equal_toIvEEtEE10hipError_tPvRmT2_T3_T4_T5_mT6_T7_P12ihipStream_tbENKUlT_T0_E_clISt17integral_constantIbLb0EES10_IbLb1EEEEDaSW_SX_EUlSW_E_NS1_11comp_targetILNS1_3genE0ELNS1_11target_archE4294967295ELNS1_3gpuE0ELNS1_3repE0EEENS1_30default_config_static_selectorELNS0_4arch9wavefront6targetE0EEEvT1_.uses_flat_scratch, 0
	.set _ZN7rocprim17ROCPRIM_400000_NS6detail17trampoline_kernelINS0_14default_configENS1_27scan_by_key_config_selectorIitEEZZNS1_16scan_by_key_implILNS1_25lookback_scan_determinismE0ELb0ES3_N6thrust23THRUST_200600_302600_NS6detail15normal_iteratorINS9_10device_ptrIiEEEENSB_INSC_ItEEEESG_tNS9_4plusIvEENS9_8equal_toIvEEtEE10hipError_tPvRmT2_T3_T4_T5_mT6_T7_P12ihipStream_tbENKUlT_T0_E_clISt17integral_constantIbLb0EES10_IbLb1EEEEDaSW_SX_EUlSW_E_NS1_11comp_targetILNS1_3genE0ELNS1_11target_archE4294967295ELNS1_3gpuE0ELNS1_3repE0EEENS1_30default_config_static_selectorELNS0_4arch9wavefront6targetE0EEEvT1_.has_dyn_sized_stack, 0
	.set _ZN7rocprim17ROCPRIM_400000_NS6detail17trampoline_kernelINS0_14default_configENS1_27scan_by_key_config_selectorIitEEZZNS1_16scan_by_key_implILNS1_25lookback_scan_determinismE0ELb0ES3_N6thrust23THRUST_200600_302600_NS6detail15normal_iteratorINS9_10device_ptrIiEEEENSB_INSC_ItEEEESG_tNS9_4plusIvEENS9_8equal_toIvEEtEE10hipError_tPvRmT2_T3_T4_T5_mT6_T7_P12ihipStream_tbENKUlT_T0_E_clISt17integral_constantIbLb0EES10_IbLb1EEEEDaSW_SX_EUlSW_E_NS1_11comp_targetILNS1_3genE0ELNS1_11target_archE4294967295ELNS1_3gpuE0ELNS1_3repE0EEENS1_30default_config_static_selectorELNS0_4arch9wavefront6targetE0EEEvT1_.has_recursion, 0
	.set _ZN7rocprim17ROCPRIM_400000_NS6detail17trampoline_kernelINS0_14default_configENS1_27scan_by_key_config_selectorIitEEZZNS1_16scan_by_key_implILNS1_25lookback_scan_determinismE0ELb0ES3_N6thrust23THRUST_200600_302600_NS6detail15normal_iteratorINS9_10device_ptrIiEEEENSB_INSC_ItEEEESG_tNS9_4plusIvEENS9_8equal_toIvEEtEE10hipError_tPvRmT2_T3_T4_T5_mT6_T7_P12ihipStream_tbENKUlT_T0_E_clISt17integral_constantIbLb0EES10_IbLb1EEEEDaSW_SX_EUlSW_E_NS1_11comp_targetILNS1_3genE0ELNS1_11target_archE4294967295ELNS1_3gpuE0ELNS1_3repE0EEENS1_30default_config_static_selectorELNS0_4arch9wavefront6targetE0EEEvT1_.has_indirect_call, 0
	.section	.AMDGPU.csdata,"",@progbits
; Kernel info:
; codeLenInByte = 0
; TotalNumSgprs: 0
; NumVgprs: 0
; ScratchSize: 0
; MemoryBound: 0
; FloatMode: 240
; IeeeMode: 1
; LDSByteSize: 0 bytes/workgroup (compile time only)
; SGPRBlocks: 0
; VGPRBlocks: 0
; NumSGPRsForWavesPerEU: 1
; NumVGPRsForWavesPerEU: 1
; Occupancy: 16
; WaveLimiterHint : 0
; COMPUTE_PGM_RSRC2:SCRATCH_EN: 0
; COMPUTE_PGM_RSRC2:USER_SGPR: 6
; COMPUTE_PGM_RSRC2:TRAP_HANDLER: 0
; COMPUTE_PGM_RSRC2:TGID_X_EN: 1
; COMPUTE_PGM_RSRC2:TGID_Y_EN: 0
; COMPUTE_PGM_RSRC2:TGID_Z_EN: 0
; COMPUTE_PGM_RSRC2:TIDIG_COMP_CNT: 0
	.section	.text._ZN7rocprim17ROCPRIM_400000_NS6detail17trampoline_kernelINS0_14default_configENS1_27scan_by_key_config_selectorIitEEZZNS1_16scan_by_key_implILNS1_25lookback_scan_determinismE0ELb0ES3_N6thrust23THRUST_200600_302600_NS6detail15normal_iteratorINS9_10device_ptrIiEEEENSB_INSC_ItEEEESG_tNS9_4plusIvEENS9_8equal_toIvEEtEE10hipError_tPvRmT2_T3_T4_T5_mT6_T7_P12ihipStream_tbENKUlT_T0_E_clISt17integral_constantIbLb0EES10_IbLb1EEEEDaSW_SX_EUlSW_E_NS1_11comp_targetILNS1_3genE10ELNS1_11target_archE1201ELNS1_3gpuE5ELNS1_3repE0EEENS1_30default_config_static_selectorELNS0_4arch9wavefront6targetE0EEEvT1_,"axG",@progbits,_ZN7rocprim17ROCPRIM_400000_NS6detail17trampoline_kernelINS0_14default_configENS1_27scan_by_key_config_selectorIitEEZZNS1_16scan_by_key_implILNS1_25lookback_scan_determinismE0ELb0ES3_N6thrust23THRUST_200600_302600_NS6detail15normal_iteratorINS9_10device_ptrIiEEEENSB_INSC_ItEEEESG_tNS9_4plusIvEENS9_8equal_toIvEEtEE10hipError_tPvRmT2_T3_T4_T5_mT6_T7_P12ihipStream_tbENKUlT_T0_E_clISt17integral_constantIbLb0EES10_IbLb1EEEEDaSW_SX_EUlSW_E_NS1_11comp_targetILNS1_3genE10ELNS1_11target_archE1201ELNS1_3gpuE5ELNS1_3repE0EEENS1_30default_config_static_selectorELNS0_4arch9wavefront6targetE0EEEvT1_,comdat
	.protected	_ZN7rocprim17ROCPRIM_400000_NS6detail17trampoline_kernelINS0_14default_configENS1_27scan_by_key_config_selectorIitEEZZNS1_16scan_by_key_implILNS1_25lookback_scan_determinismE0ELb0ES3_N6thrust23THRUST_200600_302600_NS6detail15normal_iteratorINS9_10device_ptrIiEEEENSB_INSC_ItEEEESG_tNS9_4plusIvEENS9_8equal_toIvEEtEE10hipError_tPvRmT2_T3_T4_T5_mT6_T7_P12ihipStream_tbENKUlT_T0_E_clISt17integral_constantIbLb0EES10_IbLb1EEEEDaSW_SX_EUlSW_E_NS1_11comp_targetILNS1_3genE10ELNS1_11target_archE1201ELNS1_3gpuE5ELNS1_3repE0EEENS1_30default_config_static_selectorELNS0_4arch9wavefront6targetE0EEEvT1_ ; -- Begin function _ZN7rocprim17ROCPRIM_400000_NS6detail17trampoline_kernelINS0_14default_configENS1_27scan_by_key_config_selectorIitEEZZNS1_16scan_by_key_implILNS1_25lookback_scan_determinismE0ELb0ES3_N6thrust23THRUST_200600_302600_NS6detail15normal_iteratorINS9_10device_ptrIiEEEENSB_INSC_ItEEEESG_tNS9_4plusIvEENS9_8equal_toIvEEtEE10hipError_tPvRmT2_T3_T4_T5_mT6_T7_P12ihipStream_tbENKUlT_T0_E_clISt17integral_constantIbLb0EES10_IbLb1EEEEDaSW_SX_EUlSW_E_NS1_11comp_targetILNS1_3genE10ELNS1_11target_archE1201ELNS1_3gpuE5ELNS1_3repE0EEENS1_30default_config_static_selectorELNS0_4arch9wavefront6targetE0EEEvT1_
	.globl	_ZN7rocprim17ROCPRIM_400000_NS6detail17trampoline_kernelINS0_14default_configENS1_27scan_by_key_config_selectorIitEEZZNS1_16scan_by_key_implILNS1_25lookback_scan_determinismE0ELb0ES3_N6thrust23THRUST_200600_302600_NS6detail15normal_iteratorINS9_10device_ptrIiEEEENSB_INSC_ItEEEESG_tNS9_4plusIvEENS9_8equal_toIvEEtEE10hipError_tPvRmT2_T3_T4_T5_mT6_T7_P12ihipStream_tbENKUlT_T0_E_clISt17integral_constantIbLb0EES10_IbLb1EEEEDaSW_SX_EUlSW_E_NS1_11comp_targetILNS1_3genE10ELNS1_11target_archE1201ELNS1_3gpuE5ELNS1_3repE0EEENS1_30default_config_static_selectorELNS0_4arch9wavefront6targetE0EEEvT1_
	.p2align	8
	.type	_ZN7rocprim17ROCPRIM_400000_NS6detail17trampoline_kernelINS0_14default_configENS1_27scan_by_key_config_selectorIitEEZZNS1_16scan_by_key_implILNS1_25lookback_scan_determinismE0ELb0ES3_N6thrust23THRUST_200600_302600_NS6detail15normal_iteratorINS9_10device_ptrIiEEEENSB_INSC_ItEEEESG_tNS9_4plusIvEENS9_8equal_toIvEEtEE10hipError_tPvRmT2_T3_T4_T5_mT6_T7_P12ihipStream_tbENKUlT_T0_E_clISt17integral_constantIbLb0EES10_IbLb1EEEEDaSW_SX_EUlSW_E_NS1_11comp_targetILNS1_3genE10ELNS1_11target_archE1201ELNS1_3gpuE5ELNS1_3repE0EEENS1_30default_config_static_selectorELNS0_4arch9wavefront6targetE0EEEvT1_,@function
_ZN7rocprim17ROCPRIM_400000_NS6detail17trampoline_kernelINS0_14default_configENS1_27scan_by_key_config_selectorIitEEZZNS1_16scan_by_key_implILNS1_25lookback_scan_determinismE0ELb0ES3_N6thrust23THRUST_200600_302600_NS6detail15normal_iteratorINS9_10device_ptrIiEEEENSB_INSC_ItEEEESG_tNS9_4plusIvEENS9_8equal_toIvEEtEE10hipError_tPvRmT2_T3_T4_T5_mT6_T7_P12ihipStream_tbENKUlT_T0_E_clISt17integral_constantIbLb0EES10_IbLb1EEEEDaSW_SX_EUlSW_E_NS1_11comp_targetILNS1_3genE10ELNS1_11target_archE1201ELNS1_3gpuE5ELNS1_3repE0EEENS1_30default_config_static_selectorELNS0_4arch9wavefront6targetE0EEEvT1_: ; @_ZN7rocprim17ROCPRIM_400000_NS6detail17trampoline_kernelINS0_14default_configENS1_27scan_by_key_config_selectorIitEEZZNS1_16scan_by_key_implILNS1_25lookback_scan_determinismE0ELb0ES3_N6thrust23THRUST_200600_302600_NS6detail15normal_iteratorINS9_10device_ptrIiEEEENSB_INSC_ItEEEESG_tNS9_4plusIvEENS9_8equal_toIvEEtEE10hipError_tPvRmT2_T3_T4_T5_mT6_T7_P12ihipStream_tbENKUlT_T0_E_clISt17integral_constantIbLb0EES10_IbLb1EEEEDaSW_SX_EUlSW_E_NS1_11comp_targetILNS1_3genE10ELNS1_11target_archE1201ELNS1_3gpuE5ELNS1_3repE0EEENS1_30default_config_static_selectorELNS0_4arch9wavefront6targetE0EEEvT1_
; %bb.0:
	.section	.rodata,"a",@progbits
	.p2align	6, 0x0
	.amdhsa_kernel _ZN7rocprim17ROCPRIM_400000_NS6detail17trampoline_kernelINS0_14default_configENS1_27scan_by_key_config_selectorIitEEZZNS1_16scan_by_key_implILNS1_25lookback_scan_determinismE0ELb0ES3_N6thrust23THRUST_200600_302600_NS6detail15normal_iteratorINS9_10device_ptrIiEEEENSB_INSC_ItEEEESG_tNS9_4plusIvEENS9_8equal_toIvEEtEE10hipError_tPvRmT2_T3_T4_T5_mT6_T7_P12ihipStream_tbENKUlT_T0_E_clISt17integral_constantIbLb0EES10_IbLb1EEEEDaSW_SX_EUlSW_E_NS1_11comp_targetILNS1_3genE10ELNS1_11target_archE1201ELNS1_3gpuE5ELNS1_3repE0EEENS1_30default_config_static_selectorELNS0_4arch9wavefront6targetE0EEEvT1_
		.amdhsa_group_segment_fixed_size 0
		.amdhsa_private_segment_fixed_size 0
		.amdhsa_kernarg_size 112
		.amdhsa_user_sgpr_count 6
		.amdhsa_user_sgpr_private_segment_buffer 1
		.amdhsa_user_sgpr_dispatch_ptr 0
		.amdhsa_user_sgpr_queue_ptr 0
		.amdhsa_user_sgpr_kernarg_segment_ptr 1
		.amdhsa_user_sgpr_dispatch_id 0
		.amdhsa_user_sgpr_flat_scratch_init 0
		.amdhsa_user_sgpr_private_segment_size 0
		.amdhsa_wavefront_size32 1
		.amdhsa_uses_dynamic_stack 0
		.amdhsa_system_sgpr_private_segment_wavefront_offset 0
		.amdhsa_system_sgpr_workgroup_id_x 1
		.amdhsa_system_sgpr_workgroup_id_y 0
		.amdhsa_system_sgpr_workgroup_id_z 0
		.amdhsa_system_sgpr_workgroup_info 0
		.amdhsa_system_vgpr_workitem_id 0
		.amdhsa_next_free_vgpr 1
		.amdhsa_next_free_sgpr 1
		.amdhsa_reserve_vcc 0
		.amdhsa_reserve_flat_scratch 0
		.amdhsa_float_round_mode_32 0
		.amdhsa_float_round_mode_16_64 0
		.amdhsa_float_denorm_mode_32 3
		.amdhsa_float_denorm_mode_16_64 3
		.amdhsa_dx10_clamp 1
		.amdhsa_ieee_mode 1
		.amdhsa_fp16_overflow 0
		.amdhsa_workgroup_processor_mode 1
		.amdhsa_memory_ordered 1
		.amdhsa_forward_progress 1
		.amdhsa_shared_vgpr_count 0
		.amdhsa_exception_fp_ieee_invalid_op 0
		.amdhsa_exception_fp_denorm_src 0
		.amdhsa_exception_fp_ieee_div_zero 0
		.amdhsa_exception_fp_ieee_overflow 0
		.amdhsa_exception_fp_ieee_underflow 0
		.amdhsa_exception_fp_ieee_inexact 0
		.amdhsa_exception_int_div_zero 0
	.end_amdhsa_kernel
	.section	.text._ZN7rocprim17ROCPRIM_400000_NS6detail17trampoline_kernelINS0_14default_configENS1_27scan_by_key_config_selectorIitEEZZNS1_16scan_by_key_implILNS1_25lookback_scan_determinismE0ELb0ES3_N6thrust23THRUST_200600_302600_NS6detail15normal_iteratorINS9_10device_ptrIiEEEENSB_INSC_ItEEEESG_tNS9_4plusIvEENS9_8equal_toIvEEtEE10hipError_tPvRmT2_T3_T4_T5_mT6_T7_P12ihipStream_tbENKUlT_T0_E_clISt17integral_constantIbLb0EES10_IbLb1EEEEDaSW_SX_EUlSW_E_NS1_11comp_targetILNS1_3genE10ELNS1_11target_archE1201ELNS1_3gpuE5ELNS1_3repE0EEENS1_30default_config_static_selectorELNS0_4arch9wavefront6targetE0EEEvT1_,"axG",@progbits,_ZN7rocprim17ROCPRIM_400000_NS6detail17trampoline_kernelINS0_14default_configENS1_27scan_by_key_config_selectorIitEEZZNS1_16scan_by_key_implILNS1_25lookback_scan_determinismE0ELb0ES3_N6thrust23THRUST_200600_302600_NS6detail15normal_iteratorINS9_10device_ptrIiEEEENSB_INSC_ItEEEESG_tNS9_4plusIvEENS9_8equal_toIvEEtEE10hipError_tPvRmT2_T3_T4_T5_mT6_T7_P12ihipStream_tbENKUlT_T0_E_clISt17integral_constantIbLb0EES10_IbLb1EEEEDaSW_SX_EUlSW_E_NS1_11comp_targetILNS1_3genE10ELNS1_11target_archE1201ELNS1_3gpuE5ELNS1_3repE0EEENS1_30default_config_static_selectorELNS0_4arch9wavefront6targetE0EEEvT1_,comdat
.Lfunc_end1301:
	.size	_ZN7rocprim17ROCPRIM_400000_NS6detail17trampoline_kernelINS0_14default_configENS1_27scan_by_key_config_selectorIitEEZZNS1_16scan_by_key_implILNS1_25lookback_scan_determinismE0ELb0ES3_N6thrust23THRUST_200600_302600_NS6detail15normal_iteratorINS9_10device_ptrIiEEEENSB_INSC_ItEEEESG_tNS9_4plusIvEENS9_8equal_toIvEEtEE10hipError_tPvRmT2_T3_T4_T5_mT6_T7_P12ihipStream_tbENKUlT_T0_E_clISt17integral_constantIbLb0EES10_IbLb1EEEEDaSW_SX_EUlSW_E_NS1_11comp_targetILNS1_3genE10ELNS1_11target_archE1201ELNS1_3gpuE5ELNS1_3repE0EEENS1_30default_config_static_selectorELNS0_4arch9wavefront6targetE0EEEvT1_, .Lfunc_end1301-_ZN7rocprim17ROCPRIM_400000_NS6detail17trampoline_kernelINS0_14default_configENS1_27scan_by_key_config_selectorIitEEZZNS1_16scan_by_key_implILNS1_25lookback_scan_determinismE0ELb0ES3_N6thrust23THRUST_200600_302600_NS6detail15normal_iteratorINS9_10device_ptrIiEEEENSB_INSC_ItEEEESG_tNS9_4plusIvEENS9_8equal_toIvEEtEE10hipError_tPvRmT2_T3_T4_T5_mT6_T7_P12ihipStream_tbENKUlT_T0_E_clISt17integral_constantIbLb0EES10_IbLb1EEEEDaSW_SX_EUlSW_E_NS1_11comp_targetILNS1_3genE10ELNS1_11target_archE1201ELNS1_3gpuE5ELNS1_3repE0EEENS1_30default_config_static_selectorELNS0_4arch9wavefront6targetE0EEEvT1_
                                        ; -- End function
	.set _ZN7rocprim17ROCPRIM_400000_NS6detail17trampoline_kernelINS0_14default_configENS1_27scan_by_key_config_selectorIitEEZZNS1_16scan_by_key_implILNS1_25lookback_scan_determinismE0ELb0ES3_N6thrust23THRUST_200600_302600_NS6detail15normal_iteratorINS9_10device_ptrIiEEEENSB_INSC_ItEEEESG_tNS9_4plusIvEENS9_8equal_toIvEEtEE10hipError_tPvRmT2_T3_T4_T5_mT6_T7_P12ihipStream_tbENKUlT_T0_E_clISt17integral_constantIbLb0EES10_IbLb1EEEEDaSW_SX_EUlSW_E_NS1_11comp_targetILNS1_3genE10ELNS1_11target_archE1201ELNS1_3gpuE5ELNS1_3repE0EEENS1_30default_config_static_selectorELNS0_4arch9wavefront6targetE0EEEvT1_.num_vgpr, 0
	.set _ZN7rocprim17ROCPRIM_400000_NS6detail17trampoline_kernelINS0_14default_configENS1_27scan_by_key_config_selectorIitEEZZNS1_16scan_by_key_implILNS1_25lookback_scan_determinismE0ELb0ES3_N6thrust23THRUST_200600_302600_NS6detail15normal_iteratorINS9_10device_ptrIiEEEENSB_INSC_ItEEEESG_tNS9_4plusIvEENS9_8equal_toIvEEtEE10hipError_tPvRmT2_T3_T4_T5_mT6_T7_P12ihipStream_tbENKUlT_T0_E_clISt17integral_constantIbLb0EES10_IbLb1EEEEDaSW_SX_EUlSW_E_NS1_11comp_targetILNS1_3genE10ELNS1_11target_archE1201ELNS1_3gpuE5ELNS1_3repE0EEENS1_30default_config_static_selectorELNS0_4arch9wavefront6targetE0EEEvT1_.num_agpr, 0
	.set _ZN7rocprim17ROCPRIM_400000_NS6detail17trampoline_kernelINS0_14default_configENS1_27scan_by_key_config_selectorIitEEZZNS1_16scan_by_key_implILNS1_25lookback_scan_determinismE0ELb0ES3_N6thrust23THRUST_200600_302600_NS6detail15normal_iteratorINS9_10device_ptrIiEEEENSB_INSC_ItEEEESG_tNS9_4plusIvEENS9_8equal_toIvEEtEE10hipError_tPvRmT2_T3_T4_T5_mT6_T7_P12ihipStream_tbENKUlT_T0_E_clISt17integral_constantIbLb0EES10_IbLb1EEEEDaSW_SX_EUlSW_E_NS1_11comp_targetILNS1_3genE10ELNS1_11target_archE1201ELNS1_3gpuE5ELNS1_3repE0EEENS1_30default_config_static_selectorELNS0_4arch9wavefront6targetE0EEEvT1_.numbered_sgpr, 0
	.set _ZN7rocprim17ROCPRIM_400000_NS6detail17trampoline_kernelINS0_14default_configENS1_27scan_by_key_config_selectorIitEEZZNS1_16scan_by_key_implILNS1_25lookback_scan_determinismE0ELb0ES3_N6thrust23THRUST_200600_302600_NS6detail15normal_iteratorINS9_10device_ptrIiEEEENSB_INSC_ItEEEESG_tNS9_4plusIvEENS9_8equal_toIvEEtEE10hipError_tPvRmT2_T3_T4_T5_mT6_T7_P12ihipStream_tbENKUlT_T0_E_clISt17integral_constantIbLb0EES10_IbLb1EEEEDaSW_SX_EUlSW_E_NS1_11comp_targetILNS1_3genE10ELNS1_11target_archE1201ELNS1_3gpuE5ELNS1_3repE0EEENS1_30default_config_static_selectorELNS0_4arch9wavefront6targetE0EEEvT1_.num_named_barrier, 0
	.set _ZN7rocprim17ROCPRIM_400000_NS6detail17trampoline_kernelINS0_14default_configENS1_27scan_by_key_config_selectorIitEEZZNS1_16scan_by_key_implILNS1_25lookback_scan_determinismE0ELb0ES3_N6thrust23THRUST_200600_302600_NS6detail15normal_iteratorINS9_10device_ptrIiEEEENSB_INSC_ItEEEESG_tNS9_4plusIvEENS9_8equal_toIvEEtEE10hipError_tPvRmT2_T3_T4_T5_mT6_T7_P12ihipStream_tbENKUlT_T0_E_clISt17integral_constantIbLb0EES10_IbLb1EEEEDaSW_SX_EUlSW_E_NS1_11comp_targetILNS1_3genE10ELNS1_11target_archE1201ELNS1_3gpuE5ELNS1_3repE0EEENS1_30default_config_static_selectorELNS0_4arch9wavefront6targetE0EEEvT1_.private_seg_size, 0
	.set _ZN7rocprim17ROCPRIM_400000_NS6detail17trampoline_kernelINS0_14default_configENS1_27scan_by_key_config_selectorIitEEZZNS1_16scan_by_key_implILNS1_25lookback_scan_determinismE0ELb0ES3_N6thrust23THRUST_200600_302600_NS6detail15normal_iteratorINS9_10device_ptrIiEEEENSB_INSC_ItEEEESG_tNS9_4plusIvEENS9_8equal_toIvEEtEE10hipError_tPvRmT2_T3_T4_T5_mT6_T7_P12ihipStream_tbENKUlT_T0_E_clISt17integral_constantIbLb0EES10_IbLb1EEEEDaSW_SX_EUlSW_E_NS1_11comp_targetILNS1_3genE10ELNS1_11target_archE1201ELNS1_3gpuE5ELNS1_3repE0EEENS1_30default_config_static_selectorELNS0_4arch9wavefront6targetE0EEEvT1_.uses_vcc, 0
	.set _ZN7rocprim17ROCPRIM_400000_NS6detail17trampoline_kernelINS0_14default_configENS1_27scan_by_key_config_selectorIitEEZZNS1_16scan_by_key_implILNS1_25lookback_scan_determinismE0ELb0ES3_N6thrust23THRUST_200600_302600_NS6detail15normal_iteratorINS9_10device_ptrIiEEEENSB_INSC_ItEEEESG_tNS9_4plusIvEENS9_8equal_toIvEEtEE10hipError_tPvRmT2_T3_T4_T5_mT6_T7_P12ihipStream_tbENKUlT_T0_E_clISt17integral_constantIbLb0EES10_IbLb1EEEEDaSW_SX_EUlSW_E_NS1_11comp_targetILNS1_3genE10ELNS1_11target_archE1201ELNS1_3gpuE5ELNS1_3repE0EEENS1_30default_config_static_selectorELNS0_4arch9wavefront6targetE0EEEvT1_.uses_flat_scratch, 0
	.set _ZN7rocprim17ROCPRIM_400000_NS6detail17trampoline_kernelINS0_14default_configENS1_27scan_by_key_config_selectorIitEEZZNS1_16scan_by_key_implILNS1_25lookback_scan_determinismE0ELb0ES3_N6thrust23THRUST_200600_302600_NS6detail15normal_iteratorINS9_10device_ptrIiEEEENSB_INSC_ItEEEESG_tNS9_4plusIvEENS9_8equal_toIvEEtEE10hipError_tPvRmT2_T3_T4_T5_mT6_T7_P12ihipStream_tbENKUlT_T0_E_clISt17integral_constantIbLb0EES10_IbLb1EEEEDaSW_SX_EUlSW_E_NS1_11comp_targetILNS1_3genE10ELNS1_11target_archE1201ELNS1_3gpuE5ELNS1_3repE0EEENS1_30default_config_static_selectorELNS0_4arch9wavefront6targetE0EEEvT1_.has_dyn_sized_stack, 0
	.set _ZN7rocprim17ROCPRIM_400000_NS6detail17trampoline_kernelINS0_14default_configENS1_27scan_by_key_config_selectorIitEEZZNS1_16scan_by_key_implILNS1_25lookback_scan_determinismE0ELb0ES3_N6thrust23THRUST_200600_302600_NS6detail15normal_iteratorINS9_10device_ptrIiEEEENSB_INSC_ItEEEESG_tNS9_4plusIvEENS9_8equal_toIvEEtEE10hipError_tPvRmT2_T3_T4_T5_mT6_T7_P12ihipStream_tbENKUlT_T0_E_clISt17integral_constantIbLb0EES10_IbLb1EEEEDaSW_SX_EUlSW_E_NS1_11comp_targetILNS1_3genE10ELNS1_11target_archE1201ELNS1_3gpuE5ELNS1_3repE0EEENS1_30default_config_static_selectorELNS0_4arch9wavefront6targetE0EEEvT1_.has_recursion, 0
	.set _ZN7rocprim17ROCPRIM_400000_NS6detail17trampoline_kernelINS0_14default_configENS1_27scan_by_key_config_selectorIitEEZZNS1_16scan_by_key_implILNS1_25lookback_scan_determinismE0ELb0ES3_N6thrust23THRUST_200600_302600_NS6detail15normal_iteratorINS9_10device_ptrIiEEEENSB_INSC_ItEEEESG_tNS9_4plusIvEENS9_8equal_toIvEEtEE10hipError_tPvRmT2_T3_T4_T5_mT6_T7_P12ihipStream_tbENKUlT_T0_E_clISt17integral_constantIbLb0EES10_IbLb1EEEEDaSW_SX_EUlSW_E_NS1_11comp_targetILNS1_3genE10ELNS1_11target_archE1201ELNS1_3gpuE5ELNS1_3repE0EEENS1_30default_config_static_selectorELNS0_4arch9wavefront6targetE0EEEvT1_.has_indirect_call, 0
	.section	.AMDGPU.csdata,"",@progbits
; Kernel info:
; codeLenInByte = 0
; TotalNumSgprs: 0
; NumVgprs: 0
; ScratchSize: 0
; MemoryBound: 0
; FloatMode: 240
; IeeeMode: 1
; LDSByteSize: 0 bytes/workgroup (compile time only)
; SGPRBlocks: 0
; VGPRBlocks: 0
; NumSGPRsForWavesPerEU: 1
; NumVGPRsForWavesPerEU: 1
; Occupancy: 16
; WaveLimiterHint : 0
; COMPUTE_PGM_RSRC2:SCRATCH_EN: 0
; COMPUTE_PGM_RSRC2:USER_SGPR: 6
; COMPUTE_PGM_RSRC2:TRAP_HANDLER: 0
; COMPUTE_PGM_RSRC2:TGID_X_EN: 1
; COMPUTE_PGM_RSRC2:TGID_Y_EN: 0
; COMPUTE_PGM_RSRC2:TGID_Z_EN: 0
; COMPUTE_PGM_RSRC2:TIDIG_COMP_CNT: 0
	.section	.text._ZN7rocprim17ROCPRIM_400000_NS6detail17trampoline_kernelINS0_14default_configENS1_27scan_by_key_config_selectorIitEEZZNS1_16scan_by_key_implILNS1_25lookback_scan_determinismE0ELb0ES3_N6thrust23THRUST_200600_302600_NS6detail15normal_iteratorINS9_10device_ptrIiEEEENSB_INSC_ItEEEESG_tNS9_4plusIvEENS9_8equal_toIvEEtEE10hipError_tPvRmT2_T3_T4_T5_mT6_T7_P12ihipStream_tbENKUlT_T0_E_clISt17integral_constantIbLb0EES10_IbLb1EEEEDaSW_SX_EUlSW_E_NS1_11comp_targetILNS1_3genE5ELNS1_11target_archE942ELNS1_3gpuE9ELNS1_3repE0EEENS1_30default_config_static_selectorELNS0_4arch9wavefront6targetE0EEEvT1_,"axG",@progbits,_ZN7rocprim17ROCPRIM_400000_NS6detail17trampoline_kernelINS0_14default_configENS1_27scan_by_key_config_selectorIitEEZZNS1_16scan_by_key_implILNS1_25lookback_scan_determinismE0ELb0ES3_N6thrust23THRUST_200600_302600_NS6detail15normal_iteratorINS9_10device_ptrIiEEEENSB_INSC_ItEEEESG_tNS9_4plusIvEENS9_8equal_toIvEEtEE10hipError_tPvRmT2_T3_T4_T5_mT6_T7_P12ihipStream_tbENKUlT_T0_E_clISt17integral_constantIbLb0EES10_IbLb1EEEEDaSW_SX_EUlSW_E_NS1_11comp_targetILNS1_3genE5ELNS1_11target_archE942ELNS1_3gpuE9ELNS1_3repE0EEENS1_30default_config_static_selectorELNS0_4arch9wavefront6targetE0EEEvT1_,comdat
	.protected	_ZN7rocprim17ROCPRIM_400000_NS6detail17trampoline_kernelINS0_14default_configENS1_27scan_by_key_config_selectorIitEEZZNS1_16scan_by_key_implILNS1_25lookback_scan_determinismE0ELb0ES3_N6thrust23THRUST_200600_302600_NS6detail15normal_iteratorINS9_10device_ptrIiEEEENSB_INSC_ItEEEESG_tNS9_4plusIvEENS9_8equal_toIvEEtEE10hipError_tPvRmT2_T3_T4_T5_mT6_T7_P12ihipStream_tbENKUlT_T0_E_clISt17integral_constantIbLb0EES10_IbLb1EEEEDaSW_SX_EUlSW_E_NS1_11comp_targetILNS1_3genE5ELNS1_11target_archE942ELNS1_3gpuE9ELNS1_3repE0EEENS1_30default_config_static_selectorELNS0_4arch9wavefront6targetE0EEEvT1_ ; -- Begin function _ZN7rocprim17ROCPRIM_400000_NS6detail17trampoline_kernelINS0_14default_configENS1_27scan_by_key_config_selectorIitEEZZNS1_16scan_by_key_implILNS1_25lookback_scan_determinismE0ELb0ES3_N6thrust23THRUST_200600_302600_NS6detail15normal_iteratorINS9_10device_ptrIiEEEENSB_INSC_ItEEEESG_tNS9_4plusIvEENS9_8equal_toIvEEtEE10hipError_tPvRmT2_T3_T4_T5_mT6_T7_P12ihipStream_tbENKUlT_T0_E_clISt17integral_constantIbLb0EES10_IbLb1EEEEDaSW_SX_EUlSW_E_NS1_11comp_targetILNS1_3genE5ELNS1_11target_archE942ELNS1_3gpuE9ELNS1_3repE0EEENS1_30default_config_static_selectorELNS0_4arch9wavefront6targetE0EEEvT1_
	.globl	_ZN7rocprim17ROCPRIM_400000_NS6detail17trampoline_kernelINS0_14default_configENS1_27scan_by_key_config_selectorIitEEZZNS1_16scan_by_key_implILNS1_25lookback_scan_determinismE0ELb0ES3_N6thrust23THRUST_200600_302600_NS6detail15normal_iteratorINS9_10device_ptrIiEEEENSB_INSC_ItEEEESG_tNS9_4plusIvEENS9_8equal_toIvEEtEE10hipError_tPvRmT2_T3_T4_T5_mT6_T7_P12ihipStream_tbENKUlT_T0_E_clISt17integral_constantIbLb0EES10_IbLb1EEEEDaSW_SX_EUlSW_E_NS1_11comp_targetILNS1_3genE5ELNS1_11target_archE942ELNS1_3gpuE9ELNS1_3repE0EEENS1_30default_config_static_selectorELNS0_4arch9wavefront6targetE0EEEvT1_
	.p2align	8
	.type	_ZN7rocprim17ROCPRIM_400000_NS6detail17trampoline_kernelINS0_14default_configENS1_27scan_by_key_config_selectorIitEEZZNS1_16scan_by_key_implILNS1_25lookback_scan_determinismE0ELb0ES3_N6thrust23THRUST_200600_302600_NS6detail15normal_iteratorINS9_10device_ptrIiEEEENSB_INSC_ItEEEESG_tNS9_4plusIvEENS9_8equal_toIvEEtEE10hipError_tPvRmT2_T3_T4_T5_mT6_T7_P12ihipStream_tbENKUlT_T0_E_clISt17integral_constantIbLb0EES10_IbLb1EEEEDaSW_SX_EUlSW_E_NS1_11comp_targetILNS1_3genE5ELNS1_11target_archE942ELNS1_3gpuE9ELNS1_3repE0EEENS1_30default_config_static_selectorELNS0_4arch9wavefront6targetE0EEEvT1_,@function
_ZN7rocprim17ROCPRIM_400000_NS6detail17trampoline_kernelINS0_14default_configENS1_27scan_by_key_config_selectorIitEEZZNS1_16scan_by_key_implILNS1_25lookback_scan_determinismE0ELb0ES3_N6thrust23THRUST_200600_302600_NS6detail15normal_iteratorINS9_10device_ptrIiEEEENSB_INSC_ItEEEESG_tNS9_4plusIvEENS9_8equal_toIvEEtEE10hipError_tPvRmT2_T3_T4_T5_mT6_T7_P12ihipStream_tbENKUlT_T0_E_clISt17integral_constantIbLb0EES10_IbLb1EEEEDaSW_SX_EUlSW_E_NS1_11comp_targetILNS1_3genE5ELNS1_11target_archE942ELNS1_3gpuE9ELNS1_3repE0EEENS1_30default_config_static_selectorELNS0_4arch9wavefront6targetE0EEEvT1_: ; @_ZN7rocprim17ROCPRIM_400000_NS6detail17trampoline_kernelINS0_14default_configENS1_27scan_by_key_config_selectorIitEEZZNS1_16scan_by_key_implILNS1_25lookback_scan_determinismE0ELb0ES3_N6thrust23THRUST_200600_302600_NS6detail15normal_iteratorINS9_10device_ptrIiEEEENSB_INSC_ItEEEESG_tNS9_4plusIvEENS9_8equal_toIvEEtEE10hipError_tPvRmT2_T3_T4_T5_mT6_T7_P12ihipStream_tbENKUlT_T0_E_clISt17integral_constantIbLb0EES10_IbLb1EEEEDaSW_SX_EUlSW_E_NS1_11comp_targetILNS1_3genE5ELNS1_11target_archE942ELNS1_3gpuE9ELNS1_3repE0EEENS1_30default_config_static_selectorELNS0_4arch9wavefront6targetE0EEEvT1_
; %bb.0:
	.section	.rodata,"a",@progbits
	.p2align	6, 0x0
	.amdhsa_kernel _ZN7rocprim17ROCPRIM_400000_NS6detail17trampoline_kernelINS0_14default_configENS1_27scan_by_key_config_selectorIitEEZZNS1_16scan_by_key_implILNS1_25lookback_scan_determinismE0ELb0ES3_N6thrust23THRUST_200600_302600_NS6detail15normal_iteratorINS9_10device_ptrIiEEEENSB_INSC_ItEEEESG_tNS9_4plusIvEENS9_8equal_toIvEEtEE10hipError_tPvRmT2_T3_T4_T5_mT6_T7_P12ihipStream_tbENKUlT_T0_E_clISt17integral_constantIbLb0EES10_IbLb1EEEEDaSW_SX_EUlSW_E_NS1_11comp_targetILNS1_3genE5ELNS1_11target_archE942ELNS1_3gpuE9ELNS1_3repE0EEENS1_30default_config_static_selectorELNS0_4arch9wavefront6targetE0EEEvT1_
		.amdhsa_group_segment_fixed_size 0
		.amdhsa_private_segment_fixed_size 0
		.amdhsa_kernarg_size 112
		.amdhsa_user_sgpr_count 6
		.amdhsa_user_sgpr_private_segment_buffer 1
		.amdhsa_user_sgpr_dispatch_ptr 0
		.amdhsa_user_sgpr_queue_ptr 0
		.amdhsa_user_sgpr_kernarg_segment_ptr 1
		.amdhsa_user_sgpr_dispatch_id 0
		.amdhsa_user_sgpr_flat_scratch_init 0
		.amdhsa_user_sgpr_private_segment_size 0
		.amdhsa_wavefront_size32 1
		.amdhsa_uses_dynamic_stack 0
		.amdhsa_system_sgpr_private_segment_wavefront_offset 0
		.amdhsa_system_sgpr_workgroup_id_x 1
		.amdhsa_system_sgpr_workgroup_id_y 0
		.amdhsa_system_sgpr_workgroup_id_z 0
		.amdhsa_system_sgpr_workgroup_info 0
		.amdhsa_system_vgpr_workitem_id 0
		.amdhsa_next_free_vgpr 1
		.amdhsa_next_free_sgpr 1
		.amdhsa_reserve_vcc 0
		.amdhsa_reserve_flat_scratch 0
		.amdhsa_float_round_mode_32 0
		.amdhsa_float_round_mode_16_64 0
		.amdhsa_float_denorm_mode_32 3
		.amdhsa_float_denorm_mode_16_64 3
		.amdhsa_dx10_clamp 1
		.amdhsa_ieee_mode 1
		.amdhsa_fp16_overflow 0
		.amdhsa_workgroup_processor_mode 1
		.amdhsa_memory_ordered 1
		.amdhsa_forward_progress 1
		.amdhsa_shared_vgpr_count 0
		.amdhsa_exception_fp_ieee_invalid_op 0
		.amdhsa_exception_fp_denorm_src 0
		.amdhsa_exception_fp_ieee_div_zero 0
		.amdhsa_exception_fp_ieee_overflow 0
		.amdhsa_exception_fp_ieee_underflow 0
		.amdhsa_exception_fp_ieee_inexact 0
		.amdhsa_exception_int_div_zero 0
	.end_amdhsa_kernel
	.section	.text._ZN7rocprim17ROCPRIM_400000_NS6detail17trampoline_kernelINS0_14default_configENS1_27scan_by_key_config_selectorIitEEZZNS1_16scan_by_key_implILNS1_25lookback_scan_determinismE0ELb0ES3_N6thrust23THRUST_200600_302600_NS6detail15normal_iteratorINS9_10device_ptrIiEEEENSB_INSC_ItEEEESG_tNS9_4plusIvEENS9_8equal_toIvEEtEE10hipError_tPvRmT2_T3_T4_T5_mT6_T7_P12ihipStream_tbENKUlT_T0_E_clISt17integral_constantIbLb0EES10_IbLb1EEEEDaSW_SX_EUlSW_E_NS1_11comp_targetILNS1_3genE5ELNS1_11target_archE942ELNS1_3gpuE9ELNS1_3repE0EEENS1_30default_config_static_selectorELNS0_4arch9wavefront6targetE0EEEvT1_,"axG",@progbits,_ZN7rocprim17ROCPRIM_400000_NS6detail17trampoline_kernelINS0_14default_configENS1_27scan_by_key_config_selectorIitEEZZNS1_16scan_by_key_implILNS1_25lookback_scan_determinismE0ELb0ES3_N6thrust23THRUST_200600_302600_NS6detail15normal_iteratorINS9_10device_ptrIiEEEENSB_INSC_ItEEEESG_tNS9_4plusIvEENS9_8equal_toIvEEtEE10hipError_tPvRmT2_T3_T4_T5_mT6_T7_P12ihipStream_tbENKUlT_T0_E_clISt17integral_constantIbLb0EES10_IbLb1EEEEDaSW_SX_EUlSW_E_NS1_11comp_targetILNS1_3genE5ELNS1_11target_archE942ELNS1_3gpuE9ELNS1_3repE0EEENS1_30default_config_static_selectorELNS0_4arch9wavefront6targetE0EEEvT1_,comdat
.Lfunc_end1302:
	.size	_ZN7rocprim17ROCPRIM_400000_NS6detail17trampoline_kernelINS0_14default_configENS1_27scan_by_key_config_selectorIitEEZZNS1_16scan_by_key_implILNS1_25lookback_scan_determinismE0ELb0ES3_N6thrust23THRUST_200600_302600_NS6detail15normal_iteratorINS9_10device_ptrIiEEEENSB_INSC_ItEEEESG_tNS9_4plusIvEENS9_8equal_toIvEEtEE10hipError_tPvRmT2_T3_T4_T5_mT6_T7_P12ihipStream_tbENKUlT_T0_E_clISt17integral_constantIbLb0EES10_IbLb1EEEEDaSW_SX_EUlSW_E_NS1_11comp_targetILNS1_3genE5ELNS1_11target_archE942ELNS1_3gpuE9ELNS1_3repE0EEENS1_30default_config_static_selectorELNS0_4arch9wavefront6targetE0EEEvT1_, .Lfunc_end1302-_ZN7rocprim17ROCPRIM_400000_NS6detail17trampoline_kernelINS0_14default_configENS1_27scan_by_key_config_selectorIitEEZZNS1_16scan_by_key_implILNS1_25lookback_scan_determinismE0ELb0ES3_N6thrust23THRUST_200600_302600_NS6detail15normal_iteratorINS9_10device_ptrIiEEEENSB_INSC_ItEEEESG_tNS9_4plusIvEENS9_8equal_toIvEEtEE10hipError_tPvRmT2_T3_T4_T5_mT6_T7_P12ihipStream_tbENKUlT_T0_E_clISt17integral_constantIbLb0EES10_IbLb1EEEEDaSW_SX_EUlSW_E_NS1_11comp_targetILNS1_3genE5ELNS1_11target_archE942ELNS1_3gpuE9ELNS1_3repE0EEENS1_30default_config_static_selectorELNS0_4arch9wavefront6targetE0EEEvT1_
                                        ; -- End function
	.set _ZN7rocprim17ROCPRIM_400000_NS6detail17trampoline_kernelINS0_14default_configENS1_27scan_by_key_config_selectorIitEEZZNS1_16scan_by_key_implILNS1_25lookback_scan_determinismE0ELb0ES3_N6thrust23THRUST_200600_302600_NS6detail15normal_iteratorINS9_10device_ptrIiEEEENSB_INSC_ItEEEESG_tNS9_4plusIvEENS9_8equal_toIvEEtEE10hipError_tPvRmT2_T3_T4_T5_mT6_T7_P12ihipStream_tbENKUlT_T0_E_clISt17integral_constantIbLb0EES10_IbLb1EEEEDaSW_SX_EUlSW_E_NS1_11comp_targetILNS1_3genE5ELNS1_11target_archE942ELNS1_3gpuE9ELNS1_3repE0EEENS1_30default_config_static_selectorELNS0_4arch9wavefront6targetE0EEEvT1_.num_vgpr, 0
	.set _ZN7rocprim17ROCPRIM_400000_NS6detail17trampoline_kernelINS0_14default_configENS1_27scan_by_key_config_selectorIitEEZZNS1_16scan_by_key_implILNS1_25lookback_scan_determinismE0ELb0ES3_N6thrust23THRUST_200600_302600_NS6detail15normal_iteratorINS9_10device_ptrIiEEEENSB_INSC_ItEEEESG_tNS9_4plusIvEENS9_8equal_toIvEEtEE10hipError_tPvRmT2_T3_T4_T5_mT6_T7_P12ihipStream_tbENKUlT_T0_E_clISt17integral_constantIbLb0EES10_IbLb1EEEEDaSW_SX_EUlSW_E_NS1_11comp_targetILNS1_3genE5ELNS1_11target_archE942ELNS1_3gpuE9ELNS1_3repE0EEENS1_30default_config_static_selectorELNS0_4arch9wavefront6targetE0EEEvT1_.num_agpr, 0
	.set _ZN7rocprim17ROCPRIM_400000_NS6detail17trampoline_kernelINS0_14default_configENS1_27scan_by_key_config_selectorIitEEZZNS1_16scan_by_key_implILNS1_25lookback_scan_determinismE0ELb0ES3_N6thrust23THRUST_200600_302600_NS6detail15normal_iteratorINS9_10device_ptrIiEEEENSB_INSC_ItEEEESG_tNS9_4plusIvEENS9_8equal_toIvEEtEE10hipError_tPvRmT2_T3_T4_T5_mT6_T7_P12ihipStream_tbENKUlT_T0_E_clISt17integral_constantIbLb0EES10_IbLb1EEEEDaSW_SX_EUlSW_E_NS1_11comp_targetILNS1_3genE5ELNS1_11target_archE942ELNS1_3gpuE9ELNS1_3repE0EEENS1_30default_config_static_selectorELNS0_4arch9wavefront6targetE0EEEvT1_.numbered_sgpr, 0
	.set _ZN7rocprim17ROCPRIM_400000_NS6detail17trampoline_kernelINS0_14default_configENS1_27scan_by_key_config_selectorIitEEZZNS1_16scan_by_key_implILNS1_25lookback_scan_determinismE0ELb0ES3_N6thrust23THRUST_200600_302600_NS6detail15normal_iteratorINS9_10device_ptrIiEEEENSB_INSC_ItEEEESG_tNS9_4plusIvEENS9_8equal_toIvEEtEE10hipError_tPvRmT2_T3_T4_T5_mT6_T7_P12ihipStream_tbENKUlT_T0_E_clISt17integral_constantIbLb0EES10_IbLb1EEEEDaSW_SX_EUlSW_E_NS1_11comp_targetILNS1_3genE5ELNS1_11target_archE942ELNS1_3gpuE9ELNS1_3repE0EEENS1_30default_config_static_selectorELNS0_4arch9wavefront6targetE0EEEvT1_.num_named_barrier, 0
	.set _ZN7rocprim17ROCPRIM_400000_NS6detail17trampoline_kernelINS0_14default_configENS1_27scan_by_key_config_selectorIitEEZZNS1_16scan_by_key_implILNS1_25lookback_scan_determinismE0ELb0ES3_N6thrust23THRUST_200600_302600_NS6detail15normal_iteratorINS9_10device_ptrIiEEEENSB_INSC_ItEEEESG_tNS9_4plusIvEENS9_8equal_toIvEEtEE10hipError_tPvRmT2_T3_T4_T5_mT6_T7_P12ihipStream_tbENKUlT_T0_E_clISt17integral_constantIbLb0EES10_IbLb1EEEEDaSW_SX_EUlSW_E_NS1_11comp_targetILNS1_3genE5ELNS1_11target_archE942ELNS1_3gpuE9ELNS1_3repE0EEENS1_30default_config_static_selectorELNS0_4arch9wavefront6targetE0EEEvT1_.private_seg_size, 0
	.set _ZN7rocprim17ROCPRIM_400000_NS6detail17trampoline_kernelINS0_14default_configENS1_27scan_by_key_config_selectorIitEEZZNS1_16scan_by_key_implILNS1_25lookback_scan_determinismE0ELb0ES3_N6thrust23THRUST_200600_302600_NS6detail15normal_iteratorINS9_10device_ptrIiEEEENSB_INSC_ItEEEESG_tNS9_4plusIvEENS9_8equal_toIvEEtEE10hipError_tPvRmT2_T3_T4_T5_mT6_T7_P12ihipStream_tbENKUlT_T0_E_clISt17integral_constantIbLb0EES10_IbLb1EEEEDaSW_SX_EUlSW_E_NS1_11comp_targetILNS1_3genE5ELNS1_11target_archE942ELNS1_3gpuE9ELNS1_3repE0EEENS1_30default_config_static_selectorELNS0_4arch9wavefront6targetE0EEEvT1_.uses_vcc, 0
	.set _ZN7rocprim17ROCPRIM_400000_NS6detail17trampoline_kernelINS0_14default_configENS1_27scan_by_key_config_selectorIitEEZZNS1_16scan_by_key_implILNS1_25lookback_scan_determinismE0ELb0ES3_N6thrust23THRUST_200600_302600_NS6detail15normal_iteratorINS9_10device_ptrIiEEEENSB_INSC_ItEEEESG_tNS9_4plusIvEENS9_8equal_toIvEEtEE10hipError_tPvRmT2_T3_T4_T5_mT6_T7_P12ihipStream_tbENKUlT_T0_E_clISt17integral_constantIbLb0EES10_IbLb1EEEEDaSW_SX_EUlSW_E_NS1_11comp_targetILNS1_3genE5ELNS1_11target_archE942ELNS1_3gpuE9ELNS1_3repE0EEENS1_30default_config_static_selectorELNS0_4arch9wavefront6targetE0EEEvT1_.uses_flat_scratch, 0
	.set _ZN7rocprim17ROCPRIM_400000_NS6detail17trampoline_kernelINS0_14default_configENS1_27scan_by_key_config_selectorIitEEZZNS1_16scan_by_key_implILNS1_25lookback_scan_determinismE0ELb0ES3_N6thrust23THRUST_200600_302600_NS6detail15normal_iteratorINS9_10device_ptrIiEEEENSB_INSC_ItEEEESG_tNS9_4plusIvEENS9_8equal_toIvEEtEE10hipError_tPvRmT2_T3_T4_T5_mT6_T7_P12ihipStream_tbENKUlT_T0_E_clISt17integral_constantIbLb0EES10_IbLb1EEEEDaSW_SX_EUlSW_E_NS1_11comp_targetILNS1_3genE5ELNS1_11target_archE942ELNS1_3gpuE9ELNS1_3repE0EEENS1_30default_config_static_selectorELNS0_4arch9wavefront6targetE0EEEvT1_.has_dyn_sized_stack, 0
	.set _ZN7rocprim17ROCPRIM_400000_NS6detail17trampoline_kernelINS0_14default_configENS1_27scan_by_key_config_selectorIitEEZZNS1_16scan_by_key_implILNS1_25lookback_scan_determinismE0ELb0ES3_N6thrust23THRUST_200600_302600_NS6detail15normal_iteratorINS9_10device_ptrIiEEEENSB_INSC_ItEEEESG_tNS9_4plusIvEENS9_8equal_toIvEEtEE10hipError_tPvRmT2_T3_T4_T5_mT6_T7_P12ihipStream_tbENKUlT_T0_E_clISt17integral_constantIbLb0EES10_IbLb1EEEEDaSW_SX_EUlSW_E_NS1_11comp_targetILNS1_3genE5ELNS1_11target_archE942ELNS1_3gpuE9ELNS1_3repE0EEENS1_30default_config_static_selectorELNS0_4arch9wavefront6targetE0EEEvT1_.has_recursion, 0
	.set _ZN7rocprim17ROCPRIM_400000_NS6detail17trampoline_kernelINS0_14default_configENS1_27scan_by_key_config_selectorIitEEZZNS1_16scan_by_key_implILNS1_25lookback_scan_determinismE0ELb0ES3_N6thrust23THRUST_200600_302600_NS6detail15normal_iteratorINS9_10device_ptrIiEEEENSB_INSC_ItEEEESG_tNS9_4plusIvEENS9_8equal_toIvEEtEE10hipError_tPvRmT2_T3_T4_T5_mT6_T7_P12ihipStream_tbENKUlT_T0_E_clISt17integral_constantIbLb0EES10_IbLb1EEEEDaSW_SX_EUlSW_E_NS1_11comp_targetILNS1_3genE5ELNS1_11target_archE942ELNS1_3gpuE9ELNS1_3repE0EEENS1_30default_config_static_selectorELNS0_4arch9wavefront6targetE0EEEvT1_.has_indirect_call, 0
	.section	.AMDGPU.csdata,"",@progbits
; Kernel info:
; codeLenInByte = 0
; TotalNumSgprs: 0
; NumVgprs: 0
; ScratchSize: 0
; MemoryBound: 0
; FloatMode: 240
; IeeeMode: 1
; LDSByteSize: 0 bytes/workgroup (compile time only)
; SGPRBlocks: 0
; VGPRBlocks: 0
; NumSGPRsForWavesPerEU: 1
; NumVGPRsForWavesPerEU: 1
; Occupancy: 16
; WaveLimiterHint : 0
; COMPUTE_PGM_RSRC2:SCRATCH_EN: 0
; COMPUTE_PGM_RSRC2:USER_SGPR: 6
; COMPUTE_PGM_RSRC2:TRAP_HANDLER: 0
; COMPUTE_PGM_RSRC2:TGID_X_EN: 1
; COMPUTE_PGM_RSRC2:TGID_Y_EN: 0
; COMPUTE_PGM_RSRC2:TGID_Z_EN: 0
; COMPUTE_PGM_RSRC2:TIDIG_COMP_CNT: 0
	.section	.text._ZN7rocprim17ROCPRIM_400000_NS6detail17trampoline_kernelINS0_14default_configENS1_27scan_by_key_config_selectorIitEEZZNS1_16scan_by_key_implILNS1_25lookback_scan_determinismE0ELb0ES3_N6thrust23THRUST_200600_302600_NS6detail15normal_iteratorINS9_10device_ptrIiEEEENSB_INSC_ItEEEESG_tNS9_4plusIvEENS9_8equal_toIvEEtEE10hipError_tPvRmT2_T3_T4_T5_mT6_T7_P12ihipStream_tbENKUlT_T0_E_clISt17integral_constantIbLb0EES10_IbLb1EEEEDaSW_SX_EUlSW_E_NS1_11comp_targetILNS1_3genE4ELNS1_11target_archE910ELNS1_3gpuE8ELNS1_3repE0EEENS1_30default_config_static_selectorELNS0_4arch9wavefront6targetE0EEEvT1_,"axG",@progbits,_ZN7rocprim17ROCPRIM_400000_NS6detail17trampoline_kernelINS0_14default_configENS1_27scan_by_key_config_selectorIitEEZZNS1_16scan_by_key_implILNS1_25lookback_scan_determinismE0ELb0ES3_N6thrust23THRUST_200600_302600_NS6detail15normal_iteratorINS9_10device_ptrIiEEEENSB_INSC_ItEEEESG_tNS9_4plusIvEENS9_8equal_toIvEEtEE10hipError_tPvRmT2_T3_T4_T5_mT6_T7_P12ihipStream_tbENKUlT_T0_E_clISt17integral_constantIbLb0EES10_IbLb1EEEEDaSW_SX_EUlSW_E_NS1_11comp_targetILNS1_3genE4ELNS1_11target_archE910ELNS1_3gpuE8ELNS1_3repE0EEENS1_30default_config_static_selectorELNS0_4arch9wavefront6targetE0EEEvT1_,comdat
	.protected	_ZN7rocprim17ROCPRIM_400000_NS6detail17trampoline_kernelINS0_14default_configENS1_27scan_by_key_config_selectorIitEEZZNS1_16scan_by_key_implILNS1_25lookback_scan_determinismE0ELb0ES3_N6thrust23THRUST_200600_302600_NS6detail15normal_iteratorINS9_10device_ptrIiEEEENSB_INSC_ItEEEESG_tNS9_4plusIvEENS9_8equal_toIvEEtEE10hipError_tPvRmT2_T3_T4_T5_mT6_T7_P12ihipStream_tbENKUlT_T0_E_clISt17integral_constantIbLb0EES10_IbLb1EEEEDaSW_SX_EUlSW_E_NS1_11comp_targetILNS1_3genE4ELNS1_11target_archE910ELNS1_3gpuE8ELNS1_3repE0EEENS1_30default_config_static_selectorELNS0_4arch9wavefront6targetE0EEEvT1_ ; -- Begin function _ZN7rocprim17ROCPRIM_400000_NS6detail17trampoline_kernelINS0_14default_configENS1_27scan_by_key_config_selectorIitEEZZNS1_16scan_by_key_implILNS1_25lookback_scan_determinismE0ELb0ES3_N6thrust23THRUST_200600_302600_NS6detail15normal_iteratorINS9_10device_ptrIiEEEENSB_INSC_ItEEEESG_tNS9_4plusIvEENS9_8equal_toIvEEtEE10hipError_tPvRmT2_T3_T4_T5_mT6_T7_P12ihipStream_tbENKUlT_T0_E_clISt17integral_constantIbLb0EES10_IbLb1EEEEDaSW_SX_EUlSW_E_NS1_11comp_targetILNS1_3genE4ELNS1_11target_archE910ELNS1_3gpuE8ELNS1_3repE0EEENS1_30default_config_static_selectorELNS0_4arch9wavefront6targetE0EEEvT1_
	.globl	_ZN7rocprim17ROCPRIM_400000_NS6detail17trampoline_kernelINS0_14default_configENS1_27scan_by_key_config_selectorIitEEZZNS1_16scan_by_key_implILNS1_25lookback_scan_determinismE0ELb0ES3_N6thrust23THRUST_200600_302600_NS6detail15normal_iteratorINS9_10device_ptrIiEEEENSB_INSC_ItEEEESG_tNS9_4plusIvEENS9_8equal_toIvEEtEE10hipError_tPvRmT2_T3_T4_T5_mT6_T7_P12ihipStream_tbENKUlT_T0_E_clISt17integral_constantIbLb0EES10_IbLb1EEEEDaSW_SX_EUlSW_E_NS1_11comp_targetILNS1_3genE4ELNS1_11target_archE910ELNS1_3gpuE8ELNS1_3repE0EEENS1_30default_config_static_selectorELNS0_4arch9wavefront6targetE0EEEvT1_
	.p2align	8
	.type	_ZN7rocprim17ROCPRIM_400000_NS6detail17trampoline_kernelINS0_14default_configENS1_27scan_by_key_config_selectorIitEEZZNS1_16scan_by_key_implILNS1_25lookback_scan_determinismE0ELb0ES3_N6thrust23THRUST_200600_302600_NS6detail15normal_iteratorINS9_10device_ptrIiEEEENSB_INSC_ItEEEESG_tNS9_4plusIvEENS9_8equal_toIvEEtEE10hipError_tPvRmT2_T3_T4_T5_mT6_T7_P12ihipStream_tbENKUlT_T0_E_clISt17integral_constantIbLb0EES10_IbLb1EEEEDaSW_SX_EUlSW_E_NS1_11comp_targetILNS1_3genE4ELNS1_11target_archE910ELNS1_3gpuE8ELNS1_3repE0EEENS1_30default_config_static_selectorELNS0_4arch9wavefront6targetE0EEEvT1_,@function
_ZN7rocprim17ROCPRIM_400000_NS6detail17trampoline_kernelINS0_14default_configENS1_27scan_by_key_config_selectorIitEEZZNS1_16scan_by_key_implILNS1_25lookback_scan_determinismE0ELb0ES3_N6thrust23THRUST_200600_302600_NS6detail15normal_iteratorINS9_10device_ptrIiEEEENSB_INSC_ItEEEESG_tNS9_4plusIvEENS9_8equal_toIvEEtEE10hipError_tPvRmT2_T3_T4_T5_mT6_T7_P12ihipStream_tbENKUlT_T0_E_clISt17integral_constantIbLb0EES10_IbLb1EEEEDaSW_SX_EUlSW_E_NS1_11comp_targetILNS1_3genE4ELNS1_11target_archE910ELNS1_3gpuE8ELNS1_3repE0EEENS1_30default_config_static_selectorELNS0_4arch9wavefront6targetE0EEEvT1_: ; @_ZN7rocprim17ROCPRIM_400000_NS6detail17trampoline_kernelINS0_14default_configENS1_27scan_by_key_config_selectorIitEEZZNS1_16scan_by_key_implILNS1_25lookback_scan_determinismE0ELb0ES3_N6thrust23THRUST_200600_302600_NS6detail15normal_iteratorINS9_10device_ptrIiEEEENSB_INSC_ItEEEESG_tNS9_4plusIvEENS9_8equal_toIvEEtEE10hipError_tPvRmT2_T3_T4_T5_mT6_T7_P12ihipStream_tbENKUlT_T0_E_clISt17integral_constantIbLb0EES10_IbLb1EEEEDaSW_SX_EUlSW_E_NS1_11comp_targetILNS1_3genE4ELNS1_11target_archE910ELNS1_3gpuE8ELNS1_3repE0EEENS1_30default_config_static_selectorELNS0_4arch9wavefront6targetE0EEEvT1_
; %bb.0:
	.section	.rodata,"a",@progbits
	.p2align	6, 0x0
	.amdhsa_kernel _ZN7rocprim17ROCPRIM_400000_NS6detail17trampoline_kernelINS0_14default_configENS1_27scan_by_key_config_selectorIitEEZZNS1_16scan_by_key_implILNS1_25lookback_scan_determinismE0ELb0ES3_N6thrust23THRUST_200600_302600_NS6detail15normal_iteratorINS9_10device_ptrIiEEEENSB_INSC_ItEEEESG_tNS9_4plusIvEENS9_8equal_toIvEEtEE10hipError_tPvRmT2_T3_T4_T5_mT6_T7_P12ihipStream_tbENKUlT_T0_E_clISt17integral_constantIbLb0EES10_IbLb1EEEEDaSW_SX_EUlSW_E_NS1_11comp_targetILNS1_3genE4ELNS1_11target_archE910ELNS1_3gpuE8ELNS1_3repE0EEENS1_30default_config_static_selectorELNS0_4arch9wavefront6targetE0EEEvT1_
		.amdhsa_group_segment_fixed_size 0
		.amdhsa_private_segment_fixed_size 0
		.amdhsa_kernarg_size 112
		.amdhsa_user_sgpr_count 6
		.amdhsa_user_sgpr_private_segment_buffer 1
		.amdhsa_user_sgpr_dispatch_ptr 0
		.amdhsa_user_sgpr_queue_ptr 0
		.amdhsa_user_sgpr_kernarg_segment_ptr 1
		.amdhsa_user_sgpr_dispatch_id 0
		.amdhsa_user_sgpr_flat_scratch_init 0
		.amdhsa_user_sgpr_private_segment_size 0
		.amdhsa_wavefront_size32 1
		.amdhsa_uses_dynamic_stack 0
		.amdhsa_system_sgpr_private_segment_wavefront_offset 0
		.amdhsa_system_sgpr_workgroup_id_x 1
		.amdhsa_system_sgpr_workgroup_id_y 0
		.amdhsa_system_sgpr_workgroup_id_z 0
		.amdhsa_system_sgpr_workgroup_info 0
		.amdhsa_system_vgpr_workitem_id 0
		.amdhsa_next_free_vgpr 1
		.amdhsa_next_free_sgpr 1
		.amdhsa_reserve_vcc 0
		.amdhsa_reserve_flat_scratch 0
		.amdhsa_float_round_mode_32 0
		.amdhsa_float_round_mode_16_64 0
		.amdhsa_float_denorm_mode_32 3
		.amdhsa_float_denorm_mode_16_64 3
		.amdhsa_dx10_clamp 1
		.amdhsa_ieee_mode 1
		.amdhsa_fp16_overflow 0
		.amdhsa_workgroup_processor_mode 1
		.amdhsa_memory_ordered 1
		.amdhsa_forward_progress 1
		.amdhsa_shared_vgpr_count 0
		.amdhsa_exception_fp_ieee_invalid_op 0
		.amdhsa_exception_fp_denorm_src 0
		.amdhsa_exception_fp_ieee_div_zero 0
		.amdhsa_exception_fp_ieee_overflow 0
		.amdhsa_exception_fp_ieee_underflow 0
		.amdhsa_exception_fp_ieee_inexact 0
		.amdhsa_exception_int_div_zero 0
	.end_amdhsa_kernel
	.section	.text._ZN7rocprim17ROCPRIM_400000_NS6detail17trampoline_kernelINS0_14default_configENS1_27scan_by_key_config_selectorIitEEZZNS1_16scan_by_key_implILNS1_25lookback_scan_determinismE0ELb0ES3_N6thrust23THRUST_200600_302600_NS6detail15normal_iteratorINS9_10device_ptrIiEEEENSB_INSC_ItEEEESG_tNS9_4plusIvEENS9_8equal_toIvEEtEE10hipError_tPvRmT2_T3_T4_T5_mT6_T7_P12ihipStream_tbENKUlT_T0_E_clISt17integral_constantIbLb0EES10_IbLb1EEEEDaSW_SX_EUlSW_E_NS1_11comp_targetILNS1_3genE4ELNS1_11target_archE910ELNS1_3gpuE8ELNS1_3repE0EEENS1_30default_config_static_selectorELNS0_4arch9wavefront6targetE0EEEvT1_,"axG",@progbits,_ZN7rocprim17ROCPRIM_400000_NS6detail17trampoline_kernelINS0_14default_configENS1_27scan_by_key_config_selectorIitEEZZNS1_16scan_by_key_implILNS1_25lookback_scan_determinismE0ELb0ES3_N6thrust23THRUST_200600_302600_NS6detail15normal_iteratorINS9_10device_ptrIiEEEENSB_INSC_ItEEEESG_tNS9_4plusIvEENS9_8equal_toIvEEtEE10hipError_tPvRmT2_T3_T4_T5_mT6_T7_P12ihipStream_tbENKUlT_T0_E_clISt17integral_constantIbLb0EES10_IbLb1EEEEDaSW_SX_EUlSW_E_NS1_11comp_targetILNS1_3genE4ELNS1_11target_archE910ELNS1_3gpuE8ELNS1_3repE0EEENS1_30default_config_static_selectorELNS0_4arch9wavefront6targetE0EEEvT1_,comdat
.Lfunc_end1303:
	.size	_ZN7rocprim17ROCPRIM_400000_NS6detail17trampoline_kernelINS0_14default_configENS1_27scan_by_key_config_selectorIitEEZZNS1_16scan_by_key_implILNS1_25lookback_scan_determinismE0ELb0ES3_N6thrust23THRUST_200600_302600_NS6detail15normal_iteratorINS9_10device_ptrIiEEEENSB_INSC_ItEEEESG_tNS9_4plusIvEENS9_8equal_toIvEEtEE10hipError_tPvRmT2_T3_T4_T5_mT6_T7_P12ihipStream_tbENKUlT_T0_E_clISt17integral_constantIbLb0EES10_IbLb1EEEEDaSW_SX_EUlSW_E_NS1_11comp_targetILNS1_3genE4ELNS1_11target_archE910ELNS1_3gpuE8ELNS1_3repE0EEENS1_30default_config_static_selectorELNS0_4arch9wavefront6targetE0EEEvT1_, .Lfunc_end1303-_ZN7rocprim17ROCPRIM_400000_NS6detail17trampoline_kernelINS0_14default_configENS1_27scan_by_key_config_selectorIitEEZZNS1_16scan_by_key_implILNS1_25lookback_scan_determinismE0ELb0ES3_N6thrust23THRUST_200600_302600_NS6detail15normal_iteratorINS9_10device_ptrIiEEEENSB_INSC_ItEEEESG_tNS9_4plusIvEENS9_8equal_toIvEEtEE10hipError_tPvRmT2_T3_T4_T5_mT6_T7_P12ihipStream_tbENKUlT_T0_E_clISt17integral_constantIbLb0EES10_IbLb1EEEEDaSW_SX_EUlSW_E_NS1_11comp_targetILNS1_3genE4ELNS1_11target_archE910ELNS1_3gpuE8ELNS1_3repE0EEENS1_30default_config_static_selectorELNS0_4arch9wavefront6targetE0EEEvT1_
                                        ; -- End function
	.set _ZN7rocprim17ROCPRIM_400000_NS6detail17trampoline_kernelINS0_14default_configENS1_27scan_by_key_config_selectorIitEEZZNS1_16scan_by_key_implILNS1_25lookback_scan_determinismE0ELb0ES3_N6thrust23THRUST_200600_302600_NS6detail15normal_iteratorINS9_10device_ptrIiEEEENSB_INSC_ItEEEESG_tNS9_4plusIvEENS9_8equal_toIvEEtEE10hipError_tPvRmT2_T3_T4_T5_mT6_T7_P12ihipStream_tbENKUlT_T0_E_clISt17integral_constantIbLb0EES10_IbLb1EEEEDaSW_SX_EUlSW_E_NS1_11comp_targetILNS1_3genE4ELNS1_11target_archE910ELNS1_3gpuE8ELNS1_3repE0EEENS1_30default_config_static_selectorELNS0_4arch9wavefront6targetE0EEEvT1_.num_vgpr, 0
	.set _ZN7rocprim17ROCPRIM_400000_NS6detail17trampoline_kernelINS0_14default_configENS1_27scan_by_key_config_selectorIitEEZZNS1_16scan_by_key_implILNS1_25lookback_scan_determinismE0ELb0ES3_N6thrust23THRUST_200600_302600_NS6detail15normal_iteratorINS9_10device_ptrIiEEEENSB_INSC_ItEEEESG_tNS9_4plusIvEENS9_8equal_toIvEEtEE10hipError_tPvRmT2_T3_T4_T5_mT6_T7_P12ihipStream_tbENKUlT_T0_E_clISt17integral_constantIbLb0EES10_IbLb1EEEEDaSW_SX_EUlSW_E_NS1_11comp_targetILNS1_3genE4ELNS1_11target_archE910ELNS1_3gpuE8ELNS1_3repE0EEENS1_30default_config_static_selectorELNS0_4arch9wavefront6targetE0EEEvT1_.num_agpr, 0
	.set _ZN7rocprim17ROCPRIM_400000_NS6detail17trampoline_kernelINS0_14default_configENS1_27scan_by_key_config_selectorIitEEZZNS1_16scan_by_key_implILNS1_25lookback_scan_determinismE0ELb0ES3_N6thrust23THRUST_200600_302600_NS6detail15normal_iteratorINS9_10device_ptrIiEEEENSB_INSC_ItEEEESG_tNS9_4plusIvEENS9_8equal_toIvEEtEE10hipError_tPvRmT2_T3_T4_T5_mT6_T7_P12ihipStream_tbENKUlT_T0_E_clISt17integral_constantIbLb0EES10_IbLb1EEEEDaSW_SX_EUlSW_E_NS1_11comp_targetILNS1_3genE4ELNS1_11target_archE910ELNS1_3gpuE8ELNS1_3repE0EEENS1_30default_config_static_selectorELNS0_4arch9wavefront6targetE0EEEvT1_.numbered_sgpr, 0
	.set _ZN7rocprim17ROCPRIM_400000_NS6detail17trampoline_kernelINS0_14default_configENS1_27scan_by_key_config_selectorIitEEZZNS1_16scan_by_key_implILNS1_25lookback_scan_determinismE0ELb0ES3_N6thrust23THRUST_200600_302600_NS6detail15normal_iteratorINS9_10device_ptrIiEEEENSB_INSC_ItEEEESG_tNS9_4plusIvEENS9_8equal_toIvEEtEE10hipError_tPvRmT2_T3_T4_T5_mT6_T7_P12ihipStream_tbENKUlT_T0_E_clISt17integral_constantIbLb0EES10_IbLb1EEEEDaSW_SX_EUlSW_E_NS1_11comp_targetILNS1_3genE4ELNS1_11target_archE910ELNS1_3gpuE8ELNS1_3repE0EEENS1_30default_config_static_selectorELNS0_4arch9wavefront6targetE0EEEvT1_.num_named_barrier, 0
	.set _ZN7rocprim17ROCPRIM_400000_NS6detail17trampoline_kernelINS0_14default_configENS1_27scan_by_key_config_selectorIitEEZZNS1_16scan_by_key_implILNS1_25lookback_scan_determinismE0ELb0ES3_N6thrust23THRUST_200600_302600_NS6detail15normal_iteratorINS9_10device_ptrIiEEEENSB_INSC_ItEEEESG_tNS9_4plusIvEENS9_8equal_toIvEEtEE10hipError_tPvRmT2_T3_T4_T5_mT6_T7_P12ihipStream_tbENKUlT_T0_E_clISt17integral_constantIbLb0EES10_IbLb1EEEEDaSW_SX_EUlSW_E_NS1_11comp_targetILNS1_3genE4ELNS1_11target_archE910ELNS1_3gpuE8ELNS1_3repE0EEENS1_30default_config_static_selectorELNS0_4arch9wavefront6targetE0EEEvT1_.private_seg_size, 0
	.set _ZN7rocprim17ROCPRIM_400000_NS6detail17trampoline_kernelINS0_14default_configENS1_27scan_by_key_config_selectorIitEEZZNS1_16scan_by_key_implILNS1_25lookback_scan_determinismE0ELb0ES3_N6thrust23THRUST_200600_302600_NS6detail15normal_iteratorINS9_10device_ptrIiEEEENSB_INSC_ItEEEESG_tNS9_4plusIvEENS9_8equal_toIvEEtEE10hipError_tPvRmT2_T3_T4_T5_mT6_T7_P12ihipStream_tbENKUlT_T0_E_clISt17integral_constantIbLb0EES10_IbLb1EEEEDaSW_SX_EUlSW_E_NS1_11comp_targetILNS1_3genE4ELNS1_11target_archE910ELNS1_3gpuE8ELNS1_3repE0EEENS1_30default_config_static_selectorELNS0_4arch9wavefront6targetE0EEEvT1_.uses_vcc, 0
	.set _ZN7rocprim17ROCPRIM_400000_NS6detail17trampoline_kernelINS0_14default_configENS1_27scan_by_key_config_selectorIitEEZZNS1_16scan_by_key_implILNS1_25lookback_scan_determinismE0ELb0ES3_N6thrust23THRUST_200600_302600_NS6detail15normal_iteratorINS9_10device_ptrIiEEEENSB_INSC_ItEEEESG_tNS9_4plusIvEENS9_8equal_toIvEEtEE10hipError_tPvRmT2_T3_T4_T5_mT6_T7_P12ihipStream_tbENKUlT_T0_E_clISt17integral_constantIbLb0EES10_IbLb1EEEEDaSW_SX_EUlSW_E_NS1_11comp_targetILNS1_3genE4ELNS1_11target_archE910ELNS1_3gpuE8ELNS1_3repE0EEENS1_30default_config_static_selectorELNS0_4arch9wavefront6targetE0EEEvT1_.uses_flat_scratch, 0
	.set _ZN7rocprim17ROCPRIM_400000_NS6detail17trampoline_kernelINS0_14default_configENS1_27scan_by_key_config_selectorIitEEZZNS1_16scan_by_key_implILNS1_25lookback_scan_determinismE0ELb0ES3_N6thrust23THRUST_200600_302600_NS6detail15normal_iteratorINS9_10device_ptrIiEEEENSB_INSC_ItEEEESG_tNS9_4plusIvEENS9_8equal_toIvEEtEE10hipError_tPvRmT2_T3_T4_T5_mT6_T7_P12ihipStream_tbENKUlT_T0_E_clISt17integral_constantIbLb0EES10_IbLb1EEEEDaSW_SX_EUlSW_E_NS1_11comp_targetILNS1_3genE4ELNS1_11target_archE910ELNS1_3gpuE8ELNS1_3repE0EEENS1_30default_config_static_selectorELNS0_4arch9wavefront6targetE0EEEvT1_.has_dyn_sized_stack, 0
	.set _ZN7rocprim17ROCPRIM_400000_NS6detail17trampoline_kernelINS0_14default_configENS1_27scan_by_key_config_selectorIitEEZZNS1_16scan_by_key_implILNS1_25lookback_scan_determinismE0ELb0ES3_N6thrust23THRUST_200600_302600_NS6detail15normal_iteratorINS9_10device_ptrIiEEEENSB_INSC_ItEEEESG_tNS9_4plusIvEENS9_8equal_toIvEEtEE10hipError_tPvRmT2_T3_T4_T5_mT6_T7_P12ihipStream_tbENKUlT_T0_E_clISt17integral_constantIbLb0EES10_IbLb1EEEEDaSW_SX_EUlSW_E_NS1_11comp_targetILNS1_3genE4ELNS1_11target_archE910ELNS1_3gpuE8ELNS1_3repE0EEENS1_30default_config_static_selectorELNS0_4arch9wavefront6targetE0EEEvT1_.has_recursion, 0
	.set _ZN7rocprim17ROCPRIM_400000_NS6detail17trampoline_kernelINS0_14default_configENS1_27scan_by_key_config_selectorIitEEZZNS1_16scan_by_key_implILNS1_25lookback_scan_determinismE0ELb0ES3_N6thrust23THRUST_200600_302600_NS6detail15normal_iteratorINS9_10device_ptrIiEEEENSB_INSC_ItEEEESG_tNS9_4plusIvEENS9_8equal_toIvEEtEE10hipError_tPvRmT2_T3_T4_T5_mT6_T7_P12ihipStream_tbENKUlT_T0_E_clISt17integral_constantIbLb0EES10_IbLb1EEEEDaSW_SX_EUlSW_E_NS1_11comp_targetILNS1_3genE4ELNS1_11target_archE910ELNS1_3gpuE8ELNS1_3repE0EEENS1_30default_config_static_selectorELNS0_4arch9wavefront6targetE0EEEvT1_.has_indirect_call, 0
	.section	.AMDGPU.csdata,"",@progbits
; Kernel info:
; codeLenInByte = 0
; TotalNumSgprs: 0
; NumVgprs: 0
; ScratchSize: 0
; MemoryBound: 0
; FloatMode: 240
; IeeeMode: 1
; LDSByteSize: 0 bytes/workgroup (compile time only)
; SGPRBlocks: 0
; VGPRBlocks: 0
; NumSGPRsForWavesPerEU: 1
; NumVGPRsForWavesPerEU: 1
; Occupancy: 16
; WaveLimiterHint : 0
; COMPUTE_PGM_RSRC2:SCRATCH_EN: 0
; COMPUTE_PGM_RSRC2:USER_SGPR: 6
; COMPUTE_PGM_RSRC2:TRAP_HANDLER: 0
; COMPUTE_PGM_RSRC2:TGID_X_EN: 1
; COMPUTE_PGM_RSRC2:TGID_Y_EN: 0
; COMPUTE_PGM_RSRC2:TGID_Z_EN: 0
; COMPUTE_PGM_RSRC2:TIDIG_COMP_CNT: 0
	.section	.text._ZN7rocprim17ROCPRIM_400000_NS6detail17trampoline_kernelINS0_14default_configENS1_27scan_by_key_config_selectorIitEEZZNS1_16scan_by_key_implILNS1_25lookback_scan_determinismE0ELb0ES3_N6thrust23THRUST_200600_302600_NS6detail15normal_iteratorINS9_10device_ptrIiEEEENSB_INSC_ItEEEESG_tNS9_4plusIvEENS9_8equal_toIvEEtEE10hipError_tPvRmT2_T3_T4_T5_mT6_T7_P12ihipStream_tbENKUlT_T0_E_clISt17integral_constantIbLb0EES10_IbLb1EEEEDaSW_SX_EUlSW_E_NS1_11comp_targetILNS1_3genE3ELNS1_11target_archE908ELNS1_3gpuE7ELNS1_3repE0EEENS1_30default_config_static_selectorELNS0_4arch9wavefront6targetE0EEEvT1_,"axG",@progbits,_ZN7rocprim17ROCPRIM_400000_NS6detail17trampoline_kernelINS0_14default_configENS1_27scan_by_key_config_selectorIitEEZZNS1_16scan_by_key_implILNS1_25lookback_scan_determinismE0ELb0ES3_N6thrust23THRUST_200600_302600_NS6detail15normal_iteratorINS9_10device_ptrIiEEEENSB_INSC_ItEEEESG_tNS9_4plusIvEENS9_8equal_toIvEEtEE10hipError_tPvRmT2_T3_T4_T5_mT6_T7_P12ihipStream_tbENKUlT_T0_E_clISt17integral_constantIbLb0EES10_IbLb1EEEEDaSW_SX_EUlSW_E_NS1_11comp_targetILNS1_3genE3ELNS1_11target_archE908ELNS1_3gpuE7ELNS1_3repE0EEENS1_30default_config_static_selectorELNS0_4arch9wavefront6targetE0EEEvT1_,comdat
	.protected	_ZN7rocprim17ROCPRIM_400000_NS6detail17trampoline_kernelINS0_14default_configENS1_27scan_by_key_config_selectorIitEEZZNS1_16scan_by_key_implILNS1_25lookback_scan_determinismE0ELb0ES3_N6thrust23THRUST_200600_302600_NS6detail15normal_iteratorINS9_10device_ptrIiEEEENSB_INSC_ItEEEESG_tNS9_4plusIvEENS9_8equal_toIvEEtEE10hipError_tPvRmT2_T3_T4_T5_mT6_T7_P12ihipStream_tbENKUlT_T0_E_clISt17integral_constantIbLb0EES10_IbLb1EEEEDaSW_SX_EUlSW_E_NS1_11comp_targetILNS1_3genE3ELNS1_11target_archE908ELNS1_3gpuE7ELNS1_3repE0EEENS1_30default_config_static_selectorELNS0_4arch9wavefront6targetE0EEEvT1_ ; -- Begin function _ZN7rocprim17ROCPRIM_400000_NS6detail17trampoline_kernelINS0_14default_configENS1_27scan_by_key_config_selectorIitEEZZNS1_16scan_by_key_implILNS1_25lookback_scan_determinismE0ELb0ES3_N6thrust23THRUST_200600_302600_NS6detail15normal_iteratorINS9_10device_ptrIiEEEENSB_INSC_ItEEEESG_tNS9_4plusIvEENS9_8equal_toIvEEtEE10hipError_tPvRmT2_T3_T4_T5_mT6_T7_P12ihipStream_tbENKUlT_T0_E_clISt17integral_constantIbLb0EES10_IbLb1EEEEDaSW_SX_EUlSW_E_NS1_11comp_targetILNS1_3genE3ELNS1_11target_archE908ELNS1_3gpuE7ELNS1_3repE0EEENS1_30default_config_static_selectorELNS0_4arch9wavefront6targetE0EEEvT1_
	.globl	_ZN7rocprim17ROCPRIM_400000_NS6detail17trampoline_kernelINS0_14default_configENS1_27scan_by_key_config_selectorIitEEZZNS1_16scan_by_key_implILNS1_25lookback_scan_determinismE0ELb0ES3_N6thrust23THRUST_200600_302600_NS6detail15normal_iteratorINS9_10device_ptrIiEEEENSB_INSC_ItEEEESG_tNS9_4plusIvEENS9_8equal_toIvEEtEE10hipError_tPvRmT2_T3_T4_T5_mT6_T7_P12ihipStream_tbENKUlT_T0_E_clISt17integral_constantIbLb0EES10_IbLb1EEEEDaSW_SX_EUlSW_E_NS1_11comp_targetILNS1_3genE3ELNS1_11target_archE908ELNS1_3gpuE7ELNS1_3repE0EEENS1_30default_config_static_selectorELNS0_4arch9wavefront6targetE0EEEvT1_
	.p2align	8
	.type	_ZN7rocprim17ROCPRIM_400000_NS6detail17trampoline_kernelINS0_14default_configENS1_27scan_by_key_config_selectorIitEEZZNS1_16scan_by_key_implILNS1_25lookback_scan_determinismE0ELb0ES3_N6thrust23THRUST_200600_302600_NS6detail15normal_iteratorINS9_10device_ptrIiEEEENSB_INSC_ItEEEESG_tNS9_4plusIvEENS9_8equal_toIvEEtEE10hipError_tPvRmT2_T3_T4_T5_mT6_T7_P12ihipStream_tbENKUlT_T0_E_clISt17integral_constantIbLb0EES10_IbLb1EEEEDaSW_SX_EUlSW_E_NS1_11comp_targetILNS1_3genE3ELNS1_11target_archE908ELNS1_3gpuE7ELNS1_3repE0EEENS1_30default_config_static_selectorELNS0_4arch9wavefront6targetE0EEEvT1_,@function
_ZN7rocprim17ROCPRIM_400000_NS6detail17trampoline_kernelINS0_14default_configENS1_27scan_by_key_config_selectorIitEEZZNS1_16scan_by_key_implILNS1_25lookback_scan_determinismE0ELb0ES3_N6thrust23THRUST_200600_302600_NS6detail15normal_iteratorINS9_10device_ptrIiEEEENSB_INSC_ItEEEESG_tNS9_4plusIvEENS9_8equal_toIvEEtEE10hipError_tPvRmT2_T3_T4_T5_mT6_T7_P12ihipStream_tbENKUlT_T0_E_clISt17integral_constantIbLb0EES10_IbLb1EEEEDaSW_SX_EUlSW_E_NS1_11comp_targetILNS1_3genE3ELNS1_11target_archE908ELNS1_3gpuE7ELNS1_3repE0EEENS1_30default_config_static_selectorELNS0_4arch9wavefront6targetE0EEEvT1_: ; @_ZN7rocprim17ROCPRIM_400000_NS6detail17trampoline_kernelINS0_14default_configENS1_27scan_by_key_config_selectorIitEEZZNS1_16scan_by_key_implILNS1_25lookback_scan_determinismE0ELb0ES3_N6thrust23THRUST_200600_302600_NS6detail15normal_iteratorINS9_10device_ptrIiEEEENSB_INSC_ItEEEESG_tNS9_4plusIvEENS9_8equal_toIvEEtEE10hipError_tPvRmT2_T3_T4_T5_mT6_T7_P12ihipStream_tbENKUlT_T0_E_clISt17integral_constantIbLb0EES10_IbLb1EEEEDaSW_SX_EUlSW_E_NS1_11comp_targetILNS1_3genE3ELNS1_11target_archE908ELNS1_3gpuE7ELNS1_3repE0EEENS1_30default_config_static_selectorELNS0_4arch9wavefront6targetE0EEEvT1_
; %bb.0:
	.section	.rodata,"a",@progbits
	.p2align	6, 0x0
	.amdhsa_kernel _ZN7rocprim17ROCPRIM_400000_NS6detail17trampoline_kernelINS0_14default_configENS1_27scan_by_key_config_selectorIitEEZZNS1_16scan_by_key_implILNS1_25lookback_scan_determinismE0ELb0ES3_N6thrust23THRUST_200600_302600_NS6detail15normal_iteratorINS9_10device_ptrIiEEEENSB_INSC_ItEEEESG_tNS9_4plusIvEENS9_8equal_toIvEEtEE10hipError_tPvRmT2_T3_T4_T5_mT6_T7_P12ihipStream_tbENKUlT_T0_E_clISt17integral_constantIbLb0EES10_IbLb1EEEEDaSW_SX_EUlSW_E_NS1_11comp_targetILNS1_3genE3ELNS1_11target_archE908ELNS1_3gpuE7ELNS1_3repE0EEENS1_30default_config_static_selectorELNS0_4arch9wavefront6targetE0EEEvT1_
		.amdhsa_group_segment_fixed_size 0
		.amdhsa_private_segment_fixed_size 0
		.amdhsa_kernarg_size 112
		.amdhsa_user_sgpr_count 6
		.amdhsa_user_sgpr_private_segment_buffer 1
		.amdhsa_user_sgpr_dispatch_ptr 0
		.amdhsa_user_sgpr_queue_ptr 0
		.amdhsa_user_sgpr_kernarg_segment_ptr 1
		.amdhsa_user_sgpr_dispatch_id 0
		.amdhsa_user_sgpr_flat_scratch_init 0
		.amdhsa_user_sgpr_private_segment_size 0
		.amdhsa_wavefront_size32 1
		.amdhsa_uses_dynamic_stack 0
		.amdhsa_system_sgpr_private_segment_wavefront_offset 0
		.amdhsa_system_sgpr_workgroup_id_x 1
		.amdhsa_system_sgpr_workgroup_id_y 0
		.amdhsa_system_sgpr_workgroup_id_z 0
		.amdhsa_system_sgpr_workgroup_info 0
		.amdhsa_system_vgpr_workitem_id 0
		.amdhsa_next_free_vgpr 1
		.amdhsa_next_free_sgpr 1
		.amdhsa_reserve_vcc 0
		.amdhsa_reserve_flat_scratch 0
		.amdhsa_float_round_mode_32 0
		.amdhsa_float_round_mode_16_64 0
		.amdhsa_float_denorm_mode_32 3
		.amdhsa_float_denorm_mode_16_64 3
		.amdhsa_dx10_clamp 1
		.amdhsa_ieee_mode 1
		.amdhsa_fp16_overflow 0
		.amdhsa_workgroup_processor_mode 1
		.amdhsa_memory_ordered 1
		.amdhsa_forward_progress 1
		.amdhsa_shared_vgpr_count 0
		.amdhsa_exception_fp_ieee_invalid_op 0
		.amdhsa_exception_fp_denorm_src 0
		.amdhsa_exception_fp_ieee_div_zero 0
		.amdhsa_exception_fp_ieee_overflow 0
		.amdhsa_exception_fp_ieee_underflow 0
		.amdhsa_exception_fp_ieee_inexact 0
		.amdhsa_exception_int_div_zero 0
	.end_amdhsa_kernel
	.section	.text._ZN7rocprim17ROCPRIM_400000_NS6detail17trampoline_kernelINS0_14default_configENS1_27scan_by_key_config_selectorIitEEZZNS1_16scan_by_key_implILNS1_25lookback_scan_determinismE0ELb0ES3_N6thrust23THRUST_200600_302600_NS6detail15normal_iteratorINS9_10device_ptrIiEEEENSB_INSC_ItEEEESG_tNS9_4plusIvEENS9_8equal_toIvEEtEE10hipError_tPvRmT2_T3_T4_T5_mT6_T7_P12ihipStream_tbENKUlT_T0_E_clISt17integral_constantIbLb0EES10_IbLb1EEEEDaSW_SX_EUlSW_E_NS1_11comp_targetILNS1_3genE3ELNS1_11target_archE908ELNS1_3gpuE7ELNS1_3repE0EEENS1_30default_config_static_selectorELNS0_4arch9wavefront6targetE0EEEvT1_,"axG",@progbits,_ZN7rocprim17ROCPRIM_400000_NS6detail17trampoline_kernelINS0_14default_configENS1_27scan_by_key_config_selectorIitEEZZNS1_16scan_by_key_implILNS1_25lookback_scan_determinismE0ELb0ES3_N6thrust23THRUST_200600_302600_NS6detail15normal_iteratorINS9_10device_ptrIiEEEENSB_INSC_ItEEEESG_tNS9_4plusIvEENS9_8equal_toIvEEtEE10hipError_tPvRmT2_T3_T4_T5_mT6_T7_P12ihipStream_tbENKUlT_T0_E_clISt17integral_constantIbLb0EES10_IbLb1EEEEDaSW_SX_EUlSW_E_NS1_11comp_targetILNS1_3genE3ELNS1_11target_archE908ELNS1_3gpuE7ELNS1_3repE0EEENS1_30default_config_static_selectorELNS0_4arch9wavefront6targetE0EEEvT1_,comdat
.Lfunc_end1304:
	.size	_ZN7rocprim17ROCPRIM_400000_NS6detail17trampoline_kernelINS0_14default_configENS1_27scan_by_key_config_selectorIitEEZZNS1_16scan_by_key_implILNS1_25lookback_scan_determinismE0ELb0ES3_N6thrust23THRUST_200600_302600_NS6detail15normal_iteratorINS9_10device_ptrIiEEEENSB_INSC_ItEEEESG_tNS9_4plusIvEENS9_8equal_toIvEEtEE10hipError_tPvRmT2_T3_T4_T5_mT6_T7_P12ihipStream_tbENKUlT_T0_E_clISt17integral_constantIbLb0EES10_IbLb1EEEEDaSW_SX_EUlSW_E_NS1_11comp_targetILNS1_3genE3ELNS1_11target_archE908ELNS1_3gpuE7ELNS1_3repE0EEENS1_30default_config_static_selectorELNS0_4arch9wavefront6targetE0EEEvT1_, .Lfunc_end1304-_ZN7rocprim17ROCPRIM_400000_NS6detail17trampoline_kernelINS0_14default_configENS1_27scan_by_key_config_selectorIitEEZZNS1_16scan_by_key_implILNS1_25lookback_scan_determinismE0ELb0ES3_N6thrust23THRUST_200600_302600_NS6detail15normal_iteratorINS9_10device_ptrIiEEEENSB_INSC_ItEEEESG_tNS9_4plusIvEENS9_8equal_toIvEEtEE10hipError_tPvRmT2_T3_T4_T5_mT6_T7_P12ihipStream_tbENKUlT_T0_E_clISt17integral_constantIbLb0EES10_IbLb1EEEEDaSW_SX_EUlSW_E_NS1_11comp_targetILNS1_3genE3ELNS1_11target_archE908ELNS1_3gpuE7ELNS1_3repE0EEENS1_30default_config_static_selectorELNS0_4arch9wavefront6targetE0EEEvT1_
                                        ; -- End function
	.set _ZN7rocprim17ROCPRIM_400000_NS6detail17trampoline_kernelINS0_14default_configENS1_27scan_by_key_config_selectorIitEEZZNS1_16scan_by_key_implILNS1_25lookback_scan_determinismE0ELb0ES3_N6thrust23THRUST_200600_302600_NS6detail15normal_iteratorINS9_10device_ptrIiEEEENSB_INSC_ItEEEESG_tNS9_4plusIvEENS9_8equal_toIvEEtEE10hipError_tPvRmT2_T3_T4_T5_mT6_T7_P12ihipStream_tbENKUlT_T0_E_clISt17integral_constantIbLb0EES10_IbLb1EEEEDaSW_SX_EUlSW_E_NS1_11comp_targetILNS1_3genE3ELNS1_11target_archE908ELNS1_3gpuE7ELNS1_3repE0EEENS1_30default_config_static_selectorELNS0_4arch9wavefront6targetE0EEEvT1_.num_vgpr, 0
	.set _ZN7rocprim17ROCPRIM_400000_NS6detail17trampoline_kernelINS0_14default_configENS1_27scan_by_key_config_selectorIitEEZZNS1_16scan_by_key_implILNS1_25lookback_scan_determinismE0ELb0ES3_N6thrust23THRUST_200600_302600_NS6detail15normal_iteratorINS9_10device_ptrIiEEEENSB_INSC_ItEEEESG_tNS9_4plusIvEENS9_8equal_toIvEEtEE10hipError_tPvRmT2_T3_T4_T5_mT6_T7_P12ihipStream_tbENKUlT_T0_E_clISt17integral_constantIbLb0EES10_IbLb1EEEEDaSW_SX_EUlSW_E_NS1_11comp_targetILNS1_3genE3ELNS1_11target_archE908ELNS1_3gpuE7ELNS1_3repE0EEENS1_30default_config_static_selectorELNS0_4arch9wavefront6targetE0EEEvT1_.num_agpr, 0
	.set _ZN7rocprim17ROCPRIM_400000_NS6detail17trampoline_kernelINS0_14default_configENS1_27scan_by_key_config_selectorIitEEZZNS1_16scan_by_key_implILNS1_25lookback_scan_determinismE0ELb0ES3_N6thrust23THRUST_200600_302600_NS6detail15normal_iteratorINS9_10device_ptrIiEEEENSB_INSC_ItEEEESG_tNS9_4plusIvEENS9_8equal_toIvEEtEE10hipError_tPvRmT2_T3_T4_T5_mT6_T7_P12ihipStream_tbENKUlT_T0_E_clISt17integral_constantIbLb0EES10_IbLb1EEEEDaSW_SX_EUlSW_E_NS1_11comp_targetILNS1_3genE3ELNS1_11target_archE908ELNS1_3gpuE7ELNS1_3repE0EEENS1_30default_config_static_selectorELNS0_4arch9wavefront6targetE0EEEvT1_.numbered_sgpr, 0
	.set _ZN7rocprim17ROCPRIM_400000_NS6detail17trampoline_kernelINS0_14default_configENS1_27scan_by_key_config_selectorIitEEZZNS1_16scan_by_key_implILNS1_25lookback_scan_determinismE0ELb0ES3_N6thrust23THRUST_200600_302600_NS6detail15normal_iteratorINS9_10device_ptrIiEEEENSB_INSC_ItEEEESG_tNS9_4plusIvEENS9_8equal_toIvEEtEE10hipError_tPvRmT2_T3_T4_T5_mT6_T7_P12ihipStream_tbENKUlT_T0_E_clISt17integral_constantIbLb0EES10_IbLb1EEEEDaSW_SX_EUlSW_E_NS1_11comp_targetILNS1_3genE3ELNS1_11target_archE908ELNS1_3gpuE7ELNS1_3repE0EEENS1_30default_config_static_selectorELNS0_4arch9wavefront6targetE0EEEvT1_.num_named_barrier, 0
	.set _ZN7rocprim17ROCPRIM_400000_NS6detail17trampoline_kernelINS0_14default_configENS1_27scan_by_key_config_selectorIitEEZZNS1_16scan_by_key_implILNS1_25lookback_scan_determinismE0ELb0ES3_N6thrust23THRUST_200600_302600_NS6detail15normal_iteratorINS9_10device_ptrIiEEEENSB_INSC_ItEEEESG_tNS9_4plusIvEENS9_8equal_toIvEEtEE10hipError_tPvRmT2_T3_T4_T5_mT6_T7_P12ihipStream_tbENKUlT_T0_E_clISt17integral_constantIbLb0EES10_IbLb1EEEEDaSW_SX_EUlSW_E_NS1_11comp_targetILNS1_3genE3ELNS1_11target_archE908ELNS1_3gpuE7ELNS1_3repE0EEENS1_30default_config_static_selectorELNS0_4arch9wavefront6targetE0EEEvT1_.private_seg_size, 0
	.set _ZN7rocprim17ROCPRIM_400000_NS6detail17trampoline_kernelINS0_14default_configENS1_27scan_by_key_config_selectorIitEEZZNS1_16scan_by_key_implILNS1_25lookback_scan_determinismE0ELb0ES3_N6thrust23THRUST_200600_302600_NS6detail15normal_iteratorINS9_10device_ptrIiEEEENSB_INSC_ItEEEESG_tNS9_4plusIvEENS9_8equal_toIvEEtEE10hipError_tPvRmT2_T3_T4_T5_mT6_T7_P12ihipStream_tbENKUlT_T0_E_clISt17integral_constantIbLb0EES10_IbLb1EEEEDaSW_SX_EUlSW_E_NS1_11comp_targetILNS1_3genE3ELNS1_11target_archE908ELNS1_3gpuE7ELNS1_3repE0EEENS1_30default_config_static_selectorELNS0_4arch9wavefront6targetE0EEEvT1_.uses_vcc, 0
	.set _ZN7rocprim17ROCPRIM_400000_NS6detail17trampoline_kernelINS0_14default_configENS1_27scan_by_key_config_selectorIitEEZZNS1_16scan_by_key_implILNS1_25lookback_scan_determinismE0ELb0ES3_N6thrust23THRUST_200600_302600_NS6detail15normal_iteratorINS9_10device_ptrIiEEEENSB_INSC_ItEEEESG_tNS9_4plusIvEENS9_8equal_toIvEEtEE10hipError_tPvRmT2_T3_T4_T5_mT6_T7_P12ihipStream_tbENKUlT_T0_E_clISt17integral_constantIbLb0EES10_IbLb1EEEEDaSW_SX_EUlSW_E_NS1_11comp_targetILNS1_3genE3ELNS1_11target_archE908ELNS1_3gpuE7ELNS1_3repE0EEENS1_30default_config_static_selectorELNS0_4arch9wavefront6targetE0EEEvT1_.uses_flat_scratch, 0
	.set _ZN7rocprim17ROCPRIM_400000_NS6detail17trampoline_kernelINS0_14default_configENS1_27scan_by_key_config_selectorIitEEZZNS1_16scan_by_key_implILNS1_25lookback_scan_determinismE0ELb0ES3_N6thrust23THRUST_200600_302600_NS6detail15normal_iteratorINS9_10device_ptrIiEEEENSB_INSC_ItEEEESG_tNS9_4plusIvEENS9_8equal_toIvEEtEE10hipError_tPvRmT2_T3_T4_T5_mT6_T7_P12ihipStream_tbENKUlT_T0_E_clISt17integral_constantIbLb0EES10_IbLb1EEEEDaSW_SX_EUlSW_E_NS1_11comp_targetILNS1_3genE3ELNS1_11target_archE908ELNS1_3gpuE7ELNS1_3repE0EEENS1_30default_config_static_selectorELNS0_4arch9wavefront6targetE0EEEvT1_.has_dyn_sized_stack, 0
	.set _ZN7rocprim17ROCPRIM_400000_NS6detail17trampoline_kernelINS0_14default_configENS1_27scan_by_key_config_selectorIitEEZZNS1_16scan_by_key_implILNS1_25lookback_scan_determinismE0ELb0ES3_N6thrust23THRUST_200600_302600_NS6detail15normal_iteratorINS9_10device_ptrIiEEEENSB_INSC_ItEEEESG_tNS9_4plusIvEENS9_8equal_toIvEEtEE10hipError_tPvRmT2_T3_T4_T5_mT6_T7_P12ihipStream_tbENKUlT_T0_E_clISt17integral_constantIbLb0EES10_IbLb1EEEEDaSW_SX_EUlSW_E_NS1_11comp_targetILNS1_3genE3ELNS1_11target_archE908ELNS1_3gpuE7ELNS1_3repE0EEENS1_30default_config_static_selectorELNS0_4arch9wavefront6targetE0EEEvT1_.has_recursion, 0
	.set _ZN7rocprim17ROCPRIM_400000_NS6detail17trampoline_kernelINS0_14default_configENS1_27scan_by_key_config_selectorIitEEZZNS1_16scan_by_key_implILNS1_25lookback_scan_determinismE0ELb0ES3_N6thrust23THRUST_200600_302600_NS6detail15normal_iteratorINS9_10device_ptrIiEEEENSB_INSC_ItEEEESG_tNS9_4plusIvEENS9_8equal_toIvEEtEE10hipError_tPvRmT2_T3_T4_T5_mT6_T7_P12ihipStream_tbENKUlT_T0_E_clISt17integral_constantIbLb0EES10_IbLb1EEEEDaSW_SX_EUlSW_E_NS1_11comp_targetILNS1_3genE3ELNS1_11target_archE908ELNS1_3gpuE7ELNS1_3repE0EEENS1_30default_config_static_selectorELNS0_4arch9wavefront6targetE0EEEvT1_.has_indirect_call, 0
	.section	.AMDGPU.csdata,"",@progbits
; Kernel info:
; codeLenInByte = 0
; TotalNumSgprs: 0
; NumVgprs: 0
; ScratchSize: 0
; MemoryBound: 0
; FloatMode: 240
; IeeeMode: 1
; LDSByteSize: 0 bytes/workgroup (compile time only)
; SGPRBlocks: 0
; VGPRBlocks: 0
; NumSGPRsForWavesPerEU: 1
; NumVGPRsForWavesPerEU: 1
; Occupancy: 16
; WaveLimiterHint : 0
; COMPUTE_PGM_RSRC2:SCRATCH_EN: 0
; COMPUTE_PGM_RSRC2:USER_SGPR: 6
; COMPUTE_PGM_RSRC2:TRAP_HANDLER: 0
; COMPUTE_PGM_RSRC2:TGID_X_EN: 1
; COMPUTE_PGM_RSRC2:TGID_Y_EN: 0
; COMPUTE_PGM_RSRC2:TGID_Z_EN: 0
; COMPUTE_PGM_RSRC2:TIDIG_COMP_CNT: 0
	.section	.text._ZN7rocprim17ROCPRIM_400000_NS6detail17trampoline_kernelINS0_14default_configENS1_27scan_by_key_config_selectorIitEEZZNS1_16scan_by_key_implILNS1_25lookback_scan_determinismE0ELb0ES3_N6thrust23THRUST_200600_302600_NS6detail15normal_iteratorINS9_10device_ptrIiEEEENSB_INSC_ItEEEESG_tNS9_4plusIvEENS9_8equal_toIvEEtEE10hipError_tPvRmT2_T3_T4_T5_mT6_T7_P12ihipStream_tbENKUlT_T0_E_clISt17integral_constantIbLb0EES10_IbLb1EEEEDaSW_SX_EUlSW_E_NS1_11comp_targetILNS1_3genE2ELNS1_11target_archE906ELNS1_3gpuE6ELNS1_3repE0EEENS1_30default_config_static_selectorELNS0_4arch9wavefront6targetE0EEEvT1_,"axG",@progbits,_ZN7rocprim17ROCPRIM_400000_NS6detail17trampoline_kernelINS0_14default_configENS1_27scan_by_key_config_selectorIitEEZZNS1_16scan_by_key_implILNS1_25lookback_scan_determinismE0ELb0ES3_N6thrust23THRUST_200600_302600_NS6detail15normal_iteratorINS9_10device_ptrIiEEEENSB_INSC_ItEEEESG_tNS9_4plusIvEENS9_8equal_toIvEEtEE10hipError_tPvRmT2_T3_T4_T5_mT6_T7_P12ihipStream_tbENKUlT_T0_E_clISt17integral_constantIbLb0EES10_IbLb1EEEEDaSW_SX_EUlSW_E_NS1_11comp_targetILNS1_3genE2ELNS1_11target_archE906ELNS1_3gpuE6ELNS1_3repE0EEENS1_30default_config_static_selectorELNS0_4arch9wavefront6targetE0EEEvT1_,comdat
	.protected	_ZN7rocprim17ROCPRIM_400000_NS6detail17trampoline_kernelINS0_14default_configENS1_27scan_by_key_config_selectorIitEEZZNS1_16scan_by_key_implILNS1_25lookback_scan_determinismE0ELb0ES3_N6thrust23THRUST_200600_302600_NS6detail15normal_iteratorINS9_10device_ptrIiEEEENSB_INSC_ItEEEESG_tNS9_4plusIvEENS9_8equal_toIvEEtEE10hipError_tPvRmT2_T3_T4_T5_mT6_T7_P12ihipStream_tbENKUlT_T0_E_clISt17integral_constantIbLb0EES10_IbLb1EEEEDaSW_SX_EUlSW_E_NS1_11comp_targetILNS1_3genE2ELNS1_11target_archE906ELNS1_3gpuE6ELNS1_3repE0EEENS1_30default_config_static_selectorELNS0_4arch9wavefront6targetE0EEEvT1_ ; -- Begin function _ZN7rocprim17ROCPRIM_400000_NS6detail17trampoline_kernelINS0_14default_configENS1_27scan_by_key_config_selectorIitEEZZNS1_16scan_by_key_implILNS1_25lookback_scan_determinismE0ELb0ES3_N6thrust23THRUST_200600_302600_NS6detail15normal_iteratorINS9_10device_ptrIiEEEENSB_INSC_ItEEEESG_tNS9_4plusIvEENS9_8equal_toIvEEtEE10hipError_tPvRmT2_T3_T4_T5_mT6_T7_P12ihipStream_tbENKUlT_T0_E_clISt17integral_constantIbLb0EES10_IbLb1EEEEDaSW_SX_EUlSW_E_NS1_11comp_targetILNS1_3genE2ELNS1_11target_archE906ELNS1_3gpuE6ELNS1_3repE0EEENS1_30default_config_static_selectorELNS0_4arch9wavefront6targetE0EEEvT1_
	.globl	_ZN7rocprim17ROCPRIM_400000_NS6detail17trampoline_kernelINS0_14default_configENS1_27scan_by_key_config_selectorIitEEZZNS1_16scan_by_key_implILNS1_25lookback_scan_determinismE0ELb0ES3_N6thrust23THRUST_200600_302600_NS6detail15normal_iteratorINS9_10device_ptrIiEEEENSB_INSC_ItEEEESG_tNS9_4plusIvEENS9_8equal_toIvEEtEE10hipError_tPvRmT2_T3_T4_T5_mT6_T7_P12ihipStream_tbENKUlT_T0_E_clISt17integral_constantIbLb0EES10_IbLb1EEEEDaSW_SX_EUlSW_E_NS1_11comp_targetILNS1_3genE2ELNS1_11target_archE906ELNS1_3gpuE6ELNS1_3repE0EEENS1_30default_config_static_selectorELNS0_4arch9wavefront6targetE0EEEvT1_
	.p2align	8
	.type	_ZN7rocprim17ROCPRIM_400000_NS6detail17trampoline_kernelINS0_14default_configENS1_27scan_by_key_config_selectorIitEEZZNS1_16scan_by_key_implILNS1_25lookback_scan_determinismE0ELb0ES3_N6thrust23THRUST_200600_302600_NS6detail15normal_iteratorINS9_10device_ptrIiEEEENSB_INSC_ItEEEESG_tNS9_4plusIvEENS9_8equal_toIvEEtEE10hipError_tPvRmT2_T3_T4_T5_mT6_T7_P12ihipStream_tbENKUlT_T0_E_clISt17integral_constantIbLb0EES10_IbLb1EEEEDaSW_SX_EUlSW_E_NS1_11comp_targetILNS1_3genE2ELNS1_11target_archE906ELNS1_3gpuE6ELNS1_3repE0EEENS1_30default_config_static_selectorELNS0_4arch9wavefront6targetE0EEEvT1_,@function
_ZN7rocprim17ROCPRIM_400000_NS6detail17trampoline_kernelINS0_14default_configENS1_27scan_by_key_config_selectorIitEEZZNS1_16scan_by_key_implILNS1_25lookback_scan_determinismE0ELb0ES3_N6thrust23THRUST_200600_302600_NS6detail15normal_iteratorINS9_10device_ptrIiEEEENSB_INSC_ItEEEESG_tNS9_4plusIvEENS9_8equal_toIvEEtEE10hipError_tPvRmT2_T3_T4_T5_mT6_T7_P12ihipStream_tbENKUlT_T0_E_clISt17integral_constantIbLb0EES10_IbLb1EEEEDaSW_SX_EUlSW_E_NS1_11comp_targetILNS1_3genE2ELNS1_11target_archE906ELNS1_3gpuE6ELNS1_3repE0EEENS1_30default_config_static_selectorELNS0_4arch9wavefront6targetE0EEEvT1_: ; @_ZN7rocprim17ROCPRIM_400000_NS6detail17trampoline_kernelINS0_14default_configENS1_27scan_by_key_config_selectorIitEEZZNS1_16scan_by_key_implILNS1_25lookback_scan_determinismE0ELb0ES3_N6thrust23THRUST_200600_302600_NS6detail15normal_iteratorINS9_10device_ptrIiEEEENSB_INSC_ItEEEESG_tNS9_4plusIvEENS9_8equal_toIvEEtEE10hipError_tPvRmT2_T3_T4_T5_mT6_T7_P12ihipStream_tbENKUlT_T0_E_clISt17integral_constantIbLb0EES10_IbLb1EEEEDaSW_SX_EUlSW_E_NS1_11comp_targetILNS1_3genE2ELNS1_11target_archE906ELNS1_3gpuE6ELNS1_3repE0EEENS1_30default_config_static_selectorELNS0_4arch9wavefront6targetE0EEEvT1_
; %bb.0:
	.section	.rodata,"a",@progbits
	.p2align	6, 0x0
	.amdhsa_kernel _ZN7rocprim17ROCPRIM_400000_NS6detail17trampoline_kernelINS0_14default_configENS1_27scan_by_key_config_selectorIitEEZZNS1_16scan_by_key_implILNS1_25lookback_scan_determinismE0ELb0ES3_N6thrust23THRUST_200600_302600_NS6detail15normal_iteratorINS9_10device_ptrIiEEEENSB_INSC_ItEEEESG_tNS9_4plusIvEENS9_8equal_toIvEEtEE10hipError_tPvRmT2_T3_T4_T5_mT6_T7_P12ihipStream_tbENKUlT_T0_E_clISt17integral_constantIbLb0EES10_IbLb1EEEEDaSW_SX_EUlSW_E_NS1_11comp_targetILNS1_3genE2ELNS1_11target_archE906ELNS1_3gpuE6ELNS1_3repE0EEENS1_30default_config_static_selectorELNS0_4arch9wavefront6targetE0EEEvT1_
		.amdhsa_group_segment_fixed_size 0
		.amdhsa_private_segment_fixed_size 0
		.amdhsa_kernarg_size 112
		.amdhsa_user_sgpr_count 6
		.amdhsa_user_sgpr_private_segment_buffer 1
		.amdhsa_user_sgpr_dispatch_ptr 0
		.amdhsa_user_sgpr_queue_ptr 0
		.amdhsa_user_sgpr_kernarg_segment_ptr 1
		.amdhsa_user_sgpr_dispatch_id 0
		.amdhsa_user_sgpr_flat_scratch_init 0
		.amdhsa_user_sgpr_private_segment_size 0
		.amdhsa_wavefront_size32 1
		.amdhsa_uses_dynamic_stack 0
		.amdhsa_system_sgpr_private_segment_wavefront_offset 0
		.amdhsa_system_sgpr_workgroup_id_x 1
		.amdhsa_system_sgpr_workgroup_id_y 0
		.amdhsa_system_sgpr_workgroup_id_z 0
		.amdhsa_system_sgpr_workgroup_info 0
		.amdhsa_system_vgpr_workitem_id 0
		.amdhsa_next_free_vgpr 1
		.amdhsa_next_free_sgpr 1
		.amdhsa_reserve_vcc 0
		.amdhsa_reserve_flat_scratch 0
		.amdhsa_float_round_mode_32 0
		.amdhsa_float_round_mode_16_64 0
		.amdhsa_float_denorm_mode_32 3
		.amdhsa_float_denorm_mode_16_64 3
		.amdhsa_dx10_clamp 1
		.amdhsa_ieee_mode 1
		.amdhsa_fp16_overflow 0
		.amdhsa_workgroup_processor_mode 1
		.amdhsa_memory_ordered 1
		.amdhsa_forward_progress 1
		.amdhsa_shared_vgpr_count 0
		.amdhsa_exception_fp_ieee_invalid_op 0
		.amdhsa_exception_fp_denorm_src 0
		.amdhsa_exception_fp_ieee_div_zero 0
		.amdhsa_exception_fp_ieee_overflow 0
		.amdhsa_exception_fp_ieee_underflow 0
		.amdhsa_exception_fp_ieee_inexact 0
		.amdhsa_exception_int_div_zero 0
	.end_amdhsa_kernel
	.section	.text._ZN7rocprim17ROCPRIM_400000_NS6detail17trampoline_kernelINS0_14default_configENS1_27scan_by_key_config_selectorIitEEZZNS1_16scan_by_key_implILNS1_25lookback_scan_determinismE0ELb0ES3_N6thrust23THRUST_200600_302600_NS6detail15normal_iteratorINS9_10device_ptrIiEEEENSB_INSC_ItEEEESG_tNS9_4plusIvEENS9_8equal_toIvEEtEE10hipError_tPvRmT2_T3_T4_T5_mT6_T7_P12ihipStream_tbENKUlT_T0_E_clISt17integral_constantIbLb0EES10_IbLb1EEEEDaSW_SX_EUlSW_E_NS1_11comp_targetILNS1_3genE2ELNS1_11target_archE906ELNS1_3gpuE6ELNS1_3repE0EEENS1_30default_config_static_selectorELNS0_4arch9wavefront6targetE0EEEvT1_,"axG",@progbits,_ZN7rocprim17ROCPRIM_400000_NS6detail17trampoline_kernelINS0_14default_configENS1_27scan_by_key_config_selectorIitEEZZNS1_16scan_by_key_implILNS1_25lookback_scan_determinismE0ELb0ES3_N6thrust23THRUST_200600_302600_NS6detail15normal_iteratorINS9_10device_ptrIiEEEENSB_INSC_ItEEEESG_tNS9_4plusIvEENS9_8equal_toIvEEtEE10hipError_tPvRmT2_T3_T4_T5_mT6_T7_P12ihipStream_tbENKUlT_T0_E_clISt17integral_constantIbLb0EES10_IbLb1EEEEDaSW_SX_EUlSW_E_NS1_11comp_targetILNS1_3genE2ELNS1_11target_archE906ELNS1_3gpuE6ELNS1_3repE0EEENS1_30default_config_static_selectorELNS0_4arch9wavefront6targetE0EEEvT1_,comdat
.Lfunc_end1305:
	.size	_ZN7rocprim17ROCPRIM_400000_NS6detail17trampoline_kernelINS0_14default_configENS1_27scan_by_key_config_selectorIitEEZZNS1_16scan_by_key_implILNS1_25lookback_scan_determinismE0ELb0ES3_N6thrust23THRUST_200600_302600_NS6detail15normal_iteratorINS9_10device_ptrIiEEEENSB_INSC_ItEEEESG_tNS9_4plusIvEENS9_8equal_toIvEEtEE10hipError_tPvRmT2_T3_T4_T5_mT6_T7_P12ihipStream_tbENKUlT_T0_E_clISt17integral_constantIbLb0EES10_IbLb1EEEEDaSW_SX_EUlSW_E_NS1_11comp_targetILNS1_3genE2ELNS1_11target_archE906ELNS1_3gpuE6ELNS1_3repE0EEENS1_30default_config_static_selectorELNS0_4arch9wavefront6targetE0EEEvT1_, .Lfunc_end1305-_ZN7rocprim17ROCPRIM_400000_NS6detail17trampoline_kernelINS0_14default_configENS1_27scan_by_key_config_selectorIitEEZZNS1_16scan_by_key_implILNS1_25lookback_scan_determinismE0ELb0ES3_N6thrust23THRUST_200600_302600_NS6detail15normal_iteratorINS9_10device_ptrIiEEEENSB_INSC_ItEEEESG_tNS9_4plusIvEENS9_8equal_toIvEEtEE10hipError_tPvRmT2_T3_T4_T5_mT6_T7_P12ihipStream_tbENKUlT_T0_E_clISt17integral_constantIbLb0EES10_IbLb1EEEEDaSW_SX_EUlSW_E_NS1_11comp_targetILNS1_3genE2ELNS1_11target_archE906ELNS1_3gpuE6ELNS1_3repE0EEENS1_30default_config_static_selectorELNS0_4arch9wavefront6targetE0EEEvT1_
                                        ; -- End function
	.set _ZN7rocprim17ROCPRIM_400000_NS6detail17trampoline_kernelINS0_14default_configENS1_27scan_by_key_config_selectorIitEEZZNS1_16scan_by_key_implILNS1_25lookback_scan_determinismE0ELb0ES3_N6thrust23THRUST_200600_302600_NS6detail15normal_iteratorINS9_10device_ptrIiEEEENSB_INSC_ItEEEESG_tNS9_4plusIvEENS9_8equal_toIvEEtEE10hipError_tPvRmT2_T3_T4_T5_mT6_T7_P12ihipStream_tbENKUlT_T0_E_clISt17integral_constantIbLb0EES10_IbLb1EEEEDaSW_SX_EUlSW_E_NS1_11comp_targetILNS1_3genE2ELNS1_11target_archE906ELNS1_3gpuE6ELNS1_3repE0EEENS1_30default_config_static_selectorELNS0_4arch9wavefront6targetE0EEEvT1_.num_vgpr, 0
	.set _ZN7rocprim17ROCPRIM_400000_NS6detail17trampoline_kernelINS0_14default_configENS1_27scan_by_key_config_selectorIitEEZZNS1_16scan_by_key_implILNS1_25lookback_scan_determinismE0ELb0ES3_N6thrust23THRUST_200600_302600_NS6detail15normal_iteratorINS9_10device_ptrIiEEEENSB_INSC_ItEEEESG_tNS9_4plusIvEENS9_8equal_toIvEEtEE10hipError_tPvRmT2_T3_T4_T5_mT6_T7_P12ihipStream_tbENKUlT_T0_E_clISt17integral_constantIbLb0EES10_IbLb1EEEEDaSW_SX_EUlSW_E_NS1_11comp_targetILNS1_3genE2ELNS1_11target_archE906ELNS1_3gpuE6ELNS1_3repE0EEENS1_30default_config_static_selectorELNS0_4arch9wavefront6targetE0EEEvT1_.num_agpr, 0
	.set _ZN7rocprim17ROCPRIM_400000_NS6detail17trampoline_kernelINS0_14default_configENS1_27scan_by_key_config_selectorIitEEZZNS1_16scan_by_key_implILNS1_25lookback_scan_determinismE0ELb0ES3_N6thrust23THRUST_200600_302600_NS6detail15normal_iteratorINS9_10device_ptrIiEEEENSB_INSC_ItEEEESG_tNS9_4plusIvEENS9_8equal_toIvEEtEE10hipError_tPvRmT2_T3_T4_T5_mT6_T7_P12ihipStream_tbENKUlT_T0_E_clISt17integral_constantIbLb0EES10_IbLb1EEEEDaSW_SX_EUlSW_E_NS1_11comp_targetILNS1_3genE2ELNS1_11target_archE906ELNS1_3gpuE6ELNS1_3repE0EEENS1_30default_config_static_selectorELNS0_4arch9wavefront6targetE0EEEvT1_.numbered_sgpr, 0
	.set _ZN7rocprim17ROCPRIM_400000_NS6detail17trampoline_kernelINS0_14default_configENS1_27scan_by_key_config_selectorIitEEZZNS1_16scan_by_key_implILNS1_25lookback_scan_determinismE0ELb0ES3_N6thrust23THRUST_200600_302600_NS6detail15normal_iteratorINS9_10device_ptrIiEEEENSB_INSC_ItEEEESG_tNS9_4plusIvEENS9_8equal_toIvEEtEE10hipError_tPvRmT2_T3_T4_T5_mT6_T7_P12ihipStream_tbENKUlT_T0_E_clISt17integral_constantIbLb0EES10_IbLb1EEEEDaSW_SX_EUlSW_E_NS1_11comp_targetILNS1_3genE2ELNS1_11target_archE906ELNS1_3gpuE6ELNS1_3repE0EEENS1_30default_config_static_selectorELNS0_4arch9wavefront6targetE0EEEvT1_.num_named_barrier, 0
	.set _ZN7rocprim17ROCPRIM_400000_NS6detail17trampoline_kernelINS0_14default_configENS1_27scan_by_key_config_selectorIitEEZZNS1_16scan_by_key_implILNS1_25lookback_scan_determinismE0ELb0ES3_N6thrust23THRUST_200600_302600_NS6detail15normal_iteratorINS9_10device_ptrIiEEEENSB_INSC_ItEEEESG_tNS9_4plusIvEENS9_8equal_toIvEEtEE10hipError_tPvRmT2_T3_T4_T5_mT6_T7_P12ihipStream_tbENKUlT_T0_E_clISt17integral_constantIbLb0EES10_IbLb1EEEEDaSW_SX_EUlSW_E_NS1_11comp_targetILNS1_3genE2ELNS1_11target_archE906ELNS1_3gpuE6ELNS1_3repE0EEENS1_30default_config_static_selectorELNS0_4arch9wavefront6targetE0EEEvT1_.private_seg_size, 0
	.set _ZN7rocprim17ROCPRIM_400000_NS6detail17trampoline_kernelINS0_14default_configENS1_27scan_by_key_config_selectorIitEEZZNS1_16scan_by_key_implILNS1_25lookback_scan_determinismE0ELb0ES3_N6thrust23THRUST_200600_302600_NS6detail15normal_iteratorINS9_10device_ptrIiEEEENSB_INSC_ItEEEESG_tNS9_4plusIvEENS9_8equal_toIvEEtEE10hipError_tPvRmT2_T3_T4_T5_mT6_T7_P12ihipStream_tbENKUlT_T0_E_clISt17integral_constantIbLb0EES10_IbLb1EEEEDaSW_SX_EUlSW_E_NS1_11comp_targetILNS1_3genE2ELNS1_11target_archE906ELNS1_3gpuE6ELNS1_3repE0EEENS1_30default_config_static_selectorELNS0_4arch9wavefront6targetE0EEEvT1_.uses_vcc, 0
	.set _ZN7rocprim17ROCPRIM_400000_NS6detail17trampoline_kernelINS0_14default_configENS1_27scan_by_key_config_selectorIitEEZZNS1_16scan_by_key_implILNS1_25lookback_scan_determinismE0ELb0ES3_N6thrust23THRUST_200600_302600_NS6detail15normal_iteratorINS9_10device_ptrIiEEEENSB_INSC_ItEEEESG_tNS9_4plusIvEENS9_8equal_toIvEEtEE10hipError_tPvRmT2_T3_T4_T5_mT6_T7_P12ihipStream_tbENKUlT_T0_E_clISt17integral_constantIbLb0EES10_IbLb1EEEEDaSW_SX_EUlSW_E_NS1_11comp_targetILNS1_3genE2ELNS1_11target_archE906ELNS1_3gpuE6ELNS1_3repE0EEENS1_30default_config_static_selectorELNS0_4arch9wavefront6targetE0EEEvT1_.uses_flat_scratch, 0
	.set _ZN7rocprim17ROCPRIM_400000_NS6detail17trampoline_kernelINS0_14default_configENS1_27scan_by_key_config_selectorIitEEZZNS1_16scan_by_key_implILNS1_25lookback_scan_determinismE0ELb0ES3_N6thrust23THRUST_200600_302600_NS6detail15normal_iteratorINS9_10device_ptrIiEEEENSB_INSC_ItEEEESG_tNS9_4plusIvEENS9_8equal_toIvEEtEE10hipError_tPvRmT2_T3_T4_T5_mT6_T7_P12ihipStream_tbENKUlT_T0_E_clISt17integral_constantIbLb0EES10_IbLb1EEEEDaSW_SX_EUlSW_E_NS1_11comp_targetILNS1_3genE2ELNS1_11target_archE906ELNS1_3gpuE6ELNS1_3repE0EEENS1_30default_config_static_selectorELNS0_4arch9wavefront6targetE0EEEvT1_.has_dyn_sized_stack, 0
	.set _ZN7rocprim17ROCPRIM_400000_NS6detail17trampoline_kernelINS0_14default_configENS1_27scan_by_key_config_selectorIitEEZZNS1_16scan_by_key_implILNS1_25lookback_scan_determinismE0ELb0ES3_N6thrust23THRUST_200600_302600_NS6detail15normal_iteratorINS9_10device_ptrIiEEEENSB_INSC_ItEEEESG_tNS9_4plusIvEENS9_8equal_toIvEEtEE10hipError_tPvRmT2_T3_T4_T5_mT6_T7_P12ihipStream_tbENKUlT_T0_E_clISt17integral_constantIbLb0EES10_IbLb1EEEEDaSW_SX_EUlSW_E_NS1_11comp_targetILNS1_3genE2ELNS1_11target_archE906ELNS1_3gpuE6ELNS1_3repE0EEENS1_30default_config_static_selectorELNS0_4arch9wavefront6targetE0EEEvT1_.has_recursion, 0
	.set _ZN7rocprim17ROCPRIM_400000_NS6detail17trampoline_kernelINS0_14default_configENS1_27scan_by_key_config_selectorIitEEZZNS1_16scan_by_key_implILNS1_25lookback_scan_determinismE0ELb0ES3_N6thrust23THRUST_200600_302600_NS6detail15normal_iteratorINS9_10device_ptrIiEEEENSB_INSC_ItEEEESG_tNS9_4plusIvEENS9_8equal_toIvEEtEE10hipError_tPvRmT2_T3_T4_T5_mT6_T7_P12ihipStream_tbENKUlT_T0_E_clISt17integral_constantIbLb0EES10_IbLb1EEEEDaSW_SX_EUlSW_E_NS1_11comp_targetILNS1_3genE2ELNS1_11target_archE906ELNS1_3gpuE6ELNS1_3repE0EEENS1_30default_config_static_selectorELNS0_4arch9wavefront6targetE0EEEvT1_.has_indirect_call, 0
	.section	.AMDGPU.csdata,"",@progbits
; Kernel info:
; codeLenInByte = 0
; TotalNumSgprs: 0
; NumVgprs: 0
; ScratchSize: 0
; MemoryBound: 0
; FloatMode: 240
; IeeeMode: 1
; LDSByteSize: 0 bytes/workgroup (compile time only)
; SGPRBlocks: 0
; VGPRBlocks: 0
; NumSGPRsForWavesPerEU: 1
; NumVGPRsForWavesPerEU: 1
; Occupancy: 16
; WaveLimiterHint : 0
; COMPUTE_PGM_RSRC2:SCRATCH_EN: 0
; COMPUTE_PGM_RSRC2:USER_SGPR: 6
; COMPUTE_PGM_RSRC2:TRAP_HANDLER: 0
; COMPUTE_PGM_RSRC2:TGID_X_EN: 1
; COMPUTE_PGM_RSRC2:TGID_Y_EN: 0
; COMPUTE_PGM_RSRC2:TGID_Z_EN: 0
; COMPUTE_PGM_RSRC2:TIDIG_COMP_CNT: 0
	.section	.text._ZN7rocprim17ROCPRIM_400000_NS6detail17trampoline_kernelINS0_14default_configENS1_27scan_by_key_config_selectorIitEEZZNS1_16scan_by_key_implILNS1_25lookback_scan_determinismE0ELb0ES3_N6thrust23THRUST_200600_302600_NS6detail15normal_iteratorINS9_10device_ptrIiEEEENSB_INSC_ItEEEESG_tNS9_4plusIvEENS9_8equal_toIvEEtEE10hipError_tPvRmT2_T3_T4_T5_mT6_T7_P12ihipStream_tbENKUlT_T0_E_clISt17integral_constantIbLb0EES10_IbLb1EEEEDaSW_SX_EUlSW_E_NS1_11comp_targetILNS1_3genE10ELNS1_11target_archE1200ELNS1_3gpuE4ELNS1_3repE0EEENS1_30default_config_static_selectorELNS0_4arch9wavefront6targetE0EEEvT1_,"axG",@progbits,_ZN7rocprim17ROCPRIM_400000_NS6detail17trampoline_kernelINS0_14default_configENS1_27scan_by_key_config_selectorIitEEZZNS1_16scan_by_key_implILNS1_25lookback_scan_determinismE0ELb0ES3_N6thrust23THRUST_200600_302600_NS6detail15normal_iteratorINS9_10device_ptrIiEEEENSB_INSC_ItEEEESG_tNS9_4plusIvEENS9_8equal_toIvEEtEE10hipError_tPvRmT2_T3_T4_T5_mT6_T7_P12ihipStream_tbENKUlT_T0_E_clISt17integral_constantIbLb0EES10_IbLb1EEEEDaSW_SX_EUlSW_E_NS1_11comp_targetILNS1_3genE10ELNS1_11target_archE1200ELNS1_3gpuE4ELNS1_3repE0EEENS1_30default_config_static_selectorELNS0_4arch9wavefront6targetE0EEEvT1_,comdat
	.protected	_ZN7rocprim17ROCPRIM_400000_NS6detail17trampoline_kernelINS0_14default_configENS1_27scan_by_key_config_selectorIitEEZZNS1_16scan_by_key_implILNS1_25lookback_scan_determinismE0ELb0ES3_N6thrust23THRUST_200600_302600_NS6detail15normal_iteratorINS9_10device_ptrIiEEEENSB_INSC_ItEEEESG_tNS9_4plusIvEENS9_8equal_toIvEEtEE10hipError_tPvRmT2_T3_T4_T5_mT6_T7_P12ihipStream_tbENKUlT_T0_E_clISt17integral_constantIbLb0EES10_IbLb1EEEEDaSW_SX_EUlSW_E_NS1_11comp_targetILNS1_3genE10ELNS1_11target_archE1200ELNS1_3gpuE4ELNS1_3repE0EEENS1_30default_config_static_selectorELNS0_4arch9wavefront6targetE0EEEvT1_ ; -- Begin function _ZN7rocprim17ROCPRIM_400000_NS6detail17trampoline_kernelINS0_14default_configENS1_27scan_by_key_config_selectorIitEEZZNS1_16scan_by_key_implILNS1_25lookback_scan_determinismE0ELb0ES3_N6thrust23THRUST_200600_302600_NS6detail15normal_iteratorINS9_10device_ptrIiEEEENSB_INSC_ItEEEESG_tNS9_4plusIvEENS9_8equal_toIvEEtEE10hipError_tPvRmT2_T3_T4_T5_mT6_T7_P12ihipStream_tbENKUlT_T0_E_clISt17integral_constantIbLb0EES10_IbLb1EEEEDaSW_SX_EUlSW_E_NS1_11comp_targetILNS1_3genE10ELNS1_11target_archE1200ELNS1_3gpuE4ELNS1_3repE0EEENS1_30default_config_static_selectorELNS0_4arch9wavefront6targetE0EEEvT1_
	.globl	_ZN7rocprim17ROCPRIM_400000_NS6detail17trampoline_kernelINS0_14default_configENS1_27scan_by_key_config_selectorIitEEZZNS1_16scan_by_key_implILNS1_25lookback_scan_determinismE0ELb0ES3_N6thrust23THRUST_200600_302600_NS6detail15normal_iteratorINS9_10device_ptrIiEEEENSB_INSC_ItEEEESG_tNS9_4plusIvEENS9_8equal_toIvEEtEE10hipError_tPvRmT2_T3_T4_T5_mT6_T7_P12ihipStream_tbENKUlT_T0_E_clISt17integral_constantIbLb0EES10_IbLb1EEEEDaSW_SX_EUlSW_E_NS1_11comp_targetILNS1_3genE10ELNS1_11target_archE1200ELNS1_3gpuE4ELNS1_3repE0EEENS1_30default_config_static_selectorELNS0_4arch9wavefront6targetE0EEEvT1_
	.p2align	8
	.type	_ZN7rocprim17ROCPRIM_400000_NS6detail17trampoline_kernelINS0_14default_configENS1_27scan_by_key_config_selectorIitEEZZNS1_16scan_by_key_implILNS1_25lookback_scan_determinismE0ELb0ES3_N6thrust23THRUST_200600_302600_NS6detail15normal_iteratorINS9_10device_ptrIiEEEENSB_INSC_ItEEEESG_tNS9_4plusIvEENS9_8equal_toIvEEtEE10hipError_tPvRmT2_T3_T4_T5_mT6_T7_P12ihipStream_tbENKUlT_T0_E_clISt17integral_constantIbLb0EES10_IbLb1EEEEDaSW_SX_EUlSW_E_NS1_11comp_targetILNS1_3genE10ELNS1_11target_archE1200ELNS1_3gpuE4ELNS1_3repE0EEENS1_30default_config_static_selectorELNS0_4arch9wavefront6targetE0EEEvT1_,@function
_ZN7rocprim17ROCPRIM_400000_NS6detail17trampoline_kernelINS0_14default_configENS1_27scan_by_key_config_selectorIitEEZZNS1_16scan_by_key_implILNS1_25lookback_scan_determinismE0ELb0ES3_N6thrust23THRUST_200600_302600_NS6detail15normal_iteratorINS9_10device_ptrIiEEEENSB_INSC_ItEEEESG_tNS9_4plusIvEENS9_8equal_toIvEEtEE10hipError_tPvRmT2_T3_T4_T5_mT6_T7_P12ihipStream_tbENKUlT_T0_E_clISt17integral_constantIbLb0EES10_IbLb1EEEEDaSW_SX_EUlSW_E_NS1_11comp_targetILNS1_3genE10ELNS1_11target_archE1200ELNS1_3gpuE4ELNS1_3repE0EEENS1_30default_config_static_selectorELNS0_4arch9wavefront6targetE0EEEvT1_: ; @_ZN7rocprim17ROCPRIM_400000_NS6detail17trampoline_kernelINS0_14default_configENS1_27scan_by_key_config_selectorIitEEZZNS1_16scan_by_key_implILNS1_25lookback_scan_determinismE0ELb0ES3_N6thrust23THRUST_200600_302600_NS6detail15normal_iteratorINS9_10device_ptrIiEEEENSB_INSC_ItEEEESG_tNS9_4plusIvEENS9_8equal_toIvEEtEE10hipError_tPvRmT2_T3_T4_T5_mT6_T7_P12ihipStream_tbENKUlT_T0_E_clISt17integral_constantIbLb0EES10_IbLb1EEEEDaSW_SX_EUlSW_E_NS1_11comp_targetILNS1_3genE10ELNS1_11target_archE1200ELNS1_3gpuE4ELNS1_3repE0EEENS1_30default_config_static_selectorELNS0_4arch9wavefront6targetE0EEEvT1_
; %bb.0:
	.section	.rodata,"a",@progbits
	.p2align	6, 0x0
	.amdhsa_kernel _ZN7rocprim17ROCPRIM_400000_NS6detail17trampoline_kernelINS0_14default_configENS1_27scan_by_key_config_selectorIitEEZZNS1_16scan_by_key_implILNS1_25lookback_scan_determinismE0ELb0ES3_N6thrust23THRUST_200600_302600_NS6detail15normal_iteratorINS9_10device_ptrIiEEEENSB_INSC_ItEEEESG_tNS9_4plusIvEENS9_8equal_toIvEEtEE10hipError_tPvRmT2_T3_T4_T5_mT6_T7_P12ihipStream_tbENKUlT_T0_E_clISt17integral_constantIbLb0EES10_IbLb1EEEEDaSW_SX_EUlSW_E_NS1_11comp_targetILNS1_3genE10ELNS1_11target_archE1200ELNS1_3gpuE4ELNS1_3repE0EEENS1_30default_config_static_selectorELNS0_4arch9wavefront6targetE0EEEvT1_
		.amdhsa_group_segment_fixed_size 0
		.amdhsa_private_segment_fixed_size 0
		.amdhsa_kernarg_size 112
		.amdhsa_user_sgpr_count 6
		.amdhsa_user_sgpr_private_segment_buffer 1
		.amdhsa_user_sgpr_dispatch_ptr 0
		.amdhsa_user_sgpr_queue_ptr 0
		.amdhsa_user_sgpr_kernarg_segment_ptr 1
		.amdhsa_user_sgpr_dispatch_id 0
		.amdhsa_user_sgpr_flat_scratch_init 0
		.amdhsa_user_sgpr_private_segment_size 0
		.amdhsa_wavefront_size32 1
		.amdhsa_uses_dynamic_stack 0
		.amdhsa_system_sgpr_private_segment_wavefront_offset 0
		.amdhsa_system_sgpr_workgroup_id_x 1
		.amdhsa_system_sgpr_workgroup_id_y 0
		.amdhsa_system_sgpr_workgroup_id_z 0
		.amdhsa_system_sgpr_workgroup_info 0
		.amdhsa_system_vgpr_workitem_id 0
		.amdhsa_next_free_vgpr 1
		.amdhsa_next_free_sgpr 1
		.amdhsa_reserve_vcc 0
		.amdhsa_reserve_flat_scratch 0
		.amdhsa_float_round_mode_32 0
		.amdhsa_float_round_mode_16_64 0
		.amdhsa_float_denorm_mode_32 3
		.amdhsa_float_denorm_mode_16_64 3
		.amdhsa_dx10_clamp 1
		.amdhsa_ieee_mode 1
		.amdhsa_fp16_overflow 0
		.amdhsa_workgroup_processor_mode 1
		.amdhsa_memory_ordered 1
		.amdhsa_forward_progress 1
		.amdhsa_shared_vgpr_count 0
		.amdhsa_exception_fp_ieee_invalid_op 0
		.amdhsa_exception_fp_denorm_src 0
		.amdhsa_exception_fp_ieee_div_zero 0
		.amdhsa_exception_fp_ieee_overflow 0
		.amdhsa_exception_fp_ieee_underflow 0
		.amdhsa_exception_fp_ieee_inexact 0
		.amdhsa_exception_int_div_zero 0
	.end_amdhsa_kernel
	.section	.text._ZN7rocprim17ROCPRIM_400000_NS6detail17trampoline_kernelINS0_14default_configENS1_27scan_by_key_config_selectorIitEEZZNS1_16scan_by_key_implILNS1_25lookback_scan_determinismE0ELb0ES3_N6thrust23THRUST_200600_302600_NS6detail15normal_iteratorINS9_10device_ptrIiEEEENSB_INSC_ItEEEESG_tNS9_4plusIvEENS9_8equal_toIvEEtEE10hipError_tPvRmT2_T3_T4_T5_mT6_T7_P12ihipStream_tbENKUlT_T0_E_clISt17integral_constantIbLb0EES10_IbLb1EEEEDaSW_SX_EUlSW_E_NS1_11comp_targetILNS1_3genE10ELNS1_11target_archE1200ELNS1_3gpuE4ELNS1_3repE0EEENS1_30default_config_static_selectorELNS0_4arch9wavefront6targetE0EEEvT1_,"axG",@progbits,_ZN7rocprim17ROCPRIM_400000_NS6detail17trampoline_kernelINS0_14default_configENS1_27scan_by_key_config_selectorIitEEZZNS1_16scan_by_key_implILNS1_25lookback_scan_determinismE0ELb0ES3_N6thrust23THRUST_200600_302600_NS6detail15normal_iteratorINS9_10device_ptrIiEEEENSB_INSC_ItEEEESG_tNS9_4plusIvEENS9_8equal_toIvEEtEE10hipError_tPvRmT2_T3_T4_T5_mT6_T7_P12ihipStream_tbENKUlT_T0_E_clISt17integral_constantIbLb0EES10_IbLb1EEEEDaSW_SX_EUlSW_E_NS1_11comp_targetILNS1_3genE10ELNS1_11target_archE1200ELNS1_3gpuE4ELNS1_3repE0EEENS1_30default_config_static_selectorELNS0_4arch9wavefront6targetE0EEEvT1_,comdat
.Lfunc_end1306:
	.size	_ZN7rocprim17ROCPRIM_400000_NS6detail17trampoline_kernelINS0_14default_configENS1_27scan_by_key_config_selectorIitEEZZNS1_16scan_by_key_implILNS1_25lookback_scan_determinismE0ELb0ES3_N6thrust23THRUST_200600_302600_NS6detail15normal_iteratorINS9_10device_ptrIiEEEENSB_INSC_ItEEEESG_tNS9_4plusIvEENS9_8equal_toIvEEtEE10hipError_tPvRmT2_T3_T4_T5_mT6_T7_P12ihipStream_tbENKUlT_T0_E_clISt17integral_constantIbLb0EES10_IbLb1EEEEDaSW_SX_EUlSW_E_NS1_11comp_targetILNS1_3genE10ELNS1_11target_archE1200ELNS1_3gpuE4ELNS1_3repE0EEENS1_30default_config_static_selectorELNS0_4arch9wavefront6targetE0EEEvT1_, .Lfunc_end1306-_ZN7rocprim17ROCPRIM_400000_NS6detail17trampoline_kernelINS0_14default_configENS1_27scan_by_key_config_selectorIitEEZZNS1_16scan_by_key_implILNS1_25lookback_scan_determinismE0ELb0ES3_N6thrust23THRUST_200600_302600_NS6detail15normal_iteratorINS9_10device_ptrIiEEEENSB_INSC_ItEEEESG_tNS9_4plusIvEENS9_8equal_toIvEEtEE10hipError_tPvRmT2_T3_T4_T5_mT6_T7_P12ihipStream_tbENKUlT_T0_E_clISt17integral_constantIbLb0EES10_IbLb1EEEEDaSW_SX_EUlSW_E_NS1_11comp_targetILNS1_3genE10ELNS1_11target_archE1200ELNS1_3gpuE4ELNS1_3repE0EEENS1_30default_config_static_selectorELNS0_4arch9wavefront6targetE0EEEvT1_
                                        ; -- End function
	.set _ZN7rocprim17ROCPRIM_400000_NS6detail17trampoline_kernelINS0_14default_configENS1_27scan_by_key_config_selectorIitEEZZNS1_16scan_by_key_implILNS1_25lookback_scan_determinismE0ELb0ES3_N6thrust23THRUST_200600_302600_NS6detail15normal_iteratorINS9_10device_ptrIiEEEENSB_INSC_ItEEEESG_tNS9_4plusIvEENS9_8equal_toIvEEtEE10hipError_tPvRmT2_T3_T4_T5_mT6_T7_P12ihipStream_tbENKUlT_T0_E_clISt17integral_constantIbLb0EES10_IbLb1EEEEDaSW_SX_EUlSW_E_NS1_11comp_targetILNS1_3genE10ELNS1_11target_archE1200ELNS1_3gpuE4ELNS1_3repE0EEENS1_30default_config_static_selectorELNS0_4arch9wavefront6targetE0EEEvT1_.num_vgpr, 0
	.set _ZN7rocprim17ROCPRIM_400000_NS6detail17trampoline_kernelINS0_14default_configENS1_27scan_by_key_config_selectorIitEEZZNS1_16scan_by_key_implILNS1_25lookback_scan_determinismE0ELb0ES3_N6thrust23THRUST_200600_302600_NS6detail15normal_iteratorINS9_10device_ptrIiEEEENSB_INSC_ItEEEESG_tNS9_4plusIvEENS9_8equal_toIvEEtEE10hipError_tPvRmT2_T3_T4_T5_mT6_T7_P12ihipStream_tbENKUlT_T0_E_clISt17integral_constantIbLb0EES10_IbLb1EEEEDaSW_SX_EUlSW_E_NS1_11comp_targetILNS1_3genE10ELNS1_11target_archE1200ELNS1_3gpuE4ELNS1_3repE0EEENS1_30default_config_static_selectorELNS0_4arch9wavefront6targetE0EEEvT1_.num_agpr, 0
	.set _ZN7rocprim17ROCPRIM_400000_NS6detail17trampoline_kernelINS0_14default_configENS1_27scan_by_key_config_selectorIitEEZZNS1_16scan_by_key_implILNS1_25lookback_scan_determinismE0ELb0ES3_N6thrust23THRUST_200600_302600_NS6detail15normal_iteratorINS9_10device_ptrIiEEEENSB_INSC_ItEEEESG_tNS9_4plusIvEENS9_8equal_toIvEEtEE10hipError_tPvRmT2_T3_T4_T5_mT6_T7_P12ihipStream_tbENKUlT_T0_E_clISt17integral_constantIbLb0EES10_IbLb1EEEEDaSW_SX_EUlSW_E_NS1_11comp_targetILNS1_3genE10ELNS1_11target_archE1200ELNS1_3gpuE4ELNS1_3repE0EEENS1_30default_config_static_selectorELNS0_4arch9wavefront6targetE0EEEvT1_.numbered_sgpr, 0
	.set _ZN7rocprim17ROCPRIM_400000_NS6detail17trampoline_kernelINS0_14default_configENS1_27scan_by_key_config_selectorIitEEZZNS1_16scan_by_key_implILNS1_25lookback_scan_determinismE0ELb0ES3_N6thrust23THRUST_200600_302600_NS6detail15normal_iteratorINS9_10device_ptrIiEEEENSB_INSC_ItEEEESG_tNS9_4plusIvEENS9_8equal_toIvEEtEE10hipError_tPvRmT2_T3_T4_T5_mT6_T7_P12ihipStream_tbENKUlT_T0_E_clISt17integral_constantIbLb0EES10_IbLb1EEEEDaSW_SX_EUlSW_E_NS1_11comp_targetILNS1_3genE10ELNS1_11target_archE1200ELNS1_3gpuE4ELNS1_3repE0EEENS1_30default_config_static_selectorELNS0_4arch9wavefront6targetE0EEEvT1_.num_named_barrier, 0
	.set _ZN7rocprim17ROCPRIM_400000_NS6detail17trampoline_kernelINS0_14default_configENS1_27scan_by_key_config_selectorIitEEZZNS1_16scan_by_key_implILNS1_25lookback_scan_determinismE0ELb0ES3_N6thrust23THRUST_200600_302600_NS6detail15normal_iteratorINS9_10device_ptrIiEEEENSB_INSC_ItEEEESG_tNS9_4plusIvEENS9_8equal_toIvEEtEE10hipError_tPvRmT2_T3_T4_T5_mT6_T7_P12ihipStream_tbENKUlT_T0_E_clISt17integral_constantIbLb0EES10_IbLb1EEEEDaSW_SX_EUlSW_E_NS1_11comp_targetILNS1_3genE10ELNS1_11target_archE1200ELNS1_3gpuE4ELNS1_3repE0EEENS1_30default_config_static_selectorELNS0_4arch9wavefront6targetE0EEEvT1_.private_seg_size, 0
	.set _ZN7rocprim17ROCPRIM_400000_NS6detail17trampoline_kernelINS0_14default_configENS1_27scan_by_key_config_selectorIitEEZZNS1_16scan_by_key_implILNS1_25lookback_scan_determinismE0ELb0ES3_N6thrust23THRUST_200600_302600_NS6detail15normal_iteratorINS9_10device_ptrIiEEEENSB_INSC_ItEEEESG_tNS9_4plusIvEENS9_8equal_toIvEEtEE10hipError_tPvRmT2_T3_T4_T5_mT6_T7_P12ihipStream_tbENKUlT_T0_E_clISt17integral_constantIbLb0EES10_IbLb1EEEEDaSW_SX_EUlSW_E_NS1_11comp_targetILNS1_3genE10ELNS1_11target_archE1200ELNS1_3gpuE4ELNS1_3repE0EEENS1_30default_config_static_selectorELNS0_4arch9wavefront6targetE0EEEvT1_.uses_vcc, 0
	.set _ZN7rocprim17ROCPRIM_400000_NS6detail17trampoline_kernelINS0_14default_configENS1_27scan_by_key_config_selectorIitEEZZNS1_16scan_by_key_implILNS1_25lookback_scan_determinismE0ELb0ES3_N6thrust23THRUST_200600_302600_NS6detail15normal_iteratorINS9_10device_ptrIiEEEENSB_INSC_ItEEEESG_tNS9_4plusIvEENS9_8equal_toIvEEtEE10hipError_tPvRmT2_T3_T4_T5_mT6_T7_P12ihipStream_tbENKUlT_T0_E_clISt17integral_constantIbLb0EES10_IbLb1EEEEDaSW_SX_EUlSW_E_NS1_11comp_targetILNS1_3genE10ELNS1_11target_archE1200ELNS1_3gpuE4ELNS1_3repE0EEENS1_30default_config_static_selectorELNS0_4arch9wavefront6targetE0EEEvT1_.uses_flat_scratch, 0
	.set _ZN7rocprim17ROCPRIM_400000_NS6detail17trampoline_kernelINS0_14default_configENS1_27scan_by_key_config_selectorIitEEZZNS1_16scan_by_key_implILNS1_25lookback_scan_determinismE0ELb0ES3_N6thrust23THRUST_200600_302600_NS6detail15normal_iteratorINS9_10device_ptrIiEEEENSB_INSC_ItEEEESG_tNS9_4plusIvEENS9_8equal_toIvEEtEE10hipError_tPvRmT2_T3_T4_T5_mT6_T7_P12ihipStream_tbENKUlT_T0_E_clISt17integral_constantIbLb0EES10_IbLb1EEEEDaSW_SX_EUlSW_E_NS1_11comp_targetILNS1_3genE10ELNS1_11target_archE1200ELNS1_3gpuE4ELNS1_3repE0EEENS1_30default_config_static_selectorELNS0_4arch9wavefront6targetE0EEEvT1_.has_dyn_sized_stack, 0
	.set _ZN7rocprim17ROCPRIM_400000_NS6detail17trampoline_kernelINS0_14default_configENS1_27scan_by_key_config_selectorIitEEZZNS1_16scan_by_key_implILNS1_25lookback_scan_determinismE0ELb0ES3_N6thrust23THRUST_200600_302600_NS6detail15normal_iteratorINS9_10device_ptrIiEEEENSB_INSC_ItEEEESG_tNS9_4plusIvEENS9_8equal_toIvEEtEE10hipError_tPvRmT2_T3_T4_T5_mT6_T7_P12ihipStream_tbENKUlT_T0_E_clISt17integral_constantIbLb0EES10_IbLb1EEEEDaSW_SX_EUlSW_E_NS1_11comp_targetILNS1_3genE10ELNS1_11target_archE1200ELNS1_3gpuE4ELNS1_3repE0EEENS1_30default_config_static_selectorELNS0_4arch9wavefront6targetE0EEEvT1_.has_recursion, 0
	.set _ZN7rocprim17ROCPRIM_400000_NS6detail17trampoline_kernelINS0_14default_configENS1_27scan_by_key_config_selectorIitEEZZNS1_16scan_by_key_implILNS1_25lookback_scan_determinismE0ELb0ES3_N6thrust23THRUST_200600_302600_NS6detail15normal_iteratorINS9_10device_ptrIiEEEENSB_INSC_ItEEEESG_tNS9_4plusIvEENS9_8equal_toIvEEtEE10hipError_tPvRmT2_T3_T4_T5_mT6_T7_P12ihipStream_tbENKUlT_T0_E_clISt17integral_constantIbLb0EES10_IbLb1EEEEDaSW_SX_EUlSW_E_NS1_11comp_targetILNS1_3genE10ELNS1_11target_archE1200ELNS1_3gpuE4ELNS1_3repE0EEENS1_30default_config_static_selectorELNS0_4arch9wavefront6targetE0EEEvT1_.has_indirect_call, 0
	.section	.AMDGPU.csdata,"",@progbits
; Kernel info:
; codeLenInByte = 0
; TotalNumSgprs: 0
; NumVgprs: 0
; ScratchSize: 0
; MemoryBound: 0
; FloatMode: 240
; IeeeMode: 1
; LDSByteSize: 0 bytes/workgroup (compile time only)
; SGPRBlocks: 0
; VGPRBlocks: 0
; NumSGPRsForWavesPerEU: 1
; NumVGPRsForWavesPerEU: 1
; Occupancy: 16
; WaveLimiterHint : 0
; COMPUTE_PGM_RSRC2:SCRATCH_EN: 0
; COMPUTE_PGM_RSRC2:USER_SGPR: 6
; COMPUTE_PGM_RSRC2:TRAP_HANDLER: 0
; COMPUTE_PGM_RSRC2:TGID_X_EN: 1
; COMPUTE_PGM_RSRC2:TGID_Y_EN: 0
; COMPUTE_PGM_RSRC2:TGID_Z_EN: 0
; COMPUTE_PGM_RSRC2:TIDIG_COMP_CNT: 0
	.section	.text._ZN7rocprim17ROCPRIM_400000_NS6detail17trampoline_kernelINS0_14default_configENS1_27scan_by_key_config_selectorIitEEZZNS1_16scan_by_key_implILNS1_25lookback_scan_determinismE0ELb0ES3_N6thrust23THRUST_200600_302600_NS6detail15normal_iteratorINS9_10device_ptrIiEEEENSB_INSC_ItEEEESG_tNS9_4plusIvEENS9_8equal_toIvEEtEE10hipError_tPvRmT2_T3_T4_T5_mT6_T7_P12ihipStream_tbENKUlT_T0_E_clISt17integral_constantIbLb0EES10_IbLb1EEEEDaSW_SX_EUlSW_E_NS1_11comp_targetILNS1_3genE9ELNS1_11target_archE1100ELNS1_3gpuE3ELNS1_3repE0EEENS1_30default_config_static_selectorELNS0_4arch9wavefront6targetE0EEEvT1_,"axG",@progbits,_ZN7rocprim17ROCPRIM_400000_NS6detail17trampoline_kernelINS0_14default_configENS1_27scan_by_key_config_selectorIitEEZZNS1_16scan_by_key_implILNS1_25lookback_scan_determinismE0ELb0ES3_N6thrust23THRUST_200600_302600_NS6detail15normal_iteratorINS9_10device_ptrIiEEEENSB_INSC_ItEEEESG_tNS9_4plusIvEENS9_8equal_toIvEEtEE10hipError_tPvRmT2_T3_T4_T5_mT6_T7_P12ihipStream_tbENKUlT_T0_E_clISt17integral_constantIbLb0EES10_IbLb1EEEEDaSW_SX_EUlSW_E_NS1_11comp_targetILNS1_3genE9ELNS1_11target_archE1100ELNS1_3gpuE3ELNS1_3repE0EEENS1_30default_config_static_selectorELNS0_4arch9wavefront6targetE0EEEvT1_,comdat
	.protected	_ZN7rocprim17ROCPRIM_400000_NS6detail17trampoline_kernelINS0_14default_configENS1_27scan_by_key_config_selectorIitEEZZNS1_16scan_by_key_implILNS1_25lookback_scan_determinismE0ELb0ES3_N6thrust23THRUST_200600_302600_NS6detail15normal_iteratorINS9_10device_ptrIiEEEENSB_INSC_ItEEEESG_tNS9_4plusIvEENS9_8equal_toIvEEtEE10hipError_tPvRmT2_T3_T4_T5_mT6_T7_P12ihipStream_tbENKUlT_T0_E_clISt17integral_constantIbLb0EES10_IbLb1EEEEDaSW_SX_EUlSW_E_NS1_11comp_targetILNS1_3genE9ELNS1_11target_archE1100ELNS1_3gpuE3ELNS1_3repE0EEENS1_30default_config_static_selectorELNS0_4arch9wavefront6targetE0EEEvT1_ ; -- Begin function _ZN7rocprim17ROCPRIM_400000_NS6detail17trampoline_kernelINS0_14default_configENS1_27scan_by_key_config_selectorIitEEZZNS1_16scan_by_key_implILNS1_25lookback_scan_determinismE0ELb0ES3_N6thrust23THRUST_200600_302600_NS6detail15normal_iteratorINS9_10device_ptrIiEEEENSB_INSC_ItEEEESG_tNS9_4plusIvEENS9_8equal_toIvEEtEE10hipError_tPvRmT2_T3_T4_T5_mT6_T7_P12ihipStream_tbENKUlT_T0_E_clISt17integral_constantIbLb0EES10_IbLb1EEEEDaSW_SX_EUlSW_E_NS1_11comp_targetILNS1_3genE9ELNS1_11target_archE1100ELNS1_3gpuE3ELNS1_3repE0EEENS1_30default_config_static_selectorELNS0_4arch9wavefront6targetE0EEEvT1_
	.globl	_ZN7rocprim17ROCPRIM_400000_NS6detail17trampoline_kernelINS0_14default_configENS1_27scan_by_key_config_selectorIitEEZZNS1_16scan_by_key_implILNS1_25lookback_scan_determinismE0ELb0ES3_N6thrust23THRUST_200600_302600_NS6detail15normal_iteratorINS9_10device_ptrIiEEEENSB_INSC_ItEEEESG_tNS9_4plusIvEENS9_8equal_toIvEEtEE10hipError_tPvRmT2_T3_T4_T5_mT6_T7_P12ihipStream_tbENKUlT_T0_E_clISt17integral_constantIbLb0EES10_IbLb1EEEEDaSW_SX_EUlSW_E_NS1_11comp_targetILNS1_3genE9ELNS1_11target_archE1100ELNS1_3gpuE3ELNS1_3repE0EEENS1_30default_config_static_selectorELNS0_4arch9wavefront6targetE0EEEvT1_
	.p2align	8
	.type	_ZN7rocprim17ROCPRIM_400000_NS6detail17trampoline_kernelINS0_14default_configENS1_27scan_by_key_config_selectorIitEEZZNS1_16scan_by_key_implILNS1_25lookback_scan_determinismE0ELb0ES3_N6thrust23THRUST_200600_302600_NS6detail15normal_iteratorINS9_10device_ptrIiEEEENSB_INSC_ItEEEESG_tNS9_4plusIvEENS9_8equal_toIvEEtEE10hipError_tPvRmT2_T3_T4_T5_mT6_T7_P12ihipStream_tbENKUlT_T0_E_clISt17integral_constantIbLb0EES10_IbLb1EEEEDaSW_SX_EUlSW_E_NS1_11comp_targetILNS1_3genE9ELNS1_11target_archE1100ELNS1_3gpuE3ELNS1_3repE0EEENS1_30default_config_static_selectorELNS0_4arch9wavefront6targetE0EEEvT1_,@function
_ZN7rocprim17ROCPRIM_400000_NS6detail17trampoline_kernelINS0_14default_configENS1_27scan_by_key_config_selectorIitEEZZNS1_16scan_by_key_implILNS1_25lookback_scan_determinismE0ELb0ES3_N6thrust23THRUST_200600_302600_NS6detail15normal_iteratorINS9_10device_ptrIiEEEENSB_INSC_ItEEEESG_tNS9_4plusIvEENS9_8equal_toIvEEtEE10hipError_tPvRmT2_T3_T4_T5_mT6_T7_P12ihipStream_tbENKUlT_T0_E_clISt17integral_constantIbLb0EES10_IbLb1EEEEDaSW_SX_EUlSW_E_NS1_11comp_targetILNS1_3genE9ELNS1_11target_archE1100ELNS1_3gpuE3ELNS1_3repE0EEENS1_30default_config_static_selectorELNS0_4arch9wavefront6targetE0EEEvT1_: ; @_ZN7rocprim17ROCPRIM_400000_NS6detail17trampoline_kernelINS0_14default_configENS1_27scan_by_key_config_selectorIitEEZZNS1_16scan_by_key_implILNS1_25lookback_scan_determinismE0ELb0ES3_N6thrust23THRUST_200600_302600_NS6detail15normal_iteratorINS9_10device_ptrIiEEEENSB_INSC_ItEEEESG_tNS9_4plusIvEENS9_8equal_toIvEEtEE10hipError_tPvRmT2_T3_T4_T5_mT6_T7_P12ihipStream_tbENKUlT_T0_E_clISt17integral_constantIbLb0EES10_IbLb1EEEEDaSW_SX_EUlSW_E_NS1_11comp_targetILNS1_3genE9ELNS1_11target_archE1100ELNS1_3gpuE3ELNS1_3repE0EEENS1_30default_config_static_selectorELNS0_4arch9wavefront6targetE0EEEvT1_
; %bb.0:
	.section	.rodata,"a",@progbits
	.p2align	6, 0x0
	.amdhsa_kernel _ZN7rocprim17ROCPRIM_400000_NS6detail17trampoline_kernelINS0_14default_configENS1_27scan_by_key_config_selectorIitEEZZNS1_16scan_by_key_implILNS1_25lookback_scan_determinismE0ELb0ES3_N6thrust23THRUST_200600_302600_NS6detail15normal_iteratorINS9_10device_ptrIiEEEENSB_INSC_ItEEEESG_tNS9_4plusIvEENS9_8equal_toIvEEtEE10hipError_tPvRmT2_T3_T4_T5_mT6_T7_P12ihipStream_tbENKUlT_T0_E_clISt17integral_constantIbLb0EES10_IbLb1EEEEDaSW_SX_EUlSW_E_NS1_11comp_targetILNS1_3genE9ELNS1_11target_archE1100ELNS1_3gpuE3ELNS1_3repE0EEENS1_30default_config_static_selectorELNS0_4arch9wavefront6targetE0EEEvT1_
		.amdhsa_group_segment_fixed_size 0
		.amdhsa_private_segment_fixed_size 0
		.amdhsa_kernarg_size 112
		.amdhsa_user_sgpr_count 6
		.amdhsa_user_sgpr_private_segment_buffer 1
		.amdhsa_user_sgpr_dispatch_ptr 0
		.amdhsa_user_sgpr_queue_ptr 0
		.amdhsa_user_sgpr_kernarg_segment_ptr 1
		.amdhsa_user_sgpr_dispatch_id 0
		.amdhsa_user_sgpr_flat_scratch_init 0
		.amdhsa_user_sgpr_private_segment_size 0
		.amdhsa_wavefront_size32 1
		.amdhsa_uses_dynamic_stack 0
		.amdhsa_system_sgpr_private_segment_wavefront_offset 0
		.amdhsa_system_sgpr_workgroup_id_x 1
		.amdhsa_system_sgpr_workgroup_id_y 0
		.amdhsa_system_sgpr_workgroup_id_z 0
		.amdhsa_system_sgpr_workgroup_info 0
		.amdhsa_system_vgpr_workitem_id 0
		.amdhsa_next_free_vgpr 1
		.amdhsa_next_free_sgpr 1
		.amdhsa_reserve_vcc 0
		.amdhsa_reserve_flat_scratch 0
		.amdhsa_float_round_mode_32 0
		.amdhsa_float_round_mode_16_64 0
		.amdhsa_float_denorm_mode_32 3
		.amdhsa_float_denorm_mode_16_64 3
		.amdhsa_dx10_clamp 1
		.amdhsa_ieee_mode 1
		.amdhsa_fp16_overflow 0
		.amdhsa_workgroup_processor_mode 1
		.amdhsa_memory_ordered 1
		.amdhsa_forward_progress 1
		.amdhsa_shared_vgpr_count 0
		.amdhsa_exception_fp_ieee_invalid_op 0
		.amdhsa_exception_fp_denorm_src 0
		.amdhsa_exception_fp_ieee_div_zero 0
		.amdhsa_exception_fp_ieee_overflow 0
		.amdhsa_exception_fp_ieee_underflow 0
		.amdhsa_exception_fp_ieee_inexact 0
		.amdhsa_exception_int_div_zero 0
	.end_amdhsa_kernel
	.section	.text._ZN7rocprim17ROCPRIM_400000_NS6detail17trampoline_kernelINS0_14default_configENS1_27scan_by_key_config_selectorIitEEZZNS1_16scan_by_key_implILNS1_25lookback_scan_determinismE0ELb0ES3_N6thrust23THRUST_200600_302600_NS6detail15normal_iteratorINS9_10device_ptrIiEEEENSB_INSC_ItEEEESG_tNS9_4plusIvEENS9_8equal_toIvEEtEE10hipError_tPvRmT2_T3_T4_T5_mT6_T7_P12ihipStream_tbENKUlT_T0_E_clISt17integral_constantIbLb0EES10_IbLb1EEEEDaSW_SX_EUlSW_E_NS1_11comp_targetILNS1_3genE9ELNS1_11target_archE1100ELNS1_3gpuE3ELNS1_3repE0EEENS1_30default_config_static_selectorELNS0_4arch9wavefront6targetE0EEEvT1_,"axG",@progbits,_ZN7rocprim17ROCPRIM_400000_NS6detail17trampoline_kernelINS0_14default_configENS1_27scan_by_key_config_selectorIitEEZZNS1_16scan_by_key_implILNS1_25lookback_scan_determinismE0ELb0ES3_N6thrust23THRUST_200600_302600_NS6detail15normal_iteratorINS9_10device_ptrIiEEEENSB_INSC_ItEEEESG_tNS9_4plusIvEENS9_8equal_toIvEEtEE10hipError_tPvRmT2_T3_T4_T5_mT6_T7_P12ihipStream_tbENKUlT_T0_E_clISt17integral_constantIbLb0EES10_IbLb1EEEEDaSW_SX_EUlSW_E_NS1_11comp_targetILNS1_3genE9ELNS1_11target_archE1100ELNS1_3gpuE3ELNS1_3repE0EEENS1_30default_config_static_selectorELNS0_4arch9wavefront6targetE0EEEvT1_,comdat
.Lfunc_end1307:
	.size	_ZN7rocprim17ROCPRIM_400000_NS6detail17trampoline_kernelINS0_14default_configENS1_27scan_by_key_config_selectorIitEEZZNS1_16scan_by_key_implILNS1_25lookback_scan_determinismE0ELb0ES3_N6thrust23THRUST_200600_302600_NS6detail15normal_iteratorINS9_10device_ptrIiEEEENSB_INSC_ItEEEESG_tNS9_4plusIvEENS9_8equal_toIvEEtEE10hipError_tPvRmT2_T3_T4_T5_mT6_T7_P12ihipStream_tbENKUlT_T0_E_clISt17integral_constantIbLb0EES10_IbLb1EEEEDaSW_SX_EUlSW_E_NS1_11comp_targetILNS1_3genE9ELNS1_11target_archE1100ELNS1_3gpuE3ELNS1_3repE0EEENS1_30default_config_static_selectorELNS0_4arch9wavefront6targetE0EEEvT1_, .Lfunc_end1307-_ZN7rocprim17ROCPRIM_400000_NS6detail17trampoline_kernelINS0_14default_configENS1_27scan_by_key_config_selectorIitEEZZNS1_16scan_by_key_implILNS1_25lookback_scan_determinismE0ELb0ES3_N6thrust23THRUST_200600_302600_NS6detail15normal_iteratorINS9_10device_ptrIiEEEENSB_INSC_ItEEEESG_tNS9_4plusIvEENS9_8equal_toIvEEtEE10hipError_tPvRmT2_T3_T4_T5_mT6_T7_P12ihipStream_tbENKUlT_T0_E_clISt17integral_constantIbLb0EES10_IbLb1EEEEDaSW_SX_EUlSW_E_NS1_11comp_targetILNS1_3genE9ELNS1_11target_archE1100ELNS1_3gpuE3ELNS1_3repE0EEENS1_30default_config_static_selectorELNS0_4arch9wavefront6targetE0EEEvT1_
                                        ; -- End function
	.set _ZN7rocprim17ROCPRIM_400000_NS6detail17trampoline_kernelINS0_14default_configENS1_27scan_by_key_config_selectorIitEEZZNS1_16scan_by_key_implILNS1_25lookback_scan_determinismE0ELb0ES3_N6thrust23THRUST_200600_302600_NS6detail15normal_iteratorINS9_10device_ptrIiEEEENSB_INSC_ItEEEESG_tNS9_4plusIvEENS9_8equal_toIvEEtEE10hipError_tPvRmT2_T3_T4_T5_mT6_T7_P12ihipStream_tbENKUlT_T0_E_clISt17integral_constantIbLb0EES10_IbLb1EEEEDaSW_SX_EUlSW_E_NS1_11comp_targetILNS1_3genE9ELNS1_11target_archE1100ELNS1_3gpuE3ELNS1_3repE0EEENS1_30default_config_static_selectorELNS0_4arch9wavefront6targetE0EEEvT1_.num_vgpr, 0
	.set _ZN7rocprim17ROCPRIM_400000_NS6detail17trampoline_kernelINS0_14default_configENS1_27scan_by_key_config_selectorIitEEZZNS1_16scan_by_key_implILNS1_25lookback_scan_determinismE0ELb0ES3_N6thrust23THRUST_200600_302600_NS6detail15normal_iteratorINS9_10device_ptrIiEEEENSB_INSC_ItEEEESG_tNS9_4plusIvEENS9_8equal_toIvEEtEE10hipError_tPvRmT2_T3_T4_T5_mT6_T7_P12ihipStream_tbENKUlT_T0_E_clISt17integral_constantIbLb0EES10_IbLb1EEEEDaSW_SX_EUlSW_E_NS1_11comp_targetILNS1_3genE9ELNS1_11target_archE1100ELNS1_3gpuE3ELNS1_3repE0EEENS1_30default_config_static_selectorELNS0_4arch9wavefront6targetE0EEEvT1_.num_agpr, 0
	.set _ZN7rocprim17ROCPRIM_400000_NS6detail17trampoline_kernelINS0_14default_configENS1_27scan_by_key_config_selectorIitEEZZNS1_16scan_by_key_implILNS1_25lookback_scan_determinismE0ELb0ES3_N6thrust23THRUST_200600_302600_NS6detail15normal_iteratorINS9_10device_ptrIiEEEENSB_INSC_ItEEEESG_tNS9_4plusIvEENS9_8equal_toIvEEtEE10hipError_tPvRmT2_T3_T4_T5_mT6_T7_P12ihipStream_tbENKUlT_T0_E_clISt17integral_constantIbLb0EES10_IbLb1EEEEDaSW_SX_EUlSW_E_NS1_11comp_targetILNS1_3genE9ELNS1_11target_archE1100ELNS1_3gpuE3ELNS1_3repE0EEENS1_30default_config_static_selectorELNS0_4arch9wavefront6targetE0EEEvT1_.numbered_sgpr, 0
	.set _ZN7rocprim17ROCPRIM_400000_NS6detail17trampoline_kernelINS0_14default_configENS1_27scan_by_key_config_selectorIitEEZZNS1_16scan_by_key_implILNS1_25lookback_scan_determinismE0ELb0ES3_N6thrust23THRUST_200600_302600_NS6detail15normal_iteratorINS9_10device_ptrIiEEEENSB_INSC_ItEEEESG_tNS9_4plusIvEENS9_8equal_toIvEEtEE10hipError_tPvRmT2_T3_T4_T5_mT6_T7_P12ihipStream_tbENKUlT_T0_E_clISt17integral_constantIbLb0EES10_IbLb1EEEEDaSW_SX_EUlSW_E_NS1_11comp_targetILNS1_3genE9ELNS1_11target_archE1100ELNS1_3gpuE3ELNS1_3repE0EEENS1_30default_config_static_selectorELNS0_4arch9wavefront6targetE0EEEvT1_.num_named_barrier, 0
	.set _ZN7rocprim17ROCPRIM_400000_NS6detail17trampoline_kernelINS0_14default_configENS1_27scan_by_key_config_selectorIitEEZZNS1_16scan_by_key_implILNS1_25lookback_scan_determinismE0ELb0ES3_N6thrust23THRUST_200600_302600_NS6detail15normal_iteratorINS9_10device_ptrIiEEEENSB_INSC_ItEEEESG_tNS9_4plusIvEENS9_8equal_toIvEEtEE10hipError_tPvRmT2_T3_T4_T5_mT6_T7_P12ihipStream_tbENKUlT_T0_E_clISt17integral_constantIbLb0EES10_IbLb1EEEEDaSW_SX_EUlSW_E_NS1_11comp_targetILNS1_3genE9ELNS1_11target_archE1100ELNS1_3gpuE3ELNS1_3repE0EEENS1_30default_config_static_selectorELNS0_4arch9wavefront6targetE0EEEvT1_.private_seg_size, 0
	.set _ZN7rocprim17ROCPRIM_400000_NS6detail17trampoline_kernelINS0_14default_configENS1_27scan_by_key_config_selectorIitEEZZNS1_16scan_by_key_implILNS1_25lookback_scan_determinismE0ELb0ES3_N6thrust23THRUST_200600_302600_NS6detail15normal_iteratorINS9_10device_ptrIiEEEENSB_INSC_ItEEEESG_tNS9_4plusIvEENS9_8equal_toIvEEtEE10hipError_tPvRmT2_T3_T4_T5_mT6_T7_P12ihipStream_tbENKUlT_T0_E_clISt17integral_constantIbLb0EES10_IbLb1EEEEDaSW_SX_EUlSW_E_NS1_11comp_targetILNS1_3genE9ELNS1_11target_archE1100ELNS1_3gpuE3ELNS1_3repE0EEENS1_30default_config_static_selectorELNS0_4arch9wavefront6targetE0EEEvT1_.uses_vcc, 0
	.set _ZN7rocprim17ROCPRIM_400000_NS6detail17trampoline_kernelINS0_14default_configENS1_27scan_by_key_config_selectorIitEEZZNS1_16scan_by_key_implILNS1_25lookback_scan_determinismE0ELb0ES3_N6thrust23THRUST_200600_302600_NS6detail15normal_iteratorINS9_10device_ptrIiEEEENSB_INSC_ItEEEESG_tNS9_4plusIvEENS9_8equal_toIvEEtEE10hipError_tPvRmT2_T3_T4_T5_mT6_T7_P12ihipStream_tbENKUlT_T0_E_clISt17integral_constantIbLb0EES10_IbLb1EEEEDaSW_SX_EUlSW_E_NS1_11comp_targetILNS1_3genE9ELNS1_11target_archE1100ELNS1_3gpuE3ELNS1_3repE0EEENS1_30default_config_static_selectorELNS0_4arch9wavefront6targetE0EEEvT1_.uses_flat_scratch, 0
	.set _ZN7rocprim17ROCPRIM_400000_NS6detail17trampoline_kernelINS0_14default_configENS1_27scan_by_key_config_selectorIitEEZZNS1_16scan_by_key_implILNS1_25lookback_scan_determinismE0ELb0ES3_N6thrust23THRUST_200600_302600_NS6detail15normal_iteratorINS9_10device_ptrIiEEEENSB_INSC_ItEEEESG_tNS9_4plusIvEENS9_8equal_toIvEEtEE10hipError_tPvRmT2_T3_T4_T5_mT6_T7_P12ihipStream_tbENKUlT_T0_E_clISt17integral_constantIbLb0EES10_IbLb1EEEEDaSW_SX_EUlSW_E_NS1_11comp_targetILNS1_3genE9ELNS1_11target_archE1100ELNS1_3gpuE3ELNS1_3repE0EEENS1_30default_config_static_selectorELNS0_4arch9wavefront6targetE0EEEvT1_.has_dyn_sized_stack, 0
	.set _ZN7rocprim17ROCPRIM_400000_NS6detail17trampoline_kernelINS0_14default_configENS1_27scan_by_key_config_selectorIitEEZZNS1_16scan_by_key_implILNS1_25lookback_scan_determinismE0ELb0ES3_N6thrust23THRUST_200600_302600_NS6detail15normal_iteratorINS9_10device_ptrIiEEEENSB_INSC_ItEEEESG_tNS9_4plusIvEENS9_8equal_toIvEEtEE10hipError_tPvRmT2_T3_T4_T5_mT6_T7_P12ihipStream_tbENKUlT_T0_E_clISt17integral_constantIbLb0EES10_IbLb1EEEEDaSW_SX_EUlSW_E_NS1_11comp_targetILNS1_3genE9ELNS1_11target_archE1100ELNS1_3gpuE3ELNS1_3repE0EEENS1_30default_config_static_selectorELNS0_4arch9wavefront6targetE0EEEvT1_.has_recursion, 0
	.set _ZN7rocprim17ROCPRIM_400000_NS6detail17trampoline_kernelINS0_14default_configENS1_27scan_by_key_config_selectorIitEEZZNS1_16scan_by_key_implILNS1_25lookback_scan_determinismE0ELb0ES3_N6thrust23THRUST_200600_302600_NS6detail15normal_iteratorINS9_10device_ptrIiEEEENSB_INSC_ItEEEESG_tNS9_4plusIvEENS9_8equal_toIvEEtEE10hipError_tPvRmT2_T3_T4_T5_mT6_T7_P12ihipStream_tbENKUlT_T0_E_clISt17integral_constantIbLb0EES10_IbLb1EEEEDaSW_SX_EUlSW_E_NS1_11comp_targetILNS1_3genE9ELNS1_11target_archE1100ELNS1_3gpuE3ELNS1_3repE0EEENS1_30default_config_static_selectorELNS0_4arch9wavefront6targetE0EEEvT1_.has_indirect_call, 0
	.section	.AMDGPU.csdata,"",@progbits
; Kernel info:
; codeLenInByte = 0
; TotalNumSgprs: 0
; NumVgprs: 0
; ScratchSize: 0
; MemoryBound: 0
; FloatMode: 240
; IeeeMode: 1
; LDSByteSize: 0 bytes/workgroup (compile time only)
; SGPRBlocks: 0
; VGPRBlocks: 0
; NumSGPRsForWavesPerEU: 1
; NumVGPRsForWavesPerEU: 1
; Occupancy: 16
; WaveLimiterHint : 0
; COMPUTE_PGM_RSRC2:SCRATCH_EN: 0
; COMPUTE_PGM_RSRC2:USER_SGPR: 6
; COMPUTE_PGM_RSRC2:TRAP_HANDLER: 0
; COMPUTE_PGM_RSRC2:TGID_X_EN: 1
; COMPUTE_PGM_RSRC2:TGID_Y_EN: 0
; COMPUTE_PGM_RSRC2:TGID_Z_EN: 0
; COMPUTE_PGM_RSRC2:TIDIG_COMP_CNT: 0
	.section	.text._ZN7rocprim17ROCPRIM_400000_NS6detail17trampoline_kernelINS0_14default_configENS1_27scan_by_key_config_selectorIitEEZZNS1_16scan_by_key_implILNS1_25lookback_scan_determinismE0ELb0ES3_N6thrust23THRUST_200600_302600_NS6detail15normal_iteratorINS9_10device_ptrIiEEEENSB_INSC_ItEEEESG_tNS9_4plusIvEENS9_8equal_toIvEEtEE10hipError_tPvRmT2_T3_T4_T5_mT6_T7_P12ihipStream_tbENKUlT_T0_E_clISt17integral_constantIbLb0EES10_IbLb1EEEEDaSW_SX_EUlSW_E_NS1_11comp_targetILNS1_3genE8ELNS1_11target_archE1030ELNS1_3gpuE2ELNS1_3repE0EEENS1_30default_config_static_selectorELNS0_4arch9wavefront6targetE0EEEvT1_,"axG",@progbits,_ZN7rocprim17ROCPRIM_400000_NS6detail17trampoline_kernelINS0_14default_configENS1_27scan_by_key_config_selectorIitEEZZNS1_16scan_by_key_implILNS1_25lookback_scan_determinismE0ELb0ES3_N6thrust23THRUST_200600_302600_NS6detail15normal_iteratorINS9_10device_ptrIiEEEENSB_INSC_ItEEEESG_tNS9_4plusIvEENS9_8equal_toIvEEtEE10hipError_tPvRmT2_T3_T4_T5_mT6_T7_P12ihipStream_tbENKUlT_T0_E_clISt17integral_constantIbLb0EES10_IbLb1EEEEDaSW_SX_EUlSW_E_NS1_11comp_targetILNS1_3genE8ELNS1_11target_archE1030ELNS1_3gpuE2ELNS1_3repE0EEENS1_30default_config_static_selectorELNS0_4arch9wavefront6targetE0EEEvT1_,comdat
	.protected	_ZN7rocprim17ROCPRIM_400000_NS6detail17trampoline_kernelINS0_14default_configENS1_27scan_by_key_config_selectorIitEEZZNS1_16scan_by_key_implILNS1_25lookback_scan_determinismE0ELb0ES3_N6thrust23THRUST_200600_302600_NS6detail15normal_iteratorINS9_10device_ptrIiEEEENSB_INSC_ItEEEESG_tNS9_4plusIvEENS9_8equal_toIvEEtEE10hipError_tPvRmT2_T3_T4_T5_mT6_T7_P12ihipStream_tbENKUlT_T0_E_clISt17integral_constantIbLb0EES10_IbLb1EEEEDaSW_SX_EUlSW_E_NS1_11comp_targetILNS1_3genE8ELNS1_11target_archE1030ELNS1_3gpuE2ELNS1_3repE0EEENS1_30default_config_static_selectorELNS0_4arch9wavefront6targetE0EEEvT1_ ; -- Begin function _ZN7rocprim17ROCPRIM_400000_NS6detail17trampoline_kernelINS0_14default_configENS1_27scan_by_key_config_selectorIitEEZZNS1_16scan_by_key_implILNS1_25lookback_scan_determinismE0ELb0ES3_N6thrust23THRUST_200600_302600_NS6detail15normal_iteratorINS9_10device_ptrIiEEEENSB_INSC_ItEEEESG_tNS9_4plusIvEENS9_8equal_toIvEEtEE10hipError_tPvRmT2_T3_T4_T5_mT6_T7_P12ihipStream_tbENKUlT_T0_E_clISt17integral_constantIbLb0EES10_IbLb1EEEEDaSW_SX_EUlSW_E_NS1_11comp_targetILNS1_3genE8ELNS1_11target_archE1030ELNS1_3gpuE2ELNS1_3repE0EEENS1_30default_config_static_selectorELNS0_4arch9wavefront6targetE0EEEvT1_
	.globl	_ZN7rocprim17ROCPRIM_400000_NS6detail17trampoline_kernelINS0_14default_configENS1_27scan_by_key_config_selectorIitEEZZNS1_16scan_by_key_implILNS1_25lookback_scan_determinismE0ELb0ES3_N6thrust23THRUST_200600_302600_NS6detail15normal_iteratorINS9_10device_ptrIiEEEENSB_INSC_ItEEEESG_tNS9_4plusIvEENS9_8equal_toIvEEtEE10hipError_tPvRmT2_T3_T4_T5_mT6_T7_P12ihipStream_tbENKUlT_T0_E_clISt17integral_constantIbLb0EES10_IbLb1EEEEDaSW_SX_EUlSW_E_NS1_11comp_targetILNS1_3genE8ELNS1_11target_archE1030ELNS1_3gpuE2ELNS1_3repE0EEENS1_30default_config_static_selectorELNS0_4arch9wavefront6targetE0EEEvT1_
	.p2align	8
	.type	_ZN7rocprim17ROCPRIM_400000_NS6detail17trampoline_kernelINS0_14default_configENS1_27scan_by_key_config_selectorIitEEZZNS1_16scan_by_key_implILNS1_25lookback_scan_determinismE0ELb0ES3_N6thrust23THRUST_200600_302600_NS6detail15normal_iteratorINS9_10device_ptrIiEEEENSB_INSC_ItEEEESG_tNS9_4plusIvEENS9_8equal_toIvEEtEE10hipError_tPvRmT2_T3_T4_T5_mT6_T7_P12ihipStream_tbENKUlT_T0_E_clISt17integral_constantIbLb0EES10_IbLb1EEEEDaSW_SX_EUlSW_E_NS1_11comp_targetILNS1_3genE8ELNS1_11target_archE1030ELNS1_3gpuE2ELNS1_3repE0EEENS1_30default_config_static_selectorELNS0_4arch9wavefront6targetE0EEEvT1_,@function
_ZN7rocprim17ROCPRIM_400000_NS6detail17trampoline_kernelINS0_14default_configENS1_27scan_by_key_config_selectorIitEEZZNS1_16scan_by_key_implILNS1_25lookback_scan_determinismE0ELb0ES3_N6thrust23THRUST_200600_302600_NS6detail15normal_iteratorINS9_10device_ptrIiEEEENSB_INSC_ItEEEESG_tNS9_4plusIvEENS9_8equal_toIvEEtEE10hipError_tPvRmT2_T3_T4_T5_mT6_T7_P12ihipStream_tbENKUlT_T0_E_clISt17integral_constantIbLb0EES10_IbLb1EEEEDaSW_SX_EUlSW_E_NS1_11comp_targetILNS1_3genE8ELNS1_11target_archE1030ELNS1_3gpuE2ELNS1_3repE0EEENS1_30default_config_static_selectorELNS0_4arch9wavefront6targetE0EEEvT1_: ; @_ZN7rocprim17ROCPRIM_400000_NS6detail17trampoline_kernelINS0_14default_configENS1_27scan_by_key_config_selectorIitEEZZNS1_16scan_by_key_implILNS1_25lookback_scan_determinismE0ELb0ES3_N6thrust23THRUST_200600_302600_NS6detail15normal_iteratorINS9_10device_ptrIiEEEENSB_INSC_ItEEEESG_tNS9_4plusIvEENS9_8equal_toIvEEtEE10hipError_tPvRmT2_T3_T4_T5_mT6_T7_P12ihipStream_tbENKUlT_T0_E_clISt17integral_constantIbLb0EES10_IbLb1EEEEDaSW_SX_EUlSW_E_NS1_11comp_targetILNS1_3genE8ELNS1_11target_archE1030ELNS1_3gpuE2ELNS1_3repE0EEENS1_30default_config_static_selectorELNS0_4arch9wavefront6targetE0EEEvT1_
; %bb.0:
	s_clause 0x1
	s_load_dwordx4 s[24:27], s[4:5], 0x28
	s_load_dwordx2 s[28:29], s[4:5], 0x38
	v_cmp_ne_u32_e64 s1, 0, v0
	v_cmp_eq_u32_e64 s0, 0, v0
	s_and_saveexec_b32 s2, s0
	s_cbranch_execz .LBB1308_4
; %bb.1:
	s_mov_b32 s6, exec_lo
	s_mov_b32 s3, exec_lo
	v_mbcnt_lo_u32_b32 v1, s6, 0
                                        ; implicit-def: $vgpr2
	v_cmpx_eq_u32_e32 0, v1
	s_cbranch_execz .LBB1308_3
; %bb.2:
	s_load_dwordx2 s[8:9], s[4:5], 0x68
	s_bcnt1_i32_b32 s6, s6
	v_mov_b32_e32 v2, 0
	v_mov_b32_e32 v3, s6
	s_waitcnt lgkmcnt(0)
	global_atomic_add v2, v2, v3, s[8:9] glc
.LBB1308_3:
	s_or_b32 exec_lo, exec_lo, s3
	s_waitcnt vmcnt(0)
	v_readfirstlane_b32 s3, v2
	v_mov_b32_e32 v2, 0
	v_add_nc_u32_e32 v1, s3, v1
	ds_write_b32 v2, v1
.LBB1308_4:
	s_or_b32 exec_lo, exec_lo, s2
	v_mov_b32_e32 v1, 0
	s_clause 0x2
	s_load_dwordx8 s[8:15], s[4:5], 0x0
	s_load_dword s6, s[4:5], 0x40
	s_load_dwordx8 s[16:23], s[4:5], 0x48
	s_waitcnt lgkmcnt(0)
	s_barrier
	buffer_gl0_inv
	ds_read_b32 v1, v1
	s_mov_b32 s3, 0
	s_waitcnt lgkmcnt(0)
	s_barrier
	buffer_gl0_inv
	s_barrier
	buffer_gl0_inv
	s_lshl_b64 s[4:5], s[10:11], 2
	s_mul_i32 s2, s29, s6
	s_add_u32 s8, s8, s4
	s_addc_u32 s9, s9, s5
	s_lshl_b64 s[10:11], s[10:11], 1
	s_mul_hi_u32 s7, s28, s6
	v_readfirstlane_b32 s34, v1
	s_add_u32 s27, s12, s10
	s_addc_u32 s30, s13, s11
	s_add_i32 s7, s7, s2
	s_cmp_lg_u64 s[20:21], 0
	s_mul_i32 s2, s34, 0x1c0
	s_cselect_b32 s36, -1, 0
	s_lshl_b64 s[4:5], s[2:3], 2
	s_add_u32 s20, s8, s4
	s_addc_u32 s21, s9, s5
	s_lshl_b64 s[12:13], s[2:3], 1
	s_mul_i32 s2, s28, s6
	s_add_u32 s9, s27, s12
	s_addc_u32 s35, s30, s13
	s_add_u32 s30, s2, s34
	s_addc_u32 s31, s7, 0
	s_add_u32 s4, s16, -1
	s_addc_u32 s5, s17, -1
	s_mul_i32 s33, s4, 0xfffffe40
	v_cmp_ge_u64_e64 s27, s[30:31], s[4:5]
	s_and_b32 vcc_lo, exec_lo, s27
	s_cbranch_vccz .LBB1308_46
; %bb.5:
	v_mov_b32_e32 v1, s20
	v_mov_b32_e32 v2, s21
	s_add_i32 s37, s33, s26
	v_cmp_gt_u32_e64 s8, s37, v0
	flat_load_dword v1, v[1:2]
	s_waitcnt vmcnt(0) lgkmcnt(0)
	v_mov_b32_e32 v2, v1
	s_and_saveexec_b32 s2, s8
	s_cbranch_execz .LBB1308_7
; %bb.6:
	v_lshlrev_b32_e32 v2, 2, v0
	v_add_co_u32 v2, s3, s20, v2
	v_add_co_ci_u32_e64 v3, null, s21, 0, s3
	flat_load_dword v2, v[2:3]
.LBB1308_7:
	s_or_b32 exec_lo, exec_lo, s2
	v_or_b32_e32 v3, 64, v0
	v_cmp_gt_u32_e64 s7, s37, v3
	v_mov_b32_e32 v3, v1
	s_and_saveexec_b32 s2, s7
	s_cbranch_execz .LBB1308_9
; %bb.8:
	v_lshlrev_b32_e32 v3, 2, v0
	v_add_co_u32 v3, s3, s20, v3
	v_add_co_ci_u32_e64 v4, null, s21, 0, s3
	flat_load_dword v3, v[3:4] offset:256
.LBB1308_9:
	s_or_b32 exec_lo, exec_lo, s2
	v_or_b32_e32 v4, 0x80, v0
	v_cmp_gt_u32_e64 s6, s37, v4
	v_mov_b32_e32 v4, v1
	s_and_saveexec_b32 s2, s6
	s_cbranch_execz .LBB1308_11
; %bb.10:
	v_lshlrev_b32_e32 v4, 2, v0
	v_add_co_u32 v4, s3, s20, v4
	v_add_co_ci_u32_e64 v5, null, s21, 0, s3
	flat_load_dword v4, v[4:5] offset:512
.LBB1308_11:
	;; [unrolled: 12-line block ×5, first 2 shown]
	s_or_b32 exec_lo, exec_lo, s2
	v_or_b32_e32 v8, 0x180, v0
	s_mov_b32 s16, exec_lo
	v_cmp_gt_u32_e64 s2, s37, v8
	v_cmpx_le_u32_e64 s37, v8
	s_xor_b32 s16, exec_lo, s16
	s_andn2_saveexec_b32 s16, s16
	s_cbranch_execz .LBB1308_19
; %bb.18:
	v_lshlrev_b32_e32 v1, 2, v0
	v_add_co_u32 v8, s17, s20, v1
	v_add_co_ci_u32_e64 v9, null, s21, 0, s17
	flat_load_dword v1, v[8:9] offset:1536
.LBB1308_19:
	s_or_b32 exec_lo, exec_lo, s16
	v_lshlrev_b32_e32 v8, 2, v0
	s_cmp_eq_u64 s[30:31], 0
	s_mov_b64 s[16:17], s[20:21]
	s_waitcnt vmcnt(0) lgkmcnt(0)
	ds_write2st64_b32 v8, v2, v3 offset1:1
	ds_write2st64_b32 v8, v4, v5 offset0:2 offset1:3
	ds_write2st64_b32 v8, v6, v7 offset0:4 offset1:5
	v_mad_u32_u24 v2, v0, 24, v8
	ds_write_b32 v8, v1 offset:1536
	s_waitcnt lgkmcnt(0)
	s_barrier
	buffer_gl0_inv
	ds_read2_b32 v[15:16], v2 offset1:1
	ds_read2_b32 v[13:14], v2 offset0:2 offset1:3
	ds_read2_b32 v[11:12], v2 offset0:4 offset1:5
	ds_read_b32 v18, v2 offset:24
	s_cbranch_scc1 .LBB1308_23
; %bb.20:
	s_andn2_b32 vcc_lo, exec_lo, s36
	s_cbranch_vccnz .LBB1308_181
; %bb.21:
	s_lshl_b64 s[16:17], s[30:31], 2
	s_add_u32 s16, s22, s16
	s_addc_u32 s17, s23, s17
	s_add_u32 s16, s16, -4
	s_addc_u32 s17, s17, -1
	s_cbranch_execnz .LBB1308_23
.LBB1308_22:
	s_add_u32 s16, s20, -4
	s_addc_u32 s17, s21, -1
.LBB1308_23:
	v_mov_b32_e32 v3, s16
	v_mov_b32_e32 v4, s17
	v_mad_i32_i24 v2, 0xffffffe8, v0, v2
	flat_load_dword v1, v[3:4]
	s_waitcnt lgkmcnt(1)
	ds_write_b32 v2, v18 offset:1792
	s_waitcnt vmcnt(0) lgkmcnt(0)
	s_barrier
	buffer_gl0_inv
	s_and_saveexec_b32 s16, s1
; %bb.24:
	ds_read_b32 v1, v2 offset:1788
; %bb.25:
	s_or_b32 exec_lo, exec_lo, s16
	v_mov_b32_e32 v5, 0
	v_lshlrev_b32_e32 v3, 1, v0
	s_waitcnt lgkmcnt(0)
	s_barrier
	buffer_gl0_inv
	v_mov_b32_e32 v6, v5
	v_mov_b32_e32 v7, v5
	v_mov_b32_e32 v8, v5
	s_and_saveexec_b32 s16, s8
	s_cbranch_execnz .LBB1308_175
; %bb.26:
	s_or_b32 exec_lo, exec_lo, s16
	s_and_saveexec_b32 s8, s7
	s_cbranch_execnz .LBB1308_176
.LBB1308_27:
	s_or_b32 exec_lo, exec_lo, s8
	s_and_saveexec_b32 s7, s6
	s_cbranch_execnz .LBB1308_177
.LBB1308_28:
	s_or_b32 exec_lo, exec_lo, s7
	s_and_saveexec_b32 s6, s5
	s_cbranch_execnz .LBB1308_178
.LBB1308_29:
	s_or_b32 exec_lo, exec_lo, s6
	s_and_saveexec_b32 s5, s4
	s_cbranch_execnz .LBB1308_179
.LBB1308_30:
	s_or_b32 exec_lo, exec_lo, s5
	s_and_saveexec_b32 s4, s3
	s_cbranch_execnz .LBB1308_180
.LBB1308_31:
	s_or_b32 exec_lo, exec_lo, s4
	s_and_saveexec_b32 s3, s2
	s_cbranch_execz .LBB1308_33
.LBB1308_32:
	v_add_co_u32 v3, s2, s9, v3
	v_add_co_ci_u32_e64 v4, null, s35, 0, s2
	flat_load_short_d16 v8, v[3:4] offset:768
.LBB1308_33:
	s_or_b32 exec_lo, exec_lo, s3
	v_lshlrev_b32_e32 v3, 1, v0
	v_mov_b32_e32 v4, 0
	v_mul_u32_u24_e32 v21, 7, v0
	s_mov_b32 s2, 0
	s_mov_b32 s3, 0
	v_sub_nc_u32_e32 v9, v2, v3
	v_mov_b32_e32 v2, v4
	v_mov_b32_e32 v17, v4
	;; [unrolled: 1-line block ×3, first 2 shown]
	s_mov_b32 s5, exec_lo
	s_waitcnt vmcnt(0) lgkmcnt(0)
	ds_write_b16 v9, v5
	ds_write_b16_d16_hi v9, v5 offset:128
	ds_write_b16 v9, v6 offset:256
	ds_write_b16_d16_hi v9, v6 offset:384
	ds_write_b16 v9, v7 offset:512
	;; [unrolled: 2-line block ×3, first 2 shown]
	v_mov_b32_e32 v5, v4
	v_mov_b32_e32 v6, v4
	;; [unrolled: 1-line block ×3, first 2 shown]
	s_waitcnt lgkmcnt(0)
	s_barrier
	buffer_gl0_inv
                                        ; implicit-def: $sgpr4
                                        ; implicit-def: $vgpr19
	v_cmpx_gt_u32_e64 s37, v21
	s_cbranch_execz .LBB1308_45
; %bb.34:
	v_mad_u32_u24 v2, v0, 12, v9
	v_mov_b32_e32 v4, 0
	v_cmp_eq_u32_e32 vcc_lo, v1, v15
	s_mov_b32 s6, 0
	s_mov_b32 s3, exec_lo
	ds_read_u16 v17, v2
	v_add_nc_u32_e32 v2, 1, v21
	v_cndmask_b32_e64 v20, 0x10000, 0, vcc_lo
	v_mov_b32_e32 v5, v4
	v_mov_b32_e32 v6, v4
	;; [unrolled: 1-line block ×4, first 2 shown]
                                        ; implicit-def: $sgpr4
                                        ; implicit-def: $vgpr19
	v_cmpx_gt_u32_e64 s37, v2
	s_cbranch_execz .LBB1308_44
; %bb.35:
	v_mul_u32_u24_e32 v1, 12, v0
	v_cmp_eq_u32_e32 vcc_lo, v15, v16
	v_mov_b32_e32 v3, 0
	v_add_nc_u32_e32 v5, 2, v21
	s_mov_b32 s7, 0
	v_add_nc_u32_e32 v1, v9, v1
                                        ; implicit-def: $sgpr4
                                        ; implicit-def: $vgpr19
	v_mov_b32_e32 v4, v3
	v_mov_b32_e32 v2, v3
	ds_read_b96 v[8:10], v1 offset:2
	v_cndmask_b32_e64 v1, 0x10000, 0, vcc_lo
	v_cmp_gt_u32_e32 vcc_lo, s37, v5
	s_waitcnt lgkmcnt(0)
	v_and_or_b32 v1, 0xffff, v8, v1
	v_mov_b32_e32 v7, v4
	v_mov_b32_e32 v6, v3
	;; [unrolled: 1-line block ×4, first 2 shown]
	s_and_saveexec_b32 s6, vcc_lo
	s_cbranch_execz .LBB1308_43
; %bb.36:
	v_cmp_eq_u32_e32 vcc_lo, v16, v13
	v_add_nc_u32_e32 v5, 3, v21
	v_mov_b32_e32 v4, v3
	s_mov_b32 s8, 0
                                        ; implicit-def: $sgpr4
                                        ; implicit-def: $vgpr19
	v_cndmask_b32_e64 v2, 0x10000, 0, vcc_lo
	v_cmp_gt_u32_e32 vcc_lo, s37, v5
	v_or_b32_sdwa v2, v2, v8 dst_sel:DWORD dst_unused:UNUSED_PAD src0_sel:DWORD src1_sel:WORD_1
	v_mov_b32_e32 v7, v4
	v_mov_b32_e32 v6, v3
	;; [unrolled: 1-line block ×4, first 2 shown]
	s_and_saveexec_b32 s7, vcc_lo
	s_cbranch_execz .LBB1308_42
; %bb.37:
	v_cmp_eq_u32_e32 vcc_lo, v13, v14
	v_add_nc_u32_e32 v4, 4, v21
	s_mov_b32 s16, 0
	v_mov_b32_e32 v8, 0
                                        ; implicit-def: $sgpr4
                                        ; implicit-def: $vgpr19
	v_cndmask_b32_e64 v3, 0x10000, 0, vcc_lo
	v_cmp_gt_u32_e32 vcc_lo, s37, v4
	v_mov_b32_e32 v4, s16
	v_and_or_b32 v3, 0xffff, v9, v3
	s_and_saveexec_b32 s8, vcc_lo
	s_cbranch_execz .LBB1308_41
; %bb.38:
	v_cmp_eq_u32_e32 vcc_lo, v14, v11
	v_add_nc_u32_e32 v5, 5, v21
	v_mov_b32_e32 v8, 0
	s_mov_b32 s17, 0
	s_mov_b32 s16, exec_lo
	v_cndmask_b32_e64 v4, 0x10000, 0, vcc_lo
                                        ; implicit-def: $sgpr4
                                        ; implicit-def: $vgpr19
	v_or_b32_sdwa v4, v4, v9 dst_sel:DWORD dst_unused:UNUSED_PAD src0_sel:DWORD src1_sel:WORD_1
	v_cmpx_gt_u32_e64 s37, v5
	s_xor_b32 s16, exec_lo, s16
	s_cbranch_execz .LBB1308_40
; %bb.39:
	v_cmp_eq_u32_e32 vcc_lo, v11, v12
	v_add_nc_u32_e32 v5, 6, v21
	v_lshrrev_b32_e32 v19, 16, v10
	v_cmp_ne_u32_e64 s4, v12, v18
	v_cndmask_b32_e64 v6, 0x10000, 0, vcc_lo
	v_cmp_gt_u32_e32 vcc_lo, s37, v5
	v_and_or_b32 v8, 0xffff, v10, v6
	s_and_b32 s17, vcc_lo, exec_lo
.LBB1308_40:
	s_or_b32 exec_lo, exec_lo, s16
	s_and_b32 s16, s17, exec_lo
.LBB1308_41:
	s_or_b32 exec_lo, exec_lo, s8
	v_mov_b32_e32 v7, v4
	v_mov_b32_e32 v6, v3
	;; [unrolled: 1-line block ×5, first 2 shown]
	s_and_b32 s8, s16, exec_lo
.LBB1308_42:
	s_or_b32 exec_lo, exec_lo, s7
	s_and_b32 s7, s8, exec_lo
.LBB1308_43:
	s_or_b32 exec_lo, exec_lo, s6
	s_and_b32 s6, s7, exec_lo
.LBB1308_44:
	s_or_b32 exec_lo, exec_lo, s3
	s_waitcnt lgkmcnt(0)
	v_or_b32_e32 v2, v20, v17
	s_and_b32 s3, s6, exec_lo
	v_mov_b32_e32 v17, v2
.LBB1308_45:
	s_or_b32 exec_lo, exec_lo, s5
	s_and_b32 vcc_lo, exec_lo, s2
	s_cbranch_vccnz .LBB1308_47
	s_branch .LBB1308_55
.LBB1308_46:
                                        ; implicit-def: $sgpr4
                                        ; implicit-def: $vgpr4_vgpr5_vgpr6_vgpr7
                                        ; implicit-def: $vgpr19
                                        ; implicit-def: $vgpr2
                                        ; implicit-def: $vgpr17
                                        ; implicit-def: $vgpr3
	s_cbranch_execz .LBB1308_55
.LBB1308_47:
	v_lshlrev_b32_e32 v3, 2, v0
	s_cmp_eq_u64 s[30:31], 0
	v_add_co_u32 v1, s2, s20, v3
	v_add_co_ci_u32_e64 v2, null, s21, 0, s2
	v_mad_u32_u24 v12, v0, 24, v3
	s_clause 0x6
	flat_load_dword v4, v[1:2]
	flat_load_dword v5, v[1:2] offset:256
	flat_load_dword v6, v[1:2] offset:512
	;; [unrolled: 1-line block ×6, first 2 shown]
	s_waitcnt vmcnt(5) lgkmcnt(5)
	ds_write2st64_b32 v3, v4, v5 offset1:1
	s_waitcnt vmcnt(3) lgkmcnt(4)
	ds_write2st64_b32 v3, v6, v7 offset0:2 offset1:3
	s_waitcnt vmcnt(1) lgkmcnt(3)
	ds_write2st64_b32 v3, v8, v9 offset0:4 offset1:5
	s_waitcnt vmcnt(0) lgkmcnt(3)
	ds_write_b32 v3, v1 offset:1536
	s_waitcnt lgkmcnt(0)
	s_barrier
	buffer_gl0_inv
	ds_read2_b32 v[7:8], v12 offset0:2 offset1:3
	ds_read2_b32 v[3:4], v12 offset1:1
	ds_read2_b32 v[1:2], v12 offset0:3 offset1:4
	ds_read2_b32 v[9:10], v12 offset0:1 offset1:2
	;; [unrolled: 1-line block ×3, first 2 shown]
	s_cbranch_scc1 .LBB1308_52
; %bb.48:
	s_andn2_b32 vcc_lo, exec_lo, s36
	s_cbranch_vccnz .LBB1308_182
; %bb.49:
	s_lshl_b64 s[2:3], s[30:31], 2
	s_add_u32 s2, s22, s2
	s_addc_u32 s3, s23, s3
	s_add_u32 s2, s2, -4
	s_addc_u32 s3, s3, -1
	s_cbranch_execnz .LBB1308_51
.LBB1308_50:
	s_add_u32 s2, s20, -4
	s_addc_u32 s3, s21, -1
.LBB1308_51:
	s_mov_b64 s[20:21], s[2:3]
.LBB1308_52:
	v_mov_b32_e32 v13, s20
	v_mov_b32_e32 v14, s21
	v_mad_i32_i24 v12, 0xffffffe8, v0, v12
	flat_load_dword v11, v[13:14]
	s_waitcnt lgkmcnt(1)
	ds_write_b32 v12, v6 offset:1792
	s_waitcnt vmcnt(0) lgkmcnt(0)
	s_barrier
	buffer_gl0_inv
	s_and_saveexec_b32 s2, s1
; %bb.53:
	ds_read_b32 v11, v12 offset:1788
; %bb.54:
	s_or_b32 exec_lo, exec_lo, s2
	v_lshlrev_b32_e32 v15, 1, v0
	s_waitcnt lgkmcnt(0)
	s_barrier
	buffer_gl0_inv
	v_cmp_eq_u32_e32 vcc_lo, v11, v3
	v_add_co_u32 v13, s2, s9, v15
	v_add_co_ci_u32_e64 v14, null, s35, 0, s2
	v_sub_nc_u32_e32 v12, v12, v15
	v_cmp_ne_u32_e64 s4, v5, v6
	v_cndmask_b32_e64 v6, 0x10000, 0, vcc_lo
	s_clause 0x6
	flat_load_ushort v16, v[13:14]
	flat_load_ushort v17, v[13:14] offset:128
	flat_load_ushort v18, v[13:14] offset:256
	;; [unrolled: 1-line block ×6, first 2 shown]
	v_cmp_ne_u32_e32 vcc_lo, v3, v9
	v_mad_u32_u24 v15, v0, 12, v12
	s_mov_b32 s3, -1
	s_waitcnt vmcnt(6) lgkmcnt(6)
	ds_write_b16 v12, v16
	s_waitcnt vmcnt(5) lgkmcnt(6)
	ds_write_b16 v12, v17 offset:128
	s_waitcnt vmcnt(4) lgkmcnt(6)
	ds_write_b16 v12, v18 offset:256
	;; [unrolled: 2-line block ×6, first 2 shown]
	s_waitcnt lgkmcnt(0)
	s_barrier
	buffer_gl0_inv
	ds_read_b96 v[12:14], v15
	ds_read_u16 v19, v15 offset:12
	v_cndmask_b32_e64 v3, 0, 0x10000, vcc_lo
	v_cmp_ne_u32_e32 vcc_lo, v7, v1
	v_cndmask_b32_e64 v1, 0, 0x10000, vcc_lo
	v_cmp_ne_u32_e32 vcc_lo, v8, v2
	v_cndmask_b32_e64 v7, 0, 0x10000, vcc_lo
	v_cmp_ne_u32_e32 vcc_lo, v4, v10
	v_cndmask_b32_e64 v4, 0, 0x10000, vcc_lo
	v_cmp_eq_u32_e32 vcc_lo, v2, v5
	s_waitcnt lgkmcnt(1)
	v_and_or_b32 v2, 0xffff, v12, v6
	v_and_or_b32 v7, 0xffff, v14, v7
	v_or_b32_sdwa v6, v1, v13 dst_sel:DWORD dst_unused:UNUSED_PAD src0_sel:DWORD src1_sel:WORD_1
	v_and_or_b32 v5, 0xffff, v13, v4
	v_cndmask_b32_e64 v8, 0x10000, 0, vcc_lo
	v_or_b32_sdwa v4, v3, v12 dst_sel:DWORD dst_unused:UNUSED_PAD src0_sel:DWORD src1_sel:WORD_1
	v_mov_b32_e32 v17, v2
	v_or_b32_sdwa v3, v8, v14 dst_sel:DWORD dst_unused:UNUSED_PAD src0_sel:DWORD src1_sel:WORD_1
.LBB1308_55:
	v_mov_b32_e32 v15, 0
	s_and_saveexec_b32 s2, s3
	s_cbranch_execz .LBB1308_57
; %bb.56:
	v_cndmask_b32_e64 v1, 0, 0x10000, s4
	v_mov_b32_e32 v17, v2
	s_waitcnt lgkmcnt(0)
	v_or_b32_sdwa v15, v1, v19 dst_sel:DWORD dst_unused:UNUSED_PAD src0_sel:DWORD src1_sel:WORD_0
.LBB1308_57:
	s_or_b32 exec_lo, exec_lo, s2
	v_cmp_gt_u32_e64 s7, 0x10000, v4
	v_cmp_gt_u32_e64 s6, 0x10000, v5
	;; [unrolled: 1-line block ×6, first 2 shown]
	v_mbcnt_lo_u32_b32 v16, -1, 0
	s_cmp_lg_u32 s34, 0
	s_waitcnt lgkmcnt(0)
	s_barrier
	buffer_gl0_inv
	s_cbranch_scc0 .LBB1308_111
; %bb.58:
	v_cndmask_b32_e64 v1, 0, v17, s7
	v_or_b32_e32 v2, v3, v15
	v_lshrrev_b32_e32 v18, 16, v17
	s_mov_b32 s8, exec_lo
	v_add_nc_u16 v1, v1, v4
	v_or3_b32 v2, v2, v7, v6
	v_cndmask_b32_e64 v1, 0, v1, s6
	v_or3_b32 v2, v2, v5, v4
	v_add_nc_u16 v1, v1, v5
	v_and_b32_e32 v2, 0xff0000, v2
	v_cndmask_b32_e64 v1, 0, v1, s5
	v_cmp_eq_u32_e32 vcc_lo, 0, v2
	v_add_nc_u16 v1, v1, v6
	v_cndmask_b32_e32 v2, 1, v18, vcc_lo
	v_cndmask_b32_e64 v1, 0, v1, s4
	v_and_b32_e32 v9, 0xff, v2
	v_add_nc_u16 v1, v1, v7
	v_cndmask_b32_e64 v1, 0, v1, s3
	v_add_nc_u16 v1, v1, v3
	v_cndmask_b32_e64 v1, 0, v1, s2
	v_add_nc_u16 v1, v1, v15
	v_and_b32_e32 v8, 0xffff, v1
	v_lshl_or_b32 v10, v9, 16, v8
	v_and_b32_e32 v8, 15, v16
	v_mov_b32_dpp v11, v10 row_shr:1 row_mask:0xf bank_mask:0xf
	v_cmpx_ne_u32_e32 0, v8
	s_cbranch_execz .LBB1308_60
; %bb.59:
	v_mov_b32_e32 v10, 1
	v_and_b32_e32 v2, 1, v2
	v_cmp_eq_u16_e32 vcc_lo, 0, v9
	v_and_b32_sdwa v10, v11, v10 dst_sel:DWORD dst_unused:UNUSED_PAD src0_sel:WORD_1 src1_sel:DWORD
	v_cndmask_b32_e32 v9, 0, v11, vcc_lo
	v_cmp_eq_u32_e32 vcc_lo, 1, v2
	v_add_nc_u16 v1, v9, v1
	v_cndmask_b32_e64 v2, v10, 1, vcc_lo
	v_lshlrev_b32_e32 v9, 16, v2
	v_or_b32_sdwa v10, v9, v1 dst_sel:DWORD dst_unused:UNUSED_PAD src0_sel:DWORD src1_sel:WORD_0
.LBB1308_60:
	s_or_b32 exec_lo, exec_lo, s8
	v_lshrrev_b32_e32 v9, 16, v10
	v_mov_b32_dpp v11, v10 row_shr:2 row_mask:0xf bank_mask:0xf
	s_mov_b32 s8, exec_lo
	v_cmpx_lt_u32_e32 1, v8
	s_cbranch_execz .LBB1308_62
; %bb.61:
	v_mov_b32_e32 v2, 1
	v_and_b32_e32 v9, 0x10000, v10
	v_cmp_gt_u32_e32 vcc_lo, 0x10000, v10
	v_and_b32_sdwa v2, v11, v2 dst_sel:DWORD dst_unused:UNUSED_PAD src0_sel:WORD_1 src1_sel:DWORD
	v_cndmask_b32_e32 v10, 0, v11, vcc_lo
	v_cmp_ne_u32_e32 vcc_lo, 0, v9
	v_add_nc_u16 v1, v10, v1
	v_cndmask_b32_e64 v2, v2, 1, vcc_lo
	v_lshlrev_b32_e32 v9, 16, v2
	v_or_b32_sdwa v10, v9, v1 dst_sel:DWORD dst_unused:UNUSED_PAD src0_sel:DWORD src1_sel:WORD_0
	v_mov_b32_e32 v9, v2
.LBB1308_62:
	s_or_b32 exec_lo, exec_lo, s8
	v_mov_b32_dpp v11, v10 row_shr:4 row_mask:0xf bank_mask:0xf
	s_mov_b32 s8, exec_lo
	v_cmpx_lt_u32_e32 3, v8
	s_cbranch_execz .LBB1308_64
; %bb.63:
	v_mov_b32_e32 v2, 1
	v_and_b32_e32 v10, 1, v9
	v_cmp_eq_u16_e32 vcc_lo, 0, v9
	v_and_b32_sdwa v2, v11, v2 dst_sel:DWORD dst_unused:UNUSED_PAD src0_sel:WORD_1 src1_sel:DWORD
	v_cndmask_b32_e32 v9, 0, v11, vcc_lo
	v_cmp_eq_u32_e32 vcc_lo, 1, v10
	v_add_nc_u16 v1, v9, v1
	v_cndmask_b32_e64 v2, v2, 1, vcc_lo
	v_lshlrev_b32_e32 v9, 16, v2
	v_or_b32_sdwa v10, v9, v1 dst_sel:DWORD dst_unused:UNUSED_PAD src0_sel:DWORD src1_sel:WORD_0
	v_mov_b32_e32 v9, v2
.LBB1308_64:
	s_or_b32 exec_lo, exec_lo, s8
	v_mov_b32_dpp v11, v10 row_shr:8 row_mask:0xf bank_mask:0xf
	s_mov_b32 s8, exec_lo
	v_cmpx_lt_u32_e32 7, v8
	s_cbranch_execz .LBB1308_66
; %bb.65:
	v_mov_b32_e32 v2, 1
	v_and_b32_e32 v8, 1, v9
	v_cmp_eq_u16_e32 vcc_lo, 0, v9
	v_and_b32_sdwa v2, v11, v2 dst_sel:DWORD dst_unused:UNUSED_PAD src0_sel:WORD_1 src1_sel:DWORD
	v_cndmask_b32_e32 v9, 0, v11, vcc_lo
	v_cmp_eq_u32_e32 vcc_lo, 1, v8
	v_add_nc_u16 v1, v9, v1
	v_cndmask_b32_e64 v2, v2, 1, vcc_lo
	v_lshlrev_b32_e32 v8, 16, v2
	v_mov_b32_e32 v9, v2
	v_or_b32_sdwa v10, v8, v1 dst_sel:DWORD dst_unused:UNUSED_PAD src0_sel:DWORD src1_sel:WORD_0
.LBB1308_66:
	s_or_b32 exec_lo, exec_lo, s8
	ds_swizzle_b32 v8, v10 offset:swizzle(BROADCAST,32,15)
	v_and_b32_e32 v10, 16, v16
	s_mov_b32 s8, exec_lo
	v_cmpx_ne_u32_e32 0, v10
	s_cbranch_execz .LBB1308_68
; %bb.67:
	v_mov_b32_e32 v2, 1
	v_cmp_eq_u16_e32 vcc_lo, 0, v9
	v_and_b32_e32 v9, 1, v9
	s_waitcnt lgkmcnt(0)
	v_and_b32_sdwa v2, v8, v2 dst_sel:DWORD dst_unused:UNUSED_PAD src0_sel:WORD_1 src1_sel:DWORD
	v_cndmask_b32_e32 v10, 0, v8, vcc_lo
	v_cmp_eq_u32_e32 vcc_lo, 1, v9
	v_add_nc_u16 v1, v10, v1
	v_cndmask_b32_e64 v2, v2, 1, vcc_lo
.LBB1308_68:
	s_or_b32 exec_lo, exec_lo, s8
	s_waitcnt lgkmcnt(0)
	v_or_b32_e32 v8, 31, v0
	v_lshrrev_b32_e32 v9, 5, v0
	v_cmp_eq_u32_e32 vcc_lo, v0, v8
	v_lshlrev_b32_e32 v8, 2, v9
	s_and_saveexec_b32 s8, vcc_lo
	s_cbranch_execz .LBB1308_70
; %bb.69:
	ds_write_b16 v8, v1
	ds_write_b8 v8, v2 offset:2
.LBB1308_70:
	s_or_b32 exec_lo, exec_lo, s8
	s_mov_b32 s8, exec_lo
	s_waitcnt lgkmcnt(0)
	s_barrier
	buffer_gl0_inv
	v_cmpx_gt_u32_e32 2, v0
	s_cbranch_execz .LBB1308_74
; %bb.71:
	v_lshlrev_b32_e32 v9, 2, v0
	v_and_b32_e32 v13, 1, v16
	s_mov_b32 s9, exec_lo
	ds_read_b32 v10, v9
	s_waitcnt lgkmcnt(0)
	v_lshrrev_b32_e32 v11, 16, v10
	v_mov_b32_dpp v12, v10 row_shr:1 row_mask:0xf bank_mask:0xf
	v_cmpx_eq_u32_e32 1, v13
	s_cbranch_execz .LBB1308_73
; %bb.72:
	v_mov_b32_e32 v13, 0
	v_mov_b32_e32 v14, 1
	v_cmp_eq_u16_sdwa vcc_lo, v11, v13 src0_sel:BYTE_0 src1_sel:DWORD
	v_and_b32_e32 v13, 0x10000, v10
	v_cndmask_b32_e32 v11, 0, v12, vcc_lo
	v_and_b32_sdwa v12, v12, v14 dst_sel:DWORD dst_unused:UNUSED_PAD src0_sel:WORD_1 src1_sel:DWORD
	v_cmp_ne_u32_e32 vcc_lo, 0, v13
	v_add_nc_u16 v10, v11, v10
	v_cndmask_b32_e64 v11, v12, 1, vcc_lo
.LBB1308_73:
	s_or_b32 exec_lo, exec_lo, s9
	ds_write_b16 v9, v10
	ds_write_b8 v9, v11 offset:2
.LBB1308_74:
	s_or_b32 exec_lo, exec_lo, s8
	v_mov_b32_e32 v19, 0
	v_mov_b32_e32 v20, 0
	s_mov_b32 s9, exec_lo
	v_cmp_gt_u32_e32 vcc_lo, 32, v0
	s_waitcnt lgkmcnt(0)
	s_barrier
	buffer_gl0_inv
	v_cmpx_lt_u32_e32 31, v0
	s_cbranch_execz .LBB1308_76
; %bb.75:
	v_add_nc_u32_e32 v9, -4, v8
	v_add_nc_u32_e32 v8, -2, v8
	ds_read_u16 v19, v9
	ds_read_u8 v20, v8
	v_mov_b32_e32 v8, 0
	v_cmp_eq_u16_sdwa s8, v2, v8 src0_sel:BYTE_0 src1_sel:DWORD
	v_and_b32_e32 v2, 1, v2
	s_waitcnt lgkmcnt(1)
	v_cndmask_b32_e64 v8, 0, v19, s8
	v_cmp_eq_u32_e64 s8, 1, v2
	v_add_nc_u16 v1, v8, v1
	s_waitcnt lgkmcnt(0)
	v_cndmask_b32_e64 v2, v20, 1, s8
.LBB1308_76:
	s_or_b32 exec_lo, exec_lo, s9
	v_sub_co_u32 v8, s8, v16, 1
	v_and_b32_e32 v2, 0xff, v2
	v_and_b32_e32 v1, 0xffff, v1
	v_cmp_gt_i32_e64 s9, 0, v8
	v_lshl_or_b32 v1, v2, 16, v1
	v_cndmask_b32_e64 v8, v8, v16, s9
	v_lshlrev_b32_e32 v2, 2, v8
	ds_bpermute_b32 v21, v2, v1
	s_and_saveexec_b32 s9, vcc_lo
	s_cbranch_execz .LBB1308_116
; %bb.77:
	v_mov_b32_e32 v12, 0
	ds_read_b32 v1, v12 offset:4
	s_and_saveexec_b32 s16, s8
	s_cbranch_execz .LBB1308_79
; %bb.78:
	s_add_i32 s20, s34, 32
	s_mov_b32 s21, 0
	v_mov_b32_e32 v2, 1
	s_lshl_b64 s[20:21], s[20:21], 3
	s_add_u32 s20, s24, s20
	s_addc_u32 s21, s25, s21
	s_waitcnt lgkmcnt(0)
	global_store_dwordx2 v12, v[1:2], s[20:21]
.LBB1308_79:
	s_or_b32 exec_lo, exec_lo, s16
	v_xad_u32 v8, v16, -1, s34
	s_mov_b32 s17, 0
	v_add_nc_u32_e32 v11, 32, v8
	v_lshlrev_b64 v[9:10], 3, v[11:12]
	v_add_co_u32 v13, vcc_lo, s24, v9
	v_add_co_ci_u32_e64 v14, null, s25, v10, vcc_lo
	global_load_dwordx2 v[10:11], v[13:14], off glc dlc
	s_waitcnt vmcnt(0)
	v_cmp_eq_u16_sdwa s20, v11, v12 src0_sel:BYTE_0 src1_sel:DWORD
	s_and_saveexec_b32 s16, s20
	s_cbranch_execz .LBB1308_83
; %bb.80:
	v_mov_b32_e32 v2, 0
.LBB1308_81:                            ; =>This Inner Loop Header: Depth=1
	global_load_dwordx2 v[10:11], v[13:14], off glc dlc
	s_waitcnt vmcnt(0)
	v_cmp_ne_u16_sdwa s20, v11, v2 src0_sel:BYTE_0 src1_sel:DWORD
	s_or_b32 s17, s20, s17
	s_andn2_b32 exec_lo, exec_lo, s17
	s_cbranch_execnz .LBB1308_81
; %bb.82:
	s_or_b32 exec_lo, exec_lo, s17
.LBB1308_83:
	s_or_b32 exec_lo, exec_lo, s16
	v_cmp_ne_u32_e32 vcc_lo, 31, v16
	v_and_b32_e32 v28, 0xffffff, v10
	v_mov_b32_e32 v9, 2
	v_lshlrev_b32_e64 v14, v16, -1
	v_lshrrev_b32_e32 v12, 16, v10
	v_add_co_ci_u32_e64 v2, null, 0, v16, vcc_lo
	v_cmp_eq_u16_sdwa s16, v11, v9 src0_sel:BYTE_0 src1_sel:DWORD
	v_bfe_u32 v13, v10, 16, 8
	v_lshlrev_b32_e32 v2, 2, v2
	v_and_or_b32 v9, s16, v14, 0x80000000
	s_mov_b32 s16, exec_lo
	ds_bpermute_b32 v22, v2, v28
	v_ffbl_b32_e32 v9, v9
	v_cmpx_lt_u32_e64 v16, v9
	s_cbranch_execz .LBB1308_85
; %bb.84:
	v_and_b32_e32 v12, 0xff0000, v10
	v_mov_b32_e32 v13, 1
	v_and_b32_e32 v23, 0x10000, v12
	v_cmp_eq_u32_e32 vcc_lo, 0, v12
	s_waitcnt lgkmcnt(0)
	v_and_b32_sdwa v13, v22, v13 dst_sel:DWORD dst_unused:UNUSED_PAD src0_sel:WORD_1 src1_sel:DWORD
	v_cndmask_b32_e32 v22, 0, v22, vcc_lo
	v_cmp_ne_u32_e32 vcc_lo, 0, v23
	v_add_nc_u16 v10, v22, v10
	v_cndmask_b32_e64 v12, v13, 1, vcc_lo
	v_lshlrev_b32_e32 v13, 16, v12
	v_or_b32_sdwa v28, v13, v10 dst_sel:DWORD dst_unused:UNUSED_PAD src0_sel:DWORD src1_sel:WORD_0
	v_mov_b32_e32 v13, v12
.LBB1308_85:
	s_or_b32 exec_lo, exec_lo, s16
	v_cmp_gt_u32_e32 vcc_lo, 30, v16
	v_add_nc_u32_e32 v23, 2, v16
	s_mov_b32 s16, exec_lo
	s_waitcnt lgkmcnt(0)
	v_cndmask_b32_e64 v22, 0, 2, vcc_lo
	v_add_lshl_u32 v22, v22, v16, 2
	ds_bpermute_b32 v24, v22, v28
	v_cmpx_le_u32_e64 v23, v9
	s_cbranch_execz .LBB1308_87
; %bb.86:
	v_mov_b32_e32 v12, 1
	v_and_b32_e32 v25, 1, v13
	v_cmp_eq_u16_e32 vcc_lo, 0, v13
	s_waitcnt lgkmcnt(0)
	v_and_b32_sdwa v12, v24, v12 dst_sel:DWORD dst_unused:UNUSED_PAD src0_sel:WORD_1 src1_sel:DWORD
	v_cndmask_b32_e32 v13, 0, v24, vcc_lo
	v_cmp_eq_u32_e32 vcc_lo, 1, v25
	v_add_nc_u16 v10, v13, v10
	v_cndmask_b32_e64 v12, v12, 1, vcc_lo
	v_lshlrev_b32_e32 v13, 16, v12
	v_or_b32_sdwa v28, v13, v10 dst_sel:DWORD dst_unused:UNUSED_PAD src0_sel:DWORD src1_sel:WORD_0
	v_mov_b32_e32 v13, v12
.LBB1308_87:
	s_or_b32 exec_lo, exec_lo, s16
	v_cmp_gt_u32_e32 vcc_lo, 28, v16
	v_add_nc_u32_e32 v25, 4, v16
	s_mov_b32 s16, exec_lo
	s_waitcnt lgkmcnt(0)
	v_cndmask_b32_e64 v24, 0, 4, vcc_lo
	v_add_lshl_u32 v24, v24, v16, 2
	ds_bpermute_b32 v26, v24, v28
	v_cmpx_le_u32_e64 v25, v9
	s_cbranch_execz .LBB1308_89
; %bb.88:
	v_mov_b32_e32 v12, 1
	v_and_b32_e32 v27, 1, v13
	v_cmp_eq_u16_e32 vcc_lo, 0, v13
	s_waitcnt lgkmcnt(0)
	v_and_b32_sdwa v12, v26, v12 dst_sel:DWORD dst_unused:UNUSED_PAD src0_sel:WORD_1 src1_sel:DWORD
	v_cndmask_b32_e32 v13, 0, v26, vcc_lo
	v_cmp_eq_u32_e32 vcc_lo, 1, v27
	v_add_nc_u16 v10, v13, v10
	v_cndmask_b32_e64 v12, v12, 1, vcc_lo
	v_lshlrev_b32_e32 v13, 16, v12
	v_or_b32_sdwa v28, v13, v10 dst_sel:DWORD dst_unused:UNUSED_PAD src0_sel:DWORD src1_sel:WORD_0
	v_mov_b32_e32 v13, v12
.LBB1308_89:
	;; [unrolled: 24-line block ×3, first 2 shown]
	s_or_b32 exec_lo, exec_lo, s16
	v_lshl_or_b32 v30, v16, 2, 64
	v_add_nc_u32_e32 v31, 16, v16
	s_mov_b32 s16, exec_lo
	ds_bpermute_b32 v28, v30, v28
	v_cmpx_le_u32_e64 v31, v9
	s_cbranch_execz .LBB1308_93
; %bb.92:
	v_mov_b32_e32 v9, 1
	v_cmp_eq_u16_e32 vcc_lo, 0, v13
	v_and_b32_e32 v13, 1, v13
	s_waitcnt lgkmcnt(0)
	v_and_b32_sdwa v9, v28, v9 dst_sel:DWORD dst_unused:UNUSED_PAD src0_sel:WORD_1 src1_sel:DWORD
	v_cndmask_b32_e32 v12, 0, v28, vcc_lo
	v_cmp_eq_u32_e32 vcc_lo, 1, v13
	v_add_nc_u16 v10, v12, v10
	v_cndmask_b32_e64 v12, v9, 1, vcc_lo
.LBB1308_93:
	s_or_b32 exec_lo, exec_lo, s16
	v_mov_b32_e32 v9, 0
	v_mov_b32_e32 v32, 2
	;; [unrolled: 1-line block ×3, first 2 shown]
	s_branch .LBB1308_96
.LBB1308_94:                            ;   in Loop: Header=BB1308_96 Depth=1
	s_or_b32 exec_lo, exec_lo, s16
	v_cmp_eq_u16_sdwa vcc_lo, v28, v9 src0_sel:BYTE_0 src1_sel:DWORD
	v_and_b32_e32 v12, 1, v28
	v_and_b32_e32 v13, 1, v13
	v_subrev_nc_u32_e32 v8, 32, v8
	s_mov_b32 s16, 0
	v_cndmask_b32_e32 v10, 0, v10, vcc_lo
	v_cmp_eq_u32_e32 vcc_lo, 1, v12
	v_add_nc_u16 v10, v10, v29
	v_cndmask_b32_e64 v12, v13, 1, vcc_lo
.LBB1308_95:                            ;   in Loop: Header=BB1308_96 Depth=1
	s_and_b32 vcc_lo, exec_lo, s16
	s_cbranch_vccnz .LBB1308_112
.LBB1308_96:                            ; =>This Loop Header: Depth=1
                                        ;     Child Loop BB1308_99 Depth 2
	v_cmp_ne_u16_sdwa s16, v11, v32 src0_sel:BYTE_0 src1_sel:DWORD
	s_waitcnt lgkmcnt(0)
	v_mov_b32_e32 v28, v12
	v_mov_b32_e32 v29, v10
                                        ; implicit-def: $vgpr12
                                        ; implicit-def: $vgpr10
	s_cmp_lg_u32 s16, exec_lo
	s_mov_b32 s16, -1
	s_cbranch_scc1 .LBB1308_95
; %bb.97:                               ;   in Loop: Header=BB1308_96 Depth=1
	v_lshlrev_b64 v[10:11], 3, v[8:9]
	v_add_co_u32 v12, vcc_lo, s24, v10
	v_add_co_ci_u32_e64 v13, null, s25, v11, vcc_lo
	global_load_dwordx2 v[10:11], v[12:13], off glc dlc
	s_waitcnt vmcnt(0)
	v_cmp_eq_u16_sdwa s17, v11, v9 src0_sel:BYTE_0 src1_sel:DWORD
	s_and_saveexec_b32 s16, s17
	s_cbranch_execz .LBB1308_101
; %bb.98:                               ;   in Loop: Header=BB1308_96 Depth=1
	s_mov_b32 s17, 0
.LBB1308_99:                            ;   Parent Loop BB1308_96 Depth=1
                                        ; =>  This Inner Loop Header: Depth=2
	global_load_dwordx2 v[10:11], v[12:13], off glc dlc
	s_waitcnt vmcnt(0)
	v_cmp_ne_u16_sdwa s20, v11, v9 src0_sel:BYTE_0 src1_sel:DWORD
	s_or_b32 s17, s20, s17
	s_andn2_b32 exec_lo, exec_lo, s17
	s_cbranch_execnz .LBB1308_99
; %bb.100:                              ;   in Loop: Header=BB1308_96 Depth=1
	s_or_b32 exec_lo, exec_lo, s17
.LBB1308_101:                           ;   in Loop: Header=BB1308_96 Depth=1
	s_or_b32 exec_lo, exec_lo, s16
	v_and_b32_e32 v35, 0xffffff, v10
	v_cmp_eq_u16_sdwa s16, v11, v32 src0_sel:BYTE_0 src1_sel:DWORD
	v_lshrrev_b32_e32 v13, 16, v10
	v_bfe_u32 v34, v10, 16, 8
	ds_bpermute_b32 v36, v2, v35
	v_and_or_b32 v12, s16, v14, 0x80000000
	s_mov_b32 s16, exec_lo
	v_ffbl_b32_e32 v12, v12
	v_cmpx_lt_u32_e64 v16, v12
	s_cbranch_execz .LBB1308_103
; %bb.102:                              ;   in Loop: Header=BB1308_96 Depth=1
	v_and_b32_e32 v13, 0xff0000, v10
	s_waitcnt lgkmcnt(0)
	v_and_b32_sdwa v35, v36, v33 dst_sel:DWORD dst_unused:UNUSED_PAD src0_sel:WORD_1 src1_sel:DWORD
	v_and_b32_e32 v34, 0x10000, v13
	v_cmp_eq_u32_e32 vcc_lo, 0, v13
	v_cndmask_b32_e32 v36, 0, v36, vcc_lo
	v_cmp_ne_u32_e32 vcc_lo, 0, v34
	v_add_nc_u16 v10, v36, v10
	v_cndmask_b32_e64 v13, v35, 1, vcc_lo
	v_lshlrev_b32_e32 v34, 16, v13
	v_or_b32_sdwa v35, v34, v10 dst_sel:DWORD dst_unused:UNUSED_PAD src0_sel:DWORD src1_sel:WORD_0
	v_mov_b32_e32 v34, v13
.LBB1308_103:                           ;   in Loop: Header=BB1308_96 Depth=1
	s_or_b32 exec_lo, exec_lo, s16
	s_waitcnt lgkmcnt(0)
	ds_bpermute_b32 v36, v22, v35
	s_mov_b32 s16, exec_lo
	v_cmpx_le_u32_e64 v23, v12
	s_cbranch_execz .LBB1308_105
; %bb.104:                              ;   in Loop: Header=BB1308_96 Depth=1
	v_and_b32_e32 v13, 1, v34
	v_cmp_eq_u16_e32 vcc_lo, 0, v34
	s_waitcnt lgkmcnt(0)
	v_and_b32_sdwa v35, v36, v33 dst_sel:DWORD dst_unused:UNUSED_PAD src0_sel:WORD_1 src1_sel:DWORD
	v_cndmask_b32_e32 v34, 0, v36, vcc_lo
	v_cmp_eq_u32_e32 vcc_lo, 1, v13
	v_add_nc_u16 v10, v34, v10
	v_cndmask_b32_e64 v13, v35, 1, vcc_lo
	v_lshlrev_b32_e32 v34, 16, v13
	v_or_b32_sdwa v35, v34, v10 dst_sel:DWORD dst_unused:UNUSED_PAD src0_sel:DWORD src1_sel:WORD_0
	v_mov_b32_e32 v34, v13
.LBB1308_105:                           ;   in Loop: Header=BB1308_96 Depth=1
	s_or_b32 exec_lo, exec_lo, s16
	s_waitcnt lgkmcnt(0)
	ds_bpermute_b32 v36, v24, v35
	s_mov_b32 s16, exec_lo
	v_cmpx_le_u32_e64 v25, v12
	s_cbranch_execz .LBB1308_107
; %bb.106:                              ;   in Loop: Header=BB1308_96 Depth=1
	v_and_b32_e32 v13, 1, v34
	v_cmp_eq_u16_e32 vcc_lo, 0, v34
	s_waitcnt lgkmcnt(0)
	v_and_b32_sdwa v35, v36, v33 dst_sel:DWORD dst_unused:UNUSED_PAD src0_sel:WORD_1 src1_sel:DWORD
	v_cndmask_b32_e32 v34, 0, v36, vcc_lo
	v_cmp_eq_u32_e32 vcc_lo, 1, v13
	v_add_nc_u16 v10, v34, v10
	v_cndmask_b32_e64 v13, v35, 1, vcc_lo
	v_lshlrev_b32_e32 v34, 16, v13
	v_or_b32_sdwa v35, v34, v10 dst_sel:DWORD dst_unused:UNUSED_PAD src0_sel:DWORD src1_sel:WORD_0
	v_mov_b32_e32 v34, v13
.LBB1308_107:                           ;   in Loop: Header=BB1308_96 Depth=1
	;; [unrolled: 19-line block ×3, first 2 shown]
	s_or_b32 exec_lo, exec_lo, s16
	ds_bpermute_b32 v35, v30, v35
	s_mov_b32 s16, exec_lo
	v_cmpx_le_u32_e64 v31, v12
	s_cbranch_execz .LBB1308_94
; %bb.110:                              ;   in Loop: Header=BB1308_96 Depth=1
	v_cmp_eq_u16_e32 vcc_lo, 0, v34
	v_and_b32_e32 v13, 1, v34
	s_waitcnt lgkmcnt(0)
	v_lshrrev_b32_e32 v34, 16, v35
	v_cndmask_b32_e32 v12, 0, v35, vcc_lo
	v_cmp_eq_u32_e32 vcc_lo, 1, v13
	v_add_nc_u16 v10, v12, v10
	v_cndmask_b32_e64 v13, v34, 1, vcc_lo
	s_branch .LBB1308_94
.LBB1308_111:
                                        ; implicit-def: $vgpr14
                                        ; implicit-def: $vgpr8
                                        ; implicit-def: $vgpr9
                                        ; implicit-def: $vgpr10
                                        ; implicit-def: $vgpr11
                                        ; implicit-def: $vgpr12
                                        ; implicit-def: $vgpr13
	s_cbranch_execnz .LBB1308_117
	s_branch .LBB1308_142
.LBB1308_112:
	s_and_saveexec_b32 s16, s8
	s_cbranch_execz .LBB1308_114
; %bb.113:
	v_and_b32_e32 v2, 0xff0000, v1
	v_mov_b32_e32 v8, 1
	v_and_b32_e32 v9, 0x10000, v1
	s_mov_b32 s21, 0
	s_add_i32 s20, s34, 32
	v_cmp_eq_u32_e32 vcc_lo, 0, v2
	v_and_b32_sdwa v8, v28, v8 dst_sel:WORD_1 dst_unused:UNUSED_PAD src0_sel:DWORD src1_sel:DWORD
	s_lshl_b64 s[20:21], s[20:21], 3
	s_add_u32 s20, s24, s20
	v_cndmask_b32_e32 v2, 0, v29, vcc_lo
	v_cmp_eq_u32_e32 vcc_lo, 0, v9
	s_addc_u32 s21, s25, s21
	v_add_nc_u16 v1, v2, v1
	v_cndmask_b32_e32 v2, 0x10000, v8, vcc_lo
	v_mov_b32_e32 v8, 0
	v_or_b32_sdwa v1, v2, v1 dst_sel:DWORD dst_unused:UNUSED_PAD src0_sel:DWORD src1_sel:WORD_0
	v_mov_b32_e32 v2, 2
	global_store_dwordx2 v8, v[1:2], s[20:21]
.LBB1308_114:
	s_or_b32 exec_lo, exec_lo, s16
	s_and_b32 exec_lo, exec_lo, s0
	s_cbranch_execz .LBB1308_116
; %bb.115:
	v_mov_b32_e32 v1, 0
	ds_write_b16 v1, v29 offset:4
	ds_write_b8 v1, v28 offset:6
.LBB1308_116:
	s_or_b32 exec_lo, exec_lo, s9
	s_mov_b32 vcc_lo, s8
	v_mov_b32_e32 v1, 0
	s_waitcnt lgkmcnt(0)
	v_cndmask_b32_sdwa v2, v21, v20, vcc_lo dst_sel:DWORD dst_unused:UNUSED_PAD src0_sel:WORD_1 src1_sel:DWORD
	v_cndmask_b32_e64 v9, v21, v19, s8
	v_and_b32_e32 v10, 0x10000, v17
	v_cmp_gt_u32_e32 vcc_lo, 0x10000, v17
	s_waitcnt_vscnt null, 0x0
	s_barrier
	buffer_gl0_inv
	ds_read_b32 v8, v1 offset:4
	v_and_b32_e32 v2, 1, v2
	v_cndmask_b32_e32 v9, 0, v9, vcc_lo
	v_cmp_ne_u32_e32 vcc_lo, 0, v10
	v_cndmask_b32_e64 v9, v9, 0, s0
	v_cndmask_b32_e64 v2, v2, 1, vcc_lo
	v_add_nc_u16 v9, v9, v17
	v_cndmask_b32_e64 v2, v2, v18, s0
	v_cmp_eq_u16_sdwa vcc_lo, v2, v1 src0_sel:BYTE_0 src1_sel:DWORD
	s_waitcnt lgkmcnt(0)
	v_cndmask_b32_e32 v1, 0, v8, vcc_lo
	v_add_nc_u16 v1, v9, v1
	v_cndmask_b32_e64 v2, 0, v1, s7
	v_and_b32_e32 v14, 0xffff, v1
	v_add_nc_u16 v8, v2, v4
	v_cndmask_b32_e64 v2, 0, v8, s6
	v_add_nc_u16 v9, v2, v5
	v_cndmask_b32_e64 v2, 0, v9, s5
	;; [unrolled: 2-line block ×5, first 2 shown]
	v_add_nc_u16 v2, v2, v15
	v_and_b32_e32 v13, 0xffff, v2
	s_branch .LBB1308_142
.LBB1308_117:
	s_cmp_lg_u64 s[28:29], 0
	s_cselect_b32 s2, -1, 0
	s_cmp_lg_u64 s[18:19], 0
	s_cselect_b32 s3, -1, 0
	s_and_b32 s2, s2, s3
	s_and_b32 s3, s0, s2
	s_and_saveexec_b32 s2, s3
	s_cbranch_execz .LBB1308_119
; %bb.118:
	v_mov_b32_e32 v1, 0
	v_mov_b32_e32 v8, 1
	v_cmp_gt_u32_e32 vcc_lo, 0x10000, v17
	v_and_b32_e32 v9, 0x10000, v17
	s_clause 0x1
	global_load_ushort v2, v1, s[18:19]
	global_load_ubyte v1, v1, s[18:19] offset:2
	s_waitcnt vmcnt(1)
	v_cndmask_b32_e32 v2, 0, v2, vcc_lo
	s_waitcnt vmcnt(0)
	v_and_b32_sdwa v1, v1, v8 dst_sel:WORD_1 dst_unused:UNUSED_PAD src0_sel:DWORD src1_sel:DWORD
	v_cmp_eq_u32_e32 vcc_lo, 0, v9
	v_add_nc_u16 v2, v2, v17
	v_cndmask_b32_e32 v1, 0x10000, v1, vcc_lo
	v_or_b32_sdwa v17, v1, v2 dst_sel:DWORD dst_unused:UNUSED_PAD src0_sel:DWORD src1_sel:WORD_0
.LBB1308_119:
	s_or_b32 exec_lo, exec_lo, s2
	v_cmp_gt_u32_e64 s2, 0x10000, v4
	v_cmp_gt_u32_e64 s3, 0x10000, v5
	;; [unrolled: 1-line block ×4, first 2 shown]
	v_or_b32_e32 v2, v5, v7
	v_cndmask_b32_e64 v1, 0, v17, s2
	v_cmp_gt_u32_e64 s6, 0x10000, v3
	v_cmp_gt_u32_e64 s7, 0x10000, v15
	v_and_b32_e32 v14, 15, v16
	s_mov_b32 s8, exec_lo
	v_add_nc_u16 v8, v1, v4
	v_cndmask_b32_e64 v1, 0, v8, s3
	v_add_nc_u16 v9, v1, v5
	v_cndmask_b32_e64 v1, 0, v9, s4
	;; [unrolled: 2-line block ×3, first 2 shown]
	v_add_nc_u16 v11, v1, v7
	v_or3_b32 v1, v4, v6, v2
	v_cndmask_b32_e64 v2, 0, v11, s6
	v_or3_b32 v1, v1, v3, v15
	v_add_nc_u16 v12, v2, v3
	v_and_b32_e32 v1, 0xff0000, v1
	v_lshrrev_b32_e32 v2, 16, v17
	v_cndmask_b32_e64 v13, 0, v12, s7
	v_cmp_eq_u32_e32 vcc_lo, 0, v1
	v_add_nc_u16 v1, v13, v15
	v_cndmask_b32_e32 v2, 1, v2, vcc_lo
	v_and_b32_e32 v13, 0xffff, v1
	v_and_b32_e32 v18, 0xff, v2
	v_lshl_or_b32 v19, v18, 16, v13
	v_mov_b32_dpp v20, v19 row_shr:1 row_mask:0xf bank_mask:0xf
	v_cmpx_ne_u32_e32 0, v14
	s_cbranch_execz .LBB1308_121
; %bb.120:
	v_mov_b32_e32 v19, 1
	v_and_b32_e32 v2, 1, v2
	v_cmp_eq_u16_e32 vcc_lo, 0, v18
	v_and_b32_sdwa v19, v20, v19 dst_sel:DWORD dst_unused:UNUSED_PAD src0_sel:WORD_1 src1_sel:DWORD
	v_cndmask_b32_e32 v18, 0, v20, vcc_lo
	v_cmp_eq_u32_e32 vcc_lo, 1, v2
	v_add_nc_u16 v1, v1, v18
	v_cndmask_b32_e64 v2, v19, 1, vcc_lo
	v_lshlrev_b32_e32 v18, 16, v2
	v_or_b32_sdwa v19, v18, v1 dst_sel:DWORD dst_unused:UNUSED_PAD src0_sel:DWORD src1_sel:WORD_0
.LBB1308_121:
	s_or_b32 exec_lo, exec_lo, s8
	v_lshrrev_b32_e32 v18, 16, v19
	v_mov_b32_dpp v20, v19 row_shr:2 row_mask:0xf bank_mask:0xf
	s_mov_b32 s8, exec_lo
	v_cmpx_lt_u32_e32 1, v14
	s_cbranch_execz .LBB1308_123
; %bb.122:
	v_mov_b32_e32 v2, 1
	v_and_b32_e32 v18, 0x10000, v19
	v_cmp_gt_u32_e32 vcc_lo, 0x10000, v19
	v_and_b32_sdwa v2, v20, v2 dst_sel:DWORD dst_unused:UNUSED_PAD src0_sel:WORD_1 src1_sel:DWORD
	v_cndmask_b32_e32 v19, 0, v20, vcc_lo
	v_cmp_ne_u32_e32 vcc_lo, 0, v18
	v_add_nc_u16 v1, v19, v1
	v_cndmask_b32_e64 v2, v2, 1, vcc_lo
	v_lshlrev_b32_e32 v18, 16, v2
	v_or_b32_sdwa v19, v18, v1 dst_sel:DWORD dst_unused:UNUSED_PAD src0_sel:DWORD src1_sel:WORD_0
	v_mov_b32_e32 v18, v2
.LBB1308_123:
	s_or_b32 exec_lo, exec_lo, s8
	v_mov_b32_dpp v20, v19 row_shr:4 row_mask:0xf bank_mask:0xf
	s_mov_b32 s8, exec_lo
	v_cmpx_lt_u32_e32 3, v14
	s_cbranch_execz .LBB1308_125
; %bb.124:
	v_mov_b32_e32 v2, 1
	v_and_b32_e32 v19, 1, v18
	v_cmp_eq_u16_e32 vcc_lo, 0, v18
	v_and_b32_sdwa v2, v20, v2 dst_sel:DWORD dst_unused:UNUSED_PAD src0_sel:WORD_1 src1_sel:DWORD
	v_cndmask_b32_e32 v18, 0, v20, vcc_lo
	v_cmp_eq_u32_e32 vcc_lo, 1, v19
	v_add_nc_u16 v1, v18, v1
	v_cndmask_b32_e64 v2, v2, 1, vcc_lo
	v_lshlrev_b32_e32 v18, 16, v2
	v_or_b32_sdwa v19, v18, v1 dst_sel:DWORD dst_unused:UNUSED_PAD src0_sel:DWORD src1_sel:WORD_0
	v_mov_b32_e32 v18, v2
.LBB1308_125:
	s_or_b32 exec_lo, exec_lo, s8
	v_mov_b32_dpp v20, v19 row_shr:8 row_mask:0xf bank_mask:0xf
	s_mov_b32 s8, exec_lo
	v_cmpx_lt_u32_e32 7, v14
	s_cbranch_execz .LBB1308_127
; %bb.126:
	v_mov_b32_e32 v2, 1
	v_and_b32_e32 v14, 1, v18
	v_cmp_eq_u16_e32 vcc_lo, 0, v18
	v_and_b32_sdwa v2, v20, v2 dst_sel:DWORD dst_unused:UNUSED_PAD src0_sel:WORD_1 src1_sel:DWORD
	v_cndmask_b32_e32 v18, 0, v20, vcc_lo
	v_cmp_eq_u32_e32 vcc_lo, 1, v14
	v_add_nc_u16 v1, v18, v1
	v_cndmask_b32_e64 v2, v2, 1, vcc_lo
	v_lshlrev_b32_e32 v14, 16, v2
	v_mov_b32_e32 v18, v2
	v_or_b32_sdwa v19, v14, v1 dst_sel:DWORD dst_unused:UNUSED_PAD src0_sel:DWORD src1_sel:WORD_0
.LBB1308_127:
	s_or_b32 exec_lo, exec_lo, s8
	ds_swizzle_b32 v14, v19 offset:swizzle(BROADCAST,32,15)
	v_and_b32_e32 v19, 16, v16
	s_mov_b32 s8, exec_lo
	v_cmpx_ne_u32_e32 0, v19
	s_cbranch_execz .LBB1308_129
; %bb.128:
	v_mov_b32_e32 v2, 1
	v_cmp_eq_u16_e32 vcc_lo, 0, v18
	v_and_b32_e32 v18, 1, v18
	s_waitcnt lgkmcnt(0)
	v_and_b32_sdwa v2, v14, v2 dst_sel:DWORD dst_unused:UNUSED_PAD src0_sel:WORD_1 src1_sel:DWORD
	v_cndmask_b32_e32 v19, 0, v14, vcc_lo
	v_cmp_eq_u32_e32 vcc_lo, 1, v18
	v_add_nc_u16 v1, v19, v1
	v_cndmask_b32_e64 v2, v2, 1, vcc_lo
.LBB1308_129:
	s_or_b32 exec_lo, exec_lo, s8
	s_waitcnt lgkmcnt(0)
	v_or_b32_e32 v14, 31, v0
	v_lshrrev_b32_e32 v18, 5, v0
	v_cmp_eq_u32_e32 vcc_lo, v0, v14
	v_lshlrev_b32_e32 v14, 2, v18
	s_and_saveexec_b32 s8, vcc_lo
	s_cbranch_execz .LBB1308_131
; %bb.130:
	ds_write_b16 v14, v1
	ds_write_b8 v14, v2 offset:2
.LBB1308_131:
	s_or_b32 exec_lo, exec_lo, s8
	s_mov_b32 s8, exec_lo
	s_waitcnt lgkmcnt(0)
	s_barrier
	buffer_gl0_inv
	v_cmpx_gt_u32_e32 2, v0
	s_cbranch_execz .LBB1308_135
; %bb.132:
	v_lshlrev_b32_e32 v18, 2, v0
	v_and_b32_e32 v22, 1, v16
	s_mov_b32 s9, exec_lo
	ds_read_b32 v19, v18
	s_waitcnt lgkmcnt(0)
	v_lshrrev_b32_e32 v20, 16, v19
	v_mov_b32_dpp v21, v19 row_shr:1 row_mask:0xf bank_mask:0xf
	v_cmpx_eq_u32_e32 1, v22
	s_cbranch_execz .LBB1308_134
; %bb.133:
	v_mov_b32_e32 v22, 0
	v_mov_b32_e32 v23, 1
	v_cmp_eq_u16_sdwa vcc_lo, v20, v22 src0_sel:BYTE_0 src1_sel:DWORD
	v_and_b32_e32 v22, 0x10000, v19
	v_cndmask_b32_e32 v20, 0, v21, vcc_lo
	v_and_b32_sdwa v21, v21, v23 dst_sel:DWORD dst_unused:UNUSED_PAD src0_sel:WORD_1 src1_sel:DWORD
	v_cmp_ne_u32_e32 vcc_lo, 0, v22
	v_add_nc_u16 v19, v20, v19
	v_cndmask_b32_e64 v20, v21, 1, vcc_lo
.LBB1308_134:
	s_or_b32 exec_lo, exec_lo, s9
	ds_write_b16 v18, v19
	ds_write_b8 v18, v20 offset:2
.LBB1308_135:
	s_or_b32 exec_lo, exec_lo, s8
	v_mov_b32_e32 v18, 0
	s_mov_b32 s8, exec_lo
	s_waitcnt lgkmcnt(0)
	s_barrier
	buffer_gl0_inv
	v_cmpx_lt_u32_e32 31, v0
	s_cbranch_execz .LBB1308_137
; %bb.136:
	v_add_nc_u32_e32 v18, -4, v14
	v_add_nc_u32_e32 v14, -2, v14
	v_mov_b32_e32 v19, 0
	ds_read_u16 v18, v18
	ds_read_u8 v14, v14
	v_cmp_eq_u16_sdwa vcc_lo, v2, v19 src0_sel:BYTE_0 src1_sel:DWORD
	v_and_b32_e32 v2, 1, v2
	s_waitcnt lgkmcnt(1)
	v_cndmask_b32_e32 v19, 0, v18, vcc_lo
	v_cmp_eq_u32_e32 vcc_lo, 1, v2
	v_add_nc_u16 v1, v19, v1
	s_waitcnt lgkmcnt(0)
	v_cndmask_b32_e64 v2, v14, 1, vcc_lo
.LBB1308_137:
	s_or_b32 exec_lo, exec_lo, s8
	v_add_nc_u32_e32 v14, -1, v16
	v_and_b32_e32 v2, 0xff, v2
	v_and_b32_e32 v1, 0xffff, v1
	v_cmp_gt_i32_e32 vcc_lo, 0, v14
	v_lshl_or_b32 v1, v2, 16, v1
	v_cndmask_b32_e32 v14, v14, v16, vcc_lo
	v_lshlrev_b32_e32 v2, 2, v14
	ds_bpermute_b32 v1, v2, v1
	s_and_saveexec_b32 s8, s1
	s_cbranch_execz .LBB1308_139
; %bb.138:
	v_cmp_eq_u32_e64 s1, 0, v16
	v_cmp_gt_u32_e32 vcc_lo, 0x10000, v17
	v_mov_b32_e32 v2, 0
	;;#ASMSTART
	;;#ASMEND
	s_waitcnt lgkmcnt(0)
	v_cndmask_b32_e64 v1, v1, v18, s1
	v_cndmask_b32_sdwa v1, v2, v1, vcc_lo dst_sel:DWORD dst_unused:UNUSED_PAD src0_sel:DWORD src1_sel:WORD_0
	v_add_nc_u32_e32 v17, v1, v17
	v_cndmask_b32_e64 v1, 0, v17, s2
	v_add_nc_u16 v8, v1, v4
	v_cndmask_b32_e64 v1, 0, v8, s3
	v_add_nc_u16 v9, v1, v5
	;; [unrolled: 2-line block ×6, first 2 shown]
	v_and_b32_e32 v13, 0xffff, v1
.LBB1308_139:
	s_or_b32 exec_lo, exec_lo, s8
	s_and_saveexec_b32 s1, s0
	s_cbranch_execz .LBB1308_141
; %bb.140:
	v_mov_b32_e32 v3, 0
	s_waitcnt lgkmcnt(0)
	ds_read_u8 v1, v3 offset:6
	ds_read_u16 v2, v3 offset:4
	s_waitcnt lgkmcnt(1)
	v_lshlrev_b32_e32 v1, 16, v1
	s_waitcnt lgkmcnt(0)
	v_or_b32_e32 v1, v1, v2
	v_mov_b32_e32 v2, 2
	global_store_dwordx2 v3, v[1:2], s[24:25] offset:256
.LBB1308_141:
	s_or_b32 exec_lo, exec_lo, s1
	v_mov_b32_e32 v14, v17
.LBB1308_142:
	s_add_u32 s0, s14, s10
	v_mov_b32_e32 v5, 0
	s_addc_u32 s1, s15, s11
	s_add_u32 s0, s0, s12
	s_addc_u32 s1, s1, s13
	s_and_b32 vcc_lo, exec_lo, s27
	s_cbranch_vccz .LBB1308_170
; %bb.143:
	s_waitcnt lgkmcnt(0)
	v_mov_b32_e32 v1, 0
	v_mul_u32_u24_e32 v4, 7, v0
	s_add_i32 s33, s33, s26
	s_mov_b32 s2, exec_lo
	v_mov_b32_e32 v2, v1
	v_mov_b32_e32 v3, v1
	v_cmpx_gt_u32_e64 s33, v4
	s_cbranch_execz .LBB1308_157
; %bb.144:
	v_add_nc_u32_e32 v3, 1, v4
	v_and_b32_e32 v1, 0xffff, v14
	v_mov_b32_e32 v5, 0
	v_mov_b32_e32 v2, 0
	v_cmp_gt_u32_e32 vcc_lo, s33, v3
	v_mov_b32_e32 v3, 0
	s_and_saveexec_b32 s3, vcc_lo
	s_cbranch_execz .LBB1308_156
; %bb.145:
	v_add_nc_u32_e32 v5, 2, v4
	v_perm_b32 v1, v8, v1, 0x5040100
	v_mov_b32_e32 v3, 0
	v_mov_b32_e32 v2, 0
	v_cmp_gt_u32_e32 vcc_lo, s33, v5
	v_mov_b32_e32 v5, 0
	s_and_saveexec_b32 s4, vcc_lo
	s_cbranch_execz .LBB1308_155
; %bb.146:
	v_add_nc_u32_e32 v5, 3, v4
	v_bfi_b32 v2, 0xffff, v9, 0
	v_mov_b32_e32 v3, 0
	v_cmp_gt_u32_e32 vcc_lo, s33, v5
	v_mov_b32_e32 v5, 0
	s_and_saveexec_b32 s5, vcc_lo
	s_cbranch_execz .LBB1308_154
; %bb.147:
	v_add_nc_u32_e32 v5, 4, v4
	v_perm_b32 v2, v10, v2, 0x5040100
	v_mov_b32_e32 v3, 0
	v_cmp_gt_u32_e32 vcc_lo, s33, v5
	v_mov_b32_e32 v5, 0
	s_and_saveexec_b32 s6, vcc_lo
	s_cbranch_execz .LBB1308_153
; %bb.148:
	v_add_nc_u32_e32 v5, 5, v4
	v_bfi_b32 v3, 0xffff, v11, 0
	v_cmp_gt_u32_e32 vcc_lo, s33, v5
	v_mov_b32_e32 v5, 0
	s_and_saveexec_b32 s7, vcc_lo
	s_cbranch_execz .LBB1308_152
; %bb.149:
	v_add_nc_u32_e32 v5, 6, v4
	v_perm_b32 v3, v12, v3, 0x5040100
	v_cmp_gt_u32_e32 vcc_lo, s33, v5
	v_mov_b32_e32 v5, 0
	s_and_saveexec_b32 s8, vcc_lo
; %bb.150:
	v_mov_b32_e32 v5, v13
; %bb.151:
	s_or_b32 exec_lo, exec_lo, s8
.LBB1308_152:
	s_or_b32 exec_lo, exec_lo, s7
.LBB1308_153:
	s_or_b32 exec_lo, exec_lo, s6
.LBB1308_154:
	s_or_b32 exec_lo, exec_lo, s5
.LBB1308_155:
	s_or_b32 exec_lo, exec_lo, s4
.LBB1308_156:
	s_or_b32 exec_lo, exec_lo, s3
.LBB1308_157:
	s_or_b32 exec_lo, exec_lo, s2
	v_lshlrev_b32_e32 v15, 1, v4
	s_waitcnt_vscnt null, 0x0
	s_barrier
	buffer_gl0_inv
	ds_write_b96 v15, v[1:3]
	v_mad_i32_i24 v1, v0, -12, v15
	ds_write_b16 v15, v5 offset:12
	s_waitcnt lgkmcnt(0)
	s_barrier
	buffer_gl0_inv
	ds_read_u16 v16, v1 offset:128
	ds_read_u16 v7, v1 offset:256
	;; [unrolled: 1-line block ×6, first 2 shown]
	v_lshlrev_b32_e32 v1, 1, v0
	v_add_co_u32 v1, s2, s0, v1
	v_add_co_ci_u32_e64 v2, null, s1, 0, s2
	s_mov_b32 s2, exec_lo
	v_cmpx_gt_u32_e64 s33, v0
	s_cbranch_execz .LBB1308_159
; %bb.158:
	v_mul_i32_i24_e32 v17, -12, v0
	v_add_nc_u32_e32 v15, v15, v17
	ds_read_u16 v15, v15
	s_waitcnt lgkmcnt(0)
	flat_store_short v[1:2], v15
.LBB1308_159:
	s_or_b32 exec_lo, exec_lo, s2
	v_or_b32_e32 v15, 64, v0
	s_mov_b32 s2, exec_lo
	v_cmpx_gt_u32_e64 s33, v15
	s_cbranch_execz .LBB1308_161
; %bb.160:
	s_waitcnt lgkmcnt(5)
	flat_store_short v[1:2], v16 offset:128
.LBB1308_161:
	s_or_b32 exec_lo, exec_lo, s2
	v_or_b32_e32 v15, 0x80, v0
	s_mov_b32 s2, exec_lo
	v_cmpx_gt_u32_e64 s33, v15
	s_cbranch_execz .LBB1308_163
; %bb.162:
	s_waitcnt lgkmcnt(4)
	flat_store_short v[1:2], v7 offset:256
.LBB1308_163:
	s_or_b32 exec_lo, exec_lo, s2
	s_waitcnt lgkmcnt(4)
	v_or_b32_e32 v7, 0xc0, v0
	s_mov_b32 s2, exec_lo
	v_cmpx_gt_u32_e64 s33, v7
	s_cbranch_execz .LBB1308_165
; %bb.164:
	s_waitcnt lgkmcnt(3)
	flat_store_short v[1:2], v6 offset:384
.LBB1308_165:
	s_or_b32 exec_lo, exec_lo, s2
	s_waitcnt lgkmcnt(3)
	;; [unrolled: 10-line block ×3, first 2 shown]
	v_or_b32_e32 v5, 0x140, v0
	s_mov_b32 s2, exec_lo
	v_cmpx_gt_u32_e64 s33, v5
	s_cbranch_execz .LBB1308_169
; %bb.168:
	s_waitcnt lgkmcnt(1)
	flat_store_short v[1:2], v4 offset:640
.LBB1308_169:
	s_or_b32 exec_lo, exec_lo, s2
	v_or_b32_e32 v1, 0x180, v0
	v_cmp_gt_u32_e64 s2, s33, v1
	s_branch .LBB1308_172
.LBB1308_170:
	s_mov_b32 s2, 0
                                        ; implicit-def: $vgpr3
	s_cbranch_execz .LBB1308_172
; %bb.171:
	s_waitcnt lgkmcnt(1)
	v_mul_u32_u24_e32 v4, 14, v0
	s_waitcnt lgkmcnt(0)
	v_perm_b32 v3, v12, v11, 0x5040100
	v_perm_b32 v2, v10, v9, 0x5040100
	;; [unrolled: 1-line block ×3, first 2 shown]
	v_mul_i32_i24_e32 v5, -12, v0
	s_waitcnt_vscnt null, 0x0
	s_barrier
	buffer_gl0_inv
	ds_write_b96 v4, v[1:3]
	v_mad_u32_u24 v1, v0, 14, v5
	ds_write_b16 v4, v13 offset:12
	s_waitcnt lgkmcnt(0)
	s_barrier
	buffer_gl0_inv
	ds_read_u16 v4, v1
	ds_read_u16 v5, v1 offset:128
	ds_read_u16 v6, v1 offset:256
	;; [unrolled: 1-line block ×6, first 2 shown]
	v_lshlrev_b32_e32 v1, 1, v0
	s_or_b32 s2, s2, exec_lo
	v_add_co_u32 v1, s3, s0, v1
	v_add_co_ci_u32_e64 v2, null, s1, 0, s3
	s_waitcnt lgkmcnt(6)
	flat_store_short v[1:2], v4
	s_waitcnt lgkmcnt(6)
	flat_store_short v[1:2], v5 offset:128
	s_waitcnt lgkmcnt(6)
	flat_store_short v[1:2], v6 offset:256
	s_waitcnt lgkmcnt(6)
	flat_store_short v[1:2], v7 offset:384
	s_waitcnt lgkmcnt(6)
	flat_store_short v[1:2], v8 offset:512
	s_waitcnt lgkmcnt(6)
	flat_store_short v[1:2], v9 offset:640
.LBB1308_172:
	s_and_saveexec_b32 s3, s2
	s_cbranch_execnz .LBB1308_174
; %bb.173:
	s_endpgm
.LBB1308_174:
	v_lshlrev_b32_e32 v0, 1, v0
	v_add_co_u32 v0, s0, s0, v0
	s_waitcnt lgkmcnt(0)
	v_add_co_ci_u32_e64 v1, null, s1, 0, s0
	flat_store_short v[0:1], v3 offset:768
	s_endpgm
.LBB1308_175:
	v_add_co_u32 v7, s8, s9, v3
	v_add_co_ci_u32_e64 v8, null, s35, 0, s8
	v_mov_b32_e32 v6, v5
	v_mov_b32_e32 v9, v5
	flat_load_short_d16 v6, v[7:8]
	v_mov_b32_e32 v7, v5
	v_mov_b32_e32 v8, v5
	s_waitcnt vmcnt(0) lgkmcnt(0)
	v_mov_b32_e32 v5, v6
	v_mov_b32_e32 v6, v7
	;; [unrolled: 1-line block ×4, first 2 shown]
	s_or_b32 exec_lo, exec_lo, s16
	s_and_saveexec_b32 s8, s7
	s_cbranch_execz .LBB1308_27
.LBB1308_176:
	v_add_co_u32 v9, s7, s9, v3
	v_add_co_ci_u32_e64 v10, null, s35, 0, s7
	flat_load_short_d16_hi v5, v[9:10] offset:128
	s_or_b32 exec_lo, exec_lo, s8
	s_and_saveexec_b32 s7, s6
	s_cbranch_execz .LBB1308_28
.LBB1308_177:
	v_add_co_u32 v9, s6, s9, v3
	v_add_co_ci_u32_e64 v10, null, s35, 0, s6
	flat_load_short_d16 v6, v[9:10] offset:256
	s_or_b32 exec_lo, exec_lo, s7
	s_and_saveexec_b32 s6, s5
	s_cbranch_execz .LBB1308_29
.LBB1308_178:
	v_add_co_u32 v9, s5, s9, v3
	v_add_co_ci_u32_e64 v10, null, s35, 0, s5
	s_waitcnt vmcnt(0) lgkmcnt(0)
	flat_load_short_d16_hi v6, v[9:10] offset:384
	s_or_b32 exec_lo, exec_lo, s6
	s_and_saveexec_b32 s5, s4
	s_cbranch_execz .LBB1308_30
.LBB1308_179:
	v_add_co_u32 v9, s4, s9, v3
	v_add_co_ci_u32_e64 v10, null, s35, 0, s4
	flat_load_short_d16 v7, v[9:10] offset:512
	s_or_b32 exec_lo, exec_lo, s5
	s_and_saveexec_b32 s4, s3
	s_cbranch_execz .LBB1308_31
.LBB1308_180:
	v_add_co_u32 v9, s3, s9, v3
	v_add_co_ci_u32_e64 v10, null, s35, 0, s3
	s_waitcnt vmcnt(0) lgkmcnt(0)
	flat_load_short_d16_hi v7, v[9:10] offset:640
	s_or_b32 exec_lo, exec_lo, s4
	s_and_saveexec_b32 s3, s2
	s_cbranch_execnz .LBB1308_32
	s_branch .LBB1308_33
.LBB1308_181:
                                        ; implicit-def: $sgpr16_sgpr17
	s_branch .LBB1308_22
.LBB1308_182:
                                        ; implicit-def: $sgpr2_sgpr3
	s_branch .LBB1308_50
	.section	.rodata,"a",@progbits
	.p2align	6, 0x0
	.amdhsa_kernel _ZN7rocprim17ROCPRIM_400000_NS6detail17trampoline_kernelINS0_14default_configENS1_27scan_by_key_config_selectorIitEEZZNS1_16scan_by_key_implILNS1_25lookback_scan_determinismE0ELb0ES3_N6thrust23THRUST_200600_302600_NS6detail15normal_iteratorINS9_10device_ptrIiEEEENSB_INSC_ItEEEESG_tNS9_4plusIvEENS9_8equal_toIvEEtEE10hipError_tPvRmT2_T3_T4_T5_mT6_T7_P12ihipStream_tbENKUlT_T0_E_clISt17integral_constantIbLb0EES10_IbLb1EEEEDaSW_SX_EUlSW_E_NS1_11comp_targetILNS1_3genE8ELNS1_11target_archE1030ELNS1_3gpuE2ELNS1_3repE0EEENS1_30default_config_static_selectorELNS0_4arch9wavefront6targetE0EEEvT1_
		.amdhsa_group_segment_fixed_size 2304
		.amdhsa_private_segment_fixed_size 0
		.amdhsa_kernarg_size 112
		.amdhsa_user_sgpr_count 6
		.amdhsa_user_sgpr_private_segment_buffer 1
		.amdhsa_user_sgpr_dispatch_ptr 0
		.amdhsa_user_sgpr_queue_ptr 0
		.amdhsa_user_sgpr_kernarg_segment_ptr 1
		.amdhsa_user_sgpr_dispatch_id 0
		.amdhsa_user_sgpr_flat_scratch_init 0
		.amdhsa_user_sgpr_private_segment_size 0
		.amdhsa_wavefront_size32 1
		.amdhsa_uses_dynamic_stack 0
		.amdhsa_system_sgpr_private_segment_wavefront_offset 0
		.amdhsa_system_sgpr_workgroup_id_x 1
		.amdhsa_system_sgpr_workgroup_id_y 0
		.amdhsa_system_sgpr_workgroup_id_z 0
		.amdhsa_system_sgpr_workgroup_info 0
		.amdhsa_system_vgpr_workitem_id 0
		.amdhsa_next_free_vgpr 37
		.amdhsa_next_free_sgpr 38
		.amdhsa_reserve_vcc 1
		.amdhsa_reserve_flat_scratch 1
		.amdhsa_float_round_mode_32 0
		.amdhsa_float_round_mode_16_64 0
		.amdhsa_float_denorm_mode_32 3
		.amdhsa_float_denorm_mode_16_64 3
		.amdhsa_dx10_clamp 1
		.amdhsa_ieee_mode 1
		.amdhsa_fp16_overflow 0
		.amdhsa_workgroup_processor_mode 1
		.amdhsa_memory_ordered 1
		.amdhsa_forward_progress 1
		.amdhsa_shared_vgpr_count 0
		.amdhsa_exception_fp_ieee_invalid_op 0
		.amdhsa_exception_fp_denorm_src 0
		.amdhsa_exception_fp_ieee_div_zero 0
		.amdhsa_exception_fp_ieee_overflow 0
		.amdhsa_exception_fp_ieee_underflow 0
		.amdhsa_exception_fp_ieee_inexact 0
		.amdhsa_exception_int_div_zero 0
	.end_amdhsa_kernel
	.section	.text._ZN7rocprim17ROCPRIM_400000_NS6detail17trampoline_kernelINS0_14default_configENS1_27scan_by_key_config_selectorIitEEZZNS1_16scan_by_key_implILNS1_25lookback_scan_determinismE0ELb0ES3_N6thrust23THRUST_200600_302600_NS6detail15normal_iteratorINS9_10device_ptrIiEEEENSB_INSC_ItEEEESG_tNS9_4plusIvEENS9_8equal_toIvEEtEE10hipError_tPvRmT2_T3_T4_T5_mT6_T7_P12ihipStream_tbENKUlT_T0_E_clISt17integral_constantIbLb0EES10_IbLb1EEEEDaSW_SX_EUlSW_E_NS1_11comp_targetILNS1_3genE8ELNS1_11target_archE1030ELNS1_3gpuE2ELNS1_3repE0EEENS1_30default_config_static_selectorELNS0_4arch9wavefront6targetE0EEEvT1_,"axG",@progbits,_ZN7rocprim17ROCPRIM_400000_NS6detail17trampoline_kernelINS0_14default_configENS1_27scan_by_key_config_selectorIitEEZZNS1_16scan_by_key_implILNS1_25lookback_scan_determinismE0ELb0ES3_N6thrust23THRUST_200600_302600_NS6detail15normal_iteratorINS9_10device_ptrIiEEEENSB_INSC_ItEEEESG_tNS9_4plusIvEENS9_8equal_toIvEEtEE10hipError_tPvRmT2_T3_T4_T5_mT6_T7_P12ihipStream_tbENKUlT_T0_E_clISt17integral_constantIbLb0EES10_IbLb1EEEEDaSW_SX_EUlSW_E_NS1_11comp_targetILNS1_3genE8ELNS1_11target_archE1030ELNS1_3gpuE2ELNS1_3repE0EEENS1_30default_config_static_selectorELNS0_4arch9wavefront6targetE0EEEvT1_,comdat
.Lfunc_end1308:
	.size	_ZN7rocprim17ROCPRIM_400000_NS6detail17trampoline_kernelINS0_14default_configENS1_27scan_by_key_config_selectorIitEEZZNS1_16scan_by_key_implILNS1_25lookback_scan_determinismE0ELb0ES3_N6thrust23THRUST_200600_302600_NS6detail15normal_iteratorINS9_10device_ptrIiEEEENSB_INSC_ItEEEESG_tNS9_4plusIvEENS9_8equal_toIvEEtEE10hipError_tPvRmT2_T3_T4_T5_mT6_T7_P12ihipStream_tbENKUlT_T0_E_clISt17integral_constantIbLb0EES10_IbLb1EEEEDaSW_SX_EUlSW_E_NS1_11comp_targetILNS1_3genE8ELNS1_11target_archE1030ELNS1_3gpuE2ELNS1_3repE0EEENS1_30default_config_static_selectorELNS0_4arch9wavefront6targetE0EEEvT1_, .Lfunc_end1308-_ZN7rocprim17ROCPRIM_400000_NS6detail17trampoline_kernelINS0_14default_configENS1_27scan_by_key_config_selectorIitEEZZNS1_16scan_by_key_implILNS1_25lookback_scan_determinismE0ELb0ES3_N6thrust23THRUST_200600_302600_NS6detail15normal_iteratorINS9_10device_ptrIiEEEENSB_INSC_ItEEEESG_tNS9_4plusIvEENS9_8equal_toIvEEtEE10hipError_tPvRmT2_T3_T4_T5_mT6_T7_P12ihipStream_tbENKUlT_T0_E_clISt17integral_constantIbLb0EES10_IbLb1EEEEDaSW_SX_EUlSW_E_NS1_11comp_targetILNS1_3genE8ELNS1_11target_archE1030ELNS1_3gpuE2ELNS1_3repE0EEENS1_30default_config_static_selectorELNS0_4arch9wavefront6targetE0EEEvT1_
                                        ; -- End function
	.set _ZN7rocprim17ROCPRIM_400000_NS6detail17trampoline_kernelINS0_14default_configENS1_27scan_by_key_config_selectorIitEEZZNS1_16scan_by_key_implILNS1_25lookback_scan_determinismE0ELb0ES3_N6thrust23THRUST_200600_302600_NS6detail15normal_iteratorINS9_10device_ptrIiEEEENSB_INSC_ItEEEESG_tNS9_4plusIvEENS9_8equal_toIvEEtEE10hipError_tPvRmT2_T3_T4_T5_mT6_T7_P12ihipStream_tbENKUlT_T0_E_clISt17integral_constantIbLb0EES10_IbLb1EEEEDaSW_SX_EUlSW_E_NS1_11comp_targetILNS1_3genE8ELNS1_11target_archE1030ELNS1_3gpuE2ELNS1_3repE0EEENS1_30default_config_static_selectorELNS0_4arch9wavefront6targetE0EEEvT1_.num_vgpr, 37
	.set _ZN7rocprim17ROCPRIM_400000_NS6detail17trampoline_kernelINS0_14default_configENS1_27scan_by_key_config_selectorIitEEZZNS1_16scan_by_key_implILNS1_25lookback_scan_determinismE0ELb0ES3_N6thrust23THRUST_200600_302600_NS6detail15normal_iteratorINS9_10device_ptrIiEEEENSB_INSC_ItEEEESG_tNS9_4plusIvEENS9_8equal_toIvEEtEE10hipError_tPvRmT2_T3_T4_T5_mT6_T7_P12ihipStream_tbENKUlT_T0_E_clISt17integral_constantIbLb0EES10_IbLb1EEEEDaSW_SX_EUlSW_E_NS1_11comp_targetILNS1_3genE8ELNS1_11target_archE1030ELNS1_3gpuE2ELNS1_3repE0EEENS1_30default_config_static_selectorELNS0_4arch9wavefront6targetE0EEEvT1_.num_agpr, 0
	.set _ZN7rocprim17ROCPRIM_400000_NS6detail17trampoline_kernelINS0_14default_configENS1_27scan_by_key_config_selectorIitEEZZNS1_16scan_by_key_implILNS1_25lookback_scan_determinismE0ELb0ES3_N6thrust23THRUST_200600_302600_NS6detail15normal_iteratorINS9_10device_ptrIiEEEENSB_INSC_ItEEEESG_tNS9_4plusIvEENS9_8equal_toIvEEtEE10hipError_tPvRmT2_T3_T4_T5_mT6_T7_P12ihipStream_tbENKUlT_T0_E_clISt17integral_constantIbLb0EES10_IbLb1EEEEDaSW_SX_EUlSW_E_NS1_11comp_targetILNS1_3genE8ELNS1_11target_archE1030ELNS1_3gpuE2ELNS1_3repE0EEENS1_30default_config_static_selectorELNS0_4arch9wavefront6targetE0EEEvT1_.numbered_sgpr, 38
	.set _ZN7rocprim17ROCPRIM_400000_NS6detail17trampoline_kernelINS0_14default_configENS1_27scan_by_key_config_selectorIitEEZZNS1_16scan_by_key_implILNS1_25lookback_scan_determinismE0ELb0ES3_N6thrust23THRUST_200600_302600_NS6detail15normal_iteratorINS9_10device_ptrIiEEEENSB_INSC_ItEEEESG_tNS9_4plusIvEENS9_8equal_toIvEEtEE10hipError_tPvRmT2_T3_T4_T5_mT6_T7_P12ihipStream_tbENKUlT_T0_E_clISt17integral_constantIbLb0EES10_IbLb1EEEEDaSW_SX_EUlSW_E_NS1_11comp_targetILNS1_3genE8ELNS1_11target_archE1030ELNS1_3gpuE2ELNS1_3repE0EEENS1_30default_config_static_selectorELNS0_4arch9wavefront6targetE0EEEvT1_.num_named_barrier, 0
	.set _ZN7rocprim17ROCPRIM_400000_NS6detail17trampoline_kernelINS0_14default_configENS1_27scan_by_key_config_selectorIitEEZZNS1_16scan_by_key_implILNS1_25lookback_scan_determinismE0ELb0ES3_N6thrust23THRUST_200600_302600_NS6detail15normal_iteratorINS9_10device_ptrIiEEEENSB_INSC_ItEEEESG_tNS9_4plusIvEENS9_8equal_toIvEEtEE10hipError_tPvRmT2_T3_T4_T5_mT6_T7_P12ihipStream_tbENKUlT_T0_E_clISt17integral_constantIbLb0EES10_IbLb1EEEEDaSW_SX_EUlSW_E_NS1_11comp_targetILNS1_3genE8ELNS1_11target_archE1030ELNS1_3gpuE2ELNS1_3repE0EEENS1_30default_config_static_selectorELNS0_4arch9wavefront6targetE0EEEvT1_.private_seg_size, 0
	.set _ZN7rocprim17ROCPRIM_400000_NS6detail17trampoline_kernelINS0_14default_configENS1_27scan_by_key_config_selectorIitEEZZNS1_16scan_by_key_implILNS1_25lookback_scan_determinismE0ELb0ES3_N6thrust23THRUST_200600_302600_NS6detail15normal_iteratorINS9_10device_ptrIiEEEENSB_INSC_ItEEEESG_tNS9_4plusIvEENS9_8equal_toIvEEtEE10hipError_tPvRmT2_T3_T4_T5_mT6_T7_P12ihipStream_tbENKUlT_T0_E_clISt17integral_constantIbLb0EES10_IbLb1EEEEDaSW_SX_EUlSW_E_NS1_11comp_targetILNS1_3genE8ELNS1_11target_archE1030ELNS1_3gpuE2ELNS1_3repE0EEENS1_30default_config_static_selectorELNS0_4arch9wavefront6targetE0EEEvT1_.uses_vcc, 1
	.set _ZN7rocprim17ROCPRIM_400000_NS6detail17trampoline_kernelINS0_14default_configENS1_27scan_by_key_config_selectorIitEEZZNS1_16scan_by_key_implILNS1_25lookback_scan_determinismE0ELb0ES3_N6thrust23THRUST_200600_302600_NS6detail15normal_iteratorINS9_10device_ptrIiEEEENSB_INSC_ItEEEESG_tNS9_4plusIvEENS9_8equal_toIvEEtEE10hipError_tPvRmT2_T3_T4_T5_mT6_T7_P12ihipStream_tbENKUlT_T0_E_clISt17integral_constantIbLb0EES10_IbLb1EEEEDaSW_SX_EUlSW_E_NS1_11comp_targetILNS1_3genE8ELNS1_11target_archE1030ELNS1_3gpuE2ELNS1_3repE0EEENS1_30default_config_static_selectorELNS0_4arch9wavefront6targetE0EEEvT1_.uses_flat_scratch, 1
	.set _ZN7rocprim17ROCPRIM_400000_NS6detail17trampoline_kernelINS0_14default_configENS1_27scan_by_key_config_selectorIitEEZZNS1_16scan_by_key_implILNS1_25lookback_scan_determinismE0ELb0ES3_N6thrust23THRUST_200600_302600_NS6detail15normal_iteratorINS9_10device_ptrIiEEEENSB_INSC_ItEEEESG_tNS9_4plusIvEENS9_8equal_toIvEEtEE10hipError_tPvRmT2_T3_T4_T5_mT6_T7_P12ihipStream_tbENKUlT_T0_E_clISt17integral_constantIbLb0EES10_IbLb1EEEEDaSW_SX_EUlSW_E_NS1_11comp_targetILNS1_3genE8ELNS1_11target_archE1030ELNS1_3gpuE2ELNS1_3repE0EEENS1_30default_config_static_selectorELNS0_4arch9wavefront6targetE0EEEvT1_.has_dyn_sized_stack, 0
	.set _ZN7rocprim17ROCPRIM_400000_NS6detail17trampoline_kernelINS0_14default_configENS1_27scan_by_key_config_selectorIitEEZZNS1_16scan_by_key_implILNS1_25lookback_scan_determinismE0ELb0ES3_N6thrust23THRUST_200600_302600_NS6detail15normal_iteratorINS9_10device_ptrIiEEEENSB_INSC_ItEEEESG_tNS9_4plusIvEENS9_8equal_toIvEEtEE10hipError_tPvRmT2_T3_T4_T5_mT6_T7_P12ihipStream_tbENKUlT_T0_E_clISt17integral_constantIbLb0EES10_IbLb1EEEEDaSW_SX_EUlSW_E_NS1_11comp_targetILNS1_3genE8ELNS1_11target_archE1030ELNS1_3gpuE2ELNS1_3repE0EEENS1_30default_config_static_selectorELNS0_4arch9wavefront6targetE0EEEvT1_.has_recursion, 0
	.set _ZN7rocprim17ROCPRIM_400000_NS6detail17trampoline_kernelINS0_14default_configENS1_27scan_by_key_config_selectorIitEEZZNS1_16scan_by_key_implILNS1_25lookback_scan_determinismE0ELb0ES3_N6thrust23THRUST_200600_302600_NS6detail15normal_iteratorINS9_10device_ptrIiEEEENSB_INSC_ItEEEESG_tNS9_4plusIvEENS9_8equal_toIvEEtEE10hipError_tPvRmT2_T3_T4_T5_mT6_T7_P12ihipStream_tbENKUlT_T0_E_clISt17integral_constantIbLb0EES10_IbLb1EEEEDaSW_SX_EUlSW_E_NS1_11comp_targetILNS1_3genE8ELNS1_11target_archE1030ELNS1_3gpuE2ELNS1_3repE0EEENS1_30default_config_static_selectorELNS0_4arch9wavefront6targetE0EEEvT1_.has_indirect_call, 0
	.section	.AMDGPU.csdata,"",@progbits
; Kernel info:
; codeLenInByte = 8184
; TotalNumSgprs: 40
; NumVgprs: 37
; ScratchSize: 0
; MemoryBound: 0
; FloatMode: 240
; IeeeMode: 1
; LDSByteSize: 2304 bytes/workgroup (compile time only)
; SGPRBlocks: 0
; VGPRBlocks: 4
; NumSGPRsForWavesPerEU: 40
; NumVGPRsForWavesPerEU: 37
; Occupancy: 16
; WaveLimiterHint : 1
; COMPUTE_PGM_RSRC2:SCRATCH_EN: 0
; COMPUTE_PGM_RSRC2:USER_SGPR: 6
; COMPUTE_PGM_RSRC2:TRAP_HANDLER: 0
; COMPUTE_PGM_RSRC2:TGID_X_EN: 1
; COMPUTE_PGM_RSRC2:TGID_Y_EN: 0
; COMPUTE_PGM_RSRC2:TGID_Z_EN: 0
; COMPUTE_PGM_RSRC2:TIDIG_COMP_CNT: 0
	.section	.text._ZN6thrust23THRUST_200600_302600_NS11hip_rocprim14__parallel_for6kernelILj256ENS1_11__transform17unary_transform_fINS0_7pointerIiNS1_3tagENS0_11use_defaultES8_EENS0_10device_ptrIxEENS4_14no_stencil_tagENS0_8identityIiEENS4_21always_true_predicateEEElLj1EEEvT0_T1_SI_,"axG",@progbits,_ZN6thrust23THRUST_200600_302600_NS11hip_rocprim14__parallel_for6kernelILj256ENS1_11__transform17unary_transform_fINS0_7pointerIiNS1_3tagENS0_11use_defaultES8_EENS0_10device_ptrIxEENS4_14no_stencil_tagENS0_8identityIiEENS4_21always_true_predicateEEElLj1EEEvT0_T1_SI_,comdat
	.protected	_ZN6thrust23THRUST_200600_302600_NS11hip_rocprim14__parallel_for6kernelILj256ENS1_11__transform17unary_transform_fINS0_7pointerIiNS1_3tagENS0_11use_defaultES8_EENS0_10device_ptrIxEENS4_14no_stencil_tagENS0_8identityIiEENS4_21always_true_predicateEEElLj1EEEvT0_T1_SI_ ; -- Begin function _ZN6thrust23THRUST_200600_302600_NS11hip_rocprim14__parallel_for6kernelILj256ENS1_11__transform17unary_transform_fINS0_7pointerIiNS1_3tagENS0_11use_defaultES8_EENS0_10device_ptrIxEENS4_14no_stencil_tagENS0_8identityIiEENS4_21always_true_predicateEEElLj1EEEvT0_T1_SI_
	.globl	_ZN6thrust23THRUST_200600_302600_NS11hip_rocprim14__parallel_for6kernelILj256ENS1_11__transform17unary_transform_fINS0_7pointerIiNS1_3tagENS0_11use_defaultES8_EENS0_10device_ptrIxEENS4_14no_stencil_tagENS0_8identityIiEENS4_21always_true_predicateEEElLj1EEEvT0_T1_SI_
	.p2align	8
	.type	_ZN6thrust23THRUST_200600_302600_NS11hip_rocprim14__parallel_for6kernelILj256ENS1_11__transform17unary_transform_fINS0_7pointerIiNS1_3tagENS0_11use_defaultES8_EENS0_10device_ptrIxEENS4_14no_stencil_tagENS0_8identityIiEENS4_21always_true_predicateEEElLj1EEEvT0_T1_SI_,@function
_ZN6thrust23THRUST_200600_302600_NS11hip_rocprim14__parallel_for6kernelILj256ENS1_11__transform17unary_transform_fINS0_7pointerIiNS1_3tagENS0_11use_defaultES8_EENS0_10device_ptrIxEENS4_14no_stencil_tagENS0_8identityIiEENS4_21always_true_predicateEEElLj1EEEvT0_T1_SI_: ; @_ZN6thrust23THRUST_200600_302600_NS11hip_rocprim14__parallel_for6kernelILj256ENS1_11__transform17unary_transform_fINS0_7pointerIiNS1_3tagENS0_11use_defaultES8_EENS0_10device_ptrIxEENS4_14no_stencil_tagENS0_8identityIiEENS4_21always_true_predicateEEElLj1EEEvT0_T1_SI_
; %bb.0:
	s_clause 0x1
	s_load_dwordx4 s[8:11], s[4:5], 0x18
	s_load_dwordx4 s[0:3], s[4:5], 0x0
	s_lshl_b32 s4, s6, 8
	s_waitcnt lgkmcnt(0)
	s_add_u32 s4, s10, s4
	s_addc_u32 s5, s11, 0
	s_sub_u32 s6, s8, s4
	s_subb_u32 s7, s9, s5
	v_cmp_gt_i64_e64 s7, 0x100, s[6:7]
	s_and_b32 s7, s7, exec_lo
	s_cselect_b32 s7, s6, 0x100
	s_mov_b32 s6, -1
	s_cmpk_eq_i32 s7, 0x100
	s_cbranch_scc0 .LBB1309_3
; %bb.1:
	s_andn2_b32 vcc_lo, exec_lo, s6
	s_cbranch_vccz .LBB1309_6
.LBB1309_2:
	s_endpgm
.LBB1309_3:
	s_mov_b32 s6, exec_lo
	v_cmpx_gt_u32_e64 s7, v0
	s_cbranch_execz .LBB1309_5
; %bb.4:
	v_add_co_u32 v1, s7, s4, v0
	v_add_co_ci_u32_e64 v2, null, s5, 0, s7
	v_lshlrev_b64 v[3:4], 2, v[1:2]
	v_lshlrev_b64 v[1:2], 3, v[1:2]
	v_add_co_u32 v3, vcc_lo, s0, v3
	v_add_co_ci_u32_e64 v4, null, s1, v4, vcc_lo
	v_add_co_u32 v1, vcc_lo, s2, v1
	v_add_co_ci_u32_e64 v2, null, s3, v2, vcc_lo
	flat_load_dword v3, v[3:4]
	s_waitcnt vmcnt(0) lgkmcnt(0)
	v_ashrrev_i32_e32 v4, 31, v3
	flat_store_dwordx2 v[1:2], v[3:4]
.LBB1309_5:
	s_or_b32 exec_lo, exec_lo, s6
	s_cbranch_execnz .LBB1309_2
.LBB1309_6:
	v_add_co_u32 v0, s4, s4, v0
	v_add_co_ci_u32_e64 v1, null, s5, 0, s4
	v_lshlrev_b64 v[2:3], 2, v[0:1]
	v_lshlrev_b64 v[0:1], 3, v[0:1]
	v_add_co_u32 v2, vcc_lo, s0, v2
	v_add_co_ci_u32_e64 v3, null, s1, v3, vcc_lo
	v_add_co_u32 v0, vcc_lo, s2, v0
	v_add_co_ci_u32_e64 v1, null, s3, v1, vcc_lo
	flat_load_dword v2, v[2:3]
	s_waitcnt vmcnt(0) lgkmcnt(0)
	v_ashrrev_i32_e32 v3, 31, v2
	flat_store_dwordx2 v[0:1], v[2:3]
	s_endpgm
	.section	.rodata,"a",@progbits
	.p2align	6, 0x0
	.amdhsa_kernel _ZN6thrust23THRUST_200600_302600_NS11hip_rocprim14__parallel_for6kernelILj256ENS1_11__transform17unary_transform_fINS0_7pointerIiNS1_3tagENS0_11use_defaultES8_EENS0_10device_ptrIxEENS4_14no_stencil_tagENS0_8identityIiEENS4_21always_true_predicateEEElLj1EEEvT0_T1_SI_
		.amdhsa_group_segment_fixed_size 0
		.amdhsa_private_segment_fixed_size 0
		.amdhsa_kernarg_size 40
		.amdhsa_user_sgpr_count 6
		.amdhsa_user_sgpr_private_segment_buffer 1
		.amdhsa_user_sgpr_dispatch_ptr 0
		.amdhsa_user_sgpr_queue_ptr 0
		.amdhsa_user_sgpr_kernarg_segment_ptr 1
		.amdhsa_user_sgpr_dispatch_id 0
		.amdhsa_user_sgpr_flat_scratch_init 0
		.amdhsa_user_sgpr_private_segment_size 0
		.amdhsa_wavefront_size32 1
		.amdhsa_uses_dynamic_stack 0
		.amdhsa_system_sgpr_private_segment_wavefront_offset 0
		.amdhsa_system_sgpr_workgroup_id_x 1
		.amdhsa_system_sgpr_workgroup_id_y 0
		.amdhsa_system_sgpr_workgroup_id_z 0
		.amdhsa_system_sgpr_workgroup_info 0
		.amdhsa_system_vgpr_workitem_id 0
		.amdhsa_next_free_vgpr 5
		.amdhsa_next_free_sgpr 12
		.amdhsa_reserve_vcc 1
		.amdhsa_reserve_flat_scratch 0
		.amdhsa_float_round_mode_32 0
		.amdhsa_float_round_mode_16_64 0
		.amdhsa_float_denorm_mode_32 3
		.amdhsa_float_denorm_mode_16_64 3
		.amdhsa_dx10_clamp 1
		.amdhsa_ieee_mode 1
		.amdhsa_fp16_overflow 0
		.amdhsa_workgroup_processor_mode 1
		.amdhsa_memory_ordered 1
		.amdhsa_forward_progress 1
		.amdhsa_shared_vgpr_count 0
		.amdhsa_exception_fp_ieee_invalid_op 0
		.amdhsa_exception_fp_denorm_src 0
		.amdhsa_exception_fp_ieee_div_zero 0
		.amdhsa_exception_fp_ieee_overflow 0
		.amdhsa_exception_fp_ieee_underflow 0
		.amdhsa_exception_fp_ieee_inexact 0
		.amdhsa_exception_int_div_zero 0
	.end_amdhsa_kernel
	.section	.text._ZN6thrust23THRUST_200600_302600_NS11hip_rocprim14__parallel_for6kernelILj256ENS1_11__transform17unary_transform_fINS0_7pointerIiNS1_3tagENS0_11use_defaultES8_EENS0_10device_ptrIxEENS4_14no_stencil_tagENS0_8identityIiEENS4_21always_true_predicateEEElLj1EEEvT0_T1_SI_,"axG",@progbits,_ZN6thrust23THRUST_200600_302600_NS11hip_rocprim14__parallel_for6kernelILj256ENS1_11__transform17unary_transform_fINS0_7pointerIiNS1_3tagENS0_11use_defaultES8_EENS0_10device_ptrIxEENS4_14no_stencil_tagENS0_8identityIiEENS4_21always_true_predicateEEElLj1EEEvT0_T1_SI_,comdat
.Lfunc_end1309:
	.size	_ZN6thrust23THRUST_200600_302600_NS11hip_rocprim14__parallel_for6kernelILj256ENS1_11__transform17unary_transform_fINS0_7pointerIiNS1_3tagENS0_11use_defaultES8_EENS0_10device_ptrIxEENS4_14no_stencil_tagENS0_8identityIiEENS4_21always_true_predicateEEElLj1EEEvT0_T1_SI_, .Lfunc_end1309-_ZN6thrust23THRUST_200600_302600_NS11hip_rocprim14__parallel_for6kernelILj256ENS1_11__transform17unary_transform_fINS0_7pointerIiNS1_3tagENS0_11use_defaultES8_EENS0_10device_ptrIxEENS4_14no_stencil_tagENS0_8identityIiEENS4_21always_true_predicateEEElLj1EEEvT0_T1_SI_
                                        ; -- End function
	.set _ZN6thrust23THRUST_200600_302600_NS11hip_rocprim14__parallel_for6kernelILj256ENS1_11__transform17unary_transform_fINS0_7pointerIiNS1_3tagENS0_11use_defaultES8_EENS0_10device_ptrIxEENS4_14no_stencil_tagENS0_8identityIiEENS4_21always_true_predicateEEElLj1EEEvT0_T1_SI_.num_vgpr, 5
	.set _ZN6thrust23THRUST_200600_302600_NS11hip_rocprim14__parallel_for6kernelILj256ENS1_11__transform17unary_transform_fINS0_7pointerIiNS1_3tagENS0_11use_defaultES8_EENS0_10device_ptrIxEENS4_14no_stencil_tagENS0_8identityIiEENS4_21always_true_predicateEEElLj1EEEvT0_T1_SI_.num_agpr, 0
	.set _ZN6thrust23THRUST_200600_302600_NS11hip_rocprim14__parallel_for6kernelILj256ENS1_11__transform17unary_transform_fINS0_7pointerIiNS1_3tagENS0_11use_defaultES8_EENS0_10device_ptrIxEENS4_14no_stencil_tagENS0_8identityIiEENS4_21always_true_predicateEEElLj1EEEvT0_T1_SI_.numbered_sgpr, 12
	.set _ZN6thrust23THRUST_200600_302600_NS11hip_rocprim14__parallel_for6kernelILj256ENS1_11__transform17unary_transform_fINS0_7pointerIiNS1_3tagENS0_11use_defaultES8_EENS0_10device_ptrIxEENS4_14no_stencil_tagENS0_8identityIiEENS4_21always_true_predicateEEElLj1EEEvT0_T1_SI_.num_named_barrier, 0
	.set _ZN6thrust23THRUST_200600_302600_NS11hip_rocprim14__parallel_for6kernelILj256ENS1_11__transform17unary_transform_fINS0_7pointerIiNS1_3tagENS0_11use_defaultES8_EENS0_10device_ptrIxEENS4_14no_stencil_tagENS0_8identityIiEENS4_21always_true_predicateEEElLj1EEEvT0_T1_SI_.private_seg_size, 0
	.set _ZN6thrust23THRUST_200600_302600_NS11hip_rocprim14__parallel_for6kernelILj256ENS1_11__transform17unary_transform_fINS0_7pointerIiNS1_3tagENS0_11use_defaultES8_EENS0_10device_ptrIxEENS4_14no_stencil_tagENS0_8identityIiEENS4_21always_true_predicateEEElLj1EEEvT0_T1_SI_.uses_vcc, 1
	.set _ZN6thrust23THRUST_200600_302600_NS11hip_rocprim14__parallel_for6kernelILj256ENS1_11__transform17unary_transform_fINS0_7pointerIiNS1_3tagENS0_11use_defaultES8_EENS0_10device_ptrIxEENS4_14no_stencil_tagENS0_8identityIiEENS4_21always_true_predicateEEElLj1EEEvT0_T1_SI_.uses_flat_scratch, 0
	.set _ZN6thrust23THRUST_200600_302600_NS11hip_rocprim14__parallel_for6kernelILj256ENS1_11__transform17unary_transform_fINS0_7pointerIiNS1_3tagENS0_11use_defaultES8_EENS0_10device_ptrIxEENS4_14no_stencil_tagENS0_8identityIiEENS4_21always_true_predicateEEElLj1EEEvT0_T1_SI_.has_dyn_sized_stack, 0
	.set _ZN6thrust23THRUST_200600_302600_NS11hip_rocprim14__parallel_for6kernelILj256ENS1_11__transform17unary_transform_fINS0_7pointerIiNS1_3tagENS0_11use_defaultES8_EENS0_10device_ptrIxEENS4_14no_stencil_tagENS0_8identityIiEENS4_21always_true_predicateEEElLj1EEEvT0_T1_SI_.has_recursion, 0
	.set _ZN6thrust23THRUST_200600_302600_NS11hip_rocprim14__parallel_for6kernelILj256ENS1_11__transform17unary_transform_fINS0_7pointerIiNS1_3tagENS0_11use_defaultES8_EENS0_10device_ptrIxEENS4_14no_stencil_tagENS0_8identityIiEENS4_21always_true_predicateEEElLj1EEEvT0_T1_SI_.has_indirect_call, 0
	.section	.AMDGPU.csdata,"",@progbits
; Kernel info:
; codeLenInByte = 296
; TotalNumSgprs: 14
; NumVgprs: 5
; ScratchSize: 0
; MemoryBound: 0
; FloatMode: 240
; IeeeMode: 1
; LDSByteSize: 0 bytes/workgroup (compile time only)
; SGPRBlocks: 0
; VGPRBlocks: 0
; NumSGPRsForWavesPerEU: 14
; NumVGPRsForWavesPerEU: 5
; Occupancy: 16
; WaveLimiterHint : 0
; COMPUTE_PGM_RSRC2:SCRATCH_EN: 0
; COMPUTE_PGM_RSRC2:USER_SGPR: 6
; COMPUTE_PGM_RSRC2:TRAP_HANDLER: 0
; COMPUTE_PGM_RSRC2:TGID_X_EN: 1
; COMPUTE_PGM_RSRC2:TGID_Y_EN: 0
; COMPUTE_PGM_RSRC2:TGID_Z_EN: 0
; COMPUTE_PGM_RSRC2:TIDIG_COMP_CNT: 0
	.section	.text._ZN7rocprim17ROCPRIM_400000_NS6detail30init_device_scan_by_key_kernelINS1_19lookback_scan_stateINS0_5tupleIJxbEEELb0ELb0EEEN6thrust23THRUST_200600_302600_NS6detail15normal_iteratorINS8_10device_ptrIiEEEEjNS1_16block_id_wrapperIjLb0EEEEEvT_jjPNSG_10value_typeET0_PNSt15iterator_traitsISJ_E10value_typeEmT1_T2_,"axG",@progbits,_ZN7rocprim17ROCPRIM_400000_NS6detail30init_device_scan_by_key_kernelINS1_19lookback_scan_stateINS0_5tupleIJxbEEELb0ELb0EEEN6thrust23THRUST_200600_302600_NS6detail15normal_iteratorINS8_10device_ptrIiEEEEjNS1_16block_id_wrapperIjLb0EEEEEvT_jjPNSG_10value_typeET0_PNSt15iterator_traitsISJ_E10value_typeEmT1_T2_,comdat
	.protected	_ZN7rocprim17ROCPRIM_400000_NS6detail30init_device_scan_by_key_kernelINS1_19lookback_scan_stateINS0_5tupleIJxbEEELb0ELb0EEEN6thrust23THRUST_200600_302600_NS6detail15normal_iteratorINS8_10device_ptrIiEEEEjNS1_16block_id_wrapperIjLb0EEEEEvT_jjPNSG_10value_typeET0_PNSt15iterator_traitsISJ_E10value_typeEmT1_T2_ ; -- Begin function _ZN7rocprim17ROCPRIM_400000_NS6detail30init_device_scan_by_key_kernelINS1_19lookback_scan_stateINS0_5tupleIJxbEEELb0ELb0EEEN6thrust23THRUST_200600_302600_NS6detail15normal_iteratorINS8_10device_ptrIiEEEEjNS1_16block_id_wrapperIjLb0EEEEEvT_jjPNSG_10value_typeET0_PNSt15iterator_traitsISJ_E10value_typeEmT1_T2_
	.globl	_ZN7rocprim17ROCPRIM_400000_NS6detail30init_device_scan_by_key_kernelINS1_19lookback_scan_stateINS0_5tupleIJxbEEELb0ELb0EEEN6thrust23THRUST_200600_302600_NS6detail15normal_iteratorINS8_10device_ptrIiEEEEjNS1_16block_id_wrapperIjLb0EEEEEvT_jjPNSG_10value_typeET0_PNSt15iterator_traitsISJ_E10value_typeEmT1_T2_
	.p2align	8
	.type	_ZN7rocprim17ROCPRIM_400000_NS6detail30init_device_scan_by_key_kernelINS1_19lookback_scan_stateINS0_5tupleIJxbEEELb0ELb0EEEN6thrust23THRUST_200600_302600_NS6detail15normal_iteratorINS8_10device_ptrIiEEEEjNS1_16block_id_wrapperIjLb0EEEEEvT_jjPNSG_10value_typeET0_PNSt15iterator_traitsISJ_E10value_typeEmT1_T2_,@function
_ZN7rocprim17ROCPRIM_400000_NS6detail30init_device_scan_by_key_kernelINS1_19lookback_scan_stateINS0_5tupleIJxbEEELb0ELb0EEEN6thrust23THRUST_200600_302600_NS6detail15normal_iteratorINS8_10device_ptrIiEEEEjNS1_16block_id_wrapperIjLb0EEEEEvT_jjPNSG_10value_typeET0_PNSt15iterator_traitsISJ_E10value_typeEmT1_T2_: ; @_ZN7rocprim17ROCPRIM_400000_NS6detail30init_device_scan_by_key_kernelINS1_19lookback_scan_stateINS0_5tupleIJxbEEELb0ELb0EEEN6thrust23THRUST_200600_302600_NS6detail15normal_iteratorINS8_10device_ptrIiEEEEjNS1_16block_id_wrapperIjLb0EEEEEvT_jjPNSG_10value_typeET0_PNSt15iterator_traitsISJ_E10value_typeEmT1_T2_
; %bb.0:
	s_clause 0x2
	s_load_dword s0, s[4:5], 0x54
	s_load_dwordx8 s[8:15], s[4:5], 0x10
	s_load_dword s18, s[4:5], 0x48
	s_waitcnt lgkmcnt(0)
	s_and_b32 s19, s0, 0xffff
	s_cmp_eq_u64 s[12:13], 0
	v_mad_u64_u32 v[0:1], null, s6, s19, v[0:1]
	s_cbranch_scc1 .LBB1310_6
; %bb.1:
	s_cmp_lt_u32 s11, s10
	s_mov_b32 s7, 0
	s_cselect_b32 s0, s11, 0
	s_mov_b32 s20, exec_lo
	v_cmpx_eq_u32_e64 s0, v0
	s_cbranch_execz .LBB1310_5
; %bb.2:
	s_add_i32 s6, s11, 32
	s_load_dwordx4 s[0:3], s[4:5], 0x0
	v_mov_b32_e32 v1, s6
	s_add_u32 s16, s8, s6
	s_addc_u32 s17, s9, 0
	global_load_ubyte v2, v1, s[8:9] glc dlc
	v_mov_b32_e32 v1, 0
	s_waitcnt vmcnt(0)
	v_cmp_ne_u32_sdwa s21, v2, v1 src0_sel:WORD_0 src1_sel:DWORD
	v_readfirstlane_b32 s11, v2
	s_and_b32 vcc_lo, exec_lo, s21
	s_cbranch_vccnz .LBB1310_4
.LBB1310_3:                             ; =>This Inner Loop Header: Depth=1
	global_load_ubyte v2, v1, s[16:17] glc dlc
	s_waitcnt vmcnt(0)
	v_cmp_eq_u32_sdwa s21, v2, v1 src0_sel:WORD_0 src1_sel:DWORD
	v_readfirstlane_b32 s11, v2
	s_and_b32 vcc_lo, exec_lo, s21
	s_cbranch_vccnz .LBB1310_3
.LBB1310_4:
	s_and_b32 s11, 0xffff, s11
	v_mov_b32_e32 v3, 0
	s_cmp_eq_u32 s11, 1
	s_waitcnt lgkmcnt(0)
	buffer_gl1_inv
	buffer_gl0_inv
	s_cselect_b32 s3, s1, s3
	s_cselect_b32 s2, s0, s2
	s_lshl_b64 s[0:1], s[6:7], 4
	s_add_u32 s0, s2, s0
	s_addc_u32 s1, s3, s1
	s_clause 0x1
	global_load_dwordx2 v[1:2], v3, s[0:1]
	global_load_ubyte v4, v3, s[0:1] offset:8
	s_waitcnt vmcnt(1)
	global_store_dwordx2 v3, v[1:2], s[12:13]
	s_waitcnt vmcnt(0)
	global_store_byte v3, v4, s[12:13] offset:8
.LBB1310_5:
	s_or_b32 exec_lo, exec_lo, s20
.LBB1310_6:
	s_mov_b32 s0, exec_lo
	v_cmpx_gt_u32_e64 s10, v0
	s_cbranch_execz .LBB1310_8
; %bb.7:
	v_add_nc_u32_e32 v1, 32, v0
	v_mov_b32_e32 v2, 0
	global_store_byte v1, v2, s[8:9]
.LBB1310_8:
	s_or_b32 exec_lo, exec_lo, s0
	v_mov_b32_e32 v1, 0
	s_mov_b32 s0, exec_lo
	v_cmpx_gt_u32_e32 32, v0
	s_cbranch_execz .LBB1310_10
; %bb.9:
	v_add_co_u32 v2, s1, s8, v0
	v_add_co_ci_u32_e64 v3, null, s9, 0, s1
	v_mov_b32_e32 v4, 0xff
	global_store_byte v[2:3], v4, off
.LBB1310_10:
	s_or_b32 exec_lo, exec_lo, s0
	s_load_dwordx2 s[2:3], s[4:5], 0x38
	s_mov_b32 s0, exec_lo
	s_waitcnt lgkmcnt(0)
	v_cmpx_gt_u64_e64 s[2:3], v[0:1]
	s_cbranch_execz .LBB1310_13
; %bb.11:
	s_clause 0x1
	s_load_dword s8, s[4:5], 0x40
	s_load_dwordx2 s[6:7], s[4:5], 0x30
	s_mov_b32 s1, 0
	v_lshlrev_b64 v[4:5], 2, v[0:1]
	s_mul_i32 s4, s18, s19
	s_waitcnt lgkmcnt(0)
	v_mad_u64_u32 v[2:3], null, s8, v0, 0
	s_add_i32 s0, s8, -1
	s_mul_hi_u32 s9, s8, s4
	s_lshl_b64 s[10:11], s[0:1], 2
	s_mul_i32 s8, s8, s4
	s_add_u32 s0, s14, s10
	s_addc_u32 s5, s15, s11
	v_lshlrev_b64 v[2:3], 2, v[2:3]
	v_add_co_u32 v2, vcc_lo, s0, v2
	v_add_co_ci_u32_e64 v3, null, s5, v3, vcc_lo
	v_add_co_u32 v4, vcc_lo, s6, v4
	v_add_co_ci_u32_e64 v5, null, s7, v5, vcc_lo
	s_mov_b32 s5, s1
	s_lshl_b64 s[6:7], s[8:9], 2
	s_lshl_b64 s[8:9], s[4:5], 2
	.p2align	6
.LBB1310_12:                            ; =>This Inner Loop Header: Depth=1
	global_load_dword v6, v[2:3], off
	v_add_co_u32 v0, vcc_lo, v0, s4
	v_add_co_ci_u32_e64 v1, null, 0, v1, vcc_lo
	v_add_co_u32 v2, vcc_lo, v2, s6
	v_add_co_ci_u32_e64 v3, null, s7, v3, vcc_lo
	v_cmp_le_u64_e32 vcc_lo, s[2:3], v[0:1]
	s_or_b32 s1, vcc_lo, s1
	s_waitcnt vmcnt(0)
	global_store_dword v[4:5], v6, off
	v_add_co_u32 v4, s0, v4, s8
	v_add_co_ci_u32_e64 v5, null, s9, v5, s0
	s_andn2_b32 exec_lo, exec_lo, s1
	s_cbranch_execnz .LBB1310_12
.LBB1310_13:
	s_endpgm
	.section	.rodata,"a",@progbits
	.p2align	6, 0x0
	.amdhsa_kernel _ZN7rocprim17ROCPRIM_400000_NS6detail30init_device_scan_by_key_kernelINS1_19lookback_scan_stateINS0_5tupleIJxbEEELb0ELb0EEEN6thrust23THRUST_200600_302600_NS6detail15normal_iteratorINS8_10device_ptrIiEEEEjNS1_16block_id_wrapperIjLb0EEEEEvT_jjPNSG_10value_typeET0_PNSt15iterator_traitsISJ_E10value_typeEmT1_T2_
		.amdhsa_group_segment_fixed_size 0
		.amdhsa_private_segment_fixed_size 0
		.amdhsa_kernarg_size 328
		.amdhsa_user_sgpr_count 6
		.amdhsa_user_sgpr_private_segment_buffer 1
		.amdhsa_user_sgpr_dispatch_ptr 0
		.amdhsa_user_sgpr_queue_ptr 0
		.amdhsa_user_sgpr_kernarg_segment_ptr 1
		.amdhsa_user_sgpr_dispatch_id 0
		.amdhsa_user_sgpr_flat_scratch_init 0
		.amdhsa_user_sgpr_private_segment_size 0
		.amdhsa_wavefront_size32 1
		.amdhsa_uses_dynamic_stack 0
		.amdhsa_system_sgpr_private_segment_wavefront_offset 0
		.amdhsa_system_sgpr_workgroup_id_x 1
		.amdhsa_system_sgpr_workgroup_id_y 0
		.amdhsa_system_sgpr_workgroup_id_z 0
		.amdhsa_system_sgpr_workgroup_info 0
		.amdhsa_system_vgpr_workitem_id 0
		.amdhsa_next_free_vgpr 7
		.amdhsa_next_free_sgpr 22
		.amdhsa_reserve_vcc 1
		.amdhsa_reserve_flat_scratch 0
		.amdhsa_float_round_mode_32 0
		.amdhsa_float_round_mode_16_64 0
		.amdhsa_float_denorm_mode_32 3
		.amdhsa_float_denorm_mode_16_64 3
		.amdhsa_dx10_clamp 1
		.amdhsa_ieee_mode 1
		.amdhsa_fp16_overflow 0
		.amdhsa_workgroup_processor_mode 1
		.amdhsa_memory_ordered 1
		.amdhsa_forward_progress 1
		.amdhsa_shared_vgpr_count 0
		.amdhsa_exception_fp_ieee_invalid_op 0
		.amdhsa_exception_fp_denorm_src 0
		.amdhsa_exception_fp_ieee_div_zero 0
		.amdhsa_exception_fp_ieee_overflow 0
		.amdhsa_exception_fp_ieee_underflow 0
		.amdhsa_exception_fp_ieee_inexact 0
		.amdhsa_exception_int_div_zero 0
	.end_amdhsa_kernel
	.section	.text._ZN7rocprim17ROCPRIM_400000_NS6detail30init_device_scan_by_key_kernelINS1_19lookback_scan_stateINS0_5tupleIJxbEEELb0ELb0EEEN6thrust23THRUST_200600_302600_NS6detail15normal_iteratorINS8_10device_ptrIiEEEEjNS1_16block_id_wrapperIjLb0EEEEEvT_jjPNSG_10value_typeET0_PNSt15iterator_traitsISJ_E10value_typeEmT1_T2_,"axG",@progbits,_ZN7rocprim17ROCPRIM_400000_NS6detail30init_device_scan_by_key_kernelINS1_19lookback_scan_stateINS0_5tupleIJxbEEELb0ELb0EEEN6thrust23THRUST_200600_302600_NS6detail15normal_iteratorINS8_10device_ptrIiEEEEjNS1_16block_id_wrapperIjLb0EEEEEvT_jjPNSG_10value_typeET0_PNSt15iterator_traitsISJ_E10value_typeEmT1_T2_,comdat
.Lfunc_end1310:
	.size	_ZN7rocprim17ROCPRIM_400000_NS6detail30init_device_scan_by_key_kernelINS1_19lookback_scan_stateINS0_5tupleIJxbEEELb0ELb0EEEN6thrust23THRUST_200600_302600_NS6detail15normal_iteratorINS8_10device_ptrIiEEEEjNS1_16block_id_wrapperIjLb0EEEEEvT_jjPNSG_10value_typeET0_PNSt15iterator_traitsISJ_E10value_typeEmT1_T2_, .Lfunc_end1310-_ZN7rocprim17ROCPRIM_400000_NS6detail30init_device_scan_by_key_kernelINS1_19lookback_scan_stateINS0_5tupleIJxbEEELb0ELb0EEEN6thrust23THRUST_200600_302600_NS6detail15normal_iteratorINS8_10device_ptrIiEEEEjNS1_16block_id_wrapperIjLb0EEEEEvT_jjPNSG_10value_typeET0_PNSt15iterator_traitsISJ_E10value_typeEmT1_T2_
                                        ; -- End function
	.set _ZN7rocprim17ROCPRIM_400000_NS6detail30init_device_scan_by_key_kernelINS1_19lookback_scan_stateINS0_5tupleIJxbEEELb0ELb0EEEN6thrust23THRUST_200600_302600_NS6detail15normal_iteratorINS8_10device_ptrIiEEEEjNS1_16block_id_wrapperIjLb0EEEEEvT_jjPNSG_10value_typeET0_PNSt15iterator_traitsISJ_E10value_typeEmT1_T2_.num_vgpr, 7
	.set _ZN7rocprim17ROCPRIM_400000_NS6detail30init_device_scan_by_key_kernelINS1_19lookback_scan_stateINS0_5tupleIJxbEEELb0ELb0EEEN6thrust23THRUST_200600_302600_NS6detail15normal_iteratorINS8_10device_ptrIiEEEEjNS1_16block_id_wrapperIjLb0EEEEEvT_jjPNSG_10value_typeET0_PNSt15iterator_traitsISJ_E10value_typeEmT1_T2_.num_agpr, 0
	.set _ZN7rocprim17ROCPRIM_400000_NS6detail30init_device_scan_by_key_kernelINS1_19lookback_scan_stateINS0_5tupleIJxbEEELb0ELb0EEEN6thrust23THRUST_200600_302600_NS6detail15normal_iteratorINS8_10device_ptrIiEEEEjNS1_16block_id_wrapperIjLb0EEEEEvT_jjPNSG_10value_typeET0_PNSt15iterator_traitsISJ_E10value_typeEmT1_T2_.numbered_sgpr, 22
	.set _ZN7rocprim17ROCPRIM_400000_NS6detail30init_device_scan_by_key_kernelINS1_19lookback_scan_stateINS0_5tupleIJxbEEELb0ELb0EEEN6thrust23THRUST_200600_302600_NS6detail15normal_iteratorINS8_10device_ptrIiEEEEjNS1_16block_id_wrapperIjLb0EEEEEvT_jjPNSG_10value_typeET0_PNSt15iterator_traitsISJ_E10value_typeEmT1_T2_.num_named_barrier, 0
	.set _ZN7rocprim17ROCPRIM_400000_NS6detail30init_device_scan_by_key_kernelINS1_19lookback_scan_stateINS0_5tupleIJxbEEELb0ELb0EEEN6thrust23THRUST_200600_302600_NS6detail15normal_iteratorINS8_10device_ptrIiEEEEjNS1_16block_id_wrapperIjLb0EEEEEvT_jjPNSG_10value_typeET0_PNSt15iterator_traitsISJ_E10value_typeEmT1_T2_.private_seg_size, 0
	.set _ZN7rocprim17ROCPRIM_400000_NS6detail30init_device_scan_by_key_kernelINS1_19lookback_scan_stateINS0_5tupleIJxbEEELb0ELb0EEEN6thrust23THRUST_200600_302600_NS6detail15normal_iteratorINS8_10device_ptrIiEEEEjNS1_16block_id_wrapperIjLb0EEEEEvT_jjPNSG_10value_typeET0_PNSt15iterator_traitsISJ_E10value_typeEmT1_T2_.uses_vcc, 1
	.set _ZN7rocprim17ROCPRIM_400000_NS6detail30init_device_scan_by_key_kernelINS1_19lookback_scan_stateINS0_5tupleIJxbEEELb0ELb0EEEN6thrust23THRUST_200600_302600_NS6detail15normal_iteratorINS8_10device_ptrIiEEEEjNS1_16block_id_wrapperIjLb0EEEEEvT_jjPNSG_10value_typeET0_PNSt15iterator_traitsISJ_E10value_typeEmT1_T2_.uses_flat_scratch, 0
	.set _ZN7rocprim17ROCPRIM_400000_NS6detail30init_device_scan_by_key_kernelINS1_19lookback_scan_stateINS0_5tupleIJxbEEELb0ELb0EEEN6thrust23THRUST_200600_302600_NS6detail15normal_iteratorINS8_10device_ptrIiEEEEjNS1_16block_id_wrapperIjLb0EEEEEvT_jjPNSG_10value_typeET0_PNSt15iterator_traitsISJ_E10value_typeEmT1_T2_.has_dyn_sized_stack, 0
	.set _ZN7rocprim17ROCPRIM_400000_NS6detail30init_device_scan_by_key_kernelINS1_19lookback_scan_stateINS0_5tupleIJxbEEELb0ELb0EEEN6thrust23THRUST_200600_302600_NS6detail15normal_iteratorINS8_10device_ptrIiEEEEjNS1_16block_id_wrapperIjLb0EEEEEvT_jjPNSG_10value_typeET0_PNSt15iterator_traitsISJ_E10value_typeEmT1_T2_.has_recursion, 0
	.set _ZN7rocprim17ROCPRIM_400000_NS6detail30init_device_scan_by_key_kernelINS1_19lookback_scan_stateINS0_5tupleIJxbEEELb0ELb0EEEN6thrust23THRUST_200600_302600_NS6detail15normal_iteratorINS8_10device_ptrIiEEEEjNS1_16block_id_wrapperIjLb0EEEEEvT_jjPNSG_10value_typeET0_PNSt15iterator_traitsISJ_E10value_typeEmT1_T2_.has_indirect_call, 0
	.section	.AMDGPU.csdata,"",@progbits
; Kernel info:
; codeLenInByte = 664
; TotalNumSgprs: 24
; NumVgprs: 7
; ScratchSize: 0
; MemoryBound: 0
; FloatMode: 240
; IeeeMode: 1
; LDSByteSize: 0 bytes/workgroup (compile time only)
; SGPRBlocks: 0
; VGPRBlocks: 0
; NumSGPRsForWavesPerEU: 24
; NumVGPRsForWavesPerEU: 7
; Occupancy: 16
; WaveLimiterHint : 0
; COMPUTE_PGM_RSRC2:SCRATCH_EN: 0
; COMPUTE_PGM_RSRC2:USER_SGPR: 6
; COMPUTE_PGM_RSRC2:TRAP_HANDLER: 0
; COMPUTE_PGM_RSRC2:TGID_X_EN: 1
; COMPUTE_PGM_RSRC2:TGID_Y_EN: 0
; COMPUTE_PGM_RSRC2:TGID_Z_EN: 0
; COMPUTE_PGM_RSRC2:TIDIG_COMP_CNT: 0
	.section	.text._ZN7rocprim17ROCPRIM_400000_NS6detail17trampoline_kernelINS0_14default_configENS1_27scan_by_key_config_selectorIixEEZZNS1_16scan_by_key_implILNS1_25lookback_scan_determinismE0ELb0ES3_N6thrust23THRUST_200600_302600_NS6detail15normal_iteratorINS9_10device_ptrIiEEEENSB_INSC_IxEEEESG_xNS9_4plusIvEENS9_8equal_toIvEExEE10hipError_tPvRmT2_T3_T4_T5_mT6_T7_P12ihipStream_tbENKUlT_T0_E_clISt17integral_constantIbLb0EES11_EEDaSW_SX_EUlSW_E_NS1_11comp_targetILNS1_3genE0ELNS1_11target_archE4294967295ELNS1_3gpuE0ELNS1_3repE0EEENS1_30default_config_static_selectorELNS0_4arch9wavefront6targetE0EEEvT1_,"axG",@progbits,_ZN7rocprim17ROCPRIM_400000_NS6detail17trampoline_kernelINS0_14default_configENS1_27scan_by_key_config_selectorIixEEZZNS1_16scan_by_key_implILNS1_25lookback_scan_determinismE0ELb0ES3_N6thrust23THRUST_200600_302600_NS6detail15normal_iteratorINS9_10device_ptrIiEEEENSB_INSC_IxEEEESG_xNS9_4plusIvEENS9_8equal_toIvEExEE10hipError_tPvRmT2_T3_T4_T5_mT6_T7_P12ihipStream_tbENKUlT_T0_E_clISt17integral_constantIbLb0EES11_EEDaSW_SX_EUlSW_E_NS1_11comp_targetILNS1_3genE0ELNS1_11target_archE4294967295ELNS1_3gpuE0ELNS1_3repE0EEENS1_30default_config_static_selectorELNS0_4arch9wavefront6targetE0EEEvT1_,comdat
	.protected	_ZN7rocprim17ROCPRIM_400000_NS6detail17trampoline_kernelINS0_14default_configENS1_27scan_by_key_config_selectorIixEEZZNS1_16scan_by_key_implILNS1_25lookback_scan_determinismE0ELb0ES3_N6thrust23THRUST_200600_302600_NS6detail15normal_iteratorINS9_10device_ptrIiEEEENSB_INSC_IxEEEESG_xNS9_4plusIvEENS9_8equal_toIvEExEE10hipError_tPvRmT2_T3_T4_T5_mT6_T7_P12ihipStream_tbENKUlT_T0_E_clISt17integral_constantIbLb0EES11_EEDaSW_SX_EUlSW_E_NS1_11comp_targetILNS1_3genE0ELNS1_11target_archE4294967295ELNS1_3gpuE0ELNS1_3repE0EEENS1_30default_config_static_selectorELNS0_4arch9wavefront6targetE0EEEvT1_ ; -- Begin function _ZN7rocprim17ROCPRIM_400000_NS6detail17trampoline_kernelINS0_14default_configENS1_27scan_by_key_config_selectorIixEEZZNS1_16scan_by_key_implILNS1_25lookback_scan_determinismE0ELb0ES3_N6thrust23THRUST_200600_302600_NS6detail15normal_iteratorINS9_10device_ptrIiEEEENSB_INSC_IxEEEESG_xNS9_4plusIvEENS9_8equal_toIvEExEE10hipError_tPvRmT2_T3_T4_T5_mT6_T7_P12ihipStream_tbENKUlT_T0_E_clISt17integral_constantIbLb0EES11_EEDaSW_SX_EUlSW_E_NS1_11comp_targetILNS1_3genE0ELNS1_11target_archE4294967295ELNS1_3gpuE0ELNS1_3repE0EEENS1_30default_config_static_selectorELNS0_4arch9wavefront6targetE0EEEvT1_
	.globl	_ZN7rocprim17ROCPRIM_400000_NS6detail17trampoline_kernelINS0_14default_configENS1_27scan_by_key_config_selectorIixEEZZNS1_16scan_by_key_implILNS1_25lookback_scan_determinismE0ELb0ES3_N6thrust23THRUST_200600_302600_NS6detail15normal_iteratorINS9_10device_ptrIiEEEENSB_INSC_IxEEEESG_xNS9_4plusIvEENS9_8equal_toIvEExEE10hipError_tPvRmT2_T3_T4_T5_mT6_T7_P12ihipStream_tbENKUlT_T0_E_clISt17integral_constantIbLb0EES11_EEDaSW_SX_EUlSW_E_NS1_11comp_targetILNS1_3genE0ELNS1_11target_archE4294967295ELNS1_3gpuE0ELNS1_3repE0EEENS1_30default_config_static_selectorELNS0_4arch9wavefront6targetE0EEEvT1_
	.p2align	8
	.type	_ZN7rocprim17ROCPRIM_400000_NS6detail17trampoline_kernelINS0_14default_configENS1_27scan_by_key_config_selectorIixEEZZNS1_16scan_by_key_implILNS1_25lookback_scan_determinismE0ELb0ES3_N6thrust23THRUST_200600_302600_NS6detail15normal_iteratorINS9_10device_ptrIiEEEENSB_INSC_IxEEEESG_xNS9_4plusIvEENS9_8equal_toIvEExEE10hipError_tPvRmT2_T3_T4_T5_mT6_T7_P12ihipStream_tbENKUlT_T0_E_clISt17integral_constantIbLb0EES11_EEDaSW_SX_EUlSW_E_NS1_11comp_targetILNS1_3genE0ELNS1_11target_archE4294967295ELNS1_3gpuE0ELNS1_3repE0EEENS1_30default_config_static_selectorELNS0_4arch9wavefront6targetE0EEEvT1_,@function
_ZN7rocprim17ROCPRIM_400000_NS6detail17trampoline_kernelINS0_14default_configENS1_27scan_by_key_config_selectorIixEEZZNS1_16scan_by_key_implILNS1_25lookback_scan_determinismE0ELb0ES3_N6thrust23THRUST_200600_302600_NS6detail15normal_iteratorINS9_10device_ptrIiEEEENSB_INSC_IxEEEESG_xNS9_4plusIvEENS9_8equal_toIvEExEE10hipError_tPvRmT2_T3_T4_T5_mT6_T7_P12ihipStream_tbENKUlT_T0_E_clISt17integral_constantIbLb0EES11_EEDaSW_SX_EUlSW_E_NS1_11comp_targetILNS1_3genE0ELNS1_11target_archE4294967295ELNS1_3gpuE0ELNS1_3repE0EEENS1_30default_config_static_selectorELNS0_4arch9wavefront6targetE0EEEvT1_: ; @_ZN7rocprim17ROCPRIM_400000_NS6detail17trampoline_kernelINS0_14default_configENS1_27scan_by_key_config_selectorIixEEZZNS1_16scan_by_key_implILNS1_25lookback_scan_determinismE0ELb0ES3_N6thrust23THRUST_200600_302600_NS6detail15normal_iteratorINS9_10device_ptrIiEEEENSB_INSC_IxEEEESG_xNS9_4plusIvEENS9_8equal_toIvEExEE10hipError_tPvRmT2_T3_T4_T5_mT6_T7_P12ihipStream_tbENKUlT_T0_E_clISt17integral_constantIbLb0EES11_EEDaSW_SX_EUlSW_E_NS1_11comp_targetILNS1_3genE0ELNS1_11target_archE4294967295ELNS1_3gpuE0ELNS1_3repE0EEENS1_30default_config_static_selectorELNS0_4arch9wavefront6targetE0EEEvT1_
; %bb.0:
	.section	.rodata,"a",@progbits
	.p2align	6, 0x0
	.amdhsa_kernel _ZN7rocprim17ROCPRIM_400000_NS6detail17trampoline_kernelINS0_14default_configENS1_27scan_by_key_config_selectorIixEEZZNS1_16scan_by_key_implILNS1_25lookback_scan_determinismE0ELb0ES3_N6thrust23THRUST_200600_302600_NS6detail15normal_iteratorINS9_10device_ptrIiEEEENSB_INSC_IxEEEESG_xNS9_4plusIvEENS9_8equal_toIvEExEE10hipError_tPvRmT2_T3_T4_T5_mT6_T7_P12ihipStream_tbENKUlT_T0_E_clISt17integral_constantIbLb0EES11_EEDaSW_SX_EUlSW_E_NS1_11comp_targetILNS1_3genE0ELNS1_11target_archE4294967295ELNS1_3gpuE0ELNS1_3repE0EEENS1_30default_config_static_selectorELNS0_4arch9wavefront6targetE0EEEvT1_
		.amdhsa_group_segment_fixed_size 0
		.amdhsa_private_segment_fixed_size 0
		.amdhsa_kernarg_size 136
		.amdhsa_user_sgpr_count 6
		.amdhsa_user_sgpr_private_segment_buffer 1
		.amdhsa_user_sgpr_dispatch_ptr 0
		.amdhsa_user_sgpr_queue_ptr 0
		.amdhsa_user_sgpr_kernarg_segment_ptr 1
		.amdhsa_user_sgpr_dispatch_id 0
		.amdhsa_user_sgpr_flat_scratch_init 0
		.amdhsa_user_sgpr_private_segment_size 0
		.amdhsa_wavefront_size32 1
		.amdhsa_uses_dynamic_stack 0
		.amdhsa_system_sgpr_private_segment_wavefront_offset 0
		.amdhsa_system_sgpr_workgroup_id_x 1
		.amdhsa_system_sgpr_workgroup_id_y 0
		.amdhsa_system_sgpr_workgroup_id_z 0
		.amdhsa_system_sgpr_workgroup_info 0
		.amdhsa_system_vgpr_workitem_id 0
		.amdhsa_next_free_vgpr 1
		.amdhsa_next_free_sgpr 1
		.amdhsa_reserve_vcc 0
		.amdhsa_reserve_flat_scratch 0
		.amdhsa_float_round_mode_32 0
		.amdhsa_float_round_mode_16_64 0
		.amdhsa_float_denorm_mode_32 3
		.amdhsa_float_denorm_mode_16_64 3
		.amdhsa_dx10_clamp 1
		.amdhsa_ieee_mode 1
		.amdhsa_fp16_overflow 0
		.amdhsa_workgroup_processor_mode 1
		.amdhsa_memory_ordered 1
		.amdhsa_forward_progress 1
		.amdhsa_shared_vgpr_count 0
		.amdhsa_exception_fp_ieee_invalid_op 0
		.amdhsa_exception_fp_denorm_src 0
		.amdhsa_exception_fp_ieee_div_zero 0
		.amdhsa_exception_fp_ieee_overflow 0
		.amdhsa_exception_fp_ieee_underflow 0
		.amdhsa_exception_fp_ieee_inexact 0
		.amdhsa_exception_int_div_zero 0
	.end_amdhsa_kernel
	.section	.text._ZN7rocprim17ROCPRIM_400000_NS6detail17trampoline_kernelINS0_14default_configENS1_27scan_by_key_config_selectorIixEEZZNS1_16scan_by_key_implILNS1_25lookback_scan_determinismE0ELb0ES3_N6thrust23THRUST_200600_302600_NS6detail15normal_iteratorINS9_10device_ptrIiEEEENSB_INSC_IxEEEESG_xNS9_4plusIvEENS9_8equal_toIvEExEE10hipError_tPvRmT2_T3_T4_T5_mT6_T7_P12ihipStream_tbENKUlT_T0_E_clISt17integral_constantIbLb0EES11_EEDaSW_SX_EUlSW_E_NS1_11comp_targetILNS1_3genE0ELNS1_11target_archE4294967295ELNS1_3gpuE0ELNS1_3repE0EEENS1_30default_config_static_selectorELNS0_4arch9wavefront6targetE0EEEvT1_,"axG",@progbits,_ZN7rocprim17ROCPRIM_400000_NS6detail17trampoline_kernelINS0_14default_configENS1_27scan_by_key_config_selectorIixEEZZNS1_16scan_by_key_implILNS1_25lookback_scan_determinismE0ELb0ES3_N6thrust23THRUST_200600_302600_NS6detail15normal_iteratorINS9_10device_ptrIiEEEENSB_INSC_IxEEEESG_xNS9_4plusIvEENS9_8equal_toIvEExEE10hipError_tPvRmT2_T3_T4_T5_mT6_T7_P12ihipStream_tbENKUlT_T0_E_clISt17integral_constantIbLb0EES11_EEDaSW_SX_EUlSW_E_NS1_11comp_targetILNS1_3genE0ELNS1_11target_archE4294967295ELNS1_3gpuE0ELNS1_3repE0EEENS1_30default_config_static_selectorELNS0_4arch9wavefront6targetE0EEEvT1_,comdat
.Lfunc_end1311:
	.size	_ZN7rocprim17ROCPRIM_400000_NS6detail17trampoline_kernelINS0_14default_configENS1_27scan_by_key_config_selectorIixEEZZNS1_16scan_by_key_implILNS1_25lookback_scan_determinismE0ELb0ES3_N6thrust23THRUST_200600_302600_NS6detail15normal_iteratorINS9_10device_ptrIiEEEENSB_INSC_IxEEEESG_xNS9_4plusIvEENS9_8equal_toIvEExEE10hipError_tPvRmT2_T3_T4_T5_mT6_T7_P12ihipStream_tbENKUlT_T0_E_clISt17integral_constantIbLb0EES11_EEDaSW_SX_EUlSW_E_NS1_11comp_targetILNS1_3genE0ELNS1_11target_archE4294967295ELNS1_3gpuE0ELNS1_3repE0EEENS1_30default_config_static_selectorELNS0_4arch9wavefront6targetE0EEEvT1_, .Lfunc_end1311-_ZN7rocprim17ROCPRIM_400000_NS6detail17trampoline_kernelINS0_14default_configENS1_27scan_by_key_config_selectorIixEEZZNS1_16scan_by_key_implILNS1_25lookback_scan_determinismE0ELb0ES3_N6thrust23THRUST_200600_302600_NS6detail15normal_iteratorINS9_10device_ptrIiEEEENSB_INSC_IxEEEESG_xNS9_4plusIvEENS9_8equal_toIvEExEE10hipError_tPvRmT2_T3_T4_T5_mT6_T7_P12ihipStream_tbENKUlT_T0_E_clISt17integral_constantIbLb0EES11_EEDaSW_SX_EUlSW_E_NS1_11comp_targetILNS1_3genE0ELNS1_11target_archE4294967295ELNS1_3gpuE0ELNS1_3repE0EEENS1_30default_config_static_selectorELNS0_4arch9wavefront6targetE0EEEvT1_
                                        ; -- End function
	.set _ZN7rocprim17ROCPRIM_400000_NS6detail17trampoline_kernelINS0_14default_configENS1_27scan_by_key_config_selectorIixEEZZNS1_16scan_by_key_implILNS1_25lookback_scan_determinismE0ELb0ES3_N6thrust23THRUST_200600_302600_NS6detail15normal_iteratorINS9_10device_ptrIiEEEENSB_INSC_IxEEEESG_xNS9_4plusIvEENS9_8equal_toIvEExEE10hipError_tPvRmT2_T3_T4_T5_mT6_T7_P12ihipStream_tbENKUlT_T0_E_clISt17integral_constantIbLb0EES11_EEDaSW_SX_EUlSW_E_NS1_11comp_targetILNS1_3genE0ELNS1_11target_archE4294967295ELNS1_3gpuE0ELNS1_3repE0EEENS1_30default_config_static_selectorELNS0_4arch9wavefront6targetE0EEEvT1_.num_vgpr, 0
	.set _ZN7rocprim17ROCPRIM_400000_NS6detail17trampoline_kernelINS0_14default_configENS1_27scan_by_key_config_selectorIixEEZZNS1_16scan_by_key_implILNS1_25lookback_scan_determinismE0ELb0ES3_N6thrust23THRUST_200600_302600_NS6detail15normal_iteratorINS9_10device_ptrIiEEEENSB_INSC_IxEEEESG_xNS9_4plusIvEENS9_8equal_toIvEExEE10hipError_tPvRmT2_T3_T4_T5_mT6_T7_P12ihipStream_tbENKUlT_T0_E_clISt17integral_constantIbLb0EES11_EEDaSW_SX_EUlSW_E_NS1_11comp_targetILNS1_3genE0ELNS1_11target_archE4294967295ELNS1_3gpuE0ELNS1_3repE0EEENS1_30default_config_static_selectorELNS0_4arch9wavefront6targetE0EEEvT1_.num_agpr, 0
	.set _ZN7rocprim17ROCPRIM_400000_NS6detail17trampoline_kernelINS0_14default_configENS1_27scan_by_key_config_selectorIixEEZZNS1_16scan_by_key_implILNS1_25lookback_scan_determinismE0ELb0ES3_N6thrust23THRUST_200600_302600_NS6detail15normal_iteratorINS9_10device_ptrIiEEEENSB_INSC_IxEEEESG_xNS9_4plusIvEENS9_8equal_toIvEExEE10hipError_tPvRmT2_T3_T4_T5_mT6_T7_P12ihipStream_tbENKUlT_T0_E_clISt17integral_constantIbLb0EES11_EEDaSW_SX_EUlSW_E_NS1_11comp_targetILNS1_3genE0ELNS1_11target_archE4294967295ELNS1_3gpuE0ELNS1_3repE0EEENS1_30default_config_static_selectorELNS0_4arch9wavefront6targetE0EEEvT1_.numbered_sgpr, 0
	.set _ZN7rocprim17ROCPRIM_400000_NS6detail17trampoline_kernelINS0_14default_configENS1_27scan_by_key_config_selectorIixEEZZNS1_16scan_by_key_implILNS1_25lookback_scan_determinismE0ELb0ES3_N6thrust23THRUST_200600_302600_NS6detail15normal_iteratorINS9_10device_ptrIiEEEENSB_INSC_IxEEEESG_xNS9_4plusIvEENS9_8equal_toIvEExEE10hipError_tPvRmT2_T3_T4_T5_mT6_T7_P12ihipStream_tbENKUlT_T0_E_clISt17integral_constantIbLb0EES11_EEDaSW_SX_EUlSW_E_NS1_11comp_targetILNS1_3genE0ELNS1_11target_archE4294967295ELNS1_3gpuE0ELNS1_3repE0EEENS1_30default_config_static_selectorELNS0_4arch9wavefront6targetE0EEEvT1_.num_named_barrier, 0
	.set _ZN7rocprim17ROCPRIM_400000_NS6detail17trampoline_kernelINS0_14default_configENS1_27scan_by_key_config_selectorIixEEZZNS1_16scan_by_key_implILNS1_25lookback_scan_determinismE0ELb0ES3_N6thrust23THRUST_200600_302600_NS6detail15normal_iteratorINS9_10device_ptrIiEEEENSB_INSC_IxEEEESG_xNS9_4plusIvEENS9_8equal_toIvEExEE10hipError_tPvRmT2_T3_T4_T5_mT6_T7_P12ihipStream_tbENKUlT_T0_E_clISt17integral_constantIbLb0EES11_EEDaSW_SX_EUlSW_E_NS1_11comp_targetILNS1_3genE0ELNS1_11target_archE4294967295ELNS1_3gpuE0ELNS1_3repE0EEENS1_30default_config_static_selectorELNS0_4arch9wavefront6targetE0EEEvT1_.private_seg_size, 0
	.set _ZN7rocprim17ROCPRIM_400000_NS6detail17trampoline_kernelINS0_14default_configENS1_27scan_by_key_config_selectorIixEEZZNS1_16scan_by_key_implILNS1_25lookback_scan_determinismE0ELb0ES3_N6thrust23THRUST_200600_302600_NS6detail15normal_iteratorINS9_10device_ptrIiEEEENSB_INSC_IxEEEESG_xNS9_4plusIvEENS9_8equal_toIvEExEE10hipError_tPvRmT2_T3_T4_T5_mT6_T7_P12ihipStream_tbENKUlT_T0_E_clISt17integral_constantIbLb0EES11_EEDaSW_SX_EUlSW_E_NS1_11comp_targetILNS1_3genE0ELNS1_11target_archE4294967295ELNS1_3gpuE0ELNS1_3repE0EEENS1_30default_config_static_selectorELNS0_4arch9wavefront6targetE0EEEvT1_.uses_vcc, 0
	.set _ZN7rocprim17ROCPRIM_400000_NS6detail17trampoline_kernelINS0_14default_configENS1_27scan_by_key_config_selectorIixEEZZNS1_16scan_by_key_implILNS1_25lookback_scan_determinismE0ELb0ES3_N6thrust23THRUST_200600_302600_NS6detail15normal_iteratorINS9_10device_ptrIiEEEENSB_INSC_IxEEEESG_xNS9_4plusIvEENS9_8equal_toIvEExEE10hipError_tPvRmT2_T3_T4_T5_mT6_T7_P12ihipStream_tbENKUlT_T0_E_clISt17integral_constantIbLb0EES11_EEDaSW_SX_EUlSW_E_NS1_11comp_targetILNS1_3genE0ELNS1_11target_archE4294967295ELNS1_3gpuE0ELNS1_3repE0EEENS1_30default_config_static_selectorELNS0_4arch9wavefront6targetE0EEEvT1_.uses_flat_scratch, 0
	.set _ZN7rocprim17ROCPRIM_400000_NS6detail17trampoline_kernelINS0_14default_configENS1_27scan_by_key_config_selectorIixEEZZNS1_16scan_by_key_implILNS1_25lookback_scan_determinismE0ELb0ES3_N6thrust23THRUST_200600_302600_NS6detail15normal_iteratorINS9_10device_ptrIiEEEENSB_INSC_IxEEEESG_xNS9_4plusIvEENS9_8equal_toIvEExEE10hipError_tPvRmT2_T3_T4_T5_mT6_T7_P12ihipStream_tbENKUlT_T0_E_clISt17integral_constantIbLb0EES11_EEDaSW_SX_EUlSW_E_NS1_11comp_targetILNS1_3genE0ELNS1_11target_archE4294967295ELNS1_3gpuE0ELNS1_3repE0EEENS1_30default_config_static_selectorELNS0_4arch9wavefront6targetE0EEEvT1_.has_dyn_sized_stack, 0
	.set _ZN7rocprim17ROCPRIM_400000_NS6detail17trampoline_kernelINS0_14default_configENS1_27scan_by_key_config_selectorIixEEZZNS1_16scan_by_key_implILNS1_25lookback_scan_determinismE0ELb0ES3_N6thrust23THRUST_200600_302600_NS6detail15normal_iteratorINS9_10device_ptrIiEEEENSB_INSC_IxEEEESG_xNS9_4plusIvEENS9_8equal_toIvEExEE10hipError_tPvRmT2_T3_T4_T5_mT6_T7_P12ihipStream_tbENKUlT_T0_E_clISt17integral_constantIbLb0EES11_EEDaSW_SX_EUlSW_E_NS1_11comp_targetILNS1_3genE0ELNS1_11target_archE4294967295ELNS1_3gpuE0ELNS1_3repE0EEENS1_30default_config_static_selectorELNS0_4arch9wavefront6targetE0EEEvT1_.has_recursion, 0
	.set _ZN7rocprim17ROCPRIM_400000_NS6detail17trampoline_kernelINS0_14default_configENS1_27scan_by_key_config_selectorIixEEZZNS1_16scan_by_key_implILNS1_25lookback_scan_determinismE0ELb0ES3_N6thrust23THRUST_200600_302600_NS6detail15normal_iteratorINS9_10device_ptrIiEEEENSB_INSC_IxEEEESG_xNS9_4plusIvEENS9_8equal_toIvEExEE10hipError_tPvRmT2_T3_T4_T5_mT6_T7_P12ihipStream_tbENKUlT_T0_E_clISt17integral_constantIbLb0EES11_EEDaSW_SX_EUlSW_E_NS1_11comp_targetILNS1_3genE0ELNS1_11target_archE4294967295ELNS1_3gpuE0ELNS1_3repE0EEENS1_30default_config_static_selectorELNS0_4arch9wavefront6targetE0EEEvT1_.has_indirect_call, 0
	.section	.AMDGPU.csdata,"",@progbits
; Kernel info:
; codeLenInByte = 0
; TotalNumSgprs: 0
; NumVgprs: 0
; ScratchSize: 0
; MemoryBound: 0
; FloatMode: 240
; IeeeMode: 1
; LDSByteSize: 0 bytes/workgroup (compile time only)
; SGPRBlocks: 0
; VGPRBlocks: 0
; NumSGPRsForWavesPerEU: 1
; NumVGPRsForWavesPerEU: 1
; Occupancy: 16
; WaveLimiterHint : 0
; COMPUTE_PGM_RSRC2:SCRATCH_EN: 0
; COMPUTE_PGM_RSRC2:USER_SGPR: 6
; COMPUTE_PGM_RSRC2:TRAP_HANDLER: 0
; COMPUTE_PGM_RSRC2:TGID_X_EN: 1
; COMPUTE_PGM_RSRC2:TGID_Y_EN: 0
; COMPUTE_PGM_RSRC2:TGID_Z_EN: 0
; COMPUTE_PGM_RSRC2:TIDIG_COMP_CNT: 0
	.section	.text._ZN7rocprim17ROCPRIM_400000_NS6detail17trampoline_kernelINS0_14default_configENS1_27scan_by_key_config_selectorIixEEZZNS1_16scan_by_key_implILNS1_25lookback_scan_determinismE0ELb0ES3_N6thrust23THRUST_200600_302600_NS6detail15normal_iteratorINS9_10device_ptrIiEEEENSB_INSC_IxEEEESG_xNS9_4plusIvEENS9_8equal_toIvEExEE10hipError_tPvRmT2_T3_T4_T5_mT6_T7_P12ihipStream_tbENKUlT_T0_E_clISt17integral_constantIbLb0EES11_EEDaSW_SX_EUlSW_E_NS1_11comp_targetILNS1_3genE10ELNS1_11target_archE1201ELNS1_3gpuE5ELNS1_3repE0EEENS1_30default_config_static_selectorELNS0_4arch9wavefront6targetE0EEEvT1_,"axG",@progbits,_ZN7rocprim17ROCPRIM_400000_NS6detail17trampoline_kernelINS0_14default_configENS1_27scan_by_key_config_selectorIixEEZZNS1_16scan_by_key_implILNS1_25lookback_scan_determinismE0ELb0ES3_N6thrust23THRUST_200600_302600_NS6detail15normal_iteratorINS9_10device_ptrIiEEEENSB_INSC_IxEEEESG_xNS9_4plusIvEENS9_8equal_toIvEExEE10hipError_tPvRmT2_T3_T4_T5_mT6_T7_P12ihipStream_tbENKUlT_T0_E_clISt17integral_constantIbLb0EES11_EEDaSW_SX_EUlSW_E_NS1_11comp_targetILNS1_3genE10ELNS1_11target_archE1201ELNS1_3gpuE5ELNS1_3repE0EEENS1_30default_config_static_selectorELNS0_4arch9wavefront6targetE0EEEvT1_,comdat
	.protected	_ZN7rocprim17ROCPRIM_400000_NS6detail17trampoline_kernelINS0_14default_configENS1_27scan_by_key_config_selectorIixEEZZNS1_16scan_by_key_implILNS1_25lookback_scan_determinismE0ELb0ES3_N6thrust23THRUST_200600_302600_NS6detail15normal_iteratorINS9_10device_ptrIiEEEENSB_INSC_IxEEEESG_xNS9_4plusIvEENS9_8equal_toIvEExEE10hipError_tPvRmT2_T3_T4_T5_mT6_T7_P12ihipStream_tbENKUlT_T0_E_clISt17integral_constantIbLb0EES11_EEDaSW_SX_EUlSW_E_NS1_11comp_targetILNS1_3genE10ELNS1_11target_archE1201ELNS1_3gpuE5ELNS1_3repE0EEENS1_30default_config_static_selectorELNS0_4arch9wavefront6targetE0EEEvT1_ ; -- Begin function _ZN7rocprim17ROCPRIM_400000_NS6detail17trampoline_kernelINS0_14default_configENS1_27scan_by_key_config_selectorIixEEZZNS1_16scan_by_key_implILNS1_25lookback_scan_determinismE0ELb0ES3_N6thrust23THRUST_200600_302600_NS6detail15normal_iteratorINS9_10device_ptrIiEEEENSB_INSC_IxEEEESG_xNS9_4plusIvEENS9_8equal_toIvEExEE10hipError_tPvRmT2_T3_T4_T5_mT6_T7_P12ihipStream_tbENKUlT_T0_E_clISt17integral_constantIbLb0EES11_EEDaSW_SX_EUlSW_E_NS1_11comp_targetILNS1_3genE10ELNS1_11target_archE1201ELNS1_3gpuE5ELNS1_3repE0EEENS1_30default_config_static_selectorELNS0_4arch9wavefront6targetE0EEEvT1_
	.globl	_ZN7rocprim17ROCPRIM_400000_NS6detail17trampoline_kernelINS0_14default_configENS1_27scan_by_key_config_selectorIixEEZZNS1_16scan_by_key_implILNS1_25lookback_scan_determinismE0ELb0ES3_N6thrust23THRUST_200600_302600_NS6detail15normal_iteratorINS9_10device_ptrIiEEEENSB_INSC_IxEEEESG_xNS9_4plusIvEENS9_8equal_toIvEExEE10hipError_tPvRmT2_T3_T4_T5_mT6_T7_P12ihipStream_tbENKUlT_T0_E_clISt17integral_constantIbLb0EES11_EEDaSW_SX_EUlSW_E_NS1_11comp_targetILNS1_3genE10ELNS1_11target_archE1201ELNS1_3gpuE5ELNS1_3repE0EEENS1_30default_config_static_selectorELNS0_4arch9wavefront6targetE0EEEvT1_
	.p2align	8
	.type	_ZN7rocprim17ROCPRIM_400000_NS6detail17trampoline_kernelINS0_14default_configENS1_27scan_by_key_config_selectorIixEEZZNS1_16scan_by_key_implILNS1_25lookback_scan_determinismE0ELb0ES3_N6thrust23THRUST_200600_302600_NS6detail15normal_iteratorINS9_10device_ptrIiEEEENSB_INSC_IxEEEESG_xNS9_4plusIvEENS9_8equal_toIvEExEE10hipError_tPvRmT2_T3_T4_T5_mT6_T7_P12ihipStream_tbENKUlT_T0_E_clISt17integral_constantIbLb0EES11_EEDaSW_SX_EUlSW_E_NS1_11comp_targetILNS1_3genE10ELNS1_11target_archE1201ELNS1_3gpuE5ELNS1_3repE0EEENS1_30default_config_static_selectorELNS0_4arch9wavefront6targetE0EEEvT1_,@function
_ZN7rocprim17ROCPRIM_400000_NS6detail17trampoline_kernelINS0_14default_configENS1_27scan_by_key_config_selectorIixEEZZNS1_16scan_by_key_implILNS1_25lookback_scan_determinismE0ELb0ES3_N6thrust23THRUST_200600_302600_NS6detail15normal_iteratorINS9_10device_ptrIiEEEENSB_INSC_IxEEEESG_xNS9_4plusIvEENS9_8equal_toIvEExEE10hipError_tPvRmT2_T3_T4_T5_mT6_T7_P12ihipStream_tbENKUlT_T0_E_clISt17integral_constantIbLb0EES11_EEDaSW_SX_EUlSW_E_NS1_11comp_targetILNS1_3genE10ELNS1_11target_archE1201ELNS1_3gpuE5ELNS1_3repE0EEENS1_30default_config_static_selectorELNS0_4arch9wavefront6targetE0EEEvT1_: ; @_ZN7rocprim17ROCPRIM_400000_NS6detail17trampoline_kernelINS0_14default_configENS1_27scan_by_key_config_selectorIixEEZZNS1_16scan_by_key_implILNS1_25lookback_scan_determinismE0ELb0ES3_N6thrust23THRUST_200600_302600_NS6detail15normal_iteratorINS9_10device_ptrIiEEEENSB_INSC_IxEEEESG_xNS9_4plusIvEENS9_8equal_toIvEExEE10hipError_tPvRmT2_T3_T4_T5_mT6_T7_P12ihipStream_tbENKUlT_T0_E_clISt17integral_constantIbLb0EES11_EEDaSW_SX_EUlSW_E_NS1_11comp_targetILNS1_3genE10ELNS1_11target_archE1201ELNS1_3gpuE5ELNS1_3repE0EEENS1_30default_config_static_selectorELNS0_4arch9wavefront6targetE0EEEvT1_
; %bb.0:
	.section	.rodata,"a",@progbits
	.p2align	6, 0x0
	.amdhsa_kernel _ZN7rocprim17ROCPRIM_400000_NS6detail17trampoline_kernelINS0_14default_configENS1_27scan_by_key_config_selectorIixEEZZNS1_16scan_by_key_implILNS1_25lookback_scan_determinismE0ELb0ES3_N6thrust23THRUST_200600_302600_NS6detail15normal_iteratorINS9_10device_ptrIiEEEENSB_INSC_IxEEEESG_xNS9_4plusIvEENS9_8equal_toIvEExEE10hipError_tPvRmT2_T3_T4_T5_mT6_T7_P12ihipStream_tbENKUlT_T0_E_clISt17integral_constantIbLb0EES11_EEDaSW_SX_EUlSW_E_NS1_11comp_targetILNS1_3genE10ELNS1_11target_archE1201ELNS1_3gpuE5ELNS1_3repE0EEENS1_30default_config_static_selectorELNS0_4arch9wavefront6targetE0EEEvT1_
		.amdhsa_group_segment_fixed_size 0
		.amdhsa_private_segment_fixed_size 0
		.amdhsa_kernarg_size 136
		.amdhsa_user_sgpr_count 6
		.amdhsa_user_sgpr_private_segment_buffer 1
		.amdhsa_user_sgpr_dispatch_ptr 0
		.amdhsa_user_sgpr_queue_ptr 0
		.amdhsa_user_sgpr_kernarg_segment_ptr 1
		.amdhsa_user_sgpr_dispatch_id 0
		.amdhsa_user_sgpr_flat_scratch_init 0
		.amdhsa_user_sgpr_private_segment_size 0
		.amdhsa_wavefront_size32 1
		.amdhsa_uses_dynamic_stack 0
		.amdhsa_system_sgpr_private_segment_wavefront_offset 0
		.amdhsa_system_sgpr_workgroup_id_x 1
		.amdhsa_system_sgpr_workgroup_id_y 0
		.amdhsa_system_sgpr_workgroup_id_z 0
		.amdhsa_system_sgpr_workgroup_info 0
		.amdhsa_system_vgpr_workitem_id 0
		.amdhsa_next_free_vgpr 1
		.amdhsa_next_free_sgpr 1
		.amdhsa_reserve_vcc 0
		.amdhsa_reserve_flat_scratch 0
		.amdhsa_float_round_mode_32 0
		.amdhsa_float_round_mode_16_64 0
		.amdhsa_float_denorm_mode_32 3
		.amdhsa_float_denorm_mode_16_64 3
		.amdhsa_dx10_clamp 1
		.amdhsa_ieee_mode 1
		.amdhsa_fp16_overflow 0
		.amdhsa_workgroup_processor_mode 1
		.amdhsa_memory_ordered 1
		.amdhsa_forward_progress 1
		.amdhsa_shared_vgpr_count 0
		.amdhsa_exception_fp_ieee_invalid_op 0
		.amdhsa_exception_fp_denorm_src 0
		.amdhsa_exception_fp_ieee_div_zero 0
		.amdhsa_exception_fp_ieee_overflow 0
		.amdhsa_exception_fp_ieee_underflow 0
		.amdhsa_exception_fp_ieee_inexact 0
		.amdhsa_exception_int_div_zero 0
	.end_amdhsa_kernel
	.section	.text._ZN7rocprim17ROCPRIM_400000_NS6detail17trampoline_kernelINS0_14default_configENS1_27scan_by_key_config_selectorIixEEZZNS1_16scan_by_key_implILNS1_25lookback_scan_determinismE0ELb0ES3_N6thrust23THRUST_200600_302600_NS6detail15normal_iteratorINS9_10device_ptrIiEEEENSB_INSC_IxEEEESG_xNS9_4plusIvEENS9_8equal_toIvEExEE10hipError_tPvRmT2_T3_T4_T5_mT6_T7_P12ihipStream_tbENKUlT_T0_E_clISt17integral_constantIbLb0EES11_EEDaSW_SX_EUlSW_E_NS1_11comp_targetILNS1_3genE10ELNS1_11target_archE1201ELNS1_3gpuE5ELNS1_3repE0EEENS1_30default_config_static_selectorELNS0_4arch9wavefront6targetE0EEEvT1_,"axG",@progbits,_ZN7rocprim17ROCPRIM_400000_NS6detail17trampoline_kernelINS0_14default_configENS1_27scan_by_key_config_selectorIixEEZZNS1_16scan_by_key_implILNS1_25lookback_scan_determinismE0ELb0ES3_N6thrust23THRUST_200600_302600_NS6detail15normal_iteratorINS9_10device_ptrIiEEEENSB_INSC_IxEEEESG_xNS9_4plusIvEENS9_8equal_toIvEExEE10hipError_tPvRmT2_T3_T4_T5_mT6_T7_P12ihipStream_tbENKUlT_T0_E_clISt17integral_constantIbLb0EES11_EEDaSW_SX_EUlSW_E_NS1_11comp_targetILNS1_3genE10ELNS1_11target_archE1201ELNS1_3gpuE5ELNS1_3repE0EEENS1_30default_config_static_selectorELNS0_4arch9wavefront6targetE0EEEvT1_,comdat
.Lfunc_end1312:
	.size	_ZN7rocprim17ROCPRIM_400000_NS6detail17trampoline_kernelINS0_14default_configENS1_27scan_by_key_config_selectorIixEEZZNS1_16scan_by_key_implILNS1_25lookback_scan_determinismE0ELb0ES3_N6thrust23THRUST_200600_302600_NS6detail15normal_iteratorINS9_10device_ptrIiEEEENSB_INSC_IxEEEESG_xNS9_4plusIvEENS9_8equal_toIvEExEE10hipError_tPvRmT2_T3_T4_T5_mT6_T7_P12ihipStream_tbENKUlT_T0_E_clISt17integral_constantIbLb0EES11_EEDaSW_SX_EUlSW_E_NS1_11comp_targetILNS1_3genE10ELNS1_11target_archE1201ELNS1_3gpuE5ELNS1_3repE0EEENS1_30default_config_static_selectorELNS0_4arch9wavefront6targetE0EEEvT1_, .Lfunc_end1312-_ZN7rocprim17ROCPRIM_400000_NS6detail17trampoline_kernelINS0_14default_configENS1_27scan_by_key_config_selectorIixEEZZNS1_16scan_by_key_implILNS1_25lookback_scan_determinismE0ELb0ES3_N6thrust23THRUST_200600_302600_NS6detail15normal_iteratorINS9_10device_ptrIiEEEENSB_INSC_IxEEEESG_xNS9_4plusIvEENS9_8equal_toIvEExEE10hipError_tPvRmT2_T3_T4_T5_mT6_T7_P12ihipStream_tbENKUlT_T0_E_clISt17integral_constantIbLb0EES11_EEDaSW_SX_EUlSW_E_NS1_11comp_targetILNS1_3genE10ELNS1_11target_archE1201ELNS1_3gpuE5ELNS1_3repE0EEENS1_30default_config_static_selectorELNS0_4arch9wavefront6targetE0EEEvT1_
                                        ; -- End function
	.set _ZN7rocprim17ROCPRIM_400000_NS6detail17trampoline_kernelINS0_14default_configENS1_27scan_by_key_config_selectorIixEEZZNS1_16scan_by_key_implILNS1_25lookback_scan_determinismE0ELb0ES3_N6thrust23THRUST_200600_302600_NS6detail15normal_iteratorINS9_10device_ptrIiEEEENSB_INSC_IxEEEESG_xNS9_4plusIvEENS9_8equal_toIvEExEE10hipError_tPvRmT2_T3_T4_T5_mT6_T7_P12ihipStream_tbENKUlT_T0_E_clISt17integral_constantIbLb0EES11_EEDaSW_SX_EUlSW_E_NS1_11comp_targetILNS1_3genE10ELNS1_11target_archE1201ELNS1_3gpuE5ELNS1_3repE0EEENS1_30default_config_static_selectorELNS0_4arch9wavefront6targetE0EEEvT1_.num_vgpr, 0
	.set _ZN7rocprim17ROCPRIM_400000_NS6detail17trampoline_kernelINS0_14default_configENS1_27scan_by_key_config_selectorIixEEZZNS1_16scan_by_key_implILNS1_25lookback_scan_determinismE0ELb0ES3_N6thrust23THRUST_200600_302600_NS6detail15normal_iteratorINS9_10device_ptrIiEEEENSB_INSC_IxEEEESG_xNS9_4plusIvEENS9_8equal_toIvEExEE10hipError_tPvRmT2_T3_T4_T5_mT6_T7_P12ihipStream_tbENKUlT_T0_E_clISt17integral_constantIbLb0EES11_EEDaSW_SX_EUlSW_E_NS1_11comp_targetILNS1_3genE10ELNS1_11target_archE1201ELNS1_3gpuE5ELNS1_3repE0EEENS1_30default_config_static_selectorELNS0_4arch9wavefront6targetE0EEEvT1_.num_agpr, 0
	.set _ZN7rocprim17ROCPRIM_400000_NS6detail17trampoline_kernelINS0_14default_configENS1_27scan_by_key_config_selectorIixEEZZNS1_16scan_by_key_implILNS1_25lookback_scan_determinismE0ELb0ES3_N6thrust23THRUST_200600_302600_NS6detail15normal_iteratorINS9_10device_ptrIiEEEENSB_INSC_IxEEEESG_xNS9_4plusIvEENS9_8equal_toIvEExEE10hipError_tPvRmT2_T3_T4_T5_mT6_T7_P12ihipStream_tbENKUlT_T0_E_clISt17integral_constantIbLb0EES11_EEDaSW_SX_EUlSW_E_NS1_11comp_targetILNS1_3genE10ELNS1_11target_archE1201ELNS1_3gpuE5ELNS1_3repE0EEENS1_30default_config_static_selectorELNS0_4arch9wavefront6targetE0EEEvT1_.numbered_sgpr, 0
	.set _ZN7rocprim17ROCPRIM_400000_NS6detail17trampoline_kernelINS0_14default_configENS1_27scan_by_key_config_selectorIixEEZZNS1_16scan_by_key_implILNS1_25lookback_scan_determinismE0ELb0ES3_N6thrust23THRUST_200600_302600_NS6detail15normal_iteratorINS9_10device_ptrIiEEEENSB_INSC_IxEEEESG_xNS9_4plusIvEENS9_8equal_toIvEExEE10hipError_tPvRmT2_T3_T4_T5_mT6_T7_P12ihipStream_tbENKUlT_T0_E_clISt17integral_constantIbLb0EES11_EEDaSW_SX_EUlSW_E_NS1_11comp_targetILNS1_3genE10ELNS1_11target_archE1201ELNS1_3gpuE5ELNS1_3repE0EEENS1_30default_config_static_selectorELNS0_4arch9wavefront6targetE0EEEvT1_.num_named_barrier, 0
	.set _ZN7rocprim17ROCPRIM_400000_NS6detail17trampoline_kernelINS0_14default_configENS1_27scan_by_key_config_selectorIixEEZZNS1_16scan_by_key_implILNS1_25lookback_scan_determinismE0ELb0ES3_N6thrust23THRUST_200600_302600_NS6detail15normal_iteratorINS9_10device_ptrIiEEEENSB_INSC_IxEEEESG_xNS9_4plusIvEENS9_8equal_toIvEExEE10hipError_tPvRmT2_T3_T4_T5_mT6_T7_P12ihipStream_tbENKUlT_T0_E_clISt17integral_constantIbLb0EES11_EEDaSW_SX_EUlSW_E_NS1_11comp_targetILNS1_3genE10ELNS1_11target_archE1201ELNS1_3gpuE5ELNS1_3repE0EEENS1_30default_config_static_selectorELNS0_4arch9wavefront6targetE0EEEvT1_.private_seg_size, 0
	.set _ZN7rocprim17ROCPRIM_400000_NS6detail17trampoline_kernelINS0_14default_configENS1_27scan_by_key_config_selectorIixEEZZNS1_16scan_by_key_implILNS1_25lookback_scan_determinismE0ELb0ES3_N6thrust23THRUST_200600_302600_NS6detail15normal_iteratorINS9_10device_ptrIiEEEENSB_INSC_IxEEEESG_xNS9_4plusIvEENS9_8equal_toIvEExEE10hipError_tPvRmT2_T3_T4_T5_mT6_T7_P12ihipStream_tbENKUlT_T0_E_clISt17integral_constantIbLb0EES11_EEDaSW_SX_EUlSW_E_NS1_11comp_targetILNS1_3genE10ELNS1_11target_archE1201ELNS1_3gpuE5ELNS1_3repE0EEENS1_30default_config_static_selectorELNS0_4arch9wavefront6targetE0EEEvT1_.uses_vcc, 0
	.set _ZN7rocprim17ROCPRIM_400000_NS6detail17trampoline_kernelINS0_14default_configENS1_27scan_by_key_config_selectorIixEEZZNS1_16scan_by_key_implILNS1_25lookback_scan_determinismE0ELb0ES3_N6thrust23THRUST_200600_302600_NS6detail15normal_iteratorINS9_10device_ptrIiEEEENSB_INSC_IxEEEESG_xNS9_4plusIvEENS9_8equal_toIvEExEE10hipError_tPvRmT2_T3_T4_T5_mT6_T7_P12ihipStream_tbENKUlT_T0_E_clISt17integral_constantIbLb0EES11_EEDaSW_SX_EUlSW_E_NS1_11comp_targetILNS1_3genE10ELNS1_11target_archE1201ELNS1_3gpuE5ELNS1_3repE0EEENS1_30default_config_static_selectorELNS0_4arch9wavefront6targetE0EEEvT1_.uses_flat_scratch, 0
	.set _ZN7rocprim17ROCPRIM_400000_NS6detail17trampoline_kernelINS0_14default_configENS1_27scan_by_key_config_selectorIixEEZZNS1_16scan_by_key_implILNS1_25lookback_scan_determinismE0ELb0ES3_N6thrust23THRUST_200600_302600_NS6detail15normal_iteratorINS9_10device_ptrIiEEEENSB_INSC_IxEEEESG_xNS9_4plusIvEENS9_8equal_toIvEExEE10hipError_tPvRmT2_T3_T4_T5_mT6_T7_P12ihipStream_tbENKUlT_T0_E_clISt17integral_constantIbLb0EES11_EEDaSW_SX_EUlSW_E_NS1_11comp_targetILNS1_3genE10ELNS1_11target_archE1201ELNS1_3gpuE5ELNS1_3repE0EEENS1_30default_config_static_selectorELNS0_4arch9wavefront6targetE0EEEvT1_.has_dyn_sized_stack, 0
	.set _ZN7rocprim17ROCPRIM_400000_NS6detail17trampoline_kernelINS0_14default_configENS1_27scan_by_key_config_selectorIixEEZZNS1_16scan_by_key_implILNS1_25lookback_scan_determinismE0ELb0ES3_N6thrust23THRUST_200600_302600_NS6detail15normal_iteratorINS9_10device_ptrIiEEEENSB_INSC_IxEEEESG_xNS9_4plusIvEENS9_8equal_toIvEExEE10hipError_tPvRmT2_T3_T4_T5_mT6_T7_P12ihipStream_tbENKUlT_T0_E_clISt17integral_constantIbLb0EES11_EEDaSW_SX_EUlSW_E_NS1_11comp_targetILNS1_3genE10ELNS1_11target_archE1201ELNS1_3gpuE5ELNS1_3repE0EEENS1_30default_config_static_selectorELNS0_4arch9wavefront6targetE0EEEvT1_.has_recursion, 0
	.set _ZN7rocprim17ROCPRIM_400000_NS6detail17trampoline_kernelINS0_14default_configENS1_27scan_by_key_config_selectorIixEEZZNS1_16scan_by_key_implILNS1_25lookback_scan_determinismE0ELb0ES3_N6thrust23THRUST_200600_302600_NS6detail15normal_iteratorINS9_10device_ptrIiEEEENSB_INSC_IxEEEESG_xNS9_4plusIvEENS9_8equal_toIvEExEE10hipError_tPvRmT2_T3_T4_T5_mT6_T7_P12ihipStream_tbENKUlT_T0_E_clISt17integral_constantIbLb0EES11_EEDaSW_SX_EUlSW_E_NS1_11comp_targetILNS1_3genE10ELNS1_11target_archE1201ELNS1_3gpuE5ELNS1_3repE0EEENS1_30default_config_static_selectorELNS0_4arch9wavefront6targetE0EEEvT1_.has_indirect_call, 0
	.section	.AMDGPU.csdata,"",@progbits
; Kernel info:
; codeLenInByte = 0
; TotalNumSgprs: 0
; NumVgprs: 0
; ScratchSize: 0
; MemoryBound: 0
; FloatMode: 240
; IeeeMode: 1
; LDSByteSize: 0 bytes/workgroup (compile time only)
; SGPRBlocks: 0
; VGPRBlocks: 0
; NumSGPRsForWavesPerEU: 1
; NumVGPRsForWavesPerEU: 1
; Occupancy: 16
; WaveLimiterHint : 0
; COMPUTE_PGM_RSRC2:SCRATCH_EN: 0
; COMPUTE_PGM_RSRC2:USER_SGPR: 6
; COMPUTE_PGM_RSRC2:TRAP_HANDLER: 0
; COMPUTE_PGM_RSRC2:TGID_X_EN: 1
; COMPUTE_PGM_RSRC2:TGID_Y_EN: 0
; COMPUTE_PGM_RSRC2:TGID_Z_EN: 0
; COMPUTE_PGM_RSRC2:TIDIG_COMP_CNT: 0
	.section	.text._ZN7rocprim17ROCPRIM_400000_NS6detail17trampoline_kernelINS0_14default_configENS1_27scan_by_key_config_selectorIixEEZZNS1_16scan_by_key_implILNS1_25lookback_scan_determinismE0ELb0ES3_N6thrust23THRUST_200600_302600_NS6detail15normal_iteratorINS9_10device_ptrIiEEEENSB_INSC_IxEEEESG_xNS9_4plusIvEENS9_8equal_toIvEExEE10hipError_tPvRmT2_T3_T4_T5_mT6_T7_P12ihipStream_tbENKUlT_T0_E_clISt17integral_constantIbLb0EES11_EEDaSW_SX_EUlSW_E_NS1_11comp_targetILNS1_3genE5ELNS1_11target_archE942ELNS1_3gpuE9ELNS1_3repE0EEENS1_30default_config_static_selectorELNS0_4arch9wavefront6targetE0EEEvT1_,"axG",@progbits,_ZN7rocprim17ROCPRIM_400000_NS6detail17trampoline_kernelINS0_14default_configENS1_27scan_by_key_config_selectorIixEEZZNS1_16scan_by_key_implILNS1_25lookback_scan_determinismE0ELb0ES3_N6thrust23THRUST_200600_302600_NS6detail15normal_iteratorINS9_10device_ptrIiEEEENSB_INSC_IxEEEESG_xNS9_4plusIvEENS9_8equal_toIvEExEE10hipError_tPvRmT2_T3_T4_T5_mT6_T7_P12ihipStream_tbENKUlT_T0_E_clISt17integral_constantIbLb0EES11_EEDaSW_SX_EUlSW_E_NS1_11comp_targetILNS1_3genE5ELNS1_11target_archE942ELNS1_3gpuE9ELNS1_3repE0EEENS1_30default_config_static_selectorELNS0_4arch9wavefront6targetE0EEEvT1_,comdat
	.protected	_ZN7rocprim17ROCPRIM_400000_NS6detail17trampoline_kernelINS0_14default_configENS1_27scan_by_key_config_selectorIixEEZZNS1_16scan_by_key_implILNS1_25lookback_scan_determinismE0ELb0ES3_N6thrust23THRUST_200600_302600_NS6detail15normal_iteratorINS9_10device_ptrIiEEEENSB_INSC_IxEEEESG_xNS9_4plusIvEENS9_8equal_toIvEExEE10hipError_tPvRmT2_T3_T4_T5_mT6_T7_P12ihipStream_tbENKUlT_T0_E_clISt17integral_constantIbLb0EES11_EEDaSW_SX_EUlSW_E_NS1_11comp_targetILNS1_3genE5ELNS1_11target_archE942ELNS1_3gpuE9ELNS1_3repE0EEENS1_30default_config_static_selectorELNS0_4arch9wavefront6targetE0EEEvT1_ ; -- Begin function _ZN7rocprim17ROCPRIM_400000_NS6detail17trampoline_kernelINS0_14default_configENS1_27scan_by_key_config_selectorIixEEZZNS1_16scan_by_key_implILNS1_25lookback_scan_determinismE0ELb0ES3_N6thrust23THRUST_200600_302600_NS6detail15normal_iteratorINS9_10device_ptrIiEEEENSB_INSC_IxEEEESG_xNS9_4plusIvEENS9_8equal_toIvEExEE10hipError_tPvRmT2_T3_T4_T5_mT6_T7_P12ihipStream_tbENKUlT_T0_E_clISt17integral_constantIbLb0EES11_EEDaSW_SX_EUlSW_E_NS1_11comp_targetILNS1_3genE5ELNS1_11target_archE942ELNS1_3gpuE9ELNS1_3repE0EEENS1_30default_config_static_selectorELNS0_4arch9wavefront6targetE0EEEvT1_
	.globl	_ZN7rocprim17ROCPRIM_400000_NS6detail17trampoline_kernelINS0_14default_configENS1_27scan_by_key_config_selectorIixEEZZNS1_16scan_by_key_implILNS1_25lookback_scan_determinismE0ELb0ES3_N6thrust23THRUST_200600_302600_NS6detail15normal_iteratorINS9_10device_ptrIiEEEENSB_INSC_IxEEEESG_xNS9_4plusIvEENS9_8equal_toIvEExEE10hipError_tPvRmT2_T3_T4_T5_mT6_T7_P12ihipStream_tbENKUlT_T0_E_clISt17integral_constantIbLb0EES11_EEDaSW_SX_EUlSW_E_NS1_11comp_targetILNS1_3genE5ELNS1_11target_archE942ELNS1_3gpuE9ELNS1_3repE0EEENS1_30default_config_static_selectorELNS0_4arch9wavefront6targetE0EEEvT1_
	.p2align	8
	.type	_ZN7rocprim17ROCPRIM_400000_NS6detail17trampoline_kernelINS0_14default_configENS1_27scan_by_key_config_selectorIixEEZZNS1_16scan_by_key_implILNS1_25lookback_scan_determinismE0ELb0ES3_N6thrust23THRUST_200600_302600_NS6detail15normal_iteratorINS9_10device_ptrIiEEEENSB_INSC_IxEEEESG_xNS9_4plusIvEENS9_8equal_toIvEExEE10hipError_tPvRmT2_T3_T4_T5_mT6_T7_P12ihipStream_tbENKUlT_T0_E_clISt17integral_constantIbLb0EES11_EEDaSW_SX_EUlSW_E_NS1_11comp_targetILNS1_3genE5ELNS1_11target_archE942ELNS1_3gpuE9ELNS1_3repE0EEENS1_30default_config_static_selectorELNS0_4arch9wavefront6targetE0EEEvT1_,@function
_ZN7rocprim17ROCPRIM_400000_NS6detail17trampoline_kernelINS0_14default_configENS1_27scan_by_key_config_selectorIixEEZZNS1_16scan_by_key_implILNS1_25lookback_scan_determinismE0ELb0ES3_N6thrust23THRUST_200600_302600_NS6detail15normal_iteratorINS9_10device_ptrIiEEEENSB_INSC_IxEEEESG_xNS9_4plusIvEENS9_8equal_toIvEExEE10hipError_tPvRmT2_T3_T4_T5_mT6_T7_P12ihipStream_tbENKUlT_T0_E_clISt17integral_constantIbLb0EES11_EEDaSW_SX_EUlSW_E_NS1_11comp_targetILNS1_3genE5ELNS1_11target_archE942ELNS1_3gpuE9ELNS1_3repE0EEENS1_30default_config_static_selectorELNS0_4arch9wavefront6targetE0EEEvT1_: ; @_ZN7rocprim17ROCPRIM_400000_NS6detail17trampoline_kernelINS0_14default_configENS1_27scan_by_key_config_selectorIixEEZZNS1_16scan_by_key_implILNS1_25lookback_scan_determinismE0ELb0ES3_N6thrust23THRUST_200600_302600_NS6detail15normal_iteratorINS9_10device_ptrIiEEEENSB_INSC_IxEEEESG_xNS9_4plusIvEENS9_8equal_toIvEExEE10hipError_tPvRmT2_T3_T4_T5_mT6_T7_P12ihipStream_tbENKUlT_T0_E_clISt17integral_constantIbLb0EES11_EEDaSW_SX_EUlSW_E_NS1_11comp_targetILNS1_3genE5ELNS1_11target_archE942ELNS1_3gpuE9ELNS1_3repE0EEENS1_30default_config_static_selectorELNS0_4arch9wavefront6targetE0EEEvT1_
; %bb.0:
	.section	.rodata,"a",@progbits
	.p2align	6, 0x0
	.amdhsa_kernel _ZN7rocprim17ROCPRIM_400000_NS6detail17trampoline_kernelINS0_14default_configENS1_27scan_by_key_config_selectorIixEEZZNS1_16scan_by_key_implILNS1_25lookback_scan_determinismE0ELb0ES3_N6thrust23THRUST_200600_302600_NS6detail15normal_iteratorINS9_10device_ptrIiEEEENSB_INSC_IxEEEESG_xNS9_4plusIvEENS9_8equal_toIvEExEE10hipError_tPvRmT2_T3_T4_T5_mT6_T7_P12ihipStream_tbENKUlT_T0_E_clISt17integral_constantIbLb0EES11_EEDaSW_SX_EUlSW_E_NS1_11comp_targetILNS1_3genE5ELNS1_11target_archE942ELNS1_3gpuE9ELNS1_3repE0EEENS1_30default_config_static_selectorELNS0_4arch9wavefront6targetE0EEEvT1_
		.amdhsa_group_segment_fixed_size 0
		.amdhsa_private_segment_fixed_size 0
		.amdhsa_kernarg_size 136
		.amdhsa_user_sgpr_count 6
		.amdhsa_user_sgpr_private_segment_buffer 1
		.amdhsa_user_sgpr_dispatch_ptr 0
		.amdhsa_user_sgpr_queue_ptr 0
		.amdhsa_user_sgpr_kernarg_segment_ptr 1
		.amdhsa_user_sgpr_dispatch_id 0
		.amdhsa_user_sgpr_flat_scratch_init 0
		.amdhsa_user_sgpr_private_segment_size 0
		.amdhsa_wavefront_size32 1
		.amdhsa_uses_dynamic_stack 0
		.amdhsa_system_sgpr_private_segment_wavefront_offset 0
		.amdhsa_system_sgpr_workgroup_id_x 1
		.amdhsa_system_sgpr_workgroup_id_y 0
		.amdhsa_system_sgpr_workgroup_id_z 0
		.amdhsa_system_sgpr_workgroup_info 0
		.amdhsa_system_vgpr_workitem_id 0
		.amdhsa_next_free_vgpr 1
		.amdhsa_next_free_sgpr 1
		.amdhsa_reserve_vcc 0
		.amdhsa_reserve_flat_scratch 0
		.amdhsa_float_round_mode_32 0
		.amdhsa_float_round_mode_16_64 0
		.amdhsa_float_denorm_mode_32 3
		.amdhsa_float_denorm_mode_16_64 3
		.amdhsa_dx10_clamp 1
		.amdhsa_ieee_mode 1
		.amdhsa_fp16_overflow 0
		.amdhsa_workgroup_processor_mode 1
		.amdhsa_memory_ordered 1
		.amdhsa_forward_progress 1
		.amdhsa_shared_vgpr_count 0
		.amdhsa_exception_fp_ieee_invalid_op 0
		.amdhsa_exception_fp_denorm_src 0
		.amdhsa_exception_fp_ieee_div_zero 0
		.amdhsa_exception_fp_ieee_overflow 0
		.amdhsa_exception_fp_ieee_underflow 0
		.amdhsa_exception_fp_ieee_inexact 0
		.amdhsa_exception_int_div_zero 0
	.end_amdhsa_kernel
	.section	.text._ZN7rocprim17ROCPRIM_400000_NS6detail17trampoline_kernelINS0_14default_configENS1_27scan_by_key_config_selectorIixEEZZNS1_16scan_by_key_implILNS1_25lookback_scan_determinismE0ELb0ES3_N6thrust23THRUST_200600_302600_NS6detail15normal_iteratorINS9_10device_ptrIiEEEENSB_INSC_IxEEEESG_xNS9_4plusIvEENS9_8equal_toIvEExEE10hipError_tPvRmT2_T3_T4_T5_mT6_T7_P12ihipStream_tbENKUlT_T0_E_clISt17integral_constantIbLb0EES11_EEDaSW_SX_EUlSW_E_NS1_11comp_targetILNS1_3genE5ELNS1_11target_archE942ELNS1_3gpuE9ELNS1_3repE0EEENS1_30default_config_static_selectorELNS0_4arch9wavefront6targetE0EEEvT1_,"axG",@progbits,_ZN7rocprim17ROCPRIM_400000_NS6detail17trampoline_kernelINS0_14default_configENS1_27scan_by_key_config_selectorIixEEZZNS1_16scan_by_key_implILNS1_25lookback_scan_determinismE0ELb0ES3_N6thrust23THRUST_200600_302600_NS6detail15normal_iteratorINS9_10device_ptrIiEEEENSB_INSC_IxEEEESG_xNS9_4plusIvEENS9_8equal_toIvEExEE10hipError_tPvRmT2_T3_T4_T5_mT6_T7_P12ihipStream_tbENKUlT_T0_E_clISt17integral_constantIbLb0EES11_EEDaSW_SX_EUlSW_E_NS1_11comp_targetILNS1_3genE5ELNS1_11target_archE942ELNS1_3gpuE9ELNS1_3repE0EEENS1_30default_config_static_selectorELNS0_4arch9wavefront6targetE0EEEvT1_,comdat
.Lfunc_end1313:
	.size	_ZN7rocprim17ROCPRIM_400000_NS6detail17trampoline_kernelINS0_14default_configENS1_27scan_by_key_config_selectorIixEEZZNS1_16scan_by_key_implILNS1_25lookback_scan_determinismE0ELb0ES3_N6thrust23THRUST_200600_302600_NS6detail15normal_iteratorINS9_10device_ptrIiEEEENSB_INSC_IxEEEESG_xNS9_4plusIvEENS9_8equal_toIvEExEE10hipError_tPvRmT2_T3_T4_T5_mT6_T7_P12ihipStream_tbENKUlT_T0_E_clISt17integral_constantIbLb0EES11_EEDaSW_SX_EUlSW_E_NS1_11comp_targetILNS1_3genE5ELNS1_11target_archE942ELNS1_3gpuE9ELNS1_3repE0EEENS1_30default_config_static_selectorELNS0_4arch9wavefront6targetE0EEEvT1_, .Lfunc_end1313-_ZN7rocprim17ROCPRIM_400000_NS6detail17trampoline_kernelINS0_14default_configENS1_27scan_by_key_config_selectorIixEEZZNS1_16scan_by_key_implILNS1_25lookback_scan_determinismE0ELb0ES3_N6thrust23THRUST_200600_302600_NS6detail15normal_iteratorINS9_10device_ptrIiEEEENSB_INSC_IxEEEESG_xNS9_4plusIvEENS9_8equal_toIvEExEE10hipError_tPvRmT2_T3_T4_T5_mT6_T7_P12ihipStream_tbENKUlT_T0_E_clISt17integral_constantIbLb0EES11_EEDaSW_SX_EUlSW_E_NS1_11comp_targetILNS1_3genE5ELNS1_11target_archE942ELNS1_3gpuE9ELNS1_3repE0EEENS1_30default_config_static_selectorELNS0_4arch9wavefront6targetE0EEEvT1_
                                        ; -- End function
	.set _ZN7rocprim17ROCPRIM_400000_NS6detail17trampoline_kernelINS0_14default_configENS1_27scan_by_key_config_selectorIixEEZZNS1_16scan_by_key_implILNS1_25lookback_scan_determinismE0ELb0ES3_N6thrust23THRUST_200600_302600_NS6detail15normal_iteratorINS9_10device_ptrIiEEEENSB_INSC_IxEEEESG_xNS9_4plusIvEENS9_8equal_toIvEExEE10hipError_tPvRmT2_T3_T4_T5_mT6_T7_P12ihipStream_tbENKUlT_T0_E_clISt17integral_constantIbLb0EES11_EEDaSW_SX_EUlSW_E_NS1_11comp_targetILNS1_3genE5ELNS1_11target_archE942ELNS1_3gpuE9ELNS1_3repE0EEENS1_30default_config_static_selectorELNS0_4arch9wavefront6targetE0EEEvT1_.num_vgpr, 0
	.set _ZN7rocprim17ROCPRIM_400000_NS6detail17trampoline_kernelINS0_14default_configENS1_27scan_by_key_config_selectorIixEEZZNS1_16scan_by_key_implILNS1_25lookback_scan_determinismE0ELb0ES3_N6thrust23THRUST_200600_302600_NS6detail15normal_iteratorINS9_10device_ptrIiEEEENSB_INSC_IxEEEESG_xNS9_4plusIvEENS9_8equal_toIvEExEE10hipError_tPvRmT2_T3_T4_T5_mT6_T7_P12ihipStream_tbENKUlT_T0_E_clISt17integral_constantIbLb0EES11_EEDaSW_SX_EUlSW_E_NS1_11comp_targetILNS1_3genE5ELNS1_11target_archE942ELNS1_3gpuE9ELNS1_3repE0EEENS1_30default_config_static_selectorELNS0_4arch9wavefront6targetE0EEEvT1_.num_agpr, 0
	.set _ZN7rocprim17ROCPRIM_400000_NS6detail17trampoline_kernelINS0_14default_configENS1_27scan_by_key_config_selectorIixEEZZNS1_16scan_by_key_implILNS1_25lookback_scan_determinismE0ELb0ES3_N6thrust23THRUST_200600_302600_NS6detail15normal_iteratorINS9_10device_ptrIiEEEENSB_INSC_IxEEEESG_xNS9_4plusIvEENS9_8equal_toIvEExEE10hipError_tPvRmT2_T3_T4_T5_mT6_T7_P12ihipStream_tbENKUlT_T0_E_clISt17integral_constantIbLb0EES11_EEDaSW_SX_EUlSW_E_NS1_11comp_targetILNS1_3genE5ELNS1_11target_archE942ELNS1_3gpuE9ELNS1_3repE0EEENS1_30default_config_static_selectorELNS0_4arch9wavefront6targetE0EEEvT1_.numbered_sgpr, 0
	.set _ZN7rocprim17ROCPRIM_400000_NS6detail17trampoline_kernelINS0_14default_configENS1_27scan_by_key_config_selectorIixEEZZNS1_16scan_by_key_implILNS1_25lookback_scan_determinismE0ELb0ES3_N6thrust23THRUST_200600_302600_NS6detail15normal_iteratorINS9_10device_ptrIiEEEENSB_INSC_IxEEEESG_xNS9_4plusIvEENS9_8equal_toIvEExEE10hipError_tPvRmT2_T3_T4_T5_mT6_T7_P12ihipStream_tbENKUlT_T0_E_clISt17integral_constantIbLb0EES11_EEDaSW_SX_EUlSW_E_NS1_11comp_targetILNS1_3genE5ELNS1_11target_archE942ELNS1_3gpuE9ELNS1_3repE0EEENS1_30default_config_static_selectorELNS0_4arch9wavefront6targetE0EEEvT1_.num_named_barrier, 0
	.set _ZN7rocprim17ROCPRIM_400000_NS6detail17trampoline_kernelINS0_14default_configENS1_27scan_by_key_config_selectorIixEEZZNS1_16scan_by_key_implILNS1_25lookback_scan_determinismE0ELb0ES3_N6thrust23THRUST_200600_302600_NS6detail15normal_iteratorINS9_10device_ptrIiEEEENSB_INSC_IxEEEESG_xNS9_4plusIvEENS9_8equal_toIvEExEE10hipError_tPvRmT2_T3_T4_T5_mT6_T7_P12ihipStream_tbENKUlT_T0_E_clISt17integral_constantIbLb0EES11_EEDaSW_SX_EUlSW_E_NS1_11comp_targetILNS1_3genE5ELNS1_11target_archE942ELNS1_3gpuE9ELNS1_3repE0EEENS1_30default_config_static_selectorELNS0_4arch9wavefront6targetE0EEEvT1_.private_seg_size, 0
	.set _ZN7rocprim17ROCPRIM_400000_NS6detail17trampoline_kernelINS0_14default_configENS1_27scan_by_key_config_selectorIixEEZZNS1_16scan_by_key_implILNS1_25lookback_scan_determinismE0ELb0ES3_N6thrust23THRUST_200600_302600_NS6detail15normal_iteratorINS9_10device_ptrIiEEEENSB_INSC_IxEEEESG_xNS9_4plusIvEENS9_8equal_toIvEExEE10hipError_tPvRmT2_T3_T4_T5_mT6_T7_P12ihipStream_tbENKUlT_T0_E_clISt17integral_constantIbLb0EES11_EEDaSW_SX_EUlSW_E_NS1_11comp_targetILNS1_3genE5ELNS1_11target_archE942ELNS1_3gpuE9ELNS1_3repE0EEENS1_30default_config_static_selectorELNS0_4arch9wavefront6targetE0EEEvT1_.uses_vcc, 0
	.set _ZN7rocprim17ROCPRIM_400000_NS6detail17trampoline_kernelINS0_14default_configENS1_27scan_by_key_config_selectorIixEEZZNS1_16scan_by_key_implILNS1_25lookback_scan_determinismE0ELb0ES3_N6thrust23THRUST_200600_302600_NS6detail15normal_iteratorINS9_10device_ptrIiEEEENSB_INSC_IxEEEESG_xNS9_4plusIvEENS9_8equal_toIvEExEE10hipError_tPvRmT2_T3_T4_T5_mT6_T7_P12ihipStream_tbENKUlT_T0_E_clISt17integral_constantIbLb0EES11_EEDaSW_SX_EUlSW_E_NS1_11comp_targetILNS1_3genE5ELNS1_11target_archE942ELNS1_3gpuE9ELNS1_3repE0EEENS1_30default_config_static_selectorELNS0_4arch9wavefront6targetE0EEEvT1_.uses_flat_scratch, 0
	.set _ZN7rocprim17ROCPRIM_400000_NS6detail17trampoline_kernelINS0_14default_configENS1_27scan_by_key_config_selectorIixEEZZNS1_16scan_by_key_implILNS1_25lookback_scan_determinismE0ELb0ES3_N6thrust23THRUST_200600_302600_NS6detail15normal_iteratorINS9_10device_ptrIiEEEENSB_INSC_IxEEEESG_xNS9_4plusIvEENS9_8equal_toIvEExEE10hipError_tPvRmT2_T3_T4_T5_mT6_T7_P12ihipStream_tbENKUlT_T0_E_clISt17integral_constantIbLb0EES11_EEDaSW_SX_EUlSW_E_NS1_11comp_targetILNS1_3genE5ELNS1_11target_archE942ELNS1_3gpuE9ELNS1_3repE0EEENS1_30default_config_static_selectorELNS0_4arch9wavefront6targetE0EEEvT1_.has_dyn_sized_stack, 0
	.set _ZN7rocprim17ROCPRIM_400000_NS6detail17trampoline_kernelINS0_14default_configENS1_27scan_by_key_config_selectorIixEEZZNS1_16scan_by_key_implILNS1_25lookback_scan_determinismE0ELb0ES3_N6thrust23THRUST_200600_302600_NS6detail15normal_iteratorINS9_10device_ptrIiEEEENSB_INSC_IxEEEESG_xNS9_4plusIvEENS9_8equal_toIvEExEE10hipError_tPvRmT2_T3_T4_T5_mT6_T7_P12ihipStream_tbENKUlT_T0_E_clISt17integral_constantIbLb0EES11_EEDaSW_SX_EUlSW_E_NS1_11comp_targetILNS1_3genE5ELNS1_11target_archE942ELNS1_3gpuE9ELNS1_3repE0EEENS1_30default_config_static_selectorELNS0_4arch9wavefront6targetE0EEEvT1_.has_recursion, 0
	.set _ZN7rocprim17ROCPRIM_400000_NS6detail17trampoline_kernelINS0_14default_configENS1_27scan_by_key_config_selectorIixEEZZNS1_16scan_by_key_implILNS1_25lookback_scan_determinismE0ELb0ES3_N6thrust23THRUST_200600_302600_NS6detail15normal_iteratorINS9_10device_ptrIiEEEENSB_INSC_IxEEEESG_xNS9_4plusIvEENS9_8equal_toIvEExEE10hipError_tPvRmT2_T3_T4_T5_mT6_T7_P12ihipStream_tbENKUlT_T0_E_clISt17integral_constantIbLb0EES11_EEDaSW_SX_EUlSW_E_NS1_11comp_targetILNS1_3genE5ELNS1_11target_archE942ELNS1_3gpuE9ELNS1_3repE0EEENS1_30default_config_static_selectorELNS0_4arch9wavefront6targetE0EEEvT1_.has_indirect_call, 0
	.section	.AMDGPU.csdata,"",@progbits
; Kernel info:
; codeLenInByte = 0
; TotalNumSgprs: 0
; NumVgprs: 0
; ScratchSize: 0
; MemoryBound: 0
; FloatMode: 240
; IeeeMode: 1
; LDSByteSize: 0 bytes/workgroup (compile time only)
; SGPRBlocks: 0
; VGPRBlocks: 0
; NumSGPRsForWavesPerEU: 1
; NumVGPRsForWavesPerEU: 1
; Occupancy: 16
; WaveLimiterHint : 0
; COMPUTE_PGM_RSRC2:SCRATCH_EN: 0
; COMPUTE_PGM_RSRC2:USER_SGPR: 6
; COMPUTE_PGM_RSRC2:TRAP_HANDLER: 0
; COMPUTE_PGM_RSRC2:TGID_X_EN: 1
; COMPUTE_PGM_RSRC2:TGID_Y_EN: 0
; COMPUTE_PGM_RSRC2:TGID_Z_EN: 0
; COMPUTE_PGM_RSRC2:TIDIG_COMP_CNT: 0
	.section	.text._ZN7rocprim17ROCPRIM_400000_NS6detail17trampoline_kernelINS0_14default_configENS1_27scan_by_key_config_selectorIixEEZZNS1_16scan_by_key_implILNS1_25lookback_scan_determinismE0ELb0ES3_N6thrust23THRUST_200600_302600_NS6detail15normal_iteratorINS9_10device_ptrIiEEEENSB_INSC_IxEEEESG_xNS9_4plusIvEENS9_8equal_toIvEExEE10hipError_tPvRmT2_T3_T4_T5_mT6_T7_P12ihipStream_tbENKUlT_T0_E_clISt17integral_constantIbLb0EES11_EEDaSW_SX_EUlSW_E_NS1_11comp_targetILNS1_3genE4ELNS1_11target_archE910ELNS1_3gpuE8ELNS1_3repE0EEENS1_30default_config_static_selectorELNS0_4arch9wavefront6targetE0EEEvT1_,"axG",@progbits,_ZN7rocprim17ROCPRIM_400000_NS6detail17trampoline_kernelINS0_14default_configENS1_27scan_by_key_config_selectorIixEEZZNS1_16scan_by_key_implILNS1_25lookback_scan_determinismE0ELb0ES3_N6thrust23THRUST_200600_302600_NS6detail15normal_iteratorINS9_10device_ptrIiEEEENSB_INSC_IxEEEESG_xNS9_4plusIvEENS9_8equal_toIvEExEE10hipError_tPvRmT2_T3_T4_T5_mT6_T7_P12ihipStream_tbENKUlT_T0_E_clISt17integral_constantIbLb0EES11_EEDaSW_SX_EUlSW_E_NS1_11comp_targetILNS1_3genE4ELNS1_11target_archE910ELNS1_3gpuE8ELNS1_3repE0EEENS1_30default_config_static_selectorELNS0_4arch9wavefront6targetE0EEEvT1_,comdat
	.protected	_ZN7rocprim17ROCPRIM_400000_NS6detail17trampoline_kernelINS0_14default_configENS1_27scan_by_key_config_selectorIixEEZZNS1_16scan_by_key_implILNS1_25lookback_scan_determinismE0ELb0ES3_N6thrust23THRUST_200600_302600_NS6detail15normal_iteratorINS9_10device_ptrIiEEEENSB_INSC_IxEEEESG_xNS9_4plusIvEENS9_8equal_toIvEExEE10hipError_tPvRmT2_T3_T4_T5_mT6_T7_P12ihipStream_tbENKUlT_T0_E_clISt17integral_constantIbLb0EES11_EEDaSW_SX_EUlSW_E_NS1_11comp_targetILNS1_3genE4ELNS1_11target_archE910ELNS1_3gpuE8ELNS1_3repE0EEENS1_30default_config_static_selectorELNS0_4arch9wavefront6targetE0EEEvT1_ ; -- Begin function _ZN7rocprim17ROCPRIM_400000_NS6detail17trampoline_kernelINS0_14default_configENS1_27scan_by_key_config_selectorIixEEZZNS1_16scan_by_key_implILNS1_25lookback_scan_determinismE0ELb0ES3_N6thrust23THRUST_200600_302600_NS6detail15normal_iteratorINS9_10device_ptrIiEEEENSB_INSC_IxEEEESG_xNS9_4plusIvEENS9_8equal_toIvEExEE10hipError_tPvRmT2_T3_T4_T5_mT6_T7_P12ihipStream_tbENKUlT_T0_E_clISt17integral_constantIbLb0EES11_EEDaSW_SX_EUlSW_E_NS1_11comp_targetILNS1_3genE4ELNS1_11target_archE910ELNS1_3gpuE8ELNS1_3repE0EEENS1_30default_config_static_selectorELNS0_4arch9wavefront6targetE0EEEvT1_
	.globl	_ZN7rocprim17ROCPRIM_400000_NS6detail17trampoline_kernelINS0_14default_configENS1_27scan_by_key_config_selectorIixEEZZNS1_16scan_by_key_implILNS1_25lookback_scan_determinismE0ELb0ES3_N6thrust23THRUST_200600_302600_NS6detail15normal_iteratorINS9_10device_ptrIiEEEENSB_INSC_IxEEEESG_xNS9_4plusIvEENS9_8equal_toIvEExEE10hipError_tPvRmT2_T3_T4_T5_mT6_T7_P12ihipStream_tbENKUlT_T0_E_clISt17integral_constantIbLb0EES11_EEDaSW_SX_EUlSW_E_NS1_11comp_targetILNS1_3genE4ELNS1_11target_archE910ELNS1_3gpuE8ELNS1_3repE0EEENS1_30default_config_static_selectorELNS0_4arch9wavefront6targetE0EEEvT1_
	.p2align	8
	.type	_ZN7rocprim17ROCPRIM_400000_NS6detail17trampoline_kernelINS0_14default_configENS1_27scan_by_key_config_selectorIixEEZZNS1_16scan_by_key_implILNS1_25lookback_scan_determinismE0ELb0ES3_N6thrust23THRUST_200600_302600_NS6detail15normal_iteratorINS9_10device_ptrIiEEEENSB_INSC_IxEEEESG_xNS9_4plusIvEENS9_8equal_toIvEExEE10hipError_tPvRmT2_T3_T4_T5_mT6_T7_P12ihipStream_tbENKUlT_T0_E_clISt17integral_constantIbLb0EES11_EEDaSW_SX_EUlSW_E_NS1_11comp_targetILNS1_3genE4ELNS1_11target_archE910ELNS1_3gpuE8ELNS1_3repE0EEENS1_30default_config_static_selectorELNS0_4arch9wavefront6targetE0EEEvT1_,@function
_ZN7rocprim17ROCPRIM_400000_NS6detail17trampoline_kernelINS0_14default_configENS1_27scan_by_key_config_selectorIixEEZZNS1_16scan_by_key_implILNS1_25lookback_scan_determinismE0ELb0ES3_N6thrust23THRUST_200600_302600_NS6detail15normal_iteratorINS9_10device_ptrIiEEEENSB_INSC_IxEEEESG_xNS9_4plusIvEENS9_8equal_toIvEExEE10hipError_tPvRmT2_T3_T4_T5_mT6_T7_P12ihipStream_tbENKUlT_T0_E_clISt17integral_constantIbLb0EES11_EEDaSW_SX_EUlSW_E_NS1_11comp_targetILNS1_3genE4ELNS1_11target_archE910ELNS1_3gpuE8ELNS1_3repE0EEENS1_30default_config_static_selectorELNS0_4arch9wavefront6targetE0EEEvT1_: ; @_ZN7rocprim17ROCPRIM_400000_NS6detail17trampoline_kernelINS0_14default_configENS1_27scan_by_key_config_selectorIixEEZZNS1_16scan_by_key_implILNS1_25lookback_scan_determinismE0ELb0ES3_N6thrust23THRUST_200600_302600_NS6detail15normal_iteratorINS9_10device_ptrIiEEEENSB_INSC_IxEEEESG_xNS9_4plusIvEENS9_8equal_toIvEExEE10hipError_tPvRmT2_T3_T4_T5_mT6_T7_P12ihipStream_tbENKUlT_T0_E_clISt17integral_constantIbLb0EES11_EEDaSW_SX_EUlSW_E_NS1_11comp_targetILNS1_3genE4ELNS1_11target_archE910ELNS1_3gpuE8ELNS1_3repE0EEENS1_30default_config_static_selectorELNS0_4arch9wavefront6targetE0EEEvT1_
; %bb.0:
	.section	.rodata,"a",@progbits
	.p2align	6, 0x0
	.amdhsa_kernel _ZN7rocprim17ROCPRIM_400000_NS6detail17trampoline_kernelINS0_14default_configENS1_27scan_by_key_config_selectorIixEEZZNS1_16scan_by_key_implILNS1_25lookback_scan_determinismE0ELb0ES3_N6thrust23THRUST_200600_302600_NS6detail15normal_iteratorINS9_10device_ptrIiEEEENSB_INSC_IxEEEESG_xNS9_4plusIvEENS9_8equal_toIvEExEE10hipError_tPvRmT2_T3_T4_T5_mT6_T7_P12ihipStream_tbENKUlT_T0_E_clISt17integral_constantIbLb0EES11_EEDaSW_SX_EUlSW_E_NS1_11comp_targetILNS1_3genE4ELNS1_11target_archE910ELNS1_3gpuE8ELNS1_3repE0EEENS1_30default_config_static_selectorELNS0_4arch9wavefront6targetE0EEEvT1_
		.amdhsa_group_segment_fixed_size 0
		.amdhsa_private_segment_fixed_size 0
		.amdhsa_kernarg_size 136
		.amdhsa_user_sgpr_count 6
		.amdhsa_user_sgpr_private_segment_buffer 1
		.amdhsa_user_sgpr_dispatch_ptr 0
		.amdhsa_user_sgpr_queue_ptr 0
		.amdhsa_user_sgpr_kernarg_segment_ptr 1
		.amdhsa_user_sgpr_dispatch_id 0
		.amdhsa_user_sgpr_flat_scratch_init 0
		.amdhsa_user_sgpr_private_segment_size 0
		.amdhsa_wavefront_size32 1
		.amdhsa_uses_dynamic_stack 0
		.amdhsa_system_sgpr_private_segment_wavefront_offset 0
		.amdhsa_system_sgpr_workgroup_id_x 1
		.amdhsa_system_sgpr_workgroup_id_y 0
		.amdhsa_system_sgpr_workgroup_id_z 0
		.amdhsa_system_sgpr_workgroup_info 0
		.amdhsa_system_vgpr_workitem_id 0
		.amdhsa_next_free_vgpr 1
		.amdhsa_next_free_sgpr 1
		.amdhsa_reserve_vcc 0
		.amdhsa_reserve_flat_scratch 0
		.amdhsa_float_round_mode_32 0
		.amdhsa_float_round_mode_16_64 0
		.amdhsa_float_denorm_mode_32 3
		.amdhsa_float_denorm_mode_16_64 3
		.amdhsa_dx10_clamp 1
		.amdhsa_ieee_mode 1
		.amdhsa_fp16_overflow 0
		.amdhsa_workgroup_processor_mode 1
		.amdhsa_memory_ordered 1
		.amdhsa_forward_progress 1
		.amdhsa_shared_vgpr_count 0
		.amdhsa_exception_fp_ieee_invalid_op 0
		.amdhsa_exception_fp_denorm_src 0
		.amdhsa_exception_fp_ieee_div_zero 0
		.amdhsa_exception_fp_ieee_overflow 0
		.amdhsa_exception_fp_ieee_underflow 0
		.amdhsa_exception_fp_ieee_inexact 0
		.amdhsa_exception_int_div_zero 0
	.end_amdhsa_kernel
	.section	.text._ZN7rocprim17ROCPRIM_400000_NS6detail17trampoline_kernelINS0_14default_configENS1_27scan_by_key_config_selectorIixEEZZNS1_16scan_by_key_implILNS1_25lookback_scan_determinismE0ELb0ES3_N6thrust23THRUST_200600_302600_NS6detail15normal_iteratorINS9_10device_ptrIiEEEENSB_INSC_IxEEEESG_xNS9_4plusIvEENS9_8equal_toIvEExEE10hipError_tPvRmT2_T3_T4_T5_mT6_T7_P12ihipStream_tbENKUlT_T0_E_clISt17integral_constantIbLb0EES11_EEDaSW_SX_EUlSW_E_NS1_11comp_targetILNS1_3genE4ELNS1_11target_archE910ELNS1_3gpuE8ELNS1_3repE0EEENS1_30default_config_static_selectorELNS0_4arch9wavefront6targetE0EEEvT1_,"axG",@progbits,_ZN7rocprim17ROCPRIM_400000_NS6detail17trampoline_kernelINS0_14default_configENS1_27scan_by_key_config_selectorIixEEZZNS1_16scan_by_key_implILNS1_25lookback_scan_determinismE0ELb0ES3_N6thrust23THRUST_200600_302600_NS6detail15normal_iteratorINS9_10device_ptrIiEEEENSB_INSC_IxEEEESG_xNS9_4plusIvEENS9_8equal_toIvEExEE10hipError_tPvRmT2_T3_T4_T5_mT6_T7_P12ihipStream_tbENKUlT_T0_E_clISt17integral_constantIbLb0EES11_EEDaSW_SX_EUlSW_E_NS1_11comp_targetILNS1_3genE4ELNS1_11target_archE910ELNS1_3gpuE8ELNS1_3repE0EEENS1_30default_config_static_selectorELNS0_4arch9wavefront6targetE0EEEvT1_,comdat
.Lfunc_end1314:
	.size	_ZN7rocprim17ROCPRIM_400000_NS6detail17trampoline_kernelINS0_14default_configENS1_27scan_by_key_config_selectorIixEEZZNS1_16scan_by_key_implILNS1_25lookback_scan_determinismE0ELb0ES3_N6thrust23THRUST_200600_302600_NS6detail15normal_iteratorINS9_10device_ptrIiEEEENSB_INSC_IxEEEESG_xNS9_4plusIvEENS9_8equal_toIvEExEE10hipError_tPvRmT2_T3_T4_T5_mT6_T7_P12ihipStream_tbENKUlT_T0_E_clISt17integral_constantIbLb0EES11_EEDaSW_SX_EUlSW_E_NS1_11comp_targetILNS1_3genE4ELNS1_11target_archE910ELNS1_3gpuE8ELNS1_3repE0EEENS1_30default_config_static_selectorELNS0_4arch9wavefront6targetE0EEEvT1_, .Lfunc_end1314-_ZN7rocprim17ROCPRIM_400000_NS6detail17trampoline_kernelINS0_14default_configENS1_27scan_by_key_config_selectorIixEEZZNS1_16scan_by_key_implILNS1_25lookback_scan_determinismE0ELb0ES3_N6thrust23THRUST_200600_302600_NS6detail15normal_iteratorINS9_10device_ptrIiEEEENSB_INSC_IxEEEESG_xNS9_4plusIvEENS9_8equal_toIvEExEE10hipError_tPvRmT2_T3_T4_T5_mT6_T7_P12ihipStream_tbENKUlT_T0_E_clISt17integral_constantIbLb0EES11_EEDaSW_SX_EUlSW_E_NS1_11comp_targetILNS1_3genE4ELNS1_11target_archE910ELNS1_3gpuE8ELNS1_3repE0EEENS1_30default_config_static_selectorELNS0_4arch9wavefront6targetE0EEEvT1_
                                        ; -- End function
	.set _ZN7rocprim17ROCPRIM_400000_NS6detail17trampoline_kernelINS0_14default_configENS1_27scan_by_key_config_selectorIixEEZZNS1_16scan_by_key_implILNS1_25lookback_scan_determinismE0ELb0ES3_N6thrust23THRUST_200600_302600_NS6detail15normal_iteratorINS9_10device_ptrIiEEEENSB_INSC_IxEEEESG_xNS9_4plusIvEENS9_8equal_toIvEExEE10hipError_tPvRmT2_T3_T4_T5_mT6_T7_P12ihipStream_tbENKUlT_T0_E_clISt17integral_constantIbLb0EES11_EEDaSW_SX_EUlSW_E_NS1_11comp_targetILNS1_3genE4ELNS1_11target_archE910ELNS1_3gpuE8ELNS1_3repE0EEENS1_30default_config_static_selectorELNS0_4arch9wavefront6targetE0EEEvT1_.num_vgpr, 0
	.set _ZN7rocprim17ROCPRIM_400000_NS6detail17trampoline_kernelINS0_14default_configENS1_27scan_by_key_config_selectorIixEEZZNS1_16scan_by_key_implILNS1_25lookback_scan_determinismE0ELb0ES3_N6thrust23THRUST_200600_302600_NS6detail15normal_iteratorINS9_10device_ptrIiEEEENSB_INSC_IxEEEESG_xNS9_4plusIvEENS9_8equal_toIvEExEE10hipError_tPvRmT2_T3_T4_T5_mT6_T7_P12ihipStream_tbENKUlT_T0_E_clISt17integral_constantIbLb0EES11_EEDaSW_SX_EUlSW_E_NS1_11comp_targetILNS1_3genE4ELNS1_11target_archE910ELNS1_3gpuE8ELNS1_3repE0EEENS1_30default_config_static_selectorELNS0_4arch9wavefront6targetE0EEEvT1_.num_agpr, 0
	.set _ZN7rocprim17ROCPRIM_400000_NS6detail17trampoline_kernelINS0_14default_configENS1_27scan_by_key_config_selectorIixEEZZNS1_16scan_by_key_implILNS1_25lookback_scan_determinismE0ELb0ES3_N6thrust23THRUST_200600_302600_NS6detail15normal_iteratorINS9_10device_ptrIiEEEENSB_INSC_IxEEEESG_xNS9_4plusIvEENS9_8equal_toIvEExEE10hipError_tPvRmT2_T3_T4_T5_mT6_T7_P12ihipStream_tbENKUlT_T0_E_clISt17integral_constantIbLb0EES11_EEDaSW_SX_EUlSW_E_NS1_11comp_targetILNS1_3genE4ELNS1_11target_archE910ELNS1_3gpuE8ELNS1_3repE0EEENS1_30default_config_static_selectorELNS0_4arch9wavefront6targetE0EEEvT1_.numbered_sgpr, 0
	.set _ZN7rocprim17ROCPRIM_400000_NS6detail17trampoline_kernelINS0_14default_configENS1_27scan_by_key_config_selectorIixEEZZNS1_16scan_by_key_implILNS1_25lookback_scan_determinismE0ELb0ES3_N6thrust23THRUST_200600_302600_NS6detail15normal_iteratorINS9_10device_ptrIiEEEENSB_INSC_IxEEEESG_xNS9_4plusIvEENS9_8equal_toIvEExEE10hipError_tPvRmT2_T3_T4_T5_mT6_T7_P12ihipStream_tbENKUlT_T0_E_clISt17integral_constantIbLb0EES11_EEDaSW_SX_EUlSW_E_NS1_11comp_targetILNS1_3genE4ELNS1_11target_archE910ELNS1_3gpuE8ELNS1_3repE0EEENS1_30default_config_static_selectorELNS0_4arch9wavefront6targetE0EEEvT1_.num_named_barrier, 0
	.set _ZN7rocprim17ROCPRIM_400000_NS6detail17trampoline_kernelINS0_14default_configENS1_27scan_by_key_config_selectorIixEEZZNS1_16scan_by_key_implILNS1_25lookback_scan_determinismE0ELb0ES3_N6thrust23THRUST_200600_302600_NS6detail15normal_iteratorINS9_10device_ptrIiEEEENSB_INSC_IxEEEESG_xNS9_4plusIvEENS9_8equal_toIvEExEE10hipError_tPvRmT2_T3_T4_T5_mT6_T7_P12ihipStream_tbENKUlT_T0_E_clISt17integral_constantIbLb0EES11_EEDaSW_SX_EUlSW_E_NS1_11comp_targetILNS1_3genE4ELNS1_11target_archE910ELNS1_3gpuE8ELNS1_3repE0EEENS1_30default_config_static_selectorELNS0_4arch9wavefront6targetE0EEEvT1_.private_seg_size, 0
	.set _ZN7rocprim17ROCPRIM_400000_NS6detail17trampoline_kernelINS0_14default_configENS1_27scan_by_key_config_selectorIixEEZZNS1_16scan_by_key_implILNS1_25lookback_scan_determinismE0ELb0ES3_N6thrust23THRUST_200600_302600_NS6detail15normal_iteratorINS9_10device_ptrIiEEEENSB_INSC_IxEEEESG_xNS9_4plusIvEENS9_8equal_toIvEExEE10hipError_tPvRmT2_T3_T4_T5_mT6_T7_P12ihipStream_tbENKUlT_T0_E_clISt17integral_constantIbLb0EES11_EEDaSW_SX_EUlSW_E_NS1_11comp_targetILNS1_3genE4ELNS1_11target_archE910ELNS1_3gpuE8ELNS1_3repE0EEENS1_30default_config_static_selectorELNS0_4arch9wavefront6targetE0EEEvT1_.uses_vcc, 0
	.set _ZN7rocprim17ROCPRIM_400000_NS6detail17trampoline_kernelINS0_14default_configENS1_27scan_by_key_config_selectorIixEEZZNS1_16scan_by_key_implILNS1_25lookback_scan_determinismE0ELb0ES3_N6thrust23THRUST_200600_302600_NS6detail15normal_iteratorINS9_10device_ptrIiEEEENSB_INSC_IxEEEESG_xNS9_4plusIvEENS9_8equal_toIvEExEE10hipError_tPvRmT2_T3_T4_T5_mT6_T7_P12ihipStream_tbENKUlT_T0_E_clISt17integral_constantIbLb0EES11_EEDaSW_SX_EUlSW_E_NS1_11comp_targetILNS1_3genE4ELNS1_11target_archE910ELNS1_3gpuE8ELNS1_3repE0EEENS1_30default_config_static_selectorELNS0_4arch9wavefront6targetE0EEEvT1_.uses_flat_scratch, 0
	.set _ZN7rocprim17ROCPRIM_400000_NS6detail17trampoline_kernelINS0_14default_configENS1_27scan_by_key_config_selectorIixEEZZNS1_16scan_by_key_implILNS1_25lookback_scan_determinismE0ELb0ES3_N6thrust23THRUST_200600_302600_NS6detail15normal_iteratorINS9_10device_ptrIiEEEENSB_INSC_IxEEEESG_xNS9_4plusIvEENS9_8equal_toIvEExEE10hipError_tPvRmT2_T3_T4_T5_mT6_T7_P12ihipStream_tbENKUlT_T0_E_clISt17integral_constantIbLb0EES11_EEDaSW_SX_EUlSW_E_NS1_11comp_targetILNS1_3genE4ELNS1_11target_archE910ELNS1_3gpuE8ELNS1_3repE0EEENS1_30default_config_static_selectorELNS0_4arch9wavefront6targetE0EEEvT1_.has_dyn_sized_stack, 0
	.set _ZN7rocprim17ROCPRIM_400000_NS6detail17trampoline_kernelINS0_14default_configENS1_27scan_by_key_config_selectorIixEEZZNS1_16scan_by_key_implILNS1_25lookback_scan_determinismE0ELb0ES3_N6thrust23THRUST_200600_302600_NS6detail15normal_iteratorINS9_10device_ptrIiEEEENSB_INSC_IxEEEESG_xNS9_4plusIvEENS9_8equal_toIvEExEE10hipError_tPvRmT2_T3_T4_T5_mT6_T7_P12ihipStream_tbENKUlT_T0_E_clISt17integral_constantIbLb0EES11_EEDaSW_SX_EUlSW_E_NS1_11comp_targetILNS1_3genE4ELNS1_11target_archE910ELNS1_3gpuE8ELNS1_3repE0EEENS1_30default_config_static_selectorELNS0_4arch9wavefront6targetE0EEEvT1_.has_recursion, 0
	.set _ZN7rocprim17ROCPRIM_400000_NS6detail17trampoline_kernelINS0_14default_configENS1_27scan_by_key_config_selectorIixEEZZNS1_16scan_by_key_implILNS1_25lookback_scan_determinismE0ELb0ES3_N6thrust23THRUST_200600_302600_NS6detail15normal_iteratorINS9_10device_ptrIiEEEENSB_INSC_IxEEEESG_xNS9_4plusIvEENS9_8equal_toIvEExEE10hipError_tPvRmT2_T3_T4_T5_mT6_T7_P12ihipStream_tbENKUlT_T0_E_clISt17integral_constantIbLb0EES11_EEDaSW_SX_EUlSW_E_NS1_11comp_targetILNS1_3genE4ELNS1_11target_archE910ELNS1_3gpuE8ELNS1_3repE0EEENS1_30default_config_static_selectorELNS0_4arch9wavefront6targetE0EEEvT1_.has_indirect_call, 0
	.section	.AMDGPU.csdata,"",@progbits
; Kernel info:
; codeLenInByte = 0
; TotalNumSgprs: 0
; NumVgprs: 0
; ScratchSize: 0
; MemoryBound: 0
; FloatMode: 240
; IeeeMode: 1
; LDSByteSize: 0 bytes/workgroup (compile time only)
; SGPRBlocks: 0
; VGPRBlocks: 0
; NumSGPRsForWavesPerEU: 1
; NumVGPRsForWavesPerEU: 1
; Occupancy: 16
; WaveLimiterHint : 0
; COMPUTE_PGM_RSRC2:SCRATCH_EN: 0
; COMPUTE_PGM_RSRC2:USER_SGPR: 6
; COMPUTE_PGM_RSRC2:TRAP_HANDLER: 0
; COMPUTE_PGM_RSRC2:TGID_X_EN: 1
; COMPUTE_PGM_RSRC2:TGID_Y_EN: 0
; COMPUTE_PGM_RSRC2:TGID_Z_EN: 0
; COMPUTE_PGM_RSRC2:TIDIG_COMP_CNT: 0
	.section	.text._ZN7rocprim17ROCPRIM_400000_NS6detail17trampoline_kernelINS0_14default_configENS1_27scan_by_key_config_selectorIixEEZZNS1_16scan_by_key_implILNS1_25lookback_scan_determinismE0ELb0ES3_N6thrust23THRUST_200600_302600_NS6detail15normal_iteratorINS9_10device_ptrIiEEEENSB_INSC_IxEEEESG_xNS9_4plusIvEENS9_8equal_toIvEExEE10hipError_tPvRmT2_T3_T4_T5_mT6_T7_P12ihipStream_tbENKUlT_T0_E_clISt17integral_constantIbLb0EES11_EEDaSW_SX_EUlSW_E_NS1_11comp_targetILNS1_3genE3ELNS1_11target_archE908ELNS1_3gpuE7ELNS1_3repE0EEENS1_30default_config_static_selectorELNS0_4arch9wavefront6targetE0EEEvT1_,"axG",@progbits,_ZN7rocprim17ROCPRIM_400000_NS6detail17trampoline_kernelINS0_14default_configENS1_27scan_by_key_config_selectorIixEEZZNS1_16scan_by_key_implILNS1_25lookback_scan_determinismE0ELb0ES3_N6thrust23THRUST_200600_302600_NS6detail15normal_iteratorINS9_10device_ptrIiEEEENSB_INSC_IxEEEESG_xNS9_4plusIvEENS9_8equal_toIvEExEE10hipError_tPvRmT2_T3_T4_T5_mT6_T7_P12ihipStream_tbENKUlT_T0_E_clISt17integral_constantIbLb0EES11_EEDaSW_SX_EUlSW_E_NS1_11comp_targetILNS1_3genE3ELNS1_11target_archE908ELNS1_3gpuE7ELNS1_3repE0EEENS1_30default_config_static_selectorELNS0_4arch9wavefront6targetE0EEEvT1_,comdat
	.protected	_ZN7rocprim17ROCPRIM_400000_NS6detail17trampoline_kernelINS0_14default_configENS1_27scan_by_key_config_selectorIixEEZZNS1_16scan_by_key_implILNS1_25lookback_scan_determinismE0ELb0ES3_N6thrust23THRUST_200600_302600_NS6detail15normal_iteratorINS9_10device_ptrIiEEEENSB_INSC_IxEEEESG_xNS9_4plusIvEENS9_8equal_toIvEExEE10hipError_tPvRmT2_T3_T4_T5_mT6_T7_P12ihipStream_tbENKUlT_T0_E_clISt17integral_constantIbLb0EES11_EEDaSW_SX_EUlSW_E_NS1_11comp_targetILNS1_3genE3ELNS1_11target_archE908ELNS1_3gpuE7ELNS1_3repE0EEENS1_30default_config_static_selectorELNS0_4arch9wavefront6targetE0EEEvT1_ ; -- Begin function _ZN7rocprim17ROCPRIM_400000_NS6detail17trampoline_kernelINS0_14default_configENS1_27scan_by_key_config_selectorIixEEZZNS1_16scan_by_key_implILNS1_25lookback_scan_determinismE0ELb0ES3_N6thrust23THRUST_200600_302600_NS6detail15normal_iteratorINS9_10device_ptrIiEEEENSB_INSC_IxEEEESG_xNS9_4plusIvEENS9_8equal_toIvEExEE10hipError_tPvRmT2_T3_T4_T5_mT6_T7_P12ihipStream_tbENKUlT_T0_E_clISt17integral_constantIbLb0EES11_EEDaSW_SX_EUlSW_E_NS1_11comp_targetILNS1_3genE3ELNS1_11target_archE908ELNS1_3gpuE7ELNS1_3repE0EEENS1_30default_config_static_selectorELNS0_4arch9wavefront6targetE0EEEvT1_
	.globl	_ZN7rocprim17ROCPRIM_400000_NS6detail17trampoline_kernelINS0_14default_configENS1_27scan_by_key_config_selectorIixEEZZNS1_16scan_by_key_implILNS1_25lookback_scan_determinismE0ELb0ES3_N6thrust23THRUST_200600_302600_NS6detail15normal_iteratorINS9_10device_ptrIiEEEENSB_INSC_IxEEEESG_xNS9_4plusIvEENS9_8equal_toIvEExEE10hipError_tPvRmT2_T3_T4_T5_mT6_T7_P12ihipStream_tbENKUlT_T0_E_clISt17integral_constantIbLb0EES11_EEDaSW_SX_EUlSW_E_NS1_11comp_targetILNS1_3genE3ELNS1_11target_archE908ELNS1_3gpuE7ELNS1_3repE0EEENS1_30default_config_static_selectorELNS0_4arch9wavefront6targetE0EEEvT1_
	.p2align	8
	.type	_ZN7rocprim17ROCPRIM_400000_NS6detail17trampoline_kernelINS0_14default_configENS1_27scan_by_key_config_selectorIixEEZZNS1_16scan_by_key_implILNS1_25lookback_scan_determinismE0ELb0ES3_N6thrust23THRUST_200600_302600_NS6detail15normal_iteratorINS9_10device_ptrIiEEEENSB_INSC_IxEEEESG_xNS9_4plusIvEENS9_8equal_toIvEExEE10hipError_tPvRmT2_T3_T4_T5_mT6_T7_P12ihipStream_tbENKUlT_T0_E_clISt17integral_constantIbLb0EES11_EEDaSW_SX_EUlSW_E_NS1_11comp_targetILNS1_3genE3ELNS1_11target_archE908ELNS1_3gpuE7ELNS1_3repE0EEENS1_30default_config_static_selectorELNS0_4arch9wavefront6targetE0EEEvT1_,@function
_ZN7rocprim17ROCPRIM_400000_NS6detail17trampoline_kernelINS0_14default_configENS1_27scan_by_key_config_selectorIixEEZZNS1_16scan_by_key_implILNS1_25lookback_scan_determinismE0ELb0ES3_N6thrust23THRUST_200600_302600_NS6detail15normal_iteratorINS9_10device_ptrIiEEEENSB_INSC_IxEEEESG_xNS9_4plusIvEENS9_8equal_toIvEExEE10hipError_tPvRmT2_T3_T4_T5_mT6_T7_P12ihipStream_tbENKUlT_T0_E_clISt17integral_constantIbLb0EES11_EEDaSW_SX_EUlSW_E_NS1_11comp_targetILNS1_3genE3ELNS1_11target_archE908ELNS1_3gpuE7ELNS1_3repE0EEENS1_30default_config_static_selectorELNS0_4arch9wavefront6targetE0EEEvT1_: ; @_ZN7rocprim17ROCPRIM_400000_NS6detail17trampoline_kernelINS0_14default_configENS1_27scan_by_key_config_selectorIixEEZZNS1_16scan_by_key_implILNS1_25lookback_scan_determinismE0ELb0ES3_N6thrust23THRUST_200600_302600_NS6detail15normal_iteratorINS9_10device_ptrIiEEEENSB_INSC_IxEEEESG_xNS9_4plusIvEENS9_8equal_toIvEExEE10hipError_tPvRmT2_T3_T4_T5_mT6_T7_P12ihipStream_tbENKUlT_T0_E_clISt17integral_constantIbLb0EES11_EEDaSW_SX_EUlSW_E_NS1_11comp_targetILNS1_3genE3ELNS1_11target_archE908ELNS1_3gpuE7ELNS1_3repE0EEENS1_30default_config_static_selectorELNS0_4arch9wavefront6targetE0EEEvT1_
; %bb.0:
	.section	.rodata,"a",@progbits
	.p2align	6, 0x0
	.amdhsa_kernel _ZN7rocprim17ROCPRIM_400000_NS6detail17trampoline_kernelINS0_14default_configENS1_27scan_by_key_config_selectorIixEEZZNS1_16scan_by_key_implILNS1_25lookback_scan_determinismE0ELb0ES3_N6thrust23THRUST_200600_302600_NS6detail15normal_iteratorINS9_10device_ptrIiEEEENSB_INSC_IxEEEESG_xNS9_4plusIvEENS9_8equal_toIvEExEE10hipError_tPvRmT2_T3_T4_T5_mT6_T7_P12ihipStream_tbENKUlT_T0_E_clISt17integral_constantIbLb0EES11_EEDaSW_SX_EUlSW_E_NS1_11comp_targetILNS1_3genE3ELNS1_11target_archE908ELNS1_3gpuE7ELNS1_3repE0EEENS1_30default_config_static_selectorELNS0_4arch9wavefront6targetE0EEEvT1_
		.amdhsa_group_segment_fixed_size 0
		.amdhsa_private_segment_fixed_size 0
		.amdhsa_kernarg_size 136
		.amdhsa_user_sgpr_count 6
		.amdhsa_user_sgpr_private_segment_buffer 1
		.amdhsa_user_sgpr_dispatch_ptr 0
		.amdhsa_user_sgpr_queue_ptr 0
		.amdhsa_user_sgpr_kernarg_segment_ptr 1
		.amdhsa_user_sgpr_dispatch_id 0
		.amdhsa_user_sgpr_flat_scratch_init 0
		.amdhsa_user_sgpr_private_segment_size 0
		.amdhsa_wavefront_size32 1
		.amdhsa_uses_dynamic_stack 0
		.amdhsa_system_sgpr_private_segment_wavefront_offset 0
		.amdhsa_system_sgpr_workgroup_id_x 1
		.amdhsa_system_sgpr_workgroup_id_y 0
		.amdhsa_system_sgpr_workgroup_id_z 0
		.amdhsa_system_sgpr_workgroup_info 0
		.amdhsa_system_vgpr_workitem_id 0
		.amdhsa_next_free_vgpr 1
		.amdhsa_next_free_sgpr 1
		.amdhsa_reserve_vcc 0
		.amdhsa_reserve_flat_scratch 0
		.amdhsa_float_round_mode_32 0
		.amdhsa_float_round_mode_16_64 0
		.amdhsa_float_denorm_mode_32 3
		.amdhsa_float_denorm_mode_16_64 3
		.amdhsa_dx10_clamp 1
		.amdhsa_ieee_mode 1
		.amdhsa_fp16_overflow 0
		.amdhsa_workgroup_processor_mode 1
		.amdhsa_memory_ordered 1
		.amdhsa_forward_progress 1
		.amdhsa_shared_vgpr_count 0
		.amdhsa_exception_fp_ieee_invalid_op 0
		.amdhsa_exception_fp_denorm_src 0
		.amdhsa_exception_fp_ieee_div_zero 0
		.amdhsa_exception_fp_ieee_overflow 0
		.amdhsa_exception_fp_ieee_underflow 0
		.amdhsa_exception_fp_ieee_inexact 0
		.amdhsa_exception_int_div_zero 0
	.end_amdhsa_kernel
	.section	.text._ZN7rocprim17ROCPRIM_400000_NS6detail17trampoline_kernelINS0_14default_configENS1_27scan_by_key_config_selectorIixEEZZNS1_16scan_by_key_implILNS1_25lookback_scan_determinismE0ELb0ES3_N6thrust23THRUST_200600_302600_NS6detail15normal_iteratorINS9_10device_ptrIiEEEENSB_INSC_IxEEEESG_xNS9_4plusIvEENS9_8equal_toIvEExEE10hipError_tPvRmT2_T3_T4_T5_mT6_T7_P12ihipStream_tbENKUlT_T0_E_clISt17integral_constantIbLb0EES11_EEDaSW_SX_EUlSW_E_NS1_11comp_targetILNS1_3genE3ELNS1_11target_archE908ELNS1_3gpuE7ELNS1_3repE0EEENS1_30default_config_static_selectorELNS0_4arch9wavefront6targetE0EEEvT1_,"axG",@progbits,_ZN7rocprim17ROCPRIM_400000_NS6detail17trampoline_kernelINS0_14default_configENS1_27scan_by_key_config_selectorIixEEZZNS1_16scan_by_key_implILNS1_25lookback_scan_determinismE0ELb0ES3_N6thrust23THRUST_200600_302600_NS6detail15normal_iteratorINS9_10device_ptrIiEEEENSB_INSC_IxEEEESG_xNS9_4plusIvEENS9_8equal_toIvEExEE10hipError_tPvRmT2_T3_T4_T5_mT6_T7_P12ihipStream_tbENKUlT_T0_E_clISt17integral_constantIbLb0EES11_EEDaSW_SX_EUlSW_E_NS1_11comp_targetILNS1_3genE3ELNS1_11target_archE908ELNS1_3gpuE7ELNS1_3repE0EEENS1_30default_config_static_selectorELNS0_4arch9wavefront6targetE0EEEvT1_,comdat
.Lfunc_end1315:
	.size	_ZN7rocprim17ROCPRIM_400000_NS6detail17trampoline_kernelINS0_14default_configENS1_27scan_by_key_config_selectorIixEEZZNS1_16scan_by_key_implILNS1_25lookback_scan_determinismE0ELb0ES3_N6thrust23THRUST_200600_302600_NS6detail15normal_iteratorINS9_10device_ptrIiEEEENSB_INSC_IxEEEESG_xNS9_4plusIvEENS9_8equal_toIvEExEE10hipError_tPvRmT2_T3_T4_T5_mT6_T7_P12ihipStream_tbENKUlT_T0_E_clISt17integral_constantIbLb0EES11_EEDaSW_SX_EUlSW_E_NS1_11comp_targetILNS1_3genE3ELNS1_11target_archE908ELNS1_3gpuE7ELNS1_3repE0EEENS1_30default_config_static_selectorELNS0_4arch9wavefront6targetE0EEEvT1_, .Lfunc_end1315-_ZN7rocprim17ROCPRIM_400000_NS6detail17trampoline_kernelINS0_14default_configENS1_27scan_by_key_config_selectorIixEEZZNS1_16scan_by_key_implILNS1_25lookback_scan_determinismE0ELb0ES3_N6thrust23THRUST_200600_302600_NS6detail15normal_iteratorINS9_10device_ptrIiEEEENSB_INSC_IxEEEESG_xNS9_4plusIvEENS9_8equal_toIvEExEE10hipError_tPvRmT2_T3_T4_T5_mT6_T7_P12ihipStream_tbENKUlT_T0_E_clISt17integral_constantIbLb0EES11_EEDaSW_SX_EUlSW_E_NS1_11comp_targetILNS1_3genE3ELNS1_11target_archE908ELNS1_3gpuE7ELNS1_3repE0EEENS1_30default_config_static_selectorELNS0_4arch9wavefront6targetE0EEEvT1_
                                        ; -- End function
	.set _ZN7rocprim17ROCPRIM_400000_NS6detail17trampoline_kernelINS0_14default_configENS1_27scan_by_key_config_selectorIixEEZZNS1_16scan_by_key_implILNS1_25lookback_scan_determinismE0ELb0ES3_N6thrust23THRUST_200600_302600_NS6detail15normal_iteratorINS9_10device_ptrIiEEEENSB_INSC_IxEEEESG_xNS9_4plusIvEENS9_8equal_toIvEExEE10hipError_tPvRmT2_T3_T4_T5_mT6_T7_P12ihipStream_tbENKUlT_T0_E_clISt17integral_constantIbLb0EES11_EEDaSW_SX_EUlSW_E_NS1_11comp_targetILNS1_3genE3ELNS1_11target_archE908ELNS1_3gpuE7ELNS1_3repE0EEENS1_30default_config_static_selectorELNS0_4arch9wavefront6targetE0EEEvT1_.num_vgpr, 0
	.set _ZN7rocprim17ROCPRIM_400000_NS6detail17trampoline_kernelINS0_14default_configENS1_27scan_by_key_config_selectorIixEEZZNS1_16scan_by_key_implILNS1_25lookback_scan_determinismE0ELb0ES3_N6thrust23THRUST_200600_302600_NS6detail15normal_iteratorINS9_10device_ptrIiEEEENSB_INSC_IxEEEESG_xNS9_4plusIvEENS9_8equal_toIvEExEE10hipError_tPvRmT2_T3_T4_T5_mT6_T7_P12ihipStream_tbENKUlT_T0_E_clISt17integral_constantIbLb0EES11_EEDaSW_SX_EUlSW_E_NS1_11comp_targetILNS1_3genE3ELNS1_11target_archE908ELNS1_3gpuE7ELNS1_3repE0EEENS1_30default_config_static_selectorELNS0_4arch9wavefront6targetE0EEEvT1_.num_agpr, 0
	.set _ZN7rocprim17ROCPRIM_400000_NS6detail17trampoline_kernelINS0_14default_configENS1_27scan_by_key_config_selectorIixEEZZNS1_16scan_by_key_implILNS1_25lookback_scan_determinismE0ELb0ES3_N6thrust23THRUST_200600_302600_NS6detail15normal_iteratorINS9_10device_ptrIiEEEENSB_INSC_IxEEEESG_xNS9_4plusIvEENS9_8equal_toIvEExEE10hipError_tPvRmT2_T3_T4_T5_mT6_T7_P12ihipStream_tbENKUlT_T0_E_clISt17integral_constantIbLb0EES11_EEDaSW_SX_EUlSW_E_NS1_11comp_targetILNS1_3genE3ELNS1_11target_archE908ELNS1_3gpuE7ELNS1_3repE0EEENS1_30default_config_static_selectorELNS0_4arch9wavefront6targetE0EEEvT1_.numbered_sgpr, 0
	.set _ZN7rocprim17ROCPRIM_400000_NS6detail17trampoline_kernelINS0_14default_configENS1_27scan_by_key_config_selectorIixEEZZNS1_16scan_by_key_implILNS1_25lookback_scan_determinismE0ELb0ES3_N6thrust23THRUST_200600_302600_NS6detail15normal_iteratorINS9_10device_ptrIiEEEENSB_INSC_IxEEEESG_xNS9_4plusIvEENS9_8equal_toIvEExEE10hipError_tPvRmT2_T3_T4_T5_mT6_T7_P12ihipStream_tbENKUlT_T0_E_clISt17integral_constantIbLb0EES11_EEDaSW_SX_EUlSW_E_NS1_11comp_targetILNS1_3genE3ELNS1_11target_archE908ELNS1_3gpuE7ELNS1_3repE0EEENS1_30default_config_static_selectorELNS0_4arch9wavefront6targetE0EEEvT1_.num_named_barrier, 0
	.set _ZN7rocprim17ROCPRIM_400000_NS6detail17trampoline_kernelINS0_14default_configENS1_27scan_by_key_config_selectorIixEEZZNS1_16scan_by_key_implILNS1_25lookback_scan_determinismE0ELb0ES3_N6thrust23THRUST_200600_302600_NS6detail15normal_iteratorINS9_10device_ptrIiEEEENSB_INSC_IxEEEESG_xNS9_4plusIvEENS9_8equal_toIvEExEE10hipError_tPvRmT2_T3_T4_T5_mT6_T7_P12ihipStream_tbENKUlT_T0_E_clISt17integral_constantIbLb0EES11_EEDaSW_SX_EUlSW_E_NS1_11comp_targetILNS1_3genE3ELNS1_11target_archE908ELNS1_3gpuE7ELNS1_3repE0EEENS1_30default_config_static_selectorELNS0_4arch9wavefront6targetE0EEEvT1_.private_seg_size, 0
	.set _ZN7rocprim17ROCPRIM_400000_NS6detail17trampoline_kernelINS0_14default_configENS1_27scan_by_key_config_selectorIixEEZZNS1_16scan_by_key_implILNS1_25lookback_scan_determinismE0ELb0ES3_N6thrust23THRUST_200600_302600_NS6detail15normal_iteratorINS9_10device_ptrIiEEEENSB_INSC_IxEEEESG_xNS9_4plusIvEENS9_8equal_toIvEExEE10hipError_tPvRmT2_T3_T4_T5_mT6_T7_P12ihipStream_tbENKUlT_T0_E_clISt17integral_constantIbLb0EES11_EEDaSW_SX_EUlSW_E_NS1_11comp_targetILNS1_3genE3ELNS1_11target_archE908ELNS1_3gpuE7ELNS1_3repE0EEENS1_30default_config_static_selectorELNS0_4arch9wavefront6targetE0EEEvT1_.uses_vcc, 0
	.set _ZN7rocprim17ROCPRIM_400000_NS6detail17trampoline_kernelINS0_14default_configENS1_27scan_by_key_config_selectorIixEEZZNS1_16scan_by_key_implILNS1_25lookback_scan_determinismE0ELb0ES3_N6thrust23THRUST_200600_302600_NS6detail15normal_iteratorINS9_10device_ptrIiEEEENSB_INSC_IxEEEESG_xNS9_4plusIvEENS9_8equal_toIvEExEE10hipError_tPvRmT2_T3_T4_T5_mT6_T7_P12ihipStream_tbENKUlT_T0_E_clISt17integral_constantIbLb0EES11_EEDaSW_SX_EUlSW_E_NS1_11comp_targetILNS1_3genE3ELNS1_11target_archE908ELNS1_3gpuE7ELNS1_3repE0EEENS1_30default_config_static_selectorELNS0_4arch9wavefront6targetE0EEEvT1_.uses_flat_scratch, 0
	.set _ZN7rocprim17ROCPRIM_400000_NS6detail17trampoline_kernelINS0_14default_configENS1_27scan_by_key_config_selectorIixEEZZNS1_16scan_by_key_implILNS1_25lookback_scan_determinismE0ELb0ES3_N6thrust23THRUST_200600_302600_NS6detail15normal_iteratorINS9_10device_ptrIiEEEENSB_INSC_IxEEEESG_xNS9_4plusIvEENS9_8equal_toIvEExEE10hipError_tPvRmT2_T3_T4_T5_mT6_T7_P12ihipStream_tbENKUlT_T0_E_clISt17integral_constantIbLb0EES11_EEDaSW_SX_EUlSW_E_NS1_11comp_targetILNS1_3genE3ELNS1_11target_archE908ELNS1_3gpuE7ELNS1_3repE0EEENS1_30default_config_static_selectorELNS0_4arch9wavefront6targetE0EEEvT1_.has_dyn_sized_stack, 0
	.set _ZN7rocprim17ROCPRIM_400000_NS6detail17trampoline_kernelINS0_14default_configENS1_27scan_by_key_config_selectorIixEEZZNS1_16scan_by_key_implILNS1_25lookback_scan_determinismE0ELb0ES3_N6thrust23THRUST_200600_302600_NS6detail15normal_iteratorINS9_10device_ptrIiEEEENSB_INSC_IxEEEESG_xNS9_4plusIvEENS9_8equal_toIvEExEE10hipError_tPvRmT2_T3_T4_T5_mT6_T7_P12ihipStream_tbENKUlT_T0_E_clISt17integral_constantIbLb0EES11_EEDaSW_SX_EUlSW_E_NS1_11comp_targetILNS1_3genE3ELNS1_11target_archE908ELNS1_3gpuE7ELNS1_3repE0EEENS1_30default_config_static_selectorELNS0_4arch9wavefront6targetE0EEEvT1_.has_recursion, 0
	.set _ZN7rocprim17ROCPRIM_400000_NS6detail17trampoline_kernelINS0_14default_configENS1_27scan_by_key_config_selectorIixEEZZNS1_16scan_by_key_implILNS1_25lookback_scan_determinismE0ELb0ES3_N6thrust23THRUST_200600_302600_NS6detail15normal_iteratorINS9_10device_ptrIiEEEENSB_INSC_IxEEEESG_xNS9_4plusIvEENS9_8equal_toIvEExEE10hipError_tPvRmT2_T3_T4_T5_mT6_T7_P12ihipStream_tbENKUlT_T0_E_clISt17integral_constantIbLb0EES11_EEDaSW_SX_EUlSW_E_NS1_11comp_targetILNS1_3genE3ELNS1_11target_archE908ELNS1_3gpuE7ELNS1_3repE0EEENS1_30default_config_static_selectorELNS0_4arch9wavefront6targetE0EEEvT1_.has_indirect_call, 0
	.section	.AMDGPU.csdata,"",@progbits
; Kernel info:
; codeLenInByte = 0
; TotalNumSgprs: 0
; NumVgprs: 0
; ScratchSize: 0
; MemoryBound: 0
; FloatMode: 240
; IeeeMode: 1
; LDSByteSize: 0 bytes/workgroup (compile time only)
; SGPRBlocks: 0
; VGPRBlocks: 0
; NumSGPRsForWavesPerEU: 1
; NumVGPRsForWavesPerEU: 1
; Occupancy: 16
; WaveLimiterHint : 0
; COMPUTE_PGM_RSRC2:SCRATCH_EN: 0
; COMPUTE_PGM_RSRC2:USER_SGPR: 6
; COMPUTE_PGM_RSRC2:TRAP_HANDLER: 0
; COMPUTE_PGM_RSRC2:TGID_X_EN: 1
; COMPUTE_PGM_RSRC2:TGID_Y_EN: 0
; COMPUTE_PGM_RSRC2:TGID_Z_EN: 0
; COMPUTE_PGM_RSRC2:TIDIG_COMP_CNT: 0
	.section	.text._ZN7rocprim17ROCPRIM_400000_NS6detail17trampoline_kernelINS0_14default_configENS1_27scan_by_key_config_selectorIixEEZZNS1_16scan_by_key_implILNS1_25lookback_scan_determinismE0ELb0ES3_N6thrust23THRUST_200600_302600_NS6detail15normal_iteratorINS9_10device_ptrIiEEEENSB_INSC_IxEEEESG_xNS9_4plusIvEENS9_8equal_toIvEExEE10hipError_tPvRmT2_T3_T4_T5_mT6_T7_P12ihipStream_tbENKUlT_T0_E_clISt17integral_constantIbLb0EES11_EEDaSW_SX_EUlSW_E_NS1_11comp_targetILNS1_3genE2ELNS1_11target_archE906ELNS1_3gpuE6ELNS1_3repE0EEENS1_30default_config_static_selectorELNS0_4arch9wavefront6targetE0EEEvT1_,"axG",@progbits,_ZN7rocprim17ROCPRIM_400000_NS6detail17trampoline_kernelINS0_14default_configENS1_27scan_by_key_config_selectorIixEEZZNS1_16scan_by_key_implILNS1_25lookback_scan_determinismE0ELb0ES3_N6thrust23THRUST_200600_302600_NS6detail15normal_iteratorINS9_10device_ptrIiEEEENSB_INSC_IxEEEESG_xNS9_4plusIvEENS9_8equal_toIvEExEE10hipError_tPvRmT2_T3_T4_T5_mT6_T7_P12ihipStream_tbENKUlT_T0_E_clISt17integral_constantIbLb0EES11_EEDaSW_SX_EUlSW_E_NS1_11comp_targetILNS1_3genE2ELNS1_11target_archE906ELNS1_3gpuE6ELNS1_3repE0EEENS1_30default_config_static_selectorELNS0_4arch9wavefront6targetE0EEEvT1_,comdat
	.protected	_ZN7rocprim17ROCPRIM_400000_NS6detail17trampoline_kernelINS0_14default_configENS1_27scan_by_key_config_selectorIixEEZZNS1_16scan_by_key_implILNS1_25lookback_scan_determinismE0ELb0ES3_N6thrust23THRUST_200600_302600_NS6detail15normal_iteratorINS9_10device_ptrIiEEEENSB_INSC_IxEEEESG_xNS9_4plusIvEENS9_8equal_toIvEExEE10hipError_tPvRmT2_T3_T4_T5_mT6_T7_P12ihipStream_tbENKUlT_T0_E_clISt17integral_constantIbLb0EES11_EEDaSW_SX_EUlSW_E_NS1_11comp_targetILNS1_3genE2ELNS1_11target_archE906ELNS1_3gpuE6ELNS1_3repE0EEENS1_30default_config_static_selectorELNS0_4arch9wavefront6targetE0EEEvT1_ ; -- Begin function _ZN7rocprim17ROCPRIM_400000_NS6detail17trampoline_kernelINS0_14default_configENS1_27scan_by_key_config_selectorIixEEZZNS1_16scan_by_key_implILNS1_25lookback_scan_determinismE0ELb0ES3_N6thrust23THRUST_200600_302600_NS6detail15normal_iteratorINS9_10device_ptrIiEEEENSB_INSC_IxEEEESG_xNS9_4plusIvEENS9_8equal_toIvEExEE10hipError_tPvRmT2_T3_T4_T5_mT6_T7_P12ihipStream_tbENKUlT_T0_E_clISt17integral_constantIbLb0EES11_EEDaSW_SX_EUlSW_E_NS1_11comp_targetILNS1_3genE2ELNS1_11target_archE906ELNS1_3gpuE6ELNS1_3repE0EEENS1_30default_config_static_selectorELNS0_4arch9wavefront6targetE0EEEvT1_
	.globl	_ZN7rocprim17ROCPRIM_400000_NS6detail17trampoline_kernelINS0_14default_configENS1_27scan_by_key_config_selectorIixEEZZNS1_16scan_by_key_implILNS1_25lookback_scan_determinismE0ELb0ES3_N6thrust23THRUST_200600_302600_NS6detail15normal_iteratorINS9_10device_ptrIiEEEENSB_INSC_IxEEEESG_xNS9_4plusIvEENS9_8equal_toIvEExEE10hipError_tPvRmT2_T3_T4_T5_mT6_T7_P12ihipStream_tbENKUlT_T0_E_clISt17integral_constantIbLb0EES11_EEDaSW_SX_EUlSW_E_NS1_11comp_targetILNS1_3genE2ELNS1_11target_archE906ELNS1_3gpuE6ELNS1_3repE0EEENS1_30default_config_static_selectorELNS0_4arch9wavefront6targetE0EEEvT1_
	.p2align	8
	.type	_ZN7rocprim17ROCPRIM_400000_NS6detail17trampoline_kernelINS0_14default_configENS1_27scan_by_key_config_selectorIixEEZZNS1_16scan_by_key_implILNS1_25lookback_scan_determinismE0ELb0ES3_N6thrust23THRUST_200600_302600_NS6detail15normal_iteratorINS9_10device_ptrIiEEEENSB_INSC_IxEEEESG_xNS9_4plusIvEENS9_8equal_toIvEExEE10hipError_tPvRmT2_T3_T4_T5_mT6_T7_P12ihipStream_tbENKUlT_T0_E_clISt17integral_constantIbLb0EES11_EEDaSW_SX_EUlSW_E_NS1_11comp_targetILNS1_3genE2ELNS1_11target_archE906ELNS1_3gpuE6ELNS1_3repE0EEENS1_30default_config_static_selectorELNS0_4arch9wavefront6targetE0EEEvT1_,@function
_ZN7rocprim17ROCPRIM_400000_NS6detail17trampoline_kernelINS0_14default_configENS1_27scan_by_key_config_selectorIixEEZZNS1_16scan_by_key_implILNS1_25lookback_scan_determinismE0ELb0ES3_N6thrust23THRUST_200600_302600_NS6detail15normal_iteratorINS9_10device_ptrIiEEEENSB_INSC_IxEEEESG_xNS9_4plusIvEENS9_8equal_toIvEExEE10hipError_tPvRmT2_T3_T4_T5_mT6_T7_P12ihipStream_tbENKUlT_T0_E_clISt17integral_constantIbLb0EES11_EEDaSW_SX_EUlSW_E_NS1_11comp_targetILNS1_3genE2ELNS1_11target_archE906ELNS1_3gpuE6ELNS1_3repE0EEENS1_30default_config_static_selectorELNS0_4arch9wavefront6targetE0EEEvT1_: ; @_ZN7rocprim17ROCPRIM_400000_NS6detail17trampoline_kernelINS0_14default_configENS1_27scan_by_key_config_selectorIixEEZZNS1_16scan_by_key_implILNS1_25lookback_scan_determinismE0ELb0ES3_N6thrust23THRUST_200600_302600_NS6detail15normal_iteratorINS9_10device_ptrIiEEEENSB_INSC_IxEEEESG_xNS9_4plusIvEENS9_8equal_toIvEExEE10hipError_tPvRmT2_T3_T4_T5_mT6_T7_P12ihipStream_tbENKUlT_T0_E_clISt17integral_constantIbLb0EES11_EEDaSW_SX_EUlSW_E_NS1_11comp_targetILNS1_3genE2ELNS1_11target_archE906ELNS1_3gpuE6ELNS1_3repE0EEENS1_30default_config_static_selectorELNS0_4arch9wavefront6targetE0EEEvT1_
; %bb.0:
	.section	.rodata,"a",@progbits
	.p2align	6, 0x0
	.amdhsa_kernel _ZN7rocprim17ROCPRIM_400000_NS6detail17trampoline_kernelINS0_14default_configENS1_27scan_by_key_config_selectorIixEEZZNS1_16scan_by_key_implILNS1_25lookback_scan_determinismE0ELb0ES3_N6thrust23THRUST_200600_302600_NS6detail15normal_iteratorINS9_10device_ptrIiEEEENSB_INSC_IxEEEESG_xNS9_4plusIvEENS9_8equal_toIvEExEE10hipError_tPvRmT2_T3_T4_T5_mT6_T7_P12ihipStream_tbENKUlT_T0_E_clISt17integral_constantIbLb0EES11_EEDaSW_SX_EUlSW_E_NS1_11comp_targetILNS1_3genE2ELNS1_11target_archE906ELNS1_3gpuE6ELNS1_3repE0EEENS1_30default_config_static_selectorELNS0_4arch9wavefront6targetE0EEEvT1_
		.amdhsa_group_segment_fixed_size 0
		.amdhsa_private_segment_fixed_size 0
		.amdhsa_kernarg_size 136
		.amdhsa_user_sgpr_count 6
		.amdhsa_user_sgpr_private_segment_buffer 1
		.amdhsa_user_sgpr_dispatch_ptr 0
		.amdhsa_user_sgpr_queue_ptr 0
		.amdhsa_user_sgpr_kernarg_segment_ptr 1
		.amdhsa_user_sgpr_dispatch_id 0
		.amdhsa_user_sgpr_flat_scratch_init 0
		.amdhsa_user_sgpr_private_segment_size 0
		.amdhsa_wavefront_size32 1
		.amdhsa_uses_dynamic_stack 0
		.amdhsa_system_sgpr_private_segment_wavefront_offset 0
		.amdhsa_system_sgpr_workgroup_id_x 1
		.amdhsa_system_sgpr_workgroup_id_y 0
		.amdhsa_system_sgpr_workgroup_id_z 0
		.amdhsa_system_sgpr_workgroup_info 0
		.amdhsa_system_vgpr_workitem_id 0
		.amdhsa_next_free_vgpr 1
		.amdhsa_next_free_sgpr 1
		.amdhsa_reserve_vcc 0
		.amdhsa_reserve_flat_scratch 0
		.amdhsa_float_round_mode_32 0
		.amdhsa_float_round_mode_16_64 0
		.amdhsa_float_denorm_mode_32 3
		.amdhsa_float_denorm_mode_16_64 3
		.amdhsa_dx10_clamp 1
		.amdhsa_ieee_mode 1
		.amdhsa_fp16_overflow 0
		.amdhsa_workgroup_processor_mode 1
		.amdhsa_memory_ordered 1
		.amdhsa_forward_progress 1
		.amdhsa_shared_vgpr_count 0
		.amdhsa_exception_fp_ieee_invalid_op 0
		.amdhsa_exception_fp_denorm_src 0
		.amdhsa_exception_fp_ieee_div_zero 0
		.amdhsa_exception_fp_ieee_overflow 0
		.amdhsa_exception_fp_ieee_underflow 0
		.amdhsa_exception_fp_ieee_inexact 0
		.amdhsa_exception_int_div_zero 0
	.end_amdhsa_kernel
	.section	.text._ZN7rocprim17ROCPRIM_400000_NS6detail17trampoline_kernelINS0_14default_configENS1_27scan_by_key_config_selectorIixEEZZNS1_16scan_by_key_implILNS1_25lookback_scan_determinismE0ELb0ES3_N6thrust23THRUST_200600_302600_NS6detail15normal_iteratorINS9_10device_ptrIiEEEENSB_INSC_IxEEEESG_xNS9_4plusIvEENS9_8equal_toIvEExEE10hipError_tPvRmT2_T3_T4_T5_mT6_T7_P12ihipStream_tbENKUlT_T0_E_clISt17integral_constantIbLb0EES11_EEDaSW_SX_EUlSW_E_NS1_11comp_targetILNS1_3genE2ELNS1_11target_archE906ELNS1_3gpuE6ELNS1_3repE0EEENS1_30default_config_static_selectorELNS0_4arch9wavefront6targetE0EEEvT1_,"axG",@progbits,_ZN7rocprim17ROCPRIM_400000_NS6detail17trampoline_kernelINS0_14default_configENS1_27scan_by_key_config_selectorIixEEZZNS1_16scan_by_key_implILNS1_25lookback_scan_determinismE0ELb0ES3_N6thrust23THRUST_200600_302600_NS6detail15normal_iteratorINS9_10device_ptrIiEEEENSB_INSC_IxEEEESG_xNS9_4plusIvEENS9_8equal_toIvEExEE10hipError_tPvRmT2_T3_T4_T5_mT6_T7_P12ihipStream_tbENKUlT_T0_E_clISt17integral_constantIbLb0EES11_EEDaSW_SX_EUlSW_E_NS1_11comp_targetILNS1_3genE2ELNS1_11target_archE906ELNS1_3gpuE6ELNS1_3repE0EEENS1_30default_config_static_selectorELNS0_4arch9wavefront6targetE0EEEvT1_,comdat
.Lfunc_end1316:
	.size	_ZN7rocprim17ROCPRIM_400000_NS6detail17trampoline_kernelINS0_14default_configENS1_27scan_by_key_config_selectorIixEEZZNS1_16scan_by_key_implILNS1_25lookback_scan_determinismE0ELb0ES3_N6thrust23THRUST_200600_302600_NS6detail15normal_iteratorINS9_10device_ptrIiEEEENSB_INSC_IxEEEESG_xNS9_4plusIvEENS9_8equal_toIvEExEE10hipError_tPvRmT2_T3_T4_T5_mT6_T7_P12ihipStream_tbENKUlT_T0_E_clISt17integral_constantIbLb0EES11_EEDaSW_SX_EUlSW_E_NS1_11comp_targetILNS1_3genE2ELNS1_11target_archE906ELNS1_3gpuE6ELNS1_3repE0EEENS1_30default_config_static_selectorELNS0_4arch9wavefront6targetE0EEEvT1_, .Lfunc_end1316-_ZN7rocprim17ROCPRIM_400000_NS6detail17trampoline_kernelINS0_14default_configENS1_27scan_by_key_config_selectorIixEEZZNS1_16scan_by_key_implILNS1_25lookback_scan_determinismE0ELb0ES3_N6thrust23THRUST_200600_302600_NS6detail15normal_iteratorINS9_10device_ptrIiEEEENSB_INSC_IxEEEESG_xNS9_4plusIvEENS9_8equal_toIvEExEE10hipError_tPvRmT2_T3_T4_T5_mT6_T7_P12ihipStream_tbENKUlT_T0_E_clISt17integral_constantIbLb0EES11_EEDaSW_SX_EUlSW_E_NS1_11comp_targetILNS1_3genE2ELNS1_11target_archE906ELNS1_3gpuE6ELNS1_3repE0EEENS1_30default_config_static_selectorELNS0_4arch9wavefront6targetE0EEEvT1_
                                        ; -- End function
	.set _ZN7rocprim17ROCPRIM_400000_NS6detail17trampoline_kernelINS0_14default_configENS1_27scan_by_key_config_selectorIixEEZZNS1_16scan_by_key_implILNS1_25lookback_scan_determinismE0ELb0ES3_N6thrust23THRUST_200600_302600_NS6detail15normal_iteratorINS9_10device_ptrIiEEEENSB_INSC_IxEEEESG_xNS9_4plusIvEENS9_8equal_toIvEExEE10hipError_tPvRmT2_T3_T4_T5_mT6_T7_P12ihipStream_tbENKUlT_T0_E_clISt17integral_constantIbLb0EES11_EEDaSW_SX_EUlSW_E_NS1_11comp_targetILNS1_3genE2ELNS1_11target_archE906ELNS1_3gpuE6ELNS1_3repE0EEENS1_30default_config_static_selectorELNS0_4arch9wavefront6targetE0EEEvT1_.num_vgpr, 0
	.set _ZN7rocprim17ROCPRIM_400000_NS6detail17trampoline_kernelINS0_14default_configENS1_27scan_by_key_config_selectorIixEEZZNS1_16scan_by_key_implILNS1_25lookback_scan_determinismE0ELb0ES3_N6thrust23THRUST_200600_302600_NS6detail15normal_iteratorINS9_10device_ptrIiEEEENSB_INSC_IxEEEESG_xNS9_4plusIvEENS9_8equal_toIvEExEE10hipError_tPvRmT2_T3_T4_T5_mT6_T7_P12ihipStream_tbENKUlT_T0_E_clISt17integral_constantIbLb0EES11_EEDaSW_SX_EUlSW_E_NS1_11comp_targetILNS1_3genE2ELNS1_11target_archE906ELNS1_3gpuE6ELNS1_3repE0EEENS1_30default_config_static_selectorELNS0_4arch9wavefront6targetE0EEEvT1_.num_agpr, 0
	.set _ZN7rocprim17ROCPRIM_400000_NS6detail17trampoline_kernelINS0_14default_configENS1_27scan_by_key_config_selectorIixEEZZNS1_16scan_by_key_implILNS1_25lookback_scan_determinismE0ELb0ES3_N6thrust23THRUST_200600_302600_NS6detail15normal_iteratorINS9_10device_ptrIiEEEENSB_INSC_IxEEEESG_xNS9_4plusIvEENS9_8equal_toIvEExEE10hipError_tPvRmT2_T3_T4_T5_mT6_T7_P12ihipStream_tbENKUlT_T0_E_clISt17integral_constantIbLb0EES11_EEDaSW_SX_EUlSW_E_NS1_11comp_targetILNS1_3genE2ELNS1_11target_archE906ELNS1_3gpuE6ELNS1_3repE0EEENS1_30default_config_static_selectorELNS0_4arch9wavefront6targetE0EEEvT1_.numbered_sgpr, 0
	.set _ZN7rocprim17ROCPRIM_400000_NS6detail17trampoline_kernelINS0_14default_configENS1_27scan_by_key_config_selectorIixEEZZNS1_16scan_by_key_implILNS1_25lookback_scan_determinismE0ELb0ES3_N6thrust23THRUST_200600_302600_NS6detail15normal_iteratorINS9_10device_ptrIiEEEENSB_INSC_IxEEEESG_xNS9_4plusIvEENS9_8equal_toIvEExEE10hipError_tPvRmT2_T3_T4_T5_mT6_T7_P12ihipStream_tbENKUlT_T0_E_clISt17integral_constantIbLb0EES11_EEDaSW_SX_EUlSW_E_NS1_11comp_targetILNS1_3genE2ELNS1_11target_archE906ELNS1_3gpuE6ELNS1_3repE0EEENS1_30default_config_static_selectorELNS0_4arch9wavefront6targetE0EEEvT1_.num_named_barrier, 0
	.set _ZN7rocprim17ROCPRIM_400000_NS6detail17trampoline_kernelINS0_14default_configENS1_27scan_by_key_config_selectorIixEEZZNS1_16scan_by_key_implILNS1_25lookback_scan_determinismE0ELb0ES3_N6thrust23THRUST_200600_302600_NS6detail15normal_iteratorINS9_10device_ptrIiEEEENSB_INSC_IxEEEESG_xNS9_4plusIvEENS9_8equal_toIvEExEE10hipError_tPvRmT2_T3_T4_T5_mT6_T7_P12ihipStream_tbENKUlT_T0_E_clISt17integral_constantIbLb0EES11_EEDaSW_SX_EUlSW_E_NS1_11comp_targetILNS1_3genE2ELNS1_11target_archE906ELNS1_3gpuE6ELNS1_3repE0EEENS1_30default_config_static_selectorELNS0_4arch9wavefront6targetE0EEEvT1_.private_seg_size, 0
	.set _ZN7rocprim17ROCPRIM_400000_NS6detail17trampoline_kernelINS0_14default_configENS1_27scan_by_key_config_selectorIixEEZZNS1_16scan_by_key_implILNS1_25lookback_scan_determinismE0ELb0ES3_N6thrust23THRUST_200600_302600_NS6detail15normal_iteratorINS9_10device_ptrIiEEEENSB_INSC_IxEEEESG_xNS9_4plusIvEENS9_8equal_toIvEExEE10hipError_tPvRmT2_T3_T4_T5_mT6_T7_P12ihipStream_tbENKUlT_T0_E_clISt17integral_constantIbLb0EES11_EEDaSW_SX_EUlSW_E_NS1_11comp_targetILNS1_3genE2ELNS1_11target_archE906ELNS1_3gpuE6ELNS1_3repE0EEENS1_30default_config_static_selectorELNS0_4arch9wavefront6targetE0EEEvT1_.uses_vcc, 0
	.set _ZN7rocprim17ROCPRIM_400000_NS6detail17trampoline_kernelINS0_14default_configENS1_27scan_by_key_config_selectorIixEEZZNS1_16scan_by_key_implILNS1_25lookback_scan_determinismE0ELb0ES3_N6thrust23THRUST_200600_302600_NS6detail15normal_iteratorINS9_10device_ptrIiEEEENSB_INSC_IxEEEESG_xNS9_4plusIvEENS9_8equal_toIvEExEE10hipError_tPvRmT2_T3_T4_T5_mT6_T7_P12ihipStream_tbENKUlT_T0_E_clISt17integral_constantIbLb0EES11_EEDaSW_SX_EUlSW_E_NS1_11comp_targetILNS1_3genE2ELNS1_11target_archE906ELNS1_3gpuE6ELNS1_3repE0EEENS1_30default_config_static_selectorELNS0_4arch9wavefront6targetE0EEEvT1_.uses_flat_scratch, 0
	.set _ZN7rocprim17ROCPRIM_400000_NS6detail17trampoline_kernelINS0_14default_configENS1_27scan_by_key_config_selectorIixEEZZNS1_16scan_by_key_implILNS1_25lookback_scan_determinismE0ELb0ES3_N6thrust23THRUST_200600_302600_NS6detail15normal_iteratorINS9_10device_ptrIiEEEENSB_INSC_IxEEEESG_xNS9_4plusIvEENS9_8equal_toIvEExEE10hipError_tPvRmT2_T3_T4_T5_mT6_T7_P12ihipStream_tbENKUlT_T0_E_clISt17integral_constantIbLb0EES11_EEDaSW_SX_EUlSW_E_NS1_11comp_targetILNS1_3genE2ELNS1_11target_archE906ELNS1_3gpuE6ELNS1_3repE0EEENS1_30default_config_static_selectorELNS0_4arch9wavefront6targetE0EEEvT1_.has_dyn_sized_stack, 0
	.set _ZN7rocprim17ROCPRIM_400000_NS6detail17trampoline_kernelINS0_14default_configENS1_27scan_by_key_config_selectorIixEEZZNS1_16scan_by_key_implILNS1_25lookback_scan_determinismE0ELb0ES3_N6thrust23THRUST_200600_302600_NS6detail15normal_iteratorINS9_10device_ptrIiEEEENSB_INSC_IxEEEESG_xNS9_4plusIvEENS9_8equal_toIvEExEE10hipError_tPvRmT2_T3_T4_T5_mT6_T7_P12ihipStream_tbENKUlT_T0_E_clISt17integral_constantIbLb0EES11_EEDaSW_SX_EUlSW_E_NS1_11comp_targetILNS1_3genE2ELNS1_11target_archE906ELNS1_3gpuE6ELNS1_3repE0EEENS1_30default_config_static_selectorELNS0_4arch9wavefront6targetE0EEEvT1_.has_recursion, 0
	.set _ZN7rocprim17ROCPRIM_400000_NS6detail17trampoline_kernelINS0_14default_configENS1_27scan_by_key_config_selectorIixEEZZNS1_16scan_by_key_implILNS1_25lookback_scan_determinismE0ELb0ES3_N6thrust23THRUST_200600_302600_NS6detail15normal_iteratorINS9_10device_ptrIiEEEENSB_INSC_IxEEEESG_xNS9_4plusIvEENS9_8equal_toIvEExEE10hipError_tPvRmT2_T3_T4_T5_mT6_T7_P12ihipStream_tbENKUlT_T0_E_clISt17integral_constantIbLb0EES11_EEDaSW_SX_EUlSW_E_NS1_11comp_targetILNS1_3genE2ELNS1_11target_archE906ELNS1_3gpuE6ELNS1_3repE0EEENS1_30default_config_static_selectorELNS0_4arch9wavefront6targetE0EEEvT1_.has_indirect_call, 0
	.section	.AMDGPU.csdata,"",@progbits
; Kernel info:
; codeLenInByte = 0
; TotalNumSgprs: 0
; NumVgprs: 0
; ScratchSize: 0
; MemoryBound: 0
; FloatMode: 240
; IeeeMode: 1
; LDSByteSize: 0 bytes/workgroup (compile time only)
; SGPRBlocks: 0
; VGPRBlocks: 0
; NumSGPRsForWavesPerEU: 1
; NumVGPRsForWavesPerEU: 1
; Occupancy: 16
; WaveLimiterHint : 0
; COMPUTE_PGM_RSRC2:SCRATCH_EN: 0
; COMPUTE_PGM_RSRC2:USER_SGPR: 6
; COMPUTE_PGM_RSRC2:TRAP_HANDLER: 0
; COMPUTE_PGM_RSRC2:TGID_X_EN: 1
; COMPUTE_PGM_RSRC2:TGID_Y_EN: 0
; COMPUTE_PGM_RSRC2:TGID_Z_EN: 0
; COMPUTE_PGM_RSRC2:TIDIG_COMP_CNT: 0
	.section	.text._ZN7rocprim17ROCPRIM_400000_NS6detail17trampoline_kernelINS0_14default_configENS1_27scan_by_key_config_selectorIixEEZZNS1_16scan_by_key_implILNS1_25lookback_scan_determinismE0ELb0ES3_N6thrust23THRUST_200600_302600_NS6detail15normal_iteratorINS9_10device_ptrIiEEEENSB_INSC_IxEEEESG_xNS9_4plusIvEENS9_8equal_toIvEExEE10hipError_tPvRmT2_T3_T4_T5_mT6_T7_P12ihipStream_tbENKUlT_T0_E_clISt17integral_constantIbLb0EES11_EEDaSW_SX_EUlSW_E_NS1_11comp_targetILNS1_3genE10ELNS1_11target_archE1200ELNS1_3gpuE4ELNS1_3repE0EEENS1_30default_config_static_selectorELNS0_4arch9wavefront6targetE0EEEvT1_,"axG",@progbits,_ZN7rocprim17ROCPRIM_400000_NS6detail17trampoline_kernelINS0_14default_configENS1_27scan_by_key_config_selectorIixEEZZNS1_16scan_by_key_implILNS1_25lookback_scan_determinismE0ELb0ES3_N6thrust23THRUST_200600_302600_NS6detail15normal_iteratorINS9_10device_ptrIiEEEENSB_INSC_IxEEEESG_xNS9_4plusIvEENS9_8equal_toIvEExEE10hipError_tPvRmT2_T3_T4_T5_mT6_T7_P12ihipStream_tbENKUlT_T0_E_clISt17integral_constantIbLb0EES11_EEDaSW_SX_EUlSW_E_NS1_11comp_targetILNS1_3genE10ELNS1_11target_archE1200ELNS1_3gpuE4ELNS1_3repE0EEENS1_30default_config_static_selectorELNS0_4arch9wavefront6targetE0EEEvT1_,comdat
	.protected	_ZN7rocprim17ROCPRIM_400000_NS6detail17trampoline_kernelINS0_14default_configENS1_27scan_by_key_config_selectorIixEEZZNS1_16scan_by_key_implILNS1_25lookback_scan_determinismE0ELb0ES3_N6thrust23THRUST_200600_302600_NS6detail15normal_iteratorINS9_10device_ptrIiEEEENSB_INSC_IxEEEESG_xNS9_4plusIvEENS9_8equal_toIvEExEE10hipError_tPvRmT2_T3_T4_T5_mT6_T7_P12ihipStream_tbENKUlT_T0_E_clISt17integral_constantIbLb0EES11_EEDaSW_SX_EUlSW_E_NS1_11comp_targetILNS1_3genE10ELNS1_11target_archE1200ELNS1_3gpuE4ELNS1_3repE0EEENS1_30default_config_static_selectorELNS0_4arch9wavefront6targetE0EEEvT1_ ; -- Begin function _ZN7rocprim17ROCPRIM_400000_NS6detail17trampoline_kernelINS0_14default_configENS1_27scan_by_key_config_selectorIixEEZZNS1_16scan_by_key_implILNS1_25lookback_scan_determinismE0ELb0ES3_N6thrust23THRUST_200600_302600_NS6detail15normal_iteratorINS9_10device_ptrIiEEEENSB_INSC_IxEEEESG_xNS9_4plusIvEENS9_8equal_toIvEExEE10hipError_tPvRmT2_T3_T4_T5_mT6_T7_P12ihipStream_tbENKUlT_T0_E_clISt17integral_constantIbLb0EES11_EEDaSW_SX_EUlSW_E_NS1_11comp_targetILNS1_3genE10ELNS1_11target_archE1200ELNS1_3gpuE4ELNS1_3repE0EEENS1_30default_config_static_selectorELNS0_4arch9wavefront6targetE0EEEvT1_
	.globl	_ZN7rocprim17ROCPRIM_400000_NS6detail17trampoline_kernelINS0_14default_configENS1_27scan_by_key_config_selectorIixEEZZNS1_16scan_by_key_implILNS1_25lookback_scan_determinismE0ELb0ES3_N6thrust23THRUST_200600_302600_NS6detail15normal_iteratorINS9_10device_ptrIiEEEENSB_INSC_IxEEEESG_xNS9_4plusIvEENS9_8equal_toIvEExEE10hipError_tPvRmT2_T3_T4_T5_mT6_T7_P12ihipStream_tbENKUlT_T0_E_clISt17integral_constantIbLb0EES11_EEDaSW_SX_EUlSW_E_NS1_11comp_targetILNS1_3genE10ELNS1_11target_archE1200ELNS1_3gpuE4ELNS1_3repE0EEENS1_30default_config_static_selectorELNS0_4arch9wavefront6targetE0EEEvT1_
	.p2align	8
	.type	_ZN7rocprim17ROCPRIM_400000_NS6detail17trampoline_kernelINS0_14default_configENS1_27scan_by_key_config_selectorIixEEZZNS1_16scan_by_key_implILNS1_25lookback_scan_determinismE0ELb0ES3_N6thrust23THRUST_200600_302600_NS6detail15normal_iteratorINS9_10device_ptrIiEEEENSB_INSC_IxEEEESG_xNS9_4plusIvEENS9_8equal_toIvEExEE10hipError_tPvRmT2_T3_T4_T5_mT6_T7_P12ihipStream_tbENKUlT_T0_E_clISt17integral_constantIbLb0EES11_EEDaSW_SX_EUlSW_E_NS1_11comp_targetILNS1_3genE10ELNS1_11target_archE1200ELNS1_3gpuE4ELNS1_3repE0EEENS1_30default_config_static_selectorELNS0_4arch9wavefront6targetE0EEEvT1_,@function
_ZN7rocprim17ROCPRIM_400000_NS6detail17trampoline_kernelINS0_14default_configENS1_27scan_by_key_config_selectorIixEEZZNS1_16scan_by_key_implILNS1_25lookback_scan_determinismE0ELb0ES3_N6thrust23THRUST_200600_302600_NS6detail15normal_iteratorINS9_10device_ptrIiEEEENSB_INSC_IxEEEESG_xNS9_4plusIvEENS9_8equal_toIvEExEE10hipError_tPvRmT2_T3_T4_T5_mT6_T7_P12ihipStream_tbENKUlT_T0_E_clISt17integral_constantIbLb0EES11_EEDaSW_SX_EUlSW_E_NS1_11comp_targetILNS1_3genE10ELNS1_11target_archE1200ELNS1_3gpuE4ELNS1_3repE0EEENS1_30default_config_static_selectorELNS0_4arch9wavefront6targetE0EEEvT1_: ; @_ZN7rocprim17ROCPRIM_400000_NS6detail17trampoline_kernelINS0_14default_configENS1_27scan_by_key_config_selectorIixEEZZNS1_16scan_by_key_implILNS1_25lookback_scan_determinismE0ELb0ES3_N6thrust23THRUST_200600_302600_NS6detail15normal_iteratorINS9_10device_ptrIiEEEENSB_INSC_IxEEEESG_xNS9_4plusIvEENS9_8equal_toIvEExEE10hipError_tPvRmT2_T3_T4_T5_mT6_T7_P12ihipStream_tbENKUlT_T0_E_clISt17integral_constantIbLb0EES11_EEDaSW_SX_EUlSW_E_NS1_11comp_targetILNS1_3genE10ELNS1_11target_archE1200ELNS1_3gpuE4ELNS1_3repE0EEENS1_30default_config_static_selectorELNS0_4arch9wavefront6targetE0EEEvT1_
; %bb.0:
	.section	.rodata,"a",@progbits
	.p2align	6, 0x0
	.amdhsa_kernel _ZN7rocprim17ROCPRIM_400000_NS6detail17trampoline_kernelINS0_14default_configENS1_27scan_by_key_config_selectorIixEEZZNS1_16scan_by_key_implILNS1_25lookback_scan_determinismE0ELb0ES3_N6thrust23THRUST_200600_302600_NS6detail15normal_iteratorINS9_10device_ptrIiEEEENSB_INSC_IxEEEESG_xNS9_4plusIvEENS9_8equal_toIvEExEE10hipError_tPvRmT2_T3_T4_T5_mT6_T7_P12ihipStream_tbENKUlT_T0_E_clISt17integral_constantIbLb0EES11_EEDaSW_SX_EUlSW_E_NS1_11comp_targetILNS1_3genE10ELNS1_11target_archE1200ELNS1_3gpuE4ELNS1_3repE0EEENS1_30default_config_static_selectorELNS0_4arch9wavefront6targetE0EEEvT1_
		.amdhsa_group_segment_fixed_size 0
		.amdhsa_private_segment_fixed_size 0
		.amdhsa_kernarg_size 136
		.amdhsa_user_sgpr_count 6
		.amdhsa_user_sgpr_private_segment_buffer 1
		.amdhsa_user_sgpr_dispatch_ptr 0
		.amdhsa_user_sgpr_queue_ptr 0
		.amdhsa_user_sgpr_kernarg_segment_ptr 1
		.amdhsa_user_sgpr_dispatch_id 0
		.amdhsa_user_sgpr_flat_scratch_init 0
		.amdhsa_user_sgpr_private_segment_size 0
		.amdhsa_wavefront_size32 1
		.amdhsa_uses_dynamic_stack 0
		.amdhsa_system_sgpr_private_segment_wavefront_offset 0
		.amdhsa_system_sgpr_workgroup_id_x 1
		.amdhsa_system_sgpr_workgroup_id_y 0
		.amdhsa_system_sgpr_workgroup_id_z 0
		.amdhsa_system_sgpr_workgroup_info 0
		.amdhsa_system_vgpr_workitem_id 0
		.amdhsa_next_free_vgpr 1
		.amdhsa_next_free_sgpr 1
		.amdhsa_reserve_vcc 0
		.amdhsa_reserve_flat_scratch 0
		.amdhsa_float_round_mode_32 0
		.amdhsa_float_round_mode_16_64 0
		.amdhsa_float_denorm_mode_32 3
		.amdhsa_float_denorm_mode_16_64 3
		.amdhsa_dx10_clamp 1
		.amdhsa_ieee_mode 1
		.amdhsa_fp16_overflow 0
		.amdhsa_workgroup_processor_mode 1
		.amdhsa_memory_ordered 1
		.amdhsa_forward_progress 1
		.amdhsa_shared_vgpr_count 0
		.amdhsa_exception_fp_ieee_invalid_op 0
		.amdhsa_exception_fp_denorm_src 0
		.amdhsa_exception_fp_ieee_div_zero 0
		.amdhsa_exception_fp_ieee_overflow 0
		.amdhsa_exception_fp_ieee_underflow 0
		.amdhsa_exception_fp_ieee_inexact 0
		.amdhsa_exception_int_div_zero 0
	.end_amdhsa_kernel
	.section	.text._ZN7rocprim17ROCPRIM_400000_NS6detail17trampoline_kernelINS0_14default_configENS1_27scan_by_key_config_selectorIixEEZZNS1_16scan_by_key_implILNS1_25lookback_scan_determinismE0ELb0ES3_N6thrust23THRUST_200600_302600_NS6detail15normal_iteratorINS9_10device_ptrIiEEEENSB_INSC_IxEEEESG_xNS9_4plusIvEENS9_8equal_toIvEExEE10hipError_tPvRmT2_T3_T4_T5_mT6_T7_P12ihipStream_tbENKUlT_T0_E_clISt17integral_constantIbLb0EES11_EEDaSW_SX_EUlSW_E_NS1_11comp_targetILNS1_3genE10ELNS1_11target_archE1200ELNS1_3gpuE4ELNS1_3repE0EEENS1_30default_config_static_selectorELNS0_4arch9wavefront6targetE0EEEvT1_,"axG",@progbits,_ZN7rocprim17ROCPRIM_400000_NS6detail17trampoline_kernelINS0_14default_configENS1_27scan_by_key_config_selectorIixEEZZNS1_16scan_by_key_implILNS1_25lookback_scan_determinismE0ELb0ES3_N6thrust23THRUST_200600_302600_NS6detail15normal_iteratorINS9_10device_ptrIiEEEENSB_INSC_IxEEEESG_xNS9_4plusIvEENS9_8equal_toIvEExEE10hipError_tPvRmT2_T3_T4_T5_mT6_T7_P12ihipStream_tbENKUlT_T0_E_clISt17integral_constantIbLb0EES11_EEDaSW_SX_EUlSW_E_NS1_11comp_targetILNS1_3genE10ELNS1_11target_archE1200ELNS1_3gpuE4ELNS1_3repE0EEENS1_30default_config_static_selectorELNS0_4arch9wavefront6targetE0EEEvT1_,comdat
.Lfunc_end1317:
	.size	_ZN7rocprim17ROCPRIM_400000_NS6detail17trampoline_kernelINS0_14default_configENS1_27scan_by_key_config_selectorIixEEZZNS1_16scan_by_key_implILNS1_25lookback_scan_determinismE0ELb0ES3_N6thrust23THRUST_200600_302600_NS6detail15normal_iteratorINS9_10device_ptrIiEEEENSB_INSC_IxEEEESG_xNS9_4plusIvEENS9_8equal_toIvEExEE10hipError_tPvRmT2_T3_T4_T5_mT6_T7_P12ihipStream_tbENKUlT_T0_E_clISt17integral_constantIbLb0EES11_EEDaSW_SX_EUlSW_E_NS1_11comp_targetILNS1_3genE10ELNS1_11target_archE1200ELNS1_3gpuE4ELNS1_3repE0EEENS1_30default_config_static_selectorELNS0_4arch9wavefront6targetE0EEEvT1_, .Lfunc_end1317-_ZN7rocprim17ROCPRIM_400000_NS6detail17trampoline_kernelINS0_14default_configENS1_27scan_by_key_config_selectorIixEEZZNS1_16scan_by_key_implILNS1_25lookback_scan_determinismE0ELb0ES3_N6thrust23THRUST_200600_302600_NS6detail15normal_iteratorINS9_10device_ptrIiEEEENSB_INSC_IxEEEESG_xNS9_4plusIvEENS9_8equal_toIvEExEE10hipError_tPvRmT2_T3_T4_T5_mT6_T7_P12ihipStream_tbENKUlT_T0_E_clISt17integral_constantIbLb0EES11_EEDaSW_SX_EUlSW_E_NS1_11comp_targetILNS1_3genE10ELNS1_11target_archE1200ELNS1_3gpuE4ELNS1_3repE0EEENS1_30default_config_static_selectorELNS0_4arch9wavefront6targetE0EEEvT1_
                                        ; -- End function
	.set _ZN7rocprim17ROCPRIM_400000_NS6detail17trampoline_kernelINS0_14default_configENS1_27scan_by_key_config_selectorIixEEZZNS1_16scan_by_key_implILNS1_25lookback_scan_determinismE0ELb0ES3_N6thrust23THRUST_200600_302600_NS6detail15normal_iteratorINS9_10device_ptrIiEEEENSB_INSC_IxEEEESG_xNS9_4plusIvEENS9_8equal_toIvEExEE10hipError_tPvRmT2_T3_T4_T5_mT6_T7_P12ihipStream_tbENKUlT_T0_E_clISt17integral_constantIbLb0EES11_EEDaSW_SX_EUlSW_E_NS1_11comp_targetILNS1_3genE10ELNS1_11target_archE1200ELNS1_3gpuE4ELNS1_3repE0EEENS1_30default_config_static_selectorELNS0_4arch9wavefront6targetE0EEEvT1_.num_vgpr, 0
	.set _ZN7rocprim17ROCPRIM_400000_NS6detail17trampoline_kernelINS0_14default_configENS1_27scan_by_key_config_selectorIixEEZZNS1_16scan_by_key_implILNS1_25lookback_scan_determinismE0ELb0ES3_N6thrust23THRUST_200600_302600_NS6detail15normal_iteratorINS9_10device_ptrIiEEEENSB_INSC_IxEEEESG_xNS9_4plusIvEENS9_8equal_toIvEExEE10hipError_tPvRmT2_T3_T4_T5_mT6_T7_P12ihipStream_tbENKUlT_T0_E_clISt17integral_constantIbLb0EES11_EEDaSW_SX_EUlSW_E_NS1_11comp_targetILNS1_3genE10ELNS1_11target_archE1200ELNS1_3gpuE4ELNS1_3repE0EEENS1_30default_config_static_selectorELNS0_4arch9wavefront6targetE0EEEvT1_.num_agpr, 0
	.set _ZN7rocprim17ROCPRIM_400000_NS6detail17trampoline_kernelINS0_14default_configENS1_27scan_by_key_config_selectorIixEEZZNS1_16scan_by_key_implILNS1_25lookback_scan_determinismE0ELb0ES3_N6thrust23THRUST_200600_302600_NS6detail15normal_iteratorINS9_10device_ptrIiEEEENSB_INSC_IxEEEESG_xNS9_4plusIvEENS9_8equal_toIvEExEE10hipError_tPvRmT2_T3_T4_T5_mT6_T7_P12ihipStream_tbENKUlT_T0_E_clISt17integral_constantIbLb0EES11_EEDaSW_SX_EUlSW_E_NS1_11comp_targetILNS1_3genE10ELNS1_11target_archE1200ELNS1_3gpuE4ELNS1_3repE0EEENS1_30default_config_static_selectorELNS0_4arch9wavefront6targetE0EEEvT1_.numbered_sgpr, 0
	.set _ZN7rocprim17ROCPRIM_400000_NS6detail17trampoline_kernelINS0_14default_configENS1_27scan_by_key_config_selectorIixEEZZNS1_16scan_by_key_implILNS1_25lookback_scan_determinismE0ELb0ES3_N6thrust23THRUST_200600_302600_NS6detail15normal_iteratorINS9_10device_ptrIiEEEENSB_INSC_IxEEEESG_xNS9_4plusIvEENS9_8equal_toIvEExEE10hipError_tPvRmT2_T3_T4_T5_mT6_T7_P12ihipStream_tbENKUlT_T0_E_clISt17integral_constantIbLb0EES11_EEDaSW_SX_EUlSW_E_NS1_11comp_targetILNS1_3genE10ELNS1_11target_archE1200ELNS1_3gpuE4ELNS1_3repE0EEENS1_30default_config_static_selectorELNS0_4arch9wavefront6targetE0EEEvT1_.num_named_barrier, 0
	.set _ZN7rocprim17ROCPRIM_400000_NS6detail17trampoline_kernelINS0_14default_configENS1_27scan_by_key_config_selectorIixEEZZNS1_16scan_by_key_implILNS1_25lookback_scan_determinismE0ELb0ES3_N6thrust23THRUST_200600_302600_NS6detail15normal_iteratorINS9_10device_ptrIiEEEENSB_INSC_IxEEEESG_xNS9_4plusIvEENS9_8equal_toIvEExEE10hipError_tPvRmT2_T3_T4_T5_mT6_T7_P12ihipStream_tbENKUlT_T0_E_clISt17integral_constantIbLb0EES11_EEDaSW_SX_EUlSW_E_NS1_11comp_targetILNS1_3genE10ELNS1_11target_archE1200ELNS1_3gpuE4ELNS1_3repE0EEENS1_30default_config_static_selectorELNS0_4arch9wavefront6targetE0EEEvT1_.private_seg_size, 0
	.set _ZN7rocprim17ROCPRIM_400000_NS6detail17trampoline_kernelINS0_14default_configENS1_27scan_by_key_config_selectorIixEEZZNS1_16scan_by_key_implILNS1_25lookback_scan_determinismE0ELb0ES3_N6thrust23THRUST_200600_302600_NS6detail15normal_iteratorINS9_10device_ptrIiEEEENSB_INSC_IxEEEESG_xNS9_4plusIvEENS9_8equal_toIvEExEE10hipError_tPvRmT2_T3_T4_T5_mT6_T7_P12ihipStream_tbENKUlT_T0_E_clISt17integral_constantIbLb0EES11_EEDaSW_SX_EUlSW_E_NS1_11comp_targetILNS1_3genE10ELNS1_11target_archE1200ELNS1_3gpuE4ELNS1_3repE0EEENS1_30default_config_static_selectorELNS0_4arch9wavefront6targetE0EEEvT1_.uses_vcc, 0
	.set _ZN7rocprim17ROCPRIM_400000_NS6detail17trampoline_kernelINS0_14default_configENS1_27scan_by_key_config_selectorIixEEZZNS1_16scan_by_key_implILNS1_25lookback_scan_determinismE0ELb0ES3_N6thrust23THRUST_200600_302600_NS6detail15normal_iteratorINS9_10device_ptrIiEEEENSB_INSC_IxEEEESG_xNS9_4plusIvEENS9_8equal_toIvEExEE10hipError_tPvRmT2_T3_T4_T5_mT6_T7_P12ihipStream_tbENKUlT_T0_E_clISt17integral_constantIbLb0EES11_EEDaSW_SX_EUlSW_E_NS1_11comp_targetILNS1_3genE10ELNS1_11target_archE1200ELNS1_3gpuE4ELNS1_3repE0EEENS1_30default_config_static_selectorELNS0_4arch9wavefront6targetE0EEEvT1_.uses_flat_scratch, 0
	.set _ZN7rocprim17ROCPRIM_400000_NS6detail17trampoline_kernelINS0_14default_configENS1_27scan_by_key_config_selectorIixEEZZNS1_16scan_by_key_implILNS1_25lookback_scan_determinismE0ELb0ES3_N6thrust23THRUST_200600_302600_NS6detail15normal_iteratorINS9_10device_ptrIiEEEENSB_INSC_IxEEEESG_xNS9_4plusIvEENS9_8equal_toIvEExEE10hipError_tPvRmT2_T3_T4_T5_mT6_T7_P12ihipStream_tbENKUlT_T0_E_clISt17integral_constantIbLb0EES11_EEDaSW_SX_EUlSW_E_NS1_11comp_targetILNS1_3genE10ELNS1_11target_archE1200ELNS1_3gpuE4ELNS1_3repE0EEENS1_30default_config_static_selectorELNS0_4arch9wavefront6targetE0EEEvT1_.has_dyn_sized_stack, 0
	.set _ZN7rocprim17ROCPRIM_400000_NS6detail17trampoline_kernelINS0_14default_configENS1_27scan_by_key_config_selectorIixEEZZNS1_16scan_by_key_implILNS1_25lookback_scan_determinismE0ELb0ES3_N6thrust23THRUST_200600_302600_NS6detail15normal_iteratorINS9_10device_ptrIiEEEENSB_INSC_IxEEEESG_xNS9_4plusIvEENS9_8equal_toIvEExEE10hipError_tPvRmT2_T3_T4_T5_mT6_T7_P12ihipStream_tbENKUlT_T0_E_clISt17integral_constantIbLb0EES11_EEDaSW_SX_EUlSW_E_NS1_11comp_targetILNS1_3genE10ELNS1_11target_archE1200ELNS1_3gpuE4ELNS1_3repE0EEENS1_30default_config_static_selectorELNS0_4arch9wavefront6targetE0EEEvT1_.has_recursion, 0
	.set _ZN7rocprim17ROCPRIM_400000_NS6detail17trampoline_kernelINS0_14default_configENS1_27scan_by_key_config_selectorIixEEZZNS1_16scan_by_key_implILNS1_25lookback_scan_determinismE0ELb0ES3_N6thrust23THRUST_200600_302600_NS6detail15normal_iteratorINS9_10device_ptrIiEEEENSB_INSC_IxEEEESG_xNS9_4plusIvEENS9_8equal_toIvEExEE10hipError_tPvRmT2_T3_T4_T5_mT6_T7_P12ihipStream_tbENKUlT_T0_E_clISt17integral_constantIbLb0EES11_EEDaSW_SX_EUlSW_E_NS1_11comp_targetILNS1_3genE10ELNS1_11target_archE1200ELNS1_3gpuE4ELNS1_3repE0EEENS1_30default_config_static_selectorELNS0_4arch9wavefront6targetE0EEEvT1_.has_indirect_call, 0
	.section	.AMDGPU.csdata,"",@progbits
; Kernel info:
; codeLenInByte = 0
; TotalNumSgprs: 0
; NumVgprs: 0
; ScratchSize: 0
; MemoryBound: 0
; FloatMode: 240
; IeeeMode: 1
; LDSByteSize: 0 bytes/workgroup (compile time only)
; SGPRBlocks: 0
; VGPRBlocks: 0
; NumSGPRsForWavesPerEU: 1
; NumVGPRsForWavesPerEU: 1
; Occupancy: 16
; WaveLimiterHint : 0
; COMPUTE_PGM_RSRC2:SCRATCH_EN: 0
; COMPUTE_PGM_RSRC2:USER_SGPR: 6
; COMPUTE_PGM_RSRC2:TRAP_HANDLER: 0
; COMPUTE_PGM_RSRC2:TGID_X_EN: 1
; COMPUTE_PGM_RSRC2:TGID_Y_EN: 0
; COMPUTE_PGM_RSRC2:TGID_Z_EN: 0
; COMPUTE_PGM_RSRC2:TIDIG_COMP_CNT: 0
	.section	.text._ZN7rocprim17ROCPRIM_400000_NS6detail17trampoline_kernelINS0_14default_configENS1_27scan_by_key_config_selectorIixEEZZNS1_16scan_by_key_implILNS1_25lookback_scan_determinismE0ELb0ES3_N6thrust23THRUST_200600_302600_NS6detail15normal_iteratorINS9_10device_ptrIiEEEENSB_INSC_IxEEEESG_xNS9_4plusIvEENS9_8equal_toIvEExEE10hipError_tPvRmT2_T3_T4_T5_mT6_T7_P12ihipStream_tbENKUlT_T0_E_clISt17integral_constantIbLb0EES11_EEDaSW_SX_EUlSW_E_NS1_11comp_targetILNS1_3genE9ELNS1_11target_archE1100ELNS1_3gpuE3ELNS1_3repE0EEENS1_30default_config_static_selectorELNS0_4arch9wavefront6targetE0EEEvT1_,"axG",@progbits,_ZN7rocprim17ROCPRIM_400000_NS6detail17trampoline_kernelINS0_14default_configENS1_27scan_by_key_config_selectorIixEEZZNS1_16scan_by_key_implILNS1_25lookback_scan_determinismE0ELb0ES3_N6thrust23THRUST_200600_302600_NS6detail15normal_iteratorINS9_10device_ptrIiEEEENSB_INSC_IxEEEESG_xNS9_4plusIvEENS9_8equal_toIvEExEE10hipError_tPvRmT2_T3_T4_T5_mT6_T7_P12ihipStream_tbENKUlT_T0_E_clISt17integral_constantIbLb0EES11_EEDaSW_SX_EUlSW_E_NS1_11comp_targetILNS1_3genE9ELNS1_11target_archE1100ELNS1_3gpuE3ELNS1_3repE0EEENS1_30default_config_static_selectorELNS0_4arch9wavefront6targetE0EEEvT1_,comdat
	.protected	_ZN7rocprim17ROCPRIM_400000_NS6detail17trampoline_kernelINS0_14default_configENS1_27scan_by_key_config_selectorIixEEZZNS1_16scan_by_key_implILNS1_25lookback_scan_determinismE0ELb0ES3_N6thrust23THRUST_200600_302600_NS6detail15normal_iteratorINS9_10device_ptrIiEEEENSB_INSC_IxEEEESG_xNS9_4plusIvEENS9_8equal_toIvEExEE10hipError_tPvRmT2_T3_T4_T5_mT6_T7_P12ihipStream_tbENKUlT_T0_E_clISt17integral_constantIbLb0EES11_EEDaSW_SX_EUlSW_E_NS1_11comp_targetILNS1_3genE9ELNS1_11target_archE1100ELNS1_3gpuE3ELNS1_3repE0EEENS1_30default_config_static_selectorELNS0_4arch9wavefront6targetE0EEEvT1_ ; -- Begin function _ZN7rocprim17ROCPRIM_400000_NS6detail17trampoline_kernelINS0_14default_configENS1_27scan_by_key_config_selectorIixEEZZNS1_16scan_by_key_implILNS1_25lookback_scan_determinismE0ELb0ES3_N6thrust23THRUST_200600_302600_NS6detail15normal_iteratorINS9_10device_ptrIiEEEENSB_INSC_IxEEEESG_xNS9_4plusIvEENS9_8equal_toIvEExEE10hipError_tPvRmT2_T3_T4_T5_mT6_T7_P12ihipStream_tbENKUlT_T0_E_clISt17integral_constantIbLb0EES11_EEDaSW_SX_EUlSW_E_NS1_11comp_targetILNS1_3genE9ELNS1_11target_archE1100ELNS1_3gpuE3ELNS1_3repE0EEENS1_30default_config_static_selectorELNS0_4arch9wavefront6targetE0EEEvT1_
	.globl	_ZN7rocprim17ROCPRIM_400000_NS6detail17trampoline_kernelINS0_14default_configENS1_27scan_by_key_config_selectorIixEEZZNS1_16scan_by_key_implILNS1_25lookback_scan_determinismE0ELb0ES3_N6thrust23THRUST_200600_302600_NS6detail15normal_iteratorINS9_10device_ptrIiEEEENSB_INSC_IxEEEESG_xNS9_4plusIvEENS9_8equal_toIvEExEE10hipError_tPvRmT2_T3_T4_T5_mT6_T7_P12ihipStream_tbENKUlT_T0_E_clISt17integral_constantIbLb0EES11_EEDaSW_SX_EUlSW_E_NS1_11comp_targetILNS1_3genE9ELNS1_11target_archE1100ELNS1_3gpuE3ELNS1_3repE0EEENS1_30default_config_static_selectorELNS0_4arch9wavefront6targetE0EEEvT1_
	.p2align	8
	.type	_ZN7rocprim17ROCPRIM_400000_NS6detail17trampoline_kernelINS0_14default_configENS1_27scan_by_key_config_selectorIixEEZZNS1_16scan_by_key_implILNS1_25lookback_scan_determinismE0ELb0ES3_N6thrust23THRUST_200600_302600_NS6detail15normal_iteratorINS9_10device_ptrIiEEEENSB_INSC_IxEEEESG_xNS9_4plusIvEENS9_8equal_toIvEExEE10hipError_tPvRmT2_T3_T4_T5_mT6_T7_P12ihipStream_tbENKUlT_T0_E_clISt17integral_constantIbLb0EES11_EEDaSW_SX_EUlSW_E_NS1_11comp_targetILNS1_3genE9ELNS1_11target_archE1100ELNS1_3gpuE3ELNS1_3repE0EEENS1_30default_config_static_selectorELNS0_4arch9wavefront6targetE0EEEvT1_,@function
_ZN7rocprim17ROCPRIM_400000_NS6detail17trampoline_kernelINS0_14default_configENS1_27scan_by_key_config_selectorIixEEZZNS1_16scan_by_key_implILNS1_25lookback_scan_determinismE0ELb0ES3_N6thrust23THRUST_200600_302600_NS6detail15normal_iteratorINS9_10device_ptrIiEEEENSB_INSC_IxEEEESG_xNS9_4plusIvEENS9_8equal_toIvEExEE10hipError_tPvRmT2_T3_T4_T5_mT6_T7_P12ihipStream_tbENKUlT_T0_E_clISt17integral_constantIbLb0EES11_EEDaSW_SX_EUlSW_E_NS1_11comp_targetILNS1_3genE9ELNS1_11target_archE1100ELNS1_3gpuE3ELNS1_3repE0EEENS1_30default_config_static_selectorELNS0_4arch9wavefront6targetE0EEEvT1_: ; @_ZN7rocprim17ROCPRIM_400000_NS6detail17trampoline_kernelINS0_14default_configENS1_27scan_by_key_config_selectorIixEEZZNS1_16scan_by_key_implILNS1_25lookback_scan_determinismE0ELb0ES3_N6thrust23THRUST_200600_302600_NS6detail15normal_iteratorINS9_10device_ptrIiEEEENSB_INSC_IxEEEESG_xNS9_4plusIvEENS9_8equal_toIvEExEE10hipError_tPvRmT2_T3_T4_T5_mT6_T7_P12ihipStream_tbENKUlT_T0_E_clISt17integral_constantIbLb0EES11_EEDaSW_SX_EUlSW_E_NS1_11comp_targetILNS1_3genE9ELNS1_11target_archE1100ELNS1_3gpuE3ELNS1_3repE0EEENS1_30default_config_static_selectorELNS0_4arch9wavefront6targetE0EEEvT1_
; %bb.0:
	.section	.rodata,"a",@progbits
	.p2align	6, 0x0
	.amdhsa_kernel _ZN7rocprim17ROCPRIM_400000_NS6detail17trampoline_kernelINS0_14default_configENS1_27scan_by_key_config_selectorIixEEZZNS1_16scan_by_key_implILNS1_25lookback_scan_determinismE0ELb0ES3_N6thrust23THRUST_200600_302600_NS6detail15normal_iteratorINS9_10device_ptrIiEEEENSB_INSC_IxEEEESG_xNS9_4plusIvEENS9_8equal_toIvEExEE10hipError_tPvRmT2_T3_T4_T5_mT6_T7_P12ihipStream_tbENKUlT_T0_E_clISt17integral_constantIbLb0EES11_EEDaSW_SX_EUlSW_E_NS1_11comp_targetILNS1_3genE9ELNS1_11target_archE1100ELNS1_3gpuE3ELNS1_3repE0EEENS1_30default_config_static_selectorELNS0_4arch9wavefront6targetE0EEEvT1_
		.amdhsa_group_segment_fixed_size 0
		.amdhsa_private_segment_fixed_size 0
		.amdhsa_kernarg_size 136
		.amdhsa_user_sgpr_count 6
		.amdhsa_user_sgpr_private_segment_buffer 1
		.amdhsa_user_sgpr_dispatch_ptr 0
		.amdhsa_user_sgpr_queue_ptr 0
		.amdhsa_user_sgpr_kernarg_segment_ptr 1
		.amdhsa_user_sgpr_dispatch_id 0
		.amdhsa_user_sgpr_flat_scratch_init 0
		.amdhsa_user_sgpr_private_segment_size 0
		.amdhsa_wavefront_size32 1
		.amdhsa_uses_dynamic_stack 0
		.amdhsa_system_sgpr_private_segment_wavefront_offset 0
		.amdhsa_system_sgpr_workgroup_id_x 1
		.amdhsa_system_sgpr_workgroup_id_y 0
		.amdhsa_system_sgpr_workgroup_id_z 0
		.amdhsa_system_sgpr_workgroup_info 0
		.amdhsa_system_vgpr_workitem_id 0
		.amdhsa_next_free_vgpr 1
		.amdhsa_next_free_sgpr 1
		.amdhsa_reserve_vcc 0
		.amdhsa_reserve_flat_scratch 0
		.amdhsa_float_round_mode_32 0
		.amdhsa_float_round_mode_16_64 0
		.amdhsa_float_denorm_mode_32 3
		.amdhsa_float_denorm_mode_16_64 3
		.amdhsa_dx10_clamp 1
		.amdhsa_ieee_mode 1
		.amdhsa_fp16_overflow 0
		.amdhsa_workgroup_processor_mode 1
		.amdhsa_memory_ordered 1
		.amdhsa_forward_progress 1
		.amdhsa_shared_vgpr_count 0
		.amdhsa_exception_fp_ieee_invalid_op 0
		.amdhsa_exception_fp_denorm_src 0
		.amdhsa_exception_fp_ieee_div_zero 0
		.amdhsa_exception_fp_ieee_overflow 0
		.amdhsa_exception_fp_ieee_underflow 0
		.amdhsa_exception_fp_ieee_inexact 0
		.amdhsa_exception_int_div_zero 0
	.end_amdhsa_kernel
	.section	.text._ZN7rocprim17ROCPRIM_400000_NS6detail17trampoline_kernelINS0_14default_configENS1_27scan_by_key_config_selectorIixEEZZNS1_16scan_by_key_implILNS1_25lookback_scan_determinismE0ELb0ES3_N6thrust23THRUST_200600_302600_NS6detail15normal_iteratorINS9_10device_ptrIiEEEENSB_INSC_IxEEEESG_xNS9_4plusIvEENS9_8equal_toIvEExEE10hipError_tPvRmT2_T3_T4_T5_mT6_T7_P12ihipStream_tbENKUlT_T0_E_clISt17integral_constantIbLb0EES11_EEDaSW_SX_EUlSW_E_NS1_11comp_targetILNS1_3genE9ELNS1_11target_archE1100ELNS1_3gpuE3ELNS1_3repE0EEENS1_30default_config_static_selectorELNS0_4arch9wavefront6targetE0EEEvT1_,"axG",@progbits,_ZN7rocprim17ROCPRIM_400000_NS6detail17trampoline_kernelINS0_14default_configENS1_27scan_by_key_config_selectorIixEEZZNS1_16scan_by_key_implILNS1_25lookback_scan_determinismE0ELb0ES3_N6thrust23THRUST_200600_302600_NS6detail15normal_iteratorINS9_10device_ptrIiEEEENSB_INSC_IxEEEESG_xNS9_4plusIvEENS9_8equal_toIvEExEE10hipError_tPvRmT2_T3_T4_T5_mT6_T7_P12ihipStream_tbENKUlT_T0_E_clISt17integral_constantIbLb0EES11_EEDaSW_SX_EUlSW_E_NS1_11comp_targetILNS1_3genE9ELNS1_11target_archE1100ELNS1_3gpuE3ELNS1_3repE0EEENS1_30default_config_static_selectorELNS0_4arch9wavefront6targetE0EEEvT1_,comdat
.Lfunc_end1318:
	.size	_ZN7rocprim17ROCPRIM_400000_NS6detail17trampoline_kernelINS0_14default_configENS1_27scan_by_key_config_selectorIixEEZZNS1_16scan_by_key_implILNS1_25lookback_scan_determinismE0ELb0ES3_N6thrust23THRUST_200600_302600_NS6detail15normal_iteratorINS9_10device_ptrIiEEEENSB_INSC_IxEEEESG_xNS9_4plusIvEENS9_8equal_toIvEExEE10hipError_tPvRmT2_T3_T4_T5_mT6_T7_P12ihipStream_tbENKUlT_T0_E_clISt17integral_constantIbLb0EES11_EEDaSW_SX_EUlSW_E_NS1_11comp_targetILNS1_3genE9ELNS1_11target_archE1100ELNS1_3gpuE3ELNS1_3repE0EEENS1_30default_config_static_selectorELNS0_4arch9wavefront6targetE0EEEvT1_, .Lfunc_end1318-_ZN7rocprim17ROCPRIM_400000_NS6detail17trampoline_kernelINS0_14default_configENS1_27scan_by_key_config_selectorIixEEZZNS1_16scan_by_key_implILNS1_25lookback_scan_determinismE0ELb0ES3_N6thrust23THRUST_200600_302600_NS6detail15normal_iteratorINS9_10device_ptrIiEEEENSB_INSC_IxEEEESG_xNS9_4plusIvEENS9_8equal_toIvEExEE10hipError_tPvRmT2_T3_T4_T5_mT6_T7_P12ihipStream_tbENKUlT_T0_E_clISt17integral_constantIbLb0EES11_EEDaSW_SX_EUlSW_E_NS1_11comp_targetILNS1_3genE9ELNS1_11target_archE1100ELNS1_3gpuE3ELNS1_3repE0EEENS1_30default_config_static_selectorELNS0_4arch9wavefront6targetE0EEEvT1_
                                        ; -- End function
	.set _ZN7rocprim17ROCPRIM_400000_NS6detail17trampoline_kernelINS0_14default_configENS1_27scan_by_key_config_selectorIixEEZZNS1_16scan_by_key_implILNS1_25lookback_scan_determinismE0ELb0ES3_N6thrust23THRUST_200600_302600_NS6detail15normal_iteratorINS9_10device_ptrIiEEEENSB_INSC_IxEEEESG_xNS9_4plusIvEENS9_8equal_toIvEExEE10hipError_tPvRmT2_T3_T4_T5_mT6_T7_P12ihipStream_tbENKUlT_T0_E_clISt17integral_constantIbLb0EES11_EEDaSW_SX_EUlSW_E_NS1_11comp_targetILNS1_3genE9ELNS1_11target_archE1100ELNS1_3gpuE3ELNS1_3repE0EEENS1_30default_config_static_selectorELNS0_4arch9wavefront6targetE0EEEvT1_.num_vgpr, 0
	.set _ZN7rocprim17ROCPRIM_400000_NS6detail17trampoline_kernelINS0_14default_configENS1_27scan_by_key_config_selectorIixEEZZNS1_16scan_by_key_implILNS1_25lookback_scan_determinismE0ELb0ES3_N6thrust23THRUST_200600_302600_NS6detail15normal_iteratorINS9_10device_ptrIiEEEENSB_INSC_IxEEEESG_xNS9_4plusIvEENS9_8equal_toIvEExEE10hipError_tPvRmT2_T3_T4_T5_mT6_T7_P12ihipStream_tbENKUlT_T0_E_clISt17integral_constantIbLb0EES11_EEDaSW_SX_EUlSW_E_NS1_11comp_targetILNS1_3genE9ELNS1_11target_archE1100ELNS1_3gpuE3ELNS1_3repE0EEENS1_30default_config_static_selectorELNS0_4arch9wavefront6targetE0EEEvT1_.num_agpr, 0
	.set _ZN7rocprim17ROCPRIM_400000_NS6detail17trampoline_kernelINS0_14default_configENS1_27scan_by_key_config_selectorIixEEZZNS1_16scan_by_key_implILNS1_25lookback_scan_determinismE0ELb0ES3_N6thrust23THRUST_200600_302600_NS6detail15normal_iteratorINS9_10device_ptrIiEEEENSB_INSC_IxEEEESG_xNS9_4plusIvEENS9_8equal_toIvEExEE10hipError_tPvRmT2_T3_T4_T5_mT6_T7_P12ihipStream_tbENKUlT_T0_E_clISt17integral_constantIbLb0EES11_EEDaSW_SX_EUlSW_E_NS1_11comp_targetILNS1_3genE9ELNS1_11target_archE1100ELNS1_3gpuE3ELNS1_3repE0EEENS1_30default_config_static_selectorELNS0_4arch9wavefront6targetE0EEEvT1_.numbered_sgpr, 0
	.set _ZN7rocprim17ROCPRIM_400000_NS6detail17trampoline_kernelINS0_14default_configENS1_27scan_by_key_config_selectorIixEEZZNS1_16scan_by_key_implILNS1_25lookback_scan_determinismE0ELb0ES3_N6thrust23THRUST_200600_302600_NS6detail15normal_iteratorINS9_10device_ptrIiEEEENSB_INSC_IxEEEESG_xNS9_4plusIvEENS9_8equal_toIvEExEE10hipError_tPvRmT2_T3_T4_T5_mT6_T7_P12ihipStream_tbENKUlT_T0_E_clISt17integral_constantIbLb0EES11_EEDaSW_SX_EUlSW_E_NS1_11comp_targetILNS1_3genE9ELNS1_11target_archE1100ELNS1_3gpuE3ELNS1_3repE0EEENS1_30default_config_static_selectorELNS0_4arch9wavefront6targetE0EEEvT1_.num_named_barrier, 0
	.set _ZN7rocprim17ROCPRIM_400000_NS6detail17trampoline_kernelINS0_14default_configENS1_27scan_by_key_config_selectorIixEEZZNS1_16scan_by_key_implILNS1_25lookback_scan_determinismE0ELb0ES3_N6thrust23THRUST_200600_302600_NS6detail15normal_iteratorINS9_10device_ptrIiEEEENSB_INSC_IxEEEESG_xNS9_4plusIvEENS9_8equal_toIvEExEE10hipError_tPvRmT2_T3_T4_T5_mT6_T7_P12ihipStream_tbENKUlT_T0_E_clISt17integral_constantIbLb0EES11_EEDaSW_SX_EUlSW_E_NS1_11comp_targetILNS1_3genE9ELNS1_11target_archE1100ELNS1_3gpuE3ELNS1_3repE0EEENS1_30default_config_static_selectorELNS0_4arch9wavefront6targetE0EEEvT1_.private_seg_size, 0
	.set _ZN7rocprim17ROCPRIM_400000_NS6detail17trampoline_kernelINS0_14default_configENS1_27scan_by_key_config_selectorIixEEZZNS1_16scan_by_key_implILNS1_25lookback_scan_determinismE0ELb0ES3_N6thrust23THRUST_200600_302600_NS6detail15normal_iteratorINS9_10device_ptrIiEEEENSB_INSC_IxEEEESG_xNS9_4plusIvEENS9_8equal_toIvEExEE10hipError_tPvRmT2_T3_T4_T5_mT6_T7_P12ihipStream_tbENKUlT_T0_E_clISt17integral_constantIbLb0EES11_EEDaSW_SX_EUlSW_E_NS1_11comp_targetILNS1_3genE9ELNS1_11target_archE1100ELNS1_3gpuE3ELNS1_3repE0EEENS1_30default_config_static_selectorELNS0_4arch9wavefront6targetE0EEEvT1_.uses_vcc, 0
	.set _ZN7rocprim17ROCPRIM_400000_NS6detail17trampoline_kernelINS0_14default_configENS1_27scan_by_key_config_selectorIixEEZZNS1_16scan_by_key_implILNS1_25lookback_scan_determinismE0ELb0ES3_N6thrust23THRUST_200600_302600_NS6detail15normal_iteratorINS9_10device_ptrIiEEEENSB_INSC_IxEEEESG_xNS9_4plusIvEENS9_8equal_toIvEExEE10hipError_tPvRmT2_T3_T4_T5_mT6_T7_P12ihipStream_tbENKUlT_T0_E_clISt17integral_constantIbLb0EES11_EEDaSW_SX_EUlSW_E_NS1_11comp_targetILNS1_3genE9ELNS1_11target_archE1100ELNS1_3gpuE3ELNS1_3repE0EEENS1_30default_config_static_selectorELNS0_4arch9wavefront6targetE0EEEvT1_.uses_flat_scratch, 0
	.set _ZN7rocprim17ROCPRIM_400000_NS6detail17trampoline_kernelINS0_14default_configENS1_27scan_by_key_config_selectorIixEEZZNS1_16scan_by_key_implILNS1_25lookback_scan_determinismE0ELb0ES3_N6thrust23THRUST_200600_302600_NS6detail15normal_iteratorINS9_10device_ptrIiEEEENSB_INSC_IxEEEESG_xNS9_4plusIvEENS9_8equal_toIvEExEE10hipError_tPvRmT2_T3_T4_T5_mT6_T7_P12ihipStream_tbENKUlT_T0_E_clISt17integral_constantIbLb0EES11_EEDaSW_SX_EUlSW_E_NS1_11comp_targetILNS1_3genE9ELNS1_11target_archE1100ELNS1_3gpuE3ELNS1_3repE0EEENS1_30default_config_static_selectorELNS0_4arch9wavefront6targetE0EEEvT1_.has_dyn_sized_stack, 0
	.set _ZN7rocprim17ROCPRIM_400000_NS6detail17trampoline_kernelINS0_14default_configENS1_27scan_by_key_config_selectorIixEEZZNS1_16scan_by_key_implILNS1_25lookback_scan_determinismE0ELb0ES3_N6thrust23THRUST_200600_302600_NS6detail15normal_iteratorINS9_10device_ptrIiEEEENSB_INSC_IxEEEESG_xNS9_4plusIvEENS9_8equal_toIvEExEE10hipError_tPvRmT2_T3_T4_T5_mT6_T7_P12ihipStream_tbENKUlT_T0_E_clISt17integral_constantIbLb0EES11_EEDaSW_SX_EUlSW_E_NS1_11comp_targetILNS1_3genE9ELNS1_11target_archE1100ELNS1_3gpuE3ELNS1_3repE0EEENS1_30default_config_static_selectorELNS0_4arch9wavefront6targetE0EEEvT1_.has_recursion, 0
	.set _ZN7rocprim17ROCPRIM_400000_NS6detail17trampoline_kernelINS0_14default_configENS1_27scan_by_key_config_selectorIixEEZZNS1_16scan_by_key_implILNS1_25lookback_scan_determinismE0ELb0ES3_N6thrust23THRUST_200600_302600_NS6detail15normal_iteratorINS9_10device_ptrIiEEEENSB_INSC_IxEEEESG_xNS9_4plusIvEENS9_8equal_toIvEExEE10hipError_tPvRmT2_T3_T4_T5_mT6_T7_P12ihipStream_tbENKUlT_T0_E_clISt17integral_constantIbLb0EES11_EEDaSW_SX_EUlSW_E_NS1_11comp_targetILNS1_3genE9ELNS1_11target_archE1100ELNS1_3gpuE3ELNS1_3repE0EEENS1_30default_config_static_selectorELNS0_4arch9wavefront6targetE0EEEvT1_.has_indirect_call, 0
	.section	.AMDGPU.csdata,"",@progbits
; Kernel info:
; codeLenInByte = 0
; TotalNumSgprs: 0
; NumVgprs: 0
; ScratchSize: 0
; MemoryBound: 0
; FloatMode: 240
; IeeeMode: 1
; LDSByteSize: 0 bytes/workgroup (compile time only)
; SGPRBlocks: 0
; VGPRBlocks: 0
; NumSGPRsForWavesPerEU: 1
; NumVGPRsForWavesPerEU: 1
; Occupancy: 16
; WaveLimiterHint : 0
; COMPUTE_PGM_RSRC2:SCRATCH_EN: 0
; COMPUTE_PGM_RSRC2:USER_SGPR: 6
; COMPUTE_PGM_RSRC2:TRAP_HANDLER: 0
; COMPUTE_PGM_RSRC2:TGID_X_EN: 1
; COMPUTE_PGM_RSRC2:TGID_Y_EN: 0
; COMPUTE_PGM_RSRC2:TGID_Z_EN: 0
; COMPUTE_PGM_RSRC2:TIDIG_COMP_CNT: 0
	.section	.text._ZN7rocprim17ROCPRIM_400000_NS6detail17trampoline_kernelINS0_14default_configENS1_27scan_by_key_config_selectorIixEEZZNS1_16scan_by_key_implILNS1_25lookback_scan_determinismE0ELb0ES3_N6thrust23THRUST_200600_302600_NS6detail15normal_iteratorINS9_10device_ptrIiEEEENSB_INSC_IxEEEESG_xNS9_4plusIvEENS9_8equal_toIvEExEE10hipError_tPvRmT2_T3_T4_T5_mT6_T7_P12ihipStream_tbENKUlT_T0_E_clISt17integral_constantIbLb0EES11_EEDaSW_SX_EUlSW_E_NS1_11comp_targetILNS1_3genE8ELNS1_11target_archE1030ELNS1_3gpuE2ELNS1_3repE0EEENS1_30default_config_static_selectorELNS0_4arch9wavefront6targetE0EEEvT1_,"axG",@progbits,_ZN7rocprim17ROCPRIM_400000_NS6detail17trampoline_kernelINS0_14default_configENS1_27scan_by_key_config_selectorIixEEZZNS1_16scan_by_key_implILNS1_25lookback_scan_determinismE0ELb0ES3_N6thrust23THRUST_200600_302600_NS6detail15normal_iteratorINS9_10device_ptrIiEEEENSB_INSC_IxEEEESG_xNS9_4plusIvEENS9_8equal_toIvEExEE10hipError_tPvRmT2_T3_T4_T5_mT6_T7_P12ihipStream_tbENKUlT_T0_E_clISt17integral_constantIbLb0EES11_EEDaSW_SX_EUlSW_E_NS1_11comp_targetILNS1_3genE8ELNS1_11target_archE1030ELNS1_3gpuE2ELNS1_3repE0EEENS1_30default_config_static_selectorELNS0_4arch9wavefront6targetE0EEEvT1_,comdat
	.protected	_ZN7rocprim17ROCPRIM_400000_NS6detail17trampoline_kernelINS0_14default_configENS1_27scan_by_key_config_selectorIixEEZZNS1_16scan_by_key_implILNS1_25lookback_scan_determinismE0ELb0ES3_N6thrust23THRUST_200600_302600_NS6detail15normal_iteratorINS9_10device_ptrIiEEEENSB_INSC_IxEEEESG_xNS9_4plusIvEENS9_8equal_toIvEExEE10hipError_tPvRmT2_T3_T4_T5_mT6_T7_P12ihipStream_tbENKUlT_T0_E_clISt17integral_constantIbLb0EES11_EEDaSW_SX_EUlSW_E_NS1_11comp_targetILNS1_3genE8ELNS1_11target_archE1030ELNS1_3gpuE2ELNS1_3repE0EEENS1_30default_config_static_selectorELNS0_4arch9wavefront6targetE0EEEvT1_ ; -- Begin function _ZN7rocprim17ROCPRIM_400000_NS6detail17trampoline_kernelINS0_14default_configENS1_27scan_by_key_config_selectorIixEEZZNS1_16scan_by_key_implILNS1_25lookback_scan_determinismE0ELb0ES3_N6thrust23THRUST_200600_302600_NS6detail15normal_iteratorINS9_10device_ptrIiEEEENSB_INSC_IxEEEESG_xNS9_4plusIvEENS9_8equal_toIvEExEE10hipError_tPvRmT2_T3_T4_T5_mT6_T7_P12ihipStream_tbENKUlT_T0_E_clISt17integral_constantIbLb0EES11_EEDaSW_SX_EUlSW_E_NS1_11comp_targetILNS1_3genE8ELNS1_11target_archE1030ELNS1_3gpuE2ELNS1_3repE0EEENS1_30default_config_static_selectorELNS0_4arch9wavefront6targetE0EEEvT1_
	.globl	_ZN7rocprim17ROCPRIM_400000_NS6detail17trampoline_kernelINS0_14default_configENS1_27scan_by_key_config_selectorIixEEZZNS1_16scan_by_key_implILNS1_25lookback_scan_determinismE0ELb0ES3_N6thrust23THRUST_200600_302600_NS6detail15normal_iteratorINS9_10device_ptrIiEEEENSB_INSC_IxEEEESG_xNS9_4plusIvEENS9_8equal_toIvEExEE10hipError_tPvRmT2_T3_T4_T5_mT6_T7_P12ihipStream_tbENKUlT_T0_E_clISt17integral_constantIbLb0EES11_EEDaSW_SX_EUlSW_E_NS1_11comp_targetILNS1_3genE8ELNS1_11target_archE1030ELNS1_3gpuE2ELNS1_3repE0EEENS1_30default_config_static_selectorELNS0_4arch9wavefront6targetE0EEEvT1_
	.p2align	8
	.type	_ZN7rocprim17ROCPRIM_400000_NS6detail17trampoline_kernelINS0_14default_configENS1_27scan_by_key_config_selectorIixEEZZNS1_16scan_by_key_implILNS1_25lookback_scan_determinismE0ELb0ES3_N6thrust23THRUST_200600_302600_NS6detail15normal_iteratorINS9_10device_ptrIiEEEENSB_INSC_IxEEEESG_xNS9_4plusIvEENS9_8equal_toIvEExEE10hipError_tPvRmT2_T3_T4_T5_mT6_T7_P12ihipStream_tbENKUlT_T0_E_clISt17integral_constantIbLb0EES11_EEDaSW_SX_EUlSW_E_NS1_11comp_targetILNS1_3genE8ELNS1_11target_archE1030ELNS1_3gpuE2ELNS1_3repE0EEENS1_30default_config_static_selectorELNS0_4arch9wavefront6targetE0EEEvT1_,@function
_ZN7rocprim17ROCPRIM_400000_NS6detail17trampoline_kernelINS0_14default_configENS1_27scan_by_key_config_selectorIixEEZZNS1_16scan_by_key_implILNS1_25lookback_scan_determinismE0ELb0ES3_N6thrust23THRUST_200600_302600_NS6detail15normal_iteratorINS9_10device_ptrIiEEEENSB_INSC_IxEEEESG_xNS9_4plusIvEENS9_8equal_toIvEExEE10hipError_tPvRmT2_T3_T4_T5_mT6_T7_P12ihipStream_tbENKUlT_T0_E_clISt17integral_constantIbLb0EES11_EEDaSW_SX_EUlSW_E_NS1_11comp_targetILNS1_3genE8ELNS1_11target_archE1030ELNS1_3gpuE2ELNS1_3repE0EEENS1_30default_config_static_selectorELNS0_4arch9wavefront6targetE0EEEvT1_: ; @_ZN7rocprim17ROCPRIM_400000_NS6detail17trampoline_kernelINS0_14default_configENS1_27scan_by_key_config_selectorIixEEZZNS1_16scan_by_key_implILNS1_25lookback_scan_determinismE0ELb0ES3_N6thrust23THRUST_200600_302600_NS6detail15normal_iteratorINS9_10device_ptrIiEEEENSB_INSC_IxEEEESG_xNS9_4plusIvEENS9_8equal_toIvEExEE10hipError_tPvRmT2_T3_T4_T5_mT6_T7_P12ihipStream_tbENKUlT_T0_E_clISt17integral_constantIbLb0EES11_EEDaSW_SX_EUlSW_E_NS1_11comp_targetILNS1_3genE8ELNS1_11target_archE1030ELNS1_3gpuE2ELNS1_3repE0EEENS1_30default_config_static_selectorELNS0_4arch9wavefront6targetE0EEEvT1_
; %bb.0:
	s_clause 0x3
	s_load_dwordx8 s[8:15], s[4:5], 0x0
	s_load_dwordx2 s[34:35], s[4:5], 0x50
	s_load_dword s7, s[4:5], 0x58
	s_load_dwordx8 s[24:31], s[4:5], 0x60
	s_mov_b32 s1, 0
	s_load_dwordx8 s[16:23], s[4:5], 0x30
	s_waitcnt lgkmcnt(0)
	s_barrier
	buffer_gl0_inv
	s_lshl_b64 s[2:3], s[10:11], 2
	s_add_u32 s33, s8, s2
	s_addc_u32 s36, s9, s3
	s_lshl_b64 s[8:9], s[10:11], 3
	s_mul_i32 s0, s35, s7
	s_mul_hi_u32 s2, s34, s7
	s_add_u32 s12, s12, s8
	s_addc_u32 s13, s13, s9
	s_add_i32 s37, s2, s0
	s_cmp_lg_u64 s[28:29], 0
	s_mul_i32 s0, s6, 0x300
	s_cselect_b32 s29, -1, 0
	s_lshl_b64 s[2:3], s[0:1], 2
	s_add_u32 s4, s33, s2
	s_addc_u32 s5, s36, s3
	s_lshl_b64 s[10:11], s[0:1], 3
	s_mul_i32 s0, s34, s7
	s_add_u32 s3, s12, s10
	s_addc_u32 s28, s13, s11
	s_add_u32 s12, s0, s6
	s_addc_u32 s13, s37, 0
	s_add_u32 s24, s24, -1
	s_addc_u32 s25, s25, -1
	s_mul_i32 s7, s24, 0xfffffd00
	v_cmp_ge_u64_e64 s23, s[12:13], s[24:25]
	s_and_b32 vcc_lo, exec_lo, s23
	s_cbranch_vccz .LBB1319_22
; %bb.1:
	v_mov_b32_e32 v1, s4
	v_mov_b32_e32 v2, s5
	s_add_i32 s33, s7, s22
	v_cmp_gt_u32_e64 s2, s33, v0
	flat_load_dword v1, v[1:2]
	s_waitcnt vmcnt(0) lgkmcnt(0)
	v_mov_b32_e32 v2, v1
	s_and_saveexec_b32 s0, s2
	s_cbranch_execz .LBB1319_3
; %bb.2:
	v_lshlrev_b32_e32 v2, 2, v0
	v_add_co_u32 v2, s1, s4, v2
	v_add_co_ci_u32_e64 v3, null, s5, 0, s1
	flat_load_dword v2, v[2:3]
.LBB1319_3:
	s_or_b32 exec_lo, exec_lo, s0
	v_or_b32_e32 v11, 0x100, v0
	v_mov_b32_e32 v3, v1
	v_cmp_gt_u32_e64 s1, s33, v11
	s_and_saveexec_b32 s0, s1
	s_cbranch_execz .LBB1319_5
; %bb.4:
	v_lshlrev_b32_e32 v3, 2, v0
	v_add_co_u32 v3, s24, s4, v3
	v_add_co_ci_u32_e64 v4, null, s5, 0, s24
	flat_load_dword v3, v[3:4] offset:1024
.LBB1319_5:
	s_or_b32 exec_lo, exec_lo, s0
	v_or_b32_e32 v10, 0x200, v0
	v_cmp_gt_u32_e64 s0, s33, v10
	s_and_saveexec_b32 s24, s0
	s_cbranch_execz .LBB1319_7
; %bb.6:
	v_lshlrev_b32_e32 v1, 2, v10
	v_add_co_u32 v4, s25, s4, v1
	v_add_co_ci_u32_e64 v5, null, s5, 0, s25
	flat_load_dword v1, v[4:5]
.LBB1319_7:
	s_or_b32 exec_lo, exec_lo, s24
	v_lshlrev_b32_e32 v4, 2, v0
	v_lshlrev_b32_e32 v14, 3, v0
	s_cmp_eq_u64 s[12:13], 0
	s_mov_b64 s[24:25], s[4:5]
	s_waitcnt vmcnt(0) lgkmcnt(0)
	ds_write2st64_b32 v4, v2, v3 offset1:4
	v_add_nc_u32_e32 v2, v4, v14
	ds_write_b32 v4, v1 offset:2048
	s_waitcnt lgkmcnt(0)
	s_barrier
	buffer_gl0_inv
	ds_read2_b32 v[7:8], v2 offset1:1
	ds_read_b32 v9, v2 offset:8
	s_cbranch_scc1 .LBB1319_11
; %bb.8:
	s_andn2_b32 vcc_lo, exec_lo, s29
	s_cbranch_vccnz .LBB1319_145
; %bb.9:
	s_lshl_b64 s[24:25], s[12:13], 2
	s_add_u32 s24, s30, s24
	s_addc_u32 s25, s31, s25
	s_add_u32 s24, s24, -4
	s_addc_u32 s25, s25, -1
	s_cbranch_execnz .LBB1319_11
.LBB1319_10:
	s_add_u32 s24, s4, -4
	s_addc_u32 s25, s5, -1
.LBB1319_11:
	v_mov_b32_e32 v3, s24
	v_mov_b32_e32 v4, s25
	v_sub_nc_u32_e32 v13, v2, v14
	s_mov_b32 s24, exec_lo
	flat_load_dword v12, v[3:4]
	s_waitcnt lgkmcnt(1)
	ds_write_b32 v13, v9 offset:3072
	s_waitcnt vmcnt(0) lgkmcnt(0)
	s_barrier
	buffer_gl0_inv
	v_cmpx_ne_u32_e32 0, v0
; %bb.12:
	ds_read_b32 v12, v13 offset:3068
; %bb.13:
	s_or_b32 exec_lo, exec_lo, s24
	v_mov_b32_e32 v1, 0
	s_waitcnt lgkmcnt(0)
	s_barrier
	buffer_gl0_inv
	v_mov_b32_e32 v2, v1
	v_mov_b32_e32 v3, v1
	;; [unrolled: 1-line block ×5, first 2 shown]
	s_and_saveexec_b32 s24, s2
	s_cbranch_execnz .LBB1319_143
; %bb.14:
	s_or_b32 exec_lo, exec_lo, s24
	s_and_saveexec_b32 s2, s1
	s_cbranch_execnz .LBB1319_144
.LBB1319_15:
	s_or_b32 exec_lo, exec_lo, s2
	s_and_saveexec_b32 s1, s0
	s_cbranch_execz .LBB1319_17
.LBB1319_16:
	v_lshlrev_b32_e32 v5, 3, v10
	v_add_co_u32 v5, s0, s3, v5
	v_add_co_ci_u32_e64 v6, null, s28, 0, s0
	flat_load_dwordx2 v[5:6], v[5:6]
.LBB1319_17:
	s_or_b32 exec_lo, exec_lo, s1
	v_lshl_add_u32 v11, v0, 2, v13
	v_mul_u32_u24_e32 v10, 3, v0
	v_mov_b32_e32 v18, 0
	v_mov_b32_e32 v20, 0
	s_mov_b32 s24, 0
	s_waitcnt vmcnt(0) lgkmcnt(0)
	ds_write2st64_b64 v11, v[1:2], v[3:4] offset1:4
	ds_write_b64 v11, v[5:6] offset:4096
	v_mov_b32_e32 v1, 0
	v_mov_b32_e32 v3, 0
	;; [unrolled: 1-line block ×4, first 2 shown]
	s_mov_b32 s1, 0
	s_mov_b32 s25, exec_lo
	s_waitcnt lgkmcnt(0)
	s_barrier
	buffer_gl0_inv
                                        ; implicit-def: $sgpr2
                                        ; implicit-def: $vgpr5_vgpr6
	v_cmpx_gt_u32_e64 s33, v10
	s_cbranch_execz .LBB1319_21
; %bb.18:
	v_lshlrev_b32_e32 v1, 4, v0
	v_add_nc_u32_e32 v3, 1, v10
	v_mov_b32_e32 v20, 0
	v_cmp_ne_u32_e32 vcc_lo, v12, v7
                                        ; implicit-def: $sgpr2
                                        ; implicit-def: $vgpr5_vgpr6
	v_add_nc_u32_e32 v11, v11, v1
	v_cmp_gt_u32_e64 s0, s33, v3
	v_mov_b32_e32 v3, 0
	v_mov_b32_e32 v4, 0
	ds_read_b64 v[1:2], v11
	s_and_saveexec_b32 s36, s0
	s_xor_b32 s36, exec_lo, s36
	s_cbranch_execz .LBB1319_20
; %bb.19:
	ds_read2_b64 v[3:6], v11 offset0:1 offset1:2
	v_add_nc_u32_e32 v10, 2, v10
	v_cmp_ne_u32_e64 s1, v7, v8
	v_cmp_ne_u32_e64 s2, v8, v9
	v_cmp_gt_u32_e64 s0, s33, v10
	v_cndmask_b32_e64 v20, 0, 1, s1
	s_and_b32 s1, s0, exec_lo
.LBB1319_20:
	s_or_b32 exec_lo, exec_lo, s36
	v_cndmask_b32_e64 v18, 0, 1, vcc_lo
	s_and_b32 s1, s1, exec_lo
.LBB1319_21:
	s_or_b32 exec_lo, exec_lo, s25
	v_lshlrev_b32_e32 v17, 3, v0
	s_and_b32 vcc_lo, exec_lo, s24
	s_cbranch_vccnz .LBB1319_23
	s_branch .LBB1319_31
.LBB1319_22:
                                        ; implicit-def: $sgpr2
                                        ; implicit-def: $vgpr5_vgpr6
                                        ; implicit-def: $vgpr18
                                        ; implicit-def: $vgpr1_vgpr2
                                        ; implicit-def: $vgpr20
	v_lshlrev_b32_e32 v17, 3, v0
	s_cbranch_execz .LBB1319_31
.LBB1319_23:
	s_waitcnt lgkmcnt(0)
	v_lshlrev_b32_e32 v5, 2, v0
	s_cmp_eq_u64 s[12:13], 0
	v_add_co_u32 v1, s0, s4, v5
	v_add_co_ci_u32_e64 v2, null, s5, 0, s0
	v_add_co_u32 v3, vcc_lo, 0x800, v1
	v_add_co_ci_u32_e64 v4, null, 0, v2, vcc_lo
	s_clause 0x2
	flat_load_dword v6, v[1:2]
	flat_load_dword v2, v[1:2] offset:1024
	flat_load_dword v3, v[3:4]
	v_add_nc_u32_e32 v1, v5, v17
	s_waitcnt vmcnt(1) lgkmcnt(1)
	ds_write2st64_b32 v5, v6, v2 offset1:4
	s_waitcnt vmcnt(0) lgkmcnt(1)
	ds_write_b32 v5, v3 offset:2048
	s_waitcnt lgkmcnt(0)
	s_barrier
	buffer_gl0_inv
	ds_read2_b32 v[7:8], v1 offset1:1
	ds_read_b32 v9, v1 offset:8
	s_cbranch_scc1 .LBB1319_28
; %bb.24:
	s_andn2_b32 vcc_lo, exec_lo, s29
	s_cbranch_vccnz .LBB1319_146
; %bb.25:
	s_lshl_b64 s[0:1], s[12:13], 2
	s_add_u32 s0, s30, s0
	s_addc_u32 s1, s31, s1
	s_add_u32 s0, s0, -4
	s_addc_u32 s1, s1, -1
	s_cbranch_execnz .LBB1319_27
.LBB1319_26:
	s_add_u32 s0, s4, -4
	s_addc_u32 s1, s5, -1
.LBB1319_27:
	s_mov_b64 s[4:5], s[0:1]
.LBB1319_28:
	v_mov_b32_e32 v2, s4
	v_mov_b32_e32 v3, s5
	v_sub_nc_u32_e32 v1, v1, v17
	s_mov_b32 s0, exec_lo
	flat_load_dword v10, v[2:3]
	s_waitcnt lgkmcnt(1)
	ds_write_b32 v1, v9 offset:3072
	s_waitcnt vmcnt(0) lgkmcnt(0)
	s_barrier
	buffer_gl0_inv
	v_cmpx_ne_u32_e32 0, v0
; %bb.29:
	ds_read_b32 v10, v1 offset:3068
; %bb.30:
	s_or_b32 exec_lo, exec_lo, s0
	v_add_co_u32 v2, s0, s3, v17
	v_add_co_ci_u32_e64 v3, null, s28, 0, s0
	s_waitcnt lgkmcnt(0)
	v_add_co_u32 v4, vcc_lo, 0x800, v2
	v_add_co_ci_u32_e64 v5, null, 0, v3, vcc_lo
	v_add_co_u32 v11, vcc_lo, 0x1000, v2
	v_add_co_ci_u32_e64 v12, null, 0, v3, vcc_lo
	s_barrier
	buffer_gl0_inv
	s_clause 0x2
	flat_load_dwordx2 v[2:3], v[2:3]
	flat_load_dwordx2 v[4:5], v[4:5]
	;; [unrolled: 1-line block ×3, first 2 shown]
	v_lshl_add_u32 v1, v0, 2, v1
	v_cmp_ne_u32_e32 vcc_lo, v7, v8
	v_cmp_ne_u32_e64 s2, v8, v9
	s_mov_b32 s1, -1
	s_waitcnt vmcnt(1) lgkmcnt(1)
	ds_write2st64_b64 v1, v[2:3], v[4:5] offset1:4
	s_waitcnt vmcnt(0) lgkmcnt(1)
	ds_write_b64 v1, v[11:12] offset:4096
	v_lshl_add_u32 v6, v0, 4, v1
	s_waitcnt lgkmcnt(0)
	s_barrier
	buffer_gl0_inv
	ds_read2_b64 v[1:4], v6 offset1:1
	ds_read_b64 v[5:6], v6 offset:16
	v_cndmask_b32_e64 v20, 0, 1, vcc_lo
	v_cmp_ne_u32_e32 vcc_lo, v10, v7
	v_cndmask_b32_e64 v18, 0, 1, vcc_lo
.LBB1319_31:
	v_mov_b32_e32 v7, 0
	v_mov_b32_e32 v8, 0
	;; [unrolled: 1-line block ×3, first 2 shown]
	s_and_saveexec_b32 s0, s1
	s_cbranch_execz .LBB1319_33
; %bb.32:
	s_waitcnt lgkmcnt(0)
	v_mov_b32_e32 v8, v6
	v_cndmask_b32_e64 v21, 0, 1, s2
	v_mov_b32_e32 v7, v5
.LBB1319_33:
	s_or_b32 exec_lo, exec_lo, s0
	v_and_b32_e32 v22, 1, v21
	v_cmp_eq_u16_e64 s0, 0, v21
	v_mbcnt_lo_u32_b32 v19, -1, 0
	s_cmp_lg_u32 s6, 0
	s_waitcnt lgkmcnt(0)
	v_cmp_eq_u32_e32 vcc_lo, 1, v22
	s_barrier
	buffer_gl0_inv
	s_cbranch_scc0 .LBB1319_91
; %bb.34:
	v_mov_b32_e32 v5, 0
	v_or_b32_e32 v10, v20, v18
	s_mov_b32 s3, exec_lo
	v_cmp_eq_u16_sdwa s1, v20, v5 src0_sel:BYTE_0 src1_sel:DWORD
	v_cndmask_b32_e64 v9, 0, v1, s1
	v_cndmask_b32_e64 v6, 0, v2, s1
	v_add_co_u32 v9, s2, v9, v3
	v_add_co_ci_u32_e64 v6, null, v6, v4, s2
	v_cmp_ne_u16_sdwa s2, v10, v5 src0_sel:BYTE_0 src1_sel:DWORD
	v_cndmask_b32_e64 v9, 0, v9, s0
	v_cndmask_b32_e64 v6, 0, v6, s0
	s_or_b32 s2, s2, vcc_lo
	v_add_co_u32 v9, vcc_lo, v9, v7
	v_cndmask_b32_e64 v5, 0, 1, s2
	v_add_co_ci_u32_e64 v10, null, v6, v8, vcc_lo
	v_and_b32_e32 v6, 15, v19
	v_mov_b32_dpp v12, v9 row_shr:1 row_mask:0xf bank_mask:0xf
	v_mov_b32_dpp v11, v5 row_shr:1 row_mask:0xf bank_mask:0xf
	v_mov_b32_dpp v13, v10 row_shr:1 row_mask:0xf bank_mask:0xf
	v_cmpx_ne_u32_e32 0, v6
; %bb.35:
	v_cndmask_b32_e64 v12, v12, 0, s2
	v_cndmask_b32_e64 v13, v13, 0, s2
	v_and_or_b32 v5, v11, 1, v5
	v_add_co_u32 v9, vcc_lo, v12, v9
	v_add_co_ci_u32_e64 v10, null, v13, v10, vcc_lo
; %bb.36:
	s_or_b32 exec_lo, exec_lo, s3
	v_mov_b32_dpp v12, v9 row_shr:2 row_mask:0xf bank_mask:0xf
	v_mov_b32_dpp v13, v10 row_shr:2 row_mask:0xf bank_mask:0xf
	v_mov_b32_dpp v11, v5 row_shr:2 row_mask:0xf bank_mask:0xf
	s_mov_b32 s2, exec_lo
	v_cmpx_lt_u32_e32 1, v6
	s_cbranch_execz .LBB1319_38
; %bb.37:
	v_cmp_eq_u16_e32 vcc_lo, 0, v5
	v_or_b32_e32 v5, v11, v5
	v_cndmask_b32_e32 v12, 0, v12, vcc_lo
	v_cndmask_b32_e32 v13, 0, v13, vcc_lo
	v_and_b32_e32 v5, 1, v5
	v_add_co_u32 v9, vcc_lo, v12, v9
	v_add_co_ci_u32_e64 v10, null, v13, v10, vcc_lo
.LBB1319_38:
	s_or_b32 exec_lo, exec_lo, s2
	v_mov_b32_dpp v12, v9 row_shr:4 row_mask:0xf bank_mask:0xf
	v_mov_b32_dpp v13, v10 row_shr:4 row_mask:0xf bank_mask:0xf
	v_mov_b32_dpp v11, v5 row_shr:4 row_mask:0xf bank_mask:0xf
	s_mov_b32 s2, exec_lo
	v_cmpx_lt_u32_e32 3, v6
	s_cbranch_execz .LBB1319_40
; %bb.39:
	v_cmp_eq_u16_e32 vcc_lo, 0, v5
	v_or_b32_e32 v5, v11, v5
	v_cndmask_b32_e32 v12, 0, v12, vcc_lo
	v_cndmask_b32_e32 v13, 0, v13, vcc_lo
	v_and_b32_e32 v5, 1, v5
	v_add_co_u32 v9, vcc_lo, v12, v9
	v_add_co_ci_u32_e64 v10, null, v13, v10, vcc_lo
.LBB1319_40:
	;; [unrolled: 16-line block ×3, first 2 shown]
	s_or_b32 exec_lo, exec_lo, s2
	ds_swizzle_b32 v6, v9 offset:swizzle(BROADCAST,32,15)
	ds_swizzle_b32 v12, v10 offset:swizzle(BROADCAST,32,15)
	;; [unrolled: 1-line block ×3, first 2 shown]
	v_and_b32_e32 v11, 16, v19
	v_cmp_ne_u32_e32 vcc_lo, 0, v11
	v_mov_b32_e32 v11, v5
	s_and_saveexec_b32 s4, vcc_lo
	s_cbranch_execz .LBB1319_44
; %bb.43:
	v_cmp_eq_u16_e32 vcc_lo, 0, v5
	v_and_b32_e32 v5, 1, v5
	s_waitcnt lgkmcnt(0)
	v_and_b32_e32 v11, 1, v13
	v_cndmask_b32_e32 v12, 0, v12, vcc_lo
	v_cndmask_b32_e32 v6, 0, v6, vcc_lo
	v_cmp_eq_u32_e32 vcc_lo, 1, v5
	v_cmp_eq_u32_e64 s2, 1, v11
	v_add_co_u32 v9, s3, v6, v9
	s_or_b32 s2, vcc_lo, s2
	v_add_co_ci_u32_e64 v10, null, v12, v10, s3
	v_cndmask_b32_e64 v5, 0, 1, s2
	v_cndmask_b32_e64 v11, 0, 1, s2
.LBB1319_44:
	s_or_b32 exec_lo, exec_lo, s4
	s_waitcnt lgkmcnt(1)
	v_lshrrev_b32_e32 v12, 5, v0
	v_or_b32_e32 v6, 31, v0
	s_mov_b32 s2, exec_lo
	v_lshlrev_b32_e32 v12, 4, v12
	v_cmpx_eq_u32_e64 v0, v6
	s_cbranch_execz .LBB1319_46
; %bb.45:
	ds_write_b64 v12, v[9:10]
	ds_write_b8 v12, v5 offset:8
.LBB1319_46:
	s_or_b32 exec_lo, exec_lo, s2
	s_mov_b32 s4, exec_lo
	s_waitcnt lgkmcnt(0)
	s_barrier
	buffer_gl0_inv
	v_cmpx_gt_u32_e32 8, v0
	s_cbranch_execz .LBB1319_54
; %bb.47:
	v_lshlrev_b32_e32 v13, 4, v0
	v_and_b32_e32 v14, 7, v19
	s_mov_b32 s2, exec_lo
	ds_read_b64 v[5:6], v13
	ds_read_b32 v24, v13 offset:8
	s_waitcnt lgkmcnt(1)
	v_mov_b32_dpp v25, v5 row_shr:1 row_mask:0xf bank_mask:0xf
	v_mov_b32_dpp v26, v6 row_shr:1 row_mask:0xf bank_mask:0xf
	s_waitcnt lgkmcnt(0)
	v_and_b32_e32 v16, 0xffffff00, v24
	v_mov_b32_dpp v27, v24 row_shr:1 row_mask:0xf bank_mask:0xf
	v_mov_b32_e32 v23, v24
	v_mov_b32_e32 v15, v24
	v_cmpx_ne_u32_e32 0, v14
	s_cbranch_execz .LBB1319_49
; %bb.48:
	v_mov_b32_e32 v15, 0
	v_cmp_eq_u16_sdwa vcc_lo, v24, v15 src0_sel:BYTE_0 src1_sel:DWORD
	v_or_b32_e32 v15, v27, v24
	v_cndmask_b32_e32 v25, 0, v25, vcc_lo
	v_cndmask_b32_e32 v24, 0, v26, vcc_lo
	v_and_b32_e32 v23, 1, v15
	v_and_b32_e32 v15, 1, v15
	v_add_co_u32 v5, vcc_lo, v25, v5
	v_add_co_ci_u32_e64 v6, null, v24, v6, vcc_lo
	v_or_b32_e32 v24, v15, v16
.LBB1319_49:
	s_or_b32 exec_lo, exec_lo, s2
	v_mov_b32_dpp v25, v5 row_shr:2 row_mask:0xf bank_mask:0xf
	v_mov_b32_dpp v26, v6 row_shr:2 row_mask:0xf bank_mask:0xf
	;; [unrolled: 1-line block ×3, first 2 shown]
	s_mov_b32 s5, exec_lo
	v_cmpx_lt_u32_e32 1, v14
	s_cbranch_execz .LBB1319_51
; %bb.50:
	v_mov_b32_e32 v23, 0
	v_and_b32_e32 v24, 1, v15
	v_and_b32_e32 v27, 1, v27
	v_cmp_eq_u16_sdwa vcc_lo, v15, v23 src0_sel:BYTE_0 src1_sel:DWORD
	v_cmp_eq_u32_e64 s2, 1, v24
	v_cmp_eq_u32_e64 s3, 1, v27
	v_cndmask_b32_e32 v24, 0, v25, vcc_lo
	v_cndmask_b32_e32 v15, 0, v26, vcc_lo
	s_or_b32 s2, s2, s3
	v_cndmask_b32_e64 v23, 0, 1, s2
	v_cndmask_b32_e64 v25, 0, 1, s2
	v_add_co_u32 v5, vcc_lo, v24, v5
	v_add_co_ci_u32_e64 v6, null, v15, v6, vcc_lo
	v_or_b32_e32 v24, v16, v25
	v_mov_b32_e32 v15, v23
.LBB1319_51:
	s_or_b32 exec_lo, exec_lo, s5
	v_mov_b32_dpp v16, v5 row_shr:4 row_mask:0xf bank_mask:0xf
	v_mov_b32_dpp v25, v6 row_shr:4 row_mask:0xf bank_mask:0xf
	;; [unrolled: 1-line block ×3, first 2 shown]
	s_mov_b32 s5, exec_lo
	v_cmpx_lt_u32_e32 3, v14
	s_cbranch_execz .LBB1319_53
; %bb.52:
	v_mov_b32_e32 v14, 0
	v_cmp_eq_u16_sdwa vcc_lo, v15, v14 src0_sel:BYTE_0 src1_sel:DWORD
	v_and_b32_e32 v14, 1, v15
	v_and_b32_e32 v15, 1, v24
	v_cndmask_b32_e32 v23, 0, v25, vcc_lo
	v_cndmask_b32_e32 v16, 0, v16, vcc_lo
	v_cmp_eq_u32_e32 vcc_lo, 1, v14
	v_cmp_eq_u32_e64 s2, 1, v15
	v_add_co_u32 v5, s3, v16, v5
	s_or_b32 s2, vcc_lo, s2
	v_add_co_ci_u32_e64 v6, null, v23, v6, s3
	v_cndmask_b32_e64 v23, 0, 1, s2
.LBB1319_53:
	s_or_b32 exec_lo, exec_lo, s5
	ds_write_b64 v13, v[5:6]
	ds_write_b8 v13, v23 offset:8
.LBB1319_54:
	s_or_b32 exec_lo, exec_lo, s4
	v_mov_b32_e32 v5, 0
	v_mov_b32_e32 v6, 0
	;; [unrolled: 1-line block ×3, first 2 shown]
	s_mov_b32 s3, exec_lo
	v_cmp_gt_u32_e32 vcc_lo, 32, v0
	s_waitcnt lgkmcnt(0)
	s_barrier
	buffer_gl0_inv
	v_cmpx_lt_u32_e32 31, v0
	s_cbranch_execz .LBB1319_56
; %bb.55:
	v_add_nc_u32_e32 v5, -16, v12
	v_add_nc_u32_e32 v12, -8, v12
	v_cmp_eq_u32_e64 s2, 0, v11
	ds_read_b64 v[5:6], v5
	ds_read_u8 v12, v12
	s_waitcnt lgkmcnt(1)
	v_cndmask_b32_e64 v14, 0, v5, s2
	v_cndmask_b32_e64 v13, 0, v6, s2
	s_waitcnt lgkmcnt(0)
	v_or_b32_e32 v11, v12, v11
	v_and_b32_e32 v23, 1, v12
	v_add_co_u32 v9, s2, v14, v9
	v_add_co_ci_u32_e64 v10, null, v13, v10, s2
	v_and_b32_e32 v11, 1, v11
.LBB1319_56:
	s_or_b32 exec_lo, exec_lo, s3
	v_sub_co_u32 v12, s2, v19, 1
	v_cmp_gt_i32_e64 s3, 0, v12
	v_cndmask_b32_e64 v12, v12, v19, s3
	v_lshlrev_b32_e32 v12, 2, v12
	ds_bpermute_b32 v24, v12, v9
	ds_bpermute_b32 v25, v12, v10
	;; [unrolled: 1-line block ×3, first 2 shown]
	s_and_saveexec_b32 s5, vcc_lo
	s_cbranch_execz .LBB1319_96
; %bb.57:
	v_mov_b32_e32 v13, 0
	ds_read_b64 v[9:10], v13 offset:112
	ds_read_u8 v27, v13 offset:120
	s_and_saveexec_b32 s3, s2
	s_cbranch_execz .LBB1319_59
; %bb.58:
	s_add_i32 s12, s6, 32
	s_mov_b32 s13, 0
	v_mov_b32_e32 v11, 1
	s_lshl_b64 s[24:25], s[12:13], 4
	v_mov_b32_e32 v12, s12
	s_add_u32 s24, s16, s24
	s_addc_u32 s25, s17, s25
	s_waitcnt lgkmcnt(1)
	global_store_dwordx2 v13, v[9:10], s[24:25]
	s_waitcnt lgkmcnt(0)
	global_store_byte v13, v27, s[24:25] offset:8
	s_waitcnt_vscnt null, 0x0
	buffer_gl1_inv
	buffer_gl0_inv
	global_store_byte v12, v11, s[20:21]
.LBB1319_59:
	s_or_b32 exec_lo, exec_lo, s3
	v_xad_u32 v11, v19, -1, s6
	s_mov_b32 s4, 0
	s_mov_b32 s3, exec_lo
	v_add_nc_u32_e32 v12, 32, v11
	global_load_ubyte v28, v12, s[20:21] glc dlc
	s_waitcnt vmcnt(0)
	v_cmpx_eq_u16_e32 0, v28
	s_cbranch_execz .LBB1319_63
; %bb.60:
	v_add_co_u32 v14, s12, s20, v12
	v_add_co_ci_u32_e64 v15, null, s21, 0, s12
.LBB1319_61:                            ; =>This Inner Loop Header: Depth=1
	global_load_ubyte v28, v[14:15], off glc dlc
	s_waitcnt vmcnt(0)
	v_cmp_ne_u16_e32 vcc_lo, 0, v28
	s_or_b32 s4, vcc_lo, s4
	s_andn2_b32 exec_lo, exec_lo, s4
	s_cbranch_execnz .LBB1319_61
; %bb.62:
	s_or_b32 exec_lo, exec_lo, s4
.LBB1319_63:
	s_or_b32 exec_lo, exec_lo, s3
	v_cmp_eq_u16_e32 vcc_lo, 1, v28
	v_mov_b32_e32 v15, s16
	v_mov_b32_e32 v14, s17
	v_lshlrev_b64 v[12:13], 4, v[12:13]
	s_waitcnt lgkmcnt(0)
	s_waitcnt_vscnt null, 0x0
	buffer_gl1_inv
	buffer_gl0_inv
	v_lshlrev_b32_e64 v30, v19, -1
	v_cndmask_b32_e32 v15, s18, v15, vcc_lo
	v_cndmask_b32_e32 v14, s19, v14, vcc_lo
	s_mov_b32 s3, exec_lo
	v_add_co_u32 v12, vcc_lo, v15, v12
	v_add_co_ci_u32_e64 v13, null, v14, v13, vcc_lo
	v_cmp_ne_u32_e32 vcc_lo, 31, v19
	s_clause 0x1
	global_load_ubyte v41, v[12:13], off offset:8
	global_load_dwordx2 v[15:16], v[12:13], off
	v_add_co_ci_u32_e64 v12, null, 0, v19, vcc_lo
	v_cmp_eq_u16_e32 vcc_lo, 2, v28
	v_lshlrev_b32_e32 v29, 2, v12
	v_and_or_b32 v12, vcc_lo, v30, 0x80000000
	v_ffbl_b32_e32 v12, v12
	s_waitcnt vmcnt(1)
	v_and_b32_e32 v13, 1, v41
	s_waitcnt vmcnt(0)
	ds_bpermute_b32 v14, v29, v15
	ds_bpermute_b32 v31, v29, v16
	;; [unrolled: 1-line block ×3, first 2 shown]
	v_cmpx_lt_u32_e64 v19, v12
	s_cbranch_execz .LBB1319_65
; %bb.64:
	v_mov_b32_e32 v13, 0
	v_cmp_eq_u16_sdwa vcc_lo, v41, v13 src0_sel:BYTE_0 src1_sel:DWORD
	s_waitcnt lgkmcnt(0)
	v_and_b32_e32 v13, 1, v32
	v_cndmask_b32_e32 v14, 0, v14, vcc_lo
	v_cndmask_b32_e32 v31, 0, v31, vcc_lo
	v_or_b32_e32 v41, v13, v41
	v_add_co_u32 v15, vcc_lo, v14, v15
	v_add_co_ci_u32_e64 v16, null, v31, v16, vcc_lo
	v_and_b32_e32 v13, 0xff, v41
.LBB1319_65:
	s_or_b32 exec_lo, exec_lo, s3
	v_cmp_gt_u32_e32 vcc_lo, 30, v19
	s_waitcnt lgkmcnt(0)
	v_add_nc_u32_e32 v32, 2, v19
	s_mov_b32 s12, exec_lo
	v_cndmask_b32_e64 v14, 0, 2, vcc_lo
	v_add_lshl_u32 v31, v14, v19, 2
	ds_bpermute_b32 v14, v31, v15
	ds_bpermute_b32 v33, v31, v16
	ds_bpermute_b32 v34, v31, v13
	v_cmpx_le_u32_e64 v32, v12
	s_cbranch_execz .LBB1319_67
; %bb.66:
	v_mov_b32_e32 v13, 0
	v_and_b32_e32 v35, 1, v41
	s_waitcnt lgkmcnt(0)
	v_and_b32_e32 v34, 1, v34
	v_cmp_eq_u16_sdwa vcc_lo, v41, v13 src0_sel:BYTE_0 src1_sel:DWORD
	v_cmp_eq_u32_e64 s3, 1, v35
	v_cmp_eq_u32_e64 s4, 1, v34
	v_cndmask_b32_e32 v14, 0, v14, vcc_lo
	v_cndmask_b32_e32 v13, 0, v33, vcc_lo
	s_or_b32 s3, s3, s4
	v_cndmask_b32_e64 v41, 0, 1, s3
	v_add_co_u32 v15, vcc_lo, v14, v15
	v_add_co_ci_u32_e64 v16, null, v13, v16, vcc_lo
	v_cndmask_b32_e64 v13, 0, 1, s3
.LBB1319_67:
	s_or_b32 exec_lo, exec_lo, s12
	v_cmp_gt_u32_e32 vcc_lo, 28, v19
	s_waitcnt lgkmcnt(0)
	v_add_nc_u32_e32 v34, 4, v19
	s_mov_b32 s12, exec_lo
	v_cndmask_b32_e64 v14, 0, 4, vcc_lo
	v_add_lshl_u32 v33, v14, v19, 2
	ds_bpermute_b32 v14, v33, v15
	ds_bpermute_b32 v35, v33, v16
	ds_bpermute_b32 v36, v33, v13
	v_cmpx_le_u32_e64 v34, v12
	s_cbranch_execz .LBB1319_69
; %bb.68:
	v_mov_b32_e32 v13, 0
	v_and_b32_e32 v37, 1, v41
	s_waitcnt lgkmcnt(0)
	v_and_b32_e32 v36, 1, v36
	v_cmp_eq_u16_sdwa vcc_lo, v41, v13 src0_sel:BYTE_0 src1_sel:DWORD
	v_cmp_eq_u32_e64 s3, 1, v37
	v_cmp_eq_u32_e64 s4, 1, v36
	v_cndmask_b32_e32 v14, 0, v14, vcc_lo
	v_cndmask_b32_e32 v13, 0, v35, vcc_lo
	s_or_b32 s3, s3, s4
	v_cndmask_b32_e64 v41, 0, 1, s3
	v_add_co_u32 v15, vcc_lo, v14, v15
	v_add_co_ci_u32_e64 v16, null, v13, v16, vcc_lo
	v_cndmask_b32_e64 v13, 0, 1, s3
.LBB1319_69:
	;; [unrolled: 28-line block ×3, first 2 shown]
	s_or_b32 exec_lo, exec_lo, s12
	s_waitcnt lgkmcnt(0)
	v_lshl_or_b32 v38, v19, 2, 64
	v_add_nc_u32_e32 v39, 16, v19
	s_mov_b32 s12, exec_lo
	ds_bpermute_b32 v14, v38, v15
	ds_bpermute_b32 v37, v38, v16
	;; [unrolled: 1-line block ×3, first 2 shown]
	v_cmpx_le_u32_e64 v39, v12
	s_cbranch_execz .LBB1319_73
; %bb.72:
	v_mov_b32_e32 v12, 0
	s_waitcnt lgkmcnt(0)
	v_and_b32_e32 v13, 1, v13
	v_cmp_eq_u16_sdwa vcc_lo, v41, v12 src0_sel:BYTE_0 src1_sel:DWORD
	v_and_b32_e32 v12, 1, v41
	v_cmp_eq_u32_e64 s3, 1, v13
	v_cndmask_b32_e32 v37, 0, v37, vcc_lo
	v_cndmask_b32_e32 v14, 0, v14, vcc_lo
	v_cmp_eq_u32_e32 vcc_lo, 1, v12
	v_add_co_u32 v15, s4, v14, v15
	s_or_b32 s3, vcc_lo, s3
	v_add_co_ci_u32_e64 v16, null, v37, v16, s4
	v_cndmask_b32_e64 v41, 0, 1, s3
.LBB1319_73:
	s_or_b32 exec_lo, exec_lo, s12
	v_mov_b32_e32 v12, 0
	v_mov_b32_e32 v40, 2
	s_branch .LBB1319_76
.LBB1319_74:                            ;   in Loop: Header=BB1319_76 Depth=1
	s_or_b32 exec_lo, exec_lo, s13
	v_cmp_eq_u16_sdwa vcc_lo, v37, v12 src0_sel:BYTE_0 src1_sel:DWORD
	v_and_b32_e32 v41, 1, v37
	v_subrev_nc_u32_e32 v11, 32, v11
	v_cndmask_b32_e32 v15, 0, v15, vcc_lo
	v_cndmask_b32_e32 v16, 0, v16, vcc_lo
	v_cmp_eq_u32_e32 vcc_lo, 1, v41
	v_add_co_u32 v15, s3, v15, v13
	v_add_co_ci_u32_e64 v16, null, v16, v14, s3
	s_or_b32 s3, vcc_lo, s12
	v_cndmask_b32_e64 v41, 0, 1, s3
	s_mov_b32 s3, 0
.LBB1319_75:                            ;   in Loop: Header=BB1319_76 Depth=1
	s_and_b32 vcc_lo, exec_lo, s3
	s_cbranch_vccnz .LBB1319_92
.LBB1319_76:                            ; =>This Loop Header: Depth=1
                                        ;     Child Loop BB1319_79 Depth 2
	v_cmp_ne_u16_sdwa s3, v28, v40 src0_sel:BYTE_0 src1_sel:DWORD
	s_waitcnt lgkmcnt(0)
	v_mov_b32_e32 v13, v15
	v_mov_b32_e32 v37, v41
	v_mov_b32_e32 v14, v16
                                        ; implicit-def: $vgpr41
                                        ; implicit-def: $vgpr15_vgpr16
                                        ; implicit-def: $vgpr28
	s_cmp_lg_u32 s3, exec_lo
	s_mov_b32 s3, -1
	s_cbranch_scc1 .LBB1319_75
; %bb.77:                               ;   in Loop: Header=BB1319_76 Depth=1
	global_load_ubyte v28, v11, s[20:21] glc dlc
	s_mov_b32 s3, exec_lo
	s_waitcnt vmcnt(0)
	v_cmpx_eq_u16_e32 0, v28
	s_cbranch_execz .LBB1319_81
; %bb.78:                               ;   in Loop: Header=BB1319_76 Depth=1
	v_add_co_u32 v15, s4, s20, v11
	v_add_co_ci_u32_e64 v16, null, s21, 0, s4
	s_mov_b32 s4, 0
.LBB1319_79:                            ;   Parent Loop BB1319_76 Depth=1
                                        ; =>  This Inner Loop Header: Depth=2
	global_load_ubyte v28, v[15:16], off glc dlc
	s_waitcnt vmcnt(0)
	v_cmp_ne_u16_e32 vcc_lo, 0, v28
	s_or_b32 s4, vcc_lo, s4
	s_andn2_b32 exec_lo, exec_lo, s4
	s_cbranch_execnz .LBB1319_79
; %bb.80:                               ;   in Loop: Header=BB1319_76 Depth=1
	s_or_b32 exec_lo, exec_lo, s4
.LBB1319_81:                            ;   in Loop: Header=BB1319_76 Depth=1
	s_or_b32 exec_lo, exec_lo, s3
	v_cmp_eq_u16_e32 vcc_lo, 1, v28
	v_mov_b32_e32 v42, s16
	v_mov_b32_e32 v41, s17
	v_lshlrev_b64 v[15:16], 4, v[11:12]
	buffer_gl1_inv
	buffer_gl0_inv
	s_mov_b32 s3, exec_lo
	v_cndmask_b32_e32 v42, s18, v42, vcc_lo
	v_cndmask_b32_e32 v41, s19, v41, vcc_lo
	v_add_co_u32 v15, vcc_lo, v42, v15
	v_add_co_ci_u32_e64 v16, null, v41, v16, vcc_lo
	v_cmp_eq_u16_e32 vcc_lo, 2, v28
	s_clause 0x1
	global_load_ubyte v42, v[15:16], off offset:8
	global_load_dwordx2 v[15:16], v[15:16], off
	v_and_or_b32 v41, vcc_lo, v30, 0x80000000
	v_ffbl_b32_e32 v41, v41
	s_waitcnt vmcnt(1)
	v_and_b32_e32 v43, 1, v42
	s_waitcnt vmcnt(0)
	ds_bpermute_b32 v44, v29, v15
	ds_bpermute_b32 v45, v29, v16
	;; [unrolled: 1-line block ×3, first 2 shown]
	v_cmpx_lt_u32_e64 v19, v41
	s_cbranch_execz .LBB1319_83
; %bb.82:                               ;   in Loop: Header=BB1319_76 Depth=1
	v_cmp_eq_u16_sdwa vcc_lo, v42, v12 src0_sel:BYTE_0 src1_sel:DWORD
	s_waitcnt lgkmcnt(0)
	v_and_b32_e32 v43, 1, v46
	v_cndmask_b32_e32 v44, 0, v44, vcc_lo
	v_cndmask_b32_e32 v45, 0, v45, vcc_lo
	v_or_b32_e32 v42, v43, v42
	v_add_co_u32 v15, vcc_lo, v44, v15
	v_add_co_ci_u32_e64 v16, null, v45, v16, vcc_lo
	v_and_b32_e32 v43, 0xff, v42
.LBB1319_83:                            ;   in Loop: Header=BB1319_76 Depth=1
	s_or_b32 exec_lo, exec_lo, s3
	s_waitcnt lgkmcnt(2)
	ds_bpermute_b32 v44, v31, v15
	s_waitcnt lgkmcnt(2)
	ds_bpermute_b32 v45, v31, v16
	;; [unrolled: 2-line block ×3, first 2 shown]
	v_and_b32_e32 v47, 1, v42
	s_mov_b32 s4, exec_lo
	v_cmp_eq_u32_e64 s12, 1, v47
	v_cmpx_le_u32_e64 v32, v41
	s_cbranch_execz .LBB1319_85
; %bb.84:                               ;   in Loop: Header=BB1319_76 Depth=1
	v_cmp_eq_u16_sdwa vcc_lo, v42, v12 src0_sel:BYTE_0 src1_sel:DWORD
	s_waitcnt lgkmcnt(0)
	v_and_b32_e32 v42, 1, v46
	v_cndmask_b32_e32 v44, 0, v44, vcc_lo
	v_cndmask_b32_e32 v43, 0, v45, vcc_lo
	v_cmp_eq_u32_e32 vcc_lo, 1, v42
	v_add_co_u32 v15, s3, v44, v15
	v_add_co_ci_u32_e64 v16, null, v43, v16, s3
	s_or_b32 s3, s12, vcc_lo
	s_andn2_b32 s12, s12, exec_lo
	v_cndmask_b32_e64 v42, 0, 1, s3
	v_cndmask_b32_e64 v43, 0, 1, s3
	s_and_b32 s3, s3, exec_lo
	s_or_b32 s12, s12, s3
.LBB1319_85:                            ;   in Loop: Header=BB1319_76 Depth=1
	s_or_b32 exec_lo, exec_lo, s4
	s_waitcnt lgkmcnt(2)
	ds_bpermute_b32 v44, v33, v15
	s_waitcnt lgkmcnt(2)
	ds_bpermute_b32 v45, v33, v16
	s_waitcnt lgkmcnt(2)
	ds_bpermute_b32 v46, v33, v43
	s_mov_b32 s13, exec_lo
	v_cmpx_le_u32_e64 v34, v41
	s_cbranch_execz .LBB1319_87
; %bb.86:                               ;   in Loop: Header=BB1319_76 Depth=1
	v_cmp_eq_u16_sdwa vcc_lo, v42, v12 src0_sel:BYTE_0 src1_sel:DWORD
	v_and_b32_e32 v42, 1, v42
	s_waitcnt lgkmcnt(0)
	v_and_b32_e32 v43, 1, v46
	v_cndmask_b32_e32 v45, 0, v45, vcc_lo
	v_cndmask_b32_e32 v44, 0, v44, vcc_lo
	v_cmp_eq_u32_e32 vcc_lo, 1, v42
	v_cmp_eq_u32_e64 s3, 1, v43
	v_add_co_u32 v15, s4, v44, v15
	s_or_b32 s3, vcc_lo, s3
	v_add_co_ci_u32_e64 v16, null, v45, v16, s4
	v_cndmask_b32_e64 v42, 0, 1, s3
	v_cndmask_b32_e64 v43, 0, 1, s3
	s_andn2_b32 s4, s12, exec_lo
	s_and_b32 s3, s3, exec_lo
	s_or_b32 s12, s4, s3
.LBB1319_87:                            ;   in Loop: Header=BB1319_76 Depth=1
	s_or_b32 exec_lo, exec_lo, s13
	s_waitcnt lgkmcnt(2)
	ds_bpermute_b32 v44, v35, v15
	s_waitcnt lgkmcnt(2)
	ds_bpermute_b32 v45, v35, v16
	;; [unrolled: 2-line block ×3, first 2 shown]
	s_mov_b32 s13, exec_lo
	v_cmpx_le_u32_e64 v36, v41
	s_cbranch_execz .LBB1319_89
; %bb.88:                               ;   in Loop: Header=BB1319_76 Depth=1
	v_cmp_eq_u16_sdwa vcc_lo, v42, v12 src0_sel:BYTE_0 src1_sel:DWORD
	v_and_b32_e32 v42, 1, v42
	s_waitcnt lgkmcnt(0)
	v_and_b32_e32 v43, 1, v46
	v_cndmask_b32_e32 v45, 0, v45, vcc_lo
	v_cndmask_b32_e32 v44, 0, v44, vcc_lo
	v_cmp_eq_u32_e32 vcc_lo, 1, v42
	v_cmp_eq_u32_e64 s3, 1, v43
	v_add_co_u32 v15, s4, v44, v15
	s_or_b32 s3, vcc_lo, s3
	v_add_co_ci_u32_e64 v16, null, v45, v16, s4
	v_cndmask_b32_e64 v42, 0, 1, s3
	v_cndmask_b32_e64 v43, 0, 1, s3
	s_andn2_b32 s4, s12, exec_lo
	s_and_b32 s3, s3, exec_lo
	s_or_b32 s12, s4, s3
.LBB1319_89:                            ;   in Loop: Header=BB1319_76 Depth=1
	s_or_b32 exec_lo, exec_lo, s13
	s_waitcnt lgkmcnt(2)
	ds_bpermute_b32 v44, v38, v15
	s_waitcnt lgkmcnt(2)
	ds_bpermute_b32 v45, v38, v16
	ds_bpermute_b32 v43, v38, v43
	s_mov_b32 s13, exec_lo
	v_cmpx_le_u32_e64 v39, v41
	s_cbranch_execz .LBB1319_74
; %bb.90:                               ;   in Loop: Header=BB1319_76 Depth=1
	v_cmp_eq_u16_sdwa vcc_lo, v42, v12 src0_sel:BYTE_0 src1_sel:DWORD
	v_and_b32_e32 v41, 1, v42
	s_waitcnt lgkmcnt(0)
	v_and_b32_e32 v42, 1, v43
	v_cndmask_b32_e32 v44, 0, v44, vcc_lo
	v_cndmask_b32_e32 v43, 0, v45, vcc_lo
	v_cmp_eq_u32_e32 vcc_lo, 1, v41
	v_cmp_eq_u32_e64 s3, 1, v42
	v_add_co_u32 v15, s4, v44, v15
	v_add_co_ci_u32_e64 v16, null, v43, v16, s4
	s_or_b32 s3, vcc_lo, s3
	s_andn2_b32 s4, s12, exec_lo
	s_and_b32 s3, s3, exec_lo
	s_or_b32 s12, s4, s3
	s_branch .LBB1319_74
.LBB1319_91:
                                        ; implicit-def: $vgpr9_vgpr10
                                        ; implicit-def: $vgpr5_vgpr6
                                        ; implicit-def: $vgpr11_vgpr12
	s_cbranch_execnz .LBB1319_97
	s_branch .LBB1319_126
.LBB1319_92:
	s_and_saveexec_b32 s3, s2
	s_cbranch_execz .LBB1319_94
; %bb.93:
	v_mov_b32_e32 v11, 0
	v_or_b32_e32 v12, v27, v37
	s_mov_b32 s13, 0
	s_add_i32 s12, s6, 32
	v_mov_b32_e32 v15, 2
	v_cmp_eq_u32_sdwa vcc_lo, v27, v11 src0_sel:BYTE_0 src1_sel:DWORD
	s_lshl_b64 s[16:17], s[12:13], 4
	v_mov_b32_e32 v28, s12
	v_and_b32_e32 v12, 1, v12
	s_add_u32 s12, s18, s16
	v_cndmask_b32_e32 v27, 0, v13, vcc_lo
	v_cndmask_b32_e32 v16, 0, v14, vcc_lo
	s_addc_u32 s13, s19, s17
	v_add_co_u32 v9, vcc_lo, v27, v9
	v_add_co_ci_u32_e64 v10, null, v16, v10, vcc_lo
	global_store_byte v11, v12, s[12:13] offset:8
	global_store_dwordx2 v11, v[9:10], s[12:13]
	s_waitcnt lgkmcnt(0)
	s_waitcnt_vscnt null, 0x0
	buffer_gl1_inv
	buffer_gl0_inv
	global_store_byte v28, v15, s[20:21]
.LBB1319_94:
	s_or_b32 exec_lo, exec_lo, s3
	v_cmp_eq_u32_e32 vcc_lo, 0, v0
	s_and_b32 exec_lo, exec_lo, vcc_lo
	s_cbranch_execz .LBB1319_96
; %bb.95:
	v_mov_b32_e32 v9, 0
	ds_write_b64 v9, v[13:14] offset:112
	ds_write_b8 v9, v37 offset:120
.LBB1319_96:
	s_or_b32 exec_lo, exec_lo, s5
	s_waitcnt lgkmcnt(0)
	v_cndmask_b32_e64 v9, v26, v23, s2
	v_and_b32_e32 v12, 1, v18
	v_mov_b32_e32 v11, 0
	s_waitcnt_vscnt null, 0x0
	s_barrier
	v_and_b32_e32 v13, 1, v9
	v_cmp_eq_u32_e32 vcc_lo, 1, v12
	buffer_gl0_inv
	ds_read_b64 v[9:10], v11 offset:112
	v_cndmask_b32_e64 v6, v25, v6, s2
	v_cmp_eq_u32_e64 s3, 1, v13
	v_cndmask_b32_e64 v5, v24, v5, s2
	v_cmp_eq_u32_e64 s2, 0, v0
	s_or_b32 s3, vcc_lo, s3
	v_cmp_eq_u16_sdwa vcc_lo, v18, v11 src0_sel:BYTE_0 src1_sel:DWORD
	v_cndmask_b32_e64 v12, 0, 1, s3
	v_cndmask_b32_e32 v5, 0, v5, vcc_lo
	v_cndmask_b32_e64 v12, v12, v18, s2
	v_cndmask_b32_e32 v6, 0, v6, vcc_lo
	v_cndmask_b32_e64 v5, v5, 0, s2
	v_cmp_eq_u16_sdwa vcc_lo, v12, v11 src0_sel:BYTE_0 src1_sel:DWORD
	v_cndmask_b32_e64 v6, v6, 0, s2
	s_waitcnt lgkmcnt(0)
	v_cndmask_b32_e32 v10, 0, v10, vcc_lo
	v_cndmask_b32_e32 v9, 0, v9, vcc_lo
	v_add_co_u32 v5, vcc_lo, v5, v1
	v_add_co_ci_u32_e64 v6, null, v6, v2, vcc_lo
	v_add_co_u32 v11, vcc_lo, v5, v9
	v_add_co_ci_u32_e64 v12, null, v6, v10, vcc_lo
	v_cndmask_b32_e64 v5, 0, v11, s1
	v_cndmask_b32_e64 v6, 0, v12, s1
	v_add_co_u32 v5, vcc_lo, v5, v3
	v_add_co_ci_u32_e64 v6, null, v6, v4, vcc_lo
	v_cndmask_b32_e64 v9, 0, v5, s0
	v_cndmask_b32_e64 v10, 0, v6, s0
	v_add_co_u32 v9, vcc_lo, v9, v7
	v_add_co_ci_u32_e64 v10, null, v10, v8, vcc_lo
	s_branch .LBB1319_126
.LBB1319_97:
	s_cmp_lg_u64 s[34:35], 0
	v_cmp_eq_u32_e32 vcc_lo, 0, v0
	s_cselect_b32 s1, -1, 0
	s_cmp_lg_u64 s[26:27], 0
	v_cmp_ne_u32_e64 s0, 0, v0
	s_cselect_b32 s2, -1, 0
	s_and_b32 s1, s1, s2
	s_and_b32 s1, vcc_lo, s1
	s_and_saveexec_b32 s2, s1
	s_cbranch_execz .LBB1319_99
; %bb.98:
	v_mov_b32_e32 v9, 0
	s_clause 0x1
	global_load_dwordx2 v[5:6], v9, s[26:27]
	global_load_ubyte v10, v9, s[26:27] offset:8
	v_cmp_eq_u16_sdwa s1, v18, v9 src0_sel:BYTE_0 src1_sel:DWORD
	s_waitcnt vmcnt(1)
	v_cndmask_b32_e64 v5, 0, v5, s1
	v_cndmask_b32_e64 v6, 0, v6, s1
	s_waitcnt vmcnt(0)
	v_or_b32_e32 v9, v18, v10
	v_add_co_u32 v1, s1, v5, v1
	v_add_co_ci_u32_e64 v2, null, v6, v2, s1
	v_and_b32_e32 v18, 1, v9
.LBB1319_99:
	s_or_b32 exec_lo, exec_lo, s2
	v_mov_b32_e32 v9, 0
	v_or_b32_e32 v10, v18, v20
	v_cmp_eq_u32_e64 s3, 1, v22
	v_and_b32_e32 v15, 15, v19
	s_mov_b32 s5, exec_lo
	v_cmp_eq_u16_sdwa s1, v20, v9 src0_sel:BYTE_0 src1_sel:DWORD
	v_cmp_ne_u16_sdwa s4, v10, v9 src0_sel:BYTE_0 src1_sel:DWORD
	v_cndmask_b32_e64 v5, 0, v1, s1
	v_cndmask_b32_e64 v6, 0, v2, s1
	s_or_b32 s4, s4, s3
	v_cndmask_b32_e64 v20, 0, 1, s4
	v_add_co_u32 v5, s2, v5, v3
	v_add_co_ci_u32_e64 v6, null, v6, v4, s2
	v_cmp_eq_u16_e64 s2, 0, v21
	v_mov_b32_dpp v16, v20 row_shr:1 row_mask:0xf bank_mask:0xf
	v_cndmask_b32_e64 v9, 0, v5, s2
	v_cndmask_b32_e64 v10, 0, v6, s2
	v_add_co_u32 v9, s3, v9, v7
	v_add_co_ci_u32_e64 v10, null, v10, v8, s3
	v_mov_b32_dpp v21, v9 row_shr:1 row_mask:0xf bank_mask:0xf
	v_mov_b32_e32 v13, v9
	v_mov_b32_e32 v12, v10
	v_mov_b32_dpp v22, v10 row_shr:1 row_mask:0xf bank_mask:0xf
	v_mov_b32_e32 v11, v9
	v_mov_b32_e32 v14, v10
	v_cmpx_ne_u32_e32 0, v15
	s_cbranch_execz .LBB1319_101
; %bb.100:
	v_cndmask_b32_e64 v11, v21, 0, s4
	v_cndmask_b32_e64 v12, v22, 0, s4
	v_and_or_b32 v20, v16, 1, v20
	v_add_co_u32 v11, s3, v11, v9
	v_add_co_ci_u32_e64 v12, null, v12, v10, s3
	v_mov_b32_e32 v13, v11
	v_mov_b32_e32 v14, v12
.LBB1319_101:
	s_or_b32 exec_lo, exec_lo, s5
	v_mov_b32_dpp v21, v13 row_shr:2 row_mask:0xf bank_mask:0xf
	v_mov_b32_dpp v22, v14 row_shr:2 row_mask:0xf bank_mask:0xf
	v_mov_b32_dpp v16, v20 row_shr:2 row_mask:0xf bank_mask:0xf
	s_mov_b32 s4, exec_lo
	v_cmpx_lt_u32_e32 1, v15
	s_cbranch_execz .LBB1319_103
; %bb.102:
	v_cmp_eq_u16_e64 s3, 0, v20
	v_or_b32_e32 v16, v16, v20
	v_cndmask_b32_e64 v13, 0, v21, s3
	v_cndmask_b32_e64 v14, 0, v22, s3
	v_and_b32_e32 v20, 1, v16
	v_add_co_u32 v13, s3, v13, v11
	v_add_co_ci_u32_e64 v14, null, v14, v12, s3
	v_mov_b32_e32 v11, v13
	v_mov_b32_e32 v12, v14
.LBB1319_103:
	s_or_b32 exec_lo, exec_lo, s4
	v_mov_b32_dpp v21, v13 row_shr:4 row_mask:0xf bank_mask:0xf
	v_mov_b32_dpp v22, v14 row_shr:4 row_mask:0xf bank_mask:0xf
	v_mov_b32_dpp v16, v20 row_shr:4 row_mask:0xf bank_mask:0xf
	s_mov_b32 s4, exec_lo
	v_cmpx_lt_u32_e32 3, v15
	s_cbranch_execz .LBB1319_105
; %bb.104:
	v_cmp_eq_u16_e64 s3, 0, v20
	v_or_b32_e32 v16, v16, v20
	v_cndmask_b32_e64 v13, 0, v21, s3
	v_cndmask_b32_e64 v14, 0, v22, s3
	v_and_b32_e32 v20, 1, v16
	v_add_co_u32 v13, s3, v13, v11
	v_add_co_ci_u32_e64 v14, null, v14, v12, s3
	v_mov_b32_e32 v11, v13
	v_mov_b32_e32 v12, v14
.LBB1319_105:
	;; [unrolled: 18-line block ×3, first 2 shown]
	s_or_b32 exec_lo, exec_lo, s4
	ds_swizzle_b32 v13, v13 offset:swizzle(BROADCAST,32,15)
	ds_swizzle_b32 v14, v14 offset:swizzle(BROADCAST,32,15)
	;; [unrolled: 1-line block ×3, first 2 shown]
	v_and_b32_e32 v15, 16, v19
	v_cmp_ne_u32_e64 s3, 0, v15
	v_mov_b32_e32 v15, v20
	s_and_saveexec_b32 s6, s3
	s_cbranch_execz .LBB1319_109
; %bb.108:
	v_cmp_eq_u16_e64 s3, 0, v20
	v_and_b32_e32 v15, 1, v20
	s_waitcnt lgkmcnt(0)
	v_and_b32_e32 v16, 1, v16
	v_cndmask_b32_e64 v14, 0, v14, s3
	v_cndmask_b32_e64 v13, 0, v13, s3
	v_cmp_eq_u32_e64 s3, 1, v15
	v_cmp_eq_u32_e64 s4, 1, v16
	v_add_co_u32 v11, s5, v13, v11
	s_or_b32 s3, s3, s4
	v_add_co_ci_u32_e64 v12, null, v14, v12, s5
	v_cndmask_b32_e64 v20, 0, 1, s3
	v_cndmask_b32_e64 v15, 0, 1, s3
.LBB1319_109:
	s_or_b32 exec_lo, exec_lo, s6
	s_waitcnt lgkmcnt(2)
	v_or_b32_e32 v13, 31, v0
	s_waitcnt lgkmcnt(0)
	v_lshrrev_b32_e32 v16, 5, v0
	s_mov_b32 s4, exec_lo
	v_cmpx_eq_u32_e64 v0, v13
	s_cbranch_execz .LBB1319_111
; %bb.110:
	v_lshlrev_b32_e32 v13, 4, v16
	ds_write_b64 v13, v[11:12]
	ds_write_b8 v13, v20 offset:8
.LBB1319_111:
	s_or_b32 exec_lo, exec_lo, s4
	s_mov_b32 s6, exec_lo
	s_waitcnt lgkmcnt(0)
	s_barrier
	buffer_gl0_inv
	v_cmpx_gt_u32_e32 8, v0
	s_cbranch_execz .LBB1319_119
; %bb.112:
	v_lshlrev_b32_e32 v20, 4, v0
	v_and_b32_e32 v21, 7, v19
	s_mov_b32 s4, exec_lo
	ds_read_b64 v[13:14], v20
	ds_read_b32 v25, v20 offset:8
	s_waitcnt lgkmcnt(1)
	v_mov_b32_dpp v26, v13 row_shr:1 row_mask:0xf bank_mask:0xf
	v_mov_b32_dpp v27, v14 row_shr:1 row_mask:0xf bank_mask:0xf
	s_waitcnt lgkmcnt(0)
	v_and_b32_e32 v23, 0xffffff00, v25
	v_mov_b32_dpp v28, v25 row_shr:1 row_mask:0xf bank_mask:0xf
	v_mov_b32_e32 v24, v25
	v_mov_b32_e32 v22, v25
	v_cmpx_ne_u32_e32 0, v21
	s_cbranch_execz .LBB1319_114
; %bb.113:
	v_mov_b32_e32 v22, 0
	v_cmp_eq_u16_sdwa s3, v25, v22 src0_sel:BYTE_0 src1_sel:DWORD
	v_or_b32_e32 v22, v28, v25
	v_cndmask_b32_e64 v26, 0, v26, s3
	v_cndmask_b32_e64 v25, 0, v27, s3
	v_and_b32_e32 v24, 1, v22
	v_and_b32_e32 v22, 1, v22
	v_add_co_u32 v13, s3, v26, v13
	v_add_co_ci_u32_e64 v14, null, v25, v14, s3
	v_or_b32_e32 v25, v22, v23
.LBB1319_114:
	s_or_b32 exec_lo, exec_lo, s4
	v_mov_b32_dpp v26, v13 row_shr:2 row_mask:0xf bank_mask:0xf
	v_mov_b32_dpp v27, v14 row_shr:2 row_mask:0xf bank_mask:0xf
	;; [unrolled: 1-line block ×3, first 2 shown]
	s_mov_b32 s12, exec_lo
	v_cmpx_lt_u32_e32 1, v21
	s_cbranch_execz .LBB1319_116
; %bb.115:
	v_mov_b32_e32 v24, 0
	v_and_b32_e32 v25, 1, v22
	v_and_b32_e32 v28, 1, v28
	v_cmp_eq_u16_sdwa s3, v22, v24 src0_sel:BYTE_0 src1_sel:DWORD
	v_cmp_eq_u32_e64 s4, 1, v25
	v_cmp_eq_u32_e64 s5, 1, v28
	v_cndmask_b32_e64 v22, 0, v27, s3
	v_cndmask_b32_e64 v25, 0, v26, s3
	s_or_b32 s3, s4, s5
	v_cndmask_b32_e64 v24, 0, 1, s3
	v_cndmask_b32_e64 v26, 0, 1, s3
	v_add_co_u32 v13, s3, v25, v13
	v_add_co_ci_u32_e64 v14, null, v22, v14, s3
	v_or_b32_e32 v25, v23, v26
	v_mov_b32_e32 v22, v24
.LBB1319_116:
	s_or_b32 exec_lo, exec_lo, s12
	v_mov_b32_dpp v23, v13 row_shr:4 row_mask:0xf bank_mask:0xf
	v_mov_b32_dpp v26, v14 row_shr:4 row_mask:0xf bank_mask:0xf
	;; [unrolled: 1-line block ×3, first 2 shown]
	s_mov_b32 s12, exec_lo
	v_cmpx_lt_u32_e32 3, v21
	s_cbranch_execz .LBB1319_118
; %bb.117:
	v_mov_b32_e32 v21, 0
	v_cmp_eq_u16_sdwa s3, v22, v21 src0_sel:BYTE_0 src1_sel:DWORD
	v_and_b32_e32 v21, 1, v22
	v_and_b32_e32 v22, 1, v25
	v_cndmask_b32_e64 v24, 0, v26, s3
	v_cndmask_b32_e64 v23, 0, v23, s3
	v_cmp_eq_u32_e64 s3, 1, v21
	v_cmp_eq_u32_e64 s4, 1, v22
	v_add_co_u32 v13, s5, v23, v13
	s_or_b32 s3, s3, s4
	v_add_co_ci_u32_e64 v14, null, v24, v14, s5
	v_cndmask_b32_e64 v24, 0, 1, s3
.LBB1319_118:
	s_or_b32 exec_lo, exec_lo, s12
	ds_write_b64 v20, v[13:14]
	ds_write_b8 v20, v24 offset:8
.LBB1319_119:
	s_or_b32 exec_lo, exec_lo, s6
	v_mov_b32_e32 v13, 0
	v_mov_b32_e32 v14, 0
	s_mov_b32 s4, exec_lo
	s_waitcnt lgkmcnt(0)
	s_barrier
	buffer_gl0_inv
	v_cmpx_lt_u32_e32 31, v0
	s_cbranch_execz .LBB1319_121
; %bb.120:
	v_lshl_add_u32 v13, v16, 4, -16
	v_cmp_eq_u32_e64 s3, 0, v15
	ds_read_b64 v[13:14], v13
	s_waitcnt lgkmcnt(0)
	v_cndmask_b32_e64 v16, 0, v13, s3
	v_cndmask_b32_e64 v15, 0, v14, s3
	v_add_co_u32 v11, s3, v16, v11
	v_add_co_ci_u32_e64 v12, null, v15, v12, s3
.LBB1319_121:
	s_or_b32 exec_lo, exec_lo, s4
	v_add_nc_u32_e32 v15, -1, v19
	v_cmp_gt_i32_e64 s3, 0, v15
	v_cndmask_b32_e64 v15, v15, v19, s3
	v_lshlrev_b32_e32 v15, 2, v15
	ds_bpermute_b32 v11, v15, v11
	ds_bpermute_b32 v12, v15, v12
	s_and_saveexec_b32 s3, s0
	s_cbranch_execz .LBB1319_123
; %bb.122:
	v_cmp_eq_u32_e64 s0, 0, v19
	v_mov_b32_e32 v5, 0
	;;#ASMSTART
	;;#ASMEND
	s_waitcnt lgkmcnt(1)
	v_cndmask_b32_e64 v6, v11, v13, s0
	s_waitcnt lgkmcnt(0)
	v_cndmask_b32_e64 v9, v12, v14, s0
	v_cmp_eq_u16_sdwa s0, v18, v5 src0_sel:BYTE_0 src1_sel:DWORD
	v_cndmask_b32_e64 v6, 0, v6, s0
	v_cndmask_b32_e64 v5, 0, v9, s0
	v_add_co_u32 v1, s0, v6, v1
	v_add_co_ci_u32_e64 v2, null, v5, v2, s0
	v_cndmask_b32_e64 v5, 0, v1, s1
	v_cndmask_b32_e64 v6, 0, v2, s1
	v_add_co_u32 v5, s0, v5, v3
	v_add_co_ci_u32_e64 v6, null, v6, v4, s0
	;; [unrolled: 4-line block ×3, first 2 shown]
.LBB1319_123:
	s_or_b32 exec_lo, exec_lo, s3
	s_and_saveexec_b32 s0, vcc_lo
	s_cbranch_execz .LBB1319_125
; %bb.124:
	v_mov_b32_e32 v7, 0
	s_waitcnt lgkmcnt(1)
	v_mov_b32_e32 v11, 2
	ds_read_b64 v[3:4], v7 offset:112
	ds_read_u8 v8, v7 offset:120
	s_waitcnt lgkmcnt(1)
	global_store_dwordx2 v7, v[3:4], s[18:19] offset:512
	s_waitcnt lgkmcnt(0)
	global_store_byte v7, v8, s[18:19] offset:520
	s_waitcnt_vscnt null, 0x0
	buffer_gl1_inv
	buffer_gl0_inv
	global_store_byte v7, v11, s[20:21] offset:32
.LBB1319_125:
	s_or_b32 exec_lo, exec_lo, s0
	s_waitcnt lgkmcnt(0)
	v_mov_b32_e32 v12, v2
	v_mov_b32_e32 v11, v1
.LBB1319_126:
	s_add_u32 s0, s14, s8
	s_addc_u32 s1, s15, s9
	s_add_u32 s0, s0, s10
	s_addc_u32 s1, s1, s11
	s_and_b32 vcc_lo, exec_lo, s23
	s_cbranch_vccz .LBB1319_138
; %bb.127:
	v_mov_b32_e32 v7, 0
	v_mov_b32_e32 v8, 0
	;; [unrolled: 1-line block ×4, first 2 shown]
	v_mul_u32_u24_e32 v13, 3, v0
	s_add_i32 s7, s7, s22
	v_mov_b32_e32 v4, v8
	v_mov_b32_e32 v2, v8
	s_mov_b32 s2, exec_lo
	v_cmpx_gt_u32_e64 s7, v13
	s_cbranch_execz .LBB1319_133
; %bb.128:
	v_mov_b32_e32 v1, 0
	v_mov_b32_e32 v3, 0
	v_add_nc_u32_e32 v7, 1, v13
	v_mov_b32_e32 v2, 0
	v_mov_b32_e32 v4, 0
	s_mov_b32 s3, exec_lo
	v_cmpx_gt_u32_e64 s7, v7
	s_cbranch_execz .LBB1319_132
; %bb.129:
	v_mov_b32_e32 v1, 0
	v_add_nc_u32_e32 v3, 2, v13
	v_mov_b32_e32 v2, 0
	s_mov_b32 s4, exec_lo
	v_cmpx_gt_u32_e64 s7, v3
; %bb.130:
	v_mov_b32_e32 v1, v9
	v_mov_b32_e32 v2, v10
; %bb.131:
	s_or_b32 exec_lo, exec_lo, s4
	v_mov_b32_e32 v3, v5
	v_mov_b32_e32 v4, v6
.LBB1319_132:
	s_or_b32 exec_lo, exec_lo, s3
	v_mov_b32_e32 v7, v11
	v_mov_b32_e32 v8, v12
.LBB1319_133:
	s_or_b32 exec_lo, exec_lo, s2
	v_lshlrev_b32_e32 v13, 3, v13
	v_lshlrev_b32_e32 v14, 4, v0
	s_waitcnt_vscnt null, 0x0
	s_barrier
	buffer_gl0_inv
	ds_write2_b64 v13, v[7:8], v[3:4] offset1:1
	v_sub_nc_u32_e32 v3, v13, v14
	ds_write_b64 v13, v[1:2] offset:16
	s_waitcnt lgkmcnt(0)
	s_barrier
	buffer_gl0_inv
	ds_read2st64_b64 v[1:4], v3 offset0:4 offset1:8
	v_add_co_u32 v7, s2, s0, v17
	v_add_co_ci_u32_e64 v8, null, s1, 0, s2
	s_mov_b32 s2, exec_lo
	v_cmpx_gt_u32_e64 s7, v0
	s_cbranch_execz .LBB1319_135
; %bb.134:
	v_sub_nc_u32_e32 v14, 0, v14
	v_add_nc_u32_e32 v13, v13, v14
	ds_read_b64 v[13:14], v13
	s_waitcnt lgkmcnt(0)
	flat_store_dwordx2 v[7:8], v[13:14]
.LBB1319_135:
	s_or_b32 exec_lo, exec_lo, s2
	v_or_b32_e32 v13, 0x100, v0
	s_mov_b32 s2, exec_lo
	v_cmpx_gt_u32_e64 s7, v13
	s_cbranch_execz .LBB1319_137
; %bb.136:
	v_add_co_u32 v7, vcc_lo, 0x800, v7
	v_add_co_ci_u32_e64 v8, null, 0, v8, vcc_lo
	s_waitcnt lgkmcnt(0)
	flat_store_dwordx2 v[7:8], v[1:2]
.LBB1319_137:
	s_or_b32 exec_lo, exec_lo, s2
	s_waitcnt lgkmcnt(0)
	v_or_b32_e32 v1, 0x200, v0
	v_cmp_gt_u32_e64 s2, s7, v1
	s_branch .LBB1319_140
.LBB1319_138:
	s_mov_b32 s2, 0
                                        ; implicit-def: $vgpr3_vgpr4
	s_cbranch_execz .LBB1319_140
; %bb.139:
	v_mul_u32_u24_e32 v1, 24, v0
	v_lshlrev_b32_e32 v2, 4, v0
	s_waitcnt_vscnt null, 0x0
	s_barrier
	buffer_gl0_inv
	ds_write2_b64 v1, v[11:12], v[5:6] offset1:1
	v_sub_nc_u32_e32 v2, v1, v2
	ds_write_b64 v1, v[9:10] offset:16
	s_waitcnt lgkmcnt(0)
	s_barrier
	buffer_gl0_inv
	ds_read2st64_b64 v[5:8], v2 offset1:4
	ds_read_b64 v[3:4], v2 offset:4096
	v_add_co_u32 v1, s3, s0, v17
	v_add_co_ci_u32_e64 v2, null, s1, 0, s3
	s_or_b32 s2, s2, exec_lo
	v_add_co_u32 v9, vcc_lo, 0x800, v1
	v_add_co_ci_u32_e64 v10, null, 0, v2, vcc_lo
	s_waitcnt lgkmcnt(1)
	flat_store_dwordx2 v[1:2], v[5:6]
	flat_store_dwordx2 v[9:10], v[7:8]
.LBB1319_140:
	s_and_saveexec_b32 s3, s2
	s_cbranch_execnz .LBB1319_142
; %bb.141:
	s_endpgm
.LBB1319_142:
	v_lshlrev_b32_e32 v0, 3, v0
	v_add_co_u32 v0, s0, s0, v0
	v_add_co_ci_u32_e64 v1, null, s1, 0, s0
	v_add_co_u32 v0, vcc_lo, 0x1000, v0
	v_add_co_ci_u32_e64 v1, null, 0, v1, vcc_lo
	s_waitcnt lgkmcnt(2)
	flat_store_dwordx2 v[0:1], v[3:4]
	s_endpgm
.LBB1319_143:
	v_add_co_u32 v2, s2, s3, v14
	v_add_co_ci_u32_e64 v3, null, s28, 0, s2
	v_mov_b32_e32 v16, v1
	v_mov_b32_e32 v17, v1
	v_mov_b32_e32 v18, v1
	flat_load_dwordx2 v[14:15], v[2:3]
	v_mov_b32_e32 v19, v1
	s_waitcnt vmcnt(0) lgkmcnt(0)
	v_mov_b32_e32 v1, v14
	v_mov_b32_e32 v2, v15
	;; [unrolled: 1-line block ×6, first 2 shown]
	s_or_b32 exec_lo, exec_lo, s24
	s_and_saveexec_b32 s2, s1
	s_cbranch_execz .LBB1319_15
.LBB1319_144:
	v_lshlrev_b32_e32 v3, 3, v11
	v_add_co_u32 v3, s1, s3, v3
	v_add_co_ci_u32_e64 v4, null, s28, 0, s1
	flat_load_dwordx2 v[3:4], v[3:4]
	s_or_b32 exec_lo, exec_lo, s2
	s_and_saveexec_b32 s1, s0
	s_cbranch_execnz .LBB1319_16
	s_branch .LBB1319_17
.LBB1319_145:
                                        ; implicit-def: $sgpr24_sgpr25
	s_branch .LBB1319_10
.LBB1319_146:
                                        ; implicit-def: $sgpr0_sgpr1
	s_branch .LBB1319_26
	.section	.rodata,"a",@progbits
	.p2align	6, 0x0
	.amdhsa_kernel _ZN7rocprim17ROCPRIM_400000_NS6detail17trampoline_kernelINS0_14default_configENS1_27scan_by_key_config_selectorIixEEZZNS1_16scan_by_key_implILNS1_25lookback_scan_determinismE0ELb0ES3_N6thrust23THRUST_200600_302600_NS6detail15normal_iteratorINS9_10device_ptrIiEEEENSB_INSC_IxEEEESG_xNS9_4plusIvEENS9_8equal_toIvEExEE10hipError_tPvRmT2_T3_T4_T5_mT6_T7_P12ihipStream_tbENKUlT_T0_E_clISt17integral_constantIbLb0EES11_EEDaSW_SX_EUlSW_E_NS1_11comp_targetILNS1_3genE8ELNS1_11target_archE1030ELNS1_3gpuE2ELNS1_3repE0EEENS1_30default_config_static_selectorELNS0_4arch9wavefront6targetE0EEEvT1_
		.amdhsa_group_segment_fixed_size 6144
		.amdhsa_private_segment_fixed_size 0
		.amdhsa_kernarg_size 136
		.amdhsa_user_sgpr_count 6
		.amdhsa_user_sgpr_private_segment_buffer 1
		.amdhsa_user_sgpr_dispatch_ptr 0
		.amdhsa_user_sgpr_queue_ptr 0
		.amdhsa_user_sgpr_kernarg_segment_ptr 1
		.amdhsa_user_sgpr_dispatch_id 0
		.amdhsa_user_sgpr_flat_scratch_init 0
		.amdhsa_user_sgpr_private_segment_size 0
		.amdhsa_wavefront_size32 1
		.amdhsa_uses_dynamic_stack 0
		.amdhsa_system_sgpr_private_segment_wavefront_offset 0
		.amdhsa_system_sgpr_workgroup_id_x 1
		.amdhsa_system_sgpr_workgroup_id_y 0
		.amdhsa_system_sgpr_workgroup_id_z 0
		.amdhsa_system_sgpr_workgroup_info 0
		.amdhsa_system_vgpr_workitem_id 0
		.amdhsa_next_free_vgpr 48
		.amdhsa_next_free_sgpr 38
		.amdhsa_reserve_vcc 1
		.amdhsa_reserve_flat_scratch 1
		.amdhsa_float_round_mode_32 0
		.amdhsa_float_round_mode_16_64 0
		.amdhsa_float_denorm_mode_32 3
		.amdhsa_float_denorm_mode_16_64 3
		.amdhsa_dx10_clamp 1
		.amdhsa_ieee_mode 1
		.amdhsa_fp16_overflow 0
		.amdhsa_workgroup_processor_mode 1
		.amdhsa_memory_ordered 1
		.amdhsa_forward_progress 1
		.amdhsa_shared_vgpr_count 0
		.amdhsa_exception_fp_ieee_invalid_op 0
		.amdhsa_exception_fp_denorm_src 0
		.amdhsa_exception_fp_ieee_div_zero 0
		.amdhsa_exception_fp_ieee_overflow 0
		.amdhsa_exception_fp_ieee_underflow 0
		.amdhsa_exception_fp_ieee_inexact 0
		.amdhsa_exception_int_div_zero 0
	.end_amdhsa_kernel
	.section	.text._ZN7rocprim17ROCPRIM_400000_NS6detail17trampoline_kernelINS0_14default_configENS1_27scan_by_key_config_selectorIixEEZZNS1_16scan_by_key_implILNS1_25lookback_scan_determinismE0ELb0ES3_N6thrust23THRUST_200600_302600_NS6detail15normal_iteratorINS9_10device_ptrIiEEEENSB_INSC_IxEEEESG_xNS9_4plusIvEENS9_8equal_toIvEExEE10hipError_tPvRmT2_T3_T4_T5_mT6_T7_P12ihipStream_tbENKUlT_T0_E_clISt17integral_constantIbLb0EES11_EEDaSW_SX_EUlSW_E_NS1_11comp_targetILNS1_3genE8ELNS1_11target_archE1030ELNS1_3gpuE2ELNS1_3repE0EEENS1_30default_config_static_selectorELNS0_4arch9wavefront6targetE0EEEvT1_,"axG",@progbits,_ZN7rocprim17ROCPRIM_400000_NS6detail17trampoline_kernelINS0_14default_configENS1_27scan_by_key_config_selectorIixEEZZNS1_16scan_by_key_implILNS1_25lookback_scan_determinismE0ELb0ES3_N6thrust23THRUST_200600_302600_NS6detail15normal_iteratorINS9_10device_ptrIiEEEENSB_INSC_IxEEEESG_xNS9_4plusIvEENS9_8equal_toIvEExEE10hipError_tPvRmT2_T3_T4_T5_mT6_T7_P12ihipStream_tbENKUlT_T0_E_clISt17integral_constantIbLb0EES11_EEDaSW_SX_EUlSW_E_NS1_11comp_targetILNS1_3genE8ELNS1_11target_archE1030ELNS1_3gpuE2ELNS1_3repE0EEENS1_30default_config_static_selectorELNS0_4arch9wavefront6targetE0EEEvT1_,comdat
.Lfunc_end1319:
	.size	_ZN7rocprim17ROCPRIM_400000_NS6detail17trampoline_kernelINS0_14default_configENS1_27scan_by_key_config_selectorIixEEZZNS1_16scan_by_key_implILNS1_25lookback_scan_determinismE0ELb0ES3_N6thrust23THRUST_200600_302600_NS6detail15normal_iteratorINS9_10device_ptrIiEEEENSB_INSC_IxEEEESG_xNS9_4plusIvEENS9_8equal_toIvEExEE10hipError_tPvRmT2_T3_T4_T5_mT6_T7_P12ihipStream_tbENKUlT_T0_E_clISt17integral_constantIbLb0EES11_EEDaSW_SX_EUlSW_E_NS1_11comp_targetILNS1_3genE8ELNS1_11target_archE1030ELNS1_3gpuE2ELNS1_3repE0EEENS1_30default_config_static_selectorELNS0_4arch9wavefront6targetE0EEEvT1_, .Lfunc_end1319-_ZN7rocprim17ROCPRIM_400000_NS6detail17trampoline_kernelINS0_14default_configENS1_27scan_by_key_config_selectorIixEEZZNS1_16scan_by_key_implILNS1_25lookback_scan_determinismE0ELb0ES3_N6thrust23THRUST_200600_302600_NS6detail15normal_iteratorINS9_10device_ptrIiEEEENSB_INSC_IxEEEESG_xNS9_4plusIvEENS9_8equal_toIvEExEE10hipError_tPvRmT2_T3_T4_T5_mT6_T7_P12ihipStream_tbENKUlT_T0_E_clISt17integral_constantIbLb0EES11_EEDaSW_SX_EUlSW_E_NS1_11comp_targetILNS1_3genE8ELNS1_11target_archE1030ELNS1_3gpuE2ELNS1_3repE0EEENS1_30default_config_static_selectorELNS0_4arch9wavefront6targetE0EEEvT1_
                                        ; -- End function
	.set _ZN7rocprim17ROCPRIM_400000_NS6detail17trampoline_kernelINS0_14default_configENS1_27scan_by_key_config_selectorIixEEZZNS1_16scan_by_key_implILNS1_25lookback_scan_determinismE0ELb0ES3_N6thrust23THRUST_200600_302600_NS6detail15normal_iteratorINS9_10device_ptrIiEEEENSB_INSC_IxEEEESG_xNS9_4plusIvEENS9_8equal_toIvEExEE10hipError_tPvRmT2_T3_T4_T5_mT6_T7_P12ihipStream_tbENKUlT_T0_E_clISt17integral_constantIbLb0EES11_EEDaSW_SX_EUlSW_E_NS1_11comp_targetILNS1_3genE8ELNS1_11target_archE1030ELNS1_3gpuE2ELNS1_3repE0EEENS1_30default_config_static_selectorELNS0_4arch9wavefront6targetE0EEEvT1_.num_vgpr, 48
	.set _ZN7rocprim17ROCPRIM_400000_NS6detail17trampoline_kernelINS0_14default_configENS1_27scan_by_key_config_selectorIixEEZZNS1_16scan_by_key_implILNS1_25lookback_scan_determinismE0ELb0ES3_N6thrust23THRUST_200600_302600_NS6detail15normal_iteratorINS9_10device_ptrIiEEEENSB_INSC_IxEEEESG_xNS9_4plusIvEENS9_8equal_toIvEExEE10hipError_tPvRmT2_T3_T4_T5_mT6_T7_P12ihipStream_tbENKUlT_T0_E_clISt17integral_constantIbLb0EES11_EEDaSW_SX_EUlSW_E_NS1_11comp_targetILNS1_3genE8ELNS1_11target_archE1030ELNS1_3gpuE2ELNS1_3repE0EEENS1_30default_config_static_selectorELNS0_4arch9wavefront6targetE0EEEvT1_.num_agpr, 0
	.set _ZN7rocprim17ROCPRIM_400000_NS6detail17trampoline_kernelINS0_14default_configENS1_27scan_by_key_config_selectorIixEEZZNS1_16scan_by_key_implILNS1_25lookback_scan_determinismE0ELb0ES3_N6thrust23THRUST_200600_302600_NS6detail15normal_iteratorINS9_10device_ptrIiEEEENSB_INSC_IxEEEESG_xNS9_4plusIvEENS9_8equal_toIvEExEE10hipError_tPvRmT2_T3_T4_T5_mT6_T7_P12ihipStream_tbENKUlT_T0_E_clISt17integral_constantIbLb0EES11_EEDaSW_SX_EUlSW_E_NS1_11comp_targetILNS1_3genE8ELNS1_11target_archE1030ELNS1_3gpuE2ELNS1_3repE0EEENS1_30default_config_static_selectorELNS0_4arch9wavefront6targetE0EEEvT1_.numbered_sgpr, 38
	.set _ZN7rocprim17ROCPRIM_400000_NS6detail17trampoline_kernelINS0_14default_configENS1_27scan_by_key_config_selectorIixEEZZNS1_16scan_by_key_implILNS1_25lookback_scan_determinismE0ELb0ES3_N6thrust23THRUST_200600_302600_NS6detail15normal_iteratorINS9_10device_ptrIiEEEENSB_INSC_IxEEEESG_xNS9_4plusIvEENS9_8equal_toIvEExEE10hipError_tPvRmT2_T3_T4_T5_mT6_T7_P12ihipStream_tbENKUlT_T0_E_clISt17integral_constantIbLb0EES11_EEDaSW_SX_EUlSW_E_NS1_11comp_targetILNS1_3genE8ELNS1_11target_archE1030ELNS1_3gpuE2ELNS1_3repE0EEENS1_30default_config_static_selectorELNS0_4arch9wavefront6targetE0EEEvT1_.num_named_barrier, 0
	.set _ZN7rocprim17ROCPRIM_400000_NS6detail17trampoline_kernelINS0_14default_configENS1_27scan_by_key_config_selectorIixEEZZNS1_16scan_by_key_implILNS1_25lookback_scan_determinismE0ELb0ES3_N6thrust23THRUST_200600_302600_NS6detail15normal_iteratorINS9_10device_ptrIiEEEENSB_INSC_IxEEEESG_xNS9_4plusIvEENS9_8equal_toIvEExEE10hipError_tPvRmT2_T3_T4_T5_mT6_T7_P12ihipStream_tbENKUlT_T0_E_clISt17integral_constantIbLb0EES11_EEDaSW_SX_EUlSW_E_NS1_11comp_targetILNS1_3genE8ELNS1_11target_archE1030ELNS1_3gpuE2ELNS1_3repE0EEENS1_30default_config_static_selectorELNS0_4arch9wavefront6targetE0EEEvT1_.private_seg_size, 0
	.set _ZN7rocprim17ROCPRIM_400000_NS6detail17trampoline_kernelINS0_14default_configENS1_27scan_by_key_config_selectorIixEEZZNS1_16scan_by_key_implILNS1_25lookback_scan_determinismE0ELb0ES3_N6thrust23THRUST_200600_302600_NS6detail15normal_iteratorINS9_10device_ptrIiEEEENSB_INSC_IxEEEESG_xNS9_4plusIvEENS9_8equal_toIvEExEE10hipError_tPvRmT2_T3_T4_T5_mT6_T7_P12ihipStream_tbENKUlT_T0_E_clISt17integral_constantIbLb0EES11_EEDaSW_SX_EUlSW_E_NS1_11comp_targetILNS1_3genE8ELNS1_11target_archE1030ELNS1_3gpuE2ELNS1_3repE0EEENS1_30default_config_static_selectorELNS0_4arch9wavefront6targetE0EEEvT1_.uses_vcc, 1
	.set _ZN7rocprim17ROCPRIM_400000_NS6detail17trampoline_kernelINS0_14default_configENS1_27scan_by_key_config_selectorIixEEZZNS1_16scan_by_key_implILNS1_25lookback_scan_determinismE0ELb0ES3_N6thrust23THRUST_200600_302600_NS6detail15normal_iteratorINS9_10device_ptrIiEEEENSB_INSC_IxEEEESG_xNS9_4plusIvEENS9_8equal_toIvEExEE10hipError_tPvRmT2_T3_T4_T5_mT6_T7_P12ihipStream_tbENKUlT_T0_E_clISt17integral_constantIbLb0EES11_EEDaSW_SX_EUlSW_E_NS1_11comp_targetILNS1_3genE8ELNS1_11target_archE1030ELNS1_3gpuE2ELNS1_3repE0EEENS1_30default_config_static_selectorELNS0_4arch9wavefront6targetE0EEEvT1_.uses_flat_scratch, 1
	.set _ZN7rocprim17ROCPRIM_400000_NS6detail17trampoline_kernelINS0_14default_configENS1_27scan_by_key_config_selectorIixEEZZNS1_16scan_by_key_implILNS1_25lookback_scan_determinismE0ELb0ES3_N6thrust23THRUST_200600_302600_NS6detail15normal_iteratorINS9_10device_ptrIiEEEENSB_INSC_IxEEEESG_xNS9_4plusIvEENS9_8equal_toIvEExEE10hipError_tPvRmT2_T3_T4_T5_mT6_T7_P12ihipStream_tbENKUlT_T0_E_clISt17integral_constantIbLb0EES11_EEDaSW_SX_EUlSW_E_NS1_11comp_targetILNS1_3genE8ELNS1_11target_archE1030ELNS1_3gpuE2ELNS1_3repE0EEENS1_30default_config_static_selectorELNS0_4arch9wavefront6targetE0EEEvT1_.has_dyn_sized_stack, 0
	.set _ZN7rocprim17ROCPRIM_400000_NS6detail17trampoline_kernelINS0_14default_configENS1_27scan_by_key_config_selectorIixEEZZNS1_16scan_by_key_implILNS1_25lookback_scan_determinismE0ELb0ES3_N6thrust23THRUST_200600_302600_NS6detail15normal_iteratorINS9_10device_ptrIiEEEENSB_INSC_IxEEEESG_xNS9_4plusIvEENS9_8equal_toIvEExEE10hipError_tPvRmT2_T3_T4_T5_mT6_T7_P12ihipStream_tbENKUlT_T0_E_clISt17integral_constantIbLb0EES11_EEDaSW_SX_EUlSW_E_NS1_11comp_targetILNS1_3genE8ELNS1_11target_archE1030ELNS1_3gpuE2ELNS1_3repE0EEENS1_30default_config_static_selectorELNS0_4arch9wavefront6targetE0EEEvT1_.has_recursion, 0
	.set _ZN7rocprim17ROCPRIM_400000_NS6detail17trampoline_kernelINS0_14default_configENS1_27scan_by_key_config_selectorIixEEZZNS1_16scan_by_key_implILNS1_25lookback_scan_determinismE0ELb0ES3_N6thrust23THRUST_200600_302600_NS6detail15normal_iteratorINS9_10device_ptrIiEEEENSB_INSC_IxEEEESG_xNS9_4plusIvEENS9_8equal_toIvEExEE10hipError_tPvRmT2_T3_T4_T5_mT6_T7_P12ihipStream_tbENKUlT_T0_E_clISt17integral_constantIbLb0EES11_EEDaSW_SX_EUlSW_E_NS1_11comp_targetILNS1_3genE8ELNS1_11target_archE1030ELNS1_3gpuE2ELNS1_3repE0EEENS1_30default_config_static_selectorELNS0_4arch9wavefront6targetE0EEEvT1_.has_indirect_call, 0
	.section	.AMDGPU.csdata,"",@progbits
; Kernel info:
; codeLenInByte = 7512
; TotalNumSgprs: 40
; NumVgprs: 48
; ScratchSize: 0
; MemoryBound: 0
; FloatMode: 240
; IeeeMode: 1
; LDSByteSize: 6144 bytes/workgroup (compile time only)
; SGPRBlocks: 0
; VGPRBlocks: 5
; NumSGPRsForWavesPerEU: 40
; NumVGPRsForWavesPerEU: 48
; Occupancy: 16
; WaveLimiterHint : 1
; COMPUTE_PGM_RSRC2:SCRATCH_EN: 0
; COMPUTE_PGM_RSRC2:USER_SGPR: 6
; COMPUTE_PGM_RSRC2:TRAP_HANDLER: 0
; COMPUTE_PGM_RSRC2:TGID_X_EN: 1
; COMPUTE_PGM_RSRC2:TGID_Y_EN: 0
; COMPUTE_PGM_RSRC2:TGID_Z_EN: 0
; COMPUTE_PGM_RSRC2:TIDIG_COMP_CNT: 0
	.section	.text._ZN7rocprim17ROCPRIM_400000_NS6detail30init_device_scan_by_key_kernelINS1_19lookback_scan_stateINS0_5tupleIJxbEEELb1ELb0EEEN6thrust23THRUST_200600_302600_NS6detail15normal_iteratorINS8_10device_ptrIiEEEEjNS1_16block_id_wrapperIjLb1EEEEEvT_jjPNSG_10value_typeET0_PNSt15iterator_traitsISJ_E10value_typeEmT1_T2_,"axG",@progbits,_ZN7rocprim17ROCPRIM_400000_NS6detail30init_device_scan_by_key_kernelINS1_19lookback_scan_stateINS0_5tupleIJxbEEELb1ELb0EEEN6thrust23THRUST_200600_302600_NS6detail15normal_iteratorINS8_10device_ptrIiEEEEjNS1_16block_id_wrapperIjLb1EEEEEvT_jjPNSG_10value_typeET0_PNSt15iterator_traitsISJ_E10value_typeEmT1_T2_,comdat
	.protected	_ZN7rocprim17ROCPRIM_400000_NS6detail30init_device_scan_by_key_kernelINS1_19lookback_scan_stateINS0_5tupleIJxbEEELb1ELb0EEEN6thrust23THRUST_200600_302600_NS6detail15normal_iteratorINS8_10device_ptrIiEEEEjNS1_16block_id_wrapperIjLb1EEEEEvT_jjPNSG_10value_typeET0_PNSt15iterator_traitsISJ_E10value_typeEmT1_T2_ ; -- Begin function _ZN7rocprim17ROCPRIM_400000_NS6detail30init_device_scan_by_key_kernelINS1_19lookback_scan_stateINS0_5tupleIJxbEEELb1ELb0EEEN6thrust23THRUST_200600_302600_NS6detail15normal_iteratorINS8_10device_ptrIiEEEEjNS1_16block_id_wrapperIjLb1EEEEEvT_jjPNSG_10value_typeET0_PNSt15iterator_traitsISJ_E10value_typeEmT1_T2_
	.globl	_ZN7rocprim17ROCPRIM_400000_NS6detail30init_device_scan_by_key_kernelINS1_19lookback_scan_stateINS0_5tupleIJxbEEELb1ELb0EEEN6thrust23THRUST_200600_302600_NS6detail15normal_iteratorINS8_10device_ptrIiEEEEjNS1_16block_id_wrapperIjLb1EEEEEvT_jjPNSG_10value_typeET0_PNSt15iterator_traitsISJ_E10value_typeEmT1_T2_
	.p2align	8
	.type	_ZN7rocprim17ROCPRIM_400000_NS6detail30init_device_scan_by_key_kernelINS1_19lookback_scan_stateINS0_5tupleIJxbEEELb1ELb0EEEN6thrust23THRUST_200600_302600_NS6detail15normal_iteratorINS8_10device_ptrIiEEEEjNS1_16block_id_wrapperIjLb1EEEEEvT_jjPNSG_10value_typeET0_PNSt15iterator_traitsISJ_E10value_typeEmT1_T2_,@function
_ZN7rocprim17ROCPRIM_400000_NS6detail30init_device_scan_by_key_kernelINS1_19lookback_scan_stateINS0_5tupleIJxbEEELb1ELb0EEEN6thrust23THRUST_200600_302600_NS6detail15normal_iteratorINS8_10device_ptrIiEEEEjNS1_16block_id_wrapperIjLb1EEEEEvT_jjPNSG_10value_typeET0_PNSt15iterator_traitsISJ_E10value_typeEmT1_T2_: ; @_ZN7rocprim17ROCPRIM_400000_NS6detail30init_device_scan_by_key_kernelINS1_19lookback_scan_stateINS0_5tupleIJxbEEELb1ELb0EEEN6thrust23THRUST_200600_302600_NS6detail15normal_iteratorINS8_10device_ptrIiEEEEjNS1_16block_id_wrapperIjLb1EEEEEvT_jjPNSG_10value_typeET0_PNSt15iterator_traitsISJ_E10value_typeEmT1_T2_
; %bb.0:
	s_clause 0x2
	s_load_dword s0, s[4:5], 0x5c
	s_load_dwordx8 s[8:15], s[4:5], 0x10
	s_load_dword s18, s[4:5], 0x50
	s_waitcnt lgkmcnt(0)
	s_and_b32 s19, s0, 0xffff
	s_cmp_eq_u64 s[12:13], 0
	v_mad_u64_u32 v[0:1], null, s6, s19, v[0:1]
	s_cbranch_scc1 .LBB1320_9
; %bb.1:
	s_cmp_lt_u32 s11, s10
	s_mov_b32 s7, 0
	s_cselect_b32 s0, s11, 0
	s_mov_b32 s20, exec_lo
	v_cmpx_eq_u32_e64 s0, v0
	s_cbranch_execz .LBB1320_8
; %bb.2:
	s_add_i32 s6, s11, 32
	s_load_dwordx4 s[0:3], s[4:5], 0x0
	v_mov_b32_e32 v1, s6
	s_add_u32 s16, s8, s6
	s_addc_u32 s17, s9, 0
	global_load_ubyte v2, v1, s[8:9] glc dlc
	v_mov_b32_e32 v1, 0
	s_waitcnt vmcnt(0)
	v_cmp_ne_u32_sdwa s11, v2, v1 src0_sel:WORD_0 src1_sel:DWORD
	v_readfirstlane_b32 s21, v2
	s_and_b32 vcc_lo, exec_lo, s11
	s_cbranch_vccnz .LBB1320_7
; %bb.3:
	s_mov_b32 s11, 1
.LBB1320_4:                             ; =>This Loop Header: Depth=1
                                        ;     Child Loop BB1320_5 Depth 2
	s_mov_b32 s21, s11
.LBB1320_5:                             ;   Parent Loop BB1320_4 Depth=1
                                        ; =>  This Inner Loop Header: Depth=2
	s_add_i32 s21, s21, -1
	s_sleep 1
	s_cmp_eq_u32 s21, 0
	s_cbranch_scc0 .LBB1320_5
; %bb.6:                                ;   in Loop: Header=BB1320_4 Depth=1
	global_load_ubyte v2, v1, s[16:17] glc dlc
	s_cmp_lt_u32 s11, 32
	s_cselect_b32 s21, -1, 0
	s_cmp_lg_u32 s21, 0
	s_addc_u32 s11, s11, 0
	s_waitcnt vmcnt(0)
	v_cmp_ne_u32_sdwa s22, v2, v1 src0_sel:WORD_0 src1_sel:DWORD
	v_readfirstlane_b32 s21, v2
	s_and_b32 vcc_lo, exec_lo, s22
	s_cbranch_vccz .LBB1320_4
.LBB1320_7:
	s_and_b32 s11, 0xffff, s21
	v_mov_b32_e32 v3, 0
	s_cmp_eq_u32 s11, 1
	s_waitcnt lgkmcnt(0)
	buffer_gl1_inv
	buffer_gl0_inv
	s_cselect_b32 s3, s1, s3
	s_cselect_b32 s2, s0, s2
	s_lshl_b64 s[0:1], s[6:7], 4
	s_add_u32 s0, s2, s0
	s_addc_u32 s1, s3, s1
	s_clause 0x1
	global_load_dwordx2 v[1:2], v3, s[0:1]
	global_load_ubyte v4, v3, s[0:1] offset:8
	s_waitcnt vmcnt(1)
	global_store_dwordx2 v3, v[1:2], s[12:13]
	s_waitcnt vmcnt(0)
	global_store_byte v3, v4, s[12:13] offset:8
.LBB1320_8:
	s_or_b32 exec_lo, exec_lo, s20
.LBB1320_9:
	s_mov_b32 s0, exec_lo
	v_cmpx_eq_u32_e32 0, v0
	s_cbranch_execz .LBB1320_11
; %bb.10:
	s_load_dwordx2 s[2:3], s[4:5], 0x48
	v_mov_b32_e32 v1, 0
	s_waitcnt lgkmcnt(0)
	global_store_dword v1, v1, s[2:3]
.LBB1320_11:
	s_or_b32 exec_lo, exec_lo, s0
	s_mov_b32 s0, exec_lo
	v_cmpx_gt_u32_e64 s10, v0
	s_cbranch_execz .LBB1320_13
; %bb.12:
	v_add_nc_u32_e32 v1, 32, v0
	v_mov_b32_e32 v2, 0
	global_store_byte v1, v2, s[8:9]
.LBB1320_13:
	s_or_b32 exec_lo, exec_lo, s0
	v_mov_b32_e32 v1, 0
	s_mov_b32 s0, exec_lo
	v_cmpx_gt_u32_e32 32, v0
	s_cbranch_execz .LBB1320_15
; %bb.14:
	v_add_co_u32 v2, s1, s8, v0
	v_add_co_ci_u32_e64 v3, null, s9, 0, s1
	v_mov_b32_e32 v4, 0xff
	global_store_byte v[2:3], v4, off
.LBB1320_15:
	s_or_b32 exec_lo, exec_lo, s0
	s_load_dwordx2 s[2:3], s[4:5], 0x38
	s_mov_b32 s0, exec_lo
	s_waitcnt lgkmcnt(0)
	v_cmpx_gt_u64_e64 s[2:3], v[0:1]
	s_cbranch_execz .LBB1320_18
; %bb.16:
	s_clause 0x1
	s_load_dword s8, s[4:5], 0x40
	s_load_dwordx2 s[6:7], s[4:5], 0x30
	s_mov_b32 s1, 0
	v_lshlrev_b64 v[4:5], 2, v[0:1]
	s_mul_i32 s4, s18, s19
	s_waitcnt lgkmcnt(0)
	v_mad_u64_u32 v[2:3], null, s8, v0, 0
	s_add_i32 s0, s8, -1
	s_mul_hi_u32 s9, s8, s4
	s_lshl_b64 s[10:11], s[0:1], 2
	s_mul_i32 s8, s8, s4
	s_add_u32 s0, s14, s10
	s_addc_u32 s5, s15, s11
	v_lshlrev_b64 v[2:3], 2, v[2:3]
	v_add_co_u32 v2, vcc_lo, s0, v2
	v_add_co_ci_u32_e64 v3, null, s5, v3, vcc_lo
	v_add_co_u32 v4, vcc_lo, s6, v4
	v_add_co_ci_u32_e64 v5, null, s7, v5, vcc_lo
	s_mov_b32 s5, s1
	s_lshl_b64 s[6:7], s[8:9], 2
	s_lshl_b64 s[8:9], s[4:5], 2
	.p2align	6
.LBB1320_17:                            ; =>This Inner Loop Header: Depth=1
	global_load_dword v6, v[2:3], off
	v_add_co_u32 v0, vcc_lo, v0, s4
	v_add_co_ci_u32_e64 v1, null, 0, v1, vcc_lo
	v_add_co_u32 v2, vcc_lo, v2, s6
	v_add_co_ci_u32_e64 v3, null, s7, v3, vcc_lo
	v_cmp_le_u64_e32 vcc_lo, s[2:3], v[0:1]
	s_or_b32 s1, vcc_lo, s1
	s_waitcnt vmcnt(0)
	global_store_dword v[4:5], v6, off
	v_add_co_u32 v4, s0, v4, s8
	v_add_co_ci_u32_e64 v5, null, s9, v5, s0
	s_andn2_b32 exec_lo, exec_lo, s1
	s_cbranch_execnz .LBB1320_17
.LBB1320_18:
	s_endpgm
	.section	.rodata,"a",@progbits
	.p2align	6, 0x0
	.amdhsa_kernel _ZN7rocprim17ROCPRIM_400000_NS6detail30init_device_scan_by_key_kernelINS1_19lookback_scan_stateINS0_5tupleIJxbEEELb1ELb0EEEN6thrust23THRUST_200600_302600_NS6detail15normal_iteratorINS8_10device_ptrIiEEEEjNS1_16block_id_wrapperIjLb1EEEEEvT_jjPNSG_10value_typeET0_PNSt15iterator_traitsISJ_E10value_typeEmT1_T2_
		.amdhsa_group_segment_fixed_size 0
		.amdhsa_private_segment_fixed_size 0
		.amdhsa_kernarg_size 336
		.amdhsa_user_sgpr_count 6
		.amdhsa_user_sgpr_private_segment_buffer 1
		.amdhsa_user_sgpr_dispatch_ptr 0
		.amdhsa_user_sgpr_queue_ptr 0
		.amdhsa_user_sgpr_kernarg_segment_ptr 1
		.amdhsa_user_sgpr_dispatch_id 0
		.amdhsa_user_sgpr_flat_scratch_init 0
		.amdhsa_user_sgpr_private_segment_size 0
		.amdhsa_wavefront_size32 1
		.amdhsa_uses_dynamic_stack 0
		.amdhsa_system_sgpr_private_segment_wavefront_offset 0
		.amdhsa_system_sgpr_workgroup_id_x 1
		.amdhsa_system_sgpr_workgroup_id_y 0
		.amdhsa_system_sgpr_workgroup_id_z 0
		.amdhsa_system_sgpr_workgroup_info 0
		.amdhsa_system_vgpr_workitem_id 0
		.amdhsa_next_free_vgpr 7
		.amdhsa_next_free_sgpr 23
		.amdhsa_reserve_vcc 1
		.amdhsa_reserve_flat_scratch 0
		.amdhsa_float_round_mode_32 0
		.amdhsa_float_round_mode_16_64 0
		.amdhsa_float_denorm_mode_32 3
		.amdhsa_float_denorm_mode_16_64 3
		.amdhsa_dx10_clamp 1
		.amdhsa_ieee_mode 1
		.amdhsa_fp16_overflow 0
		.amdhsa_workgroup_processor_mode 1
		.amdhsa_memory_ordered 1
		.amdhsa_forward_progress 1
		.amdhsa_shared_vgpr_count 0
		.amdhsa_exception_fp_ieee_invalid_op 0
		.amdhsa_exception_fp_denorm_src 0
		.amdhsa_exception_fp_ieee_div_zero 0
		.amdhsa_exception_fp_ieee_overflow 0
		.amdhsa_exception_fp_ieee_underflow 0
		.amdhsa_exception_fp_ieee_inexact 0
		.amdhsa_exception_int_div_zero 0
	.end_amdhsa_kernel
	.section	.text._ZN7rocprim17ROCPRIM_400000_NS6detail30init_device_scan_by_key_kernelINS1_19lookback_scan_stateINS0_5tupleIJxbEEELb1ELb0EEEN6thrust23THRUST_200600_302600_NS6detail15normal_iteratorINS8_10device_ptrIiEEEEjNS1_16block_id_wrapperIjLb1EEEEEvT_jjPNSG_10value_typeET0_PNSt15iterator_traitsISJ_E10value_typeEmT1_T2_,"axG",@progbits,_ZN7rocprim17ROCPRIM_400000_NS6detail30init_device_scan_by_key_kernelINS1_19lookback_scan_stateINS0_5tupleIJxbEEELb1ELb0EEEN6thrust23THRUST_200600_302600_NS6detail15normal_iteratorINS8_10device_ptrIiEEEEjNS1_16block_id_wrapperIjLb1EEEEEvT_jjPNSG_10value_typeET0_PNSt15iterator_traitsISJ_E10value_typeEmT1_T2_,comdat
.Lfunc_end1320:
	.size	_ZN7rocprim17ROCPRIM_400000_NS6detail30init_device_scan_by_key_kernelINS1_19lookback_scan_stateINS0_5tupleIJxbEEELb1ELb0EEEN6thrust23THRUST_200600_302600_NS6detail15normal_iteratorINS8_10device_ptrIiEEEEjNS1_16block_id_wrapperIjLb1EEEEEvT_jjPNSG_10value_typeET0_PNSt15iterator_traitsISJ_E10value_typeEmT1_T2_, .Lfunc_end1320-_ZN7rocprim17ROCPRIM_400000_NS6detail30init_device_scan_by_key_kernelINS1_19lookback_scan_stateINS0_5tupleIJxbEEELb1ELb0EEEN6thrust23THRUST_200600_302600_NS6detail15normal_iteratorINS8_10device_ptrIiEEEEjNS1_16block_id_wrapperIjLb1EEEEEvT_jjPNSG_10value_typeET0_PNSt15iterator_traitsISJ_E10value_typeEmT1_T2_
                                        ; -- End function
	.set _ZN7rocprim17ROCPRIM_400000_NS6detail30init_device_scan_by_key_kernelINS1_19lookback_scan_stateINS0_5tupleIJxbEEELb1ELb0EEEN6thrust23THRUST_200600_302600_NS6detail15normal_iteratorINS8_10device_ptrIiEEEEjNS1_16block_id_wrapperIjLb1EEEEEvT_jjPNSG_10value_typeET0_PNSt15iterator_traitsISJ_E10value_typeEmT1_T2_.num_vgpr, 7
	.set _ZN7rocprim17ROCPRIM_400000_NS6detail30init_device_scan_by_key_kernelINS1_19lookback_scan_stateINS0_5tupleIJxbEEELb1ELb0EEEN6thrust23THRUST_200600_302600_NS6detail15normal_iteratorINS8_10device_ptrIiEEEEjNS1_16block_id_wrapperIjLb1EEEEEvT_jjPNSG_10value_typeET0_PNSt15iterator_traitsISJ_E10value_typeEmT1_T2_.num_agpr, 0
	.set _ZN7rocprim17ROCPRIM_400000_NS6detail30init_device_scan_by_key_kernelINS1_19lookback_scan_stateINS0_5tupleIJxbEEELb1ELb0EEEN6thrust23THRUST_200600_302600_NS6detail15normal_iteratorINS8_10device_ptrIiEEEEjNS1_16block_id_wrapperIjLb1EEEEEvT_jjPNSG_10value_typeET0_PNSt15iterator_traitsISJ_E10value_typeEmT1_T2_.numbered_sgpr, 23
	.set _ZN7rocprim17ROCPRIM_400000_NS6detail30init_device_scan_by_key_kernelINS1_19lookback_scan_stateINS0_5tupleIJxbEEELb1ELb0EEEN6thrust23THRUST_200600_302600_NS6detail15normal_iteratorINS8_10device_ptrIiEEEEjNS1_16block_id_wrapperIjLb1EEEEEvT_jjPNSG_10value_typeET0_PNSt15iterator_traitsISJ_E10value_typeEmT1_T2_.num_named_barrier, 0
	.set _ZN7rocprim17ROCPRIM_400000_NS6detail30init_device_scan_by_key_kernelINS1_19lookback_scan_stateINS0_5tupleIJxbEEELb1ELb0EEEN6thrust23THRUST_200600_302600_NS6detail15normal_iteratorINS8_10device_ptrIiEEEEjNS1_16block_id_wrapperIjLb1EEEEEvT_jjPNSG_10value_typeET0_PNSt15iterator_traitsISJ_E10value_typeEmT1_T2_.private_seg_size, 0
	.set _ZN7rocprim17ROCPRIM_400000_NS6detail30init_device_scan_by_key_kernelINS1_19lookback_scan_stateINS0_5tupleIJxbEEELb1ELb0EEEN6thrust23THRUST_200600_302600_NS6detail15normal_iteratorINS8_10device_ptrIiEEEEjNS1_16block_id_wrapperIjLb1EEEEEvT_jjPNSG_10value_typeET0_PNSt15iterator_traitsISJ_E10value_typeEmT1_T2_.uses_vcc, 1
	.set _ZN7rocprim17ROCPRIM_400000_NS6detail30init_device_scan_by_key_kernelINS1_19lookback_scan_stateINS0_5tupleIJxbEEELb1ELb0EEEN6thrust23THRUST_200600_302600_NS6detail15normal_iteratorINS8_10device_ptrIiEEEEjNS1_16block_id_wrapperIjLb1EEEEEvT_jjPNSG_10value_typeET0_PNSt15iterator_traitsISJ_E10value_typeEmT1_T2_.uses_flat_scratch, 0
	.set _ZN7rocprim17ROCPRIM_400000_NS6detail30init_device_scan_by_key_kernelINS1_19lookback_scan_stateINS0_5tupleIJxbEEELb1ELb0EEEN6thrust23THRUST_200600_302600_NS6detail15normal_iteratorINS8_10device_ptrIiEEEEjNS1_16block_id_wrapperIjLb1EEEEEvT_jjPNSG_10value_typeET0_PNSt15iterator_traitsISJ_E10value_typeEmT1_T2_.has_dyn_sized_stack, 0
	.set _ZN7rocprim17ROCPRIM_400000_NS6detail30init_device_scan_by_key_kernelINS1_19lookback_scan_stateINS0_5tupleIJxbEEELb1ELb0EEEN6thrust23THRUST_200600_302600_NS6detail15normal_iteratorINS8_10device_ptrIiEEEEjNS1_16block_id_wrapperIjLb1EEEEEvT_jjPNSG_10value_typeET0_PNSt15iterator_traitsISJ_E10value_typeEmT1_T2_.has_recursion, 0
	.set _ZN7rocprim17ROCPRIM_400000_NS6detail30init_device_scan_by_key_kernelINS1_19lookback_scan_stateINS0_5tupleIJxbEEELb1ELb0EEEN6thrust23THRUST_200600_302600_NS6detail15normal_iteratorINS8_10device_ptrIiEEEEjNS1_16block_id_wrapperIjLb1EEEEEvT_jjPNSG_10value_typeET0_PNSt15iterator_traitsISJ_E10value_typeEmT1_T2_.has_indirect_call, 0
	.section	.AMDGPU.csdata,"",@progbits
; Kernel info:
; codeLenInByte = 728
; TotalNumSgprs: 25
; NumVgprs: 7
; ScratchSize: 0
; MemoryBound: 0
; FloatMode: 240
; IeeeMode: 1
; LDSByteSize: 0 bytes/workgroup (compile time only)
; SGPRBlocks: 0
; VGPRBlocks: 0
; NumSGPRsForWavesPerEU: 25
; NumVGPRsForWavesPerEU: 7
; Occupancy: 16
; WaveLimiterHint : 0
; COMPUTE_PGM_RSRC2:SCRATCH_EN: 0
; COMPUTE_PGM_RSRC2:USER_SGPR: 6
; COMPUTE_PGM_RSRC2:TRAP_HANDLER: 0
; COMPUTE_PGM_RSRC2:TGID_X_EN: 1
; COMPUTE_PGM_RSRC2:TGID_Y_EN: 0
; COMPUTE_PGM_RSRC2:TGID_Z_EN: 0
; COMPUTE_PGM_RSRC2:TIDIG_COMP_CNT: 0
	.section	.text._ZN7rocprim17ROCPRIM_400000_NS6detail17trampoline_kernelINS0_14default_configENS1_27scan_by_key_config_selectorIixEEZZNS1_16scan_by_key_implILNS1_25lookback_scan_determinismE0ELb0ES3_N6thrust23THRUST_200600_302600_NS6detail15normal_iteratorINS9_10device_ptrIiEEEENSB_INSC_IxEEEESG_xNS9_4plusIvEENS9_8equal_toIvEExEE10hipError_tPvRmT2_T3_T4_T5_mT6_T7_P12ihipStream_tbENKUlT_T0_E_clISt17integral_constantIbLb1EES11_EEDaSW_SX_EUlSW_E_NS1_11comp_targetILNS1_3genE0ELNS1_11target_archE4294967295ELNS1_3gpuE0ELNS1_3repE0EEENS1_30default_config_static_selectorELNS0_4arch9wavefront6targetE0EEEvT1_,"axG",@progbits,_ZN7rocprim17ROCPRIM_400000_NS6detail17trampoline_kernelINS0_14default_configENS1_27scan_by_key_config_selectorIixEEZZNS1_16scan_by_key_implILNS1_25lookback_scan_determinismE0ELb0ES3_N6thrust23THRUST_200600_302600_NS6detail15normal_iteratorINS9_10device_ptrIiEEEENSB_INSC_IxEEEESG_xNS9_4plusIvEENS9_8equal_toIvEExEE10hipError_tPvRmT2_T3_T4_T5_mT6_T7_P12ihipStream_tbENKUlT_T0_E_clISt17integral_constantIbLb1EES11_EEDaSW_SX_EUlSW_E_NS1_11comp_targetILNS1_3genE0ELNS1_11target_archE4294967295ELNS1_3gpuE0ELNS1_3repE0EEENS1_30default_config_static_selectorELNS0_4arch9wavefront6targetE0EEEvT1_,comdat
	.protected	_ZN7rocprim17ROCPRIM_400000_NS6detail17trampoline_kernelINS0_14default_configENS1_27scan_by_key_config_selectorIixEEZZNS1_16scan_by_key_implILNS1_25lookback_scan_determinismE0ELb0ES3_N6thrust23THRUST_200600_302600_NS6detail15normal_iteratorINS9_10device_ptrIiEEEENSB_INSC_IxEEEESG_xNS9_4plusIvEENS9_8equal_toIvEExEE10hipError_tPvRmT2_T3_T4_T5_mT6_T7_P12ihipStream_tbENKUlT_T0_E_clISt17integral_constantIbLb1EES11_EEDaSW_SX_EUlSW_E_NS1_11comp_targetILNS1_3genE0ELNS1_11target_archE4294967295ELNS1_3gpuE0ELNS1_3repE0EEENS1_30default_config_static_selectorELNS0_4arch9wavefront6targetE0EEEvT1_ ; -- Begin function _ZN7rocprim17ROCPRIM_400000_NS6detail17trampoline_kernelINS0_14default_configENS1_27scan_by_key_config_selectorIixEEZZNS1_16scan_by_key_implILNS1_25lookback_scan_determinismE0ELb0ES3_N6thrust23THRUST_200600_302600_NS6detail15normal_iteratorINS9_10device_ptrIiEEEENSB_INSC_IxEEEESG_xNS9_4plusIvEENS9_8equal_toIvEExEE10hipError_tPvRmT2_T3_T4_T5_mT6_T7_P12ihipStream_tbENKUlT_T0_E_clISt17integral_constantIbLb1EES11_EEDaSW_SX_EUlSW_E_NS1_11comp_targetILNS1_3genE0ELNS1_11target_archE4294967295ELNS1_3gpuE0ELNS1_3repE0EEENS1_30default_config_static_selectorELNS0_4arch9wavefront6targetE0EEEvT1_
	.globl	_ZN7rocprim17ROCPRIM_400000_NS6detail17trampoline_kernelINS0_14default_configENS1_27scan_by_key_config_selectorIixEEZZNS1_16scan_by_key_implILNS1_25lookback_scan_determinismE0ELb0ES3_N6thrust23THRUST_200600_302600_NS6detail15normal_iteratorINS9_10device_ptrIiEEEENSB_INSC_IxEEEESG_xNS9_4plusIvEENS9_8equal_toIvEExEE10hipError_tPvRmT2_T3_T4_T5_mT6_T7_P12ihipStream_tbENKUlT_T0_E_clISt17integral_constantIbLb1EES11_EEDaSW_SX_EUlSW_E_NS1_11comp_targetILNS1_3genE0ELNS1_11target_archE4294967295ELNS1_3gpuE0ELNS1_3repE0EEENS1_30default_config_static_selectorELNS0_4arch9wavefront6targetE0EEEvT1_
	.p2align	8
	.type	_ZN7rocprim17ROCPRIM_400000_NS6detail17trampoline_kernelINS0_14default_configENS1_27scan_by_key_config_selectorIixEEZZNS1_16scan_by_key_implILNS1_25lookback_scan_determinismE0ELb0ES3_N6thrust23THRUST_200600_302600_NS6detail15normal_iteratorINS9_10device_ptrIiEEEENSB_INSC_IxEEEESG_xNS9_4plusIvEENS9_8equal_toIvEExEE10hipError_tPvRmT2_T3_T4_T5_mT6_T7_P12ihipStream_tbENKUlT_T0_E_clISt17integral_constantIbLb1EES11_EEDaSW_SX_EUlSW_E_NS1_11comp_targetILNS1_3genE0ELNS1_11target_archE4294967295ELNS1_3gpuE0ELNS1_3repE0EEENS1_30default_config_static_selectorELNS0_4arch9wavefront6targetE0EEEvT1_,@function
_ZN7rocprim17ROCPRIM_400000_NS6detail17trampoline_kernelINS0_14default_configENS1_27scan_by_key_config_selectorIixEEZZNS1_16scan_by_key_implILNS1_25lookback_scan_determinismE0ELb0ES3_N6thrust23THRUST_200600_302600_NS6detail15normal_iteratorINS9_10device_ptrIiEEEENSB_INSC_IxEEEESG_xNS9_4plusIvEENS9_8equal_toIvEExEE10hipError_tPvRmT2_T3_T4_T5_mT6_T7_P12ihipStream_tbENKUlT_T0_E_clISt17integral_constantIbLb1EES11_EEDaSW_SX_EUlSW_E_NS1_11comp_targetILNS1_3genE0ELNS1_11target_archE4294967295ELNS1_3gpuE0ELNS1_3repE0EEENS1_30default_config_static_selectorELNS0_4arch9wavefront6targetE0EEEvT1_: ; @_ZN7rocprim17ROCPRIM_400000_NS6detail17trampoline_kernelINS0_14default_configENS1_27scan_by_key_config_selectorIixEEZZNS1_16scan_by_key_implILNS1_25lookback_scan_determinismE0ELb0ES3_N6thrust23THRUST_200600_302600_NS6detail15normal_iteratorINS9_10device_ptrIiEEEENSB_INSC_IxEEEESG_xNS9_4plusIvEENS9_8equal_toIvEExEE10hipError_tPvRmT2_T3_T4_T5_mT6_T7_P12ihipStream_tbENKUlT_T0_E_clISt17integral_constantIbLb1EES11_EEDaSW_SX_EUlSW_E_NS1_11comp_targetILNS1_3genE0ELNS1_11target_archE4294967295ELNS1_3gpuE0ELNS1_3repE0EEENS1_30default_config_static_selectorELNS0_4arch9wavefront6targetE0EEEvT1_
; %bb.0:
	.section	.rodata,"a",@progbits
	.p2align	6, 0x0
	.amdhsa_kernel _ZN7rocprim17ROCPRIM_400000_NS6detail17trampoline_kernelINS0_14default_configENS1_27scan_by_key_config_selectorIixEEZZNS1_16scan_by_key_implILNS1_25lookback_scan_determinismE0ELb0ES3_N6thrust23THRUST_200600_302600_NS6detail15normal_iteratorINS9_10device_ptrIiEEEENSB_INSC_IxEEEESG_xNS9_4plusIvEENS9_8equal_toIvEExEE10hipError_tPvRmT2_T3_T4_T5_mT6_T7_P12ihipStream_tbENKUlT_T0_E_clISt17integral_constantIbLb1EES11_EEDaSW_SX_EUlSW_E_NS1_11comp_targetILNS1_3genE0ELNS1_11target_archE4294967295ELNS1_3gpuE0ELNS1_3repE0EEENS1_30default_config_static_selectorELNS0_4arch9wavefront6targetE0EEEvT1_
		.amdhsa_group_segment_fixed_size 0
		.amdhsa_private_segment_fixed_size 0
		.amdhsa_kernarg_size 136
		.amdhsa_user_sgpr_count 6
		.amdhsa_user_sgpr_private_segment_buffer 1
		.amdhsa_user_sgpr_dispatch_ptr 0
		.amdhsa_user_sgpr_queue_ptr 0
		.amdhsa_user_sgpr_kernarg_segment_ptr 1
		.amdhsa_user_sgpr_dispatch_id 0
		.amdhsa_user_sgpr_flat_scratch_init 0
		.amdhsa_user_sgpr_private_segment_size 0
		.amdhsa_wavefront_size32 1
		.amdhsa_uses_dynamic_stack 0
		.amdhsa_system_sgpr_private_segment_wavefront_offset 0
		.amdhsa_system_sgpr_workgroup_id_x 1
		.amdhsa_system_sgpr_workgroup_id_y 0
		.amdhsa_system_sgpr_workgroup_id_z 0
		.amdhsa_system_sgpr_workgroup_info 0
		.amdhsa_system_vgpr_workitem_id 0
		.amdhsa_next_free_vgpr 1
		.amdhsa_next_free_sgpr 1
		.amdhsa_reserve_vcc 0
		.amdhsa_reserve_flat_scratch 0
		.amdhsa_float_round_mode_32 0
		.amdhsa_float_round_mode_16_64 0
		.amdhsa_float_denorm_mode_32 3
		.amdhsa_float_denorm_mode_16_64 3
		.amdhsa_dx10_clamp 1
		.amdhsa_ieee_mode 1
		.amdhsa_fp16_overflow 0
		.amdhsa_workgroup_processor_mode 1
		.amdhsa_memory_ordered 1
		.amdhsa_forward_progress 1
		.amdhsa_shared_vgpr_count 0
		.amdhsa_exception_fp_ieee_invalid_op 0
		.amdhsa_exception_fp_denorm_src 0
		.amdhsa_exception_fp_ieee_div_zero 0
		.amdhsa_exception_fp_ieee_overflow 0
		.amdhsa_exception_fp_ieee_underflow 0
		.amdhsa_exception_fp_ieee_inexact 0
		.amdhsa_exception_int_div_zero 0
	.end_amdhsa_kernel
	.section	.text._ZN7rocprim17ROCPRIM_400000_NS6detail17trampoline_kernelINS0_14default_configENS1_27scan_by_key_config_selectorIixEEZZNS1_16scan_by_key_implILNS1_25lookback_scan_determinismE0ELb0ES3_N6thrust23THRUST_200600_302600_NS6detail15normal_iteratorINS9_10device_ptrIiEEEENSB_INSC_IxEEEESG_xNS9_4plusIvEENS9_8equal_toIvEExEE10hipError_tPvRmT2_T3_T4_T5_mT6_T7_P12ihipStream_tbENKUlT_T0_E_clISt17integral_constantIbLb1EES11_EEDaSW_SX_EUlSW_E_NS1_11comp_targetILNS1_3genE0ELNS1_11target_archE4294967295ELNS1_3gpuE0ELNS1_3repE0EEENS1_30default_config_static_selectorELNS0_4arch9wavefront6targetE0EEEvT1_,"axG",@progbits,_ZN7rocprim17ROCPRIM_400000_NS6detail17trampoline_kernelINS0_14default_configENS1_27scan_by_key_config_selectorIixEEZZNS1_16scan_by_key_implILNS1_25lookback_scan_determinismE0ELb0ES3_N6thrust23THRUST_200600_302600_NS6detail15normal_iteratorINS9_10device_ptrIiEEEENSB_INSC_IxEEEESG_xNS9_4plusIvEENS9_8equal_toIvEExEE10hipError_tPvRmT2_T3_T4_T5_mT6_T7_P12ihipStream_tbENKUlT_T0_E_clISt17integral_constantIbLb1EES11_EEDaSW_SX_EUlSW_E_NS1_11comp_targetILNS1_3genE0ELNS1_11target_archE4294967295ELNS1_3gpuE0ELNS1_3repE0EEENS1_30default_config_static_selectorELNS0_4arch9wavefront6targetE0EEEvT1_,comdat
.Lfunc_end1321:
	.size	_ZN7rocprim17ROCPRIM_400000_NS6detail17trampoline_kernelINS0_14default_configENS1_27scan_by_key_config_selectorIixEEZZNS1_16scan_by_key_implILNS1_25lookback_scan_determinismE0ELb0ES3_N6thrust23THRUST_200600_302600_NS6detail15normal_iteratorINS9_10device_ptrIiEEEENSB_INSC_IxEEEESG_xNS9_4plusIvEENS9_8equal_toIvEExEE10hipError_tPvRmT2_T3_T4_T5_mT6_T7_P12ihipStream_tbENKUlT_T0_E_clISt17integral_constantIbLb1EES11_EEDaSW_SX_EUlSW_E_NS1_11comp_targetILNS1_3genE0ELNS1_11target_archE4294967295ELNS1_3gpuE0ELNS1_3repE0EEENS1_30default_config_static_selectorELNS0_4arch9wavefront6targetE0EEEvT1_, .Lfunc_end1321-_ZN7rocprim17ROCPRIM_400000_NS6detail17trampoline_kernelINS0_14default_configENS1_27scan_by_key_config_selectorIixEEZZNS1_16scan_by_key_implILNS1_25lookback_scan_determinismE0ELb0ES3_N6thrust23THRUST_200600_302600_NS6detail15normal_iteratorINS9_10device_ptrIiEEEENSB_INSC_IxEEEESG_xNS9_4plusIvEENS9_8equal_toIvEExEE10hipError_tPvRmT2_T3_T4_T5_mT6_T7_P12ihipStream_tbENKUlT_T0_E_clISt17integral_constantIbLb1EES11_EEDaSW_SX_EUlSW_E_NS1_11comp_targetILNS1_3genE0ELNS1_11target_archE4294967295ELNS1_3gpuE0ELNS1_3repE0EEENS1_30default_config_static_selectorELNS0_4arch9wavefront6targetE0EEEvT1_
                                        ; -- End function
	.set _ZN7rocprim17ROCPRIM_400000_NS6detail17trampoline_kernelINS0_14default_configENS1_27scan_by_key_config_selectorIixEEZZNS1_16scan_by_key_implILNS1_25lookback_scan_determinismE0ELb0ES3_N6thrust23THRUST_200600_302600_NS6detail15normal_iteratorINS9_10device_ptrIiEEEENSB_INSC_IxEEEESG_xNS9_4plusIvEENS9_8equal_toIvEExEE10hipError_tPvRmT2_T3_T4_T5_mT6_T7_P12ihipStream_tbENKUlT_T0_E_clISt17integral_constantIbLb1EES11_EEDaSW_SX_EUlSW_E_NS1_11comp_targetILNS1_3genE0ELNS1_11target_archE4294967295ELNS1_3gpuE0ELNS1_3repE0EEENS1_30default_config_static_selectorELNS0_4arch9wavefront6targetE0EEEvT1_.num_vgpr, 0
	.set _ZN7rocprim17ROCPRIM_400000_NS6detail17trampoline_kernelINS0_14default_configENS1_27scan_by_key_config_selectorIixEEZZNS1_16scan_by_key_implILNS1_25lookback_scan_determinismE0ELb0ES3_N6thrust23THRUST_200600_302600_NS6detail15normal_iteratorINS9_10device_ptrIiEEEENSB_INSC_IxEEEESG_xNS9_4plusIvEENS9_8equal_toIvEExEE10hipError_tPvRmT2_T3_T4_T5_mT6_T7_P12ihipStream_tbENKUlT_T0_E_clISt17integral_constantIbLb1EES11_EEDaSW_SX_EUlSW_E_NS1_11comp_targetILNS1_3genE0ELNS1_11target_archE4294967295ELNS1_3gpuE0ELNS1_3repE0EEENS1_30default_config_static_selectorELNS0_4arch9wavefront6targetE0EEEvT1_.num_agpr, 0
	.set _ZN7rocprim17ROCPRIM_400000_NS6detail17trampoline_kernelINS0_14default_configENS1_27scan_by_key_config_selectorIixEEZZNS1_16scan_by_key_implILNS1_25lookback_scan_determinismE0ELb0ES3_N6thrust23THRUST_200600_302600_NS6detail15normal_iteratorINS9_10device_ptrIiEEEENSB_INSC_IxEEEESG_xNS9_4plusIvEENS9_8equal_toIvEExEE10hipError_tPvRmT2_T3_T4_T5_mT6_T7_P12ihipStream_tbENKUlT_T0_E_clISt17integral_constantIbLb1EES11_EEDaSW_SX_EUlSW_E_NS1_11comp_targetILNS1_3genE0ELNS1_11target_archE4294967295ELNS1_3gpuE0ELNS1_3repE0EEENS1_30default_config_static_selectorELNS0_4arch9wavefront6targetE0EEEvT1_.numbered_sgpr, 0
	.set _ZN7rocprim17ROCPRIM_400000_NS6detail17trampoline_kernelINS0_14default_configENS1_27scan_by_key_config_selectorIixEEZZNS1_16scan_by_key_implILNS1_25lookback_scan_determinismE0ELb0ES3_N6thrust23THRUST_200600_302600_NS6detail15normal_iteratorINS9_10device_ptrIiEEEENSB_INSC_IxEEEESG_xNS9_4plusIvEENS9_8equal_toIvEExEE10hipError_tPvRmT2_T3_T4_T5_mT6_T7_P12ihipStream_tbENKUlT_T0_E_clISt17integral_constantIbLb1EES11_EEDaSW_SX_EUlSW_E_NS1_11comp_targetILNS1_3genE0ELNS1_11target_archE4294967295ELNS1_3gpuE0ELNS1_3repE0EEENS1_30default_config_static_selectorELNS0_4arch9wavefront6targetE0EEEvT1_.num_named_barrier, 0
	.set _ZN7rocprim17ROCPRIM_400000_NS6detail17trampoline_kernelINS0_14default_configENS1_27scan_by_key_config_selectorIixEEZZNS1_16scan_by_key_implILNS1_25lookback_scan_determinismE0ELb0ES3_N6thrust23THRUST_200600_302600_NS6detail15normal_iteratorINS9_10device_ptrIiEEEENSB_INSC_IxEEEESG_xNS9_4plusIvEENS9_8equal_toIvEExEE10hipError_tPvRmT2_T3_T4_T5_mT6_T7_P12ihipStream_tbENKUlT_T0_E_clISt17integral_constantIbLb1EES11_EEDaSW_SX_EUlSW_E_NS1_11comp_targetILNS1_3genE0ELNS1_11target_archE4294967295ELNS1_3gpuE0ELNS1_3repE0EEENS1_30default_config_static_selectorELNS0_4arch9wavefront6targetE0EEEvT1_.private_seg_size, 0
	.set _ZN7rocprim17ROCPRIM_400000_NS6detail17trampoline_kernelINS0_14default_configENS1_27scan_by_key_config_selectorIixEEZZNS1_16scan_by_key_implILNS1_25lookback_scan_determinismE0ELb0ES3_N6thrust23THRUST_200600_302600_NS6detail15normal_iteratorINS9_10device_ptrIiEEEENSB_INSC_IxEEEESG_xNS9_4plusIvEENS9_8equal_toIvEExEE10hipError_tPvRmT2_T3_T4_T5_mT6_T7_P12ihipStream_tbENKUlT_T0_E_clISt17integral_constantIbLb1EES11_EEDaSW_SX_EUlSW_E_NS1_11comp_targetILNS1_3genE0ELNS1_11target_archE4294967295ELNS1_3gpuE0ELNS1_3repE0EEENS1_30default_config_static_selectorELNS0_4arch9wavefront6targetE0EEEvT1_.uses_vcc, 0
	.set _ZN7rocprim17ROCPRIM_400000_NS6detail17trampoline_kernelINS0_14default_configENS1_27scan_by_key_config_selectorIixEEZZNS1_16scan_by_key_implILNS1_25lookback_scan_determinismE0ELb0ES3_N6thrust23THRUST_200600_302600_NS6detail15normal_iteratorINS9_10device_ptrIiEEEENSB_INSC_IxEEEESG_xNS9_4plusIvEENS9_8equal_toIvEExEE10hipError_tPvRmT2_T3_T4_T5_mT6_T7_P12ihipStream_tbENKUlT_T0_E_clISt17integral_constantIbLb1EES11_EEDaSW_SX_EUlSW_E_NS1_11comp_targetILNS1_3genE0ELNS1_11target_archE4294967295ELNS1_3gpuE0ELNS1_3repE0EEENS1_30default_config_static_selectorELNS0_4arch9wavefront6targetE0EEEvT1_.uses_flat_scratch, 0
	.set _ZN7rocprim17ROCPRIM_400000_NS6detail17trampoline_kernelINS0_14default_configENS1_27scan_by_key_config_selectorIixEEZZNS1_16scan_by_key_implILNS1_25lookback_scan_determinismE0ELb0ES3_N6thrust23THRUST_200600_302600_NS6detail15normal_iteratorINS9_10device_ptrIiEEEENSB_INSC_IxEEEESG_xNS9_4plusIvEENS9_8equal_toIvEExEE10hipError_tPvRmT2_T3_T4_T5_mT6_T7_P12ihipStream_tbENKUlT_T0_E_clISt17integral_constantIbLb1EES11_EEDaSW_SX_EUlSW_E_NS1_11comp_targetILNS1_3genE0ELNS1_11target_archE4294967295ELNS1_3gpuE0ELNS1_3repE0EEENS1_30default_config_static_selectorELNS0_4arch9wavefront6targetE0EEEvT1_.has_dyn_sized_stack, 0
	.set _ZN7rocprim17ROCPRIM_400000_NS6detail17trampoline_kernelINS0_14default_configENS1_27scan_by_key_config_selectorIixEEZZNS1_16scan_by_key_implILNS1_25lookback_scan_determinismE0ELb0ES3_N6thrust23THRUST_200600_302600_NS6detail15normal_iteratorINS9_10device_ptrIiEEEENSB_INSC_IxEEEESG_xNS9_4plusIvEENS9_8equal_toIvEExEE10hipError_tPvRmT2_T3_T4_T5_mT6_T7_P12ihipStream_tbENKUlT_T0_E_clISt17integral_constantIbLb1EES11_EEDaSW_SX_EUlSW_E_NS1_11comp_targetILNS1_3genE0ELNS1_11target_archE4294967295ELNS1_3gpuE0ELNS1_3repE0EEENS1_30default_config_static_selectorELNS0_4arch9wavefront6targetE0EEEvT1_.has_recursion, 0
	.set _ZN7rocprim17ROCPRIM_400000_NS6detail17trampoline_kernelINS0_14default_configENS1_27scan_by_key_config_selectorIixEEZZNS1_16scan_by_key_implILNS1_25lookback_scan_determinismE0ELb0ES3_N6thrust23THRUST_200600_302600_NS6detail15normal_iteratorINS9_10device_ptrIiEEEENSB_INSC_IxEEEESG_xNS9_4plusIvEENS9_8equal_toIvEExEE10hipError_tPvRmT2_T3_T4_T5_mT6_T7_P12ihipStream_tbENKUlT_T0_E_clISt17integral_constantIbLb1EES11_EEDaSW_SX_EUlSW_E_NS1_11comp_targetILNS1_3genE0ELNS1_11target_archE4294967295ELNS1_3gpuE0ELNS1_3repE0EEENS1_30default_config_static_selectorELNS0_4arch9wavefront6targetE0EEEvT1_.has_indirect_call, 0
	.section	.AMDGPU.csdata,"",@progbits
; Kernel info:
; codeLenInByte = 0
; TotalNumSgprs: 0
; NumVgprs: 0
; ScratchSize: 0
; MemoryBound: 0
; FloatMode: 240
; IeeeMode: 1
; LDSByteSize: 0 bytes/workgroup (compile time only)
; SGPRBlocks: 0
; VGPRBlocks: 0
; NumSGPRsForWavesPerEU: 1
; NumVGPRsForWavesPerEU: 1
; Occupancy: 16
; WaveLimiterHint : 0
; COMPUTE_PGM_RSRC2:SCRATCH_EN: 0
; COMPUTE_PGM_RSRC2:USER_SGPR: 6
; COMPUTE_PGM_RSRC2:TRAP_HANDLER: 0
; COMPUTE_PGM_RSRC2:TGID_X_EN: 1
; COMPUTE_PGM_RSRC2:TGID_Y_EN: 0
; COMPUTE_PGM_RSRC2:TGID_Z_EN: 0
; COMPUTE_PGM_RSRC2:TIDIG_COMP_CNT: 0
	.section	.text._ZN7rocprim17ROCPRIM_400000_NS6detail17trampoline_kernelINS0_14default_configENS1_27scan_by_key_config_selectorIixEEZZNS1_16scan_by_key_implILNS1_25lookback_scan_determinismE0ELb0ES3_N6thrust23THRUST_200600_302600_NS6detail15normal_iteratorINS9_10device_ptrIiEEEENSB_INSC_IxEEEESG_xNS9_4plusIvEENS9_8equal_toIvEExEE10hipError_tPvRmT2_T3_T4_T5_mT6_T7_P12ihipStream_tbENKUlT_T0_E_clISt17integral_constantIbLb1EES11_EEDaSW_SX_EUlSW_E_NS1_11comp_targetILNS1_3genE10ELNS1_11target_archE1201ELNS1_3gpuE5ELNS1_3repE0EEENS1_30default_config_static_selectorELNS0_4arch9wavefront6targetE0EEEvT1_,"axG",@progbits,_ZN7rocprim17ROCPRIM_400000_NS6detail17trampoline_kernelINS0_14default_configENS1_27scan_by_key_config_selectorIixEEZZNS1_16scan_by_key_implILNS1_25lookback_scan_determinismE0ELb0ES3_N6thrust23THRUST_200600_302600_NS6detail15normal_iteratorINS9_10device_ptrIiEEEENSB_INSC_IxEEEESG_xNS9_4plusIvEENS9_8equal_toIvEExEE10hipError_tPvRmT2_T3_T4_T5_mT6_T7_P12ihipStream_tbENKUlT_T0_E_clISt17integral_constantIbLb1EES11_EEDaSW_SX_EUlSW_E_NS1_11comp_targetILNS1_3genE10ELNS1_11target_archE1201ELNS1_3gpuE5ELNS1_3repE0EEENS1_30default_config_static_selectorELNS0_4arch9wavefront6targetE0EEEvT1_,comdat
	.protected	_ZN7rocprim17ROCPRIM_400000_NS6detail17trampoline_kernelINS0_14default_configENS1_27scan_by_key_config_selectorIixEEZZNS1_16scan_by_key_implILNS1_25lookback_scan_determinismE0ELb0ES3_N6thrust23THRUST_200600_302600_NS6detail15normal_iteratorINS9_10device_ptrIiEEEENSB_INSC_IxEEEESG_xNS9_4plusIvEENS9_8equal_toIvEExEE10hipError_tPvRmT2_T3_T4_T5_mT6_T7_P12ihipStream_tbENKUlT_T0_E_clISt17integral_constantIbLb1EES11_EEDaSW_SX_EUlSW_E_NS1_11comp_targetILNS1_3genE10ELNS1_11target_archE1201ELNS1_3gpuE5ELNS1_3repE0EEENS1_30default_config_static_selectorELNS0_4arch9wavefront6targetE0EEEvT1_ ; -- Begin function _ZN7rocprim17ROCPRIM_400000_NS6detail17trampoline_kernelINS0_14default_configENS1_27scan_by_key_config_selectorIixEEZZNS1_16scan_by_key_implILNS1_25lookback_scan_determinismE0ELb0ES3_N6thrust23THRUST_200600_302600_NS6detail15normal_iteratorINS9_10device_ptrIiEEEENSB_INSC_IxEEEESG_xNS9_4plusIvEENS9_8equal_toIvEExEE10hipError_tPvRmT2_T3_T4_T5_mT6_T7_P12ihipStream_tbENKUlT_T0_E_clISt17integral_constantIbLb1EES11_EEDaSW_SX_EUlSW_E_NS1_11comp_targetILNS1_3genE10ELNS1_11target_archE1201ELNS1_3gpuE5ELNS1_3repE0EEENS1_30default_config_static_selectorELNS0_4arch9wavefront6targetE0EEEvT1_
	.globl	_ZN7rocprim17ROCPRIM_400000_NS6detail17trampoline_kernelINS0_14default_configENS1_27scan_by_key_config_selectorIixEEZZNS1_16scan_by_key_implILNS1_25lookback_scan_determinismE0ELb0ES3_N6thrust23THRUST_200600_302600_NS6detail15normal_iteratorINS9_10device_ptrIiEEEENSB_INSC_IxEEEESG_xNS9_4plusIvEENS9_8equal_toIvEExEE10hipError_tPvRmT2_T3_T4_T5_mT6_T7_P12ihipStream_tbENKUlT_T0_E_clISt17integral_constantIbLb1EES11_EEDaSW_SX_EUlSW_E_NS1_11comp_targetILNS1_3genE10ELNS1_11target_archE1201ELNS1_3gpuE5ELNS1_3repE0EEENS1_30default_config_static_selectorELNS0_4arch9wavefront6targetE0EEEvT1_
	.p2align	8
	.type	_ZN7rocprim17ROCPRIM_400000_NS6detail17trampoline_kernelINS0_14default_configENS1_27scan_by_key_config_selectorIixEEZZNS1_16scan_by_key_implILNS1_25lookback_scan_determinismE0ELb0ES3_N6thrust23THRUST_200600_302600_NS6detail15normal_iteratorINS9_10device_ptrIiEEEENSB_INSC_IxEEEESG_xNS9_4plusIvEENS9_8equal_toIvEExEE10hipError_tPvRmT2_T3_T4_T5_mT6_T7_P12ihipStream_tbENKUlT_T0_E_clISt17integral_constantIbLb1EES11_EEDaSW_SX_EUlSW_E_NS1_11comp_targetILNS1_3genE10ELNS1_11target_archE1201ELNS1_3gpuE5ELNS1_3repE0EEENS1_30default_config_static_selectorELNS0_4arch9wavefront6targetE0EEEvT1_,@function
_ZN7rocprim17ROCPRIM_400000_NS6detail17trampoline_kernelINS0_14default_configENS1_27scan_by_key_config_selectorIixEEZZNS1_16scan_by_key_implILNS1_25lookback_scan_determinismE0ELb0ES3_N6thrust23THRUST_200600_302600_NS6detail15normal_iteratorINS9_10device_ptrIiEEEENSB_INSC_IxEEEESG_xNS9_4plusIvEENS9_8equal_toIvEExEE10hipError_tPvRmT2_T3_T4_T5_mT6_T7_P12ihipStream_tbENKUlT_T0_E_clISt17integral_constantIbLb1EES11_EEDaSW_SX_EUlSW_E_NS1_11comp_targetILNS1_3genE10ELNS1_11target_archE1201ELNS1_3gpuE5ELNS1_3repE0EEENS1_30default_config_static_selectorELNS0_4arch9wavefront6targetE0EEEvT1_: ; @_ZN7rocprim17ROCPRIM_400000_NS6detail17trampoline_kernelINS0_14default_configENS1_27scan_by_key_config_selectorIixEEZZNS1_16scan_by_key_implILNS1_25lookback_scan_determinismE0ELb0ES3_N6thrust23THRUST_200600_302600_NS6detail15normal_iteratorINS9_10device_ptrIiEEEENSB_INSC_IxEEEESG_xNS9_4plusIvEENS9_8equal_toIvEExEE10hipError_tPvRmT2_T3_T4_T5_mT6_T7_P12ihipStream_tbENKUlT_T0_E_clISt17integral_constantIbLb1EES11_EEDaSW_SX_EUlSW_E_NS1_11comp_targetILNS1_3genE10ELNS1_11target_archE1201ELNS1_3gpuE5ELNS1_3repE0EEENS1_30default_config_static_selectorELNS0_4arch9wavefront6targetE0EEEvT1_
; %bb.0:
	.section	.rodata,"a",@progbits
	.p2align	6, 0x0
	.amdhsa_kernel _ZN7rocprim17ROCPRIM_400000_NS6detail17trampoline_kernelINS0_14default_configENS1_27scan_by_key_config_selectorIixEEZZNS1_16scan_by_key_implILNS1_25lookback_scan_determinismE0ELb0ES3_N6thrust23THRUST_200600_302600_NS6detail15normal_iteratorINS9_10device_ptrIiEEEENSB_INSC_IxEEEESG_xNS9_4plusIvEENS9_8equal_toIvEExEE10hipError_tPvRmT2_T3_T4_T5_mT6_T7_P12ihipStream_tbENKUlT_T0_E_clISt17integral_constantIbLb1EES11_EEDaSW_SX_EUlSW_E_NS1_11comp_targetILNS1_3genE10ELNS1_11target_archE1201ELNS1_3gpuE5ELNS1_3repE0EEENS1_30default_config_static_selectorELNS0_4arch9wavefront6targetE0EEEvT1_
		.amdhsa_group_segment_fixed_size 0
		.amdhsa_private_segment_fixed_size 0
		.amdhsa_kernarg_size 136
		.amdhsa_user_sgpr_count 6
		.amdhsa_user_sgpr_private_segment_buffer 1
		.amdhsa_user_sgpr_dispatch_ptr 0
		.amdhsa_user_sgpr_queue_ptr 0
		.amdhsa_user_sgpr_kernarg_segment_ptr 1
		.amdhsa_user_sgpr_dispatch_id 0
		.amdhsa_user_sgpr_flat_scratch_init 0
		.amdhsa_user_sgpr_private_segment_size 0
		.amdhsa_wavefront_size32 1
		.amdhsa_uses_dynamic_stack 0
		.amdhsa_system_sgpr_private_segment_wavefront_offset 0
		.amdhsa_system_sgpr_workgroup_id_x 1
		.amdhsa_system_sgpr_workgroup_id_y 0
		.amdhsa_system_sgpr_workgroup_id_z 0
		.amdhsa_system_sgpr_workgroup_info 0
		.amdhsa_system_vgpr_workitem_id 0
		.amdhsa_next_free_vgpr 1
		.amdhsa_next_free_sgpr 1
		.amdhsa_reserve_vcc 0
		.amdhsa_reserve_flat_scratch 0
		.amdhsa_float_round_mode_32 0
		.amdhsa_float_round_mode_16_64 0
		.amdhsa_float_denorm_mode_32 3
		.amdhsa_float_denorm_mode_16_64 3
		.amdhsa_dx10_clamp 1
		.amdhsa_ieee_mode 1
		.amdhsa_fp16_overflow 0
		.amdhsa_workgroup_processor_mode 1
		.amdhsa_memory_ordered 1
		.amdhsa_forward_progress 1
		.amdhsa_shared_vgpr_count 0
		.amdhsa_exception_fp_ieee_invalid_op 0
		.amdhsa_exception_fp_denorm_src 0
		.amdhsa_exception_fp_ieee_div_zero 0
		.amdhsa_exception_fp_ieee_overflow 0
		.amdhsa_exception_fp_ieee_underflow 0
		.amdhsa_exception_fp_ieee_inexact 0
		.amdhsa_exception_int_div_zero 0
	.end_amdhsa_kernel
	.section	.text._ZN7rocprim17ROCPRIM_400000_NS6detail17trampoline_kernelINS0_14default_configENS1_27scan_by_key_config_selectorIixEEZZNS1_16scan_by_key_implILNS1_25lookback_scan_determinismE0ELb0ES3_N6thrust23THRUST_200600_302600_NS6detail15normal_iteratorINS9_10device_ptrIiEEEENSB_INSC_IxEEEESG_xNS9_4plusIvEENS9_8equal_toIvEExEE10hipError_tPvRmT2_T3_T4_T5_mT6_T7_P12ihipStream_tbENKUlT_T0_E_clISt17integral_constantIbLb1EES11_EEDaSW_SX_EUlSW_E_NS1_11comp_targetILNS1_3genE10ELNS1_11target_archE1201ELNS1_3gpuE5ELNS1_3repE0EEENS1_30default_config_static_selectorELNS0_4arch9wavefront6targetE0EEEvT1_,"axG",@progbits,_ZN7rocprim17ROCPRIM_400000_NS6detail17trampoline_kernelINS0_14default_configENS1_27scan_by_key_config_selectorIixEEZZNS1_16scan_by_key_implILNS1_25lookback_scan_determinismE0ELb0ES3_N6thrust23THRUST_200600_302600_NS6detail15normal_iteratorINS9_10device_ptrIiEEEENSB_INSC_IxEEEESG_xNS9_4plusIvEENS9_8equal_toIvEExEE10hipError_tPvRmT2_T3_T4_T5_mT6_T7_P12ihipStream_tbENKUlT_T0_E_clISt17integral_constantIbLb1EES11_EEDaSW_SX_EUlSW_E_NS1_11comp_targetILNS1_3genE10ELNS1_11target_archE1201ELNS1_3gpuE5ELNS1_3repE0EEENS1_30default_config_static_selectorELNS0_4arch9wavefront6targetE0EEEvT1_,comdat
.Lfunc_end1322:
	.size	_ZN7rocprim17ROCPRIM_400000_NS6detail17trampoline_kernelINS0_14default_configENS1_27scan_by_key_config_selectorIixEEZZNS1_16scan_by_key_implILNS1_25lookback_scan_determinismE0ELb0ES3_N6thrust23THRUST_200600_302600_NS6detail15normal_iteratorINS9_10device_ptrIiEEEENSB_INSC_IxEEEESG_xNS9_4plusIvEENS9_8equal_toIvEExEE10hipError_tPvRmT2_T3_T4_T5_mT6_T7_P12ihipStream_tbENKUlT_T0_E_clISt17integral_constantIbLb1EES11_EEDaSW_SX_EUlSW_E_NS1_11comp_targetILNS1_3genE10ELNS1_11target_archE1201ELNS1_3gpuE5ELNS1_3repE0EEENS1_30default_config_static_selectorELNS0_4arch9wavefront6targetE0EEEvT1_, .Lfunc_end1322-_ZN7rocprim17ROCPRIM_400000_NS6detail17trampoline_kernelINS0_14default_configENS1_27scan_by_key_config_selectorIixEEZZNS1_16scan_by_key_implILNS1_25lookback_scan_determinismE0ELb0ES3_N6thrust23THRUST_200600_302600_NS6detail15normal_iteratorINS9_10device_ptrIiEEEENSB_INSC_IxEEEESG_xNS9_4plusIvEENS9_8equal_toIvEExEE10hipError_tPvRmT2_T3_T4_T5_mT6_T7_P12ihipStream_tbENKUlT_T0_E_clISt17integral_constantIbLb1EES11_EEDaSW_SX_EUlSW_E_NS1_11comp_targetILNS1_3genE10ELNS1_11target_archE1201ELNS1_3gpuE5ELNS1_3repE0EEENS1_30default_config_static_selectorELNS0_4arch9wavefront6targetE0EEEvT1_
                                        ; -- End function
	.set _ZN7rocprim17ROCPRIM_400000_NS6detail17trampoline_kernelINS0_14default_configENS1_27scan_by_key_config_selectorIixEEZZNS1_16scan_by_key_implILNS1_25lookback_scan_determinismE0ELb0ES3_N6thrust23THRUST_200600_302600_NS6detail15normal_iteratorINS9_10device_ptrIiEEEENSB_INSC_IxEEEESG_xNS9_4plusIvEENS9_8equal_toIvEExEE10hipError_tPvRmT2_T3_T4_T5_mT6_T7_P12ihipStream_tbENKUlT_T0_E_clISt17integral_constantIbLb1EES11_EEDaSW_SX_EUlSW_E_NS1_11comp_targetILNS1_3genE10ELNS1_11target_archE1201ELNS1_3gpuE5ELNS1_3repE0EEENS1_30default_config_static_selectorELNS0_4arch9wavefront6targetE0EEEvT1_.num_vgpr, 0
	.set _ZN7rocprim17ROCPRIM_400000_NS6detail17trampoline_kernelINS0_14default_configENS1_27scan_by_key_config_selectorIixEEZZNS1_16scan_by_key_implILNS1_25lookback_scan_determinismE0ELb0ES3_N6thrust23THRUST_200600_302600_NS6detail15normal_iteratorINS9_10device_ptrIiEEEENSB_INSC_IxEEEESG_xNS9_4plusIvEENS9_8equal_toIvEExEE10hipError_tPvRmT2_T3_T4_T5_mT6_T7_P12ihipStream_tbENKUlT_T0_E_clISt17integral_constantIbLb1EES11_EEDaSW_SX_EUlSW_E_NS1_11comp_targetILNS1_3genE10ELNS1_11target_archE1201ELNS1_3gpuE5ELNS1_3repE0EEENS1_30default_config_static_selectorELNS0_4arch9wavefront6targetE0EEEvT1_.num_agpr, 0
	.set _ZN7rocprim17ROCPRIM_400000_NS6detail17trampoline_kernelINS0_14default_configENS1_27scan_by_key_config_selectorIixEEZZNS1_16scan_by_key_implILNS1_25lookback_scan_determinismE0ELb0ES3_N6thrust23THRUST_200600_302600_NS6detail15normal_iteratorINS9_10device_ptrIiEEEENSB_INSC_IxEEEESG_xNS9_4plusIvEENS9_8equal_toIvEExEE10hipError_tPvRmT2_T3_T4_T5_mT6_T7_P12ihipStream_tbENKUlT_T0_E_clISt17integral_constantIbLb1EES11_EEDaSW_SX_EUlSW_E_NS1_11comp_targetILNS1_3genE10ELNS1_11target_archE1201ELNS1_3gpuE5ELNS1_3repE0EEENS1_30default_config_static_selectorELNS0_4arch9wavefront6targetE0EEEvT1_.numbered_sgpr, 0
	.set _ZN7rocprim17ROCPRIM_400000_NS6detail17trampoline_kernelINS0_14default_configENS1_27scan_by_key_config_selectorIixEEZZNS1_16scan_by_key_implILNS1_25lookback_scan_determinismE0ELb0ES3_N6thrust23THRUST_200600_302600_NS6detail15normal_iteratorINS9_10device_ptrIiEEEENSB_INSC_IxEEEESG_xNS9_4plusIvEENS9_8equal_toIvEExEE10hipError_tPvRmT2_T3_T4_T5_mT6_T7_P12ihipStream_tbENKUlT_T0_E_clISt17integral_constantIbLb1EES11_EEDaSW_SX_EUlSW_E_NS1_11comp_targetILNS1_3genE10ELNS1_11target_archE1201ELNS1_3gpuE5ELNS1_3repE0EEENS1_30default_config_static_selectorELNS0_4arch9wavefront6targetE0EEEvT1_.num_named_barrier, 0
	.set _ZN7rocprim17ROCPRIM_400000_NS6detail17trampoline_kernelINS0_14default_configENS1_27scan_by_key_config_selectorIixEEZZNS1_16scan_by_key_implILNS1_25lookback_scan_determinismE0ELb0ES3_N6thrust23THRUST_200600_302600_NS6detail15normal_iteratorINS9_10device_ptrIiEEEENSB_INSC_IxEEEESG_xNS9_4plusIvEENS9_8equal_toIvEExEE10hipError_tPvRmT2_T3_T4_T5_mT6_T7_P12ihipStream_tbENKUlT_T0_E_clISt17integral_constantIbLb1EES11_EEDaSW_SX_EUlSW_E_NS1_11comp_targetILNS1_3genE10ELNS1_11target_archE1201ELNS1_3gpuE5ELNS1_3repE0EEENS1_30default_config_static_selectorELNS0_4arch9wavefront6targetE0EEEvT1_.private_seg_size, 0
	.set _ZN7rocprim17ROCPRIM_400000_NS6detail17trampoline_kernelINS0_14default_configENS1_27scan_by_key_config_selectorIixEEZZNS1_16scan_by_key_implILNS1_25lookback_scan_determinismE0ELb0ES3_N6thrust23THRUST_200600_302600_NS6detail15normal_iteratorINS9_10device_ptrIiEEEENSB_INSC_IxEEEESG_xNS9_4plusIvEENS9_8equal_toIvEExEE10hipError_tPvRmT2_T3_T4_T5_mT6_T7_P12ihipStream_tbENKUlT_T0_E_clISt17integral_constantIbLb1EES11_EEDaSW_SX_EUlSW_E_NS1_11comp_targetILNS1_3genE10ELNS1_11target_archE1201ELNS1_3gpuE5ELNS1_3repE0EEENS1_30default_config_static_selectorELNS0_4arch9wavefront6targetE0EEEvT1_.uses_vcc, 0
	.set _ZN7rocprim17ROCPRIM_400000_NS6detail17trampoline_kernelINS0_14default_configENS1_27scan_by_key_config_selectorIixEEZZNS1_16scan_by_key_implILNS1_25lookback_scan_determinismE0ELb0ES3_N6thrust23THRUST_200600_302600_NS6detail15normal_iteratorINS9_10device_ptrIiEEEENSB_INSC_IxEEEESG_xNS9_4plusIvEENS9_8equal_toIvEExEE10hipError_tPvRmT2_T3_T4_T5_mT6_T7_P12ihipStream_tbENKUlT_T0_E_clISt17integral_constantIbLb1EES11_EEDaSW_SX_EUlSW_E_NS1_11comp_targetILNS1_3genE10ELNS1_11target_archE1201ELNS1_3gpuE5ELNS1_3repE0EEENS1_30default_config_static_selectorELNS0_4arch9wavefront6targetE0EEEvT1_.uses_flat_scratch, 0
	.set _ZN7rocprim17ROCPRIM_400000_NS6detail17trampoline_kernelINS0_14default_configENS1_27scan_by_key_config_selectorIixEEZZNS1_16scan_by_key_implILNS1_25lookback_scan_determinismE0ELb0ES3_N6thrust23THRUST_200600_302600_NS6detail15normal_iteratorINS9_10device_ptrIiEEEENSB_INSC_IxEEEESG_xNS9_4plusIvEENS9_8equal_toIvEExEE10hipError_tPvRmT2_T3_T4_T5_mT6_T7_P12ihipStream_tbENKUlT_T0_E_clISt17integral_constantIbLb1EES11_EEDaSW_SX_EUlSW_E_NS1_11comp_targetILNS1_3genE10ELNS1_11target_archE1201ELNS1_3gpuE5ELNS1_3repE0EEENS1_30default_config_static_selectorELNS0_4arch9wavefront6targetE0EEEvT1_.has_dyn_sized_stack, 0
	.set _ZN7rocprim17ROCPRIM_400000_NS6detail17trampoline_kernelINS0_14default_configENS1_27scan_by_key_config_selectorIixEEZZNS1_16scan_by_key_implILNS1_25lookback_scan_determinismE0ELb0ES3_N6thrust23THRUST_200600_302600_NS6detail15normal_iteratorINS9_10device_ptrIiEEEENSB_INSC_IxEEEESG_xNS9_4plusIvEENS9_8equal_toIvEExEE10hipError_tPvRmT2_T3_T4_T5_mT6_T7_P12ihipStream_tbENKUlT_T0_E_clISt17integral_constantIbLb1EES11_EEDaSW_SX_EUlSW_E_NS1_11comp_targetILNS1_3genE10ELNS1_11target_archE1201ELNS1_3gpuE5ELNS1_3repE0EEENS1_30default_config_static_selectorELNS0_4arch9wavefront6targetE0EEEvT1_.has_recursion, 0
	.set _ZN7rocprim17ROCPRIM_400000_NS6detail17trampoline_kernelINS0_14default_configENS1_27scan_by_key_config_selectorIixEEZZNS1_16scan_by_key_implILNS1_25lookback_scan_determinismE0ELb0ES3_N6thrust23THRUST_200600_302600_NS6detail15normal_iteratorINS9_10device_ptrIiEEEENSB_INSC_IxEEEESG_xNS9_4plusIvEENS9_8equal_toIvEExEE10hipError_tPvRmT2_T3_T4_T5_mT6_T7_P12ihipStream_tbENKUlT_T0_E_clISt17integral_constantIbLb1EES11_EEDaSW_SX_EUlSW_E_NS1_11comp_targetILNS1_3genE10ELNS1_11target_archE1201ELNS1_3gpuE5ELNS1_3repE0EEENS1_30default_config_static_selectorELNS0_4arch9wavefront6targetE0EEEvT1_.has_indirect_call, 0
	.section	.AMDGPU.csdata,"",@progbits
; Kernel info:
; codeLenInByte = 0
; TotalNumSgprs: 0
; NumVgprs: 0
; ScratchSize: 0
; MemoryBound: 0
; FloatMode: 240
; IeeeMode: 1
; LDSByteSize: 0 bytes/workgroup (compile time only)
; SGPRBlocks: 0
; VGPRBlocks: 0
; NumSGPRsForWavesPerEU: 1
; NumVGPRsForWavesPerEU: 1
; Occupancy: 16
; WaveLimiterHint : 0
; COMPUTE_PGM_RSRC2:SCRATCH_EN: 0
; COMPUTE_PGM_RSRC2:USER_SGPR: 6
; COMPUTE_PGM_RSRC2:TRAP_HANDLER: 0
; COMPUTE_PGM_RSRC2:TGID_X_EN: 1
; COMPUTE_PGM_RSRC2:TGID_Y_EN: 0
; COMPUTE_PGM_RSRC2:TGID_Z_EN: 0
; COMPUTE_PGM_RSRC2:TIDIG_COMP_CNT: 0
	.section	.text._ZN7rocprim17ROCPRIM_400000_NS6detail17trampoline_kernelINS0_14default_configENS1_27scan_by_key_config_selectorIixEEZZNS1_16scan_by_key_implILNS1_25lookback_scan_determinismE0ELb0ES3_N6thrust23THRUST_200600_302600_NS6detail15normal_iteratorINS9_10device_ptrIiEEEENSB_INSC_IxEEEESG_xNS9_4plusIvEENS9_8equal_toIvEExEE10hipError_tPvRmT2_T3_T4_T5_mT6_T7_P12ihipStream_tbENKUlT_T0_E_clISt17integral_constantIbLb1EES11_EEDaSW_SX_EUlSW_E_NS1_11comp_targetILNS1_3genE5ELNS1_11target_archE942ELNS1_3gpuE9ELNS1_3repE0EEENS1_30default_config_static_selectorELNS0_4arch9wavefront6targetE0EEEvT1_,"axG",@progbits,_ZN7rocprim17ROCPRIM_400000_NS6detail17trampoline_kernelINS0_14default_configENS1_27scan_by_key_config_selectorIixEEZZNS1_16scan_by_key_implILNS1_25lookback_scan_determinismE0ELb0ES3_N6thrust23THRUST_200600_302600_NS6detail15normal_iteratorINS9_10device_ptrIiEEEENSB_INSC_IxEEEESG_xNS9_4plusIvEENS9_8equal_toIvEExEE10hipError_tPvRmT2_T3_T4_T5_mT6_T7_P12ihipStream_tbENKUlT_T0_E_clISt17integral_constantIbLb1EES11_EEDaSW_SX_EUlSW_E_NS1_11comp_targetILNS1_3genE5ELNS1_11target_archE942ELNS1_3gpuE9ELNS1_3repE0EEENS1_30default_config_static_selectorELNS0_4arch9wavefront6targetE0EEEvT1_,comdat
	.protected	_ZN7rocprim17ROCPRIM_400000_NS6detail17trampoline_kernelINS0_14default_configENS1_27scan_by_key_config_selectorIixEEZZNS1_16scan_by_key_implILNS1_25lookback_scan_determinismE0ELb0ES3_N6thrust23THRUST_200600_302600_NS6detail15normal_iteratorINS9_10device_ptrIiEEEENSB_INSC_IxEEEESG_xNS9_4plusIvEENS9_8equal_toIvEExEE10hipError_tPvRmT2_T3_T4_T5_mT6_T7_P12ihipStream_tbENKUlT_T0_E_clISt17integral_constantIbLb1EES11_EEDaSW_SX_EUlSW_E_NS1_11comp_targetILNS1_3genE5ELNS1_11target_archE942ELNS1_3gpuE9ELNS1_3repE0EEENS1_30default_config_static_selectorELNS0_4arch9wavefront6targetE0EEEvT1_ ; -- Begin function _ZN7rocprim17ROCPRIM_400000_NS6detail17trampoline_kernelINS0_14default_configENS1_27scan_by_key_config_selectorIixEEZZNS1_16scan_by_key_implILNS1_25lookback_scan_determinismE0ELb0ES3_N6thrust23THRUST_200600_302600_NS6detail15normal_iteratorINS9_10device_ptrIiEEEENSB_INSC_IxEEEESG_xNS9_4plusIvEENS9_8equal_toIvEExEE10hipError_tPvRmT2_T3_T4_T5_mT6_T7_P12ihipStream_tbENKUlT_T0_E_clISt17integral_constantIbLb1EES11_EEDaSW_SX_EUlSW_E_NS1_11comp_targetILNS1_3genE5ELNS1_11target_archE942ELNS1_3gpuE9ELNS1_3repE0EEENS1_30default_config_static_selectorELNS0_4arch9wavefront6targetE0EEEvT1_
	.globl	_ZN7rocprim17ROCPRIM_400000_NS6detail17trampoline_kernelINS0_14default_configENS1_27scan_by_key_config_selectorIixEEZZNS1_16scan_by_key_implILNS1_25lookback_scan_determinismE0ELb0ES3_N6thrust23THRUST_200600_302600_NS6detail15normal_iteratorINS9_10device_ptrIiEEEENSB_INSC_IxEEEESG_xNS9_4plusIvEENS9_8equal_toIvEExEE10hipError_tPvRmT2_T3_T4_T5_mT6_T7_P12ihipStream_tbENKUlT_T0_E_clISt17integral_constantIbLb1EES11_EEDaSW_SX_EUlSW_E_NS1_11comp_targetILNS1_3genE5ELNS1_11target_archE942ELNS1_3gpuE9ELNS1_3repE0EEENS1_30default_config_static_selectorELNS0_4arch9wavefront6targetE0EEEvT1_
	.p2align	8
	.type	_ZN7rocprim17ROCPRIM_400000_NS6detail17trampoline_kernelINS0_14default_configENS1_27scan_by_key_config_selectorIixEEZZNS1_16scan_by_key_implILNS1_25lookback_scan_determinismE0ELb0ES3_N6thrust23THRUST_200600_302600_NS6detail15normal_iteratorINS9_10device_ptrIiEEEENSB_INSC_IxEEEESG_xNS9_4plusIvEENS9_8equal_toIvEExEE10hipError_tPvRmT2_T3_T4_T5_mT6_T7_P12ihipStream_tbENKUlT_T0_E_clISt17integral_constantIbLb1EES11_EEDaSW_SX_EUlSW_E_NS1_11comp_targetILNS1_3genE5ELNS1_11target_archE942ELNS1_3gpuE9ELNS1_3repE0EEENS1_30default_config_static_selectorELNS0_4arch9wavefront6targetE0EEEvT1_,@function
_ZN7rocprim17ROCPRIM_400000_NS6detail17trampoline_kernelINS0_14default_configENS1_27scan_by_key_config_selectorIixEEZZNS1_16scan_by_key_implILNS1_25lookback_scan_determinismE0ELb0ES3_N6thrust23THRUST_200600_302600_NS6detail15normal_iteratorINS9_10device_ptrIiEEEENSB_INSC_IxEEEESG_xNS9_4plusIvEENS9_8equal_toIvEExEE10hipError_tPvRmT2_T3_T4_T5_mT6_T7_P12ihipStream_tbENKUlT_T0_E_clISt17integral_constantIbLb1EES11_EEDaSW_SX_EUlSW_E_NS1_11comp_targetILNS1_3genE5ELNS1_11target_archE942ELNS1_3gpuE9ELNS1_3repE0EEENS1_30default_config_static_selectorELNS0_4arch9wavefront6targetE0EEEvT1_: ; @_ZN7rocprim17ROCPRIM_400000_NS6detail17trampoline_kernelINS0_14default_configENS1_27scan_by_key_config_selectorIixEEZZNS1_16scan_by_key_implILNS1_25lookback_scan_determinismE0ELb0ES3_N6thrust23THRUST_200600_302600_NS6detail15normal_iteratorINS9_10device_ptrIiEEEENSB_INSC_IxEEEESG_xNS9_4plusIvEENS9_8equal_toIvEExEE10hipError_tPvRmT2_T3_T4_T5_mT6_T7_P12ihipStream_tbENKUlT_T0_E_clISt17integral_constantIbLb1EES11_EEDaSW_SX_EUlSW_E_NS1_11comp_targetILNS1_3genE5ELNS1_11target_archE942ELNS1_3gpuE9ELNS1_3repE0EEENS1_30default_config_static_selectorELNS0_4arch9wavefront6targetE0EEEvT1_
; %bb.0:
	.section	.rodata,"a",@progbits
	.p2align	6, 0x0
	.amdhsa_kernel _ZN7rocprim17ROCPRIM_400000_NS6detail17trampoline_kernelINS0_14default_configENS1_27scan_by_key_config_selectorIixEEZZNS1_16scan_by_key_implILNS1_25lookback_scan_determinismE0ELb0ES3_N6thrust23THRUST_200600_302600_NS6detail15normal_iteratorINS9_10device_ptrIiEEEENSB_INSC_IxEEEESG_xNS9_4plusIvEENS9_8equal_toIvEExEE10hipError_tPvRmT2_T3_T4_T5_mT6_T7_P12ihipStream_tbENKUlT_T0_E_clISt17integral_constantIbLb1EES11_EEDaSW_SX_EUlSW_E_NS1_11comp_targetILNS1_3genE5ELNS1_11target_archE942ELNS1_3gpuE9ELNS1_3repE0EEENS1_30default_config_static_selectorELNS0_4arch9wavefront6targetE0EEEvT1_
		.amdhsa_group_segment_fixed_size 0
		.amdhsa_private_segment_fixed_size 0
		.amdhsa_kernarg_size 136
		.amdhsa_user_sgpr_count 6
		.amdhsa_user_sgpr_private_segment_buffer 1
		.amdhsa_user_sgpr_dispatch_ptr 0
		.amdhsa_user_sgpr_queue_ptr 0
		.amdhsa_user_sgpr_kernarg_segment_ptr 1
		.amdhsa_user_sgpr_dispatch_id 0
		.amdhsa_user_sgpr_flat_scratch_init 0
		.amdhsa_user_sgpr_private_segment_size 0
		.amdhsa_wavefront_size32 1
		.amdhsa_uses_dynamic_stack 0
		.amdhsa_system_sgpr_private_segment_wavefront_offset 0
		.amdhsa_system_sgpr_workgroup_id_x 1
		.amdhsa_system_sgpr_workgroup_id_y 0
		.amdhsa_system_sgpr_workgroup_id_z 0
		.amdhsa_system_sgpr_workgroup_info 0
		.amdhsa_system_vgpr_workitem_id 0
		.amdhsa_next_free_vgpr 1
		.amdhsa_next_free_sgpr 1
		.amdhsa_reserve_vcc 0
		.amdhsa_reserve_flat_scratch 0
		.amdhsa_float_round_mode_32 0
		.amdhsa_float_round_mode_16_64 0
		.amdhsa_float_denorm_mode_32 3
		.amdhsa_float_denorm_mode_16_64 3
		.amdhsa_dx10_clamp 1
		.amdhsa_ieee_mode 1
		.amdhsa_fp16_overflow 0
		.amdhsa_workgroup_processor_mode 1
		.amdhsa_memory_ordered 1
		.amdhsa_forward_progress 1
		.amdhsa_shared_vgpr_count 0
		.amdhsa_exception_fp_ieee_invalid_op 0
		.amdhsa_exception_fp_denorm_src 0
		.amdhsa_exception_fp_ieee_div_zero 0
		.amdhsa_exception_fp_ieee_overflow 0
		.amdhsa_exception_fp_ieee_underflow 0
		.amdhsa_exception_fp_ieee_inexact 0
		.amdhsa_exception_int_div_zero 0
	.end_amdhsa_kernel
	.section	.text._ZN7rocprim17ROCPRIM_400000_NS6detail17trampoline_kernelINS0_14default_configENS1_27scan_by_key_config_selectorIixEEZZNS1_16scan_by_key_implILNS1_25lookback_scan_determinismE0ELb0ES3_N6thrust23THRUST_200600_302600_NS6detail15normal_iteratorINS9_10device_ptrIiEEEENSB_INSC_IxEEEESG_xNS9_4plusIvEENS9_8equal_toIvEExEE10hipError_tPvRmT2_T3_T4_T5_mT6_T7_P12ihipStream_tbENKUlT_T0_E_clISt17integral_constantIbLb1EES11_EEDaSW_SX_EUlSW_E_NS1_11comp_targetILNS1_3genE5ELNS1_11target_archE942ELNS1_3gpuE9ELNS1_3repE0EEENS1_30default_config_static_selectorELNS0_4arch9wavefront6targetE0EEEvT1_,"axG",@progbits,_ZN7rocprim17ROCPRIM_400000_NS6detail17trampoline_kernelINS0_14default_configENS1_27scan_by_key_config_selectorIixEEZZNS1_16scan_by_key_implILNS1_25lookback_scan_determinismE0ELb0ES3_N6thrust23THRUST_200600_302600_NS6detail15normal_iteratorINS9_10device_ptrIiEEEENSB_INSC_IxEEEESG_xNS9_4plusIvEENS9_8equal_toIvEExEE10hipError_tPvRmT2_T3_T4_T5_mT6_T7_P12ihipStream_tbENKUlT_T0_E_clISt17integral_constantIbLb1EES11_EEDaSW_SX_EUlSW_E_NS1_11comp_targetILNS1_3genE5ELNS1_11target_archE942ELNS1_3gpuE9ELNS1_3repE0EEENS1_30default_config_static_selectorELNS0_4arch9wavefront6targetE0EEEvT1_,comdat
.Lfunc_end1323:
	.size	_ZN7rocprim17ROCPRIM_400000_NS6detail17trampoline_kernelINS0_14default_configENS1_27scan_by_key_config_selectorIixEEZZNS1_16scan_by_key_implILNS1_25lookback_scan_determinismE0ELb0ES3_N6thrust23THRUST_200600_302600_NS6detail15normal_iteratorINS9_10device_ptrIiEEEENSB_INSC_IxEEEESG_xNS9_4plusIvEENS9_8equal_toIvEExEE10hipError_tPvRmT2_T3_T4_T5_mT6_T7_P12ihipStream_tbENKUlT_T0_E_clISt17integral_constantIbLb1EES11_EEDaSW_SX_EUlSW_E_NS1_11comp_targetILNS1_3genE5ELNS1_11target_archE942ELNS1_3gpuE9ELNS1_3repE0EEENS1_30default_config_static_selectorELNS0_4arch9wavefront6targetE0EEEvT1_, .Lfunc_end1323-_ZN7rocprim17ROCPRIM_400000_NS6detail17trampoline_kernelINS0_14default_configENS1_27scan_by_key_config_selectorIixEEZZNS1_16scan_by_key_implILNS1_25lookback_scan_determinismE0ELb0ES3_N6thrust23THRUST_200600_302600_NS6detail15normal_iteratorINS9_10device_ptrIiEEEENSB_INSC_IxEEEESG_xNS9_4plusIvEENS9_8equal_toIvEExEE10hipError_tPvRmT2_T3_T4_T5_mT6_T7_P12ihipStream_tbENKUlT_T0_E_clISt17integral_constantIbLb1EES11_EEDaSW_SX_EUlSW_E_NS1_11comp_targetILNS1_3genE5ELNS1_11target_archE942ELNS1_3gpuE9ELNS1_3repE0EEENS1_30default_config_static_selectorELNS0_4arch9wavefront6targetE0EEEvT1_
                                        ; -- End function
	.set _ZN7rocprim17ROCPRIM_400000_NS6detail17trampoline_kernelINS0_14default_configENS1_27scan_by_key_config_selectorIixEEZZNS1_16scan_by_key_implILNS1_25lookback_scan_determinismE0ELb0ES3_N6thrust23THRUST_200600_302600_NS6detail15normal_iteratorINS9_10device_ptrIiEEEENSB_INSC_IxEEEESG_xNS9_4plusIvEENS9_8equal_toIvEExEE10hipError_tPvRmT2_T3_T4_T5_mT6_T7_P12ihipStream_tbENKUlT_T0_E_clISt17integral_constantIbLb1EES11_EEDaSW_SX_EUlSW_E_NS1_11comp_targetILNS1_3genE5ELNS1_11target_archE942ELNS1_3gpuE9ELNS1_3repE0EEENS1_30default_config_static_selectorELNS0_4arch9wavefront6targetE0EEEvT1_.num_vgpr, 0
	.set _ZN7rocprim17ROCPRIM_400000_NS6detail17trampoline_kernelINS0_14default_configENS1_27scan_by_key_config_selectorIixEEZZNS1_16scan_by_key_implILNS1_25lookback_scan_determinismE0ELb0ES3_N6thrust23THRUST_200600_302600_NS6detail15normal_iteratorINS9_10device_ptrIiEEEENSB_INSC_IxEEEESG_xNS9_4plusIvEENS9_8equal_toIvEExEE10hipError_tPvRmT2_T3_T4_T5_mT6_T7_P12ihipStream_tbENKUlT_T0_E_clISt17integral_constantIbLb1EES11_EEDaSW_SX_EUlSW_E_NS1_11comp_targetILNS1_3genE5ELNS1_11target_archE942ELNS1_3gpuE9ELNS1_3repE0EEENS1_30default_config_static_selectorELNS0_4arch9wavefront6targetE0EEEvT1_.num_agpr, 0
	.set _ZN7rocprim17ROCPRIM_400000_NS6detail17trampoline_kernelINS0_14default_configENS1_27scan_by_key_config_selectorIixEEZZNS1_16scan_by_key_implILNS1_25lookback_scan_determinismE0ELb0ES3_N6thrust23THRUST_200600_302600_NS6detail15normal_iteratorINS9_10device_ptrIiEEEENSB_INSC_IxEEEESG_xNS9_4plusIvEENS9_8equal_toIvEExEE10hipError_tPvRmT2_T3_T4_T5_mT6_T7_P12ihipStream_tbENKUlT_T0_E_clISt17integral_constantIbLb1EES11_EEDaSW_SX_EUlSW_E_NS1_11comp_targetILNS1_3genE5ELNS1_11target_archE942ELNS1_3gpuE9ELNS1_3repE0EEENS1_30default_config_static_selectorELNS0_4arch9wavefront6targetE0EEEvT1_.numbered_sgpr, 0
	.set _ZN7rocprim17ROCPRIM_400000_NS6detail17trampoline_kernelINS0_14default_configENS1_27scan_by_key_config_selectorIixEEZZNS1_16scan_by_key_implILNS1_25lookback_scan_determinismE0ELb0ES3_N6thrust23THRUST_200600_302600_NS6detail15normal_iteratorINS9_10device_ptrIiEEEENSB_INSC_IxEEEESG_xNS9_4plusIvEENS9_8equal_toIvEExEE10hipError_tPvRmT2_T3_T4_T5_mT6_T7_P12ihipStream_tbENKUlT_T0_E_clISt17integral_constantIbLb1EES11_EEDaSW_SX_EUlSW_E_NS1_11comp_targetILNS1_3genE5ELNS1_11target_archE942ELNS1_3gpuE9ELNS1_3repE0EEENS1_30default_config_static_selectorELNS0_4arch9wavefront6targetE0EEEvT1_.num_named_barrier, 0
	.set _ZN7rocprim17ROCPRIM_400000_NS6detail17trampoline_kernelINS0_14default_configENS1_27scan_by_key_config_selectorIixEEZZNS1_16scan_by_key_implILNS1_25lookback_scan_determinismE0ELb0ES3_N6thrust23THRUST_200600_302600_NS6detail15normal_iteratorINS9_10device_ptrIiEEEENSB_INSC_IxEEEESG_xNS9_4plusIvEENS9_8equal_toIvEExEE10hipError_tPvRmT2_T3_T4_T5_mT6_T7_P12ihipStream_tbENKUlT_T0_E_clISt17integral_constantIbLb1EES11_EEDaSW_SX_EUlSW_E_NS1_11comp_targetILNS1_3genE5ELNS1_11target_archE942ELNS1_3gpuE9ELNS1_3repE0EEENS1_30default_config_static_selectorELNS0_4arch9wavefront6targetE0EEEvT1_.private_seg_size, 0
	.set _ZN7rocprim17ROCPRIM_400000_NS6detail17trampoline_kernelINS0_14default_configENS1_27scan_by_key_config_selectorIixEEZZNS1_16scan_by_key_implILNS1_25lookback_scan_determinismE0ELb0ES3_N6thrust23THRUST_200600_302600_NS6detail15normal_iteratorINS9_10device_ptrIiEEEENSB_INSC_IxEEEESG_xNS9_4plusIvEENS9_8equal_toIvEExEE10hipError_tPvRmT2_T3_T4_T5_mT6_T7_P12ihipStream_tbENKUlT_T0_E_clISt17integral_constantIbLb1EES11_EEDaSW_SX_EUlSW_E_NS1_11comp_targetILNS1_3genE5ELNS1_11target_archE942ELNS1_3gpuE9ELNS1_3repE0EEENS1_30default_config_static_selectorELNS0_4arch9wavefront6targetE0EEEvT1_.uses_vcc, 0
	.set _ZN7rocprim17ROCPRIM_400000_NS6detail17trampoline_kernelINS0_14default_configENS1_27scan_by_key_config_selectorIixEEZZNS1_16scan_by_key_implILNS1_25lookback_scan_determinismE0ELb0ES3_N6thrust23THRUST_200600_302600_NS6detail15normal_iteratorINS9_10device_ptrIiEEEENSB_INSC_IxEEEESG_xNS9_4plusIvEENS9_8equal_toIvEExEE10hipError_tPvRmT2_T3_T4_T5_mT6_T7_P12ihipStream_tbENKUlT_T0_E_clISt17integral_constantIbLb1EES11_EEDaSW_SX_EUlSW_E_NS1_11comp_targetILNS1_3genE5ELNS1_11target_archE942ELNS1_3gpuE9ELNS1_3repE0EEENS1_30default_config_static_selectorELNS0_4arch9wavefront6targetE0EEEvT1_.uses_flat_scratch, 0
	.set _ZN7rocprim17ROCPRIM_400000_NS6detail17trampoline_kernelINS0_14default_configENS1_27scan_by_key_config_selectorIixEEZZNS1_16scan_by_key_implILNS1_25lookback_scan_determinismE0ELb0ES3_N6thrust23THRUST_200600_302600_NS6detail15normal_iteratorINS9_10device_ptrIiEEEENSB_INSC_IxEEEESG_xNS9_4plusIvEENS9_8equal_toIvEExEE10hipError_tPvRmT2_T3_T4_T5_mT6_T7_P12ihipStream_tbENKUlT_T0_E_clISt17integral_constantIbLb1EES11_EEDaSW_SX_EUlSW_E_NS1_11comp_targetILNS1_3genE5ELNS1_11target_archE942ELNS1_3gpuE9ELNS1_3repE0EEENS1_30default_config_static_selectorELNS0_4arch9wavefront6targetE0EEEvT1_.has_dyn_sized_stack, 0
	.set _ZN7rocprim17ROCPRIM_400000_NS6detail17trampoline_kernelINS0_14default_configENS1_27scan_by_key_config_selectorIixEEZZNS1_16scan_by_key_implILNS1_25lookback_scan_determinismE0ELb0ES3_N6thrust23THRUST_200600_302600_NS6detail15normal_iteratorINS9_10device_ptrIiEEEENSB_INSC_IxEEEESG_xNS9_4plusIvEENS9_8equal_toIvEExEE10hipError_tPvRmT2_T3_T4_T5_mT6_T7_P12ihipStream_tbENKUlT_T0_E_clISt17integral_constantIbLb1EES11_EEDaSW_SX_EUlSW_E_NS1_11comp_targetILNS1_3genE5ELNS1_11target_archE942ELNS1_3gpuE9ELNS1_3repE0EEENS1_30default_config_static_selectorELNS0_4arch9wavefront6targetE0EEEvT1_.has_recursion, 0
	.set _ZN7rocprim17ROCPRIM_400000_NS6detail17trampoline_kernelINS0_14default_configENS1_27scan_by_key_config_selectorIixEEZZNS1_16scan_by_key_implILNS1_25lookback_scan_determinismE0ELb0ES3_N6thrust23THRUST_200600_302600_NS6detail15normal_iteratorINS9_10device_ptrIiEEEENSB_INSC_IxEEEESG_xNS9_4plusIvEENS9_8equal_toIvEExEE10hipError_tPvRmT2_T3_T4_T5_mT6_T7_P12ihipStream_tbENKUlT_T0_E_clISt17integral_constantIbLb1EES11_EEDaSW_SX_EUlSW_E_NS1_11comp_targetILNS1_3genE5ELNS1_11target_archE942ELNS1_3gpuE9ELNS1_3repE0EEENS1_30default_config_static_selectorELNS0_4arch9wavefront6targetE0EEEvT1_.has_indirect_call, 0
	.section	.AMDGPU.csdata,"",@progbits
; Kernel info:
; codeLenInByte = 0
; TotalNumSgprs: 0
; NumVgprs: 0
; ScratchSize: 0
; MemoryBound: 0
; FloatMode: 240
; IeeeMode: 1
; LDSByteSize: 0 bytes/workgroup (compile time only)
; SGPRBlocks: 0
; VGPRBlocks: 0
; NumSGPRsForWavesPerEU: 1
; NumVGPRsForWavesPerEU: 1
; Occupancy: 16
; WaveLimiterHint : 0
; COMPUTE_PGM_RSRC2:SCRATCH_EN: 0
; COMPUTE_PGM_RSRC2:USER_SGPR: 6
; COMPUTE_PGM_RSRC2:TRAP_HANDLER: 0
; COMPUTE_PGM_RSRC2:TGID_X_EN: 1
; COMPUTE_PGM_RSRC2:TGID_Y_EN: 0
; COMPUTE_PGM_RSRC2:TGID_Z_EN: 0
; COMPUTE_PGM_RSRC2:TIDIG_COMP_CNT: 0
	.section	.text._ZN7rocprim17ROCPRIM_400000_NS6detail17trampoline_kernelINS0_14default_configENS1_27scan_by_key_config_selectorIixEEZZNS1_16scan_by_key_implILNS1_25lookback_scan_determinismE0ELb0ES3_N6thrust23THRUST_200600_302600_NS6detail15normal_iteratorINS9_10device_ptrIiEEEENSB_INSC_IxEEEESG_xNS9_4plusIvEENS9_8equal_toIvEExEE10hipError_tPvRmT2_T3_T4_T5_mT6_T7_P12ihipStream_tbENKUlT_T0_E_clISt17integral_constantIbLb1EES11_EEDaSW_SX_EUlSW_E_NS1_11comp_targetILNS1_3genE4ELNS1_11target_archE910ELNS1_3gpuE8ELNS1_3repE0EEENS1_30default_config_static_selectorELNS0_4arch9wavefront6targetE0EEEvT1_,"axG",@progbits,_ZN7rocprim17ROCPRIM_400000_NS6detail17trampoline_kernelINS0_14default_configENS1_27scan_by_key_config_selectorIixEEZZNS1_16scan_by_key_implILNS1_25lookback_scan_determinismE0ELb0ES3_N6thrust23THRUST_200600_302600_NS6detail15normal_iteratorINS9_10device_ptrIiEEEENSB_INSC_IxEEEESG_xNS9_4plusIvEENS9_8equal_toIvEExEE10hipError_tPvRmT2_T3_T4_T5_mT6_T7_P12ihipStream_tbENKUlT_T0_E_clISt17integral_constantIbLb1EES11_EEDaSW_SX_EUlSW_E_NS1_11comp_targetILNS1_3genE4ELNS1_11target_archE910ELNS1_3gpuE8ELNS1_3repE0EEENS1_30default_config_static_selectorELNS0_4arch9wavefront6targetE0EEEvT1_,comdat
	.protected	_ZN7rocprim17ROCPRIM_400000_NS6detail17trampoline_kernelINS0_14default_configENS1_27scan_by_key_config_selectorIixEEZZNS1_16scan_by_key_implILNS1_25lookback_scan_determinismE0ELb0ES3_N6thrust23THRUST_200600_302600_NS6detail15normal_iteratorINS9_10device_ptrIiEEEENSB_INSC_IxEEEESG_xNS9_4plusIvEENS9_8equal_toIvEExEE10hipError_tPvRmT2_T3_T4_T5_mT6_T7_P12ihipStream_tbENKUlT_T0_E_clISt17integral_constantIbLb1EES11_EEDaSW_SX_EUlSW_E_NS1_11comp_targetILNS1_3genE4ELNS1_11target_archE910ELNS1_3gpuE8ELNS1_3repE0EEENS1_30default_config_static_selectorELNS0_4arch9wavefront6targetE0EEEvT1_ ; -- Begin function _ZN7rocprim17ROCPRIM_400000_NS6detail17trampoline_kernelINS0_14default_configENS1_27scan_by_key_config_selectorIixEEZZNS1_16scan_by_key_implILNS1_25lookback_scan_determinismE0ELb0ES3_N6thrust23THRUST_200600_302600_NS6detail15normal_iteratorINS9_10device_ptrIiEEEENSB_INSC_IxEEEESG_xNS9_4plusIvEENS9_8equal_toIvEExEE10hipError_tPvRmT2_T3_T4_T5_mT6_T7_P12ihipStream_tbENKUlT_T0_E_clISt17integral_constantIbLb1EES11_EEDaSW_SX_EUlSW_E_NS1_11comp_targetILNS1_3genE4ELNS1_11target_archE910ELNS1_3gpuE8ELNS1_3repE0EEENS1_30default_config_static_selectorELNS0_4arch9wavefront6targetE0EEEvT1_
	.globl	_ZN7rocprim17ROCPRIM_400000_NS6detail17trampoline_kernelINS0_14default_configENS1_27scan_by_key_config_selectorIixEEZZNS1_16scan_by_key_implILNS1_25lookback_scan_determinismE0ELb0ES3_N6thrust23THRUST_200600_302600_NS6detail15normal_iteratorINS9_10device_ptrIiEEEENSB_INSC_IxEEEESG_xNS9_4plusIvEENS9_8equal_toIvEExEE10hipError_tPvRmT2_T3_T4_T5_mT6_T7_P12ihipStream_tbENKUlT_T0_E_clISt17integral_constantIbLb1EES11_EEDaSW_SX_EUlSW_E_NS1_11comp_targetILNS1_3genE4ELNS1_11target_archE910ELNS1_3gpuE8ELNS1_3repE0EEENS1_30default_config_static_selectorELNS0_4arch9wavefront6targetE0EEEvT1_
	.p2align	8
	.type	_ZN7rocprim17ROCPRIM_400000_NS6detail17trampoline_kernelINS0_14default_configENS1_27scan_by_key_config_selectorIixEEZZNS1_16scan_by_key_implILNS1_25lookback_scan_determinismE0ELb0ES3_N6thrust23THRUST_200600_302600_NS6detail15normal_iteratorINS9_10device_ptrIiEEEENSB_INSC_IxEEEESG_xNS9_4plusIvEENS9_8equal_toIvEExEE10hipError_tPvRmT2_T3_T4_T5_mT6_T7_P12ihipStream_tbENKUlT_T0_E_clISt17integral_constantIbLb1EES11_EEDaSW_SX_EUlSW_E_NS1_11comp_targetILNS1_3genE4ELNS1_11target_archE910ELNS1_3gpuE8ELNS1_3repE0EEENS1_30default_config_static_selectorELNS0_4arch9wavefront6targetE0EEEvT1_,@function
_ZN7rocprim17ROCPRIM_400000_NS6detail17trampoline_kernelINS0_14default_configENS1_27scan_by_key_config_selectorIixEEZZNS1_16scan_by_key_implILNS1_25lookback_scan_determinismE0ELb0ES3_N6thrust23THRUST_200600_302600_NS6detail15normal_iteratorINS9_10device_ptrIiEEEENSB_INSC_IxEEEESG_xNS9_4plusIvEENS9_8equal_toIvEExEE10hipError_tPvRmT2_T3_T4_T5_mT6_T7_P12ihipStream_tbENKUlT_T0_E_clISt17integral_constantIbLb1EES11_EEDaSW_SX_EUlSW_E_NS1_11comp_targetILNS1_3genE4ELNS1_11target_archE910ELNS1_3gpuE8ELNS1_3repE0EEENS1_30default_config_static_selectorELNS0_4arch9wavefront6targetE0EEEvT1_: ; @_ZN7rocprim17ROCPRIM_400000_NS6detail17trampoline_kernelINS0_14default_configENS1_27scan_by_key_config_selectorIixEEZZNS1_16scan_by_key_implILNS1_25lookback_scan_determinismE0ELb0ES3_N6thrust23THRUST_200600_302600_NS6detail15normal_iteratorINS9_10device_ptrIiEEEENSB_INSC_IxEEEESG_xNS9_4plusIvEENS9_8equal_toIvEExEE10hipError_tPvRmT2_T3_T4_T5_mT6_T7_P12ihipStream_tbENKUlT_T0_E_clISt17integral_constantIbLb1EES11_EEDaSW_SX_EUlSW_E_NS1_11comp_targetILNS1_3genE4ELNS1_11target_archE910ELNS1_3gpuE8ELNS1_3repE0EEENS1_30default_config_static_selectorELNS0_4arch9wavefront6targetE0EEEvT1_
; %bb.0:
	.section	.rodata,"a",@progbits
	.p2align	6, 0x0
	.amdhsa_kernel _ZN7rocprim17ROCPRIM_400000_NS6detail17trampoline_kernelINS0_14default_configENS1_27scan_by_key_config_selectorIixEEZZNS1_16scan_by_key_implILNS1_25lookback_scan_determinismE0ELb0ES3_N6thrust23THRUST_200600_302600_NS6detail15normal_iteratorINS9_10device_ptrIiEEEENSB_INSC_IxEEEESG_xNS9_4plusIvEENS9_8equal_toIvEExEE10hipError_tPvRmT2_T3_T4_T5_mT6_T7_P12ihipStream_tbENKUlT_T0_E_clISt17integral_constantIbLb1EES11_EEDaSW_SX_EUlSW_E_NS1_11comp_targetILNS1_3genE4ELNS1_11target_archE910ELNS1_3gpuE8ELNS1_3repE0EEENS1_30default_config_static_selectorELNS0_4arch9wavefront6targetE0EEEvT1_
		.amdhsa_group_segment_fixed_size 0
		.amdhsa_private_segment_fixed_size 0
		.amdhsa_kernarg_size 136
		.amdhsa_user_sgpr_count 6
		.amdhsa_user_sgpr_private_segment_buffer 1
		.amdhsa_user_sgpr_dispatch_ptr 0
		.amdhsa_user_sgpr_queue_ptr 0
		.amdhsa_user_sgpr_kernarg_segment_ptr 1
		.amdhsa_user_sgpr_dispatch_id 0
		.amdhsa_user_sgpr_flat_scratch_init 0
		.amdhsa_user_sgpr_private_segment_size 0
		.amdhsa_wavefront_size32 1
		.amdhsa_uses_dynamic_stack 0
		.amdhsa_system_sgpr_private_segment_wavefront_offset 0
		.amdhsa_system_sgpr_workgroup_id_x 1
		.amdhsa_system_sgpr_workgroup_id_y 0
		.amdhsa_system_sgpr_workgroup_id_z 0
		.amdhsa_system_sgpr_workgroup_info 0
		.amdhsa_system_vgpr_workitem_id 0
		.amdhsa_next_free_vgpr 1
		.amdhsa_next_free_sgpr 1
		.amdhsa_reserve_vcc 0
		.amdhsa_reserve_flat_scratch 0
		.amdhsa_float_round_mode_32 0
		.amdhsa_float_round_mode_16_64 0
		.amdhsa_float_denorm_mode_32 3
		.amdhsa_float_denorm_mode_16_64 3
		.amdhsa_dx10_clamp 1
		.amdhsa_ieee_mode 1
		.amdhsa_fp16_overflow 0
		.amdhsa_workgroup_processor_mode 1
		.amdhsa_memory_ordered 1
		.amdhsa_forward_progress 1
		.amdhsa_shared_vgpr_count 0
		.amdhsa_exception_fp_ieee_invalid_op 0
		.amdhsa_exception_fp_denorm_src 0
		.amdhsa_exception_fp_ieee_div_zero 0
		.amdhsa_exception_fp_ieee_overflow 0
		.amdhsa_exception_fp_ieee_underflow 0
		.amdhsa_exception_fp_ieee_inexact 0
		.amdhsa_exception_int_div_zero 0
	.end_amdhsa_kernel
	.section	.text._ZN7rocprim17ROCPRIM_400000_NS6detail17trampoline_kernelINS0_14default_configENS1_27scan_by_key_config_selectorIixEEZZNS1_16scan_by_key_implILNS1_25lookback_scan_determinismE0ELb0ES3_N6thrust23THRUST_200600_302600_NS6detail15normal_iteratorINS9_10device_ptrIiEEEENSB_INSC_IxEEEESG_xNS9_4plusIvEENS9_8equal_toIvEExEE10hipError_tPvRmT2_T3_T4_T5_mT6_T7_P12ihipStream_tbENKUlT_T0_E_clISt17integral_constantIbLb1EES11_EEDaSW_SX_EUlSW_E_NS1_11comp_targetILNS1_3genE4ELNS1_11target_archE910ELNS1_3gpuE8ELNS1_3repE0EEENS1_30default_config_static_selectorELNS0_4arch9wavefront6targetE0EEEvT1_,"axG",@progbits,_ZN7rocprim17ROCPRIM_400000_NS6detail17trampoline_kernelINS0_14default_configENS1_27scan_by_key_config_selectorIixEEZZNS1_16scan_by_key_implILNS1_25lookback_scan_determinismE0ELb0ES3_N6thrust23THRUST_200600_302600_NS6detail15normal_iteratorINS9_10device_ptrIiEEEENSB_INSC_IxEEEESG_xNS9_4plusIvEENS9_8equal_toIvEExEE10hipError_tPvRmT2_T3_T4_T5_mT6_T7_P12ihipStream_tbENKUlT_T0_E_clISt17integral_constantIbLb1EES11_EEDaSW_SX_EUlSW_E_NS1_11comp_targetILNS1_3genE4ELNS1_11target_archE910ELNS1_3gpuE8ELNS1_3repE0EEENS1_30default_config_static_selectorELNS0_4arch9wavefront6targetE0EEEvT1_,comdat
.Lfunc_end1324:
	.size	_ZN7rocprim17ROCPRIM_400000_NS6detail17trampoline_kernelINS0_14default_configENS1_27scan_by_key_config_selectorIixEEZZNS1_16scan_by_key_implILNS1_25lookback_scan_determinismE0ELb0ES3_N6thrust23THRUST_200600_302600_NS6detail15normal_iteratorINS9_10device_ptrIiEEEENSB_INSC_IxEEEESG_xNS9_4plusIvEENS9_8equal_toIvEExEE10hipError_tPvRmT2_T3_T4_T5_mT6_T7_P12ihipStream_tbENKUlT_T0_E_clISt17integral_constantIbLb1EES11_EEDaSW_SX_EUlSW_E_NS1_11comp_targetILNS1_3genE4ELNS1_11target_archE910ELNS1_3gpuE8ELNS1_3repE0EEENS1_30default_config_static_selectorELNS0_4arch9wavefront6targetE0EEEvT1_, .Lfunc_end1324-_ZN7rocprim17ROCPRIM_400000_NS6detail17trampoline_kernelINS0_14default_configENS1_27scan_by_key_config_selectorIixEEZZNS1_16scan_by_key_implILNS1_25lookback_scan_determinismE0ELb0ES3_N6thrust23THRUST_200600_302600_NS6detail15normal_iteratorINS9_10device_ptrIiEEEENSB_INSC_IxEEEESG_xNS9_4plusIvEENS9_8equal_toIvEExEE10hipError_tPvRmT2_T3_T4_T5_mT6_T7_P12ihipStream_tbENKUlT_T0_E_clISt17integral_constantIbLb1EES11_EEDaSW_SX_EUlSW_E_NS1_11comp_targetILNS1_3genE4ELNS1_11target_archE910ELNS1_3gpuE8ELNS1_3repE0EEENS1_30default_config_static_selectorELNS0_4arch9wavefront6targetE0EEEvT1_
                                        ; -- End function
	.set _ZN7rocprim17ROCPRIM_400000_NS6detail17trampoline_kernelINS0_14default_configENS1_27scan_by_key_config_selectorIixEEZZNS1_16scan_by_key_implILNS1_25lookback_scan_determinismE0ELb0ES3_N6thrust23THRUST_200600_302600_NS6detail15normal_iteratorINS9_10device_ptrIiEEEENSB_INSC_IxEEEESG_xNS9_4plusIvEENS9_8equal_toIvEExEE10hipError_tPvRmT2_T3_T4_T5_mT6_T7_P12ihipStream_tbENKUlT_T0_E_clISt17integral_constantIbLb1EES11_EEDaSW_SX_EUlSW_E_NS1_11comp_targetILNS1_3genE4ELNS1_11target_archE910ELNS1_3gpuE8ELNS1_3repE0EEENS1_30default_config_static_selectorELNS0_4arch9wavefront6targetE0EEEvT1_.num_vgpr, 0
	.set _ZN7rocprim17ROCPRIM_400000_NS6detail17trampoline_kernelINS0_14default_configENS1_27scan_by_key_config_selectorIixEEZZNS1_16scan_by_key_implILNS1_25lookback_scan_determinismE0ELb0ES3_N6thrust23THRUST_200600_302600_NS6detail15normal_iteratorINS9_10device_ptrIiEEEENSB_INSC_IxEEEESG_xNS9_4plusIvEENS9_8equal_toIvEExEE10hipError_tPvRmT2_T3_T4_T5_mT6_T7_P12ihipStream_tbENKUlT_T0_E_clISt17integral_constantIbLb1EES11_EEDaSW_SX_EUlSW_E_NS1_11comp_targetILNS1_3genE4ELNS1_11target_archE910ELNS1_3gpuE8ELNS1_3repE0EEENS1_30default_config_static_selectorELNS0_4arch9wavefront6targetE0EEEvT1_.num_agpr, 0
	.set _ZN7rocprim17ROCPRIM_400000_NS6detail17trampoline_kernelINS0_14default_configENS1_27scan_by_key_config_selectorIixEEZZNS1_16scan_by_key_implILNS1_25lookback_scan_determinismE0ELb0ES3_N6thrust23THRUST_200600_302600_NS6detail15normal_iteratorINS9_10device_ptrIiEEEENSB_INSC_IxEEEESG_xNS9_4plusIvEENS9_8equal_toIvEExEE10hipError_tPvRmT2_T3_T4_T5_mT6_T7_P12ihipStream_tbENKUlT_T0_E_clISt17integral_constantIbLb1EES11_EEDaSW_SX_EUlSW_E_NS1_11comp_targetILNS1_3genE4ELNS1_11target_archE910ELNS1_3gpuE8ELNS1_3repE0EEENS1_30default_config_static_selectorELNS0_4arch9wavefront6targetE0EEEvT1_.numbered_sgpr, 0
	.set _ZN7rocprim17ROCPRIM_400000_NS6detail17trampoline_kernelINS0_14default_configENS1_27scan_by_key_config_selectorIixEEZZNS1_16scan_by_key_implILNS1_25lookback_scan_determinismE0ELb0ES3_N6thrust23THRUST_200600_302600_NS6detail15normal_iteratorINS9_10device_ptrIiEEEENSB_INSC_IxEEEESG_xNS9_4plusIvEENS9_8equal_toIvEExEE10hipError_tPvRmT2_T3_T4_T5_mT6_T7_P12ihipStream_tbENKUlT_T0_E_clISt17integral_constantIbLb1EES11_EEDaSW_SX_EUlSW_E_NS1_11comp_targetILNS1_3genE4ELNS1_11target_archE910ELNS1_3gpuE8ELNS1_3repE0EEENS1_30default_config_static_selectorELNS0_4arch9wavefront6targetE0EEEvT1_.num_named_barrier, 0
	.set _ZN7rocprim17ROCPRIM_400000_NS6detail17trampoline_kernelINS0_14default_configENS1_27scan_by_key_config_selectorIixEEZZNS1_16scan_by_key_implILNS1_25lookback_scan_determinismE0ELb0ES3_N6thrust23THRUST_200600_302600_NS6detail15normal_iteratorINS9_10device_ptrIiEEEENSB_INSC_IxEEEESG_xNS9_4plusIvEENS9_8equal_toIvEExEE10hipError_tPvRmT2_T3_T4_T5_mT6_T7_P12ihipStream_tbENKUlT_T0_E_clISt17integral_constantIbLb1EES11_EEDaSW_SX_EUlSW_E_NS1_11comp_targetILNS1_3genE4ELNS1_11target_archE910ELNS1_3gpuE8ELNS1_3repE0EEENS1_30default_config_static_selectorELNS0_4arch9wavefront6targetE0EEEvT1_.private_seg_size, 0
	.set _ZN7rocprim17ROCPRIM_400000_NS6detail17trampoline_kernelINS0_14default_configENS1_27scan_by_key_config_selectorIixEEZZNS1_16scan_by_key_implILNS1_25lookback_scan_determinismE0ELb0ES3_N6thrust23THRUST_200600_302600_NS6detail15normal_iteratorINS9_10device_ptrIiEEEENSB_INSC_IxEEEESG_xNS9_4plusIvEENS9_8equal_toIvEExEE10hipError_tPvRmT2_T3_T4_T5_mT6_T7_P12ihipStream_tbENKUlT_T0_E_clISt17integral_constantIbLb1EES11_EEDaSW_SX_EUlSW_E_NS1_11comp_targetILNS1_3genE4ELNS1_11target_archE910ELNS1_3gpuE8ELNS1_3repE0EEENS1_30default_config_static_selectorELNS0_4arch9wavefront6targetE0EEEvT1_.uses_vcc, 0
	.set _ZN7rocprim17ROCPRIM_400000_NS6detail17trampoline_kernelINS0_14default_configENS1_27scan_by_key_config_selectorIixEEZZNS1_16scan_by_key_implILNS1_25lookback_scan_determinismE0ELb0ES3_N6thrust23THRUST_200600_302600_NS6detail15normal_iteratorINS9_10device_ptrIiEEEENSB_INSC_IxEEEESG_xNS9_4plusIvEENS9_8equal_toIvEExEE10hipError_tPvRmT2_T3_T4_T5_mT6_T7_P12ihipStream_tbENKUlT_T0_E_clISt17integral_constantIbLb1EES11_EEDaSW_SX_EUlSW_E_NS1_11comp_targetILNS1_3genE4ELNS1_11target_archE910ELNS1_3gpuE8ELNS1_3repE0EEENS1_30default_config_static_selectorELNS0_4arch9wavefront6targetE0EEEvT1_.uses_flat_scratch, 0
	.set _ZN7rocprim17ROCPRIM_400000_NS6detail17trampoline_kernelINS0_14default_configENS1_27scan_by_key_config_selectorIixEEZZNS1_16scan_by_key_implILNS1_25lookback_scan_determinismE0ELb0ES3_N6thrust23THRUST_200600_302600_NS6detail15normal_iteratorINS9_10device_ptrIiEEEENSB_INSC_IxEEEESG_xNS9_4plusIvEENS9_8equal_toIvEExEE10hipError_tPvRmT2_T3_T4_T5_mT6_T7_P12ihipStream_tbENKUlT_T0_E_clISt17integral_constantIbLb1EES11_EEDaSW_SX_EUlSW_E_NS1_11comp_targetILNS1_3genE4ELNS1_11target_archE910ELNS1_3gpuE8ELNS1_3repE0EEENS1_30default_config_static_selectorELNS0_4arch9wavefront6targetE0EEEvT1_.has_dyn_sized_stack, 0
	.set _ZN7rocprim17ROCPRIM_400000_NS6detail17trampoline_kernelINS0_14default_configENS1_27scan_by_key_config_selectorIixEEZZNS1_16scan_by_key_implILNS1_25lookback_scan_determinismE0ELb0ES3_N6thrust23THRUST_200600_302600_NS6detail15normal_iteratorINS9_10device_ptrIiEEEENSB_INSC_IxEEEESG_xNS9_4plusIvEENS9_8equal_toIvEExEE10hipError_tPvRmT2_T3_T4_T5_mT6_T7_P12ihipStream_tbENKUlT_T0_E_clISt17integral_constantIbLb1EES11_EEDaSW_SX_EUlSW_E_NS1_11comp_targetILNS1_3genE4ELNS1_11target_archE910ELNS1_3gpuE8ELNS1_3repE0EEENS1_30default_config_static_selectorELNS0_4arch9wavefront6targetE0EEEvT1_.has_recursion, 0
	.set _ZN7rocprim17ROCPRIM_400000_NS6detail17trampoline_kernelINS0_14default_configENS1_27scan_by_key_config_selectorIixEEZZNS1_16scan_by_key_implILNS1_25lookback_scan_determinismE0ELb0ES3_N6thrust23THRUST_200600_302600_NS6detail15normal_iteratorINS9_10device_ptrIiEEEENSB_INSC_IxEEEESG_xNS9_4plusIvEENS9_8equal_toIvEExEE10hipError_tPvRmT2_T3_T4_T5_mT6_T7_P12ihipStream_tbENKUlT_T0_E_clISt17integral_constantIbLb1EES11_EEDaSW_SX_EUlSW_E_NS1_11comp_targetILNS1_3genE4ELNS1_11target_archE910ELNS1_3gpuE8ELNS1_3repE0EEENS1_30default_config_static_selectorELNS0_4arch9wavefront6targetE0EEEvT1_.has_indirect_call, 0
	.section	.AMDGPU.csdata,"",@progbits
; Kernel info:
; codeLenInByte = 0
; TotalNumSgprs: 0
; NumVgprs: 0
; ScratchSize: 0
; MemoryBound: 0
; FloatMode: 240
; IeeeMode: 1
; LDSByteSize: 0 bytes/workgroup (compile time only)
; SGPRBlocks: 0
; VGPRBlocks: 0
; NumSGPRsForWavesPerEU: 1
; NumVGPRsForWavesPerEU: 1
; Occupancy: 16
; WaveLimiterHint : 0
; COMPUTE_PGM_RSRC2:SCRATCH_EN: 0
; COMPUTE_PGM_RSRC2:USER_SGPR: 6
; COMPUTE_PGM_RSRC2:TRAP_HANDLER: 0
; COMPUTE_PGM_RSRC2:TGID_X_EN: 1
; COMPUTE_PGM_RSRC2:TGID_Y_EN: 0
; COMPUTE_PGM_RSRC2:TGID_Z_EN: 0
; COMPUTE_PGM_RSRC2:TIDIG_COMP_CNT: 0
	.section	.text._ZN7rocprim17ROCPRIM_400000_NS6detail17trampoline_kernelINS0_14default_configENS1_27scan_by_key_config_selectorIixEEZZNS1_16scan_by_key_implILNS1_25lookback_scan_determinismE0ELb0ES3_N6thrust23THRUST_200600_302600_NS6detail15normal_iteratorINS9_10device_ptrIiEEEENSB_INSC_IxEEEESG_xNS9_4plusIvEENS9_8equal_toIvEExEE10hipError_tPvRmT2_T3_T4_T5_mT6_T7_P12ihipStream_tbENKUlT_T0_E_clISt17integral_constantIbLb1EES11_EEDaSW_SX_EUlSW_E_NS1_11comp_targetILNS1_3genE3ELNS1_11target_archE908ELNS1_3gpuE7ELNS1_3repE0EEENS1_30default_config_static_selectorELNS0_4arch9wavefront6targetE0EEEvT1_,"axG",@progbits,_ZN7rocprim17ROCPRIM_400000_NS6detail17trampoline_kernelINS0_14default_configENS1_27scan_by_key_config_selectorIixEEZZNS1_16scan_by_key_implILNS1_25lookback_scan_determinismE0ELb0ES3_N6thrust23THRUST_200600_302600_NS6detail15normal_iteratorINS9_10device_ptrIiEEEENSB_INSC_IxEEEESG_xNS9_4plusIvEENS9_8equal_toIvEExEE10hipError_tPvRmT2_T3_T4_T5_mT6_T7_P12ihipStream_tbENKUlT_T0_E_clISt17integral_constantIbLb1EES11_EEDaSW_SX_EUlSW_E_NS1_11comp_targetILNS1_3genE3ELNS1_11target_archE908ELNS1_3gpuE7ELNS1_3repE0EEENS1_30default_config_static_selectorELNS0_4arch9wavefront6targetE0EEEvT1_,comdat
	.protected	_ZN7rocprim17ROCPRIM_400000_NS6detail17trampoline_kernelINS0_14default_configENS1_27scan_by_key_config_selectorIixEEZZNS1_16scan_by_key_implILNS1_25lookback_scan_determinismE0ELb0ES3_N6thrust23THRUST_200600_302600_NS6detail15normal_iteratorINS9_10device_ptrIiEEEENSB_INSC_IxEEEESG_xNS9_4plusIvEENS9_8equal_toIvEExEE10hipError_tPvRmT2_T3_T4_T5_mT6_T7_P12ihipStream_tbENKUlT_T0_E_clISt17integral_constantIbLb1EES11_EEDaSW_SX_EUlSW_E_NS1_11comp_targetILNS1_3genE3ELNS1_11target_archE908ELNS1_3gpuE7ELNS1_3repE0EEENS1_30default_config_static_selectorELNS0_4arch9wavefront6targetE0EEEvT1_ ; -- Begin function _ZN7rocprim17ROCPRIM_400000_NS6detail17trampoline_kernelINS0_14default_configENS1_27scan_by_key_config_selectorIixEEZZNS1_16scan_by_key_implILNS1_25lookback_scan_determinismE0ELb0ES3_N6thrust23THRUST_200600_302600_NS6detail15normal_iteratorINS9_10device_ptrIiEEEENSB_INSC_IxEEEESG_xNS9_4plusIvEENS9_8equal_toIvEExEE10hipError_tPvRmT2_T3_T4_T5_mT6_T7_P12ihipStream_tbENKUlT_T0_E_clISt17integral_constantIbLb1EES11_EEDaSW_SX_EUlSW_E_NS1_11comp_targetILNS1_3genE3ELNS1_11target_archE908ELNS1_3gpuE7ELNS1_3repE0EEENS1_30default_config_static_selectorELNS0_4arch9wavefront6targetE0EEEvT1_
	.globl	_ZN7rocprim17ROCPRIM_400000_NS6detail17trampoline_kernelINS0_14default_configENS1_27scan_by_key_config_selectorIixEEZZNS1_16scan_by_key_implILNS1_25lookback_scan_determinismE0ELb0ES3_N6thrust23THRUST_200600_302600_NS6detail15normal_iteratorINS9_10device_ptrIiEEEENSB_INSC_IxEEEESG_xNS9_4plusIvEENS9_8equal_toIvEExEE10hipError_tPvRmT2_T3_T4_T5_mT6_T7_P12ihipStream_tbENKUlT_T0_E_clISt17integral_constantIbLb1EES11_EEDaSW_SX_EUlSW_E_NS1_11comp_targetILNS1_3genE3ELNS1_11target_archE908ELNS1_3gpuE7ELNS1_3repE0EEENS1_30default_config_static_selectorELNS0_4arch9wavefront6targetE0EEEvT1_
	.p2align	8
	.type	_ZN7rocprim17ROCPRIM_400000_NS6detail17trampoline_kernelINS0_14default_configENS1_27scan_by_key_config_selectorIixEEZZNS1_16scan_by_key_implILNS1_25lookback_scan_determinismE0ELb0ES3_N6thrust23THRUST_200600_302600_NS6detail15normal_iteratorINS9_10device_ptrIiEEEENSB_INSC_IxEEEESG_xNS9_4plusIvEENS9_8equal_toIvEExEE10hipError_tPvRmT2_T3_T4_T5_mT6_T7_P12ihipStream_tbENKUlT_T0_E_clISt17integral_constantIbLb1EES11_EEDaSW_SX_EUlSW_E_NS1_11comp_targetILNS1_3genE3ELNS1_11target_archE908ELNS1_3gpuE7ELNS1_3repE0EEENS1_30default_config_static_selectorELNS0_4arch9wavefront6targetE0EEEvT1_,@function
_ZN7rocprim17ROCPRIM_400000_NS6detail17trampoline_kernelINS0_14default_configENS1_27scan_by_key_config_selectorIixEEZZNS1_16scan_by_key_implILNS1_25lookback_scan_determinismE0ELb0ES3_N6thrust23THRUST_200600_302600_NS6detail15normal_iteratorINS9_10device_ptrIiEEEENSB_INSC_IxEEEESG_xNS9_4plusIvEENS9_8equal_toIvEExEE10hipError_tPvRmT2_T3_T4_T5_mT6_T7_P12ihipStream_tbENKUlT_T0_E_clISt17integral_constantIbLb1EES11_EEDaSW_SX_EUlSW_E_NS1_11comp_targetILNS1_3genE3ELNS1_11target_archE908ELNS1_3gpuE7ELNS1_3repE0EEENS1_30default_config_static_selectorELNS0_4arch9wavefront6targetE0EEEvT1_: ; @_ZN7rocprim17ROCPRIM_400000_NS6detail17trampoline_kernelINS0_14default_configENS1_27scan_by_key_config_selectorIixEEZZNS1_16scan_by_key_implILNS1_25lookback_scan_determinismE0ELb0ES3_N6thrust23THRUST_200600_302600_NS6detail15normal_iteratorINS9_10device_ptrIiEEEENSB_INSC_IxEEEESG_xNS9_4plusIvEENS9_8equal_toIvEExEE10hipError_tPvRmT2_T3_T4_T5_mT6_T7_P12ihipStream_tbENKUlT_T0_E_clISt17integral_constantIbLb1EES11_EEDaSW_SX_EUlSW_E_NS1_11comp_targetILNS1_3genE3ELNS1_11target_archE908ELNS1_3gpuE7ELNS1_3repE0EEENS1_30default_config_static_selectorELNS0_4arch9wavefront6targetE0EEEvT1_
; %bb.0:
	.section	.rodata,"a",@progbits
	.p2align	6, 0x0
	.amdhsa_kernel _ZN7rocprim17ROCPRIM_400000_NS6detail17trampoline_kernelINS0_14default_configENS1_27scan_by_key_config_selectorIixEEZZNS1_16scan_by_key_implILNS1_25lookback_scan_determinismE0ELb0ES3_N6thrust23THRUST_200600_302600_NS6detail15normal_iteratorINS9_10device_ptrIiEEEENSB_INSC_IxEEEESG_xNS9_4plusIvEENS9_8equal_toIvEExEE10hipError_tPvRmT2_T3_T4_T5_mT6_T7_P12ihipStream_tbENKUlT_T0_E_clISt17integral_constantIbLb1EES11_EEDaSW_SX_EUlSW_E_NS1_11comp_targetILNS1_3genE3ELNS1_11target_archE908ELNS1_3gpuE7ELNS1_3repE0EEENS1_30default_config_static_selectorELNS0_4arch9wavefront6targetE0EEEvT1_
		.amdhsa_group_segment_fixed_size 0
		.amdhsa_private_segment_fixed_size 0
		.amdhsa_kernarg_size 136
		.amdhsa_user_sgpr_count 6
		.amdhsa_user_sgpr_private_segment_buffer 1
		.amdhsa_user_sgpr_dispatch_ptr 0
		.amdhsa_user_sgpr_queue_ptr 0
		.amdhsa_user_sgpr_kernarg_segment_ptr 1
		.amdhsa_user_sgpr_dispatch_id 0
		.amdhsa_user_sgpr_flat_scratch_init 0
		.amdhsa_user_sgpr_private_segment_size 0
		.amdhsa_wavefront_size32 1
		.amdhsa_uses_dynamic_stack 0
		.amdhsa_system_sgpr_private_segment_wavefront_offset 0
		.amdhsa_system_sgpr_workgroup_id_x 1
		.amdhsa_system_sgpr_workgroup_id_y 0
		.amdhsa_system_sgpr_workgroup_id_z 0
		.amdhsa_system_sgpr_workgroup_info 0
		.amdhsa_system_vgpr_workitem_id 0
		.amdhsa_next_free_vgpr 1
		.amdhsa_next_free_sgpr 1
		.amdhsa_reserve_vcc 0
		.amdhsa_reserve_flat_scratch 0
		.amdhsa_float_round_mode_32 0
		.amdhsa_float_round_mode_16_64 0
		.amdhsa_float_denorm_mode_32 3
		.amdhsa_float_denorm_mode_16_64 3
		.amdhsa_dx10_clamp 1
		.amdhsa_ieee_mode 1
		.amdhsa_fp16_overflow 0
		.amdhsa_workgroup_processor_mode 1
		.amdhsa_memory_ordered 1
		.amdhsa_forward_progress 1
		.amdhsa_shared_vgpr_count 0
		.amdhsa_exception_fp_ieee_invalid_op 0
		.amdhsa_exception_fp_denorm_src 0
		.amdhsa_exception_fp_ieee_div_zero 0
		.amdhsa_exception_fp_ieee_overflow 0
		.amdhsa_exception_fp_ieee_underflow 0
		.amdhsa_exception_fp_ieee_inexact 0
		.amdhsa_exception_int_div_zero 0
	.end_amdhsa_kernel
	.section	.text._ZN7rocprim17ROCPRIM_400000_NS6detail17trampoline_kernelINS0_14default_configENS1_27scan_by_key_config_selectorIixEEZZNS1_16scan_by_key_implILNS1_25lookback_scan_determinismE0ELb0ES3_N6thrust23THRUST_200600_302600_NS6detail15normal_iteratorINS9_10device_ptrIiEEEENSB_INSC_IxEEEESG_xNS9_4plusIvEENS9_8equal_toIvEExEE10hipError_tPvRmT2_T3_T4_T5_mT6_T7_P12ihipStream_tbENKUlT_T0_E_clISt17integral_constantIbLb1EES11_EEDaSW_SX_EUlSW_E_NS1_11comp_targetILNS1_3genE3ELNS1_11target_archE908ELNS1_3gpuE7ELNS1_3repE0EEENS1_30default_config_static_selectorELNS0_4arch9wavefront6targetE0EEEvT1_,"axG",@progbits,_ZN7rocprim17ROCPRIM_400000_NS6detail17trampoline_kernelINS0_14default_configENS1_27scan_by_key_config_selectorIixEEZZNS1_16scan_by_key_implILNS1_25lookback_scan_determinismE0ELb0ES3_N6thrust23THRUST_200600_302600_NS6detail15normal_iteratorINS9_10device_ptrIiEEEENSB_INSC_IxEEEESG_xNS9_4plusIvEENS9_8equal_toIvEExEE10hipError_tPvRmT2_T3_T4_T5_mT6_T7_P12ihipStream_tbENKUlT_T0_E_clISt17integral_constantIbLb1EES11_EEDaSW_SX_EUlSW_E_NS1_11comp_targetILNS1_3genE3ELNS1_11target_archE908ELNS1_3gpuE7ELNS1_3repE0EEENS1_30default_config_static_selectorELNS0_4arch9wavefront6targetE0EEEvT1_,comdat
.Lfunc_end1325:
	.size	_ZN7rocprim17ROCPRIM_400000_NS6detail17trampoline_kernelINS0_14default_configENS1_27scan_by_key_config_selectorIixEEZZNS1_16scan_by_key_implILNS1_25lookback_scan_determinismE0ELb0ES3_N6thrust23THRUST_200600_302600_NS6detail15normal_iteratorINS9_10device_ptrIiEEEENSB_INSC_IxEEEESG_xNS9_4plusIvEENS9_8equal_toIvEExEE10hipError_tPvRmT2_T3_T4_T5_mT6_T7_P12ihipStream_tbENKUlT_T0_E_clISt17integral_constantIbLb1EES11_EEDaSW_SX_EUlSW_E_NS1_11comp_targetILNS1_3genE3ELNS1_11target_archE908ELNS1_3gpuE7ELNS1_3repE0EEENS1_30default_config_static_selectorELNS0_4arch9wavefront6targetE0EEEvT1_, .Lfunc_end1325-_ZN7rocprim17ROCPRIM_400000_NS6detail17trampoline_kernelINS0_14default_configENS1_27scan_by_key_config_selectorIixEEZZNS1_16scan_by_key_implILNS1_25lookback_scan_determinismE0ELb0ES3_N6thrust23THRUST_200600_302600_NS6detail15normal_iteratorINS9_10device_ptrIiEEEENSB_INSC_IxEEEESG_xNS9_4plusIvEENS9_8equal_toIvEExEE10hipError_tPvRmT2_T3_T4_T5_mT6_T7_P12ihipStream_tbENKUlT_T0_E_clISt17integral_constantIbLb1EES11_EEDaSW_SX_EUlSW_E_NS1_11comp_targetILNS1_3genE3ELNS1_11target_archE908ELNS1_3gpuE7ELNS1_3repE0EEENS1_30default_config_static_selectorELNS0_4arch9wavefront6targetE0EEEvT1_
                                        ; -- End function
	.set _ZN7rocprim17ROCPRIM_400000_NS6detail17trampoline_kernelINS0_14default_configENS1_27scan_by_key_config_selectorIixEEZZNS1_16scan_by_key_implILNS1_25lookback_scan_determinismE0ELb0ES3_N6thrust23THRUST_200600_302600_NS6detail15normal_iteratorINS9_10device_ptrIiEEEENSB_INSC_IxEEEESG_xNS9_4plusIvEENS9_8equal_toIvEExEE10hipError_tPvRmT2_T3_T4_T5_mT6_T7_P12ihipStream_tbENKUlT_T0_E_clISt17integral_constantIbLb1EES11_EEDaSW_SX_EUlSW_E_NS1_11comp_targetILNS1_3genE3ELNS1_11target_archE908ELNS1_3gpuE7ELNS1_3repE0EEENS1_30default_config_static_selectorELNS0_4arch9wavefront6targetE0EEEvT1_.num_vgpr, 0
	.set _ZN7rocprim17ROCPRIM_400000_NS6detail17trampoline_kernelINS0_14default_configENS1_27scan_by_key_config_selectorIixEEZZNS1_16scan_by_key_implILNS1_25lookback_scan_determinismE0ELb0ES3_N6thrust23THRUST_200600_302600_NS6detail15normal_iteratorINS9_10device_ptrIiEEEENSB_INSC_IxEEEESG_xNS9_4plusIvEENS9_8equal_toIvEExEE10hipError_tPvRmT2_T3_T4_T5_mT6_T7_P12ihipStream_tbENKUlT_T0_E_clISt17integral_constantIbLb1EES11_EEDaSW_SX_EUlSW_E_NS1_11comp_targetILNS1_3genE3ELNS1_11target_archE908ELNS1_3gpuE7ELNS1_3repE0EEENS1_30default_config_static_selectorELNS0_4arch9wavefront6targetE0EEEvT1_.num_agpr, 0
	.set _ZN7rocprim17ROCPRIM_400000_NS6detail17trampoline_kernelINS0_14default_configENS1_27scan_by_key_config_selectorIixEEZZNS1_16scan_by_key_implILNS1_25lookback_scan_determinismE0ELb0ES3_N6thrust23THRUST_200600_302600_NS6detail15normal_iteratorINS9_10device_ptrIiEEEENSB_INSC_IxEEEESG_xNS9_4plusIvEENS9_8equal_toIvEExEE10hipError_tPvRmT2_T3_T4_T5_mT6_T7_P12ihipStream_tbENKUlT_T0_E_clISt17integral_constantIbLb1EES11_EEDaSW_SX_EUlSW_E_NS1_11comp_targetILNS1_3genE3ELNS1_11target_archE908ELNS1_3gpuE7ELNS1_3repE0EEENS1_30default_config_static_selectorELNS0_4arch9wavefront6targetE0EEEvT1_.numbered_sgpr, 0
	.set _ZN7rocprim17ROCPRIM_400000_NS6detail17trampoline_kernelINS0_14default_configENS1_27scan_by_key_config_selectorIixEEZZNS1_16scan_by_key_implILNS1_25lookback_scan_determinismE0ELb0ES3_N6thrust23THRUST_200600_302600_NS6detail15normal_iteratorINS9_10device_ptrIiEEEENSB_INSC_IxEEEESG_xNS9_4plusIvEENS9_8equal_toIvEExEE10hipError_tPvRmT2_T3_T4_T5_mT6_T7_P12ihipStream_tbENKUlT_T0_E_clISt17integral_constantIbLb1EES11_EEDaSW_SX_EUlSW_E_NS1_11comp_targetILNS1_3genE3ELNS1_11target_archE908ELNS1_3gpuE7ELNS1_3repE0EEENS1_30default_config_static_selectorELNS0_4arch9wavefront6targetE0EEEvT1_.num_named_barrier, 0
	.set _ZN7rocprim17ROCPRIM_400000_NS6detail17trampoline_kernelINS0_14default_configENS1_27scan_by_key_config_selectorIixEEZZNS1_16scan_by_key_implILNS1_25lookback_scan_determinismE0ELb0ES3_N6thrust23THRUST_200600_302600_NS6detail15normal_iteratorINS9_10device_ptrIiEEEENSB_INSC_IxEEEESG_xNS9_4plusIvEENS9_8equal_toIvEExEE10hipError_tPvRmT2_T3_T4_T5_mT6_T7_P12ihipStream_tbENKUlT_T0_E_clISt17integral_constantIbLb1EES11_EEDaSW_SX_EUlSW_E_NS1_11comp_targetILNS1_3genE3ELNS1_11target_archE908ELNS1_3gpuE7ELNS1_3repE0EEENS1_30default_config_static_selectorELNS0_4arch9wavefront6targetE0EEEvT1_.private_seg_size, 0
	.set _ZN7rocprim17ROCPRIM_400000_NS6detail17trampoline_kernelINS0_14default_configENS1_27scan_by_key_config_selectorIixEEZZNS1_16scan_by_key_implILNS1_25lookback_scan_determinismE0ELb0ES3_N6thrust23THRUST_200600_302600_NS6detail15normal_iteratorINS9_10device_ptrIiEEEENSB_INSC_IxEEEESG_xNS9_4plusIvEENS9_8equal_toIvEExEE10hipError_tPvRmT2_T3_T4_T5_mT6_T7_P12ihipStream_tbENKUlT_T0_E_clISt17integral_constantIbLb1EES11_EEDaSW_SX_EUlSW_E_NS1_11comp_targetILNS1_3genE3ELNS1_11target_archE908ELNS1_3gpuE7ELNS1_3repE0EEENS1_30default_config_static_selectorELNS0_4arch9wavefront6targetE0EEEvT1_.uses_vcc, 0
	.set _ZN7rocprim17ROCPRIM_400000_NS6detail17trampoline_kernelINS0_14default_configENS1_27scan_by_key_config_selectorIixEEZZNS1_16scan_by_key_implILNS1_25lookback_scan_determinismE0ELb0ES3_N6thrust23THRUST_200600_302600_NS6detail15normal_iteratorINS9_10device_ptrIiEEEENSB_INSC_IxEEEESG_xNS9_4plusIvEENS9_8equal_toIvEExEE10hipError_tPvRmT2_T3_T4_T5_mT6_T7_P12ihipStream_tbENKUlT_T0_E_clISt17integral_constantIbLb1EES11_EEDaSW_SX_EUlSW_E_NS1_11comp_targetILNS1_3genE3ELNS1_11target_archE908ELNS1_3gpuE7ELNS1_3repE0EEENS1_30default_config_static_selectorELNS0_4arch9wavefront6targetE0EEEvT1_.uses_flat_scratch, 0
	.set _ZN7rocprim17ROCPRIM_400000_NS6detail17trampoline_kernelINS0_14default_configENS1_27scan_by_key_config_selectorIixEEZZNS1_16scan_by_key_implILNS1_25lookback_scan_determinismE0ELb0ES3_N6thrust23THRUST_200600_302600_NS6detail15normal_iteratorINS9_10device_ptrIiEEEENSB_INSC_IxEEEESG_xNS9_4plusIvEENS9_8equal_toIvEExEE10hipError_tPvRmT2_T3_T4_T5_mT6_T7_P12ihipStream_tbENKUlT_T0_E_clISt17integral_constantIbLb1EES11_EEDaSW_SX_EUlSW_E_NS1_11comp_targetILNS1_3genE3ELNS1_11target_archE908ELNS1_3gpuE7ELNS1_3repE0EEENS1_30default_config_static_selectorELNS0_4arch9wavefront6targetE0EEEvT1_.has_dyn_sized_stack, 0
	.set _ZN7rocprim17ROCPRIM_400000_NS6detail17trampoline_kernelINS0_14default_configENS1_27scan_by_key_config_selectorIixEEZZNS1_16scan_by_key_implILNS1_25lookback_scan_determinismE0ELb0ES3_N6thrust23THRUST_200600_302600_NS6detail15normal_iteratorINS9_10device_ptrIiEEEENSB_INSC_IxEEEESG_xNS9_4plusIvEENS9_8equal_toIvEExEE10hipError_tPvRmT2_T3_T4_T5_mT6_T7_P12ihipStream_tbENKUlT_T0_E_clISt17integral_constantIbLb1EES11_EEDaSW_SX_EUlSW_E_NS1_11comp_targetILNS1_3genE3ELNS1_11target_archE908ELNS1_3gpuE7ELNS1_3repE0EEENS1_30default_config_static_selectorELNS0_4arch9wavefront6targetE0EEEvT1_.has_recursion, 0
	.set _ZN7rocprim17ROCPRIM_400000_NS6detail17trampoline_kernelINS0_14default_configENS1_27scan_by_key_config_selectorIixEEZZNS1_16scan_by_key_implILNS1_25lookback_scan_determinismE0ELb0ES3_N6thrust23THRUST_200600_302600_NS6detail15normal_iteratorINS9_10device_ptrIiEEEENSB_INSC_IxEEEESG_xNS9_4plusIvEENS9_8equal_toIvEExEE10hipError_tPvRmT2_T3_T4_T5_mT6_T7_P12ihipStream_tbENKUlT_T0_E_clISt17integral_constantIbLb1EES11_EEDaSW_SX_EUlSW_E_NS1_11comp_targetILNS1_3genE3ELNS1_11target_archE908ELNS1_3gpuE7ELNS1_3repE0EEENS1_30default_config_static_selectorELNS0_4arch9wavefront6targetE0EEEvT1_.has_indirect_call, 0
	.section	.AMDGPU.csdata,"",@progbits
; Kernel info:
; codeLenInByte = 0
; TotalNumSgprs: 0
; NumVgprs: 0
; ScratchSize: 0
; MemoryBound: 0
; FloatMode: 240
; IeeeMode: 1
; LDSByteSize: 0 bytes/workgroup (compile time only)
; SGPRBlocks: 0
; VGPRBlocks: 0
; NumSGPRsForWavesPerEU: 1
; NumVGPRsForWavesPerEU: 1
; Occupancy: 16
; WaveLimiterHint : 0
; COMPUTE_PGM_RSRC2:SCRATCH_EN: 0
; COMPUTE_PGM_RSRC2:USER_SGPR: 6
; COMPUTE_PGM_RSRC2:TRAP_HANDLER: 0
; COMPUTE_PGM_RSRC2:TGID_X_EN: 1
; COMPUTE_PGM_RSRC2:TGID_Y_EN: 0
; COMPUTE_PGM_RSRC2:TGID_Z_EN: 0
; COMPUTE_PGM_RSRC2:TIDIG_COMP_CNT: 0
	.section	.text._ZN7rocprim17ROCPRIM_400000_NS6detail17trampoline_kernelINS0_14default_configENS1_27scan_by_key_config_selectorIixEEZZNS1_16scan_by_key_implILNS1_25lookback_scan_determinismE0ELb0ES3_N6thrust23THRUST_200600_302600_NS6detail15normal_iteratorINS9_10device_ptrIiEEEENSB_INSC_IxEEEESG_xNS9_4plusIvEENS9_8equal_toIvEExEE10hipError_tPvRmT2_T3_T4_T5_mT6_T7_P12ihipStream_tbENKUlT_T0_E_clISt17integral_constantIbLb1EES11_EEDaSW_SX_EUlSW_E_NS1_11comp_targetILNS1_3genE2ELNS1_11target_archE906ELNS1_3gpuE6ELNS1_3repE0EEENS1_30default_config_static_selectorELNS0_4arch9wavefront6targetE0EEEvT1_,"axG",@progbits,_ZN7rocprim17ROCPRIM_400000_NS6detail17trampoline_kernelINS0_14default_configENS1_27scan_by_key_config_selectorIixEEZZNS1_16scan_by_key_implILNS1_25lookback_scan_determinismE0ELb0ES3_N6thrust23THRUST_200600_302600_NS6detail15normal_iteratorINS9_10device_ptrIiEEEENSB_INSC_IxEEEESG_xNS9_4plusIvEENS9_8equal_toIvEExEE10hipError_tPvRmT2_T3_T4_T5_mT6_T7_P12ihipStream_tbENKUlT_T0_E_clISt17integral_constantIbLb1EES11_EEDaSW_SX_EUlSW_E_NS1_11comp_targetILNS1_3genE2ELNS1_11target_archE906ELNS1_3gpuE6ELNS1_3repE0EEENS1_30default_config_static_selectorELNS0_4arch9wavefront6targetE0EEEvT1_,comdat
	.protected	_ZN7rocprim17ROCPRIM_400000_NS6detail17trampoline_kernelINS0_14default_configENS1_27scan_by_key_config_selectorIixEEZZNS1_16scan_by_key_implILNS1_25lookback_scan_determinismE0ELb0ES3_N6thrust23THRUST_200600_302600_NS6detail15normal_iteratorINS9_10device_ptrIiEEEENSB_INSC_IxEEEESG_xNS9_4plusIvEENS9_8equal_toIvEExEE10hipError_tPvRmT2_T3_T4_T5_mT6_T7_P12ihipStream_tbENKUlT_T0_E_clISt17integral_constantIbLb1EES11_EEDaSW_SX_EUlSW_E_NS1_11comp_targetILNS1_3genE2ELNS1_11target_archE906ELNS1_3gpuE6ELNS1_3repE0EEENS1_30default_config_static_selectorELNS0_4arch9wavefront6targetE0EEEvT1_ ; -- Begin function _ZN7rocprim17ROCPRIM_400000_NS6detail17trampoline_kernelINS0_14default_configENS1_27scan_by_key_config_selectorIixEEZZNS1_16scan_by_key_implILNS1_25lookback_scan_determinismE0ELb0ES3_N6thrust23THRUST_200600_302600_NS6detail15normal_iteratorINS9_10device_ptrIiEEEENSB_INSC_IxEEEESG_xNS9_4plusIvEENS9_8equal_toIvEExEE10hipError_tPvRmT2_T3_T4_T5_mT6_T7_P12ihipStream_tbENKUlT_T0_E_clISt17integral_constantIbLb1EES11_EEDaSW_SX_EUlSW_E_NS1_11comp_targetILNS1_3genE2ELNS1_11target_archE906ELNS1_3gpuE6ELNS1_3repE0EEENS1_30default_config_static_selectorELNS0_4arch9wavefront6targetE0EEEvT1_
	.globl	_ZN7rocprim17ROCPRIM_400000_NS6detail17trampoline_kernelINS0_14default_configENS1_27scan_by_key_config_selectorIixEEZZNS1_16scan_by_key_implILNS1_25lookback_scan_determinismE0ELb0ES3_N6thrust23THRUST_200600_302600_NS6detail15normal_iteratorINS9_10device_ptrIiEEEENSB_INSC_IxEEEESG_xNS9_4plusIvEENS9_8equal_toIvEExEE10hipError_tPvRmT2_T3_T4_T5_mT6_T7_P12ihipStream_tbENKUlT_T0_E_clISt17integral_constantIbLb1EES11_EEDaSW_SX_EUlSW_E_NS1_11comp_targetILNS1_3genE2ELNS1_11target_archE906ELNS1_3gpuE6ELNS1_3repE0EEENS1_30default_config_static_selectorELNS0_4arch9wavefront6targetE0EEEvT1_
	.p2align	8
	.type	_ZN7rocprim17ROCPRIM_400000_NS6detail17trampoline_kernelINS0_14default_configENS1_27scan_by_key_config_selectorIixEEZZNS1_16scan_by_key_implILNS1_25lookback_scan_determinismE0ELb0ES3_N6thrust23THRUST_200600_302600_NS6detail15normal_iteratorINS9_10device_ptrIiEEEENSB_INSC_IxEEEESG_xNS9_4plusIvEENS9_8equal_toIvEExEE10hipError_tPvRmT2_T3_T4_T5_mT6_T7_P12ihipStream_tbENKUlT_T0_E_clISt17integral_constantIbLb1EES11_EEDaSW_SX_EUlSW_E_NS1_11comp_targetILNS1_3genE2ELNS1_11target_archE906ELNS1_3gpuE6ELNS1_3repE0EEENS1_30default_config_static_selectorELNS0_4arch9wavefront6targetE0EEEvT1_,@function
_ZN7rocprim17ROCPRIM_400000_NS6detail17trampoline_kernelINS0_14default_configENS1_27scan_by_key_config_selectorIixEEZZNS1_16scan_by_key_implILNS1_25lookback_scan_determinismE0ELb0ES3_N6thrust23THRUST_200600_302600_NS6detail15normal_iteratorINS9_10device_ptrIiEEEENSB_INSC_IxEEEESG_xNS9_4plusIvEENS9_8equal_toIvEExEE10hipError_tPvRmT2_T3_T4_T5_mT6_T7_P12ihipStream_tbENKUlT_T0_E_clISt17integral_constantIbLb1EES11_EEDaSW_SX_EUlSW_E_NS1_11comp_targetILNS1_3genE2ELNS1_11target_archE906ELNS1_3gpuE6ELNS1_3repE0EEENS1_30default_config_static_selectorELNS0_4arch9wavefront6targetE0EEEvT1_: ; @_ZN7rocprim17ROCPRIM_400000_NS6detail17trampoline_kernelINS0_14default_configENS1_27scan_by_key_config_selectorIixEEZZNS1_16scan_by_key_implILNS1_25lookback_scan_determinismE0ELb0ES3_N6thrust23THRUST_200600_302600_NS6detail15normal_iteratorINS9_10device_ptrIiEEEENSB_INSC_IxEEEESG_xNS9_4plusIvEENS9_8equal_toIvEExEE10hipError_tPvRmT2_T3_T4_T5_mT6_T7_P12ihipStream_tbENKUlT_T0_E_clISt17integral_constantIbLb1EES11_EEDaSW_SX_EUlSW_E_NS1_11comp_targetILNS1_3genE2ELNS1_11target_archE906ELNS1_3gpuE6ELNS1_3repE0EEENS1_30default_config_static_selectorELNS0_4arch9wavefront6targetE0EEEvT1_
; %bb.0:
	.section	.rodata,"a",@progbits
	.p2align	6, 0x0
	.amdhsa_kernel _ZN7rocprim17ROCPRIM_400000_NS6detail17trampoline_kernelINS0_14default_configENS1_27scan_by_key_config_selectorIixEEZZNS1_16scan_by_key_implILNS1_25lookback_scan_determinismE0ELb0ES3_N6thrust23THRUST_200600_302600_NS6detail15normal_iteratorINS9_10device_ptrIiEEEENSB_INSC_IxEEEESG_xNS9_4plusIvEENS9_8equal_toIvEExEE10hipError_tPvRmT2_T3_T4_T5_mT6_T7_P12ihipStream_tbENKUlT_T0_E_clISt17integral_constantIbLb1EES11_EEDaSW_SX_EUlSW_E_NS1_11comp_targetILNS1_3genE2ELNS1_11target_archE906ELNS1_3gpuE6ELNS1_3repE0EEENS1_30default_config_static_selectorELNS0_4arch9wavefront6targetE0EEEvT1_
		.amdhsa_group_segment_fixed_size 0
		.amdhsa_private_segment_fixed_size 0
		.amdhsa_kernarg_size 136
		.amdhsa_user_sgpr_count 6
		.amdhsa_user_sgpr_private_segment_buffer 1
		.amdhsa_user_sgpr_dispatch_ptr 0
		.amdhsa_user_sgpr_queue_ptr 0
		.amdhsa_user_sgpr_kernarg_segment_ptr 1
		.amdhsa_user_sgpr_dispatch_id 0
		.amdhsa_user_sgpr_flat_scratch_init 0
		.amdhsa_user_sgpr_private_segment_size 0
		.amdhsa_wavefront_size32 1
		.amdhsa_uses_dynamic_stack 0
		.amdhsa_system_sgpr_private_segment_wavefront_offset 0
		.amdhsa_system_sgpr_workgroup_id_x 1
		.amdhsa_system_sgpr_workgroup_id_y 0
		.amdhsa_system_sgpr_workgroup_id_z 0
		.amdhsa_system_sgpr_workgroup_info 0
		.amdhsa_system_vgpr_workitem_id 0
		.amdhsa_next_free_vgpr 1
		.amdhsa_next_free_sgpr 1
		.amdhsa_reserve_vcc 0
		.amdhsa_reserve_flat_scratch 0
		.amdhsa_float_round_mode_32 0
		.amdhsa_float_round_mode_16_64 0
		.amdhsa_float_denorm_mode_32 3
		.amdhsa_float_denorm_mode_16_64 3
		.amdhsa_dx10_clamp 1
		.amdhsa_ieee_mode 1
		.amdhsa_fp16_overflow 0
		.amdhsa_workgroup_processor_mode 1
		.amdhsa_memory_ordered 1
		.amdhsa_forward_progress 1
		.amdhsa_shared_vgpr_count 0
		.amdhsa_exception_fp_ieee_invalid_op 0
		.amdhsa_exception_fp_denorm_src 0
		.amdhsa_exception_fp_ieee_div_zero 0
		.amdhsa_exception_fp_ieee_overflow 0
		.amdhsa_exception_fp_ieee_underflow 0
		.amdhsa_exception_fp_ieee_inexact 0
		.amdhsa_exception_int_div_zero 0
	.end_amdhsa_kernel
	.section	.text._ZN7rocprim17ROCPRIM_400000_NS6detail17trampoline_kernelINS0_14default_configENS1_27scan_by_key_config_selectorIixEEZZNS1_16scan_by_key_implILNS1_25lookback_scan_determinismE0ELb0ES3_N6thrust23THRUST_200600_302600_NS6detail15normal_iteratorINS9_10device_ptrIiEEEENSB_INSC_IxEEEESG_xNS9_4plusIvEENS9_8equal_toIvEExEE10hipError_tPvRmT2_T3_T4_T5_mT6_T7_P12ihipStream_tbENKUlT_T0_E_clISt17integral_constantIbLb1EES11_EEDaSW_SX_EUlSW_E_NS1_11comp_targetILNS1_3genE2ELNS1_11target_archE906ELNS1_3gpuE6ELNS1_3repE0EEENS1_30default_config_static_selectorELNS0_4arch9wavefront6targetE0EEEvT1_,"axG",@progbits,_ZN7rocprim17ROCPRIM_400000_NS6detail17trampoline_kernelINS0_14default_configENS1_27scan_by_key_config_selectorIixEEZZNS1_16scan_by_key_implILNS1_25lookback_scan_determinismE0ELb0ES3_N6thrust23THRUST_200600_302600_NS6detail15normal_iteratorINS9_10device_ptrIiEEEENSB_INSC_IxEEEESG_xNS9_4plusIvEENS9_8equal_toIvEExEE10hipError_tPvRmT2_T3_T4_T5_mT6_T7_P12ihipStream_tbENKUlT_T0_E_clISt17integral_constantIbLb1EES11_EEDaSW_SX_EUlSW_E_NS1_11comp_targetILNS1_3genE2ELNS1_11target_archE906ELNS1_3gpuE6ELNS1_3repE0EEENS1_30default_config_static_selectorELNS0_4arch9wavefront6targetE0EEEvT1_,comdat
.Lfunc_end1326:
	.size	_ZN7rocprim17ROCPRIM_400000_NS6detail17trampoline_kernelINS0_14default_configENS1_27scan_by_key_config_selectorIixEEZZNS1_16scan_by_key_implILNS1_25lookback_scan_determinismE0ELb0ES3_N6thrust23THRUST_200600_302600_NS6detail15normal_iteratorINS9_10device_ptrIiEEEENSB_INSC_IxEEEESG_xNS9_4plusIvEENS9_8equal_toIvEExEE10hipError_tPvRmT2_T3_T4_T5_mT6_T7_P12ihipStream_tbENKUlT_T0_E_clISt17integral_constantIbLb1EES11_EEDaSW_SX_EUlSW_E_NS1_11comp_targetILNS1_3genE2ELNS1_11target_archE906ELNS1_3gpuE6ELNS1_3repE0EEENS1_30default_config_static_selectorELNS0_4arch9wavefront6targetE0EEEvT1_, .Lfunc_end1326-_ZN7rocprim17ROCPRIM_400000_NS6detail17trampoline_kernelINS0_14default_configENS1_27scan_by_key_config_selectorIixEEZZNS1_16scan_by_key_implILNS1_25lookback_scan_determinismE0ELb0ES3_N6thrust23THRUST_200600_302600_NS6detail15normal_iteratorINS9_10device_ptrIiEEEENSB_INSC_IxEEEESG_xNS9_4plusIvEENS9_8equal_toIvEExEE10hipError_tPvRmT2_T3_T4_T5_mT6_T7_P12ihipStream_tbENKUlT_T0_E_clISt17integral_constantIbLb1EES11_EEDaSW_SX_EUlSW_E_NS1_11comp_targetILNS1_3genE2ELNS1_11target_archE906ELNS1_3gpuE6ELNS1_3repE0EEENS1_30default_config_static_selectorELNS0_4arch9wavefront6targetE0EEEvT1_
                                        ; -- End function
	.set _ZN7rocprim17ROCPRIM_400000_NS6detail17trampoline_kernelINS0_14default_configENS1_27scan_by_key_config_selectorIixEEZZNS1_16scan_by_key_implILNS1_25lookback_scan_determinismE0ELb0ES3_N6thrust23THRUST_200600_302600_NS6detail15normal_iteratorINS9_10device_ptrIiEEEENSB_INSC_IxEEEESG_xNS9_4plusIvEENS9_8equal_toIvEExEE10hipError_tPvRmT2_T3_T4_T5_mT6_T7_P12ihipStream_tbENKUlT_T0_E_clISt17integral_constantIbLb1EES11_EEDaSW_SX_EUlSW_E_NS1_11comp_targetILNS1_3genE2ELNS1_11target_archE906ELNS1_3gpuE6ELNS1_3repE0EEENS1_30default_config_static_selectorELNS0_4arch9wavefront6targetE0EEEvT1_.num_vgpr, 0
	.set _ZN7rocprim17ROCPRIM_400000_NS6detail17trampoline_kernelINS0_14default_configENS1_27scan_by_key_config_selectorIixEEZZNS1_16scan_by_key_implILNS1_25lookback_scan_determinismE0ELb0ES3_N6thrust23THRUST_200600_302600_NS6detail15normal_iteratorINS9_10device_ptrIiEEEENSB_INSC_IxEEEESG_xNS9_4plusIvEENS9_8equal_toIvEExEE10hipError_tPvRmT2_T3_T4_T5_mT6_T7_P12ihipStream_tbENKUlT_T0_E_clISt17integral_constantIbLb1EES11_EEDaSW_SX_EUlSW_E_NS1_11comp_targetILNS1_3genE2ELNS1_11target_archE906ELNS1_3gpuE6ELNS1_3repE0EEENS1_30default_config_static_selectorELNS0_4arch9wavefront6targetE0EEEvT1_.num_agpr, 0
	.set _ZN7rocprim17ROCPRIM_400000_NS6detail17trampoline_kernelINS0_14default_configENS1_27scan_by_key_config_selectorIixEEZZNS1_16scan_by_key_implILNS1_25lookback_scan_determinismE0ELb0ES3_N6thrust23THRUST_200600_302600_NS6detail15normal_iteratorINS9_10device_ptrIiEEEENSB_INSC_IxEEEESG_xNS9_4plusIvEENS9_8equal_toIvEExEE10hipError_tPvRmT2_T3_T4_T5_mT6_T7_P12ihipStream_tbENKUlT_T0_E_clISt17integral_constantIbLb1EES11_EEDaSW_SX_EUlSW_E_NS1_11comp_targetILNS1_3genE2ELNS1_11target_archE906ELNS1_3gpuE6ELNS1_3repE0EEENS1_30default_config_static_selectorELNS0_4arch9wavefront6targetE0EEEvT1_.numbered_sgpr, 0
	.set _ZN7rocprim17ROCPRIM_400000_NS6detail17trampoline_kernelINS0_14default_configENS1_27scan_by_key_config_selectorIixEEZZNS1_16scan_by_key_implILNS1_25lookback_scan_determinismE0ELb0ES3_N6thrust23THRUST_200600_302600_NS6detail15normal_iteratorINS9_10device_ptrIiEEEENSB_INSC_IxEEEESG_xNS9_4plusIvEENS9_8equal_toIvEExEE10hipError_tPvRmT2_T3_T4_T5_mT6_T7_P12ihipStream_tbENKUlT_T0_E_clISt17integral_constantIbLb1EES11_EEDaSW_SX_EUlSW_E_NS1_11comp_targetILNS1_3genE2ELNS1_11target_archE906ELNS1_3gpuE6ELNS1_3repE0EEENS1_30default_config_static_selectorELNS0_4arch9wavefront6targetE0EEEvT1_.num_named_barrier, 0
	.set _ZN7rocprim17ROCPRIM_400000_NS6detail17trampoline_kernelINS0_14default_configENS1_27scan_by_key_config_selectorIixEEZZNS1_16scan_by_key_implILNS1_25lookback_scan_determinismE0ELb0ES3_N6thrust23THRUST_200600_302600_NS6detail15normal_iteratorINS9_10device_ptrIiEEEENSB_INSC_IxEEEESG_xNS9_4plusIvEENS9_8equal_toIvEExEE10hipError_tPvRmT2_T3_T4_T5_mT6_T7_P12ihipStream_tbENKUlT_T0_E_clISt17integral_constantIbLb1EES11_EEDaSW_SX_EUlSW_E_NS1_11comp_targetILNS1_3genE2ELNS1_11target_archE906ELNS1_3gpuE6ELNS1_3repE0EEENS1_30default_config_static_selectorELNS0_4arch9wavefront6targetE0EEEvT1_.private_seg_size, 0
	.set _ZN7rocprim17ROCPRIM_400000_NS6detail17trampoline_kernelINS0_14default_configENS1_27scan_by_key_config_selectorIixEEZZNS1_16scan_by_key_implILNS1_25lookback_scan_determinismE0ELb0ES3_N6thrust23THRUST_200600_302600_NS6detail15normal_iteratorINS9_10device_ptrIiEEEENSB_INSC_IxEEEESG_xNS9_4plusIvEENS9_8equal_toIvEExEE10hipError_tPvRmT2_T3_T4_T5_mT6_T7_P12ihipStream_tbENKUlT_T0_E_clISt17integral_constantIbLb1EES11_EEDaSW_SX_EUlSW_E_NS1_11comp_targetILNS1_3genE2ELNS1_11target_archE906ELNS1_3gpuE6ELNS1_3repE0EEENS1_30default_config_static_selectorELNS0_4arch9wavefront6targetE0EEEvT1_.uses_vcc, 0
	.set _ZN7rocprim17ROCPRIM_400000_NS6detail17trampoline_kernelINS0_14default_configENS1_27scan_by_key_config_selectorIixEEZZNS1_16scan_by_key_implILNS1_25lookback_scan_determinismE0ELb0ES3_N6thrust23THRUST_200600_302600_NS6detail15normal_iteratorINS9_10device_ptrIiEEEENSB_INSC_IxEEEESG_xNS9_4plusIvEENS9_8equal_toIvEExEE10hipError_tPvRmT2_T3_T4_T5_mT6_T7_P12ihipStream_tbENKUlT_T0_E_clISt17integral_constantIbLb1EES11_EEDaSW_SX_EUlSW_E_NS1_11comp_targetILNS1_3genE2ELNS1_11target_archE906ELNS1_3gpuE6ELNS1_3repE0EEENS1_30default_config_static_selectorELNS0_4arch9wavefront6targetE0EEEvT1_.uses_flat_scratch, 0
	.set _ZN7rocprim17ROCPRIM_400000_NS6detail17trampoline_kernelINS0_14default_configENS1_27scan_by_key_config_selectorIixEEZZNS1_16scan_by_key_implILNS1_25lookback_scan_determinismE0ELb0ES3_N6thrust23THRUST_200600_302600_NS6detail15normal_iteratorINS9_10device_ptrIiEEEENSB_INSC_IxEEEESG_xNS9_4plusIvEENS9_8equal_toIvEExEE10hipError_tPvRmT2_T3_T4_T5_mT6_T7_P12ihipStream_tbENKUlT_T0_E_clISt17integral_constantIbLb1EES11_EEDaSW_SX_EUlSW_E_NS1_11comp_targetILNS1_3genE2ELNS1_11target_archE906ELNS1_3gpuE6ELNS1_3repE0EEENS1_30default_config_static_selectorELNS0_4arch9wavefront6targetE0EEEvT1_.has_dyn_sized_stack, 0
	.set _ZN7rocprim17ROCPRIM_400000_NS6detail17trampoline_kernelINS0_14default_configENS1_27scan_by_key_config_selectorIixEEZZNS1_16scan_by_key_implILNS1_25lookback_scan_determinismE0ELb0ES3_N6thrust23THRUST_200600_302600_NS6detail15normal_iteratorINS9_10device_ptrIiEEEENSB_INSC_IxEEEESG_xNS9_4plusIvEENS9_8equal_toIvEExEE10hipError_tPvRmT2_T3_T4_T5_mT6_T7_P12ihipStream_tbENKUlT_T0_E_clISt17integral_constantIbLb1EES11_EEDaSW_SX_EUlSW_E_NS1_11comp_targetILNS1_3genE2ELNS1_11target_archE906ELNS1_3gpuE6ELNS1_3repE0EEENS1_30default_config_static_selectorELNS0_4arch9wavefront6targetE0EEEvT1_.has_recursion, 0
	.set _ZN7rocprim17ROCPRIM_400000_NS6detail17trampoline_kernelINS0_14default_configENS1_27scan_by_key_config_selectorIixEEZZNS1_16scan_by_key_implILNS1_25lookback_scan_determinismE0ELb0ES3_N6thrust23THRUST_200600_302600_NS6detail15normal_iteratorINS9_10device_ptrIiEEEENSB_INSC_IxEEEESG_xNS9_4plusIvEENS9_8equal_toIvEExEE10hipError_tPvRmT2_T3_T4_T5_mT6_T7_P12ihipStream_tbENKUlT_T0_E_clISt17integral_constantIbLb1EES11_EEDaSW_SX_EUlSW_E_NS1_11comp_targetILNS1_3genE2ELNS1_11target_archE906ELNS1_3gpuE6ELNS1_3repE0EEENS1_30default_config_static_selectorELNS0_4arch9wavefront6targetE0EEEvT1_.has_indirect_call, 0
	.section	.AMDGPU.csdata,"",@progbits
; Kernel info:
; codeLenInByte = 0
; TotalNumSgprs: 0
; NumVgprs: 0
; ScratchSize: 0
; MemoryBound: 0
; FloatMode: 240
; IeeeMode: 1
; LDSByteSize: 0 bytes/workgroup (compile time only)
; SGPRBlocks: 0
; VGPRBlocks: 0
; NumSGPRsForWavesPerEU: 1
; NumVGPRsForWavesPerEU: 1
; Occupancy: 16
; WaveLimiterHint : 0
; COMPUTE_PGM_RSRC2:SCRATCH_EN: 0
; COMPUTE_PGM_RSRC2:USER_SGPR: 6
; COMPUTE_PGM_RSRC2:TRAP_HANDLER: 0
; COMPUTE_PGM_RSRC2:TGID_X_EN: 1
; COMPUTE_PGM_RSRC2:TGID_Y_EN: 0
; COMPUTE_PGM_RSRC2:TGID_Z_EN: 0
; COMPUTE_PGM_RSRC2:TIDIG_COMP_CNT: 0
	.section	.text._ZN7rocprim17ROCPRIM_400000_NS6detail17trampoline_kernelINS0_14default_configENS1_27scan_by_key_config_selectorIixEEZZNS1_16scan_by_key_implILNS1_25lookback_scan_determinismE0ELb0ES3_N6thrust23THRUST_200600_302600_NS6detail15normal_iteratorINS9_10device_ptrIiEEEENSB_INSC_IxEEEESG_xNS9_4plusIvEENS9_8equal_toIvEExEE10hipError_tPvRmT2_T3_T4_T5_mT6_T7_P12ihipStream_tbENKUlT_T0_E_clISt17integral_constantIbLb1EES11_EEDaSW_SX_EUlSW_E_NS1_11comp_targetILNS1_3genE10ELNS1_11target_archE1200ELNS1_3gpuE4ELNS1_3repE0EEENS1_30default_config_static_selectorELNS0_4arch9wavefront6targetE0EEEvT1_,"axG",@progbits,_ZN7rocprim17ROCPRIM_400000_NS6detail17trampoline_kernelINS0_14default_configENS1_27scan_by_key_config_selectorIixEEZZNS1_16scan_by_key_implILNS1_25lookback_scan_determinismE0ELb0ES3_N6thrust23THRUST_200600_302600_NS6detail15normal_iteratorINS9_10device_ptrIiEEEENSB_INSC_IxEEEESG_xNS9_4plusIvEENS9_8equal_toIvEExEE10hipError_tPvRmT2_T3_T4_T5_mT6_T7_P12ihipStream_tbENKUlT_T0_E_clISt17integral_constantIbLb1EES11_EEDaSW_SX_EUlSW_E_NS1_11comp_targetILNS1_3genE10ELNS1_11target_archE1200ELNS1_3gpuE4ELNS1_3repE0EEENS1_30default_config_static_selectorELNS0_4arch9wavefront6targetE0EEEvT1_,comdat
	.protected	_ZN7rocprim17ROCPRIM_400000_NS6detail17trampoline_kernelINS0_14default_configENS1_27scan_by_key_config_selectorIixEEZZNS1_16scan_by_key_implILNS1_25lookback_scan_determinismE0ELb0ES3_N6thrust23THRUST_200600_302600_NS6detail15normal_iteratorINS9_10device_ptrIiEEEENSB_INSC_IxEEEESG_xNS9_4plusIvEENS9_8equal_toIvEExEE10hipError_tPvRmT2_T3_T4_T5_mT6_T7_P12ihipStream_tbENKUlT_T0_E_clISt17integral_constantIbLb1EES11_EEDaSW_SX_EUlSW_E_NS1_11comp_targetILNS1_3genE10ELNS1_11target_archE1200ELNS1_3gpuE4ELNS1_3repE0EEENS1_30default_config_static_selectorELNS0_4arch9wavefront6targetE0EEEvT1_ ; -- Begin function _ZN7rocprim17ROCPRIM_400000_NS6detail17trampoline_kernelINS0_14default_configENS1_27scan_by_key_config_selectorIixEEZZNS1_16scan_by_key_implILNS1_25lookback_scan_determinismE0ELb0ES3_N6thrust23THRUST_200600_302600_NS6detail15normal_iteratorINS9_10device_ptrIiEEEENSB_INSC_IxEEEESG_xNS9_4plusIvEENS9_8equal_toIvEExEE10hipError_tPvRmT2_T3_T4_T5_mT6_T7_P12ihipStream_tbENKUlT_T0_E_clISt17integral_constantIbLb1EES11_EEDaSW_SX_EUlSW_E_NS1_11comp_targetILNS1_3genE10ELNS1_11target_archE1200ELNS1_3gpuE4ELNS1_3repE0EEENS1_30default_config_static_selectorELNS0_4arch9wavefront6targetE0EEEvT1_
	.globl	_ZN7rocprim17ROCPRIM_400000_NS6detail17trampoline_kernelINS0_14default_configENS1_27scan_by_key_config_selectorIixEEZZNS1_16scan_by_key_implILNS1_25lookback_scan_determinismE0ELb0ES3_N6thrust23THRUST_200600_302600_NS6detail15normal_iteratorINS9_10device_ptrIiEEEENSB_INSC_IxEEEESG_xNS9_4plusIvEENS9_8equal_toIvEExEE10hipError_tPvRmT2_T3_T4_T5_mT6_T7_P12ihipStream_tbENKUlT_T0_E_clISt17integral_constantIbLb1EES11_EEDaSW_SX_EUlSW_E_NS1_11comp_targetILNS1_3genE10ELNS1_11target_archE1200ELNS1_3gpuE4ELNS1_3repE0EEENS1_30default_config_static_selectorELNS0_4arch9wavefront6targetE0EEEvT1_
	.p2align	8
	.type	_ZN7rocprim17ROCPRIM_400000_NS6detail17trampoline_kernelINS0_14default_configENS1_27scan_by_key_config_selectorIixEEZZNS1_16scan_by_key_implILNS1_25lookback_scan_determinismE0ELb0ES3_N6thrust23THRUST_200600_302600_NS6detail15normal_iteratorINS9_10device_ptrIiEEEENSB_INSC_IxEEEESG_xNS9_4plusIvEENS9_8equal_toIvEExEE10hipError_tPvRmT2_T3_T4_T5_mT6_T7_P12ihipStream_tbENKUlT_T0_E_clISt17integral_constantIbLb1EES11_EEDaSW_SX_EUlSW_E_NS1_11comp_targetILNS1_3genE10ELNS1_11target_archE1200ELNS1_3gpuE4ELNS1_3repE0EEENS1_30default_config_static_selectorELNS0_4arch9wavefront6targetE0EEEvT1_,@function
_ZN7rocprim17ROCPRIM_400000_NS6detail17trampoline_kernelINS0_14default_configENS1_27scan_by_key_config_selectorIixEEZZNS1_16scan_by_key_implILNS1_25lookback_scan_determinismE0ELb0ES3_N6thrust23THRUST_200600_302600_NS6detail15normal_iteratorINS9_10device_ptrIiEEEENSB_INSC_IxEEEESG_xNS9_4plusIvEENS9_8equal_toIvEExEE10hipError_tPvRmT2_T3_T4_T5_mT6_T7_P12ihipStream_tbENKUlT_T0_E_clISt17integral_constantIbLb1EES11_EEDaSW_SX_EUlSW_E_NS1_11comp_targetILNS1_3genE10ELNS1_11target_archE1200ELNS1_3gpuE4ELNS1_3repE0EEENS1_30default_config_static_selectorELNS0_4arch9wavefront6targetE0EEEvT1_: ; @_ZN7rocprim17ROCPRIM_400000_NS6detail17trampoline_kernelINS0_14default_configENS1_27scan_by_key_config_selectorIixEEZZNS1_16scan_by_key_implILNS1_25lookback_scan_determinismE0ELb0ES3_N6thrust23THRUST_200600_302600_NS6detail15normal_iteratorINS9_10device_ptrIiEEEENSB_INSC_IxEEEESG_xNS9_4plusIvEENS9_8equal_toIvEExEE10hipError_tPvRmT2_T3_T4_T5_mT6_T7_P12ihipStream_tbENKUlT_T0_E_clISt17integral_constantIbLb1EES11_EEDaSW_SX_EUlSW_E_NS1_11comp_targetILNS1_3genE10ELNS1_11target_archE1200ELNS1_3gpuE4ELNS1_3repE0EEENS1_30default_config_static_selectorELNS0_4arch9wavefront6targetE0EEEvT1_
; %bb.0:
	.section	.rodata,"a",@progbits
	.p2align	6, 0x0
	.amdhsa_kernel _ZN7rocprim17ROCPRIM_400000_NS6detail17trampoline_kernelINS0_14default_configENS1_27scan_by_key_config_selectorIixEEZZNS1_16scan_by_key_implILNS1_25lookback_scan_determinismE0ELb0ES3_N6thrust23THRUST_200600_302600_NS6detail15normal_iteratorINS9_10device_ptrIiEEEENSB_INSC_IxEEEESG_xNS9_4plusIvEENS9_8equal_toIvEExEE10hipError_tPvRmT2_T3_T4_T5_mT6_T7_P12ihipStream_tbENKUlT_T0_E_clISt17integral_constantIbLb1EES11_EEDaSW_SX_EUlSW_E_NS1_11comp_targetILNS1_3genE10ELNS1_11target_archE1200ELNS1_3gpuE4ELNS1_3repE0EEENS1_30default_config_static_selectorELNS0_4arch9wavefront6targetE0EEEvT1_
		.amdhsa_group_segment_fixed_size 0
		.amdhsa_private_segment_fixed_size 0
		.amdhsa_kernarg_size 136
		.amdhsa_user_sgpr_count 6
		.amdhsa_user_sgpr_private_segment_buffer 1
		.amdhsa_user_sgpr_dispatch_ptr 0
		.amdhsa_user_sgpr_queue_ptr 0
		.amdhsa_user_sgpr_kernarg_segment_ptr 1
		.amdhsa_user_sgpr_dispatch_id 0
		.amdhsa_user_sgpr_flat_scratch_init 0
		.amdhsa_user_sgpr_private_segment_size 0
		.amdhsa_wavefront_size32 1
		.amdhsa_uses_dynamic_stack 0
		.amdhsa_system_sgpr_private_segment_wavefront_offset 0
		.amdhsa_system_sgpr_workgroup_id_x 1
		.amdhsa_system_sgpr_workgroup_id_y 0
		.amdhsa_system_sgpr_workgroup_id_z 0
		.amdhsa_system_sgpr_workgroup_info 0
		.amdhsa_system_vgpr_workitem_id 0
		.amdhsa_next_free_vgpr 1
		.amdhsa_next_free_sgpr 1
		.amdhsa_reserve_vcc 0
		.amdhsa_reserve_flat_scratch 0
		.amdhsa_float_round_mode_32 0
		.amdhsa_float_round_mode_16_64 0
		.amdhsa_float_denorm_mode_32 3
		.amdhsa_float_denorm_mode_16_64 3
		.amdhsa_dx10_clamp 1
		.amdhsa_ieee_mode 1
		.amdhsa_fp16_overflow 0
		.amdhsa_workgroup_processor_mode 1
		.amdhsa_memory_ordered 1
		.amdhsa_forward_progress 1
		.amdhsa_shared_vgpr_count 0
		.amdhsa_exception_fp_ieee_invalid_op 0
		.amdhsa_exception_fp_denorm_src 0
		.amdhsa_exception_fp_ieee_div_zero 0
		.amdhsa_exception_fp_ieee_overflow 0
		.amdhsa_exception_fp_ieee_underflow 0
		.amdhsa_exception_fp_ieee_inexact 0
		.amdhsa_exception_int_div_zero 0
	.end_amdhsa_kernel
	.section	.text._ZN7rocprim17ROCPRIM_400000_NS6detail17trampoline_kernelINS0_14default_configENS1_27scan_by_key_config_selectorIixEEZZNS1_16scan_by_key_implILNS1_25lookback_scan_determinismE0ELb0ES3_N6thrust23THRUST_200600_302600_NS6detail15normal_iteratorINS9_10device_ptrIiEEEENSB_INSC_IxEEEESG_xNS9_4plusIvEENS9_8equal_toIvEExEE10hipError_tPvRmT2_T3_T4_T5_mT6_T7_P12ihipStream_tbENKUlT_T0_E_clISt17integral_constantIbLb1EES11_EEDaSW_SX_EUlSW_E_NS1_11comp_targetILNS1_3genE10ELNS1_11target_archE1200ELNS1_3gpuE4ELNS1_3repE0EEENS1_30default_config_static_selectorELNS0_4arch9wavefront6targetE0EEEvT1_,"axG",@progbits,_ZN7rocprim17ROCPRIM_400000_NS6detail17trampoline_kernelINS0_14default_configENS1_27scan_by_key_config_selectorIixEEZZNS1_16scan_by_key_implILNS1_25lookback_scan_determinismE0ELb0ES3_N6thrust23THRUST_200600_302600_NS6detail15normal_iteratorINS9_10device_ptrIiEEEENSB_INSC_IxEEEESG_xNS9_4plusIvEENS9_8equal_toIvEExEE10hipError_tPvRmT2_T3_T4_T5_mT6_T7_P12ihipStream_tbENKUlT_T0_E_clISt17integral_constantIbLb1EES11_EEDaSW_SX_EUlSW_E_NS1_11comp_targetILNS1_3genE10ELNS1_11target_archE1200ELNS1_3gpuE4ELNS1_3repE0EEENS1_30default_config_static_selectorELNS0_4arch9wavefront6targetE0EEEvT1_,comdat
.Lfunc_end1327:
	.size	_ZN7rocprim17ROCPRIM_400000_NS6detail17trampoline_kernelINS0_14default_configENS1_27scan_by_key_config_selectorIixEEZZNS1_16scan_by_key_implILNS1_25lookback_scan_determinismE0ELb0ES3_N6thrust23THRUST_200600_302600_NS6detail15normal_iteratorINS9_10device_ptrIiEEEENSB_INSC_IxEEEESG_xNS9_4plusIvEENS9_8equal_toIvEExEE10hipError_tPvRmT2_T3_T4_T5_mT6_T7_P12ihipStream_tbENKUlT_T0_E_clISt17integral_constantIbLb1EES11_EEDaSW_SX_EUlSW_E_NS1_11comp_targetILNS1_3genE10ELNS1_11target_archE1200ELNS1_3gpuE4ELNS1_3repE0EEENS1_30default_config_static_selectorELNS0_4arch9wavefront6targetE0EEEvT1_, .Lfunc_end1327-_ZN7rocprim17ROCPRIM_400000_NS6detail17trampoline_kernelINS0_14default_configENS1_27scan_by_key_config_selectorIixEEZZNS1_16scan_by_key_implILNS1_25lookback_scan_determinismE0ELb0ES3_N6thrust23THRUST_200600_302600_NS6detail15normal_iteratorINS9_10device_ptrIiEEEENSB_INSC_IxEEEESG_xNS9_4plusIvEENS9_8equal_toIvEExEE10hipError_tPvRmT2_T3_T4_T5_mT6_T7_P12ihipStream_tbENKUlT_T0_E_clISt17integral_constantIbLb1EES11_EEDaSW_SX_EUlSW_E_NS1_11comp_targetILNS1_3genE10ELNS1_11target_archE1200ELNS1_3gpuE4ELNS1_3repE0EEENS1_30default_config_static_selectorELNS0_4arch9wavefront6targetE0EEEvT1_
                                        ; -- End function
	.set _ZN7rocprim17ROCPRIM_400000_NS6detail17trampoline_kernelINS0_14default_configENS1_27scan_by_key_config_selectorIixEEZZNS1_16scan_by_key_implILNS1_25lookback_scan_determinismE0ELb0ES3_N6thrust23THRUST_200600_302600_NS6detail15normal_iteratorINS9_10device_ptrIiEEEENSB_INSC_IxEEEESG_xNS9_4plusIvEENS9_8equal_toIvEExEE10hipError_tPvRmT2_T3_T4_T5_mT6_T7_P12ihipStream_tbENKUlT_T0_E_clISt17integral_constantIbLb1EES11_EEDaSW_SX_EUlSW_E_NS1_11comp_targetILNS1_3genE10ELNS1_11target_archE1200ELNS1_3gpuE4ELNS1_3repE0EEENS1_30default_config_static_selectorELNS0_4arch9wavefront6targetE0EEEvT1_.num_vgpr, 0
	.set _ZN7rocprim17ROCPRIM_400000_NS6detail17trampoline_kernelINS0_14default_configENS1_27scan_by_key_config_selectorIixEEZZNS1_16scan_by_key_implILNS1_25lookback_scan_determinismE0ELb0ES3_N6thrust23THRUST_200600_302600_NS6detail15normal_iteratorINS9_10device_ptrIiEEEENSB_INSC_IxEEEESG_xNS9_4plusIvEENS9_8equal_toIvEExEE10hipError_tPvRmT2_T3_T4_T5_mT6_T7_P12ihipStream_tbENKUlT_T0_E_clISt17integral_constantIbLb1EES11_EEDaSW_SX_EUlSW_E_NS1_11comp_targetILNS1_3genE10ELNS1_11target_archE1200ELNS1_3gpuE4ELNS1_3repE0EEENS1_30default_config_static_selectorELNS0_4arch9wavefront6targetE0EEEvT1_.num_agpr, 0
	.set _ZN7rocprim17ROCPRIM_400000_NS6detail17trampoline_kernelINS0_14default_configENS1_27scan_by_key_config_selectorIixEEZZNS1_16scan_by_key_implILNS1_25lookback_scan_determinismE0ELb0ES3_N6thrust23THRUST_200600_302600_NS6detail15normal_iteratorINS9_10device_ptrIiEEEENSB_INSC_IxEEEESG_xNS9_4plusIvEENS9_8equal_toIvEExEE10hipError_tPvRmT2_T3_T4_T5_mT6_T7_P12ihipStream_tbENKUlT_T0_E_clISt17integral_constantIbLb1EES11_EEDaSW_SX_EUlSW_E_NS1_11comp_targetILNS1_3genE10ELNS1_11target_archE1200ELNS1_3gpuE4ELNS1_3repE0EEENS1_30default_config_static_selectorELNS0_4arch9wavefront6targetE0EEEvT1_.numbered_sgpr, 0
	.set _ZN7rocprim17ROCPRIM_400000_NS6detail17trampoline_kernelINS0_14default_configENS1_27scan_by_key_config_selectorIixEEZZNS1_16scan_by_key_implILNS1_25lookback_scan_determinismE0ELb0ES3_N6thrust23THRUST_200600_302600_NS6detail15normal_iteratorINS9_10device_ptrIiEEEENSB_INSC_IxEEEESG_xNS9_4plusIvEENS9_8equal_toIvEExEE10hipError_tPvRmT2_T3_T4_T5_mT6_T7_P12ihipStream_tbENKUlT_T0_E_clISt17integral_constantIbLb1EES11_EEDaSW_SX_EUlSW_E_NS1_11comp_targetILNS1_3genE10ELNS1_11target_archE1200ELNS1_3gpuE4ELNS1_3repE0EEENS1_30default_config_static_selectorELNS0_4arch9wavefront6targetE0EEEvT1_.num_named_barrier, 0
	.set _ZN7rocprim17ROCPRIM_400000_NS6detail17trampoline_kernelINS0_14default_configENS1_27scan_by_key_config_selectorIixEEZZNS1_16scan_by_key_implILNS1_25lookback_scan_determinismE0ELb0ES3_N6thrust23THRUST_200600_302600_NS6detail15normal_iteratorINS9_10device_ptrIiEEEENSB_INSC_IxEEEESG_xNS9_4plusIvEENS9_8equal_toIvEExEE10hipError_tPvRmT2_T3_T4_T5_mT6_T7_P12ihipStream_tbENKUlT_T0_E_clISt17integral_constantIbLb1EES11_EEDaSW_SX_EUlSW_E_NS1_11comp_targetILNS1_3genE10ELNS1_11target_archE1200ELNS1_3gpuE4ELNS1_3repE0EEENS1_30default_config_static_selectorELNS0_4arch9wavefront6targetE0EEEvT1_.private_seg_size, 0
	.set _ZN7rocprim17ROCPRIM_400000_NS6detail17trampoline_kernelINS0_14default_configENS1_27scan_by_key_config_selectorIixEEZZNS1_16scan_by_key_implILNS1_25lookback_scan_determinismE0ELb0ES3_N6thrust23THRUST_200600_302600_NS6detail15normal_iteratorINS9_10device_ptrIiEEEENSB_INSC_IxEEEESG_xNS9_4plusIvEENS9_8equal_toIvEExEE10hipError_tPvRmT2_T3_T4_T5_mT6_T7_P12ihipStream_tbENKUlT_T0_E_clISt17integral_constantIbLb1EES11_EEDaSW_SX_EUlSW_E_NS1_11comp_targetILNS1_3genE10ELNS1_11target_archE1200ELNS1_3gpuE4ELNS1_3repE0EEENS1_30default_config_static_selectorELNS0_4arch9wavefront6targetE0EEEvT1_.uses_vcc, 0
	.set _ZN7rocprim17ROCPRIM_400000_NS6detail17trampoline_kernelINS0_14default_configENS1_27scan_by_key_config_selectorIixEEZZNS1_16scan_by_key_implILNS1_25lookback_scan_determinismE0ELb0ES3_N6thrust23THRUST_200600_302600_NS6detail15normal_iteratorINS9_10device_ptrIiEEEENSB_INSC_IxEEEESG_xNS9_4plusIvEENS9_8equal_toIvEExEE10hipError_tPvRmT2_T3_T4_T5_mT6_T7_P12ihipStream_tbENKUlT_T0_E_clISt17integral_constantIbLb1EES11_EEDaSW_SX_EUlSW_E_NS1_11comp_targetILNS1_3genE10ELNS1_11target_archE1200ELNS1_3gpuE4ELNS1_3repE0EEENS1_30default_config_static_selectorELNS0_4arch9wavefront6targetE0EEEvT1_.uses_flat_scratch, 0
	.set _ZN7rocprim17ROCPRIM_400000_NS6detail17trampoline_kernelINS0_14default_configENS1_27scan_by_key_config_selectorIixEEZZNS1_16scan_by_key_implILNS1_25lookback_scan_determinismE0ELb0ES3_N6thrust23THRUST_200600_302600_NS6detail15normal_iteratorINS9_10device_ptrIiEEEENSB_INSC_IxEEEESG_xNS9_4plusIvEENS9_8equal_toIvEExEE10hipError_tPvRmT2_T3_T4_T5_mT6_T7_P12ihipStream_tbENKUlT_T0_E_clISt17integral_constantIbLb1EES11_EEDaSW_SX_EUlSW_E_NS1_11comp_targetILNS1_3genE10ELNS1_11target_archE1200ELNS1_3gpuE4ELNS1_3repE0EEENS1_30default_config_static_selectorELNS0_4arch9wavefront6targetE0EEEvT1_.has_dyn_sized_stack, 0
	.set _ZN7rocprim17ROCPRIM_400000_NS6detail17trampoline_kernelINS0_14default_configENS1_27scan_by_key_config_selectorIixEEZZNS1_16scan_by_key_implILNS1_25lookback_scan_determinismE0ELb0ES3_N6thrust23THRUST_200600_302600_NS6detail15normal_iteratorINS9_10device_ptrIiEEEENSB_INSC_IxEEEESG_xNS9_4plusIvEENS9_8equal_toIvEExEE10hipError_tPvRmT2_T3_T4_T5_mT6_T7_P12ihipStream_tbENKUlT_T0_E_clISt17integral_constantIbLb1EES11_EEDaSW_SX_EUlSW_E_NS1_11comp_targetILNS1_3genE10ELNS1_11target_archE1200ELNS1_3gpuE4ELNS1_3repE0EEENS1_30default_config_static_selectorELNS0_4arch9wavefront6targetE0EEEvT1_.has_recursion, 0
	.set _ZN7rocprim17ROCPRIM_400000_NS6detail17trampoline_kernelINS0_14default_configENS1_27scan_by_key_config_selectorIixEEZZNS1_16scan_by_key_implILNS1_25lookback_scan_determinismE0ELb0ES3_N6thrust23THRUST_200600_302600_NS6detail15normal_iteratorINS9_10device_ptrIiEEEENSB_INSC_IxEEEESG_xNS9_4plusIvEENS9_8equal_toIvEExEE10hipError_tPvRmT2_T3_T4_T5_mT6_T7_P12ihipStream_tbENKUlT_T0_E_clISt17integral_constantIbLb1EES11_EEDaSW_SX_EUlSW_E_NS1_11comp_targetILNS1_3genE10ELNS1_11target_archE1200ELNS1_3gpuE4ELNS1_3repE0EEENS1_30default_config_static_selectorELNS0_4arch9wavefront6targetE0EEEvT1_.has_indirect_call, 0
	.section	.AMDGPU.csdata,"",@progbits
; Kernel info:
; codeLenInByte = 0
; TotalNumSgprs: 0
; NumVgprs: 0
; ScratchSize: 0
; MemoryBound: 0
; FloatMode: 240
; IeeeMode: 1
; LDSByteSize: 0 bytes/workgroup (compile time only)
; SGPRBlocks: 0
; VGPRBlocks: 0
; NumSGPRsForWavesPerEU: 1
; NumVGPRsForWavesPerEU: 1
; Occupancy: 16
; WaveLimiterHint : 0
; COMPUTE_PGM_RSRC2:SCRATCH_EN: 0
; COMPUTE_PGM_RSRC2:USER_SGPR: 6
; COMPUTE_PGM_RSRC2:TRAP_HANDLER: 0
; COMPUTE_PGM_RSRC2:TGID_X_EN: 1
; COMPUTE_PGM_RSRC2:TGID_Y_EN: 0
; COMPUTE_PGM_RSRC2:TGID_Z_EN: 0
; COMPUTE_PGM_RSRC2:TIDIG_COMP_CNT: 0
	.section	.text._ZN7rocprim17ROCPRIM_400000_NS6detail17trampoline_kernelINS0_14default_configENS1_27scan_by_key_config_selectorIixEEZZNS1_16scan_by_key_implILNS1_25lookback_scan_determinismE0ELb0ES3_N6thrust23THRUST_200600_302600_NS6detail15normal_iteratorINS9_10device_ptrIiEEEENSB_INSC_IxEEEESG_xNS9_4plusIvEENS9_8equal_toIvEExEE10hipError_tPvRmT2_T3_T4_T5_mT6_T7_P12ihipStream_tbENKUlT_T0_E_clISt17integral_constantIbLb1EES11_EEDaSW_SX_EUlSW_E_NS1_11comp_targetILNS1_3genE9ELNS1_11target_archE1100ELNS1_3gpuE3ELNS1_3repE0EEENS1_30default_config_static_selectorELNS0_4arch9wavefront6targetE0EEEvT1_,"axG",@progbits,_ZN7rocprim17ROCPRIM_400000_NS6detail17trampoline_kernelINS0_14default_configENS1_27scan_by_key_config_selectorIixEEZZNS1_16scan_by_key_implILNS1_25lookback_scan_determinismE0ELb0ES3_N6thrust23THRUST_200600_302600_NS6detail15normal_iteratorINS9_10device_ptrIiEEEENSB_INSC_IxEEEESG_xNS9_4plusIvEENS9_8equal_toIvEExEE10hipError_tPvRmT2_T3_T4_T5_mT6_T7_P12ihipStream_tbENKUlT_T0_E_clISt17integral_constantIbLb1EES11_EEDaSW_SX_EUlSW_E_NS1_11comp_targetILNS1_3genE9ELNS1_11target_archE1100ELNS1_3gpuE3ELNS1_3repE0EEENS1_30default_config_static_selectorELNS0_4arch9wavefront6targetE0EEEvT1_,comdat
	.protected	_ZN7rocprim17ROCPRIM_400000_NS6detail17trampoline_kernelINS0_14default_configENS1_27scan_by_key_config_selectorIixEEZZNS1_16scan_by_key_implILNS1_25lookback_scan_determinismE0ELb0ES3_N6thrust23THRUST_200600_302600_NS6detail15normal_iteratorINS9_10device_ptrIiEEEENSB_INSC_IxEEEESG_xNS9_4plusIvEENS9_8equal_toIvEExEE10hipError_tPvRmT2_T3_T4_T5_mT6_T7_P12ihipStream_tbENKUlT_T0_E_clISt17integral_constantIbLb1EES11_EEDaSW_SX_EUlSW_E_NS1_11comp_targetILNS1_3genE9ELNS1_11target_archE1100ELNS1_3gpuE3ELNS1_3repE0EEENS1_30default_config_static_selectorELNS0_4arch9wavefront6targetE0EEEvT1_ ; -- Begin function _ZN7rocprim17ROCPRIM_400000_NS6detail17trampoline_kernelINS0_14default_configENS1_27scan_by_key_config_selectorIixEEZZNS1_16scan_by_key_implILNS1_25lookback_scan_determinismE0ELb0ES3_N6thrust23THRUST_200600_302600_NS6detail15normal_iteratorINS9_10device_ptrIiEEEENSB_INSC_IxEEEESG_xNS9_4plusIvEENS9_8equal_toIvEExEE10hipError_tPvRmT2_T3_T4_T5_mT6_T7_P12ihipStream_tbENKUlT_T0_E_clISt17integral_constantIbLb1EES11_EEDaSW_SX_EUlSW_E_NS1_11comp_targetILNS1_3genE9ELNS1_11target_archE1100ELNS1_3gpuE3ELNS1_3repE0EEENS1_30default_config_static_selectorELNS0_4arch9wavefront6targetE0EEEvT1_
	.globl	_ZN7rocprim17ROCPRIM_400000_NS6detail17trampoline_kernelINS0_14default_configENS1_27scan_by_key_config_selectorIixEEZZNS1_16scan_by_key_implILNS1_25lookback_scan_determinismE0ELb0ES3_N6thrust23THRUST_200600_302600_NS6detail15normal_iteratorINS9_10device_ptrIiEEEENSB_INSC_IxEEEESG_xNS9_4plusIvEENS9_8equal_toIvEExEE10hipError_tPvRmT2_T3_T4_T5_mT6_T7_P12ihipStream_tbENKUlT_T0_E_clISt17integral_constantIbLb1EES11_EEDaSW_SX_EUlSW_E_NS1_11comp_targetILNS1_3genE9ELNS1_11target_archE1100ELNS1_3gpuE3ELNS1_3repE0EEENS1_30default_config_static_selectorELNS0_4arch9wavefront6targetE0EEEvT1_
	.p2align	8
	.type	_ZN7rocprim17ROCPRIM_400000_NS6detail17trampoline_kernelINS0_14default_configENS1_27scan_by_key_config_selectorIixEEZZNS1_16scan_by_key_implILNS1_25lookback_scan_determinismE0ELb0ES3_N6thrust23THRUST_200600_302600_NS6detail15normal_iteratorINS9_10device_ptrIiEEEENSB_INSC_IxEEEESG_xNS9_4plusIvEENS9_8equal_toIvEExEE10hipError_tPvRmT2_T3_T4_T5_mT6_T7_P12ihipStream_tbENKUlT_T0_E_clISt17integral_constantIbLb1EES11_EEDaSW_SX_EUlSW_E_NS1_11comp_targetILNS1_3genE9ELNS1_11target_archE1100ELNS1_3gpuE3ELNS1_3repE0EEENS1_30default_config_static_selectorELNS0_4arch9wavefront6targetE0EEEvT1_,@function
_ZN7rocprim17ROCPRIM_400000_NS6detail17trampoline_kernelINS0_14default_configENS1_27scan_by_key_config_selectorIixEEZZNS1_16scan_by_key_implILNS1_25lookback_scan_determinismE0ELb0ES3_N6thrust23THRUST_200600_302600_NS6detail15normal_iteratorINS9_10device_ptrIiEEEENSB_INSC_IxEEEESG_xNS9_4plusIvEENS9_8equal_toIvEExEE10hipError_tPvRmT2_T3_T4_T5_mT6_T7_P12ihipStream_tbENKUlT_T0_E_clISt17integral_constantIbLb1EES11_EEDaSW_SX_EUlSW_E_NS1_11comp_targetILNS1_3genE9ELNS1_11target_archE1100ELNS1_3gpuE3ELNS1_3repE0EEENS1_30default_config_static_selectorELNS0_4arch9wavefront6targetE0EEEvT1_: ; @_ZN7rocprim17ROCPRIM_400000_NS6detail17trampoline_kernelINS0_14default_configENS1_27scan_by_key_config_selectorIixEEZZNS1_16scan_by_key_implILNS1_25lookback_scan_determinismE0ELb0ES3_N6thrust23THRUST_200600_302600_NS6detail15normal_iteratorINS9_10device_ptrIiEEEENSB_INSC_IxEEEESG_xNS9_4plusIvEENS9_8equal_toIvEExEE10hipError_tPvRmT2_T3_T4_T5_mT6_T7_P12ihipStream_tbENKUlT_T0_E_clISt17integral_constantIbLb1EES11_EEDaSW_SX_EUlSW_E_NS1_11comp_targetILNS1_3genE9ELNS1_11target_archE1100ELNS1_3gpuE3ELNS1_3repE0EEENS1_30default_config_static_selectorELNS0_4arch9wavefront6targetE0EEEvT1_
; %bb.0:
	.section	.rodata,"a",@progbits
	.p2align	6, 0x0
	.amdhsa_kernel _ZN7rocprim17ROCPRIM_400000_NS6detail17trampoline_kernelINS0_14default_configENS1_27scan_by_key_config_selectorIixEEZZNS1_16scan_by_key_implILNS1_25lookback_scan_determinismE0ELb0ES3_N6thrust23THRUST_200600_302600_NS6detail15normal_iteratorINS9_10device_ptrIiEEEENSB_INSC_IxEEEESG_xNS9_4plusIvEENS9_8equal_toIvEExEE10hipError_tPvRmT2_T3_T4_T5_mT6_T7_P12ihipStream_tbENKUlT_T0_E_clISt17integral_constantIbLb1EES11_EEDaSW_SX_EUlSW_E_NS1_11comp_targetILNS1_3genE9ELNS1_11target_archE1100ELNS1_3gpuE3ELNS1_3repE0EEENS1_30default_config_static_selectorELNS0_4arch9wavefront6targetE0EEEvT1_
		.amdhsa_group_segment_fixed_size 0
		.amdhsa_private_segment_fixed_size 0
		.amdhsa_kernarg_size 136
		.amdhsa_user_sgpr_count 6
		.amdhsa_user_sgpr_private_segment_buffer 1
		.amdhsa_user_sgpr_dispatch_ptr 0
		.amdhsa_user_sgpr_queue_ptr 0
		.amdhsa_user_sgpr_kernarg_segment_ptr 1
		.amdhsa_user_sgpr_dispatch_id 0
		.amdhsa_user_sgpr_flat_scratch_init 0
		.amdhsa_user_sgpr_private_segment_size 0
		.amdhsa_wavefront_size32 1
		.amdhsa_uses_dynamic_stack 0
		.amdhsa_system_sgpr_private_segment_wavefront_offset 0
		.amdhsa_system_sgpr_workgroup_id_x 1
		.amdhsa_system_sgpr_workgroup_id_y 0
		.amdhsa_system_sgpr_workgroup_id_z 0
		.amdhsa_system_sgpr_workgroup_info 0
		.amdhsa_system_vgpr_workitem_id 0
		.amdhsa_next_free_vgpr 1
		.amdhsa_next_free_sgpr 1
		.amdhsa_reserve_vcc 0
		.amdhsa_reserve_flat_scratch 0
		.amdhsa_float_round_mode_32 0
		.amdhsa_float_round_mode_16_64 0
		.amdhsa_float_denorm_mode_32 3
		.amdhsa_float_denorm_mode_16_64 3
		.amdhsa_dx10_clamp 1
		.amdhsa_ieee_mode 1
		.amdhsa_fp16_overflow 0
		.amdhsa_workgroup_processor_mode 1
		.amdhsa_memory_ordered 1
		.amdhsa_forward_progress 1
		.amdhsa_shared_vgpr_count 0
		.amdhsa_exception_fp_ieee_invalid_op 0
		.amdhsa_exception_fp_denorm_src 0
		.amdhsa_exception_fp_ieee_div_zero 0
		.amdhsa_exception_fp_ieee_overflow 0
		.amdhsa_exception_fp_ieee_underflow 0
		.amdhsa_exception_fp_ieee_inexact 0
		.amdhsa_exception_int_div_zero 0
	.end_amdhsa_kernel
	.section	.text._ZN7rocprim17ROCPRIM_400000_NS6detail17trampoline_kernelINS0_14default_configENS1_27scan_by_key_config_selectorIixEEZZNS1_16scan_by_key_implILNS1_25lookback_scan_determinismE0ELb0ES3_N6thrust23THRUST_200600_302600_NS6detail15normal_iteratorINS9_10device_ptrIiEEEENSB_INSC_IxEEEESG_xNS9_4plusIvEENS9_8equal_toIvEExEE10hipError_tPvRmT2_T3_T4_T5_mT6_T7_P12ihipStream_tbENKUlT_T0_E_clISt17integral_constantIbLb1EES11_EEDaSW_SX_EUlSW_E_NS1_11comp_targetILNS1_3genE9ELNS1_11target_archE1100ELNS1_3gpuE3ELNS1_3repE0EEENS1_30default_config_static_selectorELNS0_4arch9wavefront6targetE0EEEvT1_,"axG",@progbits,_ZN7rocprim17ROCPRIM_400000_NS6detail17trampoline_kernelINS0_14default_configENS1_27scan_by_key_config_selectorIixEEZZNS1_16scan_by_key_implILNS1_25lookback_scan_determinismE0ELb0ES3_N6thrust23THRUST_200600_302600_NS6detail15normal_iteratorINS9_10device_ptrIiEEEENSB_INSC_IxEEEESG_xNS9_4plusIvEENS9_8equal_toIvEExEE10hipError_tPvRmT2_T3_T4_T5_mT6_T7_P12ihipStream_tbENKUlT_T0_E_clISt17integral_constantIbLb1EES11_EEDaSW_SX_EUlSW_E_NS1_11comp_targetILNS1_3genE9ELNS1_11target_archE1100ELNS1_3gpuE3ELNS1_3repE0EEENS1_30default_config_static_selectorELNS0_4arch9wavefront6targetE0EEEvT1_,comdat
.Lfunc_end1328:
	.size	_ZN7rocprim17ROCPRIM_400000_NS6detail17trampoline_kernelINS0_14default_configENS1_27scan_by_key_config_selectorIixEEZZNS1_16scan_by_key_implILNS1_25lookback_scan_determinismE0ELb0ES3_N6thrust23THRUST_200600_302600_NS6detail15normal_iteratorINS9_10device_ptrIiEEEENSB_INSC_IxEEEESG_xNS9_4plusIvEENS9_8equal_toIvEExEE10hipError_tPvRmT2_T3_T4_T5_mT6_T7_P12ihipStream_tbENKUlT_T0_E_clISt17integral_constantIbLb1EES11_EEDaSW_SX_EUlSW_E_NS1_11comp_targetILNS1_3genE9ELNS1_11target_archE1100ELNS1_3gpuE3ELNS1_3repE0EEENS1_30default_config_static_selectorELNS0_4arch9wavefront6targetE0EEEvT1_, .Lfunc_end1328-_ZN7rocprim17ROCPRIM_400000_NS6detail17trampoline_kernelINS0_14default_configENS1_27scan_by_key_config_selectorIixEEZZNS1_16scan_by_key_implILNS1_25lookback_scan_determinismE0ELb0ES3_N6thrust23THRUST_200600_302600_NS6detail15normal_iteratorINS9_10device_ptrIiEEEENSB_INSC_IxEEEESG_xNS9_4plusIvEENS9_8equal_toIvEExEE10hipError_tPvRmT2_T3_T4_T5_mT6_T7_P12ihipStream_tbENKUlT_T0_E_clISt17integral_constantIbLb1EES11_EEDaSW_SX_EUlSW_E_NS1_11comp_targetILNS1_3genE9ELNS1_11target_archE1100ELNS1_3gpuE3ELNS1_3repE0EEENS1_30default_config_static_selectorELNS0_4arch9wavefront6targetE0EEEvT1_
                                        ; -- End function
	.set _ZN7rocprim17ROCPRIM_400000_NS6detail17trampoline_kernelINS0_14default_configENS1_27scan_by_key_config_selectorIixEEZZNS1_16scan_by_key_implILNS1_25lookback_scan_determinismE0ELb0ES3_N6thrust23THRUST_200600_302600_NS6detail15normal_iteratorINS9_10device_ptrIiEEEENSB_INSC_IxEEEESG_xNS9_4plusIvEENS9_8equal_toIvEExEE10hipError_tPvRmT2_T3_T4_T5_mT6_T7_P12ihipStream_tbENKUlT_T0_E_clISt17integral_constantIbLb1EES11_EEDaSW_SX_EUlSW_E_NS1_11comp_targetILNS1_3genE9ELNS1_11target_archE1100ELNS1_3gpuE3ELNS1_3repE0EEENS1_30default_config_static_selectorELNS0_4arch9wavefront6targetE0EEEvT1_.num_vgpr, 0
	.set _ZN7rocprim17ROCPRIM_400000_NS6detail17trampoline_kernelINS0_14default_configENS1_27scan_by_key_config_selectorIixEEZZNS1_16scan_by_key_implILNS1_25lookback_scan_determinismE0ELb0ES3_N6thrust23THRUST_200600_302600_NS6detail15normal_iteratorINS9_10device_ptrIiEEEENSB_INSC_IxEEEESG_xNS9_4plusIvEENS9_8equal_toIvEExEE10hipError_tPvRmT2_T3_T4_T5_mT6_T7_P12ihipStream_tbENKUlT_T0_E_clISt17integral_constantIbLb1EES11_EEDaSW_SX_EUlSW_E_NS1_11comp_targetILNS1_3genE9ELNS1_11target_archE1100ELNS1_3gpuE3ELNS1_3repE0EEENS1_30default_config_static_selectorELNS0_4arch9wavefront6targetE0EEEvT1_.num_agpr, 0
	.set _ZN7rocprim17ROCPRIM_400000_NS6detail17trampoline_kernelINS0_14default_configENS1_27scan_by_key_config_selectorIixEEZZNS1_16scan_by_key_implILNS1_25lookback_scan_determinismE0ELb0ES3_N6thrust23THRUST_200600_302600_NS6detail15normal_iteratorINS9_10device_ptrIiEEEENSB_INSC_IxEEEESG_xNS9_4plusIvEENS9_8equal_toIvEExEE10hipError_tPvRmT2_T3_T4_T5_mT6_T7_P12ihipStream_tbENKUlT_T0_E_clISt17integral_constantIbLb1EES11_EEDaSW_SX_EUlSW_E_NS1_11comp_targetILNS1_3genE9ELNS1_11target_archE1100ELNS1_3gpuE3ELNS1_3repE0EEENS1_30default_config_static_selectorELNS0_4arch9wavefront6targetE0EEEvT1_.numbered_sgpr, 0
	.set _ZN7rocprim17ROCPRIM_400000_NS6detail17trampoline_kernelINS0_14default_configENS1_27scan_by_key_config_selectorIixEEZZNS1_16scan_by_key_implILNS1_25lookback_scan_determinismE0ELb0ES3_N6thrust23THRUST_200600_302600_NS6detail15normal_iteratorINS9_10device_ptrIiEEEENSB_INSC_IxEEEESG_xNS9_4plusIvEENS9_8equal_toIvEExEE10hipError_tPvRmT2_T3_T4_T5_mT6_T7_P12ihipStream_tbENKUlT_T0_E_clISt17integral_constantIbLb1EES11_EEDaSW_SX_EUlSW_E_NS1_11comp_targetILNS1_3genE9ELNS1_11target_archE1100ELNS1_3gpuE3ELNS1_3repE0EEENS1_30default_config_static_selectorELNS0_4arch9wavefront6targetE0EEEvT1_.num_named_barrier, 0
	.set _ZN7rocprim17ROCPRIM_400000_NS6detail17trampoline_kernelINS0_14default_configENS1_27scan_by_key_config_selectorIixEEZZNS1_16scan_by_key_implILNS1_25lookback_scan_determinismE0ELb0ES3_N6thrust23THRUST_200600_302600_NS6detail15normal_iteratorINS9_10device_ptrIiEEEENSB_INSC_IxEEEESG_xNS9_4plusIvEENS9_8equal_toIvEExEE10hipError_tPvRmT2_T3_T4_T5_mT6_T7_P12ihipStream_tbENKUlT_T0_E_clISt17integral_constantIbLb1EES11_EEDaSW_SX_EUlSW_E_NS1_11comp_targetILNS1_3genE9ELNS1_11target_archE1100ELNS1_3gpuE3ELNS1_3repE0EEENS1_30default_config_static_selectorELNS0_4arch9wavefront6targetE0EEEvT1_.private_seg_size, 0
	.set _ZN7rocprim17ROCPRIM_400000_NS6detail17trampoline_kernelINS0_14default_configENS1_27scan_by_key_config_selectorIixEEZZNS1_16scan_by_key_implILNS1_25lookback_scan_determinismE0ELb0ES3_N6thrust23THRUST_200600_302600_NS6detail15normal_iteratorINS9_10device_ptrIiEEEENSB_INSC_IxEEEESG_xNS9_4plusIvEENS9_8equal_toIvEExEE10hipError_tPvRmT2_T3_T4_T5_mT6_T7_P12ihipStream_tbENKUlT_T0_E_clISt17integral_constantIbLb1EES11_EEDaSW_SX_EUlSW_E_NS1_11comp_targetILNS1_3genE9ELNS1_11target_archE1100ELNS1_3gpuE3ELNS1_3repE0EEENS1_30default_config_static_selectorELNS0_4arch9wavefront6targetE0EEEvT1_.uses_vcc, 0
	.set _ZN7rocprim17ROCPRIM_400000_NS6detail17trampoline_kernelINS0_14default_configENS1_27scan_by_key_config_selectorIixEEZZNS1_16scan_by_key_implILNS1_25lookback_scan_determinismE0ELb0ES3_N6thrust23THRUST_200600_302600_NS6detail15normal_iteratorINS9_10device_ptrIiEEEENSB_INSC_IxEEEESG_xNS9_4plusIvEENS9_8equal_toIvEExEE10hipError_tPvRmT2_T3_T4_T5_mT6_T7_P12ihipStream_tbENKUlT_T0_E_clISt17integral_constantIbLb1EES11_EEDaSW_SX_EUlSW_E_NS1_11comp_targetILNS1_3genE9ELNS1_11target_archE1100ELNS1_3gpuE3ELNS1_3repE0EEENS1_30default_config_static_selectorELNS0_4arch9wavefront6targetE0EEEvT1_.uses_flat_scratch, 0
	.set _ZN7rocprim17ROCPRIM_400000_NS6detail17trampoline_kernelINS0_14default_configENS1_27scan_by_key_config_selectorIixEEZZNS1_16scan_by_key_implILNS1_25lookback_scan_determinismE0ELb0ES3_N6thrust23THRUST_200600_302600_NS6detail15normal_iteratorINS9_10device_ptrIiEEEENSB_INSC_IxEEEESG_xNS9_4plusIvEENS9_8equal_toIvEExEE10hipError_tPvRmT2_T3_T4_T5_mT6_T7_P12ihipStream_tbENKUlT_T0_E_clISt17integral_constantIbLb1EES11_EEDaSW_SX_EUlSW_E_NS1_11comp_targetILNS1_3genE9ELNS1_11target_archE1100ELNS1_3gpuE3ELNS1_3repE0EEENS1_30default_config_static_selectorELNS0_4arch9wavefront6targetE0EEEvT1_.has_dyn_sized_stack, 0
	.set _ZN7rocprim17ROCPRIM_400000_NS6detail17trampoline_kernelINS0_14default_configENS1_27scan_by_key_config_selectorIixEEZZNS1_16scan_by_key_implILNS1_25lookback_scan_determinismE0ELb0ES3_N6thrust23THRUST_200600_302600_NS6detail15normal_iteratorINS9_10device_ptrIiEEEENSB_INSC_IxEEEESG_xNS9_4plusIvEENS9_8equal_toIvEExEE10hipError_tPvRmT2_T3_T4_T5_mT6_T7_P12ihipStream_tbENKUlT_T0_E_clISt17integral_constantIbLb1EES11_EEDaSW_SX_EUlSW_E_NS1_11comp_targetILNS1_3genE9ELNS1_11target_archE1100ELNS1_3gpuE3ELNS1_3repE0EEENS1_30default_config_static_selectorELNS0_4arch9wavefront6targetE0EEEvT1_.has_recursion, 0
	.set _ZN7rocprim17ROCPRIM_400000_NS6detail17trampoline_kernelINS0_14default_configENS1_27scan_by_key_config_selectorIixEEZZNS1_16scan_by_key_implILNS1_25lookback_scan_determinismE0ELb0ES3_N6thrust23THRUST_200600_302600_NS6detail15normal_iteratorINS9_10device_ptrIiEEEENSB_INSC_IxEEEESG_xNS9_4plusIvEENS9_8equal_toIvEExEE10hipError_tPvRmT2_T3_T4_T5_mT6_T7_P12ihipStream_tbENKUlT_T0_E_clISt17integral_constantIbLb1EES11_EEDaSW_SX_EUlSW_E_NS1_11comp_targetILNS1_3genE9ELNS1_11target_archE1100ELNS1_3gpuE3ELNS1_3repE0EEENS1_30default_config_static_selectorELNS0_4arch9wavefront6targetE0EEEvT1_.has_indirect_call, 0
	.section	.AMDGPU.csdata,"",@progbits
; Kernel info:
; codeLenInByte = 0
; TotalNumSgprs: 0
; NumVgprs: 0
; ScratchSize: 0
; MemoryBound: 0
; FloatMode: 240
; IeeeMode: 1
; LDSByteSize: 0 bytes/workgroup (compile time only)
; SGPRBlocks: 0
; VGPRBlocks: 0
; NumSGPRsForWavesPerEU: 1
; NumVGPRsForWavesPerEU: 1
; Occupancy: 16
; WaveLimiterHint : 0
; COMPUTE_PGM_RSRC2:SCRATCH_EN: 0
; COMPUTE_PGM_RSRC2:USER_SGPR: 6
; COMPUTE_PGM_RSRC2:TRAP_HANDLER: 0
; COMPUTE_PGM_RSRC2:TGID_X_EN: 1
; COMPUTE_PGM_RSRC2:TGID_Y_EN: 0
; COMPUTE_PGM_RSRC2:TGID_Z_EN: 0
; COMPUTE_PGM_RSRC2:TIDIG_COMP_CNT: 0
	.section	.text._ZN7rocprim17ROCPRIM_400000_NS6detail17trampoline_kernelINS0_14default_configENS1_27scan_by_key_config_selectorIixEEZZNS1_16scan_by_key_implILNS1_25lookback_scan_determinismE0ELb0ES3_N6thrust23THRUST_200600_302600_NS6detail15normal_iteratorINS9_10device_ptrIiEEEENSB_INSC_IxEEEESG_xNS9_4plusIvEENS9_8equal_toIvEExEE10hipError_tPvRmT2_T3_T4_T5_mT6_T7_P12ihipStream_tbENKUlT_T0_E_clISt17integral_constantIbLb1EES11_EEDaSW_SX_EUlSW_E_NS1_11comp_targetILNS1_3genE8ELNS1_11target_archE1030ELNS1_3gpuE2ELNS1_3repE0EEENS1_30default_config_static_selectorELNS0_4arch9wavefront6targetE0EEEvT1_,"axG",@progbits,_ZN7rocprim17ROCPRIM_400000_NS6detail17trampoline_kernelINS0_14default_configENS1_27scan_by_key_config_selectorIixEEZZNS1_16scan_by_key_implILNS1_25lookback_scan_determinismE0ELb0ES3_N6thrust23THRUST_200600_302600_NS6detail15normal_iteratorINS9_10device_ptrIiEEEENSB_INSC_IxEEEESG_xNS9_4plusIvEENS9_8equal_toIvEExEE10hipError_tPvRmT2_T3_T4_T5_mT6_T7_P12ihipStream_tbENKUlT_T0_E_clISt17integral_constantIbLb1EES11_EEDaSW_SX_EUlSW_E_NS1_11comp_targetILNS1_3genE8ELNS1_11target_archE1030ELNS1_3gpuE2ELNS1_3repE0EEENS1_30default_config_static_selectorELNS0_4arch9wavefront6targetE0EEEvT1_,comdat
	.protected	_ZN7rocprim17ROCPRIM_400000_NS6detail17trampoline_kernelINS0_14default_configENS1_27scan_by_key_config_selectorIixEEZZNS1_16scan_by_key_implILNS1_25lookback_scan_determinismE0ELb0ES3_N6thrust23THRUST_200600_302600_NS6detail15normal_iteratorINS9_10device_ptrIiEEEENSB_INSC_IxEEEESG_xNS9_4plusIvEENS9_8equal_toIvEExEE10hipError_tPvRmT2_T3_T4_T5_mT6_T7_P12ihipStream_tbENKUlT_T0_E_clISt17integral_constantIbLb1EES11_EEDaSW_SX_EUlSW_E_NS1_11comp_targetILNS1_3genE8ELNS1_11target_archE1030ELNS1_3gpuE2ELNS1_3repE0EEENS1_30default_config_static_selectorELNS0_4arch9wavefront6targetE0EEEvT1_ ; -- Begin function _ZN7rocprim17ROCPRIM_400000_NS6detail17trampoline_kernelINS0_14default_configENS1_27scan_by_key_config_selectorIixEEZZNS1_16scan_by_key_implILNS1_25lookback_scan_determinismE0ELb0ES3_N6thrust23THRUST_200600_302600_NS6detail15normal_iteratorINS9_10device_ptrIiEEEENSB_INSC_IxEEEESG_xNS9_4plusIvEENS9_8equal_toIvEExEE10hipError_tPvRmT2_T3_T4_T5_mT6_T7_P12ihipStream_tbENKUlT_T0_E_clISt17integral_constantIbLb1EES11_EEDaSW_SX_EUlSW_E_NS1_11comp_targetILNS1_3genE8ELNS1_11target_archE1030ELNS1_3gpuE2ELNS1_3repE0EEENS1_30default_config_static_selectorELNS0_4arch9wavefront6targetE0EEEvT1_
	.globl	_ZN7rocprim17ROCPRIM_400000_NS6detail17trampoline_kernelINS0_14default_configENS1_27scan_by_key_config_selectorIixEEZZNS1_16scan_by_key_implILNS1_25lookback_scan_determinismE0ELb0ES3_N6thrust23THRUST_200600_302600_NS6detail15normal_iteratorINS9_10device_ptrIiEEEENSB_INSC_IxEEEESG_xNS9_4plusIvEENS9_8equal_toIvEExEE10hipError_tPvRmT2_T3_T4_T5_mT6_T7_P12ihipStream_tbENKUlT_T0_E_clISt17integral_constantIbLb1EES11_EEDaSW_SX_EUlSW_E_NS1_11comp_targetILNS1_3genE8ELNS1_11target_archE1030ELNS1_3gpuE2ELNS1_3repE0EEENS1_30default_config_static_selectorELNS0_4arch9wavefront6targetE0EEEvT1_
	.p2align	8
	.type	_ZN7rocprim17ROCPRIM_400000_NS6detail17trampoline_kernelINS0_14default_configENS1_27scan_by_key_config_selectorIixEEZZNS1_16scan_by_key_implILNS1_25lookback_scan_determinismE0ELb0ES3_N6thrust23THRUST_200600_302600_NS6detail15normal_iteratorINS9_10device_ptrIiEEEENSB_INSC_IxEEEESG_xNS9_4plusIvEENS9_8equal_toIvEExEE10hipError_tPvRmT2_T3_T4_T5_mT6_T7_P12ihipStream_tbENKUlT_T0_E_clISt17integral_constantIbLb1EES11_EEDaSW_SX_EUlSW_E_NS1_11comp_targetILNS1_3genE8ELNS1_11target_archE1030ELNS1_3gpuE2ELNS1_3repE0EEENS1_30default_config_static_selectorELNS0_4arch9wavefront6targetE0EEEvT1_,@function
_ZN7rocprim17ROCPRIM_400000_NS6detail17trampoline_kernelINS0_14default_configENS1_27scan_by_key_config_selectorIixEEZZNS1_16scan_by_key_implILNS1_25lookback_scan_determinismE0ELb0ES3_N6thrust23THRUST_200600_302600_NS6detail15normal_iteratorINS9_10device_ptrIiEEEENSB_INSC_IxEEEESG_xNS9_4plusIvEENS9_8equal_toIvEExEE10hipError_tPvRmT2_T3_T4_T5_mT6_T7_P12ihipStream_tbENKUlT_T0_E_clISt17integral_constantIbLb1EES11_EEDaSW_SX_EUlSW_E_NS1_11comp_targetILNS1_3genE8ELNS1_11target_archE1030ELNS1_3gpuE2ELNS1_3repE0EEENS1_30default_config_static_selectorELNS0_4arch9wavefront6targetE0EEEvT1_: ; @_ZN7rocprim17ROCPRIM_400000_NS6detail17trampoline_kernelINS0_14default_configENS1_27scan_by_key_config_selectorIixEEZZNS1_16scan_by_key_implILNS1_25lookback_scan_determinismE0ELb0ES3_N6thrust23THRUST_200600_302600_NS6detail15normal_iteratorINS9_10device_ptrIiEEEENSB_INSC_IxEEEESG_xNS9_4plusIvEENS9_8equal_toIvEExEE10hipError_tPvRmT2_T3_T4_T5_mT6_T7_P12ihipStream_tbENKUlT_T0_E_clISt17integral_constantIbLb1EES11_EEDaSW_SX_EUlSW_E_NS1_11comp_targetILNS1_3genE8ELNS1_11target_archE1030ELNS1_3gpuE2ELNS1_3repE0EEENS1_30default_config_static_selectorELNS0_4arch9wavefront6targetE0EEEvT1_
; %bb.0:
	s_endpgm
	.section	.rodata,"a",@progbits
	.p2align	6, 0x0
	.amdhsa_kernel _ZN7rocprim17ROCPRIM_400000_NS6detail17trampoline_kernelINS0_14default_configENS1_27scan_by_key_config_selectorIixEEZZNS1_16scan_by_key_implILNS1_25lookback_scan_determinismE0ELb0ES3_N6thrust23THRUST_200600_302600_NS6detail15normal_iteratorINS9_10device_ptrIiEEEENSB_INSC_IxEEEESG_xNS9_4plusIvEENS9_8equal_toIvEExEE10hipError_tPvRmT2_T3_T4_T5_mT6_T7_P12ihipStream_tbENKUlT_T0_E_clISt17integral_constantIbLb1EES11_EEDaSW_SX_EUlSW_E_NS1_11comp_targetILNS1_3genE8ELNS1_11target_archE1030ELNS1_3gpuE2ELNS1_3repE0EEENS1_30default_config_static_selectorELNS0_4arch9wavefront6targetE0EEEvT1_
		.amdhsa_group_segment_fixed_size 0
		.amdhsa_private_segment_fixed_size 0
		.amdhsa_kernarg_size 136
		.amdhsa_user_sgpr_count 6
		.amdhsa_user_sgpr_private_segment_buffer 1
		.amdhsa_user_sgpr_dispatch_ptr 0
		.amdhsa_user_sgpr_queue_ptr 0
		.amdhsa_user_sgpr_kernarg_segment_ptr 1
		.amdhsa_user_sgpr_dispatch_id 0
		.amdhsa_user_sgpr_flat_scratch_init 0
		.amdhsa_user_sgpr_private_segment_size 0
		.amdhsa_wavefront_size32 1
		.amdhsa_uses_dynamic_stack 0
		.amdhsa_system_sgpr_private_segment_wavefront_offset 0
		.amdhsa_system_sgpr_workgroup_id_x 1
		.amdhsa_system_sgpr_workgroup_id_y 0
		.amdhsa_system_sgpr_workgroup_id_z 0
		.amdhsa_system_sgpr_workgroup_info 0
		.amdhsa_system_vgpr_workitem_id 0
		.amdhsa_next_free_vgpr 1
		.amdhsa_next_free_sgpr 1
		.amdhsa_reserve_vcc 0
		.amdhsa_reserve_flat_scratch 0
		.amdhsa_float_round_mode_32 0
		.amdhsa_float_round_mode_16_64 0
		.amdhsa_float_denorm_mode_32 3
		.amdhsa_float_denorm_mode_16_64 3
		.amdhsa_dx10_clamp 1
		.amdhsa_ieee_mode 1
		.amdhsa_fp16_overflow 0
		.amdhsa_workgroup_processor_mode 1
		.amdhsa_memory_ordered 1
		.amdhsa_forward_progress 1
		.amdhsa_shared_vgpr_count 0
		.amdhsa_exception_fp_ieee_invalid_op 0
		.amdhsa_exception_fp_denorm_src 0
		.amdhsa_exception_fp_ieee_div_zero 0
		.amdhsa_exception_fp_ieee_overflow 0
		.amdhsa_exception_fp_ieee_underflow 0
		.amdhsa_exception_fp_ieee_inexact 0
		.amdhsa_exception_int_div_zero 0
	.end_amdhsa_kernel
	.section	.text._ZN7rocprim17ROCPRIM_400000_NS6detail17trampoline_kernelINS0_14default_configENS1_27scan_by_key_config_selectorIixEEZZNS1_16scan_by_key_implILNS1_25lookback_scan_determinismE0ELb0ES3_N6thrust23THRUST_200600_302600_NS6detail15normal_iteratorINS9_10device_ptrIiEEEENSB_INSC_IxEEEESG_xNS9_4plusIvEENS9_8equal_toIvEExEE10hipError_tPvRmT2_T3_T4_T5_mT6_T7_P12ihipStream_tbENKUlT_T0_E_clISt17integral_constantIbLb1EES11_EEDaSW_SX_EUlSW_E_NS1_11comp_targetILNS1_3genE8ELNS1_11target_archE1030ELNS1_3gpuE2ELNS1_3repE0EEENS1_30default_config_static_selectorELNS0_4arch9wavefront6targetE0EEEvT1_,"axG",@progbits,_ZN7rocprim17ROCPRIM_400000_NS6detail17trampoline_kernelINS0_14default_configENS1_27scan_by_key_config_selectorIixEEZZNS1_16scan_by_key_implILNS1_25lookback_scan_determinismE0ELb0ES3_N6thrust23THRUST_200600_302600_NS6detail15normal_iteratorINS9_10device_ptrIiEEEENSB_INSC_IxEEEESG_xNS9_4plusIvEENS9_8equal_toIvEExEE10hipError_tPvRmT2_T3_T4_T5_mT6_T7_P12ihipStream_tbENKUlT_T0_E_clISt17integral_constantIbLb1EES11_EEDaSW_SX_EUlSW_E_NS1_11comp_targetILNS1_3genE8ELNS1_11target_archE1030ELNS1_3gpuE2ELNS1_3repE0EEENS1_30default_config_static_selectorELNS0_4arch9wavefront6targetE0EEEvT1_,comdat
.Lfunc_end1329:
	.size	_ZN7rocprim17ROCPRIM_400000_NS6detail17trampoline_kernelINS0_14default_configENS1_27scan_by_key_config_selectorIixEEZZNS1_16scan_by_key_implILNS1_25lookback_scan_determinismE0ELb0ES3_N6thrust23THRUST_200600_302600_NS6detail15normal_iteratorINS9_10device_ptrIiEEEENSB_INSC_IxEEEESG_xNS9_4plusIvEENS9_8equal_toIvEExEE10hipError_tPvRmT2_T3_T4_T5_mT6_T7_P12ihipStream_tbENKUlT_T0_E_clISt17integral_constantIbLb1EES11_EEDaSW_SX_EUlSW_E_NS1_11comp_targetILNS1_3genE8ELNS1_11target_archE1030ELNS1_3gpuE2ELNS1_3repE0EEENS1_30default_config_static_selectorELNS0_4arch9wavefront6targetE0EEEvT1_, .Lfunc_end1329-_ZN7rocprim17ROCPRIM_400000_NS6detail17trampoline_kernelINS0_14default_configENS1_27scan_by_key_config_selectorIixEEZZNS1_16scan_by_key_implILNS1_25lookback_scan_determinismE0ELb0ES3_N6thrust23THRUST_200600_302600_NS6detail15normal_iteratorINS9_10device_ptrIiEEEENSB_INSC_IxEEEESG_xNS9_4plusIvEENS9_8equal_toIvEExEE10hipError_tPvRmT2_T3_T4_T5_mT6_T7_P12ihipStream_tbENKUlT_T0_E_clISt17integral_constantIbLb1EES11_EEDaSW_SX_EUlSW_E_NS1_11comp_targetILNS1_3genE8ELNS1_11target_archE1030ELNS1_3gpuE2ELNS1_3repE0EEENS1_30default_config_static_selectorELNS0_4arch9wavefront6targetE0EEEvT1_
                                        ; -- End function
	.set _ZN7rocprim17ROCPRIM_400000_NS6detail17trampoline_kernelINS0_14default_configENS1_27scan_by_key_config_selectorIixEEZZNS1_16scan_by_key_implILNS1_25lookback_scan_determinismE0ELb0ES3_N6thrust23THRUST_200600_302600_NS6detail15normal_iteratorINS9_10device_ptrIiEEEENSB_INSC_IxEEEESG_xNS9_4plusIvEENS9_8equal_toIvEExEE10hipError_tPvRmT2_T3_T4_T5_mT6_T7_P12ihipStream_tbENKUlT_T0_E_clISt17integral_constantIbLb1EES11_EEDaSW_SX_EUlSW_E_NS1_11comp_targetILNS1_3genE8ELNS1_11target_archE1030ELNS1_3gpuE2ELNS1_3repE0EEENS1_30default_config_static_selectorELNS0_4arch9wavefront6targetE0EEEvT1_.num_vgpr, 0
	.set _ZN7rocprim17ROCPRIM_400000_NS6detail17trampoline_kernelINS0_14default_configENS1_27scan_by_key_config_selectorIixEEZZNS1_16scan_by_key_implILNS1_25lookback_scan_determinismE0ELb0ES3_N6thrust23THRUST_200600_302600_NS6detail15normal_iteratorINS9_10device_ptrIiEEEENSB_INSC_IxEEEESG_xNS9_4plusIvEENS9_8equal_toIvEExEE10hipError_tPvRmT2_T3_T4_T5_mT6_T7_P12ihipStream_tbENKUlT_T0_E_clISt17integral_constantIbLb1EES11_EEDaSW_SX_EUlSW_E_NS1_11comp_targetILNS1_3genE8ELNS1_11target_archE1030ELNS1_3gpuE2ELNS1_3repE0EEENS1_30default_config_static_selectorELNS0_4arch9wavefront6targetE0EEEvT1_.num_agpr, 0
	.set _ZN7rocprim17ROCPRIM_400000_NS6detail17trampoline_kernelINS0_14default_configENS1_27scan_by_key_config_selectorIixEEZZNS1_16scan_by_key_implILNS1_25lookback_scan_determinismE0ELb0ES3_N6thrust23THRUST_200600_302600_NS6detail15normal_iteratorINS9_10device_ptrIiEEEENSB_INSC_IxEEEESG_xNS9_4plusIvEENS9_8equal_toIvEExEE10hipError_tPvRmT2_T3_T4_T5_mT6_T7_P12ihipStream_tbENKUlT_T0_E_clISt17integral_constantIbLb1EES11_EEDaSW_SX_EUlSW_E_NS1_11comp_targetILNS1_3genE8ELNS1_11target_archE1030ELNS1_3gpuE2ELNS1_3repE0EEENS1_30default_config_static_selectorELNS0_4arch9wavefront6targetE0EEEvT1_.numbered_sgpr, 0
	.set _ZN7rocprim17ROCPRIM_400000_NS6detail17trampoline_kernelINS0_14default_configENS1_27scan_by_key_config_selectorIixEEZZNS1_16scan_by_key_implILNS1_25lookback_scan_determinismE0ELb0ES3_N6thrust23THRUST_200600_302600_NS6detail15normal_iteratorINS9_10device_ptrIiEEEENSB_INSC_IxEEEESG_xNS9_4plusIvEENS9_8equal_toIvEExEE10hipError_tPvRmT2_T3_T4_T5_mT6_T7_P12ihipStream_tbENKUlT_T0_E_clISt17integral_constantIbLb1EES11_EEDaSW_SX_EUlSW_E_NS1_11comp_targetILNS1_3genE8ELNS1_11target_archE1030ELNS1_3gpuE2ELNS1_3repE0EEENS1_30default_config_static_selectorELNS0_4arch9wavefront6targetE0EEEvT1_.num_named_barrier, 0
	.set _ZN7rocprim17ROCPRIM_400000_NS6detail17trampoline_kernelINS0_14default_configENS1_27scan_by_key_config_selectorIixEEZZNS1_16scan_by_key_implILNS1_25lookback_scan_determinismE0ELb0ES3_N6thrust23THRUST_200600_302600_NS6detail15normal_iteratorINS9_10device_ptrIiEEEENSB_INSC_IxEEEESG_xNS9_4plusIvEENS9_8equal_toIvEExEE10hipError_tPvRmT2_T3_T4_T5_mT6_T7_P12ihipStream_tbENKUlT_T0_E_clISt17integral_constantIbLb1EES11_EEDaSW_SX_EUlSW_E_NS1_11comp_targetILNS1_3genE8ELNS1_11target_archE1030ELNS1_3gpuE2ELNS1_3repE0EEENS1_30default_config_static_selectorELNS0_4arch9wavefront6targetE0EEEvT1_.private_seg_size, 0
	.set _ZN7rocprim17ROCPRIM_400000_NS6detail17trampoline_kernelINS0_14default_configENS1_27scan_by_key_config_selectorIixEEZZNS1_16scan_by_key_implILNS1_25lookback_scan_determinismE0ELb0ES3_N6thrust23THRUST_200600_302600_NS6detail15normal_iteratorINS9_10device_ptrIiEEEENSB_INSC_IxEEEESG_xNS9_4plusIvEENS9_8equal_toIvEExEE10hipError_tPvRmT2_T3_T4_T5_mT6_T7_P12ihipStream_tbENKUlT_T0_E_clISt17integral_constantIbLb1EES11_EEDaSW_SX_EUlSW_E_NS1_11comp_targetILNS1_3genE8ELNS1_11target_archE1030ELNS1_3gpuE2ELNS1_3repE0EEENS1_30default_config_static_selectorELNS0_4arch9wavefront6targetE0EEEvT1_.uses_vcc, 0
	.set _ZN7rocprim17ROCPRIM_400000_NS6detail17trampoline_kernelINS0_14default_configENS1_27scan_by_key_config_selectorIixEEZZNS1_16scan_by_key_implILNS1_25lookback_scan_determinismE0ELb0ES3_N6thrust23THRUST_200600_302600_NS6detail15normal_iteratorINS9_10device_ptrIiEEEENSB_INSC_IxEEEESG_xNS9_4plusIvEENS9_8equal_toIvEExEE10hipError_tPvRmT2_T3_T4_T5_mT6_T7_P12ihipStream_tbENKUlT_T0_E_clISt17integral_constantIbLb1EES11_EEDaSW_SX_EUlSW_E_NS1_11comp_targetILNS1_3genE8ELNS1_11target_archE1030ELNS1_3gpuE2ELNS1_3repE0EEENS1_30default_config_static_selectorELNS0_4arch9wavefront6targetE0EEEvT1_.uses_flat_scratch, 0
	.set _ZN7rocprim17ROCPRIM_400000_NS6detail17trampoline_kernelINS0_14default_configENS1_27scan_by_key_config_selectorIixEEZZNS1_16scan_by_key_implILNS1_25lookback_scan_determinismE0ELb0ES3_N6thrust23THRUST_200600_302600_NS6detail15normal_iteratorINS9_10device_ptrIiEEEENSB_INSC_IxEEEESG_xNS9_4plusIvEENS9_8equal_toIvEExEE10hipError_tPvRmT2_T3_T4_T5_mT6_T7_P12ihipStream_tbENKUlT_T0_E_clISt17integral_constantIbLb1EES11_EEDaSW_SX_EUlSW_E_NS1_11comp_targetILNS1_3genE8ELNS1_11target_archE1030ELNS1_3gpuE2ELNS1_3repE0EEENS1_30default_config_static_selectorELNS0_4arch9wavefront6targetE0EEEvT1_.has_dyn_sized_stack, 0
	.set _ZN7rocprim17ROCPRIM_400000_NS6detail17trampoline_kernelINS0_14default_configENS1_27scan_by_key_config_selectorIixEEZZNS1_16scan_by_key_implILNS1_25lookback_scan_determinismE0ELb0ES3_N6thrust23THRUST_200600_302600_NS6detail15normal_iteratorINS9_10device_ptrIiEEEENSB_INSC_IxEEEESG_xNS9_4plusIvEENS9_8equal_toIvEExEE10hipError_tPvRmT2_T3_T4_T5_mT6_T7_P12ihipStream_tbENKUlT_T0_E_clISt17integral_constantIbLb1EES11_EEDaSW_SX_EUlSW_E_NS1_11comp_targetILNS1_3genE8ELNS1_11target_archE1030ELNS1_3gpuE2ELNS1_3repE0EEENS1_30default_config_static_selectorELNS0_4arch9wavefront6targetE0EEEvT1_.has_recursion, 0
	.set _ZN7rocprim17ROCPRIM_400000_NS6detail17trampoline_kernelINS0_14default_configENS1_27scan_by_key_config_selectorIixEEZZNS1_16scan_by_key_implILNS1_25lookback_scan_determinismE0ELb0ES3_N6thrust23THRUST_200600_302600_NS6detail15normal_iteratorINS9_10device_ptrIiEEEENSB_INSC_IxEEEESG_xNS9_4plusIvEENS9_8equal_toIvEExEE10hipError_tPvRmT2_T3_T4_T5_mT6_T7_P12ihipStream_tbENKUlT_T0_E_clISt17integral_constantIbLb1EES11_EEDaSW_SX_EUlSW_E_NS1_11comp_targetILNS1_3genE8ELNS1_11target_archE1030ELNS1_3gpuE2ELNS1_3repE0EEENS1_30default_config_static_selectorELNS0_4arch9wavefront6targetE0EEEvT1_.has_indirect_call, 0
	.section	.AMDGPU.csdata,"",@progbits
; Kernel info:
; codeLenInByte = 4
; TotalNumSgprs: 0
; NumVgprs: 0
; ScratchSize: 0
; MemoryBound: 0
; FloatMode: 240
; IeeeMode: 1
; LDSByteSize: 0 bytes/workgroup (compile time only)
; SGPRBlocks: 0
; VGPRBlocks: 0
; NumSGPRsForWavesPerEU: 1
; NumVGPRsForWavesPerEU: 1
; Occupancy: 16
; WaveLimiterHint : 0
; COMPUTE_PGM_RSRC2:SCRATCH_EN: 0
; COMPUTE_PGM_RSRC2:USER_SGPR: 6
; COMPUTE_PGM_RSRC2:TRAP_HANDLER: 0
; COMPUTE_PGM_RSRC2:TGID_X_EN: 1
; COMPUTE_PGM_RSRC2:TGID_Y_EN: 0
; COMPUTE_PGM_RSRC2:TGID_Z_EN: 0
; COMPUTE_PGM_RSRC2:TIDIG_COMP_CNT: 0
	.section	.text._ZN7rocprim17ROCPRIM_400000_NS6detail30init_device_scan_by_key_kernelINS1_19lookback_scan_stateINS0_5tupleIJxbEEELb1ELb0EEEN6thrust23THRUST_200600_302600_NS6detail15normal_iteratorINS8_10device_ptrIiEEEEjNS1_16block_id_wrapperIjLb0EEEEEvT_jjPNSG_10value_typeET0_PNSt15iterator_traitsISJ_E10value_typeEmT1_T2_,"axG",@progbits,_ZN7rocprim17ROCPRIM_400000_NS6detail30init_device_scan_by_key_kernelINS1_19lookback_scan_stateINS0_5tupleIJxbEEELb1ELb0EEEN6thrust23THRUST_200600_302600_NS6detail15normal_iteratorINS8_10device_ptrIiEEEEjNS1_16block_id_wrapperIjLb0EEEEEvT_jjPNSG_10value_typeET0_PNSt15iterator_traitsISJ_E10value_typeEmT1_T2_,comdat
	.protected	_ZN7rocprim17ROCPRIM_400000_NS6detail30init_device_scan_by_key_kernelINS1_19lookback_scan_stateINS0_5tupleIJxbEEELb1ELb0EEEN6thrust23THRUST_200600_302600_NS6detail15normal_iteratorINS8_10device_ptrIiEEEEjNS1_16block_id_wrapperIjLb0EEEEEvT_jjPNSG_10value_typeET0_PNSt15iterator_traitsISJ_E10value_typeEmT1_T2_ ; -- Begin function _ZN7rocprim17ROCPRIM_400000_NS6detail30init_device_scan_by_key_kernelINS1_19lookback_scan_stateINS0_5tupleIJxbEEELb1ELb0EEEN6thrust23THRUST_200600_302600_NS6detail15normal_iteratorINS8_10device_ptrIiEEEEjNS1_16block_id_wrapperIjLb0EEEEEvT_jjPNSG_10value_typeET0_PNSt15iterator_traitsISJ_E10value_typeEmT1_T2_
	.globl	_ZN7rocprim17ROCPRIM_400000_NS6detail30init_device_scan_by_key_kernelINS1_19lookback_scan_stateINS0_5tupleIJxbEEELb1ELb0EEEN6thrust23THRUST_200600_302600_NS6detail15normal_iteratorINS8_10device_ptrIiEEEEjNS1_16block_id_wrapperIjLb0EEEEEvT_jjPNSG_10value_typeET0_PNSt15iterator_traitsISJ_E10value_typeEmT1_T2_
	.p2align	8
	.type	_ZN7rocprim17ROCPRIM_400000_NS6detail30init_device_scan_by_key_kernelINS1_19lookback_scan_stateINS0_5tupleIJxbEEELb1ELb0EEEN6thrust23THRUST_200600_302600_NS6detail15normal_iteratorINS8_10device_ptrIiEEEEjNS1_16block_id_wrapperIjLb0EEEEEvT_jjPNSG_10value_typeET0_PNSt15iterator_traitsISJ_E10value_typeEmT1_T2_,@function
_ZN7rocprim17ROCPRIM_400000_NS6detail30init_device_scan_by_key_kernelINS1_19lookback_scan_stateINS0_5tupleIJxbEEELb1ELb0EEEN6thrust23THRUST_200600_302600_NS6detail15normal_iteratorINS8_10device_ptrIiEEEEjNS1_16block_id_wrapperIjLb0EEEEEvT_jjPNSG_10value_typeET0_PNSt15iterator_traitsISJ_E10value_typeEmT1_T2_: ; @_ZN7rocprim17ROCPRIM_400000_NS6detail30init_device_scan_by_key_kernelINS1_19lookback_scan_stateINS0_5tupleIJxbEEELb1ELb0EEEN6thrust23THRUST_200600_302600_NS6detail15normal_iteratorINS8_10device_ptrIiEEEEjNS1_16block_id_wrapperIjLb0EEEEEvT_jjPNSG_10value_typeET0_PNSt15iterator_traitsISJ_E10value_typeEmT1_T2_
; %bb.0:
	s_clause 0x2
	s_load_dword s0, s[4:5], 0x54
	s_load_dwordx8 s[8:15], s[4:5], 0x10
	s_load_dword s18, s[4:5], 0x48
	s_waitcnt lgkmcnt(0)
	s_and_b32 s19, s0, 0xffff
	s_cmp_eq_u64 s[12:13], 0
	v_mad_u64_u32 v[0:1], null, s6, s19, v[0:1]
	s_cbranch_scc1 .LBB1330_9
; %bb.1:
	s_cmp_lt_u32 s11, s10
	s_mov_b32 s7, 0
	s_cselect_b32 s0, s11, 0
	s_mov_b32 s20, exec_lo
	v_cmpx_eq_u32_e64 s0, v0
	s_cbranch_execz .LBB1330_8
; %bb.2:
	s_add_i32 s6, s11, 32
	s_load_dwordx4 s[0:3], s[4:5], 0x0
	v_mov_b32_e32 v1, s6
	s_add_u32 s16, s8, s6
	s_addc_u32 s17, s9, 0
	global_load_ubyte v2, v1, s[8:9] glc dlc
	v_mov_b32_e32 v1, 0
	s_waitcnt vmcnt(0)
	v_cmp_ne_u32_sdwa s11, v2, v1 src0_sel:WORD_0 src1_sel:DWORD
	v_readfirstlane_b32 s21, v2
	s_and_b32 vcc_lo, exec_lo, s11
	s_cbranch_vccnz .LBB1330_7
; %bb.3:
	s_mov_b32 s11, 1
.LBB1330_4:                             ; =>This Loop Header: Depth=1
                                        ;     Child Loop BB1330_5 Depth 2
	s_mov_b32 s21, s11
.LBB1330_5:                             ;   Parent Loop BB1330_4 Depth=1
                                        ; =>  This Inner Loop Header: Depth=2
	s_add_i32 s21, s21, -1
	s_sleep 1
	s_cmp_eq_u32 s21, 0
	s_cbranch_scc0 .LBB1330_5
; %bb.6:                                ;   in Loop: Header=BB1330_4 Depth=1
	global_load_ubyte v2, v1, s[16:17] glc dlc
	s_cmp_lt_u32 s11, 32
	s_cselect_b32 s21, -1, 0
	s_cmp_lg_u32 s21, 0
	s_addc_u32 s11, s11, 0
	s_waitcnt vmcnt(0)
	v_cmp_ne_u32_sdwa s22, v2, v1 src0_sel:WORD_0 src1_sel:DWORD
	v_readfirstlane_b32 s21, v2
	s_and_b32 vcc_lo, exec_lo, s22
	s_cbranch_vccz .LBB1330_4
.LBB1330_7:
	s_and_b32 s11, 0xffff, s21
	v_mov_b32_e32 v3, 0
	s_cmp_eq_u32 s11, 1
	s_waitcnt lgkmcnt(0)
	buffer_gl1_inv
	buffer_gl0_inv
	s_cselect_b32 s3, s1, s3
	s_cselect_b32 s2, s0, s2
	s_lshl_b64 s[0:1], s[6:7], 4
	s_add_u32 s0, s2, s0
	s_addc_u32 s1, s3, s1
	s_clause 0x1
	global_load_dwordx2 v[1:2], v3, s[0:1]
	global_load_ubyte v4, v3, s[0:1] offset:8
	s_waitcnt vmcnt(1)
	global_store_dwordx2 v3, v[1:2], s[12:13]
	s_waitcnt vmcnt(0)
	global_store_byte v3, v4, s[12:13] offset:8
.LBB1330_8:
	s_or_b32 exec_lo, exec_lo, s20
.LBB1330_9:
	s_mov_b32 s0, exec_lo
	v_cmpx_gt_u32_e64 s10, v0
	s_cbranch_execz .LBB1330_11
; %bb.10:
	v_add_nc_u32_e32 v1, 32, v0
	v_mov_b32_e32 v2, 0
	global_store_byte v1, v2, s[8:9]
.LBB1330_11:
	s_or_b32 exec_lo, exec_lo, s0
	v_mov_b32_e32 v1, 0
	s_mov_b32 s0, exec_lo
	v_cmpx_gt_u32_e32 32, v0
	s_cbranch_execz .LBB1330_13
; %bb.12:
	v_add_co_u32 v2, s1, s8, v0
	v_add_co_ci_u32_e64 v3, null, s9, 0, s1
	v_mov_b32_e32 v4, 0xff
	global_store_byte v[2:3], v4, off
.LBB1330_13:
	s_or_b32 exec_lo, exec_lo, s0
	s_load_dwordx2 s[2:3], s[4:5], 0x38
	s_mov_b32 s0, exec_lo
	s_waitcnt lgkmcnt(0)
	v_cmpx_gt_u64_e64 s[2:3], v[0:1]
	s_cbranch_execz .LBB1330_16
; %bb.14:
	s_clause 0x1
	s_load_dword s8, s[4:5], 0x40
	s_load_dwordx2 s[6:7], s[4:5], 0x30
	s_mov_b32 s1, 0
	v_lshlrev_b64 v[4:5], 2, v[0:1]
	s_mul_i32 s4, s18, s19
	s_waitcnt lgkmcnt(0)
	v_mad_u64_u32 v[2:3], null, s8, v0, 0
	s_add_i32 s0, s8, -1
	s_mul_hi_u32 s9, s8, s4
	s_lshl_b64 s[10:11], s[0:1], 2
	s_mul_i32 s8, s8, s4
	s_add_u32 s0, s14, s10
	s_addc_u32 s5, s15, s11
	v_lshlrev_b64 v[2:3], 2, v[2:3]
	v_add_co_u32 v2, vcc_lo, s0, v2
	v_add_co_ci_u32_e64 v3, null, s5, v3, vcc_lo
	v_add_co_u32 v4, vcc_lo, s6, v4
	v_add_co_ci_u32_e64 v5, null, s7, v5, vcc_lo
	s_mov_b32 s5, s1
	s_lshl_b64 s[6:7], s[8:9], 2
	s_lshl_b64 s[8:9], s[4:5], 2
	.p2align	6
.LBB1330_15:                            ; =>This Inner Loop Header: Depth=1
	global_load_dword v6, v[2:3], off
	v_add_co_u32 v0, vcc_lo, v0, s4
	v_add_co_ci_u32_e64 v1, null, 0, v1, vcc_lo
	v_add_co_u32 v2, vcc_lo, v2, s6
	v_add_co_ci_u32_e64 v3, null, s7, v3, vcc_lo
	v_cmp_le_u64_e32 vcc_lo, s[2:3], v[0:1]
	s_or_b32 s1, vcc_lo, s1
	s_waitcnt vmcnt(0)
	global_store_dword v[4:5], v6, off
	v_add_co_u32 v4, s0, v4, s8
	v_add_co_ci_u32_e64 v5, null, s9, v5, s0
	s_andn2_b32 exec_lo, exec_lo, s1
	s_cbranch_execnz .LBB1330_15
.LBB1330_16:
	s_endpgm
	.section	.rodata,"a",@progbits
	.p2align	6, 0x0
	.amdhsa_kernel _ZN7rocprim17ROCPRIM_400000_NS6detail30init_device_scan_by_key_kernelINS1_19lookback_scan_stateINS0_5tupleIJxbEEELb1ELb0EEEN6thrust23THRUST_200600_302600_NS6detail15normal_iteratorINS8_10device_ptrIiEEEEjNS1_16block_id_wrapperIjLb0EEEEEvT_jjPNSG_10value_typeET0_PNSt15iterator_traitsISJ_E10value_typeEmT1_T2_
		.amdhsa_group_segment_fixed_size 0
		.amdhsa_private_segment_fixed_size 0
		.amdhsa_kernarg_size 328
		.amdhsa_user_sgpr_count 6
		.amdhsa_user_sgpr_private_segment_buffer 1
		.amdhsa_user_sgpr_dispatch_ptr 0
		.amdhsa_user_sgpr_queue_ptr 0
		.amdhsa_user_sgpr_kernarg_segment_ptr 1
		.amdhsa_user_sgpr_dispatch_id 0
		.amdhsa_user_sgpr_flat_scratch_init 0
		.amdhsa_user_sgpr_private_segment_size 0
		.amdhsa_wavefront_size32 1
		.amdhsa_uses_dynamic_stack 0
		.amdhsa_system_sgpr_private_segment_wavefront_offset 0
		.amdhsa_system_sgpr_workgroup_id_x 1
		.amdhsa_system_sgpr_workgroup_id_y 0
		.amdhsa_system_sgpr_workgroup_id_z 0
		.amdhsa_system_sgpr_workgroup_info 0
		.amdhsa_system_vgpr_workitem_id 0
		.amdhsa_next_free_vgpr 7
		.amdhsa_next_free_sgpr 23
		.amdhsa_reserve_vcc 1
		.amdhsa_reserve_flat_scratch 0
		.amdhsa_float_round_mode_32 0
		.amdhsa_float_round_mode_16_64 0
		.amdhsa_float_denorm_mode_32 3
		.amdhsa_float_denorm_mode_16_64 3
		.amdhsa_dx10_clamp 1
		.amdhsa_ieee_mode 1
		.amdhsa_fp16_overflow 0
		.amdhsa_workgroup_processor_mode 1
		.amdhsa_memory_ordered 1
		.amdhsa_forward_progress 1
		.amdhsa_shared_vgpr_count 0
		.amdhsa_exception_fp_ieee_invalid_op 0
		.amdhsa_exception_fp_denorm_src 0
		.amdhsa_exception_fp_ieee_div_zero 0
		.amdhsa_exception_fp_ieee_overflow 0
		.amdhsa_exception_fp_ieee_underflow 0
		.amdhsa_exception_fp_ieee_inexact 0
		.amdhsa_exception_int_div_zero 0
	.end_amdhsa_kernel
	.section	.text._ZN7rocprim17ROCPRIM_400000_NS6detail30init_device_scan_by_key_kernelINS1_19lookback_scan_stateINS0_5tupleIJxbEEELb1ELb0EEEN6thrust23THRUST_200600_302600_NS6detail15normal_iteratorINS8_10device_ptrIiEEEEjNS1_16block_id_wrapperIjLb0EEEEEvT_jjPNSG_10value_typeET0_PNSt15iterator_traitsISJ_E10value_typeEmT1_T2_,"axG",@progbits,_ZN7rocprim17ROCPRIM_400000_NS6detail30init_device_scan_by_key_kernelINS1_19lookback_scan_stateINS0_5tupleIJxbEEELb1ELb0EEEN6thrust23THRUST_200600_302600_NS6detail15normal_iteratorINS8_10device_ptrIiEEEEjNS1_16block_id_wrapperIjLb0EEEEEvT_jjPNSG_10value_typeET0_PNSt15iterator_traitsISJ_E10value_typeEmT1_T2_,comdat
.Lfunc_end1330:
	.size	_ZN7rocprim17ROCPRIM_400000_NS6detail30init_device_scan_by_key_kernelINS1_19lookback_scan_stateINS0_5tupleIJxbEEELb1ELb0EEEN6thrust23THRUST_200600_302600_NS6detail15normal_iteratorINS8_10device_ptrIiEEEEjNS1_16block_id_wrapperIjLb0EEEEEvT_jjPNSG_10value_typeET0_PNSt15iterator_traitsISJ_E10value_typeEmT1_T2_, .Lfunc_end1330-_ZN7rocprim17ROCPRIM_400000_NS6detail30init_device_scan_by_key_kernelINS1_19lookback_scan_stateINS0_5tupleIJxbEEELb1ELb0EEEN6thrust23THRUST_200600_302600_NS6detail15normal_iteratorINS8_10device_ptrIiEEEEjNS1_16block_id_wrapperIjLb0EEEEEvT_jjPNSG_10value_typeET0_PNSt15iterator_traitsISJ_E10value_typeEmT1_T2_
                                        ; -- End function
	.set _ZN7rocprim17ROCPRIM_400000_NS6detail30init_device_scan_by_key_kernelINS1_19lookback_scan_stateINS0_5tupleIJxbEEELb1ELb0EEEN6thrust23THRUST_200600_302600_NS6detail15normal_iteratorINS8_10device_ptrIiEEEEjNS1_16block_id_wrapperIjLb0EEEEEvT_jjPNSG_10value_typeET0_PNSt15iterator_traitsISJ_E10value_typeEmT1_T2_.num_vgpr, 7
	.set _ZN7rocprim17ROCPRIM_400000_NS6detail30init_device_scan_by_key_kernelINS1_19lookback_scan_stateINS0_5tupleIJxbEEELb1ELb0EEEN6thrust23THRUST_200600_302600_NS6detail15normal_iteratorINS8_10device_ptrIiEEEEjNS1_16block_id_wrapperIjLb0EEEEEvT_jjPNSG_10value_typeET0_PNSt15iterator_traitsISJ_E10value_typeEmT1_T2_.num_agpr, 0
	.set _ZN7rocprim17ROCPRIM_400000_NS6detail30init_device_scan_by_key_kernelINS1_19lookback_scan_stateINS0_5tupleIJxbEEELb1ELb0EEEN6thrust23THRUST_200600_302600_NS6detail15normal_iteratorINS8_10device_ptrIiEEEEjNS1_16block_id_wrapperIjLb0EEEEEvT_jjPNSG_10value_typeET0_PNSt15iterator_traitsISJ_E10value_typeEmT1_T2_.numbered_sgpr, 23
	.set _ZN7rocprim17ROCPRIM_400000_NS6detail30init_device_scan_by_key_kernelINS1_19lookback_scan_stateINS0_5tupleIJxbEEELb1ELb0EEEN6thrust23THRUST_200600_302600_NS6detail15normal_iteratorINS8_10device_ptrIiEEEEjNS1_16block_id_wrapperIjLb0EEEEEvT_jjPNSG_10value_typeET0_PNSt15iterator_traitsISJ_E10value_typeEmT1_T2_.num_named_barrier, 0
	.set _ZN7rocprim17ROCPRIM_400000_NS6detail30init_device_scan_by_key_kernelINS1_19lookback_scan_stateINS0_5tupleIJxbEEELb1ELb0EEEN6thrust23THRUST_200600_302600_NS6detail15normal_iteratorINS8_10device_ptrIiEEEEjNS1_16block_id_wrapperIjLb0EEEEEvT_jjPNSG_10value_typeET0_PNSt15iterator_traitsISJ_E10value_typeEmT1_T2_.private_seg_size, 0
	.set _ZN7rocprim17ROCPRIM_400000_NS6detail30init_device_scan_by_key_kernelINS1_19lookback_scan_stateINS0_5tupleIJxbEEELb1ELb0EEEN6thrust23THRUST_200600_302600_NS6detail15normal_iteratorINS8_10device_ptrIiEEEEjNS1_16block_id_wrapperIjLb0EEEEEvT_jjPNSG_10value_typeET0_PNSt15iterator_traitsISJ_E10value_typeEmT1_T2_.uses_vcc, 1
	.set _ZN7rocprim17ROCPRIM_400000_NS6detail30init_device_scan_by_key_kernelINS1_19lookback_scan_stateINS0_5tupleIJxbEEELb1ELb0EEEN6thrust23THRUST_200600_302600_NS6detail15normal_iteratorINS8_10device_ptrIiEEEEjNS1_16block_id_wrapperIjLb0EEEEEvT_jjPNSG_10value_typeET0_PNSt15iterator_traitsISJ_E10value_typeEmT1_T2_.uses_flat_scratch, 0
	.set _ZN7rocprim17ROCPRIM_400000_NS6detail30init_device_scan_by_key_kernelINS1_19lookback_scan_stateINS0_5tupleIJxbEEELb1ELb0EEEN6thrust23THRUST_200600_302600_NS6detail15normal_iteratorINS8_10device_ptrIiEEEEjNS1_16block_id_wrapperIjLb0EEEEEvT_jjPNSG_10value_typeET0_PNSt15iterator_traitsISJ_E10value_typeEmT1_T2_.has_dyn_sized_stack, 0
	.set _ZN7rocprim17ROCPRIM_400000_NS6detail30init_device_scan_by_key_kernelINS1_19lookback_scan_stateINS0_5tupleIJxbEEELb1ELb0EEEN6thrust23THRUST_200600_302600_NS6detail15normal_iteratorINS8_10device_ptrIiEEEEjNS1_16block_id_wrapperIjLb0EEEEEvT_jjPNSG_10value_typeET0_PNSt15iterator_traitsISJ_E10value_typeEmT1_T2_.has_recursion, 0
	.set _ZN7rocprim17ROCPRIM_400000_NS6detail30init_device_scan_by_key_kernelINS1_19lookback_scan_stateINS0_5tupleIJxbEEELb1ELb0EEEN6thrust23THRUST_200600_302600_NS6detail15normal_iteratorINS8_10device_ptrIiEEEEjNS1_16block_id_wrapperIjLb0EEEEEvT_jjPNSG_10value_typeET0_PNSt15iterator_traitsISJ_E10value_typeEmT1_T2_.has_indirect_call, 0
	.section	.AMDGPU.csdata,"",@progbits
; Kernel info:
; codeLenInByte = 664
; TotalNumSgprs: 25
; NumVgprs: 7
; ScratchSize: 0
; MemoryBound: 0
; FloatMode: 240
; IeeeMode: 1
; LDSByteSize: 0 bytes/workgroup (compile time only)
; SGPRBlocks: 0
; VGPRBlocks: 0
; NumSGPRsForWavesPerEU: 25
; NumVGPRsForWavesPerEU: 7
; Occupancy: 16
; WaveLimiterHint : 0
; COMPUTE_PGM_RSRC2:SCRATCH_EN: 0
; COMPUTE_PGM_RSRC2:USER_SGPR: 6
; COMPUTE_PGM_RSRC2:TRAP_HANDLER: 0
; COMPUTE_PGM_RSRC2:TGID_X_EN: 1
; COMPUTE_PGM_RSRC2:TGID_Y_EN: 0
; COMPUTE_PGM_RSRC2:TGID_Z_EN: 0
; COMPUTE_PGM_RSRC2:TIDIG_COMP_CNT: 0
	.section	.text._ZN7rocprim17ROCPRIM_400000_NS6detail17trampoline_kernelINS0_14default_configENS1_27scan_by_key_config_selectorIixEEZZNS1_16scan_by_key_implILNS1_25lookback_scan_determinismE0ELb0ES3_N6thrust23THRUST_200600_302600_NS6detail15normal_iteratorINS9_10device_ptrIiEEEENSB_INSC_IxEEEESG_xNS9_4plusIvEENS9_8equal_toIvEExEE10hipError_tPvRmT2_T3_T4_T5_mT6_T7_P12ihipStream_tbENKUlT_T0_E_clISt17integral_constantIbLb1EES10_IbLb0EEEEDaSW_SX_EUlSW_E_NS1_11comp_targetILNS1_3genE0ELNS1_11target_archE4294967295ELNS1_3gpuE0ELNS1_3repE0EEENS1_30default_config_static_selectorELNS0_4arch9wavefront6targetE0EEEvT1_,"axG",@progbits,_ZN7rocprim17ROCPRIM_400000_NS6detail17trampoline_kernelINS0_14default_configENS1_27scan_by_key_config_selectorIixEEZZNS1_16scan_by_key_implILNS1_25lookback_scan_determinismE0ELb0ES3_N6thrust23THRUST_200600_302600_NS6detail15normal_iteratorINS9_10device_ptrIiEEEENSB_INSC_IxEEEESG_xNS9_4plusIvEENS9_8equal_toIvEExEE10hipError_tPvRmT2_T3_T4_T5_mT6_T7_P12ihipStream_tbENKUlT_T0_E_clISt17integral_constantIbLb1EES10_IbLb0EEEEDaSW_SX_EUlSW_E_NS1_11comp_targetILNS1_3genE0ELNS1_11target_archE4294967295ELNS1_3gpuE0ELNS1_3repE0EEENS1_30default_config_static_selectorELNS0_4arch9wavefront6targetE0EEEvT1_,comdat
	.protected	_ZN7rocprim17ROCPRIM_400000_NS6detail17trampoline_kernelINS0_14default_configENS1_27scan_by_key_config_selectorIixEEZZNS1_16scan_by_key_implILNS1_25lookback_scan_determinismE0ELb0ES3_N6thrust23THRUST_200600_302600_NS6detail15normal_iteratorINS9_10device_ptrIiEEEENSB_INSC_IxEEEESG_xNS9_4plusIvEENS9_8equal_toIvEExEE10hipError_tPvRmT2_T3_T4_T5_mT6_T7_P12ihipStream_tbENKUlT_T0_E_clISt17integral_constantIbLb1EES10_IbLb0EEEEDaSW_SX_EUlSW_E_NS1_11comp_targetILNS1_3genE0ELNS1_11target_archE4294967295ELNS1_3gpuE0ELNS1_3repE0EEENS1_30default_config_static_selectorELNS0_4arch9wavefront6targetE0EEEvT1_ ; -- Begin function _ZN7rocprim17ROCPRIM_400000_NS6detail17trampoline_kernelINS0_14default_configENS1_27scan_by_key_config_selectorIixEEZZNS1_16scan_by_key_implILNS1_25lookback_scan_determinismE0ELb0ES3_N6thrust23THRUST_200600_302600_NS6detail15normal_iteratorINS9_10device_ptrIiEEEENSB_INSC_IxEEEESG_xNS9_4plusIvEENS9_8equal_toIvEExEE10hipError_tPvRmT2_T3_T4_T5_mT6_T7_P12ihipStream_tbENKUlT_T0_E_clISt17integral_constantIbLb1EES10_IbLb0EEEEDaSW_SX_EUlSW_E_NS1_11comp_targetILNS1_3genE0ELNS1_11target_archE4294967295ELNS1_3gpuE0ELNS1_3repE0EEENS1_30default_config_static_selectorELNS0_4arch9wavefront6targetE0EEEvT1_
	.globl	_ZN7rocprim17ROCPRIM_400000_NS6detail17trampoline_kernelINS0_14default_configENS1_27scan_by_key_config_selectorIixEEZZNS1_16scan_by_key_implILNS1_25lookback_scan_determinismE0ELb0ES3_N6thrust23THRUST_200600_302600_NS6detail15normal_iteratorINS9_10device_ptrIiEEEENSB_INSC_IxEEEESG_xNS9_4plusIvEENS9_8equal_toIvEExEE10hipError_tPvRmT2_T3_T4_T5_mT6_T7_P12ihipStream_tbENKUlT_T0_E_clISt17integral_constantIbLb1EES10_IbLb0EEEEDaSW_SX_EUlSW_E_NS1_11comp_targetILNS1_3genE0ELNS1_11target_archE4294967295ELNS1_3gpuE0ELNS1_3repE0EEENS1_30default_config_static_selectorELNS0_4arch9wavefront6targetE0EEEvT1_
	.p2align	8
	.type	_ZN7rocprim17ROCPRIM_400000_NS6detail17trampoline_kernelINS0_14default_configENS1_27scan_by_key_config_selectorIixEEZZNS1_16scan_by_key_implILNS1_25lookback_scan_determinismE0ELb0ES3_N6thrust23THRUST_200600_302600_NS6detail15normal_iteratorINS9_10device_ptrIiEEEENSB_INSC_IxEEEESG_xNS9_4plusIvEENS9_8equal_toIvEExEE10hipError_tPvRmT2_T3_T4_T5_mT6_T7_P12ihipStream_tbENKUlT_T0_E_clISt17integral_constantIbLb1EES10_IbLb0EEEEDaSW_SX_EUlSW_E_NS1_11comp_targetILNS1_3genE0ELNS1_11target_archE4294967295ELNS1_3gpuE0ELNS1_3repE0EEENS1_30default_config_static_selectorELNS0_4arch9wavefront6targetE0EEEvT1_,@function
_ZN7rocprim17ROCPRIM_400000_NS6detail17trampoline_kernelINS0_14default_configENS1_27scan_by_key_config_selectorIixEEZZNS1_16scan_by_key_implILNS1_25lookback_scan_determinismE0ELb0ES3_N6thrust23THRUST_200600_302600_NS6detail15normal_iteratorINS9_10device_ptrIiEEEENSB_INSC_IxEEEESG_xNS9_4plusIvEENS9_8equal_toIvEExEE10hipError_tPvRmT2_T3_T4_T5_mT6_T7_P12ihipStream_tbENKUlT_T0_E_clISt17integral_constantIbLb1EES10_IbLb0EEEEDaSW_SX_EUlSW_E_NS1_11comp_targetILNS1_3genE0ELNS1_11target_archE4294967295ELNS1_3gpuE0ELNS1_3repE0EEENS1_30default_config_static_selectorELNS0_4arch9wavefront6targetE0EEEvT1_: ; @_ZN7rocprim17ROCPRIM_400000_NS6detail17trampoline_kernelINS0_14default_configENS1_27scan_by_key_config_selectorIixEEZZNS1_16scan_by_key_implILNS1_25lookback_scan_determinismE0ELb0ES3_N6thrust23THRUST_200600_302600_NS6detail15normal_iteratorINS9_10device_ptrIiEEEENSB_INSC_IxEEEESG_xNS9_4plusIvEENS9_8equal_toIvEExEE10hipError_tPvRmT2_T3_T4_T5_mT6_T7_P12ihipStream_tbENKUlT_T0_E_clISt17integral_constantIbLb1EES10_IbLb0EEEEDaSW_SX_EUlSW_E_NS1_11comp_targetILNS1_3genE0ELNS1_11target_archE4294967295ELNS1_3gpuE0ELNS1_3repE0EEENS1_30default_config_static_selectorELNS0_4arch9wavefront6targetE0EEEvT1_
; %bb.0:
	.section	.rodata,"a",@progbits
	.p2align	6, 0x0
	.amdhsa_kernel _ZN7rocprim17ROCPRIM_400000_NS6detail17trampoline_kernelINS0_14default_configENS1_27scan_by_key_config_selectorIixEEZZNS1_16scan_by_key_implILNS1_25lookback_scan_determinismE0ELb0ES3_N6thrust23THRUST_200600_302600_NS6detail15normal_iteratorINS9_10device_ptrIiEEEENSB_INSC_IxEEEESG_xNS9_4plusIvEENS9_8equal_toIvEExEE10hipError_tPvRmT2_T3_T4_T5_mT6_T7_P12ihipStream_tbENKUlT_T0_E_clISt17integral_constantIbLb1EES10_IbLb0EEEEDaSW_SX_EUlSW_E_NS1_11comp_targetILNS1_3genE0ELNS1_11target_archE4294967295ELNS1_3gpuE0ELNS1_3repE0EEENS1_30default_config_static_selectorELNS0_4arch9wavefront6targetE0EEEvT1_
		.amdhsa_group_segment_fixed_size 0
		.amdhsa_private_segment_fixed_size 0
		.amdhsa_kernarg_size 136
		.amdhsa_user_sgpr_count 6
		.amdhsa_user_sgpr_private_segment_buffer 1
		.amdhsa_user_sgpr_dispatch_ptr 0
		.amdhsa_user_sgpr_queue_ptr 0
		.amdhsa_user_sgpr_kernarg_segment_ptr 1
		.amdhsa_user_sgpr_dispatch_id 0
		.amdhsa_user_sgpr_flat_scratch_init 0
		.amdhsa_user_sgpr_private_segment_size 0
		.amdhsa_wavefront_size32 1
		.amdhsa_uses_dynamic_stack 0
		.amdhsa_system_sgpr_private_segment_wavefront_offset 0
		.amdhsa_system_sgpr_workgroup_id_x 1
		.amdhsa_system_sgpr_workgroup_id_y 0
		.amdhsa_system_sgpr_workgroup_id_z 0
		.amdhsa_system_sgpr_workgroup_info 0
		.amdhsa_system_vgpr_workitem_id 0
		.amdhsa_next_free_vgpr 1
		.amdhsa_next_free_sgpr 1
		.amdhsa_reserve_vcc 0
		.amdhsa_reserve_flat_scratch 0
		.amdhsa_float_round_mode_32 0
		.amdhsa_float_round_mode_16_64 0
		.amdhsa_float_denorm_mode_32 3
		.amdhsa_float_denorm_mode_16_64 3
		.amdhsa_dx10_clamp 1
		.amdhsa_ieee_mode 1
		.amdhsa_fp16_overflow 0
		.amdhsa_workgroup_processor_mode 1
		.amdhsa_memory_ordered 1
		.amdhsa_forward_progress 1
		.amdhsa_shared_vgpr_count 0
		.amdhsa_exception_fp_ieee_invalid_op 0
		.amdhsa_exception_fp_denorm_src 0
		.amdhsa_exception_fp_ieee_div_zero 0
		.amdhsa_exception_fp_ieee_overflow 0
		.amdhsa_exception_fp_ieee_underflow 0
		.amdhsa_exception_fp_ieee_inexact 0
		.amdhsa_exception_int_div_zero 0
	.end_amdhsa_kernel
	.section	.text._ZN7rocprim17ROCPRIM_400000_NS6detail17trampoline_kernelINS0_14default_configENS1_27scan_by_key_config_selectorIixEEZZNS1_16scan_by_key_implILNS1_25lookback_scan_determinismE0ELb0ES3_N6thrust23THRUST_200600_302600_NS6detail15normal_iteratorINS9_10device_ptrIiEEEENSB_INSC_IxEEEESG_xNS9_4plusIvEENS9_8equal_toIvEExEE10hipError_tPvRmT2_T3_T4_T5_mT6_T7_P12ihipStream_tbENKUlT_T0_E_clISt17integral_constantIbLb1EES10_IbLb0EEEEDaSW_SX_EUlSW_E_NS1_11comp_targetILNS1_3genE0ELNS1_11target_archE4294967295ELNS1_3gpuE0ELNS1_3repE0EEENS1_30default_config_static_selectorELNS0_4arch9wavefront6targetE0EEEvT1_,"axG",@progbits,_ZN7rocprim17ROCPRIM_400000_NS6detail17trampoline_kernelINS0_14default_configENS1_27scan_by_key_config_selectorIixEEZZNS1_16scan_by_key_implILNS1_25lookback_scan_determinismE0ELb0ES3_N6thrust23THRUST_200600_302600_NS6detail15normal_iteratorINS9_10device_ptrIiEEEENSB_INSC_IxEEEESG_xNS9_4plusIvEENS9_8equal_toIvEExEE10hipError_tPvRmT2_T3_T4_T5_mT6_T7_P12ihipStream_tbENKUlT_T0_E_clISt17integral_constantIbLb1EES10_IbLb0EEEEDaSW_SX_EUlSW_E_NS1_11comp_targetILNS1_3genE0ELNS1_11target_archE4294967295ELNS1_3gpuE0ELNS1_3repE0EEENS1_30default_config_static_selectorELNS0_4arch9wavefront6targetE0EEEvT1_,comdat
.Lfunc_end1331:
	.size	_ZN7rocprim17ROCPRIM_400000_NS6detail17trampoline_kernelINS0_14default_configENS1_27scan_by_key_config_selectorIixEEZZNS1_16scan_by_key_implILNS1_25lookback_scan_determinismE0ELb0ES3_N6thrust23THRUST_200600_302600_NS6detail15normal_iteratorINS9_10device_ptrIiEEEENSB_INSC_IxEEEESG_xNS9_4plusIvEENS9_8equal_toIvEExEE10hipError_tPvRmT2_T3_T4_T5_mT6_T7_P12ihipStream_tbENKUlT_T0_E_clISt17integral_constantIbLb1EES10_IbLb0EEEEDaSW_SX_EUlSW_E_NS1_11comp_targetILNS1_3genE0ELNS1_11target_archE4294967295ELNS1_3gpuE0ELNS1_3repE0EEENS1_30default_config_static_selectorELNS0_4arch9wavefront6targetE0EEEvT1_, .Lfunc_end1331-_ZN7rocprim17ROCPRIM_400000_NS6detail17trampoline_kernelINS0_14default_configENS1_27scan_by_key_config_selectorIixEEZZNS1_16scan_by_key_implILNS1_25lookback_scan_determinismE0ELb0ES3_N6thrust23THRUST_200600_302600_NS6detail15normal_iteratorINS9_10device_ptrIiEEEENSB_INSC_IxEEEESG_xNS9_4plusIvEENS9_8equal_toIvEExEE10hipError_tPvRmT2_T3_T4_T5_mT6_T7_P12ihipStream_tbENKUlT_T0_E_clISt17integral_constantIbLb1EES10_IbLb0EEEEDaSW_SX_EUlSW_E_NS1_11comp_targetILNS1_3genE0ELNS1_11target_archE4294967295ELNS1_3gpuE0ELNS1_3repE0EEENS1_30default_config_static_selectorELNS0_4arch9wavefront6targetE0EEEvT1_
                                        ; -- End function
	.set _ZN7rocprim17ROCPRIM_400000_NS6detail17trampoline_kernelINS0_14default_configENS1_27scan_by_key_config_selectorIixEEZZNS1_16scan_by_key_implILNS1_25lookback_scan_determinismE0ELb0ES3_N6thrust23THRUST_200600_302600_NS6detail15normal_iteratorINS9_10device_ptrIiEEEENSB_INSC_IxEEEESG_xNS9_4plusIvEENS9_8equal_toIvEExEE10hipError_tPvRmT2_T3_T4_T5_mT6_T7_P12ihipStream_tbENKUlT_T0_E_clISt17integral_constantIbLb1EES10_IbLb0EEEEDaSW_SX_EUlSW_E_NS1_11comp_targetILNS1_3genE0ELNS1_11target_archE4294967295ELNS1_3gpuE0ELNS1_3repE0EEENS1_30default_config_static_selectorELNS0_4arch9wavefront6targetE0EEEvT1_.num_vgpr, 0
	.set _ZN7rocprim17ROCPRIM_400000_NS6detail17trampoline_kernelINS0_14default_configENS1_27scan_by_key_config_selectorIixEEZZNS1_16scan_by_key_implILNS1_25lookback_scan_determinismE0ELb0ES3_N6thrust23THRUST_200600_302600_NS6detail15normal_iteratorINS9_10device_ptrIiEEEENSB_INSC_IxEEEESG_xNS9_4plusIvEENS9_8equal_toIvEExEE10hipError_tPvRmT2_T3_T4_T5_mT6_T7_P12ihipStream_tbENKUlT_T0_E_clISt17integral_constantIbLb1EES10_IbLb0EEEEDaSW_SX_EUlSW_E_NS1_11comp_targetILNS1_3genE0ELNS1_11target_archE4294967295ELNS1_3gpuE0ELNS1_3repE0EEENS1_30default_config_static_selectorELNS0_4arch9wavefront6targetE0EEEvT1_.num_agpr, 0
	.set _ZN7rocprim17ROCPRIM_400000_NS6detail17trampoline_kernelINS0_14default_configENS1_27scan_by_key_config_selectorIixEEZZNS1_16scan_by_key_implILNS1_25lookback_scan_determinismE0ELb0ES3_N6thrust23THRUST_200600_302600_NS6detail15normal_iteratorINS9_10device_ptrIiEEEENSB_INSC_IxEEEESG_xNS9_4plusIvEENS9_8equal_toIvEExEE10hipError_tPvRmT2_T3_T4_T5_mT6_T7_P12ihipStream_tbENKUlT_T0_E_clISt17integral_constantIbLb1EES10_IbLb0EEEEDaSW_SX_EUlSW_E_NS1_11comp_targetILNS1_3genE0ELNS1_11target_archE4294967295ELNS1_3gpuE0ELNS1_3repE0EEENS1_30default_config_static_selectorELNS0_4arch9wavefront6targetE0EEEvT1_.numbered_sgpr, 0
	.set _ZN7rocprim17ROCPRIM_400000_NS6detail17trampoline_kernelINS0_14default_configENS1_27scan_by_key_config_selectorIixEEZZNS1_16scan_by_key_implILNS1_25lookback_scan_determinismE0ELb0ES3_N6thrust23THRUST_200600_302600_NS6detail15normal_iteratorINS9_10device_ptrIiEEEENSB_INSC_IxEEEESG_xNS9_4plusIvEENS9_8equal_toIvEExEE10hipError_tPvRmT2_T3_T4_T5_mT6_T7_P12ihipStream_tbENKUlT_T0_E_clISt17integral_constantIbLb1EES10_IbLb0EEEEDaSW_SX_EUlSW_E_NS1_11comp_targetILNS1_3genE0ELNS1_11target_archE4294967295ELNS1_3gpuE0ELNS1_3repE0EEENS1_30default_config_static_selectorELNS0_4arch9wavefront6targetE0EEEvT1_.num_named_barrier, 0
	.set _ZN7rocprim17ROCPRIM_400000_NS6detail17trampoline_kernelINS0_14default_configENS1_27scan_by_key_config_selectorIixEEZZNS1_16scan_by_key_implILNS1_25lookback_scan_determinismE0ELb0ES3_N6thrust23THRUST_200600_302600_NS6detail15normal_iteratorINS9_10device_ptrIiEEEENSB_INSC_IxEEEESG_xNS9_4plusIvEENS9_8equal_toIvEExEE10hipError_tPvRmT2_T3_T4_T5_mT6_T7_P12ihipStream_tbENKUlT_T0_E_clISt17integral_constantIbLb1EES10_IbLb0EEEEDaSW_SX_EUlSW_E_NS1_11comp_targetILNS1_3genE0ELNS1_11target_archE4294967295ELNS1_3gpuE0ELNS1_3repE0EEENS1_30default_config_static_selectorELNS0_4arch9wavefront6targetE0EEEvT1_.private_seg_size, 0
	.set _ZN7rocprim17ROCPRIM_400000_NS6detail17trampoline_kernelINS0_14default_configENS1_27scan_by_key_config_selectorIixEEZZNS1_16scan_by_key_implILNS1_25lookback_scan_determinismE0ELb0ES3_N6thrust23THRUST_200600_302600_NS6detail15normal_iteratorINS9_10device_ptrIiEEEENSB_INSC_IxEEEESG_xNS9_4plusIvEENS9_8equal_toIvEExEE10hipError_tPvRmT2_T3_T4_T5_mT6_T7_P12ihipStream_tbENKUlT_T0_E_clISt17integral_constantIbLb1EES10_IbLb0EEEEDaSW_SX_EUlSW_E_NS1_11comp_targetILNS1_3genE0ELNS1_11target_archE4294967295ELNS1_3gpuE0ELNS1_3repE0EEENS1_30default_config_static_selectorELNS0_4arch9wavefront6targetE0EEEvT1_.uses_vcc, 0
	.set _ZN7rocprim17ROCPRIM_400000_NS6detail17trampoline_kernelINS0_14default_configENS1_27scan_by_key_config_selectorIixEEZZNS1_16scan_by_key_implILNS1_25lookback_scan_determinismE0ELb0ES3_N6thrust23THRUST_200600_302600_NS6detail15normal_iteratorINS9_10device_ptrIiEEEENSB_INSC_IxEEEESG_xNS9_4plusIvEENS9_8equal_toIvEExEE10hipError_tPvRmT2_T3_T4_T5_mT6_T7_P12ihipStream_tbENKUlT_T0_E_clISt17integral_constantIbLb1EES10_IbLb0EEEEDaSW_SX_EUlSW_E_NS1_11comp_targetILNS1_3genE0ELNS1_11target_archE4294967295ELNS1_3gpuE0ELNS1_3repE0EEENS1_30default_config_static_selectorELNS0_4arch9wavefront6targetE0EEEvT1_.uses_flat_scratch, 0
	.set _ZN7rocprim17ROCPRIM_400000_NS6detail17trampoline_kernelINS0_14default_configENS1_27scan_by_key_config_selectorIixEEZZNS1_16scan_by_key_implILNS1_25lookback_scan_determinismE0ELb0ES3_N6thrust23THRUST_200600_302600_NS6detail15normal_iteratorINS9_10device_ptrIiEEEENSB_INSC_IxEEEESG_xNS9_4plusIvEENS9_8equal_toIvEExEE10hipError_tPvRmT2_T3_T4_T5_mT6_T7_P12ihipStream_tbENKUlT_T0_E_clISt17integral_constantIbLb1EES10_IbLb0EEEEDaSW_SX_EUlSW_E_NS1_11comp_targetILNS1_3genE0ELNS1_11target_archE4294967295ELNS1_3gpuE0ELNS1_3repE0EEENS1_30default_config_static_selectorELNS0_4arch9wavefront6targetE0EEEvT1_.has_dyn_sized_stack, 0
	.set _ZN7rocprim17ROCPRIM_400000_NS6detail17trampoline_kernelINS0_14default_configENS1_27scan_by_key_config_selectorIixEEZZNS1_16scan_by_key_implILNS1_25lookback_scan_determinismE0ELb0ES3_N6thrust23THRUST_200600_302600_NS6detail15normal_iteratorINS9_10device_ptrIiEEEENSB_INSC_IxEEEESG_xNS9_4plusIvEENS9_8equal_toIvEExEE10hipError_tPvRmT2_T3_T4_T5_mT6_T7_P12ihipStream_tbENKUlT_T0_E_clISt17integral_constantIbLb1EES10_IbLb0EEEEDaSW_SX_EUlSW_E_NS1_11comp_targetILNS1_3genE0ELNS1_11target_archE4294967295ELNS1_3gpuE0ELNS1_3repE0EEENS1_30default_config_static_selectorELNS0_4arch9wavefront6targetE0EEEvT1_.has_recursion, 0
	.set _ZN7rocprim17ROCPRIM_400000_NS6detail17trampoline_kernelINS0_14default_configENS1_27scan_by_key_config_selectorIixEEZZNS1_16scan_by_key_implILNS1_25lookback_scan_determinismE0ELb0ES3_N6thrust23THRUST_200600_302600_NS6detail15normal_iteratorINS9_10device_ptrIiEEEENSB_INSC_IxEEEESG_xNS9_4plusIvEENS9_8equal_toIvEExEE10hipError_tPvRmT2_T3_T4_T5_mT6_T7_P12ihipStream_tbENKUlT_T0_E_clISt17integral_constantIbLb1EES10_IbLb0EEEEDaSW_SX_EUlSW_E_NS1_11comp_targetILNS1_3genE0ELNS1_11target_archE4294967295ELNS1_3gpuE0ELNS1_3repE0EEENS1_30default_config_static_selectorELNS0_4arch9wavefront6targetE0EEEvT1_.has_indirect_call, 0
	.section	.AMDGPU.csdata,"",@progbits
; Kernel info:
; codeLenInByte = 0
; TotalNumSgprs: 0
; NumVgprs: 0
; ScratchSize: 0
; MemoryBound: 0
; FloatMode: 240
; IeeeMode: 1
; LDSByteSize: 0 bytes/workgroup (compile time only)
; SGPRBlocks: 0
; VGPRBlocks: 0
; NumSGPRsForWavesPerEU: 1
; NumVGPRsForWavesPerEU: 1
; Occupancy: 16
; WaveLimiterHint : 0
; COMPUTE_PGM_RSRC2:SCRATCH_EN: 0
; COMPUTE_PGM_RSRC2:USER_SGPR: 6
; COMPUTE_PGM_RSRC2:TRAP_HANDLER: 0
; COMPUTE_PGM_RSRC2:TGID_X_EN: 1
; COMPUTE_PGM_RSRC2:TGID_Y_EN: 0
; COMPUTE_PGM_RSRC2:TGID_Z_EN: 0
; COMPUTE_PGM_RSRC2:TIDIG_COMP_CNT: 0
	.section	.text._ZN7rocprim17ROCPRIM_400000_NS6detail17trampoline_kernelINS0_14default_configENS1_27scan_by_key_config_selectorIixEEZZNS1_16scan_by_key_implILNS1_25lookback_scan_determinismE0ELb0ES3_N6thrust23THRUST_200600_302600_NS6detail15normal_iteratorINS9_10device_ptrIiEEEENSB_INSC_IxEEEESG_xNS9_4plusIvEENS9_8equal_toIvEExEE10hipError_tPvRmT2_T3_T4_T5_mT6_T7_P12ihipStream_tbENKUlT_T0_E_clISt17integral_constantIbLb1EES10_IbLb0EEEEDaSW_SX_EUlSW_E_NS1_11comp_targetILNS1_3genE10ELNS1_11target_archE1201ELNS1_3gpuE5ELNS1_3repE0EEENS1_30default_config_static_selectorELNS0_4arch9wavefront6targetE0EEEvT1_,"axG",@progbits,_ZN7rocprim17ROCPRIM_400000_NS6detail17trampoline_kernelINS0_14default_configENS1_27scan_by_key_config_selectorIixEEZZNS1_16scan_by_key_implILNS1_25lookback_scan_determinismE0ELb0ES3_N6thrust23THRUST_200600_302600_NS6detail15normal_iteratorINS9_10device_ptrIiEEEENSB_INSC_IxEEEESG_xNS9_4plusIvEENS9_8equal_toIvEExEE10hipError_tPvRmT2_T3_T4_T5_mT6_T7_P12ihipStream_tbENKUlT_T0_E_clISt17integral_constantIbLb1EES10_IbLb0EEEEDaSW_SX_EUlSW_E_NS1_11comp_targetILNS1_3genE10ELNS1_11target_archE1201ELNS1_3gpuE5ELNS1_3repE0EEENS1_30default_config_static_selectorELNS0_4arch9wavefront6targetE0EEEvT1_,comdat
	.protected	_ZN7rocprim17ROCPRIM_400000_NS6detail17trampoline_kernelINS0_14default_configENS1_27scan_by_key_config_selectorIixEEZZNS1_16scan_by_key_implILNS1_25lookback_scan_determinismE0ELb0ES3_N6thrust23THRUST_200600_302600_NS6detail15normal_iteratorINS9_10device_ptrIiEEEENSB_INSC_IxEEEESG_xNS9_4plusIvEENS9_8equal_toIvEExEE10hipError_tPvRmT2_T3_T4_T5_mT6_T7_P12ihipStream_tbENKUlT_T0_E_clISt17integral_constantIbLb1EES10_IbLb0EEEEDaSW_SX_EUlSW_E_NS1_11comp_targetILNS1_3genE10ELNS1_11target_archE1201ELNS1_3gpuE5ELNS1_3repE0EEENS1_30default_config_static_selectorELNS0_4arch9wavefront6targetE0EEEvT1_ ; -- Begin function _ZN7rocprim17ROCPRIM_400000_NS6detail17trampoline_kernelINS0_14default_configENS1_27scan_by_key_config_selectorIixEEZZNS1_16scan_by_key_implILNS1_25lookback_scan_determinismE0ELb0ES3_N6thrust23THRUST_200600_302600_NS6detail15normal_iteratorINS9_10device_ptrIiEEEENSB_INSC_IxEEEESG_xNS9_4plusIvEENS9_8equal_toIvEExEE10hipError_tPvRmT2_T3_T4_T5_mT6_T7_P12ihipStream_tbENKUlT_T0_E_clISt17integral_constantIbLb1EES10_IbLb0EEEEDaSW_SX_EUlSW_E_NS1_11comp_targetILNS1_3genE10ELNS1_11target_archE1201ELNS1_3gpuE5ELNS1_3repE0EEENS1_30default_config_static_selectorELNS0_4arch9wavefront6targetE0EEEvT1_
	.globl	_ZN7rocprim17ROCPRIM_400000_NS6detail17trampoline_kernelINS0_14default_configENS1_27scan_by_key_config_selectorIixEEZZNS1_16scan_by_key_implILNS1_25lookback_scan_determinismE0ELb0ES3_N6thrust23THRUST_200600_302600_NS6detail15normal_iteratorINS9_10device_ptrIiEEEENSB_INSC_IxEEEESG_xNS9_4plusIvEENS9_8equal_toIvEExEE10hipError_tPvRmT2_T3_T4_T5_mT6_T7_P12ihipStream_tbENKUlT_T0_E_clISt17integral_constantIbLb1EES10_IbLb0EEEEDaSW_SX_EUlSW_E_NS1_11comp_targetILNS1_3genE10ELNS1_11target_archE1201ELNS1_3gpuE5ELNS1_3repE0EEENS1_30default_config_static_selectorELNS0_4arch9wavefront6targetE0EEEvT1_
	.p2align	8
	.type	_ZN7rocprim17ROCPRIM_400000_NS6detail17trampoline_kernelINS0_14default_configENS1_27scan_by_key_config_selectorIixEEZZNS1_16scan_by_key_implILNS1_25lookback_scan_determinismE0ELb0ES3_N6thrust23THRUST_200600_302600_NS6detail15normal_iteratorINS9_10device_ptrIiEEEENSB_INSC_IxEEEESG_xNS9_4plusIvEENS9_8equal_toIvEExEE10hipError_tPvRmT2_T3_T4_T5_mT6_T7_P12ihipStream_tbENKUlT_T0_E_clISt17integral_constantIbLb1EES10_IbLb0EEEEDaSW_SX_EUlSW_E_NS1_11comp_targetILNS1_3genE10ELNS1_11target_archE1201ELNS1_3gpuE5ELNS1_3repE0EEENS1_30default_config_static_selectorELNS0_4arch9wavefront6targetE0EEEvT1_,@function
_ZN7rocprim17ROCPRIM_400000_NS6detail17trampoline_kernelINS0_14default_configENS1_27scan_by_key_config_selectorIixEEZZNS1_16scan_by_key_implILNS1_25lookback_scan_determinismE0ELb0ES3_N6thrust23THRUST_200600_302600_NS6detail15normal_iteratorINS9_10device_ptrIiEEEENSB_INSC_IxEEEESG_xNS9_4plusIvEENS9_8equal_toIvEExEE10hipError_tPvRmT2_T3_T4_T5_mT6_T7_P12ihipStream_tbENKUlT_T0_E_clISt17integral_constantIbLb1EES10_IbLb0EEEEDaSW_SX_EUlSW_E_NS1_11comp_targetILNS1_3genE10ELNS1_11target_archE1201ELNS1_3gpuE5ELNS1_3repE0EEENS1_30default_config_static_selectorELNS0_4arch9wavefront6targetE0EEEvT1_: ; @_ZN7rocprim17ROCPRIM_400000_NS6detail17trampoline_kernelINS0_14default_configENS1_27scan_by_key_config_selectorIixEEZZNS1_16scan_by_key_implILNS1_25lookback_scan_determinismE0ELb0ES3_N6thrust23THRUST_200600_302600_NS6detail15normal_iteratorINS9_10device_ptrIiEEEENSB_INSC_IxEEEESG_xNS9_4plusIvEENS9_8equal_toIvEExEE10hipError_tPvRmT2_T3_T4_T5_mT6_T7_P12ihipStream_tbENKUlT_T0_E_clISt17integral_constantIbLb1EES10_IbLb0EEEEDaSW_SX_EUlSW_E_NS1_11comp_targetILNS1_3genE10ELNS1_11target_archE1201ELNS1_3gpuE5ELNS1_3repE0EEENS1_30default_config_static_selectorELNS0_4arch9wavefront6targetE0EEEvT1_
; %bb.0:
	.section	.rodata,"a",@progbits
	.p2align	6, 0x0
	.amdhsa_kernel _ZN7rocprim17ROCPRIM_400000_NS6detail17trampoline_kernelINS0_14default_configENS1_27scan_by_key_config_selectorIixEEZZNS1_16scan_by_key_implILNS1_25lookback_scan_determinismE0ELb0ES3_N6thrust23THRUST_200600_302600_NS6detail15normal_iteratorINS9_10device_ptrIiEEEENSB_INSC_IxEEEESG_xNS9_4plusIvEENS9_8equal_toIvEExEE10hipError_tPvRmT2_T3_T4_T5_mT6_T7_P12ihipStream_tbENKUlT_T0_E_clISt17integral_constantIbLb1EES10_IbLb0EEEEDaSW_SX_EUlSW_E_NS1_11comp_targetILNS1_3genE10ELNS1_11target_archE1201ELNS1_3gpuE5ELNS1_3repE0EEENS1_30default_config_static_selectorELNS0_4arch9wavefront6targetE0EEEvT1_
		.amdhsa_group_segment_fixed_size 0
		.amdhsa_private_segment_fixed_size 0
		.amdhsa_kernarg_size 136
		.amdhsa_user_sgpr_count 6
		.amdhsa_user_sgpr_private_segment_buffer 1
		.amdhsa_user_sgpr_dispatch_ptr 0
		.amdhsa_user_sgpr_queue_ptr 0
		.amdhsa_user_sgpr_kernarg_segment_ptr 1
		.amdhsa_user_sgpr_dispatch_id 0
		.amdhsa_user_sgpr_flat_scratch_init 0
		.amdhsa_user_sgpr_private_segment_size 0
		.amdhsa_wavefront_size32 1
		.amdhsa_uses_dynamic_stack 0
		.amdhsa_system_sgpr_private_segment_wavefront_offset 0
		.amdhsa_system_sgpr_workgroup_id_x 1
		.amdhsa_system_sgpr_workgroup_id_y 0
		.amdhsa_system_sgpr_workgroup_id_z 0
		.amdhsa_system_sgpr_workgroup_info 0
		.amdhsa_system_vgpr_workitem_id 0
		.amdhsa_next_free_vgpr 1
		.amdhsa_next_free_sgpr 1
		.amdhsa_reserve_vcc 0
		.amdhsa_reserve_flat_scratch 0
		.amdhsa_float_round_mode_32 0
		.amdhsa_float_round_mode_16_64 0
		.amdhsa_float_denorm_mode_32 3
		.amdhsa_float_denorm_mode_16_64 3
		.amdhsa_dx10_clamp 1
		.amdhsa_ieee_mode 1
		.amdhsa_fp16_overflow 0
		.amdhsa_workgroup_processor_mode 1
		.amdhsa_memory_ordered 1
		.amdhsa_forward_progress 1
		.amdhsa_shared_vgpr_count 0
		.amdhsa_exception_fp_ieee_invalid_op 0
		.amdhsa_exception_fp_denorm_src 0
		.amdhsa_exception_fp_ieee_div_zero 0
		.amdhsa_exception_fp_ieee_overflow 0
		.amdhsa_exception_fp_ieee_underflow 0
		.amdhsa_exception_fp_ieee_inexact 0
		.amdhsa_exception_int_div_zero 0
	.end_amdhsa_kernel
	.section	.text._ZN7rocprim17ROCPRIM_400000_NS6detail17trampoline_kernelINS0_14default_configENS1_27scan_by_key_config_selectorIixEEZZNS1_16scan_by_key_implILNS1_25lookback_scan_determinismE0ELb0ES3_N6thrust23THRUST_200600_302600_NS6detail15normal_iteratorINS9_10device_ptrIiEEEENSB_INSC_IxEEEESG_xNS9_4plusIvEENS9_8equal_toIvEExEE10hipError_tPvRmT2_T3_T4_T5_mT6_T7_P12ihipStream_tbENKUlT_T0_E_clISt17integral_constantIbLb1EES10_IbLb0EEEEDaSW_SX_EUlSW_E_NS1_11comp_targetILNS1_3genE10ELNS1_11target_archE1201ELNS1_3gpuE5ELNS1_3repE0EEENS1_30default_config_static_selectorELNS0_4arch9wavefront6targetE0EEEvT1_,"axG",@progbits,_ZN7rocprim17ROCPRIM_400000_NS6detail17trampoline_kernelINS0_14default_configENS1_27scan_by_key_config_selectorIixEEZZNS1_16scan_by_key_implILNS1_25lookback_scan_determinismE0ELb0ES3_N6thrust23THRUST_200600_302600_NS6detail15normal_iteratorINS9_10device_ptrIiEEEENSB_INSC_IxEEEESG_xNS9_4plusIvEENS9_8equal_toIvEExEE10hipError_tPvRmT2_T3_T4_T5_mT6_T7_P12ihipStream_tbENKUlT_T0_E_clISt17integral_constantIbLb1EES10_IbLb0EEEEDaSW_SX_EUlSW_E_NS1_11comp_targetILNS1_3genE10ELNS1_11target_archE1201ELNS1_3gpuE5ELNS1_3repE0EEENS1_30default_config_static_selectorELNS0_4arch9wavefront6targetE0EEEvT1_,comdat
.Lfunc_end1332:
	.size	_ZN7rocprim17ROCPRIM_400000_NS6detail17trampoline_kernelINS0_14default_configENS1_27scan_by_key_config_selectorIixEEZZNS1_16scan_by_key_implILNS1_25lookback_scan_determinismE0ELb0ES3_N6thrust23THRUST_200600_302600_NS6detail15normal_iteratorINS9_10device_ptrIiEEEENSB_INSC_IxEEEESG_xNS9_4plusIvEENS9_8equal_toIvEExEE10hipError_tPvRmT2_T3_T4_T5_mT6_T7_P12ihipStream_tbENKUlT_T0_E_clISt17integral_constantIbLb1EES10_IbLb0EEEEDaSW_SX_EUlSW_E_NS1_11comp_targetILNS1_3genE10ELNS1_11target_archE1201ELNS1_3gpuE5ELNS1_3repE0EEENS1_30default_config_static_selectorELNS0_4arch9wavefront6targetE0EEEvT1_, .Lfunc_end1332-_ZN7rocprim17ROCPRIM_400000_NS6detail17trampoline_kernelINS0_14default_configENS1_27scan_by_key_config_selectorIixEEZZNS1_16scan_by_key_implILNS1_25lookback_scan_determinismE0ELb0ES3_N6thrust23THRUST_200600_302600_NS6detail15normal_iteratorINS9_10device_ptrIiEEEENSB_INSC_IxEEEESG_xNS9_4plusIvEENS9_8equal_toIvEExEE10hipError_tPvRmT2_T3_T4_T5_mT6_T7_P12ihipStream_tbENKUlT_T0_E_clISt17integral_constantIbLb1EES10_IbLb0EEEEDaSW_SX_EUlSW_E_NS1_11comp_targetILNS1_3genE10ELNS1_11target_archE1201ELNS1_3gpuE5ELNS1_3repE0EEENS1_30default_config_static_selectorELNS0_4arch9wavefront6targetE0EEEvT1_
                                        ; -- End function
	.set _ZN7rocprim17ROCPRIM_400000_NS6detail17trampoline_kernelINS0_14default_configENS1_27scan_by_key_config_selectorIixEEZZNS1_16scan_by_key_implILNS1_25lookback_scan_determinismE0ELb0ES3_N6thrust23THRUST_200600_302600_NS6detail15normal_iteratorINS9_10device_ptrIiEEEENSB_INSC_IxEEEESG_xNS9_4plusIvEENS9_8equal_toIvEExEE10hipError_tPvRmT2_T3_T4_T5_mT6_T7_P12ihipStream_tbENKUlT_T0_E_clISt17integral_constantIbLb1EES10_IbLb0EEEEDaSW_SX_EUlSW_E_NS1_11comp_targetILNS1_3genE10ELNS1_11target_archE1201ELNS1_3gpuE5ELNS1_3repE0EEENS1_30default_config_static_selectorELNS0_4arch9wavefront6targetE0EEEvT1_.num_vgpr, 0
	.set _ZN7rocprim17ROCPRIM_400000_NS6detail17trampoline_kernelINS0_14default_configENS1_27scan_by_key_config_selectorIixEEZZNS1_16scan_by_key_implILNS1_25lookback_scan_determinismE0ELb0ES3_N6thrust23THRUST_200600_302600_NS6detail15normal_iteratorINS9_10device_ptrIiEEEENSB_INSC_IxEEEESG_xNS9_4plusIvEENS9_8equal_toIvEExEE10hipError_tPvRmT2_T3_T4_T5_mT6_T7_P12ihipStream_tbENKUlT_T0_E_clISt17integral_constantIbLb1EES10_IbLb0EEEEDaSW_SX_EUlSW_E_NS1_11comp_targetILNS1_3genE10ELNS1_11target_archE1201ELNS1_3gpuE5ELNS1_3repE0EEENS1_30default_config_static_selectorELNS0_4arch9wavefront6targetE0EEEvT1_.num_agpr, 0
	.set _ZN7rocprim17ROCPRIM_400000_NS6detail17trampoline_kernelINS0_14default_configENS1_27scan_by_key_config_selectorIixEEZZNS1_16scan_by_key_implILNS1_25lookback_scan_determinismE0ELb0ES3_N6thrust23THRUST_200600_302600_NS6detail15normal_iteratorINS9_10device_ptrIiEEEENSB_INSC_IxEEEESG_xNS9_4plusIvEENS9_8equal_toIvEExEE10hipError_tPvRmT2_T3_T4_T5_mT6_T7_P12ihipStream_tbENKUlT_T0_E_clISt17integral_constantIbLb1EES10_IbLb0EEEEDaSW_SX_EUlSW_E_NS1_11comp_targetILNS1_3genE10ELNS1_11target_archE1201ELNS1_3gpuE5ELNS1_3repE0EEENS1_30default_config_static_selectorELNS0_4arch9wavefront6targetE0EEEvT1_.numbered_sgpr, 0
	.set _ZN7rocprim17ROCPRIM_400000_NS6detail17trampoline_kernelINS0_14default_configENS1_27scan_by_key_config_selectorIixEEZZNS1_16scan_by_key_implILNS1_25lookback_scan_determinismE0ELb0ES3_N6thrust23THRUST_200600_302600_NS6detail15normal_iteratorINS9_10device_ptrIiEEEENSB_INSC_IxEEEESG_xNS9_4plusIvEENS9_8equal_toIvEExEE10hipError_tPvRmT2_T3_T4_T5_mT6_T7_P12ihipStream_tbENKUlT_T0_E_clISt17integral_constantIbLb1EES10_IbLb0EEEEDaSW_SX_EUlSW_E_NS1_11comp_targetILNS1_3genE10ELNS1_11target_archE1201ELNS1_3gpuE5ELNS1_3repE0EEENS1_30default_config_static_selectorELNS0_4arch9wavefront6targetE0EEEvT1_.num_named_barrier, 0
	.set _ZN7rocprim17ROCPRIM_400000_NS6detail17trampoline_kernelINS0_14default_configENS1_27scan_by_key_config_selectorIixEEZZNS1_16scan_by_key_implILNS1_25lookback_scan_determinismE0ELb0ES3_N6thrust23THRUST_200600_302600_NS6detail15normal_iteratorINS9_10device_ptrIiEEEENSB_INSC_IxEEEESG_xNS9_4plusIvEENS9_8equal_toIvEExEE10hipError_tPvRmT2_T3_T4_T5_mT6_T7_P12ihipStream_tbENKUlT_T0_E_clISt17integral_constantIbLb1EES10_IbLb0EEEEDaSW_SX_EUlSW_E_NS1_11comp_targetILNS1_3genE10ELNS1_11target_archE1201ELNS1_3gpuE5ELNS1_3repE0EEENS1_30default_config_static_selectorELNS0_4arch9wavefront6targetE0EEEvT1_.private_seg_size, 0
	.set _ZN7rocprim17ROCPRIM_400000_NS6detail17trampoline_kernelINS0_14default_configENS1_27scan_by_key_config_selectorIixEEZZNS1_16scan_by_key_implILNS1_25lookback_scan_determinismE0ELb0ES3_N6thrust23THRUST_200600_302600_NS6detail15normal_iteratorINS9_10device_ptrIiEEEENSB_INSC_IxEEEESG_xNS9_4plusIvEENS9_8equal_toIvEExEE10hipError_tPvRmT2_T3_T4_T5_mT6_T7_P12ihipStream_tbENKUlT_T0_E_clISt17integral_constantIbLb1EES10_IbLb0EEEEDaSW_SX_EUlSW_E_NS1_11comp_targetILNS1_3genE10ELNS1_11target_archE1201ELNS1_3gpuE5ELNS1_3repE0EEENS1_30default_config_static_selectorELNS0_4arch9wavefront6targetE0EEEvT1_.uses_vcc, 0
	.set _ZN7rocprim17ROCPRIM_400000_NS6detail17trampoline_kernelINS0_14default_configENS1_27scan_by_key_config_selectorIixEEZZNS1_16scan_by_key_implILNS1_25lookback_scan_determinismE0ELb0ES3_N6thrust23THRUST_200600_302600_NS6detail15normal_iteratorINS9_10device_ptrIiEEEENSB_INSC_IxEEEESG_xNS9_4plusIvEENS9_8equal_toIvEExEE10hipError_tPvRmT2_T3_T4_T5_mT6_T7_P12ihipStream_tbENKUlT_T0_E_clISt17integral_constantIbLb1EES10_IbLb0EEEEDaSW_SX_EUlSW_E_NS1_11comp_targetILNS1_3genE10ELNS1_11target_archE1201ELNS1_3gpuE5ELNS1_3repE0EEENS1_30default_config_static_selectorELNS0_4arch9wavefront6targetE0EEEvT1_.uses_flat_scratch, 0
	.set _ZN7rocprim17ROCPRIM_400000_NS6detail17trampoline_kernelINS0_14default_configENS1_27scan_by_key_config_selectorIixEEZZNS1_16scan_by_key_implILNS1_25lookback_scan_determinismE0ELb0ES3_N6thrust23THRUST_200600_302600_NS6detail15normal_iteratorINS9_10device_ptrIiEEEENSB_INSC_IxEEEESG_xNS9_4plusIvEENS9_8equal_toIvEExEE10hipError_tPvRmT2_T3_T4_T5_mT6_T7_P12ihipStream_tbENKUlT_T0_E_clISt17integral_constantIbLb1EES10_IbLb0EEEEDaSW_SX_EUlSW_E_NS1_11comp_targetILNS1_3genE10ELNS1_11target_archE1201ELNS1_3gpuE5ELNS1_3repE0EEENS1_30default_config_static_selectorELNS0_4arch9wavefront6targetE0EEEvT1_.has_dyn_sized_stack, 0
	.set _ZN7rocprim17ROCPRIM_400000_NS6detail17trampoline_kernelINS0_14default_configENS1_27scan_by_key_config_selectorIixEEZZNS1_16scan_by_key_implILNS1_25lookback_scan_determinismE0ELb0ES3_N6thrust23THRUST_200600_302600_NS6detail15normal_iteratorINS9_10device_ptrIiEEEENSB_INSC_IxEEEESG_xNS9_4plusIvEENS9_8equal_toIvEExEE10hipError_tPvRmT2_T3_T4_T5_mT6_T7_P12ihipStream_tbENKUlT_T0_E_clISt17integral_constantIbLb1EES10_IbLb0EEEEDaSW_SX_EUlSW_E_NS1_11comp_targetILNS1_3genE10ELNS1_11target_archE1201ELNS1_3gpuE5ELNS1_3repE0EEENS1_30default_config_static_selectorELNS0_4arch9wavefront6targetE0EEEvT1_.has_recursion, 0
	.set _ZN7rocprim17ROCPRIM_400000_NS6detail17trampoline_kernelINS0_14default_configENS1_27scan_by_key_config_selectorIixEEZZNS1_16scan_by_key_implILNS1_25lookback_scan_determinismE0ELb0ES3_N6thrust23THRUST_200600_302600_NS6detail15normal_iteratorINS9_10device_ptrIiEEEENSB_INSC_IxEEEESG_xNS9_4plusIvEENS9_8equal_toIvEExEE10hipError_tPvRmT2_T3_T4_T5_mT6_T7_P12ihipStream_tbENKUlT_T0_E_clISt17integral_constantIbLb1EES10_IbLb0EEEEDaSW_SX_EUlSW_E_NS1_11comp_targetILNS1_3genE10ELNS1_11target_archE1201ELNS1_3gpuE5ELNS1_3repE0EEENS1_30default_config_static_selectorELNS0_4arch9wavefront6targetE0EEEvT1_.has_indirect_call, 0
	.section	.AMDGPU.csdata,"",@progbits
; Kernel info:
; codeLenInByte = 0
; TotalNumSgprs: 0
; NumVgprs: 0
; ScratchSize: 0
; MemoryBound: 0
; FloatMode: 240
; IeeeMode: 1
; LDSByteSize: 0 bytes/workgroup (compile time only)
; SGPRBlocks: 0
; VGPRBlocks: 0
; NumSGPRsForWavesPerEU: 1
; NumVGPRsForWavesPerEU: 1
; Occupancy: 16
; WaveLimiterHint : 0
; COMPUTE_PGM_RSRC2:SCRATCH_EN: 0
; COMPUTE_PGM_RSRC2:USER_SGPR: 6
; COMPUTE_PGM_RSRC2:TRAP_HANDLER: 0
; COMPUTE_PGM_RSRC2:TGID_X_EN: 1
; COMPUTE_PGM_RSRC2:TGID_Y_EN: 0
; COMPUTE_PGM_RSRC2:TGID_Z_EN: 0
; COMPUTE_PGM_RSRC2:TIDIG_COMP_CNT: 0
	.section	.text._ZN7rocprim17ROCPRIM_400000_NS6detail17trampoline_kernelINS0_14default_configENS1_27scan_by_key_config_selectorIixEEZZNS1_16scan_by_key_implILNS1_25lookback_scan_determinismE0ELb0ES3_N6thrust23THRUST_200600_302600_NS6detail15normal_iteratorINS9_10device_ptrIiEEEENSB_INSC_IxEEEESG_xNS9_4plusIvEENS9_8equal_toIvEExEE10hipError_tPvRmT2_T3_T4_T5_mT6_T7_P12ihipStream_tbENKUlT_T0_E_clISt17integral_constantIbLb1EES10_IbLb0EEEEDaSW_SX_EUlSW_E_NS1_11comp_targetILNS1_3genE5ELNS1_11target_archE942ELNS1_3gpuE9ELNS1_3repE0EEENS1_30default_config_static_selectorELNS0_4arch9wavefront6targetE0EEEvT1_,"axG",@progbits,_ZN7rocprim17ROCPRIM_400000_NS6detail17trampoline_kernelINS0_14default_configENS1_27scan_by_key_config_selectorIixEEZZNS1_16scan_by_key_implILNS1_25lookback_scan_determinismE0ELb0ES3_N6thrust23THRUST_200600_302600_NS6detail15normal_iteratorINS9_10device_ptrIiEEEENSB_INSC_IxEEEESG_xNS9_4plusIvEENS9_8equal_toIvEExEE10hipError_tPvRmT2_T3_T4_T5_mT6_T7_P12ihipStream_tbENKUlT_T0_E_clISt17integral_constantIbLb1EES10_IbLb0EEEEDaSW_SX_EUlSW_E_NS1_11comp_targetILNS1_3genE5ELNS1_11target_archE942ELNS1_3gpuE9ELNS1_3repE0EEENS1_30default_config_static_selectorELNS0_4arch9wavefront6targetE0EEEvT1_,comdat
	.protected	_ZN7rocprim17ROCPRIM_400000_NS6detail17trampoline_kernelINS0_14default_configENS1_27scan_by_key_config_selectorIixEEZZNS1_16scan_by_key_implILNS1_25lookback_scan_determinismE0ELb0ES3_N6thrust23THRUST_200600_302600_NS6detail15normal_iteratorINS9_10device_ptrIiEEEENSB_INSC_IxEEEESG_xNS9_4plusIvEENS9_8equal_toIvEExEE10hipError_tPvRmT2_T3_T4_T5_mT6_T7_P12ihipStream_tbENKUlT_T0_E_clISt17integral_constantIbLb1EES10_IbLb0EEEEDaSW_SX_EUlSW_E_NS1_11comp_targetILNS1_3genE5ELNS1_11target_archE942ELNS1_3gpuE9ELNS1_3repE0EEENS1_30default_config_static_selectorELNS0_4arch9wavefront6targetE0EEEvT1_ ; -- Begin function _ZN7rocprim17ROCPRIM_400000_NS6detail17trampoline_kernelINS0_14default_configENS1_27scan_by_key_config_selectorIixEEZZNS1_16scan_by_key_implILNS1_25lookback_scan_determinismE0ELb0ES3_N6thrust23THRUST_200600_302600_NS6detail15normal_iteratorINS9_10device_ptrIiEEEENSB_INSC_IxEEEESG_xNS9_4plusIvEENS9_8equal_toIvEExEE10hipError_tPvRmT2_T3_T4_T5_mT6_T7_P12ihipStream_tbENKUlT_T0_E_clISt17integral_constantIbLb1EES10_IbLb0EEEEDaSW_SX_EUlSW_E_NS1_11comp_targetILNS1_3genE5ELNS1_11target_archE942ELNS1_3gpuE9ELNS1_3repE0EEENS1_30default_config_static_selectorELNS0_4arch9wavefront6targetE0EEEvT1_
	.globl	_ZN7rocprim17ROCPRIM_400000_NS6detail17trampoline_kernelINS0_14default_configENS1_27scan_by_key_config_selectorIixEEZZNS1_16scan_by_key_implILNS1_25lookback_scan_determinismE0ELb0ES3_N6thrust23THRUST_200600_302600_NS6detail15normal_iteratorINS9_10device_ptrIiEEEENSB_INSC_IxEEEESG_xNS9_4plusIvEENS9_8equal_toIvEExEE10hipError_tPvRmT2_T3_T4_T5_mT6_T7_P12ihipStream_tbENKUlT_T0_E_clISt17integral_constantIbLb1EES10_IbLb0EEEEDaSW_SX_EUlSW_E_NS1_11comp_targetILNS1_3genE5ELNS1_11target_archE942ELNS1_3gpuE9ELNS1_3repE0EEENS1_30default_config_static_selectorELNS0_4arch9wavefront6targetE0EEEvT1_
	.p2align	8
	.type	_ZN7rocprim17ROCPRIM_400000_NS6detail17trampoline_kernelINS0_14default_configENS1_27scan_by_key_config_selectorIixEEZZNS1_16scan_by_key_implILNS1_25lookback_scan_determinismE0ELb0ES3_N6thrust23THRUST_200600_302600_NS6detail15normal_iteratorINS9_10device_ptrIiEEEENSB_INSC_IxEEEESG_xNS9_4plusIvEENS9_8equal_toIvEExEE10hipError_tPvRmT2_T3_T4_T5_mT6_T7_P12ihipStream_tbENKUlT_T0_E_clISt17integral_constantIbLb1EES10_IbLb0EEEEDaSW_SX_EUlSW_E_NS1_11comp_targetILNS1_3genE5ELNS1_11target_archE942ELNS1_3gpuE9ELNS1_3repE0EEENS1_30default_config_static_selectorELNS0_4arch9wavefront6targetE0EEEvT1_,@function
_ZN7rocprim17ROCPRIM_400000_NS6detail17trampoline_kernelINS0_14default_configENS1_27scan_by_key_config_selectorIixEEZZNS1_16scan_by_key_implILNS1_25lookback_scan_determinismE0ELb0ES3_N6thrust23THRUST_200600_302600_NS6detail15normal_iteratorINS9_10device_ptrIiEEEENSB_INSC_IxEEEESG_xNS9_4plusIvEENS9_8equal_toIvEExEE10hipError_tPvRmT2_T3_T4_T5_mT6_T7_P12ihipStream_tbENKUlT_T0_E_clISt17integral_constantIbLb1EES10_IbLb0EEEEDaSW_SX_EUlSW_E_NS1_11comp_targetILNS1_3genE5ELNS1_11target_archE942ELNS1_3gpuE9ELNS1_3repE0EEENS1_30default_config_static_selectorELNS0_4arch9wavefront6targetE0EEEvT1_: ; @_ZN7rocprim17ROCPRIM_400000_NS6detail17trampoline_kernelINS0_14default_configENS1_27scan_by_key_config_selectorIixEEZZNS1_16scan_by_key_implILNS1_25lookback_scan_determinismE0ELb0ES3_N6thrust23THRUST_200600_302600_NS6detail15normal_iteratorINS9_10device_ptrIiEEEENSB_INSC_IxEEEESG_xNS9_4plusIvEENS9_8equal_toIvEExEE10hipError_tPvRmT2_T3_T4_T5_mT6_T7_P12ihipStream_tbENKUlT_T0_E_clISt17integral_constantIbLb1EES10_IbLb0EEEEDaSW_SX_EUlSW_E_NS1_11comp_targetILNS1_3genE5ELNS1_11target_archE942ELNS1_3gpuE9ELNS1_3repE0EEENS1_30default_config_static_selectorELNS0_4arch9wavefront6targetE0EEEvT1_
; %bb.0:
	.section	.rodata,"a",@progbits
	.p2align	6, 0x0
	.amdhsa_kernel _ZN7rocprim17ROCPRIM_400000_NS6detail17trampoline_kernelINS0_14default_configENS1_27scan_by_key_config_selectorIixEEZZNS1_16scan_by_key_implILNS1_25lookback_scan_determinismE0ELb0ES3_N6thrust23THRUST_200600_302600_NS6detail15normal_iteratorINS9_10device_ptrIiEEEENSB_INSC_IxEEEESG_xNS9_4plusIvEENS9_8equal_toIvEExEE10hipError_tPvRmT2_T3_T4_T5_mT6_T7_P12ihipStream_tbENKUlT_T0_E_clISt17integral_constantIbLb1EES10_IbLb0EEEEDaSW_SX_EUlSW_E_NS1_11comp_targetILNS1_3genE5ELNS1_11target_archE942ELNS1_3gpuE9ELNS1_3repE0EEENS1_30default_config_static_selectorELNS0_4arch9wavefront6targetE0EEEvT1_
		.amdhsa_group_segment_fixed_size 0
		.amdhsa_private_segment_fixed_size 0
		.amdhsa_kernarg_size 136
		.amdhsa_user_sgpr_count 6
		.amdhsa_user_sgpr_private_segment_buffer 1
		.amdhsa_user_sgpr_dispatch_ptr 0
		.amdhsa_user_sgpr_queue_ptr 0
		.amdhsa_user_sgpr_kernarg_segment_ptr 1
		.amdhsa_user_sgpr_dispatch_id 0
		.amdhsa_user_sgpr_flat_scratch_init 0
		.amdhsa_user_sgpr_private_segment_size 0
		.amdhsa_wavefront_size32 1
		.amdhsa_uses_dynamic_stack 0
		.amdhsa_system_sgpr_private_segment_wavefront_offset 0
		.amdhsa_system_sgpr_workgroup_id_x 1
		.amdhsa_system_sgpr_workgroup_id_y 0
		.amdhsa_system_sgpr_workgroup_id_z 0
		.amdhsa_system_sgpr_workgroup_info 0
		.amdhsa_system_vgpr_workitem_id 0
		.amdhsa_next_free_vgpr 1
		.amdhsa_next_free_sgpr 1
		.amdhsa_reserve_vcc 0
		.amdhsa_reserve_flat_scratch 0
		.amdhsa_float_round_mode_32 0
		.amdhsa_float_round_mode_16_64 0
		.amdhsa_float_denorm_mode_32 3
		.amdhsa_float_denorm_mode_16_64 3
		.amdhsa_dx10_clamp 1
		.amdhsa_ieee_mode 1
		.amdhsa_fp16_overflow 0
		.amdhsa_workgroup_processor_mode 1
		.amdhsa_memory_ordered 1
		.amdhsa_forward_progress 1
		.amdhsa_shared_vgpr_count 0
		.amdhsa_exception_fp_ieee_invalid_op 0
		.amdhsa_exception_fp_denorm_src 0
		.amdhsa_exception_fp_ieee_div_zero 0
		.amdhsa_exception_fp_ieee_overflow 0
		.amdhsa_exception_fp_ieee_underflow 0
		.amdhsa_exception_fp_ieee_inexact 0
		.amdhsa_exception_int_div_zero 0
	.end_amdhsa_kernel
	.section	.text._ZN7rocprim17ROCPRIM_400000_NS6detail17trampoline_kernelINS0_14default_configENS1_27scan_by_key_config_selectorIixEEZZNS1_16scan_by_key_implILNS1_25lookback_scan_determinismE0ELb0ES3_N6thrust23THRUST_200600_302600_NS6detail15normal_iteratorINS9_10device_ptrIiEEEENSB_INSC_IxEEEESG_xNS9_4plusIvEENS9_8equal_toIvEExEE10hipError_tPvRmT2_T3_T4_T5_mT6_T7_P12ihipStream_tbENKUlT_T0_E_clISt17integral_constantIbLb1EES10_IbLb0EEEEDaSW_SX_EUlSW_E_NS1_11comp_targetILNS1_3genE5ELNS1_11target_archE942ELNS1_3gpuE9ELNS1_3repE0EEENS1_30default_config_static_selectorELNS0_4arch9wavefront6targetE0EEEvT1_,"axG",@progbits,_ZN7rocprim17ROCPRIM_400000_NS6detail17trampoline_kernelINS0_14default_configENS1_27scan_by_key_config_selectorIixEEZZNS1_16scan_by_key_implILNS1_25lookback_scan_determinismE0ELb0ES3_N6thrust23THRUST_200600_302600_NS6detail15normal_iteratorINS9_10device_ptrIiEEEENSB_INSC_IxEEEESG_xNS9_4plusIvEENS9_8equal_toIvEExEE10hipError_tPvRmT2_T3_T4_T5_mT6_T7_P12ihipStream_tbENKUlT_T0_E_clISt17integral_constantIbLb1EES10_IbLb0EEEEDaSW_SX_EUlSW_E_NS1_11comp_targetILNS1_3genE5ELNS1_11target_archE942ELNS1_3gpuE9ELNS1_3repE0EEENS1_30default_config_static_selectorELNS0_4arch9wavefront6targetE0EEEvT1_,comdat
.Lfunc_end1333:
	.size	_ZN7rocprim17ROCPRIM_400000_NS6detail17trampoline_kernelINS0_14default_configENS1_27scan_by_key_config_selectorIixEEZZNS1_16scan_by_key_implILNS1_25lookback_scan_determinismE0ELb0ES3_N6thrust23THRUST_200600_302600_NS6detail15normal_iteratorINS9_10device_ptrIiEEEENSB_INSC_IxEEEESG_xNS9_4plusIvEENS9_8equal_toIvEExEE10hipError_tPvRmT2_T3_T4_T5_mT6_T7_P12ihipStream_tbENKUlT_T0_E_clISt17integral_constantIbLb1EES10_IbLb0EEEEDaSW_SX_EUlSW_E_NS1_11comp_targetILNS1_3genE5ELNS1_11target_archE942ELNS1_3gpuE9ELNS1_3repE0EEENS1_30default_config_static_selectorELNS0_4arch9wavefront6targetE0EEEvT1_, .Lfunc_end1333-_ZN7rocprim17ROCPRIM_400000_NS6detail17trampoline_kernelINS0_14default_configENS1_27scan_by_key_config_selectorIixEEZZNS1_16scan_by_key_implILNS1_25lookback_scan_determinismE0ELb0ES3_N6thrust23THRUST_200600_302600_NS6detail15normal_iteratorINS9_10device_ptrIiEEEENSB_INSC_IxEEEESG_xNS9_4plusIvEENS9_8equal_toIvEExEE10hipError_tPvRmT2_T3_T4_T5_mT6_T7_P12ihipStream_tbENKUlT_T0_E_clISt17integral_constantIbLb1EES10_IbLb0EEEEDaSW_SX_EUlSW_E_NS1_11comp_targetILNS1_3genE5ELNS1_11target_archE942ELNS1_3gpuE9ELNS1_3repE0EEENS1_30default_config_static_selectorELNS0_4arch9wavefront6targetE0EEEvT1_
                                        ; -- End function
	.set _ZN7rocprim17ROCPRIM_400000_NS6detail17trampoline_kernelINS0_14default_configENS1_27scan_by_key_config_selectorIixEEZZNS1_16scan_by_key_implILNS1_25lookback_scan_determinismE0ELb0ES3_N6thrust23THRUST_200600_302600_NS6detail15normal_iteratorINS9_10device_ptrIiEEEENSB_INSC_IxEEEESG_xNS9_4plusIvEENS9_8equal_toIvEExEE10hipError_tPvRmT2_T3_T4_T5_mT6_T7_P12ihipStream_tbENKUlT_T0_E_clISt17integral_constantIbLb1EES10_IbLb0EEEEDaSW_SX_EUlSW_E_NS1_11comp_targetILNS1_3genE5ELNS1_11target_archE942ELNS1_3gpuE9ELNS1_3repE0EEENS1_30default_config_static_selectorELNS0_4arch9wavefront6targetE0EEEvT1_.num_vgpr, 0
	.set _ZN7rocprim17ROCPRIM_400000_NS6detail17trampoline_kernelINS0_14default_configENS1_27scan_by_key_config_selectorIixEEZZNS1_16scan_by_key_implILNS1_25lookback_scan_determinismE0ELb0ES3_N6thrust23THRUST_200600_302600_NS6detail15normal_iteratorINS9_10device_ptrIiEEEENSB_INSC_IxEEEESG_xNS9_4plusIvEENS9_8equal_toIvEExEE10hipError_tPvRmT2_T3_T4_T5_mT6_T7_P12ihipStream_tbENKUlT_T0_E_clISt17integral_constantIbLb1EES10_IbLb0EEEEDaSW_SX_EUlSW_E_NS1_11comp_targetILNS1_3genE5ELNS1_11target_archE942ELNS1_3gpuE9ELNS1_3repE0EEENS1_30default_config_static_selectorELNS0_4arch9wavefront6targetE0EEEvT1_.num_agpr, 0
	.set _ZN7rocprim17ROCPRIM_400000_NS6detail17trampoline_kernelINS0_14default_configENS1_27scan_by_key_config_selectorIixEEZZNS1_16scan_by_key_implILNS1_25lookback_scan_determinismE0ELb0ES3_N6thrust23THRUST_200600_302600_NS6detail15normal_iteratorINS9_10device_ptrIiEEEENSB_INSC_IxEEEESG_xNS9_4plusIvEENS9_8equal_toIvEExEE10hipError_tPvRmT2_T3_T4_T5_mT6_T7_P12ihipStream_tbENKUlT_T0_E_clISt17integral_constantIbLb1EES10_IbLb0EEEEDaSW_SX_EUlSW_E_NS1_11comp_targetILNS1_3genE5ELNS1_11target_archE942ELNS1_3gpuE9ELNS1_3repE0EEENS1_30default_config_static_selectorELNS0_4arch9wavefront6targetE0EEEvT1_.numbered_sgpr, 0
	.set _ZN7rocprim17ROCPRIM_400000_NS6detail17trampoline_kernelINS0_14default_configENS1_27scan_by_key_config_selectorIixEEZZNS1_16scan_by_key_implILNS1_25lookback_scan_determinismE0ELb0ES3_N6thrust23THRUST_200600_302600_NS6detail15normal_iteratorINS9_10device_ptrIiEEEENSB_INSC_IxEEEESG_xNS9_4plusIvEENS9_8equal_toIvEExEE10hipError_tPvRmT2_T3_T4_T5_mT6_T7_P12ihipStream_tbENKUlT_T0_E_clISt17integral_constantIbLb1EES10_IbLb0EEEEDaSW_SX_EUlSW_E_NS1_11comp_targetILNS1_3genE5ELNS1_11target_archE942ELNS1_3gpuE9ELNS1_3repE0EEENS1_30default_config_static_selectorELNS0_4arch9wavefront6targetE0EEEvT1_.num_named_barrier, 0
	.set _ZN7rocprim17ROCPRIM_400000_NS6detail17trampoline_kernelINS0_14default_configENS1_27scan_by_key_config_selectorIixEEZZNS1_16scan_by_key_implILNS1_25lookback_scan_determinismE0ELb0ES3_N6thrust23THRUST_200600_302600_NS6detail15normal_iteratorINS9_10device_ptrIiEEEENSB_INSC_IxEEEESG_xNS9_4plusIvEENS9_8equal_toIvEExEE10hipError_tPvRmT2_T3_T4_T5_mT6_T7_P12ihipStream_tbENKUlT_T0_E_clISt17integral_constantIbLb1EES10_IbLb0EEEEDaSW_SX_EUlSW_E_NS1_11comp_targetILNS1_3genE5ELNS1_11target_archE942ELNS1_3gpuE9ELNS1_3repE0EEENS1_30default_config_static_selectorELNS0_4arch9wavefront6targetE0EEEvT1_.private_seg_size, 0
	.set _ZN7rocprim17ROCPRIM_400000_NS6detail17trampoline_kernelINS0_14default_configENS1_27scan_by_key_config_selectorIixEEZZNS1_16scan_by_key_implILNS1_25lookback_scan_determinismE0ELb0ES3_N6thrust23THRUST_200600_302600_NS6detail15normal_iteratorINS9_10device_ptrIiEEEENSB_INSC_IxEEEESG_xNS9_4plusIvEENS9_8equal_toIvEExEE10hipError_tPvRmT2_T3_T4_T5_mT6_T7_P12ihipStream_tbENKUlT_T0_E_clISt17integral_constantIbLb1EES10_IbLb0EEEEDaSW_SX_EUlSW_E_NS1_11comp_targetILNS1_3genE5ELNS1_11target_archE942ELNS1_3gpuE9ELNS1_3repE0EEENS1_30default_config_static_selectorELNS0_4arch9wavefront6targetE0EEEvT1_.uses_vcc, 0
	.set _ZN7rocprim17ROCPRIM_400000_NS6detail17trampoline_kernelINS0_14default_configENS1_27scan_by_key_config_selectorIixEEZZNS1_16scan_by_key_implILNS1_25lookback_scan_determinismE0ELb0ES3_N6thrust23THRUST_200600_302600_NS6detail15normal_iteratorINS9_10device_ptrIiEEEENSB_INSC_IxEEEESG_xNS9_4plusIvEENS9_8equal_toIvEExEE10hipError_tPvRmT2_T3_T4_T5_mT6_T7_P12ihipStream_tbENKUlT_T0_E_clISt17integral_constantIbLb1EES10_IbLb0EEEEDaSW_SX_EUlSW_E_NS1_11comp_targetILNS1_3genE5ELNS1_11target_archE942ELNS1_3gpuE9ELNS1_3repE0EEENS1_30default_config_static_selectorELNS0_4arch9wavefront6targetE0EEEvT1_.uses_flat_scratch, 0
	.set _ZN7rocprim17ROCPRIM_400000_NS6detail17trampoline_kernelINS0_14default_configENS1_27scan_by_key_config_selectorIixEEZZNS1_16scan_by_key_implILNS1_25lookback_scan_determinismE0ELb0ES3_N6thrust23THRUST_200600_302600_NS6detail15normal_iteratorINS9_10device_ptrIiEEEENSB_INSC_IxEEEESG_xNS9_4plusIvEENS9_8equal_toIvEExEE10hipError_tPvRmT2_T3_T4_T5_mT6_T7_P12ihipStream_tbENKUlT_T0_E_clISt17integral_constantIbLb1EES10_IbLb0EEEEDaSW_SX_EUlSW_E_NS1_11comp_targetILNS1_3genE5ELNS1_11target_archE942ELNS1_3gpuE9ELNS1_3repE0EEENS1_30default_config_static_selectorELNS0_4arch9wavefront6targetE0EEEvT1_.has_dyn_sized_stack, 0
	.set _ZN7rocprim17ROCPRIM_400000_NS6detail17trampoline_kernelINS0_14default_configENS1_27scan_by_key_config_selectorIixEEZZNS1_16scan_by_key_implILNS1_25lookback_scan_determinismE0ELb0ES3_N6thrust23THRUST_200600_302600_NS6detail15normal_iteratorINS9_10device_ptrIiEEEENSB_INSC_IxEEEESG_xNS9_4plusIvEENS9_8equal_toIvEExEE10hipError_tPvRmT2_T3_T4_T5_mT6_T7_P12ihipStream_tbENKUlT_T0_E_clISt17integral_constantIbLb1EES10_IbLb0EEEEDaSW_SX_EUlSW_E_NS1_11comp_targetILNS1_3genE5ELNS1_11target_archE942ELNS1_3gpuE9ELNS1_3repE0EEENS1_30default_config_static_selectorELNS0_4arch9wavefront6targetE0EEEvT1_.has_recursion, 0
	.set _ZN7rocprim17ROCPRIM_400000_NS6detail17trampoline_kernelINS0_14default_configENS1_27scan_by_key_config_selectorIixEEZZNS1_16scan_by_key_implILNS1_25lookback_scan_determinismE0ELb0ES3_N6thrust23THRUST_200600_302600_NS6detail15normal_iteratorINS9_10device_ptrIiEEEENSB_INSC_IxEEEESG_xNS9_4plusIvEENS9_8equal_toIvEExEE10hipError_tPvRmT2_T3_T4_T5_mT6_T7_P12ihipStream_tbENKUlT_T0_E_clISt17integral_constantIbLb1EES10_IbLb0EEEEDaSW_SX_EUlSW_E_NS1_11comp_targetILNS1_3genE5ELNS1_11target_archE942ELNS1_3gpuE9ELNS1_3repE0EEENS1_30default_config_static_selectorELNS0_4arch9wavefront6targetE0EEEvT1_.has_indirect_call, 0
	.section	.AMDGPU.csdata,"",@progbits
; Kernel info:
; codeLenInByte = 0
; TotalNumSgprs: 0
; NumVgprs: 0
; ScratchSize: 0
; MemoryBound: 0
; FloatMode: 240
; IeeeMode: 1
; LDSByteSize: 0 bytes/workgroup (compile time only)
; SGPRBlocks: 0
; VGPRBlocks: 0
; NumSGPRsForWavesPerEU: 1
; NumVGPRsForWavesPerEU: 1
; Occupancy: 16
; WaveLimiterHint : 0
; COMPUTE_PGM_RSRC2:SCRATCH_EN: 0
; COMPUTE_PGM_RSRC2:USER_SGPR: 6
; COMPUTE_PGM_RSRC2:TRAP_HANDLER: 0
; COMPUTE_PGM_RSRC2:TGID_X_EN: 1
; COMPUTE_PGM_RSRC2:TGID_Y_EN: 0
; COMPUTE_PGM_RSRC2:TGID_Z_EN: 0
; COMPUTE_PGM_RSRC2:TIDIG_COMP_CNT: 0
	.section	.text._ZN7rocprim17ROCPRIM_400000_NS6detail17trampoline_kernelINS0_14default_configENS1_27scan_by_key_config_selectorIixEEZZNS1_16scan_by_key_implILNS1_25lookback_scan_determinismE0ELb0ES3_N6thrust23THRUST_200600_302600_NS6detail15normal_iteratorINS9_10device_ptrIiEEEENSB_INSC_IxEEEESG_xNS9_4plusIvEENS9_8equal_toIvEExEE10hipError_tPvRmT2_T3_T4_T5_mT6_T7_P12ihipStream_tbENKUlT_T0_E_clISt17integral_constantIbLb1EES10_IbLb0EEEEDaSW_SX_EUlSW_E_NS1_11comp_targetILNS1_3genE4ELNS1_11target_archE910ELNS1_3gpuE8ELNS1_3repE0EEENS1_30default_config_static_selectorELNS0_4arch9wavefront6targetE0EEEvT1_,"axG",@progbits,_ZN7rocprim17ROCPRIM_400000_NS6detail17trampoline_kernelINS0_14default_configENS1_27scan_by_key_config_selectorIixEEZZNS1_16scan_by_key_implILNS1_25lookback_scan_determinismE0ELb0ES3_N6thrust23THRUST_200600_302600_NS6detail15normal_iteratorINS9_10device_ptrIiEEEENSB_INSC_IxEEEESG_xNS9_4plusIvEENS9_8equal_toIvEExEE10hipError_tPvRmT2_T3_T4_T5_mT6_T7_P12ihipStream_tbENKUlT_T0_E_clISt17integral_constantIbLb1EES10_IbLb0EEEEDaSW_SX_EUlSW_E_NS1_11comp_targetILNS1_3genE4ELNS1_11target_archE910ELNS1_3gpuE8ELNS1_3repE0EEENS1_30default_config_static_selectorELNS0_4arch9wavefront6targetE0EEEvT1_,comdat
	.protected	_ZN7rocprim17ROCPRIM_400000_NS6detail17trampoline_kernelINS0_14default_configENS1_27scan_by_key_config_selectorIixEEZZNS1_16scan_by_key_implILNS1_25lookback_scan_determinismE0ELb0ES3_N6thrust23THRUST_200600_302600_NS6detail15normal_iteratorINS9_10device_ptrIiEEEENSB_INSC_IxEEEESG_xNS9_4plusIvEENS9_8equal_toIvEExEE10hipError_tPvRmT2_T3_T4_T5_mT6_T7_P12ihipStream_tbENKUlT_T0_E_clISt17integral_constantIbLb1EES10_IbLb0EEEEDaSW_SX_EUlSW_E_NS1_11comp_targetILNS1_3genE4ELNS1_11target_archE910ELNS1_3gpuE8ELNS1_3repE0EEENS1_30default_config_static_selectorELNS0_4arch9wavefront6targetE0EEEvT1_ ; -- Begin function _ZN7rocprim17ROCPRIM_400000_NS6detail17trampoline_kernelINS0_14default_configENS1_27scan_by_key_config_selectorIixEEZZNS1_16scan_by_key_implILNS1_25lookback_scan_determinismE0ELb0ES3_N6thrust23THRUST_200600_302600_NS6detail15normal_iteratorINS9_10device_ptrIiEEEENSB_INSC_IxEEEESG_xNS9_4plusIvEENS9_8equal_toIvEExEE10hipError_tPvRmT2_T3_T4_T5_mT6_T7_P12ihipStream_tbENKUlT_T0_E_clISt17integral_constantIbLb1EES10_IbLb0EEEEDaSW_SX_EUlSW_E_NS1_11comp_targetILNS1_3genE4ELNS1_11target_archE910ELNS1_3gpuE8ELNS1_3repE0EEENS1_30default_config_static_selectorELNS0_4arch9wavefront6targetE0EEEvT1_
	.globl	_ZN7rocprim17ROCPRIM_400000_NS6detail17trampoline_kernelINS0_14default_configENS1_27scan_by_key_config_selectorIixEEZZNS1_16scan_by_key_implILNS1_25lookback_scan_determinismE0ELb0ES3_N6thrust23THRUST_200600_302600_NS6detail15normal_iteratorINS9_10device_ptrIiEEEENSB_INSC_IxEEEESG_xNS9_4plusIvEENS9_8equal_toIvEExEE10hipError_tPvRmT2_T3_T4_T5_mT6_T7_P12ihipStream_tbENKUlT_T0_E_clISt17integral_constantIbLb1EES10_IbLb0EEEEDaSW_SX_EUlSW_E_NS1_11comp_targetILNS1_3genE4ELNS1_11target_archE910ELNS1_3gpuE8ELNS1_3repE0EEENS1_30default_config_static_selectorELNS0_4arch9wavefront6targetE0EEEvT1_
	.p2align	8
	.type	_ZN7rocprim17ROCPRIM_400000_NS6detail17trampoline_kernelINS0_14default_configENS1_27scan_by_key_config_selectorIixEEZZNS1_16scan_by_key_implILNS1_25lookback_scan_determinismE0ELb0ES3_N6thrust23THRUST_200600_302600_NS6detail15normal_iteratorINS9_10device_ptrIiEEEENSB_INSC_IxEEEESG_xNS9_4plusIvEENS9_8equal_toIvEExEE10hipError_tPvRmT2_T3_T4_T5_mT6_T7_P12ihipStream_tbENKUlT_T0_E_clISt17integral_constantIbLb1EES10_IbLb0EEEEDaSW_SX_EUlSW_E_NS1_11comp_targetILNS1_3genE4ELNS1_11target_archE910ELNS1_3gpuE8ELNS1_3repE0EEENS1_30default_config_static_selectorELNS0_4arch9wavefront6targetE0EEEvT1_,@function
_ZN7rocprim17ROCPRIM_400000_NS6detail17trampoline_kernelINS0_14default_configENS1_27scan_by_key_config_selectorIixEEZZNS1_16scan_by_key_implILNS1_25lookback_scan_determinismE0ELb0ES3_N6thrust23THRUST_200600_302600_NS6detail15normal_iteratorINS9_10device_ptrIiEEEENSB_INSC_IxEEEESG_xNS9_4plusIvEENS9_8equal_toIvEExEE10hipError_tPvRmT2_T3_T4_T5_mT6_T7_P12ihipStream_tbENKUlT_T0_E_clISt17integral_constantIbLb1EES10_IbLb0EEEEDaSW_SX_EUlSW_E_NS1_11comp_targetILNS1_3genE4ELNS1_11target_archE910ELNS1_3gpuE8ELNS1_3repE0EEENS1_30default_config_static_selectorELNS0_4arch9wavefront6targetE0EEEvT1_: ; @_ZN7rocprim17ROCPRIM_400000_NS6detail17trampoline_kernelINS0_14default_configENS1_27scan_by_key_config_selectorIixEEZZNS1_16scan_by_key_implILNS1_25lookback_scan_determinismE0ELb0ES3_N6thrust23THRUST_200600_302600_NS6detail15normal_iteratorINS9_10device_ptrIiEEEENSB_INSC_IxEEEESG_xNS9_4plusIvEENS9_8equal_toIvEExEE10hipError_tPvRmT2_T3_T4_T5_mT6_T7_P12ihipStream_tbENKUlT_T0_E_clISt17integral_constantIbLb1EES10_IbLb0EEEEDaSW_SX_EUlSW_E_NS1_11comp_targetILNS1_3genE4ELNS1_11target_archE910ELNS1_3gpuE8ELNS1_3repE0EEENS1_30default_config_static_selectorELNS0_4arch9wavefront6targetE0EEEvT1_
; %bb.0:
	.section	.rodata,"a",@progbits
	.p2align	6, 0x0
	.amdhsa_kernel _ZN7rocprim17ROCPRIM_400000_NS6detail17trampoline_kernelINS0_14default_configENS1_27scan_by_key_config_selectorIixEEZZNS1_16scan_by_key_implILNS1_25lookback_scan_determinismE0ELb0ES3_N6thrust23THRUST_200600_302600_NS6detail15normal_iteratorINS9_10device_ptrIiEEEENSB_INSC_IxEEEESG_xNS9_4plusIvEENS9_8equal_toIvEExEE10hipError_tPvRmT2_T3_T4_T5_mT6_T7_P12ihipStream_tbENKUlT_T0_E_clISt17integral_constantIbLb1EES10_IbLb0EEEEDaSW_SX_EUlSW_E_NS1_11comp_targetILNS1_3genE4ELNS1_11target_archE910ELNS1_3gpuE8ELNS1_3repE0EEENS1_30default_config_static_selectorELNS0_4arch9wavefront6targetE0EEEvT1_
		.amdhsa_group_segment_fixed_size 0
		.amdhsa_private_segment_fixed_size 0
		.amdhsa_kernarg_size 136
		.amdhsa_user_sgpr_count 6
		.amdhsa_user_sgpr_private_segment_buffer 1
		.amdhsa_user_sgpr_dispatch_ptr 0
		.amdhsa_user_sgpr_queue_ptr 0
		.amdhsa_user_sgpr_kernarg_segment_ptr 1
		.amdhsa_user_sgpr_dispatch_id 0
		.amdhsa_user_sgpr_flat_scratch_init 0
		.amdhsa_user_sgpr_private_segment_size 0
		.amdhsa_wavefront_size32 1
		.amdhsa_uses_dynamic_stack 0
		.amdhsa_system_sgpr_private_segment_wavefront_offset 0
		.amdhsa_system_sgpr_workgroup_id_x 1
		.amdhsa_system_sgpr_workgroup_id_y 0
		.amdhsa_system_sgpr_workgroup_id_z 0
		.amdhsa_system_sgpr_workgroup_info 0
		.amdhsa_system_vgpr_workitem_id 0
		.amdhsa_next_free_vgpr 1
		.amdhsa_next_free_sgpr 1
		.amdhsa_reserve_vcc 0
		.amdhsa_reserve_flat_scratch 0
		.amdhsa_float_round_mode_32 0
		.amdhsa_float_round_mode_16_64 0
		.amdhsa_float_denorm_mode_32 3
		.amdhsa_float_denorm_mode_16_64 3
		.amdhsa_dx10_clamp 1
		.amdhsa_ieee_mode 1
		.amdhsa_fp16_overflow 0
		.amdhsa_workgroup_processor_mode 1
		.amdhsa_memory_ordered 1
		.amdhsa_forward_progress 1
		.amdhsa_shared_vgpr_count 0
		.amdhsa_exception_fp_ieee_invalid_op 0
		.amdhsa_exception_fp_denorm_src 0
		.amdhsa_exception_fp_ieee_div_zero 0
		.amdhsa_exception_fp_ieee_overflow 0
		.amdhsa_exception_fp_ieee_underflow 0
		.amdhsa_exception_fp_ieee_inexact 0
		.amdhsa_exception_int_div_zero 0
	.end_amdhsa_kernel
	.section	.text._ZN7rocprim17ROCPRIM_400000_NS6detail17trampoline_kernelINS0_14default_configENS1_27scan_by_key_config_selectorIixEEZZNS1_16scan_by_key_implILNS1_25lookback_scan_determinismE0ELb0ES3_N6thrust23THRUST_200600_302600_NS6detail15normal_iteratorINS9_10device_ptrIiEEEENSB_INSC_IxEEEESG_xNS9_4plusIvEENS9_8equal_toIvEExEE10hipError_tPvRmT2_T3_T4_T5_mT6_T7_P12ihipStream_tbENKUlT_T0_E_clISt17integral_constantIbLb1EES10_IbLb0EEEEDaSW_SX_EUlSW_E_NS1_11comp_targetILNS1_3genE4ELNS1_11target_archE910ELNS1_3gpuE8ELNS1_3repE0EEENS1_30default_config_static_selectorELNS0_4arch9wavefront6targetE0EEEvT1_,"axG",@progbits,_ZN7rocprim17ROCPRIM_400000_NS6detail17trampoline_kernelINS0_14default_configENS1_27scan_by_key_config_selectorIixEEZZNS1_16scan_by_key_implILNS1_25lookback_scan_determinismE0ELb0ES3_N6thrust23THRUST_200600_302600_NS6detail15normal_iteratorINS9_10device_ptrIiEEEENSB_INSC_IxEEEESG_xNS9_4plusIvEENS9_8equal_toIvEExEE10hipError_tPvRmT2_T3_T4_T5_mT6_T7_P12ihipStream_tbENKUlT_T0_E_clISt17integral_constantIbLb1EES10_IbLb0EEEEDaSW_SX_EUlSW_E_NS1_11comp_targetILNS1_3genE4ELNS1_11target_archE910ELNS1_3gpuE8ELNS1_3repE0EEENS1_30default_config_static_selectorELNS0_4arch9wavefront6targetE0EEEvT1_,comdat
.Lfunc_end1334:
	.size	_ZN7rocprim17ROCPRIM_400000_NS6detail17trampoline_kernelINS0_14default_configENS1_27scan_by_key_config_selectorIixEEZZNS1_16scan_by_key_implILNS1_25lookback_scan_determinismE0ELb0ES3_N6thrust23THRUST_200600_302600_NS6detail15normal_iteratorINS9_10device_ptrIiEEEENSB_INSC_IxEEEESG_xNS9_4plusIvEENS9_8equal_toIvEExEE10hipError_tPvRmT2_T3_T4_T5_mT6_T7_P12ihipStream_tbENKUlT_T0_E_clISt17integral_constantIbLb1EES10_IbLb0EEEEDaSW_SX_EUlSW_E_NS1_11comp_targetILNS1_3genE4ELNS1_11target_archE910ELNS1_3gpuE8ELNS1_3repE0EEENS1_30default_config_static_selectorELNS0_4arch9wavefront6targetE0EEEvT1_, .Lfunc_end1334-_ZN7rocprim17ROCPRIM_400000_NS6detail17trampoline_kernelINS0_14default_configENS1_27scan_by_key_config_selectorIixEEZZNS1_16scan_by_key_implILNS1_25lookback_scan_determinismE0ELb0ES3_N6thrust23THRUST_200600_302600_NS6detail15normal_iteratorINS9_10device_ptrIiEEEENSB_INSC_IxEEEESG_xNS9_4plusIvEENS9_8equal_toIvEExEE10hipError_tPvRmT2_T3_T4_T5_mT6_T7_P12ihipStream_tbENKUlT_T0_E_clISt17integral_constantIbLb1EES10_IbLb0EEEEDaSW_SX_EUlSW_E_NS1_11comp_targetILNS1_3genE4ELNS1_11target_archE910ELNS1_3gpuE8ELNS1_3repE0EEENS1_30default_config_static_selectorELNS0_4arch9wavefront6targetE0EEEvT1_
                                        ; -- End function
	.set _ZN7rocprim17ROCPRIM_400000_NS6detail17trampoline_kernelINS0_14default_configENS1_27scan_by_key_config_selectorIixEEZZNS1_16scan_by_key_implILNS1_25lookback_scan_determinismE0ELb0ES3_N6thrust23THRUST_200600_302600_NS6detail15normal_iteratorINS9_10device_ptrIiEEEENSB_INSC_IxEEEESG_xNS9_4plusIvEENS9_8equal_toIvEExEE10hipError_tPvRmT2_T3_T4_T5_mT6_T7_P12ihipStream_tbENKUlT_T0_E_clISt17integral_constantIbLb1EES10_IbLb0EEEEDaSW_SX_EUlSW_E_NS1_11comp_targetILNS1_3genE4ELNS1_11target_archE910ELNS1_3gpuE8ELNS1_3repE0EEENS1_30default_config_static_selectorELNS0_4arch9wavefront6targetE0EEEvT1_.num_vgpr, 0
	.set _ZN7rocprim17ROCPRIM_400000_NS6detail17trampoline_kernelINS0_14default_configENS1_27scan_by_key_config_selectorIixEEZZNS1_16scan_by_key_implILNS1_25lookback_scan_determinismE0ELb0ES3_N6thrust23THRUST_200600_302600_NS6detail15normal_iteratorINS9_10device_ptrIiEEEENSB_INSC_IxEEEESG_xNS9_4plusIvEENS9_8equal_toIvEExEE10hipError_tPvRmT2_T3_T4_T5_mT6_T7_P12ihipStream_tbENKUlT_T0_E_clISt17integral_constantIbLb1EES10_IbLb0EEEEDaSW_SX_EUlSW_E_NS1_11comp_targetILNS1_3genE4ELNS1_11target_archE910ELNS1_3gpuE8ELNS1_3repE0EEENS1_30default_config_static_selectorELNS0_4arch9wavefront6targetE0EEEvT1_.num_agpr, 0
	.set _ZN7rocprim17ROCPRIM_400000_NS6detail17trampoline_kernelINS0_14default_configENS1_27scan_by_key_config_selectorIixEEZZNS1_16scan_by_key_implILNS1_25lookback_scan_determinismE0ELb0ES3_N6thrust23THRUST_200600_302600_NS6detail15normal_iteratorINS9_10device_ptrIiEEEENSB_INSC_IxEEEESG_xNS9_4plusIvEENS9_8equal_toIvEExEE10hipError_tPvRmT2_T3_T4_T5_mT6_T7_P12ihipStream_tbENKUlT_T0_E_clISt17integral_constantIbLb1EES10_IbLb0EEEEDaSW_SX_EUlSW_E_NS1_11comp_targetILNS1_3genE4ELNS1_11target_archE910ELNS1_3gpuE8ELNS1_3repE0EEENS1_30default_config_static_selectorELNS0_4arch9wavefront6targetE0EEEvT1_.numbered_sgpr, 0
	.set _ZN7rocprim17ROCPRIM_400000_NS6detail17trampoline_kernelINS0_14default_configENS1_27scan_by_key_config_selectorIixEEZZNS1_16scan_by_key_implILNS1_25lookback_scan_determinismE0ELb0ES3_N6thrust23THRUST_200600_302600_NS6detail15normal_iteratorINS9_10device_ptrIiEEEENSB_INSC_IxEEEESG_xNS9_4plusIvEENS9_8equal_toIvEExEE10hipError_tPvRmT2_T3_T4_T5_mT6_T7_P12ihipStream_tbENKUlT_T0_E_clISt17integral_constantIbLb1EES10_IbLb0EEEEDaSW_SX_EUlSW_E_NS1_11comp_targetILNS1_3genE4ELNS1_11target_archE910ELNS1_3gpuE8ELNS1_3repE0EEENS1_30default_config_static_selectorELNS0_4arch9wavefront6targetE0EEEvT1_.num_named_barrier, 0
	.set _ZN7rocprim17ROCPRIM_400000_NS6detail17trampoline_kernelINS0_14default_configENS1_27scan_by_key_config_selectorIixEEZZNS1_16scan_by_key_implILNS1_25lookback_scan_determinismE0ELb0ES3_N6thrust23THRUST_200600_302600_NS6detail15normal_iteratorINS9_10device_ptrIiEEEENSB_INSC_IxEEEESG_xNS9_4plusIvEENS9_8equal_toIvEExEE10hipError_tPvRmT2_T3_T4_T5_mT6_T7_P12ihipStream_tbENKUlT_T0_E_clISt17integral_constantIbLb1EES10_IbLb0EEEEDaSW_SX_EUlSW_E_NS1_11comp_targetILNS1_3genE4ELNS1_11target_archE910ELNS1_3gpuE8ELNS1_3repE0EEENS1_30default_config_static_selectorELNS0_4arch9wavefront6targetE0EEEvT1_.private_seg_size, 0
	.set _ZN7rocprim17ROCPRIM_400000_NS6detail17trampoline_kernelINS0_14default_configENS1_27scan_by_key_config_selectorIixEEZZNS1_16scan_by_key_implILNS1_25lookback_scan_determinismE0ELb0ES3_N6thrust23THRUST_200600_302600_NS6detail15normal_iteratorINS9_10device_ptrIiEEEENSB_INSC_IxEEEESG_xNS9_4plusIvEENS9_8equal_toIvEExEE10hipError_tPvRmT2_T3_T4_T5_mT6_T7_P12ihipStream_tbENKUlT_T0_E_clISt17integral_constantIbLb1EES10_IbLb0EEEEDaSW_SX_EUlSW_E_NS1_11comp_targetILNS1_3genE4ELNS1_11target_archE910ELNS1_3gpuE8ELNS1_3repE0EEENS1_30default_config_static_selectorELNS0_4arch9wavefront6targetE0EEEvT1_.uses_vcc, 0
	.set _ZN7rocprim17ROCPRIM_400000_NS6detail17trampoline_kernelINS0_14default_configENS1_27scan_by_key_config_selectorIixEEZZNS1_16scan_by_key_implILNS1_25lookback_scan_determinismE0ELb0ES3_N6thrust23THRUST_200600_302600_NS6detail15normal_iteratorINS9_10device_ptrIiEEEENSB_INSC_IxEEEESG_xNS9_4plusIvEENS9_8equal_toIvEExEE10hipError_tPvRmT2_T3_T4_T5_mT6_T7_P12ihipStream_tbENKUlT_T0_E_clISt17integral_constantIbLb1EES10_IbLb0EEEEDaSW_SX_EUlSW_E_NS1_11comp_targetILNS1_3genE4ELNS1_11target_archE910ELNS1_3gpuE8ELNS1_3repE0EEENS1_30default_config_static_selectorELNS0_4arch9wavefront6targetE0EEEvT1_.uses_flat_scratch, 0
	.set _ZN7rocprim17ROCPRIM_400000_NS6detail17trampoline_kernelINS0_14default_configENS1_27scan_by_key_config_selectorIixEEZZNS1_16scan_by_key_implILNS1_25lookback_scan_determinismE0ELb0ES3_N6thrust23THRUST_200600_302600_NS6detail15normal_iteratorINS9_10device_ptrIiEEEENSB_INSC_IxEEEESG_xNS9_4plusIvEENS9_8equal_toIvEExEE10hipError_tPvRmT2_T3_T4_T5_mT6_T7_P12ihipStream_tbENKUlT_T0_E_clISt17integral_constantIbLb1EES10_IbLb0EEEEDaSW_SX_EUlSW_E_NS1_11comp_targetILNS1_3genE4ELNS1_11target_archE910ELNS1_3gpuE8ELNS1_3repE0EEENS1_30default_config_static_selectorELNS0_4arch9wavefront6targetE0EEEvT1_.has_dyn_sized_stack, 0
	.set _ZN7rocprim17ROCPRIM_400000_NS6detail17trampoline_kernelINS0_14default_configENS1_27scan_by_key_config_selectorIixEEZZNS1_16scan_by_key_implILNS1_25lookback_scan_determinismE0ELb0ES3_N6thrust23THRUST_200600_302600_NS6detail15normal_iteratorINS9_10device_ptrIiEEEENSB_INSC_IxEEEESG_xNS9_4plusIvEENS9_8equal_toIvEExEE10hipError_tPvRmT2_T3_T4_T5_mT6_T7_P12ihipStream_tbENKUlT_T0_E_clISt17integral_constantIbLb1EES10_IbLb0EEEEDaSW_SX_EUlSW_E_NS1_11comp_targetILNS1_3genE4ELNS1_11target_archE910ELNS1_3gpuE8ELNS1_3repE0EEENS1_30default_config_static_selectorELNS0_4arch9wavefront6targetE0EEEvT1_.has_recursion, 0
	.set _ZN7rocprim17ROCPRIM_400000_NS6detail17trampoline_kernelINS0_14default_configENS1_27scan_by_key_config_selectorIixEEZZNS1_16scan_by_key_implILNS1_25lookback_scan_determinismE0ELb0ES3_N6thrust23THRUST_200600_302600_NS6detail15normal_iteratorINS9_10device_ptrIiEEEENSB_INSC_IxEEEESG_xNS9_4plusIvEENS9_8equal_toIvEExEE10hipError_tPvRmT2_T3_T4_T5_mT6_T7_P12ihipStream_tbENKUlT_T0_E_clISt17integral_constantIbLb1EES10_IbLb0EEEEDaSW_SX_EUlSW_E_NS1_11comp_targetILNS1_3genE4ELNS1_11target_archE910ELNS1_3gpuE8ELNS1_3repE0EEENS1_30default_config_static_selectorELNS0_4arch9wavefront6targetE0EEEvT1_.has_indirect_call, 0
	.section	.AMDGPU.csdata,"",@progbits
; Kernel info:
; codeLenInByte = 0
; TotalNumSgprs: 0
; NumVgprs: 0
; ScratchSize: 0
; MemoryBound: 0
; FloatMode: 240
; IeeeMode: 1
; LDSByteSize: 0 bytes/workgroup (compile time only)
; SGPRBlocks: 0
; VGPRBlocks: 0
; NumSGPRsForWavesPerEU: 1
; NumVGPRsForWavesPerEU: 1
; Occupancy: 16
; WaveLimiterHint : 0
; COMPUTE_PGM_RSRC2:SCRATCH_EN: 0
; COMPUTE_PGM_RSRC2:USER_SGPR: 6
; COMPUTE_PGM_RSRC2:TRAP_HANDLER: 0
; COMPUTE_PGM_RSRC2:TGID_X_EN: 1
; COMPUTE_PGM_RSRC2:TGID_Y_EN: 0
; COMPUTE_PGM_RSRC2:TGID_Z_EN: 0
; COMPUTE_PGM_RSRC2:TIDIG_COMP_CNT: 0
	.section	.text._ZN7rocprim17ROCPRIM_400000_NS6detail17trampoline_kernelINS0_14default_configENS1_27scan_by_key_config_selectorIixEEZZNS1_16scan_by_key_implILNS1_25lookback_scan_determinismE0ELb0ES3_N6thrust23THRUST_200600_302600_NS6detail15normal_iteratorINS9_10device_ptrIiEEEENSB_INSC_IxEEEESG_xNS9_4plusIvEENS9_8equal_toIvEExEE10hipError_tPvRmT2_T3_T4_T5_mT6_T7_P12ihipStream_tbENKUlT_T0_E_clISt17integral_constantIbLb1EES10_IbLb0EEEEDaSW_SX_EUlSW_E_NS1_11comp_targetILNS1_3genE3ELNS1_11target_archE908ELNS1_3gpuE7ELNS1_3repE0EEENS1_30default_config_static_selectorELNS0_4arch9wavefront6targetE0EEEvT1_,"axG",@progbits,_ZN7rocprim17ROCPRIM_400000_NS6detail17trampoline_kernelINS0_14default_configENS1_27scan_by_key_config_selectorIixEEZZNS1_16scan_by_key_implILNS1_25lookback_scan_determinismE0ELb0ES3_N6thrust23THRUST_200600_302600_NS6detail15normal_iteratorINS9_10device_ptrIiEEEENSB_INSC_IxEEEESG_xNS9_4plusIvEENS9_8equal_toIvEExEE10hipError_tPvRmT2_T3_T4_T5_mT6_T7_P12ihipStream_tbENKUlT_T0_E_clISt17integral_constantIbLb1EES10_IbLb0EEEEDaSW_SX_EUlSW_E_NS1_11comp_targetILNS1_3genE3ELNS1_11target_archE908ELNS1_3gpuE7ELNS1_3repE0EEENS1_30default_config_static_selectorELNS0_4arch9wavefront6targetE0EEEvT1_,comdat
	.protected	_ZN7rocprim17ROCPRIM_400000_NS6detail17trampoline_kernelINS0_14default_configENS1_27scan_by_key_config_selectorIixEEZZNS1_16scan_by_key_implILNS1_25lookback_scan_determinismE0ELb0ES3_N6thrust23THRUST_200600_302600_NS6detail15normal_iteratorINS9_10device_ptrIiEEEENSB_INSC_IxEEEESG_xNS9_4plusIvEENS9_8equal_toIvEExEE10hipError_tPvRmT2_T3_T4_T5_mT6_T7_P12ihipStream_tbENKUlT_T0_E_clISt17integral_constantIbLb1EES10_IbLb0EEEEDaSW_SX_EUlSW_E_NS1_11comp_targetILNS1_3genE3ELNS1_11target_archE908ELNS1_3gpuE7ELNS1_3repE0EEENS1_30default_config_static_selectorELNS0_4arch9wavefront6targetE0EEEvT1_ ; -- Begin function _ZN7rocprim17ROCPRIM_400000_NS6detail17trampoline_kernelINS0_14default_configENS1_27scan_by_key_config_selectorIixEEZZNS1_16scan_by_key_implILNS1_25lookback_scan_determinismE0ELb0ES3_N6thrust23THRUST_200600_302600_NS6detail15normal_iteratorINS9_10device_ptrIiEEEENSB_INSC_IxEEEESG_xNS9_4plusIvEENS9_8equal_toIvEExEE10hipError_tPvRmT2_T3_T4_T5_mT6_T7_P12ihipStream_tbENKUlT_T0_E_clISt17integral_constantIbLb1EES10_IbLb0EEEEDaSW_SX_EUlSW_E_NS1_11comp_targetILNS1_3genE3ELNS1_11target_archE908ELNS1_3gpuE7ELNS1_3repE0EEENS1_30default_config_static_selectorELNS0_4arch9wavefront6targetE0EEEvT1_
	.globl	_ZN7rocprim17ROCPRIM_400000_NS6detail17trampoline_kernelINS0_14default_configENS1_27scan_by_key_config_selectorIixEEZZNS1_16scan_by_key_implILNS1_25lookback_scan_determinismE0ELb0ES3_N6thrust23THRUST_200600_302600_NS6detail15normal_iteratorINS9_10device_ptrIiEEEENSB_INSC_IxEEEESG_xNS9_4plusIvEENS9_8equal_toIvEExEE10hipError_tPvRmT2_T3_T4_T5_mT6_T7_P12ihipStream_tbENKUlT_T0_E_clISt17integral_constantIbLb1EES10_IbLb0EEEEDaSW_SX_EUlSW_E_NS1_11comp_targetILNS1_3genE3ELNS1_11target_archE908ELNS1_3gpuE7ELNS1_3repE0EEENS1_30default_config_static_selectorELNS0_4arch9wavefront6targetE0EEEvT1_
	.p2align	8
	.type	_ZN7rocprim17ROCPRIM_400000_NS6detail17trampoline_kernelINS0_14default_configENS1_27scan_by_key_config_selectorIixEEZZNS1_16scan_by_key_implILNS1_25lookback_scan_determinismE0ELb0ES3_N6thrust23THRUST_200600_302600_NS6detail15normal_iteratorINS9_10device_ptrIiEEEENSB_INSC_IxEEEESG_xNS9_4plusIvEENS9_8equal_toIvEExEE10hipError_tPvRmT2_T3_T4_T5_mT6_T7_P12ihipStream_tbENKUlT_T0_E_clISt17integral_constantIbLb1EES10_IbLb0EEEEDaSW_SX_EUlSW_E_NS1_11comp_targetILNS1_3genE3ELNS1_11target_archE908ELNS1_3gpuE7ELNS1_3repE0EEENS1_30default_config_static_selectorELNS0_4arch9wavefront6targetE0EEEvT1_,@function
_ZN7rocprim17ROCPRIM_400000_NS6detail17trampoline_kernelINS0_14default_configENS1_27scan_by_key_config_selectorIixEEZZNS1_16scan_by_key_implILNS1_25lookback_scan_determinismE0ELb0ES3_N6thrust23THRUST_200600_302600_NS6detail15normal_iteratorINS9_10device_ptrIiEEEENSB_INSC_IxEEEESG_xNS9_4plusIvEENS9_8equal_toIvEExEE10hipError_tPvRmT2_T3_T4_T5_mT6_T7_P12ihipStream_tbENKUlT_T0_E_clISt17integral_constantIbLb1EES10_IbLb0EEEEDaSW_SX_EUlSW_E_NS1_11comp_targetILNS1_3genE3ELNS1_11target_archE908ELNS1_3gpuE7ELNS1_3repE0EEENS1_30default_config_static_selectorELNS0_4arch9wavefront6targetE0EEEvT1_: ; @_ZN7rocprim17ROCPRIM_400000_NS6detail17trampoline_kernelINS0_14default_configENS1_27scan_by_key_config_selectorIixEEZZNS1_16scan_by_key_implILNS1_25lookback_scan_determinismE0ELb0ES3_N6thrust23THRUST_200600_302600_NS6detail15normal_iteratorINS9_10device_ptrIiEEEENSB_INSC_IxEEEESG_xNS9_4plusIvEENS9_8equal_toIvEExEE10hipError_tPvRmT2_T3_T4_T5_mT6_T7_P12ihipStream_tbENKUlT_T0_E_clISt17integral_constantIbLb1EES10_IbLb0EEEEDaSW_SX_EUlSW_E_NS1_11comp_targetILNS1_3genE3ELNS1_11target_archE908ELNS1_3gpuE7ELNS1_3repE0EEENS1_30default_config_static_selectorELNS0_4arch9wavefront6targetE0EEEvT1_
; %bb.0:
	.section	.rodata,"a",@progbits
	.p2align	6, 0x0
	.amdhsa_kernel _ZN7rocprim17ROCPRIM_400000_NS6detail17trampoline_kernelINS0_14default_configENS1_27scan_by_key_config_selectorIixEEZZNS1_16scan_by_key_implILNS1_25lookback_scan_determinismE0ELb0ES3_N6thrust23THRUST_200600_302600_NS6detail15normal_iteratorINS9_10device_ptrIiEEEENSB_INSC_IxEEEESG_xNS9_4plusIvEENS9_8equal_toIvEExEE10hipError_tPvRmT2_T3_T4_T5_mT6_T7_P12ihipStream_tbENKUlT_T0_E_clISt17integral_constantIbLb1EES10_IbLb0EEEEDaSW_SX_EUlSW_E_NS1_11comp_targetILNS1_3genE3ELNS1_11target_archE908ELNS1_3gpuE7ELNS1_3repE0EEENS1_30default_config_static_selectorELNS0_4arch9wavefront6targetE0EEEvT1_
		.amdhsa_group_segment_fixed_size 0
		.amdhsa_private_segment_fixed_size 0
		.amdhsa_kernarg_size 136
		.amdhsa_user_sgpr_count 6
		.amdhsa_user_sgpr_private_segment_buffer 1
		.amdhsa_user_sgpr_dispatch_ptr 0
		.amdhsa_user_sgpr_queue_ptr 0
		.amdhsa_user_sgpr_kernarg_segment_ptr 1
		.amdhsa_user_sgpr_dispatch_id 0
		.amdhsa_user_sgpr_flat_scratch_init 0
		.amdhsa_user_sgpr_private_segment_size 0
		.amdhsa_wavefront_size32 1
		.amdhsa_uses_dynamic_stack 0
		.amdhsa_system_sgpr_private_segment_wavefront_offset 0
		.amdhsa_system_sgpr_workgroup_id_x 1
		.amdhsa_system_sgpr_workgroup_id_y 0
		.amdhsa_system_sgpr_workgroup_id_z 0
		.amdhsa_system_sgpr_workgroup_info 0
		.amdhsa_system_vgpr_workitem_id 0
		.amdhsa_next_free_vgpr 1
		.amdhsa_next_free_sgpr 1
		.amdhsa_reserve_vcc 0
		.amdhsa_reserve_flat_scratch 0
		.amdhsa_float_round_mode_32 0
		.amdhsa_float_round_mode_16_64 0
		.amdhsa_float_denorm_mode_32 3
		.amdhsa_float_denorm_mode_16_64 3
		.amdhsa_dx10_clamp 1
		.amdhsa_ieee_mode 1
		.amdhsa_fp16_overflow 0
		.amdhsa_workgroup_processor_mode 1
		.amdhsa_memory_ordered 1
		.amdhsa_forward_progress 1
		.amdhsa_shared_vgpr_count 0
		.amdhsa_exception_fp_ieee_invalid_op 0
		.amdhsa_exception_fp_denorm_src 0
		.amdhsa_exception_fp_ieee_div_zero 0
		.amdhsa_exception_fp_ieee_overflow 0
		.amdhsa_exception_fp_ieee_underflow 0
		.amdhsa_exception_fp_ieee_inexact 0
		.amdhsa_exception_int_div_zero 0
	.end_amdhsa_kernel
	.section	.text._ZN7rocprim17ROCPRIM_400000_NS6detail17trampoline_kernelINS0_14default_configENS1_27scan_by_key_config_selectorIixEEZZNS1_16scan_by_key_implILNS1_25lookback_scan_determinismE0ELb0ES3_N6thrust23THRUST_200600_302600_NS6detail15normal_iteratorINS9_10device_ptrIiEEEENSB_INSC_IxEEEESG_xNS9_4plusIvEENS9_8equal_toIvEExEE10hipError_tPvRmT2_T3_T4_T5_mT6_T7_P12ihipStream_tbENKUlT_T0_E_clISt17integral_constantIbLb1EES10_IbLb0EEEEDaSW_SX_EUlSW_E_NS1_11comp_targetILNS1_3genE3ELNS1_11target_archE908ELNS1_3gpuE7ELNS1_3repE0EEENS1_30default_config_static_selectorELNS0_4arch9wavefront6targetE0EEEvT1_,"axG",@progbits,_ZN7rocprim17ROCPRIM_400000_NS6detail17trampoline_kernelINS0_14default_configENS1_27scan_by_key_config_selectorIixEEZZNS1_16scan_by_key_implILNS1_25lookback_scan_determinismE0ELb0ES3_N6thrust23THRUST_200600_302600_NS6detail15normal_iteratorINS9_10device_ptrIiEEEENSB_INSC_IxEEEESG_xNS9_4plusIvEENS9_8equal_toIvEExEE10hipError_tPvRmT2_T3_T4_T5_mT6_T7_P12ihipStream_tbENKUlT_T0_E_clISt17integral_constantIbLb1EES10_IbLb0EEEEDaSW_SX_EUlSW_E_NS1_11comp_targetILNS1_3genE3ELNS1_11target_archE908ELNS1_3gpuE7ELNS1_3repE0EEENS1_30default_config_static_selectorELNS0_4arch9wavefront6targetE0EEEvT1_,comdat
.Lfunc_end1335:
	.size	_ZN7rocprim17ROCPRIM_400000_NS6detail17trampoline_kernelINS0_14default_configENS1_27scan_by_key_config_selectorIixEEZZNS1_16scan_by_key_implILNS1_25lookback_scan_determinismE0ELb0ES3_N6thrust23THRUST_200600_302600_NS6detail15normal_iteratorINS9_10device_ptrIiEEEENSB_INSC_IxEEEESG_xNS9_4plusIvEENS9_8equal_toIvEExEE10hipError_tPvRmT2_T3_T4_T5_mT6_T7_P12ihipStream_tbENKUlT_T0_E_clISt17integral_constantIbLb1EES10_IbLb0EEEEDaSW_SX_EUlSW_E_NS1_11comp_targetILNS1_3genE3ELNS1_11target_archE908ELNS1_3gpuE7ELNS1_3repE0EEENS1_30default_config_static_selectorELNS0_4arch9wavefront6targetE0EEEvT1_, .Lfunc_end1335-_ZN7rocprim17ROCPRIM_400000_NS6detail17trampoline_kernelINS0_14default_configENS1_27scan_by_key_config_selectorIixEEZZNS1_16scan_by_key_implILNS1_25lookback_scan_determinismE0ELb0ES3_N6thrust23THRUST_200600_302600_NS6detail15normal_iteratorINS9_10device_ptrIiEEEENSB_INSC_IxEEEESG_xNS9_4plusIvEENS9_8equal_toIvEExEE10hipError_tPvRmT2_T3_T4_T5_mT6_T7_P12ihipStream_tbENKUlT_T0_E_clISt17integral_constantIbLb1EES10_IbLb0EEEEDaSW_SX_EUlSW_E_NS1_11comp_targetILNS1_3genE3ELNS1_11target_archE908ELNS1_3gpuE7ELNS1_3repE0EEENS1_30default_config_static_selectorELNS0_4arch9wavefront6targetE0EEEvT1_
                                        ; -- End function
	.set _ZN7rocprim17ROCPRIM_400000_NS6detail17trampoline_kernelINS0_14default_configENS1_27scan_by_key_config_selectorIixEEZZNS1_16scan_by_key_implILNS1_25lookback_scan_determinismE0ELb0ES3_N6thrust23THRUST_200600_302600_NS6detail15normal_iteratorINS9_10device_ptrIiEEEENSB_INSC_IxEEEESG_xNS9_4plusIvEENS9_8equal_toIvEExEE10hipError_tPvRmT2_T3_T4_T5_mT6_T7_P12ihipStream_tbENKUlT_T0_E_clISt17integral_constantIbLb1EES10_IbLb0EEEEDaSW_SX_EUlSW_E_NS1_11comp_targetILNS1_3genE3ELNS1_11target_archE908ELNS1_3gpuE7ELNS1_3repE0EEENS1_30default_config_static_selectorELNS0_4arch9wavefront6targetE0EEEvT1_.num_vgpr, 0
	.set _ZN7rocprim17ROCPRIM_400000_NS6detail17trampoline_kernelINS0_14default_configENS1_27scan_by_key_config_selectorIixEEZZNS1_16scan_by_key_implILNS1_25lookback_scan_determinismE0ELb0ES3_N6thrust23THRUST_200600_302600_NS6detail15normal_iteratorINS9_10device_ptrIiEEEENSB_INSC_IxEEEESG_xNS9_4plusIvEENS9_8equal_toIvEExEE10hipError_tPvRmT2_T3_T4_T5_mT6_T7_P12ihipStream_tbENKUlT_T0_E_clISt17integral_constantIbLb1EES10_IbLb0EEEEDaSW_SX_EUlSW_E_NS1_11comp_targetILNS1_3genE3ELNS1_11target_archE908ELNS1_3gpuE7ELNS1_3repE0EEENS1_30default_config_static_selectorELNS0_4arch9wavefront6targetE0EEEvT1_.num_agpr, 0
	.set _ZN7rocprim17ROCPRIM_400000_NS6detail17trampoline_kernelINS0_14default_configENS1_27scan_by_key_config_selectorIixEEZZNS1_16scan_by_key_implILNS1_25lookback_scan_determinismE0ELb0ES3_N6thrust23THRUST_200600_302600_NS6detail15normal_iteratorINS9_10device_ptrIiEEEENSB_INSC_IxEEEESG_xNS9_4plusIvEENS9_8equal_toIvEExEE10hipError_tPvRmT2_T3_T4_T5_mT6_T7_P12ihipStream_tbENKUlT_T0_E_clISt17integral_constantIbLb1EES10_IbLb0EEEEDaSW_SX_EUlSW_E_NS1_11comp_targetILNS1_3genE3ELNS1_11target_archE908ELNS1_3gpuE7ELNS1_3repE0EEENS1_30default_config_static_selectorELNS0_4arch9wavefront6targetE0EEEvT1_.numbered_sgpr, 0
	.set _ZN7rocprim17ROCPRIM_400000_NS6detail17trampoline_kernelINS0_14default_configENS1_27scan_by_key_config_selectorIixEEZZNS1_16scan_by_key_implILNS1_25lookback_scan_determinismE0ELb0ES3_N6thrust23THRUST_200600_302600_NS6detail15normal_iteratorINS9_10device_ptrIiEEEENSB_INSC_IxEEEESG_xNS9_4plusIvEENS9_8equal_toIvEExEE10hipError_tPvRmT2_T3_T4_T5_mT6_T7_P12ihipStream_tbENKUlT_T0_E_clISt17integral_constantIbLb1EES10_IbLb0EEEEDaSW_SX_EUlSW_E_NS1_11comp_targetILNS1_3genE3ELNS1_11target_archE908ELNS1_3gpuE7ELNS1_3repE0EEENS1_30default_config_static_selectorELNS0_4arch9wavefront6targetE0EEEvT1_.num_named_barrier, 0
	.set _ZN7rocprim17ROCPRIM_400000_NS6detail17trampoline_kernelINS0_14default_configENS1_27scan_by_key_config_selectorIixEEZZNS1_16scan_by_key_implILNS1_25lookback_scan_determinismE0ELb0ES3_N6thrust23THRUST_200600_302600_NS6detail15normal_iteratorINS9_10device_ptrIiEEEENSB_INSC_IxEEEESG_xNS9_4plusIvEENS9_8equal_toIvEExEE10hipError_tPvRmT2_T3_T4_T5_mT6_T7_P12ihipStream_tbENKUlT_T0_E_clISt17integral_constantIbLb1EES10_IbLb0EEEEDaSW_SX_EUlSW_E_NS1_11comp_targetILNS1_3genE3ELNS1_11target_archE908ELNS1_3gpuE7ELNS1_3repE0EEENS1_30default_config_static_selectorELNS0_4arch9wavefront6targetE0EEEvT1_.private_seg_size, 0
	.set _ZN7rocprim17ROCPRIM_400000_NS6detail17trampoline_kernelINS0_14default_configENS1_27scan_by_key_config_selectorIixEEZZNS1_16scan_by_key_implILNS1_25lookback_scan_determinismE0ELb0ES3_N6thrust23THRUST_200600_302600_NS6detail15normal_iteratorINS9_10device_ptrIiEEEENSB_INSC_IxEEEESG_xNS9_4plusIvEENS9_8equal_toIvEExEE10hipError_tPvRmT2_T3_T4_T5_mT6_T7_P12ihipStream_tbENKUlT_T0_E_clISt17integral_constantIbLb1EES10_IbLb0EEEEDaSW_SX_EUlSW_E_NS1_11comp_targetILNS1_3genE3ELNS1_11target_archE908ELNS1_3gpuE7ELNS1_3repE0EEENS1_30default_config_static_selectorELNS0_4arch9wavefront6targetE0EEEvT1_.uses_vcc, 0
	.set _ZN7rocprim17ROCPRIM_400000_NS6detail17trampoline_kernelINS0_14default_configENS1_27scan_by_key_config_selectorIixEEZZNS1_16scan_by_key_implILNS1_25lookback_scan_determinismE0ELb0ES3_N6thrust23THRUST_200600_302600_NS6detail15normal_iteratorINS9_10device_ptrIiEEEENSB_INSC_IxEEEESG_xNS9_4plusIvEENS9_8equal_toIvEExEE10hipError_tPvRmT2_T3_T4_T5_mT6_T7_P12ihipStream_tbENKUlT_T0_E_clISt17integral_constantIbLb1EES10_IbLb0EEEEDaSW_SX_EUlSW_E_NS1_11comp_targetILNS1_3genE3ELNS1_11target_archE908ELNS1_3gpuE7ELNS1_3repE0EEENS1_30default_config_static_selectorELNS0_4arch9wavefront6targetE0EEEvT1_.uses_flat_scratch, 0
	.set _ZN7rocprim17ROCPRIM_400000_NS6detail17trampoline_kernelINS0_14default_configENS1_27scan_by_key_config_selectorIixEEZZNS1_16scan_by_key_implILNS1_25lookback_scan_determinismE0ELb0ES3_N6thrust23THRUST_200600_302600_NS6detail15normal_iteratorINS9_10device_ptrIiEEEENSB_INSC_IxEEEESG_xNS9_4plusIvEENS9_8equal_toIvEExEE10hipError_tPvRmT2_T3_T4_T5_mT6_T7_P12ihipStream_tbENKUlT_T0_E_clISt17integral_constantIbLb1EES10_IbLb0EEEEDaSW_SX_EUlSW_E_NS1_11comp_targetILNS1_3genE3ELNS1_11target_archE908ELNS1_3gpuE7ELNS1_3repE0EEENS1_30default_config_static_selectorELNS0_4arch9wavefront6targetE0EEEvT1_.has_dyn_sized_stack, 0
	.set _ZN7rocprim17ROCPRIM_400000_NS6detail17trampoline_kernelINS0_14default_configENS1_27scan_by_key_config_selectorIixEEZZNS1_16scan_by_key_implILNS1_25lookback_scan_determinismE0ELb0ES3_N6thrust23THRUST_200600_302600_NS6detail15normal_iteratorINS9_10device_ptrIiEEEENSB_INSC_IxEEEESG_xNS9_4plusIvEENS9_8equal_toIvEExEE10hipError_tPvRmT2_T3_T4_T5_mT6_T7_P12ihipStream_tbENKUlT_T0_E_clISt17integral_constantIbLb1EES10_IbLb0EEEEDaSW_SX_EUlSW_E_NS1_11comp_targetILNS1_3genE3ELNS1_11target_archE908ELNS1_3gpuE7ELNS1_3repE0EEENS1_30default_config_static_selectorELNS0_4arch9wavefront6targetE0EEEvT1_.has_recursion, 0
	.set _ZN7rocprim17ROCPRIM_400000_NS6detail17trampoline_kernelINS0_14default_configENS1_27scan_by_key_config_selectorIixEEZZNS1_16scan_by_key_implILNS1_25lookback_scan_determinismE0ELb0ES3_N6thrust23THRUST_200600_302600_NS6detail15normal_iteratorINS9_10device_ptrIiEEEENSB_INSC_IxEEEESG_xNS9_4plusIvEENS9_8equal_toIvEExEE10hipError_tPvRmT2_T3_T4_T5_mT6_T7_P12ihipStream_tbENKUlT_T0_E_clISt17integral_constantIbLb1EES10_IbLb0EEEEDaSW_SX_EUlSW_E_NS1_11comp_targetILNS1_3genE3ELNS1_11target_archE908ELNS1_3gpuE7ELNS1_3repE0EEENS1_30default_config_static_selectorELNS0_4arch9wavefront6targetE0EEEvT1_.has_indirect_call, 0
	.section	.AMDGPU.csdata,"",@progbits
; Kernel info:
; codeLenInByte = 0
; TotalNumSgprs: 0
; NumVgprs: 0
; ScratchSize: 0
; MemoryBound: 0
; FloatMode: 240
; IeeeMode: 1
; LDSByteSize: 0 bytes/workgroup (compile time only)
; SGPRBlocks: 0
; VGPRBlocks: 0
; NumSGPRsForWavesPerEU: 1
; NumVGPRsForWavesPerEU: 1
; Occupancy: 16
; WaveLimiterHint : 0
; COMPUTE_PGM_RSRC2:SCRATCH_EN: 0
; COMPUTE_PGM_RSRC2:USER_SGPR: 6
; COMPUTE_PGM_RSRC2:TRAP_HANDLER: 0
; COMPUTE_PGM_RSRC2:TGID_X_EN: 1
; COMPUTE_PGM_RSRC2:TGID_Y_EN: 0
; COMPUTE_PGM_RSRC2:TGID_Z_EN: 0
; COMPUTE_PGM_RSRC2:TIDIG_COMP_CNT: 0
	.section	.text._ZN7rocprim17ROCPRIM_400000_NS6detail17trampoline_kernelINS0_14default_configENS1_27scan_by_key_config_selectorIixEEZZNS1_16scan_by_key_implILNS1_25lookback_scan_determinismE0ELb0ES3_N6thrust23THRUST_200600_302600_NS6detail15normal_iteratorINS9_10device_ptrIiEEEENSB_INSC_IxEEEESG_xNS9_4plusIvEENS9_8equal_toIvEExEE10hipError_tPvRmT2_T3_T4_T5_mT6_T7_P12ihipStream_tbENKUlT_T0_E_clISt17integral_constantIbLb1EES10_IbLb0EEEEDaSW_SX_EUlSW_E_NS1_11comp_targetILNS1_3genE2ELNS1_11target_archE906ELNS1_3gpuE6ELNS1_3repE0EEENS1_30default_config_static_selectorELNS0_4arch9wavefront6targetE0EEEvT1_,"axG",@progbits,_ZN7rocprim17ROCPRIM_400000_NS6detail17trampoline_kernelINS0_14default_configENS1_27scan_by_key_config_selectorIixEEZZNS1_16scan_by_key_implILNS1_25lookback_scan_determinismE0ELb0ES3_N6thrust23THRUST_200600_302600_NS6detail15normal_iteratorINS9_10device_ptrIiEEEENSB_INSC_IxEEEESG_xNS9_4plusIvEENS9_8equal_toIvEExEE10hipError_tPvRmT2_T3_T4_T5_mT6_T7_P12ihipStream_tbENKUlT_T0_E_clISt17integral_constantIbLb1EES10_IbLb0EEEEDaSW_SX_EUlSW_E_NS1_11comp_targetILNS1_3genE2ELNS1_11target_archE906ELNS1_3gpuE6ELNS1_3repE0EEENS1_30default_config_static_selectorELNS0_4arch9wavefront6targetE0EEEvT1_,comdat
	.protected	_ZN7rocprim17ROCPRIM_400000_NS6detail17trampoline_kernelINS0_14default_configENS1_27scan_by_key_config_selectorIixEEZZNS1_16scan_by_key_implILNS1_25lookback_scan_determinismE0ELb0ES3_N6thrust23THRUST_200600_302600_NS6detail15normal_iteratorINS9_10device_ptrIiEEEENSB_INSC_IxEEEESG_xNS9_4plusIvEENS9_8equal_toIvEExEE10hipError_tPvRmT2_T3_T4_T5_mT6_T7_P12ihipStream_tbENKUlT_T0_E_clISt17integral_constantIbLb1EES10_IbLb0EEEEDaSW_SX_EUlSW_E_NS1_11comp_targetILNS1_3genE2ELNS1_11target_archE906ELNS1_3gpuE6ELNS1_3repE0EEENS1_30default_config_static_selectorELNS0_4arch9wavefront6targetE0EEEvT1_ ; -- Begin function _ZN7rocprim17ROCPRIM_400000_NS6detail17trampoline_kernelINS0_14default_configENS1_27scan_by_key_config_selectorIixEEZZNS1_16scan_by_key_implILNS1_25lookback_scan_determinismE0ELb0ES3_N6thrust23THRUST_200600_302600_NS6detail15normal_iteratorINS9_10device_ptrIiEEEENSB_INSC_IxEEEESG_xNS9_4plusIvEENS9_8equal_toIvEExEE10hipError_tPvRmT2_T3_T4_T5_mT6_T7_P12ihipStream_tbENKUlT_T0_E_clISt17integral_constantIbLb1EES10_IbLb0EEEEDaSW_SX_EUlSW_E_NS1_11comp_targetILNS1_3genE2ELNS1_11target_archE906ELNS1_3gpuE6ELNS1_3repE0EEENS1_30default_config_static_selectorELNS0_4arch9wavefront6targetE0EEEvT1_
	.globl	_ZN7rocprim17ROCPRIM_400000_NS6detail17trampoline_kernelINS0_14default_configENS1_27scan_by_key_config_selectorIixEEZZNS1_16scan_by_key_implILNS1_25lookback_scan_determinismE0ELb0ES3_N6thrust23THRUST_200600_302600_NS6detail15normal_iteratorINS9_10device_ptrIiEEEENSB_INSC_IxEEEESG_xNS9_4plusIvEENS9_8equal_toIvEExEE10hipError_tPvRmT2_T3_T4_T5_mT6_T7_P12ihipStream_tbENKUlT_T0_E_clISt17integral_constantIbLb1EES10_IbLb0EEEEDaSW_SX_EUlSW_E_NS1_11comp_targetILNS1_3genE2ELNS1_11target_archE906ELNS1_3gpuE6ELNS1_3repE0EEENS1_30default_config_static_selectorELNS0_4arch9wavefront6targetE0EEEvT1_
	.p2align	8
	.type	_ZN7rocprim17ROCPRIM_400000_NS6detail17trampoline_kernelINS0_14default_configENS1_27scan_by_key_config_selectorIixEEZZNS1_16scan_by_key_implILNS1_25lookback_scan_determinismE0ELb0ES3_N6thrust23THRUST_200600_302600_NS6detail15normal_iteratorINS9_10device_ptrIiEEEENSB_INSC_IxEEEESG_xNS9_4plusIvEENS9_8equal_toIvEExEE10hipError_tPvRmT2_T3_T4_T5_mT6_T7_P12ihipStream_tbENKUlT_T0_E_clISt17integral_constantIbLb1EES10_IbLb0EEEEDaSW_SX_EUlSW_E_NS1_11comp_targetILNS1_3genE2ELNS1_11target_archE906ELNS1_3gpuE6ELNS1_3repE0EEENS1_30default_config_static_selectorELNS0_4arch9wavefront6targetE0EEEvT1_,@function
_ZN7rocprim17ROCPRIM_400000_NS6detail17trampoline_kernelINS0_14default_configENS1_27scan_by_key_config_selectorIixEEZZNS1_16scan_by_key_implILNS1_25lookback_scan_determinismE0ELb0ES3_N6thrust23THRUST_200600_302600_NS6detail15normal_iteratorINS9_10device_ptrIiEEEENSB_INSC_IxEEEESG_xNS9_4plusIvEENS9_8equal_toIvEExEE10hipError_tPvRmT2_T3_T4_T5_mT6_T7_P12ihipStream_tbENKUlT_T0_E_clISt17integral_constantIbLb1EES10_IbLb0EEEEDaSW_SX_EUlSW_E_NS1_11comp_targetILNS1_3genE2ELNS1_11target_archE906ELNS1_3gpuE6ELNS1_3repE0EEENS1_30default_config_static_selectorELNS0_4arch9wavefront6targetE0EEEvT1_: ; @_ZN7rocprim17ROCPRIM_400000_NS6detail17trampoline_kernelINS0_14default_configENS1_27scan_by_key_config_selectorIixEEZZNS1_16scan_by_key_implILNS1_25lookback_scan_determinismE0ELb0ES3_N6thrust23THRUST_200600_302600_NS6detail15normal_iteratorINS9_10device_ptrIiEEEENSB_INSC_IxEEEESG_xNS9_4plusIvEENS9_8equal_toIvEExEE10hipError_tPvRmT2_T3_T4_T5_mT6_T7_P12ihipStream_tbENKUlT_T0_E_clISt17integral_constantIbLb1EES10_IbLb0EEEEDaSW_SX_EUlSW_E_NS1_11comp_targetILNS1_3genE2ELNS1_11target_archE906ELNS1_3gpuE6ELNS1_3repE0EEENS1_30default_config_static_selectorELNS0_4arch9wavefront6targetE0EEEvT1_
; %bb.0:
	.section	.rodata,"a",@progbits
	.p2align	6, 0x0
	.amdhsa_kernel _ZN7rocprim17ROCPRIM_400000_NS6detail17trampoline_kernelINS0_14default_configENS1_27scan_by_key_config_selectorIixEEZZNS1_16scan_by_key_implILNS1_25lookback_scan_determinismE0ELb0ES3_N6thrust23THRUST_200600_302600_NS6detail15normal_iteratorINS9_10device_ptrIiEEEENSB_INSC_IxEEEESG_xNS9_4plusIvEENS9_8equal_toIvEExEE10hipError_tPvRmT2_T3_T4_T5_mT6_T7_P12ihipStream_tbENKUlT_T0_E_clISt17integral_constantIbLb1EES10_IbLb0EEEEDaSW_SX_EUlSW_E_NS1_11comp_targetILNS1_3genE2ELNS1_11target_archE906ELNS1_3gpuE6ELNS1_3repE0EEENS1_30default_config_static_selectorELNS0_4arch9wavefront6targetE0EEEvT1_
		.amdhsa_group_segment_fixed_size 0
		.amdhsa_private_segment_fixed_size 0
		.amdhsa_kernarg_size 136
		.amdhsa_user_sgpr_count 6
		.amdhsa_user_sgpr_private_segment_buffer 1
		.amdhsa_user_sgpr_dispatch_ptr 0
		.amdhsa_user_sgpr_queue_ptr 0
		.amdhsa_user_sgpr_kernarg_segment_ptr 1
		.amdhsa_user_sgpr_dispatch_id 0
		.amdhsa_user_sgpr_flat_scratch_init 0
		.amdhsa_user_sgpr_private_segment_size 0
		.amdhsa_wavefront_size32 1
		.amdhsa_uses_dynamic_stack 0
		.amdhsa_system_sgpr_private_segment_wavefront_offset 0
		.amdhsa_system_sgpr_workgroup_id_x 1
		.amdhsa_system_sgpr_workgroup_id_y 0
		.amdhsa_system_sgpr_workgroup_id_z 0
		.amdhsa_system_sgpr_workgroup_info 0
		.amdhsa_system_vgpr_workitem_id 0
		.amdhsa_next_free_vgpr 1
		.amdhsa_next_free_sgpr 1
		.amdhsa_reserve_vcc 0
		.amdhsa_reserve_flat_scratch 0
		.amdhsa_float_round_mode_32 0
		.amdhsa_float_round_mode_16_64 0
		.amdhsa_float_denorm_mode_32 3
		.amdhsa_float_denorm_mode_16_64 3
		.amdhsa_dx10_clamp 1
		.amdhsa_ieee_mode 1
		.amdhsa_fp16_overflow 0
		.amdhsa_workgroup_processor_mode 1
		.amdhsa_memory_ordered 1
		.amdhsa_forward_progress 1
		.amdhsa_shared_vgpr_count 0
		.amdhsa_exception_fp_ieee_invalid_op 0
		.amdhsa_exception_fp_denorm_src 0
		.amdhsa_exception_fp_ieee_div_zero 0
		.amdhsa_exception_fp_ieee_overflow 0
		.amdhsa_exception_fp_ieee_underflow 0
		.amdhsa_exception_fp_ieee_inexact 0
		.amdhsa_exception_int_div_zero 0
	.end_amdhsa_kernel
	.section	.text._ZN7rocprim17ROCPRIM_400000_NS6detail17trampoline_kernelINS0_14default_configENS1_27scan_by_key_config_selectorIixEEZZNS1_16scan_by_key_implILNS1_25lookback_scan_determinismE0ELb0ES3_N6thrust23THRUST_200600_302600_NS6detail15normal_iteratorINS9_10device_ptrIiEEEENSB_INSC_IxEEEESG_xNS9_4plusIvEENS9_8equal_toIvEExEE10hipError_tPvRmT2_T3_T4_T5_mT6_T7_P12ihipStream_tbENKUlT_T0_E_clISt17integral_constantIbLb1EES10_IbLb0EEEEDaSW_SX_EUlSW_E_NS1_11comp_targetILNS1_3genE2ELNS1_11target_archE906ELNS1_3gpuE6ELNS1_3repE0EEENS1_30default_config_static_selectorELNS0_4arch9wavefront6targetE0EEEvT1_,"axG",@progbits,_ZN7rocprim17ROCPRIM_400000_NS6detail17trampoline_kernelINS0_14default_configENS1_27scan_by_key_config_selectorIixEEZZNS1_16scan_by_key_implILNS1_25lookback_scan_determinismE0ELb0ES3_N6thrust23THRUST_200600_302600_NS6detail15normal_iteratorINS9_10device_ptrIiEEEENSB_INSC_IxEEEESG_xNS9_4plusIvEENS9_8equal_toIvEExEE10hipError_tPvRmT2_T3_T4_T5_mT6_T7_P12ihipStream_tbENKUlT_T0_E_clISt17integral_constantIbLb1EES10_IbLb0EEEEDaSW_SX_EUlSW_E_NS1_11comp_targetILNS1_3genE2ELNS1_11target_archE906ELNS1_3gpuE6ELNS1_3repE0EEENS1_30default_config_static_selectorELNS0_4arch9wavefront6targetE0EEEvT1_,comdat
.Lfunc_end1336:
	.size	_ZN7rocprim17ROCPRIM_400000_NS6detail17trampoline_kernelINS0_14default_configENS1_27scan_by_key_config_selectorIixEEZZNS1_16scan_by_key_implILNS1_25lookback_scan_determinismE0ELb0ES3_N6thrust23THRUST_200600_302600_NS6detail15normal_iteratorINS9_10device_ptrIiEEEENSB_INSC_IxEEEESG_xNS9_4plusIvEENS9_8equal_toIvEExEE10hipError_tPvRmT2_T3_T4_T5_mT6_T7_P12ihipStream_tbENKUlT_T0_E_clISt17integral_constantIbLb1EES10_IbLb0EEEEDaSW_SX_EUlSW_E_NS1_11comp_targetILNS1_3genE2ELNS1_11target_archE906ELNS1_3gpuE6ELNS1_3repE0EEENS1_30default_config_static_selectorELNS0_4arch9wavefront6targetE0EEEvT1_, .Lfunc_end1336-_ZN7rocprim17ROCPRIM_400000_NS6detail17trampoline_kernelINS0_14default_configENS1_27scan_by_key_config_selectorIixEEZZNS1_16scan_by_key_implILNS1_25lookback_scan_determinismE0ELb0ES3_N6thrust23THRUST_200600_302600_NS6detail15normal_iteratorINS9_10device_ptrIiEEEENSB_INSC_IxEEEESG_xNS9_4plusIvEENS9_8equal_toIvEExEE10hipError_tPvRmT2_T3_T4_T5_mT6_T7_P12ihipStream_tbENKUlT_T0_E_clISt17integral_constantIbLb1EES10_IbLb0EEEEDaSW_SX_EUlSW_E_NS1_11comp_targetILNS1_3genE2ELNS1_11target_archE906ELNS1_3gpuE6ELNS1_3repE0EEENS1_30default_config_static_selectorELNS0_4arch9wavefront6targetE0EEEvT1_
                                        ; -- End function
	.set _ZN7rocprim17ROCPRIM_400000_NS6detail17trampoline_kernelINS0_14default_configENS1_27scan_by_key_config_selectorIixEEZZNS1_16scan_by_key_implILNS1_25lookback_scan_determinismE0ELb0ES3_N6thrust23THRUST_200600_302600_NS6detail15normal_iteratorINS9_10device_ptrIiEEEENSB_INSC_IxEEEESG_xNS9_4plusIvEENS9_8equal_toIvEExEE10hipError_tPvRmT2_T3_T4_T5_mT6_T7_P12ihipStream_tbENKUlT_T0_E_clISt17integral_constantIbLb1EES10_IbLb0EEEEDaSW_SX_EUlSW_E_NS1_11comp_targetILNS1_3genE2ELNS1_11target_archE906ELNS1_3gpuE6ELNS1_3repE0EEENS1_30default_config_static_selectorELNS0_4arch9wavefront6targetE0EEEvT1_.num_vgpr, 0
	.set _ZN7rocprim17ROCPRIM_400000_NS6detail17trampoline_kernelINS0_14default_configENS1_27scan_by_key_config_selectorIixEEZZNS1_16scan_by_key_implILNS1_25lookback_scan_determinismE0ELb0ES3_N6thrust23THRUST_200600_302600_NS6detail15normal_iteratorINS9_10device_ptrIiEEEENSB_INSC_IxEEEESG_xNS9_4plusIvEENS9_8equal_toIvEExEE10hipError_tPvRmT2_T3_T4_T5_mT6_T7_P12ihipStream_tbENKUlT_T0_E_clISt17integral_constantIbLb1EES10_IbLb0EEEEDaSW_SX_EUlSW_E_NS1_11comp_targetILNS1_3genE2ELNS1_11target_archE906ELNS1_3gpuE6ELNS1_3repE0EEENS1_30default_config_static_selectorELNS0_4arch9wavefront6targetE0EEEvT1_.num_agpr, 0
	.set _ZN7rocprim17ROCPRIM_400000_NS6detail17trampoline_kernelINS0_14default_configENS1_27scan_by_key_config_selectorIixEEZZNS1_16scan_by_key_implILNS1_25lookback_scan_determinismE0ELb0ES3_N6thrust23THRUST_200600_302600_NS6detail15normal_iteratorINS9_10device_ptrIiEEEENSB_INSC_IxEEEESG_xNS9_4plusIvEENS9_8equal_toIvEExEE10hipError_tPvRmT2_T3_T4_T5_mT6_T7_P12ihipStream_tbENKUlT_T0_E_clISt17integral_constantIbLb1EES10_IbLb0EEEEDaSW_SX_EUlSW_E_NS1_11comp_targetILNS1_3genE2ELNS1_11target_archE906ELNS1_3gpuE6ELNS1_3repE0EEENS1_30default_config_static_selectorELNS0_4arch9wavefront6targetE0EEEvT1_.numbered_sgpr, 0
	.set _ZN7rocprim17ROCPRIM_400000_NS6detail17trampoline_kernelINS0_14default_configENS1_27scan_by_key_config_selectorIixEEZZNS1_16scan_by_key_implILNS1_25lookback_scan_determinismE0ELb0ES3_N6thrust23THRUST_200600_302600_NS6detail15normal_iteratorINS9_10device_ptrIiEEEENSB_INSC_IxEEEESG_xNS9_4plusIvEENS9_8equal_toIvEExEE10hipError_tPvRmT2_T3_T4_T5_mT6_T7_P12ihipStream_tbENKUlT_T0_E_clISt17integral_constantIbLb1EES10_IbLb0EEEEDaSW_SX_EUlSW_E_NS1_11comp_targetILNS1_3genE2ELNS1_11target_archE906ELNS1_3gpuE6ELNS1_3repE0EEENS1_30default_config_static_selectorELNS0_4arch9wavefront6targetE0EEEvT1_.num_named_barrier, 0
	.set _ZN7rocprim17ROCPRIM_400000_NS6detail17trampoline_kernelINS0_14default_configENS1_27scan_by_key_config_selectorIixEEZZNS1_16scan_by_key_implILNS1_25lookback_scan_determinismE0ELb0ES3_N6thrust23THRUST_200600_302600_NS6detail15normal_iteratorINS9_10device_ptrIiEEEENSB_INSC_IxEEEESG_xNS9_4plusIvEENS9_8equal_toIvEExEE10hipError_tPvRmT2_T3_T4_T5_mT6_T7_P12ihipStream_tbENKUlT_T0_E_clISt17integral_constantIbLb1EES10_IbLb0EEEEDaSW_SX_EUlSW_E_NS1_11comp_targetILNS1_3genE2ELNS1_11target_archE906ELNS1_3gpuE6ELNS1_3repE0EEENS1_30default_config_static_selectorELNS0_4arch9wavefront6targetE0EEEvT1_.private_seg_size, 0
	.set _ZN7rocprim17ROCPRIM_400000_NS6detail17trampoline_kernelINS0_14default_configENS1_27scan_by_key_config_selectorIixEEZZNS1_16scan_by_key_implILNS1_25lookback_scan_determinismE0ELb0ES3_N6thrust23THRUST_200600_302600_NS6detail15normal_iteratorINS9_10device_ptrIiEEEENSB_INSC_IxEEEESG_xNS9_4plusIvEENS9_8equal_toIvEExEE10hipError_tPvRmT2_T3_T4_T5_mT6_T7_P12ihipStream_tbENKUlT_T0_E_clISt17integral_constantIbLb1EES10_IbLb0EEEEDaSW_SX_EUlSW_E_NS1_11comp_targetILNS1_3genE2ELNS1_11target_archE906ELNS1_3gpuE6ELNS1_3repE0EEENS1_30default_config_static_selectorELNS0_4arch9wavefront6targetE0EEEvT1_.uses_vcc, 0
	.set _ZN7rocprim17ROCPRIM_400000_NS6detail17trampoline_kernelINS0_14default_configENS1_27scan_by_key_config_selectorIixEEZZNS1_16scan_by_key_implILNS1_25lookback_scan_determinismE0ELb0ES3_N6thrust23THRUST_200600_302600_NS6detail15normal_iteratorINS9_10device_ptrIiEEEENSB_INSC_IxEEEESG_xNS9_4plusIvEENS9_8equal_toIvEExEE10hipError_tPvRmT2_T3_T4_T5_mT6_T7_P12ihipStream_tbENKUlT_T0_E_clISt17integral_constantIbLb1EES10_IbLb0EEEEDaSW_SX_EUlSW_E_NS1_11comp_targetILNS1_3genE2ELNS1_11target_archE906ELNS1_3gpuE6ELNS1_3repE0EEENS1_30default_config_static_selectorELNS0_4arch9wavefront6targetE0EEEvT1_.uses_flat_scratch, 0
	.set _ZN7rocprim17ROCPRIM_400000_NS6detail17trampoline_kernelINS0_14default_configENS1_27scan_by_key_config_selectorIixEEZZNS1_16scan_by_key_implILNS1_25lookback_scan_determinismE0ELb0ES3_N6thrust23THRUST_200600_302600_NS6detail15normal_iteratorINS9_10device_ptrIiEEEENSB_INSC_IxEEEESG_xNS9_4plusIvEENS9_8equal_toIvEExEE10hipError_tPvRmT2_T3_T4_T5_mT6_T7_P12ihipStream_tbENKUlT_T0_E_clISt17integral_constantIbLb1EES10_IbLb0EEEEDaSW_SX_EUlSW_E_NS1_11comp_targetILNS1_3genE2ELNS1_11target_archE906ELNS1_3gpuE6ELNS1_3repE0EEENS1_30default_config_static_selectorELNS0_4arch9wavefront6targetE0EEEvT1_.has_dyn_sized_stack, 0
	.set _ZN7rocprim17ROCPRIM_400000_NS6detail17trampoline_kernelINS0_14default_configENS1_27scan_by_key_config_selectorIixEEZZNS1_16scan_by_key_implILNS1_25lookback_scan_determinismE0ELb0ES3_N6thrust23THRUST_200600_302600_NS6detail15normal_iteratorINS9_10device_ptrIiEEEENSB_INSC_IxEEEESG_xNS9_4plusIvEENS9_8equal_toIvEExEE10hipError_tPvRmT2_T3_T4_T5_mT6_T7_P12ihipStream_tbENKUlT_T0_E_clISt17integral_constantIbLb1EES10_IbLb0EEEEDaSW_SX_EUlSW_E_NS1_11comp_targetILNS1_3genE2ELNS1_11target_archE906ELNS1_3gpuE6ELNS1_3repE0EEENS1_30default_config_static_selectorELNS0_4arch9wavefront6targetE0EEEvT1_.has_recursion, 0
	.set _ZN7rocprim17ROCPRIM_400000_NS6detail17trampoline_kernelINS0_14default_configENS1_27scan_by_key_config_selectorIixEEZZNS1_16scan_by_key_implILNS1_25lookback_scan_determinismE0ELb0ES3_N6thrust23THRUST_200600_302600_NS6detail15normal_iteratorINS9_10device_ptrIiEEEENSB_INSC_IxEEEESG_xNS9_4plusIvEENS9_8equal_toIvEExEE10hipError_tPvRmT2_T3_T4_T5_mT6_T7_P12ihipStream_tbENKUlT_T0_E_clISt17integral_constantIbLb1EES10_IbLb0EEEEDaSW_SX_EUlSW_E_NS1_11comp_targetILNS1_3genE2ELNS1_11target_archE906ELNS1_3gpuE6ELNS1_3repE0EEENS1_30default_config_static_selectorELNS0_4arch9wavefront6targetE0EEEvT1_.has_indirect_call, 0
	.section	.AMDGPU.csdata,"",@progbits
; Kernel info:
; codeLenInByte = 0
; TotalNumSgprs: 0
; NumVgprs: 0
; ScratchSize: 0
; MemoryBound: 0
; FloatMode: 240
; IeeeMode: 1
; LDSByteSize: 0 bytes/workgroup (compile time only)
; SGPRBlocks: 0
; VGPRBlocks: 0
; NumSGPRsForWavesPerEU: 1
; NumVGPRsForWavesPerEU: 1
; Occupancy: 16
; WaveLimiterHint : 0
; COMPUTE_PGM_RSRC2:SCRATCH_EN: 0
; COMPUTE_PGM_RSRC2:USER_SGPR: 6
; COMPUTE_PGM_RSRC2:TRAP_HANDLER: 0
; COMPUTE_PGM_RSRC2:TGID_X_EN: 1
; COMPUTE_PGM_RSRC2:TGID_Y_EN: 0
; COMPUTE_PGM_RSRC2:TGID_Z_EN: 0
; COMPUTE_PGM_RSRC2:TIDIG_COMP_CNT: 0
	.section	.text._ZN7rocprim17ROCPRIM_400000_NS6detail17trampoline_kernelINS0_14default_configENS1_27scan_by_key_config_selectorIixEEZZNS1_16scan_by_key_implILNS1_25lookback_scan_determinismE0ELb0ES3_N6thrust23THRUST_200600_302600_NS6detail15normal_iteratorINS9_10device_ptrIiEEEENSB_INSC_IxEEEESG_xNS9_4plusIvEENS9_8equal_toIvEExEE10hipError_tPvRmT2_T3_T4_T5_mT6_T7_P12ihipStream_tbENKUlT_T0_E_clISt17integral_constantIbLb1EES10_IbLb0EEEEDaSW_SX_EUlSW_E_NS1_11comp_targetILNS1_3genE10ELNS1_11target_archE1200ELNS1_3gpuE4ELNS1_3repE0EEENS1_30default_config_static_selectorELNS0_4arch9wavefront6targetE0EEEvT1_,"axG",@progbits,_ZN7rocprim17ROCPRIM_400000_NS6detail17trampoline_kernelINS0_14default_configENS1_27scan_by_key_config_selectorIixEEZZNS1_16scan_by_key_implILNS1_25lookback_scan_determinismE0ELb0ES3_N6thrust23THRUST_200600_302600_NS6detail15normal_iteratorINS9_10device_ptrIiEEEENSB_INSC_IxEEEESG_xNS9_4plusIvEENS9_8equal_toIvEExEE10hipError_tPvRmT2_T3_T4_T5_mT6_T7_P12ihipStream_tbENKUlT_T0_E_clISt17integral_constantIbLb1EES10_IbLb0EEEEDaSW_SX_EUlSW_E_NS1_11comp_targetILNS1_3genE10ELNS1_11target_archE1200ELNS1_3gpuE4ELNS1_3repE0EEENS1_30default_config_static_selectorELNS0_4arch9wavefront6targetE0EEEvT1_,comdat
	.protected	_ZN7rocprim17ROCPRIM_400000_NS6detail17trampoline_kernelINS0_14default_configENS1_27scan_by_key_config_selectorIixEEZZNS1_16scan_by_key_implILNS1_25lookback_scan_determinismE0ELb0ES3_N6thrust23THRUST_200600_302600_NS6detail15normal_iteratorINS9_10device_ptrIiEEEENSB_INSC_IxEEEESG_xNS9_4plusIvEENS9_8equal_toIvEExEE10hipError_tPvRmT2_T3_T4_T5_mT6_T7_P12ihipStream_tbENKUlT_T0_E_clISt17integral_constantIbLb1EES10_IbLb0EEEEDaSW_SX_EUlSW_E_NS1_11comp_targetILNS1_3genE10ELNS1_11target_archE1200ELNS1_3gpuE4ELNS1_3repE0EEENS1_30default_config_static_selectorELNS0_4arch9wavefront6targetE0EEEvT1_ ; -- Begin function _ZN7rocprim17ROCPRIM_400000_NS6detail17trampoline_kernelINS0_14default_configENS1_27scan_by_key_config_selectorIixEEZZNS1_16scan_by_key_implILNS1_25lookback_scan_determinismE0ELb0ES3_N6thrust23THRUST_200600_302600_NS6detail15normal_iteratorINS9_10device_ptrIiEEEENSB_INSC_IxEEEESG_xNS9_4plusIvEENS9_8equal_toIvEExEE10hipError_tPvRmT2_T3_T4_T5_mT6_T7_P12ihipStream_tbENKUlT_T0_E_clISt17integral_constantIbLb1EES10_IbLb0EEEEDaSW_SX_EUlSW_E_NS1_11comp_targetILNS1_3genE10ELNS1_11target_archE1200ELNS1_3gpuE4ELNS1_3repE0EEENS1_30default_config_static_selectorELNS0_4arch9wavefront6targetE0EEEvT1_
	.globl	_ZN7rocprim17ROCPRIM_400000_NS6detail17trampoline_kernelINS0_14default_configENS1_27scan_by_key_config_selectorIixEEZZNS1_16scan_by_key_implILNS1_25lookback_scan_determinismE0ELb0ES3_N6thrust23THRUST_200600_302600_NS6detail15normal_iteratorINS9_10device_ptrIiEEEENSB_INSC_IxEEEESG_xNS9_4plusIvEENS9_8equal_toIvEExEE10hipError_tPvRmT2_T3_T4_T5_mT6_T7_P12ihipStream_tbENKUlT_T0_E_clISt17integral_constantIbLb1EES10_IbLb0EEEEDaSW_SX_EUlSW_E_NS1_11comp_targetILNS1_3genE10ELNS1_11target_archE1200ELNS1_3gpuE4ELNS1_3repE0EEENS1_30default_config_static_selectorELNS0_4arch9wavefront6targetE0EEEvT1_
	.p2align	8
	.type	_ZN7rocprim17ROCPRIM_400000_NS6detail17trampoline_kernelINS0_14default_configENS1_27scan_by_key_config_selectorIixEEZZNS1_16scan_by_key_implILNS1_25lookback_scan_determinismE0ELb0ES3_N6thrust23THRUST_200600_302600_NS6detail15normal_iteratorINS9_10device_ptrIiEEEENSB_INSC_IxEEEESG_xNS9_4plusIvEENS9_8equal_toIvEExEE10hipError_tPvRmT2_T3_T4_T5_mT6_T7_P12ihipStream_tbENKUlT_T0_E_clISt17integral_constantIbLb1EES10_IbLb0EEEEDaSW_SX_EUlSW_E_NS1_11comp_targetILNS1_3genE10ELNS1_11target_archE1200ELNS1_3gpuE4ELNS1_3repE0EEENS1_30default_config_static_selectorELNS0_4arch9wavefront6targetE0EEEvT1_,@function
_ZN7rocprim17ROCPRIM_400000_NS6detail17trampoline_kernelINS0_14default_configENS1_27scan_by_key_config_selectorIixEEZZNS1_16scan_by_key_implILNS1_25lookback_scan_determinismE0ELb0ES3_N6thrust23THRUST_200600_302600_NS6detail15normal_iteratorINS9_10device_ptrIiEEEENSB_INSC_IxEEEESG_xNS9_4plusIvEENS9_8equal_toIvEExEE10hipError_tPvRmT2_T3_T4_T5_mT6_T7_P12ihipStream_tbENKUlT_T0_E_clISt17integral_constantIbLb1EES10_IbLb0EEEEDaSW_SX_EUlSW_E_NS1_11comp_targetILNS1_3genE10ELNS1_11target_archE1200ELNS1_3gpuE4ELNS1_3repE0EEENS1_30default_config_static_selectorELNS0_4arch9wavefront6targetE0EEEvT1_: ; @_ZN7rocprim17ROCPRIM_400000_NS6detail17trampoline_kernelINS0_14default_configENS1_27scan_by_key_config_selectorIixEEZZNS1_16scan_by_key_implILNS1_25lookback_scan_determinismE0ELb0ES3_N6thrust23THRUST_200600_302600_NS6detail15normal_iteratorINS9_10device_ptrIiEEEENSB_INSC_IxEEEESG_xNS9_4plusIvEENS9_8equal_toIvEExEE10hipError_tPvRmT2_T3_T4_T5_mT6_T7_P12ihipStream_tbENKUlT_T0_E_clISt17integral_constantIbLb1EES10_IbLb0EEEEDaSW_SX_EUlSW_E_NS1_11comp_targetILNS1_3genE10ELNS1_11target_archE1200ELNS1_3gpuE4ELNS1_3repE0EEENS1_30default_config_static_selectorELNS0_4arch9wavefront6targetE0EEEvT1_
; %bb.0:
	.section	.rodata,"a",@progbits
	.p2align	6, 0x0
	.amdhsa_kernel _ZN7rocprim17ROCPRIM_400000_NS6detail17trampoline_kernelINS0_14default_configENS1_27scan_by_key_config_selectorIixEEZZNS1_16scan_by_key_implILNS1_25lookback_scan_determinismE0ELb0ES3_N6thrust23THRUST_200600_302600_NS6detail15normal_iteratorINS9_10device_ptrIiEEEENSB_INSC_IxEEEESG_xNS9_4plusIvEENS9_8equal_toIvEExEE10hipError_tPvRmT2_T3_T4_T5_mT6_T7_P12ihipStream_tbENKUlT_T0_E_clISt17integral_constantIbLb1EES10_IbLb0EEEEDaSW_SX_EUlSW_E_NS1_11comp_targetILNS1_3genE10ELNS1_11target_archE1200ELNS1_3gpuE4ELNS1_3repE0EEENS1_30default_config_static_selectorELNS0_4arch9wavefront6targetE0EEEvT1_
		.amdhsa_group_segment_fixed_size 0
		.amdhsa_private_segment_fixed_size 0
		.amdhsa_kernarg_size 136
		.amdhsa_user_sgpr_count 6
		.amdhsa_user_sgpr_private_segment_buffer 1
		.amdhsa_user_sgpr_dispatch_ptr 0
		.amdhsa_user_sgpr_queue_ptr 0
		.amdhsa_user_sgpr_kernarg_segment_ptr 1
		.amdhsa_user_sgpr_dispatch_id 0
		.amdhsa_user_sgpr_flat_scratch_init 0
		.amdhsa_user_sgpr_private_segment_size 0
		.amdhsa_wavefront_size32 1
		.amdhsa_uses_dynamic_stack 0
		.amdhsa_system_sgpr_private_segment_wavefront_offset 0
		.amdhsa_system_sgpr_workgroup_id_x 1
		.amdhsa_system_sgpr_workgroup_id_y 0
		.amdhsa_system_sgpr_workgroup_id_z 0
		.amdhsa_system_sgpr_workgroup_info 0
		.amdhsa_system_vgpr_workitem_id 0
		.amdhsa_next_free_vgpr 1
		.amdhsa_next_free_sgpr 1
		.amdhsa_reserve_vcc 0
		.amdhsa_reserve_flat_scratch 0
		.amdhsa_float_round_mode_32 0
		.amdhsa_float_round_mode_16_64 0
		.amdhsa_float_denorm_mode_32 3
		.amdhsa_float_denorm_mode_16_64 3
		.amdhsa_dx10_clamp 1
		.amdhsa_ieee_mode 1
		.amdhsa_fp16_overflow 0
		.amdhsa_workgroup_processor_mode 1
		.amdhsa_memory_ordered 1
		.amdhsa_forward_progress 1
		.amdhsa_shared_vgpr_count 0
		.amdhsa_exception_fp_ieee_invalid_op 0
		.amdhsa_exception_fp_denorm_src 0
		.amdhsa_exception_fp_ieee_div_zero 0
		.amdhsa_exception_fp_ieee_overflow 0
		.amdhsa_exception_fp_ieee_underflow 0
		.amdhsa_exception_fp_ieee_inexact 0
		.amdhsa_exception_int_div_zero 0
	.end_amdhsa_kernel
	.section	.text._ZN7rocprim17ROCPRIM_400000_NS6detail17trampoline_kernelINS0_14default_configENS1_27scan_by_key_config_selectorIixEEZZNS1_16scan_by_key_implILNS1_25lookback_scan_determinismE0ELb0ES3_N6thrust23THRUST_200600_302600_NS6detail15normal_iteratorINS9_10device_ptrIiEEEENSB_INSC_IxEEEESG_xNS9_4plusIvEENS9_8equal_toIvEExEE10hipError_tPvRmT2_T3_T4_T5_mT6_T7_P12ihipStream_tbENKUlT_T0_E_clISt17integral_constantIbLb1EES10_IbLb0EEEEDaSW_SX_EUlSW_E_NS1_11comp_targetILNS1_3genE10ELNS1_11target_archE1200ELNS1_3gpuE4ELNS1_3repE0EEENS1_30default_config_static_selectorELNS0_4arch9wavefront6targetE0EEEvT1_,"axG",@progbits,_ZN7rocprim17ROCPRIM_400000_NS6detail17trampoline_kernelINS0_14default_configENS1_27scan_by_key_config_selectorIixEEZZNS1_16scan_by_key_implILNS1_25lookback_scan_determinismE0ELb0ES3_N6thrust23THRUST_200600_302600_NS6detail15normal_iteratorINS9_10device_ptrIiEEEENSB_INSC_IxEEEESG_xNS9_4plusIvEENS9_8equal_toIvEExEE10hipError_tPvRmT2_T3_T4_T5_mT6_T7_P12ihipStream_tbENKUlT_T0_E_clISt17integral_constantIbLb1EES10_IbLb0EEEEDaSW_SX_EUlSW_E_NS1_11comp_targetILNS1_3genE10ELNS1_11target_archE1200ELNS1_3gpuE4ELNS1_3repE0EEENS1_30default_config_static_selectorELNS0_4arch9wavefront6targetE0EEEvT1_,comdat
.Lfunc_end1337:
	.size	_ZN7rocprim17ROCPRIM_400000_NS6detail17trampoline_kernelINS0_14default_configENS1_27scan_by_key_config_selectorIixEEZZNS1_16scan_by_key_implILNS1_25lookback_scan_determinismE0ELb0ES3_N6thrust23THRUST_200600_302600_NS6detail15normal_iteratorINS9_10device_ptrIiEEEENSB_INSC_IxEEEESG_xNS9_4plusIvEENS9_8equal_toIvEExEE10hipError_tPvRmT2_T3_T4_T5_mT6_T7_P12ihipStream_tbENKUlT_T0_E_clISt17integral_constantIbLb1EES10_IbLb0EEEEDaSW_SX_EUlSW_E_NS1_11comp_targetILNS1_3genE10ELNS1_11target_archE1200ELNS1_3gpuE4ELNS1_3repE0EEENS1_30default_config_static_selectorELNS0_4arch9wavefront6targetE0EEEvT1_, .Lfunc_end1337-_ZN7rocprim17ROCPRIM_400000_NS6detail17trampoline_kernelINS0_14default_configENS1_27scan_by_key_config_selectorIixEEZZNS1_16scan_by_key_implILNS1_25lookback_scan_determinismE0ELb0ES3_N6thrust23THRUST_200600_302600_NS6detail15normal_iteratorINS9_10device_ptrIiEEEENSB_INSC_IxEEEESG_xNS9_4plusIvEENS9_8equal_toIvEExEE10hipError_tPvRmT2_T3_T4_T5_mT6_T7_P12ihipStream_tbENKUlT_T0_E_clISt17integral_constantIbLb1EES10_IbLb0EEEEDaSW_SX_EUlSW_E_NS1_11comp_targetILNS1_3genE10ELNS1_11target_archE1200ELNS1_3gpuE4ELNS1_3repE0EEENS1_30default_config_static_selectorELNS0_4arch9wavefront6targetE0EEEvT1_
                                        ; -- End function
	.set _ZN7rocprim17ROCPRIM_400000_NS6detail17trampoline_kernelINS0_14default_configENS1_27scan_by_key_config_selectorIixEEZZNS1_16scan_by_key_implILNS1_25lookback_scan_determinismE0ELb0ES3_N6thrust23THRUST_200600_302600_NS6detail15normal_iteratorINS9_10device_ptrIiEEEENSB_INSC_IxEEEESG_xNS9_4plusIvEENS9_8equal_toIvEExEE10hipError_tPvRmT2_T3_T4_T5_mT6_T7_P12ihipStream_tbENKUlT_T0_E_clISt17integral_constantIbLb1EES10_IbLb0EEEEDaSW_SX_EUlSW_E_NS1_11comp_targetILNS1_3genE10ELNS1_11target_archE1200ELNS1_3gpuE4ELNS1_3repE0EEENS1_30default_config_static_selectorELNS0_4arch9wavefront6targetE0EEEvT1_.num_vgpr, 0
	.set _ZN7rocprim17ROCPRIM_400000_NS6detail17trampoline_kernelINS0_14default_configENS1_27scan_by_key_config_selectorIixEEZZNS1_16scan_by_key_implILNS1_25lookback_scan_determinismE0ELb0ES3_N6thrust23THRUST_200600_302600_NS6detail15normal_iteratorINS9_10device_ptrIiEEEENSB_INSC_IxEEEESG_xNS9_4plusIvEENS9_8equal_toIvEExEE10hipError_tPvRmT2_T3_T4_T5_mT6_T7_P12ihipStream_tbENKUlT_T0_E_clISt17integral_constantIbLb1EES10_IbLb0EEEEDaSW_SX_EUlSW_E_NS1_11comp_targetILNS1_3genE10ELNS1_11target_archE1200ELNS1_3gpuE4ELNS1_3repE0EEENS1_30default_config_static_selectorELNS0_4arch9wavefront6targetE0EEEvT1_.num_agpr, 0
	.set _ZN7rocprim17ROCPRIM_400000_NS6detail17trampoline_kernelINS0_14default_configENS1_27scan_by_key_config_selectorIixEEZZNS1_16scan_by_key_implILNS1_25lookback_scan_determinismE0ELb0ES3_N6thrust23THRUST_200600_302600_NS6detail15normal_iteratorINS9_10device_ptrIiEEEENSB_INSC_IxEEEESG_xNS9_4plusIvEENS9_8equal_toIvEExEE10hipError_tPvRmT2_T3_T4_T5_mT6_T7_P12ihipStream_tbENKUlT_T0_E_clISt17integral_constantIbLb1EES10_IbLb0EEEEDaSW_SX_EUlSW_E_NS1_11comp_targetILNS1_3genE10ELNS1_11target_archE1200ELNS1_3gpuE4ELNS1_3repE0EEENS1_30default_config_static_selectorELNS0_4arch9wavefront6targetE0EEEvT1_.numbered_sgpr, 0
	.set _ZN7rocprim17ROCPRIM_400000_NS6detail17trampoline_kernelINS0_14default_configENS1_27scan_by_key_config_selectorIixEEZZNS1_16scan_by_key_implILNS1_25lookback_scan_determinismE0ELb0ES3_N6thrust23THRUST_200600_302600_NS6detail15normal_iteratorINS9_10device_ptrIiEEEENSB_INSC_IxEEEESG_xNS9_4plusIvEENS9_8equal_toIvEExEE10hipError_tPvRmT2_T3_T4_T5_mT6_T7_P12ihipStream_tbENKUlT_T0_E_clISt17integral_constantIbLb1EES10_IbLb0EEEEDaSW_SX_EUlSW_E_NS1_11comp_targetILNS1_3genE10ELNS1_11target_archE1200ELNS1_3gpuE4ELNS1_3repE0EEENS1_30default_config_static_selectorELNS0_4arch9wavefront6targetE0EEEvT1_.num_named_barrier, 0
	.set _ZN7rocprim17ROCPRIM_400000_NS6detail17trampoline_kernelINS0_14default_configENS1_27scan_by_key_config_selectorIixEEZZNS1_16scan_by_key_implILNS1_25lookback_scan_determinismE0ELb0ES3_N6thrust23THRUST_200600_302600_NS6detail15normal_iteratorINS9_10device_ptrIiEEEENSB_INSC_IxEEEESG_xNS9_4plusIvEENS9_8equal_toIvEExEE10hipError_tPvRmT2_T3_T4_T5_mT6_T7_P12ihipStream_tbENKUlT_T0_E_clISt17integral_constantIbLb1EES10_IbLb0EEEEDaSW_SX_EUlSW_E_NS1_11comp_targetILNS1_3genE10ELNS1_11target_archE1200ELNS1_3gpuE4ELNS1_3repE0EEENS1_30default_config_static_selectorELNS0_4arch9wavefront6targetE0EEEvT1_.private_seg_size, 0
	.set _ZN7rocprim17ROCPRIM_400000_NS6detail17trampoline_kernelINS0_14default_configENS1_27scan_by_key_config_selectorIixEEZZNS1_16scan_by_key_implILNS1_25lookback_scan_determinismE0ELb0ES3_N6thrust23THRUST_200600_302600_NS6detail15normal_iteratorINS9_10device_ptrIiEEEENSB_INSC_IxEEEESG_xNS9_4plusIvEENS9_8equal_toIvEExEE10hipError_tPvRmT2_T3_T4_T5_mT6_T7_P12ihipStream_tbENKUlT_T0_E_clISt17integral_constantIbLb1EES10_IbLb0EEEEDaSW_SX_EUlSW_E_NS1_11comp_targetILNS1_3genE10ELNS1_11target_archE1200ELNS1_3gpuE4ELNS1_3repE0EEENS1_30default_config_static_selectorELNS0_4arch9wavefront6targetE0EEEvT1_.uses_vcc, 0
	.set _ZN7rocprim17ROCPRIM_400000_NS6detail17trampoline_kernelINS0_14default_configENS1_27scan_by_key_config_selectorIixEEZZNS1_16scan_by_key_implILNS1_25lookback_scan_determinismE0ELb0ES3_N6thrust23THRUST_200600_302600_NS6detail15normal_iteratorINS9_10device_ptrIiEEEENSB_INSC_IxEEEESG_xNS9_4plusIvEENS9_8equal_toIvEExEE10hipError_tPvRmT2_T3_T4_T5_mT6_T7_P12ihipStream_tbENKUlT_T0_E_clISt17integral_constantIbLb1EES10_IbLb0EEEEDaSW_SX_EUlSW_E_NS1_11comp_targetILNS1_3genE10ELNS1_11target_archE1200ELNS1_3gpuE4ELNS1_3repE0EEENS1_30default_config_static_selectorELNS0_4arch9wavefront6targetE0EEEvT1_.uses_flat_scratch, 0
	.set _ZN7rocprim17ROCPRIM_400000_NS6detail17trampoline_kernelINS0_14default_configENS1_27scan_by_key_config_selectorIixEEZZNS1_16scan_by_key_implILNS1_25lookback_scan_determinismE0ELb0ES3_N6thrust23THRUST_200600_302600_NS6detail15normal_iteratorINS9_10device_ptrIiEEEENSB_INSC_IxEEEESG_xNS9_4plusIvEENS9_8equal_toIvEExEE10hipError_tPvRmT2_T3_T4_T5_mT6_T7_P12ihipStream_tbENKUlT_T0_E_clISt17integral_constantIbLb1EES10_IbLb0EEEEDaSW_SX_EUlSW_E_NS1_11comp_targetILNS1_3genE10ELNS1_11target_archE1200ELNS1_3gpuE4ELNS1_3repE0EEENS1_30default_config_static_selectorELNS0_4arch9wavefront6targetE0EEEvT1_.has_dyn_sized_stack, 0
	.set _ZN7rocprim17ROCPRIM_400000_NS6detail17trampoline_kernelINS0_14default_configENS1_27scan_by_key_config_selectorIixEEZZNS1_16scan_by_key_implILNS1_25lookback_scan_determinismE0ELb0ES3_N6thrust23THRUST_200600_302600_NS6detail15normal_iteratorINS9_10device_ptrIiEEEENSB_INSC_IxEEEESG_xNS9_4plusIvEENS9_8equal_toIvEExEE10hipError_tPvRmT2_T3_T4_T5_mT6_T7_P12ihipStream_tbENKUlT_T0_E_clISt17integral_constantIbLb1EES10_IbLb0EEEEDaSW_SX_EUlSW_E_NS1_11comp_targetILNS1_3genE10ELNS1_11target_archE1200ELNS1_3gpuE4ELNS1_3repE0EEENS1_30default_config_static_selectorELNS0_4arch9wavefront6targetE0EEEvT1_.has_recursion, 0
	.set _ZN7rocprim17ROCPRIM_400000_NS6detail17trampoline_kernelINS0_14default_configENS1_27scan_by_key_config_selectorIixEEZZNS1_16scan_by_key_implILNS1_25lookback_scan_determinismE0ELb0ES3_N6thrust23THRUST_200600_302600_NS6detail15normal_iteratorINS9_10device_ptrIiEEEENSB_INSC_IxEEEESG_xNS9_4plusIvEENS9_8equal_toIvEExEE10hipError_tPvRmT2_T3_T4_T5_mT6_T7_P12ihipStream_tbENKUlT_T0_E_clISt17integral_constantIbLb1EES10_IbLb0EEEEDaSW_SX_EUlSW_E_NS1_11comp_targetILNS1_3genE10ELNS1_11target_archE1200ELNS1_3gpuE4ELNS1_3repE0EEENS1_30default_config_static_selectorELNS0_4arch9wavefront6targetE0EEEvT1_.has_indirect_call, 0
	.section	.AMDGPU.csdata,"",@progbits
; Kernel info:
; codeLenInByte = 0
; TotalNumSgprs: 0
; NumVgprs: 0
; ScratchSize: 0
; MemoryBound: 0
; FloatMode: 240
; IeeeMode: 1
; LDSByteSize: 0 bytes/workgroup (compile time only)
; SGPRBlocks: 0
; VGPRBlocks: 0
; NumSGPRsForWavesPerEU: 1
; NumVGPRsForWavesPerEU: 1
; Occupancy: 16
; WaveLimiterHint : 0
; COMPUTE_PGM_RSRC2:SCRATCH_EN: 0
; COMPUTE_PGM_RSRC2:USER_SGPR: 6
; COMPUTE_PGM_RSRC2:TRAP_HANDLER: 0
; COMPUTE_PGM_RSRC2:TGID_X_EN: 1
; COMPUTE_PGM_RSRC2:TGID_Y_EN: 0
; COMPUTE_PGM_RSRC2:TGID_Z_EN: 0
; COMPUTE_PGM_RSRC2:TIDIG_COMP_CNT: 0
	.section	.text._ZN7rocprim17ROCPRIM_400000_NS6detail17trampoline_kernelINS0_14default_configENS1_27scan_by_key_config_selectorIixEEZZNS1_16scan_by_key_implILNS1_25lookback_scan_determinismE0ELb0ES3_N6thrust23THRUST_200600_302600_NS6detail15normal_iteratorINS9_10device_ptrIiEEEENSB_INSC_IxEEEESG_xNS9_4plusIvEENS9_8equal_toIvEExEE10hipError_tPvRmT2_T3_T4_T5_mT6_T7_P12ihipStream_tbENKUlT_T0_E_clISt17integral_constantIbLb1EES10_IbLb0EEEEDaSW_SX_EUlSW_E_NS1_11comp_targetILNS1_3genE9ELNS1_11target_archE1100ELNS1_3gpuE3ELNS1_3repE0EEENS1_30default_config_static_selectorELNS0_4arch9wavefront6targetE0EEEvT1_,"axG",@progbits,_ZN7rocprim17ROCPRIM_400000_NS6detail17trampoline_kernelINS0_14default_configENS1_27scan_by_key_config_selectorIixEEZZNS1_16scan_by_key_implILNS1_25lookback_scan_determinismE0ELb0ES3_N6thrust23THRUST_200600_302600_NS6detail15normal_iteratorINS9_10device_ptrIiEEEENSB_INSC_IxEEEESG_xNS9_4plusIvEENS9_8equal_toIvEExEE10hipError_tPvRmT2_T3_T4_T5_mT6_T7_P12ihipStream_tbENKUlT_T0_E_clISt17integral_constantIbLb1EES10_IbLb0EEEEDaSW_SX_EUlSW_E_NS1_11comp_targetILNS1_3genE9ELNS1_11target_archE1100ELNS1_3gpuE3ELNS1_3repE0EEENS1_30default_config_static_selectorELNS0_4arch9wavefront6targetE0EEEvT1_,comdat
	.protected	_ZN7rocprim17ROCPRIM_400000_NS6detail17trampoline_kernelINS0_14default_configENS1_27scan_by_key_config_selectorIixEEZZNS1_16scan_by_key_implILNS1_25lookback_scan_determinismE0ELb0ES3_N6thrust23THRUST_200600_302600_NS6detail15normal_iteratorINS9_10device_ptrIiEEEENSB_INSC_IxEEEESG_xNS9_4plusIvEENS9_8equal_toIvEExEE10hipError_tPvRmT2_T3_T4_T5_mT6_T7_P12ihipStream_tbENKUlT_T0_E_clISt17integral_constantIbLb1EES10_IbLb0EEEEDaSW_SX_EUlSW_E_NS1_11comp_targetILNS1_3genE9ELNS1_11target_archE1100ELNS1_3gpuE3ELNS1_3repE0EEENS1_30default_config_static_selectorELNS0_4arch9wavefront6targetE0EEEvT1_ ; -- Begin function _ZN7rocprim17ROCPRIM_400000_NS6detail17trampoline_kernelINS0_14default_configENS1_27scan_by_key_config_selectorIixEEZZNS1_16scan_by_key_implILNS1_25lookback_scan_determinismE0ELb0ES3_N6thrust23THRUST_200600_302600_NS6detail15normal_iteratorINS9_10device_ptrIiEEEENSB_INSC_IxEEEESG_xNS9_4plusIvEENS9_8equal_toIvEExEE10hipError_tPvRmT2_T3_T4_T5_mT6_T7_P12ihipStream_tbENKUlT_T0_E_clISt17integral_constantIbLb1EES10_IbLb0EEEEDaSW_SX_EUlSW_E_NS1_11comp_targetILNS1_3genE9ELNS1_11target_archE1100ELNS1_3gpuE3ELNS1_3repE0EEENS1_30default_config_static_selectorELNS0_4arch9wavefront6targetE0EEEvT1_
	.globl	_ZN7rocprim17ROCPRIM_400000_NS6detail17trampoline_kernelINS0_14default_configENS1_27scan_by_key_config_selectorIixEEZZNS1_16scan_by_key_implILNS1_25lookback_scan_determinismE0ELb0ES3_N6thrust23THRUST_200600_302600_NS6detail15normal_iteratorINS9_10device_ptrIiEEEENSB_INSC_IxEEEESG_xNS9_4plusIvEENS9_8equal_toIvEExEE10hipError_tPvRmT2_T3_T4_T5_mT6_T7_P12ihipStream_tbENKUlT_T0_E_clISt17integral_constantIbLb1EES10_IbLb0EEEEDaSW_SX_EUlSW_E_NS1_11comp_targetILNS1_3genE9ELNS1_11target_archE1100ELNS1_3gpuE3ELNS1_3repE0EEENS1_30default_config_static_selectorELNS0_4arch9wavefront6targetE0EEEvT1_
	.p2align	8
	.type	_ZN7rocprim17ROCPRIM_400000_NS6detail17trampoline_kernelINS0_14default_configENS1_27scan_by_key_config_selectorIixEEZZNS1_16scan_by_key_implILNS1_25lookback_scan_determinismE0ELb0ES3_N6thrust23THRUST_200600_302600_NS6detail15normal_iteratorINS9_10device_ptrIiEEEENSB_INSC_IxEEEESG_xNS9_4plusIvEENS9_8equal_toIvEExEE10hipError_tPvRmT2_T3_T4_T5_mT6_T7_P12ihipStream_tbENKUlT_T0_E_clISt17integral_constantIbLb1EES10_IbLb0EEEEDaSW_SX_EUlSW_E_NS1_11comp_targetILNS1_3genE9ELNS1_11target_archE1100ELNS1_3gpuE3ELNS1_3repE0EEENS1_30default_config_static_selectorELNS0_4arch9wavefront6targetE0EEEvT1_,@function
_ZN7rocprim17ROCPRIM_400000_NS6detail17trampoline_kernelINS0_14default_configENS1_27scan_by_key_config_selectorIixEEZZNS1_16scan_by_key_implILNS1_25lookback_scan_determinismE0ELb0ES3_N6thrust23THRUST_200600_302600_NS6detail15normal_iteratorINS9_10device_ptrIiEEEENSB_INSC_IxEEEESG_xNS9_4plusIvEENS9_8equal_toIvEExEE10hipError_tPvRmT2_T3_T4_T5_mT6_T7_P12ihipStream_tbENKUlT_T0_E_clISt17integral_constantIbLb1EES10_IbLb0EEEEDaSW_SX_EUlSW_E_NS1_11comp_targetILNS1_3genE9ELNS1_11target_archE1100ELNS1_3gpuE3ELNS1_3repE0EEENS1_30default_config_static_selectorELNS0_4arch9wavefront6targetE0EEEvT1_: ; @_ZN7rocprim17ROCPRIM_400000_NS6detail17trampoline_kernelINS0_14default_configENS1_27scan_by_key_config_selectorIixEEZZNS1_16scan_by_key_implILNS1_25lookback_scan_determinismE0ELb0ES3_N6thrust23THRUST_200600_302600_NS6detail15normal_iteratorINS9_10device_ptrIiEEEENSB_INSC_IxEEEESG_xNS9_4plusIvEENS9_8equal_toIvEExEE10hipError_tPvRmT2_T3_T4_T5_mT6_T7_P12ihipStream_tbENKUlT_T0_E_clISt17integral_constantIbLb1EES10_IbLb0EEEEDaSW_SX_EUlSW_E_NS1_11comp_targetILNS1_3genE9ELNS1_11target_archE1100ELNS1_3gpuE3ELNS1_3repE0EEENS1_30default_config_static_selectorELNS0_4arch9wavefront6targetE0EEEvT1_
; %bb.0:
	.section	.rodata,"a",@progbits
	.p2align	6, 0x0
	.amdhsa_kernel _ZN7rocprim17ROCPRIM_400000_NS6detail17trampoline_kernelINS0_14default_configENS1_27scan_by_key_config_selectorIixEEZZNS1_16scan_by_key_implILNS1_25lookback_scan_determinismE0ELb0ES3_N6thrust23THRUST_200600_302600_NS6detail15normal_iteratorINS9_10device_ptrIiEEEENSB_INSC_IxEEEESG_xNS9_4plusIvEENS9_8equal_toIvEExEE10hipError_tPvRmT2_T3_T4_T5_mT6_T7_P12ihipStream_tbENKUlT_T0_E_clISt17integral_constantIbLb1EES10_IbLb0EEEEDaSW_SX_EUlSW_E_NS1_11comp_targetILNS1_3genE9ELNS1_11target_archE1100ELNS1_3gpuE3ELNS1_3repE0EEENS1_30default_config_static_selectorELNS0_4arch9wavefront6targetE0EEEvT1_
		.amdhsa_group_segment_fixed_size 0
		.amdhsa_private_segment_fixed_size 0
		.amdhsa_kernarg_size 136
		.amdhsa_user_sgpr_count 6
		.amdhsa_user_sgpr_private_segment_buffer 1
		.amdhsa_user_sgpr_dispatch_ptr 0
		.amdhsa_user_sgpr_queue_ptr 0
		.amdhsa_user_sgpr_kernarg_segment_ptr 1
		.amdhsa_user_sgpr_dispatch_id 0
		.amdhsa_user_sgpr_flat_scratch_init 0
		.amdhsa_user_sgpr_private_segment_size 0
		.amdhsa_wavefront_size32 1
		.amdhsa_uses_dynamic_stack 0
		.amdhsa_system_sgpr_private_segment_wavefront_offset 0
		.amdhsa_system_sgpr_workgroup_id_x 1
		.amdhsa_system_sgpr_workgroup_id_y 0
		.amdhsa_system_sgpr_workgroup_id_z 0
		.amdhsa_system_sgpr_workgroup_info 0
		.amdhsa_system_vgpr_workitem_id 0
		.amdhsa_next_free_vgpr 1
		.amdhsa_next_free_sgpr 1
		.amdhsa_reserve_vcc 0
		.amdhsa_reserve_flat_scratch 0
		.amdhsa_float_round_mode_32 0
		.amdhsa_float_round_mode_16_64 0
		.amdhsa_float_denorm_mode_32 3
		.amdhsa_float_denorm_mode_16_64 3
		.amdhsa_dx10_clamp 1
		.amdhsa_ieee_mode 1
		.amdhsa_fp16_overflow 0
		.amdhsa_workgroup_processor_mode 1
		.amdhsa_memory_ordered 1
		.amdhsa_forward_progress 1
		.amdhsa_shared_vgpr_count 0
		.amdhsa_exception_fp_ieee_invalid_op 0
		.amdhsa_exception_fp_denorm_src 0
		.amdhsa_exception_fp_ieee_div_zero 0
		.amdhsa_exception_fp_ieee_overflow 0
		.amdhsa_exception_fp_ieee_underflow 0
		.amdhsa_exception_fp_ieee_inexact 0
		.amdhsa_exception_int_div_zero 0
	.end_amdhsa_kernel
	.section	.text._ZN7rocprim17ROCPRIM_400000_NS6detail17trampoline_kernelINS0_14default_configENS1_27scan_by_key_config_selectorIixEEZZNS1_16scan_by_key_implILNS1_25lookback_scan_determinismE0ELb0ES3_N6thrust23THRUST_200600_302600_NS6detail15normal_iteratorINS9_10device_ptrIiEEEENSB_INSC_IxEEEESG_xNS9_4plusIvEENS9_8equal_toIvEExEE10hipError_tPvRmT2_T3_T4_T5_mT6_T7_P12ihipStream_tbENKUlT_T0_E_clISt17integral_constantIbLb1EES10_IbLb0EEEEDaSW_SX_EUlSW_E_NS1_11comp_targetILNS1_3genE9ELNS1_11target_archE1100ELNS1_3gpuE3ELNS1_3repE0EEENS1_30default_config_static_selectorELNS0_4arch9wavefront6targetE0EEEvT1_,"axG",@progbits,_ZN7rocprim17ROCPRIM_400000_NS6detail17trampoline_kernelINS0_14default_configENS1_27scan_by_key_config_selectorIixEEZZNS1_16scan_by_key_implILNS1_25lookback_scan_determinismE0ELb0ES3_N6thrust23THRUST_200600_302600_NS6detail15normal_iteratorINS9_10device_ptrIiEEEENSB_INSC_IxEEEESG_xNS9_4plusIvEENS9_8equal_toIvEExEE10hipError_tPvRmT2_T3_T4_T5_mT6_T7_P12ihipStream_tbENKUlT_T0_E_clISt17integral_constantIbLb1EES10_IbLb0EEEEDaSW_SX_EUlSW_E_NS1_11comp_targetILNS1_3genE9ELNS1_11target_archE1100ELNS1_3gpuE3ELNS1_3repE0EEENS1_30default_config_static_selectorELNS0_4arch9wavefront6targetE0EEEvT1_,comdat
.Lfunc_end1338:
	.size	_ZN7rocprim17ROCPRIM_400000_NS6detail17trampoline_kernelINS0_14default_configENS1_27scan_by_key_config_selectorIixEEZZNS1_16scan_by_key_implILNS1_25lookback_scan_determinismE0ELb0ES3_N6thrust23THRUST_200600_302600_NS6detail15normal_iteratorINS9_10device_ptrIiEEEENSB_INSC_IxEEEESG_xNS9_4plusIvEENS9_8equal_toIvEExEE10hipError_tPvRmT2_T3_T4_T5_mT6_T7_P12ihipStream_tbENKUlT_T0_E_clISt17integral_constantIbLb1EES10_IbLb0EEEEDaSW_SX_EUlSW_E_NS1_11comp_targetILNS1_3genE9ELNS1_11target_archE1100ELNS1_3gpuE3ELNS1_3repE0EEENS1_30default_config_static_selectorELNS0_4arch9wavefront6targetE0EEEvT1_, .Lfunc_end1338-_ZN7rocprim17ROCPRIM_400000_NS6detail17trampoline_kernelINS0_14default_configENS1_27scan_by_key_config_selectorIixEEZZNS1_16scan_by_key_implILNS1_25lookback_scan_determinismE0ELb0ES3_N6thrust23THRUST_200600_302600_NS6detail15normal_iteratorINS9_10device_ptrIiEEEENSB_INSC_IxEEEESG_xNS9_4plusIvEENS9_8equal_toIvEExEE10hipError_tPvRmT2_T3_T4_T5_mT6_T7_P12ihipStream_tbENKUlT_T0_E_clISt17integral_constantIbLb1EES10_IbLb0EEEEDaSW_SX_EUlSW_E_NS1_11comp_targetILNS1_3genE9ELNS1_11target_archE1100ELNS1_3gpuE3ELNS1_3repE0EEENS1_30default_config_static_selectorELNS0_4arch9wavefront6targetE0EEEvT1_
                                        ; -- End function
	.set _ZN7rocprim17ROCPRIM_400000_NS6detail17trampoline_kernelINS0_14default_configENS1_27scan_by_key_config_selectorIixEEZZNS1_16scan_by_key_implILNS1_25lookback_scan_determinismE0ELb0ES3_N6thrust23THRUST_200600_302600_NS6detail15normal_iteratorINS9_10device_ptrIiEEEENSB_INSC_IxEEEESG_xNS9_4plusIvEENS9_8equal_toIvEExEE10hipError_tPvRmT2_T3_T4_T5_mT6_T7_P12ihipStream_tbENKUlT_T0_E_clISt17integral_constantIbLb1EES10_IbLb0EEEEDaSW_SX_EUlSW_E_NS1_11comp_targetILNS1_3genE9ELNS1_11target_archE1100ELNS1_3gpuE3ELNS1_3repE0EEENS1_30default_config_static_selectorELNS0_4arch9wavefront6targetE0EEEvT1_.num_vgpr, 0
	.set _ZN7rocprim17ROCPRIM_400000_NS6detail17trampoline_kernelINS0_14default_configENS1_27scan_by_key_config_selectorIixEEZZNS1_16scan_by_key_implILNS1_25lookback_scan_determinismE0ELb0ES3_N6thrust23THRUST_200600_302600_NS6detail15normal_iteratorINS9_10device_ptrIiEEEENSB_INSC_IxEEEESG_xNS9_4plusIvEENS9_8equal_toIvEExEE10hipError_tPvRmT2_T3_T4_T5_mT6_T7_P12ihipStream_tbENKUlT_T0_E_clISt17integral_constantIbLb1EES10_IbLb0EEEEDaSW_SX_EUlSW_E_NS1_11comp_targetILNS1_3genE9ELNS1_11target_archE1100ELNS1_3gpuE3ELNS1_3repE0EEENS1_30default_config_static_selectorELNS0_4arch9wavefront6targetE0EEEvT1_.num_agpr, 0
	.set _ZN7rocprim17ROCPRIM_400000_NS6detail17trampoline_kernelINS0_14default_configENS1_27scan_by_key_config_selectorIixEEZZNS1_16scan_by_key_implILNS1_25lookback_scan_determinismE0ELb0ES3_N6thrust23THRUST_200600_302600_NS6detail15normal_iteratorINS9_10device_ptrIiEEEENSB_INSC_IxEEEESG_xNS9_4plusIvEENS9_8equal_toIvEExEE10hipError_tPvRmT2_T3_T4_T5_mT6_T7_P12ihipStream_tbENKUlT_T0_E_clISt17integral_constantIbLb1EES10_IbLb0EEEEDaSW_SX_EUlSW_E_NS1_11comp_targetILNS1_3genE9ELNS1_11target_archE1100ELNS1_3gpuE3ELNS1_3repE0EEENS1_30default_config_static_selectorELNS0_4arch9wavefront6targetE0EEEvT1_.numbered_sgpr, 0
	.set _ZN7rocprim17ROCPRIM_400000_NS6detail17trampoline_kernelINS0_14default_configENS1_27scan_by_key_config_selectorIixEEZZNS1_16scan_by_key_implILNS1_25lookback_scan_determinismE0ELb0ES3_N6thrust23THRUST_200600_302600_NS6detail15normal_iteratorINS9_10device_ptrIiEEEENSB_INSC_IxEEEESG_xNS9_4plusIvEENS9_8equal_toIvEExEE10hipError_tPvRmT2_T3_T4_T5_mT6_T7_P12ihipStream_tbENKUlT_T0_E_clISt17integral_constantIbLb1EES10_IbLb0EEEEDaSW_SX_EUlSW_E_NS1_11comp_targetILNS1_3genE9ELNS1_11target_archE1100ELNS1_3gpuE3ELNS1_3repE0EEENS1_30default_config_static_selectorELNS0_4arch9wavefront6targetE0EEEvT1_.num_named_barrier, 0
	.set _ZN7rocprim17ROCPRIM_400000_NS6detail17trampoline_kernelINS0_14default_configENS1_27scan_by_key_config_selectorIixEEZZNS1_16scan_by_key_implILNS1_25lookback_scan_determinismE0ELb0ES3_N6thrust23THRUST_200600_302600_NS6detail15normal_iteratorINS9_10device_ptrIiEEEENSB_INSC_IxEEEESG_xNS9_4plusIvEENS9_8equal_toIvEExEE10hipError_tPvRmT2_T3_T4_T5_mT6_T7_P12ihipStream_tbENKUlT_T0_E_clISt17integral_constantIbLb1EES10_IbLb0EEEEDaSW_SX_EUlSW_E_NS1_11comp_targetILNS1_3genE9ELNS1_11target_archE1100ELNS1_3gpuE3ELNS1_3repE0EEENS1_30default_config_static_selectorELNS0_4arch9wavefront6targetE0EEEvT1_.private_seg_size, 0
	.set _ZN7rocprim17ROCPRIM_400000_NS6detail17trampoline_kernelINS0_14default_configENS1_27scan_by_key_config_selectorIixEEZZNS1_16scan_by_key_implILNS1_25lookback_scan_determinismE0ELb0ES3_N6thrust23THRUST_200600_302600_NS6detail15normal_iteratorINS9_10device_ptrIiEEEENSB_INSC_IxEEEESG_xNS9_4plusIvEENS9_8equal_toIvEExEE10hipError_tPvRmT2_T3_T4_T5_mT6_T7_P12ihipStream_tbENKUlT_T0_E_clISt17integral_constantIbLb1EES10_IbLb0EEEEDaSW_SX_EUlSW_E_NS1_11comp_targetILNS1_3genE9ELNS1_11target_archE1100ELNS1_3gpuE3ELNS1_3repE0EEENS1_30default_config_static_selectorELNS0_4arch9wavefront6targetE0EEEvT1_.uses_vcc, 0
	.set _ZN7rocprim17ROCPRIM_400000_NS6detail17trampoline_kernelINS0_14default_configENS1_27scan_by_key_config_selectorIixEEZZNS1_16scan_by_key_implILNS1_25lookback_scan_determinismE0ELb0ES3_N6thrust23THRUST_200600_302600_NS6detail15normal_iteratorINS9_10device_ptrIiEEEENSB_INSC_IxEEEESG_xNS9_4plusIvEENS9_8equal_toIvEExEE10hipError_tPvRmT2_T3_T4_T5_mT6_T7_P12ihipStream_tbENKUlT_T0_E_clISt17integral_constantIbLb1EES10_IbLb0EEEEDaSW_SX_EUlSW_E_NS1_11comp_targetILNS1_3genE9ELNS1_11target_archE1100ELNS1_3gpuE3ELNS1_3repE0EEENS1_30default_config_static_selectorELNS0_4arch9wavefront6targetE0EEEvT1_.uses_flat_scratch, 0
	.set _ZN7rocprim17ROCPRIM_400000_NS6detail17trampoline_kernelINS0_14default_configENS1_27scan_by_key_config_selectorIixEEZZNS1_16scan_by_key_implILNS1_25lookback_scan_determinismE0ELb0ES3_N6thrust23THRUST_200600_302600_NS6detail15normal_iteratorINS9_10device_ptrIiEEEENSB_INSC_IxEEEESG_xNS9_4plusIvEENS9_8equal_toIvEExEE10hipError_tPvRmT2_T3_T4_T5_mT6_T7_P12ihipStream_tbENKUlT_T0_E_clISt17integral_constantIbLb1EES10_IbLb0EEEEDaSW_SX_EUlSW_E_NS1_11comp_targetILNS1_3genE9ELNS1_11target_archE1100ELNS1_3gpuE3ELNS1_3repE0EEENS1_30default_config_static_selectorELNS0_4arch9wavefront6targetE0EEEvT1_.has_dyn_sized_stack, 0
	.set _ZN7rocprim17ROCPRIM_400000_NS6detail17trampoline_kernelINS0_14default_configENS1_27scan_by_key_config_selectorIixEEZZNS1_16scan_by_key_implILNS1_25lookback_scan_determinismE0ELb0ES3_N6thrust23THRUST_200600_302600_NS6detail15normal_iteratorINS9_10device_ptrIiEEEENSB_INSC_IxEEEESG_xNS9_4plusIvEENS9_8equal_toIvEExEE10hipError_tPvRmT2_T3_T4_T5_mT6_T7_P12ihipStream_tbENKUlT_T0_E_clISt17integral_constantIbLb1EES10_IbLb0EEEEDaSW_SX_EUlSW_E_NS1_11comp_targetILNS1_3genE9ELNS1_11target_archE1100ELNS1_3gpuE3ELNS1_3repE0EEENS1_30default_config_static_selectorELNS0_4arch9wavefront6targetE0EEEvT1_.has_recursion, 0
	.set _ZN7rocprim17ROCPRIM_400000_NS6detail17trampoline_kernelINS0_14default_configENS1_27scan_by_key_config_selectorIixEEZZNS1_16scan_by_key_implILNS1_25lookback_scan_determinismE0ELb0ES3_N6thrust23THRUST_200600_302600_NS6detail15normal_iteratorINS9_10device_ptrIiEEEENSB_INSC_IxEEEESG_xNS9_4plusIvEENS9_8equal_toIvEExEE10hipError_tPvRmT2_T3_T4_T5_mT6_T7_P12ihipStream_tbENKUlT_T0_E_clISt17integral_constantIbLb1EES10_IbLb0EEEEDaSW_SX_EUlSW_E_NS1_11comp_targetILNS1_3genE9ELNS1_11target_archE1100ELNS1_3gpuE3ELNS1_3repE0EEENS1_30default_config_static_selectorELNS0_4arch9wavefront6targetE0EEEvT1_.has_indirect_call, 0
	.section	.AMDGPU.csdata,"",@progbits
; Kernel info:
; codeLenInByte = 0
; TotalNumSgprs: 0
; NumVgprs: 0
; ScratchSize: 0
; MemoryBound: 0
; FloatMode: 240
; IeeeMode: 1
; LDSByteSize: 0 bytes/workgroup (compile time only)
; SGPRBlocks: 0
; VGPRBlocks: 0
; NumSGPRsForWavesPerEU: 1
; NumVGPRsForWavesPerEU: 1
; Occupancy: 16
; WaveLimiterHint : 0
; COMPUTE_PGM_RSRC2:SCRATCH_EN: 0
; COMPUTE_PGM_RSRC2:USER_SGPR: 6
; COMPUTE_PGM_RSRC2:TRAP_HANDLER: 0
; COMPUTE_PGM_RSRC2:TGID_X_EN: 1
; COMPUTE_PGM_RSRC2:TGID_Y_EN: 0
; COMPUTE_PGM_RSRC2:TGID_Z_EN: 0
; COMPUTE_PGM_RSRC2:TIDIG_COMP_CNT: 0
	.section	.text._ZN7rocprim17ROCPRIM_400000_NS6detail17trampoline_kernelINS0_14default_configENS1_27scan_by_key_config_selectorIixEEZZNS1_16scan_by_key_implILNS1_25lookback_scan_determinismE0ELb0ES3_N6thrust23THRUST_200600_302600_NS6detail15normal_iteratorINS9_10device_ptrIiEEEENSB_INSC_IxEEEESG_xNS9_4plusIvEENS9_8equal_toIvEExEE10hipError_tPvRmT2_T3_T4_T5_mT6_T7_P12ihipStream_tbENKUlT_T0_E_clISt17integral_constantIbLb1EES10_IbLb0EEEEDaSW_SX_EUlSW_E_NS1_11comp_targetILNS1_3genE8ELNS1_11target_archE1030ELNS1_3gpuE2ELNS1_3repE0EEENS1_30default_config_static_selectorELNS0_4arch9wavefront6targetE0EEEvT1_,"axG",@progbits,_ZN7rocprim17ROCPRIM_400000_NS6detail17trampoline_kernelINS0_14default_configENS1_27scan_by_key_config_selectorIixEEZZNS1_16scan_by_key_implILNS1_25lookback_scan_determinismE0ELb0ES3_N6thrust23THRUST_200600_302600_NS6detail15normal_iteratorINS9_10device_ptrIiEEEENSB_INSC_IxEEEESG_xNS9_4plusIvEENS9_8equal_toIvEExEE10hipError_tPvRmT2_T3_T4_T5_mT6_T7_P12ihipStream_tbENKUlT_T0_E_clISt17integral_constantIbLb1EES10_IbLb0EEEEDaSW_SX_EUlSW_E_NS1_11comp_targetILNS1_3genE8ELNS1_11target_archE1030ELNS1_3gpuE2ELNS1_3repE0EEENS1_30default_config_static_selectorELNS0_4arch9wavefront6targetE0EEEvT1_,comdat
	.protected	_ZN7rocprim17ROCPRIM_400000_NS6detail17trampoline_kernelINS0_14default_configENS1_27scan_by_key_config_selectorIixEEZZNS1_16scan_by_key_implILNS1_25lookback_scan_determinismE0ELb0ES3_N6thrust23THRUST_200600_302600_NS6detail15normal_iteratorINS9_10device_ptrIiEEEENSB_INSC_IxEEEESG_xNS9_4plusIvEENS9_8equal_toIvEExEE10hipError_tPvRmT2_T3_T4_T5_mT6_T7_P12ihipStream_tbENKUlT_T0_E_clISt17integral_constantIbLb1EES10_IbLb0EEEEDaSW_SX_EUlSW_E_NS1_11comp_targetILNS1_3genE8ELNS1_11target_archE1030ELNS1_3gpuE2ELNS1_3repE0EEENS1_30default_config_static_selectorELNS0_4arch9wavefront6targetE0EEEvT1_ ; -- Begin function _ZN7rocprim17ROCPRIM_400000_NS6detail17trampoline_kernelINS0_14default_configENS1_27scan_by_key_config_selectorIixEEZZNS1_16scan_by_key_implILNS1_25lookback_scan_determinismE0ELb0ES3_N6thrust23THRUST_200600_302600_NS6detail15normal_iteratorINS9_10device_ptrIiEEEENSB_INSC_IxEEEESG_xNS9_4plusIvEENS9_8equal_toIvEExEE10hipError_tPvRmT2_T3_T4_T5_mT6_T7_P12ihipStream_tbENKUlT_T0_E_clISt17integral_constantIbLb1EES10_IbLb0EEEEDaSW_SX_EUlSW_E_NS1_11comp_targetILNS1_3genE8ELNS1_11target_archE1030ELNS1_3gpuE2ELNS1_3repE0EEENS1_30default_config_static_selectorELNS0_4arch9wavefront6targetE0EEEvT1_
	.globl	_ZN7rocprim17ROCPRIM_400000_NS6detail17trampoline_kernelINS0_14default_configENS1_27scan_by_key_config_selectorIixEEZZNS1_16scan_by_key_implILNS1_25lookback_scan_determinismE0ELb0ES3_N6thrust23THRUST_200600_302600_NS6detail15normal_iteratorINS9_10device_ptrIiEEEENSB_INSC_IxEEEESG_xNS9_4plusIvEENS9_8equal_toIvEExEE10hipError_tPvRmT2_T3_T4_T5_mT6_T7_P12ihipStream_tbENKUlT_T0_E_clISt17integral_constantIbLb1EES10_IbLb0EEEEDaSW_SX_EUlSW_E_NS1_11comp_targetILNS1_3genE8ELNS1_11target_archE1030ELNS1_3gpuE2ELNS1_3repE0EEENS1_30default_config_static_selectorELNS0_4arch9wavefront6targetE0EEEvT1_
	.p2align	8
	.type	_ZN7rocprim17ROCPRIM_400000_NS6detail17trampoline_kernelINS0_14default_configENS1_27scan_by_key_config_selectorIixEEZZNS1_16scan_by_key_implILNS1_25lookback_scan_determinismE0ELb0ES3_N6thrust23THRUST_200600_302600_NS6detail15normal_iteratorINS9_10device_ptrIiEEEENSB_INSC_IxEEEESG_xNS9_4plusIvEENS9_8equal_toIvEExEE10hipError_tPvRmT2_T3_T4_T5_mT6_T7_P12ihipStream_tbENKUlT_T0_E_clISt17integral_constantIbLb1EES10_IbLb0EEEEDaSW_SX_EUlSW_E_NS1_11comp_targetILNS1_3genE8ELNS1_11target_archE1030ELNS1_3gpuE2ELNS1_3repE0EEENS1_30default_config_static_selectorELNS0_4arch9wavefront6targetE0EEEvT1_,@function
_ZN7rocprim17ROCPRIM_400000_NS6detail17trampoline_kernelINS0_14default_configENS1_27scan_by_key_config_selectorIixEEZZNS1_16scan_by_key_implILNS1_25lookback_scan_determinismE0ELb0ES3_N6thrust23THRUST_200600_302600_NS6detail15normal_iteratorINS9_10device_ptrIiEEEENSB_INSC_IxEEEESG_xNS9_4plusIvEENS9_8equal_toIvEExEE10hipError_tPvRmT2_T3_T4_T5_mT6_T7_P12ihipStream_tbENKUlT_T0_E_clISt17integral_constantIbLb1EES10_IbLb0EEEEDaSW_SX_EUlSW_E_NS1_11comp_targetILNS1_3genE8ELNS1_11target_archE1030ELNS1_3gpuE2ELNS1_3repE0EEENS1_30default_config_static_selectorELNS0_4arch9wavefront6targetE0EEEvT1_: ; @_ZN7rocprim17ROCPRIM_400000_NS6detail17trampoline_kernelINS0_14default_configENS1_27scan_by_key_config_selectorIixEEZZNS1_16scan_by_key_implILNS1_25lookback_scan_determinismE0ELb0ES3_N6thrust23THRUST_200600_302600_NS6detail15normal_iteratorINS9_10device_ptrIiEEEENSB_INSC_IxEEEESG_xNS9_4plusIvEENS9_8equal_toIvEExEE10hipError_tPvRmT2_T3_T4_T5_mT6_T7_P12ihipStream_tbENKUlT_T0_E_clISt17integral_constantIbLb1EES10_IbLb0EEEEDaSW_SX_EUlSW_E_NS1_11comp_targetILNS1_3genE8ELNS1_11target_archE1030ELNS1_3gpuE2ELNS1_3repE0EEENS1_30default_config_static_selectorELNS0_4arch9wavefront6targetE0EEEvT1_
; %bb.0:
	s_endpgm
	.section	.rodata,"a",@progbits
	.p2align	6, 0x0
	.amdhsa_kernel _ZN7rocprim17ROCPRIM_400000_NS6detail17trampoline_kernelINS0_14default_configENS1_27scan_by_key_config_selectorIixEEZZNS1_16scan_by_key_implILNS1_25lookback_scan_determinismE0ELb0ES3_N6thrust23THRUST_200600_302600_NS6detail15normal_iteratorINS9_10device_ptrIiEEEENSB_INSC_IxEEEESG_xNS9_4plusIvEENS9_8equal_toIvEExEE10hipError_tPvRmT2_T3_T4_T5_mT6_T7_P12ihipStream_tbENKUlT_T0_E_clISt17integral_constantIbLb1EES10_IbLb0EEEEDaSW_SX_EUlSW_E_NS1_11comp_targetILNS1_3genE8ELNS1_11target_archE1030ELNS1_3gpuE2ELNS1_3repE0EEENS1_30default_config_static_selectorELNS0_4arch9wavefront6targetE0EEEvT1_
		.amdhsa_group_segment_fixed_size 0
		.amdhsa_private_segment_fixed_size 0
		.amdhsa_kernarg_size 136
		.amdhsa_user_sgpr_count 6
		.amdhsa_user_sgpr_private_segment_buffer 1
		.amdhsa_user_sgpr_dispatch_ptr 0
		.amdhsa_user_sgpr_queue_ptr 0
		.amdhsa_user_sgpr_kernarg_segment_ptr 1
		.amdhsa_user_sgpr_dispatch_id 0
		.amdhsa_user_sgpr_flat_scratch_init 0
		.amdhsa_user_sgpr_private_segment_size 0
		.amdhsa_wavefront_size32 1
		.amdhsa_uses_dynamic_stack 0
		.amdhsa_system_sgpr_private_segment_wavefront_offset 0
		.amdhsa_system_sgpr_workgroup_id_x 1
		.amdhsa_system_sgpr_workgroup_id_y 0
		.amdhsa_system_sgpr_workgroup_id_z 0
		.amdhsa_system_sgpr_workgroup_info 0
		.amdhsa_system_vgpr_workitem_id 0
		.amdhsa_next_free_vgpr 1
		.amdhsa_next_free_sgpr 1
		.amdhsa_reserve_vcc 0
		.amdhsa_reserve_flat_scratch 0
		.amdhsa_float_round_mode_32 0
		.amdhsa_float_round_mode_16_64 0
		.amdhsa_float_denorm_mode_32 3
		.amdhsa_float_denorm_mode_16_64 3
		.amdhsa_dx10_clamp 1
		.amdhsa_ieee_mode 1
		.amdhsa_fp16_overflow 0
		.amdhsa_workgroup_processor_mode 1
		.amdhsa_memory_ordered 1
		.amdhsa_forward_progress 1
		.amdhsa_shared_vgpr_count 0
		.amdhsa_exception_fp_ieee_invalid_op 0
		.amdhsa_exception_fp_denorm_src 0
		.amdhsa_exception_fp_ieee_div_zero 0
		.amdhsa_exception_fp_ieee_overflow 0
		.amdhsa_exception_fp_ieee_underflow 0
		.amdhsa_exception_fp_ieee_inexact 0
		.amdhsa_exception_int_div_zero 0
	.end_amdhsa_kernel
	.section	.text._ZN7rocprim17ROCPRIM_400000_NS6detail17trampoline_kernelINS0_14default_configENS1_27scan_by_key_config_selectorIixEEZZNS1_16scan_by_key_implILNS1_25lookback_scan_determinismE0ELb0ES3_N6thrust23THRUST_200600_302600_NS6detail15normal_iteratorINS9_10device_ptrIiEEEENSB_INSC_IxEEEESG_xNS9_4plusIvEENS9_8equal_toIvEExEE10hipError_tPvRmT2_T3_T4_T5_mT6_T7_P12ihipStream_tbENKUlT_T0_E_clISt17integral_constantIbLb1EES10_IbLb0EEEEDaSW_SX_EUlSW_E_NS1_11comp_targetILNS1_3genE8ELNS1_11target_archE1030ELNS1_3gpuE2ELNS1_3repE0EEENS1_30default_config_static_selectorELNS0_4arch9wavefront6targetE0EEEvT1_,"axG",@progbits,_ZN7rocprim17ROCPRIM_400000_NS6detail17trampoline_kernelINS0_14default_configENS1_27scan_by_key_config_selectorIixEEZZNS1_16scan_by_key_implILNS1_25lookback_scan_determinismE0ELb0ES3_N6thrust23THRUST_200600_302600_NS6detail15normal_iteratorINS9_10device_ptrIiEEEENSB_INSC_IxEEEESG_xNS9_4plusIvEENS9_8equal_toIvEExEE10hipError_tPvRmT2_T3_T4_T5_mT6_T7_P12ihipStream_tbENKUlT_T0_E_clISt17integral_constantIbLb1EES10_IbLb0EEEEDaSW_SX_EUlSW_E_NS1_11comp_targetILNS1_3genE8ELNS1_11target_archE1030ELNS1_3gpuE2ELNS1_3repE0EEENS1_30default_config_static_selectorELNS0_4arch9wavefront6targetE0EEEvT1_,comdat
.Lfunc_end1339:
	.size	_ZN7rocprim17ROCPRIM_400000_NS6detail17trampoline_kernelINS0_14default_configENS1_27scan_by_key_config_selectorIixEEZZNS1_16scan_by_key_implILNS1_25lookback_scan_determinismE0ELb0ES3_N6thrust23THRUST_200600_302600_NS6detail15normal_iteratorINS9_10device_ptrIiEEEENSB_INSC_IxEEEESG_xNS9_4plusIvEENS9_8equal_toIvEExEE10hipError_tPvRmT2_T3_T4_T5_mT6_T7_P12ihipStream_tbENKUlT_T0_E_clISt17integral_constantIbLb1EES10_IbLb0EEEEDaSW_SX_EUlSW_E_NS1_11comp_targetILNS1_3genE8ELNS1_11target_archE1030ELNS1_3gpuE2ELNS1_3repE0EEENS1_30default_config_static_selectorELNS0_4arch9wavefront6targetE0EEEvT1_, .Lfunc_end1339-_ZN7rocprim17ROCPRIM_400000_NS6detail17trampoline_kernelINS0_14default_configENS1_27scan_by_key_config_selectorIixEEZZNS1_16scan_by_key_implILNS1_25lookback_scan_determinismE0ELb0ES3_N6thrust23THRUST_200600_302600_NS6detail15normal_iteratorINS9_10device_ptrIiEEEENSB_INSC_IxEEEESG_xNS9_4plusIvEENS9_8equal_toIvEExEE10hipError_tPvRmT2_T3_T4_T5_mT6_T7_P12ihipStream_tbENKUlT_T0_E_clISt17integral_constantIbLb1EES10_IbLb0EEEEDaSW_SX_EUlSW_E_NS1_11comp_targetILNS1_3genE8ELNS1_11target_archE1030ELNS1_3gpuE2ELNS1_3repE0EEENS1_30default_config_static_selectorELNS0_4arch9wavefront6targetE0EEEvT1_
                                        ; -- End function
	.set _ZN7rocprim17ROCPRIM_400000_NS6detail17trampoline_kernelINS0_14default_configENS1_27scan_by_key_config_selectorIixEEZZNS1_16scan_by_key_implILNS1_25lookback_scan_determinismE0ELb0ES3_N6thrust23THRUST_200600_302600_NS6detail15normal_iteratorINS9_10device_ptrIiEEEENSB_INSC_IxEEEESG_xNS9_4plusIvEENS9_8equal_toIvEExEE10hipError_tPvRmT2_T3_T4_T5_mT6_T7_P12ihipStream_tbENKUlT_T0_E_clISt17integral_constantIbLb1EES10_IbLb0EEEEDaSW_SX_EUlSW_E_NS1_11comp_targetILNS1_3genE8ELNS1_11target_archE1030ELNS1_3gpuE2ELNS1_3repE0EEENS1_30default_config_static_selectorELNS0_4arch9wavefront6targetE0EEEvT1_.num_vgpr, 0
	.set _ZN7rocprim17ROCPRIM_400000_NS6detail17trampoline_kernelINS0_14default_configENS1_27scan_by_key_config_selectorIixEEZZNS1_16scan_by_key_implILNS1_25lookback_scan_determinismE0ELb0ES3_N6thrust23THRUST_200600_302600_NS6detail15normal_iteratorINS9_10device_ptrIiEEEENSB_INSC_IxEEEESG_xNS9_4plusIvEENS9_8equal_toIvEExEE10hipError_tPvRmT2_T3_T4_T5_mT6_T7_P12ihipStream_tbENKUlT_T0_E_clISt17integral_constantIbLb1EES10_IbLb0EEEEDaSW_SX_EUlSW_E_NS1_11comp_targetILNS1_3genE8ELNS1_11target_archE1030ELNS1_3gpuE2ELNS1_3repE0EEENS1_30default_config_static_selectorELNS0_4arch9wavefront6targetE0EEEvT1_.num_agpr, 0
	.set _ZN7rocprim17ROCPRIM_400000_NS6detail17trampoline_kernelINS0_14default_configENS1_27scan_by_key_config_selectorIixEEZZNS1_16scan_by_key_implILNS1_25lookback_scan_determinismE0ELb0ES3_N6thrust23THRUST_200600_302600_NS6detail15normal_iteratorINS9_10device_ptrIiEEEENSB_INSC_IxEEEESG_xNS9_4plusIvEENS9_8equal_toIvEExEE10hipError_tPvRmT2_T3_T4_T5_mT6_T7_P12ihipStream_tbENKUlT_T0_E_clISt17integral_constantIbLb1EES10_IbLb0EEEEDaSW_SX_EUlSW_E_NS1_11comp_targetILNS1_3genE8ELNS1_11target_archE1030ELNS1_3gpuE2ELNS1_3repE0EEENS1_30default_config_static_selectorELNS0_4arch9wavefront6targetE0EEEvT1_.numbered_sgpr, 0
	.set _ZN7rocprim17ROCPRIM_400000_NS6detail17trampoline_kernelINS0_14default_configENS1_27scan_by_key_config_selectorIixEEZZNS1_16scan_by_key_implILNS1_25lookback_scan_determinismE0ELb0ES3_N6thrust23THRUST_200600_302600_NS6detail15normal_iteratorINS9_10device_ptrIiEEEENSB_INSC_IxEEEESG_xNS9_4plusIvEENS9_8equal_toIvEExEE10hipError_tPvRmT2_T3_T4_T5_mT6_T7_P12ihipStream_tbENKUlT_T0_E_clISt17integral_constantIbLb1EES10_IbLb0EEEEDaSW_SX_EUlSW_E_NS1_11comp_targetILNS1_3genE8ELNS1_11target_archE1030ELNS1_3gpuE2ELNS1_3repE0EEENS1_30default_config_static_selectorELNS0_4arch9wavefront6targetE0EEEvT1_.num_named_barrier, 0
	.set _ZN7rocprim17ROCPRIM_400000_NS6detail17trampoline_kernelINS0_14default_configENS1_27scan_by_key_config_selectorIixEEZZNS1_16scan_by_key_implILNS1_25lookback_scan_determinismE0ELb0ES3_N6thrust23THRUST_200600_302600_NS6detail15normal_iteratorINS9_10device_ptrIiEEEENSB_INSC_IxEEEESG_xNS9_4plusIvEENS9_8equal_toIvEExEE10hipError_tPvRmT2_T3_T4_T5_mT6_T7_P12ihipStream_tbENKUlT_T0_E_clISt17integral_constantIbLb1EES10_IbLb0EEEEDaSW_SX_EUlSW_E_NS1_11comp_targetILNS1_3genE8ELNS1_11target_archE1030ELNS1_3gpuE2ELNS1_3repE0EEENS1_30default_config_static_selectorELNS0_4arch9wavefront6targetE0EEEvT1_.private_seg_size, 0
	.set _ZN7rocprim17ROCPRIM_400000_NS6detail17trampoline_kernelINS0_14default_configENS1_27scan_by_key_config_selectorIixEEZZNS1_16scan_by_key_implILNS1_25lookback_scan_determinismE0ELb0ES3_N6thrust23THRUST_200600_302600_NS6detail15normal_iteratorINS9_10device_ptrIiEEEENSB_INSC_IxEEEESG_xNS9_4plusIvEENS9_8equal_toIvEExEE10hipError_tPvRmT2_T3_T4_T5_mT6_T7_P12ihipStream_tbENKUlT_T0_E_clISt17integral_constantIbLb1EES10_IbLb0EEEEDaSW_SX_EUlSW_E_NS1_11comp_targetILNS1_3genE8ELNS1_11target_archE1030ELNS1_3gpuE2ELNS1_3repE0EEENS1_30default_config_static_selectorELNS0_4arch9wavefront6targetE0EEEvT1_.uses_vcc, 0
	.set _ZN7rocprim17ROCPRIM_400000_NS6detail17trampoline_kernelINS0_14default_configENS1_27scan_by_key_config_selectorIixEEZZNS1_16scan_by_key_implILNS1_25lookback_scan_determinismE0ELb0ES3_N6thrust23THRUST_200600_302600_NS6detail15normal_iteratorINS9_10device_ptrIiEEEENSB_INSC_IxEEEESG_xNS9_4plusIvEENS9_8equal_toIvEExEE10hipError_tPvRmT2_T3_T4_T5_mT6_T7_P12ihipStream_tbENKUlT_T0_E_clISt17integral_constantIbLb1EES10_IbLb0EEEEDaSW_SX_EUlSW_E_NS1_11comp_targetILNS1_3genE8ELNS1_11target_archE1030ELNS1_3gpuE2ELNS1_3repE0EEENS1_30default_config_static_selectorELNS0_4arch9wavefront6targetE0EEEvT1_.uses_flat_scratch, 0
	.set _ZN7rocprim17ROCPRIM_400000_NS6detail17trampoline_kernelINS0_14default_configENS1_27scan_by_key_config_selectorIixEEZZNS1_16scan_by_key_implILNS1_25lookback_scan_determinismE0ELb0ES3_N6thrust23THRUST_200600_302600_NS6detail15normal_iteratorINS9_10device_ptrIiEEEENSB_INSC_IxEEEESG_xNS9_4plusIvEENS9_8equal_toIvEExEE10hipError_tPvRmT2_T3_T4_T5_mT6_T7_P12ihipStream_tbENKUlT_T0_E_clISt17integral_constantIbLb1EES10_IbLb0EEEEDaSW_SX_EUlSW_E_NS1_11comp_targetILNS1_3genE8ELNS1_11target_archE1030ELNS1_3gpuE2ELNS1_3repE0EEENS1_30default_config_static_selectorELNS0_4arch9wavefront6targetE0EEEvT1_.has_dyn_sized_stack, 0
	.set _ZN7rocprim17ROCPRIM_400000_NS6detail17trampoline_kernelINS0_14default_configENS1_27scan_by_key_config_selectorIixEEZZNS1_16scan_by_key_implILNS1_25lookback_scan_determinismE0ELb0ES3_N6thrust23THRUST_200600_302600_NS6detail15normal_iteratorINS9_10device_ptrIiEEEENSB_INSC_IxEEEESG_xNS9_4plusIvEENS9_8equal_toIvEExEE10hipError_tPvRmT2_T3_T4_T5_mT6_T7_P12ihipStream_tbENKUlT_T0_E_clISt17integral_constantIbLb1EES10_IbLb0EEEEDaSW_SX_EUlSW_E_NS1_11comp_targetILNS1_3genE8ELNS1_11target_archE1030ELNS1_3gpuE2ELNS1_3repE0EEENS1_30default_config_static_selectorELNS0_4arch9wavefront6targetE0EEEvT1_.has_recursion, 0
	.set _ZN7rocprim17ROCPRIM_400000_NS6detail17trampoline_kernelINS0_14default_configENS1_27scan_by_key_config_selectorIixEEZZNS1_16scan_by_key_implILNS1_25lookback_scan_determinismE0ELb0ES3_N6thrust23THRUST_200600_302600_NS6detail15normal_iteratorINS9_10device_ptrIiEEEENSB_INSC_IxEEEESG_xNS9_4plusIvEENS9_8equal_toIvEExEE10hipError_tPvRmT2_T3_T4_T5_mT6_T7_P12ihipStream_tbENKUlT_T0_E_clISt17integral_constantIbLb1EES10_IbLb0EEEEDaSW_SX_EUlSW_E_NS1_11comp_targetILNS1_3genE8ELNS1_11target_archE1030ELNS1_3gpuE2ELNS1_3repE0EEENS1_30default_config_static_selectorELNS0_4arch9wavefront6targetE0EEEvT1_.has_indirect_call, 0
	.section	.AMDGPU.csdata,"",@progbits
; Kernel info:
; codeLenInByte = 4
; TotalNumSgprs: 0
; NumVgprs: 0
; ScratchSize: 0
; MemoryBound: 0
; FloatMode: 240
; IeeeMode: 1
; LDSByteSize: 0 bytes/workgroup (compile time only)
; SGPRBlocks: 0
; VGPRBlocks: 0
; NumSGPRsForWavesPerEU: 1
; NumVGPRsForWavesPerEU: 1
; Occupancy: 16
; WaveLimiterHint : 0
; COMPUTE_PGM_RSRC2:SCRATCH_EN: 0
; COMPUTE_PGM_RSRC2:USER_SGPR: 6
; COMPUTE_PGM_RSRC2:TRAP_HANDLER: 0
; COMPUTE_PGM_RSRC2:TGID_X_EN: 1
; COMPUTE_PGM_RSRC2:TGID_Y_EN: 0
; COMPUTE_PGM_RSRC2:TGID_Z_EN: 0
; COMPUTE_PGM_RSRC2:TIDIG_COMP_CNT: 0
	.section	.text._ZN7rocprim17ROCPRIM_400000_NS6detail30init_device_scan_by_key_kernelINS1_19lookback_scan_stateINS0_5tupleIJxbEEELb0ELb0EEEN6thrust23THRUST_200600_302600_NS6detail15normal_iteratorINS8_10device_ptrIiEEEEjNS1_16block_id_wrapperIjLb1EEEEEvT_jjPNSG_10value_typeET0_PNSt15iterator_traitsISJ_E10value_typeEmT1_T2_,"axG",@progbits,_ZN7rocprim17ROCPRIM_400000_NS6detail30init_device_scan_by_key_kernelINS1_19lookback_scan_stateINS0_5tupleIJxbEEELb0ELb0EEEN6thrust23THRUST_200600_302600_NS6detail15normal_iteratorINS8_10device_ptrIiEEEEjNS1_16block_id_wrapperIjLb1EEEEEvT_jjPNSG_10value_typeET0_PNSt15iterator_traitsISJ_E10value_typeEmT1_T2_,comdat
	.protected	_ZN7rocprim17ROCPRIM_400000_NS6detail30init_device_scan_by_key_kernelINS1_19lookback_scan_stateINS0_5tupleIJxbEEELb0ELb0EEEN6thrust23THRUST_200600_302600_NS6detail15normal_iteratorINS8_10device_ptrIiEEEEjNS1_16block_id_wrapperIjLb1EEEEEvT_jjPNSG_10value_typeET0_PNSt15iterator_traitsISJ_E10value_typeEmT1_T2_ ; -- Begin function _ZN7rocprim17ROCPRIM_400000_NS6detail30init_device_scan_by_key_kernelINS1_19lookback_scan_stateINS0_5tupleIJxbEEELb0ELb0EEEN6thrust23THRUST_200600_302600_NS6detail15normal_iteratorINS8_10device_ptrIiEEEEjNS1_16block_id_wrapperIjLb1EEEEEvT_jjPNSG_10value_typeET0_PNSt15iterator_traitsISJ_E10value_typeEmT1_T2_
	.globl	_ZN7rocprim17ROCPRIM_400000_NS6detail30init_device_scan_by_key_kernelINS1_19lookback_scan_stateINS0_5tupleIJxbEEELb0ELb0EEEN6thrust23THRUST_200600_302600_NS6detail15normal_iteratorINS8_10device_ptrIiEEEEjNS1_16block_id_wrapperIjLb1EEEEEvT_jjPNSG_10value_typeET0_PNSt15iterator_traitsISJ_E10value_typeEmT1_T2_
	.p2align	8
	.type	_ZN7rocprim17ROCPRIM_400000_NS6detail30init_device_scan_by_key_kernelINS1_19lookback_scan_stateINS0_5tupleIJxbEEELb0ELb0EEEN6thrust23THRUST_200600_302600_NS6detail15normal_iteratorINS8_10device_ptrIiEEEEjNS1_16block_id_wrapperIjLb1EEEEEvT_jjPNSG_10value_typeET0_PNSt15iterator_traitsISJ_E10value_typeEmT1_T2_,@function
_ZN7rocprim17ROCPRIM_400000_NS6detail30init_device_scan_by_key_kernelINS1_19lookback_scan_stateINS0_5tupleIJxbEEELb0ELb0EEEN6thrust23THRUST_200600_302600_NS6detail15normal_iteratorINS8_10device_ptrIiEEEEjNS1_16block_id_wrapperIjLb1EEEEEvT_jjPNSG_10value_typeET0_PNSt15iterator_traitsISJ_E10value_typeEmT1_T2_: ; @_ZN7rocprim17ROCPRIM_400000_NS6detail30init_device_scan_by_key_kernelINS1_19lookback_scan_stateINS0_5tupleIJxbEEELb0ELb0EEEN6thrust23THRUST_200600_302600_NS6detail15normal_iteratorINS8_10device_ptrIiEEEEjNS1_16block_id_wrapperIjLb1EEEEEvT_jjPNSG_10value_typeET0_PNSt15iterator_traitsISJ_E10value_typeEmT1_T2_
; %bb.0:
	s_clause 0x2
	s_load_dword s0, s[4:5], 0x5c
	s_load_dwordx8 s[8:15], s[4:5], 0x10
	s_load_dword s18, s[4:5], 0x50
	s_waitcnt lgkmcnt(0)
	s_and_b32 s19, s0, 0xffff
	s_cmp_eq_u64 s[12:13], 0
	v_mad_u64_u32 v[0:1], null, s6, s19, v[0:1]
	s_cbranch_scc1 .LBB1340_6
; %bb.1:
	s_cmp_lt_u32 s11, s10
	s_mov_b32 s7, 0
	s_cselect_b32 s0, s11, 0
	s_mov_b32 s20, exec_lo
	v_cmpx_eq_u32_e64 s0, v0
	s_cbranch_execz .LBB1340_5
; %bb.2:
	s_add_i32 s6, s11, 32
	s_load_dwordx4 s[0:3], s[4:5], 0x0
	v_mov_b32_e32 v1, s6
	s_add_u32 s16, s8, s6
	s_addc_u32 s17, s9, 0
	global_load_ubyte v2, v1, s[8:9] glc dlc
	v_mov_b32_e32 v1, 0
	s_waitcnt vmcnt(0)
	v_cmp_ne_u32_sdwa s21, v2, v1 src0_sel:WORD_0 src1_sel:DWORD
	v_readfirstlane_b32 s11, v2
	s_and_b32 vcc_lo, exec_lo, s21
	s_cbranch_vccnz .LBB1340_4
.LBB1340_3:                             ; =>This Inner Loop Header: Depth=1
	global_load_ubyte v2, v1, s[16:17] glc dlc
	s_waitcnt vmcnt(0)
	v_cmp_eq_u32_sdwa s21, v2, v1 src0_sel:WORD_0 src1_sel:DWORD
	v_readfirstlane_b32 s11, v2
	s_and_b32 vcc_lo, exec_lo, s21
	s_cbranch_vccnz .LBB1340_3
.LBB1340_4:
	s_and_b32 s11, 0xffff, s11
	v_mov_b32_e32 v3, 0
	s_cmp_eq_u32 s11, 1
	s_waitcnt lgkmcnt(0)
	buffer_gl1_inv
	buffer_gl0_inv
	s_cselect_b32 s3, s1, s3
	s_cselect_b32 s2, s0, s2
	s_lshl_b64 s[0:1], s[6:7], 4
	s_add_u32 s0, s2, s0
	s_addc_u32 s1, s3, s1
	s_clause 0x1
	global_load_dwordx2 v[1:2], v3, s[0:1]
	global_load_ubyte v4, v3, s[0:1] offset:8
	s_waitcnt vmcnt(1)
	global_store_dwordx2 v3, v[1:2], s[12:13]
	s_waitcnt vmcnt(0)
	global_store_byte v3, v4, s[12:13] offset:8
.LBB1340_5:
	s_or_b32 exec_lo, exec_lo, s20
.LBB1340_6:
	s_mov_b32 s0, exec_lo
	v_cmpx_eq_u32_e32 0, v0
	s_cbranch_execz .LBB1340_8
; %bb.7:
	s_load_dwordx2 s[2:3], s[4:5], 0x48
	v_mov_b32_e32 v1, 0
	s_waitcnt lgkmcnt(0)
	global_store_dword v1, v1, s[2:3]
.LBB1340_8:
	s_or_b32 exec_lo, exec_lo, s0
	s_mov_b32 s0, exec_lo
	v_cmpx_gt_u32_e64 s10, v0
	s_cbranch_execz .LBB1340_10
; %bb.9:
	v_add_nc_u32_e32 v1, 32, v0
	v_mov_b32_e32 v2, 0
	global_store_byte v1, v2, s[8:9]
.LBB1340_10:
	s_or_b32 exec_lo, exec_lo, s0
	v_mov_b32_e32 v1, 0
	s_mov_b32 s0, exec_lo
	v_cmpx_gt_u32_e32 32, v0
	s_cbranch_execz .LBB1340_12
; %bb.11:
	v_add_co_u32 v2, s1, s8, v0
	v_add_co_ci_u32_e64 v3, null, s9, 0, s1
	v_mov_b32_e32 v4, 0xff
	global_store_byte v[2:3], v4, off
.LBB1340_12:
	s_or_b32 exec_lo, exec_lo, s0
	s_load_dwordx2 s[2:3], s[4:5], 0x38
	s_mov_b32 s0, exec_lo
	s_waitcnt lgkmcnt(0)
	v_cmpx_gt_u64_e64 s[2:3], v[0:1]
	s_cbranch_execz .LBB1340_15
; %bb.13:
	s_clause 0x1
	s_load_dword s8, s[4:5], 0x40
	s_load_dwordx2 s[6:7], s[4:5], 0x30
	s_mov_b32 s1, 0
	v_lshlrev_b64 v[4:5], 2, v[0:1]
	s_mul_i32 s4, s18, s19
	s_waitcnt lgkmcnt(0)
	v_mad_u64_u32 v[2:3], null, s8, v0, 0
	s_add_i32 s0, s8, -1
	s_mul_hi_u32 s9, s8, s4
	s_lshl_b64 s[10:11], s[0:1], 2
	s_mul_i32 s8, s8, s4
	s_add_u32 s0, s14, s10
	s_addc_u32 s5, s15, s11
	v_lshlrev_b64 v[2:3], 2, v[2:3]
	v_add_co_u32 v2, vcc_lo, s0, v2
	v_add_co_ci_u32_e64 v3, null, s5, v3, vcc_lo
	v_add_co_u32 v4, vcc_lo, s6, v4
	v_add_co_ci_u32_e64 v5, null, s7, v5, vcc_lo
	s_mov_b32 s5, s1
	s_lshl_b64 s[6:7], s[8:9], 2
	s_lshl_b64 s[8:9], s[4:5], 2
	.p2align	6
.LBB1340_14:                            ; =>This Inner Loop Header: Depth=1
	global_load_dword v6, v[2:3], off
	v_add_co_u32 v0, vcc_lo, v0, s4
	v_add_co_ci_u32_e64 v1, null, 0, v1, vcc_lo
	v_add_co_u32 v2, vcc_lo, v2, s6
	v_add_co_ci_u32_e64 v3, null, s7, v3, vcc_lo
	v_cmp_le_u64_e32 vcc_lo, s[2:3], v[0:1]
	s_or_b32 s1, vcc_lo, s1
	s_waitcnt vmcnt(0)
	global_store_dword v[4:5], v6, off
	v_add_co_u32 v4, s0, v4, s8
	v_add_co_ci_u32_e64 v5, null, s9, v5, s0
	s_andn2_b32 exec_lo, exec_lo, s1
	s_cbranch_execnz .LBB1340_14
.LBB1340_15:
	s_endpgm
	.section	.rodata,"a",@progbits
	.p2align	6, 0x0
	.amdhsa_kernel _ZN7rocprim17ROCPRIM_400000_NS6detail30init_device_scan_by_key_kernelINS1_19lookback_scan_stateINS0_5tupleIJxbEEELb0ELb0EEEN6thrust23THRUST_200600_302600_NS6detail15normal_iteratorINS8_10device_ptrIiEEEEjNS1_16block_id_wrapperIjLb1EEEEEvT_jjPNSG_10value_typeET0_PNSt15iterator_traitsISJ_E10value_typeEmT1_T2_
		.amdhsa_group_segment_fixed_size 0
		.amdhsa_private_segment_fixed_size 0
		.amdhsa_kernarg_size 336
		.amdhsa_user_sgpr_count 6
		.amdhsa_user_sgpr_private_segment_buffer 1
		.amdhsa_user_sgpr_dispatch_ptr 0
		.amdhsa_user_sgpr_queue_ptr 0
		.amdhsa_user_sgpr_kernarg_segment_ptr 1
		.amdhsa_user_sgpr_dispatch_id 0
		.amdhsa_user_sgpr_flat_scratch_init 0
		.amdhsa_user_sgpr_private_segment_size 0
		.amdhsa_wavefront_size32 1
		.amdhsa_uses_dynamic_stack 0
		.amdhsa_system_sgpr_private_segment_wavefront_offset 0
		.amdhsa_system_sgpr_workgroup_id_x 1
		.amdhsa_system_sgpr_workgroup_id_y 0
		.amdhsa_system_sgpr_workgroup_id_z 0
		.amdhsa_system_sgpr_workgroup_info 0
		.amdhsa_system_vgpr_workitem_id 0
		.amdhsa_next_free_vgpr 7
		.amdhsa_next_free_sgpr 22
		.amdhsa_reserve_vcc 1
		.amdhsa_reserve_flat_scratch 0
		.amdhsa_float_round_mode_32 0
		.amdhsa_float_round_mode_16_64 0
		.amdhsa_float_denorm_mode_32 3
		.amdhsa_float_denorm_mode_16_64 3
		.amdhsa_dx10_clamp 1
		.amdhsa_ieee_mode 1
		.amdhsa_fp16_overflow 0
		.amdhsa_workgroup_processor_mode 1
		.amdhsa_memory_ordered 1
		.amdhsa_forward_progress 1
		.amdhsa_shared_vgpr_count 0
		.amdhsa_exception_fp_ieee_invalid_op 0
		.amdhsa_exception_fp_denorm_src 0
		.amdhsa_exception_fp_ieee_div_zero 0
		.amdhsa_exception_fp_ieee_overflow 0
		.amdhsa_exception_fp_ieee_underflow 0
		.amdhsa_exception_fp_ieee_inexact 0
		.amdhsa_exception_int_div_zero 0
	.end_amdhsa_kernel
	.section	.text._ZN7rocprim17ROCPRIM_400000_NS6detail30init_device_scan_by_key_kernelINS1_19lookback_scan_stateINS0_5tupleIJxbEEELb0ELb0EEEN6thrust23THRUST_200600_302600_NS6detail15normal_iteratorINS8_10device_ptrIiEEEEjNS1_16block_id_wrapperIjLb1EEEEEvT_jjPNSG_10value_typeET0_PNSt15iterator_traitsISJ_E10value_typeEmT1_T2_,"axG",@progbits,_ZN7rocprim17ROCPRIM_400000_NS6detail30init_device_scan_by_key_kernelINS1_19lookback_scan_stateINS0_5tupleIJxbEEELb0ELb0EEEN6thrust23THRUST_200600_302600_NS6detail15normal_iteratorINS8_10device_ptrIiEEEEjNS1_16block_id_wrapperIjLb1EEEEEvT_jjPNSG_10value_typeET0_PNSt15iterator_traitsISJ_E10value_typeEmT1_T2_,comdat
.Lfunc_end1340:
	.size	_ZN7rocprim17ROCPRIM_400000_NS6detail30init_device_scan_by_key_kernelINS1_19lookback_scan_stateINS0_5tupleIJxbEEELb0ELb0EEEN6thrust23THRUST_200600_302600_NS6detail15normal_iteratorINS8_10device_ptrIiEEEEjNS1_16block_id_wrapperIjLb1EEEEEvT_jjPNSG_10value_typeET0_PNSt15iterator_traitsISJ_E10value_typeEmT1_T2_, .Lfunc_end1340-_ZN7rocprim17ROCPRIM_400000_NS6detail30init_device_scan_by_key_kernelINS1_19lookback_scan_stateINS0_5tupleIJxbEEELb0ELb0EEEN6thrust23THRUST_200600_302600_NS6detail15normal_iteratorINS8_10device_ptrIiEEEEjNS1_16block_id_wrapperIjLb1EEEEEvT_jjPNSG_10value_typeET0_PNSt15iterator_traitsISJ_E10value_typeEmT1_T2_
                                        ; -- End function
	.set _ZN7rocprim17ROCPRIM_400000_NS6detail30init_device_scan_by_key_kernelINS1_19lookback_scan_stateINS0_5tupleIJxbEEELb0ELb0EEEN6thrust23THRUST_200600_302600_NS6detail15normal_iteratorINS8_10device_ptrIiEEEEjNS1_16block_id_wrapperIjLb1EEEEEvT_jjPNSG_10value_typeET0_PNSt15iterator_traitsISJ_E10value_typeEmT1_T2_.num_vgpr, 7
	.set _ZN7rocprim17ROCPRIM_400000_NS6detail30init_device_scan_by_key_kernelINS1_19lookback_scan_stateINS0_5tupleIJxbEEELb0ELb0EEEN6thrust23THRUST_200600_302600_NS6detail15normal_iteratorINS8_10device_ptrIiEEEEjNS1_16block_id_wrapperIjLb1EEEEEvT_jjPNSG_10value_typeET0_PNSt15iterator_traitsISJ_E10value_typeEmT1_T2_.num_agpr, 0
	.set _ZN7rocprim17ROCPRIM_400000_NS6detail30init_device_scan_by_key_kernelINS1_19lookback_scan_stateINS0_5tupleIJxbEEELb0ELb0EEEN6thrust23THRUST_200600_302600_NS6detail15normal_iteratorINS8_10device_ptrIiEEEEjNS1_16block_id_wrapperIjLb1EEEEEvT_jjPNSG_10value_typeET0_PNSt15iterator_traitsISJ_E10value_typeEmT1_T2_.numbered_sgpr, 22
	.set _ZN7rocprim17ROCPRIM_400000_NS6detail30init_device_scan_by_key_kernelINS1_19lookback_scan_stateINS0_5tupleIJxbEEELb0ELb0EEEN6thrust23THRUST_200600_302600_NS6detail15normal_iteratorINS8_10device_ptrIiEEEEjNS1_16block_id_wrapperIjLb1EEEEEvT_jjPNSG_10value_typeET0_PNSt15iterator_traitsISJ_E10value_typeEmT1_T2_.num_named_barrier, 0
	.set _ZN7rocprim17ROCPRIM_400000_NS6detail30init_device_scan_by_key_kernelINS1_19lookback_scan_stateINS0_5tupleIJxbEEELb0ELb0EEEN6thrust23THRUST_200600_302600_NS6detail15normal_iteratorINS8_10device_ptrIiEEEEjNS1_16block_id_wrapperIjLb1EEEEEvT_jjPNSG_10value_typeET0_PNSt15iterator_traitsISJ_E10value_typeEmT1_T2_.private_seg_size, 0
	.set _ZN7rocprim17ROCPRIM_400000_NS6detail30init_device_scan_by_key_kernelINS1_19lookback_scan_stateINS0_5tupleIJxbEEELb0ELb0EEEN6thrust23THRUST_200600_302600_NS6detail15normal_iteratorINS8_10device_ptrIiEEEEjNS1_16block_id_wrapperIjLb1EEEEEvT_jjPNSG_10value_typeET0_PNSt15iterator_traitsISJ_E10value_typeEmT1_T2_.uses_vcc, 1
	.set _ZN7rocprim17ROCPRIM_400000_NS6detail30init_device_scan_by_key_kernelINS1_19lookback_scan_stateINS0_5tupleIJxbEEELb0ELb0EEEN6thrust23THRUST_200600_302600_NS6detail15normal_iteratorINS8_10device_ptrIiEEEEjNS1_16block_id_wrapperIjLb1EEEEEvT_jjPNSG_10value_typeET0_PNSt15iterator_traitsISJ_E10value_typeEmT1_T2_.uses_flat_scratch, 0
	.set _ZN7rocprim17ROCPRIM_400000_NS6detail30init_device_scan_by_key_kernelINS1_19lookback_scan_stateINS0_5tupleIJxbEEELb0ELb0EEEN6thrust23THRUST_200600_302600_NS6detail15normal_iteratorINS8_10device_ptrIiEEEEjNS1_16block_id_wrapperIjLb1EEEEEvT_jjPNSG_10value_typeET0_PNSt15iterator_traitsISJ_E10value_typeEmT1_T2_.has_dyn_sized_stack, 0
	.set _ZN7rocprim17ROCPRIM_400000_NS6detail30init_device_scan_by_key_kernelINS1_19lookback_scan_stateINS0_5tupleIJxbEEELb0ELb0EEEN6thrust23THRUST_200600_302600_NS6detail15normal_iteratorINS8_10device_ptrIiEEEEjNS1_16block_id_wrapperIjLb1EEEEEvT_jjPNSG_10value_typeET0_PNSt15iterator_traitsISJ_E10value_typeEmT1_T2_.has_recursion, 0
	.set _ZN7rocprim17ROCPRIM_400000_NS6detail30init_device_scan_by_key_kernelINS1_19lookback_scan_stateINS0_5tupleIJxbEEELb0ELb0EEEN6thrust23THRUST_200600_302600_NS6detail15normal_iteratorINS8_10device_ptrIiEEEEjNS1_16block_id_wrapperIjLb1EEEEEvT_jjPNSG_10value_typeET0_PNSt15iterator_traitsISJ_E10value_typeEmT1_T2_.has_indirect_call, 0
	.section	.AMDGPU.csdata,"",@progbits
; Kernel info:
; codeLenInByte = 664
; TotalNumSgprs: 24
; NumVgprs: 7
; ScratchSize: 0
; MemoryBound: 0
; FloatMode: 240
; IeeeMode: 1
; LDSByteSize: 0 bytes/workgroup (compile time only)
; SGPRBlocks: 0
; VGPRBlocks: 0
; NumSGPRsForWavesPerEU: 24
; NumVGPRsForWavesPerEU: 7
; Occupancy: 16
; WaveLimiterHint : 0
; COMPUTE_PGM_RSRC2:SCRATCH_EN: 0
; COMPUTE_PGM_RSRC2:USER_SGPR: 6
; COMPUTE_PGM_RSRC2:TRAP_HANDLER: 0
; COMPUTE_PGM_RSRC2:TGID_X_EN: 1
; COMPUTE_PGM_RSRC2:TGID_Y_EN: 0
; COMPUTE_PGM_RSRC2:TGID_Z_EN: 0
; COMPUTE_PGM_RSRC2:TIDIG_COMP_CNT: 0
	.section	.text._ZN7rocprim17ROCPRIM_400000_NS6detail17trampoline_kernelINS0_14default_configENS1_27scan_by_key_config_selectorIixEEZZNS1_16scan_by_key_implILNS1_25lookback_scan_determinismE0ELb0ES3_N6thrust23THRUST_200600_302600_NS6detail15normal_iteratorINS9_10device_ptrIiEEEENSB_INSC_IxEEEESG_xNS9_4plusIvEENS9_8equal_toIvEExEE10hipError_tPvRmT2_T3_T4_T5_mT6_T7_P12ihipStream_tbENKUlT_T0_E_clISt17integral_constantIbLb0EES10_IbLb1EEEEDaSW_SX_EUlSW_E_NS1_11comp_targetILNS1_3genE0ELNS1_11target_archE4294967295ELNS1_3gpuE0ELNS1_3repE0EEENS1_30default_config_static_selectorELNS0_4arch9wavefront6targetE0EEEvT1_,"axG",@progbits,_ZN7rocprim17ROCPRIM_400000_NS6detail17trampoline_kernelINS0_14default_configENS1_27scan_by_key_config_selectorIixEEZZNS1_16scan_by_key_implILNS1_25lookback_scan_determinismE0ELb0ES3_N6thrust23THRUST_200600_302600_NS6detail15normal_iteratorINS9_10device_ptrIiEEEENSB_INSC_IxEEEESG_xNS9_4plusIvEENS9_8equal_toIvEExEE10hipError_tPvRmT2_T3_T4_T5_mT6_T7_P12ihipStream_tbENKUlT_T0_E_clISt17integral_constantIbLb0EES10_IbLb1EEEEDaSW_SX_EUlSW_E_NS1_11comp_targetILNS1_3genE0ELNS1_11target_archE4294967295ELNS1_3gpuE0ELNS1_3repE0EEENS1_30default_config_static_selectorELNS0_4arch9wavefront6targetE0EEEvT1_,comdat
	.protected	_ZN7rocprim17ROCPRIM_400000_NS6detail17trampoline_kernelINS0_14default_configENS1_27scan_by_key_config_selectorIixEEZZNS1_16scan_by_key_implILNS1_25lookback_scan_determinismE0ELb0ES3_N6thrust23THRUST_200600_302600_NS6detail15normal_iteratorINS9_10device_ptrIiEEEENSB_INSC_IxEEEESG_xNS9_4plusIvEENS9_8equal_toIvEExEE10hipError_tPvRmT2_T3_T4_T5_mT6_T7_P12ihipStream_tbENKUlT_T0_E_clISt17integral_constantIbLb0EES10_IbLb1EEEEDaSW_SX_EUlSW_E_NS1_11comp_targetILNS1_3genE0ELNS1_11target_archE4294967295ELNS1_3gpuE0ELNS1_3repE0EEENS1_30default_config_static_selectorELNS0_4arch9wavefront6targetE0EEEvT1_ ; -- Begin function _ZN7rocprim17ROCPRIM_400000_NS6detail17trampoline_kernelINS0_14default_configENS1_27scan_by_key_config_selectorIixEEZZNS1_16scan_by_key_implILNS1_25lookback_scan_determinismE0ELb0ES3_N6thrust23THRUST_200600_302600_NS6detail15normal_iteratorINS9_10device_ptrIiEEEENSB_INSC_IxEEEESG_xNS9_4plusIvEENS9_8equal_toIvEExEE10hipError_tPvRmT2_T3_T4_T5_mT6_T7_P12ihipStream_tbENKUlT_T0_E_clISt17integral_constantIbLb0EES10_IbLb1EEEEDaSW_SX_EUlSW_E_NS1_11comp_targetILNS1_3genE0ELNS1_11target_archE4294967295ELNS1_3gpuE0ELNS1_3repE0EEENS1_30default_config_static_selectorELNS0_4arch9wavefront6targetE0EEEvT1_
	.globl	_ZN7rocprim17ROCPRIM_400000_NS6detail17trampoline_kernelINS0_14default_configENS1_27scan_by_key_config_selectorIixEEZZNS1_16scan_by_key_implILNS1_25lookback_scan_determinismE0ELb0ES3_N6thrust23THRUST_200600_302600_NS6detail15normal_iteratorINS9_10device_ptrIiEEEENSB_INSC_IxEEEESG_xNS9_4plusIvEENS9_8equal_toIvEExEE10hipError_tPvRmT2_T3_T4_T5_mT6_T7_P12ihipStream_tbENKUlT_T0_E_clISt17integral_constantIbLb0EES10_IbLb1EEEEDaSW_SX_EUlSW_E_NS1_11comp_targetILNS1_3genE0ELNS1_11target_archE4294967295ELNS1_3gpuE0ELNS1_3repE0EEENS1_30default_config_static_selectorELNS0_4arch9wavefront6targetE0EEEvT1_
	.p2align	8
	.type	_ZN7rocprim17ROCPRIM_400000_NS6detail17trampoline_kernelINS0_14default_configENS1_27scan_by_key_config_selectorIixEEZZNS1_16scan_by_key_implILNS1_25lookback_scan_determinismE0ELb0ES3_N6thrust23THRUST_200600_302600_NS6detail15normal_iteratorINS9_10device_ptrIiEEEENSB_INSC_IxEEEESG_xNS9_4plusIvEENS9_8equal_toIvEExEE10hipError_tPvRmT2_T3_T4_T5_mT6_T7_P12ihipStream_tbENKUlT_T0_E_clISt17integral_constantIbLb0EES10_IbLb1EEEEDaSW_SX_EUlSW_E_NS1_11comp_targetILNS1_3genE0ELNS1_11target_archE4294967295ELNS1_3gpuE0ELNS1_3repE0EEENS1_30default_config_static_selectorELNS0_4arch9wavefront6targetE0EEEvT1_,@function
_ZN7rocprim17ROCPRIM_400000_NS6detail17trampoline_kernelINS0_14default_configENS1_27scan_by_key_config_selectorIixEEZZNS1_16scan_by_key_implILNS1_25lookback_scan_determinismE0ELb0ES3_N6thrust23THRUST_200600_302600_NS6detail15normal_iteratorINS9_10device_ptrIiEEEENSB_INSC_IxEEEESG_xNS9_4plusIvEENS9_8equal_toIvEExEE10hipError_tPvRmT2_T3_T4_T5_mT6_T7_P12ihipStream_tbENKUlT_T0_E_clISt17integral_constantIbLb0EES10_IbLb1EEEEDaSW_SX_EUlSW_E_NS1_11comp_targetILNS1_3genE0ELNS1_11target_archE4294967295ELNS1_3gpuE0ELNS1_3repE0EEENS1_30default_config_static_selectorELNS0_4arch9wavefront6targetE0EEEvT1_: ; @_ZN7rocprim17ROCPRIM_400000_NS6detail17trampoline_kernelINS0_14default_configENS1_27scan_by_key_config_selectorIixEEZZNS1_16scan_by_key_implILNS1_25lookback_scan_determinismE0ELb0ES3_N6thrust23THRUST_200600_302600_NS6detail15normal_iteratorINS9_10device_ptrIiEEEENSB_INSC_IxEEEESG_xNS9_4plusIvEENS9_8equal_toIvEExEE10hipError_tPvRmT2_T3_T4_T5_mT6_T7_P12ihipStream_tbENKUlT_T0_E_clISt17integral_constantIbLb0EES10_IbLb1EEEEDaSW_SX_EUlSW_E_NS1_11comp_targetILNS1_3genE0ELNS1_11target_archE4294967295ELNS1_3gpuE0ELNS1_3repE0EEENS1_30default_config_static_selectorELNS0_4arch9wavefront6targetE0EEEvT1_
; %bb.0:
	.section	.rodata,"a",@progbits
	.p2align	6, 0x0
	.amdhsa_kernel _ZN7rocprim17ROCPRIM_400000_NS6detail17trampoline_kernelINS0_14default_configENS1_27scan_by_key_config_selectorIixEEZZNS1_16scan_by_key_implILNS1_25lookback_scan_determinismE0ELb0ES3_N6thrust23THRUST_200600_302600_NS6detail15normal_iteratorINS9_10device_ptrIiEEEENSB_INSC_IxEEEESG_xNS9_4plusIvEENS9_8equal_toIvEExEE10hipError_tPvRmT2_T3_T4_T5_mT6_T7_P12ihipStream_tbENKUlT_T0_E_clISt17integral_constantIbLb0EES10_IbLb1EEEEDaSW_SX_EUlSW_E_NS1_11comp_targetILNS1_3genE0ELNS1_11target_archE4294967295ELNS1_3gpuE0ELNS1_3repE0EEENS1_30default_config_static_selectorELNS0_4arch9wavefront6targetE0EEEvT1_
		.amdhsa_group_segment_fixed_size 0
		.amdhsa_private_segment_fixed_size 0
		.amdhsa_kernarg_size 136
		.amdhsa_user_sgpr_count 6
		.amdhsa_user_sgpr_private_segment_buffer 1
		.amdhsa_user_sgpr_dispatch_ptr 0
		.amdhsa_user_sgpr_queue_ptr 0
		.amdhsa_user_sgpr_kernarg_segment_ptr 1
		.amdhsa_user_sgpr_dispatch_id 0
		.amdhsa_user_sgpr_flat_scratch_init 0
		.amdhsa_user_sgpr_private_segment_size 0
		.amdhsa_wavefront_size32 1
		.amdhsa_uses_dynamic_stack 0
		.amdhsa_system_sgpr_private_segment_wavefront_offset 0
		.amdhsa_system_sgpr_workgroup_id_x 1
		.amdhsa_system_sgpr_workgroup_id_y 0
		.amdhsa_system_sgpr_workgroup_id_z 0
		.amdhsa_system_sgpr_workgroup_info 0
		.amdhsa_system_vgpr_workitem_id 0
		.amdhsa_next_free_vgpr 1
		.amdhsa_next_free_sgpr 1
		.amdhsa_reserve_vcc 0
		.amdhsa_reserve_flat_scratch 0
		.amdhsa_float_round_mode_32 0
		.amdhsa_float_round_mode_16_64 0
		.amdhsa_float_denorm_mode_32 3
		.amdhsa_float_denorm_mode_16_64 3
		.amdhsa_dx10_clamp 1
		.amdhsa_ieee_mode 1
		.amdhsa_fp16_overflow 0
		.amdhsa_workgroup_processor_mode 1
		.amdhsa_memory_ordered 1
		.amdhsa_forward_progress 1
		.amdhsa_shared_vgpr_count 0
		.amdhsa_exception_fp_ieee_invalid_op 0
		.amdhsa_exception_fp_denorm_src 0
		.amdhsa_exception_fp_ieee_div_zero 0
		.amdhsa_exception_fp_ieee_overflow 0
		.amdhsa_exception_fp_ieee_underflow 0
		.amdhsa_exception_fp_ieee_inexact 0
		.amdhsa_exception_int_div_zero 0
	.end_amdhsa_kernel
	.section	.text._ZN7rocprim17ROCPRIM_400000_NS6detail17trampoline_kernelINS0_14default_configENS1_27scan_by_key_config_selectorIixEEZZNS1_16scan_by_key_implILNS1_25lookback_scan_determinismE0ELb0ES3_N6thrust23THRUST_200600_302600_NS6detail15normal_iteratorINS9_10device_ptrIiEEEENSB_INSC_IxEEEESG_xNS9_4plusIvEENS9_8equal_toIvEExEE10hipError_tPvRmT2_T3_T4_T5_mT6_T7_P12ihipStream_tbENKUlT_T0_E_clISt17integral_constantIbLb0EES10_IbLb1EEEEDaSW_SX_EUlSW_E_NS1_11comp_targetILNS1_3genE0ELNS1_11target_archE4294967295ELNS1_3gpuE0ELNS1_3repE0EEENS1_30default_config_static_selectorELNS0_4arch9wavefront6targetE0EEEvT1_,"axG",@progbits,_ZN7rocprim17ROCPRIM_400000_NS6detail17trampoline_kernelINS0_14default_configENS1_27scan_by_key_config_selectorIixEEZZNS1_16scan_by_key_implILNS1_25lookback_scan_determinismE0ELb0ES3_N6thrust23THRUST_200600_302600_NS6detail15normal_iteratorINS9_10device_ptrIiEEEENSB_INSC_IxEEEESG_xNS9_4plusIvEENS9_8equal_toIvEExEE10hipError_tPvRmT2_T3_T4_T5_mT6_T7_P12ihipStream_tbENKUlT_T0_E_clISt17integral_constantIbLb0EES10_IbLb1EEEEDaSW_SX_EUlSW_E_NS1_11comp_targetILNS1_3genE0ELNS1_11target_archE4294967295ELNS1_3gpuE0ELNS1_3repE0EEENS1_30default_config_static_selectorELNS0_4arch9wavefront6targetE0EEEvT1_,comdat
.Lfunc_end1341:
	.size	_ZN7rocprim17ROCPRIM_400000_NS6detail17trampoline_kernelINS0_14default_configENS1_27scan_by_key_config_selectorIixEEZZNS1_16scan_by_key_implILNS1_25lookback_scan_determinismE0ELb0ES3_N6thrust23THRUST_200600_302600_NS6detail15normal_iteratorINS9_10device_ptrIiEEEENSB_INSC_IxEEEESG_xNS9_4plusIvEENS9_8equal_toIvEExEE10hipError_tPvRmT2_T3_T4_T5_mT6_T7_P12ihipStream_tbENKUlT_T0_E_clISt17integral_constantIbLb0EES10_IbLb1EEEEDaSW_SX_EUlSW_E_NS1_11comp_targetILNS1_3genE0ELNS1_11target_archE4294967295ELNS1_3gpuE0ELNS1_3repE0EEENS1_30default_config_static_selectorELNS0_4arch9wavefront6targetE0EEEvT1_, .Lfunc_end1341-_ZN7rocprim17ROCPRIM_400000_NS6detail17trampoline_kernelINS0_14default_configENS1_27scan_by_key_config_selectorIixEEZZNS1_16scan_by_key_implILNS1_25lookback_scan_determinismE0ELb0ES3_N6thrust23THRUST_200600_302600_NS6detail15normal_iteratorINS9_10device_ptrIiEEEENSB_INSC_IxEEEESG_xNS9_4plusIvEENS9_8equal_toIvEExEE10hipError_tPvRmT2_T3_T4_T5_mT6_T7_P12ihipStream_tbENKUlT_T0_E_clISt17integral_constantIbLb0EES10_IbLb1EEEEDaSW_SX_EUlSW_E_NS1_11comp_targetILNS1_3genE0ELNS1_11target_archE4294967295ELNS1_3gpuE0ELNS1_3repE0EEENS1_30default_config_static_selectorELNS0_4arch9wavefront6targetE0EEEvT1_
                                        ; -- End function
	.set _ZN7rocprim17ROCPRIM_400000_NS6detail17trampoline_kernelINS0_14default_configENS1_27scan_by_key_config_selectorIixEEZZNS1_16scan_by_key_implILNS1_25lookback_scan_determinismE0ELb0ES3_N6thrust23THRUST_200600_302600_NS6detail15normal_iteratorINS9_10device_ptrIiEEEENSB_INSC_IxEEEESG_xNS9_4plusIvEENS9_8equal_toIvEExEE10hipError_tPvRmT2_T3_T4_T5_mT6_T7_P12ihipStream_tbENKUlT_T0_E_clISt17integral_constantIbLb0EES10_IbLb1EEEEDaSW_SX_EUlSW_E_NS1_11comp_targetILNS1_3genE0ELNS1_11target_archE4294967295ELNS1_3gpuE0ELNS1_3repE0EEENS1_30default_config_static_selectorELNS0_4arch9wavefront6targetE0EEEvT1_.num_vgpr, 0
	.set _ZN7rocprim17ROCPRIM_400000_NS6detail17trampoline_kernelINS0_14default_configENS1_27scan_by_key_config_selectorIixEEZZNS1_16scan_by_key_implILNS1_25lookback_scan_determinismE0ELb0ES3_N6thrust23THRUST_200600_302600_NS6detail15normal_iteratorINS9_10device_ptrIiEEEENSB_INSC_IxEEEESG_xNS9_4plusIvEENS9_8equal_toIvEExEE10hipError_tPvRmT2_T3_T4_T5_mT6_T7_P12ihipStream_tbENKUlT_T0_E_clISt17integral_constantIbLb0EES10_IbLb1EEEEDaSW_SX_EUlSW_E_NS1_11comp_targetILNS1_3genE0ELNS1_11target_archE4294967295ELNS1_3gpuE0ELNS1_3repE0EEENS1_30default_config_static_selectorELNS0_4arch9wavefront6targetE0EEEvT1_.num_agpr, 0
	.set _ZN7rocprim17ROCPRIM_400000_NS6detail17trampoline_kernelINS0_14default_configENS1_27scan_by_key_config_selectorIixEEZZNS1_16scan_by_key_implILNS1_25lookback_scan_determinismE0ELb0ES3_N6thrust23THRUST_200600_302600_NS6detail15normal_iteratorINS9_10device_ptrIiEEEENSB_INSC_IxEEEESG_xNS9_4plusIvEENS9_8equal_toIvEExEE10hipError_tPvRmT2_T3_T4_T5_mT6_T7_P12ihipStream_tbENKUlT_T0_E_clISt17integral_constantIbLb0EES10_IbLb1EEEEDaSW_SX_EUlSW_E_NS1_11comp_targetILNS1_3genE0ELNS1_11target_archE4294967295ELNS1_3gpuE0ELNS1_3repE0EEENS1_30default_config_static_selectorELNS0_4arch9wavefront6targetE0EEEvT1_.numbered_sgpr, 0
	.set _ZN7rocprim17ROCPRIM_400000_NS6detail17trampoline_kernelINS0_14default_configENS1_27scan_by_key_config_selectorIixEEZZNS1_16scan_by_key_implILNS1_25lookback_scan_determinismE0ELb0ES3_N6thrust23THRUST_200600_302600_NS6detail15normal_iteratorINS9_10device_ptrIiEEEENSB_INSC_IxEEEESG_xNS9_4plusIvEENS9_8equal_toIvEExEE10hipError_tPvRmT2_T3_T4_T5_mT6_T7_P12ihipStream_tbENKUlT_T0_E_clISt17integral_constantIbLb0EES10_IbLb1EEEEDaSW_SX_EUlSW_E_NS1_11comp_targetILNS1_3genE0ELNS1_11target_archE4294967295ELNS1_3gpuE0ELNS1_3repE0EEENS1_30default_config_static_selectorELNS0_4arch9wavefront6targetE0EEEvT1_.num_named_barrier, 0
	.set _ZN7rocprim17ROCPRIM_400000_NS6detail17trampoline_kernelINS0_14default_configENS1_27scan_by_key_config_selectorIixEEZZNS1_16scan_by_key_implILNS1_25lookback_scan_determinismE0ELb0ES3_N6thrust23THRUST_200600_302600_NS6detail15normal_iteratorINS9_10device_ptrIiEEEENSB_INSC_IxEEEESG_xNS9_4plusIvEENS9_8equal_toIvEExEE10hipError_tPvRmT2_T3_T4_T5_mT6_T7_P12ihipStream_tbENKUlT_T0_E_clISt17integral_constantIbLb0EES10_IbLb1EEEEDaSW_SX_EUlSW_E_NS1_11comp_targetILNS1_3genE0ELNS1_11target_archE4294967295ELNS1_3gpuE0ELNS1_3repE0EEENS1_30default_config_static_selectorELNS0_4arch9wavefront6targetE0EEEvT1_.private_seg_size, 0
	.set _ZN7rocprim17ROCPRIM_400000_NS6detail17trampoline_kernelINS0_14default_configENS1_27scan_by_key_config_selectorIixEEZZNS1_16scan_by_key_implILNS1_25lookback_scan_determinismE0ELb0ES3_N6thrust23THRUST_200600_302600_NS6detail15normal_iteratorINS9_10device_ptrIiEEEENSB_INSC_IxEEEESG_xNS9_4plusIvEENS9_8equal_toIvEExEE10hipError_tPvRmT2_T3_T4_T5_mT6_T7_P12ihipStream_tbENKUlT_T0_E_clISt17integral_constantIbLb0EES10_IbLb1EEEEDaSW_SX_EUlSW_E_NS1_11comp_targetILNS1_3genE0ELNS1_11target_archE4294967295ELNS1_3gpuE0ELNS1_3repE0EEENS1_30default_config_static_selectorELNS0_4arch9wavefront6targetE0EEEvT1_.uses_vcc, 0
	.set _ZN7rocprim17ROCPRIM_400000_NS6detail17trampoline_kernelINS0_14default_configENS1_27scan_by_key_config_selectorIixEEZZNS1_16scan_by_key_implILNS1_25lookback_scan_determinismE0ELb0ES3_N6thrust23THRUST_200600_302600_NS6detail15normal_iteratorINS9_10device_ptrIiEEEENSB_INSC_IxEEEESG_xNS9_4plusIvEENS9_8equal_toIvEExEE10hipError_tPvRmT2_T3_T4_T5_mT6_T7_P12ihipStream_tbENKUlT_T0_E_clISt17integral_constantIbLb0EES10_IbLb1EEEEDaSW_SX_EUlSW_E_NS1_11comp_targetILNS1_3genE0ELNS1_11target_archE4294967295ELNS1_3gpuE0ELNS1_3repE0EEENS1_30default_config_static_selectorELNS0_4arch9wavefront6targetE0EEEvT1_.uses_flat_scratch, 0
	.set _ZN7rocprim17ROCPRIM_400000_NS6detail17trampoline_kernelINS0_14default_configENS1_27scan_by_key_config_selectorIixEEZZNS1_16scan_by_key_implILNS1_25lookback_scan_determinismE0ELb0ES3_N6thrust23THRUST_200600_302600_NS6detail15normal_iteratorINS9_10device_ptrIiEEEENSB_INSC_IxEEEESG_xNS9_4plusIvEENS9_8equal_toIvEExEE10hipError_tPvRmT2_T3_T4_T5_mT6_T7_P12ihipStream_tbENKUlT_T0_E_clISt17integral_constantIbLb0EES10_IbLb1EEEEDaSW_SX_EUlSW_E_NS1_11comp_targetILNS1_3genE0ELNS1_11target_archE4294967295ELNS1_3gpuE0ELNS1_3repE0EEENS1_30default_config_static_selectorELNS0_4arch9wavefront6targetE0EEEvT1_.has_dyn_sized_stack, 0
	.set _ZN7rocprim17ROCPRIM_400000_NS6detail17trampoline_kernelINS0_14default_configENS1_27scan_by_key_config_selectorIixEEZZNS1_16scan_by_key_implILNS1_25lookback_scan_determinismE0ELb0ES3_N6thrust23THRUST_200600_302600_NS6detail15normal_iteratorINS9_10device_ptrIiEEEENSB_INSC_IxEEEESG_xNS9_4plusIvEENS9_8equal_toIvEExEE10hipError_tPvRmT2_T3_T4_T5_mT6_T7_P12ihipStream_tbENKUlT_T0_E_clISt17integral_constantIbLb0EES10_IbLb1EEEEDaSW_SX_EUlSW_E_NS1_11comp_targetILNS1_3genE0ELNS1_11target_archE4294967295ELNS1_3gpuE0ELNS1_3repE0EEENS1_30default_config_static_selectorELNS0_4arch9wavefront6targetE0EEEvT1_.has_recursion, 0
	.set _ZN7rocprim17ROCPRIM_400000_NS6detail17trampoline_kernelINS0_14default_configENS1_27scan_by_key_config_selectorIixEEZZNS1_16scan_by_key_implILNS1_25lookback_scan_determinismE0ELb0ES3_N6thrust23THRUST_200600_302600_NS6detail15normal_iteratorINS9_10device_ptrIiEEEENSB_INSC_IxEEEESG_xNS9_4plusIvEENS9_8equal_toIvEExEE10hipError_tPvRmT2_T3_T4_T5_mT6_T7_P12ihipStream_tbENKUlT_T0_E_clISt17integral_constantIbLb0EES10_IbLb1EEEEDaSW_SX_EUlSW_E_NS1_11comp_targetILNS1_3genE0ELNS1_11target_archE4294967295ELNS1_3gpuE0ELNS1_3repE0EEENS1_30default_config_static_selectorELNS0_4arch9wavefront6targetE0EEEvT1_.has_indirect_call, 0
	.section	.AMDGPU.csdata,"",@progbits
; Kernel info:
; codeLenInByte = 0
; TotalNumSgprs: 0
; NumVgprs: 0
; ScratchSize: 0
; MemoryBound: 0
; FloatMode: 240
; IeeeMode: 1
; LDSByteSize: 0 bytes/workgroup (compile time only)
; SGPRBlocks: 0
; VGPRBlocks: 0
; NumSGPRsForWavesPerEU: 1
; NumVGPRsForWavesPerEU: 1
; Occupancy: 16
; WaveLimiterHint : 0
; COMPUTE_PGM_RSRC2:SCRATCH_EN: 0
; COMPUTE_PGM_RSRC2:USER_SGPR: 6
; COMPUTE_PGM_RSRC2:TRAP_HANDLER: 0
; COMPUTE_PGM_RSRC2:TGID_X_EN: 1
; COMPUTE_PGM_RSRC2:TGID_Y_EN: 0
; COMPUTE_PGM_RSRC2:TGID_Z_EN: 0
; COMPUTE_PGM_RSRC2:TIDIG_COMP_CNT: 0
	.section	.text._ZN7rocprim17ROCPRIM_400000_NS6detail17trampoline_kernelINS0_14default_configENS1_27scan_by_key_config_selectorIixEEZZNS1_16scan_by_key_implILNS1_25lookback_scan_determinismE0ELb0ES3_N6thrust23THRUST_200600_302600_NS6detail15normal_iteratorINS9_10device_ptrIiEEEENSB_INSC_IxEEEESG_xNS9_4plusIvEENS9_8equal_toIvEExEE10hipError_tPvRmT2_T3_T4_T5_mT6_T7_P12ihipStream_tbENKUlT_T0_E_clISt17integral_constantIbLb0EES10_IbLb1EEEEDaSW_SX_EUlSW_E_NS1_11comp_targetILNS1_3genE10ELNS1_11target_archE1201ELNS1_3gpuE5ELNS1_3repE0EEENS1_30default_config_static_selectorELNS0_4arch9wavefront6targetE0EEEvT1_,"axG",@progbits,_ZN7rocprim17ROCPRIM_400000_NS6detail17trampoline_kernelINS0_14default_configENS1_27scan_by_key_config_selectorIixEEZZNS1_16scan_by_key_implILNS1_25lookback_scan_determinismE0ELb0ES3_N6thrust23THRUST_200600_302600_NS6detail15normal_iteratorINS9_10device_ptrIiEEEENSB_INSC_IxEEEESG_xNS9_4plusIvEENS9_8equal_toIvEExEE10hipError_tPvRmT2_T3_T4_T5_mT6_T7_P12ihipStream_tbENKUlT_T0_E_clISt17integral_constantIbLb0EES10_IbLb1EEEEDaSW_SX_EUlSW_E_NS1_11comp_targetILNS1_3genE10ELNS1_11target_archE1201ELNS1_3gpuE5ELNS1_3repE0EEENS1_30default_config_static_selectorELNS0_4arch9wavefront6targetE0EEEvT1_,comdat
	.protected	_ZN7rocprim17ROCPRIM_400000_NS6detail17trampoline_kernelINS0_14default_configENS1_27scan_by_key_config_selectorIixEEZZNS1_16scan_by_key_implILNS1_25lookback_scan_determinismE0ELb0ES3_N6thrust23THRUST_200600_302600_NS6detail15normal_iteratorINS9_10device_ptrIiEEEENSB_INSC_IxEEEESG_xNS9_4plusIvEENS9_8equal_toIvEExEE10hipError_tPvRmT2_T3_T4_T5_mT6_T7_P12ihipStream_tbENKUlT_T0_E_clISt17integral_constantIbLb0EES10_IbLb1EEEEDaSW_SX_EUlSW_E_NS1_11comp_targetILNS1_3genE10ELNS1_11target_archE1201ELNS1_3gpuE5ELNS1_3repE0EEENS1_30default_config_static_selectorELNS0_4arch9wavefront6targetE0EEEvT1_ ; -- Begin function _ZN7rocprim17ROCPRIM_400000_NS6detail17trampoline_kernelINS0_14default_configENS1_27scan_by_key_config_selectorIixEEZZNS1_16scan_by_key_implILNS1_25lookback_scan_determinismE0ELb0ES3_N6thrust23THRUST_200600_302600_NS6detail15normal_iteratorINS9_10device_ptrIiEEEENSB_INSC_IxEEEESG_xNS9_4plusIvEENS9_8equal_toIvEExEE10hipError_tPvRmT2_T3_T4_T5_mT6_T7_P12ihipStream_tbENKUlT_T0_E_clISt17integral_constantIbLb0EES10_IbLb1EEEEDaSW_SX_EUlSW_E_NS1_11comp_targetILNS1_3genE10ELNS1_11target_archE1201ELNS1_3gpuE5ELNS1_3repE0EEENS1_30default_config_static_selectorELNS0_4arch9wavefront6targetE0EEEvT1_
	.globl	_ZN7rocprim17ROCPRIM_400000_NS6detail17trampoline_kernelINS0_14default_configENS1_27scan_by_key_config_selectorIixEEZZNS1_16scan_by_key_implILNS1_25lookback_scan_determinismE0ELb0ES3_N6thrust23THRUST_200600_302600_NS6detail15normal_iteratorINS9_10device_ptrIiEEEENSB_INSC_IxEEEESG_xNS9_4plusIvEENS9_8equal_toIvEExEE10hipError_tPvRmT2_T3_T4_T5_mT6_T7_P12ihipStream_tbENKUlT_T0_E_clISt17integral_constantIbLb0EES10_IbLb1EEEEDaSW_SX_EUlSW_E_NS1_11comp_targetILNS1_3genE10ELNS1_11target_archE1201ELNS1_3gpuE5ELNS1_3repE0EEENS1_30default_config_static_selectorELNS0_4arch9wavefront6targetE0EEEvT1_
	.p2align	8
	.type	_ZN7rocprim17ROCPRIM_400000_NS6detail17trampoline_kernelINS0_14default_configENS1_27scan_by_key_config_selectorIixEEZZNS1_16scan_by_key_implILNS1_25lookback_scan_determinismE0ELb0ES3_N6thrust23THRUST_200600_302600_NS6detail15normal_iteratorINS9_10device_ptrIiEEEENSB_INSC_IxEEEESG_xNS9_4plusIvEENS9_8equal_toIvEExEE10hipError_tPvRmT2_T3_T4_T5_mT6_T7_P12ihipStream_tbENKUlT_T0_E_clISt17integral_constantIbLb0EES10_IbLb1EEEEDaSW_SX_EUlSW_E_NS1_11comp_targetILNS1_3genE10ELNS1_11target_archE1201ELNS1_3gpuE5ELNS1_3repE0EEENS1_30default_config_static_selectorELNS0_4arch9wavefront6targetE0EEEvT1_,@function
_ZN7rocprim17ROCPRIM_400000_NS6detail17trampoline_kernelINS0_14default_configENS1_27scan_by_key_config_selectorIixEEZZNS1_16scan_by_key_implILNS1_25lookback_scan_determinismE0ELb0ES3_N6thrust23THRUST_200600_302600_NS6detail15normal_iteratorINS9_10device_ptrIiEEEENSB_INSC_IxEEEESG_xNS9_4plusIvEENS9_8equal_toIvEExEE10hipError_tPvRmT2_T3_T4_T5_mT6_T7_P12ihipStream_tbENKUlT_T0_E_clISt17integral_constantIbLb0EES10_IbLb1EEEEDaSW_SX_EUlSW_E_NS1_11comp_targetILNS1_3genE10ELNS1_11target_archE1201ELNS1_3gpuE5ELNS1_3repE0EEENS1_30default_config_static_selectorELNS0_4arch9wavefront6targetE0EEEvT1_: ; @_ZN7rocprim17ROCPRIM_400000_NS6detail17trampoline_kernelINS0_14default_configENS1_27scan_by_key_config_selectorIixEEZZNS1_16scan_by_key_implILNS1_25lookback_scan_determinismE0ELb0ES3_N6thrust23THRUST_200600_302600_NS6detail15normal_iteratorINS9_10device_ptrIiEEEENSB_INSC_IxEEEESG_xNS9_4plusIvEENS9_8equal_toIvEExEE10hipError_tPvRmT2_T3_T4_T5_mT6_T7_P12ihipStream_tbENKUlT_T0_E_clISt17integral_constantIbLb0EES10_IbLb1EEEEDaSW_SX_EUlSW_E_NS1_11comp_targetILNS1_3genE10ELNS1_11target_archE1201ELNS1_3gpuE5ELNS1_3repE0EEENS1_30default_config_static_selectorELNS0_4arch9wavefront6targetE0EEEvT1_
; %bb.0:
	.section	.rodata,"a",@progbits
	.p2align	6, 0x0
	.amdhsa_kernel _ZN7rocprim17ROCPRIM_400000_NS6detail17trampoline_kernelINS0_14default_configENS1_27scan_by_key_config_selectorIixEEZZNS1_16scan_by_key_implILNS1_25lookback_scan_determinismE0ELb0ES3_N6thrust23THRUST_200600_302600_NS6detail15normal_iteratorINS9_10device_ptrIiEEEENSB_INSC_IxEEEESG_xNS9_4plusIvEENS9_8equal_toIvEExEE10hipError_tPvRmT2_T3_T4_T5_mT6_T7_P12ihipStream_tbENKUlT_T0_E_clISt17integral_constantIbLb0EES10_IbLb1EEEEDaSW_SX_EUlSW_E_NS1_11comp_targetILNS1_3genE10ELNS1_11target_archE1201ELNS1_3gpuE5ELNS1_3repE0EEENS1_30default_config_static_selectorELNS0_4arch9wavefront6targetE0EEEvT1_
		.amdhsa_group_segment_fixed_size 0
		.amdhsa_private_segment_fixed_size 0
		.amdhsa_kernarg_size 136
		.amdhsa_user_sgpr_count 6
		.amdhsa_user_sgpr_private_segment_buffer 1
		.amdhsa_user_sgpr_dispatch_ptr 0
		.amdhsa_user_sgpr_queue_ptr 0
		.amdhsa_user_sgpr_kernarg_segment_ptr 1
		.amdhsa_user_sgpr_dispatch_id 0
		.amdhsa_user_sgpr_flat_scratch_init 0
		.amdhsa_user_sgpr_private_segment_size 0
		.amdhsa_wavefront_size32 1
		.amdhsa_uses_dynamic_stack 0
		.amdhsa_system_sgpr_private_segment_wavefront_offset 0
		.amdhsa_system_sgpr_workgroup_id_x 1
		.amdhsa_system_sgpr_workgroup_id_y 0
		.amdhsa_system_sgpr_workgroup_id_z 0
		.amdhsa_system_sgpr_workgroup_info 0
		.amdhsa_system_vgpr_workitem_id 0
		.amdhsa_next_free_vgpr 1
		.amdhsa_next_free_sgpr 1
		.amdhsa_reserve_vcc 0
		.amdhsa_reserve_flat_scratch 0
		.amdhsa_float_round_mode_32 0
		.amdhsa_float_round_mode_16_64 0
		.amdhsa_float_denorm_mode_32 3
		.amdhsa_float_denorm_mode_16_64 3
		.amdhsa_dx10_clamp 1
		.amdhsa_ieee_mode 1
		.amdhsa_fp16_overflow 0
		.amdhsa_workgroup_processor_mode 1
		.amdhsa_memory_ordered 1
		.amdhsa_forward_progress 1
		.amdhsa_shared_vgpr_count 0
		.amdhsa_exception_fp_ieee_invalid_op 0
		.amdhsa_exception_fp_denorm_src 0
		.amdhsa_exception_fp_ieee_div_zero 0
		.amdhsa_exception_fp_ieee_overflow 0
		.amdhsa_exception_fp_ieee_underflow 0
		.amdhsa_exception_fp_ieee_inexact 0
		.amdhsa_exception_int_div_zero 0
	.end_amdhsa_kernel
	.section	.text._ZN7rocprim17ROCPRIM_400000_NS6detail17trampoline_kernelINS0_14default_configENS1_27scan_by_key_config_selectorIixEEZZNS1_16scan_by_key_implILNS1_25lookback_scan_determinismE0ELb0ES3_N6thrust23THRUST_200600_302600_NS6detail15normal_iteratorINS9_10device_ptrIiEEEENSB_INSC_IxEEEESG_xNS9_4plusIvEENS9_8equal_toIvEExEE10hipError_tPvRmT2_T3_T4_T5_mT6_T7_P12ihipStream_tbENKUlT_T0_E_clISt17integral_constantIbLb0EES10_IbLb1EEEEDaSW_SX_EUlSW_E_NS1_11comp_targetILNS1_3genE10ELNS1_11target_archE1201ELNS1_3gpuE5ELNS1_3repE0EEENS1_30default_config_static_selectorELNS0_4arch9wavefront6targetE0EEEvT1_,"axG",@progbits,_ZN7rocprim17ROCPRIM_400000_NS6detail17trampoline_kernelINS0_14default_configENS1_27scan_by_key_config_selectorIixEEZZNS1_16scan_by_key_implILNS1_25lookback_scan_determinismE0ELb0ES3_N6thrust23THRUST_200600_302600_NS6detail15normal_iteratorINS9_10device_ptrIiEEEENSB_INSC_IxEEEESG_xNS9_4plusIvEENS9_8equal_toIvEExEE10hipError_tPvRmT2_T3_T4_T5_mT6_T7_P12ihipStream_tbENKUlT_T0_E_clISt17integral_constantIbLb0EES10_IbLb1EEEEDaSW_SX_EUlSW_E_NS1_11comp_targetILNS1_3genE10ELNS1_11target_archE1201ELNS1_3gpuE5ELNS1_3repE0EEENS1_30default_config_static_selectorELNS0_4arch9wavefront6targetE0EEEvT1_,comdat
.Lfunc_end1342:
	.size	_ZN7rocprim17ROCPRIM_400000_NS6detail17trampoline_kernelINS0_14default_configENS1_27scan_by_key_config_selectorIixEEZZNS1_16scan_by_key_implILNS1_25lookback_scan_determinismE0ELb0ES3_N6thrust23THRUST_200600_302600_NS6detail15normal_iteratorINS9_10device_ptrIiEEEENSB_INSC_IxEEEESG_xNS9_4plusIvEENS9_8equal_toIvEExEE10hipError_tPvRmT2_T3_T4_T5_mT6_T7_P12ihipStream_tbENKUlT_T0_E_clISt17integral_constantIbLb0EES10_IbLb1EEEEDaSW_SX_EUlSW_E_NS1_11comp_targetILNS1_3genE10ELNS1_11target_archE1201ELNS1_3gpuE5ELNS1_3repE0EEENS1_30default_config_static_selectorELNS0_4arch9wavefront6targetE0EEEvT1_, .Lfunc_end1342-_ZN7rocprim17ROCPRIM_400000_NS6detail17trampoline_kernelINS0_14default_configENS1_27scan_by_key_config_selectorIixEEZZNS1_16scan_by_key_implILNS1_25lookback_scan_determinismE0ELb0ES3_N6thrust23THRUST_200600_302600_NS6detail15normal_iteratorINS9_10device_ptrIiEEEENSB_INSC_IxEEEESG_xNS9_4plusIvEENS9_8equal_toIvEExEE10hipError_tPvRmT2_T3_T4_T5_mT6_T7_P12ihipStream_tbENKUlT_T0_E_clISt17integral_constantIbLb0EES10_IbLb1EEEEDaSW_SX_EUlSW_E_NS1_11comp_targetILNS1_3genE10ELNS1_11target_archE1201ELNS1_3gpuE5ELNS1_3repE0EEENS1_30default_config_static_selectorELNS0_4arch9wavefront6targetE0EEEvT1_
                                        ; -- End function
	.set _ZN7rocprim17ROCPRIM_400000_NS6detail17trampoline_kernelINS0_14default_configENS1_27scan_by_key_config_selectorIixEEZZNS1_16scan_by_key_implILNS1_25lookback_scan_determinismE0ELb0ES3_N6thrust23THRUST_200600_302600_NS6detail15normal_iteratorINS9_10device_ptrIiEEEENSB_INSC_IxEEEESG_xNS9_4plusIvEENS9_8equal_toIvEExEE10hipError_tPvRmT2_T3_T4_T5_mT6_T7_P12ihipStream_tbENKUlT_T0_E_clISt17integral_constantIbLb0EES10_IbLb1EEEEDaSW_SX_EUlSW_E_NS1_11comp_targetILNS1_3genE10ELNS1_11target_archE1201ELNS1_3gpuE5ELNS1_3repE0EEENS1_30default_config_static_selectorELNS0_4arch9wavefront6targetE0EEEvT1_.num_vgpr, 0
	.set _ZN7rocprim17ROCPRIM_400000_NS6detail17trampoline_kernelINS0_14default_configENS1_27scan_by_key_config_selectorIixEEZZNS1_16scan_by_key_implILNS1_25lookback_scan_determinismE0ELb0ES3_N6thrust23THRUST_200600_302600_NS6detail15normal_iteratorINS9_10device_ptrIiEEEENSB_INSC_IxEEEESG_xNS9_4plusIvEENS9_8equal_toIvEExEE10hipError_tPvRmT2_T3_T4_T5_mT6_T7_P12ihipStream_tbENKUlT_T0_E_clISt17integral_constantIbLb0EES10_IbLb1EEEEDaSW_SX_EUlSW_E_NS1_11comp_targetILNS1_3genE10ELNS1_11target_archE1201ELNS1_3gpuE5ELNS1_3repE0EEENS1_30default_config_static_selectorELNS0_4arch9wavefront6targetE0EEEvT1_.num_agpr, 0
	.set _ZN7rocprim17ROCPRIM_400000_NS6detail17trampoline_kernelINS0_14default_configENS1_27scan_by_key_config_selectorIixEEZZNS1_16scan_by_key_implILNS1_25lookback_scan_determinismE0ELb0ES3_N6thrust23THRUST_200600_302600_NS6detail15normal_iteratorINS9_10device_ptrIiEEEENSB_INSC_IxEEEESG_xNS9_4plusIvEENS9_8equal_toIvEExEE10hipError_tPvRmT2_T3_T4_T5_mT6_T7_P12ihipStream_tbENKUlT_T0_E_clISt17integral_constantIbLb0EES10_IbLb1EEEEDaSW_SX_EUlSW_E_NS1_11comp_targetILNS1_3genE10ELNS1_11target_archE1201ELNS1_3gpuE5ELNS1_3repE0EEENS1_30default_config_static_selectorELNS0_4arch9wavefront6targetE0EEEvT1_.numbered_sgpr, 0
	.set _ZN7rocprim17ROCPRIM_400000_NS6detail17trampoline_kernelINS0_14default_configENS1_27scan_by_key_config_selectorIixEEZZNS1_16scan_by_key_implILNS1_25lookback_scan_determinismE0ELb0ES3_N6thrust23THRUST_200600_302600_NS6detail15normal_iteratorINS9_10device_ptrIiEEEENSB_INSC_IxEEEESG_xNS9_4plusIvEENS9_8equal_toIvEExEE10hipError_tPvRmT2_T3_T4_T5_mT6_T7_P12ihipStream_tbENKUlT_T0_E_clISt17integral_constantIbLb0EES10_IbLb1EEEEDaSW_SX_EUlSW_E_NS1_11comp_targetILNS1_3genE10ELNS1_11target_archE1201ELNS1_3gpuE5ELNS1_3repE0EEENS1_30default_config_static_selectorELNS0_4arch9wavefront6targetE0EEEvT1_.num_named_barrier, 0
	.set _ZN7rocprim17ROCPRIM_400000_NS6detail17trampoline_kernelINS0_14default_configENS1_27scan_by_key_config_selectorIixEEZZNS1_16scan_by_key_implILNS1_25lookback_scan_determinismE0ELb0ES3_N6thrust23THRUST_200600_302600_NS6detail15normal_iteratorINS9_10device_ptrIiEEEENSB_INSC_IxEEEESG_xNS9_4plusIvEENS9_8equal_toIvEExEE10hipError_tPvRmT2_T3_T4_T5_mT6_T7_P12ihipStream_tbENKUlT_T0_E_clISt17integral_constantIbLb0EES10_IbLb1EEEEDaSW_SX_EUlSW_E_NS1_11comp_targetILNS1_3genE10ELNS1_11target_archE1201ELNS1_3gpuE5ELNS1_3repE0EEENS1_30default_config_static_selectorELNS0_4arch9wavefront6targetE0EEEvT1_.private_seg_size, 0
	.set _ZN7rocprim17ROCPRIM_400000_NS6detail17trampoline_kernelINS0_14default_configENS1_27scan_by_key_config_selectorIixEEZZNS1_16scan_by_key_implILNS1_25lookback_scan_determinismE0ELb0ES3_N6thrust23THRUST_200600_302600_NS6detail15normal_iteratorINS9_10device_ptrIiEEEENSB_INSC_IxEEEESG_xNS9_4plusIvEENS9_8equal_toIvEExEE10hipError_tPvRmT2_T3_T4_T5_mT6_T7_P12ihipStream_tbENKUlT_T0_E_clISt17integral_constantIbLb0EES10_IbLb1EEEEDaSW_SX_EUlSW_E_NS1_11comp_targetILNS1_3genE10ELNS1_11target_archE1201ELNS1_3gpuE5ELNS1_3repE0EEENS1_30default_config_static_selectorELNS0_4arch9wavefront6targetE0EEEvT1_.uses_vcc, 0
	.set _ZN7rocprim17ROCPRIM_400000_NS6detail17trampoline_kernelINS0_14default_configENS1_27scan_by_key_config_selectorIixEEZZNS1_16scan_by_key_implILNS1_25lookback_scan_determinismE0ELb0ES3_N6thrust23THRUST_200600_302600_NS6detail15normal_iteratorINS9_10device_ptrIiEEEENSB_INSC_IxEEEESG_xNS9_4plusIvEENS9_8equal_toIvEExEE10hipError_tPvRmT2_T3_T4_T5_mT6_T7_P12ihipStream_tbENKUlT_T0_E_clISt17integral_constantIbLb0EES10_IbLb1EEEEDaSW_SX_EUlSW_E_NS1_11comp_targetILNS1_3genE10ELNS1_11target_archE1201ELNS1_3gpuE5ELNS1_3repE0EEENS1_30default_config_static_selectorELNS0_4arch9wavefront6targetE0EEEvT1_.uses_flat_scratch, 0
	.set _ZN7rocprim17ROCPRIM_400000_NS6detail17trampoline_kernelINS0_14default_configENS1_27scan_by_key_config_selectorIixEEZZNS1_16scan_by_key_implILNS1_25lookback_scan_determinismE0ELb0ES3_N6thrust23THRUST_200600_302600_NS6detail15normal_iteratorINS9_10device_ptrIiEEEENSB_INSC_IxEEEESG_xNS9_4plusIvEENS9_8equal_toIvEExEE10hipError_tPvRmT2_T3_T4_T5_mT6_T7_P12ihipStream_tbENKUlT_T0_E_clISt17integral_constantIbLb0EES10_IbLb1EEEEDaSW_SX_EUlSW_E_NS1_11comp_targetILNS1_3genE10ELNS1_11target_archE1201ELNS1_3gpuE5ELNS1_3repE0EEENS1_30default_config_static_selectorELNS0_4arch9wavefront6targetE0EEEvT1_.has_dyn_sized_stack, 0
	.set _ZN7rocprim17ROCPRIM_400000_NS6detail17trampoline_kernelINS0_14default_configENS1_27scan_by_key_config_selectorIixEEZZNS1_16scan_by_key_implILNS1_25lookback_scan_determinismE0ELb0ES3_N6thrust23THRUST_200600_302600_NS6detail15normal_iteratorINS9_10device_ptrIiEEEENSB_INSC_IxEEEESG_xNS9_4plusIvEENS9_8equal_toIvEExEE10hipError_tPvRmT2_T3_T4_T5_mT6_T7_P12ihipStream_tbENKUlT_T0_E_clISt17integral_constantIbLb0EES10_IbLb1EEEEDaSW_SX_EUlSW_E_NS1_11comp_targetILNS1_3genE10ELNS1_11target_archE1201ELNS1_3gpuE5ELNS1_3repE0EEENS1_30default_config_static_selectorELNS0_4arch9wavefront6targetE0EEEvT1_.has_recursion, 0
	.set _ZN7rocprim17ROCPRIM_400000_NS6detail17trampoline_kernelINS0_14default_configENS1_27scan_by_key_config_selectorIixEEZZNS1_16scan_by_key_implILNS1_25lookback_scan_determinismE0ELb0ES3_N6thrust23THRUST_200600_302600_NS6detail15normal_iteratorINS9_10device_ptrIiEEEENSB_INSC_IxEEEESG_xNS9_4plusIvEENS9_8equal_toIvEExEE10hipError_tPvRmT2_T3_T4_T5_mT6_T7_P12ihipStream_tbENKUlT_T0_E_clISt17integral_constantIbLb0EES10_IbLb1EEEEDaSW_SX_EUlSW_E_NS1_11comp_targetILNS1_3genE10ELNS1_11target_archE1201ELNS1_3gpuE5ELNS1_3repE0EEENS1_30default_config_static_selectorELNS0_4arch9wavefront6targetE0EEEvT1_.has_indirect_call, 0
	.section	.AMDGPU.csdata,"",@progbits
; Kernel info:
; codeLenInByte = 0
; TotalNumSgprs: 0
; NumVgprs: 0
; ScratchSize: 0
; MemoryBound: 0
; FloatMode: 240
; IeeeMode: 1
; LDSByteSize: 0 bytes/workgroup (compile time only)
; SGPRBlocks: 0
; VGPRBlocks: 0
; NumSGPRsForWavesPerEU: 1
; NumVGPRsForWavesPerEU: 1
; Occupancy: 16
; WaveLimiterHint : 0
; COMPUTE_PGM_RSRC2:SCRATCH_EN: 0
; COMPUTE_PGM_RSRC2:USER_SGPR: 6
; COMPUTE_PGM_RSRC2:TRAP_HANDLER: 0
; COMPUTE_PGM_RSRC2:TGID_X_EN: 1
; COMPUTE_PGM_RSRC2:TGID_Y_EN: 0
; COMPUTE_PGM_RSRC2:TGID_Z_EN: 0
; COMPUTE_PGM_RSRC2:TIDIG_COMP_CNT: 0
	.section	.text._ZN7rocprim17ROCPRIM_400000_NS6detail17trampoline_kernelINS0_14default_configENS1_27scan_by_key_config_selectorIixEEZZNS1_16scan_by_key_implILNS1_25lookback_scan_determinismE0ELb0ES3_N6thrust23THRUST_200600_302600_NS6detail15normal_iteratorINS9_10device_ptrIiEEEENSB_INSC_IxEEEESG_xNS9_4plusIvEENS9_8equal_toIvEExEE10hipError_tPvRmT2_T3_T4_T5_mT6_T7_P12ihipStream_tbENKUlT_T0_E_clISt17integral_constantIbLb0EES10_IbLb1EEEEDaSW_SX_EUlSW_E_NS1_11comp_targetILNS1_3genE5ELNS1_11target_archE942ELNS1_3gpuE9ELNS1_3repE0EEENS1_30default_config_static_selectorELNS0_4arch9wavefront6targetE0EEEvT1_,"axG",@progbits,_ZN7rocprim17ROCPRIM_400000_NS6detail17trampoline_kernelINS0_14default_configENS1_27scan_by_key_config_selectorIixEEZZNS1_16scan_by_key_implILNS1_25lookback_scan_determinismE0ELb0ES3_N6thrust23THRUST_200600_302600_NS6detail15normal_iteratorINS9_10device_ptrIiEEEENSB_INSC_IxEEEESG_xNS9_4plusIvEENS9_8equal_toIvEExEE10hipError_tPvRmT2_T3_T4_T5_mT6_T7_P12ihipStream_tbENKUlT_T0_E_clISt17integral_constantIbLb0EES10_IbLb1EEEEDaSW_SX_EUlSW_E_NS1_11comp_targetILNS1_3genE5ELNS1_11target_archE942ELNS1_3gpuE9ELNS1_3repE0EEENS1_30default_config_static_selectorELNS0_4arch9wavefront6targetE0EEEvT1_,comdat
	.protected	_ZN7rocprim17ROCPRIM_400000_NS6detail17trampoline_kernelINS0_14default_configENS1_27scan_by_key_config_selectorIixEEZZNS1_16scan_by_key_implILNS1_25lookback_scan_determinismE0ELb0ES3_N6thrust23THRUST_200600_302600_NS6detail15normal_iteratorINS9_10device_ptrIiEEEENSB_INSC_IxEEEESG_xNS9_4plusIvEENS9_8equal_toIvEExEE10hipError_tPvRmT2_T3_T4_T5_mT6_T7_P12ihipStream_tbENKUlT_T0_E_clISt17integral_constantIbLb0EES10_IbLb1EEEEDaSW_SX_EUlSW_E_NS1_11comp_targetILNS1_3genE5ELNS1_11target_archE942ELNS1_3gpuE9ELNS1_3repE0EEENS1_30default_config_static_selectorELNS0_4arch9wavefront6targetE0EEEvT1_ ; -- Begin function _ZN7rocprim17ROCPRIM_400000_NS6detail17trampoline_kernelINS0_14default_configENS1_27scan_by_key_config_selectorIixEEZZNS1_16scan_by_key_implILNS1_25lookback_scan_determinismE0ELb0ES3_N6thrust23THRUST_200600_302600_NS6detail15normal_iteratorINS9_10device_ptrIiEEEENSB_INSC_IxEEEESG_xNS9_4plusIvEENS9_8equal_toIvEExEE10hipError_tPvRmT2_T3_T4_T5_mT6_T7_P12ihipStream_tbENKUlT_T0_E_clISt17integral_constantIbLb0EES10_IbLb1EEEEDaSW_SX_EUlSW_E_NS1_11comp_targetILNS1_3genE5ELNS1_11target_archE942ELNS1_3gpuE9ELNS1_3repE0EEENS1_30default_config_static_selectorELNS0_4arch9wavefront6targetE0EEEvT1_
	.globl	_ZN7rocprim17ROCPRIM_400000_NS6detail17trampoline_kernelINS0_14default_configENS1_27scan_by_key_config_selectorIixEEZZNS1_16scan_by_key_implILNS1_25lookback_scan_determinismE0ELb0ES3_N6thrust23THRUST_200600_302600_NS6detail15normal_iteratorINS9_10device_ptrIiEEEENSB_INSC_IxEEEESG_xNS9_4plusIvEENS9_8equal_toIvEExEE10hipError_tPvRmT2_T3_T4_T5_mT6_T7_P12ihipStream_tbENKUlT_T0_E_clISt17integral_constantIbLb0EES10_IbLb1EEEEDaSW_SX_EUlSW_E_NS1_11comp_targetILNS1_3genE5ELNS1_11target_archE942ELNS1_3gpuE9ELNS1_3repE0EEENS1_30default_config_static_selectorELNS0_4arch9wavefront6targetE0EEEvT1_
	.p2align	8
	.type	_ZN7rocprim17ROCPRIM_400000_NS6detail17trampoline_kernelINS0_14default_configENS1_27scan_by_key_config_selectorIixEEZZNS1_16scan_by_key_implILNS1_25lookback_scan_determinismE0ELb0ES3_N6thrust23THRUST_200600_302600_NS6detail15normal_iteratorINS9_10device_ptrIiEEEENSB_INSC_IxEEEESG_xNS9_4plusIvEENS9_8equal_toIvEExEE10hipError_tPvRmT2_T3_T4_T5_mT6_T7_P12ihipStream_tbENKUlT_T0_E_clISt17integral_constantIbLb0EES10_IbLb1EEEEDaSW_SX_EUlSW_E_NS1_11comp_targetILNS1_3genE5ELNS1_11target_archE942ELNS1_3gpuE9ELNS1_3repE0EEENS1_30default_config_static_selectorELNS0_4arch9wavefront6targetE0EEEvT1_,@function
_ZN7rocprim17ROCPRIM_400000_NS6detail17trampoline_kernelINS0_14default_configENS1_27scan_by_key_config_selectorIixEEZZNS1_16scan_by_key_implILNS1_25lookback_scan_determinismE0ELb0ES3_N6thrust23THRUST_200600_302600_NS6detail15normal_iteratorINS9_10device_ptrIiEEEENSB_INSC_IxEEEESG_xNS9_4plusIvEENS9_8equal_toIvEExEE10hipError_tPvRmT2_T3_T4_T5_mT6_T7_P12ihipStream_tbENKUlT_T0_E_clISt17integral_constantIbLb0EES10_IbLb1EEEEDaSW_SX_EUlSW_E_NS1_11comp_targetILNS1_3genE5ELNS1_11target_archE942ELNS1_3gpuE9ELNS1_3repE0EEENS1_30default_config_static_selectorELNS0_4arch9wavefront6targetE0EEEvT1_: ; @_ZN7rocprim17ROCPRIM_400000_NS6detail17trampoline_kernelINS0_14default_configENS1_27scan_by_key_config_selectorIixEEZZNS1_16scan_by_key_implILNS1_25lookback_scan_determinismE0ELb0ES3_N6thrust23THRUST_200600_302600_NS6detail15normal_iteratorINS9_10device_ptrIiEEEENSB_INSC_IxEEEESG_xNS9_4plusIvEENS9_8equal_toIvEExEE10hipError_tPvRmT2_T3_T4_T5_mT6_T7_P12ihipStream_tbENKUlT_T0_E_clISt17integral_constantIbLb0EES10_IbLb1EEEEDaSW_SX_EUlSW_E_NS1_11comp_targetILNS1_3genE5ELNS1_11target_archE942ELNS1_3gpuE9ELNS1_3repE0EEENS1_30default_config_static_selectorELNS0_4arch9wavefront6targetE0EEEvT1_
; %bb.0:
	.section	.rodata,"a",@progbits
	.p2align	6, 0x0
	.amdhsa_kernel _ZN7rocprim17ROCPRIM_400000_NS6detail17trampoline_kernelINS0_14default_configENS1_27scan_by_key_config_selectorIixEEZZNS1_16scan_by_key_implILNS1_25lookback_scan_determinismE0ELb0ES3_N6thrust23THRUST_200600_302600_NS6detail15normal_iteratorINS9_10device_ptrIiEEEENSB_INSC_IxEEEESG_xNS9_4plusIvEENS9_8equal_toIvEExEE10hipError_tPvRmT2_T3_T4_T5_mT6_T7_P12ihipStream_tbENKUlT_T0_E_clISt17integral_constantIbLb0EES10_IbLb1EEEEDaSW_SX_EUlSW_E_NS1_11comp_targetILNS1_3genE5ELNS1_11target_archE942ELNS1_3gpuE9ELNS1_3repE0EEENS1_30default_config_static_selectorELNS0_4arch9wavefront6targetE0EEEvT1_
		.amdhsa_group_segment_fixed_size 0
		.amdhsa_private_segment_fixed_size 0
		.amdhsa_kernarg_size 136
		.amdhsa_user_sgpr_count 6
		.amdhsa_user_sgpr_private_segment_buffer 1
		.amdhsa_user_sgpr_dispatch_ptr 0
		.amdhsa_user_sgpr_queue_ptr 0
		.amdhsa_user_sgpr_kernarg_segment_ptr 1
		.amdhsa_user_sgpr_dispatch_id 0
		.amdhsa_user_sgpr_flat_scratch_init 0
		.amdhsa_user_sgpr_private_segment_size 0
		.amdhsa_wavefront_size32 1
		.amdhsa_uses_dynamic_stack 0
		.amdhsa_system_sgpr_private_segment_wavefront_offset 0
		.amdhsa_system_sgpr_workgroup_id_x 1
		.amdhsa_system_sgpr_workgroup_id_y 0
		.amdhsa_system_sgpr_workgroup_id_z 0
		.amdhsa_system_sgpr_workgroup_info 0
		.amdhsa_system_vgpr_workitem_id 0
		.amdhsa_next_free_vgpr 1
		.amdhsa_next_free_sgpr 1
		.amdhsa_reserve_vcc 0
		.amdhsa_reserve_flat_scratch 0
		.amdhsa_float_round_mode_32 0
		.amdhsa_float_round_mode_16_64 0
		.amdhsa_float_denorm_mode_32 3
		.amdhsa_float_denorm_mode_16_64 3
		.amdhsa_dx10_clamp 1
		.amdhsa_ieee_mode 1
		.amdhsa_fp16_overflow 0
		.amdhsa_workgroup_processor_mode 1
		.amdhsa_memory_ordered 1
		.amdhsa_forward_progress 1
		.amdhsa_shared_vgpr_count 0
		.amdhsa_exception_fp_ieee_invalid_op 0
		.amdhsa_exception_fp_denorm_src 0
		.amdhsa_exception_fp_ieee_div_zero 0
		.amdhsa_exception_fp_ieee_overflow 0
		.amdhsa_exception_fp_ieee_underflow 0
		.amdhsa_exception_fp_ieee_inexact 0
		.amdhsa_exception_int_div_zero 0
	.end_amdhsa_kernel
	.section	.text._ZN7rocprim17ROCPRIM_400000_NS6detail17trampoline_kernelINS0_14default_configENS1_27scan_by_key_config_selectorIixEEZZNS1_16scan_by_key_implILNS1_25lookback_scan_determinismE0ELb0ES3_N6thrust23THRUST_200600_302600_NS6detail15normal_iteratorINS9_10device_ptrIiEEEENSB_INSC_IxEEEESG_xNS9_4plusIvEENS9_8equal_toIvEExEE10hipError_tPvRmT2_T3_T4_T5_mT6_T7_P12ihipStream_tbENKUlT_T0_E_clISt17integral_constantIbLb0EES10_IbLb1EEEEDaSW_SX_EUlSW_E_NS1_11comp_targetILNS1_3genE5ELNS1_11target_archE942ELNS1_3gpuE9ELNS1_3repE0EEENS1_30default_config_static_selectorELNS0_4arch9wavefront6targetE0EEEvT1_,"axG",@progbits,_ZN7rocprim17ROCPRIM_400000_NS6detail17trampoline_kernelINS0_14default_configENS1_27scan_by_key_config_selectorIixEEZZNS1_16scan_by_key_implILNS1_25lookback_scan_determinismE0ELb0ES3_N6thrust23THRUST_200600_302600_NS6detail15normal_iteratorINS9_10device_ptrIiEEEENSB_INSC_IxEEEESG_xNS9_4plusIvEENS9_8equal_toIvEExEE10hipError_tPvRmT2_T3_T4_T5_mT6_T7_P12ihipStream_tbENKUlT_T0_E_clISt17integral_constantIbLb0EES10_IbLb1EEEEDaSW_SX_EUlSW_E_NS1_11comp_targetILNS1_3genE5ELNS1_11target_archE942ELNS1_3gpuE9ELNS1_3repE0EEENS1_30default_config_static_selectorELNS0_4arch9wavefront6targetE0EEEvT1_,comdat
.Lfunc_end1343:
	.size	_ZN7rocprim17ROCPRIM_400000_NS6detail17trampoline_kernelINS0_14default_configENS1_27scan_by_key_config_selectorIixEEZZNS1_16scan_by_key_implILNS1_25lookback_scan_determinismE0ELb0ES3_N6thrust23THRUST_200600_302600_NS6detail15normal_iteratorINS9_10device_ptrIiEEEENSB_INSC_IxEEEESG_xNS9_4plusIvEENS9_8equal_toIvEExEE10hipError_tPvRmT2_T3_T4_T5_mT6_T7_P12ihipStream_tbENKUlT_T0_E_clISt17integral_constantIbLb0EES10_IbLb1EEEEDaSW_SX_EUlSW_E_NS1_11comp_targetILNS1_3genE5ELNS1_11target_archE942ELNS1_3gpuE9ELNS1_3repE0EEENS1_30default_config_static_selectorELNS0_4arch9wavefront6targetE0EEEvT1_, .Lfunc_end1343-_ZN7rocprim17ROCPRIM_400000_NS6detail17trampoline_kernelINS0_14default_configENS1_27scan_by_key_config_selectorIixEEZZNS1_16scan_by_key_implILNS1_25lookback_scan_determinismE0ELb0ES3_N6thrust23THRUST_200600_302600_NS6detail15normal_iteratorINS9_10device_ptrIiEEEENSB_INSC_IxEEEESG_xNS9_4plusIvEENS9_8equal_toIvEExEE10hipError_tPvRmT2_T3_T4_T5_mT6_T7_P12ihipStream_tbENKUlT_T0_E_clISt17integral_constantIbLb0EES10_IbLb1EEEEDaSW_SX_EUlSW_E_NS1_11comp_targetILNS1_3genE5ELNS1_11target_archE942ELNS1_3gpuE9ELNS1_3repE0EEENS1_30default_config_static_selectorELNS0_4arch9wavefront6targetE0EEEvT1_
                                        ; -- End function
	.set _ZN7rocprim17ROCPRIM_400000_NS6detail17trampoline_kernelINS0_14default_configENS1_27scan_by_key_config_selectorIixEEZZNS1_16scan_by_key_implILNS1_25lookback_scan_determinismE0ELb0ES3_N6thrust23THRUST_200600_302600_NS6detail15normal_iteratorINS9_10device_ptrIiEEEENSB_INSC_IxEEEESG_xNS9_4plusIvEENS9_8equal_toIvEExEE10hipError_tPvRmT2_T3_T4_T5_mT6_T7_P12ihipStream_tbENKUlT_T0_E_clISt17integral_constantIbLb0EES10_IbLb1EEEEDaSW_SX_EUlSW_E_NS1_11comp_targetILNS1_3genE5ELNS1_11target_archE942ELNS1_3gpuE9ELNS1_3repE0EEENS1_30default_config_static_selectorELNS0_4arch9wavefront6targetE0EEEvT1_.num_vgpr, 0
	.set _ZN7rocprim17ROCPRIM_400000_NS6detail17trampoline_kernelINS0_14default_configENS1_27scan_by_key_config_selectorIixEEZZNS1_16scan_by_key_implILNS1_25lookback_scan_determinismE0ELb0ES3_N6thrust23THRUST_200600_302600_NS6detail15normal_iteratorINS9_10device_ptrIiEEEENSB_INSC_IxEEEESG_xNS9_4plusIvEENS9_8equal_toIvEExEE10hipError_tPvRmT2_T3_T4_T5_mT6_T7_P12ihipStream_tbENKUlT_T0_E_clISt17integral_constantIbLb0EES10_IbLb1EEEEDaSW_SX_EUlSW_E_NS1_11comp_targetILNS1_3genE5ELNS1_11target_archE942ELNS1_3gpuE9ELNS1_3repE0EEENS1_30default_config_static_selectorELNS0_4arch9wavefront6targetE0EEEvT1_.num_agpr, 0
	.set _ZN7rocprim17ROCPRIM_400000_NS6detail17trampoline_kernelINS0_14default_configENS1_27scan_by_key_config_selectorIixEEZZNS1_16scan_by_key_implILNS1_25lookback_scan_determinismE0ELb0ES3_N6thrust23THRUST_200600_302600_NS6detail15normal_iteratorINS9_10device_ptrIiEEEENSB_INSC_IxEEEESG_xNS9_4plusIvEENS9_8equal_toIvEExEE10hipError_tPvRmT2_T3_T4_T5_mT6_T7_P12ihipStream_tbENKUlT_T0_E_clISt17integral_constantIbLb0EES10_IbLb1EEEEDaSW_SX_EUlSW_E_NS1_11comp_targetILNS1_3genE5ELNS1_11target_archE942ELNS1_3gpuE9ELNS1_3repE0EEENS1_30default_config_static_selectorELNS0_4arch9wavefront6targetE0EEEvT1_.numbered_sgpr, 0
	.set _ZN7rocprim17ROCPRIM_400000_NS6detail17trampoline_kernelINS0_14default_configENS1_27scan_by_key_config_selectorIixEEZZNS1_16scan_by_key_implILNS1_25lookback_scan_determinismE0ELb0ES3_N6thrust23THRUST_200600_302600_NS6detail15normal_iteratorINS9_10device_ptrIiEEEENSB_INSC_IxEEEESG_xNS9_4plusIvEENS9_8equal_toIvEExEE10hipError_tPvRmT2_T3_T4_T5_mT6_T7_P12ihipStream_tbENKUlT_T0_E_clISt17integral_constantIbLb0EES10_IbLb1EEEEDaSW_SX_EUlSW_E_NS1_11comp_targetILNS1_3genE5ELNS1_11target_archE942ELNS1_3gpuE9ELNS1_3repE0EEENS1_30default_config_static_selectorELNS0_4arch9wavefront6targetE0EEEvT1_.num_named_barrier, 0
	.set _ZN7rocprim17ROCPRIM_400000_NS6detail17trampoline_kernelINS0_14default_configENS1_27scan_by_key_config_selectorIixEEZZNS1_16scan_by_key_implILNS1_25lookback_scan_determinismE0ELb0ES3_N6thrust23THRUST_200600_302600_NS6detail15normal_iteratorINS9_10device_ptrIiEEEENSB_INSC_IxEEEESG_xNS9_4plusIvEENS9_8equal_toIvEExEE10hipError_tPvRmT2_T3_T4_T5_mT6_T7_P12ihipStream_tbENKUlT_T0_E_clISt17integral_constantIbLb0EES10_IbLb1EEEEDaSW_SX_EUlSW_E_NS1_11comp_targetILNS1_3genE5ELNS1_11target_archE942ELNS1_3gpuE9ELNS1_3repE0EEENS1_30default_config_static_selectorELNS0_4arch9wavefront6targetE0EEEvT1_.private_seg_size, 0
	.set _ZN7rocprim17ROCPRIM_400000_NS6detail17trampoline_kernelINS0_14default_configENS1_27scan_by_key_config_selectorIixEEZZNS1_16scan_by_key_implILNS1_25lookback_scan_determinismE0ELb0ES3_N6thrust23THRUST_200600_302600_NS6detail15normal_iteratorINS9_10device_ptrIiEEEENSB_INSC_IxEEEESG_xNS9_4plusIvEENS9_8equal_toIvEExEE10hipError_tPvRmT2_T3_T4_T5_mT6_T7_P12ihipStream_tbENKUlT_T0_E_clISt17integral_constantIbLb0EES10_IbLb1EEEEDaSW_SX_EUlSW_E_NS1_11comp_targetILNS1_3genE5ELNS1_11target_archE942ELNS1_3gpuE9ELNS1_3repE0EEENS1_30default_config_static_selectorELNS0_4arch9wavefront6targetE0EEEvT1_.uses_vcc, 0
	.set _ZN7rocprim17ROCPRIM_400000_NS6detail17trampoline_kernelINS0_14default_configENS1_27scan_by_key_config_selectorIixEEZZNS1_16scan_by_key_implILNS1_25lookback_scan_determinismE0ELb0ES3_N6thrust23THRUST_200600_302600_NS6detail15normal_iteratorINS9_10device_ptrIiEEEENSB_INSC_IxEEEESG_xNS9_4plusIvEENS9_8equal_toIvEExEE10hipError_tPvRmT2_T3_T4_T5_mT6_T7_P12ihipStream_tbENKUlT_T0_E_clISt17integral_constantIbLb0EES10_IbLb1EEEEDaSW_SX_EUlSW_E_NS1_11comp_targetILNS1_3genE5ELNS1_11target_archE942ELNS1_3gpuE9ELNS1_3repE0EEENS1_30default_config_static_selectorELNS0_4arch9wavefront6targetE0EEEvT1_.uses_flat_scratch, 0
	.set _ZN7rocprim17ROCPRIM_400000_NS6detail17trampoline_kernelINS0_14default_configENS1_27scan_by_key_config_selectorIixEEZZNS1_16scan_by_key_implILNS1_25lookback_scan_determinismE0ELb0ES3_N6thrust23THRUST_200600_302600_NS6detail15normal_iteratorINS9_10device_ptrIiEEEENSB_INSC_IxEEEESG_xNS9_4plusIvEENS9_8equal_toIvEExEE10hipError_tPvRmT2_T3_T4_T5_mT6_T7_P12ihipStream_tbENKUlT_T0_E_clISt17integral_constantIbLb0EES10_IbLb1EEEEDaSW_SX_EUlSW_E_NS1_11comp_targetILNS1_3genE5ELNS1_11target_archE942ELNS1_3gpuE9ELNS1_3repE0EEENS1_30default_config_static_selectorELNS0_4arch9wavefront6targetE0EEEvT1_.has_dyn_sized_stack, 0
	.set _ZN7rocprim17ROCPRIM_400000_NS6detail17trampoline_kernelINS0_14default_configENS1_27scan_by_key_config_selectorIixEEZZNS1_16scan_by_key_implILNS1_25lookback_scan_determinismE0ELb0ES3_N6thrust23THRUST_200600_302600_NS6detail15normal_iteratorINS9_10device_ptrIiEEEENSB_INSC_IxEEEESG_xNS9_4plusIvEENS9_8equal_toIvEExEE10hipError_tPvRmT2_T3_T4_T5_mT6_T7_P12ihipStream_tbENKUlT_T0_E_clISt17integral_constantIbLb0EES10_IbLb1EEEEDaSW_SX_EUlSW_E_NS1_11comp_targetILNS1_3genE5ELNS1_11target_archE942ELNS1_3gpuE9ELNS1_3repE0EEENS1_30default_config_static_selectorELNS0_4arch9wavefront6targetE0EEEvT1_.has_recursion, 0
	.set _ZN7rocprim17ROCPRIM_400000_NS6detail17trampoline_kernelINS0_14default_configENS1_27scan_by_key_config_selectorIixEEZZNS1_16scan_by_key_implILNS1_25lookback_scan_determinismE0ELb0ES3_N6thrust23THRUST_200600_302600_NS6detail15normal_iteratorINS9_10device_ptrIiEEEENSB_INSC_IxEEEESG_xNS9_4plusIvEENS9_8equal_toIvEExEE10hipError_tPvRmT2_T3_T4_T5_mT6_T7_P12ihipStream_tbENKUlT_T0_E_clISt17integral_constantIbLb0EES10_IbLb1EEEEDaSW_SX_EUlSW_E_NS1_11comp_targetILNS1_3genE5ELNS1_11target_archE942ELNS1_3gpuE9ELNS1_3repE0EEENS1_30default_config_static_selectorELNS0_4arch9wavefront6targetE0EEEvT1_.has_indirect_call, 0
	.section	.AMDGPU.csdata,"",@progbits
; Kernel info:
; codeLenInByte = 0
; TotalNumSgprs: 0
; NumVgprs: 0
; ScratchSize: 0
; MemoryBound: 0
; FloatMode: 240
; IeeeMode: 1
; LDSByteSize: 0 bytes/workgroup (compile time only)
; SGPRBlocks: 0
; VGPRBlocks: 0
; NumSGPRsForWavesPerEU: 1
; NumVGPRsForWavesPerEU: 1
; Occupancy: 16
; WaveLimiterHint : 0
; COMPUTE_PGM_RSRC2:SCRATCH_EN: 0
; COMPUTE_PGM_RSRC2:USER_SGPR: 6
; COMPUTE_PGM_RSRC2:TRAP_HANDLER: 0
; COMPUTE_PGM_RSRC2:TGID_X_EN: 1
; COMPUTE_PGM_RSRC2:TGID_Y_EN: 0
; COMPUTE_PGM_RSRC2:TGID_Z_EN: 0
; COMPUTE_PGM_RSRC2:TIDIG_COMP_CNT: 0
	.section	.text._ZN7rocprim17ROCPRIM_400000_NS6detail17trampoline_kernelINS0_14default_configENS1_27scan_by_key_config_selectorIixEEZZNS1_16scan_by_key_implILNS1_25lookback_scan_determinismE0ELb0ES3_N6thrust23THRUST_200600_302600_NS6detail15normal_iteratorINS9_10device_ptrIiEEEENSB_INSC_IxEEEESG_xNS9_4plusIvEENS9_8equal_toIvEExEE10hipError_tPvRmT2_T3_T4_T5_mT6_T7_P12ihipStream_tbENKUlT_T0_E_clISt17integral_constantIbLb0EES10_IbLb1EEEEDaSW_SX_EUlSW_E_NS1_11comp_targetILNS1_3genE4ELNS1_11target_archE910ELNS1_3gpuE8ELNS1_3repE0EEENS1_30default_config_static_selectorELNS0_4arch9wavefront6targetE0EEEvT1_,"axG",@progbits,_ZN7rocprim17ROCPRIM_400000_NS6detail17trampoline_kernelINS0_14default_configENS1_27scan_by_key_config_selectorIixEEZZNS1_16scan_by_key_implILNS1_25lookback_scan_determinismE0ELb0ES3_N6thrust23THRUST_200600_302600_NS6detail15normal_iteratorINS9_10device_ptrIiEEEENSB_INSC_IxEEEESG_xNS9_4plusIvEENS9_8equal_toIvEExEE10hipError_tPvRmT2_T3_T4_T5_mT6_T7_P12ihipStream_tbENKUlT_T0_E_clISt17integral_constantIbLb0EES10_IbLb1EEEEDaSW_SX_EUlSW_E_NS1_11comp_targetILNS1_3genE4ELNS1_11target_archE910ELNS1_3gpuE8ELNS1_3repE0EEENS1_30default_config_static_selectorELNS0_4arch9wavefront6targetE0EEEvT1_,comdat
	.protected	_ZN7rocprim17ROCPRIM_400000_NS6detail17trampoline_kernelINS0_14default_configENS1_27scan_by_key_config_selectorIixEEZZNS1_16scan_by_key_implILNS1_25lookback_scan_determinismE0ELb0ES3_N6thrust23THRUST_200600_302600_NS6detail15normal_iteratorINS9_10device_ptrIiEEEENSB_INSC_IxEEEESG_xNS9_4plusIvEENS9_8equal_toIvEExEE10hipError_tPvRmT2_T3_T4_T5_mT6_T7_P12ihipStream_tbENKUlT_T0_E_clISt17integral_constantIbLb0EES10_IbLb1EEEEDaSW_SX_EUlSW_E_NS1_11comp_targetILNS1_3genE4ELNS1_11target_archE910ELNS1_3gpuE8ELNS1_3repE0EEENS1_30default_config_static_selectorELNS0_4arch9wavefront6targetE0EEEvT1_ ; -- Begin function _ZN7rocprim17ROCPRIM_400000_NS6detail17trampoline_kernelINS0_14default_configENS1_27scan_by_key_config_selectorIixEEZZNS1_16scan_by_key_implILNS1_25lookback_scan_determinismE0ELb0ES3_N6thrust23THRUST_200600_302600_NS6detail15normal_iteratorINS9_10device_ptrIiEEEENSB_INSC_IxEEEESG_xNS9_4plusIvEENS9_8equal_toIvEExEE10hipError_tPvRmT2_T3_T4_T5_mT6_T7_P12ihipStream_tbENKUlT_T0_E_clISt17integral_constantIbLb0EES10_IbLb1EEEEDaSW_SX_EUlSW_E_NS1_11comp_targetILNS1_3genE4ELNS1_11target_archE910ELNS1_3gpuE8ELNS1_3repE0EEENS1_30default_config_static_selectorELNS0_4arch9wavefront6targetE0EEEvT1_
	.globl	_ZN7rocprim17ROCPRIM_400000_NS6detail17trampoline_kernelINS0_14default_configENS1_27scan_by_key_config_selectorIixEEZZNS1_16scan_by_key_implILNS1_25lookback_scan_determinismE0ELb0ES3_N6thrust23THRUST_200600_302600_NS6detail15normal_iteratorINS9_10device_ptrIiEEEENSB_INSC_IxEEEESG_xNS9_4plusIvEENS9_8equal_toIvEExEE10hipError_tPvRmT2_T3_T4_T5_mT6_T7_P12ihipStream_tbENKUlT_T0_E_clISt17integral_constantIbLb0EES10_IbLb1EEEEDaSW_SX_EUlSW_E_NS1_11comp_targetILNS1_3genE4ELNS1_11target_archE910ELNS1_3gpuE8ELNS1_3repE0EEENS1_30default_config_static_selectorELNS0_4arch9wavefront6targetE0EEEvT1_
	.p2align	8
	.type	_ZN7rocprim17ROCPRIM_400000_NS6detail17trampoline_kernelINS0_14default_configENS1_27scan_by_key_config_selectorIixEEZZNS1_16scan_by_key_implILNS1_25lookback_scan_determinismE0ELb0ES3_N6thrust23THRUST_200600_302600_NS6detail15normal_iteratorINS9_10device_ptrIiEEEENSB_INSC_IxEEEESG_xNS9_4plusIvEENS9_8equal_toIvEExEE10hipError_tPvRmT2_T3_T4_T5_mT6_T7_P12ihipStream_tbENKUlT_T0_E_clISt17integral_constantIbLb0EES10_IbLb1EEEEDaSW_SX_EUlSW_E_NS1_11comp_targetILNS1_3genE4ELNS1_11target_archE910ELNS1_3gpuE8ELNS1_3repE0EEENS1_30default_config_static_selectorELNS0_4arch9wavefront6targetE0EEEvT1_,@function
_ZN7rocprim17ROCPRIM_400000_NS6detail17trampoline_kernelINS0_14default_configENS1_27scan_by_key_config_selectorIixEEZZNS1_16scan_by_key_implILNS1_25lookback_scan_determinismE0ELb0ES3_N6thrust23THRUST_200600_302600_NS6detail15normal_iteratorINS9_10device_ptrIiEEEENSB_INSC_IxEEEESG_xNS9_4plusIvEENS9_8equal_toIvEExEE10hipError_tPvRmT2_T3_T4_T5_mT6_T7_P12ihipStream_tbENKUlT_T0_E_clISt17integral_constantIbLb0EES10_IbLb1EEEEDaSW_SX_EUlSW_E_NS1_11comp_targetILNS1_3genE4ELNS1_11target_archE910ELNS1_3gpuE8ELNS1_3repE0EEENS1_30default_config_static_selectorELNS0_4arch9wavefront6targetE0EEEvT1_: ; @_ZN7rocprim17ROCPRIM_400000_NS6detail17trampoline_kernelINS0_14default_configENS1_27scan_by_key_config_selectorIixEEZZNS1_16scan_by_key_implILNS1_25lookback_scan_determinismE0ELb0ES3_N6thrust23THRUST_200600_302600_NS6detail15normal_iteratorINS9_10device_ptrIiEEEENSB_INSC_IxEEEESG_xNS9_4plusIvEENS9_8equal_toIvEExEE10hipError_tPvRmT2_T3_T4_T5_mT6_T7_P12ihipStream_tbENKUlT_T0_E_clISt17integral_constantIbLb0EES10_IbLb1EEEEDaSW_SX_EUlSW_E_NS1_11comp_targetILNS1_3genE4ELNS1_11target_archE910ELNS1_3gpuE8ELNS1_3repE0EEENS1_30default_config_static_selectorELNS0_4arch9wavefront6targetE0EEEvT1_
; %bb.0:
	.section	.rodata,"a",@progbits
	.p2align	6, 0x0
	.amdhsa_kernel _ZN7rocprim17ROCPRIM_400000_NS6detail17trampoline_kernelINS0_14default_configENS1_27scan_by_key_config_selectorIixEEZZNS1_16scan_by_key_implILNS1_25lookback_scan_determinismE0ELb0ES3_N6thrust23THRUST_200600_302600_NS6detail15normal_iteratorINS9_10device_ptrIiEEEENSB_INSC_IxEEEESG_xNS9_4plusIvEENS9_8equal_toIvEExEE10hipError_tPvRmT2_T3_T4_T5_mT6_T7_P12ihipStream_tbENKUlT_T0_E_clISt17integral_constantIbLb0EES10_IbLb1EEEEDaSW_SX_EUlSW_E_NS1_11comp_targetILNS1_3genE4ELNS1_11target_archE910ELNS1_3gpuE8ELNS1_3repE0EEENS1_30default_config_static_selectorELNS0_4arch9wavefront6targetE0EEEvT1_
		.amdhsa_group_segment_fixed_size 0
		.amdhsa_private_segment_fixed_size 0
		.amdhsa_kernarg_size 136
		.amdhsa_user_sgpr_count 6
		.amdhsa_user_sgpr_private_segment_buffer 1
		.amdhsa_user_sgpr_dispatch_ptr 0
		.amdhsa_user_sgpr_queue_ptr 0
		.amdhsa_user_sgpr_kernarg_segment_ptr 1
		.amdhsa_user_sgpr_dispatch_id 0
		.amdhsa_user_sgpr_flat_scratch_init 0
		.amdhsa_user_sgpr_private_segment_size 0
		.amdhsa_wavefront_size32 1
		.amdhsa_uses_dynamic_stack 0
		.amdhsa_system_sgpr_private_segment_wavefront_offset 0
		.amdhsa_system_sgpr_workgroup_id_x 1
		.amdhsa_system_sgpr_workgroup_id_y 0
		.amdhsa_system_sgpr_workgroup_id_z 0
		.amdhsa_system_sgpr_workgroup_info 0
		.amdhsa_system_vgpr_workitem_id 0
		.amdhsa_next_free_vgpr 1
		.amdhsa_next_free_sgpr 1
		.amdhsa_reserve_vcc 0
		.amdhsa_reserve_flat_scratch 0
		.amdhsa_float_round_mode_32 0
		.amdhsa_float_round_mode_16_64 0
		.amdhsa_float_denorm_mode_32 3
		.amdhsa_float_denorm_mode_16_64 3
		.amdhsa_dx10_clamp 1
		.amdhsa_ieee_mode 1
		.amdhsa_fp16_overflow 0
		.amdhsa_workgroup_processor_mode 1
		.amdhsa_memory_ordered 1
		.amdhsa_forward_progress 1
		.amdhsa_shared_vgpr_count 0
		.amdhsa_exception_fp_ieee_invalid_op 0
		.amdhsa_exception_fp_denorm_src 0
		.amdhsa_exception_fp_ieee_div_zero 0
		.amdhsa_exception_fp_ieee_overflow 0
		.amdhsa_exception_fp_ieee_underflow 0
		.amdhsa_exception_fp_ieee_inexact 0
		.amdhsa_exception_int_div_zero 0
	.end_amdhsa_kernel
	.section	.text._ZN7rocprim17ROCPRIM_400000_NS6detail17trampoline_kernelINS0_14default_configENS1_27scan_by_key_config_selectorIixEEZZNS1_16scan_by_key_implILNS1_25lookback_scan_determinismE0ELb0ES3_N6thrust23THRUST_200600_302600_NS6detail15normal_iteratorINS9_10device_ptrIiEEEENSB_INSC_IxEEEESG_xNS9_4plusIvEENS9_8equal_toIvEExEE10hipError_tPvRmT2_T3_T4_T5_mT6_T7_P12ihipStream_tbENKUlT_T0_E_clISt17integral_constantIbLb0EES10_IbLb1EEEEDaSW_SX_EUlSW_E_NS1_11comp_targetILNS1_3genE4ELNS1_11target_archE910ELNS1_3gpuE8ELNS1_3repE0EEENS1_30default_config_static_selectorELNS0_4arch9wavefront6targetE0EEEvT1_,"axG",@progbits,_ZN7rocprim17ROCPRIM_400000_NS6detail17trampoline_kernelINS0_14default_configENS1_27scan_by_key_config_selectorIixEEZZNS1_16scan_by_key_implILNS1_25lookback_scan_determinismE0ELb0ES3_N6thrust23THRUST_200600_302600_NS6detail15normal_iteratorINS9_10device_ptrIiEEEENSB_INSC_IxEEEESG_xNS9_4plusIvEENS9_8equal_toIvEExEE10hipError_tPvRmT2_T3_T4_T5_mT6_T7_P12ihipStream_tbENKUlT_T0_E_clISt17integral_constantIbLb0EES10_IbLb1EEEEDaSW_SX_EUlSW_E_NS1_11comp_targetILNS1_3genE4ELNS1_11target_archE910ELNS1_3gpuE8ELNS1_3repE0EEENS1_30default_config_static_selectorELNS0_4arch9wavefront6targetE0EEEvT1_,comdat
.Lfunc_end1344:
	.size	_ZN7rocprim17ROCPRIM_400000_NS6detail17trampoline_kernelINS0_14default_configENS1_27scan_by_key_config_selectorIixEEZZNS1_16scan_by_key_implILNS1_25lookback_scan_determinismE0ELb0ES3_N6thrust23THRUST_200600_302600_NS6detail15normal_iteratorINS9_10device_ptrIiEEEENSB_INSC_IxEEEESG_xNS9_4plusIvEENS9_8equal_toIvEExEE10hipError_tPvRmT2_T3_T4_T5_mT6_T7_P12ihipStream_tbENKUlT_T0_E_clISt17integral_constantIbLb0EES10_IbLb1EEEEDaSW_SX_EUlSW_E_NS1_11comp_targetILNS1_3genE4ELNS1_11target_archE910ELNS1_3gpuE8ELNS1_3repE0EEENS1_30default_config_static_selectorELNS0_4arch9wavefront6targetE0EEEvT1_, .Lfunc_end1344-_ZN7rocprim17ROCPRIM_400000_NS6detail17trampoline_kernelINS0_14default_configENS1_27scan_by_key_config_selectorIixEEZZNS1_16scan_by_key_implILNS1_25lookback_scan_determinismE0ELb0ES3_N6thrust23THRUST_200600_302600_NS6detail15normal_iteratorINS9_10device_ptrIiEEEENSB_INSC_IxEEEESG_xNS9_4plusIvEENS9_8equal_toIvEExEE10hipError_tPvRmT2_T3_T4_T5_mT6_T7_P12ihipStream_tbENKUlT_T0_E_clISt17integral_constantIbLb0EES10_IbLb1EEEEDaSW_SX_EUlSW_E_NS1_11comp_targetILNS1_3genE4ELNS1_11target_archE910ELNS1_3gpuE8ELNS1_3repE0EEENS1_30default_config_static_selectorELNS0_4arch9wavefront6targetE0EEEvT1_
                                        ; -- End function
	.set _ZN7rocprim17ROCPRIM_400000_NS6detail17trampoline_kernelINS0_14default_configENS1_27scan_by_key_config_selectorIixEEZZNS1_16scan_by_key_implILNS1_25lookback_scan_determinismE0ELb0ES3_N6thrust23THRUST_200600_302600_NS6detail15normal_iteratorINS9_10device_ptrIiEEEENSB_INSC_IxEEEESG_xNS9_4plusIvEENS9_8equal_toIvEExEE10hipError_tPvRmT2_T3_T4_T5_mT6_T7_P12ihipStream_tbENKUlT_T0_E_clISt17integral_constantIbLb0EES10_IbLb1EEEEDaSW_SX_EUlSW_E_NS1_11comp_targetILNS1_3genE4ELNS1_11target_archE910ELNS1_3gpuE8ELNS1_3repE0EEENS1_30default_config_static_selectorELNS0_4arch9wavefront6targetE0EEEvT1_.num_vgpr, 0
	.set _ZN7rocprim17ROCPRIM_400000_NS6detail17trampoline_kernelINS0_14default_configENS1_27scan_by_key_config_selectorIixEEZZNS1_16scan_by_key_implILNS1_25lookback_scan_determinismE0ELb0ES3_N6thrust23THRUST_200600_302600_NS6detail15normal_iteratorINS9_10device_ptrIiEEEENSB_INSC_IxEEEESG_xNS9_4plusIvEENS9_8equal_toIvEExEE10hipError_tPvRmT2_T3_T4_T5_mT6_T7_P12ihipStream_tbENKUlT_T0_E_clISt17integral_constantIbLb0EES10_IbLb1EEEEDaSW_SX_EUlSW_E_NS1_11comp_targetILNS1_3genE4ELNS1_11target_archE910ELNS1_3gpuE8ELNS1_3repE0EEENS1_30default_config_static_selectorELNS0_4arch9wavefront6targetE0EEEvT1_.num_agpr, 0
	.set _ZN7rocprim17ROCPRIM_400000_NS6detail17trampoline_kernelINS0_14default_configENS1_27scan_by_key_config_selectorIixEEZZNS1_16scan_by_key_implILNS1_25lookback_scan_determinismE0ELb0ES3_N6thrust23THRUST_200600_302600_NS6detail15normal_iteratorINS9_10device_ptrIiEEEENSB_INSC_IxEEEESG_xNS9_4plusIvEENS9_8equal_toIvEExEE10hipError_tPvRmT2_T3_T4_T5_mT6_T7_P12ihipStream_tbENKUlT_T0_E_clISt17integral_constantIbLb0EES10_IbLb1EEEEDaSW_SX_EUlSW_E_NS1_11comp_targetILNS1_3genE4ELNS1_11target_archE910ELNS1_3gpuE8ELNS1_3repE0EEENS1_30default_config_static_selectorELNS0_4arch9wavefront6targetE0EEEvT1_.numbered_sgpr, 0
	.set _ZN7rocprim17ROCPRIM_400000_NS6detail17trampoline_kernelINS0_14default_configENS1_27scan_by_key_config_selectorIixEEZZNS1_16scan_by_key_implILNS1_25lookback_scan_determinismE0ELb0ES3_N6thrust23THRUST_200600_302600_NS6detail15normal_iteratorINS9_10device_ptrIiEEEENSB_INSC_IxEEEESG_xNS9_4plusIvEENS9_8equal_toIvEExEE10hipError_tPvRmT2_T3_T4_T5_mT6_T7_P12ihipStream_tbENKUlT_T0_E_clISt17integral_constantIbLb0EES10_IbLb1EEEEDaSW_SX_EUlSW_E_NS1_11comp_targetILNS1_3genE4ELNS1_11target_archE910ELNS1_3gpuE8ELNS1_3repE0EEENS1_30default_config_static_selectorELNS0_4arch9wavefront6targetE0EEEvT1_.num_named_barrier, 0
	.set _ZN7rocprim17ROCPRIM_400000_NS6detail17trampoline_kernelINS0_14default_configENS1_27scan_by_key_config_selectorIixEEZZNS1_16scan_by_key_implILNS1_25lookback_scan_determinismE0ELb0ES3_N6thrust23THRUST_200600_302600_NS6detail15normal_iteratorINS9_10device_ptrIiEEEENSB_INSC_IxEEEESG_xNS9_4plusIvEENS9_8equal_toIvEExEE10hipError_tPvRmT2_T3_T4_T5_mT6_T7_P12ihipStream_tbENKUlT_T0_E_clISt17integral_constantIbLb0EES10_IbLb1EEEEDaSW_SX_EUlSW_E_NS1_11comp_targetILNS1_3genE4ELNS1_11target_archE910ELNS1_3gpuE8ELNS1_3repE0EEENS1_30default_config_static_selectorELNS0_4arch9wavefront6targetE0EEEvT1_.private_seg_size, 0
	.set _ZN7rocprim17ROCPRIM_400000_NS6detail17trampoline_kernelINS0_14default_configENS1_27scan_by_key_config_selectorIixEEZZNS1_16scan_by_key_implILNS1_25lookback_scan_determinismE0ELb0ES3_N6thrust23THRUST_200600_302600_NS6detail15normal_iteratorINS9_10device_ptrIiEEEENSB_INSC_IxEEEESG_xNS9_4plusIvEENS9_8equal_toIvEExEE10hipError_tPvRmT2_T3_T4_T5_mT6_T7_P12ihipStream_tbENKUlT_T0_E_clISt17integral_constantIbLb0EES10_IbLb1EEEEDaSW_SX_EUlSW_E_NS1_11comp_targetILNS1_3genE4ELNS1_11target_archE910ELNS1_3gpuE8ELNS1_3repE0EEENS1_30default_config_static_selectorELNS0_4arch9wavefront6targetE0EEEvT1_.uses_vcc, 0
	.set _ZN7rocprim17ROCPRIM_400000_NS6detail17trampoline_kernelINS0_14default_configENS1_27scan_by_key_config_selectorIixEEZZNS1_16scan_by_key_implILNS1_25lookback_scan_determinismE0ELb0ES3_N6thrust23THRUST_200600_302600_NS6detail15normal_iteratorINS9_10device_ptrIiEEEENSB_INSC_IxEEEESG_xNS9_4plusIvEENS9_8equal_toIvEExEE10hipError_tPvRmT2_T3_T4_T5_mT6_T7_P12ihipStream_tbENKUlT_T0_E_clISt17integral_constantIbLb0EES10_IbLb1EEEEDaSW_SX_EUlSW_E_NS1_11comp_targetILNS1_3genE4ELNS1_11target_archE910ELNS1_3gpuE8ELNS1_3repE0EEENS1_30default_config_static_selectorELNS0_4arch9wavefront6targetE0EEEvT1_.uses_flat_scratch, 0
	.set _ZN7rocprim17ROCPRIM_400000_NS6detail17trampoline_kernelINS0_14default_configENS1_27scan_by_key_config_selectorIixEEZZNS1_16scan_by_key_implILNS1_25lookback_scan_determinismE0ELb0ES3_N6thrust23THRUST_200600_302600_NS6detail15normal_iteratorINS9_10device_ptrIiEEEENSB_INSC_IxEEEESG_xNS9_4plusIvEENS9_8equal_toIvEExEE10hipError_tPvRmT2_T3_T4_T5_mT6_T7_P12ihipStream_tbENKUlT_T0_E_clISt17integral_constantIbLb0EES10_IbLb1EEEEDaSW_SX_EUlSW_E_NS1_11comp_targetILNS1_3genE4ELNS1_11target_archE910ELNS1_3gpuE8ELNS1_3repE0EEENS1_30default_config_static_selectorELNS0_4arch9wavefront6targetE0EEEvT1_.has_dyn_sized_stack, 0
	.set _ZN7rocprim17ROCPRIM_400000_NS6detail17trampoline_kernelINS0_14default_configENS1_27scan_by_key_config_selectorIixEEZZNS1_16scan_by_key_implILNS1_25lookback_scan_determinismE0ELb0ES3_N6thrust23THRUST_200600_302600_NS6detail15normal_iteratorINS9_10device_ptrIiEEEENSB_INSC_IxEEEESG_xNS9_4plusIvEENS9_8equal_toIvEExEE10hipError_tPvRmT2_T3_T4_T5_mT6_T7_P12ihipStream_tbENKUlT_T0_E_clISt17integral_constantIbLb0EES10_IbLb1EEEEDaSW_SX_EUlSW_E_NS1_11comp_targetILNS1_3genE4ELNS1_11target_archE910ELNS1_3gpuE8ELNS1_3repE0EEENS1_30default_config_static_selectorELNS0_4arch9wavefront6targetE0EEEvT1_.has_recursion, 0
	.set _ZN7rocprim17ROCPRIM_400000_NS6detail17trampoline_kernelINS0_14default_configENS1_27scan_by_key_config_selectorIixEEZZNS1_16scan_by_key_implILNS1_25lookback_scan_determinismE0ELb0ES3_N6thrust23THRUST_200600_302600_NS6detail15normal_iteratorINS9_10device_ptrIiEEEENSB_INSC_IxEEEESG_xNS9_4plusIvEENS9_8equal_toIvEExEE10hipError_tPvRmT2_T3_T4_T5_mT6_T7_P12ihipStream_tbENKUlT_T0_E_clISt17integral_constantIbLb0EES10_IbLb1EEEEDaSW_SX_EUlSW_E_NS1_11comp_targetILNS1_3genE4ELNS1_11target_archE910ELNS1_3gpuE8ELNS1_3repE0EEENS1_30default_config_static_selectorELNS0_4arch9wavefront6targetE0EEEvT1_.has_indirect_call, 0
	.section	.AMDGPU.csdata,"",@progbits
; Kernel info:
; codeLenInByte = 0
; TotalNumSgprs: 0
; NumVgprs: 0
; ScratchSize: 0
; MemoryBound: 0
; FloatMode: 240
; IeeeMode: 1
; LDSByteSize: 0 bytes/workgroup (compile time only)
; SGPRBlocks: 0
; VGPRBlocks: 0
; NumSGPRsForWavesPerEU: 1
; NumVGPRsForWavesPerEU: 1
; Occupancy: 16
; WaveLimiterHint : 0
; COMPUTE_PGM_RSRC2:SCRATCH_EN: 0
; COMPUTE_PGM_RSRC2:USER_SGPR: 6
; COMPUTE_PGM_RSRC2:TRAP_HANDLER: 0
; COMPUTE_PGM_RSRC2:TGID_X_EN: 1
; COMPUTE_PGM_RSRC2:TGID_Y_EN: 0
; COMPUTE_PGM_RSRC2:TGID_Z_EN: 0
; COMPUTE_PGM_RSRC2:TIDIG_COMP_CNT: 0
	.section	.text._ZN7rocprim17ROCPRIM_400000_NS6detail17trampoline_kernelINS0_14default_configENS1_27scan_by_key_config_selectorIixEEZZNS1_16scan_by_key_implILNS1_25lookback_scan_determinismE0ELb0ES3_N6thrust23THRUST_200600_302600_NS6detail15normal_iteratorINS9_10device_ptrIiEEEENSB_INSC_IxEEEESG_xNS9_4plusIvEENS9_8equal_toIvEExEE10hipError_tPvRmT2_T3_T4_T5_mT6_T7_P12ihipStream_tbENKUlT_T0_E_clISt17integral_constantIbLb0EES10_IbLb1EEEEDaSW_SX_EUlSW_E_NS1_11comp_targetILNS1_3genE3ELNS1_11target_archE908ELNS1_3gpuE7ELNS1_3repE0EEENS1_30default_config_static_selectorELNS0_4arch9wavefront6targetE0EEEvT1_,"axG",@progbits,_ZN7rocprim17ROCPRIM_400000_NS6detail17trampoline_kernelINS0_14default_configENS1_27scan_by_key_config_selectorIixEEZZNS1_16scan_by_key_implILNS1_25lookback_scan_determinismE0ELb0ES3_N6thrust23THRUST_200600_302600_NS6detail15normal_iteratorINS9_10device_ptrIiEEEENSB_INSC_IxEEEESG_xNS9_4plusIvEENS9_8equal_toIvEExEE10hipError_tPvRmT2_T3_T4_T5_mT6_T7_P12ihipStream_tbENKUlT_T0_E_clISt17integral_constantIbLb0EES10_IbLb1EEEEDaSW_SX_EUlSW_E_NS1_11comp_targetILNS1_3genE3ELNS1_11target_archE908ELNS1_3gpuE7ELNS1_3repE0EEENS1_30default_config_static_selectorELNS0_4arch9wavefront6targetE0EEEvT1_,comdat
	.protected	_ZN7rocprim17ROCPRIM_400000_NS6detail17trampoline_kernelINS0_14default_configENS1_27scan_by_key_config_selectorIixEEZZNS1_16scan_by_key_implILNS1_25lookback_scan_determinismE0ELb0ES3_N6thrust23THRUST_200600_302600_NS6detail15normal_iteratorINS9_10device_ptrIiEEEENSB_INSC_IxEEEESG_xNS9_4plusIvEENS9_8equal_toIvEExEE10hipError_tPvRmT2_T3_T4_T5_mT6_T7_P12ihipStream_tbENKUlT_T0_E_clISt17integral_constantIbLb0EES10_IbLb1EEEEDaSW_SX_EUlSW_E_NS1_11comp_targetILNS1_3genE3ELNS1_11target_archE908ELNS1_3gpuE7ELNS1_3repE0EEENS1_30default_config_static_selectorELNS0_4arch9wavefront6targetE0EEEvT1_ ; -- Begin function _ZN7rocprim17ROCPRIM_400000_NS6detail17trampoline_kernelINS0_14default_configENS1_27scan_by_key_config_selectorIixEEZZNS1_16scan_by_key_implILNS1_25lookback_scan_determinismE0ELb0ES3_N6thrust23THRUST_200600_302600_NS6detail15normal_iteratorINS9_10device_ptrIiEEEENSB_INSC_IxEEEESG_xNS9_4plusIvEENS9_8equal_toIvEExEE10hipError_tPvRmT2_T3_T4_T5_mT6_T7_P12ihipStream_tbENKUlT_T0_E_clISt17integral_constantIbLb0EES10_IbLb1EEEEDaSW_SX_EUlSW_E_NS1_11comp_targetILNS1_3genE3ELNS1_11target_archE908ELNS1_3gpuE7ELNS1_3repE0EEENS1_30default_config_static_selectorELNS0_4arch9wavefront6targetE0EEEvT1_
	.globl	_ZN7rocprim17ROCPRIM_400000_NS6detail17trampoline_kernelINS0_14default_configENS1_27scan_by_key_config_selectorIixEEZZNS1_16scan_by_key_implILNS1_25lookback_scan_determinismE0ELb0ES3_N6thrust23THRUST_200600_302600_NS6detail15normal_iteratorINS9_10device_ptrIiEEEENSB_INSC_IxEEEESG_xNS9_4plusIvEENS9_8equal_toIvEExEE10hipError_tPvRmT2_T3_T4_T5_mT6_T7_P12ihipStream_tbENKUlT_T0_E_clISt17integral_constantIbLb0EES10_IbLb1EEEEDaSW_SX_EUlSW_E_NS1_11comp_targetILNS1_3genE3ELNS1_11target_archE908ELNS1_3gpuE7ELNS1_3repE0EEENS1_30default_config_static_selectorELNS0_4arch9wavefront6targetE0EEEvT1_
	.p2align	8
	.type	_ZN7rocprim17ROCPRIM_400000_NS6detail17trampoline_kernelINS0_14default_configENS1_27scan_by_key_config_selectorIixEEZZNS1_16scan_by_key_implILNS1_25lookback_scan_determinismE0ELb0ES3_N6thrust23THRUST_200600_302600_NS6detail15normal_iteratorINS9_10device_ptrIiEEEENSB_INSC_IxEEEESG_xNS9_4plusIvEENS9_8equal_toIvEExEE10hipError_tPvRmT2_T3_T4_T5_mT6_T7_P12ihipStream_tbENKUlT_T0_E_clISt17integral_constantIbLb0EES10_IbLb1EEEEDaSW_SX_EUlSW_E_NS1_11comp_targetILNS1_3genE3ELNS1_11target_archE908ELNS1_3gpuE7ELNS1_3repE0EEENS1_30default_config_static_selectorELNS0_4arch9wavefront6targetE0EEEvT1_,@function
_ZN7rocprim17ROCPRIM_400000_NS6detail17trampoline_kernelINS0_14default_configENS1_27scan_by_key_config_selectorIixEEZZNS1_16scan_by_key_implILNS1_25lookback_scan_determinismE0ELb0ES3_N6thrust23THRUST_200600_302600_NS6detail15normal_iteratorINS9_10device_ptrIiEEEENSB_INSC_IxEEEESG_xNS9_4plusIvEENS9_8equal_toIvEExEE10hipError_tPvRmT2_T3_T4_T5_mT6_T7_P12ihipStream_tbENKUlT_T0_E_clISt17integral_constantIbLb0EES10_IbLb1EEEEDaSW_SX_EUlSW_E_NS1_11comp_targetILNS1_3genE3ELNS1_11target_archE908ELNS1_3gpuE7ELNS1_3repE0EEENS1_30default_config_static_selectorELNS0_4arch9wavefront6targetE0EEEvT1_: ; @_ZN7rocprim17ROCPRIM_400000_NS6detail17trampoline_kernelINS0_14default_configENS1_27scan_by_key_config_selectorIixEEZZNS1_16scan_by_key_implILNS1_25lookback_scan_determinismE0ELb0ES3_N6thrust23THRUST_200600_302600_NS6detail15normal_iteratorINS9_10device_ptrIiEEEENSB_INSC_IxEEEESG_xNS9_4plusIvEENS9_8equal_toIvEExEE10hipError_tPvRmT2_T3_T4_T5_mT6_T7_P12ihipStream_tbENKUlT_T0_E_clISt17integral_constantIbLb0EES10_IbLb1EEEEDaSW_SX_EUlSW_E_NS1_11comp_targetILNS1_3genE3ELNS1_11target_archE908ELNS1_3gpuE7ELNS1_3repE0EEENS1_30default_config_static_selectorELNS0_4arch9wavefront6targetE0EEEvT1_
; %bb.0:
	.section	.rodata,"a",@progbits
	.p2align	6, 0x0
	.amdhsa_kernel _ZN7rocprim17ROCPRIM_400000_NS6detail17trampoline_kernelINS0_14default_configENS1_27scan_by_key_config_selectorIixEEZZNS1_16scan_by_key_implILNS1_25lookback_scan_determinismE0ELb0ES3_N6thrust23THRUST_200600_302600_NS6detail15normal_iteratorINS9_10device_ptrIiEEEENSB_INSC_IxEEEESG_xNS9_4plusIvEENS9_8equal_toIvEExEE10hipError_tPvRmT2_T3_T4_T5_mT6_T7_P12ihipStream_tbENKUlT_T0_E_clISt17integral_constantIbLb0EES10_IbLb1EEEEDaSW_SX_EUlSW_E_NS1_11comp_targetILNS1_3genE3ELNS1_11target_archE908ELNS1_3gpuE7ELNS1_3repE0EEENS1_30default_config_static_selectorELNS0_4arch9wavefront6targetE0EEEvT1_
		.amdhsa_group_segment_fixed_size 0
		.amdhsa_private_segment_fixed_size 0
		.amdhsa_kernarg_size 136
		.amdhsa_user_sgpr_count 6
		.amdhsa_user_sgpr_private_segment_buffer 1
		.amdhsa_user_sgpr_dispatch_ptr 0
		.amdhsa_user_sgpr_queue_ptr 0
		.amdhsa_user_sgpr_kernarg_segment_ptr 1
		.amdhsa_user_sgpr_dispatch_id 0
		.amdhsa_user_sgpr_flat_scratch_init 0
		.amdhsa_user_sgpr_private_segment_size 0
		.amdhsa_wavefront_size32 1
		.amdhsa_uses_dynamic_stack 0
		.amdhsa_system_sgpr_private_segment_wavefront_offset 0
		.amdhsa_system_sgpr_workgroup_id_x 1
		.amdhsa_system_sgpr_workgroup_id_y 0
		.amdhsa_system_sgpr_workgroup_id_z 0
		.amdhsa_system_sgpr_workgroup_info 0
		.amdhsa_system_vgpr_workitem_id 0
		.amdhsa_next_free_vgpr 1
		.amdhsa_next_free_sgpr 1
		.amdhsa_reserve_vcc 0
		.amdhsa_reserve_flat_scratch 0
		.amdhsa_float_round_mode_32 0
		.amdhsa_float_round_mode_16_64 0
		.amdhsa_float_denorm_mode_32 3
		.amdhsa_float_denorm_mode_16_64 3
		.amdhsa_dx10_clamp 1
		.amdhsa_ieee_mode 1
		.amdhsa_fp16_overflow 0
		.amdhsa_workgroup_processor_mode 1
		.amdhsa_memory_ordered 1
		.amdhsa_forward_progress 1
		.amdhsa_shared_vgpr_count 0
		.amdhsa_exception_fp_ieee_invalid_op 0
		.amdhsa_exception_fp_denorm_src 0
		.amdhsa_exception_fp_ieee_div_zero 0
		.amdhsa_exception_fp_ieee_overflow 0
		.amdhsa_exception_fp_ieee_underflow 0
		.amdhsa_exception_fp_ieee_inexact 0
		.amdhsa_exception_int_div_zero 0
	.end_amdhsa_kernel
	.section	.text._ZN7rocprim17ROCPRIM_400000_NS6detail17trampoline_kernelINS0_14default_configENS1_27scan_by_key_config_selectorIixEEZZNS1_16scan_by_key_implILNS1_25lookback_scan_determinismE0ELb0ES3_N6thrust23THRUST_200600_302600_NS6detail15normal_iteratorINS9_10device_ptrIiEEEENSB_INSC_IxEEEESG_xNS9_4plusIvEENS9_8equal_toIvEExEE10hipError_tPvRmT2_T3_T4_T5_mT6_T7_P12ihipStream_tbENKUlT_T0_E_clISt17integral_constantIbLb0EES10_IbLb1EEEEDaSW_SX_EUlSW_E_NS1_11comp_targetILNS1_3genE3ELNS1_11target_archE908ELNS1_3gpuE7ELNS1_3repE0EEENS1_30default_config_static_selectorELNS0_4arch9wavefront6targetE0EEEvT1_,"axG",@progbits,_ZN7rocprim17ROCPRIM_400000_NS6detail17trampoline_kernelINS0_14default_configENS1_27scan_by_key_config_selectorIixEEZZNS1_16scan_by_key_implILNS1_25lookback_scan_determinismE0ELb0ES3_N6thrust23THRUST_200600_302600_NS6detail15normal_iteratorINS9_10device_ptrIiEEEENSB_INSC_IxEEEESG_xNS9_4plusIvEENS9_8equal_toIvEExEE10hipError_tPvRmT2_T3_T4_T5_mT6_T7_P12ihipStream_tbENKUlT_T0_E_clISt17integral_constantIbLb0EES10_IbLb1EEEEDaSW_SX_EUlSW_E_NS1_11comp_targetILNS1_3genE3ELNS1_11target_archE908ELNS1_3gpuE7ELNS1_3repE0EEENS1_30default_config_static_selectorELNS0_4arch9wavefront6targetE0EEEvT1_,comdat
.Lfunc_end1345:
	.size	_ZN7rocprim17ROCPRIM_400000_NS6detail17trampoline_kernelINS0_14default_configENS1_27scan_by_key_config_selectorIixEEZZNS1_16scan_by_key_implILNS1_25lookback_scan_determinismE0ELb0ES3_N6thrust23THRUST_200600_302600_NS6detail15normal_iteratorINS9_10device_ptrIiEEEENSB_INSC_IxEEEESG_xNS9_4plusIvEENS9_8equal_toIvEExEE10hipError_tPvRmT2_T3_T4_T5_mT6_T7_P12ihipStream_tbENKUlT_T0_E_clISt17integral_constantIbLb0EES10_IbLb1EEEEDaSW_SX_EUlSW_E_NS1_11comp_targetILNS1_3genE3ELNS1_11target_archE908ELNS1_3gpuE7ELNS1_3repE0EEENS1_30default_config_static_selectorELNS0_4arch9wavefront6targetE0EEEvT1_, .Lfunc_end1345-_ZN7rocprim17ROCPRIM_400000_NS6detail17trampoline_kernelINS0_14default_configENS1_27scan_by_key_config_selectorIixEEZZNS1_16scan_by_key_implILNS1_25lookback_scan_determinismE0ELb0ES3_N6thrust23THRUST_200600_302600_NS6detail15normal_iteratorINS9_10device_ptrIiEEEENSB_INSC_IxEEEESG_xNS9_4plusIvEENS9_8equal_toIvEExEE10hipError_tPvRmT2_T3_T4_T5_mT6_T7_P12ihipStream_tbENKUlT_T0_E_clISt17integral_constantIbLb0EES10_IbLb1EEEEDaSW_SX_EUlSW_E_NS1_11comp_targetILNS1_3genE3ELNS1_11target_archE908ELNS1_3gpuE7ELNS1_3repE0EEENS1_30default_config_static_selectorELNS0_4arch9wavefront6targetE0EEEvT1_
                                        ; -- End function
	.set _ZN7rocprim17ROCPRIM_400000_NS6detail17trampoline_kernelINS0_14default_configENS1_27scan_by_key_config_selectorIixEEZZNS1_16scan_by_key_implILNS1_25lookback_scan_determinismE0ELb0ES3_N6thrust23THRUST_200600_302600_NS6detail15normal_iteratorINS9_10device_ptrIiEEEENSB_INSC_IxEEEESG_xNS9_4plusIvEENS9_8equal_toIvEExEE10hipError_tPvRmT2_T3_T4_T5_mT6_T7_P12ihipStream_tbENKUlT_T0_E_clISt17integral_constantIbLb0EES10_IbLb1EEEEDaSW_SX_EUlSW_E_NS1_11comp_targetILNS1_3genE3ELNS1_11target_archE908ELNS1_3gpuE7ELNS1_3repE0EEENS1_30default_config_static_selectorELNS0_4arch9wavefront6targetE0EEEvT1_.num_vgpr, 0
	.set _ZN7rocprim17ROCPRIM_400000_NS6detail17trampoline_kernelINS0_14default_configENS1_27scan_by_key_config_selectorIixEEZZNS1_16scan_by_key_implILNS1_25lookback_scan_determinismE0ELb0ES3_N6thrust23THRUST_200600_302600_NS6detail15normal_iteratorINS9_10device_ptrIiEEEENSB_INSC_IxEEEESG_xNS9_4plusIvEENS9_8equal_toIvEExEE10hipError_tPvRmT2_T3_T4_T5_mT6_T7_P12ihipStream_tbENKUlT_T0_E_clISt17integral_constantIbLb0EES10_IbLb1EEEEDaSW_SX_EUlSW_E_NS1_11comp_targetILNS1_3genE3ELNS1_11target_archE908ELNS1_3gpuE7ELNS1_3repE0EEENS1_30default_config_static_selectorELNS0_4arch9wavefront6targetE0EEEvT1_.num_agpr, 0
	.set _ZN7rocprim17ROCPRIM_400000_NS6detail17trampoline_kernelINS0_14default_configENS1_27scan_by_key_config_selectorIixEEZZNS1_16scan_by_key_implILNS1_25lookback_scan_determinismE0ELb0ES3_N6thrust23THRUST_200600_302600_NS6detail15normal_iteratorINS9_10device_ptrIiEEEENSB_INSC_IxEEEESG_xNS9_4plusIvEENS9_8equal_toIvEExEE10hipError_tPvRmT2_T3_T4_T5_mT6_T7_P12ihipStream_tbENKUlT_T0_E_clISt17integral_constantIbLb0EES10_IbLb1EEEEDaSW_SX_EUlSW_E_NS1_11comp_targetILNS1_3genE3ELNS1_11target_archE908ELNS1_3gpuE7ELNS1_3repE0EEENS1_30default_config_static_selectorELNS0_4arch9wavefront6targetE0EEEvT1_.numbered_sgpr, 0
	.set _ZN7rocprim17ROCPRIM_400000_NS6detail17trampoline_kernelINS0_14default_configENS1_27scan_by_key_config_selectorIixEEZZNS1_16scan_by_key_implILNS1_25lookback_scan_determinismE0ELb0ES3_N6thrust23THRUST_200600_302600_NS6detail15normal_iteratorINS9_10device_ptrIiEEEENSB_INSC_IxEEEESG_xNS9_4plusIvEENS9_8equal_toIvEExEE10hipError_tPvRmT2_T3_T4_T5_mT6_T7_P12ihipStream_tbENKUlT_T0_E_clISt17integral_constantIbLb0EES10_IbLb1EEEEDaSW_SX_EUlSW_E_NS1_11comp_targetILNS1_3genE3ELNS1_11target_archE908ELNS1_3gpuE7ELNS1_3repE0EEENS1_30default_config_static_selectorELNS0_4arch9wavefront6targetE0EEEvT1_.num_named_barrier, 0
	.set _ZN7rocprim17ROCPRIM_400000_NS6detail17trampoline_kernelINS0_14default_configENS1_27scan_by_key_config_selectorIixEEZZNS1_16scan_by_key_implILNS1_25lookback_scan_determinismE0ELb0ES3_N6thrust23THRUST_200600_302600_NS6detail15normal_iteratorINS9_10device_ptrIiEEEENSB_INSC_IxEEEESG_xNS9_4plusIvEENS9_8equal_toIvEExEE10hipError_tPvRmT2_T3_T4_T5_mT6_T7_P12ihipStream_tbENKUlT_T0_E_clISt17integral_constantIbLb0EES10_IbLb1EEEEDaSW_SX_EUlSW_E_NS1_11comp_targetILNS1_3genE3ELNS1_11target_archE908ELNS1_3gpuE7ELNS1_3repE0EEENS1_30default_config_static_selectorELNS0_4arch9wavefront6targetE0EEEvT1_.private_seg_size, 0
	.set _ZN7rocprim17ROCPRIM_400000_NS6detail17trampoline_kernelINS0_14default_configENS1_27scan_by_key_config_selectorIixEEZZNS1_16scan_by_key_implILNS1_25lookback_scan_determinismE0ELb0ES3_N6thrust23THRUST_200600_302600_NS6detail15normal_iteratorINS9_10device_ptrIiEEEENSB_INSC_IxEEEESG_xNS9_4plusIvEENS9_8equal_toIvEExEE10hipError_tPvRmT2_T3_T4_T5_mT6_T7_P12ihipStream_tbENKUlT_T0_E_clISt17integral_constantIbLb0EES10_IbLb1EEEEDaSW_SX_EUlSW_E_NS1_11comp_targetILNS1_3genE3ELNS1_11target_archE908ELNS1_3gpuE7ELNS1_3repE0EEENS1_30default_config_static_selectorELNS0_4arch9wavefront6targetE0EEEvT1_.uses_vcc, 0
	.set _ZN7rocprim17ROCPRIM_400000_NS6detail17trampoline_kernelINS0_14default_configENS1_27scan_by_key_config_selectorIixEEZZNS1_16scan_by_key_implILNS1_25lookback_scan_determinismE0ELb0ES3_N6thrust23THRUST_200600_302600_NS6detail15normal_iteratorINS9_10device_ptrIiEEEENSB_INSC_IxEEEESG_xNS9_4plusIvEENS9_8equal_toIvEExEE10hipError_tPvRmT2_T3_T4_T5_mT6_T7_P12ihipStream_tbENKUlT_T0_E_clISt17integral_constantIbLb0EES10_IbLb1EEEEDaSW_SX_EUlSW_E_NS1_11comp_targetILNS1_3genE3ELNS1_11target_archE908ELNS1_3gpuE7ELNS1_3repE0EEENS1_30default_config_static_selectorELNS0_4arch9wavefront6targetE0EEEvT1_.uses_flat_scratch, 0
	.set _ZN7rocprim17ROCPRIM_400000_NS6detail17trampoline_kernelINS0_14default_configENS1_27scan_by_key_config_selectorIixEEZZNS1_16scan_by_key_implILNS1_25lookback_scan_determinismE0ELb0ES3_N6thrust23THRUST_200600_302600_NS6detail15normal_iteratorINS9_10device_ptrIiEEEENSB_INSC_IxEEEESG_xNS9_4plusIvEENS9_8equal_toIvEExEE10hipError_tPvRmT2_T3_T4_T5_mT6_T7_P12ihipStream_tbENKUlT_T0_E_clISt17integral_constantIbLb0EES10_IbLb1EEEEDaSW_SX_EUlSW_E_NS1_11comp_targetILNS1_3genE3ELNS1_11target_archE908ELNS1_3gpuE7ELNS1_3repE0EEENS1_30default_config_static_selectorELNS0_4arch9wavefront6targetE0EEEvT1_.has_dyn_sized_stack, 0
	.set _ZN7rocprim17ROCPRIM_400000_NS6detail17trampoline_kernelINS0_14default_configENS1_27scan_by_key_config_selectorIixEEZZNS1_16scan_by_key_implILNS1_25lookback_scan_determinismE0ELb0ES3_N6thrust23THRUST_200600_302600_NS6detail15normal_iteratorINS9_10device_ptrIiEEEENSB_INSC_IxEEEESG_xNS9_4plusIvEENS9_8equal_toIvEExEE10hipError_tPvRmT2_T3_T4_T5_mT6_T7_P12ihipStream_tbENKUlT_T0_E_clISt17integral_constantIbLb0EES10_IbLb1EEEEDaSW_SX_EUlSW_E_NS1_11comp_targetILNS1_3genE3ELNS1_11target_archE908ELNS1_3gpuE7ELNS1_3repE0EEENS1_30default_config_static_selectorELNS0_4arch9wavefront6targetE0EEEvT1_.has_recursion, 0
	.set _ZN7rocprim17ROCPRIM_400000_NS6detail17trampoline_kernelINS0_14default_configENS1_27scan_by_key_config_selectorIixEEZZNS1_16scan_by_key_implILNS1_25lookback_scan_determinismE0ELb0ES3_N6thrust23THRUST_200600_302600_NS6detail15normal_iteratorINS9_10device_ptrIiEEEENSB_INSC_IxEEEESG_xNS9_4plusIvEENS9_8equal_toIvEExEE10hipError_tPvRmT2_T3_T4_T5_mT6_T7_P12ihipStream_tbENKUlT_T0_E_clISt17integral_constantIbLb0EES10_IbLb1EEEEDaSW_SX_EUlSW_E_NS1_11comp_targetILNS1_3genE3ELNS1_11target_archE908ELNS1_3gpuE7ELNS1_3repE0EEENS1_30default_config_static_selectorELNS0_4arch9wavefront6targetE0EEEvT1_.has_indirect_call, 0
	.section	.AMDGPU.csdata,"",@progbits
; Kernel info:
; codeLenInByte = 0
; TotalNumSgprs: 0
; NumVgprs: 0
; ScratchSize: 0
; MemoryBound: 0
; FloatMode: 240
; IeeeMode: 1
; LDSByteSize: 0 bytes/workgroup (compile time only)
; SGPRBlocks: 0
; VGPRBlocks: 0
; NumSGPRsForWavesPerEU: 1
; NumVGPRsForWavesPerEU: 1
; Occupancy: 16
; WaveLimiterHint : 0
; COMPUTE_PGM_RSRC2:SCRATCH_EN: 0
; COMPUTE_PGM_RSRC2:USER_SGPR: 6
; COMPUTE_PGM_RSRC2:TRAP_HANDLER: 0
; COMPUTE_PGM_RSRC2:TGID_X_EN: 1
; COMPUTE_PGM_RSRC2:TGID_Y_EN: 0
; COMPUTE_PGM_RSRC2:TGID_Z_EN: 0
; COMPUTE_PGM_RSRC2:TIDIG_COMP_CNT: 0
	.section	.text._ZN7rocprim17ROCPRIM_400000_NS6detail17trampoline_kernelINS0_14default_configENS1_27scan_by_key_config_selectorIixEEZZNS1_16scan_by_key_implILNS1_25lookback_scan_determinismE0ELb0ES3_N6thrust23THRUST_200600_302600_NS6detail15normal_iteratorINS9_10device_ptrIiEEEENSB_INSC_IxEEEESG_xNS9_4plusIvEENS9_8equal_toIvEExEE10hipError_tPvRmT2_T3_T4_T5_mT6_T7_P12ihipStream_tbENKUlT_T0_E_clISt17integral_constantIbLb0EES10_IbLb1EEEEDaSW_SX_EUlSW_E_NS1_11comp_targetILNS1_3genE2ELNS1_11target_archE906ELNS1_3gpuE6ELNS1_3repE0EEENS1_30default_config_static_selectorELNS0_4arch9wavefront6targetE0EEEvT1_,"axG",@progbits,_ZN7rocprim17ROCPRIM_400000_NS6detail17trampoline_kernelINS0_14default_configENS1_27scan_by_key_config_selectorIixEEZZNS1_16scan_by_key_implILNS1_25lookback_scan_determinismE0ELb0ES3_N6thrust23THRUST_200600_302600_NS6detail15normal_iteratorINS9_10device_ptrIiEEEENSB_INSC_IxEEEESG_xNS9_4plusIvEENS9_8equal_toIvEExEE10hipError_tPvRmT2_T3_T4_T5_mT6_T7_P12ihipStream_tbENKUlT_T0_E_clISt17integral_constantIbLb0EES10_IbLb1EEEEDaSW_SX_EUlSW_E_NS1_11comp_targetILNS1_3genE2ELNS1_11target_archE906ELNS1_3gpuE6ELNS1_3repE0EEENS1_30default_config_static_selectorELNS0_4arch9wavefront6targetE0EEEvT1_,comdat
	.protected	_ZN7rocprim17ROCPRIM_400000_NS6detail17trampoline_kernelINS0_14default_configENS1_27scan_by_key_config_selectorIixEEZZNS1_16scan_by_key_implILNS1_25lookback_scan_determinismE0ELb0ES3_N6thrust23THRUST_200600_302600_NS6detail15normal_iteratorINS9_10device_ptrIiEEEENSB_INSC_IxEEEESG_xNS9_4plusIvEENS9_8equal_toIvEExEE10hipError_tPvRmT2_T3_T4_T5_mT6_T7_P12ihipStream_tbENKUlT_T0_E_clISt17integral_constantIbLb0EES10_IbLb1EEEEDaSW_SX_EUlSW_E_NS1_11comp_targetILNS1_3genE2ELNS1_11target_archE906ELNS1_3gpuE6ELNS1_3repE0EEENS1_30default_config_static_selectorELNS0_4arch9wavefront6targetE0EEEvT1_ ; -- Begin function _ZN7rocprim17ROCPRIM_400000_NS6detail17trampoline_kernelINS0_14default_configENS1_27scan_by_key_config_selectorIixEEZZNS1_16scan_by_key_implILNS1_25lookback_scan_determinismE0ELb0ES3_N6thrust23THRUST_200600_302600_NS6detail15normal_iteratorINS9_10device_ptrIiEEEENSB_INSC_IxEEEESG_xNS9_4plusIvEENS9_8equal_toIvEExEE10hipError_tPvRmT2_T3_T4_T5_mT6_T7_P12ihipStream_tbENKUlT_T0_E_clISt17integral_constantIbLb0EES10_IbLb1EEEEDaSW_SX_EUlSW_E_NS1_11comp_targetILNS1_3genE2ELNS1_11target_archE906ELNS1_3gpuE6ELNS1_3repE0EEENS1_30default_config_static_selectorELNS0_4arch9wavefront6targetE0EEEvT1_
	.globl	_ZN7rocprim17ROCPRIM_400000_NS6detail17trampoline_kernelINS0_14default_configENS1_27scan_by_key_config_selectorIixEEZZNS1_16scan_by_key_implILNS1_25lookback_scan_determinismE0ELb0ES3_N6thrust23THRUST_200600_302600_NS6detail15normal_iteratorINS9_10device_ptrIiEEEENSB_INSC_IxEEEESG_xNS9_4plusIvEENS9_8equal_toIvEExEE10hipError_tPvRmT2_T3_T4_T5_mT6_T7_P12ihipStream_tbENKUlT_T0_E_clISt17integral_constantIbLb0EES10_IbLb1EEEEDaSW_SX_EUlSW_E_NS1_11comp_targetILNS1_3genE2ELNS1_11target_archE906ELNS1_3gpuE6ELNS1_3repE0EEENS1_30default_config_static_selectorELNS0_4arch9wavefront6targetE0EEEvT1_
	.p2align	8
	.type	_ZN7rocprim17ROCPRIM_400000_NS6detail17trampoline_kernelINS0_14default_configENS1_27scan_by_key_config_selectorIixEEZZNS1_16scan_by_key_implILNS1_25lookback_scan_determinismE0ELb0ES3_N6thrust23THRUST_200600_302600_NS6detail15normal_iteratorINS9_10device_ptrIiEEEENSB_INSC_IxEEEESG_xNS9_4plusIvEENS9_8equal_toIvEExEE10hipError_tPvRmT2_T3_T4_T5_mT6_T7_P12ihipStream_tbENKUlT_T0_E_clISt17integral_constantIbLb0EES10_IbLb1EEEEDaSW_SX_EUlSW_E_NS1_11comp_targetILNS1_3genE2ELNS1_11target_archE906ELNS1_3gpuE6ELNS1_3repE0EEENS1_30default_config_static_selectorELNS0_4arch9wavefront6targetE0EEEvT1_,@function
_ZN7rocprim17ROCPRIM_400000_NS6detail17trampoline_kernelINS0_14default_configENS1_27scan_by_key_config_selectorIixEEZZNS1_16scan_by_key_implILNS1_25lookback_scan_determinismE0ELb0ES3_N6thrust23THRUST_200600_302600_NS6detail15normal_iteratorINS9_10device_ptrIiEEEENSB_INSC_IxEEEESG_xNS9_4plusIvEENS9_8equal_toIvEExEE10hipError_tPvRmT2_T3_T4_T5_mT6_T7_P12ihipStream_tbENKUlT_T0_E_clISt17integral_constantIbLb0EES10_IbLb1EEEEDaSW_SX_EUlSW_E_NS1_11comp_targetILNS1_3genE2ELNS1_11target_archE906ELNS1_3gpuE6ELNS1_3repE0EEENS1_30default_config_static_selectorELNS0_4arch9wavefront6targetE0EEEvT1_: ; @_ZN7rocprim17ROCPRIM_400000_NS6detail17trampoline_kernelINS0_14default_configENS1_27scan_by_key_config_selectorIixEEZZNS1_16scan_by_key_implILNS1_25lookback_scan_determinismE0ELb0ES3_N6thrust23THRUST_200600_302600_NS6detail15normal_iteratorINS9_10device_ptrIiEEEENSB_INSC_IxEEEESG_xNS9_4plusIvEENS9_8equal_toIvEExEE10hipError_tPvRmT2_T3_T4_T5_mT6_T7_P12ihipStream_tbENKUlT_T0_E_clISt17integral_constantIbLb0EES10_IbLb1EEEEDaSW_SX_EUlSW_E_NS1_11comp_targetILNS1_3genE2ELNS1_11target_archE906ELNS1_3gpuE6ELNS1_3repE0EEENS1_30default_config_static_selectorELNS0_4arch9wavefront6targetE0EEEvT1_
; %bb.0:
	.section	.rodata,"a",@progbits
	.p2align	6, 0x0
	.amdhsa_kernel _ZN7rocprim17ROCPRIM_400000_NS6detail17trampoline_kernelINS0_14default_configENS1_27scan_by_key_config_selectorIixEEZZNS1_16scan_by_key_implILNS1_25lookback_scan_determinismE0ELb0ES3_N6thrust23THRUST_200600_302600_NS6detail15normal_iteratorINS9_10device_ptrIiEEEENSB_INSC_IxEEEESG_xNS9_4plusIvEENS9_8equal_toIvEExEE10hipError_tPvRmT2_T3_T4_T5_mT6_T7_P12ihipStream_tbENKUlT_T0_E_clISt17integral_constantIbLb0EES10_IbLb1EEEEDaSW_SX_EUlSW_E_NS1_11comp_targetILNS1_3genE2ELNS1_11target_archE906ELNS1_3gpuE6ELNS1_3repE0EEENS1_30default_config_static_selectorELNS0_4arch9wavefront6targetE0EEEvT1_
		.amdhsa_group_segment_fixed_size 0
		.amdhsa_private_segment_fixed_size 0
		.amdhsa_kernarg_size 136
		.amdhsa_user_sgpr_count 6
		.amdhsa_user_sgpr_private_segment_buffer 1
		.amdhsa_user_sgpr_dispatch_ptr 0
		.amdhsa_user_sgpr_queue_ptr 0
		.amdhsa_user_sgpr_kernarg_segment_ptr 1
		.amdhsa_user_sgpr_dispatch_id 0
		.amdhsa_user_sgpr_flat_scratch_init 0
		.amdhsa_user_sgpr_private_segment_size 0
		.amdhsa_wavefront_size32 1
		.amdhsa_uses_dynamic_stack 0
		.amdhsa_system_sgpr_private_segment_wavefront_offset 0
		.amdhsa_system_sgpr_workgroup_id_x 1
		.amdhsa_system_sgpr_workgroup_id_y 0
		.amdhsa_system_sgpr_workgroup_id_z 0
		.amdhsa_system_sgpr_workgroup_info 0
		.amdhsa_system_vgpr_workitem_id 0
		.amdhsa_next_free_vgpr 1
		.amdhsa_next_free_sgpr 1
		.amdhsa_reserve_vcc 0
		.amdhsa_reserve_flat_scratch 0
		.amdhsa_float_round_mode_32 0
		.amdhsa_float_round_mode_16_64 0
		.amdhsa_float_denorm_mode_32 3
		.amdhsa_float_denorm_mode_16_64 3
		.amdhsa_dx10_clamp 1
		.amdhsa_ieee_mode 1
		.amdhsa_fp16_overflow 0
		.amdhsa_workgroup_processor_mode 1
		.amdhsa_memory_ordered 1
		.amdhsa_forward_progress 1
		.amdhsa_shared_vgpr_count 0
		.amdhsa_exception_fp_ieee_invalid_op 0
		.amdhsa_exception_fp_denorm_src 0
		.amdhsa_exception_fp_ieee_div_zero 0
		.amdhsa_exception_fp_ieee_overflow 0
		.amdhsa_exception_fp_ieee_underflow 0
		.amdhsa_exception_fp_ieee_inexact 0
		.amdhsa_exception_int_div_zero 0
	.end_amdhsa_kernel
	.section	.text._ZN7rocprim17ROCPRIM_400000_NS6detail17trampoline_kernelINS0_14default_configENS1_27scan_by_key_config_selectorIixEEZZNS1_16scan_by_key_implILNS1_25lookback_scan_determinismE0ELb0ES3_N6thrust23THRUST_200600_302600_NS6detail15normal_iteratorINS9_10device_ptrIiEEEENSB_INSC_IxEEEESG_xNS9_4plusIvEENS9_8equal_toIvEExEE10hipError_tPvRmT2_T3_T4_T5_mT6_T7_P12ihipStream_tbENKUlT_T0_E_clISt17integral_constantIbLb0EES10_IbLb1EEEEDaSW_SX_EUlSW_E_NS1_11comp_targetILNS1_3genE2ELNS1_11target_archE906ELNS1_3gpuE6ELNS1_3repE0EEENS1_30default_config_static_selectorELNS0_4arch9wavefront6targetE0EEEvT1_,"axG",@progbits,_ZN7rocprim17ROCPRIM_400000_NS6detail17trampoline_kernelINS0_14default_configENS1_27scan_by_key_config_selectorIixEEZZNS1_16scan_by_key_implILNS1_25lookback_scan_determinismE0ELb0ES3_N6thrust23THRUST_200600_302600_NS6detail15normal_iteratorINS9_10device_ptrIiEEEENSB_INSC_IxEEEESG_xNS9_4plusIvEENS9_8equal_toIvEExEE10hipError_tPvRmT2_T3_T4_T5_mT6_T7_P12ihipStream_tbENKUlT_T0_E_clISt17integral_constantIbLb0EES10_IbLb1EEEEDaSW_SX_EUlSW_E_NS1_11comp_targetILNS1_3genE2ELNS1_11target_archE906ELNS1_3gpuE6ELNS1_3repE0EEENS1_30default_config_static_selectorELNS0_4arch9wavefront6targetE0EEEvT1_,comdat
.Lfunc_end1346:
	.size	_ZN7rocprim17ROCPRIM_400000_NS6detail17trampoline_kernelINS0_14default_configENS1_27scan_by_key_config_selectorIixEEZZNS1_16scan_by_key_implILNS1_25lookback_scan_determinismE0ELb0ES3_N6thrust23THRUST_200600_302600_NS6detail15normal_iteratorINS9_10device_ptrIiEEEENSB_INSC_IxEEEESG_xNS9_4plusIvEENS9_8equal_toIvEExEE10hipError_tPvRmT2_T3_T4_T5_mT6_T7_P12ihipStream_tbENKUlT_T0_E_clISt17integral_constantIbLb0EES10_IbLb1EEEEDaSW_SX_EUlSW_E_NS1_11comp_targetILNS1_3genE2ELNS1_11target_archE906ELNS1_3gpuE6ELNS1_3repE0EEENS1_30default_config_static_selectorELNS0_4arch9wavefront6targetE0EEEvT1_, .Lfunc_end1346-_ZN7rocprim17ROCPRIM_400000_NS6detail17trampoline_kernelINS0_14default_configENS1_27scan_by_key_config_selectorIixEEZZNS1_16scan_by_key_implILNS1_25lookback_scan_determinismE0ELb0ES3_N6thrust23THRUST_200600_302600_NS6detail15normal_iteratorINS9_10device_ptrIiEEEENSB_INSC_IxEEEESG_xNS9_4plusIvEENS9_8equal_toIvEExEE10hipError_tPvRmT2_T3_T4_T5_mT6_T7_P12ihipStream_tbENKUlT_T0_E_clISt17integral_constantIbLb0EES10_IbLb1EEEEDaSW_SX_EUlSW_E_NS1_11comp_targetILNS1_3genE2ELNS1_11target_archE906ELNS1_3gpuE6ELNS1_3repE0EEENS1_30default_config_static_selectorELNS0_4arch9wavefront6targetE0EEEvT1_
                                        ; -- End function
	.set _ZN7rocprim17ROCPRIM_400000_NS6detail17trampoline_kernelINS0_14default_configENS1_27scan_by_key_config_selectorIixEEZZNS1_16scan_by_key_implILNS1_25lookback_scan_determinismE0ELb0ES3_N6thrust23THRUST_200600_302600_NS6detail15normal_iteratorINS9_10device_ptrIiEEEENSB_INSC_IxEEEESG_xNS9_4plusIvEENS9_8equal_toIvEExEE10hipError_tPvRmT2_T3_T4_T5_mT6_T7_P12ihipStream_tbENKUlT_T0_E_clISt17integral_constantIbLb0EES10_IbLb1EEEEDaSW_SX_EUlSW_E_NS1_11comp_targetILNS1_3genE2ELNS1_11target_archE906ELNS1_3gpuE6ELNS1_3repE0EEENS1_30default_config_static_selectorELNS0_4arch9wavefront6targetE0EEEvT1_.num_vgpr, 0
	.set _ZN7rocprim17ROCPRIM_400000_NS6detail17trampoline_kernelINS0_14default_configENS1_27scan_by_key_config_selectorIixEEZZNS1_16scan_by_key_implILNS1_25lookback_scan_determinismE0ELb0ES3_N6thrust23THRUST_200600_302600_NS6detail15normal_iteratorINS9_10device_ptrIiEEEENSB_INSC_IxEEEESG_xNS9_4plusIvEENS9_8equal_toIvEExEE10hipError_tPvRmT2_T3_T4_T5_mT6_T7_P12ihipStream_tbENKUlT_T0_E_clISt17integral_constantIbLb0EES10_IbLb1EEEEDaSW_SX_EUlSW_E_NS1_11comp_targetILNS1_3genE2ELNS1_11target_archE906ELNS1_3gpuE6ELNS1_3repE0EEENS1_30default_config_static_selectorELNS0_4arch9wavefront6targetE0EEEvT1_.num_agpr, 0
	.set _ZN7rocprim17ROCPRIM_400000_NS6detail17trampoline_kernelINS0_14default_configENS1_27scan_by_key_config_selectorIixEEZZNS1_16scan_by_key_implILNS1_25lookback_scan_determinismE0ELb0ES3_N6thrust23THRUST_200600_302600_NS6detail15normal_iteratorINS9_10device_ptrIiEEEENSB_INSC_IxEEEESG_xNS9_4plusIvEENS9_8equal_toIvEExEE10hipError_tPvRmT2_T3_T4_T5_mT6_T7_P12ihipStream_tbENKUlT_T0_E_clISt17integral_constantIbLb0EES10_IbLb1EEEEDaSW_SX_EUlSW_E_NS1_11comp_targetILNS1_3genE2ELNS1_11target_archE906ELNS1_3gpuE6ELNS1_3repE0EEENS1_30default_config_static_selectorELNS0_4arch9wavefront6targetE0EEEvT1_.numbered_sgpr, 0
	.set _ZN7rocprim17ROCPRIM_400000_NS6detail17trampoline_kernelINS0_14default_configENS1_27scan_by_key_config_selectorIixEEZZNS1_16scan_by_key_implILNS1_25lookback_scan_determinismE0ELb0ES3_N6thrust23THRUST_200600_302600_NS6detail15normal_iteratorINS9_10device_ptrIiEEEENSB_INSC_IxEEEESG_xNS9_4plusIvEENS9_8equal_toIvEExEE10hipError_tPvRmT2_T3_T4_T5_mT6_T7_P12ihipStream_tbENKUlT_T0_E_clISt17integral_constantIbLb0EES10_IbLb1EEEEDaSW_SX_EUlSW_E_NS1_11comp_targetILNS1_3genE2ELNS1_11target_archE906ELNS1_3gpuE6ELNS1_3repE0EEENS1_30default_config_static_selectorELNS0_4arch9wavefront6targetE0EEEvT1_.num_named_barrier, 0
	.set _ZN7rocprim17ROCPRIM_400000_NS6detail17trampoline_kernelINS0_14default_configENS1_27scan_by_key_config_selectorIixEEZZNS1_16scan_by_key_implILNS1_25lookback_scan_determinismE0ELb0ES3_N6thrust23THRUST_200600_302600_NS6detail15normal_iteratorINS9_10device_ptrIiEEEENSB_INSC_IxEEEESG_xNS9_4plusIvEENS9_8equal_toIvEExEE10hipError_tPvRmT2_T3_T4_T5_mT6_T7_P12ihipStream_tbENKUlT_T0_E_clISt17integral_constantIbLb0EES10_IbLb1EEEEDaSW_SX_EUlSW_E_NS1_11comp_targetILNS1_3genE2ELNS1_11target_archE906ELNS1_3gpuE6ELNS1_3repE0EEENS1_30default_config_static_selectorELNS0_4arch9wavefront6targetE0EEEvT1_.private_seg_size, 0
	.set _ZN7rocprim17ROCPRIM_400000_NS6detail17trampoline_kernelINS0_14default_configENS1_27scan_by_key_config_selectorIixEEZZNS1_16scan_by_key_implILNS1_25lookback_scan_determinismE0ELb0ES3_N6thrust23THRUST_200600_302600_NS6detail15normal_iteratorINS9_10device_ptrIiEEEENSB_INSC_IxEEEESG_xNS9_4plusIvEENS9_8equal_toIvEExEE10hipError_tPvRmT2_T3_T4_T5_mT6_T7_P12ihipStream_tbENKUlT_T0_E_clISt17integral_constantIbLb0EES10_IbLb1EEEEDaSW_SX_EUlSW_E_NS1_11comp_targetILNS1_3genE2ELNS1_11target_archE906ELNS1_3gpuE6ELNS1_3repE0EEENS1_30default_config_static_selectorELNS0_4arch9wavefront6targetE0EEEvT1_.uses_vcc, 0
	.set _ZN7rocprim17ROCPRIM_400000_NS6detail17trampoline_kernelINS0_14default_configENS1_27scan_by_key_config_selectorIixEEZZNS1_16scan_by_key_implILNS1_25lookback_scan_determinismE0ELb0ES3_N6thrust23THRUST_200600_302600_NS6detail15normal_iteratorINS9_10device_ptrIiEEEENSB_INSC_IxEEEESG_xNS9_4plusIvEENS9_8equal_toIvEExEE10hipError_tPvRmT2_T3_T4_T5_mT6_T7_P12ihipStream_tbENKUlT_T0_E_clISt17integral_constantIbLb0EES10_IbLb1EEEEDaSW_SX_EUlSW_E_NS1_11comp_targetILNS1_3genE2ELNS1_11target_archE906ELNS1_3gpuE6ELNS1_3repE0EEENS1_30default_config_static_selectorELNS0_4arch9wavefront6targetE0EEEvT1_.uses_flat_scratch, 0
	.set _ZN7rocprim17ROCPRIM_400000_NS6detail17trampoline_kernelINS0_14default_configENS1_27scan_by_key_config_selectorIixEEZZNS1_16scan_by_key_implILNS1_25lookback_scan_determinismE0ELb0ES3_N6thrust23THRUST_200600_302600_NS6detail15normal_iteratorINS9_10device_ptrIiEEEENSB_INSC_IxEEEESG_xNS9_4plusIvEENS9_8equal_toIvEExEE10hipError_tPvRmT2_T3_T4_T5_mT6_T7_P12ihipStream_tbENKUlT_T0_E_clISt17integral_constantIbLb0EES10_IbLb1EEEEDaSW_SX_EUlSW_E_NS1_11comp_targetILNS1_3genE2ELNS1_11target_archE906ELNS1_3gpuE6ELNS1_3repE0EEENS1_30default_config_static_selectorELNS0_4arch9wavefront6targetE0EEEvT1_.has_dyn_sized_stack, 0
	.set _ZN7rocprim17ROCPRIM_400000_NS6detail17trampoline_kernelINS0_14default_configENS1_27scan_by_key_config_selectorIixEEZZNS1_16scan_by_key_implILNS1_25lookback_scan_determinismE0ELb0ES3_N6thrust23THRUST_200600_302600_NS6detail15normal_iteratorINS9_10device_ptrIiEEEENSB_INSC_IxEEEESG_xNS9_4plusIvEENS9_8equal_toIvEExEE10hipError_tPvRmT2_T3_T4_T5_mT6_T7_P12ihipStream_tbENKUlT_T0_E_clISt17integral_constantIbLb0EES10_IbLb1EEEEDaSW_SX_EUlSW_E_NS1_11comp_targetILNS1_3genE2ELNS1_11target_archE906ELNS1_3gpuE6ELNS1_3repE0EEENS1_30default_config_static_selectorELNS0_4arch9wavefront6targetE0EEEvT1_.has_recursion, 0
	.set _ZN7rocprim17ROCPRIM_400000_NS6detail17trampoline_kernelINS0_14default_configENS1_27scan_by_key_config_selectorIixEEZZNS1_16scan_by_key_implILNS1_25lookback_scan_determinismE0ELb0ES3_N6thrust23THRUST_200600_302600_NS6detail15normal_iteratorINS9_10device_ptrIiEEEENSB_INSC_IxEEEESG_xNS9_4plusIvEENS9_8equal_toIvEExEE10hipError_tPvRmT2_T3_T4_T5_mT6_T7_P12ihipStream_tbENKUlT_T0_E_clISt17integral_constantIbLb0EES10_IbLb1EEEEDaSW_SX_EUlSW_E_NS1_11comp_targetILNS1_3genE2ELNS1_11target_archE906ELNS1_3gpuE6ELNS1_3repE0EEENS1_30default_config_static_selectorELNS0_4arch9wavefront6targetE0EEEvT1_.has_indirect_call, 0
	.section	.AMDGPU.csdata,"",@progbits
; Kernel info:
; codeLenInByte = 0
; TotalNumSgprs: 0
; NumVgprs: 0
; ScratchSize: 0
; MemoryBound: 0
; FloatMode: 240
; IeeeMode: 1
; LDSByteSize: 0 bytes/workgroup (compile time only)
; SGPRBlocks: 0
; VGPRBlocks: 0
; NumSGPRsForWavesPerEU: 1
; NumVGPRsForWavesPerEU: 1
; Occupancy: 16
; WaveLimiterHint : 0
; COMPUTE_PGM_RSRC2:SCRATCH_EN: 0
; COMPUTE_PGM_RSRC2:USER_SGPR: 6
; COMPUTE_PGM_RSRC2:TRAP_HANDLER: 0
; COMPUTE_PGM_RSRC2:TGID_X_EN: 1
; COMPUTE_PGM_RSRC2:TGID_Y_EN: 0
; COMPUTE_PGM_RSRC2:TGID_Z_EN: 0
; COMPUTE_PGM_RSRC2:TIDIG_COMP_CNT: 0
	.section	.text._ZN7rocprim17ROCPRIM_400000_NS6detail17trampoline_kernelINS0_14default_configENS1_27scan_by_key_config_selectorIixEEZZNS1_16scan_by_key_implILNS1_25lookback_scan_determinismE0ELb0ES3_N6thrust23THRUST_200600_302600_NS6detail15normal_iteratorINS9_10device_ptrIiEEEENSB_INSC_IxEEEESG_xNS9_4plusIvEENS9_8equal_toIvEExEE10hipError_tPvRmT2_T3_T4_T5_mT6_T7_P12ihipStream_tbENKUlT_T0_E_clISt17integral_constantIbLb0EES10_IbLb1EEEEDaSW_SX_EUlSW_E_NS1_11comp_targetILNS1_3genE10ELNS1_11target_archE1200ELNS1_3gpuE4ELNS1_3repE0EEENS1_30default_config_static_selectorELNS0_4arch9wavefront6targetE0EEEvT1_,"axG",@progbits,_ZN7rocprim17ROCPRIM_400000_NS6detail17trampoline_kernelINS0_14default_configENS1_27scan_by_key_config_selectorIixEEZZNS1_16scan_by_key_implILNS1_25lookback_scan_determinismE0ELb0ES3_N6thrust23THRUST_200600_302600_NS6detail15normal_iteratorINS9_10device_ptrIiEEEENSB_INSC_IxEEEESG_xNS9_4plusIvEENS9_8equal_toIvEExEE10hipError_tPvRmT2_T3_T4_T5_mT6_T7_P12ihipStream_tbENKUlT_T0_E_clISt17integral_constantIbLb0EES10_IbLb1EEEEDaSW_SX_EUlSW_E_NS1_11comp_targetILNS1_3genE10ELNS1_11target_archE1200ELNS1_3gpuE4ELNS1_3repE0EEENS1_30default_config_static_selectorELNS0_4arch9wavefront6targetE0EEEvT1_,comdat
	.protected	_ZN7rocprim17ROCPRIM_400000_NS6detail17trampoline_kernelINS0_14default_configENS1_27scan_by_key_config_selectorIixEEZZNS1_16scan_by_key_implILNS1_25lookback_scan_determinismE0ELb0ES3_N6thrust23THRUST_200600_302600_NS6detail15normal_iteratorINS9_10device_ptrIiEEEENSB_INSC_IxEEEESG_xNS9_4plusIvEENS9_8equal_toIvEExEE10hipError_tPvRmT2_T3_T4_T5_mT6_T7_P12ihipStream_tbENKUlT_T0_E_clISt17integral_constantIbLb0EES10_IbLb1EEEEDaSW_SX_EUlSW_E_NS1_11comp_targetILNS1_3genE10ELNS1_11target_archE1200ELNS1_3gpuE4ELNS1_3repE0EEENS1_30default_config_static_selectorELNS0_4arch9wavefront6targetE0EEEvT1_ ; -- Begin function _ZN7rocprim17ROCPRIM_400000_NS6detail17trampoline_kernelINS0_14default_configENS1_27scan_by_key_config_selectorIixEEZZNS1_16scan_by_key_implILNS1_25lookback_scan_determinismE0ELb0ES3_N6thrust23THRUST_200600_302600_NS6detail15normal_iteratorINS9_10device_ptrIiEEEENSB_INSC_IxEEEESG_xNS9_4plusIvEENS9_8equal_toIvEExEE10hipError_tPvRmT2_T3_T4_T5_mT6_T7_P12ihipStream_tbENKUlT_T0_E_clISt17integral_constantIbLb0EES10_IbLb1EEEEDaSW_SX_EUlSW_E_NS1_11comp_targetILNS1_3genE10ELNS1_11target_archE1200ELNS1_3gpuE4ELNS1_3repE0EEENS1_30default_config_static_selectorELNS0_4arch9wavefront6targetE0EEEvT1_
	.globl	_ZN7rocprim17ROCPRIM_400000_NS6detail17trampoline_kernelINS0_14default_configENS1_27scan_by_key_config_selectorIixEEZZNS1_16scan_by_key_implILNS1_25lookback_scan_determinismE0ELb0ES3_N6thrust23THRUST_200600_302600_NS6detail15normal_iteratorINS9_10device_ptrIiEEEENSB_INSC_IxEEEESG_xNS9_4plusIvEENS9_8equal_toIvEExEE10hipError_tPvRmT2_T3_T4_T5_mT6_T7_P12ihipStream_tbENKUlT_T0_E_clISt17integral_constantIbLb0EES10_IbLb1EEEEDaSW_SX_EUlSW_E_NS1_11comp_targetILNS1_3genE10ELNS1_11target_archE1200ELNS1_3gpuE4ELNS1_3repE0EEENS1_30default_config_static_selectorELNS0_4arch9wavefront6targetE0EEEvT1_
	.p2align	8
	.type	_ZN7rocprim17ROCPRIM_400000_NS6detail17trampoline_kernelINS0_14default_configENS1_27scan_by_key_config_selectorIixEEZZNS1_16scan_by_key_implILNS1_25lookback_scan_determinismE0ELb0ES3_N6thrust23THRUST_200600_302600_NS6detail15normal_iteratorINS9_10device_ptrIiEEEENSB_INSC_IxEEEESG_xNS9_4plusIvEENS9_8equal_toIvEExEE10hipError_tPvRmT2_T3_T4_T5_mT6_T7_P12ihipStream_tbENKUlT_T0_E_clISt17integral_constantIbLb0EES10_IbLb1EEEEDaSW_SX_EUlSW_E_NS1_11comp_targetILNS1_3genE10ELNS1_11target_archE1200ELNS1_3gpuE4ELNS1_3repE0EEENS1_30default_config_static_selectorELNS0_4arch9wavefront6targetE0EEEvT1_,@function
_ZN7rocprim17ROCPRIM_400000_NS6detail17trampoline_kernelINS0_14default_configENS1_27scan_by_key_config_selectorIixEEZZNS1_16scan_by_key_implILNS1_25lookback_scan_determinismE0ELb0ES3_N6thrust23THRUST_200600_302600_NS6detail15normal_iteratorINS9_10device_ptrIiEEEENSB_INSC_IxEEEESG_xNS9_4plusIvEENS9_8equal_toIvEExEE10hipError_tPvRmT2_T3_T4_T5_mT6_T7_P12ihipStream_tbENKUlT_T0_E_clISt17integral_constantIbLb0EES10_IbLb1EEEEDaSW_SX_EUlSW_E_NS1_11comp_targetILNS1_3genE10ELNS1_11target_archE1200ELNS1_3gpuE4ELNS1_3repE0EEENS1_30default_config_static_selectorELNS0_4arch9wavefront6targetE0EEEvT1_: ; @_ZN7rocprim17ROCPRIM_400000_NS6detail17trampoline_kernelINS0_14default_configENS1_27scan_by_key_config_selectorIixEEZZNS1_16scan_by_key_implILNS1_25lookback_scan_determinismE0ELb0ES3_N6thrust23THRUST_200600_302600_NS6detail15normal_iteratorINS9_10device_ptrIiEEEENSB_INSC_IxEEEESG_xNS9_4plusIvEENS9_8equal_toIvEExEE10hipError_tPvRmT2_T3_T4_T5_mT6_T7_P12ihipStream_tbENKUlT_T0_E_clISt17integral_constantIbLb0EES10_IbLb1EEEEDaSW_SX_EUlSW_E_NS1_11comp_targetILNS1_3genE10ELNS1_11target_archE1200ELNS1_3gpuE4ELNS1_3repE0EEENS1_30default_config_static_selectorELNS0_4arch9wavefront6targetE0EEEvT1_
; %bb.0:
	.section	.rodata,"a",@progbits
	.p2align	6, 0x0
	.amdhsa_kernel _ZN7rocprim17ROCPRIM_400000_NS6detail17trampoline_kernelINS0_14default_configENS1_27scan_by_key_config_selectorIixEEZZNS1_16scan_by_key_implILNS1_25lookback_scan_determinismE0ELb0ES3_N6thrust23THRUST_200600_302600_NS6detail15normal_iteratorINS9_10device_ptrIiEEEENSB_INSC_IxEEEESG_xNS9_4plusIvEENS9_8equal_toIvEExEE10hipError_tPvRmT2_T3_T4_T5_mT6_T7_P12ihipStream_tbENKUlT_T0_E_clISt17integral_constantIbLb0EES10_IbLb1EEEEDaSW_SX_EUlSW_E_NS1_11comp_targetILNS1_3genE10ELNS1_11target_archE1200ELNS1_3gpuE4ELNS1_3repE0EEENS1_30default_config_static_selectorELNS0_4arch9wavefront6targetE0EEEvT1_
		.amdhsa_group_segment_fixed_size 0
		.amdhsa_private_segment_fixed_size 0
		.amdhsa_kernarg_size 136
		.amdhsa_user_sgpr_count 6
		.amdhsa_user_sgpr_private_segment_buffer 1
		.amdhsa_user_sgpr_dispatch_ptr 0
		.amdhsa_user_sgpr_queue_ptr 0
		.amdhsa_user_sgpr_kernarg_segment_ptr 1
		.amdhsa_user_sgpr_dispatch_id 0
		.amdhsa_user_sgpr_flat_scratch_init 0
		.amdhsa_user_sgpr_private_segment_size 0
		.amdhsa_wavefront_size32 1
		.amdhsa_uses_dynamic_stack 0
		.amdhsa_system_sgpr_private_segment_wavefront_offset 0
		.amdhsa_system_sgpr_workgroup_id_x 1
		.amdhsa_system_sgpr_workgroup_id_y 0
		.amdhsa_system_sgpr_workgroup_id_z 0
		.amdhsa_system_sgpr_workgroup_info 0
		.amdhsa_system_vgpr_workitem_id 0
		.amdhsa_next_free_vgpr 1
		.amdhsa_next_free_sgpr 1
		.amdhsa_reserve_vcc 0
		.amdhsa_reserve_flat_scratch 0
		.amdhsa_float_round_mode_32 0
		.amdhsa_float_round_mode_16_64 0
		.amdhsa_float_denorm_mode_32 3
		.amdhsa_float_denorm_mode_16_64 3
		.amdhsa_dx10_clamp 1
		.amdhsa_ieee_mode 1
		.amdhsa_fp16_overflow 0
		.amdhsa_workgroup_processor_mode 1
		.amdhsa_memory_ordered 1
		.amdhsa_forward_progress 1
		.amdhsa_shared_vgpr_count 0
		.amdhsa_exception_fp_ieee_invalid_op 0
		.amdhsa_exception_fp_denorm_src 0
		.amdhsa_exception_fp_ieee_div_zero 0
		.amdhsa_exception_fp_ieee_overflow 0
		.amdhsa_exception_fp_ieee_underflow 0
		.amdhsa_exception_fp_ieee_inexact 0
		.amdhsa_exception_int_div_zero 0
	.end_amdhsa_kernel
	.section	.text._ZN7rocprim17ROCPRIM_400000_NS6detail17trampoline_kernelINS0_14default_configENS1_27scan_by_key_config_selectorIixEEZZNS1_16scan_by_key_implILNS1_25lookback_scan_determinismE0ELb0ES3_N6thrust23THRUST_200600_302600_NS6detail15normal_iteratorINS9_10device_ptrIiEEEENSB_INSC_IxEEEESG_xNS9_4plusIvEENS9_8equal_toIvEExEE10hipError_tPvRmT2_T3_T4_T5_mT6_T7_P12ihipStream_tbENKUlT_T0_E_clISt17integral_constantIbLb0EES10_IbLb1EEEEDaSW_SX_EUlSW_E_NS1_11comp_targetILNS1_3genE10ELNS1_11target_archE1200ELNS1_3gpuE4ELNS1_3repE0EEENS1_30default_config_static_selectorELNS0_4arch9wavefront6targetE0EEEvT1_,"axG",@progbits,_ZN7rocprim17ROCPRIM_400000_NS6detail17trampoline_kernelINS0_14default_configENS1_27scan_by_key_config_selectorIixEEZZNS1_16scan_by_key_implILNS1_25lookback_scan_determinismE0ELb0ES3_N6thrust23THRUST_200600_302600_NS6detail15normal_iteratorINS9_10device_ptrIiEEEENSB_INSC_IxEEEESG_xNS9_4plusIvEENS9_8equal_toIvEExEE10hipError_tPvRmT2_T3_T4_T5_mT6_T7_P12ihipStream_tbENKUlT_T0_E_clISt17integral_constantIbLb0EES10_IbLb1EEEEDaSW_SX_EUlSW_E_NS1_11comp_targetILNS1_3genE10ELNS1_11target_archE1200ELNS1_3gpuE4ELNS1_3repE0EEENS1_30default_config_static_selectorELNS0_4arch9wavefront6targetE0EEEvT1_,comdat
.Lfunc_end1347:
	.size	_ZN7rocprim17ROCPRIM_400000_NS6detail17trampoline_kernelINS0_14default_configENS1_27scan_by_key_config_selectorIixEEZZNS1_16scan_by_key_implILNS1_25lookback_scan_determinismE0ELb0ES3_N6thrust23THRUST_200600_302600_NS6detail15normal_iteratorINS9_10device_ptrIiEEEENSB_INSC_IxEEEESG_xNS9_4plusIvEENS9_8equal_toIvEExEE10hipError_tPvRmT2_T3_T4_T5_mT6_T7_P12ihipStream_tbENKUlT_T0_E_clISt17integral_constantIbLb0EES10_IbLb1EEEEDaSW_SX_EUlSW_E_NS1_11comp_targetILNS1_3genE10ELNS1_11target_archE1200ELNS1_3gpuE4ELNS1_3repE0EEENS1_30default_config_static_selectorELNS0_4arch9wavefront6targetE0EEEvT1_, .Lfunc_end1347-_ZN7rocprim17ROCPRIM_400000_NS6detail17trampoline_kernelINS0_14default_configENS1_27scan_by_key_config_selectorIixEEZZNS1_16scan_by_key_implILNS1_25lookback_scan_determinismE0ELb0ES3_N6thrust23THRUST_200600_302600_NS6detail15normal_iteratorINS9_10device_ptrIiEEEENSB_INSC_IxEEEESG_xNS9_4plusIvEENS9_8equal_toIvEExEE10hipError_tPvRmT2_T3_T4_T5_mT6_T7_P12ihipStream_tbENKUlT_T0_E_clISt17integral_constantIbLb0EES10_IbLb1EEEEDaSW_SX_EUlSW_E_NS1_11comp_targetILNS1_3genE10ELNS1_11target_archE1200ELNS1_3gpuE4ELNS1_3repE0EEENS1_30default_config_static_selectorELNS0_4arch9wavefront6targetE0EEEvT1_
                                        ; -- End function
	.set _ZN7rocprim17ROCPRIM_400000_NS6detail17trampoline_kernelINS0_14default_configENS1_27scan_by_key_config_selectorIixEEZZNS1_16scan_by_key_implILNS1_25lookback_scan_determinismE0ELb0ES3_N6thrust23THRUST_200600_302600_NS6detail15normal_iteratorINS9_10device_ptrIiEEEENSB_INSC_IxEEEESG_xNS9_4plusIvEENS9_8equal_toIvEExEE10hipError_tPvRmT2_T3_T4_T5_mT6_T7_P12ihipStream_tbENKUlT_T0_E_clISt17integral_constantIbLb0EES10_IbLb1EEEEDaSW_SX_EUlSW_E_NS1_11comp_targetILNS1_3genE10ELNS1_11target_archE1200ELNS1_3gpuE4ELNS1_3repE0EEENS1_30default_config_static_selectorELNS0_4arch9wavefront6targetE0EEEvT1_.num_vgpr, 0
	.set _ZN7rocprim17ROCPRIM_400000_NS6detail17trampoline_kernelINS0_14default_configENS1_27scan_by_key_config_selectorIixEEZZNS1_16scan_by_key_implILNS1_25lookback_scan_determinismE0ELb0ES3_N6thrust23THRUST_200600_302600_NS6detail15normal_iteratorINS9_10device_ptrIiEEEENSB_INSC_IxEEEESG_xNS9_4plusIvEENS9_8equal_toIvEExEE10hipError_tPvRmT2_T3_T4_T5_mT6_T7_P12ihipStream_tbENKUlT_T0_E_clISt17integral_constantIbLb0EES10_IbLb1EEEEDaSW_SX_EUlSW_E_NS1_11comp_targetILNS1_3genE10ELNS1_11target_archE1200ELNS1_3gpuE4ELNS1_3repE0EEENS1_30default_config_static_selectorELNS0_4arch9wavefront6targetE0EEEvT1_.num_agpr, 0
	.set _ZN7rocprim17ROCPRIM_400000_NS6detail17trampoline_kernelINS0_14default_configENS1_27scan_by_key_config_selectorIixEEZZNS1_16scan_by_key_implILNS1_25lookback_scan_determinismE0ELb0ES3_N6thrust23THRUST_200600_302600_NS6detail15normal_iteratorINS9_10device_ptrIiEEEENSB_INSC_IxEEEESG_xNS9_4plusIvEENS9_8equal_toIvEExEE10hipError_tPvRmT2_T3_T4_T5_mT6_T7_P12ihipStream_tbENKUlT_T0_E_clISt17integral_constantIbLb0EES10_IbLb1EEEEDaSW_SX_EUlSW_E_NS1_11comp_targetILNS1_3genE10ELNS1_11target_archE1200ELNS1_3gpuE4ELNS1_3repE0EEENS1_30default_config_static_selectorELNS0_4arch9wavefront6targetE0EEEvT1_.numbered_sgpr, 0
	.set _ZN7rocprim17ROCPRIM_400000_NS6detail17trampoline_kernelINS0_14default_configENS1_27scan_by_key_config_selectorIixEEZZNS1_16scan_by_key_implILNS1_25lookback_scan_determinismE0ELb0ES3_N6thrust23THRUST_200600_302600_NS6detail15normal_iteratorINS9_10device_ptrIiEEEENSB_INSC_IxEEEESG_xNS9_4plusIvEENS9_8equal_toIvEExEE10hipError_tPvRmT2_T3_T4_T5_mT6_T7_P12ihipStream_tbENKUlT_T0_E_clISt17integral_constantIbLb0EES10_IbLb1EEEEDaSW_SX_EUlSW_E_NS1_11comp_targetILNS1_3genE10ELNS1_11target_archE1200ELNS1_3gpuE4ELNS1_3repE0EEENS1_30default_config_static_selectorELNS0_4arch9wavefront6targetE0EEEvT1_.num_named_barrier, 0
	.set _ZN7rocprim17ROCPRIM_400000_NS6detail17trampoline_kernelINS0_14default_configENS1_27scan_by_key_config_selectorIixEEZZNS1_16scan_by_key_implILNS1_25lookback_scan_determinismE0ELb0ES3_N6thrust23THRUST_200600_302600_NS6detail15normal_iteratorINS9_10device_ptrIiEEEENSB_INSC_IxEEEESG_xNS9_4plusIvEENS9_8equal_toIvEExEE10hipError_tPvRmT2_T3_T4_T5_mT6_T7_P12ihipStream_tbENKUlT_T0_E_clISt17integral_constantIbLb0EES10_IbLb1EEEEDaSW_SX_EUlSW_E_NS1_11comp_targetILNS1_3genE10ELNS1_11target_archE1200ELNS1_3gpuE4ELNS1_3repE0EEENS1_30default_config_static_selectorELNS0_4arch9wavefront6targetE0EEEvT1_.private_seg_size, 0
	.set _ZN7rocprim17ROCPRIM_400000_NS6detail17trampoline_kernelINS0_14default_configENS1_27scan_by_key_config_selectorIixEEZZNS1_16scan_by_key_implILNS1_25lookback_scan_determinismE0ELb0ES3_N6thrust23THRUST_200600_302600_NS6detail15normal_iteratorINS9_10device_ptrIiEEEENSB_INSC_IxEEEESG_xNS9_4plusIvEENS9_8equal_toIvEExEE10hipError_tPvRmT2_T3_T4_T5_mT6_T7_P12ihipStream_tbENKUlT_T0_E_clISt17integral_constantIbLb0EES10_IbLb1EEEEDaSW_SX_EUlSW_E_NS1_11comp_targetILNS1_3genE10ELNS1_11target_archE1200ELNS1_3gpuE4ELNS1_3repE0EEENS1_30default_config_static_selectorELNS0_4arch9wavefront6targetE0EEEvT1_.uses_vcc, 0
	.set _ZN7rocprim17ROCPRIM_400000_NS6detail17trampoline_kernelINS0_14default_configENS1_27scan_by_key_config_selectorIixEEZZNS1_16scan_by_key_implILNS1_25lookback_scan_determinismE0ELb0ES3_N6thrust23THRUST_200600_302600_NS6detail15normal_iteratorINS9_10device_ptrIiEEEENSB_INSC_IxEEEESG_xNS9_4plusIvEENS9_8equal_toIvEExEE10hipError_tPvRmT2_T3_T4_T5_mT6_T7_P12ihipStream_tbENKUlT_T0_E_clISt17integral_constantIbLb0EES10_IbLb1EEEEDaSW_SX_EUlSW_E_NS1_11comp_targetILNS1_3genE10ELNS1_11target_archE1200ELNS1_3gpuE4ELNS1_3repE0EEENS1_30default_config_static_selectorELNS0_4arch9wavefront6targetE0EEEvT1_.uses_flat_scratch, 0
	.set _ZN7rocprim17ROCPRIM_400000_NS6detail17trampoline_kernelINS0_14default_configENS1_27scan_by_key_config_selectorIixEEZZNS1_16scan_by_key_implILNS1_25lookback_scan_determinismE0ELb0ES3_N6thrust23THRUST_200600_302600_NS6detail15normal_iteratorINS9_10device_ptrIiEEEENSB_INSC_IxEEEESG_xNS9_4plusIvEENS9_8equal_toIvEExEE10hipError_tPvRmT2_T3_T4_T5_mT6_T7_P12ihipStream_tbENKUlT_T0_E_clISt17integral_constantIbLb0EES10_IbLb1EEEEDaSW_SX_EUlSW_E_NS1_11comp_targetILNS1_3genE10ELNS1_11target_archE1200ELNS1_3gpuE4ELNS1_3repE0EEENS1_30default_config_static_selectorELNS0_4arch9wavefront6targetE0EEEvT1_.has_dyn_sized_stack, 0
	.set _ZN7rocprim17ROCPRIM_400000_NS6detail17trampoline_kernelINS0_14default_configENS1_27scan_by_key_config_selectorIixEEZZNS1_16scan_by_key_implILNS1_25lookback_scan_determinismE0ELb0ES3_N6thrust23THRUST_200600_302600_NS6detail15normal_iteratorINS9_10device_ptrIiEEEENSB_INSC_IxEEEESG_xNS9_4plusIvEENS9_8equal_toIvEExEE10hipError_tPvRmT2_T3_T4_T5_mT6_T7_P12ihipStream_tbENKUlT_T0_E_clISt17integral_constantIbLb0EES10_IbLb1EEEEDaSW_SX_EUlSW_E_NS1_11comp_targetILNS1_3genE10ELNS1_11target_archE1200ELNS1_3gpuE4ELNS1_3repE0EEENS1_30default_config_static_selectorELNS0_4arch9wavefront6targetE0EEEvT1_.has_recursion, 0
	.set _ZN7rocprim17ROCPRIM_400000_NS6detail17trampoline_kernelINS0_14default_configENS1_27scan_by_key_config_selectorIixEEZZNS1_16scan_by_key_implILNS1_25lookback_scan_determinismE0ELb0ES3_N6thrust23THRUST_200600_302600_NS6detail15normal_iteratorINS9_10device_ptrIiEEEENSB_INSC_IxEEEESG_xNS9_4plusIvEENS9_8equal_toIvEExEE10hipError_tPvRmT2_T3_T4_T5_mT6_T7_P12ihipStream_tbENKUlT_T0_E_clISt17integral_constantIbLb0EES10_IbLb1EEEEDaSW_SX_EUlSW_E_NS1_11comp_targetILNS1_3genE10ELNS1_11target_archE1200ELNS1_3gpuE4ELNS1_3repE0EEENS1_30default_config_static_selectorELNS0_4arch9wavefront6targetE0EEEvT1_.has_indirect_call, 0
	.section	.AMDGPU.csdata,"",@progbits
; Kernel info:
; codeLenInByte = 0
; TotalNumSgprs: 0
; NumVgprs: 0
; ScratchSize: 0
; MemoryBound: 0
; FloatMode: 240
; IeeeMode: 1
; LDSByteSize: 0 bytes/workgroup (compile time only)
; SGPRBlocks: 0
; VGPRBlocks: 0
; NumSGPRsForWavesPerEU: 1
; NumVGPRsForWavesPerEU: 1
; Occupancy: 16
; WaveLimiterHint : 0
; COMPUTE_PGM_RSRC2:SCRATCH_EN: 0
; COMPUTE_PGM_RSRC2:USER_SGPR: 6
; COMPUTE_PGM_RSRC2:TRAP_HANDLER: 0
; COMPUTE_PGM_RSRC2:TGID_X_EN: 1
; COMPUTE_PGM_RSRC2:TGID_Y_EN: 0
; COMPUTE_PGM_RSRC2:TGID_Z_EN: 0
; COMPUTE_PGM_RSRC2:TIDIG_COMP_CNT: 0
	.section	.text._ZN7rocprim17ROCPRIM_400000_NS6detail17trampoline_kernelINS0_14default_configENS1_27scan_by_key_config_selectorIixEEZZNS1_16scan_by_key_implILNS1_25lookback_scan_determinismE0ELb0ES3_N6thrust23THRUST_200600_302600_NS6detail15normal_iteratorINS9_10device_ptrIiEEEENSB_INSC_IxEEEESG_xNS9_4plusIvEENS9_8equal_toIvEExEE10hipError_tPvRmT2_T3_T4_T5_mT6_T7_P12ihipStream_tbENKUlT_T0_E_clISt17integral_constantIbLb0EES10_IbLb1EEEEDaSW_SX_EUlSW_E_NS1_11comp_targetILNS1_3genE9ELNS1_11target_archE1100ELNS1_3gpuE3ELNS1_3repE0EEENS1_30default_config_static_selectorELNS0_4arch9wavefront6targetE0EEEvT1_,"axG",@progbits,_ZN7rocprim17ROCPRIM_400000_NS6detail17trampoline_kernelINS0_14default_configENS1_27scan_by_key_config_selectorIixEEZZNS1_16scan_by_key_implILNS1_25lookback_scan_determinismE0ELb0ES3_N6thrust23THRUST_200600_302600_NS6detail15normal_iteratorINS9_10device_ptrIiEEEENSB_INSC_IxEEEESG_xNS9_4plusIvEENS9_8equal_toIvEExEE10hipError_tPvRmT2_T3_T4_T5_mT6_T7_P12ihipStream_tbENKUlT_T0_E_clISt17integral_constantIbLb0EES10_IbLb1EEEEDaSW_SX_EUlSW_E_NS1_11comp_targetILNS1_3genE9ELNS1_11target_archE1100ELNS1_3gpuE3ELNS1_3repE0EEENS1_30default_config_static_selectorELNS0_4arch9wavefront6targetE0EEEvT1_,comdat
	.protected	_ZN7rocprim17ROCPRIM_400000_NS6detail17trampoline_kernelINS0_14default_configENS1_27scan_by_key_config_selectorIixEEZZNS1_16scan_by_key_implILNS1_25lookback_scan_determinismE0ELb0ES3_N6thrust23THRUST_200600_302600_NS6detail15normal_iteratorINS9_10device_ptrIiEEEENSB_INSC_IxEEEESG_xNS9_4plusIvEENS9_8equal_toIvEExEE10hipError_tPvRmT2_T3_T4_T5_mT6_T7_P12ihipStream_tbENKUlT_T0_E_clISt17integral_constantIbLb0EES10_IbLb1EEEEDaSW_SX_EUlSW_E_NS1_11comp_targetILNS1_3genE9ELNS1_11target_archE1100ELNS1_3gpuE3ELNS1_3repE0EEENS1_30default_config_static_selectorELNS0_4arch9wavefront6targetE0EEEvT1_ ; -- Begin function _ZN7rocprim17ROCPRIM_400000_NS6detail17trampoline_kernelINS0_14default_configENS1_27scan_by_key_config_selectorIixEEZZNS1_16scan_by_key_implILNS1_25lookback_scan_determinismE0ELb0ES3_N6thrust23THRUST_200600_302600_NS6detail15normal_iteratorINS9_10device_ptrIiEEEENSB_INSC_IxEEEESG_xNS9_4plusIvEENS9_8equal_toIvEExEE10hipError_tPvRmT2_T3_T4_T5_mT6_T7_P12ihipStream_tbENKUlT_T0_E_clISt17integral_constantIbLb0EES10_IbLb1EEEEDaSW_SX_EUlSW_E_NS1_11comp_targetILNS1_3genE9ELNS1_11target_archE1100ELNS1_3gpuE3ELNS1_3repE0EEENS1_30default_config_static_selectorELNS0_4arch9wavefront6targetE0EEEvT1_
	.globl	_ZN7rocprim17ROCPRIM_400000_NS6detail17trampoline_kernelINS0_14default_configENS1_27scan_by_key_config_selectorIixEEZZNS1_16scan_by_key_implILNS1_25lookback_scan_determinismE0ELb0ES3_N6thrust23THRUST_200600_302600_NS6detail15normal_iteratorINS9_10device_ptrIiEEEENSB_INSC_IxEEEESG_xNS9_4plusIvEENS9_8equal_toIvEExEE10hipError_tPvRmT2_T3_T4_T5_mT6_T7_P12ihipStream_tbENKUlT_T0_E_clISt17integral_constantIbLb0EES10_IbLb1EEEEDaSW_SX_EUlSW_E_NS1_11comp_targetILNS1_3genE9ELNS1_11target_archE1100ELNS1_3gpuE3ELNS1_3repE0EEENS1_30default_config_static_selectorELNS0_4arch9wavefront6targetE0EEEvT1_
	.p2align	8
	.type	_ZN7rocprim17ROCPRIM_400000_NS6detail17trampoline_kernelINS0_14default_configENS1_27scan_by_key_config_selectorIixEEZZNS1_16scan_by_key_implILNS1_25lookback_scan_determinismE0ELb0ES3_N6thrust23THRUST_200600_302600_NS6detail15normal_iteratorINS9_10device_ptrIiEEEENSB_INSC_IxEEEESG_xNS9_4plusIvEENS9_8equal_toIvEExEE10hipError_tPvRmT2_T3_T4_T5_mT6_T7_P12ihipStream_tbENKUlT_T0_E_clISt17integral_constantIbLb0EES10_IbLb1EEEEDaSW_SX_EUlSW_E_NS1_11comp_targetILNS1_3genE9ELNS1_11target_archE1100ELNS1_3gpuE3ELNS1_3repE0EEENS1_30default_config_static_selectorELNS0_4arch9wavefront6targetE0EEEvT1_,@function
_ZN7rocprim17ROCPRIM_400000_NS6detail17trampoline_kernelINS0_14default_configENS1_27scan_by_key_config_selectorIixEEZZNS1_16scan_by_key_implILNS1_25lookback_scan_determinismE0ELb0ES3_N6thrust23THRUST_200600_302600_NS6detail15normal_iteratorINS9_10device_ptrIiEEEENSB_INSC_IxEEEESG_xNS9_4plusIvEENS9_8equal_toIvEExEE10hipError_tPvRmT2_T3_T4_T5_mT6_T7_P12ihipStream_tbENKUlT_T0_E_clISt17integral_constantIbLb0EES10_IbLb1EEEEDaSW_SX_EUlSW_E_NS1_11comp_targetILNS1_3genE9ELNS1_11target_archE1100ELNS1_3gpuE3ELNS1_3repE0EEENS1_30default_config_static_selectorELNS0_4arch9wavefront6targetE0EEEvT1_: ; @_ZN7rocprim17ROCPRIM_400000_NS6detail17trampoline_kernelINS0_14default_configENS1_27scan_by_key_config_selectorIixEEZZNS1_16scan_by_key_implILNS1_25lookback_scan_determinismE0ELb0ES3_N6thrust23THRUST_200600_302600_NS6detail15normal_iteratorINS9_10device_ptrIiEEEENSB_INSC_IxEEEESG_xNS9_4plusIvEENS9_8equal_toIvEExEE10hipError_tPvRmT2_T3_T4_T5_mT6_T7_P12ihipStream_tbENKUlT_T0_E_clISt17integral_constantIbLb0EES10_IbLb1EEEEDaSW_SX_EUlSW_E_NS1_11comp_targetILNS1_3genE9ELNS1_11target_archE1100ELNS1_3gpuE3ELNS1_3repE0EEENS1_30default_config_static_selectorELNS0_4arch9wavefront6targetE0EEEvT1_
; %bb.0:
	.section	.rodata,"a",@progbits
	.p2align	6, 0x0
	.amdhsa_kernel _ZN7rocprim17ROCPRIM_400000_NS6detail17trampoline_kernelINS0_14default_configENS1_27scan_by_key_config_selectorIixEEZZNS1_16scan_by_key_implILNS1_25lookback_scan_determinismE0ELb0ES3_N6thrust23THRUST_200600_302600_NS6detail15normal_iteratorINS9_10device_ptrIiEEEENSB_INSC_IxEEEESG_xNS9_4plusIvEENS9_8equal_toIvEExEE10hipError_tPvRmT2_T3_T4_T5_mT6_T7_P12ihipStream_tbENKUlT_T0_E_clISt17integral_constantIbLb0EES10_IbLb1EEEEDaSW_SX_EUlSW_E_NS1_11comp_targetILNS1_3genE9ELNS1_11target_archE1100ELNS1_3gpuE3ELNS1_3repE0EEENS1_30default_config_static_selectorELNS0_4arch9wavefront6targetE0EEEvT1_
		.amdhsa_group_segment_fixed_size 0
		.amdhsa_private_segment_fixed_size 0
		.amdhsa_kernarg_size 136
		.amdhsa_user_sgpr_count 6
		.amdhsa_user_sgpr_private_segment_buffer 1
		.amdhsa_user_sgpr_dispatch_ptr 0
		.amdhsa_user_sgpr_queue_ptr 0
		.amdhsa_user_sgpr_kernarg_segment_ptr 1
		.amdhsa_user_sgpr_dispatch_id 0
		.amdhsa_user_sgpr_flat_scratch_init 0
		.amdhsa_user_sgpr_private_segment_size 0
		.amdhsa_wavefront_size32 1
		.amdhsa_uses_dynamic_stack 0
		.amdhsa_system_sgpr_private_segment_wavefront_offset 0
		.amdhsa_system_sgpr_workgroup_id_x 1
		.amdhsa_system_sgpr_workgroup_id_y 0
		.amdhsa_system_sgpr_workgroup_id_z 0
		.amdhsa_system_sgpr_workgroup_info 0
		.amdhsa_system_vgpr_workitem_id 0
		.amdhsa_next_free_vgpr 1
		.amdhsa_next_free_sgpr 1
		.amdhsa_reserve_vcc 0
		.amdhsa_reserve_flat_scratch 0
		.amdhsa_float_round_mode_32 0
		.amdhsa_float_round_mode_16_64 0
		.amdhsa_float_denorm_mode_32 3
		.amdhsa_float_denorm_mode_16_64 3
		.amdhsa_dx10_clamp 1
		.amdhsa_ieee_mode 1
		.amdhsa_fp16_overflow 0
		.amdhsa_workgroup_processor_mode 1
		.amdhsa_memory_ordered 1
		.amdhsa_forward_progress 1
		.amdhsa_shared_vgpr_count 0
		.amdhsa_exception_fp_ieee_invalid_op 0
		.amdhsa_exception_fp_denorm_src 0
		.amdhsa_exception_fp_ieee_div_zero 0
		.amdhsa_exception_fp_ieee_overflow 0
		.amdhsa_exception_fp_ieee_underflow 0
		.amdhsa_exception_fp_ieee_inexact 0
		.amdhsa_exception_int_div_zero 0
	.end_amdhsa_kernel
	.section	.text._ZN7rocprim17ROCPRIM_400000_NS6detail17trampoline_kernelINS0_14default_configENS1_27scan_by_key_config_selectorIixEEZZNS1_16scan_by_key_implILNS1_25lookback_scan_determinismE0ELb0ES3_N6thrust23THRUST_200600_302600_NS6detail15normal_iteratorINS9_10device_ptrIiEEEENSB_INSC_IxEEEESG_xNS9_4plusIvEENS9_8equal_toIvEExEE10hipError_tPvRmT2_T3_T4_T5_mT6_T7_P12ihipStream_tbENKUlT_T0_E_clISt17integral_constantIbLb0EES10_IbLb1EEEEDaSW_SX_EUlSW_E_NS1_11comp_targetILNS1_3genE9ELNS1_11target_archE1100ELNS1_3gpuE3ELNS1_3repE0EEENS1_30default_config_static_selectorELNS0_4arch9wavefront6targetE0EEEvT1_,"axG",@progbits,_ZN7rocprim17ROCPRIM_400000_NS6detail17trampoline_kernelINS0_14default_configENS1_27scan_by_key_config_selectorIixEEZZNS1_16scan_by_key_implILNS1_25lookback_scan_determinismE0ELb0ES3_N6thrust23THRUST_200600_302600_NS6detail15normal_iteratorINS9_10device_ptrIiEEEENSB_INSC_IxEEEESG_xNS9_4plusIvEENS9_8equal_toIvEExEE10hipError_tPvRmT2_T3_T4_T5_mT6_T7_P12ihipStream_tbENKUlT_T0_E_clISt17integral_constantIbLb0EES10_IbLb1EEEEDaSW_SX_EUlSW_E_NS1_11comp_targetILNS1_3genE9ELNS1_11target_archE1100ELNS1_3gpuE3ELNS1_3repE0EEENS1_30default_config_static_selectorELNS0_4arch9wavefront6targetE0EEEvT1_,comdat
.Lfunc_end1348:
	.size	_ZN7rocprim17ROCPRIM_400000_NS6detail17trampoline_kernelINS0_14default_configENS1_27scan_by_key_config_selectorIixEEZZNS1_16scan_by_key_implILNS1_25lookback_scan_determinismE0ELb0ES3_N6thrust23THRUST_200600_302600_NS6detail15normal_iteratorINS9_10device_ptrIiEEEENSB_INSC_IxEEEESG_xNS9_4plusIvEENS9_8equal_toIvEExEE10hipError_tPvRmT2_T3_T4_T5_mT6_T7_P12ihipStream_tbENKUlT_T0_E_clISt17integral_constantIbLb0EES10_IbLb1EEEEDaSW_SX_EUlSW_E_NS1_11comp_targetILNS1_3genE9ELNS1_11target_archE1100ELNS1_3gpuE3ELNS1_3repE0EEENS1_30default_config_static_selectorELNS0_4arch9wavefront6targetE0EEEvT1_, .Lfunc_end1348-_ZN7rocprim17ROCPRIM_400000_NS6detail17trampoline_kernelINS0_14default_configENS1_27scan_by_key_config_selectorIixEEZZNS1_16scan_by_key_implILNS1_25lookback_scan_determinismE0ELb0ES3_N6thrust23THRUST_200600_302600_NS6detail15normal_iteratorINS9_10device_ptrIiEEEENSB_INSC_IxEEEESG_xNS9_4plusIvEENS9_8equal_toIvEExEE10hipError_tPvRmT2_T3_T4_T5_mT6_T7_P12ihipStream_tbENKUlT_T0_E_clISt17integral_constantIbLb0EES10_IbLb1EEEEDaSW_SX_EUlSW_E_NS1_11comp_targetILNS1_3genE9ELNS1_11target_archE1100ELNS1_3gpuE3ELNS1_3repE0EEENS1_30default_config_static_selectorELNS0_4arch9wavefront6targetE0EEEvT1_
                                        ; -- End function
	.set _ZN7rocprim17ROCPRIM_400000_NS6detail17trampoline_kernelINS0_14default_configENS1_27scan_by_key_config_selectorIixEEZZNS1_16scan_by_key_implILNS1_25lookback_scan_determinismE0ELb0ES3_N6thrust23THRUST_200600_302600_NS6detail15normal_iteratorINS9_10device_ptrIiEEEENSB_INSC_IxEEEESG_xNS9_4plusIvEENS9_8equal_toIvEExEE10hipError_tPvRmT2_T3_T4_T5_mT6_T7_P12ihipStream_tbENKUlT_T0_E_clISt17integral_constantIbLb0EES10_IbLb1EEEEDaSW_SX_EUlSW_E_NS1_11comp_targetILNS1_3genE9ELNS1_11target_archE1100ELNS1_3gpuE3ELNS1_3repE0EEENS1_30default_config_static_selectorELNS0_4arch9wavefront6targetE0EEEvT1_.num_vgpr, 0
	.set _ZN7rocprim17ROCPRIM_400000_NS6detail17trampoline_kernelINS0_14default_configENS1_27scan_by_key_config_selectorIixEEZZNS1_16scan_by_key_implILNS1_25lookback_scan_determinismE0ELb0ES3_N6thrust23THRUST_200600_302600_NS6detail15normal_iteratorINS9_10device_ptrIiEEEENSB_INSC_IxEEEESG_xNS9_4plusIvEENS9_8equal_toIvEExEE10hipError_tPvRmT2_T3_T4_T5_mT6_T7_P12ihipStream_tbENKUlT_T0_E_clISt17integral_constantIbLb0EES10_IbLb1EEEEDaSW_SX_EUlSW_E_NS1_11comp_targetILNS1_3genE9ELNS1_11target_archE1100ELNS1_3gpuE3ELNS1_3repE0EEENS1_30default_config_static_selectorELNS0_4arch9wavefront6targetE0EEEvT1_.num_agpr, 0
	.set _ZN7rocprim17ROCPRIM_400000_NS6detail17trampoline_kernelINS0_14default_configENS1_27scan_by_key_config_selectorIixEEZZNS1_16scan_by_key_implILNS1_25lookback_scan_determinismE0ELb0ES3_N6thrust23THRUST_200600_302600_NS6detail15normal_iteratorINS9_10device_ptrIiEEEENSB_INSC_IxEEEESG_xNS9_4plusIvEENS9_8equal_toIvEExEE10hipError_tPvRmT2_T3_T4_T5_mT6_T7_P12ihipStream_tbENKUlT_T0_E_clISt17integral_constantIbLb0EES10_IbLb1EEEEDaSW_SX_EUlSW_E_NS1_11comp_targetILNS1_3genE9ELNS1_11target_archE1100ELNS1_3gpuE3ELNS1_3repE0EEENS1_30default_config_static_selectorELNS0_4arch9wavefront6targetE0EEEvT1_.numbered_sgpr, 0
	.set _ZN7rocprim17ROCPRIM_400000_NS6detail17trampoline_kernelINS0_14default_configENS1_27scan_by_key_config_selectorIixEEZZNS1_16scan_by_key_implILNS1_25lookback_scan_determinismE0ELb0ES3_N6thrust23THRUST_200600_302600_NS6detail15normal_iteratorINS9_10device_ptrIiEEEENSB_INSC_IxEEEESG_xNS9_4plusIvEENS9_8equal_toIvEExEE10hipError_tPvRmT2_T3_T4_T5_mT6_T7_P12ihipStream_tbENKUlT_T0_E_clISt17integral_constantIbLb0EES10_IbLb1EEEEDaSW_SX_EUlSW_E_NS1_11comp_targetILNS1_3genE9ELNS1_11target_archE1100ELNS1_3gpuE3ELNS1_3repE0EEENS1_30default_config_static_selectorELNS0_4arch9wavefront6targetE0EEEvT1_.num_named_barrier, 0
	.set _ZN7rocprim17ROCPRIM_400000_NS6detail17trampoline_kernelINS0_14default_configENS1_27scan_by_key_config_selectorIixEEZZNS1_16scan_by_key_implILNS1_25lookback_scan_determinismE0ELb0ES3_N6thrust23THRUST_200600_302600_NS6detail15normal_iteratorINS9_10device_ptrIiEEEENSB_INSC_IxEEEESG_xNS9_4plusIvEENS9_8equal_toIvEExEE10hipError_tPvRmT2_T3_T4_T5_mT6_T7_P12ihipStream_tbENKUlT_T0_E_clISt17integral_constantIbLb0EES10_IbLb1EEEEDaSW_SX_EUlSW_E_NS1_11comp_targetILNS1_3genE9ELNS1_11target_archE1100ELNS1_3gpuE3ELNS1_3repE0EEENS1_30default_config_static_selectorELNS0_4arch9wavefront6targetE0EEEvT1_.private_seg_size, 0
	.set _ZN7rocprim17ROCPRIM_400000_NS6detail17trampoline_kernelINS0_14default_configENS1_27scan_by_key_config_selectorIixEEZZNS1_16scan_by_key_implILNS1_25lookback_scan_determinismE0ELb0ES3_N6thrust23THRUST_200600_302600_NS6detail15normal_iteratorINS9_10device_ptrIiEEEENSB_INSC_IxEEEESG_xNS9_4plusIvEENS9_8equal_toIvEExEE10hipError_tPvRmT2_T3_T4_T5_mT6_T7_P12ihipStream_tbENKUlT_T0_E_clISt17integral_constantIbLb0EES10_IbLb1EEEEDaSW_SX_EUlSW_E_NS1_11comp_targetILNS1_3genE9ELNS1_11target_archE1100ELNS1_3gpuE3ELNS1_3repE0EEENS1_30default_config_static_selectorELNS0_4arch9wavefront6targetE0EEEvT1_.uses_vcc, 0
	.set _ZN7rocprim17ROCPRIM_400000_NS6detail17trampoline_kernelINS0_14default_configENS1_27scan_by_key_config_selectorIixEEZZNS1_16scan_by_key_implILNS1_25lookback_scan_determinismE0ELb0ES3_N6thrust23THRUST_200600_302600_NS6detail15normal_iteratorINS9_10device_ptrIiEEEENSB_INSC_IxEEEESG_xNS9_4plusIvEENS9_8equal_toIvEExEE10hipError_tPvRmT2_T3_T4_T5_mT6_T7_P12ihipStream_tbENKUlT_T0_E_clISt17integral_constantIbLb0EES10_IbLb1EEEEDaSW_SX_EUlSW_E_NS1_11comp_targetILNS1_3genE9ELNS1_11target_archE1100ELNS1_3gpuE3ELNS1_3repE0EEENS1_30default_config_static_selectorELNS0_4arch9wavefront6targetE0EEEvT1_.uses_flat_scratch, 0
	.set _ZN7rocprim17ROCPRIM_400000_NS6detail17trampoline_kernelINS0_14default_configENS1_27scan_by_key_config_selectorIixEEZZNS1_16scan_by_key_implILNS1_25lookback_scan_determinismE0ELb0ES3_N6thrust23THRUST_200600_302600_NS6detail15normal_iteratorINS9_10device_ptrIiEEEENSB_INSC_IxEEEESG_xNS9_4plusIvEENS9_8equal_toIvEExEE10hipError_tPvRmT2_T3_T4_T5_mT6_T7_P12ihipStream_tbENKUlT_T0_E_clISt17integral_constantIbLb0EES10_IbLb1EEEEDaSW_SX_EUlSW_E_NS1_11comp_targetILNS1_3genE9ELNS1_11target_archE1100ELNS1_3gpuE3ELNS1_3repE0EEENS1_30default_config_static_selectorELNS0_4arch9wavefront6targetE0EEEvT1_.has_dyn_sized_stack, 0
	.set _ZN7rocprim17ROCPRIM_400000_NS6detail17trampoline_kernelINS0_14default_configENS1_27scan_by_key_config_selectorIixEEZZNS1_16scan_by_key_implILNS1_25lookback_scan_determinismE0ELb0ES3_N6thrust23THRUST_200600_302600_NS6detail15normal_iteratorINS9_10device_ptrIiEEEENSB_INSC_IxEEEESG_xNS9_4plusIvEENS9_8equal_toIvEExEE10hipError_tPvRmT2_T3_T4_T5_mT6_T7_P12ihipStream_tbENKUlT_T0_E_clISt17integral_constantIbLb0EES10_IbLb1EEEEDaSW_SX_EUlSW_E_NS1_11comp_targetILNS1_3genE9ELNS1_11target_archE1100ELNS1_3gpuE3ELNS1_3repE0EEENS1_30default_config_static_selectorELNS0_4arch9wavefront6targetE0EEEvT1_.has_recursion, 0
	.set _ZN7rocprim17ROCPRIM_400000_NS6detail17trampoline_kernelINS0_14default_configENS1_27scan_by_key_config_selectorIixEEZZNS1_16scan_by_key_implILNS1_25lookback_scan_determinismE0ELb0ES3_N6thrust23THRUST_200600_302600_NS6detail15normal_iteratorINS9_10device_ptrIiEEEENSB_INSC_IxEEEESG_xNS9_4plusIvEENS9_8equal_toIvEExEE10hipError_tPvRmT2_T3_T4_T5_mT6_T7_P12ihipStream_tbENKUlT_T0_E_clISt17integral_constantIbLb0EES10_IbLb1EEEEDaSW_SX_EUlSW_E_NS1_11comp_targetILNS1_3genE9ELNS1_11target_archE1100ELNS1_3gpuE3ELNS1_3repE0EEENS1_30default_config_static_selectorELNS0_4arch9wavefront6targetE0EEEvT1_.has_indirect_call, 0
	.section	.AMDGPU.csdata,"",@progbits
; Kernel info:
; codeLenInByte = 0
; TotalNumSgprs: 0
; NumVgprs: 0
; ScratchSize: 0
; MemoryBound: 0
; FloatMode: 240
; IeeeMode: 1
; LDSByteSize: 0 bytes/workgroup (compile time only)
; SGPRBlocks: 0
; VGPRBlocks: 0
; NumSGPRsForWavesPerEU: 1
; NumVGPRsForWavesPerEU: 1
; Occupancy: 16
; WaveLimiterHint : 0
; COMPUTE_PGM_RSRC2:SCRATCH_EN: 0
; COMPUTE_PGM_RSRC2:USER_SGPR: 6
; COMPUTE_PGM_RSRC2:TRAP_HANDLER: 0
; COMPUTE_PGM_RSRC2:TGID_X_EN: 1
; COMPUTE_PGM_RSRC2:TGID_Y_EN: 0
; COMPUTE_PGM_RSRC2:TGID_Z_EN: 0
; COMPUTE_PGM_RSRC2:TIDIG_COMP_CNT: 0
	.section	.text._ZN7rocprim17ROCPRIM_400000_NS6detail17trampoline_kernelINS0_14default_configENS1_27scan_by_key_config_selectorIixEEZZNS1_16scan_by_key_implILNS1_25lookback_scan_determinismE0ELb0ES3_N6thrust23THRUST_200600_302600_NS6detail15normal_iteratorINS9_10device_ptrIiEEEENSB_INSC_IxEEEESG_xNS9_4plusIvEENS9_8equal_toIvEExEE10hipError_tPvRmT2_T3_T4_T5_mT6_T7_P12ihipStream_tbENKUlT_T0_E_clISt17integral_constantIbLb0EES10_IbLb1EEEEDaSW_SX_EUlSW_E_NS1_11comp_targetILNS1_3genE8ELNS1_11target_archE1030ELNS1_3gpuE2ELNS1_3repE0EEENS1_30default_config_static_selectorELNS0_4arch9wavefront6targetE0EEEvT1_,"axG",@progbits,_ZN7rocprim17ROCPRIM_400000_NS6detail17trampoline_kernelINS0_14default_configENS1_27scan_by_key_config_selectorIixEEZZNS1_16scan_by_key_implILNS1_25lookback_scan_determinismE0ELb0ES3_N6thrust23THRUST_200600_302600_NS6detail15normal_iteratorINS9_10device_ptrIiEEEENSB_INSC_IxEEEESG_xNS9_4plusIvEENS9_8equal_toIvEExEE10hipError_tPvRmT2_T3_T4_T5_mT6_T7_P12ihipStream_tbENKUlT_T0_E_clISt17integral_constantIbLb0EES10_IbLb1EEEEDaSW_SX_EUlSW_E_NS1_11comp_targetILNS1_3genE8ELNS1_11target_archE1030ELNS1_3gpuE2ELNS1_3repE0EEENS1_30default_config_static_selectorELNS0_4arch9wavefront6targetE0EEEvT1_,comdat
	.protected	_ZN7rocprim17ROCPRIM_400000_NS6detail17trampoline_kernelINS0_14default_configENS1_27scan_by_key_config_selectorIixEEZZNS1_16scan_by_key_implILNS1_25lookback_scan_determinismE0ELb0ES3_N6thrust23THRUST_200600_302600_NS6detail15normal_iteratorINS9_10device_ptrIiEEEENSB_INSC_IxEEEESG_xNS9_4plusIvEENS9_8equal_toIvEExEE10hipError_tPvRmT2_T3_T4_T5_mT6_T7_P12ihipStream_tbENKUlT_T0_E_clISt17integral_constantIbLb0EES10_IbLb1EEEEDaSW_SX_EUlSW_E_NS1_11comp_targetILNS1_3genE8ELNS1_11target_archE1030ELNS1_3gpuE2ELNS1_3repE0EEENS1_30default_config_static_selectorELNS0_4arch9wavefront6targetE0EEEvT1_ ; -- Begin function _ZN7rocprim17ROCPRIM_400000_NS6detail17trampoline_kernelINS0_14default_configENS1_27scan_by_key_config_selectorIixEEZZNS1_16scan_by_key_implILNS1_25lookback_scan_determinismE0ELb0ES3_N6thrust23THRUST_200600_302600_NS6detail15normal_iteratorINS9_10device_ptrIiEEEENSB_INSC_IxEEEESG_xNS9_4plusIvEENS9_8equal_toIvEExEE10hipError_tPvRmT2_T3_T4_T5_mT6_T7_P12ihipStream_tbENKUlT_T0_E_clISt17integral_constantIbLb0EES10_IbLb1EEEEDaSW_SX_EUlSW_E_NS1_11comp_targetILNS1_3genE8ELNS1_11target_archE1030ELNS1_3gpuE2ELNS1_3repE0EEENS1_30default_config_static_selectorELNS0_4arch9wavefront6targetE0EEEvT1_
	.globl	_ZN7rocprim17ROCPRIM_400000_NS6detail17trampoline_kernelINS0_14default_configENS1_27scan_by_key_config_selectorIixEEZZNS1_16scan_by_key_implILNS1_25lookback_scan_determinismE0ELb0ES3_N6thrust23THRUST_200600_302600_NS6detail15normal_iteratorINS9_10device_ptrIiEEEENSB_INSC_IxEEEESG_xNS9_4plusIvEENS9_8equal_toIvEExEE10hipError_tPvRmT2_T3_T4_T5_mT6_T7_P12ihipStream_tbENKUlT_T0_E_clISt17integral_constantIbLb0EES10_IbLb1EEEEDaSW_SX_EUlSW_E_NS1_11comp_targetILNS1_3genE8ELNS1_11target_archE1030ELNS1_3gpuE2ELNS1_3repE0EEENS1_30default_config_static_selectorELNS0_4arch9wavefront6targetE0EEEvT1_
	.p2align	8
	.type	_ZN7rocprim17ROCPRIM_400000_NS6detail17trampoline_kernelINS0_14default_configENS1_27scan_by_key_config_selectorIixEEZZNS1_16scan_by_key_implILNS1_25lookback_scan_determinismE0ELb0ES3_N6thrust23THRUST_200600_302600_NS6detail15normal_iteratorINS9_10device_ptrIiEEEENSB_INSC_IxEEEESG_xNS9_4plusIvEENS9_8equal_toIvEExEE10hipError_tPvRmT2_T3_T4_T5_mT6_T7_P12ihipStream_tbENKUlT_T0_E_clISt17integral_constantIbLb0EES10_IbLb1EEEEDaSW_SX_EUlSW_E_NS1_11comp_targetILNS1_3genE8ELNS1_11target_archE1030ELNS1_3gpuE2ELNS1_3repE0EEENS1_30default_config_static_selectorELNS0_4arch9wavefront6targetE0EEEvT1_,@function
_ZN7rocprim17ROCPRIM_400000_NS6detail17trampoline_kernelINS0_14default_configENS1_27scan_by_key_config_selectorIixEEZZNS1_16scan_by_key_implILNS1_25lookback_scan_determinismE0ELb0ES3_N6thrust23THRUST_200600_302600_NS6detail15normal_iteratorINS9_10device_ptrIiEEEENSB_INSC_IxEEEESG_xNS9_4plusIvEENS9_8equal_toIvEExEE10hipError_tPvRmT2_T3_T4_T5_mT6_T7_P12ihipStream_tbENKUlT_T0_E_clISt17integral_constantIbLb0EES10_IbLb1EEEEDaSW_SX_EUlSW_E_NS1_11comp_targetILNS1_3genE8ELNS1_11target_archE1030ELNS1_3gpuE2ELNS1_3repE0EEENS1_30default_config_static_selectorELNS0_4arch9wavefront6targetE0EEEvT1_: ; @_ZN7rocprim17ROCPRIM_400000_NS6detail17trampoline_kernelINS0_14default_configENS1_27scan_by_key_config_selectorIixEEZZNS1_16scan_by_key_implILNS1_25lookback_scan_determinismE0ELb0ES3_N6thrust23THRUST_200600_302600_NS6detail15normal_iteratorINS9_10device_ptrIiEEEENSB_INSC_IxEEEESG_xNS9_4plusIvEENS9_8equal_toIvEExEE10hipError_tPvRmT2_T3_T4_T5_mT6_T7_P12ihipStream_tbENKUlT_T0_E_clISt17integral_constantIbLb0EES10_IbLb1EEEEDaSW_SX_EUlSW_E_NS1_11comp_targetILNS1_3genE8ELNS1_11target_archE1030ELNS1_3gpuE2ELNS1_3repE0EEENS1_30default_config_static_selectorELNS0_4arch9wavefront6targetE0EEEvT1_
; %bb.0:
	s_clause 0x1
	s_load_dwordx8 s[8:15], s[4:5], 0x30
	s_load_dwordx2 s[34:35], s[4:5], 0x50
	v_cmp_ne_u32_e64 s1, 0, v0
	v_cmp_eq_u32_e64 s0, 0, v0
	s_and_saveexec_b32 s2, s0
	s_cbranch_execz .LBB1349_4
; %bb.1:
	s_mov_b32 s6, exec_lo
	s_mov_b32 s3, exec_lo
	v_mbcnt_lo_u32_b32 v1, s6, 0
                                        ; implicit-def: $vgpr2
	v_cmpx_eq_u32_e32 0, v1
	s_cbranch_execz .LBB1349_3
; %bb.2:
	s_load_dwordx2 s[16:17], s[4:5], 0x80
	s_bcnt1_i32_b32 s6, s6
	v_mov_b32_e32 v2, 0
	v_mov_b32_e32 v3, s6
	s_waitcnt lgkmcnt(0)
	global_atomic_add v2, v2, v3, s[16:17] glc
.LBB1349_3:
	s_or_b32 exec_lo, exec_lo, s3
	s_waitcnt vmcnt(0)
	v_readfirstlane_b32 s3, v2
	v_mov_b32_e32 v2, 0
	v_add_nc_u32_e32 v1, s3, v1
	ds_write_b32 v2, v1
.LBB1349_4:
	s_or_b32 exec_lo, exec_lo, s2
	v_mov_b32_e32 v1, 0
	s_load_dwordx8 s[16:23], s[4:5], 0x0
	s_waitcnt lgkmcnt(0)
	s_clause 0x1
	s_load_dword s15, s[4:5], 0x58
	s_load_dwordx8 s[24:31], s[4:5], 0x60
	s_waitcnt lgkmcnt(0)
	s_barrier
	buffer_gl0_inv
	ds_read_b32 v1, v1
	s_mov_b32 s3, 0
	s_waitcnt lgkmcnt(0)
	s_barrier
	buffer_gl0_inv
	s_barrier
	buffer_gl0_inv
	s_lshl_b64 s[4:5], s[18:19], 2
	s_mul_i32 s2, s35, s15
	s_add_u32 s7, s16, s4
	s_addc_u32 s37, s17, s5
	s_lshl_b64 s[16:17], s[18:19], 3
	s_mul_hi_u32 s6, s34, s15
	v_readfirstlane_b32 s33, v1
	s_add_u32 s20, s20, s16
	s_addc_u32 s21, s21, s17
	s_add_i32 s38, s6, s2
	s_cmp_lg_u64 s[28:29], 0
	s_mul_i32 s2, s33, 0x300
	s_cselect_b32 s36, -1, 0
	s_lshl_b64 s[4:5], s[2:3], 2
	s_add_u32 s6, s7, s4
	s_addc_u32 s7, s37, s5
	s_lshl_b64 s[18:19], s[2:3], 3
	s_mul_i32 s2, s34, s15
	s_add_u32 s5, s20, s18
	s_addc_u32 s29, s21, s19
	s_add_u32 s20, s2, s33
	s_addc_u32 s21, s38, 0
	s_add_u32 s24, s24, -1
	s_addc_u32 s25, s25, -1
	s_mul_i32 s15, s24, 0xfffffd00
	v_cmp_ge_u64_e64 s28, s[20:21], s[24:25]
	s_and_b32 vcc_lo, exec_lo, s28
	s_cbranch_vccz .LBB1349_26
; %bb.5:
	v_mov_b32_e32 v1, s6
	v_mov_b32_e32 v2, s7
	s_add_i32 s37, s15, s14
	v_cmp_gt_u32_e64 s4, s37, v0
	flat_load_dword v1, v[1:2]
	s_waitcnt vmcnt(0) lgkmcnt(0)
	v_mov_b32_e32 v2, v1
	s_and_saveexec_b32 s2, s4
	s_cbranch_execz .LBB1349_7
; %bb.6:
	v_lshlrev_b32_e32 v2, 2, v0
	v_add_co_u32 v2, s3, s6, v2
	v_add_co_ci_u32_e64 v3, null, s7, 0, s3
	flat_load_dword v2, v[2:3]
.LBB1349_7:
	s_or_b32 exec_lo, exec_lo, s2
	v_or_b32_e32 v11, 0x100, v0
	v_mov_b32_e32 v3, v1
	v_cmp_gt_u32_e64 s3, s37, v11
	s_and_saveexec_b32 s2, s3
	s_cbranch_execz .LBB1349_9
; %bb.8:
	v_lshlrev_b32_e32 v3, 2, v0
	v_add_co_u32 v3, s24, s6, v3
	v_add_co_ci_u32_e64 v4, null, s7, 0, s24
	flat_load_dword v3, v[3:4] offset:1024
.LBB1349_9:
	s_or_b32 exec_lo, exec_lo, s2
	v_or_b32_e32 v10, 0x200, v0
	v_cmp_gt_u32_e64 s2, s37, v10
	s_and_saveexec_b32 s24, s2
	s_cbranch_execz .LBB1349_11
; %bb.10:
	v_lshlrev_b32_e32 v1, 2, v10
	v_add_co_u32 v4, s25, s6, v1
	v_add_co_ci_u32_e64 v5, null, s7, 0, s25
	flat_load_dword v1, v[4:5]
.LBB1349_11:
	s_or_b32 exec_lo, exec_lo, s24
	v_lshlrev_b32_e32 v4, 2, v0
	v_lshlrev_b32_e32 v14, 3, v0
	s_cmp_eq_u64 s[20:21], 0
	s_mov_b64 s[24:25], s[6:7]
	s_waitcnt vmcnt(0) lgkmcnt(0)
	ds_write2st64_b32 v4, v2, v3 offset1:4
	v_add_nc_u32_e32 v2, v4, v14
	ds_write_b32 v4, v1 offset:2048
	s_waitcnt lgkmcnt(0)
	s_barrier
	buffer_gl0_inv
	ds_read2_b32 v[7:8], v2 offset1:1
	ds_read_b32 v9, v2 offset:8
	s_cbranch_scc1 .LBB1349_15
; %bb.12:
	s_andn2_b32 vcc_lo, exec_lo, s36
	s_cbranch_vccnz .LBB1349_149
; %bb.13:
	s_lshl_b64 s[24:25], s[20:21], 2
	s_add_u32 s24, s30, s24
	s_addc_u32 s25, s31, s25
	s_add_u32 s24, s24, -4
	s_addc_u32 s25, s25, -1
	s_cbranch_execnz .LBB1349_15
.LBB1349_14:
	s_add_u32 s24, s6, -4
	s_addc_u32 s25, s7, -1
.LBB1349_15:
	v_mov_b32_e32 v3, s24
	v_mov_b32_e32 v4, s25
	v_sub_nc_u32_e32 v13, v2, v14
	flat_load_dword v12, v[3:4]
	s_waitcnt lgkmcnt(1)
	ds_write_b32 v13, v9 offset:3072
	s_waitcnt vmcnt(0) lgkmcnt(0)
	s_barrier
	buffer_gl0_inv
	s_and_saveexec_b32 s24, s1
; %bb.16:
	ds_read_b32 v12, v13 offset:3068
; %bb.17:
	s_or_b32 exec_lo, exec_lo, s24
	v_mov_b32_e32 v1, 0
	s_waitcnt lgkmcnt(0)
	s_barrier
	buffer_gl0_inv
	v_mov_b32_e32 v2, v1
	v_mov_b32_e32 v3, v1
	;; [unrolled: 1-line block ×5, first 2 shown]
	s_and_saveexec_b32 s24, s4
	s_cbranch_execnz .LBB1349_147
; %bb.18:
	s_or_b32 exec_lo, exec_lo, s24
	s_and_saveexec_b32 s4, s3
	s_cbranch_execnz .LBB1349_148
.LBB1349_19:
	s_or_b32 exec_lo, exec_lo, s4
	s_and_saveexec_b32 s3, s2
	s_cbranch_execz .LBB1349_21
.LBB1349_20:
	v_lshlrev_b32_e32 v5, 3, v10
	v_add_co_u32 v5, s2, s5, v5
	v_add_co_ci_u32_e64 v6, null, s29, 0, s2
	flat_load_dwordx2 v[5:6], v[5:6]
.LBB1349_21:
	s_or_b32 exec_lo, exec_lo, s3
	v_lshl_add_u32 v11, v0, 2, v13
	v_mul_u32_u24_e32 v10, 3, v0
	v_mov_b32_e32 v18, 0
	v_mov_b32_e32 v20, 0
	s_mov_b32 s24, 0
	s_waitcnt vmcnt(0) lgkmcnt(0)
	ds_write2st64_b64 v11, v[1:2], v[3:4] offset1:4
	ds_write_b64 v11, v[5:6] offset:4096
	v_mov_b32_e32 v1, 0
	v_mov_b32_e32 v3, 0
	;; [unrolled: 1-line block ×4, first 2 shown]
	s_mov_b32 s3, 0
	s_mov_b32 s25, exec_lo
	s_waitcnt lgkmcnt(0)
	s_barrier
	buffer_gl0_inv
                                        ; implicit-def: $sgpr4
                                        ; implicit-def: $vgpr5_vgpr6
	v_cmpx_gt_u32_e64 s37, v10
	s_cbranch_execz .LBB1349_25
; %bb.22:
	v_lshlrev_b32_e32 v1, 4, v0
	v_add_nc_u32_e32 v3, 1, v10
	v_mov_b32_e32 v20, 0
	v_cmp_ne_u32_e32 vcc_lo, v12, v7
                                        ; implicit-def: $sgpr4
                                        ; implicit-def: $vgpr5_vgpr6
	v_add_nc_u32_e32 v11, v11, v1
	v_cmp_gt_u32_e64 s2, s37, v3
	v_mov_b32_e32 v3, 0
	v_mov_b32_e32 v4, 0
	ds_read_b64 v[1:2], v11
	s_and_saveexec_b32 s38, s2
	s_xor_b32 s38, exec_lo, s38
	s_cbranch_execz .LBB1349_24
; %bb.23:
	ds_read2_b64 v[3:6], v11 offset0:1 offset1:2
	v_add_nc_u32_e32 v10, 2, v10
	v_cmp_ne_u32_e64 s3, v7, v8
	v_cmp_ne_u32_e64 s4, v8, v9
	v_cmp_gt_u32_e64 s2, s37, v10
	v_cndmask_b32_e64 v20, 0, 1, s3
	s_and_b32 s3, s2, exec_lo
.LBB1349_24:
	s_or_b32 exec_lo, exec_lo, s38
	v_cndmask_b32_e64 v18, 0, 1, vcc_lo
	s_and_b32 s3, s3, exec_lo
.LBB1349_25:
	s_or_b32 exec_lo, exec_lo, s25
	v_lshlrev_b32_e32 v17, 3, v0
	s_and_b32 vcc_lo, exec_lo, s24
	s_cbranch_vccnz .LBB1349_27
	s_branch .LBB1349_35
.LBB1349_26:
                                        ; implicit-def: $sgpr4
                                        ; implicit-def: $vgpr5_vgpr6
                                        ; implicit-def: $vgpr18
                                        ; implicit-def: $vgpr1_vgpr2
                                        ; implicit-def: $vgpr20
	v_lshlrev_b32_e32 v17, 3, v0
	s_cbranch_execz .LBB1349_35
.LBB1349_27:
	s_waitcnt lgkmcnt(0)
	v_lshlrev_b32_e32 v5, 2, v0
	s_cmp_eq_u64 s[20:21], 0
	v_add_co_u32 v1, s2, s6, v5
	v_add_co_ci_u32_e64 v2, null, s7, 0, s2
	v_add_co_u32 v3, vcc_lo, 0x800, v1
	v_add_co_ci_u32_e64 v4, null, 0, v2, vcc_lo
	s_clause 0x2
	flat_load_dword v6, v[1:2]
	flat_load_dword v2, v[1:2] offset:1024
	flat_load_dword v3, v[3:4]
	v_add_nc_u32_e32 v1, v5, v17
	s_waitcnt vmcnt(1) lgkmcnt(1)
	ds_write2st64_b32 v5, v6, v2 offset1:4
	s_waitcnt vmcnt(0) lgkmcnt(1)
	ds_write_b32 v5, v3 offset:2048
	s_waitcnt lgkmcnt(0)
	s_barrier
	buffer_gl0_inv
	ds_read2_b32 v[7:8], v1 offset1:1
	ds_read_b32 v9, v1 offset:8
	s_cbranch_scc1 .LBB1349_32
; %bb.28:
	s_andn2_b32 vcc_lo, exec_lo, s36
	s_cbranch_vccnz .LBB1349_150
; %bb.29:
	s_lshl_b64 s[2:3], s[20:21], 2
	s_add_u32 s2, s30, s2
	s_addc_u32 s3, s31, s3
	s_add_u32 s2, s2, -4
	s_addc_u32 s3, s3, -1
	s_cbranch_execnz .LBB1349_31
.LBB1349_30:
	s_add_u32 s2, s6, -4
	s_addc_u32 s3, s7, -1
.LBB1349_31:
	s_mov_b64 s[6:7], s[2:3]
.LBB1349_32:
	v_mov_b32_e32 v2, s6
	v_mov_b32_e32 v3, s7
	v_sub_nc_u32_e32 v1, v1, v17
	flat_load_dword v10, v[2:3]
	s_waitcnt lgkmcnt(1)
	ds_write_b32 v1, v9 offset:3072
	s_waitcnt vmcnt(0) lgkmcnt(0)
	s_barrier
	buffer_gl0_inv
	s_and_saveexec_b32 s2, s1
; %bb.33:
	ds_read_b32 v10, v1 offset:3068
; %bb.34:
	s_or_b32 exec_lo, exec_lo, s2
	v_add_co_u32 v2, s2, s5, v17
	v_add_co_ci_u32_e64 v3, null, s29, 0, s2
	s_waitcnt lgkmcnt(0)
	v_add_co_u32 v4, vcc_lo, 0x800, v2
	v_add_co_ci_u32_e64 v5, null, 0, v3, vcc_lo
	v_add_co_u32 v11, vcc_lo, 0x1000, v2
	v_add_co_ci_u32_e64 v12, null, 0, v3, vcc_lo
	s_barrier
	buffer_gl0_inv
	s_clause 0x2
	flat_load_dwordx2 v[2:3], v[2:3]
	flat_load_dwordx2 v[4:5], v[4:5]
	;; [unrolled: 1-line block ×3, first 2 shown]
	v_lshl_add_u32 v1, v0, 2, v1
	v_cmp_ne_u32_e32 vcc_lo, v7, v8
	v_cmp_ne_u32_e64 s4, v8, v9
	s_mov_b32 s3, -1
	s_waitcnt vmcnt(1) lgkmcnt(1)
	ds_write2st64_b64 v1, v[2:3], v[4:5] offset1:4
	s_waitcnt vmcnt(0) lgkmcnt(1)
	ds_write_b64 v1, v[11:12] offset:4096
	v_lshl_add_u32 v6, v0, 4, v1
	s_waitcnt lgkmcnt(0)
	s_barrier
	buffer_gl0_inv
	ds_read2_b64 v[1:4], v6 offset1:1
	ds_read_b64 v[5:6], v6 offset:16
	v_cndmask_b32_e64 v20, 0, 1, vcc_lo
	v_cmp_ne_u32_e32 vcc_lo, v10, v7
	v_cndmask_b32_e64 v18, 0, 1, vcc_lo
.LBB1349_35:
	v_mov_b32_e32 v7, 0
	v_mov_b32_e32 v8, 0
	;; [unrolled: 1-line block ×3, first 2 shown]
	s_and_saveexec_b32 s2, s3
	s_cbranch_execz .LBB1349_37
; %bb.36:
	s_waitcnt lgkmcnt(0)
	v_mov_b32_e32 v8, v6
	v_cndmask_b32_e64 v21, 0, 1, s4
	v_mov_b32_e32 v7, v5
.LBB1349_37:
	s_or_b32 exec_lo, exec_lo, s2
	v_and_b32_e32 v22, 1, v21
	v_cmp_eq_u16_e64 s2, 0, v21
	v_mbcnt_lo_u32_b32 v19, -1, 0
	s_cmp_lg_u32 s33, 0
	s_waitcnt lgkmcnt(0)
	v_cmp_eq_u32_e32 vcc_lo, 1, v22
	s_barrier
	buffer_gl0_inv
	s_cbranch_scc0 .LBB1349_95
; %bb.38:
	v_mov_b32_e32 v5, 0
	v_or_b32_e32 v10, v20, v18
	s_mov_b32 s5, exec_lo
	v_cmp_eq_u16_sdwa s3, v20, v5 src0_sel:BYTE_0 src1_sel:DWORD
	v_cndmask_b32_e64 v9, 0, v1, s3
	v_cndmask_b32_e64 v6, 0, v2, s3
	v_add_co_u32 v9, s4, v9, v3
	v_add_co_ci_u32_e64 v6, null, v6, v4, s4
	v_cmp_ne_u16_sdwa s4, v10, v5 src0_sel:BYTE_0 src1_sel:DWORD
	v_cndmask_b32_e64 v9, 0, v9, s2
	v_cndmask_b32_e64 v6, 0, v6, s2
	s_or_b32 s4, s4, vcc_lo
	v_add_co_u32 v9, vcc_lo, v9, v7
	v_cndmask_b32_e64 v5, 0, 1, s4
	v_add_co_ci_u32_e64 v10, null, v6, v8, vcc_lo
	v_and_b32_e32 v6, 15, v19
	v_mov_b32_dpp v12, v9 row_shr:1 row_mask:0xf bank_mask:0xf
	v_mov_b32_dpp v11, v5 row_shr:1 row_mask:0xf bank_mask:0xf
	;; [unrolled: 1-line block ×3, first 2 shown]
	v_cmpx_ne_u32_e32 0, v6
; %bb.39:
	v_cndmask_b32_e64 v12, v12, 0, s4
	v_cndmask_b32_e64 v13, v13, 0, s4
	v_and_or_b32 v5, v11, 1, v5
	v_add_co_u32 v9, vcc_lo, v12, v9
	v_add_co_ci_u32_e64 v10, null, v13, v10, vcc_lo
; %bb.40:
	s_or_b32 exec_lo, exec_lo, s5
	v_mov_b32_dpp v12, v9 row_shr:2 row_mask:0xf bank_mask:0xf
	v_mov_b32_dpp v13, v10 row_shr:2 row_mask:0xf bank_mask:0xf
	v_mov_b32_dpp v11, v5 row_shr:2 row_mask:0xf bank_mask:0xf
	s_mov_b32 s4, exec_lo
	v_cmpx_lt_u32_e32 1, v6
	s_cbranch_execz .LBB1349_42
; %bb.41:
	v_cmp_eq_u16_e32 vcc_lo, 0, v5
	v_or_b32_e32 v5, v11, v5
	v_cndmask_b32_e32 v12, 0, v12, vcc_lo
	v_cndmask_b32_e32 v13, 0, v13, vcc_lo
	v_and_b32_e32 v5, 1, v5
	v_add_co_u32 v9, vcc_lo, v12, v9
	v_add_co_ci_u32_e64 v10, null, v13, v10, vcc_lo
.LBB1349_42:
	s_or_b32 exec_lo, exec_lo, s4
	v_mov_b32_dpp v12, v9 row_shr:4 row_mask:0xf bank_mask:0xf
	v_mov_b32_dpp v13, v10 row_shr:4 row_mask:0xf bank_mask:0xf
	v_mov_b32_dpp v11, v5 row_shr:4 row_mask:0xf bank_mask:0xf
	s_mov_b32 s4, exec_lo
	v_cmpx_lt_u32_e32 3, v6
	s_cbranch_execz .LBB1349_44
; %bb.43:
	v_cmp_eq_u16_e32 vcc_lo, 0, v5
	v_or_b32_e32 v5, v11, v5
	v_cndmask_b32_e32 v12, 0, v12, vcc_lo
	v_cndmask_b32_e32 v13, 0, v13, vcc_lo
	v_and_b32_e32 v5, 1, v5
	v_add_co_u32 v9, vcc_lo, v12, v9
	v_add_co_ci_u32_e64 v10, null, v13, v10, vcc_lo
.LBB1349_44:
	;; [unrolled: 16-line block ×3, first 2 shown]
	s_or_b32 exec_lo, exec_lo, s4
	ds_swizzle_b32 v6, v9 offset:swizzle(BROADCAST,32,15)
	ds_swizzle_b32 v12, v10 offset:swizzle(BROADCAST,32,15)
	;; [unrolled: 1-line block ×3, first 2 shown]
	v_and_b32_e32 v11, 16, v19
	v_cmp_ne_u32_e32 vcc_lo, 0, v11
	v_mov_b32_e32 v11, v5
	s_and_saveexec_b32 s6, vcc_lo
	s_cbranch_execz .LBB1349_48
; %bb.47:
	v_cmp_eq_u16_e32 vcc_lo, 0, v5
	v_and_b32_e32 v5, 1, v5
	s_waitcnt lgkmcnt(0)
	v_and_b32_e32 v11, 1, v13
	v_cndmask_b32_e32 v12, 0, v12, vcc_lo
	v_cndmask_b32_e32 v6, 0, v6, vcc_lo
	v_cmp_eq_u32_e32 vcc_lo, 1, v5
	v_cmp_eq_u32_e64 s4, 1, v11
	v_add_co_u32 v9, s5, v6, v9
	s_or_b32 s4, vcc_lo, s4
	v_add_co_ci_u32_e64 v10, null, v12, v10, s5
	v_cndmask_b32_e64 v5, 0, 1, s4
	v_cndmask_b32_e64 v11, 0, 1, s4
.LBB1349_48:
	s_or_b32 exec_lo, exec_lo, s6
	s_waitcnt lgkmcnt(1)
	v_lshrrev_b32_e32 v12, 5, v0
	v_or_b32_e32 v6, 31, v0
	s_mov_b32 s4, exec_lo
	v_lshlrev_b32_e32 v12, 4, v12
	v_cmpx_eq_u32_e64 v0, v6
	s_cbranch_execz .LBB1349_50
; %bb.49:
	ds_write_b64 v12, v[9:10]
	ds_write_b8 v12, v5 offset:8
.LBB1349_50:
	s_or_b32 exec_lo, exec_lo, s4
	s_mov_b32 s6, exec_lo
	s_waitcnt lgkmcnt(0)
	s_barrier
	buffer_gl0_inv
	v_cmpx_gt_u32_e32 8, v0
	s_cbranch_execz .LBB1349_58
; %bb.51:
	v_lshlrev_b32_e32 v13, 4, v0
	v_and_b32_e32 v14, 7, v19
	s_mov_b32 s4, exec_lo
	ds_read_b64 v[5:6], v13
	ds_read_b32 v24, v13 offset:8
	s_waitcnt lgkmcnt(1)
	v_mov_b32_dpp v25, v5 row_shr:1 row_mask:0xf bank_mask:0xf
	v_mov_b32_dpp v26, v6 row_shr:1 row_mask:0xf bank_mask:0xf
	s_waitcnt lgkmcnt(0)
	v_and_b32_e32 v16, 0xffffff00, v24
	v_mov_b32_dpp v27, v24 row_shr:1 row_mask:0xf bank_mask:0xf
	v_mov_b32_e32 v23, v24
	v_mov_b32_e32 v15, v24
	v_cmpx_ne_u32_e32 0, v14
	s_cbranch_execz .LBB1349_53
; %bb.52:
	v_mov_b32_e32 v15, 0
	v_cmp_eq_u16_sdwa vcc_lo, v24, v15 src0_sel:BYTE_0 src1_sel:DWORD
	v_or_b32_e32 v15, v27, v24
	v_cndmask_b32_e32 v25, 0, v25, vcc_lo
	v_cndmask_b32_e32 v24, 0, v26, vcc_lo
	v_and_b32_e32 v23, 1, v15
	v_and_b32_e32 v15, 1, v15
	v_add_co_u32 v5, vcc_lo, v25, v5
	v_add_co_ci_u32_e64 v6, null, v24, v6, vcc_lo
	v_or_b32_e32 v24, v15, v16
.LBB1349_53:
	s_or_b32 exec_lo, exec_lo, s4
	v_mov_b32_dpp v25, v5 row_shr:2 row_mask:0xf bank_mask:0xf
	v_mov_b32_dpp v26, v6 row_shr:2 row_mask:0xf bank_mask:0xf
	;; [unrolled: 1-line block ×3, first 2 shown]
	s_mov_b32 s7, exec_lo
	v_cmpx_lt_u32_e32 1, v14
	s_cbranch_execz .LBB1349_55
; %bb.54:
	v_mov_b32_e32 v23, 0
	v_and_b32_e32 v24, 1, v15
	v_and_b32_e32 v27, 1, v27
	v_cmp_eq_u16_sdwa vcc_lo, v15, v23 src0_sel:BYTE_0 src1_sel:DWORD
	v_cmp_eq_u32_e64 s4, 1, v24
	v_cmp_eq_u32_e64 s5, 1, v27
	v_cndmask_b32_e32 v24, 0, v25, vcc_lo
	v_cndmask_b32_e32 v15, 0, v26, vcc_lo
	s_or_b32 s4, s4, s5
	v_cndmask_b32_e64 v23, 0, 1, s4
	v_cndmask_b32_e64 v25, 0, 1, s4
	v_add_co_u32 v5, vcc_lo, v24, v5
	v_add_co_ci_u32_e64 v6, null, v15, v6, vcc_lo
	v_or_b32_e32 v24, v16, v25
	v_mov_b32_e32 v15, v23
.LBB1349_55:
	s_or_b32 exec_lo, exec_lo, s7
	v_mov_b32_dpp v16, v5 row_shr:4 row_mask:0xf bank_mask:0xf
	v_mov_b32_dpp v25, v6 row_shr:4 row_mask:0xf bank_mask:0xf
	;; [unrolled: 1-line block ×3, first 2 shown]
	s_mov_b32 s7, exec_lo
	v_cmpx_lt_u32_e32 3, v14
	s_cbranch_execz .LBB1349_57
; %bb.56:
	v_mov_b32_e32 v14, 0
	v_cmp_eq_u16_sdwa vcc_lo, v15, v14 src0_sel:BYTE_0 src1_sel:DWORD
	v_and_b32_e32 v14, 1, v15
	v_and_b32_e32 v15, 1, v24
	v_cndmask_b32_e32 v23, 0, v25, vcc_lo
	v_cndmask_b32_e32 v16, 0, v16, vcc_lo
	v_cmp_eq_u32_e32 vcc_lo, 1, v14
	v_cmp_eq_u32_e64 s4, 1, v15
	v_add_co_u32 v5, s5, v16, v5
	s_or_b32 s4, vcc_lo, s4
	v_add_co_ci_u32_e64 v6, null, v23, v6, s5
	v_cndmask_b32_e64 v23, 0, 1, s4
.LBB1349_57:
	s_or_b32 exec_lo, exec_lo, s7
	ds_write_b64 v13, v[5:6]
	ds_write_b8 v13, v23 offset:8
.LBB1349_58:
	s_or_b32 exec_lo, exec_lo, s6
	v_mov_b32_e32 v5, 0
	v_mov_b32_e32 v6, 0
	;; [unrolled: 1-line block ×3, first 2 shown]
	s_mov_b32 s5, exec_lo
	v_cmp_gt_u32_e32 vcc_lo, 32, v0
	s_waitcnt lgkmcnt(0)
	s_barrier
	buffer_gl0_inv
	v_cmpx_lt_u32_e32 31, v0
	s_cbranch_execz .LBB1349_60
; %bb.59:
	v_add_nc_u32_e32 v5, -16, v12
	v_add_nc_u32_e32 v12, -8, v12
	v_cmp_eq_u32_e64 s4, 0, v11
	ds_read_b64 v[5:6], v5
	ds_read_u8 v12, v12
	s_waitcnt lgkmcnt(1)
	v_cndmask_b32_e64 v14, 0, v5, s4
	v_cndmask_b32_e64 v13, 0, v6, s4
	s_waitcnt lgkmcnt(0)
	v_or_b32_e32 v11, v12, v11
	v_and_b32_e32 v23, 1, v12
	v_add_co_u32 v9, s4, v14, v9
	v_add_co_ci_u32_e64 v10, null, v13, v10, s4
	v_and_b32_e32 v11, 1, v11
.LBB1349_60:
	s_or_b32 exec_lo, exec_lo, s5
	v_sub_co_u32 v12, s4, v19, 1
	v_cmp_gt_i32_e64 s5, 0, v12
	v_cndmask_b32_e64 v12, v12, v19, s5
	v_lshlrev_b32_e32 v12, 2, v12
	ds_bpermute_b32 v24, v12, v9
	ds_bpermute_b32 v25, v12, v10
	;; [unrolled: 1-line block ×3, first 2 shown]
	s_and_saveexec_b32 s7, vcc_lo
	s_cbranch_execz .LBB1349_100
; %bb.61:
	v_mov_b32_e32 v13, 0
	ds_read_b64 v[9:10], v13 offset:112
	ds_read_u8 v27, v13 offset:120
	s_and_saveexec_b32 s5, s4
	s_cbranch_execz .LBB1349_63
; %bb.62:
	s_add_i32 s20, s33, 32
	s_mov_b32 s21, 0
	v_mov_b32_e32 v11, 1
	s_lshl_b64 s[24:25], s[20:21], 4
	v_mov_b32_e32 v12, s20
	s_add_u32 s24, s8, s24
	s_addc_u32 s25, s9, s25
	s_waitcnt lgkmcnt(1)
	global_store_dwordx2 v13, v[9:10], s[24:25]
	s_waitcnt lgkmcnt(0)
	global_store_byte v13, v27, s[24:25] offset:8
	s_waitcnt_vscnt null, 0x0
	buffer_gl1_inv
	buffer_gl0_inv
	global_store_byte v12, v11, s[12:13]
.LBB1349_63:
	s_or_b32 exec_lo, exec_lo, s5
	v_xad_u32 v11, v19, -1, s33
	s_mov_b32 s6, 0
	s_mov_b32 s5, exec_lo
	v_add_nc_u32_e32 v12, 32, v11
	global_load_ubyte v28, v12, s[12:13] glc dlc
	s_waitcnt vmcnt(0)
	v_cmpx_eq_u16_e32 0, v28
	s_cbranch_execz .LBB1349_67
; %bb.64:
	v_add_co_u32 v14, s20, s12, v12
	v_add_co_ci_u32_e64 v15, null, s13, 0, s20
.LBB1349_65:                            ; =>This Inner Loop Header: Depth=1
	global_load_ubyte v28, v[14:15], off glc dlc
	s_waitcnt vmcnt(0)
	v_cmp_ne_u16_e32 vcc_lo, 0, v28
	s_or_b32 s6, vcc_lo, s6
	s_andn2_b32 exec_lo, exec_lo, s6
	s_cbranch_execnz .LBB1349_65
; %bb.66:
	s_or_b32 exec_lo, exec_lo, s6
.LBB1349_67:
	s_or_b32 exec_lo, exec_lo, s5
	v_cmp_eq_u16_e32 vcc_lo, 1, v28
	v_mov_b32_e32 v15, s8
	v_mov_b32_e32 v14, s9
	v_lshlrev_b64 v[12:13], 4, v[12:13]
	s_waitcnt lgkmcnt(0)
	s_waitcnt_vscnt null, 0x0
	buffer_gl1_inv
	buffer_gl0_inv
	v_lshlrev_b32_e64 v30, v19, -1
	v_cndmask_b32_e32 v15, s10, v15, vcc_lo
	v_cndmask_b32_e32 v14, s11, v14, vcc_lo
	s_mov_b32 s5, exec_lo
	v_add_co_u32 v12, vcc_lo, v15, v12
	v_add_co_ci_u32_e64 v13, null, v14, v13, vcc_lo
	v_cmp_ne_u32_e32 vcc_lo, 31, v19
	s_clause 0x1
	global_load_ubyte v41, v[12:13], off offset:8
	global_load_dwordx2 v[15:16], v[12:13], off
	v_add_co_ci_u32_e64 v12, null, 0, v19, vcc_lo
	v_cmp_eq_u16_e32 vcc_lo, 2, v28
	v_lshlrev_b32_e32 v29, 2, v12
	v_and_or_b32 v12, vcc_lo, v30, 0x80000000
	v_ffbl_b32_e32 v12, v12
	s_waitcnt vmcnt(1)
	v_and_b32_e32 v13, 1, v41
	s_waitcnt vmcnt(0)
	ds_bpermute_b32 v14, v29, v15
	ds_bpermute_b32 v31, v29, v16
	;; [unrolled: 1-line block ×3, first 2 shown]
	v_cmpx_lt_u32_e64 v19, v12
	s_cbranch_execz .LBB1349_69
; %bb.68:
	v_mov_b32_e32 v13, 0
	v_cmp_eq_u16_sdwa vcc_lo, v41, v13 src0_sel:BYTE_0 src1_sel:DWORD
	s_waitcnt lgkmcnt(0)
	v_and_b32_e32 v13, 1, v32
	v_cndmask_b32_e32 v14, 0, v14, vcc_lo
	v_cndmask_b32_e32 v31, 0, v31, vcc_lo
	v_or_b32_e32 v41, v13, v41
	v_add_co_u32 v15, vcc_lo, v14, v15
	v_add_co_ci_u32_e64 v16, null, v31, v16, vcc_lo
	v_and_b32_e32 v13, 0xff, v41
.LBB1349_69:
	s_or_b32 exec_lo, exec_lo, s5
	v_cmp_gt_u32_e32 vcc_lo, 30, v19
	s_waitcnt lgkmcnt(0)
	v_add_nc_u32_e32 v32, 2, v19
	s_mov_b32 s20, exec_lo
	v_cndmask_b32_e64 v14, 0, 2, vcc_lo
	v_add_lshl_u32 v31, v14, v19, 2
	ds_bpermute_b32 v14, v31, v15
	ds_bpermute_b32 v33, v31, v16
	ds_bpermute_b32 v34, v31, v13
	v_cmpx_le_u32_e64 v32, v12
	s_cbranch_execz .LBB1349_71
; %bb.70:
	v_mov_b32_e32 v13, 0
	v_and_b32_e32 v35, 1, v41
	s_waitcnt lgkmcnt(0)
	v_and_b32_e32 v34, 1, v34
	v_cmp_eq_u16_sdwa vcc_lo, v41, v13 src0_sel:BYTE_0 src1_sel:DWORD
	v_cmp_eq_u32_e64 s5, 1, v35
	v_cmp_eq_u32_e64 s6, 1, v34
	v_cndmask_b32_e32 v14, 0, v14, vcc_lo
	v_cndmask_b32_e32 v13, 0, v33, vcc_lo
	s_or_b32 s5, s5, s6
	v_cndmask_b32_e64 v41, 0, 1, s5
	v_add_co_u32 v15, vcc_lo, v14, v15
	v_add_co_ci_u32_e64 v16, null, v13, v16, vcc_lo
	v_cndmask_b32_e64 v13, 0, 1, s5
.LBB1349_71:
	s_or_b32 exec_lo, exec_lo, s20
	v_cmp_gt_u32_e32 vcc_lo, 28, v19
	s_waitcnt lgkmcnt(0)
	v_add_nc_u32_e32 v34, 4, v19
	s_mov_b32 s20, exec_lo
	v_cndmask_b32_e64 v14, 0, 4, vcc_lo
	v_add_lshl_u32 v33, v14, v19, 2
	ds_bpermute_b32 v14, v33, v15
	ds_bpermute_b32 v35, v33, v16
	ds_bpermute_b32 v36, v33, v13
	v_cmpx_le_u32_e64 v34, v12
	s_cbranch_execz .LBB1349_73
; %bb.72:
	v_mov_b32_e32 v13, 0
	v_and_b32_e32 v37, 1, v41
	s_waitcnt lgkmcnt(0)
	v_and_b32_e32 v36, 1, v36
	v_cmp_eq_u16_sdwa vcc_lo, v41, v13 src0_sel:BYTE_0 src1_sel:DWORD
	v_cmp_eq_u32_e64 s5, 1, v37
	v_cmp_eq_u32_e64 s6, 1, v36
	v_cndmask_b32_e32 v14, 0, v14, vcc_lo
	v_cndmask_b32_e32 v13, 0, v35, vcc_lo
	s_or_b32 s5, s5, s6
	v_cndmask_b32_e64 v41, 0, 1, s5
	v_add_co_u32 v15, vcc_lo, v14, v15
	v_add_co_ci_u32_e64 v16, null, v13, v16, vcc_lo
	v_cndmask_b32_e64 v13, 0, 1, s5
.LBB1349_73:
	;; [unrolled: 28-line block ×3, first 2 shown]
	s_or_b32 exec_lo, exec_lo, s20
	s_waitcnt lgkmcnt(0)
	v_lshl_or_b32 v38, v19, 2, 64
	v_add_nc_u32_e32 v39, 16, v19
	s_mov_b32 s20, exec_lo
	ds_bpermute_b32 v14, v38, v15
	ds_bpermute_b32 v37, v38, v16
	;; [unrolled: 1-line block ×3, first 2 shown]
	v_cmpx_le_u32_e64 v39, v12
	s_cbranch_execz .LBB1349_77
; %bb.76:
	v_mov_b32_e32 v12, 0
	s_waitcnt lgkmcnt(0)
	v_and_b32_e32 v13, 1, v13
	v_cmp_eq_u16_sdwa vcc_lo, v41, v12 src0_sel:BYTE_0 src1_sel:DWORD
	v_and_b32_e32 v12, 1, v41
	v_cmp_eq_u32_e64 s5, 1, v13
	v_cndmask_b32_e32 v37, 0, v37, vcc_lo
	v_cndmask_b32_e32 v14, 0, v14, vcc_lo
	v_cmp_eq_u32_e32 vcc_lo, 1, v12
	v_add_co_u32 v15, s6, v14, v15
	s_or_b32 s5, vcc_lo, s5
	v_add_co_ci_u32_e64 v16, null, v37, v16, s6
	v_cndmask_b32_e64 v41, 0, 1, s5
.LBB1349_77:
	s_or_b32 exec_lo, exec_lo, s20
	v_mov_b32_e32 v12, 0
	v_mov_b32_e32 v40, 2
	s_branch .LBB1349_80
.LBB1349_78:                            ;   in Loop: Header=BB1349_80 Depth=1
	s_or_b32 exec_lo, exec_lo, s21
	v_cmp_eq_u16_sdwa vcc_lo, v37, v12 src0_sel:BYTE_0 src1_sel:DWORD
	v_and_b32_e32 v41, 1, v37
	v_subrev_nc_u32_e32 v11, 32, v11
	v_cndmask_b32_e32 v15, 0, v15, vcc_lo
	v_cndmask_b32_e32 v16, 0, v16, vcc_lo
	v_cmp_eq_u32_e32 vcc_lo, 1, v41
	v_add_co_u32 v15, s5, v15, v13
	v_add_co_ci_u32_e64 v16, null, v16, v14, s5
	s_or_b32 s5, vcc_lo, s20
	v_cndmask_b32_e64 v41, 0, 1, s5
	s_mov_b32 s5, 0
.LBB1349_79:                            ;   in Loop: Header=BB1349_80 Depth=1
	s_and_b32 vcc_lo, exec_lo, s5
	s_cbranch_vccnz .LBB1349_96
.LBB1349_80:                            ; =>This Loop Header: Depth=1
                                        ;     Child Loop BB1349_83 Depth 2
	v_cmp_ne_u16_sdwa s5, v28, v40 src0_sel:BYTE_0 src1_sel:DWORD
	s_waitcnt lgkmcnt(0)
	v_mov_b32_e32 v13, v15
	v_mov_b32_e32 v37, v41
	v_mov_b32_e32 v14, v16
                                        ; implicit-def: $vgpr41
                                        ; implicit-def: $vgpr15_vgpr16
                                        ; implicit-def: $vgpr28
	s_cmp_lg_u32 s5, exec_lo
	s_mov_b32 s5, -1
	s_cbranch_scc1 .LBB1349_79
; %bb.81:                               ;   in Loop: Header=BB1349_80 Depth=1
	global_load_ubyte v28, v11, s[12:13] glc dlc
	s_mov_b32 s5, exec_lo
	s_waitcnt vmcnt(0)
	v_cmpx_eq_u16_e32 0, v28
	s_cbranch_execz .LBB1349_85
; %bb.82:                               ;   in Loop: Header=BB1349_80 Depth=1
	v_add_co_u32 v15, s6, s12, v11
	v_add_co_ci_u32_e64 v16, null, s13, 0, s6
	s_mov_b32 s6, 0
.LBB1349_83:                            ;   Parent Loop BB1349_80 Depth=1
                                        ; =>  This Inner Loop Header: Depth=2
	global_load_ubyte v28, v[15:16], off glc dlc
	s_waitcnt vmcnt(0)
	v_cmp_ne_u16_e32 vcc_lo, 0, v28
	s_or_b32 s6, vcc_lo, s6
	s_andn2_b32 exec_lo, exec_lo, s6
	s_cbranch_execnz .LBB1349_83
; %bb.84:                               ;   in Loop: Header=BB1349_80 Depth=1
	s_or_b32 exec_lo, exec_lo, s6
.LBB1349_85:                            ;   in Loop: Header=BB1349_80 Depth=1
	s_or_b32 exec_lo, exec_lo, s5
	v_cmp_eq_u16_e32 vcc_lo, 1, v28
	v_mov_b32_e32 v42, s8
	v_mov_b32_e32 v41, s9
	v_lshlrev_b64 v[15:16], 4, v[11:12]
	buffer_gl1_inv
	buffer_gl0_inv
	s_mov_b32 s5, exec_lo
	v_cndmask_b32_e32 v42, s10, v42, vcc_lo
	v_cndmask_b32_e32 v41, s11, v41, vcc_lo
	v_add_co_u32 v15, vcc_lo, v42, v15
	v_add_co_ci_u32_e64 v16, null, v41, v16, vcc_lo
	v_cmp_eq_u16_e32 vcc_lo, 2, v28
	s_clause 0x1
	global_load_ubyte v42, v[15:16], off offset:8
	global_load_dwordx2 v[15:16], v[15:16], off
	v_and_or_b32 v41, vcc_lo, v30, 0x80000000
	v_ffbl_b32_e32 v41, v41
	s_waitcnt vmcnt(1)
	v_and_b32_e32 v43, 1, v42
	s_waitcnt vmcnt(0)
	ds_bpermute_b32 v44, v29, v15
	ds_bpermute_b32 v45, v29, v16
	;; [unrolled: 1-line block ×3, first 2 shown]
	v_cmpx_lt_u32_e64 v19, v41
	s_cbranch_execz .LBB1349_87
; %bb.86:                               ;   in Loop: Header=BB1349_80 Depth=1
	v_cmp_eq_u16_sdwa vcc_lo, v42, v12 src0_sel:BYTE_0 src1_sel:DWORD
	s_waitcnt lgkmcnt(0)
	v_and_b32_e32 v43, 1, v46
	v_cndmask_b32_e32 v44, 0, v44, vcc_lo
	v_cndmask_b32_e32 v45, 0, v45, vcc_lo
	v_or_b32_e32 v42, v43, v42
	v_add_co_u32 v15, vcc_lo, v44, v15
	v_add_co_ci_u32_e64 v16, null, v45, v16, vcc_lo
	v_and_b32_e32 v43, 0xff, v42
.LBB1349_87:                            ;   in Loop: Header=BB1349_80 Depth=1
	s_or_b32 exec_lo, exec_lo, s5
	s_waitcnt lgkmcnt(2)
	ds_bpermute_b32 v44, v31, v15
	s_waitcnt lgkmcnt(2)
	ds_bpermute_b32 v45, v31, v16
	;; [unrolled: 2-line block ×3, first 2 shown]
	v_and_b32_e32 v47, 1, v42
	s_mov_b32 s6, exec_lo
	v_cmp_eq_u32_e64 s20, 1, v47
	v_cmpx_le_u32_e64 v32, v41
	s_cbranch_execz .LBB1349_89
; %bb.88:                               ;   in Loop: Header=BB1349_80 Depth=1
	v_cmp_eq_u16_sdwa vcc_lo, v42, v12 src0_sel:BYTE_0 src1_sel:DWORD
	s_waitcnt lgkmcnt(0)
	v_and_b32_e32 v42, 1, v46
	v_cndmask_b32_e32 v44, 0, v44, vcc_lo
	v_cndmask_b32_e32 v43, 0, v45, vcc_lo
	v_cmp_eq_u32_e32 vcc_lo, 1, v42
	v_add_co_u32 v15, s5, v44, v15
	v_add_co_ci_u32_e64 v16, null, v43, v16, s5
	s_or_b32 s5, s20, vcc_lo
	s_andn2_b32 s20, s20, exec_lo
	v_cndmask_b32_e64 v42, 0, 1, s5
	v_cndmask_b32_e64 v43, 0, 1, s5
	s_and_b32 s5, s5, exec_lo
	s_or_b32 s20, s20, s5
.LBB1349_89:                            ;   in Loop: Header=BB1349_80 Depth=1
	s_or_b32 exec_lo, exec_lo, s6
	s_waitcnt lgkmcnt(2)
	ds_bpermute_b32 v44, v33, v15
	s_waitcnt lgkmcnt(2)
	ds_bpermute_b32 v45, v33, v16
	;; [unrolled: 2-line block ×3, first 2 shown]
	s_mov_b32 s21, exec_lo
	v_cmpx_le_u32_e64 v34, v41
	s_cbranch_execz .LBB1349_91
; %bb.90:                               ;   in Loop: Header=BB1349_80 Depth=1
	v_cmp_eq_u16_sdwa vcc_lo, v42, v12 src0_sel:BYTE_0 src1_sel:DWORD
	v_and_b32_e32 v42, 1, v42
	s_waitcnt lgkmcnt(0)
	v_and_b32_e32 v43, 1, v46
	v_cndmask_b32_e32 v45, 0, v45, vcc_lo
	v_cndmask_b32_e32 v44, 0, v44, vcc_lo
	v_cmp_eq_u32_e32 vcc_lo, 1, v42
	v_cmp_eq_u32_e64 s5, 1, v43
	v_add_co_u32 v15, s6, v44, v15
	s_or_b32 s5, vcc_lo, s5
	v_add_co_ci_u32_e64 v16, null, v45, v16, s6
	v_cndmask_b32_e64 v42, 0, 1, s5
	v_cndmask_b32_e64 v43, 0, 1, s5
	s_andn2_b32 s6, s20, exec_lo
	s_and_b32 s5, s5, exec_lo
	s_or_b32 s20, s6, s5
.LBB1349_91:                            ;   in Loop: Header=BB1349_80 Depth=1
	s_or_b32 exec_lo, exec_lo, s21
	s_waitcnt lgkmcnt(2)
	ds_bpermute_b32 v44, v35, v15
	s_waitcnt lgkmcnt(2)
	ds_bpermute_b32 v45, v35, v16
	s_waitcnt lgkmcnt(2)
	ds_bpermute_b32 v46, v35, v43
	s_mov_b32 s21, exec_lo
	v_cmpx_le_u32_e64 v36, v41
	s_cbranch_execz .LBB1349_93
; %bb.92:                               ;   in Loop: Header=BB1349_80 Depth=1
	v_cmp_eq_u16_sdwa vcc_lo, v42, v12 src0_sel:BYTE_0 src1_sel:DWORD
	v_and_b32_e32 v42, 1, v42
	s_waitcnt lgkmcnt(0)
	v_and_b32_e32 v43, 1, v46
	v_cndmask_b32_e32 v45, 0, v45, vcc_lo
	v_cndmask_b32_e32 v44, 0, v44, vcc_lo
	v_cmp_eq_u32_e32 vcc_lo, 1, v42
	v_cmp_eq_u32_e64 s5, 1, v43
	v_add_co_u32 v15, s6, v44, v15
	s_or_b32 s5, vcc_lo, s5
	v_add_co_ci_u32_e64 v16, null, v45, v16, s6
	v_cndmask_b32_e64 v42, 0, 1, s5
	v_cndmask_b32_e64 v43, 0, 1, s5
	s_andn2_b32 s6, s20, exec_lo
	s_and_b32 s5, s5, exec_lo
	s_or_b32 s20, s6, s5
.LBB1349_93:                            ;   in Loop: Header=BB1349_80 Depth=1
	s_or_b32 exec_lo, exec_lo, s21
	s_waitcnt lgkmcnt(2)
	ds_bpermute_b32 v44, v38, v15
	s_waitcnt lgkmcnt(2)
	ds_bpermute_b32 v45, v38, v16
	ds_bpermute_b32 v43, v38, v43
	s_mov_b32 s21, exec_lo
	v_cmpx_le_u32_e64 v39, v41
	s_cbranch_execz .LBB1349_78
; %bb.94:                               ;   in Loop: Header=BB1349_80 Depth=1
	v_cmp_eq_u16_sdwa vcc_lo, v42, v12 src0_sel:BYTE_0 src1_sel:DWORD
	v_and_b32_e32 v41, 1, v42
	s_waitcnt lgkmcnt(0)
	v_and_b32_e32 v42, 1, v43
	v_cndmask_b32_e32 v44, 0, v44, vcc_lo
	v_cndmask_b32_e32 v43, 0, v45, vcc_lo
	v_cmp_eq_u32_e32 vcc_lo, 1, v41
	v_cmp_eq_u32_e64 s5, 1, v42
	v_add_co_u32 v15, s6, v44, v15
	v_add_co_ci_u32_e64 v16, null, v43, v16, s6
	s_or_b32 s5, vcc_lo, s5
	s_andn2_b32 s6, s20, exec_lo
	s_and_b32 s5, s5, exec_lo
	s_or_b32 s20, s6, s5
	s_branch .LBB1349_78
.LBB1349_95:
                                        ; implicit-def: $vgpr9_vgpr10
                                        ; implicit-def: $vgpr5_vgpr6
                                        ; implicit-def: $vgpr11_vgpr12
	s_cbranch_execnz .LBB1349_101
	s_branch .LBB1349_130
.LBB1349_96:
	s_and_saveexec_b32 s5, s4
	s_cbranch_execz .LBB1349_98
; %bb.97:
	v_mov_b32_e32 v11, 0
	v_or_b32_e32 v12, v27, v37
	s_mov_b32 s9, 0
	s_add_i32 s8, s33, 32
	v_mov_b32_e32 v15, 2
	v_cmp_eq_u32_sdwa vcc_lo, v27, v11 src0_sel:BYTE_0 src1_sel:DWORD
	s_lshl_b64 s[20:21], s[8:9], 4
	v_mov_b32_e32 v28, s8
	v_and_b32_e32 v12, 1, v12
	s_add_u32 s8, s10, s20
	v_cndmask_b32_e32 v27, 0, v13, vcc_lo
	v_cndmask_b32_e32 v16, 0, v14, vcc_lo
	s_addc_u32 s9, s11, s21
	v_add_co_u32 v9, vcc_lo, v27, v9
	v_add_co_ci_u32_e64 v10, null, v16, v10, vcc_lo
	global_store_byte v11, v12, s[8:9] offset:8
	global_store_dwordx2 v11, v[9:10], s[8:9]
	s_waitcnt lgkmcnt(0)
	s_waitcnt_vscnt null, 0x0
	buffer_gl1_inv
	buffer_gl0_inv
	global_store_byte v28, v15, s[12:13]
.LBB1349_98:
	s_or_b32 exec_lo, exec_lo, s5
	s_and_b32 exec_lo, exec_lo, s0
	s_cbranch_execz .LBB1349_100
; %bb.99:
	v_mov_b32_e32 v9, 0
	ds_write_b64 v9, v[13:14] offset:112
	ds_write_b8 v9, v37 offset:120
.LBB1349_100:
	s_or_b32 exec_lo, exec_lo, s7
	s_waitcnt lgkmcnt(0)
	v_cndmask_b32_e64 v9, v26, v23, s4
	v_and_b32_e32 v12, 1, v18
	v_mov_b32_e32 v11, 0
	s_waitcnt_vscnt null, 0x0
	s_barrier
	v_and_b32_e32 v13, 1, v9
	v_cmp_eq_u32_e32 vcc_lo, 1, v12
	buffer_gl0_inv
	ds_read_b64 v[9:10], v11 offset:112
	v_cndmask_b32_e64 v5, v24, v5, s4
	v_cmp_eq_u32_e64 s5, 1, v13
	v_cndmask_b32_e64 v6, v25, v6, s4
	s_or_b32 s5, vcc_lo, s5
	v_cmp_eq_u16_sdwa vcc_lo, v18, v11 src0_sel:BYTE_0 src1_sel:DWORD
	v_cndmask_b32_e64 v12, 0, 1, s5
	v_cndmask_b32_e32 v5, 0, v5, vcc_lo
	v_cndmask_b32_e64 v12, v12, v18, s0
	v_cndmask_b32_e32 v6, 0, v6, vcc_lo
	v_cndmask_b32_e64 v5, v5, 0, s0
	v_cmp_eq_u16_sdwa vcc_lo, v12, v11 src0_sel:BYTE_0 src1_sel:DWORD
	v_cndmask_b32_e64 v6, v6, 0, s0
	s_waitcnt lgkmcnt(0)
	v_cndmask_b32_e32 v10, 0, v10, vcc_lo
	v_cndmask_b32_e32 v9, 0, v9, vcc_lo
	v_add_co_u32 v5, vcc_lo, v5, v1
	v_add_co_ci_u32_e64 v6, null, v6, v2, vcc_lo
	v_add_co_u32 v11, vcc_lo, v5, v9
	v_add_co_ci_u32_e64 v12, null, v6, v10, vcc_lo
	v_cndmask_b32_e64 v5, 0, v11, s3
	v_cndmask_b32_e64 v6, 0, v12, s3
	v_add_co_u32 v5, vcc_lo, v5, v3
	v_add_co_ci_u32_e64 v6, null, v6, v4, vcc_lo
	v_cndmask_b32_e64 v9, 0, v5, s2
	v_cndmask_b32_e64 v10, 0, v6, s2
	v_add_co_u32 v9, vcc_lo, v9, v7
	v_add_co_ci_u32_e64 v10, null, v10, v8, vcc_lo
	s_branch .LBB1349_130
.LBB1349_101:
	s_cmp_lg_u64 s[34:35], 0
	s_cselect_b32 s2, -1, 0
	s_cmp_lg_u64 s[26:27], 0
	s_cselect_b32 s3, -1, 0
	s_and_b32 s2, s2, s3
	s_and_b32 s3, s0, s2
	s_and_saveexec_b32 s2, s3
	s_cbranch_execz .LBB1349_103
; %bb.102:
	v_mov_b32_e32 v9, 0
	s_clause 0x1
	global_load_dwordx2 v[5:6], v9, s[26:27]
	global_load_ubyte v10, v9, s[26:27] offset:8
	v_cmp_eq_u16_sdwa vcc_lo, v18, v9 src0_sel:BYTE_0 src1_sel:DWORD
	s_waitcnt vmcnt(1)
	v_cndmask_b32_e32 v5, 0, v5, vcc_lo
	v_cndmask_b32_e32 v6, 0, v6, vcc_lo
	s_waitcnt vmcnt(0)
	v_or_b32_e32 v9, v18, v10
	v_add_co_u32 v1, vcc_lo, v5, v1
	v_add_co_ci_u32_e64 v2, null, v6, v2, vcc_lo
	v_and_b32_e32 v18, 1, v9
.LBB1349_103:
	s_or_b32 exec_lo, exec_lo, s2
	v_mov_b32_e32 v9, 0
	v_or_b32_e32 v10, v18, v20
	v_cmp_eq_u32_e64 s3, 1, v22
	v_and_b32_e32 v15, 15, v19
	s_mov_b32 s5, exec_lo
	v_cmp_eq_u16_sdwa vcc_lo, v20, v9 src0_sel:BYTE_0 src1_sel:DWORD
	v_cmp_ne_u16_sdwa s4, v10, v9 src0_sel:BYTE_0 src1_sel:DWORD
	v_cndmask_b32_e32 v5, 0, v1, vcc_lo
	v_cndmask_b32_e32 v6, 0, v2, vcc_lo
	s_or_b32 s4, s4, s3
	v_cndmask_b32_e64 v20, 0, 1, s4
	v_add_co_u32 v5, s2, v5, v3
	v_add_co_ci_u32_e64 v6, null, v6, v4, s2
	v_cmp_eq_u16_e64 s2, 0, v21
	v_mov_b32_dpp v16, v20 row_shr:1 row_mask:0xf bank_mask:0xf
	v_cndmask_b32_e64 v9, 0, v5, s2
	v_cndmask_b32_e64 v10, 0, v6, s2
	v_add_co_u32 v9, s3, v9, v7
	v_add_co_ci_u32_e64 v10, null, v10, v8, s3
	v_mov_b32_dpp v21, v9 row_shr:1 row_mask:0xf bank_mask:0xf
	v_mov_b32_e32 v13, v9
	v_mov_b32_e32 v12, v10
	v_mov_b32_dpp v22, v10 row_shr:1 row_mask:0xf bank_mask:0xf
	v_mov_b32_e32 v11, v9
	v_mov_b32_e32 v14, v10
	v_cmpx_ne_u32_e32 0, v15
	s_cbranch_execz .LBB1349_105
; %bb.104:
	v_cndmask_b32_e64 v11, v21, 0, s4
	v_cndmask_b32_e64 v12, v22, 0, s4
	v_and_or_b32 v20, v16, 1, v20
	v_add_co_u32 v11, s3, v11, v9
	v_add_co_ci_u32_e64 v12, null, v12, v10, s3
	v_mov_b32_e32 v13, v11
	v_mov_b32_e32 v14, v12
.LBB1349_105:
	s_or_b32 exec_lo, exec_lo, s5
	v_mov_b32_dpp v21, v13 row_shr:2 row_mask:0xf bank_mask:0xf
	v_mov_b32_dpp v22, v14 row_shr:2 row_mask:0xf bank_mask:0xf
	v_mov_b32_dpp v16, v20 row_shr:2 row_mask:0xf bank_mask:0xf
	s_mov_b32 s4, exec_lo
	v_cmpx_lt_u32_e32 1, v15
	s_cbranch_execz .LBB1349_107
; %bb.106:
	v_cmp_eq_u16_e64 s3, 0, v20
	v_or_b32_e32 v16, v16, v20
	v_cndmask_b32_e64 v13, 0, v21, s3
	v_cndmask_b32_e64 v14, 0, v22, s3
	v_and_b32_e32 v20, 1, v16
	v_add_co_u32 v13, s3, v13, v11
	v_add_co_ci_u32_e64 v14, null, v14, v12, s3
	v_mov_b32_e32 v11, v13
	v_mov_b32_e32 v12, v14
.LBB1349_107:
	s_or_b32 exec_lo, exec_lo, s4
	v_mov_b32_dpp v21, v13 row_shr:4 row_mask:0xf bank_mask:0xf
	v_mov_b32_dpp v22, v14 row_shr:4 row_mask:0xf bank_mask:0xf
	v_mov_b32_dpp v16, v20 row_shr:4 row_mask:0xf bank_mask:0xf
	s_mov_b32 s4, exec_lo
	v_cmpx_lt_u32_e32 3, v15
	s_cbranch_execz .LBB1349_109
; %bb.108:
	v_cmp_eq_u16_e64 s3, 0, v20
	v_or_b32_e32 v16, v16, v20
	v_cndmask_b32_e64 v13, 0, v21, s3
	v_cndmask_b32_e64 v14, 0, v22, s3
	v_and_b32_e32 v20, 1, v16
	v_add_co_u32 v13, s3, v13, v11
	v_add_co_ci_u32_e64 v14, null, v14, v12, s3
	v_mov_b32_e32 v11, v13
	v_mov_b32_e32 v12, v14
.LBB1349_109:
	s_or_b32 exec_lo, exec_lo, s4
	v_mov_b32_dpp v21, v13 row_shr:8 row_mask:0xf bank_mask:0xf
	v_mov_b32_dpp v22, v14 row_shr:8 row_mask:0xf bank_mask:0xf
	v_mov_b32_dpp v16, v20 row_shr:8 row_mask:0xf bank_mask:0xf
	s_mov_b32 s4, exec_lo
	v_cmpx_lt_u32_e32 7, v15
	s_cbranch_execz .LBB1349_111
; %bb.110:
	v_cmp_eq_u16_e64 s3, 0, v20
	v_or_b32_e32 v15, v16, v20
	v_cndmask_b32_e64 v14, 0, v21, s3
	v_cndmask_b32_e64 v13, 0, v22, s3
	v_and_b32_e32 v20, 1, v15
	v_add_co_u32 v11, s3, v14, v11
	v_add_co_ci_u32_e64 v12, null, v13, v12, s3
	v_mov_b32_e32 v13, v11
	v_mov_b32_e32 v14, v12
.LBB1349_111:
	s_or_b32 exec_lo, exec_lo, s4
	ds_swizzle_b32 v13, v13 offset:swizzle(BROADCAST,32,15)
	ds_swizzle_b32 v14, v14 offset:swizzle(BROADCAST,32,15)
	;; [unrolled: 1-line block ×3, first 2 shown]
	v_and_b32_e32 v15, 16, v19
	v_cmp_ne_u32_e64 s3, 0, v15
	v_mov_b32_e32 v15, v20
	s_and_saveexec_b32 s6, s3
	s_cbranch_execz .LBB1349_113
; %bb.112:
	v_cmp_eq_u16_e64 s3, 0, v20
	v_and_b32_e32 v15, 1, v20
	s_waitcnt lgkmcnt(0)
	v_and_b32_e32 v16, 1, v16
	v_cndmask_b32_e64 v14, 0, v14, s3
	v_cndmask_b32_e64 v13, 0, v13, s3
	v_cmp_eq_u32_e64 s3, 1, v15
	v_cmp_eq_u32_e64 s4, 1, v16
	v_add_co_u32 v11, s5, v13, v11
	s_or_b32 s3, s3, s4
	v_add_co_ci_u32_e64 v12, null, v14, v12, s5
	v_cndmask_b32_e64 v20, 0, 1, s3
	v_cndmask_b32_e64 v15, 0, 1, s3
.LBB1349_113:
	s_or_b32 exec_lo, exec_lo, s6
	s_waitcnt lgkmcnt(2)
	v_or_b32_e32 v13, 31, v0
	s_waitcnt lgkmcnt(0)
	v_lshrrev_b32_e32 v16, 5, v0
	s_mov_b32 s4, exec_lo
	v_cmpx_eq_u32_e64 v0, v13
	s_cbranch_execz .LBB1349_115
; %bb.114:
	v_lshlrev_b32_e32 v13, 4, v16
	ds_write_b64 v13, v[11:12]
	ds_write_b8 v13, v20 offset:8
.LBB1349_115:
	s_or_b32 exec_lo, exec_lo, s4
	s_mov_b32 s6, exec_lo
	s_waitcnt lgkmcnt(0)
	s_barrier
	buffer_gl0_inv
	v_cmpx_gt_u32_e32 8, v0
	s_cbranch_execz .LBB1349_123
; %bb.116:
	v_lshlrev_b32_e32 v20, 4, v0
	v_and_b32_e32 v21, 7, v19
	s_mov_b32 s4, exec_lo
	ds_read_b64 v[13:14], v20
	ds_read_b32 v25, v20 offset:8
	s_waitcnt lgkmcnt(1)
	v_mov_b32_dpp v26, v13 row_shr:1 row_mask:0xf bank_mask:0xf
	v_mov_b32_dpp v27, v14 row_shr:1 row_mask:0xf bank_mask:0xf
	s_waitcnt lgkmcnt(0)
	v_and_b32_e32 v23, 0xffffff00, v25
	v_mov_b32_dpp v28, v25 row_shr:1 row_mask:0xf bank_mask:0xf
	v_mov_b32_e32 v24, v25
	v_mov_b32_e32 v22, v25
	v_cmpx_ne_u32_e32 0, v21
	s_cbranch_execz .LBB1349_118
; %bb.117:
	v_mov_b32_e32 v22, 0
	v_cmp_eq_u16_sdwa s3, v25, v22 src0_sel:BYTE_0 src1_sel:DWORD
	v_or_b32_e32 v22, v28, v25
	v_cndmask_b32_e64 v26, 0, v26, s3
	v_cndmask_b32_e64 v25, 0, v27, s3
	v_and_b32_e32 v24, 1, v22
	v_and_b32_e32 v22, 1, v22
	v_add_co_u32 v13, s3, v26, v13
	v_add_co_ci_u32_e64 v14, null, v25, v14, s3
	v_or_b32_e32 v25, v22, v23
.LBB1349_118:
	s_or_b32 exec_lo, exec_lo, s4
	v_mov_b32_dpp v26, v13 row_shr:2 row_mask:0xf bank_mask:0xf
	v_mov_b32_dpp v27, v14 row_shr:2 row_mask:0xf bank_mask:0xf
	;; [unrolled: 1-line block ×3, first 2 shown]
	s_mov_b32 s7, exec_lo
	v_cmpx_lt_u32_e32 1, v21
	s_cbranch_execz .LBB1349_120
; %bb.119:
	v_mov_b32_e32 v24, 0
	v_and_b32_e32 v25, 1, v22
	v_and_b32_e32 v28, 1, v28
	v_cmp_eq_u16_sdwa s3, v22, v24 src0_sel:BYTE_0 src1_sel:DWORD
	v_cmp_eq_u32_e64 s4, 1, v25
	v_cmp_eq_u32_e64 s5, 1, v28
	v_cndmask_b32_e64 v22, 0, v27, s3
	v_cndmask_b32_e64 v25, 0, v26, s3
	s_or_b32 s3, s4, s5
	v_cndmask_b32_e64 v24, 0, 1, s3
	v_cndmask_b32_e64 v26, 0, 1, s3
	v_add_co_u32 v13, s3, v25, v13
	v_add_co_ci_u32_e64 v14, null, v22, v14, s3
	v_or_b32_e32 v25, v23, v26
	v_mov_b32_e32 v22, v24
.LBB1349_120:
	s_or_b32 exec_lo, exec_lo, s7
	v_mov_b32_dpp v23, v13 row_shr:4 row_mask:0xf bank_mask:0xf
	v_mov_b32_dpp v26, v14 row_shr:4 row_mask:0xf bank_mask:0xf
	;; [unrolled: 1-line block ×3, first 2 shown]
	s_mov_b32 s7, exec_lo
	v_cmpx_lt_u32_e32 3, v21
	s_cbranch_execz .LBB1349_122
; %bb.121:
	v_mov_b32_e32 v21, 0
	v_cmp_eq_u16_sdwa s3, v22, v21 src0_sel:BYTE_0 src1_sel:DWORD
	v_and_b32_e32 v21, 1, v22
	v_and_b32_e32 v22, 1, v25
	v_cndmask_b32_e64 v24, 0, v26, s3
	v_cndmask_b32_e64 v23, 0, v23, s3
	v_cmp_eq_u32_e64 s3, 1, v21
	v_cmp_eq_u32_e64 s4, 1, v22
	v_add_co_u32 v13, s5, v23, v13
	s_or_b32 s3, s3, s4
	v_add_co_ci_u32_e64 v14, null, v24, v14, s5
	v_cndmask_b32_e64 v24, 0, 1, s3
.LBB1349_122:
	s_or_b32 exec_lo, exec_lo, s7
	ds_write_b64 v20, v[13:14]
	ds_write_b8 v20, v24 offset:8
.LBB1349_123:
	s_or_b32 exec_lo, exec_lo, s6
	v_mov_b32_e32 v13, 0
	v_mov_b32_e32 v14, 0
	s_mov_b32 s4, exec_lo
	s_waitcnt lgkmcnt(0)
	s_barrier
	buffer_gl0_inv
	v_cmpx_lt_u32_e32 31, v0
	s_cbranch_execz .LBB1349_125
; %bb.124:
	v_lshl_add_u32 v13, v16, 4, -16
	v_cmp_eq_u32_e64 s3, 0, v15
	ds_read_b64 v[13:14], v13
	s_waitcnt lgkmcnt(0)
	v_cndmask_b32_e64 v16, 0, v13, s3
	v_cndmask_b32_e64 v15, 0, v14, s3
	v_add_co_u32 v11, s3, v16, v11
	v_add_co_ci_u32_e64 v12, null, v15, v12, s3
.LBB1349_125:
	s_or_b32 exec_lo, exec_lo, s4
	v_add_nc_u32_e32 v15, -1, v19
	v_cmp_gt_i32_e64 s3, 0, v15
	v_cndmask_b32_e64 v15, v15, v19, s3
	v_lshlrev_b32_e32 v15, 2, v15
	ds_bpermute_b32 v11, v15, v11
	ds_bpermute_b32 v12, v15, v12
	s_and_saveexec_b32 s3, s1
	s_cbranch_execz .LBB1349_127
; %bb.126:
	v_cmp_eq_u32_e64 s1, 0, v19
	v_mov_b32_e32 v5, 0
	;;#ASMSTART
	;;#ASMEND
	s_waitcnt lgkmcnt(1)
	v_cndmask_b32_e64 v6, v11, v13, s1
	s_waitcnt lgkmcnt(0)
	v_cndmask_b32_e64 v9, v12, v14, s1
	v_cmp_eq_u16_sdwa s1, v18, v5 src0_sel:BYTE_0 src1_sel:DWORD
	v_cndmask_b32_e64 v6, 0, v6, s1
	v_cndmask_b32_e64 v5, 0, v9, s1
	v_add_co_u32 v1, s1, v6, v1
	v_add_co_ci_u32_e64 v2, null, v5, v2, s1
	v_cndmask_b32_e32 v5, 0, v1, vcc_lo
	v_cndmask_b32_e32 v6, 0, v2, vcc_lo
	v_add_co_u32 v5, vcc_lo, v5, v3
	v_add_co_ci_u32_e64 v6, null, v6, v4, vcc_lo
	v_cndmask_b32_e64 v3, 0, v5, s2
	v_cndmask_b32_e64 v4, 0, v6, s2
	v_add_co_u32 v9, vcc_lo, v3, v7
	v_add_co_ci_u32_e64 v10, null, v4, v8, vcc_lo
.LBB1349_127:
	s_or_b32 exec_lo, exec_lo, s3
	s_and_saveexec_b32 s1, s0
	s_cbranch_execz .LBB1349_129
; %bb.128:
	v_mov_b32_e32 v7, 0
	s_waitcnt lgkmcnt(1)
	v_mov_b32_e32 v11, 2
	ds_read_b64 v[3:4], v7 offset:112
	ds_read_u8 v8, v7 offset:120
	s_waitcnt lgkmcnt(1)
	global_store_dwordx2 v7, v[3:4], s[10:11] offset:512
	s_waitcnt lgkmcnt(0)
	global_store_byte v7, v8, s[10:11] offset:520
	s_waitcnt_vscnt null, 0x0
	buffer_gl1_inv
	buffer_gl0_inv
	global_store_byte v7, v11, s[12:13] offset:32
.LBB1349_129:
	s_or_b32 exec_lo, exec_lo, s1
	s_waitcnt lgkmcnt(0)
	v_mov_b32_e32 v12, v2
	v_mov_b32_e32 v11, v1
.LBB1349_130:
	s_add_u32 s0, s22, s16
	s_addc_u32 s1, s23, s17
	s_add_u32 s0, s0, s18
	s_addc_u32 s1, s1, s19
	s_and_b32 vcc_lo, exec_lo, s28
	s_cbranch_vccz .LBB1349_142
; %bb.131:
	v_mov_b32_e32 v7, 0
	v_mov_b32_e32 v8, 0
	;; [unrolled: 1-line block ×4, first 2 shown]
	v_mul_u32_u24_e32 v13, 3, v0
	s_add_i32 s15, s15, s14
	v_mov_b32_e32 v4, v8
	v_mov_b32_e32 v2, v8
	s_mov_b32 s2, exec_lo
	v_cmpx_gt_u32_e64 s15, v13
	s_cbranch_execz .LBB1349_137
; %bb.132:
	v_mov_b32_e32 v1, 0
	v_mov_b32_e32 v3, 0
	v_add_nc_u32_e32 v7, 1, v13
	v_mov_b32_e32 v2, 0
	v_mov_b32_e32 v4, 0
	s_mov_b32 s3, exec_lo
	v_cmpx_gt_u32_e64 s15, v7
	s_cbranch_execz .LBB1349_136
; %bb.133:
	v_mov_b32_e32 v1, 0
	v_add_nc_u32_e32 v3, 2, v13
	v_mov_b32_e32 v2, 0
	s_mov_b32 s4, exec_lo
	v_cmpx_gt_u32_e64 s15, v3
; %bb.134:
	v_mov_b32_e32 v1, v9
	v_mov_b32_e32 v2, v10
; %bb.135:
	s_or_b32 exec_lo, exec_lo, s4
	v_mov_b32_e32 v3, v5
	v_mov_b32_e32 v4, v6
.LBB1349_136:
	s_or_b32 exec_lo, exec_lo, s3
	v_mov_b32_e32 v7, v11
	v_mov_b32_e32 v8, v12
.LBB1349_137:
	s_or_b32 exec_lo, exec_lo, s2
	v_lshlrev_b32_e32 v13, 3, v13
	v_lshlrev_b32_e32 v14, 4, v0
	s_waitcnt_vscnt null, 0x0
	s_barrier
	buffer_gl0_inv
	ds_write2_b64 v13, v[7:8], v[3:4] offset1:1
	v_sub_nc_u32_e32 v3, v13, v14
	ds_write_b64 v13, v[1:2] offset:16
	s_waitcnt lgkmcnt(0)
	s_barrier
	buffer_gl0_inv
	ds_read2st64_b64 v[1:4], v3 offset0:4 offset1:8
	v_add_co_u32 v7, s2, s0, v17
	v_add_co_ci_u32_e64 v8, null, s1, 0, s2
	s_mov_b32 s2, exec_lo
	v_cmpx_gt_u32_e64 s15, v0
	s_cbranch_execz .LBB1349_139
; %bb.138:
	v_sub_nc_u32_e32 v14, 0, v14
	v_add_nc_u32_e32 v13, v13, v14
	ds_read_b64 v[13:14], v13
	s_waitcnt lgkmcnt(0)
	flat_store_dwordx2 v[7:8], v[13:14]
.LBB1349_139:
	s_or_b32 exec_lo, exec_lo, s2
	v_or_b32_e32 v13, 0x100, v0
	s_mov_b32 s2, exec_lo
	v_cmpx_gt_u32_e64 s15, v13
	s_cbranch_execz .LBB1349_141
; %bb.140:
	v_add_co_u32 v7, vcc_lo, 0x800, v7
	v_add_co_ci_u32_e64 v8, null, 0, v8, vcc_lo
	s_waitcnt lgkmcnt(0)
	flat_store_dwordx2 v[7:8], v[1:2]
.LBB1349_141:
	s_or_b32 exec_lo, exec_lo, s2
	s_waitcnt lgkmcnt(0)
	v_or_b32_e32 v1, 0x200, v0
	v_cmp_gt_u32_e64 s2, s15, v1
	s_branch .LBB1349_144
.LBB1349_142:
	s_mov_b32 s2, 0
                                        ; implicit-def: $vgpr3_vgpr4
	s_cbranch_execz .LBB1349_144
; %bb.143:
	v_mul_u32_u24_e32 v1, 24, v0
	v_lshlrev_b32_e32 v2, 4, v0
	s_waitcnt_vscnt null, 0x0
	s_barrier
	buffer_gl0_inv
	ds_write2_b64 v1, v[11:12], v[5:6] offset1:1
	v_sub_nc_u32_e32 v2, v1, v2
	ds_write_b64 v1, v[9:10] offset:16
	s_waitcnt lgkmcnt(0)
	s_barrier
	buffer_gl0_inv
	ds_read2st64_b64 v[5:8], v2 offset1:4
	ds_read_b64 v[3:4], v2 offset:4096
	v_add_co_u32 v1, s3, s0, v17
	v_add_co_ci_u32_e64 v2, null, s1, 0, s3
	s_or_b32 s2, s2, exec_lo
	v_add_co_u32 v9, vcc_lo, 0x800, v1
	v_add_co_ci_u32_e64 v10, null, 0, v2, vcc_lo
	s_waitcnt lgkmcnt(1)
	flat_store_dwordx2 v[1:2], v[5:6]
	flat_store_dwordx2 v[9:10], v[7:8]
.LBB1349_144:
	s_and_saveexec_b32 s3, s2
	s_cbranch_execnz .LBB1349_146
; %bb.145:
	s_endpgm
.LBB1349_146:
	v_lshlrev_b32_e32 v0, 3, v0
	v_add_co_u32 v0, s0, s0, v0
	v_add_co_ci_u32_e64 v1, null, s1, 0, s0
	v_add_co_u32 v0, vcc_lo, 0x1000, v0
	v_add_co_ci_u32_e64 v1, null, 0, v1, vcc_lo
	s_waitcnt lgkmcnt(2)
	flat_store_dwordx2 v[0:1], v[3:4]
	s_endpgm
.LBB1349_147:
	v_add_co_u32 v2, s4, s5, v14
	v_add_co_ci_u32_e64 v3, null, s29, 0, s4
	v_mov_b32_e32 v16, v1
	v_mov_b32_e32 v17, v1
	;; [unrolled: 1-line block ×3, first 2 shown]
	flat_load_dwordx2 v[14:15], v[2:3]
	v_mov_b32_e32 v19, v1
	s_waitcnt vmcnt(0) lgkmcnt(0)
	v_mov_b32_e32 v1, v14
	v_mov_b32_e32 v2, v15
	;; [unrolled: 1-line block ×6, first 2 shown]
	s_or_b32 exec_lo, exec_lo, s24
	s_and_saveexec_b32 s4, s3
	s_cbranch_execz .LBB1349_19
.LBB1349_148:
	v_lshlrev_b32_e32 v3, 3, v11
	v_add_co_u32 v3, s3, s5, v3
	v_add_co_ci_u32_e64 v4, null, s29, 0, s3
	flat_load_dwordx2 v[3:4], v[3:4]
	s_or_b32 exec_lo, exec_lo, s4
	s_and_saveexec_b32 s3, s2
	s_cbranch_execnz .LBB1349_20
	s_branch .LBB1349_21
.LBB1349_149:
                                        ; implicit-def: $sgpr24_sgpr25
	s_branch .LBB1349_14
.LBB1349_150:
                                        ; implicit-def: $sgpr2_sgpr3
	s_branch .LBB1349_30
	.section	.rodata,"a",@progbits
	.p2align	6, 0x0
	.amdhsa_kernel _ZN7rocprim17ROCPRIM_400000_NS6detail17trampoline_kernelINS0_14default_configENS1_27scan_by_key_config_selectorIixEEZZNS1_16scan_by_key_implILNS1_25lookback_scan_determinismE0ELb0ES3_N6thrust23THRUST_200600_302600_NS6detail15normal_iteratorINS9_10device_ptrIiEEEENSB_INSC_IxEEEESG_xNS9_4plusIvEENS9_8equal_toIvEExEE10hipError_tPvRmT2_T3_T4_T5_mT6_T7_P12ihipStream_tbENKUlT_T0_E_clISt17integral_constantIbLb0EES10_IbLb1EEEEDaSW_SX_EUlSW_E_NS1_11comp_targetILNS1_3genE8ELNS1_11target_archE1030ELNS1_3gpuE2ELNS1_3repE0EEENS1_30default_config_static_selectorELNS0_4arch9wavefront6targetE0EEEvT1_
		.amdhsa_group_segment_fixed_size 6144
		.amdhsa_private_segment_fixed_size 0
		.amdhsa_kernarg_size 136
		.amdhsa_user_sgpr_count 6
		.amdhsa_user_sgpr_private_segment_buffer 1
		.amdhsa_user_sgpr_dispatch_ptr 0
		.amdhsa_user_sgpr_queue_ptr 0
		.amdhsa_user_sgpr_kernarg_segment_ptr 1
		.amdhsa_user_sgpr_dispatch_id 0
		.amdhsa_user_sgpr_flat_scratch_init 0
		.amdhsa_user_sgpr_private_segment_size 0
		.amdhsa_wavefront_size32 1
		.amdhsa_uses_dynamic_stack 0
		.amdhsa_system_sgpr_private_segment_wavefront_offset 0
		.amdhsa_system_sgpr_workgroup_id_x 1
		.amdhsa_system_sgpr_workgroup_id_y 0
		.amdhsa_system_sgpr_workgroup_id_z 0
		.amdhsa_system_sgpr_workgroup_info 0
		.amdhsa_system_vgpr_workitem_id 0
		.amdhsa_next_free_vgpr 48
		.amdhsa_next_free_sgpr 39
		.amdhsa_reserve_vcc 1
		.amdhsa_reserve_flat_scratch 1
		.amdhsa_float_round_mode_32 0
		.amdhsa_float_round_mode_16_64 0
		.amdhsa_float_denorm_mode_32 3
		.amdhsa_float_denorm_mode_16_64 3
		.amdhsa_dx10_clamp 1
		.amdhsa_ieee_mode 1
		.amdhsa_fp16_overflow 0
		.amdhsa_workgroup_processor_mode 1
		.amdhsa_memory_ordered 1
		.amdhsa_forward_progress 1
		.amdhsa_shared_vgpr_count 0
		.amdhsa_exception_fp_ieee_invalid_op 0
		.amdhsa_exception_fp_denorm_src 0
		.amdhsa_exception_fp_ieee_div_zero 0
		.amdhsa_exception_fp_ieee_overflow 0
		.amdhsa_exception_fp_ieee_underflow 0
		.amdhsa_exception_fp_ieee_inexact 0
		.amdhsa_exception_int_div_zero 0
	.end_amdhsa_kernel
	.section	.text._ZN7rocprim17ROCPRIM_400000_NS6detail17trampoline_kernelINS0_14default_configENS1_27scan_by_key_config_selectorIixEEZZNS1_16scan_by_key_implILNS1_25lookback_scan_determinismE0ELb0ES3_N6thrust23THRUST_200600_302600_NS6detail15normal_iteratorINS9_10device_ptrIiEEEENSB_INSC_IxEEEESG_xNS9_4plusIvEENS9_8equal_toIvEExEE10hipError_tPvRmT2_T3_T4_T5_mT6_T7_P12ihipStream_tbENKUlT_T0_E_clISt17integral_constantIbLb0EES10_IbLb1EEEEDaSW_SX_EUlSW_E_NS1_11comp_targetILNS1_3genE8ELNS1_11target_archE1030ELNS1_3gpuE2ELNS1_3repE0EEENS1_30default_config_static_selectorELNS0_4arch9wavefront6targetE0EEEvT1_,"axG",@progbits,_ZN7rocprim17ROCPRIM_400000_NS6detail17trampoline_kernelINS0_14default_configENS1_27scan_by_key_config_selectorIixEEZZNS1_16scan_by_key_implILNS1_25lookback_scan_determinismE0ELb0ES3_N6thrust23THRUST_200600_302600_NS6detail15normal_iteratorINS9_10device_ptrIiEEEENSB_INSC_IxEEEESG_xNS9_4plusIvEENS9_8equal_toIvEExEE10hipError_tPvRmT2_T3_T4_T5_mT6_T7_P12ihipStream_tbENKUlT_T0_E_clISt17integral_constantIbLb0EES10_IbLb1EEEEDaSW_SX_EUlSW_E_NS1_11comp_targetILNS1_3genE8ELNS1_11target_archE1030ELNS1_3gpuE2ELNS1_3repE0EEENS1_30default_config_static_selectorELNS0_4arch9wavefront6targetE0EEEvT1_,comdat
.Lfunc_end1349:
	.size	_ZN7rocprim17ROCPRIM_400000_NS6detail17trampoline_kernelINS0_14default_configENS1_27scan_by_key_config_selectorIixEEZZNS1_16scan_by_key_implILNS1_25lookback_scan_determinismE0ELb0ES3_N6thrust23THRUST_200600_302600_NS6detail15normal_iteratorINS9_10device_ptrIiEEEENSB_INSC_IxEEEESG_xNS9_4plusIvEENS9_8equal_toIvEExEE10hipError_tPvRmT2_T3_T4_T5_mT6_T7_P12ihipStream_tbENKUlT_T0_E_clISt17integral_constantIbLb0EES10_IbLb1EEEEDaSW_SX_EUlSW_E_NS1_11comp_targetILNS1_3genE8ELNS1_11target_archE1030ELNS1_3gpuE2ELNS1_3repE0EEENS1_30default_config_static_selectorELNS0_4arch9wavefront6targetE0EEEvT1_, .Lfunc_end1349-_ZN7rocprim17ROCPRIM_400000_NS6detail17trampoline_kernelINS0_14default_configENS1_27scan_by_key_config_selectorIixEEZZNS1_16scan_by_key_implILNS1_25lookback_scan_determinismE0ELb0ES3_N6thrust23THRUST_200600_302600_NS6detail15normal_iteratorINS9_10device_ptrIiEEEENSB_INSC_IxEEEESG_xNS9_4plusIvEENS9_8equal_toIvEExEE10hipError_tPvRmT2_T3_T4_T5_mT6_T7_P12ihipStream_tbENKUlT_T0_E_clISt17integral_constantIbLb0EES10_IbLb1EEEEDaSW_SX_EUlSW_E_NS1_11comp_targetILNS1_3genE8ELNS1_11target_archE1030ELNS1_3gpuE2ELNS1_3repE0EEENS1_30default_config_static_selectorELNS0_4arch9wavefront6targetE0EEEvT1_
                                        ; -- End function
	.set _ZN7rocprim17ROCPRIM_400000_NS6detail17trampoline_kernelINS0_14default_configENS1_27scan_by_key_config_selectorIixEEZZNS1_16scan_by_key_implILNS1_25lookback_scan_determinismE0ELb0ES3_N6thrust23THRUST_200600_302600_NS6detail15normal_iteratorINS9_10device_ptrIiEEEENSB_INSC_IxEEEESG_xNS9_4plusIvEENS9_8equal_toIvEExEE10hipError_tPvRmT2_T3_T4_T5_mT6_T7_P12ihipStream_tbENKUlT_T0_E_clISt17integral_constantIbLb0EES10_IbLb1EEEEDaSW_SX_EUlSW_E_NS1_11comp_targetILNS1_3genE8ELNS1_11target_archE1030ELNS1_3gpuE2ELNS1_3repE0EEENS1_30default_config_static_selectorELNS0_4arch9wavefront6targetE0EEEvT1_.num_vgpr, 48
	.set _ZN7rocprim17ROCPRIM_400000_NS6detail17trampoline_kernelINS0_14default_configENS1_27scan_by_key_config_selectorIixEEZZNS1_16scan_by_key_implILNS1_25lookback_scan_determinismE0ELb0ES3_N6thrust23THRUST_200600_302600_NS6detail15normal_iteratorINS9_10device_ptrIiEEEENSB_INSC_IxEEEESG_xNS9_4plusIvEENS9_8equal_toIvEExEE10hipError_tPvRmT2_T3_T4_T5_mT6_T7_P12ihipStream_tbENKUlT_T0_E_clISt17integral_constantIbLb0EES10_IbLb1EEEEDaSW_SX_EUlSW_E_NS1_11comp_targetILNS1_3genE8ELNS1_11target_archE1030ELNS1_3gpuE2ELNS1_3repE0EEENS1_30default_config_static_selectorELNS0_4arch9wavefront6targetE0EEEvT1_.num_agpr, 0
	.set _ZN7rocprim17ROCPRIM_400000_NS6detail17trampoline_kernelINS0_14default_configENS1_27scan_by_key_config_selectorIixEEZZNS1_16scan_by_key_implILNS1_25lookback_scan_determinismE0ELb0ES3_N6thrust23THRUST_200600_302600_NS6detail15normal_iteratorINS9_10device_ptrIiEEEENSB_INSC_IxEEEESG_xNS9_4plusIvEENS9_8equal_toIvEExEE10hipError_tPvRmT2_T3_T4_T5_mT6_T7_P12ihipStream_tbENKUlT_T0_E_clISt17integral_constantIbLb0EES10_IbLb1EEEEDaSW_SX_EUlSW_E_NS1_11comp_targetILNS1_3genE8ELNS1_11target_archE1030ELNS1_3gpuE2ELNS1_3repE0EEENS1_30default_config_static_selectorELNS0_4arch9wavefront6targetE0EEEvT1_.numbered_sgpr, 39
	.set _ZN7rocprim17ROCPRIM_400000_NS6detail17trampoline_kernelINS0_14default_configENS1_27scan_by_key_config_selectorIixEEZZNS1_16scan_by_key_implILNS1_25lookback_scan_determinismE0ELb0ES3_N6thrust23THRUST_200600_302600_NS6detail15normal_iteratorINS9_10device_ptrIiEEEENSB_INSC_IxEEEESG_xNS9_4plusIvEENS9_8equal_toIvEExEE10hipError_tPvRmT2_T3_T4_T5_mT6_T7_P12ihipStream_tbENKUlT_T0_E_clISt17integral_constantIbLb0EES10_IbLb1EEEEDaSW_SX_EUlSW_E_NS1_11comp_targetILNS1_3genE8ELNS1_11target_archE1030ELNS1_3gpuE2ELNS1_3repE0EEENS1_30default_config_static_selectorELNS0_4arch9wavefront6targetE0EEEvT1_.num_named_barrier, 0
	.set _ZN7rocprim17ROCPRIM_400000_NS6detail17trampoline_kernelINS0_14default_configENS1_27scan_by_key_config_selectorIixEEZZNS1_16scan_by_key_implILNS1_25lookback_scan_determinismE0ELb0ES3_N6thrust23THRUST_200600_302600_NS6detail15normal_iteratorINS9_10device_ptrIiEEEENSB_INSC_IxEEEESG_xNS9_4plusIvEENS9_8equal_toIvEExEE10hipError_tPvRmT2_T3_T4_T5_mT6_T7_P12ihipStream_tbENKUlT_T0_E_clISt17integral_constantIbLb0EES10_IbLb1EEEEDaSW_SX_EUlSW_E_NS1_11comp_targetILNS1_3genE8ELNS1_11target_archE1030ELNS1_3gpuE2ELNS1_3repE0EEENS1_30default_config_static_selectorELNS0_4arch9wavefront6targetE0EEEvT1_.private_seg_size, 0
	.set _ZN7rocprim17ROCPRIM_400000_NS6detail17trampoline_kernelINS0_14default_configENS1_27scan_by_key_config_selectorIixEEZZNS1_16scan_by_key_implILNS1_25lookback_scan_determinismE0ELb0ES3_N6thrust23THRUST_200600_302600_NS6detail15normal_iteratorINS9_10device_ptrIiEEEENSB_INSC_IxEEEESG_xNS9_4plusIvEENS9_8equal_toIvEExEE10hipError_tPvRmT2_T3_T4_T5_mT6_T7_P12ihipStream_tbENKUlT_T0_E_clISt17integral_constantIbLb0EES10_IbLb1EEEEDaSW_SX_EUlSW_E_NS1_11comp_targetILNS1_3genE8ELNS1_11target_archE1030ELNS1_3gpuE2ELNS1_3repE0EEENS1_30default_config_static_selectorELNS0_4arch9wavefront6targetE0EEEvT1_.uses_vcc, 1
	.set _ZN7rocprim17ROCPRIM_400000_NS6detail17trampoline_kernelINS0_14default_configENS1_27scan_by_key_config_selectorIixEEZZNS1_16scan_by_key_implILNS1_25lookback_scan_determinismE0ELb0ES3_N6thrust23THRUST_200600_302600_NS6detail15normal_iteratorINS9_10device_ptrIiEEEENSB_INSC_IxEEEESG_xNS9_4plusIvEENS9_8equal_toIvEExEE10hipError_tPvRmT2_T3_T4_T5_mT6_T7_P12ihipStream_tbENKUlT_T0_E_clISt17integral_constantIbLb0EES10_IbLb1EEEEDaSW_SX_EUlSW_E_NS1_11comp_targetILNS1_3genE8ELNS1_11target_archE1030ELNS1_3gpuE2ELNS1_3repE0EEENS1_30default_config_static_selectorELNS0_4arch9wavefront6targetE0EEEvT1_.uses_flat_scratch, 1
	.set _ZN7rocprim17ROCPRIM_400000_NS6detail17trampoline_kernelINS0_14default_configENS1_27scan_by_key_config_selectorIixEEZZNS1_16scan_by_key_implILNS1_25lookback_scan_determinismE0ELb0ES3_N6thrust23THRUST_200600_302600_NS6detail15normal_iteratorINS9_10device_ptrIiEEEENSB_INSC_IxEEEESG_xNS9_4plusIvEENS9_8equal_toIvEExEE10hipError_tPvRmT2_T3_T4_T5_mT6_T7_P12ihipStream_tbENKUlT_T0_E_clISt17integral_constantIbLb0EES10_IbLb1EEEEDaSW_SX_EUlSW_E_NS1_11comp_targetILNS1_3genE8ELNS1_11target_archE1030ELNS1_3gpuE2ELNS1_3repE0EEENS1_30default_config_static_selectorELNS0_4arch9wavefront6targetE0EEEvT1_.has_dyn_sized_stack, 0
	.set _ZN7rocprim17ROCPRIM_400000_NS6detail17trampoline_kernelINS0_14default_configENS1_27scan_by_key_config_selectorIixEEZZNS1_16scan_by_key_implILNS1_25lookback_scan_determinismE0ELb0ES3_N6thrust23THRUST_200600_302600_NS6detail15normal_iteratorINS9_10device_ptrIiEEEENSB_INSC_IxEEEESG_xNS9_4plusIvEENS9_8equal_toIvEExEE10hipError_tPvRmT2_T3_T4_T5_mT6_T7_P12ihipStream_tbENKUlT_T0_E_clISt17integral_constantIbLb0EES10_IbLb1EEEEDaSW_SX_EUlSW_E_NS1_11comp_targetILNS1_3genE8ELNS1_11target_archE1030ELNS1_3gpuE2ELNS1_3repE0EEENS1_30default_config_static_selectorELNS0_4arch9wavefront6targetE0EEEvT1_.has_recursion, 0
	.set _ZN7rocprim17ROCPRIM_400000_NS6detail17trampoline_kernelINS0_14default_configENS1_27scan_by_key_config_selectorIixEEZZNS1_16scan_by_key_implILNS1_25lookback_scan_determinismE0ELb0ES3_N6thrust23THRUST_200600_302600_NS6detail15normal_iteratorINS9_10device_ptrIiEEEENSB_INSC_IxEEEESG_xNS9_4plusIvEENS9_8equal_toIvEExEE10hipError_tPvRmT2_T3_T4_T5_mT6_T7_P12ihipStream_tbENKUlT_T0_E_clISt17integral_constantIbLb0EES10_IbLb1EEEEDaSW_SX_EUlSW_E_NS1_11comp_targetILNS1_3genE8ELNS1_11target_archE1030ELNS1_3gpuE2ELNS1_3repE0EEENS1_30default_config_static_selectorELNS0_4arch9wavefront6targetE0EEEvT1_.has_indirect_call, 0
	.section	.AMDGPU.csdata,"",@progbits
; Kernel info:
; codeLenInByte = 7620
; TotalNumSgprs: 41
; NumVgprs: 48
; ScratchSize: 0
; MemoryBound: 0
; FloatMode: 240
; IeeeMode: 1
; LDSByteSize: 6144 bytes/workgroup (compile time only)
; SGPRBlocks: 0
; VGPRBlocks: 5
; NumSGPRsForWavesPerEU: 41
; NumVGPRsForWavesPerEU: 48
; Occupancy: 16
; WaveLimiterHint : 1
; COMPUTE_PGM_RSRC2:SCRATCH_EN: 0
; COMPUTE_PGM_RSRC2:USER_SGPR: 6
; COMPUTE_PGM_RSRC2:TRAP_HANDLER: 0
; COMPUTE_PGM_RSRC2:TGID_X_EN: 1
; COMPUTE_PGM_RSRC2:TGID_Y_EN: 0
; COMPUTE_PGM_RSRC2:TGID_Z_EN: 0
; COMPUTE_PGM_RSRC2:TIDIG_COMP_CNT: 0
	.section	.text._ZN6thrust23THRUST_200600_302600_NS11hip_rocprim14__parallel_for6kernelILj256ENS1_11__transform17unary_transform_fINS0_7pointerIiNS1_3tagENS0_11use_defaultES8_EENS0_10device_ptrIsEENS4_14no_stencil_tagENS0_8identityIiEENS4_21always_true_predicateEEElLj1EEEvT0_T1_SI_,"axG",@progbits,_ZN6thrust23THRUST_200600_302600_NS11hip_rocprim14__parallel_for6kernelILj256ENS1_11__transform17unary_transform_fINS0_7pointerIiNS1_3tagENS0_11use_defaultES8_EENS0_10device_ptrIsEENS4_14no_stencil_tagENS0_8identityIiEENS4_21always_true_predicateEEElLj1EEEvT0_T1_SI_,comdat
	.protected	_ZN6thrust23THRUST_200600_302600_NS11hip_rocprim14__parallel_for6kernelILj256ENS1_11__transform17unary_transform_fINS0_7pointerIiNS1_3tagENS0_11use_defaultES8_EENS0_10device_ptrIsEENS4_14no_stencil_tagENS0_8identityIiEENS4_21always_true_predicateEEElLj1EEEvT0_T1_SI_ ; -- Begin function _ZN6thrust23THRUST_200600_302600_NS11hip_rocprim14__parallel_for6kernelILj256ENS1_11__transform17unary_transform_fINS0_7pointerIiNS1_3tagENS0_11use_defaultES8_EENS0_10device_ptrIsEENS4_14no_stencil_tagENS0_8identityIiEENS4_21always_true_predicateEEElLj1EEEvT0_T1_SI_
	.globl	_ZN6thrust23THRUST_200600_302600_NS11hip_rocprim14__parallel_for6kernelILj256ENS1_11__transform17unary_transform_fINS0_7pointerIiNS1_3tagENS0_11use_defaultES8_EENS0_10device_ptrIsEENS4_14no_stencil_tagENS0_8identityIiEENS4_21always_true_predicateEEElLj1EEEvT0_T1_SI_
	.p2align	8
	.type	_ZN6thrust23THRUST_200600_302600_NS11hip_rocprim14__parallel_for6kernelILj256ENS1_11__transform17unary_transform_fINS0_7pointerIiNS1_3tagENS0_11use_defaultES8_EENS0_10device_ptrIsEENS4_14no_stencil_tagENS0_8identityIiEENS4_21always_true_predicateEEElLj1EEEvT0_T1_SI_,@function
_ZN6thrust23THRUST_200600_302600_NS11hip_rocprim14__parallel_for6kernelILj256ENS1_11__transform17unary_transform_fINS0_7pointerIiNS1_3tagENS0_11use_defaultES8_EENS0_10device_ptrIsEENS4_14no_stencil_tagENS0_8identityIiEENS4_21always_true_predicateEEElLj1EEEvT0_T1_SI_: ; @_ZN6thrust23THRUST_200600_302600_NS11hip_rocprim14__parallel_for6kernelILj256ENS1_11__transform17unary_transform_fINS0_7pointerIiNS1_3tagENS0_11use_defaultES8_EENS0_10device_ptrIsEENS4_14no_stencil_tagENS0_8identityIiEENS4_21always_true_predicateEEElLj1EEEvT0_T1_SI_
; %bb.0:
	s_clause 0x1
	s_load_dwordx4 s[8:11], s[4:5], 0x18
	s_load_dwordx4 s[0:3], s[4:5], 0x0
	s_lshl_b32 s4, s6, 8
	s_waitcnt lgkmcnt(0)
	s_add_u32 s4, s10, s4
	s_addc_u32 s5, s11, 0
	s_sub_u32 s6, s8, s4
	s_subb_u32 s7, s9, s5
	v_cmp_gt_i64_e64 s7, 0x100, s[6:7]
	s_and_b32 s7, s7, exec_lo
	s_cselect_b32 s7, s6, 0x100
	s_mov_b32 s6, -1
	s_cmpk_eq_i32 s7, 0x100
	s_cbranch_scc0 .LBB1350_3
; %bb.1:
	s_andn2_b32 vcc_lo, exec_lo, s6
	s_cbranch_vccz .LBB1350_6
.LBB1350_2:
	s_endpgm
.LBB1350_3:
	s_mov_b32 s6, exec_lo
	v_cmpx_gt_u32_e64 s7, v0
	s_cbranch_execz .LBB1350_5
; %bb.4:
	v_add_co_u32 v1, s7, s4, v0
	v_add_co_ci_u32_e64 v2, null, s5, 0, s7
	v_lshlrev_b64 v[3:4], 2, v[1:2]
	v_lshlrev_b64 v[1:2], 1, v[1:2]
	v_add_co_u32 v3, vcc_lo, s0, v3
	v_add_co_ci_u32_e64 v4, null, s1, v4, vcc_lo
	v_add_co_u32 v1, vcc_lo, s2, v1
	v_add_co_ci_u32_e64 v2, null, s3, v2, vcc_lo
	flat_load_dword v3, v[3:4]
	s_waitcnt vmcnt(0) lgkmcnt(0)
	flat_store_short v[1:2], v3
.LBB1350_5:
	s_or_b32 exec_lo, exec_lo, s6
	s_cbranch_execnz .LBB1350_2
.LBB1350_6:
	v_add_co_u32 v0, s4, s4, v0
	v_add_co_ci_u32_e64 v1, null, s5, 0, s4
	v_lshlrev_b64 v[2:3], 2, v[0:1]
	v_lshlrev_b64 v[0:1], 1, v[0:1]
	v_add_co_u32 v2, vcc_lo, s0, v2
	v_add_co_ci_u32_e64 v3, null, s1, v3, vcc_lo
	v_add_co_u32 v0, vcc_lo, s2, v0
	v_add_co_ci_u32_e64 v1, null, s3, v1, vcc_lo
	flat_load_dword v2, v[2:3]
	s_waitcnt vmcnt(0) lgkmcnt(0)
	flat_store_short v[0:1], v2
	s_endpgm
	.section	.rodata,"a",@progbits
	.p2align	6, 0x0
	.amdhsa_kernel _ZN6thrust23THRUST_200600_302600_NS11hip_rocprim14__parallel_for6kernelILj256ENS1_11__transform17unary_transform_fINS0_7pointerIiNS1_3tagENS0_11use_defaultES8_EENS0_10device_ptrIsEENS4_14no_stencil_tagENS0_8identityIiEENS4_21always_true_predicateEEElLj1EEEvT0_T1_SI_
		.amdhsa_group_segment_fixed_size 0
		.amdhsa_private_segment_fixed_size 0
		.amdhsa_kernarg_size 40
		.amdhsa_user_sgpr_count 6
		.amdhsa_user_sgpr_private_segment_buffer 1
		.amdhsa_user_sgpr_dispatch_ptr 0
		.amdhsa_user_sgpr_queue_ptr 0
		.amdhsa_user_sgpr_kernarg_segment_ptr 1
		.amdhsa_user_sgpr_dispatch_id 0
		.amdhsa_user_sgpr_flat_scratch_init 0
		.amdhsa_user_sgpr_private_segment_size 0
		.amdhsa_wavefront_size32 1
		.amdhsa_uses_dynamic_stack 0
		.amdhsa_system_sgpr_private_segment_wavefront_offset 0
		.amdhsa_system_sgpr_workgroup_id_x 1
		.amdhsa_system_sgpr_workgroup_id_y 0
		.amdhsa_system_sgpr_workgroup_id_z 0
		.amdhsa_system_sgpr_workgroup_info 0
		.amdhsa_system_vgpr_workitem_id 0
		.amdhsa_next_free_vgpr 5
		.amdhsa_next_free_sgpr 12
		.amdhsa_reserve_vcc 1
		.amdhsa_reserve_flat_scratch 0
		.amdhsa_float_round_mode_32 0
		.amdhsa_float_round_mode_16_64 0
		.amdhsa_float_denorm_mode_32 3
		.amdhsa_float_denorm_mode_16_64 3
		.amdhsa_dx10_clamp 1
		.amdhsa_ieee_mode 1
		.amdhsa_fp16_overflow 0
		.amdhsa_workgroup_processor_mode 1
		.amdhsa_memory_ordered 1
		.amdhsa_forward_progress 1
		.amdhsa_shared_vgpr_count 0
		.amdhsa_exception_fp_ieee_invalid_op 0
		.amdhsa_exception_fp_denorm_src 0
		.amdhsa_exception_fp_ieee_div_zero 0
		.amdhsa_exception_fp_ieee_overflow 0
		.amdhsa_exception_fp_ieee_underflow 0
		.amdhsa_exception_fp_ieee_inexact 0
		.amdhsa_exception_int_div_zero 0
	.end_amdhsa_kernel
	.section	.text._ZN6thrust23THRUST_200600_302600_NS11hip_rocprim14__parallel_for6kernelILj256ENS1_11__transform17unary_transform_fINS0_7pointerIiNS1_3tagENS0_11use_defaultES8_EENS0_10device_ptrIsEENS4_14no_stencil_tagENS0_8identityIiEENS4_21always_true_predicateEEElLj1EEEvT0_T1_SI_,"axG",@progbits,_ZN6thrust23THRUST_200600_302600_NS11hip_rocprim14__parallel_for6kernelILj256ENS1_11__transform17unary_transform_fINS0_7pointerIiNS1_3tagENS0_11use_defaultES8_EENS0_10device_ptrIsEENS4_14no_stencil_tagENS0_8identityIiEENS4_21always_true_predicateEEElLj1EEEvT0_T1_SI_,comdat
.Lfunc_end1350:
	.size	_ZN6thrust23THRUST_200600_302600_NS11hip_rocprim14__parallel_for6kernelILj256ENS1_11__transform17unary_transform_fINS0_7pointerIiNS1_3tagENS0_11use_defaultES8_EENS0_10device_ptrIsEENS4_14no_stencil_tagENS0_8identityIiEENS4_21always_true_predicateEEElLj1EEEvT0_T1_SI_, .Lfunc_end1350-_ZN6thrust23THRUST_200600_302600_NS11hip_rocprim14__parallel_for6kernelILj256ENS1_11__transform17unary_transform_fINS0_7pointerIiNS1_3tagENS0_11use_defaultES8_EENS0_10device_ptrIsEENS4_14no_stencil_tagENS0_8identityIiEENS4_21always_true_predicateEEElLj1EEEvT0_T1_SI_
                                        ; -- End function
	.set _ZN6thrust23THRUST_200600_302600_NS11hip_rocprim14__parallel_for6kernelILj256ENS1_11__transform17unary_transform_fINS0_7pointerIiNS1_3tagENS0_11use_defaultES8_EENS0_10device_ptrIsEENS4_14no_stencil_tagENS0_8identityIiEENS4_21always_true_predicateEEElLj1EEEvT0_T1_SI_.num_vgpr, 5
	.set _ZN6thrust23THRUST_200600_302600_NS11hip_rocprim14__parallel_for6kernelILj256ENS1_11__transform17unary_transform_fINS0_7pointerIiNS1_3tagENS0_11use_defaultES8_EENS0_10device_ptrIsEENS4_14no_stencil_tagENS0_8identityIiEENS4_21always_true_predicateEEElLj1EEEvT0_T1_SI_.num_agpr, 0
	.set _ZN6thrust23THRUST_200600_302600_NS11hip_rocprim14__parallel_for6kernelILj256ENS1_11__transform17unary_transform_fINS0_7pointerIiNS1_3tagENS0_11use_defaultES8_EENS0_10device_ptrIsEENS4_14no_stencil_tagENS0_8identityIiEENS4_21always_true_predicateEEElLj1EEEvT0_T1_SI_.numbered_sgpr, 12
	.set _ZN6thrust23THRUST_200600_302600_NS11hip_rocprim14__parallel_for6kernelILj256ENS1_11__transform17unary_transform_fINS0_7pointerIiNS1_3tagENS0_11use_defaultES8_EENS0_10device_ptrIsEENS4_14no_stencil_tagENS0_8identityIiEENS4_21always_true_predicateEEElLj1EEEvT0_T1_SI_.num_named_barrier, 0
	.set _ZN6thrust23THRUST_200600_302600_NS11hip_rocprim14__parallel_for6kernelILj256ENS1_11__transform17unary_transform_fINS0_7pointerIiNS1_3tagENS0_11use_defaultES8_EENS0_10device_ptrIsEENS4_14no_stencil_tagENS0_8identityIiEENS4_21always_true_predicateEEElLj1EEEvT0_T1_SI_.private_seg_size, 0
	.set _ZN6thrust23THRUST_200600_302600_NS11hip_rocprim14__parallel_for6kernelILj256ENS1_11__transform17unary_transform_fINS0_7pointerIiNS1_3tagENS0_11use_defaultES8_EENS0_10device_ptrIsEENS4_14no_stencil_tagENS0_8identityIiEENS4_21always_true_predicateEEElLj1EEEvT0_T1_SI_.uses_vcc, 1
	.set _ZN6thrust23THRUST_200600_302600_NS11hip_rocprim14__parallel_for6kernelILj256ENS1_11__transform17unary_transform_fINS0_7pointerIiNS1_3tagENS0_11use_defaultES8_EENS0_10device_ptrIsEENS4_14no_stencil_tagENS0_8identityIiEENS4_21always_true_predicateEEElLj1EEEvT0_T1_SI_.uses_flat_scratch, 0
	.set _ZN6thrust23THRUST_200600_302600_NS11hip_rocprim14__parallel_for6kernelILj256ENS1_11__transform17unary_transform_fINS0_7pointerIiNS1_3tagENS0_11use_defaultES8_EENS0_10device_ptrIsEENS4_14no_stencil_tagENS0_8identityIiEENS4_21always_true_predicateEEElLj1EEEvT0_T1_SI_.has_dyn_sized_stack, 0
	.set _ZN6thrust23THRUST_200600_302600_NS11hip_rocprim14__parallel_for6kernelILj256ENS1_11__transform17unary_transform_fINS0_7pointerIiNS1_3tagENS0_11use_defaultES8_EENS0_10device_ptrIsEENS4_14no_stencil_tagENS0_8identityIiEENS4_21always_true_predicateEEElLj1EEEvT0_T1_SI_.has_recursion, 0
	.set _ZN6thrust23THRUST_200600_302600_NS11hip_rocprim14__parallel_for6kernelILj256ENS1_11__transform17unary_transform_fINS0_7pointerIiNS1_3tagENS0_11use_defaultES8_EENS0_10device_ptrIsEENS4_14no_stencil_tagENS0_8identityIiEENS4_21always_true_predicateEEElLj1EEEvT0_T1_SI_.has_indirect_call, 0
	.section	.AMDGPU.csdata,"",@progbits
; Kernel info:
; codeLenInByte = 288
; TotalNumSgprs: 14
; NumVgprs: 5
; ScratchSize: 0
; MemoryBound: 0
; FloatMode: 240
; IeeeMode: 1
; LDSByteSize: 0 bytes/workgroup (compile time only)
; SGPRBlocks: 0
; VGPRBlocks: 0
; NumSGPRsForWavesPerEU: 14
; NumVGPRsForWavesPerEU: 5
; Occupancy: 16
; WaveLimiterHint : 0
; COMPUTE_PGM_RSRC2:SCRATCH_EN: 0
; COMPUTE_PGM_RSRC2:USER_SGPR: 6
; COMPUTE_PGM_RSRC2:TRAP_HANDLER: 0
; COMPUTE_PGM_RSRC2:TGID_X_EN: 1
; COMPUTE_PGM_RSRC2:TGID_Y_EN: 0
; COMPUTE_PGM_RSRC2:TGID_Z_EN: 0
; COMPUTE_PGM_RSRC2:TIDIG_COMP_CNT: 0
	.section	.text._ZN7rocprim17ROCPRIM_400000_NS6detail30init_device_scan_by_key_kernelINS1_19lookback_scan_stateINS0_5tupleIJsbEEELb0ELb1EEEN6thrust23THRUST_200600_302600_NS6detail15normal_iteratorINS8_10device_ptrIiEEEEjNS1_16block_id_wrapperIjLb0EEEEEvT_jjPNSG_10value_typeET0_PNSt15iterator_traitsISJ_E10value_typeEmT1_T2_,"axG",@progbits,_ZN7rocprim17ROCPRIM_400000_NS6detail30init_device_scan_by_key_kernelINS1_19lookback_scan_stateINS0_5tupleIJsbEEELb0ELb1EEEN6thrust23THRUST_200600_302600_NS6detail15normal_iteratorINS8_10device_ptrIiEEEEjNS1_16block_id_wrapperIjLb0EEEEEvT_jjPNSG_10value_typeET0_PNSt15iterator_traitsISJ_E10value_typeEmT1_T2_,comdat
	.protected	_ZN7rocprim17ROCPRIM_400000_NS6detail30init_device_scan_by_key_kernelINS1_19lookback_scan_stateINS0_5tupleIJsbEEELb0ELb1EEEN6thrust23THRUST_200600_302600_NS6detail15normal_iteratorINS8_10device_ptrIiEEEEjNS1_16block_id_wrapperIjLb0EEEEEvT_jjPNSG_10value_typeET0_PNSt15iterator_traitsISJ_E10value_typeEmT1_T2_ ; -- Begin function _ZN7rocprim17ROCPRIM_400000_NS6detail30init_device_scan_by_key_kernelINS1_19lookback_scan_stateINS0_5tupleIJsbEEELb0ELb1EEEN6thrust23THRUST_200600_302600_NS6detail15normal_iteratorINS8_10device_ptrIiEEEEjNS1_16block_id_wrapperIjLb0EEEEEvT_jjPNSG_10value_typeET0_PNSt15iterator_traitsISJ_E10value_typeEmT1_T2_
	.globl	_ZN7rocprim17ROCPRIM_400000_NS6detail30init_device_scan_by_key_kernelINS1_19lookback_scan_stateINS0_5tupleIJsbEEELb0ELb1EEEN6thrust23THRUST_200600_302600_NS6detail15normal_iteratorINS8_10device_ptrIiEEEEjNS1_16block_id_wrapperIjLb0EEEEEvT_jjPNSG_10value_typeET0_PNSt15iterator_traitsISJ_E10value_typeEmT1_T2_
	.p2align	8
	.type	_ZN7rocprim17ROCPRIM_400000_NS6detail30init_device_scan_by_key_kernelINS1_19lookback_scan_stateINS0_5tupleIJsbEEELb0ELb1EEEN6thrust23THRUST_200600_302600_NS6detail15normal_iteratorINS8_10device_ptrIiEEEEjNS1_16block_id_wrapperIjLb0EEEEEvT_jjPNSG_10value_typeET0_PNSt15iterator_traitsISJ_E10value_typeEmT1_T2_,@function
_ZN7rocprim17ROCPRIM_400000_NS6detail30init_device_scan_by_key_kernelINS1_19lookback_scan_stateINS0_5tupleIJsbEEELb0ELb1EEEN6thrust23THRUST_200600_302600_NS6detail15normal_iteratorINS8_10device_ptrIiEEEEjNS1_16block_id_wrapperIjLb0EEEEEvT_jjPNSG_10value_typeET0_PNSt15iterator_traitsISJ_E10value_typeEmT1_T2_: ; @_ZN7rocprim17ROCPRIM_400000_NS6detail30init_device_scan_by_key_kernelINS1_19lookback_scan_stateINS0_5tupleIJsbEEELb0ELb1EEEN6thrust23THRUST_200600_302600_NS6detail15normal_iteratorINS8_10device_ptrIiEEEEjNS1_16block_id_wrapperIjLb0EEEEEvT_jjPNSG_10value_typeET0_PNSt15iterator_traitsISJ_E10value_typeEmT1_T2_
; %bb.0:
	s_clause 0x2
	s_load_dword s0, s[4:5], 0x44
	s_load_dwordx8 s[8:15], s[4:5], 0x0
	s_load_dword s7, s[4:5], 0x38
	s_waitcnt lgkmcnt(0)
	s_and_b32 s16, s0, 0xffff
	s_cmp_eq_u64 s[12:13], 0
	v_mad_u64_u32 v[0:1], null, s6, s16, v[0:1]
	s_cbranch_scc1 .LBB1351_6
; %bb.1:
	s_cmp_lt_u32 s11, s10
	s_mov_b32 s1, 0
	s_cselect_b32 s0, s11, 0
	s_mov_b32 s2, exec_lo
	v_cmpx_eq_u32_e64 s0, v0
	s_cbranch_execz .LBB1351_5
; %bb.2:
	s_add_i32 s0, s11, 32
	v_mov_b32_e32 v3, 0
	s_lshl_b64 s[0:1], s[0:1], 3
	s_add_u32 s0, s8, s0
	s_addc_u32 s1, s9, s1
	global_load_dwordx2 v[1:2], v3, s[0:1] glc dlc
	s_waitcnt vmcnt(0)
	v_and_b32_e32 v4, 0xff, v2
	v_cmp_ne_u64_e32 vcc_lo, 0, v[3:4]
	s_cbranch_vccnz .LBB1351_4
.LBB1351_3:                             ; =>This Inner Loop Header: Depth=1
	global_load_dwordx2 v[1:2], v3, s[0:1] glc dlc
	s_waitcnt vmcnt(0)
	v_and_b32_e32 v4, 0xff, v2
	v_cmp_eq_u64_e32 vcc_lo, 0, v[3:4]
	s_cbranch_vccnz .LBB1351_3
.LBB1351_4:
	v_mov_b32_e32 v2, 0
	global_store_short v2, v1, s[12:13]
	global_store_byte_d16_hi v2, v1, s[12:13] offset:2
.LBB1351_5:
	s_or_b32 exec_lo, exec_lo, s2
.LBB1351_6:
	s_mov_b32 s0, exec_lo
	v_cmpx_gt_u32_e64 s10, v0
	s_cbranch_execz .LBB1351_8
; %bb.7:
	v_add_nc_u32_e32 v1, 32, v0
	v_mov_b32_e32 v2, 0
	v_lshlrev_b64 v[3:4], 3, v[1:2]
	v_mov_b32_e32 v1, v2
	v_add_co_u32 v3, vcc_lo, s8, v3
	v_add_co_ci_u32_e64 v4, null, s9, v4, vcc_lo
	global_store_dwordx2 v[3:4], v[1:2], off
.LBB1351_8:
	s_or_b32 exec_lo, exec_lo, s0
	v_mov_b32_e32 v1, 0
	s_mov_b32 s0, exec_lo
	v_cmpx_gt_u32_e32 32, v0
	s_cbranch_execz .LBB1351_10
; %bb.9:
	v_lshlrev_b64 v[2:3], 3, v[0:1]
	v_mov_b32_e32 v4, 0xff
	v_add_co_u32 v5, vcc_lo, s8, v2
	v_add_co_ci_u32_e64 v6, null, s9, v3, vcc_lo
	v_mov_b32_e32 v3, v1
	global_store_dwordx2 v[5:6], v[3:4], off
.LBB1351_10:
	s_or_b32 exec_lo, exec_lo, s0
	s_load_dwordx2 s[2:3], s[4:5], 0x28
	s_mov_b32 s0, exec_lo
	s_waitcnt lgkmcnt(0)
	v_cmpx_gt_u64_e64 s[2:3], v[0:1]
	s_cbranch_execz .LBB1351_13
; %bb.11:
	s_clause 0x1
	s_load_dword s6, s[4:5], 0x30
	s_load_dwordx2 s[8:9], s[4:5], 0x20
	s_mov_b32 s1, 0
	v_lshlrev_b64 v[4:5], 2, v[0:1]
	s_mul_i32 s4, s7, s16
	s_waitcnt lgkmcnt(0)
	v_mad_u64_u32 v[2:3], null, s6, v0, 0
	s_add_i32 s0, s6, -1
	s_mul_hi_u32 s7, s6, s4
	s_lshl_b64 s[10:11], s[0:1], 2
	s_mul_i32 s6, s6, s4
	s_add_u32 s0, s14, s10
	s_addc_u32 s5, s15, s11
	v_lshlrev_b64 v[2:3], 2, v[2:3]
	s_lshl_b64 s[6:7], s[6:7], 2
	v_add_co_u32 v2, vcc_lo, s0, v2
	v_add_co_ci_u32_e64 v3, null, s5, v3, vcc_lo
	v_add_co_u32 v4, vcc_lo, s8, v4
	v_add_co_ci_u32_e64 v5, null, s9, v5, vcc_lo
	s_mov_b32 s5, s1
	s_lshl_b64 s[8:9], s[4:5], 2
	.p2align	6
.LBB1351_12:                            ; =>This Inner Loop Header: Depth=1
	global_load_dword v6, v[2:3], off
	v_add_co_u32 v0, vcc_lo, v0, s4
	v_add_co_ci_u32_e64 v1, null, 0, v1, vcc_lo
	v_add_co_u32 v2, vcc_lo, v2, s6
	v_add_co_ci_u32_e64 v3, null, s7, v3, vcc_lo
	v_cmp_le_u64_e32 vcc_lo, s[2:3], v[0:1]
	s_or_b32 s1, vcc_lo, s1
	s_waitcnt vmcnt(0)
	global_store_dword v[4:5], v6, off
	v_add_co_u32 v4, s0, v4, s8
	v_add_co_ci_u32_e64 v5, null, s9, v5, s0
	s_andn2_b32 exec_lo, exec_lo, s1
	s_cbranch_execnz .LBB1351_12
.LBB1351_13:
	s_endpgm
	.section	.rodata,"a",@progbits
	.p2align	6, 0x0
	.amdhsa_kernel _ZN7rocprim17ROCPRIM_400000_NS6detail30init_device_scan_by_key_kernelINS1_19lookback_scan_stateINS0_5tupleIJsbEEELb0ELb1EEEN6thrust23THRUST_200600_302600_NS6detail15normal_iteratorINS8_10device_ptrIiEEEEjNS1_16block_id_wrapperIjLb0EEEEEvT_jjPNSG_10value_typeET0_PNSt15iterator_traitsISJ_E10value_typeEmT1_T2_
		.amdhsa_group_segment_fixed_size 0
		.amdhsa_private_segment_fixed_size 0
		.amdhsa_kernarg_size 312
		.amdhsa_user_sgpr_count 6
		.amdhsa_user_sgpr_private_segment_buffer 1
		.amdhsa_user_sgpr_dispatch_ptr 0
		.amdhsa_user_sgpr_queue_ptr 0
		.amdhsa_user_sgpr_kernarg_segment_ptr 1
		.amdhsa_user_sgpr_dispatch_id 0
		.amdhsa_user_sgpr_flat_scratch_init 0
		.amdhsa_user_sgpr_private_segment_size 0
		.amdhsa_wavefront_size32 1
		.amdhsa_uses_dynamic_stack 0
		.amdhsa_system_sgpr_private_segment_wavefront_offset 0
		.amdhsa_system_sgpr_workgroup_id_x 1
		.amdhsa_system_sgpr_workgroup_id_y 0
		.amdhsa_system_sgpr_workgroup_id_z 0
		.amdhsa_system_sgpr_workgroup_info 0
		.amdhsa_system_vgpr_workitem_id 0
		.amdhsa_next_free_vgpr 7
		.amdhsa_next_free_sgpr 17
		.amdhsa_reserve_vcc 1
		.amdhsa_reserve_flat_scratch 0
		.amdhsa_float_round_mode_32 0
		.amdhsa_float_round_mode_16_64 0
		.amdhsa_float_denorm_mode_32 3
		.amdhsa_float_denorm_mode_16_64 3
		.amdhsa_dx10_clamp 1
		.amdhsa_ieee_mode 1
		.amdhsa_fp16_overflow 0
		.amdhsa_workgroup_processor_mode 1
		.amdhsa_memory_ordered 1
		.amdhsa_forward_progress 1
		.amdhsa_shared_vgpr_count 0
		.amdhsa_exception_fp_ieee_invalid_op 0
		.amdhsa_exception_fp_denorm_src 0
		.amdhsa_exception_fp_ieee_div_zero 0
		.amdhsa_exception_fp_ieee_overflow 0
		.amdhsa_exception_fp_ieee_underflow 0
		.amdhsa_exception_fp_ieee_inexact 0
		.amdhsa_exception_int_div_zero 0
	.end_amdhsa_kernel
	.section	.text._ZN7rocprim17ROCPRIM_400000_NS6detail30init_device_scan_by_key_kernelINS1_19lookback_scan_stateINS0_5tupleIJsbEEELb0ELb1EEEN6thrust23THRUST_200600_302600_NS6detail15normal_iteratorINS8_10device_ptrIiEEEEjNS1_16block_id_wrapperIjLb0EEEEEvT_jjPNSG_10value_typeET0_PNSt15iterator_traitsISJ_E10value_typeEmT1_T2_,"axG",@progbits,_ZN7rocprim17ROCPRIM_400000_NS6detail30init_device_scan_by_key_kernelINS1_19lookback_scan_stateINS0_5tupleIJsbEEELb0ELb1EEEN6thrust23THRUST_200600_302600_NS6detail15normal_iteratorINS8_10device_ptrIiEEEEjNS1_16block_id_wrapperIjLb0EEEEEvT_jjPNSG_10value_typeET0_PNSt15iterator_traitsISJ_E10value_typeEmT1_T2_,comdat
.Lfunc_end1351:
	.size	_ZN7rocprim17ROCPRIM_400000_NS6detail30init_device_scan_by_key_kernelINS1_19lookback_scan_stateINS0_5tupleIJsbEEELb0ELb1EEEN6thrust23THRUST_200600_302600_NS6detail15normal_iteratorINS8_10device_ptrIiEEEEjNS1_16block_id_wrapperIjLb0EEEEEvT_jjPNSG_10value_typeET0_PNSt15iterator_traitsISJ_E10value_typeEmT1_T2_, .Lfunc_end1351-_ZN7rocprim17ROCPRIM_400000_NS6detail30init_device_scan_by_key_kernelINS1_19lookback_scan_stateINS0_5tupleIJsbEEELb0ELb1EEEN6thrust23THRUST_200600_302600_NS6detail15normal_iteratorINS8_10device_ptrIiEEEEjNS1_16block_id_wrapperIjLb0EEEEEvT_jjPNSG_10value_typeET0_PNSt15iterator_traitsISJ_E10value_typeEmT1_T2_
                                        ; -- End function
	.set _ZN7rocprim17ROCPRIM_400000_NS6detail30init_device_scan_by_key_kernelINS1_19lookback_scan_stateINS0_5tupleIJsbEEELb0ELb1EEEN6thrust23THRUST_200600_302600_NS6detail15normal_iteratorINS8_10device_ptrIiEEEEjNS1_16block_id_wrapperIjLb0EEEEEvT_jjPNSG_10value_typeET0_PNSt15iterator_traitsISJ_E10value_typeEmT1_T2_.num_vgpr, 7
	.set _ZN7rocprim17ROCPRIM_400000_NS6detail30init_device_scan_by_key_kernelINS1_19lookback_scan_stateINS0_5tupleIJsbEEELb0ELb1EEEN6thrust23THRUST_200600_302600_NS6detail15normal_iteratorINS8_10device_ptrIiEEEEjNS1_16block_id_wrapperIjLb0EEEEEvT_jjPNSG_10value_typeET0_PNSt15iterator_traitsISJ_E10value_typeEmT1_T2_.num_agpr, 0
	.set _ZN7rocprim17ROCPRIM_400000_NS6detail30init_device_scan_by_key_kernelINS1_19lookback_scan_stateINS0_5tupleIJsbEEELb0ELb1EEEN6thrust23THRUST_200600_302600_NS6detail15normal_iteratorINS8_10device_ptrIiEEEEjNS1_16block_id_wrapperIjLb0EEEEEvT_jjPNSG_10value_typeET0_PNSt15iterator_traitsISJ_E10value_typeEmT1_T2_.numbered_sgpr, 17
	.set _ZN7rocprim17ROCPRIM_400000_NS6detail30init_device_scan_by_key_kernelINS1_19lookback_scan_stateINS0_5tupleIJsbEEELb0ELb1EEEN6thrust23THRUST_200600_302600_NS6detail15normal_iteratorINS8_10device_ptrIiEEEEjNS1_16block_id_wrapperIjLb0EEEEEvT_jjPNSG_10value_typeET0_PNSt15iterator_traitsISJ_E10value_typeEmT1_T2_.num_named_barrier, 0
	.set _ZN7rocprim17ROCPRIM_400000_NS6detail30init_device_scan_by_key_kernelINS1_19lookback_scan_stateINS0_5tupleIJsbEEELb0ELb1EEEN6thrust23THRUST_200600_302600_NS6detail15normal_iteratorINS8_10device_ptrIiEEEEjNS1_16block_id_wrapperIjLb0EEEEEvT_jjPNSG_10value_typeET0_PNSt15iterator_traitsISJ_E10value_typeEmT1_T2_.private_seg_size, 0
	.set _ZN7rocprim17ROCPRIM_400000_NS6detail30init_device_scan_by_key_kernelINS1_19lookback_scan_stateINS0_5tupleIJsbEEELb0ELb1EEEN6thrust23THRUST_200600_302600_NS6detail15normal_iteratorINS8_10device_ptrIiEEEEjNS1_16block_id_wrapperIjLb0EEEEEvT_jjPNSG_10value_typeET0_PNSt15iterator_traitsISJ_E10value_typeEmT1_T2_.uses_vcc, 1
	.set _ZN7rocprim17ROCPRIM_400000_NS6detail30init_device_scan_by_key_kernelINS1_19lookback_scan_stateINS0_5tupleIJsbEEELb0ELb1EEEN6thrust23THRUST_200600_302600_NS6detail15normal_iteratorINS8_10device_ptrIiEEEEjNS1_16block_id_wrapperIjLb0EEEEEvT_jjPNSG_10value_typeET0_PNSt15iterator_traitsISJ_E10value_typeEmT1_T2_.uses_flat_scratch, 0
	.set _ZN7rocprim17ROCPRIM_400000_NS6detail30init_device_scan_by_key_kernelINS1_19lookback_scan_stateINS0_5tupleIJsbEEELb0ELb1EEEN6thrust23THRUST_200600_302600_NS6detail15normal_iteratorINS8_10device_ptrIiEEEEjNS1_16block_id_wrapperIjLb0EEEEEvT_jjPNSG_10value_typeET0_PNSt15iterator_traitsISJ_E10value_typeEmT1_T2_.has_dyn_sized_stack, 0
	.set _ZN7rocprim17ROCPRIM_400000_NS6detail30init_device_scan_by_key_kernelINS1_19lookback_scan_stateINS0_5tupleIJsbEEELb0ELb1EEEN6thrust23THRUST_200600_302600_NS6detail15normal_iteratorINS8_10device_ptrIiEEEEjNS1_16block_id_wrapperIjLb0EEEEEvT_jjPNSG_10value_typeET0_PNSt15iterator_traitsISJ_E10value_typeEmT1_T2_.has_recursion, 0
	.set _ZN7rocprim17ROCPRIM_400000_NS6detail30init_device_scan_by_key_kernelINS1_19lookback_scan_stateINS0_5tupleIJsbEEELb0ELb1EEEN6thrust23THRUST_200600_302600_NS6detail15normal_iteratorINS8_10device_ptrIiEEEEjNS1_16block_id_wrapperIjLb0EEEEEvT_jjPNSG_10value_typeET0_PNSt15iterator_traitsISJ_E10value_typeEmT1_T2_.has_indirect_call, 0
	.section	.AMDGPU.csdata,"",@progbits
; Kernel info:
; codeLenInByte = 600
; TotalNumSgprs: 19
; NumVgprs: 7
; ScratchSize: 0
; MemoryBound: 0
; FloatMode: 240
; IeeeMode: 1
; LDSByteSize: 0 bytes/workgroup (compile time only)
; SGPRBlocks: 0
; VGPRBlocks: 0
; NumSGPRsForWavesPerEU: 19
; NumVGPRsForWavesPerEU: 7
; Occupancy: 16
; WaveLimiterHint : 0
; COMPUTE_PGM_RSRC2:SCRATCH_EN: 0
; COMPUTE_PGM_RSRC2:USER_SGPR: 6
; COMPUTE_PGM_RSRC2:TRAP_HANDLER: 0
; COMPUTE_PGM_RSRC2:TGID_X_EN: 1
; COMPUTE_PGM_RSRC2:TGID_Y_EN: 0
; COMPUTE_PGM_RSRC2:TGID_Z_EN: 0
; COMPUTE_PGM_RSRC2:TIDIG_COMP_CNT: 0
	.section	.text._ZN7rocprim17ROCPRIM_400000_NS6detail17trampoline_kernelINS0_14default_configENS1_27scan_by_key_config_selectorIisEEZZNS1_16scan_by_key_implILNS1_25lookback_scan_determinismE0ELb0ES3_N6thrust23THRUST_200600_302600_NS6detail15normal_iteratorINS9_10device_ptrIiEEEENSB_INSC_IsEEEESG_sNS9_4plusIvEENS9_8equal_toIvEEsEE10hipError_tPvRmT2_T3_T4_T5_mT6_T7_P12ihipStream_tbENKUlT_T0_E_clISt17integral_constantIbLb0EES11_EEDaSW_SX_EUlSW_E_NS1_11comp_targetILNS1_3genE0ELNS1_11target_archE4294967295ELNS1_3gpuE0ELNS1_3repE0EEENS1_30default_config_static_selectorELNS0_4arch9wavefront6targetE0EEEvT1_,"axG",@progbits,_ZN7rocprim17ROCPRIM_400000_NS6detail17trampoline_kernelINS0_14default_configENS1_27scan_by_key_config_selectorIisEEZZNS1_16scan_by_key_implILNS1_25lookback_scan_determinismE0ELb0ES3_N6thrust23THRUST_200600_302600_NS6detail15normal_iteratorINS9_10device_ptrIiEEEENSB_INSC_IsEEEESG_sNS9_4plusIvEENS9_8equal_toIvEEsEE10hipError_tPvRmT2_T3_T4_T5_mT6_T7_P12ihipStream_tbENKUlT_T0_E_clISt17integral_constantIbLb0EES11_EEDaSW_SX_EUlSW_E_NS1_11comp_targetILNS1_3genE0ELNS1_11target_archE4294967295ELNS1_3gpuE0ELNS1_3repE0EEENS1_30default_config_static_selectorELNS0_4arch9wavefront6targetE0EEEvT1_,comdat
	.protected	_ZN7rocprim17ROCPRIM_400000_NS6detail17trampoline_kernelINS0_14default_configENS1_27scan_by_key_config_selectorIisEEZZNS1_16scan_by_key_implILNS1_25lookback_scan_determinismE0ELb0ES3_N6thrust23THRUST_200600_302600_NS6detail15normal_iteratorINS9_10device_ptrIiEEEENSB_INSC_IsEEEESG_sNS9_4plusIvEENS9_8equal_toIvEEsEE10hipError_tPvRmT2_T3_T4_T5_mT6_T7_P12ihipStream_tbENKUlT_T0_E_clISt17integral_constantIbLb0EES11_EEDaSW_SX_EUlSW_E_NS1_11comp_targetILNS1_3genE0ELNS1_11target_archE4294967295ELNS1_3gpuE0ELNS1_3repE0EEENS1_30default_config_static_selectorELNS0_4arch9wavefront6targetE0EEEvT1_ ; -- Begin function _ZN7rocprim17ROCPRIM_400000_NS6detail17trampoline_kernelINS0_14default_configENS1_27scan_by_key_config_selectorIisEEZZNS1_16scan_by_key_implILNS1_25lookback_scan_determinismE0ELb0ES3_N6thrust23THRUST_200600_302600_NS6detail15normal_iteratorINS9_10device_ptrIiEEEENSB_INSC_IsEEEESG_sNS9_4plusIvEENS9_8equal_toIvEEsEE10hipError_tPvRmT2_T3_T4_T5_mT6_T7_P12ihipStream_tbENKUlT_T0_E_clISt17integral_constantIbLb0EES11_EEDaSW_SX_EUlSW_E_NS1_11comp_targetILNS1_3genE0ELNS1_11target_archE4294967295ELNS1_3gpuE0ELNS1_3repE0EEENS1_30default_config_static_selectorELNS0_4arch9wavefront6targetE0EEEvT1_
	.globl	_ZN7rocprim17ROCPRIM_400000_NS6detail17trampoline_kernelINS0_14default_configENS1_27scan_by_key_config_selectorIisEEZZNS1_16scan_by_key_implILNS1_25lookback_scan_determinismE0ELb0ES3_N6thrust23THRUST_200600_302600_NS6detail15normal_iteratorINS9_10device_ptrIiEEEENSB_INSC_IsEEEESG_sNS9_4plusIvEENS9_8equal_toIvEEsEE10hipError_tPvRmT2_T3_T4_T5_mT6_T7_P12ihipStream_tbENKUlT_T0_E_clISt17integral_constantIbLb0EES11_EEDaSW_SX_EUlSW_E_NS1_11comp_targetILNS1_3genE0ELNS1_11target_archE4294967295ELNS1_3gpuE0ELNS1_3repE0EEENS1_30default_config_static_selectorELNS0_4arch9wavefront6targetE0EEEvT1_
	.p2align	8
	.type	_ZN7rocprim17ROCPRIM_400000_NS6detail17trampoline_kernelINS0_14default_configENS1_27scan_by_key_config_selectorIisEEZZNS1_16scan_by_key_implILNS1_25lookback_scan_determinismE0ELb0ES3_N6thrust23THRUST_200600_302600_NS6detail15normal_iteratorINS9_10device_ptrIiEEEENSB_INSC_IsEEEESG_sNS9_4plusIvEENS9_8equal_toIvEEsEE10hipError_tPvRmT2_T3_T4_T5_mT6_T7_P12ihipStream_tbENKUlT_T0_E_clISt17integral_constantIbLb0EES11_EEDaSW_SX_EUlSW_E_NS1_11comp_targetILNS1_3genE0ELNS1_11target_archE4294967295ELNS1_3gpuE0ELNS1_3repE0EEENS1_30default_config_static_selectorELNS0_4arch9wavefront6targetE0EEEvT1_,@function
_ZN7rocprim17ROCPRIM_400000_NS6detail17trampoline_kernelINS0_14default_configENS1_27scan_by_key_config_selectorIisEEZZNS1_16scan_by_key_implILNS1_25lookback_scan_determinismE0ELb0ES3_N6thrust23THRUST_200600_302600_NS6detail15normal_iteratorINS9_10device_ptrIiEEEENSB_INSC_IsEEEESG_sNS9_4plusIvEENS9_8equal_toIvEEsEE10hipError_tPvRmT2_T3_T4_T5_mT6_T7_P12ihipStream_tbENKUlT_T0_E_clISt17integral_constantIbLb0EES11_EEDaSW_SX_EUlSW_E_NS1_11comp_targetILNS1_3genE0ELNS1_11target_archE4294967295ELNS1_3gpuE0ELNS1_3repE0EEENS1_30default_config_static_selectorELNS0_4arch9wavefront6targetE0EEEvT1_: ; @_ZN7rocprim17ROCPRIM_400000_NS6detail17trampoline_kernelINS0_14default_configENS1_27scan_by_key_config_selectorIisEEZZNS1_16scan_by_key_implILNS1_25lookback_scan_determinismE0ELb0ES3_N6thrust23THRUST_200600_302600_NS6detail15normal_iteratorINS9_10device_ptrIiEEEENSB_INSC_IsEEEESG_sNS9_4plusIvEENS9_8equal_toIvEEsEE10hipError_tPvRmT2_T3_T4_T5_mT6_T7_P12ihipStream_tbENKUlT_T0_E_clISt17integral_constantIbLb0EES11_EEDaSW_SX_EUlSW_E_NS1_11comp_targetILNS1_3genE0ELNS1_11target_archE4294967295ELNS1_3gpuE0ELNS1_3repE0EEENS1_30default_config_static_selectorELNS0_4arch9wavefront6targetE0EEEvT1_
; %bb.0:
	.section	.rodata,"a",@progbits
	.p2align	6, 0x0
	.amdhsa_kernel _ZN7rocprim17ROCPRIM_400000_NS6detail17trampoline_kernelINS0_14default_configENS1_27scan_by_key_config_selectorIisEEZZNS1_16scan_by_key_implILNS1_25lookback_scan_determinismE0ELb0ES3_N6thrust23THRUST_200600_302600_NS6detail15normal_iteratorINS9_10device_ptrIiEEEENSB_INSC_IsEEEESG_sNS9_4plusIvEENS9_8equal_toIvEEsEE10hipError_tPvRmT2_T3_T4_T5_mT6_T7_P12ihipStream_tbENKUlT_T0_E_clISt17integral_constantIbLb0EES11_EEDaSW_SX_EUlSW_E_NS1_11comp_targetILNS1_3genE0ELNS1_11target_archE4294967295ELNS1_3gpuE0ELNS1_3repE0EEENS1_30default_config_static_selectorELNS0_4arch9wavefront6targetE0EEEvT1_
		.amdhsa_group_segment_fixed_size 0
		.amdhsa_private_segment_fixed_size 0
		.amdhsa_kernarg_size 112
		.amdhsa_user_sgpr_count 6
		.amdhsa_user_sgpr_private_segment_buffer 1
		.amdhsa_user_sgpr_dispatch_ptr 0
		.amdhsa_user_sgpr_queue_ptr 0
		.amdhsa_user_sgpr_kernarg_segment_ptr 1
		.amdhsa_user_sgpr_dispatch_id 0
		.amdhsa_user_sgpr_flat_scratch_init 0
		.amdhsa_user_sgpr_private_segment_size 0
		.amdhsa_wavefront_size32 1
		.amdhsa_uses_dynamic_stack 0
		.amdhsa_system_sgpr_private_segment_wavefront_offset 0
		.amdhsa_system_sgpr_workgroup_id_x 1
		.amdhsa_system_sgpr_workgroup_id_y 0
		.amdhsa_system_sgpr_workgroup_id_z 0
		.amdhsa_system_sgpr_workgroup_info 0
		.amdhsa_system_vgpr_workitem_id 0
		.amdhsa_next_free_vgpr 1
		.amdhsa_next_free_sgpr 1
		.amdhsa_reserve_vcc 0
		.amdhsa_reserve_flat_scratch 0
		.amdhsa_float_round_mode_32 0
		.amdhsa_float_round_mode_16_64 0
		.amdhsa_float_denorm_mode_32 3
		.amdhsa_float_denorm_mode_16_64 3
		.amdhsa_dx10_clamp 1
		.amdhsa_ieee_mode 1
		.amdhsa_fp16_overflow 0
		.amdhsa_workgroup_processor_mode 1
		.amdhsa_memory_ordered 1
		.amdhsa_forward_progress 1
		.amdhsa_shared_vgpr_count 0
		.amdhsa_exception_fp_ieee_invalid_op 0
		.amdhsa_exception_fp_denorm_src 0
		.amdhsa_exception_fp_ieee_div_zero 0
		.amdhsa_exception_fp_ieee_overflow 0
		.amdhsa_exception_fp_ieee_underflow 0
		.amdhsa_exception_fp_ieee_inexact 0
		.amdhsa_exception_int_div_zero 0
	.end_amdhsa_kernel
	.section	.text._ZN7rocprim17ROCPRIM_400000_NS6detail17trampoline_kernelINS0_14default_configENS1_27scan_by_key_config_selectorIisEEZZNS1_16scan_by_key_implILNS1_25lookback_scan_determinismE0ELb0ES3_N6thrust23THRUST_200600_302600_NS6detail15normal_iteratorINS9_10device_ptrIiEEEENSB_INSC_IsEEEESG_sNS9_4plusIvEENS9_8equal_toIvEEsEE10hipError_tPvRmT2_T3_T4_T5_mT6_T7_P12ihipStream_tbENKUlT_T0_E_clISt17integral_constantIbLb0EES11_EEDaSW_SX_EUlSW_E_NS1_11comp_targetILNS1_3genE0ELNS1_11target_archE4294967295ELNS1_3gpuE0ELNS1_3repE0EEENS1_30default_config_static_selectorELNS0_4arch9wavefront6targetE0EEEvT1_,"axG",@progbits,_ZN7rocprim17ROCPRIM_400000_NS6detail17trampoline_kernelINS0_14default_configENS1_27scan_by_key_config_selectorIisEEZZNS1_16scan_by_key_implILNS1_25lookback_scan_determinismE0ELb0ES3_N6thrust23THRUST_200600_302600_NS6detail15normal_iteratorINS9_10device_ptrIiEEEENSB_INSC_IsEEEESG_sNS9_4plusIvEENS9_8equal_toIvEEsEE10hipError_tPvRmT2_T3_T4_T5_mT6_T7_P12ihipStream_tbENKUlT_T0_E_clISt17integral_constantIbLb0EES11_EEDaSW_SX_EUlSW_E_NS1_11comp_targetILNS1_3genE0ELNS1_11target_archE4294967295ELNS1_3gpuE0ELNS1_3repE0EEENS1_30default_config_static_selectorELNS0_4arch9wavefront6targetE0EEEvT1_,comdat
.Lfunc_end1352:
	.size	_ZN7rocprim17ROCPRIM_400000_NS6detail17trampoline_kernelINS0_14default_configENS1_27scan_by_key_config_selectorIisEEZZNS1_16scan_by_key_implILNS1_25lookback_scan_determinismE0ELb0ES3_N6thrust23THRUST_200600_302600_NS6detail15normal_iteratorINS9_10device_ptrIiEEEENSB_INSC_IsEEEESG_sNS9_4plusIvEENS9_8equal_toIvEEsEE10hipError_tPvRmT2_T3_T4_T5_mT6_T7_P12ihipStream_tbENKUlT_T0_E_clISt17integral_constantIbLb0EES11_EEDaSW_SX_EUlSW_E_NS1_11comp_targetILNS1_3genE0ELNS1_11target_archE4294967295ELNS1_3gpuE0ELNS1_3repE0EEENS1_30default_config_static_selectorELNS0_4arch9wavefront6targetE0EEEvT1_, .Lfunc_end1352-_ZN7rocprim17ROCPRIM_400000_NS6detail17trampoline_kernelINS0_14default_configENS1_27scan_by_key_config_selectorIisEEZZNS1_16scan_by_key_implILNS1_25lookback_scan_determinismE0ELb0ES3_N6thrust23THRUST_200600_302600_NS6detail15normal_iteratorINS9_10device_ptrIiEEEENSB_INSC_IsEEEESG_sNS9_4plusIvEENS9_8equal_toIvEEsEE10hipError_tPvRmT2_T3_T4_T5_mT6_T7_P12ihipStream_tbENKUlT_T0_E_clISt17integral_constantIbLb0EES11_EEDaSW_SX_EUlSW_E_NS1_11comp_targetILNS1_3genE0ELNS1_11target_archE4294967295ELNS1_3gpuE0ELNS1_3repE0EEENS1_30default_config_static_selectorELNS0_4arch9wavefront6targetE0EEEvT1_
                                        ; -- End function
	.set _ZN7rocprim17ROCPRIM_400000_NS6detail17trampoline_kernelINS0_14default_configENS1_27scan_by_key_config_selectorIisEEZZNS1_16scan_by_key_implILNS1_25lookback_scan_determinismE0ELb0ES3_N6thrust23THRUST_200600_302600_NS6detail15normal_iteratorINS9_10device_ptrIiEEEENSB_INSC_IsEEEESG_sNS9_4plusIvEENS9_8equal_toIvEEsEE10hipError_tPvRmT2_T3_T4_T5_mT6_T7_P12ihipStream_tbENKUlT_T0_E_clISt17integral_constantIbLb0EES11_EEDaSW_SX_EUlSW_E_NS1_11comp_targetILNS1_3genE0ELNS1_11target_archE4294967295ELNS1_3gpuE0ELNS1_3repE0EEENS1_30default_config_static_selectorELNS0_4arch9wavefront6targetE0EEEvT1_.num_vgpr, 0
	.set _ZN7rocprim17ROCPRIM_400000_NS6detail17trampoline_kernelINS0_14default_configENS1_27scan_by_key_config_selectorIisEEZZNS1_16scan_by_key_implILNS1_25lookback_scan_determinismE0ELb0ES3_N6thrust23THRUST_200600_302600_NS6detail15normal_iteratorINS9_10device_ptrIiEEEENSB_INSC_IsEEEESG_sNS9_4plusIvEENS9_8equal_toIvEEsEE10hipError_tPvRmT2_T3_T4_T5_mT6_T7_P12ihipStream_tbENKUlT_T0_E_clISt17integral_constantIbLb0EES11_EEDaSW_SX_EUlSW_E_NS1_11comp_targetILNS1_3genE0ELNS1_11target_archE4294967295ELNS1_3gpuE0ELNS1_3repE0EEENS1_30default_config_static_selectorELNS0_4arch9wavefront6targetE0EEEvT1_.num_agpr, 0
	.set _ZN7rocprim17ROCPRIM_400000_NS6detail17trampoline_kernelINS0_14default_configENS1_27scan_by_key_config_selectorIisEEZZNS1_16scan_by_key_implILNS1_25lookback_scan_determinismE0ELb0ES3_N6thrust23THRUST_200600_302600_NS6detail15normal_iteratorINS9_10device_ptrIiEEEENSB_INSC_IsEEEESG_sNS9_4plusIvEENS9_8equal_toIvEEsEE10hipError_tPvRmT2_T3_T4_T5_mT6_T7_P12ihipStream_tbENKUlT_T0_E_clISt17integral_constantIbLb0EES11_EEDaSW_SX_EUlSW_E_NS1_11comp_targetILNS1_3genE0ELNS1_11target_archE4294967295ELNS1_3gpuE0ELNS1_3repE0EEENS1_30default_config_static_selectorELNS0_4arch9wavefront6targetE0EEEvT1_.numbered_sgpr, 0
	.set _ZN7rocprim17ROCPRIM_400000_NS6detail17trampoline_kernelINS0_14default_configENS1_27scan_by_key_config_selectorIisEEZZNS1_16scan_by_key_implILNS1_25lookback_scan_determinismE0ELb0ES3_N6thrust23THRUST_200600_302600_NS6detail15normal_iteratorINS9_10device_ptrIiEEEENSB_INSC_IsEEEESG_sNS9_4plusIvEENS9_8equal_toIvEEsEE10hipError_tPvRmT2_T3_T4_T5_mT6_T7_P12ihipStream_tbENKUlT_T0_E_clISt17integral_constantIbLb0EES11_EEDaSW_SX_EUlSW_E_NS1_11comp_targetILNS1_3genE0ELNS1_11target_archE4294967295ELNS1_3gpuE0ELNS1_3repE0EEENS1_30default_config_static_selectorELNS0_4arch9wavefront6targetE0EEEvT1_.num_named_barrier, 0
	.set _ZN7rocprim17ROCPRIM_400000_NS6detail17trampoline_kernelINS0_14default_configENS1_27scan_by_key_config_selectorIisEEZZNS1_16scan_by_key_implILNS1_25lookback_scan_determinismE0ELb0ES3_N6thrust23THRUST_200600_302600_NS6detail15normal_iteratorINS9_10device_ptrIiEEEENSB_INSC_IsEEEESG_sNS9_4plusIvEENS9_8equal_toIvEEsEE10hipError_tPvRmT2_T3_T4_T5_mT6_T7_P12ihipStream_tbENKUlT_T0_E_clISt17integral_constantIbLb0EES11_EEDaSW_SX_EUlSW_E_NS1_11comp_targetILNS1_3genE0ELNS1_11target_archE4294967295ELNS1_3gpuE0ELNS1_3repE0EEENS1_30default_config_static_selectorELNS0_4arch9wavefront6targetE0EEEvT1_.private_seg_size, 0
	.set _ZN7rocprim17ROCPRIM_400000_NS6detail17trampoline_kernelINS0_14default_configENS1_27scan_by_key_config_selectorIisEEZZNS1_16scan_by_key_implILNS1_25lookback_scan_determinismE0ELb0ES3_N6thrust23THRUST_200600_302600_NS6detail15normal_iteratorINS9_10device_ptrIiEEEENSB_INSC_IsEEEESG_sNS9_4plusIvEENS9_8equal_toIvEEsEE10hipError_tPvRmT2_T3_T4_T5_mT6_T7_P12ihipStream_tbENKUlT_T0_E_clISt17integral_constantIbLb0EES11_EEDaSW_SX_EUlSW_E_NS1_11comp_targetILNS1_3genE0ELNS1_11target_archE4294967295ELNS1_3gpuE0ELNS1_3repE0EEENS1_30default_config_static_selectorELNS0_4arch9wavefront6targetE0EEEvT1_.uses_vcc, 0
	.set _ZN7rocprim17ROCPRIM_400000_NS6detail17trampoline_kernelINS0_14default_configENS1_27scan_by_key_config_selectorIisEEZZNS1_16scan_by_key_implILNS1_25lookback_scan_determinismE0ELb0ES3_N6thrust23THRUST_200600_302600_NS6detail15normal_iteratorINS9_10device_ptrIiEEEENSB_INSC_IsEEEESG_sNS9_4plusIvEENS9_8equal_toIvEEsEE10hipError_tPvRmT2_T3_T4_T5_mT6_T7_P12ihipStream_tbENKUlT_T0_E_clISt17integral_constantIbLb0EES11_EEDaSW_SX_EUlSW_E_NS1_11comp_targetILNS1_3genE0ELNS1_11target_archE4294967295ELNS1_3gpuE0ELNS1_3repE0EEENS1_30default_config_static_selectorELNS0_4arch9wavefront6targetE0EEEvT1_.uses_flat_scratch, 0
	.set _ZN7rocprim17ROCPRIM_400000_NS6detail17trampoline_kernelINS0_14default_configENS1_27scan_by_key_config_selectorIisEEZZNS1_16scan_by_key_implILNS1_25lookback_scan_determinismE0ELb0ES3_N6thrust23THRUST_200600_302600_NS6detail15normal_iteratorINS9_10device_ptrIiEEEENSB_INSC_IsEEEESG_sNS9_4plusIvEENS9_8equal_toIvEEsEE10hipError_tPvRmT2_T3_T4_T5_mT6_T7_P12ihipStream_tbENKUlT_T0_E_clISt17integral_constantIbLb0EES11_EEDaSW_SX_EUlSW_E_NS1_11comp_targetILNS1_3genE0ELNS1_11target_archE4294967295ELNS1_3gpuE0ELNS1_3repE0EEENS1_30default_config_static_selectorELNS0_4arch9wavefront6targetE0EEEvT1_.has_dyn_sized_stack, 0
	.set _ZN7rocprim17ROCPRIM_400000_NS6detail17trampoline_kernelINS0_14default_configENS1_27scan_by_key_config_selectorIisEEZZNS1_16scan_by_key_implILNS1_25lookback_scan_determinismE0ELb0ES3_N6thrust23THRUST_200600_302600_NS6detail15normal_iteratorINS9_10device_ptrIiEEEENSB_INSC_IsEEEESG_sNS9_4plusIvEENS9_8equal_toIvEEsEE10hipError_tPvRmT2_T3_T4_T5_mT6_T7_P12ihipStream_tbENKUlT_T0_E_clISt17integral_constantIbLb0EES11_EEDaSW_SX_EUlSW_E_NS1_11comp_targetILNS1_3genE0ELNS1_11target_archE4294967295ELNS1_3gpuE0ELNS1_3repE0EEENS1_30default_config_static_selectorELNS0_4arch9wavefront6targetE0EEEvT1_.has_recursion, 0
	.set _ZN7rocprim17ROCPRIM_400000_NS6detail17trampoline_kernelINS0_14default_configENS1_27scan_by_key_config_selectorIisEEZZNS1_16scan_by_key_implILNS1_25lookback_scan_determinismE0ELb0ES3_N6thrust23THRUST_200600_302600_NS6detail15normal_iteratorINS9_10device_ptrIiEEEENSB_INSC_IsEEEESG_sNS9_4plusIvEENS9_8equal_toIvEEsEE10hipError_tPvRmT2_T3_T4_T5_mT6_T7_P12ihipStream_tbENKUlT_T0_E_clISt17integral_constantIbLb0EES11_EEDaSW_SX_EUlSW_E_NS1_11comp_targetILNS1_3genE0ELNS1_11target_archE4294967295ELNS1_3gpuE0ELNS1_3repE0EEENS1_30default_config_static_selectorELNS0_4arch9wavefront6targetE0EEEvT1_.has_indirect_call, 0
	.section	.AMDGPU.csdata,"",@progbits
; Kernel info:
; codeLenInByte = 0
; TotalNumSgprs: 0
; NumVgprs: 0
; ScratchSize: 0
; MemoryBound: 0
; FloatMode: 240
; IeeeMode: 1
; LDSByteSize: 0 bytes/workgroup (compile time only)
; SGPRBlocks: 0
; VGPRBlocks: 0
; NumSGPRsForWavesPerEU: 1
; NumVGPRsForWavesPerEU: 1
; Occupancy: 16
; WaveLimiterHint : 0
; COMPUTE_PGM_RSRC2:SCRATCH_EN: 0
; COMPUTE_PGM_RSRC2:USER_SGPR: 6
; COMPUTE_PGM_RSRC2:TRAP_HANDLER: 0
; COMPUTE_PGM_RSRC2:TGID_X_EN: 1
; COMPUTE_PGM_RSRC2:TGID_Y_EN: 0
; COMPUTE_PGM_RSRC2:TGID_Z_EN: 0
; COMPUTE_PGM_RSRC2:TIDIG_COMP_CNT: 0
	.section	.text._ZN7rocprim17ROCPRIM_400000_NS6detail17trampoline_kernelINS0_14default_configENS1_27scan_by_key_config_selectorIisEEZZNS1_16scan_by_key_implILNS1_25lookback_scan_determinismE0ELb0ES3_N6thrust23THRUST_200600_302600_NS6detail15normal_iteratorINS9_10device_ptrIiEEEENSB_INSC_IsEEEESG_sNS9_4plusIvEENS9_8equal_toIvEEsEE10hipError_tPvRmT2_T3_T4_T5_mT6_T7_P12ihipStream_tbENKUlT_T0_E_clISt17integral_constantIbLb0EES11_EEDaSW_SX_EUlSW_E_NS1_11comp_targetILNS1_3genE10ELNS1_11target_archE1201ELNS1_3gpuE5ELNS1_3repE0EEENS1_30default_config_static_selectorELNS0_4arch9wavefront6targetE0EEEvT1_,"axG",@progbits,_ZN7rocprim17ROCPRIM_400000_NS6detail17trampoline_kernelINS0_14default_configENS1_27scan_by_key_config_selectorIisEEZZNS1_16scan_by_key_implILNS1_25lookback_scan_determinismE0ELb0ES3_N6thrust23THRUST_200600_302600_NS6detail15normal_iteratorINS9_10device_ptrIiEEEENSB_INSC_IsEEEESG_sNS9_4plusIvEENS9_8equal_toIvEEsEE10hipError_tPvRmT2_T3_T4_T5_mT6_T7_P12ihipStream_tbENKUlT_T0_E_clISt17integral_constantIbLb0EES11_EEDaSW_SX_EUlSW_E_NS1_11comp_targetILNS1_3genE10ELNS1_11target_archE1201ELNS1_3gpuE5ELNS1_3repE0EEENS1_30default_config_static_selectorELNS0_4arch9wavefront6targetE0EEEvT1_,comdat
	.protected	_ZN7rocprim17ROCPRIM_400000_NS6detail17trampoline_kernelINS0_14default_configENS1_27scan_by_key_config_selectorIisEEZZNS1_16scan_by_key_implILNS1_25lookback_scan_determinismE0ELb0ES3_N6thrust23THRUST_200600_302600_NS6detail15normal_iteratorINS9_10device_ptrIiEEEENSB_INSC_IsEEEESG_sNS9_4plusIvEENS9_8equal_toIvEEsEE10hipError_tPvRmT2_T3_T4_T5_mT6_T7_P12ihipStream_tbENKUlT_T0_E_clISt17integral_constantIbLb0EES11_EEDaSW_SX_EUlSW_E_NS1_11comp_targetILNS1_3genE10ELNS1_11target_archE1201ELNS1_3gpuE5ELNS1_3repE0EEENS1_30default_config_static_selectorELNS0_4arch9wavefront6targetE0EEEvT1_ ; -- Begin function _ZN7rocprim17ROCPRIM_400000_NS6detail17trampoline_kernelINS0_14default_configENS1_27scan_by_key_config_selectorIisEEZZNS1_16scan_by_key_implILNS1_25lookback_scan_determinismE0ELb0ES3_N6thrust23THRUST_200600_302600_NS6detail15normal_iteratorINS9_10device_ptrIiEEEENSB_INSC_IsEEEESG_sNS9_4plusIvEENS9_8equal_toIvEEsEE10hipError_tPvRmT2_T3_T4_T5_mT6_T7_P12ihipStream_tbENKUlT_T0_E_clISt17integral_constantIbLb0EES11_EEDaSW_SX_EUlSW_E_NS1_11comp_targetILNS1_3genE10ELNS1_11target_archE1201ELNS1_3gpuE5ELNS1_3repE0EEENS1_30default_config_static_selectorELNS0_4arch9wavefront6targetE0EEEvT1_
	.globl	_ZN7rocprim17ROCPRIM_400000_NS6detail17trampoline_kernelINS0_14default_configENS1_27scan_by_key_config_selectorIisEEZZNS1_16scan_by_key_implILNS1_25lookback_scan_determinismE0ELb0ES3_N6thrust23THRUST_200600_302600_NS6detail15normal_iteratorINS9_10device_ptrIiEEEENSB_INSC_IsEEEESG_sNS9_4plusIvEENS9_8equal_toIvEEsEE10hipError_tPvRmT2_T3_T4_T5_mT6_T7_P12ihipStream_tbENKUlT_T0_E_clISt17integral_constantIbLb0EES11_EEDaSW_SX_EUlSW_E_NS1_11comp_targetILNS1_3genE10ELNS1_11target_archE1201ELNS1_3gpuE5ELNS1_3repE0EEENS1_30default_config_static_selectorELNS0_4arch9wavefront6targetE0EEEvT1_
	.p2align	8
	.type	_ZN7rocprim17ROCPRIM_400000_NS6detail17trampoline_kernelINS0_14default_configENS1_27scan_by_key_config_selectorIisEEZZNS1_16scan_by_key_implILNS1_25lookback_scan_determinismE0ELb0ES3_N6thrust23THRUST_200600_302600_NS6detail15normal_iteratorINS9_10device_ptrIiEEEENSB_INSC_IsEEEESG_sNS9_4plusIvEENS9_8equal_toIvEEsEE10hipError_tPvRmT2_T3_T4_T5_mT6_T7_P12ihipStream_tbENKUlT_T0_E_clISt17integral_constantIbLb0EES11_EEDaSW_SX_EUlSW_E_NS1_11comp_targetILNS1_3genE10ELNS1_11target_archE1201ELNS1_3gpuE5ELNS1_3repE0EEENS1_30default_config_static_selectorELNS0_4arch9wavefront6targetE0EEEvT1_,@function
_ZN7rocprim17ROCPRIM_400000_NS6detail17trampoline_kernelINS0_14default_configENS1_27scan_by_key_config_selectorIisEEZZNS1_16scan_by_key_implILNS1_25lookback_scan_determinismE0ELb0ES3_N6thrust23THRUST_200600_302600_NS6detail15normal_iteratorINS9_10device_ptrIiEEEENSB_INSC_IsEEEESG_sNS9_4plusIvEENS9_8equal_toIvEEsEE10hipError_tPvRmT2_T3_T4_T5_mT6_T7_P12ihipStream_tbENKUlT_T0_E_clISt17integral_constantIbLb0EES11_EEDaSW_SX_EUlSW_E_NS1_11comp_targetILNS1_3genE10ELNS1_11target_archE1201ELNS1_3gpuE5ELNS1_3repE0EEENS1_30default_config_static_selectorELNS0_4arch9wavefront6targetE0EEEvT1_: ; @_ZN7rocprim17ROCPRIM_400000_NS6detail17trampoline_kernelINS0_14default_configENS1_27scan_by_key_config_selectorIisEEZZNS1_16scan_by_key_implILNS1_25lookback_scan_determinismE0ELb0ES3_N6thrust23THRUST_200600_302600_NS6detail15normal_iteratorINS9_10device_ptrIiEEEENSB_INSC_IsEEEESG_sNS9_4plusIvEENS9_8equal_toIvEEsEE10hipError_tPvRmT2_T3_T4_T5_mT6_T7_P12ihipStream_tbENKUlT_T0_E_clISt17integral_constantIbLb0EES11_EEDaSW_SX_EUlSW_E_NS1_11comp_targetILNS1_3genE10ELNS1_11target_archE1201ELNS1_3gpuE5ELNS1_3repE0EEENS1_30default_config_static_selectorELNS0_4arch9wavefront6targetE0EEEvT1_
; %bb.0:
	.section	.rodata,"a",@progbits
	.p2align	6, 0x0
	.amdhsa_kernel _ZN7rocprim17ROCPRIM_400000_NS6detail17trampoline_kernelINS0_14default_configENS1_27scan_by_key_config_selectorIisEEZZNS1_16scan_by_key_implILNS1_25lookback_scan_determinismE0ELb0ES3_N6thrust23THRUST_200600_302600_NS6detail15normal_iteratorINS9_10device_ptrIiEEEENSB_INSC_IsEEEESG_sNS9_4plusIvEENS9_8equal_toIvEEsEE10hipError_tPvRmT2_T3_T4_T5_mT6_T7_P12ihipStream_tbENKUlT_T0_E_clISt17integral_constantIbLb0EES11_EEDaSW_SX_EUlSW_E_NS1_11comp_targetILNS1_3genE10ELNS1_11target_archE1201ELNS1_3gpuE5ELNS1_3repE0EEENS1_30default_config_static_selectorELNS0_4arch9wavefront6targetE0EEEvT1_
		.amdhsa_group_segment_fixed_size 0
		.amdhsa_private_segment_fixed_size 0
		.amdhsa_kernarg_size 112
		.amdhsa_user_sgpr_count 6
		.amdhsa_user_sgpr_private_segment_buffer 1
		.amdhsa_user_sgpr_dispatch_ptr 0
		.amdhsa_user_sgpr_queue_ptr 0
		.amdhsa_user_sgpr_kernarg_segment_ptr 1
		.amdhsa_user_sgpr_dispatch_id 0
		.amdhsa_user_sgpr_flat_scratch_init 0
		.amdhsa_user_sgpr_private_segment_size 0
		.amdhsa_wavefront_size32 1
		.amdhsa_uses_dynamic_stack 0
		.amdhsa_system_sgpr_private_segment_wavefront_offset 0
		.amdhsa_system_sgpr_workgroup_id_x 1
		.amdhsa_system_sgpr_workgroup_id_y 0
		.amdhsa_system_sgpr_workgroup_id_z 0
		.amdhsa_system_sgpr_workgroup_info 0
		.amdhsa_system_vgpr_workitem_id 0
		.amdhsa_next_free_vgpr 1
		.amdhsa_next_free_sgpr 1
		.amdhsa_reserve_vcc 0
		.amdhsa_reserve_flat_scratch 0
		.amdhsa_float_round_mode_32 0
		.amdhsa_float_round_mode_16_64 0
		.amdhsa_float_denorm_mode_32 3
		.amdhsa_float_denorm_mode_16_64 3
		.amdhsa_dx10_clamp 1
		.amdhsa_ieee_mode 1
		.amdhsa_fp16_overflow 0
		.amdhsa_workgroup_processor_mode 1
		.amdhsa_memory_ordered 1
		.amdhsa_forward_progress 1
		.amdhsa_shared_vgpr_count 0
		.amdhsa_exception_fp_ieee_invalid_op 0
		.amdhsa_exception_fp_denorm_src 0
		.amdhsa_exception_fp_ieee_div_zero 0
		.amdhsa_exception_fp_ieee_overflow 0
		.amdhsa_exception_fp_ieee_underflow 0
		.amdhsa_exception_fp_ieee_inexact 0
		.amdhsa_exception_int_div_zero 0
	.end_amdhsa_kernel
	.section	.text._ZN7rocprim17ROCPRIM_400000_NS6detail17trampoline_kernelINS0_14default_configENS1_27scan_by_key_config_selectorIisEEZZNS1_16scan_by_key_implILNS1_25lookback_scan_determinismE0ELb0ES3_N6thrust23THRUST_200600_302600_NS6detail15normal_iteratorINS9_10device_ptrIiEEEENSB_INSC_IsEEEESG_sNS9_4plusIvEENS9_8equal_toIvEEsEE10hipError_tPvRmT2_T3_T4_T5_mT6_T7_P12ihipStream_tbENKUlT_T0_E_clISt17integral_constantIbLb0EES11_EEDaSW_SX_EUlSW_E_NS1_11comp_targetILNS1_3genE10ELNS1_11target_archE1201ELNS1_3gpuE5ELNS1_3repE0EEENS1_30default_config_static_selectorELNS0_4arch9wavefront6targetE0EEEvT1_,"axG",@progbits,_ZN7rocprim17ROCPRIM_400000_NS6detail17trampoline_kernelINS0_14default_configENS1_27scan_by_key_config_selectorIisEEZZNS1_16scan_by_key_implILNS1_25lookback_scan_determinismE0ELb0ES3_N6thrust23THRUST_200600_302600_NS6detail15normal_iteratorINS9_10device_ptrIiEEEENSB_INSC_IsEEEESG_sNS9_4plusIvEENS9_8equal_toIvEEsEE10hipError_tPvRmT2_T3_T4_T5_mT6_T7_P12ihipStream_tbENKUlT_T0_E_clISt17integral_constantIbLb0EES11_EEDaSW_SX_EUlSW_E_NS1_11comp_targetILNS1_3genE10ELNS1_11target_archE1201ELNS1_3gpuE5ELNS1_3repE0EEENS1_30default_config_static_selectorELNS0_4arch9wavefront6targetE0EEEvT1_,comdat
.Lfunc_end1353:
	.size	_ZN7rocprim17ROCPRIM_400000_NS6detail17trampoline_kernelINS0_14default_configENS1_27scan_by_key_config_selectorIisEEZZNS1_16scan_by_key_implILNS1_25lookback_scan_determinismE0ELb0ES3_N6thrust23THRUST_200600_302600_NS6detail15normal_iteratorINS9_10device_ptrIiEEEENSB_INSC_IsEEEESG_sNS9_4plusIvEENS9_8equal_toIvEEsEE10hipError_tPvRmT2_T3_T4_T5_mT6_T7_P12ihipStream_tbENKUlT_T0_E_clISt17integral_constantIbLb0EES11_EEDaSW_SX_EUlSW_E_NS1_11comp_targetILNS1_3genE10ELNS1_11target_archE1201ELNS1_3gpuE5ELNS1_3repE0EEENS1_30default_config_static_selectorELNS0_4arch9wavefront6targetE0EEEvT1_, .Lfunc_end1353-_ZN7rocprim17ROCPRIM_400000_NS6detail17trampoline_kernelINS0_14default_configENS1_27scan_by_key_config_selectorIisEEZZNS1_16scan_by_key_implILNS1_25lookback_scan_determinismE0ELb0ES3_N6thrust23THRUST_200600_302600_NS6detail15normal_iteratorINS9_10device_ptrIiEEEENSB_INSC_IsEEEESG_sNS9_4plusIvEENS9_8equal_toIvEEsEE10hipError_tPvRmT2_T3_T4_T5_mT6_T7_P12ihipStream_tbENKUlT_T0_E_clISt17integral_constantIbLb0EES11_EEDaSW_SX_EUlSW_E_NS1_11comp_targetILNS1_3genE10ELNS1_11target_archE1201ELNS1_3gpuE5ELNS1_3repE0EEENS1_30default_config_static_selectorELNS0_4arch9wavefront6targetE0EEEvT1_
                                        ; -- End function
	.set _ZN7rocprim17ROCPRIM_400000_NS6detail17trampoline_kernelINS0_14default_configENS1_27scan_by_key_config_selectorIisEEZZNS1_16scan_by_key_implILNS1_25lookback_scan_determinismE0ELb0ES3_N6thrust23THRUST_200600_302600_NS6detail15normal_iteratorINS9_10device_ptrIiEEEENSB_INSC_IsEEEESG_sNS9_4plusIvEENS9_8equal_toIvEEsEE10hipError_tPvRmT2_T3_T4_T5_mT6_T7_P12ihipStream_tbENKUlT_T0_E_clISt17integral_constantIbLb0EES11_EEDaSW_SX_EUlSW_E_NS1_11comp_targetILNS1_3genE10ELNS1_11target_archE1201ELNS1_3gpuE5ELNS1_3repE0EEENS1_30default_config_static_selectorELNS0_4arch9wavefront6targetE0EEEvT1_.num_vgpr, 0
	.set _ZN7rocprim17ROCPRIM_400000_NS6detail17trampoline_kernelINS0_14default_configENS1_27scan_by_key_config_selectorIisEEZZNS1_16scan_by_key_implILNS1_25lookback_scan_determinismE0ELb0ES3_N6thrust23THRUST_200600_302600_NS6detail15normal_iteratorINS9_10device_ptrIiEEEENSB_INSC_IsEEEESG_sNS9_4plusIvEENS9_8equal_toIvEEsEE10hipError_tPvRmT2_T3_T4_T5_mT6_T7_P12ihipStream_tbENKUlT_T0_E_clISt17integral_constantIbLb0EES11_EEDaSW_SX_EUlSW_E_NS1_11comp_targetILNS1_3genE10ELNS1_11target_archE1201ELNS1_3gpuE5ELNS1_3repE0EEENS1_30default_config_static_selectorELNS0_4arch9wavefront6targetE0EEEvT1_.num_agpr, 0
	.set _ZN7rocprim17ROCPRIM_400000_NS6detail17trampoline_kernelINS0_14default_configENS1_27scan_by_key_config_selectorIisEEZZNS1_16scan_by_key_implILNS1_25lookback_scan_determinismE0ELb0ES3_N6thrust23THRUST_200600_302600_NS6detail15normal_iteratorINS9_10device_ptrIiEEEENSB_INSC_IsEEEESG_sNS9_4plusIvEENS9_8equal_toIvEEsEE10hipError_tPvRmT2_T3_T4_T5_mT6_T7_P12ihipStream_tbENKUlT_T0_E_clISt17integral_constantIbLb0EES11_EEDaSW_SX_EUlSW_E_NS1_11comp_targetILNS1_3genE10ELNS1_11target_archE1201ELNS1_3gpuE5ELNS1_3repE0EEENS1_30default_config_static_selectorELNS0_4arch9wavefront6targetE0EEEvT1_.numbered_sgpr, 0
	.set _ZN7rocprim17ROCPRIM_400000_NS6detail17trampoline_kernelINS0_14default_configENS1_27scan_by_key_config_selectorIisEEZZNS1_16scan_by_key_implILNS1_25lookback_scan_determinismE0ELb0ES3_N6thrust23THRUST_200600_302600_NS6detail15normal_iteratorINS9_10device_ptrIiEEEENSB_INSC_IsEEEESG_sNS9_4plusIvEENS9_8equal_toIvEEsEE10hipError_tPvRmT2_T3_T4_T5_mT6_T7_P12ihipStream_tbENKUlT_T0_E_clISt17integral_constantIbLb0EES11_EEDaSW_SX_EUlSW_E_NS1_11comp_targetILNS1_3genE10ELNS1_11target_archE1201ELNS1_3gpuE5ELNS1_3repE0EEENS1_30default_config_static_selectorELNS0_4arch9wavefront6targetE0EEEvT1_.num_named_barrier, 0
	.set _ZN7rocprim17ROCPRIM_400000_NS6detail17trampoline_kernelINS0_14default_configENS1_27scan_by_key_config_selectorIisEEZZNS1_16scan_by_key_implILNS1_25lookback_scan_determinismE0ELb0ES3_N6thrust23THRUST_200600_302600_NS6detail15normal_iteratorINS9_10device_ptrIiEEEENSB_INSC_IsEEEESG_sNS9_4plusIvEENS9_8equal_toIvEEsEE10hipError_tPvRmT2_T3_T4_T5_mT6_T7_P12ihipStream_tbENKUlT_T0_E_clISt17integral_constantIbLb0EES11_EEDaSW_SX_EUlSW_E_NS1_11comp_targetILNS1_3genE10ELNS1_11target_archE1201ELNS1_3gpuE5ELNS1_3repE0EEENS1_30default_config_static_selectorELNS0_4arch9wavefront6targetE0EEEvT1_.private_seg_size, 0
	.set _ZN7rocprim17ROCPRIM_400000_NS6detail17trampoline_kernelINS0_14default_configENS1_27scan_by_key_config_selectorIisEEZZNS1_16scan_by_key_implILNS1_25lookback_scan_determinismE0ELb0ES3_N6thrust23THRUST_200600_302600_NS6detail15normal_iteratorINS9_10device_ptrIiEEEENSB_INSC_IsEEEESG_sNS9_4plusIvEENS9_8equal_toIvEEsEE10hipError_tPvRmT2_T3_T4_T5_mT6_T7_P12ihipStream_tbENKUlT_T0_E_clISt17integral_constantIbLb0EES11_EEDaSW_SX_EUlSW_E_NS1_11comp_targetILNS1_3genE10ELNS1_11target_archE1201ELNS1_3gpuE5ELNS1_3repE0EEENS1_30default_config_static_selectorELNS0_4arch9wavefront6targetE0EEEvT1_.uses_vcc, 0
	.set _ZN7rocprim17ROCPRIM_400000_NS6detail17trampoline_kernelINS0_14default_configENS1_27scan_by_key_config_selectorIisEEZZNS1_16scan_by_key_implILNS1_25lookback_scan_determinismE0ELb0ES3_N6thrust23THRUST_200600_302600_NS6detail15normal_iteratorINS9_10device_ptrIiEEEENSB_INSC_IsEEEESG_sNS9_4plusIvEENS9_8equal_toIvEEsEE10hipError_tPvRmT2_T3_T4_T5_mT6_T7_P12ihipStream_tbENKUlT_T0_E_clISt17integral_constantIbLb0EES11_EEDaSW_SX_EUlSW_E_NS1_11comp_targetILNS1_3genE10ELNS1_11target_archE1201ELNS1_3gpuE5ELNS1_3repE0EEENS1_30default_config_static_selectorELNS0_4arch9wavefront6targetE0EEEvT1_.uses_flat_scratch, 0
	.set _ZN7rocprim17ROCPRIM_400000_NS6detail17trampoline_kernelINS0_14default_configENS1_27scan_by_key_config_selectorIisEEZZNS1_16scan_by_key_implILNS1_25lookback_scan_determinismE0ELb0ES3_N6thrust23THRUST_200600_302600_NS6detail15normal_iteratorINS9_10device_ptrIiEEEENSB_INSC_IsEEEESG_sNS9_4plusIvEENS9_8equal_toIvEEsEE10hipError_tPvRmT2_T3_T4_T5_mT6_T7_P12ihipStream_tbENKUlT_T0_E_clISt17integral_constantIbLb0EES11_EEDaSW_SX_EUlSW_E_NS1_11comp_targetILNS1_3genE10ELNS1_11target_archE1201ELNS1_3gpuE5ELNS1_3repE0EEENS1_30default_config_static_selectorELNS0_4arch9wavefront6targetE0EEEvT1_.has_dyn_sized_stack, 0
	.set _ZN7rocprim17ROCPRIM_400000_NS6detail17trampoline_kernelINS0_14default_configENS1_27scan_by_key_config_selectorIisEEZZNS1_16scan_by_key_implILNS1_25lookback_scan_determinismE0ELb0ES3_N6thrust23THRUST_200600_302600_NS6detail15normal_iteratorINS9_10device_ptrIiEEEENSB_INSC_IsEEEESG_sNS9_4plusIvEENS9_8equal_toIvEEsEE10hipError_tPvRmT2_T3_T4_T5_mT6_T7_P12ihipStream_tbENKUlT_T0_E_clISt17integral_constantIbLb0EES11_EEDaSW_SX_EUlSW_E_NS1_11comp_targetILNS1_3genE10ELNS1_11target_archE1201ELNS1_3gpuE5ELNS1_3repE0EEENS1_30default_config_static_selectorELNS0_4arch9wavefront6targetE0EEEvT1_.has_recursion, 0
	.set _ZN7rocprim17ROCPRIM_400000_NS6detail17trampoline_kernelINS0_14default_configENS1_27scan_by_key_config_selectorIisEEZZNS1_16scan_by_key_implILNS1_25lookback_scan_determinismE0ELb0ES3_N6thrust23THRUST_200600_302600_NS6detail15normal_iteratorINS9_10device_ptrIiEEEENSB_INSC_IsEEEESG_sNS9_4plusIvEENS9_8equal_toIvEEsEE10hipError_tPvRmT2_T3_T4_T5_mT6_T7_P12ihipStream_tbENKUlT_T0_E_clISt17integral_constantIbLb0EES11_EEDaSW_SX_EUlSW_E_NS1_11comp_targetILNS1_3genE10ELNS1_11target_archE1201ELNS1_3gpuE5ELNS1_3repE0EEENS1_30default_config_static_selectorELNS0_4arch9wavefront6targetE0EEEvT1_.has_indirect_call, 0
	.section	.AMDGPU.csdata,"",@progbits
; Kernel info:
; codeLenInByte = 0
; TotalNumSgprs: 0
; NumVgprs: 0
; ScratchSize: 0
; MemoryBound: 0
; FloatMode: 240
; IeeeMode: 1
; LDSByteSize: 0 bytes/workgroup (compile time only)
; SGPRBlocks: 0
; VGPRBlocks: 0
; NumSGPRsForWavesPerEU: 1
; NumVGPRsForWavesPerEU: 1
; Occupancy: 16
; WaveLimiterHint : 0
; COMPUTE_PGM_RSRC2:SCRATCH_EN: 0
; COMPUTE_PGM_RSRC2:USER_SGPR: 6
; COMPUTE_PGM_RSRC2:TRAP_HANDLER: 0
; COMPUTE_PGM_RSRC2:TGID_X_EN: 1
; COMPUTE_PGM_RSRC2:TGID_Y_EN: 0
; COMPUTE_PGM_RSRC2:TGID_Z_EN: 0
; COMPUTE_PGM_RSRC2:TIDIG_COMP_CNT: 0
	.section	.text._ZN7rocprim17ROCPRIM_400000_NS6detail17trampoline_kernelINS0_14default_configENS1_27scan_by_key_config_selectorIisEEZZNS1_16scan_by_key_implILNS1_25lookback_scan_determinismE0ELb0ES3_N6thrust23THRUST_200600_302600_NS6detail15normal_iteratorINS9_10device_ptrIiEEEENSB_INSC_IsEEEESG_sNS9_4plusIvEENS9_8equal_toIvEEsEE10hipError_tPvRmT2_T3_T4_T5_mT6_T7_P12ihipStream_tbENKUlT_T0_E_clISt17integral_constantIbLb0EES11_EEDaSW_SX_EUlSW_E_NS1_11comp_targetILNS1_3genE5ELNS1_11target_archE942ELNS1_3gpuE9ELNS1_3repE0EEENS1_30default_config_static_selectorELNS0_4arch9wavefront6targetE0EEEvT1_,"axG",@progbits,_ZN7rocprim17ROCPRIM_400000_NS6detail17trampoline_kernelINS0_14default_configENS1_27scan_by_key_config_selectorIisEEZZNS1_16scan_by_key_implILNS1_25lookback_scan_determinismE0ELb0ES3_N6thrust23THRUST_200600_302600_NS6detail15normal_iteratorINS9_10device_ptrIiEEEENSB_INSC_IsEEEESG_sNS9_4plusIvEENS9_8equal_toIvEEsEE10hipError_tPvRmT2_T3_T4_T5_mT6_T7_P12ihipStream_tbENKUlT_T0_E_clISt17integral_constantIbLb0EES11_EEDaSW_SX_EUlSW_E_NS1_11comp_targetILNS1_3genE5ELNS1_11target_archE942ELNS1_3gpuE9ELNS1_3repE0EEENS1_30default_config_static_selectorELNS0_4arch9wavefront6targetE0EEEvT1_,comdat
	.protected	_ZN7rocprim17ROCPRIM_400000_NS6detail17trampoline_kernelINS0_14default_configENS1_27scan_by_key_config_selectorIisEEZZNS1_16scan_by_key_implILNS1_25lookback_scan_determinismE0ELb0ES3_N6thrust23THRUST_200600_302600_NS6detail15normal_iteratorINS9_10device_ptrIiEEEENSB_INSC_IsEEEESG_sNS9_4plusIvEENS9_8equal_toIvEEsEE10hipError_tPvRmT2_T3_T4_T5_mT6_T7_P12ihipStream_tbENKUlT_T0_E_clISt17integral_constantIbLb0EES11_EEDaSW_SX_EUlSW_E_NS1_11comp_targetILNS1_3genE5ELNS1_11target_archE942ELNS1_3gpuE9ELNS1_3repE0EEENS1_30default_config_static_selectorELNS0_4arch9wavefront6targetE0EEEvT1_ ; -- Begin function _ZN7rocprim17ROCPRIM_400000_NS6detail17trampoline_kernelINS0_14default_configENS1_27scan_by_key_config_selectorIisEEZZNS1_16scan_by_key_implILNS1_25lookback_scan_determinismE0ELb0ES3_N6thrust23THRUST_200600_302600_NS6detail15normal_iteratorINS9_10device_ptrIiEEEENSB_INSC_IsEEEESG_sNS9_4plusIvEENS9_8equal_toIvEEsEE10hipError_tPvRmT2_T3_T4_T5_mT6_T7_P12ihipStream_tbENKUlT_T0_E_clISt17integral_constantIbLb0EES11_EEDaSW_SX_EUlSW_E_NS1_11comp_targetILNS1_3genE5ELNS1_11target_archE942ELNS1_3gpuE9ELNS1_3repE0EEENS1_30default_config_static_selectorELNS0_4arch9wavefront6targetE0EEEvT1_
	.globl	_ZN7rocprim17ROCPRIM_400000_NS6detail17trampoline_kernelINS0_14default_configENS1_27scan_by_key_config_selectorIisEEZZNS1_16scan_by_key_implILNS1_25lookback_scan_determinismE0ELb0ES3_N6thrust23THRUST_200600_302600_NS6detail15normal_iteratorINS9_10device_ptrIiEEEENSB_INSC_IsEEEESG_sNS9_4plusIvEENS9_8equal_toIvEEsEE10hipError_tPvRmT2_T3_T4_T5_mT6_T7_P12ihipStream_tbENKUlT_T0_E_clISt17integral_constantIbLb0EES11_EEDaSW_SX_EUlSW_E_NS1_11comp_targetILNS1_3genE5ELNS1_11target_archE942ELNS1_3gpuE9ELNS1_3repE0EEENS1_30default_config_static_selectorELNS0_4arch9wavefront6targetE0EEEvT1_
	.p2align	8
	.type	_ZN7rocprim17ROCPRIM_400000_NS6detail17trampoline_kernelINS0_14default_configENS1_27scan_by_key_config_selectorIisEEZZNS1_16scan_by_key_implILNS1_25lookback_scan_determinismE0ELb0ES3_N6thrust23THRUST_200600_302600_NS6detail15normal_iteratorINS9_10device_ptrIiEEEENSB_INSC_IsEEEESG_sNS9_4plusIvEENS9_8equal_toIvEEsEE10hipError_tPvRmT2_T3_T4_T5_mT6_T7_P12ihipStream_tbENKUlT_T0_E_clISt17integral_constantIbLb0EES11_EEDaSW_SX_EUlSW_E_NS1_11comp_targetILNS1_3genE5ELNS1_11target_archE942ELNS1_3gpuE9ELNS1_3repE0EEENS1_30default_config_static_selectorELNS0_4arch9wavefront6targetE0EEEvT1_,@function
_ZN7rocprim17ROCPRIM_400000_NS6detail17trampoline_kernelINS0_14default_configENS1_27scan_by_key_config_selectorIisEEZZNS1_16scan_by_key_implILNS1_25lookback_scan_determinismE0ELb0ES3_N6thrust23THRUST_200600_302600_NS6detail15normal_iteratorINS9_10device_ptrIiEEEENSB_INSC_IsEEEESG_sNS9_4plusIvEENS9_8equal_toIvEEsEE10hipError_tPvRmT2_T3_T4_T5_mT6_T7_P12ihipStream_tbENKUlT_T0_E_clISt17integral_constantIbLb0EES11_EEDaSW_SX_EUlSW_E_NS1_11comp_targetILNS1_3genE5ELNS1_11target_archE942ELNS1_3gpuE9ELNS1_3repE0EEENS1_30default_config_static_selectorELNS0_4arch9wavefront6targetE0EEEvT1_: ; @_ZN7rocprim17ROCPRIM_400000_NS6detail17trampoline_kernelINS0_14default_configENS1_27scan_by_key_config_selectorIisEEZZNS1_16scan_by_key_implILNS1_25lookback_scan_determinismE0ELb0ES3_N6thrust23THRUST_200600_302600_NS6detail15normal_iteratorINS9_10device_ptrIiEEEENSB_INSC_IsEEEESG_sNS9_4plusIvEENS9_8equal_toIvEEsEE10hipError_tPvRmT2_T3_T4_T5_mT6_T7_P12ihipStream_tbENKUlT_T0_E_clISt17integral_constantIbLb0EES11_EEDaSW_SX_EUlSW_E_NS1_11comp_targetILNS1_3genE5ELNS1_11target_archE942ELNS1_3gpuE9ELNS1_3repE0EEENS1_30default_config_static_selectorELNS0_4arch9wavefront6targetE0EEEvT1_
; %bb.0:
	.section	.rodata,"a",@progbits
	.p2align	6, 0x0
	.amdhsa_kernel _ZN7rocprim17ROCPRIM_400000_NS6detail17trampoline_kernelINS0_14default_configENS1_27scan_by_key_config_selectorIisEEZZNS1_16scan_by_key_implILNS1_25lookback_scan_determinismE0ELb0ES3_N6thrust23THRUST_200600_302600_NS6detail15normal_iteratorINS9_10device_ptrIiEEEENSB_INSC_IsEEEESG_sNS9_4plusIvEENS9_8equal_toIvEEsEE10hipError_tPvRmT2_T3_T4_T5_mT6_T7_P12ihipStream_tbENKUlT_T0_E_clISt17integral_constantIbLb0EES11_EEDaSW_SX_EUlSW_E_NS1_11comp_targetILNS1_3genE5ELNS1_11target_archE942ELNS1_3gpuE9ELNS1_3repE0EEENS1_30default_config_static_selectorELNS0_4arch9wavefront6targetE0EEEvT1_
		.amdhsa_group_segment_fixed_size 0
		.amdhsa_private_segment_fixed_size 0
		.amdhsa_kernarg_size 112
		.amdhsa_user_sgpr_count 6
		.amdhsa_user_sgpr_private_segment_buffer 1
		.amdhsa_user_sgpr_dispatch_ptr 0
		.amdhsa_user_sgpr_queue_ptr 0
		.amdhsa_user_sgpr_kernarg_segment_ptr 1
		.amdhsa_user_sgpr_dispatch_id 0
		.amdhsa_user_sgpr_flat_scratch_init 0
		.amdhsa_user_sgpr_private_segment_size 0
		.amdhsa_wavefront_size32 1
		.amdhsa_uses_dynamic_stack 0
		.amdhsa_system_sgpr_private_segment_wavefront_offset 0
		.amdhsa_system_sgpr_workgroup_id_x 1
		.amdhsa_system_sgpr_workgroup_id_y 0
		.amdhsa_system_sgpr_workgroup_id_z 0
		.amdhsa_system_sgpr_workgroup_info 0
		.amdhsa_system_vgpr_workitem_id 0
		.amdhsa_next_free_vgpr 1
		.amdhsa_next_free_sgpr 1
		.amdhsa_reserve_vcc 0
		.amdhsa_reserve_flat_scratch 0
		.amdhsa_float_round_mode_32 0
		.amdhsa_float_round_mode_16_64 0
		.amdhsa_float_denorm_mode_32 3
		.amdhsa_float_denorm_mode_16_64 3
		.amdhsa_dx10_clamp 1
		.amdhsa_ieee_mode 1
		.amdhsa_fp16_overflow 0
		.amdhsa_workgroup_processor_mode 1
		.amdhsa_memory_ordered 1
		.amdhsa_forward_progress 1
		.amdhsa_shared_vgpr_count 0
		.amdhsa_exception_fp_ieee_invalid_op 0
		.amdhsa_exception_fp_denorm_src 0
		.amdhsa_exception_fp_ieee_div_zero 0
		.amdhsa_exception_fp_ieee_overflow 0
		.amdhsa_exception_fp_ieee_underflow 0
		.amdhsa_exception_fp_ieee_inexact 0
		.amdhsa_exception_int_div_zero 0
	.end_amdhsa_kernel
	.section	.text._ZN7rocprim17ROCPRIM_400000_NS6detail17trampoline_kernelINS0_14default_configENS1_27scan_by_key_config_selectorIisEEZZNS1_16scan_by_key_implILNS1_25lookback_scan_determinismE0ELb0ES3_N6thrust23THRUST_200600_302600_NS6detail15normal_iteratorINS9_10device_ptrIiEEEENSB_INSC_IsEEEESG_sNS9_4plusIvEENS9_8equal_toIvEEsEE10hipError_tPvRmT2_T3_T4_T5_mT6_T7_P12ihipStream_tbENKUlT_T0_E_clISt17integral_constantIbLb0EES11_EEDaSW_SX_EUlSW_E_NS1_11comp_targetILNS1_3genE5ELNS1_11target_archE942ELNS1_3gpuE9ELNS1_3repE0EEENS1_30default_config_static_selectorELNS0_4arch9wavefront6targetE0EEEvT1_,"axG",@progbits,_ZN7rocprim17ROCPRIM_400000_NS6detail17trampoline_kernelINS0_14default_configENS1_27scan_by_key_config_selectorIisEEZZNS1_16scan_by_key_implILNS1_25lookback_scan_determinismE0ELb0ES3_N6thrust23THRUST_200600_302600_NS6detail15normal_iteratorINS9_10device_ptrIiEEEENSB_INSC_IsEEEESG_sNS9_4plusIvEENS9_8equal_toIvEEsEE10hipError_tPvRmT2_T3_T4_T5_mT6_T7_P12ihipStream_tbENKUlT_T0_E_clISt17integral_constantIbLb0EES11_EEDaSW_SX_EUlSW_E_NS1_11comp_targetILNS1_3genE5ELNS1_11target_archE942ELNS1_3gpuE9ELNS1_3repE0EEENS1_30default_config_static_selectorELNS0_4arch9wavefront6targetE0EEEvT1_,comdat
.Lfunc_end1354:
	.size	_ZN7rocprim17ROCPRIM_400000_NS6detail17trampoline_kernelINS0_14default_configENS1_27scan_by_key_config_selectorIisEEZZNS1_16scan_by_key_implILNS1_25lookback_scan_determinismE0ELb0ES3_N6thrust23THRUST_200600_302600_NS6detail15normal_iteratorINS9_10device_ptrIiEEEENSB_INSC_IsEEEESG_sNS9_4plusIvEENS9_8equal_toIvEEsEE10hipError_tPvRmT2_T3_T4_T5_mT6_T7_P12ihipStream_tbENKUlT_T0_E_clISt17integral_constantIbLb0EES11_EEDaSW_SX_EUlSW_E_NS1_11comp_targetILNS1_3genE5ELNS1_11target_archE942ELNS1_3gpuE9ELNS1_3repE0EEENS1_30default_config_static_selectorELNS0_4arch9wavefront6targetE0EEEvT1_, .Lfunc_end1354-_ZN7rocprim17ROCPRIM_400000_NS6detail17trampoline_kernelINS0_14default_configENS1_27scan_by_key_config_selectorIisEEZZNS1_16scan_by_key_implILNS1_25lookback_scan_determinismE0ELb0ES3_N6thrust23THRUST_200600_302600_NS6detail15normal_iteratorINS9_10device_ptrIiEEEENSB_INSC_IsEEEESG_sNS9_4plusIvEENS9_8equal_toIvEEsEE10hipError_tPvRmT2_T3_T4_T5_mT6_T7_P12ihipStream_tbENKUlT_T0_E_clISt17integral_constantIbLb0EES11_EEDaSW_SX_EUlSW_E_NS1_11comp_targetILNS1_3genE5ELNS1_11target_archE942ELNS1_3gpuE9ELNS1_3repE0EEENS1_30default_config_static_selectorELNS0_4arch9wavefront6targetE0EEEvT1_
                                        ; -- End function
	.set _ZN7rocprim17ROCPRIM_400000_NS6detail17trampoline_kernelINS0_14default_configENS1_27scan_by_key_config_selectorIisEEZZNS1_16scan_by_key_implILNS1_25lookback_scan_determinismE0ELb0ES3_N6thrust23THRUST_200600_302600_NS6detail15normal_iteratorINS9_10device_ptrIiEEEENSB_INSC_IsEEEESG_sNS9_4plusIvEENS9_8equal_toIvEEsEE10hipError_tPvRmT2_T3_T4_T5_mT6_T7_P12ihipStream_tbENKUlT_T0_E_clISt17integral_constantIbLb0EES11_EEDaSW_SX_EUlSW_E_NS1_11comp_targetILNS1_3genE5ELNS1_11target_archE942ELNS1_3gpuE9ELNS1_3repE0EEENS1_30default_config_static_selectorELNS0_4arch9wavefront6targetE0EEEvT1_.num_vgpr, 0
	.set _ZN7rocprim17ROCPRIM_400000_NS6detail17trampoline_kernelINS0_14default_configENS1_27scan_by_key_config_selectorIisEEZZNS1_16scan_by_key_implILNS1_25lookback_scan_determinismE0ELb0ES3_N6thrust23THRUST_200600_302600_NS6detail15normal_iteratorINS9_10device_ptrIiEEEENSB_INSC_IsEEEESG_sNS9_4plusIvEENS9_8equal_toIvEEsEE10hipError_tPvRmT2_T3_T4_T5_mT6_T7_P12ihipStream_tbENKUlT_T0_E_clISt17integral_constantIbLb0EES11_EEDaSW_SX_EUlSW_E_NS1_11comp_targetILNS1_3genE5ELNS1_11target_archE942ELNS1_3gpuE9ELNS1_3repE0EEENS1_30default_config_static_selectorELNS0_4arch9wavefront6targetE0EEEvT1_.num_agpr, 0
	.set _ZN7rocprim17ROCPRIM_400000_NS6detail17trampoline_kernelINS0_14default_configENS1_27scan_by_key_config_selectorIisEEZZNS1_16scan_by_key_implILNS1_25lookback_scan_determinismE0ELb0ES3_N6thrust23THRUST_200600_302600_NS6detail15normal_iteratorINS9_10device_ptrIiEEEENSB_INSC_IsEEEESG_sNS9_4plusIvEENS9_8equal_toIvEEsEE10hipError_tPvRmT2_T3_T4_T5_mT6_T7_P12ihipStream_tbENKUlT_T0_E_clISt17integral_constantIbLb0EES11_EEDaSW_SX_EUlSW_E_NS1_11comp_targetILNS1_3genE5ELNS1_11target_archE942ELNS1_3gpuE9ELNS1_3repE0EEENS1_30default_config_static_selectorELNS0_4arch9wavefront6targetE0EEEvT1_.numbered_sgpr, 0
	.set _ZN7rocprim17ROCPRIM_400000_NS6detail17trampoline_kernelINS0_14default_configENS1_27scan_by_key_config_selectorIisEEZZNS1_16scan_by_key_implILNS1_25lookback_scan_determinismE0ELb0ES3_N6thrust23THRUST_200600_302600_NS6detail15normal_iteratorINS9_10device_ptrIiEEEENSB_INSC_IsEEEESG_sNS9_4plusIvEENS9_8equal_toIvEEsEE10hipError_tPvRmT2_T3_T4_T5_mT6_T7_P12ihipStream_tbENKUlT_T0_E_clISt17integral_constantIbLb0EES11_EEDaSW_SX_EUlSW_E_NS1_11comp_targetILNS1_3genE5ELNS1_11target_archE942ELNS1_3gpuE9ELNS1_3repE0EEENS1_30default_config_static_selectorELNS0_4arch9wavefront6targetE0EEEvT1_.num_named_barrier, 0
	.set _ZN7rocprim17ROCPRIM_400000_NS6detail17trampoline_kernelINS0_14default_configENS1_27scan_by_key_config_selectorIisEEZZNS1_16scan_by_key_implILNS1_25lookback_scan_determinismE0ELb0ES3_N6thrust23THRUST_200600_302600_NS6detail15normal_iteratorINS9_10device_ptrIiEEEENSB_INSC_IsEEEESG_sNS9_4plusIvEENS9_8equal_toIvEEsEE10hipError_tPvRmT2_T3_T4_T5_mT6_T7_P12ihipStream_tbENKUlT_T0_E_clISt17integral_constantIbLb0EES11_EEDaSW_SX_EUlSW_E_NS1_11comp_targetILNS1_3genE5ELNS1_11target_archE942ELNS1_3gpuE9ELNS1_3repE0EEENS1_30default_config_static_selectorELNS0_4arch9wavefront6targetE0EEEvT1_.private_seg_size, 0
	.set _ZN7rocprim17ROCPRIM_400000_NS6detail17trampoline_kernelINS0_14default_configENS1_27scan_by_key_config_selectorIisEEZZNS1_16scan_by_key_implILNS1_25lookback_scan_determinismE0ELb0ES3_N6thrust23THRUST_200600_302600_NS6detail15normal_iteratorINS9_10device_ptrIiEEEENSB_INSC_IsEEEESG_sNS9_4plusIvEENS9_8equal_toIvEEsEE10hipError_tPvRmT2_T3_T4_T5_mT6_T7_P12ihipStream_tbENKUlT_T0_E_clISt17integral_constantIbLb0EES11_EEDaSW_SX_EUlSW_E_NS1_11comp_targetILNS1_3genE5ELNS1_11target_archE942ELNS1_3gpuE9ELNS1_3repE0EEENS1_30default_config_static_selectorELNS0_4arch9wavefront6targetE0EEEvT1_.uses_vcc, 0
	.set _ZN7rocprim17ROCPRIM_400000_NS6detail17trampoline_kernelINS0_14default_configENS1_27scan_by_key_config_selectorIisEEZZNS1_16scan_by_key_implILNS1_25lookback_scan_determinismE0ELb0ES3_N6thrust23THRUST_200600_302600_NS6detail15normal_iteratorINS9_10device_ptrIiEEEENSB_INSC_IsEEEESG_sNS9_4plusIvEENS9_8equal_toIvEEsEE10hipError_tPvRmT2_T3_T4_T5_mT6_T7_P12ihipStream_tbENKUlT_T0_E_clISt17integral_constantIbLb0EES11_EEDaSW_SX_EUlSW_E_NS1_11comp_targetILNS1_3genE5ELNS1_11target_archE942ELNS1_3gpuE9ELNS1_3repE0EEENS1_30default_config_static_selectorELNS0_4arch9wavefront6targetE0EEEvT1_.uses_flat_scratch, 0
	.set _ZN7rocprim17ROCPRIM_400000_NS6detail17trampoline_kernelINS0_14default_configENS1_27scan_by_key_config_selectorIisEEZZNS1_16scan_by_key_implILNS1_25lookback_scan_determinismE0ELb0ES3_N6thrust23THRUST_200600_302600_NS6detail15normal_iteratorINS9_10device_ptrIiEEEENSB_INSC_IsEEEESG_sNS9_4plusIvEENS9_8equal_toIvEEsEE10hipError_tPvRmT2_T3_T4_T5_mT6_T7_P12ihipStream_tbENKUlT_T0_E_clISt17integral_constantIbLb0EES11_EEDaSW_SX_EUlSW_E_NS1_11comp_targetILNS1_3genE5ELNS1_11target_archE942ELNS1_3gpuE9ELNS1_3repE0EEENS1_30default_config_static_selectorELNS0_4arch9wavefront6targetE0EEEvT1_.has_dyn_sized_stack, 0
	.set _ZN7rocprim17ROCPRIM_400000_NS6detail17trampoline_kernelINS0_14default_configENS1_27scan_by_key_config_selectorIisEEZZNS1_16scan_by_key_implILNS1_25lookback_scan_determinismE0ELb0ES3_N6thrust23THRUST_200600_302600_NS6detail15normal_iteratorINS9_10device_ptrIiEEEENSB_INSC_IsEEEESG_sNS9_4plusIvEENS9_8equal_toIvEEsEE10hipError_tPvRmT2_T3_T4_T5_mT6_T7_P12ihipStream_tbENKUlT_T0_E_clISt17integral_constantIbLb0EES11_EEDaSW_SX_EUlSW_E_NS1_11comp_targetILNS1_3genE5ELNS1_11target_archE942ELNS1_3gpuE9ELNS1_3repE0EEENS1_30default_config_static_selectorELNS0_4arch9wavefront6targetE0EEEvT1_.has_recursion, 0
	.set _ZN7rocprim17ROCPRIM_400000_NS6detail17trampoline_kernelINS0_14default_configENS1_27scan_by_key_config_selectorIisEEZZNS1_16scan_by_key_implILNS1_25lookback_scan_determinismE0ELb0ES3_N6thrust23THRUST_200600_302600_NS6detail15normal_iteratorINS9_10device_ptrIiEEEENSB_INSC_IsEEEESG_sNS9_4plusIvEENS9_8equal_toIvEEsEE10hipError_tPvRmT2_T3_T4_T5_mT6_T7_P12ihipStream_tbENKUlT_T0_E_clISt17integral_constantIbLb0EES11_EEDaSW_SX_EUlSW_E_NS1_11comp_targetILNS1_3genE5ELNS1_11target_archE942ELNS1_3gpuE9ELNS1_3repE0EEENS1_30default_config_static_selectorELNS0_4arch9wavefront6targetE0EEEvT1_.has_indirect_call, 0
	.section	.AMDGPU.csdata,"",@progbits
; Kernel info:
; codeLenInByte = 0
; TotalNumSgprs: 0
; NumVgprs: 0
; ScratchSize: 0
; MemoryBound: 0
; FloatMode: 240
; IeeeMode: 1
; LDSByteSize: 0 bytes/workgroup (compile time only)
; SGPRBlocks: 0
; VGPRBlocks: 0
; NumSGPRsForWavesPerEU: 1
; NumVGPRsForWavesPerEU: 1
; Occupancy: 16
; WaveLimiterHint : 0
; COMPUTE_PGM_RSRC2:SCRATCH_EN: 0
; COMPUTE_PGM_RSRC2:USER_SGPR: 6
; COMPUTE_PGM_RSRC2:TRAP_HANDLER: 0
; COMPUTE_PGM_RSRC2:TGID_X_EN: 1
; COMPUTE_PGM_RSRC2:TGID_Y_EN: 0
; COMPUTE_PGM_RSRC2:TGID_Z_EN: 0
; COMPUTE_PGM_RSRC2:TIDIG_COMP_CNT: 0
	.section	.text._ZN7rocprim17ROCPRIM_400000_NS6detail17trampoline_kernelINS0_14default_configENS1_27scan_by_key_config_selectorIisEEZZNS1_16scan_by_key_implILNS1_25lookback_scan_determinismE0ELb0ES3_N6thrust23THRUST_200600_302600_NS6detail15normal_iteratorINS9_10device_ptrIiEEEENSB_INSC_IsEEEESG_sNS9_4plusIvEENS9_8equal_toIvEEsEE10hipError_tPvRmT2_T3_T4_T5_mT6_T7_P12ihipStream_tbENKUlT_T0_E_clISt17integral_constantIbLb0EES11_EEDaSW_SX_EUlSW_E_NS1_11comp_targetILNS1_3genE4ELNS1_11target_archE910ELNS1_3gpuE8ELNS1_3repE0EEENS1_30default_config_static_selectorELNS0_4arch9wavefront6targetE0EEEvT1_,"axG",@progbits,_ZN7rocprim17ROCPRIM_400000_NS6detail17trampoline_kernelINS0_14default_configENS1_27scan_by_key_config_selectorIisEEZZNS1_16scan_by_key_implILNS1_25lookback_scan_determinismE0ELb0ES3_N6thrust23THRUST_200600_302600_NS6detail15normal_iteratorINS9_10device_ptrIiEEEENSB_INSC_IsEEEESG_sNS9_4plusIvEENS9_8equal_toIvEEsEE10hipError_tPvRmT2_T3_T4_T5_mT6_T7_P12ihipStream_tbENKUlT_T0_E_clISt17integral_constantIbLb0EES11_EEDaSW_SX_EUlSW_E_NS1_11comp_targetILNS1_3genE4ELNS1_11target_archE910ELNS1_3gpuE8ELNS1_3repE0EEENS1_30default_config_static_selectorELNS0_4arch9wavefront6targetE0EEEvT1_,comdat
	.protected	_ZN7rocprim17ROCPRIM_400000_NS6detail17trampoline_kernelINS0_14default_configENS1_27scan_by_key_config_selectorIisEEZZNS1_16scan_by_key_implILNS1_25lookback_scan_determinismE0ELb0ES3_N6thrust23THRUST_200600_302600_NS6detail15normal_iteratorINS9_10device_ptrIiEEEENSB_INSC_IsEEEESG_sNS9_4plusIvEENS9_8equal_toIvEEsEE10hipError_tPvRmT2_T3_T4_T5_mT6_T7_P12ihipStream_tbENKUlT_T0_E_clISt17integral_constantIbLb0EES11_EEDaSW_SX_EUlSW_E_NS1_11comp_targetILNS1_3genE4ELNS1_11target_archE910ELNS1_3gpuE8ELNS1_3repE0EEENS1_30default_config_static_selectorELNS0_4arch9wavefront6targetE0EEEvT1_ ; -- Begin function _ZN7rocprim17ROCPRIM_400000_NS6detail17trampoline_kernelINS0_14default_configENS1_27scan_by_key_config_selectorIisEEZZNS1_16scan_by_key_implILNS1_25lookback_scan_determinismE0ELb0ES3_N6thrust23THRUST_200600_302600_NS6detail15normal_iteratorINS9_10device_ptrIiEEEENSB_INSC_IsEEEESG_sNS9_4plusIvEENS9_8equal_toIvEEsEE10hipError_tPvRmT2_T3_T4_T5_mT6_T7_P12ihipStream_tbENKUlT_T0_E_clISt17integral_constantIbLb0EES11_EEDaSW_SX_EUlSW_E_NS1_11comp_targetILNS1_3genE4ELNS1_11target_archE910ELNS1_3gpuE8ELNS1_3repE0EEENS1_30default_config_static_selectorELNS0_4arch9wavefront6targetE0EEEvT1_
	.globl	_ZN7rocprim17ROCPRIM_400000_NS6detail17trampoline_kernelINS0_14default_configENS1_27scan_by_key_config_selectorIisEEZZNS1_16scan_by_key_implILNS1_25lookback_scan_determinismE0ELb0ES3_N6thrust23THRUST_200600_302600_NS6detail15normal_iteratorINS9_10device_ptrIiEEEENSB_INSC_IsEEEESG_sNS9_4plusIvEENS9_8equal_toIvEEsEE10hipError_tPvRmT2_T3_T4_T5_mT6_T7_P12ihipStream_tbENKUlT_T0_E_clISt17integral_constantIbLb0EES11_EEDaSW_SX_EUlSW_E_NS1_11comp_targetILNS1_3genE4ELNS1_11target_archE910ELNS1_3gpuE8ELNS1_3repE0EEENS1_30default_config_static_selectorELNS0_4arch9wavefront6targetE0EEEvT1_
	.p2align	8
	.type	_ZN7rocprim17ROCPRIM_400000_NS6detail17trampoline_kernelINS0_14default_configENS1_27scan_by_key_config_selectorIisEEZZNS1_16scan_by_key_implILNS1_25lookback_scan_determinismE0ELb0ES3_N6thrust23THRUST_200600_302600_NS6detail15normal_iteratorINS9_10device_ptrIiEEEENSB_INSC_IsEEEESG_sNS9_4plusIvEENS9_8equal_toIvEEsEE10hipError_tPvRmT2_T3_T4_T5_mT6_T7_P12ihipStream_tbENKUlT_T0_E_clISt17integral_constantIbLb0EES11_EEDaSW_SX_EUlSW_E_NS1_11comp_targetILNS1_3genE4ELNS1_11target_archE910ELNS1_3gpuE8ELNS1_3repE0EEENS1_30default_config_static_selectorELNS0_4arch9wavefront6targetE0EEEvT1_,@function
_ZN7rocprim17ROCPRIM_400000_NS6detail17trampoline_kernelINS0_14default_configENS1_27scan_by_key_config_selectorIisEEZZNS1_16scan_by_key_implILNS1_25lookback_scan_determinismE0ELb0ES3_N6thrust23THRUST_200600_302600_NS6detail15normal_iteratorINS9_10device_ptrIiEEEENSB_INSC_IsEEEESG_sNS9_4plusIvEENS9_8equal_toIvEEsEE10hipError_tPvRmT2_T3_T4_T5_mT6_T7_P12ihipStream_tbENKUlT_T0_E_clISt17integral_constantIbLb0EES11_EEDaSW_SX_EUlSW_E_NS1_11comp_targetILNS1_3genE4ELNS1_11target_archE910ELNS1_3gpuE8ELNS1_3repE0EEENS1_30default_config_static_selectorELNS0_4arch9wavefront6targetE0EEEvT1_: ; @_ZN7rocprim17ROCPRIM_400000_NS6detail17trampoline_kernelINS0_14default_configENS1_27scan_by_key_config_selectorIisEEZZNS1_16scan_by_key_implILNS1_25lookback_scan_determinismE0ELb0ES3_N6thrust23THRUST_200600_302600_NS6detail15normal_iteratorINS9_10device_ptrIiEEEENSB_INSC_IsEEEESG_sNS9_4plusIvEENS9_8equal_toIvEEsEE10hipError_tPvRmT2_T3_T4_T5_mT6_T7_P12ihipStream_tbENKUlT_T0_E_clISt17integral_constantIbLb0EES11_EEDaSW_SX_EUlSW_E_NS1_11comp_targetILNS1_3genE4ELNS1_11target_archE910ELNS1_3gpuE8ELNS1_3repE0EEENS1_30default_config_static_selectorELNS0_4arch9wavefront6targetE0EEEvT1_
; %bb.0:
	.section	.rodata,"a",@progbits
	.p2align	6, 0x0
	.amdhsa_kernel _ZN7rocprim17ROCPRIM_400000_NS6detail17trampoline_kernelINS0_14default_configENS1_27scan_by_key_config_selectorIisEEZZNS1_16scan_by_key_implILNS1_25lookback_scan_determinismE0ELb0ES3_N6thrust23THRUST_200600_302600_NS6detail15normal_iteratorINS9_10device_ptrIiEEEENSB_INSC_IsEEEESG_sNS9_4plusIvEENS9_8equal_toIvEEsEE10hipError_tPvRmT2_T3_T4_T5_mT6_T7_P12ihipStream_tbENKUlT_T0_E_clISt17integral_constantIbLb0EES11_EEDaSW_SX_EUlSW_E_NS1_11comp_targetILNS1_3genE4ELNS1_11target_archE910ELNS1_3gpuE8ELNS1_3repE0EEENS1_30default_config_static_selectorELNS0_4arch9wavefront6targetE0EEEvT1_
		.amdhsa_group_segment_fixed_size 0
		.amdhsa_private_segment_fixed_size 0
		.amdhsa_kernarg_size 112
		.amdhsa_user_sgpr_count 6
		.amdhsa_user_sgpr_private_segment_buffer 1
		.amdhsa_user_sgpr_dispatch_ptr 0
		.amdhsa_user_sgpr_queue_ptr 0
		.amdhsa_user_sgpr_kernarg_segment_ptr 1
		.amdhsa_user_sgpr_dispatch_id 0
		.amdhsa_user_sgpr_flat_scratch_init 0
		.amdhsa_user_sgpr_private_segment_size 0
		.amdhsa_wavefront_size32 1
		.amdhsa_uses_dynamic_stack 0
		.amdhsa_system_sgpr_private_segment_wavefront_offset 0
		.amdhsa_system_sgpr_workgroup_id_x 1
		.amdhsa_system_sgpr_workgroup_id_y 0
		.amdhsa_system_sgpr_workgroup_id_z 0
		.amdhsa_system_sgpr_workgroup_info 0
		.amdhsa_system_vgpr_workitem_id 0
		.amdhsa_next_free_vgpr 1
		.amdhsa_next_free_sgpr 1
		.amdhsa_reserve_vcc 0
		.amdhsa_reserve_flat_scratch 0
		.amdhsa_float_round_mode_32 0
		.amdhsa_float_round_mode_16_64 0
		.amdhsa_float_denorm_mode_32 3
		.amdhsa_float_denorm_mode_16_64 3
		.amdhsa_dx10_clamp 1
		.amdhsa_ieee_mode 1
		.amdhsa_fp16_overflow 0
		.amdhsa_workgroup_processor_mode 1
		.amdhsa_memory_ordered 1
		.amdhsa_forward_progress 1
		.amdhsa_shared_vgpr_count 0
		.amdhsa_exception_fp_ieee_invalid_op 0
		.amdhsa_exception_fp_denorm_src 0
		.amdhsa_exception_fp_ieee_div_zero 0
		.amdhsa_exception_fp_ieee_overflow 0
		.amdhsa_exception_fp_ieee_underflow 0
		.amdhsa_exception_fp_ieee_inexact 0
		.amdhsa_exception_int_div_zero 0
	.end_amdhsa_kernel
	.section	.text._ZN7rocprim17ROCPRIM_400000_NS6detail17trampoline_kernelINS0_14default_configENS1_27scan_by_key_config_selectorIisEEZZNS1_16scan_by_key_implILNS1_25lookback_scan_determinismE0ELb0ES3_N6thrust23THRUST_200600_302600_NS6detail15normal_iteratorINS9_10device_ptrIiEEEENSB_INSC_IsEEEESG_sNS9_4plusIvEENS9_8equal_toIvEEsEE10hipError_tPvRmT2_T3_T4_T5_mT6_T7_P12ihipStream_tbENKUlT_T0_E_clISt17integral_constantIbLb0EES11_EEDaSW_SX_EUlSW_E_NS1_11comp_targetILNS1_3genE4ELNS1_11target_archE910ELNS1_3gpuE8ELNS1_3repE0EEENS1_30default_config_static_selectorELNS0_4arch9wavefront6targetE0EEEvT1_,"axG",@progbits,_ZN7rocprim17ROCPRIM_400000_NS6detail17trampoline_kernelINS0_14default_configENS1_27scan_by_key_config_selectorIisEEZZNS1_16scan_by_key_implILNS1_25lookback_scan_determinismE0ELb0ES3_N6thrust23THRUST_200600_302600_NS6detail15normal_iteratorINS9_10device_ptrIiEEEENSB_INSC_IsEEEESG_sNS9_4plusIvEENS9_8equal_toIvEEsEE10hipError_tPvRmT2_T3_T4_T5_mT6_T7_P12ihipStream_tbENKUlT_T0_E_clISt17integral_constantIbLb0EES11_EEDaSW_SX_EUlSW_E_NS1_11comp_targetILNS1_3genE4ELNS1_11target_archE910ELNS1_3gpuE8ELNS1_3repE0EEENS1_30default_config_static_selectorELNS0_4arch9wavefront6targetE0EEEvT1_,comdat
.Lfunc_end1355:
	.size	_ZN7rocprim17ROCPRIM_400000_NS6detail17trampoline_kernelINS0_14default_configENS1_27scan_by_key_config_selectorIisEEZZNS1_16scan_by_key_implILNS1_25lookback_scan_determinismE0ELb0ES3_N6thrust23THRUST_200600_302600_NS6detail15normal_iteratorINS9_10device_ptrIiEEEENSB_INSC_IsEEEESG_sNS9_4plusIvEENS9_8equal_toIvEEsEE10hipError_tPvRmT2_T3_T4_T5_mT6_T7_P12ihipStream_tbENKUlT_T0_E_clISt17integral_constantIbLb0EES11_EEDaSW_SX_EUlSW_E_NS1_11comp_targetILNS1_3genE4ELNS1_11target_archE910ELNS1_3gpuE8ELNS1_3repE0EEENS1_30default_config_static_selectorELNS0_4arch9wavefront6targetE0EEEvT1_, .Lfunc_end1355-_ZN7rocprim17ROCPRIM_400000_NS6detail17trampoline_kernelINS0_14default_configENS1_27scan_by_key_config_selectorIisEEZZNS1_16scan_by_key_implILNS1_25lookback_scan_determinismE0ELb0ES3_N6thrust23THRUST_200600_302600_NS6detail15normal_iteratorINS9_10device_ptrIiEEEENSB_INSC_IsEEEESG_sNS9_4plusIvEENS9_8equal_toIvEEsEE10hipError_tPvRmT2_T3_T4_T5_mT6_T7_P12ihipStream_tbENKUlT_T0_E_clISt17integral_constantIbLb0EES11_EEDaSW_SX_EUlSW_E_NS1_11comp_targetILNS1_3genE4ELNS1_11target_archE910ELNS1_3gpuE8ELNS1_3repE0EEENS1_30default_config_static_selectorELNS0_4arch9wavefront6targetE0EEEvT1_
                                        ; -- End function
	.set _ZN7rocprim17ROCPRIM_400000_NS6detail17trampoline_kernelINS0_14default_configENS1_27scan_by_key_config_selectorIisEEZZNS1_16scan_by_key_implILNS1_25lookback_scan_determinismE0ELb0ES3_N6thrust23THRUST_200600_302600_NS6detail15normal_iteratorINS9_10device_ptrIiEEEENSB_INSC_IsEEEESG_sNS9_4plusIvEENS9_8equal_toIvEEsEE10hipError_tPvRmT2_T3_T4_T5_mT6_T7_P12ihipStream_tbENKUlT_T0_E_clISt17integral_constantIbLb0EES11_EEDaSW_SX_EUlSW_E_NS1_11comp_targetILNS1_3genE4ELNS1_11target_archE910ELNS1_3gpuE8ELNS1_3repE0EEENS1_30default_config_static_selectorELNS0_4arch9wavefront6targetE0EEEvT1_.num_vgpr, 0
	.set _ZN7rocprim17ROCPRIM_400000_NS6detail17trampoline_kernelINS0_14default_configENS1_27scan_by_key_config_selectorIisEEZZNS1_16scan_by_key_implILNS1_25lookback_scan_determinismE0ELb0ES3_N6thrust23THRUST_200600_302600_NS6detail15normal_iteratorINS9_10device_ptrIiEEEENSB_INSC_IsEEEESG_sNS9_4plusIvEENS9_8equal_toIvEEsEE10hipError_tPvRmT2_T3_T4_T5_mT6_T7_P12ihipStream_tbENKUlT_T0_E_clISt17integral_constantIbLb0EES11_EEDaSW_SX_EUlSW_E_NS1_11comp_targetILNS1_3genE4ELNS1_11target_archE910ELNS1_3gpuE8ELNS1_3repE0EEENS1_30default_config_static_selectorELNS0_4arch9wavefront6targetE0EEEvT1_.num_agpr, 0
	.set _ZN7rocprim17ROCPRIM_400000_NS6detail17trampoline_kernelINS0_14default_configENS1_27scan_by_key_config_selectorIisEEZZNS1_16scan_by_key_implILNS1_25lookback_scan_determinismE0ELb0ES3_N6thrust23THRUST_200600_302600_NS6detail15normal_iteratorINS9_10device_ptrIiEEEENSB_INSC_IsEEEESG_sNS9_4plusIvEENS9_8equal_toIvEEsEE10hipError_tPvRmT2_T3_T4_T5_mT6_T7_P12ihipStream_tbENKUlT_T0_E_clISt17integral_constantIbLb0EES11_EEDaSW_SX_EUlSW_E_NS1_11comp_targetILNS1_3genE4ELNS1_11target_archE910ELNS1_3gpuE8ELNS1_3repE0EEENS1_30default_config_static_selectorELNS0_4arch9wavefront6targetE0EEEvT1_.numbered_sgpr, 0
	.set _ZN7rocprim17ROCPRIM_400000_NS6detail17trampoline_kernelINS0_14default_configENS1_27scan_by_key_config_selectorIisEEZZNS1_16scan_by_key_implILNS1_25lookback_scan_determinismE0ELb0ES3_N6thrust23THRUST_200600_302600_NS6detail15normal_iteratorINS9_10device_ptrIiEEEENSB_INSC_IsEEEESG_sNS9_4plusIvEENS9_8equal_toIvEEsEE10hipError_tPvRmT2_T3_T4_T5_mT6_T7_P12ihipStream_tbENKUlT_T0_E_clISt17integral_constantIbLb0EES11_EEDaSW_SX_EUlSW_E_NS1_11comp_targetILNS1_3genE4ELNS1_11target_archE910ELNS1_3gpuE8ELNS1_3repE0EEENS1_30default_config_static_selectorELNS0_4arch9wavefront6targetE0EEEvT1_.num_named_barrier, 0
	.set _ZN7rocprim17ROCPRIM_400000_NS6detail17trampoline_kernelINS0_14default_configENS1_27scan_by_key_config_selectorIisEEZZNS1_16scan_by_key_implILNS1_25lookback_scan_determinismE0ELb0ES3_N6thrust23THRUST_200600_302600_NS6detail15normal_iteratorINS9_10device_ptrIiEEEENSB_INSC_IsEEEESG_sNS9_4plusIvEENS9_8equal_toIvEEsEE10hipError_tPvRmT2_T3_T4_T5_mT6_T7_P12ihipStream_tbENKUlT_T0_E_clISt17integral_constantIbLb0EES11_EEDaSW_SX_EUlSW_E_NS1_11comp_targetILNS1_3genE4ELNS1_11target_archE910ELNS1_3gpuE8ELNS1_3repE0EEENS1_30default_config_static_selectorELNS0_4arch9wavefront6targetE0EEEvT1_.private_seg_size, 0
	.set _ZN7rocprim17ROCPRIM_400000_NS6detail17trampoline_kernelINS0_14default_configENS1_27scan_by_key_config_selectorIisEEZZNS1_16scan_by_key_implILNS1_25lookback_scan_determinismE0ELb0ES3_N6thrust23THRUST_200600_302600_NS6detail15normal_iteratorINS9_10device_ptrIiEEEENSB_INSC_IsEEEESG_sNS9_4plusIvEENS9_8equal_toIvEEsEE10hipError_tPvRmT2_T3_T4_T5_mT6_T7_P12ihipStream_tbENKUlT_T0_E_clISt17integral_constantIbLb0EES11_EEDaSW_SX_EUlSW_E_NS1_11comp_targetILNS1_3genE4ELNS1_11target_archE910ELNS1_3gpuE8ELNS1_3repE0EEENS1_30default_config_static_selectorELNS0_4arch9wavefront6targetE0EEEvT1_.uses_vcc, 0
	.set _ZN7rocprim17ROCPRIM_400000_NS6detail17trampoline_kernelINS0_14default_configENS1_27scan_by_key_config_selectorIisEEZZNS1_16scan_by_key_implILNS1_25lookback_scan_determinismE0ELb0ES3_N6thrust23THRUST_200600_302600_NS6detail15normal_iteratorINS9_10device_ptrIiEEEENSB_INSC_IsEEEESG_sNS9_4plusIvEENS9_8equal_toIvEEsEE10hipError_tPvRmT2_T3_T4_T5_mT6_T7_P12ihipStream_tbENKUlT_T0_E_clISt17integral_constantIbLb0EES11_EEDaSW_SX_EUlSW_E_NS1_11comp_targetILNS1_3genE4ELNS1_11target_archE910ELNS1_3gpuE8ELNS1_3repE0EEENS1_30default_config_static_selectorELNS0_4arch9wavefront6targetE0EEEvT1_.uses_flat_scratch, 0
	.set _ZN7rocprim17ROCPRIM_400000_NS6detail17trampoline_kernelINS0_14default_configENS1_27scan_by_key_config_selectorIisEEZZNS1_16scan_by_key_implILNS1_25lookback_scan_determinismE0ELb0ES3_N6thrust23THRUST_200600_302600_NS6detail15normal_iteratorINS9_10device_ptrIiEEEENSB_INSC_IsEEEESG_sNS9_4plusIvEENS9_8equal_toIvEEsEE10hipError_tPvRmT2_T3_T4_T5_mT6_T7_P12ihipStream_tbENKUlT_T0_E_clISt17integral_constantIbLb0EES11_EEDaSW_SX_EUlSW_E_NS1_11comp_targetILNS1_3genE4ELNS1_11target_archE910ELNS1_3gpuE8ELNS1_3repE0EEENS1_30default_config_static_selectorELNS0_4arch9wavefront6targetE0EEEvT1_.has_dyn_sized_stack, 0
	.set _ZN7rocprim17ROCPRIM_400000_NS6detail17trampoline_kernelINS0_14default_configENS1_27scan_by_key_config_selectorIisEEZZNS1_16scan_by_key_implILNS1_25lookback_scan_determinismE0ELb0ES3_N6thrust23THRUST_200600_302600_NS6detail15normal_iteratorINS9_10device_ptrIiEEEENSB_INSC_IsEEEESG_sNS9_4plusIvEENS9_8equal_toIvEEsEE10hipError_tPvRmT2_T3_T4_T5_mT6_T7_P12ihipStream_tbENKUlT_T0_E_clISt17integral_constantIbLb0EES11_EEDaSW_SX_EUlSW_E_NS1_11comp_targetILNS1_3genE4ELNS1_11target_archE910ELNS1_3gpuE8ELNS1_3repE0EEENS1_30default_config_static_selectorELNS0_4arch9wavefront6targetE0EEEvT1_.has_recursion, 0
	.set _ZN7rocprim17ROCPRIM_400000_NS6detail17trampoline_kernelINS0_14default_configENS1_27scan_by_key_config_selectorIisEEZZNS1_16scan_by_key_implILNS1_25lookback_scan_determinismE0ELb0ES3_N6thrust23THRUST_200600_302600_NS6detail15normal_iteratorINS9_10device_ptrIiEEEENSB_INSC_IsEEEESG_sNS9_4plusIvEENS9_8equal_toIvEEsEE10hipError_tPvRmT2_T3_T4_T5_mT6_T7_P12ihipStream_tbENKUlT_T0_E_clISt17integral_constantIbLb0EES11_EEDaSW_SX_EUlSW_E_NS1_11comp_targetILNS1_3genE4ELNS1_11target_archE910ELNS1_3gpuE8ELNS1_3repE0EEENS1_30default_config_static_selectorELNS0_4arch9wavefront6targetE0EEEvT1_.has_indirect_call, 0
	.section	.AMDGPU.csdata,"",@progbits
; Kernel info:
; codeLenInByte = 0
; TotalNumSgprs: 0
; NumVgprs: 0
; ScratchSize: 0
; MemoryBound: 0
; FloatMode: 240
; IeeeMode: 1
; LDSByteSize: 0 bytes/workgroup (compile time only)
; SGPRBlocks: 0
; VGPRBlocks: 0
; NumSGPRsForWavesPerEU: 1
; NumVGPRsForWavesPerEU: 1
; Occupancy: 16
; WaveLimiterHint : 0
; COMPUTE_PGM_RSRC2:SCRATCH_EN: 0
; COMPUTE_PGM_RSRC2:USER_SGPR: 6
; COMPUTE_PGM_RSRC2:TRAP_HANDLER: 0
; COMPUTE_PGM_RSRC2:TGID_X_EN: 1
; COMPUTE_PGM_RSRC2:TGID_Y_EN: 0
; COMPUTE_PGM_RSRC2:TGID_Z_EN: 0
; COMPUTE_PGM_RSRC2:TIDIG_COMP_CNT: 0
	.section	.text._ZN7rocprim17ROCPRIM_400000_NS6detail17trampoline_kernelINS0_14default_configENS1_27scan_by_key_config_selectorIisEEZZNS1_16scan_by_key_implILNS1_25lookback_scan_determinismE0ELb0ES3_N6thrust23THRUST_200600_302600_NS6detail15normal_iteratorINS9_10device_ptrIiEEEENSB_INSC_IsEEEESG_sNS9_4plusIvEENS9_8equal_toIvEEsEE10hipError_tPvRmT2_T3_T4_T5_mT6_T7_P12ihipStream_tbENKUlT_T0_E_clISt17integral_constantIbLb0EES11_EEDaSW_SX_EUlSW_E_NS1_11comp_targetILNS1_3genE3ELNS1_11target_archE908ELNS1_3gpuE7ELNS1_3repE0EEENS1_30default_config_static_selectorELNS0_4arch9wavefront6targetE0EEEvT1_,"axG",@progbits,_ZN7rocprim17ROCPRIM_400000_NS6detail17trampoline_kernelINS0_14default_configENS1_27scan_by_key_config_selectorIisEEZZNS1_16scan_by_key_implILNS1_25lookback_scan_determinismE0ELb0ES3_N6thrust23THRUST_200600_302600_NS6detail15normal_iteratorINS9_10device_ptrIiEEEENSB_INSC_IsEEEESG_sNS9_4plusIvEENS9_8equal_toIvEEsEE10hipError_tPvRmT2_T3_T4_T5_mT6_T7_P12ihipStream_tbENKUlT_T0_E_clISt17integral_constantIbLb0EES11_EEDaSW_SX_EUlSW_E_NS1_11comp_targetILNS1_3genE3ELNS1_11target_archE908ELNS1_3gpuE7ELNS1_3repE0EEENS1_30default_config_static_selectorELNS0_4arch9wavefront6targetE0EEEvT1_,comdat
	.protected	_ZN7rocprim17ROCPRIM_400000_NS6detail17trampoline_kernelINS0_14default_configENS1_27scan_by_key_config_selectorIisEEZZNS1_16scan_by_key_implILNS1_25lookback_scan_determinismE0ELb0ES3_N6thrust23THRUST_200600_302600_NS6detail15normal_iteratorINS9_10device_ptrIiEEEENSB_INSC_IsEEEESG_sNS9_4plusIvEENS9_8equal_toIvEEsEE10hipError_tPvRmT2_T3_T4_T5_mT6_T7_P12ihipStream_tbENKUlT_T0_E_clISt17integral_constantIbLb0EES11_EEDaSW_SX_EUlSW_E_NS1_11comp_targetILNS1_3genE3ELNS1_11target_archE908ELNS1_3gpuE7ELNS1_3repE0EEENS1_30default_config_static_selectorELNS0_4arch9wavefront6targetE0EEEvT1_ ; -- Begin function _ZN7rocprim17ROCPRIM_400000_NS6detail17trampoline_kernelINS0_14default_configENS1_27scan_by_key_config_selectorIisEEZZNS1_16scan_by_key_implILNS1_25lookback_scan_determinismE0ELb0ES3_N6thrust23THRUST_200600_302600_NS6detail15normal_iteratorINS9_10device_ptrIiEEEENSB_INSC_IsEEEESG_sNS9_4plusIvEENS9_8equal_toIvEEsEE10hipError_tPvRmT2_T3_T4_T5_mT6_T7_P12ihipStream_tbENKUlT_T0_E_clISt17integral_constantIbLb0EES11_EEDaSW_SX_EUlSW_E_NS1_11comp_targetILNS1_3genE3ELNS1_11target_archE908ELNS1_3gpuE7ELNS1_3repE0EEENS1_30default_config_static_selectorELNS0_4arch9wavefront6targetE0EEEvT1_
	.globl	_ZN7rocprim17ROCPRIM_400000_NS6detail17trampoline_kernelINS0_14default_configENS1_27scan_by_key_config_selectorIisEEZZNS1_16scan_by_key_implILNS1_25lookback_scan_determinismE0ELb0ES3_N6thrust23THRUST_200600_302600_NS6detail15normal_iteratorINS9_10device_ptrIiEEEENSB_INSC_IsEEEESG_sNS9_4plusIvEENS9_8equal_toIvEEsEE10hipError_tPvRmT2_T3_T4_T5_mT6_T7_P12ihipStream_tbENKUlT_T0_E_clISt17integral_constantIbLb0EES11_EEDaSW_SX_EUlSW_E_NS1_11comp_targetILNS1_3genE3ELNS1_11target_archE908ELNS1_3gpuE7ELNS1_3repE0EEENS1_30default_config_static_selectorELNS0_4arch9wavefront6targetE0EEEvT1_
	.p2align	8
	.type	_ZN7rocprim17ROCPRIM_400000_NS6detail17trampoline_kernelINS0_14default_configENS1_27scan_by_key_config_selectorIisEEZZNS1_16scan_by_key_implILNS1_25lookback_scan_determinismE0ELb0ES3_N6thrust23THRUST_200600_302600_NS6detail15normal_iteratorINS9_10device_ptrIiEEEENSB_INSC_IsEEEESG_sNS9_4plusIvEENS9_8equal_toIvEEsEE10hipError_tPvRmT2_T3_T4_T5_mT6_T7_P12ihipStream_tbENKUlT_T0_E_clISt17integral_constantIbLb0EES11_EEDaSW_SX_EUlSW_E_NS1_11comp_targetILNS1_3genE3ELNS1_11target_archE908ELNS1_3gpuE7ELNS1_3repE0EEENS1_30default_config_static_selectorELNS0_4arch9wavefront6targetE0EEEvT1_,@function
_ZN7rocprim17ROCPRIM_400000_NS6detail17trampoline_kernelINS0_14default_configENS1_27scan_by_key_config_selectorIisEEZZNS1_16scan_by_key_implILNS1_25lookback_scan_determinismE0ELb0ES3_N6thrust23THRUST_200600_302600_NS6detail15normal_iteratorINS9_10device_ptrIiEEEENSB_INSC_IsEEEESG_sNS9_4plusIvEENS9_8equal_toIvEEsEE10hipError_tPvRmT2_T3_T4_T5_mT6_T7_P12ihipStream_tbENKUlT_T0_E_clISt17integral_constantIbLb0EES11_EEDaSW_SX_EUlSW_E_NS1_11comp_targetILNS1_3genE3ELNS1_11target_archE908ELNS1_3gpuE7ELNS1_3repE0EEENS1_30default_config_static_selectorELNS0_4arch9wavefront6targetE0EEEvT1_: ; @_ZN7rocprim17ROCPRIM_400000_NS6detail17trampoline_kernelINS0_14default_configENS1_27scan_by_key_config_selectorIisEEZZNS1_16scan_by_key_implILNS1_25lookback_scan_determinismE0ELb0ES3_N6thrust23THRUST_200600_302600_NS6detail15normal_iteratorINS9_10device_ptrIiEEEENSB_INSC_IsEEEESG_sNS9_4plusIvEENS9_8equal_toIvEEsEE10hipError_tPvRmT2_T3_T4_T5_mT6_T7_P12ihipStream_tbENKUlT_T0_E_clISt17integral_constantIbLb0EES11_EEDaSW_SX_EUlSW_E_NS1_11comp_targetILNS1_3genE3ELNS1_11target_archE908ELNS1_3gpuE7ELNS1_3repE0EEENS1_30default_config_static_selectorELNS0_4arch9wavefront6targetE0EEEvT1_
; %bb.0:
	.section	.rodata,"a",@progbits
	.p2align	6, 0x0
	.amdhsa_kernel _ZN7rocprim17ROCPRIM_400000_NS6detail17trampoline_kernelINS0_14default_configENS1_27scan_by_key_config_selectorIisEEZZNS1_16scan_by_key_implILNS1_25lookback_scan_determinismE0ELb0ES3_N6thrust23THRUST_200600_302600_NS6detail15normal_iteratorINS9_10device_ptrIiEEEENSB_INSC_IsEEEESG_sNS9_4plusIvEENS9_8equal_toIvEEsEE10hipError_tPvRmT2_T3_T4_T5_mT6_T7_P12ihipStream_tbENKUlT_T0_E_clISt17integral_constantIbLb0EES11_EEDaSW_SX_EUlSW_E_NS1_11comp_targetILNS1_3genE3ELNS1_11target_archE908ELNS1_3gpuE7ELNS1_3repE0EEENS1_30default_config_static_selectorELNS0_4arch9wavefront6targetE0EEEvT1_
		.amdhsa_group_segment_fixed_size 0
		.amdhsa_private_segment_fixed_size 0
		.amdhsa_kernarg_size 112
		.amdhsa_user_sgpr_count 6
		.amdhsa_user_sgpr_private_segment_buffer 1
		.amdhsa_user_sgpr_dispatch_ptr 0
		.amdhsa_user_sgpr_queue_ptr 0
		.amdhsa_user_sgpr_kernarg_segment_ptr 1
		.amdhsa_user_sgpr_dispatch_id 0
		.amdhsa_user_sgpr_flat_scratch_init 0
		.amdhsa_user_sgpr_private_segment_size 0
		.amdhsa_wavefront_size32 1
		.amdhsa_uses_dynamic_stack 0
		.amdhsa_system_sgpr_private_segment_wavefront_offset 0
		.amdhsa_system_sgpr_workgroup_id_x 1
		.amdhsa_system_sgpr_workgroup_id_y 0
		.amdhsa_system_sgpr_workgroup_id_z 0
		.amdhsa_system_sgpr_workgroup_info 0
		.amdhsa_system_vgpr_workitem_id 0
		.amdhsa_next_free_vgpr 1
		.amdhsa_next_free_sgpr 1
		.amdhsa_reserve_vcc 0
		.amdhsa_reserve_flat_scratch 0
		.amdhsa_float_round_mode_32 0
		.amdhsa_float_round_mode_16_64 0
		.amdhsa_float_denorm_mode_32 3
		.amdhsa_float_denorm_mode_16_64 3
		.amdhsa_dx10_clamp 1
		.amdhsa_ieee_mode 1
		.amdhsa_fp16_overflow 0
		.amdhsa_workgroup_processor_mode 1
		.amdhsa_memory_ordered 1
		.amdhsa_forward_progress 1
		.amdhsa_shared_vgpr_count 0
		.amdhsa_exception_fp_ieee_invalid_op 0
		.amdhsa_exception_fp_denorm_src 0
		.amdhsa_exception_fp_ieee_div_zero 0
		.amdhsa_exception_fp_ieee_overflow 0
		.amdhsa_exception_fp_ieee_underflow 0
		.amdhsa_exception_fp_ieee_inexact 0
		.amdhsa_exception_int_div_zero 0
	.end_amdhsa_kernel
	.section	.text._ZN7rocprim17ROCPRIM_400000_NS6detail17trampoline_kernelINS0_14default_configENS1_27scan_by_key_config_selectorIisEEZZNS1_16scan_by_key_implILNS1_25lookback_scan_determinismE0ELb0ES3_N6thrust23THRUST_200600_302600_NS6detail15normal_iteratorINS9_10device_ptrIiEEEENSB_INSC_IsEEEESG_sNS9_4plusIvEENS9_8equal_toIvEEsEE10hipError_tPvRmT2_T3_T4_T5_mT6_T7_P12ihipStream_tbENKUlT_T0_E_clISt17integral_constantIbLb0EES11_EEDaSW_SX_EUlSW_E_NS1_11comp_targetILNS1_3genE3ELNS1_11target_archE908ELNS1_3gpuE7ELNS1_3repE0EEENS1_30default_config_static_selectorELNS0_4arch9wavefront6targetE0EEEvT1_,"axG",@progbits,_ZN7rocprim17ROCPRIM_400000_NS6detail17trampoline_kernelINS0_14default_configENS1_27scan_by_key_config_selectorIisEEZZNS1_16scan_by_key_implILNS1_25lookback_scan_determinismE0ELb0ES3_N6thrust23THRUST_200600_302600_NS6detail15normal_iteratorINS9_10device_ptrIiEEEENSB_INSC_IsEEEESG_sNS9_4plusIvEENS9_8equal_toIvEEsEE10hipError_tPvRmT2_T3_T4_T5_mT6_T7_P12ihipStream_tbENKUlT_T0_E_clISt17integral_constantIbLb0EES11_EEDaSW_SX_EUlSW_E_NS1_11comp_targetILNS1_3genE3ELNS1_11target_archE908ELNS1_3gpuE7ELNS1_3repE0EEENS1_30default_config_static_selectorELNS0_4arch9wavefront6targetE0EEEvT1_,comdat
.Lfunc_end1356:
	.size	_ZN7rocprim17ROCPRIM_400000_NS6detail17trampoline_kernelINS0_14default_configENS1_27scan_by_key_config_selectorIisEEZZNS1_16scan_by_key_implILNS1_25lookback_scan_determinismE0ELb0ES3_N6thrust23THRUST_200600_302600_NS6detail15normal_iteratorINS9_10device_ptrIiEEEENSB_INSC_IsEEEESG_sNS9_4plusIvEENS9_8equal_toIvEEsEE10hipError_tPvRmT2_T3_T4_T5_mT6_T7_P12ihipStream_tbENKUlT_T0_E_clISt17integral_constantIbLb0EES11_EEDaSW_SX_EUlSW_E_NS1_11comp_targetILNS1_3genE3ELNS1_11target_archE908ELNS1_3gpuE7ELNS1_3repE0EEENS1_30default_config_static_selectorELNS0_4arch9wavefront6targetE0EEEvT1_, .Lfunc_end1356-_ZN7rocprim17ROCPRIM_400000_NS6detail17trampoline_kernelINS0_14default_configENS1_27scan_by_key_config_selectorIisEEZZNS1_16scan_by_key_implILNS1_25lookback_scan_determinismE0ELb0ES3_N6thrust23THRUST_200600_302600_NS6detail15normal_iteratorINS9_10device_ptrIiEEEENSB_INSC_IsEEEESG_sNS9_4plusIvEENS9_8equal_toIvEEsEE10hipError_tPvRmT2_T3_T4_T5_mT6_T7_P12ihipStream_tbENKUlT_T0_E_clISt17integral_constantIbLb0EES11_EEDaSW_SX_EUlSW_E_NS1_11comp_targetILNS1_3genE3ELNS1_11target_archE908ELNS1_3gpuE7ELNS1_3repE0EEENS1_30default_config_static_selectorELNS0_4arch9wavefront6targetE0EEEvT1_
                                        ; -- End function
	.set _ZN7rocprim17ROCPRIM_400000_NS6detail17trampoline_kernelINS0_14default_configENS1_27scan_by_key_config_selectorIisEEZZNS1_16scan_by_key_implILNS1_25lookback_scan_determinismE0ELb0ES3_N6thrust23THRUST_200600_302600_NS6detail15normal_iteratorINS9_10device_ptrIiEEEENSB_INSC_IsEEEESG_sNS9_4plusIvEENS9_8equal_toIvEEsEE10hipError_tPvRmT2_T3_T4_T5_mT6_T7_P12ihipStream_tbENKUlT_T0_E_clISt17integral_constantIbLb0EES11_EEDaSW_SX_EUlSW_E_NS1_11comp_targetILNS1_3genE3ELNS1_11target_archE908ELNS1_3gpuE7ELNS1_3repE0EEENS1_30default_config_static_selectorELNS0_4arch9wavefront6targetE0EEEvT1_.num_vgpr, 0
	.set _ZN7rocprim17ROCPRIM_400000_NS6detail17trampoline_kernelINS0_14default_configENS1_27scan_by_key_config_selectorIisEEZZNS1_16scan_by_key_implILNS1_25lookback_scan_determinismE0ELb0ES3_N6thrust23THRUST_200600_302600_NS6detail15normal_iteratorINS9_10device_ptrIiEEEENSB_INSC_IsEEEESG_sNS9_4plusIvEENS9_8equal_toIvEEsEE10hipError_tPvRmT2_T3_T4_T5_mT6_T7_P12ihipStream_tbENKUlT_T0_E_clISt17integral_constantIbLb0EES11_EEDaSW_SX_EUlSW_E_NS1_11comp_targetILNS1_3genE3ELNS1_11target_archE908ELNS1_3gpuE7ELNS1_3repE0EEENS1_30default_config_static_selectorELNS0_4arch9wavefront6targetE0EEEvT1_.num_agpr, 0
	.set _ZN7rocprim17ROCPRIM_400000_NS6detail17trampoline_kernelINS0_14default_configENS1_27scan_by_key_config_selectorIisEEZZNS1_16scan_by_key_implILNS1_25lookback_scan_determinismE0ELb0ES3_N6thrust23THRUST_200600_302600_NS6detail15normal_iteratorINS9_10device_ptrIiEEEENSB_INSC_IsEEEESG_sNS9_4plusIvEENS9_8equal_toIvEEsEE10hipError_tPvRmT2_T3_T4_T5_mT6_T7_P12ihipStream_tbENKUlT_T0_E_clISt17integral_constantIbLb0EES11_EEDaSW_SX_EUlSW_E_NS1_11comp_targetILNS1_3genE3ELNS1_11target_archE908ELNS1_3gpuE7ELNS1_3repE0EEENS1_30default_config_static_selectorELNS0_4arch9wavefront6targetE0EEEvT1_.numbered_sgpr, 0
	.set _ZN7rocprim17ROCPRIM_400000_NS6detail17trampoline_kernelINS0_14default_configENS1_27scan_by_key_config_selectorIisEEZZNS1_16scan_by_key_implILNS1_25lookback_scan_determinismE0ELb0ES3_N6thrust23THRUST_200600_302600_NS6detail15normal_iteratorINS9_10device_ptrIiEEEENSB_INSC_IsEEEESG_sNS9_4plusIvEENS9_8equal_toIvEEsEE10hipError_tPvRmT2_T3_T4_T5_mT6_T7_P12ihipStream_tbENKUlT_T0_E_clISt17integral_constantIbLb0EES11_EEDaSW_SX_EUlSW_E_NS1_11comp_targetILNS1_3genE3ELNS1_11target_archE908ELNS1_3gpuE7ELNS1_3repE0EEENS1_30default_config_static_selectorELNS0_4arch9wavefront6targetE0EEEvT1_.num_named_barrier, 0
	.set _ZN7rocprim17ROCPRIM_400000_NS6detail17trampoline_kernelINS0_14default_configENS1_27scan_by_key_config_selectorIisEEZZNS1_16scan_by_key_implILNS1_25lookback_scan_determinismE0ELb0ES3_N6thrust23THRUST_200600_302600_NS6detail15normal_iteratorINS9_10device_ptrIiEEEENSB_INSC_IsEEEESG_sNS9_4plusIvEENS9_8equal_toIvEEsEE10hipError_tPvRmT2_T3_T4_T5_mT6_T7_P12ihipStream_tbENKUlT_T0_E_clISt17integral_constantIbLb0EES11_EEDaSW_SX_EUlSW_E_NS1_11comp_targetILNS1_3genE3ELNS1_11target_archE908ELNS1_3gpuE7ELNS1_3repE0EEENS1_30default_config_static_selectorELNS0_4arch9wavefront6targetE0EEEvT1_.private_seg_size, 0
	.set _ZN7rocprim17ROCPRIM_400000_NS6detail17trampoline_kernelINS0_14default_configENS1_27scan_by_key_config_selectorIisEEZZNS1_16scan_by_key_implILNS1_25lookback_scan_determinismE0ELb0ES3_N6thrust23THRUST_200600_302600_NS6detail15normal_iteratorINS9_10device_ptrIiEEEENSB_INSC_IsEEEESG_sNS9_4plusIvEENS9_8equal_toIvEEsEE10hipError_tPvRmT2_T3_T4_T5_mT6_T7_P12ihipStream_tbENKUlT_T0_E_clISt17integral_constantIbLb0EES11_EEDaSW_SX_EUlSW_E_NS1_11comp_targetILNS1_3genE3ELNS1_11target_archE908ELNS1_3gpuE7ELNS1_3repE0EEENS1_30default_config_static_selectorELNS0_4arch9wavefront6targetE0EEEvT1_.uses_vcc, 0
	.set _ZN7rocprim17ROCPRIM_400000_NS6detail17trampoline_kernelINS0_14default_configENS1_27scan_by_key_config_selectorIisEEZZNS1_16scan_by_key_implILNS1_25lookback_scan_determinismE0ELb0ES3_N6thrust23THRUST_200600_302600_NS6detail15normal_iteratorINS9_10device_ptrIiEEEENSB_INSC_IsEEEESG_sNS9_4plusIvEENS9_8equal_toIvEEsEE10hipError_tPvRmT2_T3_T4_T5_mT6_T7_P12ihipStream_tbENKUlT_T0_E_clISt17integral_constantIbLb0EES11_EEDaSW_SX_EUlSW_E_NS1_11comp_targetILNS1_3genE3ELNS1_11target_archE908ELNS1_3gpuE7ELNS1_3repE0EEENS1_30default_config_static_selectorELNS0_4arch9wavefront6targetE0EEEvT1_.uses_flat_scratch, 0
	.set _ZN7rocprim17ROCPRIM_400000_NS6detail17trampoline_kernelINS0_14default_configENS1_27scan_by_key_config_selectorIisEEZZNS1_16scan_by_key_implILNS1_25lookback_scan_determinismE0ELb0ES3_N6thrust23THRUST_200600_302600_NS6detail15normal_iteratorINS9_10device_ptrIiEEEENSB_INSC_IsEEEESG_sNS9_4plusIvEENS9_8equal_toIvEEsEE10hipError_tPvRmT2_T3_T4_T5_mT6_T7_P12ihipStream_tbENKUlT_T0_E_clISt17integral_constantIbLb0EES11_EEDaSW_SX_EUlSW_E_NS1_11comp_targetILNS1_3genE3ELNS1_11target_archE908ELNS1_3gpuE7ELNS1_3repE0EEENS1_30default_config_static_selectorELNS0_4arch9wavefront6targetE0EEEvT1_.has_dyn_sized_stack, 0
	.set _ZN7rocprim17ROCPRIM_400000_NS6detail17trampoline_kernelINS0_14default_configENS1_27scan_by_key_config_selectorIisEEZZNS1_16scan_by_key_implILNS1_25lookback_scan_determinismE0ELb0ES3_N6thrust23THRUST_200600_302600_NS6detail15normal_iteratorINS9_10device_ptrIiEEEENSB_INSC_IsEEEESG_sNS9_4plusIvEENS9_8equal_toIvEEsEE10hipError_tPvRmT2_T3_T4_T5_mT6_T7_P12ihipStream_tbENKUlT_T0_E_clISt17integral_constantIbLb0EES11_EEDaSW_SX_EUlSW_E_NS1_11comp_targetILNS1_3genE3ELNS1_11target_archE908ELNS1_3gpuE7ELNS1_3repE0EEENS1_30default_config_static_selectorELNS0_4arch9wavefront6targetE0EEEvT1_.has_recursion, 0
	.set _ZN7rocprim17ROCPRIM_400000_NS6detail17trampoline_kernelINS0_14default_configENS1_27scan_by_key_config_selectorIisEEZZNS1_16scan_by_key_implILNS1_25lookback_scan_determinismE0ELb0ES3_N6thrust23THRUST_200600_302600_NS6detail15normal_iteratorINS9_10device_ptrIiEEEENSB_INSC_IsEEEESG_sNS9_4plusIvEENS9_8equal_toIvEEsEE10hipError_tPvRmT2_T3_T4_T5_mT6_T7_P12ihipStream_tbENKUlT_T0_E_clISt17integral_constantIbLb0EES11_EEDaSW_SX_EUlSW_E_NS1_11comp_targetILNS1_3genE3ELNS1_11target_archE908ELNS1_3gpuE7ELNS1_3repE0EEENS1_30default_config_static_selectorELNS0_4arch9wavefront6targetE0EEEvT1_.has_indirect_call, 0
	.section	.AMDGPU.csdata,"",@progbits
; Kernel info:
; codeLenInByte = 0
; TotalNumSgprs: 0
; NumVgprs: 0
; ScratchSize: 0
; MemoryBound: 0
; FloatMode: 240
; IeeeMode: 1
; LDSByteSize: 0 bytes/workgroup (compile time only)
; SGPRBlocks: 0
; VGPRBlocks: 0
; NumSGPRsForWavesPerEU: 1
; NumVGPRsForWavesPerEU: 1
; Occupancy: 16
; WaveLimiterHint : 0
; COMPUTE_PGM_RSRC2:SCRATCH_EN: 0
; COMPUTE_PGM_RSRC2:USER_SGPR: 6
; COMPUTE_PGM_RSRC2:TRAP_HANDLER: 0
; COMPUTE_PGM_RSRC2:TGID_X_EN: 1
; COMPUTE_PGM_RSRC2:TGID_Y_EN: 0
; COMPUTE_PGM_RSRC2:TGID_Z_EN: 0
; COMPUTE_PGM_RSRC2:TIDIG_COMP_CNT: 0
	.section	.text._ZN7rocprim17ROCPRIM_400000_NS6detail17trampoline_kernelINS0_14default_configENS1_27scan_by_key_config_selectorIisEEZZNS1_16scan_by_key_implILNS1_25lookback_scan_determinismE0ELb0ES3_N6thrust23THRUST_200600_302600_NS6detail15normal_iteratorINS9_10device_ptrIiEEEENSB_INSC_IsEEEESG_sNS9_4plusIvEENS9_8equal_toIvEEsEE10hipError_tPvRmT2_T3_T4_T5_mT6_T7_P12ihipStream_tbENKUlT_T0_E_clISt17integral_constantIbLb0EES11_EEDaSW_SX_EUlSW_E_NS1_11comp_targetILNS1_3genE2ELNS1_11target_archE906ELNS1_3gpuE6ELNS1_3repE0EEENS1_30default_config_static_selectorELNS0_4arch9wavefront6targetE0EEEvT1_,"axG",@progbits,_ZN7rocprim17ROCPRIM_400000_NS6detail17trampoline_kernelINS0_14default_configENS1_27scan_by_key_config_selectorIisEEZZNS1_16scan_by_key_implILNS1_25lookback_scan_determinismE0ELb0ES3_N6thrust23THRUST_200600_302600_NS6detail15normal_iteratorINS9_10device_ptrIiEEEENSB_INSC_IsEEEESG_sNS9_4plusIvEENS9_8equal_toIvEEsEE10hipError_tPvRmT2_T3_T4_T5_mT6_T7_P12ihipStream_tbENKUlT_T0_E_clISt17integral_constantIbLb0EES11_EEDaSW_SX_EUlSW_E_NS1_11comp_targetILNS1_3genE2ELNS1_11target_archE906ELNS1_3gpuE6ELNS1_3repE0EEENS1_30default_config_static_selectorELNS0_4arch9wavefront6targetE0EEEvT1_,comdat
	.protected	_ZN7rocprim17ROCPRIM_400000_NS6detail17trampoline_kernelINS0_14default_configENS1_27scan_by_key_config_selectorIisEEZZNS1_16scan_by_key_implILNS1_25lookback_scan_determinismE0ELb0ES3_N6thrust23THRUST_200600_302600_NS6detail15normal_iteratorINS9_10device_ptrIiEEEENSB_INSC_IsEEEESG_sNS9_4plusIvEENS9_8equal_toIvEEsEE10hipError_tPvRmT2_T3_T4_T5_mT6_T7_P12ihipStream_tbENKUlT_T0_E_clISt17integral_constantIbLb0EES11_EEDaSW_SX_EUlSW_E_NS1_11comp_targetILNS1_3genE2ELNS1_11target_archE906ELNS1_3gpuE6ELNS1_3repE0EEENS1_30default_config_static_selectorELNS0_4arch9wavefront6targetE0EEEvT1_ ; -- Begin function _ZN7rocprim17ROCPRIM_400000_NS6detail17trampoline_kernelINS0_14default_configENS1_27scan_by_key_config_selectorIisEEZZNS1_16scan_by_key_implILNS1_25lookback_scan_determinismE0ELb0ES3_N6thrust23THRUST_200600_302600_NS6detail15normal_iteratorINS9_10device_ptrIiEEEENSB_INSC_IsEEEESG_sNS9_4plusIvEENS9_8equal_toIvEEsEE10hipError_tPvRmT2_T3_T4_T5_mT6_T7_P12ihipStream_tbENKUlT_T0_E_clISt17integral_constantIbLb0EES11_EEDaSW_SX_EUlSW_E_NS1_11comp_targetILNS1_3genE2ELNS1_11target_archE906ELNS1_3gpuE6ELNS1_3repE0EEENS1_30default_config_static_selectorELNS0_4arch9wavefront6targetE0EEEvT1_
	.globl	_ZN7rocprim17ROCPRIM_400000_NS6detail17trampoline_kernelINS0_14default_configENS1_27scan_by_key_config_selectorIisEEZZNS1_16scan_by_key_implILNS1_25lookback_scan_determinismE0ELb0ES3_N6thrust23THRUST_200600_302600_NS6detail15normal_iteratorINS9_10device_ptrIiEEEENSB_INSC_IsEEEESG_sNS9_4plusIvEENS9_8equal_toIvEEsEE10hipError_tPvRmT2_T3_T4_T5_mT6_T7_P12ihipStream_tbENKUlT_T0_E_clISt17integral_constantIbLb0EES11_EEDaSW_SX_EUlSW_E_NS1_11comp_targetILNS1_3genE2ELNS1_11target_archE906ELNS1_3gpuE6ELNS1_3repE0EEENS1_30default_config_static_selectorELNS0_4arch9wavefront6targetE0EEEvT1_
	.p2align	8
	.type	_ZN7rocprim17ROCPRIM_400000_NS6detail17trampoline_kernelINS0_14default_configENS1_27scan_by_key_config_selectorIisEEZZNS1_16scan_by_key_implILNS1_25lookback_scan_determinismE0ELb0ES3_N6thrust23THRUST_200600_302600_NS6detail15normal_iteratorINS9_10device_ptrIiEEEENSB_INSC_IsEEEESG_sNS9_4plusIvEENS9_8equal_toIvEEsEE10hipError_tPvRmT2_T3_T4_T5_mT6_T7_P12ihipStream_tbENKUlT_T0_E_clISt17integral_constantIbLb0EES11_EEDaSW_SX_EUlSW_E_NS1_11comp_targetILNS1_3genE2ELNS1_11target_archE906ELNS1_3gpuE6ELNS1_3repE0EEENS1_30default_config_static_selectorELNS0_4arch9wavefront6targetE0EEEvT1_,@function
_ZN7rocprim17ROCPRIM_400000_NS6detail17trampoline_kernelINS0_14default_configENS1_27scan_by_key_config_selectorIisEEZZNS1_16scan_by_key_implILNS1_25lookback_scan_determinismE0ELb0ES3_N6thrust23THRUST_200600_302600_NS6detail15normal_iteratorINS9_10device_ptrIiEEEENSB_INSC_IsEEEESG_sNS9_4plusIvEENS9_8equal_toIvEEsEE10hipError_tPvRmT2_T3_T4_T5_mT6_T7_P12ihipStream_tbENKUlT_T0_E_clISt17integral_constantIbLb0EES11_EEDaSW_SX_EUlSW_E_NS1_11comp_targetILNS1_3genE2ELNS1_11target_archE906ELNS1_3gpuE6ELNS1_3repE0EEENS1_30default_config_static_selectorELNS0_4arch9wavefront6targetE0EEEvT1_: ; @_ZN7rocprim17ROCPRIM_400000_NS6detail17trampoline_kernelINS0_14default_configENS1_27scan_by_key_config_selectorIisEEZZNS1_16scan_by_key_implILNS1_25lookback_scan_determinismE0ELb0ES3_N6thrust23THRUST_200600_302600_NS6detail15normal_iteratorINS9_10device_ptrIiEEEENSB_INSC_IsEEEESG_sNS9_4plusIvEENS9_8equal_toIvEEsEE10hipError_tPvRmT2_T3_T4_T5_mT6_T7_P12ihipStream_tbENKUlT_T0_E_clISt17integral_constantIbLb0EES11_EEDaSW_SX_EUlSW_E_NS1_11comp_targetILNS1_3genE2ELNS1_11target_archE906ELNS1_3gpuE6ELNS1_3repE0EEENS1_30default_config_static_selectorELNS0_4arch9wavefront6targetE0EEEvT1_
; %bb.0:
	.section	.rodata,"a",@progbits
	.p2align	6, 0x0
	.amdhsa_kernel _ZN7rocprim17ROCPRIM_400000_NS6detail17trampoline_kernelINS0_14default_configENS1_27scan_by_key_config_selectorIisEEZZNS1_16scan_by_key_implILNS1_25lookback_scan_determinismE0ELb0ES3_N6thrust23THRUST_200600_302600_NS6detail15normal_iteratorINS9_10device_ptrIiEEEENSB_INSC_IsEEEESG_sNS9_4plusIvEENS9_8equal_toIvEEsEE10hipError_tPvRmT2_T3_T4_T5_mT6_T7_P12ihipStream_tbENKUlT_T0_E_clISt17integral_constantIbLb0EES11_EEDaSW_SX_EUlSW_E_NS1_11comp_targetILNS1_3genE2ELNS1_11target_archE906ELNS1_3gpuE6ELNS1_3repE0EEENS1_30default_config_static_selectorELNS0_4arch9wavefront6targetE0EEEvT1_
		.amdhsa_group_segment_fixed_size 0
		.amdhsa_private_segment_fixed_size 0
		.amdhsa_kernarg_size 112
		.amdhsa_user_sgpr_count 6
		.amdhsa_user_sgpr_private_segment_buffer 1
		.amdhsa_user_sgpr_dispatch_ptr 0
		.amdhsa_user_sgpr_queue_ptr 0
		.amdhsa_user_sgpr_kernarg_segment_ptr 1
		.amdhsa_user_sgpr_dispatch_id 0
		.amdhsa_user_sgpr_flat_scratch_init 0
		.amdhsa_user_sgpr_private_segment_size 0
		.amdhsa_wavefront_size32 1
		.amdhsa_uses_dynamic_stack 0
		.amdhsa_system_sgpr_private_segment_wavefront_offset 0
		.amdhsa_system_sgpr_workgroup_id_x 1
		.amdhsa_system_sgpr_workgroup_id_y 0
		.amdhsa_system_sgpr_workgroup_id_z 0
		.amdhsa_system_sgpr_workgroup_info 0
		.amdhsa_system_vgpr_workitem_id 0
		.amdhsa_next_free_vgpr 1
		.amdhsa_next_free_sgpr 1
		.amdhsa_reserve_vcc 0
		.amdhsa_reserve_flat_scratch 0
		.amdhsa_float_round_mode_32 0
		.amdhsa_float_round_mode_16_64 0
		.amdhsa_float_denorm_mode_32 3
		.amdhsa_float_denorm_mode_16_64 3
		.amdhsa_dx10_clamp 1
		.amdhsa_ieee_mode 1
		.amdhsa_fp16_overflow 0
		.amdhsa_workgroup_processor_mode 1
		.amdhsa_memory_ordered 1
		.amdhsa_forward_progress 1
		.amdhsa_shared_vgpr_count 0
		.amdhsa_exception_fp_ieee_invalid_op 0
		.amdhsa_exception_fp_denorm_src 0
		.amdhsa_exception_fp_ieee_div_zero 0
		.amdhsa_exception_fp_ieee_overflow 0
		.amdhsa_exception_fp_ieee_underflow 0
		.amdhsa_exception_fp_ieee_inexact 0
		.amdhsa_exception_int_div_zero 0
	.end_amdhsa_kernel
	.section	.text._ZN7rocprim17ROCPRIM_400000_NS6detail17trampoline_kernelINS0_14default_configENS1_27scan_by_key_config_selectorIisEEZZNS1_16scan_by_key_implILNS1_25lookback_scan_determinismE0ELb0ES3_N6thrust23THRUST_200600_302600_NS6detail15normal_iteratorINS9_10device_ptrIiEEEENSB_INSC_IsEEEESG_sNS9_4plusIvEENS9_8equal_toIvEEsEE10hipError_tPvRmT2_T3_T4_T5_mT6_T7_P12ihipStream_tbENKUlT_T0_E_clISt17integral_constantIbLb0EES11_EEDaSW_SX_EUlSW_E_NS1_11comp_targetILNS1_3genE2ELNS1_11target_archE906ELNS1_3gpuE6ELNS1_3repE0EEENS1_30default_config_static_selectorELNS0_4arch9wavefront6targetE0EEEvT1_,"axG",@progbits,_ZN7rocprim17ROCPRIM_400000_NS6detail17trampoline_kernelINS0_14default_configENS1_27scan_by_key_config_selectorIisEEZZNS1_16scan_by_key_implILNS1_25lookback_scan_determinismE0ELb0ES3_N6thrust23THRUST_200600_302600_NS6detail15normal_iteratorINS9_10device_ptrIiEEEENSB_INSC_IsEEEESG_sNS9_4plusIvEENS9_8equal_toIvEEsEE10hipError_tPvRmT2_T3_T4_T5_mT6_T7_P12ihipStream_tbENKUlT_T0_E_clISt17integral_constantIbLb0EES11_EEDaSW_SX_EUlSW_E_NS1_11comp_targetILNS1_3genE2ELNS1_11target_archE906ELNS1_3gpuE6ELNS1_3repE0EEENS1_30default_config_static_selectorELNS0_4arch9wavefront6targetE0EEEvT1_,comdat
.Lfunc_end1357:
	.size	_ZN7rocprim17ROCPRIM_400000_NS6detail17trampoline_kernelINS0_14default_configENS1_27scan_by_key_config_selectorIisEEZZNS1_16scan_by_key_implILNS1_25lookback_scan_determinismE0ELb0ES3_N6thrust23THRUST_200600_302600_NS6detail15normal_iteratorINS9_10device_ptrIiEEEENSB_INSC_IsEEEESG_sNS9_4plusIvEENS9_8equal_toIvEEsEE10hipError_tPvRmT2_T3_T4_T5_mT6_T7_P12ihipStream_tbENKUlT_T0_E_clISt17integral_constantIbLb0EES11_EEDaSW_SX_EUlSW_E_NS1_11comp_targetILNS1_3genE2ELNS1_11target_archE906ELNS1_3gpuE6ELNS1_3repE0EEENS1_30default_config_static_selectorELNS0_4arch9wavefront6targetE0EEEvT1_, .Lfunc_end1357-_ZN7rocprim17ROCPRIM_400000_NS6detail17trampoline_kernelINS0_14default_configENS1_27scan_by_key_config_selectorIisEEZZNS1_16scan_by_key_implILNS1_25lookback_scan_determinismE0ELb0ES3_N6thrust23THRUST_200600_302600_NS6detail15normal_iteratorINS9_10device_ptrIiEEEENSB_INSC_IsEEEESG_sNS9_4plusIvEENS9_8equal_toIvEEsEE10hipError_tPvRmT2_T3_T4_T5_mT6_T7_P12ihipStream_tbENKUlT_T0_E_clISt17integral_constantIbLb0EES11_EEDaSW_SX_EUlSW_E_NS1_11comp_targetILNS1_3genE2ELNS1_11target_archE906ELNS1_3gpuE6ELNS1_3repE0EEENS1_30default_config_static_selectorELNS0_4arch9wavefront6targetE0EEEvT1_
                                        ; -- End function
	.set _ZN7rocprim17ROCPRIM_400000_NS6detail17trampoline_kernelINS0_14default_configENS1_27scan_by_key_config_selectorIisEEZZNS1_16scan_by_key_implILNS1_25lookback_scan_determinismE0ELb0ES3_N6thrust23THRUST_200600_302600_NS6detail15normal_iteratorINS9_10device_ptrIiEEEENSB_INSC_IsEEEESG_sNS9_4plusIvEENS9_8equal_toIvEEsEE10hipError_tPvRmT2_T3_T4_T5_mT6_T7_P12ihipStream_tbENKUlT_T0_E_clISt17integral_constantIbLb0EES11_EEDaSW_SX_EUlSW_E_NS1_11comp_targetILNS1_3genE2ELNS1_11target_archE906ELNS1_3gpuE6ELNS1_3repE0EEENS1_30default_config_static_selectorELNS0_4arch9wavefront6targetE0EEEvT1_.num_vgpr, 0
	.set _ZN7rocprim17ROCPRIM_400000_NS6detail17trampoline_kernelINS0_14default_configENS1_27scan_by_key_config_selectorIisEEZZNS1_16scan_by_key_implILNS1_25lookback_scan_determinismE0ELb0ES3_N6thrust23THRUST_200600_302600_NS6detail15normal_iteratorINS9_10device_ptrIiEEEENSB_INSC_IsEEEESG_sNS9_4plusIvEENS9_8equal_toIvEEsEE10hipError_tPvRmT2_T3_T4_T5_mT6_T7_P12ihipStream_tbENKUlT_T0_E_clISt17integral_constantIbLb0EES11_EEDaSW_SX_EUlSW_E_NS1_11comp_targetILNS1_3genE2ELNS1_11target_archE906ELNS1_3gpuE6ELNS1_3repE0EEENS1_30default_config_static_selectorELNS0_4arch9wavefront6targetE0EEEvT1_.num_agpr, 0
	.set _ZN7rocprim17ROCPRIM_400000_NS6detail17trampoline_kernelINS0_14default_configENS1_27scan_by_key_config_selectorIisEEZZNS1_16scan_by_key_implILNS1_25lookback_scan_determinismE0ELb0ES3_N6thrust23THRUST_200600_302600_NS6detail15normal_iteratorINS9_10device_ptrIiEEEENSB_INSC_IsEEEESG_sNS9_4plusIvEENS9_8equal_toIvEEsEE10hipError_tPvRmT2_T3_T4_T5_mT6_T7_P12ihipStream_tbENKUlT_T0_E_clISt17integral_constantIbLb0EES11_EEDaSW_SX_EUlSW_E_NS1_11comp_targetILNS1_3genE2ELNS1_11target_archE906ELNS1_3gpuE6ELNS1_3repE0EEENS1_30default_config_static_selectorELNS0_4arch9wavefront6targetE0EEEvT1_.numbered_sgpr, 0
	.set _ZN7rocprim17ROCPRIM_400000_NS6detail17trampoline_kernelINS0_14default_configENS1_27scan_by_key_config_selectorIisEEZZNS1_16scan_by_key_implILNS1_25lookback_scan_determinismE0ELb0ES3_N6thrust23THRUST_200600_302600_NS6detail15normal_iteratorINS9_10device_ptrIiEEEENSB_INSC_IsEEEESG_sNS9_4plusIvEENS9_8equal_toIvEEsEE10hipError_tPvRmT2_T3_T4_T5_mT6_T7_P12ihipStream_tbENKUlT_T0_E_clISt17integral_constantIbLb0EES11_EEDaSW_SX_EUlSW_E_NS1_11comp_targetILNS1_3genE2ELNS1_11target_archE906ELNS1_3gpuE6ELNS1_3repE0EEENS1_30default_config_static_selectorELNS0_4arch9wavefront6targetE0EEEvT1_.num_named_barrier, 0
	.set _ZN7rocprim17ROCPRIM_400000_NS6detail17trampoline_kernelINS0_14default_configENS1_27scan_by_key_config_selectorIisEEZZNS1_16scan_by_key_implILNS1_25lookback_scan_determinismE0ELb0ES3_N6thrust23THRUST_200600_302600_NS6detail15normal_iteratorINS9_10device_ptrIiEEEENSB_INSC_IsEEEESG_sNS9_4plusIvEENS9_8equal_toIvEEsEE10hipError_tPvRmT2_T3_T4_T5_mT6_T7_P12ihipStream_tbENKUlT_T0_E_clISt17integral_constantIbLb0EES11_EEDaSW_SX_EUlSW_E_NS1_11comp_targetILNS1_3genE2ELNS1_11target_archE906ELNS1_3gpuE6ELNS1_3repE0EEENS1_30default_config_static_selectorELNS0_4arch9wavefront6targetE0EEEvT1_.private_seg_size, 0
	.set _ZN7rocprim17ROCPRIM_400000_NS6detail17trampoline_kernelINS0_14default_configENS1_27scan_by_key_config_selectorIisEEZZNS1_16scan_by_key_implILNS1_25lookback_scan_determinismE0ELb0ES3_N6thrust23THRUST_200600_302600_NS6detail15normal_iteratorINS9_10device_ptrIiEEEENSB_INSC_IsEEEESG_sNS9_4plusIvEENS9_8equal_toIvEEsEE10hipError_tPvRmT2_T3_T4_T5_mT6_T7_P12ihipStream_tbENKUlT_T0_E_clISt17integral_constantIbLb0EES11_EEDaSW_SX_EUlSW_E_NS1_11comp_targetILNS1_3genE2ELNS1_11target_archE906ELNS1_3gpuE6ELNS1_3repE0EEENS1_30default_config_static_selectorELNS0_4arch9wavefront6targetE0EEEvT1_.uses_vcc, 0
	.set _ZN7rocprim17ROCPRIM_400000_NS6detail17trampoline_kernelINS0_14default_configENS1_27scan_by_key_config_selectorIisEEZZNS1_16scan_by_key_implILNS1_25lookback_scan_determinismE0ELb0ES3_N6thrust23THRUST_200600_302600_NS6detail15normal_iteratorINS9_10device_ptrIiEEEENSB_INSC_IsEEEESG_sNS9_4plusIvEENS9_8equal_toIvEEsEE10hipError_tPvRmT2_T3_T4_T5_mT6_T7_P12ihipStream_tbENKUlT_T0_E_clISt17integral_constantIbLb0EES11_EEDaSW_SX_EUlSW_E_NS1_11comp_targetILNS1_3genE2ELNS1_11target_archE906ELNS1_3gpuE6ELNS1_3repE0EEENS1_30default_config_static_selectorELNS0_4arch9wavefront6targetE0EEEvT1_.uses_flat_scratch, 0
	.set _ZN7rocprim17ROCPRIM_400000_NS6detail17trampoline_kernelINS0_14default_configENS1_27scan_by_key_config_selectorIisEEZZNS1_16scan_by_key_implILNS1_25lookback_scan_determinismE0ELb0ES3_N6thrust23THRUST_200600_302600_NS6detail15normal_iteratorINS9_10device_ptrIiEEEENSB_INSC_IsEEEESG_sNS9_4plusIvEENS9_8equal_toIvEEsEE10hipError_tPvRmT2_T3_T4_T5_mT6_T7_P12ihipStream_tbENKUlT_T0_E_clISt17integral_constantIbLb0EES11_EEDaSW_SX_EUlSW_E_NS1_11comp_targetILNS1_3genE2ELNS1_11target_archE906ELNS1_3gpuE6ELNS1_3repE0EEENS1_30default_config_static_selectorELNS0_4arch9wavefront6targetE0EEEvT1_.has_dyn_sized_stack, 0
	.set _ZN7rocprim17ROCPRIM_400000_NS6detail17trampoline_kernelINS0_14default_configENS1_27scan_by_key_config_selectorIisEEZZNS1_16scan_by_key_implILNS1_25lookback_scan_determinismE0ELb0ES3_N6thrust23THRUST_200600_302600_NS6detail15normal_iteratorINS9_10device_ptrIiEEEENSB_INSC_IsEEEESG_sNS9_4plusIvEENS9_8equal_toIvEEsEE10hipError_tPvRmT2_T3_T4_T5_mT6_T7_P12ihipStream_tbENKUlT_T0_E_clISt17integral_constantIbLb0EES11_EEDaSW_SX_EUlSW_E_NS1_11comp_targetILNS1_3genE2ELNS1_11target_archE906ELNS1_3gpuE6ELNS1_3repE0EEENS1_30default_config_static_selectorELNS0_4arch9wavefront6targetE0EEEvT1_.has_recursion, 0
	.set _ZN7rocprim17ROCPRIM_400000_NS6detail17trampoline_kernelINS0_14default_configENS1_27scan_by_key_config_selectorIisEEZZNS1_16scan_by_key_implILNS1_25lookback_scan_determinismE0ELb0ES3_N6thrust23THRUST_200600_302600_NS6detail15normal_iteratorINS9_10device_ptrIiEEEENSB_INSC_IsEEEESG_sNS9_4plusIvEENS9_8equal_toIvEEsEE10hipError_tPvRmT2_T3_T4_T5_mT6_T7_P12ihipStream_tbENKUlT_T0_E_clISt17integral_constantIbLb0EES11_EEDaSW_SX_EUlSW_E_NS1_11comp_targetILNS1_3genE2ELNS1_11target_archE906ELNS1_3gpuE6ELNS1_3repE0EEENS1_30default_config_static_selectorELNS0_4arch9wavefront6targetE0EEEvT1_.has_indirect_call, 0
	.section	.AMDGPU.csdata,"",@progbits
; Kernel info:
; codeLenInByte = 0
; TotalNumSgprs: 0
; NumVgprs: 0
; ScratchSize: 0
; MemoryBound: 0
; FloatMode: 240
; IeeeMode: 1
; LDSByteSize: 0 bytes/workgroup (compile time only)
; SGPRBlocks: 0
; VGPRBlocks: 0
; NumSGPRsForWavesPerEU: 1
; NumVGPRsForWavesPerEU: 1
; Occupancy: 16
; WaveLimiterHint : 0
; COMPUTE_PGM_RSRC2:SCRATCH_EN: 0
; COMPUTE_PGM_RSRC2:USER_SGPR: 6
; COMPUTE_PGM_RSRC2:TRAP_HANDLER: 0
; COMPUTE_PGM_RSRC2:TGID_X_EN: 1
; COMPUTE_PGM_RSRC2:TGID_Y_EN: 0
; COMPUTE_PGM_RSRC2:TGID_Z_EN: 0
; COMPUTE_PGM_RSRC2:TIDIG_COMP_CNT: 0
	.section	.text._ZN7rocprim17ROCPRIM_400000_NS6detail17trampoline_kernelINS0_14default_configENS1_27scan_by_key_config_selectorIisEEZZNS1_16scan_by_key_implILNS1_25lookback_scan_determinismE0ELb0ES3_N6thrust23THRUST_200600_302600_NS6detail15normal_iteratorINS9_10device_ptrIiEEEENSB_INSC_IsEEEESG_sNS9_4plusIvEENS9_8equal_toIvEEsEE10hipError_tPvRmT2_T3_T4_T5_mT6_T7_P12ihipStream_tbENKUlT_T0_E_clISt17integral_constantIbLb0EES11_EEDaSW_SX_EUlSW_E_NS1_11comp_targetILNS1_3genE10ELNS1_11target_archE1200ELNS1_3gpuE4ELNS1_3repE0EEENS1_30default_config_static_selectorELNS0_4arch9wavefront6targetE0EEEvT1_,"axG",@progbits,_ZN7rocprim17ROCPRIM_400000_NS6detail17trampoline_kernelINS0_14default_configENS1_27scan_by_key_config_selectorIisEEZZNS1_16scan_by_key_implILNS1_25lookback_scan_determinismE0ELb0ES3_N6thrust23THRUST_200600_302600_NS6detail15normal_iteratorINS9_10device_ptrIiEEEENSB_INSC_IsEEEESG_sNS9_4plusIvEENS9_8equal_toIvEEsEE10hipError_tPvRmT2_T3_T4_T5_mT6_T7_P12ihipStream_tbENKUlT_T0_E_clISt17integral_constantIbLb0EES11_EEDaSW_SX_EUlSW_E_NS1_11comp_targetILNS1_3genE10ELNS1_11target_archE1200ELNS1_3gpuE4ELNS1_3repE0EEENS1_30default_config_static_selectorELNS0_4arch9wavefront6targetE0EEEvT1_,comdat
	.protected	_ZN7rocprim17ROCPRIM_400000_NS6detail17trampoline_kernelINS0_14default_configENS1_27scan_by_key_config_selectorIisEEZZNS1_16scan_by_key_implILNS1_25lookback_scan_determinismE0ELb0ES3_N6thrust23THRUST_200600_302600_NS6detail15normal_iteratorINS9_10device_ptrIiEEEENSB_INSC_IsEEEESG_sNS9_4plusIvEENS9_8equal_toIvEEsEE10hipError_tPvRmT2_T3_T4_T5_mT6_T7_P12ihipStream_tbENKUlT_T0_E_clISt17integral_constantIbLb0EES11_EEDaSW_SX_EUlSW_E_NS1_11comp_targetILNS1_3genE10ELNS1_11target_archE1200ELNS1_3gpuE4ELNS1_3repE0EEENS1_30default_config_static_selectorELNS0_4arch9wavefront6targetE0EEEvT1_ ; -- Begin function _ZN7rocprim17ROCPRIM_400000_NS6detail17trampoline_kernelINS0_14default_configENS1_27scan_by_key_config_selectorIisEEZZNS1_16scan_by_key_implILNS1_25lookback_scan_determinismE0ELb0ES3_N6thrust23THRUST_200600_302600_NS6detail15normal_iteratorINS9_10device_ptrIiEEEENSB_INSC_IsEEEESG_sNS9_4plusIvEENS9_8equal_toIvEEsEE10hipError_tPvRmT2_T3_T4_T5_mT6_T7_P12ihipStream_tbENKUlT_T0_E_clISt17integral_constantIbLb0EES11_EEDaSW_SX_EUlSW_E_NS1_11comp_targetILNS1_3genE10ELNS1_11target_archE1200ELNS1_3gpuE4ELNS1_3repE0EEENS1_30default_config_static_selectorELNS0_4arch9wavefront6targetE0EEEvT1_
	.globl	_ZN7rocprim17ROCPRIM_400000_NS6detail17trampoline_kernelINS0_14default_configENS1_27scan_by_key_config_selectorIisEEZZNS1_16scan_by_key_implILNS1_25lookback_scan_determinismE0ELb0ES3_N6thrust23THRUST_200600_302600_NS6detail15normal_iteratorINS9_10device_ptrIiEEEENSB_INSC_IsEEEESG_sNS9_4plusIvEENS9_8equal_toIvEEsEE10hipError_tPvRmT2_T3_T4_T5_mT6_T7_P12ihipStream_tbENKUlT_T0_E_clISt17integral_constantIbLb0EES11_EEDaSW_SX_EUlSW_E_NS1_11comp_targetILNS1_3genE10ELNS1_11target_archE1200ELNS1_3gpuE4ELNS1_3repE0EEENS1_30default_config_static_selectorELNS0_4arch9wavefront6targetE0EEEvT1_
	.p2align	8
	.type	_ZN7rocprim17ROCPRIM_400000_NS6detail17trampoline_kernelINS0_14default_configENS1_27scan_by_key_config_selectorIisEEZZNS1_16scan_by_key_implILNS1_25lookback_scan_determinismE0ELb0ES3_N6thrust23THRUST_200600_302600_NS6detail15normal_iteratorINS9_10device_ptrIiEEEENSB_INSC_IsEEEESG_sNS9_4plusIvEENS9_8equal_toIvEEsEE10hipError_tPvRmT2_T3_T4_T5_mT6_T7_P12ihipStream_tbENKUlT_T0_E_clISt17integral_constantIbLb0EES11_EEDaSW_SX_EUlSW_E_NS1_11comp_targetILNS1_3genE10ELNS1_11target_archE1200ELNS1_3gpuE4ELNS1_3repE0EEENS1_30default_config_static_selectorELNS0_4arch9wavefront6targetE0EEEvT1_,@function
_ZN7rocprim17ROCPRIM_400000_NS6detail17trampoline_kernelINS0_14default_configENS1_27scan_by_key_config_selectorIisEEZZNS1_16scan_by_key_implILNS1_25lookback_scan_determinismE0ELb0ES3_N6thrust23THRUST_200600_302600_NS6detail15normal_iteratorINS9_10device_ptrIiEEEENSB_INSC_IsEEEESG_sNS9_4plusIvEENS9_8equal_toIvEEsEE10hipError_tPvRmT2_T3_T4_T5_mT6_T7_P12ihipStream_tbENKUlT_T0_E_clISt17integral_constantIbLb0EES11_EEDaSW_SX_EUlSW_E_NS1_11comp_targetILNS1_3genE10ELNS1_11target_archE1200ELNS1_3gpuE4ELNS1_3repE0EEENS1_30default_config_static_selectorELNS0_4arch9wavefront6targetE0EEEvT1_: ; @_ZN7rocprim17ROCPRIM_400000_NS6detail17trampoline_kernelINS0_14default_configENS1_27scan_by_key_config_selectorIisEEZZNS1_16scan_by_key_implILNS1_25lookback_scan_determinismE0ELb0ES3_N6thrust23THRUST_200600_302600_NS6detail15normal_iteratorINS9_10device_ptrIiEEEENSB_INSC_IsEEEESG_sNS9_4plusIvEENS9_8equal_toIvEEsEE10hipError_tPvRmT2_T3_T4_T5_mT6_T7_P12ihipStream_tbENKUlT_T0_E_clISt17integral_constantIbLb0EES11_EEDaSW_SX_EUlSW_E_NS1_11comp_targetILNS1_3genE10ELNS1_11target_archE1200ELNS1_3gpuE4ELNS1_3repE0EEENS1_30default_config_static_selectorELNS0_4arch9wavefront6targetE0EEEvT1_
; %bb.0:
	.section	.rodata,"a",@progbits
	.p2align	6, 0x0
	.amdhsa_kernel _ZN7rocprim17ROCPRIM_400000_NS6detail17trampoline_kernelINS0_14default_configENS1_27scan_by_key_config_selectorIisEEZZNS1_16scan_by_key_implILNS1_25lookback_scan_determinismE0ELb0ES3_N6thrust23THRUST_200600_302600_NS6detail15normal_iteratorINS9_10device_ptrIiEEEENSB_INSC_IsEEEESG_sNS9_4plusIvEENS9_8equal_toIvEEsEE10hipError_tPvRmT2_T3_T4_T5_mT6_T7_P12ihipStream_tbENKUlT_T0_E_clISt17integral_constantIbLb0EES11_EEDaSW_SX_EUlSW_E_NS1_11comp_targetILNS1_3genE10ELNS1_11target_archE1200ELNS1_3gpuE4ELNS1_3repE0EEENS1_30default_config_static_selectorELNS0_4arch9wavefront6targetE0EEEvT1_
		.amdhsa_group_segment_fixed_size 0
		.amdhsa_private_segment_fixed_size 0
		.amdhsa_kernarg_size 112
		.amdhsa_user_sgpr_count 6
		.amdhsa_user_sgpr_private_segment_buffer 1
		.amdhsa_user_sgpr_dispatch_ptr 0
		.amdhsa_user_sgpr_queue_ptr 0
		.amdhsa_user_sgpr_kernarg_segment_ptr 1
		.amdhsa_user_sgpr_dispatch_id 0
		.amdhsa_user_sgpr_flat_scratch_init 0
		.amdhsa_user_sgpr_private_segment_size 0
		.amdhsa_wavefront_size32 1
		.amdhsa_uses_dynamic_stack 0
		.amdhsa_system_sgpr_private_segment_wavefront_offset 0
		.amdhsa_system_sgpr_workgroup_id_x 1
		.amdhsa_system_sgpr_workgroup_id_y 0
		.amdhsa_system_sgpr_workgroup_id_z 0
		.amdhsa_system_sgpr_workgroup_info 0
		.amdhsa_system_vgpr_workitem_id 0
		.amdhsa_next_free_vgpr 1
		.amdhsa_next_free_sgpr 1
		.amdhsa_reserve_vcc 0
		.amdhsa_reserve_flat_scratch 0
		.amdhsa_float_round_mode_32 0
		.amdhsa_float_round_mode_16_64 0
		.amdhsa_float_denorm_mode_32 3
		.amdhsa_float_denorm_mode_16_64 3
		.amdhsa_dx10_clamp 1
		.amdhsa_ieee_mode 1
		.amdhsa_fp16_overflow 0
		.amdhsa_workgroup_processor_mode 1
		.amdhsa_memory_ordered 1
		.amdhsa_forward_progress 1
		.amdhsa_shared_vgpr_count 0
		.amdhsa_exception_fp_ieee_invalid_op 0
		.amdhsa_exception_fp_denorm_src 0
		.amdhsa_exception_fp_ieee_div_zero 0
		.amdhsa_exception_fp_ieee_overflow 0
		.amdhsa_exception_fp_ieee_underflow 0
		.amdhsa_exception_fp_ieee_inexact 0
		.amdhsa_exception_int_div_zero 0
	.end_amdhsa_kernel
	.section	.text._ZN7rocprim17ROCPRIM_400000_NS6detail17trampoline_kernelINS0_14default_configENS1_27scan_by_key_config_selectorIisEEZZNS1_16scan_by_key_implILNS1_25lookback_scan_determinismE0ELb0ES3_N6thrust23THRUST_200600_302600_NS6detail15normal_iteratorINS9_10device_ptrIiEEEENSB_INSC_IsEEEESG_sNS9_4plusIvEENS9_8equal_toIvEEsEE10hipError_tPvRmT2_T3_T4_T5_mT6_T7_P12ihipStream_tbENKUlT_T0_E_clISt17integral_constantIbLb0EES11_EEDaSW_SX_EUlSW_E_NS1_11comp_targetILNS1_3genE10ELNS1_11target_archE1200ELNS1_3gpuE4ELNS1_3repE0EEENS1_30default_config_static_selectorELNS0_4arch9wavefront6targetE0EEEvT1_,"axG",@progbits,_ZN7rocprim17ROCPRIM_400000_NS6detail17trampoline_kernelINS0_14default_configENS1_27scan_by_key_config_selectorIisEEZZNS1_16scan_by_key_implILNS1_25lookback_scan_determinismE0ELb0ES3_N6thrust23THRUST_200600_302600_NS6detail15normal_iteratorINS9_10device_ptrIiEEEENSB_INSC_IsEEEESG_sNS9_4plusIvEENS9_8equal_toIvEEsEE10hipError_tPvRmT2_T3_T4_T5_mT6_T7_P12ihipStream_tbENKUlT_T0_E_clISt17integral_constantIbLb0EES11_EEDaSW_SX_EUlSW_E_NS1_11comp_targetILNS1_3genE10ELNS1_11target_archE1200ELNS1_3gpuE4ELNS1_3repE0EEENS1_30default_config_static_selectorELNS0_4arch9wavefront6targetE0EEEvT1_,comdat
.Lfunc_end1358:
	.size	_ZN7rocprim17ROCPRIM_400000_NS6detail17trampoline_kernelINS0_14default_configENS1_27scan_by_key_config_selectorIisEEZZNS1_16scan_by_key_implILNS1_25lookback_scan_determinismE0ELb0ES3_N6thrust23THRUST_200600_302600_NS6detail15normal_iteratorINS9_10device_ptrIiEEEENSB_INSC_IsEEEESG_sNS9_4plusIvEENS9_8equal_toIvEEsEE10hipError_tPvRmT2_T3_T4_T5_mT6_T7_P12ihipStream_tbENKUlT_T0_E_clISt17integral_constantIbLb0EES11_EEDaSW_SX_EUlSW_E_NS1_11comp_targetILNS1_3genE10ELNS1_11target_archE1200ELNS1_3gpuE4ELNS1_3repE0EEENS1_30default_config_static_selectorELNS0_4arch9wavefront6targetE0EEEvT1_, .Lfunc_end1358-_ZN7rocprim17ROCPRIM_400000_NS6detail17trampoline_kernelINS0_14default_configENS1_27scan_by_key_config_selectorIisEEZZNS1_16scan_by_key_implILNS1_25lookback_scan_determinismE0ELb0ES3_N6thrust23THRUST_200600_302600_NS6detail15normal_iteratorINS9_10device_ptrIiEEEENSB_INSC_IsEEEESG_sNS9_4plusIvEENS9_8equal_toIvEEsEE10hipError_tPvRmT2_T3_T4_T5_mT6_T7_P12ihipStream_tbENKUlT_T0_E_clISt17integral_constantIbLb0EES11_EEDaSW_SX_EUlSW_E_NS1_11comp_targetILNS1_3genE10ELNS1_11target_archE1200ELNS1_3gpuE4ELNS1_3repE0EEENS1_30default_config_static_selectorELNS0_4arch9wavefront6targetE0EEEvT1_
                                        ; -- End function
	.set _ZN7rocprim17ROCPRIM_400000_NS6detail17trampoline_kernelINS0_14default_configENS1_27scan_by_key_config_selectorIisEEZZNS1_16scan_by_key_implILNS1_25lookback_scan_determinismE0ELb0ES3_N6thrust23THRUST_200600_302600_NS6detail15normal_iteratorINS9_10device_ptrIiEEEENSB_INSC_IsEEEESG_sNS9_4plusIvEENS9_8equal_toIvEEsEE10hipError_tPvRmT2_T3_T4_T5_mT6_T7_P12ihipStream_tbENKUlT_T0_E_clISt17integral_constantIbLb0EES11_EEDaSW_SX_EUlSW_E_NS1_11comp_targetILNS1_3genE10ELNS1_11target_archE1200ELNS1_3gpuE4ELNS1_3repE0EEENS1_30default_config_static_selectorELNS0_4arch9wavefront6targetE0EEEvT1_.num_vgpr, 0
	.set _ZN7rocprim17ROCPRIM_400000_NS6detail17trampoline_kernelINS0_14default_configENS1_27scan_by_key_config_selectorIisEEZZNS1_16scan_by_key_implILNS1_25lookback_scan_determinismE0ELb0ES3_N6thrust23THRUST_200600_302600_NS6detail15normal_iteratorINS9_10device_ptrIiEEEENSB_INSC_IsEEEESG_sNS9_4plusIvEENS9_8equal_toIvEEsEE10hipError_tPvRmT2_T3_T4_T5_mT6_T7_P12ihipStream_tbENKUlT_T0_E_clISt17integral_constantIbLb0EES11_EEDaSW_SX_EUlSW_E_NS1_11comp_targetILNS1_3genE10ELNS1_11target_archE1200ELNS1_3gpuE4ELNS1_3repE0EEENS1_30default_config_static_selectorELNS0_4arch9wavefront6targetE0EEEvT1_.num_agpr, 0
	.set _ZN7rocprim17ROCPRIM_400000_NS6detail17trampoline_kernelINS0_14default_configENS1_27scan_by_key_config_selectorIisEEZZNS1_16scan_by_key_implILNS1_25lookback_scan_determinismE0ELb0ES3_N6thrust23THRUST_200600_302600_NS6detail15normal_iteratorINS9_10device_ptrIiEEEENSB_INSC_IsEEEESG_sNS9_4plusIvEENS9_8equal_toIvEEsEE10hipError_tPvRmT2_T3_T4_T5_mT6_T7_P12ihipStream_tbENKUlT_T0_E_clISt17integral_constantIbLb0EES11_EEDaSW_SX_EUlSW_E_NS1_11comp_targetILNS1_3genE10ELNS1_11target_archE1200ELNS1_3gpuE4ELNS1_3repE0EEENS1_30default_config_static_selectorELNS0_4arch9wavefront6targetE0EEEvT1_.numbered_sgpr, 0
	.set _ZN7rocprim17ROCPRIM_400000_NS6detail17trampoline_kernelINS0_14default_configENS1_27scan_by_key_config_selectorIisEEZZNS1_16scan_by_key_implILNS1_25lookback_scan_determinismE0ELb0ES3_N6thrust23THRUST_200600_302600_NS6detail15normal_iteratorINS9_10device_ptrIiEEEENSB_INSC_IsEEEESG_sNS9_4plusIvEENS9_8equal_toIvEEsEE10hipError_tPvRmT2_T3_T4_T5_mT6_T7_P12ihipStream_tbENKUlT_T0_E_clISt17integral_constantIbLb0EES11_EEDaSW_SX_EUlSW_E_NS1_11comp_targetILNS1_3genE10ELNS1_11target_archE1200ELNS1_3gpuE4ELNS1_3repE0EEENS1_30default_config_static_selectorELNS0_4arch9wavefront6targetE0EEEvT1_.num_named_barrier, 0
	.set _ZN7rocprim17ROCPRIM_400000_NS6detail17trampoline_kernelINS0_14default_configENS1_27scan_by_key_config_selectorIisEEZZNS1_16scan_by_key_implILNS1_25lookback_scan_determinismE0ELb0ES3_N6thrust23THRUST_200600_302600_NS6detail15normal_iteratorINS9_10device_ptrIiEEEENSB_INSC_IsEEEESG_sNS9_4plusIvEENS9_8equal_toIvEEsEE10hipError_tPvRmT2_T3_T4_T5_mT6_T7_P12ihipStream_tbENKUlT_T0_E_clISt17integral_constantIbLb0EES11_EEDaSW_SX_EUlSW_E_NS1_11comp_targetILNS1_3genE10ELNS1_11target_archE1200ELNS1_3gpuE4ELNS1_3repE0EEENS1_30default_config_static_selectorELNS0_4arch9wavefront6targetE0EEEvT1_.private_seg_size, 0
	.set _ZN7rocprim17ROCPRIM_400000_NS6detail17trampoline_kernelINS0_14default_configENS1_27scan_by_key_config_selectorIisEEZZNS1_16scan_by_key_implILNS1_25lookback_scan_determinismE0ELb0ES3_N6thrust23THRUST_200600_302600_NS6detail15normal_iteratorINS9_10device_ptrIiEEEENSB_INSC_IsEEEESG_sNS9_4plusIvEENS9_8equal_toIvEEsEE10hipError_tPvRmT2_T3_T4_T5_mT6_T7_P12ihipStream_tbENKUlT_T0_E_clISt17integral_constantIbLb0EES11_EEDaSW_SX_EUlSW_E_NS1_11comp_targetILNS1_3genE10ELNS1_11target_archE1200ELNS1_3gpuE4ELNS1_3repE0EEENS1_30default_config_static_selectorELNS0_4arch9wavefront6targetE0EEEvT1_.uses_vcc, 0
	.set _ZN7rocprim17ROCPRIM_400000_NS6detail17trampoline_kernelINS0_14default_configENS1_27scan_by_key_config_selectorIisEEZZNS1_16scan_by_key_implILNS1_25lookback_scan_determinismE0ELb0ES3_N6thrust23THRUST_200600_302600_NS6detail15normal_iteratorINS9_10device_ptrIiEEEENSB_INSC_IsEEEESG_sNS9_4plusIvEENS9_8equal_toIvEEsEE10hipError_tPvRmT2_T3_T4_T5_mT6_T7_P12ihipStream_tbENKUlT_T0_E_clISt17integral_constantIbLb0EES11_EEDaSW_SX_EUlSW_E_NS1_11comp_targetILNS1_3genE10ELNS1_11target_archE1200ELNS1_3gpuE4ELNS1_3repE0EEENS1_30default_config_static_selectorELNS0_4arch9wavefront6targetE0EEEvT1_.uses_flat_scratch, 0
	.set _ZN7rocprim17ROCPRIM_400000_NS6detail17trampoline_kernelINS0_14default_configENS1_27scan_by_key_config_selectorIisEEZZNS1_16scan_by_key_implILNS1_25lookback_scan_determinismE0ELb0ES3_N6thrust23THRUST_200600_302600_NS6detail15normal_iteratorINS9_10device_ptrIiEEEENSB_INSC_IsEEEESG_sNS9_4plusIvEENS9_8equal_toIvEEsEE10hipError_tPvRmT2_T3_T4_T5_mT6_T7_P12ihipStream_tbENKUlT_T0_E_clISt17integral_constantIbLb0EES11_EEDaSW_SX_EUlSW_E_NS1_11comp_targetILNS1_3genE10ELNS1_11target_archE1200ELNS1_3gpuE4ELNS1_3repE0EEENS1_30default_config_static_selectorELNS0_4arch9wavefront6targetE0EEEvT1_.has_dyn_sized_stack, 0
	.set _ZN7rocprim17ROCPRIM_400000_NS6detail17trampoline_kernelINS0_14default_configENS1_27scan_by_key_config_selectorIisEEZZNS1_16scan_by_key_implILNS1_25lookback_scan_determinismE0ELb0ES3_N6thrust23THRUST_200600_302600_NS6detail15normal_iteratorINS9_10device_ptrIiEEEENSB_INSC_IsEEEESG_sNS9_4plusIvEENS9_8equal_toIvEEsEE10hipError_tPvRmT2_T3_T4_T5_mT6_T7_P12ihipStream_tbENKUlT_T0_E_clISt17integral_constantIbLb0EES11_EEDaSW_SX_EUlSW_E_NS1_11comp_targetILNS1_3genE10ELNS1_11target_archE1200ELNS1_3gpuE4ELNS1_3repE0EEENS1_30default_config_static_selectorELNS0_4arch9wavefront6targetE0EEEvT1_.has_recursion, 0
	.set _ZN7rocprim17ROCPRIM_400000_NS6detail17trampoline_kernelINS0_14default_configENS1_27scan_by_key_config_selectorIisEEZZNS1_16scan_by_key_implILNS1_25lookback_scan_determinismE0ELb0ES3_N6thrust23THRUST_200600_302600_NS6detail15normal_iteratorINS9_10device_ptrIiEEEENSB_INSC_IsEEEESG_sNS9_4plusIvEENS9_8equal_toIvEEsEE10hipError_tPvRmT2_T3_T4_T5_mT6_T7_P12ihipStream_tbENKUlT_T0_E_clISt17integral_constantIbLb0EES11_EEDaSW_SX_EUlSW_E_NS1_11comp_targetILNS1_3genE10ELNS1_11target_archE1200ELNS1_3gpuE4ELNS1_3repE0EEENS1_30default_config_static_selectorELNS0_4arch9wavefront6targetE0EEEvT1_.has_indirect_call, 0
	.section	.AMDGPU.csdata,"",@progbits
; Kernel info:
; codeLenInByte = 0
; TotalNumSgprs: 0
; NumVgprs: 0
; ScratchSize: 0
; MemoryBound: 0
; FloatMode: 240
; IeeeMode: 1
; LDSByteSize: 0 bytes/workgroup (compile time only)
; SGPRBlocks: 0
; VGPRBlocks: 0
; NumSGPRsForWavesPerEU: 1
; NumVGPRsForWavesPerEU: 1
; Occupancy: 16
; WaveLimiterHint : 0
; COMPUTE_PGM_RSRC2:SCRATCH_EN: 0
; COMPUTE_PGM_RSRC2:USER_SGPR: 6
; COMPUTE_PGM_RSRC2:TRAP_HANDLER: 0
; COMPUTE_PGM_RSRC2:TGID_X_EN: 1
; COMPUTE_PGM_RSRC2:TGID_Y_EN: 0
; COMPUTE_PGM_RSRC2:TGID_Z_EN: 0
; COMPUTE_PGM_RSRC2:TIDIG_COMP_CNT: 0
	.section	.text._ZN7rocprim17ROCPRIM_400000_NS6detail17trampoline_kernelINS0_14default_configENS1_27scan_by_key_config_selectorIisEEZZNS1_16scan_by_key_implILNS1_25lookback_scan_determinismE0ELb0ES3_N6thrust23THRUST_200600_302600_NS6detail15normal_iteratorINS9_10device_ptrIiEEEENSB_INSC_IsEEEESG_sNS9_4plusIvEENS9_8equal_toIvEEsEE10hipError_tPvRmT2_T3_T4_T5_mT6_T7_P12ihipStream_tbENKUlT_T0_E_clISt17integral_constantIbLb0EES11_EEDaSW_SX_EUlSW_E_NS1_11comp_targetILNS1_3genE9ELNS1_11target_archE1100ELNS1_3gpuE3ELNS1_3repE0EEENS1_30default_config_static_selectorELNS0_4arch9wavefront6targetE0EEEvT1_,"axG",@progbits,_ZN7rocprim17ROCPRIM_400000_NS6detail17trampoline_kernelINS0_14default_configENS1_27scan_by_key_config_selectorIisEEZZNS1_16scan_by_key_implILNS1_25lookback_scan_determinismE0ELb0ES3_N6thrust23THRUST_200600_302600_NS6detail15normal_iteratorINS9_10device_ptrIiEEEENSB_INSC_IsEEEESG_sNS9_4plusIvEENS9_8equal_toIvEEsEE10hipError_tPvRmT2_T3_T4_T5_mT6_T7_P12ihipStream_tbENKUlT_T0_E_clISt17integral_constantIbLb0EES11_EEDaSW_SX_EUlSW_E_NS1_11comp_targetILNS1_3genE9ELNS1_11target_archE1100ELNS1_3gpuE3ELNS1_3repE0EEENS1_30default_config_static_selectorELNS0_4arch9wavefront6targetE0EEEvT1_,comdat
	.protected	_ZN7rocprim17ROCPRIM_400000_NS6detail17trampoline_kernelINS0_14default_configENS1_27scan_by_key_config_selectorIisEEZZNS1_16scan_by_key_implILNS1_25lookback_scan_determinismE0ELb0ES3_N6thrust23THRUST_200600_302600_NS6detail15normal_iteratorINS9_10device_ptrIiEEEENSB_INSC_IsEEEESG_sNS9_4plusIvEENS9_8equal_toIvEEsEE10hipError_tPvRmT2_T3_T4_T5_mT6_T7_P12ihipStream_tbENKUlT_T0_E_clISt17integral_constantIbLb0EES11_EEDaSW_SX_EUlSW_E_NS1_11comp_targetILNS1_3genE9ELNS1_11target_archE1100ELNS1_3gpuE3ELNS1_3repE0EEENS1_30default_config_static_selectorELNS0_4arch9wavefront6targetE0EEEvT1_ ; -- Begin function _ZN7rocprim17ROCPRIM_400000_NS6detail17trampoline_kernelINS0_14default_configENS1_27scan_by_key_config_selectorIisEEZZNS1_16scan_by_key_implILNS1_25lookback_scan_determinismE0ELb0ES3_N6thrust23THRUST_200600_302600_NS6detail15normal_iteratorINS9_10device_ptrIiEEEENSB_INSC_IsEEEESG_sNS9_4plusIvEENS9_8equal_toIvEEsEE10hipError_tPvRmT2_T3_T4_T5_mT6_T7_P12ihipStream_tbENKUlT_T0_E_clISt17integral_constantIbLb0EES11_EEDaSW_SX_EUlSW_E_NS1_11comp_targetILNS1_3genE9ELNS1_11target_archE1100ELNS1_3gpuE3ELNS1_3repE0EEENS1_30default_config_static_selectorELNS0_4arch9wavefront6targetE0EEEvT1_
	.globl	_ZN7rocprim17ROCPRIM_400000_NS6detail17trampoline_kernelINS0_14default_configENS1_27scan_by_key_config_selectorIisEEZZNS1_16scan_by_key_implILNS1_25lookback_scan_determinismE0ELb0ES3_N6thrust23THRUST_200600_302600_NS6detail15normal_iteratorINS9_10device_ptrIiEEEENSB_INSC_IsEEEESG_sNS9_4plusIvEENS9_8equal_toIvEEsEE10hipError_tPvRmT2_T3_T4_T5_mT6_T7_P12ihipStream_tbENKUlT_T0_E_clISt17integral_constantIbLb0EES11_EEDaSW_SX_EUlSW_E_NS1_11comp_targetILNS1_3genE9ELNS1_11target_archE1100ELNS1_3gpuE3ELNS1_3repE0EEENS1_30default_config_static_selectorELNS0_4arch9wavefront6targetE0EEEvT1_
	.p2align	8
	.type	_ZN7rocprim17ROCPRIM_400000_NS6detail17trampoline_kernelINS0_14default_configENS1_27scan_by_key_config_selectorIisEEZZNS1_16scan_by_key_implILNS1_25lookback_scan_determinismE0ELb0ES3_N6thrust23THRUST_200600_302600_NS6detail15normal_iteratorINS9_10device_ptrIiEEEENSB_INSC_IsEEEESG_sNS9_4plusIvEENS9_8equal_toIvEEsEE10hipError_tPvRmT2_T3_T4_T5_mT6_T7_P12ihipStream_tbENKUlT_T0_E_clISt17integral_constantIbLb0EES11_EEDaSW_SX_EUlSW_E_NS1_11comp_targetILNS1_3genE9ELNS1_11target_archE1100ELNS1_3gpuE3ELNS1_3repE0EEENS1_30default_config_static_selectorELNS0_4arch9wavefront6targetE0EEEvT1_,@function
_ZN7rocprim17ROCPRIM_400000_NS6detail17trampoline_kernelINS0_14default_configENS1_27scan_by_key_config_selectorIisEEZZNS1_16scan_by_key_implILNS1_25lookback_scan_determinismE0ELb0ES3_N6thrust23THRUST_200600_302600_NS6detail15normal_iteratorINS9_10device_ptrIiEEEENSB_INSC_IsEEEESG_sNS9_4plusIvEENS9_8equal_toIvEEsEE10hipError_tPvRmT2_T3_T4_T5_mT6_T7_P12ihipStream_tbENKUlT_T0_E_clISt17integral_constantIbLb0EES11_EEDaSW_SX_EUlSW_E_NS1_11comp_targetILNS1_3genE9ELNS1_11target_archE1100ELNS1_3gpuE3ELNS1_3repE0EEENS1_30default_config_static_selectorELNS0_4arch9wavefront6targetE0EEEvT1_: ; @_ZN7rocprim17ROCPRIM_400000_NS6detail17trampoline_kernelINS0_14default_configENS1_27scan_by_key_config_selectorIisEEZZNS1_16scan_by_key_implILNS1_25lookback_scan_determinismE0ELb0ES3_N6thrust23THRUST_200600_302600_NS6detail15normal_iteratorINS9_10device_ptrIiEEEENSB_INSC_IsEEEESG_sNS9_4plusIvEENS9_8equal_toIvEEsEE10hipError_tPvRmT2_T3_T4_T5_mT6_T7_P12ihipStream_tbENKUlT_T0_E_clISt17integral_constantIbLb0EES11_EEDaSW_SX_EUlSW_E_NS1_11comp_targetILNS1_3genE9ELNS1_11target_archE1100ELNS1_3gpuE3ELNS1_3repE0EEENS1_30default_config_static_selectorELNS0_4arch9wavefront6targetE0EEEvT1_
; %bb.0:
	.section	.rodata,"a",@progbits
	.p2align	6, 0x0
	.amdhsa_kernel _ZN7rocprim17ROCPRIM_400000_NS6detail17trampoline_kernelINS0_14default_configENS1_27scan_by_key_config_selectorIisEEZZNS1_16scan_by_key_implILNS1_25lookback_scan_determinismE0ELb0ES3_N6thrust23THRUST_200600_302600_NS6detail15normal_iteratorINS9_10device_ptrIiEEEENSB_INSC_IsEEEESG_sNS9_4plusIvEENS9_8equal_toIvEEsEE10hipError_tPvRmT2_T3_T4_T5_mT6_T7_P12ihipStream_tbENKUlT_T0_E_clISt17integral_constantIbLb0EES11_EEDaSW_SX_EUlSW_E_NS1_11comp_targetILNS1_3genE9ELNS1_11target_archE1100ELNS1_3gpuE3ELNS1_3repE0EEENS1_30default_config_static_selectorELNS0_4arch9wavefront6targetE0EEEvT1_
		.amdhsa_group_segment_fixed_size 0
		.amdhsa_private_segment_fixed_size 0
		.amdhsa_kernarg_size 112
		.amdhsa_user_sgpr_count 6
		.amdhsa_user_sgpr_private_segment_buffer 1
		.amdhsa_user_sgpr_dispatch_ptr 0
		.amdhsa_user_sgpr_queue_ptr 0
		.amdhsa_user_sgpr_kernarg_segment_ptr 1
		.amdhsa_user_sgpr_dispatch_id 0
		.amdhsa_user_sgpr_flat_scratch_init 0
		.amdhsa_user_sgpr_private_segment_size 0
		.amdhsa_wavefront_size32 1
		.amdhsa_uses_dynamic_stack 0
		.amdhsa_system_sgpr_private_segment_wavefront_offset 0
		.amdhsa_system_sgpr_workgroup_id_x 1
		.amdhsa_system_sgpr_workgroup_id_y 0
		.amdhsa_system_sgpr_workgroup_id_z 0
		.amdhsa_system_sgpr_workgroup_info 0
		.amdhsa_system_vgpr_workitem_id 0
		.amdhsa_next_free_vgpr 1
		.amdhsa_next_free_sgpr 1
		.amdhsa_reserve_vcc 0
		.amdhsa_reserve_flat_scratch 0
		.amdhsa_float_round_mode_32 0
		.amdhsa_float_round_mode_16_64 0
		.amdhsa_float_denorm_mode_32 3
		.amdhsa_float_denorm_mode_16_64 3
		.amdhsa_dx10_clamp 1
		.amdhsa_ieee_mode 1
		.amdhsa_fp16_overflow 0
		.amdhsa_workgroup_processor_mode 1
		.amdhsa_memory_ordered 1
		.amdhsa_forward_progress 1
		.amdhsa_shared_vgpr_count 0
		.amdhsa_exception_fp_ieee_invalid_op 0
		.amdhsa_exception_fp_denorm_src 0
		.amdhsa_exception_fp_ieee_div_zero 0
		.amdhsa_exception_fp_ieee_overflow 0
		.amdhsa_exception_fp_ieee_underflow 0
		.amdhsa_exception_fp_ieee_inexact 0
		.amdhsa_exception_int_div_zero 0
	.end_amdhsa_kernel
	.section	.text._ZN7rocprim17ROCPRIM_400000_NS6detail17trampoline_kernelINS0_14default_configENS1_27scan_by_key_config_selectorIisEEZZNS1_16scan_by_key_implILNS1_25lookback_scan_determinismE0ELb0ES3_N6thrust23THRUST_200600_302600_NS6detail15normal_iteratorINS9_10device_ptrIiEEEENSB_INSC_IsEEEESG_sNS9_4plusIvEENS9_8equal_toIvEEsEE10hipError_tPvRmT2_T3_T4_T5_mT6_T7_P12ihipStream_tbENKUlT_T0_E_clISt17integral_constantIbLb0EES11_EEDaSW_SX_EUlSW_E_NS1_11comp_targetILNS1_3genE9ELNS1_11target_archE1100ELNS1_3gpuE3ELNS1_3repE0EEENS1_30default_config_static_selectorELNS0_4arch9wavefront6targetE0EEEvT1_,"axG",@progbits,_ZN7rocprim17ROCPRIM_400000_NS6detail17trampoline_kernelINS0_14default_configENS1_27scan_by_key_config_selectorIisEEZZNS1_16scan_by_key_implILNS1_25lookback_scan_determinismE0ELb0ES3_N6thrust23THRUST_200600_302600_NS6detail15normal_iteratorINS9_10device_ptrIiEEEENSB_INSC_IsEEEESG_sNS9_4plusIvEENS9_8equal_toIvEEsEE10hipError_tPvRmT2_T3_T4_T5_mT6_T7_P12ihipStream_tbENKUlT_T0_E_clISt17integral_constantIbLb0EES11_EEDaSW_SX_EUlSW_E_NS1_11comp_targetILNS1_3genE9ELNS1_11target_archE1100ELNS1_3gpuE3ELNS1_3repE0EEENS1_30default_config_static_selectorELNS0_4arch9wavefront6targetE0EEEvT1_,comdat
.Lfunc_end1359:
	.size	_ZN7rocprim17ROCPRIM_400000_NS6detail17trampoline_kernelINS0_14default_configENS1_27scan_by_key_config_selectorIisEEZZNS1_16scan_by_key_implILNS1_25lookback_scan_determinismE0ELb0ES3_N6thrust23THRUST_200600_302600_NS6detail15normal_iteratorINS9_10device_ptrIiEEEENSB_INSC_IsEEEESG_sNS9_4plusIvEENS9_8equal_toIvEEsEE10hipError_tPvRmT2_T3_T4_T5_mT6_T7_P12ihipStream_tbENKUlT_T0_E_clISt17integral_constantIbLb0EES11_EEDaSW_SX_EUlSW_E_NS1_11comp_targetILNS1_3genE9ELNS1_11target_archE1100ELNS1_3gpuE3ELNS1_3repE0EEENS1_30default_config_static_selectorELNS0_4arch9wavefront6targetE0EEEvT1_, .Lfunc_end1359-_ZN7rocprim17ROCPRIM_400000_NS6detail17trampoline_kernelINS0_14default_configENS1_27scan_by_key_config_selectorIisEEZZNS1_16scan_by_key_implILNS1_25lookback_scan_determinismE0ELb0ES3_N6thrust23THRUST_200600_302600_NS6detail15normal_iteratorINS9_10device_ptrIiEEEENSB_INSC_IsEEEESG_sNS9_4plusIvEENS9_8equal_toIvEEsEE10hipError_tPvRmT2_T3_T4_T5_mT6_T7_P12ihipStream_tbENKUlT_T0_E_clISt17integral_constantIbLb0EES11_EEDaSW_SX_EUlSW_E_NS1_11comp_targetILNS1_3genE9ELNS1_11target_archE1100ELNS1_3gpuE3ELNS1_3repE0EEENS1_30default_config_static_selectorELNS0_4arch9wavefront6targetE0EEEvT1_
                                        ; -- End function
	.set _ZN7rocprim17ROCPRIM_400000_NS6detail17trampoline_kernelINS0_14default_configENS1_27scan_by_key_config_selectorIisEEZZNS1_16scan_by_key_implILNS1_25lookback_scan_determinismE0ELb0ES3_N6thrust23THRUST_200600_302600_NS6detail15normal_iteratorINS9_10device_ptrIiEEEENSB_INSC_IsEEEESG_sNS9_4plusIvEENS9_8equal_toIvEEsEE10hipError_tPvRmT2_T3_T4_T5_mT6_T7_P12ihipStream_tbENKUlT_T0_E_clISt17integral_constantIbLb0EES11_EEDaSW_SX_EUlSW_E_NS1_11comp_targetILNS1_3genE9ELNS1_11target_archE1100ELNS1_3gpuE3ELNS1_3repE0EEENS1_30default_config_static_selectorELNS0_4arch9wavefront6targetE0EEEvT1_.num_vgpr, 0
	.set _ZN7rocprim17ROCPRIM_400000_NS6detail17trampoline_kernelINS0_14default_configENS1_27scan_by_key_config_selectorIisEEZZNS1_16scan_by_key_implILNS1_25lookback_scan_determinismE0ELb0ES3_N6thrust23THRUST_200600_302600_NS6detail15normal_iteratorINS9_10device_ptrIiEEEENSB_INSC_IsEEEESG_sNS9_4plusIvEENS9_8equal_toIvEEsEE10hipError_tPvRmT2_T3_T4_T5_mT6_T7_P12ihipStream_tbENKUlT_T0_E_clISt17integral_constantIbLb0EES11_EEDaSW_SX_EUlSW_E_NS1_11comp_targetILNS1_3genE9ELNS1_11target_archE1100ELNS1_3gpuE3ELNS1_3repE0EEENS1_30default_config_static_selectorELNS0_4arch9wavefront6targetE0EEEvT1_.num_agpr, 0
	.set _ZN7rocprim17ROCPRIM_400000_NS6detail17trampoline_kernelINS0_14default_configENS1_27scan_by_key_config_selectorIisEEZZNS1_16scan_by_key_implILNS1_25lookback_scan_determinismE0ELb0ES3_N6thrust23THRUST_200600_302600_NS6detail15normal_iteratorINS9_10device_ptrIiEEEENSB_INSC_IsEEEESG_sNS9_4plusIvEENS9_8equal_toIvEEsEE10hipError_tPvRmT2_T3_T4_T5_mT6_T7_P12ihipStream_tbENKUlT_T0_E_clISt17integral_constantIbLb0EES11_EEDaSW_SX_EUlSW_E_NS1_11comp_targetILNS1_3genE9ELNS1_11target_archE1100ELNS1_3gpuE3ELNS1_3repE0EEENS1_30default_config_static_selectorELNS0_4arch9wavefront6targetE0EEEvT1_.numbered_sgpr, 0
	.set _ZN7rocprim17ROCPRIM_400000_NS6detail17trampoline_kernelINS0_14default_configENS1_27scan_by_key_config_selectorIisEEZZNS1_16scan_by_key_implILNS1_25lookback_scan_determinismE0ELb0ES3_N6thrust23THRUST_200600_302600_NS6detail15normal_iteratorINS9_10device_ptrIiEEEENSB_INSC_IsEEEESG_sNS9_4plusIvEENS9_8equal_toIvEEsEE10hipError_tPvRmT2_T3_T4_T5_mT6_T7_P12ihipStream_tbENKUlT_T0_E_clISt17integral_constantIbLb0EES11_EEDaSW_SX_EUlSW_E_NS1_11comp_targetILNS1_3genE9ELNS1_11target_archE1100ELNS1_3gpuE3ELNS1_3repE0EEENS1_30default_config_static_selectorELNS0_4arch9wavefront6targetE0EEEvT1_.num_named_barrier, 0
	.set _ZN7rocprim17ROCPRIM_400000_NS6detail17trampoline_kernelINS0_14default_configENS1_27scan_by_key_config_selectorIisEEZZNS1_16scan_by_key_implILNS1_25lookback_scan_determinismE0ELb0ES3_N6thrust23THRUST_200600_302600_NS6detail15normal_iteratorINS9_10device_ptrIiEEEENSB_INSC_IsEEEESG_sNS9_4plusIvEENS9_8equal_toIvEEsEE10hipError_tPvRmT2_T3_T4_T5_mT6_T7_P12ihipStream_tbENKUlT_T0_E_clISt17integral_constantIbLb0EES11_EEDaSW_SX_EUlSW_E_NS1_11comp_targetILNS1_3genE9ELNS1_11target_archE1100ELNS1_3gpuE3ELNS1_3repE0EEENS1_30default_config_static_selectorELNS0_4arch9wavefront6targetE0EEEvT1_.private_seg_size, 0
	.set _ZN7rocprim17ROCPRIM_400000_NS6detail17trampoline_kernelINS0_14default_configENS1_27scan_by_key_config_selectorIisEEZZNS1_16scan_by_key_implILNS1_25lookback_scan_determinismE0ELb0ES3_N6thrust23THRUST_200600_302600_NS6detail15normal_iteratorINS9_10device_ptrIiEEEENSB_INSC_IsEEEESG_sNS9_4plusIvEENS9_8equal_toIvEEsEE10hipError_tPvRmT2_T3_T4_T5_mT6_T7_P12ihipStream_tbENKUlT_T0_E_clISt17integral_constantIbLb0EES11_EEDaSW_SX_EUlSW_E_NS1_11comp_targetILNS1_3genE9ELNS1_11target_archE1100ELNS1_3gpuE3ELNS1_3repE0EEENS1_30default_config_static_selectorELNS0_4arch9wavefront6targetE0EEEvT1_.uses_vcc, 0
	.set _ZN7rocprim17ROCPRIM_400000_NS6detail17trampoline_kernelINS0_14default_configENS1_27scan_by_key_config_selectorIisEEZZNS1_16scan_by_key_implILNS1_25lookback_scan_determinismE0ELb0ES3_N6thrust23THRUST_200600_302600_NS6detail15normal_iteratorINS9_10device_ptrIiEEEENSB_INSC_IsEEEESG_sNS9_4plusIvEENS9_8equal_toIvEEsEE10hipError_tPvRmT2_T3_T4_T5_mT6_T7_P12ihipStream_tbENKUlT_T0_E_clISt17integral_constantIbLb0EES11_EEDaSW_SX_EUlSW_E_NS1_11comp_targetILNS1_3genE9ELNS1_11target_archE1100ELNS1_3gpuE3ELNS1_3repE0EEENS1_30default_config_static_selectorELNS0_4arch9wavefront6targetE0EEEvT1_.uses_flat_scratch, 0
	.set _ZN7rocprim17ROCPRIM_400000_NS6detail17trampoline_kernelINS0_14default_configENS1_27scan_by_key_config_selectorIisEEZZNS1_16scan_by_key_implILNS1_25lookback_scan_determinismE0ELb0ES3_N6thrust23THRUST_200600_302600_NS6detail15normal_iteratorINS9_10device_ptrIiEEEENSB_INSC_IsEEEESG_sNS9_4plusIvEENS9_8equal_toIvEEsEE10hipError_tPvRmT2_T3_T4_T5_mT6_T7_P12ihipStream_tbENKUlT_T0_E_clISt17integral_constantIbLb0EES11_EEDaSW_SX_EUlSW_E_NS1_11comp_targetILNS1_3genE9ELNS1_11target_archE1100ELNS1_3gpuE3ELNS1_3repE0EEENS1_30default_config_static_selectorELNS0_4arch9wavefront6targetE0EEEvT1_.has_dyn_sized_stack, 0
	.set _ZN7rocprim17ROCPRIM_400000_NS6detail17trampoline_kernelINS0_14default_configENS1_27scan_by_key_config_selectorIisEEZZNS1_16scan_by_key_implILNS1_25lookback_scan_determinismE0ELb0ES3_N6thrust23THRUST_200600_302600_NS6detail15normal_iteratorINS9_10device_ptrIiEEEENSB_INSC_IsEEEESG_sNS9_4plusIvEENS9_8equal_toIvEEsEE10hipError_tPvRmT2_T3_T4_T5_mT6_T7_P12ihipStream_tbENKUlT_T0_E_clISt17integral_constantIbLb0EES11_EEDaSW_SX_EUlSW_E_NS1_11comp_targetILNS1_3genE9ELNS1_11target_archE1100ELNS1_3gpuE3ELNS1_3repE0EEENS1_30default_config_static_selectorELNS0_4arch9wavefront6targetE0EEEvT1_.has_recursion, 0
	.set _ZN7rocprim17ROCPRIM_400000_NS6detail17trampoline_kernelINS0_14default_configENS1_27scan_by_key_config_selectorIisEEZZNS1_16scan_by_key_implILNS1_25lookback_scan_determinismE0ELb0ES3_N6thrust23THRUST_200600_302600_NS6detail15normal_iteratorINS9_10device_ptrIiEEEENSB_INSC_IsEEEESG_sNS9_4plusIvEENS9_8equal_toIvEEsEE10hipError_tPvRmT2_T3_T4_T5_mT6_T7_P12ihipStream_tbENKUlT_T0_E_clISt17integral_constantIbLb0EES11_EEDaSW_SX_EUlSW_E_NS1_11comp_targetILNS1_3genE9ELNS1_11target_archE1100ELNS1_3gpuE3ELNS1_3repE0EEENS1_30default_config_static_selectorELNS0_4arch9wavefront6targetE0EEEvT1_.has_indirect_call, 0
	.section	.AMDGPU.csdata,"",@progbits
; Kernel info:
; codeLenInByte = 0
; TotalNumSgprs: 0
; NumVgprs: 0
; ScratchSize: 0
; MemoryBound: 0
; FloatMode: 240
; IeeeMode: 1
; LDSByteSize: 0 bytes/workgroup (compile time only)
; SGPRBlocks: 0
; VGPRBlocks: 0
; NumSGPRsForWavesPerEU: 1
; NumVGPRsForWavesPerEU: 1
; Occupancy: 16
; WaveLimiterHint : 0
; COMPUTE_PGM_RSRC2:SCRATCH_EN: 0
; COMPUTE_PGM_RSRC2:USER_SGPR: 6
; COMPUTE_PGM_RSRC2:TRAP_HANDLER: 0
; COMPUTE_PGM_RSRC2:TGID_X_EN: 1
; COMPUTE_PGM_RSRC2:TGID_Y_EN: 0
; COMPUTE_PGM_RSRC2:TGID_Z_EN: 0
; COMPUTE_PGM_RSRC2:TIDIG_COMP_CNT: 0
	.section	.text._ZN7rocprim17ROCPRIM_400000_NS6detail17trampoline_kernelINS0_14default_configENS1_27scan_by_key_config_selectorIisEEZZNS1_16scan_by_key_implILNS1_25lookback_scan_determinismE0ELb0ES3_N6thrust23THRUST_200600_302600_NS6detail15normal_iteratorINS9_10device_ptrIiEEEENSB_INSC_IsEEEESG_sNS9_4plusIvEENS9_8equal_toIvEEsEE10hipError_tPvRmT2_T3_T4_T5_mT6_T7_P12ihipStream_tbENKUlT_T0_E_clISt17integral_constantIbLb0EES11_EEDaSW_SX_EUlSW_E_NS1_11comp_targetILNS1_3genE8ELNS1_11target_archE1030ELNS1_3gpuE2ELNS1_3repE0EEENS1_30default_config_static_selectorELNS0_4arch9wavefront6targetE0EEEvT1_,"axG",@progbits,_ZN7rocprim17ROCPRIM_400000_NS6detail17trampoline_kernelINS0_14default_configENS1_27scan_by_key_config_selectorIisEEZZNS1_16scan_by_key_implILNS1_25lookback_scan_determinismE0ELb0ES3_N6thrust23THRUST_200600_302600_NS6detail15normal_iteratorINS9_10device_ptrIiEEEENSB_INSC_IsEEEESG_sNS9_4plusIvEENS9_8equal_toIvEEsEE10hipError_tPvRmT2_T3_T4_T5_mT6_T7_P12ihipStream_tbENKUlT_T0_E_clISt17integral_constantIbLb0EES11_EEDaSW_SX_EUlSW_E_NS1_11comp_targetILNS1_3genE8ELNS1_11target_archE1030ELNS1_3gpuE2ELNS1_3repE0EEENS1_30default_config_static_selectorELNS0_4arch9wavefront6targetE0EEEvT1_,comdat
	.protected	_ZN7rocprim17ROCPRIM_400000_NS6detail17trampoline_kernelINS0_14default_configENS1_27scan_by_key_config_selectorIisEEZZNS1_16scan_by_key_implILNS1_25lookback_scan_determinismE0ELb0ES3_N6thrust23THRUST_200600_302600_NS6detail15normal_iteratorINS9_10device_ptrIiEEEENSB_INSC_IsEEEESG_sNS9_4plusIvEENS9_8equal_toIvEEsEE10hipError_tPvRmT2_T3_T4_T5_mT6_T7_P12ihipStream_tbENKUlT_T0_E_clISt17integral_constantIbLb0EES11_EEDaSW_SX_EUlSW_E_NS1_11comp_targetILNS1_3genE8ELNS1_11target_archE1030ELNS1_3gpuE2ELNS1_3repE0EEENS1_30default_config_static_selectorELNS0_4arch9wavefront6targetE0EEEvT1_ ; -- Begin function _ZN7rocprim17ROCPRIM_400000_NS6detail17trampoline_kernelINS0_14default_configENS1_27scan_by_key_config_selectorIisEEZZNS1_16scan_by_key_implILNS1_25lookback_scan_determinismE0ELb0ES3_N6thrust23THRUST_200600_302600_NS6detail15normal_iteratorINS9_10device_ptrIiEEEENSB_INSC_IsEEEESG_sNS9_4plusIvEENS9_8equal_toIvEEsEE10hipError_tPvRmT2_T3_T4_T5_mT6_T7_P12ihipStream_tbENKUlT_T0_E_clISt17integral_constantIbLb0EES11_EEDaSW_SX_EUlSW_E_NS1_11comp_targetILNS1_3genE8ELNS1_11target_archE1030ELNS1_3gpuE2ELNS1_3repE0EEENS1_30default_config_static_selectorELNS0_4arch9wavefront6targetE0EEEvT1_
	.globl	_ZN7rocprim17ROCPRIM_400000_NS6detail17trampoline_kernelINS0_14default_configENS1_27scan_by_key_config_selectorIisEEZZNS1_16scan_by_key_implILNS1_25lookback_scan_determinismE0ELb0ES3_N6thrust23THRUST_200600_302600_NS6detail15normal_iteratorINS9_10device_ptrIiEEEENSB_INSC_IsEEEESG_sNS9_4plusIvEENS9_8equal_toIvEEsEE10hipError_tPvRmT2_T3_T4_T5_mT6_T7_P12ihipStream_tbENKUlT_T0_E_clISt17integral_constantIbLb0EES11_EEDaSW_SX_EUlSW_E_NS1_11comp_targetILNS1_3genE8ELNS1_11target_archE1030ELNS1_3gpuE2ELNS1_3repE0EEENS1_30default_config_static_selectorELNS0_4arch9wavefront6targetE0EEEvT1_
	.p2align	8
	.type	_ZN7rocprim17ROCPRIM_400000_NS6detail17trampoline_kernelINS0_14default_configENS1_27scan_by_key_config_selectorIisEEZZNS1_16scan_by_key_implILNS1_25lookback_scan_determinismE0ELb0ES3_N6thrust23THRUST_200600_302600_NS6detail15normal_iteratorINS9_10device_ptrIiEEEENSB_INSC_IsEEEESG_sNS9_4plusIvEENS9_8equal_toIvEEsEE10hipError_tPvRmT2_T3_T4_T5_mT6_T7_P12ihipStream_tbENKUlT_T0_E_clISt17integral_constantIbLb0EES11_EEDaSW_SX_EUlSW_E_NS1_11comp_targetILNS1_3genE8ELNS1_11target_archE1030ELNS1_3gpuE2ELNS1_3repE0EEENS1_30default_config_static_selectorELNS0_4arch9wavefront6targetE0EEEvT1_,@function
_ZN7rocprim17ROCPRIM_400000_NS6detail17trampoline_kernelINS0_14default_configENS1_27scan_by_key_config_selectorIisEEZZNS1_16scan_by_key_implILNS1_25lookback_scan_determinismE0ELb0ES3_N6thrust23THRUST_200600_302600_NS6detail15normal_iteratorINS9_10device_ptrIiEEEENSB_INSC_IsEEEESG_sNS9_4plusIvEENS9_8equal_toIvEEsEE10hipError_tPvRmT2_T3_T4_T5_mT6_T7_P12ihipStream_tbENKUlT_T0_E_clISt17integral_constantIbLb0EES11_EEDaSW_SX_EUlSW_E_NS1_11comp_targetILNS1_3genE8ELNS1_11target_archE1030ELNS1_3gpuE2ELNS1_3repE0EEENS1_30default_config_static_selectorELNS0_4arch9wavefront6targetE0EEEvT1_: ; @_ZN7rocprim17ROCPRIM_400000_NS6detail17trampoline_kernelINS0_14default_configENS1_27scan_by_key_config_selectorIisEEZZNS1_16scan_by_key_implILNS1_25lookback_scan_determinismE0ELb0ES3_N6thrust23THRUST_200600_302600_NS6detail15normal_iteratorINS9_10device_ptrIiEEEENSB_INSC_IsEEEESG_sNS9_4plusIvEENS9_8equal_toIvEEsEE10hipError_tPvRmT2_T3_T4_T5_mT6_T7_P12ihipStream_tbENKUlT_T0_E_clISt17integral_constantIbLb0EES11_EEDaSW_SX_EUlSW_E_NS1_11comp_targetILNS1_3genE8ELNS1_11target_archE1030ELNS1_3gpuE2ELNS1_3repE0EEENS1_30default_config_static_selectorELNS0_4arch9wavefront6targetE0EEEvT1_
; %bb.0:
	s_clause 0x3
	s_load_dwordx8 s[8:15], s[4:5], 0x0
	s_load_dwordx2 s[28:29], s[4:5], 0x38
	s_load_dword s7, s[4:5], 0x40
	s_load_dwordx8 s[16:23], s[4:5], 0x48
	s_mov_b32 s1, 0
	s_load_dwordx4 s[24:27], s[4:5], 0x28
	s_waitcnt lgkmcnt(0)
	s_barrier
	buffer_gl0_inv
	s_lshl_b64 s[2:3], s[10:11], 2
	s_add_u32 s8, s8, s2
	s_addc_u32 s9, s9, s3
	s_lshl_b64 s[10:11], s[10:11], 1
	s_mul_i32 s0, s29, s7
	s_mul_hi_u32 s2, s28, s7
	s_add_u32 s30, s12, s10
	s_addc_u32 s33, s13, s11
	s_add_i32 s35, s2, s0
	s_cmp_lg_u64 s[20:21], 0
	s_mul_i32 s0, s6, 0x1c0
	s_cselect_b32 s34, -1, 0
	s_lshl_b64 s[2:3], s[0:1], 2
	s_add_u32 s8, s8, s2
	s_addc_u32 s9, s9, s3
	s_lshl_b64 s[12:13], s[0:1], 1
	s_mul_i32 s0, s28, s7
	s_add_u32 s31, s30, s12
	s_addc_u32 s33, s33, s13
	s_add_u32 s20, s0, s6
	s_addc_u32 s21, s35, 0
	s_add_u32 s2, s16, -1
	s_addc_u32 s3, s17, -1
	s_mul_i32 s27, s2, 0xfffffe40
	v_cmp_ge_u64_e64 s30, s[20:21], s[2:3]
	s_and_b32 vcc_lo, exec_lo, s30
	s_cbranch_vccz .LBB1360_42
; %bb.1:
	v_mov_b32_e32 v1, s8
	v_mov_b32_e32 v2, s9
	s_add_i32 s35, s27, s26
	v_cmp_gt_u32_e64 s7, s35, v0
	flat_load_dword v1, v[1:2]
	s_waitcnt vmcnt(0) lgkmcnt(0)
	v_mov_b32_e32 v2, v1
	s_and_saveexec_b32 s0, s7
	s_cbranch_execz .LBB1360_3
; %bb.2:
	v_lshlrev_b32_e32 v2, 2, v0
	v_add_co_u32 v2, s1, s8, v2
	v_add_co_ci_u32_e64 v3, null, s9, 0, s1
	flat_load_dword v2, v[2:3]
.LBB1360_3:
	s_or_b32 exec_lo, exec_lo, s0
	v_or_b32_e32 v3, 64, v0
	v_cmp_gt_u32_e64 s5, s35, v3
	v_mov_b32_e32 v3, v1
	s_and_saveexec_b32 s0, s5
	s_cbranch_execz .LBB1360_5
; %bb.4:
	v_lshlrev_b32_e32 v3, 2, v0
	v_add_co_u32 v3, s1, s8, v3
	v_add_co_ci_u32_e64 v4, null, s9, 0, s1
	flat_load_dword v3, v[3:4] offset:256
.LBB1360_5:
	s_or_b32 exec_lo, exec_lo, s0
	v_or_b32_e32 v4, 0x80, v0
	v_cmp_gt_u32_e64 s4, s35, v4
	v_mov_b32_e32 v4, v1
	s_and_saveexec_b32 s0, s4
	s_cbranch_execz .LBB1360_7
; %bb.6:
	v_lshlrev_b32_e32 v4, 2, v0
	v_add_co_u32 v4, s1, s8, v4
	v_add_co_ci_u32_e64 v5, null, s9, 0, s1
	flat_load_dword v4, v[4:5] offset:512
.LBB1360_7:
	;; [unrolled: 12-line block ×5, first 2 shown]
	s_or_b32 exec_lo, exec_lo, s0
	v_or_b32_e32 v8, 0x180, v0
	s_mov_b32 s16, exec_lo
	v_cmp_gt_u32_e64 s0, s35, v8
	v_cmpx_le_u32_e64 s35, v8
	s_xor_b32 s16, exec_lo, s16
	s_andn2_saveexec_b32 s16, s16
	s_cbranch_execz .LBB1360_15
; %bb.14:
	v_lshlrev_b32_e32 v1, 2, v0
	v_add_co_u32 v8, s17, s8, v1
	v_add_co_ci_u32_e64 v9, null, s9, 0, s17
	flat_load_dword v1, v[8:9] offset:1536
.LBB1360_15:
	s_or_b32 exec_lo, exec_lo, s16
	v_lshlrev_b32_e32 v8, 2, v0
	s_cmp_eq_u64 s[20:21], 0
	s_mov_b64 s[16:17], s[8:9]
	s_waitcnt vmcnt(0) lgkmcnt(0)
	ds_write2st64_b32 v8, v2, v3 offset1:1
	ds_write2st64_b32 v8, v4, v5 offset0:2 offset1:3
	ds_write2st64_b32 v8, v6, v7 offset0:4 offset1:5
	v_mad_u32_u24 v2, v0, 24, v8
	ds_write_b32 v8, v1 offset:1536
	s_waitcnt lgkmcnt(0)
	s_barrier
	buffer_gl0_inv
	ds_read2_b32 v[15:16], v2 offset1:1
	ds_read2_b32 v[13:14], v2 offset0:2 offset1:3
	ds_read2_b32 v[11:12], v2 offset0:4 offset1:5
	ds_read_b32 v18, v2 offset:24
	s_cbranch_scc1 .LBB1360_19
; %bb.16:
	s_andn2_b32 vcc_lo, exec_lo, s34
	s_cbranch_vccnz .LBB1360_177
; %bb.17:
	s_lshl_b64 s[16:17], s[20:21], 2
	s_add_u32 s16, s22, s16
	s_addc_u32 s17, s23, s17
	s_add_u32 s16, s16, -4
	s_addc_u32 s17, s17, -1
	s_cbranch_execnz .LBB1360_19
.LBB1360_18:
	s_add_u32 s16, s8, -4
	s_addc_u32 s17, s9, -1
.LBB1360_19:
	v_mov_b32_e32 v3, s16
	v_mov_b32_e32 v4, s17
	v_mad_i32_i24 v2, 0xffffffe8, v0, v2
	s_mov_b32 s16, exec_lo
	flat_load_dword v1, v[3:4]
	s_waitcnt lgkmcnt(1)
	ds_write_b32 v2, v18 offset:1792
	s_waitcnt vmcnt(0) lgkmcnt(0)
	s_barrier
	buffer_gl0_inv
	v_cmpx_ne_u32_e32 0, v0
; %bb.20:
	ds_read_b32 v1, v2 offset:1788
; %bb.21:
	s_or_b32 exec_lo, exec_lo, s16
	v_mov_b32_e32 v5, 0
	v_lshlrev_b32_e32 v3, 1, v0
	s_waitcnt lgkmcnt(0)
	s_barrier
	buffer_gl0_inv
	v_mov_b32_e32 v6, v5
	v_mov_b32_e32 v7, v5
	;; [unrolled: 1-line block ×3, first 2 shown]
	s_and_saveexec_b32 s16, s7
	s_cbranch_execnz .LBB1360_171
; %bb.22:
	s_or_b32 exec_lo, exec_lo, s16
	s_and_saveexec_b32 s7, s5
	s_cbranch_execnz .LBB1360_172
.LBB1360_23:
	s_or_b32 exec_lo, exec_lo, s7
	s_and_saveexec_b32 s5, s4
	s_cbranch_execnz .LBB1360_173
.LBB1360_24:
	s_or_b32 exec_lo, exec_lo, s5
	s_and_saveexec_b32 s4, s3
	s_cbranch_execnz .LBB1360_174
.LBB1360_25:
	s_or_b32 exec_lo, exec_lo, s4
	s_and_saveexec_b32 s3, s2
	s_cbranch_execnz .LBB1360_175
.LBB1360_26:
	s_or_b32 exec_lo, exec_lo, s3
	s_and_saveexec_b32 s2, s1
	s_cbranch_execnz .LBB1360_176
.LBB1360_27:
	s_or_b32 exec_lo, exec_lo, s2
	s_and_saveexec_b32 s1, s0
	s_cbranch_execz .LBB1360_29
.LBB1360_28:
	v_add_co_u32 v3, s0, s31, v3
	v_add_co_ci_u32_e64 v4, null, s33, 0, s0
	flat_load_short_d16 v8, v[3:4] offset:768
.LBB1360_29:
	s_or_b32 exec_lo, exec_lo, s1
	v_lshlrev_b32_e32 v3, 1, v0
	v_mov_b32_e32 v4, 0
	v_mul_u32_u24_e32 v21, 7, v0
	s_mov_b32 s0, 0
	s_mov_b32 s1, 0
	v_sub_nc_u32_e32 v9, v2, v3
	v_mov_b32_e32 v2, v4
	v_mov_b32_e32 v17, v4
	;; [unrolled: 1-line block ×3, first 2 shown]
	s_mov_b32 s3, exec_lo
	s_waitcnt vmcnt(0) lgkmcnt(0)
	ds_write_b16 v9, v5
	ds_write_b16_d16_hi v9, v5 offset:128
	ds_write_b16 v9, v6 offset:256
	ds_write_b16_d16_hi v9, v6 offset:384
	ds_write_b16 v9, v7 offset:512
	;; [unrolled: 2-line block ×3, first 2 shown]
	v_mov_b32_e32 v5, v4
	v_mov_b32_e32 v6, v4
	;; [unrolled: 1-line block ×3, first 2 shown]
	s_waitcnt lgkmcnt(0)
	s_barrier
	buffer_gl0_inv
                                        ; implicit-def: $sgpr2
                                        ; implicit-def: $vgpr19
	v_cmpx_gt_u32_e64 s35, v21
	s_cbranch_execz .LBB1360_41
; %bb.30:
	v_mad_u32_u24 v2, v0, 12, v9
	v_mov_b32_e32 v4, 0
	v_cmp_eq_u32_e32 vcc_lo, v1, v15
	s_mov_b32 s4, 0
	s_mov_b32 s1, exec_lo
	ds_read_u16 v17, v2
	v_add_nc_u32_e32 v2, 1, v21
	v_cndmask_b32_e64 v20, 0x10000, 0, vcc_lo
	v_mov_b32_e32 v5, v4
	v_mov_b32_e32 v6, v4
	v_mov_b32_e32 v7, v4
	v_mov_b32_e32 v3, v4
                                        ; implicit-def: $sgpr2
                                        ; implicit-def: $vgpr19
	v_cmpx_gt_u32_e64 s35, v2
	s_cbranch_execz .LBB1360_40
; %bb.31:
	v_mul_u32_u24_e32 v1, 12, v0
	v_cmp_eq_u32_e32 vcc_lo, v15, v16
	v_mov_b32_e32 v3, 0
	v_add_nc_u32_e32 v5, 2, v21
	s_mov_b32 s5, 0
	v_add_nc_u32_e32 v1, v9, v1
                                        ; implicit-def: $sgpr2
                                        ; implicit-def: $vgpr19
	v_mov_b32_e32 v4, v3
	v_mov_b32_e32 v2, v3
	ds_read_b96 v[8:10], v1 offset:2
	v_cndmask_b32_e64 v1, 0x10000, 0, vcc_lo
	v_cmp_gt_u32_e32 vcc_lo, s35, v5
	s_waitcnt lgkmcnt(0)
	v_and_or_b32 v1, 0xffff, v8, v1
	v_mov_b32_e32 v7, v4
	v_mov_b32_e32 v6, v3
	;; [unrolled: 1-line block ×4, first 2 shown]
	s_and_saveexec_b32 s4, vcc_lo
	s_cbranch_execz .LBB1360_39
; %bb.32:
	v_cmp_eq_u32_e32 vcc_lo, v16, v13
	v_add_nc_u32_e32 v5, 3, v21
	v_mov_b32_e32 v4, v3
	s_mov_b32 s7, 0
                                        ; implicit-def: $sgpr2
                                        ; implicit-def: $vgpr19
	v_cndmask_b32_e64 v2, 0x10000, 0, vcc_lo
	v_cmp_gt_u32_e32 vcc_lo, s35, v5
	v_or_b32_sdwa v2, v2, v8 dst_sel:DWORD dst_unused:UNUSED_PAD src0_sel:DWORD src1_sel:WORD_1
	v_mov_b32_e32 v7, v4
	v_mov_b32_e32 v6, v3
	;; [unrolled: 1-line block ×4, first 2 shown]
	s_and_saveexec_b32 s5, vcc_lo
	s_cbranch_execz .LBB1360_38
; %bb.33:
	v_cmp_eq_u32_e32 vcc_lo, v13, v14
	v_add_nc_u32_e32 v4, 4, v21
	s_mov_b32 s16, 0
	v_mov_b32_e32 v8, 0
                                        ; implicit-def: $sgpr2
                                        ; implicit-def: $vgpr19
	v_cndmask_b32_e64 v3, 0x10000, 0, vcc_lo
	v_cmp_gt_u32_e32 vcc_lo, s35, v4
	v_mov_b32_e32 v4, s16
	v_and_or_b32 v3, 0xffff, v9, v3
	s_and_saveexec_b32 s7, vcc_lo
	s_cbranch_execz .LBB1360_37
; %bb.34:
	v_cmp_eq_u32_e32 vcc_lo, v14, v11
	v_add_nc_u32_e32 v5, 5, v21
	v_mov_b32_e32 v8, 0
	s_mov_b32 s17, 0
	s_mov_b32 s16, exec_lo
	v_cndmask_b32_e64 v4, 0x10000, 0, vcc_lo
                                        ; implicit-def: $sgpr2
                                        ; implicit-def: $vgpr19
	v_or_b32_sdwa v4, v4, v9 dst_sel:DWORD dst_unused:UNUSED_PAD src0_sel:DWORD src1_sel:WORD_1
	v_cmpx_gt_u32_e64 s35, v5
	s_xor_b32 s16, exec_lo, s16
	s_cbranch_execz .LBB1360_36
; %bb.35:
	v_cmp_eq_u32_e32 vcc_lo, v11, v12
	v_add_nc_u32_e32 v5, 6, v21
	v_lshrrev_b32_e32 v19, 16, v10
	v_cmp_ne_u32_e64 s2, v12, v18
	v_cndmask_b32_e64 v6, 0x10000, 0, vcc_lo
	v_cmp_gt_u32_e32 vcc_lo, s35, v5
	v_and_or_b32 v8, 0xffff, v10, v6
	s_and_b32 s17, vcc_lo, exec_lo
.LBB1360_36:
	s_or_b32 exec_lo, exec_lo, s16
	s_and_b32 s16, s17, exec_lo
.LBB1360_37:
	s_or_b32 exec_lo, exec_lo, s7
	v_mov_b32_e32 v7, v4
	v_mov_b32_e32 v6, v3
	;; [unrolled: 1-line block ×5, first 2 shown]
	s_and_b32 s7, s16, exec_lo
.LBB1360_38:
	s_or_b32 exec_lo, exec_lo, s5
	s_and_b32 s5, s7, exec_lo
.LBB1360_39:
	s_or_b32 exec_lo, exec_lo, s4
	s_and_b32 s4, s5, exec_lo
.LBB1360_40:
	s_or_b32 exec_lo, exec_lo, s1
	s_waitcnt lgkmcnt(0)
	v_or_b32_e32 v2, v20, v17
	s_and_b32 s1, s4, exec_lo
	v_mov_b32_e32 v17, v2
.LBB1360_41:
	s_or_b32 exec_lo, exec_lo, s3
	s_and_b32 vcc_lo, exec_lo, s0
	s_cbranch_vccnz .LBB1360_43
	s_branch .LBB1360_51
.LBB1360_42:
                                        ; implicit-def: $sgpr2
                                        ; implicit-def: $vgpr4_vgpr5_vgpr6_vgpr7
                                        ; implicit-def: $vgpr19
                                        ; implicit-def: $vgpr2
                                        ; implicit-def: $vgpr17
                                        ; implicit-def: $vgpr3
	s_cbranch_execz .LBB1360_51
.LBB1360_43:
	v_lshlrev_b32_e32 v3, 2, v0
	s_cmp_eq_u64 s[20:21], 0
	v_add_co_u32 v1, s0, s8, v3
	v_add_co_ci_u32_e64 v2, null, s9, 0, s0
	v_mad_u32_u24 v12, v0, 24, v3
	s_clause 0x6
	flat_load_dword v4, v[1:2]
	flat_load_dword v5, v[1:2] offset:256
	flat_load_dword v6, v[1:2] offset:512
	;; [unrolled: 1-line block ×6, first 2 shown]
	s_waitcnt vmcnt(5) lgkmcnt(5)
	ds_write2st64_b32 v3, v4, v5 offset1:1
	s_waitcnt vmcnt(3) lgkmcnt(4)
	ds_write2st64_b32 v3, v6, v7 offset0:2 offset1:3
	s_waitcnt vmcnt(1) lgkmcnt(3)
	ds_write2st64_b32 v3, v8, v9 offset0:4 offset1:5
	s_waitcnt vmcnt(0) lgkmcnt(3)
	ds_write_b32 v3, v1 offset:1536
	s_waitcnt lgkmcnt(0)
	s_barrier
	buffer_gl0_inv
	ds_read2_b32 v[7:8], v12 offset0:2 offset1:3
	ds_read2_b32 v[3:4], v12 offset1:1
	ds_read2_b32 v[1:2], v12 offset0:3 offset1:4
	ds_read2_b32 v[9:10], v12 offset0:1 offset1:2
	;; [unrolled: 1-line block ×3, first 2 shown]
	s_cbranch_scc1 .LBB1360_48
; %bb.44:
	s_andn2_b32 vcc_lo, exec_lo, s34
	s_cbranch_vccnz .LBB1360_178
; %bb.45:
	s_lshl_b64 s[0:1], s[20:21], 2
	s_add_u32 s0, s22, s0
	s_addc_u32 s1, s23, s1
	s_add_u32 s0, s0, -4
	s_addc_u32 s1, s1, -1
	s_cbranch_execnz .LBB1360_47
.LBB1360_46:
	s_add_u32 s0, s8, -4
	s_addc_u32 s1, s9, -1
.LBB1360_47:
	s_mov_b64 s[8:9], s[0:1]
.LBB1360_48:
	v_mov_b32_e32 v14, s9
	v_mov_b32_e32 v13, s8
	v_mad_i32_i24 v12, 0xffffffe8, v0, v12
	s_mov_b32 s0, exec_lo
	flat_load_dword v11, v[13:14]
	s_waitcnt lgkmcnt(1)
	ds_write_b32 v12, v6 offset:1792
	s_waitcnt vmcnt(0) lgkmcnt(0)
	s_barrier
	buffer_gl0_inv
	v_cmpx_ne_u32_e32 0, v0
; %bb.49:
	ds_read_b32 v11, v12 offset:1788
; %bb.50:
	s_or_b32 exec_lo, exec_lo, s0
	v_lshlrev_b32_e32 v15, 1, v0
	s_waitcnt lgkmcnt(0)
	s_barrier
	buffer_gl0_inv
	v_cmp_eq_u32_e32 vcc_lo, v11, v3
	v_add_co_u32 v13, s0, s31, v15
	v_add_co_ci_u32_e64 v14, null, s33, 0, s0
	v_sub_nc_u32_e32 v12, v12, v15
	v_cmp_ne_u32_e64 s2, v5, v6
	v_cndmask_b32_e64 v6, 0x10000, 0, vcc_lo
	s_clause 0x6
	flat_load_ushort v16, v[13:14]
	flat_load_ushort v17, v[13:14] offset:128
	flat_load_ushort v18, v[13:14] offset:256
	;; [unrolled: 1-line block ×6, first 2 shown]
	v_cmp_ne_u32_e32 vcc_lo, v3, v9
	v_mad_u32_u24 v15, v0, 12, v12
	s_mov_b32 s1, -1
	s_waitcnt vmcnt(6) lgkmcnt(6)
	ds_write_b16 v12, v16
	s_waitcnt vmcnt(5) lgkmcnt(6)
	ds_write_b16 v12, v17 offset:128
	s_waitcnt vmcnt(4) lgkmcnt(6)
	ds_write_b16 v12, v18 offset:256
	;; [unrolled: 2-line block ×6, first 2 shown]
	s_waitcnt lgkmcnt(0)
	s_barrier
	buffer_gl0_inv
	ds_read_b96 v[12:14], v15
	ds_read_u16 v19, v15 offset:12
	v_cndmask_b32_e64 v3, 0, 0x10000, vcc_lo
	v_cmp_ne_u32_e32 vcc_lo, v7, v1
	v_cndmask_b32_e64 v1, 0, 0x10000, vcc_lo
	v_cmp_ne_u32_e32 vcc_lo, v8, v2
	;; [unrolled: 2-line block ×3, first 2 shown]
	v_cndmask_b32_e64 v4, 0, 0x10000, vcc_lo
	v_cmp_eq_u32_e32 vcc_lo, v2, v5
	s_waitcnt lgkmcnt(1)
	v_and_or_b32 v2, 0xffff, v12, v6
	v_and_or_b32 v7, 0xffff, v14, v7
	v_or_b32_sdwa v6, v1, v13 dst_sel:DWORD dst_unused:UNUSED_PAD src0_sel:DWORD src1_sel:WORD_1
	v_and_or_b32 v5, 0xffff, v13, v4
	v_cndmask_b32_e64 v8, 0x10000, 0, vcc_lo
	v_or_b32_sdwa v4, v3, v12 dst_sel:DWORD dst_unused:UNUSED_PAD src0_sel:DWORD src1_sel:WORD_1
	v_mov_b32_e32 v17, v2
	v_or_b32_sdwa v3, v8, v14 dst_sel:DWORD dst_unused:UNUSED_PAD src0_sel:DWORD src1_sel:WORD_1
.LBB1360_51:
	v_mov_b32_e32 v15, 0
	s_and_saveexec_b32 s0, s1
	s_cbranch_execz .LBB1360_53
; %bb.52:
	v_cndmask_b32_e64 v1, 0, 0x10000, s2
	v_mov_b32_e32 v17, v2
	s_waitcnt lgkmcnt(0)
	v_or_b32_sdwa v15, v1, v19 dst_sel:DWORD dst_unused:UNUSED_PAD src0_sel:DWORD src1_sel:WORD_0
.LBB1360_53:
	s_or_b32 exec_lo, exec_lo, s0
	v_cmp_gt_u32_e64 s5, 0x10000, v4
	v_cmp_gt_u32_e64 s4, 0x10000, v5
	;; [unrolled: 1-line block ×6, first 2 shown]
	v_mbcnt_lo_u32_b32 v16, -1, 0
	s_cmp_lg_u32 s6, 0
	s_waitcnt lgkmcnt(0)
	s_barrier
	buffer_gl0_inv
	s_cbranch_scc0 .LBB1360_107
; %bb.54:
	v_cndmask_b32_e64 v1, 0, v17, s5
	v_or_b32_e32 v2, v3, v15
	v_lshrrev_b32_e32 v18, 16, v17
	s_mov_b32 s7, exec_lo
	v_add_nc_u16 v1, v1, v4
	v_or3_b32 v2, v2, v7, v6
	v_cndmask_b32_e64 v1, 0, v1, s4
	v_or3_b32 v2, v2, v5, v4
	v_add_nc_u16 v1, v1, v5
	v_and_b32_e32 v2, 0xff0000, v2
	v_cndmask_b32_e64 v1, 0, v1, s3
	v_cmp_eq_u32_e32 vcc_lo, 0, v2
	v_add_nc_u16 v1, v1, v6
	v_cndmask_b32_e32 v2, 1, v18, vcc_lo
	v_cndmask_b32_e64 v1, 0, v1, s2
	v_and_b32_e32 v9, 0xff, v2
	v_add_nc_u16 v1, v1, v7
	v_cndmask_b32_e64 v1, 0, v1, s1
	v_add_nc_u16 v1, v1, v3
	v_cndmask_b32_e64 v1, 0, v1, s0
	v_add_nc_u16 v1, v1, v15
	v_and_b32_e32 v8, 0xffff, v1
	v_lshl_or_b32 v10, v9, 16, v8
	v_and_b32_e32 v8, 15, v16
	v_mov_b32_dpp v11, v10 row_shr:1 row_mask:0xf bank_mask:0xf
	v_cmpx_ne_u32_e32 0, v8
	s_cbranch_execz .LBB1360_56
; %bb.55:
	v_mov_b32_e32 v10, 1
	v_and_b32_e32 v2, 1, v2
	v_cmp_eq_u16_e32 vcc_lo, 0, v9
	v_and_b32_sdwa v10, v11, v10 dst_sel:DWORD dst_unused:UNUSED_PAD src0_sel:WORD_1 src1_sel:DWORD
	v_cndmask_b32_e32 v9, 0, v11, vcc_lo
	v_cmp_eq_u32_e32 vcc_lo, 1, v2
	v_add_nc_u16 v1, v9, v1
	v_cndmask_b32_e64 v2, v10, 1, vcc_lo
	v_lshlrev_b32_e32 v9, 16, v2
	v_or_b32_sdwa v10, v9, v1 dst_sel:DWORD dst_unused:UNUSED_PAD src0_sel:DWORD src1_sel:WORD_0
.LBB1360_56:
	s_or_b32 exec_lo, exec_lo, s7
	v_lshrrev_b32_e32 v9, 16, v10
	v_mov_b32_dpp v11, v10 row_shr:2 row_mask:0xf bank_mask:0xf
	s_mov_b32 s7, exec_lo
	v_cmpx_lt_u32_e32 1, v8
	s_cbranch_execz .LBB1360_58
; %bb.57:
	v_mov_b32_e32 v2, 1
	v_and_b32_e32 v9, 0x10000, v10
	v_cmp_gt_u32_e32 vcc_lo, 0x10000, v10
	v_and_b32_sdwa v2, v11, v2 dst_sel:DWORD dst_unused:UNUSED_PAD src0_sel:WORD_1 src1_sel:DWORD
	v_cndmask_b32_e32 v10, 0, v11, vcc_lo
	v_cmp_ne_u32_e32 vcc_lo, 0, v9
	v_add_nc_u16 v1, v10, v1
	v_cndmask_b32_e64 v2, v2, 1, vcc_lo
	v_lshlrev_b32_e32 v9, 16, v2
	v_or_b32_sdwa v10, v9, v1 dst_sel:DWORD dst_unused:UNUSED_PAD src0_sel:DWORD src1_sel:WORD_0
	v_mov_b32_e32 v9, v2
.LBB1360_58:
	s_or_b32 exec_lo, exec_lo, s7
	v_mov_b32_dpp v11, v10 row_shr:4 row_mask:0xf bank_mask:0xf
	s_mov_b32 s7, exec_lo
	v_cmpx_lt_u32_e32 3, v8
	s_cbranch_execz .LBB1360_60
; %bb.59:
	v_mov_b32_e32 v2, 1
	v_and_b32_e32 v10, 1, v9
	v_cmp_eq_u16_e32 vcc_lo, 0, v9
	v_and_b32_sdwa v2, v11, v2 dst_sel:DWORD dst_unused:UNUSED_PAD src0_sel:WORD_1 src1_sel:DWORD
	v_cndmask_b32_e32 v9, 0, v11, vcc_lo
	v_cmp_eq_u32_e32 vcc_lo, 1, v10
	v_add_nc_u16 v1, v9, v1
	v_cndmask_b32_e64 v2, v2, 1, vcc_lo
	v_lshlrev_b32_e32 v9, 16, v2
	v_or_b32_sdwa v10, v9, v1 dst_sel:DWORD dst_unused:UNUSED_PAD src0_sel:DWORD src1_sel:WORD_0
	v_mov_b32_e32 v9, v2
.LBB1360_60:
	s_or_b32 exec_lo, exec_lo, s7
	v_mov_b32_dpp v11, v10 row_shr:8 row_mask:0xf bank_mask:0xf
	s_mov_b32 s7, exec_lo
	v_cmpx_lt_u32_e32 7, v8
	s_cbranch_execz .LBB1360_62
; %bb.61:
	v_mov_b32_e32 v2, 1
	v_and_b32_e32 v8, 1, v9
	v_cmp_eq_u16_e32 vcc_lo, 0, v9
	v_and_b32_sdwa v2, v11, v2 dst_sel:DWORD dst_unused:UNUSED_PAD src0_sel:WORD_1 src1_sel:DWORD
	v_cndmask_b32_e32 v9, 0, v11, vcc_lo
	v_cmp_eq_u32_e32 vcc_lo, 1, v8
	v_add_nc_u16 v1, v9, v1
	v_cndmask_b32_e64 v2, v2, 1, vcc_lo
	v_lshlrev_b32_e32 v8, 16, v2
	v_mov_b32_e32 v9, v2
	v_or_b32_sdwa v10, v8, v1 dst_sel:DWORD dst_unused:UNUSED_PAD src0_sel:DWORD src1_sel:WORD_0
.LBB1360_62:
	s_or_b32 exec_lo, exec_lo, s7
	ds_swizzle_b32 v8, v10 offset:swizzle(BROADCAST,32,15)
	v_and_b32_e32 v10, 16, v16
	s_mov_b32 s7, exec_lo
	v_cmpx_ne_u32_e32 0, v10
	s_cbranch_execz .LBB1360_64
; %bb.63:
	v_mov_b32_e32 v2, 1
	v_cmp_eq_u16_e32 vcc_lo, 0, v9
	v_and_b32_e32 v9, 1, v9
	s_waitcnt lgkmcnt(0)
	v_and_b32_sdwa v2, v8, v2 dst_sel:DWORD dst_unused:UNUSED_PAD src0_sel:WORD_1 src1_sel:DWORD
	v_cndmask_b32_e32 v10, 0, v8, vcc_lo
	v_cmp_eq_u32_e32 vcc_lo, 1, v9
	v_add_nc_u16 v1, v10, v1
	v_cndmask_b32_e64 v2, v2, 1, vcc_lo
.LBB1360_64:
	s_or_b32 exec_lo, exec_lo, s7
	s_waitcnt lgkmcnt(0)
	v_or_b32_e32 v8, 31, v0
	v_lshrrev_b32_e32 v9, 5, v0
	v_cmp_eq_u32_e32 vcc_lo, v0, v8
	v_lshlrev_b32_e32 v8, 2, v9
	s_and_saveexec_b32 s7, vcc_lo
	s_cbranch_execz .LBB1360_66
; %bb.65:
	ds_write_b16 v8, v1
	ds_write_b8 v8, v2 offset:2
.LBB1360_66:
	s_or_b32 exec_lo, exec_lo, s7
	s_mov_b32 s7, exec_lo
	s_waitcnt lgkmcnt(0)
	s_barrier
	buffer_gl0_inv
	v_cmpx_gt_u32_e32 2, v0
	s_cbranch_execz .LBB1360_70
; %bb.67:
	v_lshlrev_b32_e32 v9, 2, v0
	v_and_b32_e32 v13, 1, v16
	s_mov_b32 s8, exec_lo
	ds_read_b32 v10, v9
	s_waitcnt lgkmcnt(0)
	v_lshrrev_b32_e32 v11, 16, v10
	v_mov_b32_dpp v12, v10 row_shr:1 row_mask:0xf bank_mask:0xf
	v_cmpx_eq_u32_e32 1, v13
	s_cbranch_execz .LBB1360_69
; %bb.68:
	v_mov_b32_e32 v13, 0
	v_mov_b32_e32 v14, 1
	v_cmp_eq_u16_sdwa vcc_lo, v11, v13 src0_sel:BYTE_0 src1_sel:DWORD
	v_and_b32_e32 v13, 0x10000, v10
	v_cndmask_b32_e32 v11, 0, v12, vcc_lo
	v_and_b32_sdwa v12, v12, v14 dst_sel:DWORD dst_unused:UNUSED_PAD src0_sel:WORD_1 src1_sel:DWORD
	v_cmp_ne_u32_e32 vcc_lo, 0, v13
	v_add_nc_u16 v10, v11, v10
	v_cndmask_b32_e64 v11, v12, 1, vcc_lo
.LBB1360_69:
	s_or_b32 exec_lo, exec_lo, s8
	ds_write_b16 v9, v10
	ds_write_b8 v9, v11 offset:2
.LBB1360_70:
	s_or_b32 exec_lo, exec_lo, s7
	v_mov_b32_e32 v19, 0
	v_mov_b32_e32 v20, 0
	s_mov_b32 s8, exec_lo
	v_cmp_gt_u32_e32 vcc_lo, 32, v0
	s_waitcnt lgkmcnt(0)
	s_barrier
	buffer_gl0_inv
	v_cmpx_lt_u32_e32 31, v0
	s_cbranch_execz .LBB1360_72
; %bb.71:
	v_add_nc_u32_e32 v9, -4, v8
	v_add_nc_u32_e32 v8, -2, v8
	ds_read_u16 v19, v9
	ds_read_u8 v20, v8
	v_mov_b32_e32 v8, 0
	v_cmp_eq_u16_sdwa s7, v2, v8 src0_sel:BYTE_0 src1_sel:DWORD
	v_and_b32_e32 v2, 1, v2
	s_waitcnt lgkmcnt(1)
	v_cndmask_b32_e64 v8, 0, v19, s7
	v_cmp_eq_u32_e64 s7, 1, v2
	v_add_nc_u16 v1, v8, v1
	s_waitcnt lgkmcnt(0)
	v_cndmask_b32_e64 v2, v20, 1, s7
.LBB1360_72:
	s_or_b32 exec_lo, exec_lo, s8
	v_sub_co_u32 v8, s7, v16, 1
	v_and_b32_e32 v2, 0xff, v2
	v_and_b32_e32 v1, 0xffff, v1
	v_cmp_gt_i32_e64 s8, 0, v8
	v_lshl_or_b32 v1, v2, 16, v1
	v_cndmask_b32_e64 v8, v8, v16, s8
	v_lshlrev_b32_e32 v2, 2, v8
	ds_bpermute_b32 v21, v2, v1
	s_and_saveexec_b32 s8, vcc_lo
	s_cbranch_execz .LBB1360_112
; %bb.73:
	v_mov_b32_e32 v12, 0
	ds_read_b32 v1, v12 offset:4
	s_and_saveexec_b32 s9, s7
	s_cbranch_execz .LBB1360_75
; %bb.74:
	s_add_i32 s16, s6, 32
	s_mov_b32 s17, 0
	v_mov_b32_e32 v2, 1
	s_lshl_b64 s[16:17], s[16:17], 3
	s_add_u32 s16, s24, s16
	s_addc_u32 s17, s25, s17
	s_waitcnt lgkmcnt(0)
	global_store_dwordx2 v12, v[1:2], s[16:17]
.LBB1360_75:
	s_or_b32 exec_lo, exec_lo, s9
	v_xad_u32 v8, v16, -1, s6
	s_mov_b32 s16, 0
	v_add_nc_u32_e32 v11, 32, v8
	v_lshlrev_b64 v[9:10], 3, v[11:12]
	v_add_co_u32 v13, vcc_lo, s24, v9
	v_add_co_ci_u32_e64 v14, null, s25, v10, vcc_lo
	global_load_dwordx2 v[10:11], v[13:14], off glc dlc
	s_waitcnt vmcnt(0)
	v_cmp_eq_u16_sdwa s17, v11, v12 src0_sel:BYTE_0 src1_sel:DWORD
	s_and_saveexec_b32 s9, s17
	s_cbranch_execz .LBB1360_79
; %bb.76:
	v_mov_b32_e32 v2, 0
.LBB1360_77:                            ; =>This Inner Loop Header: Depth=1
	global_load_dwordx2 v[10:11], v[13:14], off glc dlc
	s_waitcnt vmcnt(0)
	v_cmp_ne_u16_sdwa s17, v11, v2 src0_sel:BYTE_0 src1_sel:DWORD
	s_or_b32 s16, s17, s16
	s_andn2_b32 exec_lo, exec_lo, s16
	s_cbranch_execnz .LBB1360_77
; %bb.78:
	s_or_b32 exec_lo, exec_lo, s16
.LBB1360_79:
	s_or_b32 exec_lo, exec_lo, s9
	v_cmp_ne_u32_e32 vcc_lo, 31, v16
	v_and_b32_e32 v28, 0xffffff, v10
	v_mov_b32_e32 v9, 2
	v_lshlrev_b32_e64 v14, v16, -1
	v_lshrrev_b32_e32 v12, 16, v10
	v_add_co_ci_u32_e64 v2, null, 0, v16, vcc_lo
	v_cmp_eq_u16_sdwa s9, v11, v9 src0_sel:BYTE_0 src1_sel:DWORD
	v_bfe_u32 v13, v10, 16, 8
	v_lshlrev_b32_e32 v2, 2, v2
	v_and_or_b32 v9, s9, v14, 0x80000000
	s_mov_b32 s9, exec_lo
	ds_bpermute_b32 v22, v2, v28
	v_ffbl_b32_e32 v9, v9
	v_cmpx_lt_u32_e64 v16, v9
	s_cbranch_execz .LBB1360_81
; %bb.80:
	v_and_b32_e32 v12, 0xff0000, v10
	v_mov_b32_e32 v13, 1
	v_and_b32_e32 v23, 0x10000, v12
	v_cmp_eq_u32_e32 vcc_lo, 0, v12
	s_waitcnt lgkmcnt(0)
	v_and_b32_sdwa v13, v22, v13 dst_sel:DWORD dst_unused:UNUSED_PAD src0_sel:WORD_1 src1_sel:DWORD
	v_cndmask_b32_e32 v22, 0, v22, vcc_lo
	v_cmp_ne_u32_e32 vcc_lo, 0, v23
	v_add_nc_u16 v10, v22, v10
	v_cndmask_b32_e64 v12, v13, 1, vcc_lo
	v_lshlrev_b32_e32 v13, 16, v12
	v_or_b32_sdwa v28, v13, v10 dst_sel:DWORD dst_unused:UNUSED_PAD src0_sel:DWORD src1_sel:WORD_0
	v_mov_b32_e32 v13, v12
.LBB1360_81:
	s_or_b32 exec_lo, exec_lo, s9
	v_cmp_gt_u32_e32 vcc_lo, 30, v16
	v_add_nc_u32_e32 v23, 2, v16
	s_mov_b32 s9, exec_lo
	s_waitcnt lgkmcnt(0)
	v_cndmask_b32_e64 v22, 0, 2, vcc_lo
	v_add_lshl_u32 v22, v22, v16, 2
	ds_bpermute_b32 v24, v22, v28
	v_cmpx_le_u32_e64 v23, v9
	s_cbranch_execz .LBB1360_83
; %bb.82:
	v_mov_b32_e32 v12, 1
	v_and_b32_e32 v25, 1, v13
	v_cmp_eq_u16_e32 vcc_lo, 0, v13
	s_waitcnt lgkmcnt(0)
	v_and_b32_sdwa v12, v24, v12 dst_sel:DWORD dst_unused:UNUSED_PAD src0_sel:WORD_1 src1_sel:DWORD
	v_cndmask_b32_e32 v13, 0, v24, vcc_lo
	v_cmp_eq_u32_e32 vcc_lo, 1, v25
	v_add_nc_u16 v10, v13, v10
	v_cndmask_b32_e64 v12, v12, 1, vcc_lo
	v_lshlrev_b32_e32 v13, 16, v12
	v_or_b32_sdwa v28, v13, v10 dst_sel:DWORD dst_unused:UNUSED_PAD src0_sel:DWORD src1_sel:WORD_0
	v_mov_b32_e32 v13, v12
.LBB1360_83:
	s_or_b32 exec_lo, exec_lo, s9
	v_cmp_gt_u32_e32 vcc_lo, 28, v16
	v_add_nc_u32_e32 v25, 4, v16
	s_mov_b32 s9, exec_lo
	s_waitcnt lgkmcnt(0)
	v_cndmask_b32_e64 v24, 0, 4, vcc_lo
	v_add_lshl_u32 v24, v24, v16, 2
	ds_bpermute_b32 v26, v24, v28
	v_cmpx_le_u32_e64 v25, v9
	s_cbranch_execz .LBB1360_85
; %bb.84:
	v_mov_b32_e32 v12, 1
	v_and_b32_e32 v27, 1, v13
	v_cmp_eq_u16_e32 vcc_lo, 0, v13
	s_waitcnt lgkmcnt(0)
	v_and_b32_sdwa v12, v26, v12 dst_sel:DWORD dst_unused:UNUSED_PAD src0_sel:WORD_1 src1_sel:DWORD
	v_cndmask_b32_e32 v13, 0, v26, vcc_lo
	v_cmp_eq_u32_e32 vcc_lo, 1, v27
	v_add_nc_u16 v10, v13, v10
	v_cndmask_b32_e64 v12, v12, 1, vcc_lo
	v_lshlrev_b32_e32 v13, 16, v12
	v_or_b32_sdwa v28, v13, v10 dst_sel:DWORD dst_unused:UNUSED_PAD src0_sel:DWORD src1_sel:WORD_0
	v_mov_b32_e32 v13, v12
.LBB1360_85:
	;; [unrolled: 24-line block ×3, first 2 shown]
	s_or_b32 exec_lo, exec_lo, s9
	v_lshl_or_b32 v30, v16, 2, 64
	v_add_nc_u32_e32 v31, 16, v16
	s_mov_b32 s9, exec_lo
	ds_bpermute_b32 v28, v30, v28
	v_cmpx_le_u32_e64 v31, v9
	s_cbranch_execz .LBB1360_89
; %bb.88:
	v_mov_b32_e32 v9, 1
	v_cmp_eq_u16_e32 vcc_lo, 0, v13
	v_and_b32_e32 v13, 1, v13
	s_waitcnt lgkmcnt(0)
	v_and_b32_sdwa v9, v28, v9 dst_sel:DWORD dst_unused:UNUSED_PAD src0_sel:WORD_1 src1_sel:DWORD
	v_cndmask_b32_e32 v12, 0, v28, vcc_lo
	v_cmp_eq_u32_e32 vcc_lo, 1, v13
	v_add_nc_u16 v10, v12, v10
	v_cndmask_b32_e64 v12, v9, 1, vcc_lo
.LBB1360_89:
	s_or_b32 exec_lo, exec_lo, s9
	v_mov_b32_e32 v9, 0
	v_mov_b32_e32 v32, 2
	;; [unrolled: 1-line block ×3, first 2 shown]
	s_branch .LBB1360_92
.LBB1360_90:                            ;   in Loop: Header=BB1360_92 Depth=1
	s_or_b32 exec_lo, exec_lo, s9
	v_cmp_eq_u16_sdwa vcc_lo, v28, v9 src0_sel:BYTE_0 src1_sel:DWORD
	v_and_b32_e32 v12, 1, v28
	v_and_b32_e32 v13, 1, v13
	v_subrev_nc_u32_e32 v8, 32, v8
	s_mov_b32 s9, 0
	v_cndmask_b32_e32 v10, 0, v10, vcc_lo
	v_cmp_eq_u32_e32 vcc_lo, 1, v12
	v_add_nc_u16 v10, v10, v29
	v_cndmask_b32_e64 v12, v13, 1, vcc_lo
.LBB1360_91:                            ;   in Loop: Header=BB1360_92 Depth=1
	s_and_b32 vcc_lo, exec_lo, s9
	s_cbranch_vccnz .LBB1360_108
.LBB1360_92:                            ; =>This Loop Header: Depth=1
                                        ;     Child Loop BB1360_95 Depth 2
	v_cmp_ne_u16_sdwa s9, v11, v32 src0_sel:BYTE_0 src1_sel:DWORD
	s_waitcnt lgkmcnt(0)
	v_mov_b32_e32 v28, v12
	v_mov_b32_e32 v29, v10
                                        ; implicit-def: $vgpr12
                                        ; implicit-def: $vgpr10
	s_cmp_lg_u32 s9, exec_lo
	s_mov_b32 s9, -1
	s_cbranch_scc1 .LBB1360_91
; %bb.93:                               ;   in Loop: Header=BB1360_92 Depth=1
	v_lshlrev_b64 v[10:11], 3, v[8:9]
	v_add_co_u32 v12, vcc_lo, s24, v10
	v_add_co_ci_u32_e64 v13, null, s25, v11, vcc_lo
	global_load_dwordx2 v[10:11], v[12:13], off glc dlc
	s_waitcnt vmcnt(0)
	v_cmp_eq_u16_sdwa s16, v11, v9 src0_sel:BYTE_0 src1_sel:DWORD
	s_and_saveexec_b32 s9, s16
	s_cbranch_execz .LBB1360_97
; %bb.94:                               ;   in Loop: Header=BB1360_92 Depth=1
	s_mov_b32 s16, 0
.LBB1360_95:                            ;   Parent Loop BB1360_92 Depth=1
                                        ; =>  This Inner Loop Header: Depth=2
	global_load_dwordx2 v[10:11], v[12:13], off glc dlc
	s_waitcnt vmcnt(0)
	v_cmp_ne_u16_sdwa s17, v11, v9 src0_sel:BYTE_0 src1_sel:DWORD
	s_or_b32 s16, s17, s16
	s_andn2_b32 exec_lo, exec_lo, s16
	s_cbranch_execnz .LBB1360_95
; %bb.96:                               ;   in Loop: Header=BB1360_92 Depth=1
	s_or_b32 exec_lo, exec_lo, s16
.LBB1360_97:                            ;   in Loop: Header=BB1360_92 Depth=1
	s_or_b32 exec_lo, exec_lo, s9
	v_and_b32_e32 v35, 0xffffff, v10
	v_cmp_eq_u16_sdwa s9, v11, v32 src0_sel:BYTE_0 src1_sel:DWORD
	v_lshrrev_b32_e32 v13, 16, v10
	v_bfe_u32 v34, v10, 16, 8
	ds_bpermute_b32 v36, v2, v35
	v_and_or_b32 v12, s9, v14, 0x80000000
	s_mov_b32 s9, exec_lo
	v_ffbl_b32_e32 v12, v12
	v_cmpx_lt_u32_e64 v16, v12
	s_cbranch_execz .LBB1360_99
; %bb.98:                               ;   in Loop: Header=BB1360_92 Depth=1
	v_and_b32_e32 v13, 0xff0000, v10
	s_waitcnt lgkmcnt(0)
	v_and_b32_sdwa v35, v36, v33 dst_sel:DWORD dst_unused:UNUSED_PAD src0_sel:WORD_1 src1_sel:DWORD
	v_and_b32_e32 v34, 0x10000, v13
	v_cmp_eq_u32_e32 vcc_lo, 0, v13
	v_cndmask_b32_e32 v36, 0, v36, vcc_lo
	v_cmp_ne_u32_e32 vcc_lo, 0, v34
	v_add_nc_u16 v10, v36, v10
	v_cndmask_b32_e64 v13, v35, 1, vcc_lo
	v_lshlrev_b32_e32 v34, 16, v13
	v_or_b32_sdwa v35, v34, v10 dst_sel:DWORD dst_unused:UNUSED_PAD src0_sel:DWORD src1_sel:WORD_0
	v_mov_b32_e32 v34, v13
.LBB1360_99:                            ;   in Loop: Header=BB1360_92 Depth=1
	s_or_b32 exec_lo, exec_lo, s9
	s_waitcnt lgkmcnt(0)
	ds_bpermute_b32 v36, v22, v35
	s_mov_b32 s9, exec_lo
	v_cmpx_le_u32_e64 v23, v12
	s_cbranch_execz .LBB1360_101
; %bb.100:                              ;   in Loop: Header=BB1360_92 Depth=1
	v_and_b32_e32 v13, 1, v34
	v_cmp_eq_u16_e32 vcc_lo, 0, v34
	s_waitcnt lgkmcnt(0)
	v_and_b32_sdwa v35, v36, v33 dst_sel:DWORD dst_unused:UNUSED_PAD src0_sel:WORD_1 src1_sel:DWORD
	v_cndmask_b32_e32 v34, 0, v36, vcc_lo
	v_cmp_eq_u32_e32 vcc_lo, 1, v13
	v_add_nc_u16 v10, v34, v10
	v_cndmask_b32_e64 v13, v35, 1, vcc_lo
	v_lshlrev_b32_e32 v34, 16, v13
	v_or_b32_sdwa v35, v34, v10 dst_sel:DWORD dst_unused:UNUSED_PAD src0_sel:DWORD src1_sel:WORD_0
	v_mov_b32_e32 v34, v13
.LBB1360_101:                           ;   in Loop: Header=BB1360_92 Depth=1
	s_or_b32 exec_lo, exec_lo, s9
	s_waitcnt lgkmcnt(0)
	ds_bpermute_b32 v36, v24, v35
	s_mov_b32 s9, exec_lo
	v_cmpx_le_u32_e64 v25, v12
	s_cbranch_execz .LBB1360_103
; %bb.102:                              ;   in Loop: Header=BB1360_92 Depth=1
	v_and_b32_e32 v13, 1, v34
	v_cmp_eq_u16_e32 vcc_lo, 0, v34
	s_waitcnt lgkmcnt(0)
	v_and_b32_sdwa v35, v36, v33 dst_sel:DWORD dst_unused:UNUSED_PAD src0_sel:WORD_1 src1_sel:DWORD
	v_cndmask_b32_e32 v34, 0, v36, vcc_lo
	v_cmp_eq_u32_e32 vcc_lo, 1, v13
	v_add_nc_u16 v10, v34, v10
	v_cndmask_b32_e64 v13, v35, 1, vcc_lo
	v_lshlrev_b32_e32 v34, 16, v13
	v_or_b32_sdwa v35, v34, v10 dst_sel:DWORD dst_unused:UNUSED_PAD src0_sel:DWORD src1_sel:WORD_0
	v_mov_b32_e32 v34, v13
.LBB1360_103:                           ;   in Loop: Header=BB1360_92 Depth=1
	;; [unrolled: 19-line block ×3, first 2 shown]
	s_or_b32 exec_lo, exec_lo, s9
	ds_bpermute_b32 v35, v30, v35
	s_mov_b32 s9, exec_lo
	v_cmpx_le_u32_e64 v31, v12
	s_cbranch_execz .LBB1360_90
; %bb.106:                              ;   in Loop: Header=BB1360_92 Depth=1
	v_cmp_eq_u16_e32 vcc_lo, 0, v34
	v_and_b32_e32 v13, 1, v34
	s_waitcnt lgkmcnt(0)
	v_lshrrev_b32_e32 v34, 16, v35
	v_cndmask_b32_e32 v12, 0, v35, vcc_lo
	v_cmp_eq_u32_e32 vcc_lo, 1, v13
	v_add_nc_u16 v10, v12, v10
	v_cndmask_b32_e64 v13, v34, 1, vcc_lo
	s_branch .LBB1360_90
.LBB1360_107:
                                        ; implicit-def: $vgpr14
                                        ; implicit-def: $vgpr8
                                        ; implicit-def: $vgpr9
                                        ; implicit-def: $vgpr10
                                        ; implicit-def: $vgpr11
                                        ; implicit-def: $vgpr12
                                        ; implicit-def: $vgpr13
	s_cbranch_execnz .LBB1360_113
	s_branch .LBB1360_138
.LBB1360_108:
	s_and_saveexec_b32 s9, s7
	s_cbranch_execz .LBB1360_110
; %bb.109:
	v_and_b32_e32 v2, 0xff0000, v1
	v_mov_b32_e32 v8, 1
	v_and_b32_e32 v9, 0x10000, v1
	s_mov_b32 s17, 0
	s_add_i32 s16, s6, 32
	v_cmp_eq_u32_e32 vcc_lo, 0, v2
	v_and_b32_sdwa v8, v28, v8 dst_sel:WORD_1 dst_unused:UNUSED_PAD src0_sel:DWORD src1_sel:DWORD
	s_lshl_b64 s[16:17], s[16:17], 3
	s_add_u32 s16, s24, s16
	v_cndmask_b32_e32 v2, 0, v29, vcc_lo
	v_cmp_eq_u32_e32 vcc_lo, 0, v9
	s_addc_u32 s17, s25, s17
	v_add_nc_u16 v1, v2, v1
	v_cndmask_b32_e32 v2, 0x10000, v8, vcc_lo
	v_mov_b32_e32 v8, 0
	v_or_b32_sdwa v1, v2, v1 dst_sel:DWORD dst_unused:UNUSED_PAD src0_sel:DWORD src1_sel:WORD_0
	v_mov_b32_e32 v2, 2
	global_store_dwordx2 v8, v[1:2], s[16:17]
.LBB1360_110:
	s_or_b32 exec_lo, exec_lo, s9
	v_cmp_eq_u32_e32 vcc_lo, 0, v0
	s_and_b32 exec_lo, exec_lo, vcc_lo
	s_cbranch_execz .LBB1360_112
; %bb.111:
	v_mov_b32_e32 v1, 0
	ds_write_b16 v1, v29 offset:4
	ds_write_b8 v1, v28 offset:6
.LBB1360_112:
	s_or_b32 exec_lo, exec_lo, s8
	s_mov_b32 vcc_lo, s7
	v_mov_b32_e32 v1, 0
	s_waitcnt lgkmcnt(0)
	v_cndmask_b32_sdwa v2, v21, v20, vcc_lo dst_sel:DWORD dst_unused:UNUSED_PAD src0_sel:WORD_1 src1_sel:DWORD
	v_cndmask_b32_e64 v8, v21, v19, s7
	v_and_b32_e32 v10, 0x10000, v17
	v_cmp_gt_u32_e32 vcc_lo, 0x10000, v17
	s_waitcnt_vscnt null, 0x0
	s_barrier
	buffer_gl0_inv
	ds_read_b32 v9, v1 offset:4
	v_and_b32_e32 v2, 1, v2
	v_cndmask_b32_e32 v8, 0, v8, vcc_lo
	v_cmp_ne_u32_e32 vcc_lo, 0, v10
	v_cndmask_b32_e64 v2, v2, 1, vcc_lo
	v_cmp_eq_u32_e32 vcc_lo, 0, v0
	v_cndmask_b32_e32 v2, v2, v18, vcc_lo
	v_cndmask_b32_e64 v8, v8, 0, vcc_lo
	v_cmp_eq_u16_sdwa vcc_lo, v2, v1 src0_sel:BYTE_0 src1_sel:DWORD
	v_add_nc_u16 v8, v8, v17
	s_waitcnt lgkmcnt(0)
	v_cndmask_b32_e32 v1, 0, v9, vcc_lo
	v_add_nc_u16 v1, v8, v1
	v_cndmask_b32_e64 v2, 0, v1, s5
	v_and_b32_e32 v14, 0xffff, v1
	v_add_nc_u16 v8, v2, v4
	v_cndmask_b32_e64 v2, 0, v8, s4
	v_add_nc_u16 v9, v2, v5
	v_cndmask_b32_e64 v2, 0, v9, s3
	;; [unrolled: 2-line block ×5, first 2 shown]
	v_add_nc_u16 v2, v2, v15
	v_and_b32_e32 v13, 0xffff, v2
	s_branch .LBB1360_138
.LBB1360_113:
	s_cmp_lg_u64 s[28:29], 0
	v_cmp_eq_u32_e64 s0, 0, v0
	s_cselect_b32 s1, -1, 0
	s_cmp_lg_u64 s[18:19], 0
	v_cmp_ne_u32_e32 vcc_lo, 0, v0
	s_cselect_b32 s2, -1, 0
	s_and_b32 s1, s1, s2
	s_and_b32 s1, s0, s1
	s_and_saveexec_b32 s2, s1
	s_cbranch_execz .LBB1360_115
; %bb.114:
	v_mov_b32_e32 v1, 0
	v_mov_b32_e32 v8, 1
	v_cmp_gt_u32_e64 s1, 0x10000, v17
	v_and_b32_e32 v9, 0x10000, v17
	s_clause 0x1
	global_load_ushort v2, v1, s[18:19]
	global_load_ubyte v1, v1, s[18:19] offset:2
	s_waitcnt vmcnt(1)
	v_cndmask_b32_e64 v2, 0, v2, s1
	s_waitcnt vmcnt(0)
	v_and_b32_sdwa v1, v1, v8 dst_sel:WORD_1 dst_unused:UNUSED_PAD src0_sel:DWORD src1_sel:DWORD
	v_cmp_eq_u32_e64 s1, 0, v9
	v_add_nc_u16 v2, v2, v17
	v_cndmask_b32_e64 v1, 0x10000, v1, s1
	v_or_b32_sdwa v17, v1, v2 dst_sel:DWORD dst_unused:UNUSED_PAD src0_sel:DWORD src1_sel:WORD_0
.LBB1360_115:
	s_or_b32 exec_lo, exec_lo, s2
	v_cmp_gt_u32_e64 s1, 0x10000, v4
	v_cmp_gt_u32_e64 s2, 0x10000, v5
	;; [unrolled: 1-line block ×4, first 2 shown]
	v_or_b32_e32 v2, v5, v7
	v_cndmask_b32_e64 v1, 0, v17, s1
	v_cmp_gt_u32_e64 s5, 0x10000, v3
	v_cmp_gt_u32_e64 s6, 0x10000, v15
	v_and_b32_e32 v14, 15, v16
	s_mov_b32 s8, exec_lo
	v_add_nc_u16 v8, v1, v4
	v_cndmask_b32_e64 v1, 0, v8, s2
	v_add_nc_u16 v9, v1, v5
	v_cndmask_b32_e64 v1, 0, v9, s3
	;; [unrolled: 2-line block ×3, first 2 shown]
	v_add_nc_u16 v11, v1, v7
	v_or3_b32 v1, v4, v6, v2
	v_cndmask_b32_e64 v2, 0, v11, s5
	v_or3_b32 v1, v1, v3, v15
	v_add_nc_u16 v12, v2, v3
	v_and_b32_e32 v1, 0xff0000, v1
	v_lshrrev_b32_e32 v2, 16, v17
	v_cndmask_b32_e64 v13, 0, v12, s6
	v_cmp_eq_u32_e64 s7, 0, v1
	v_add_nc_u16 v1, v13, v15
	v_cndmask_b32_e64 v2, 1, v2, s7
	v_and_b32_e32 v13, 0xffff, v1
	v_and_b32_e32 v18, 0xff, v2
	v_lshl_or_b32 v19, v18, 16, v13
	v_mov_b32_dpp v20, v19 row_shr:1 row_mask:0xf bank_mask:0xf
	v_cmpx_ne_u32_e32 0, v14
	s_cbranch_execz .LBB1360_117
; %bb.116:
	v_mov_b32_e32 v19, 1
	v_and_b32_e32 v2, 1, v2
	v_cmp_eq_u16_e64 s7, 0, v18
	v_and_b32_sdwa v19, v20, v19 dst_sel:DWORD dst_unused:UNUSED_PAD src0_sel:WORD_1 src1_sel:DWORD
	v_cndmask_b32_e64 v18, 0, v20, s7
	v_cmp_eq_u32_e64 s7, 1, v2
	v_add_nc_u16 v1, v1, v18
	v_cndmask_b32_e64 v2, v19, 1, s7
	v_lshlrev_b32_e32 v18, 16, v2
	v_or_b32_sdwa v19, v18, v1 dst_sel:DWORD dst_unused:UNUSED_PAD src0_sel:DWORD src1_sel:WORD_0
.LBB1360_117:
	s_or_b32 exec_lo, exec_lo, s8
	v_lshrrev_b32_e32 v18, 16, v19
	v_mov_b32_dpp v20, v19 row_shr:2 row_mask:0xf bank_mask:0xf
	s_mov_b32 s8, exec_lo
	v_cmpx_lt_u32_e32 1, v14
	s_cbranch_execz .LBB1360_119
; %bb.118:
	v_mov_b32_e32 v2, 1
	v_and_b32_e32 v18, 0x10000, v19
	v_cmp_gt_u32_e64 s7, 0x10000, v19
	v_and_b32_sdwa v2, v20, v2 dst_sel:DWORD dst_unused:UNUSED_PAD src0_sel:WORD_1 src1_sel:DWORD
	v_cndmask_b32_e64 v19, 0, v20, s7
	v_cmp_ne_u32_e64 s7, 0, v18
	v_add_nc_u16 v1, v19, v1
	v_cndmask_b32_e64 v2, v2, 1, s7
	v_lshlrev_b32_e32 v18, 16, v2
	v_or_b32_sdwa v19, v18, v1 dst_sel:DWORD dst_unused:UNUSED_PAD src0_sel:DWORD src1_sel:WORD_0
	v_mov_b32_e32 v18, v2
.LBB1360_119:
	s_or_b32 exec_lo, exec_lo, s8
	v_mov_b32_dpp v20, v19 row_shr:4 row_mask:0xf bank_mask:0xf
	s_mov_b32 s8, exec_lo
	v_cmpx_lt_u32_e32 3, v14
	s_cbranch_execz .LBB1360_121
; %bb.120:
	v_mov_b32_e32 v2, 1
	v_and_b32_e32 v19, 1, v18
	v_cmp_eq_u16_e64 s7, 0, v18
	v_and_b32_sdwa v2, v20, v2 dst_sel:DWORD dst_unused:UNUSED_PAD src0_sel:WORD_1 src1_sel:DWORD
	v_cndmask_b32_e64 v18, 0, v20, s7
	v_cmp_eq_u32_e64 s7, 1, v19
	v_add_nc_u16 v1, v18, v1
	v_cndmask_b32_e64 v2, v2, 1, s7
	v_lshlrev_b32_e32 v18, 16, v2
	v_or_b32_sdwa v19, v18, v1 dst_sel:DWORD dst_unused:UNUSED_PAD src0_sel:DWORD src1_sel:WORD_0
	v_mov_b32_e32 v18, v2
.LBB1360_121:
	s_or_b32 exec_lo, exec_lo, s8
	v_mov_b32_dpp v20, v19 row_shr:8 row_mask:0xf bank_mask:0xf
	s_mov_b32 s8, exec_lo
	v_cmpx_lt_u32_e32 7, v14
	s_cbranch_execz .LBB1360_123
; %bb.122:
	v_mov_b32_e32 v2, 1
	v_and_b32_e32 v14, 1, v18
	v_cmp_eq_u16_e64 s7, 0, v18
	v_and_b32_sdwa v2, v20, v2 dst_sel:DWORD dst_unused:UNUSED_PAD src0_sel:WORD_1 src1_sel:DWORD
	v_cndmask_b32_e64 v18, 0, v20, s7
	v_cmp_eq_u32_e64 s7, 1, v14
	v_add_nc_u16 v1, v18, v1
	v_cndmask_b32_e64 v2, v2, 1, s7
	v_lshlrev_b32_e32 v14, 16, v2
	v_mov_b32_e32 v18, v2
	v_or_b32_sdwa v19, v14, v1 dst_sel:DWORD dst_unused:UNUSED_PAD src0_sel:DWORD src1_sel:WORD_0
.LBB1360_123:
	s_or_b32 exec_lo, exec_lo, s8
	ds_swizzle_b32 v14, v19 offset:swizzle(BROADCAST,32,15)
	v_and_b32_e32 v19, 16, v16
	s_mov_b32 s8, exec_lo
	v_cmpx_ne_u32_e32 0, v19
	s_cbranch_execz .LBB1360_125
; %bb.124:
	v_mov_b32_e32 v2, 1
	v_cmp_eq_u16_e64 s7, 0, v18
	v_and_b32_e32 v18, 1, v18
	s_waitcnt lgkmcnt(0)
	v_and_b32_sdwa v2, v14, v2 dst_sel:DWORD dst_unused:UNUSED_PAD src0_sel:WORD_1 src1_sel:DWORD
	v_cndmask_b32_e64 v19, 0, v14, s7
	v_cmp_eq_u32_e64 s7, 1, v18
	v_add_nc_u16 v1, v19, v1
	v_cndmask_b32_e64 v2, v2, 1, s7
.LBB1360_125:
	s_or_b32 exec_lo, exec_lo, s8
	s_waitcnt lgkmcnt(0)
	v_or_b32_e32 v14, 31, v0
	v_lshrrev_b32_e32 v18, 5, v0
	v_cmp_eq_u32_e64 s7, v0, v14
	v_lshlrev_b32_e32 v14, 2, v18
	s_and_saveexec_b32 s8, s7
	s_cbranch_execz .LBB1360_127
; %bb.126:
	ds_write_b16 v14, v1
	ds_write_b8 v14, v2 offset:2
.LBB1360_127:
	s_or_b32 exec_lo, exec_lo, s8
	s_mov_b32 s8, exec_lo
	s_waitcnt lgkmcnt(0)
	s_barrier
	buffer_gl0_inv
	v_cmpx_gt_u32_e32 2, v0
	s_cbranch_execz .LBB1360_131
; %bb.128:
	v_lshlrev_b32_e32 v18, 2, v0
	v_and_b32_e32 v22, 1, v16
	s_mov_b32 s9, exec_lo
	ds_read_b32 v19, v18
	s_waitcnt lgkmcnt(0)
	v_lshrrev_b32_e32 v20, 16, v19
	v_mov_b32_dpp v21, v19 row_shr:1 row_mask:0xf bank_mask:0xf
	v_cmpx_eq_u32_e32 1, v22
	s_cbranch_execz .LBB1360_130
; %bb.129:
	v_mov_b32_e32 v22, 0
	v_mov_b32_e32 v23, 1
	v_cmp_eq_u16_sdwa s7, v20, v22 src0_sel:BYTE_0 src1_sel:DWORD
	v_and_b32_e32 v22, 0x10000, v19
	v_cndmask_b32_e64 v20, 0, v21, s7
	v_and_b32_sdwa v21, v21, v23 dst_sel:DWORD dst_unused:UNUSED_PAD src0_sel:WORD_1 src1_sel:DWORD
	v_cmp_ne_u32_e64 s7, 0, v22
	v_add_nc_u16 v19, v20, v19
	v_cndmask_b32_e64 v20, v21, 1, s7
.LBB1360_130:
	s_or_b32 exec_lo, exec_lo, s9
	ds_write_b16 v18, v19
	ds_write_b8 v18, v20 offset:2
.LBB1360_131:
	s_or_b32 exec_lo, exec_lo, s8
	v_mov_b32_e32 v18, 0
	s_mov_b32 s8, exec_lo
	s_waitcnt lgkmcnt(0)
	s_barrier
	buffer_gl0_inv
	v_cmpx_lt_u32_e32 31, v0
	s_cbranch_execz .LBB1360_133
; %bb.132:
	v_add_nc_u32_e32 v18, -4, v14
	v_add_nc_u32_e32 v14, -2, v14
	v_mov_b32_e32 v19, 0
	ds_read_u16 v18, v18
	ds_read_u8 v14, v14
	v_cmp_eq_u16_sdwa s7, v2, v19 src0_sel:BYTE_0 src1_sel:DWORD
	v_and_b32_e32 v2, 1, v2
	s_waitcnt lgkmcnt(1)
	v_cndmask_b32_e64 v19, 0, v18, s7
	v_cmp_eq_u32_e64 s7, 1, v2
	v_add_nc_u16 v1, v19, v1
	s_waitcnt lgkmcnt(0)
	v_cndmask_b32_e64 v2, v14, 1, s7
.LBB1360_133:
	s_or_b32 exec_lo, exec_lo, s8
	v_add_nc_u32_e32 v14, -1, v16
	v_and_b32_e32 v2, 0xff, v2
	v_and_b32_e32 v1, 0xffff, v1
	v_cmp_gt_i32_e64 s7, 0, v14
	v_lshl_or_b32 v1, v2, 16, v1
	v_cndmask_b32_e64 v14, v14, v16, s7
	v_lshlrev_b32_e32 v2, 2, v14
	ds_bpermute_b32 v1, v2, v1
	s_and_saveexec_b32 s8, vcc_lo
	s_cbranch_execz .LBB1360_135
; %bb.134:
	v_cmp_eq_u32_e64 s7, 0, v16
	v_cmp_gt_u32_e32 vcc_lo, 0x10000, v17
	v_mov_b32_e32 v2, 0
	;;#ASMSTART
	;;#ASMEND
	s_waitcnt lgkmcnt(0)
	v_cndmask_b32_e64 v1, v1, v18, s7
	v_cndmask_b32_sdwa v1, v2, v1, vcc_lo dst_sel:DWORD dst_unused:UNUSED_PAD src0_sel:DWORD src1_sel:WORD_0
	v_add_nc_u32_e32 v17, v1, v17
	v_cndmask_b32_e64 v1, 0, v17, s1
	v_add_nc_u16 v8, v1, v4
	v_cndmask_b32_e64 v1, 0, v8, s2
	v_add_nc_u16 v9, v1, v5
	;; [unrolled: 2-line block ×6, first 2 shown]
	v_and_b32_e32 v13, 0xffff, v1
.LBB1360_135:
	s_or_b32 exec_lo, exec_lo, s8
	s_and_saveexec_b32 s1, s0
	s_cbranch_execz .LBB1360_137
; %bb.136:
	v_mov_b32_e32 v3, 0
	s_waitcnt lgkmcnt(0)
	ds_read_u8 v1, v3 offset:6
	ds_read_u16 v2, v3 offset:4
	s_waitcnt lgkmcnt(1)
	v_lshlrev_b32_e32 v1, 16, v1
	s_waitcnt lgkmcnt(0)
	v_or_b32_e32 v1, v1, v2
	v_mov_b32_e32 v2, 2
	global_store_dwordx2 v3, v[1:2], s[24:25] offset:256
.LBB1360_137:
	s_or_b32 exec_lo, exec_lo, s1
	v_mov_b32_e32 v14, v17
.LBB1360_138:
	s_add_u32 s0, s14, s10
	v_mov_b32_e32 v5, 0
	s_addc_u32 s1, s15, s11
	s_add_u32 s0, s0, s12
	s_addc_u32 s1, s1, s13
	s_and_b32 vcc_lo, exec_lo, s30
	s_cbranch_vccz .LBB1360_166
; %bb.139:
	s_waitcnt lgkmcnt(0)
	v_mov_b32_e32 v1, 0
	v_mul_u32_u24_e32 v4, 7, v0
	s_add_i32 s27, s27, s26
	s_mov_b32 s2, exec_lo
	v_mov_b32_e32 v2, v1
	v_mov_b32_e32 v3, v1
	v_cmpx_gt_u32_e64 s27, v4
	s_cbranch_execz .LBB1360_153
; %bb.140:
	v_add_nc_u32_e32 v3, 1, v4
	v_and_b32_e32 v1, 0xffff, v14
	v_mov_b32_e32 v5, 0
	v_mov_b32_e32 v2, 0
	v_cmp_gt_u32_e32 vcc_lo, s27, v3
	v_mov_b32_e32 v3, 0
	s_and_saveexec_b32 s3, vcc_lo
	s_cbranch_execz .LBB1360_152
; %bb.141:
	v_add_nc_u32_e32 v5, 2, v4
	v_perm_b32 v1, v8, v1, 0x5040100
	v_mov_b32_e32 v3, 0
	v_mov_b32_e32 v2, 0
	v_cmp_gt_u32_e32 vcc_lo, s27, v5
	v_mov_b32_e32 v5, 0
	s_and_saveexec_b32 s4, vcc_lo
	s_cbranch_execz .LBB1360_151
; %bb.142:
	v_add_nc_u32_e32 v5, 3, v4
	v_bfi_b32 v2, 0xffff, v9, 0
	v_mov_b32_e32 v3, 0
	v_cmp_gt_u32_e32 vcc_lo, s27, v5
	v_mov_b32_e32 v5, 0
	s_and_saveexec_b32 s5, vcc_lo
	s_cbranch_execz .LBB1360_150
; %bb.143:
	v_add_nc_u32_e32 v5, 4, v4
	v_perm_b32 v2, v10, v2, 0x5040100
	v_mov_b32_e32 v3, 0
	v_cmp_gt_u32_e32 vcc_lo, s27, v5
	v_mov_b32_e32 v5, 0
	s_and_saveexec_b32 s6, vcc_lo
	s_cbranch_execz .LBB1360_149
; %bb.144:
	v_add_nc_u32_e32 v5, 5, v4
	v_bfi_b32 v3, 0xffff, v11, 0
	v_cmp_gt_u32_e32 vcc_lo, s27, v5
	v_mov_b32_e32 v5, 0
	s_and_saveexec_b32 s7, vcc_lo
	s_cbranch_execz .LBB1360_148
; %bb.145:
	v_add_nc_u32_e32 v5, 6, v4
	v_perm_b32 v3, v12, v3, 0x5040100
	v_cmp_gt_u32_e32 vcc_lo, s27, v5
	v_mov_b32_e32 v5, 0
	s_and_saveexec_b32 s8, vcc_lo
; %bb.146:
	v_mov_b32_e32 v5, v13
; %bb.147:
	s_or_b32 exec_lo, exec_lo, s8
.LBB1360_148:
	s_or_b32 exec_lo, exec_lo, s7
.LBB1360_149:
	s_or_b32 exec_lo, exec_lo, s6
.LBB1360_150:
	s_or_b32 exec_lo, exec_lo, s5
.LBB1360_151:
	s_or_b32 exec_lo, exec_lo, s4
.LBB1360_152:
	s_or_b32 exec_lo, exec_lo, s3
.LBB1360_153:
	s_or_b32 exec_lo, exec_lo, s2
	v_lshlrev_b32_e32 v15, 1, v4
	s_waitcnt_vscnt null, 0x0
	s_barrier
	buffer_gl0_inv
	ds_write_b96 v15, v[1:3]
	v_mad_i32_i24 v1, v0, -12, v15
	ds_write_b16 v15, v5 offset:12
	s_waitcnt lgkmcnt(0)
	s_barrier
	buffer_gl0_inv
	ds_read_u16 v16, v1 offset:128
	ds_read_u16 v7, v1 offset:256
	;; [unrolled: 1-line block ×6, first 2 shown]
	v_lshlrev_b32_e32 v1, 1, v0
	v_add_co_u32 v1, s2, s0, v1
	v_add_co_ci_u32_e64 v2, null, s1, 0, s2
	s_mov_b32 s2, exec_lo
	v_cmpx_gt_u32_e64 s27, v0
	s_cbranch_execz .LBB1360_155
; %bb.154:
	v_mul_i32_i24_e32 v17, -12, v0
	v_add_nc_u32_e32 v15, v15, v17
	ds_read_u16 v15, v15
	s_waitcnt lgkmcnt(0)
	flat_store_short v[1:2], v15
.LBB1360_155:
	s_or_b32 exec_lo, exec_lo, s2
	v_or_b32_e32 v15, 64, v0
	s_mov_b32 s2, exec_lo
	v_cmpx_gt_u32_e64 s27, v15
	s_cbranch_execz .LBB1360_157
; %bb.156:
	s_waitcnt lgkmcnt(5)
	flat_store_short v[1:2], v16 offset:128
.LBB1360_157:
	s_or_b32 exec_lo, exec_lo, s2
	v_or_b32_e32 v15, 0x80, v0
	s_mov_b32 s2, exec_lo
	v_cmpx_gt_u32_e64 s27, v15
	s_cbranch_execz .LBB1360_159
; %bb.158:
	s_waitcnt lgkmcnt(4)
	flat_store_short v[1:2], v7 offset:256
.LBB1360_159:
	s_or_b32 exec_lo, exec_lo, s2
	s_waitcnt lgkmcnt(4)
	v_or_b32_e32 v7, 0xc0, v0
	s_mov_b32 s2, exec_lo
	v_cmpx_gt_u32_e64 s27, v7
	s_cbranch_execz .LBB1360_161
; %bb.160:
	s_waitcnt lgkmcnt(3)
	flat_store_short v[1:2], v6 offset:384
.LBB1360_161:
	s_or_b32 exec_lo, exec_lo, s2
	s_waitcnt lgkmcnt(3)
	;; [unrolled: 10-line block ×3, first 2 shown]
	v_or_b32_e32 v5, 0x140, v0
	s_mov_b32 s2, exec_lo
	v_cmpx_gt_u32_e64 s27, v5
	s_cbranch_execz .LBB1360_165
; %bb.164:
	s_waitcnt lgkmcnt(1)
	flat_store_short v[1:2], v4 offset:640
.LBB1360_165:
	s_or_b32 exec_lo, exec_lo, s2
	v_or_b32_e32 v1, 0x180, v0
	v_cmp_gt_u32_e64 s2, s27, v1
	s_branch .LBB1360_168
.LBB1360_166:
	s_mov_b32 s2, 0
                                        ; implicit-def: $vgpr3
	s_cbranch_execz .LBB1360_168
; %bb.167:
	s_waitcnt lgkmcnt(1)
	v_mul_u32_u24_e32 v4, 14, v0
	s_waitcnt lgkmcnt(0)
	v_perm_b32 v3, v12, v11, 0x5040100
	v_perm_b32 v2, v10, v9, 0x5040100
	;; [unrolled: 1-line block ×3, first 2 shown]
	v_mul_i32_i24_e32 v5, -12, v0
	s_waitcnt_vscnt null, 0x0
	s_barrier
	buffer_gl0_inv
	ds_write_b96 v4, v[1:3]
	v_mad_u32_u24 v1, v0, 14, v5
	ds_write_b16 v4, v13 offset:12
	s_waitcnt lgkmcnt(0)
	s_barrier
	buffer_gl0_inv
	ds_read_u16 v4, v1
	ds_read_u16 v5, v1 offset:128
	ds_read_u16 v6, v1 offset:256
	;; [unrolled: 1-line block ×6, first 2 shown]
	v_lshlrev_b32_e32 v1, 1, v0
	s_or_b32 s2, s2, exec_lo
	v_add_co_u32 v1, s3, s0, v1
	v_add_co_ci_u32_e64 v2, null, s1, 0, s3
	s_waitcnt lgkmcnt(6)
	flat_store_short v[1:2], v4
	s_waitcnt lgkmcnt(6)
	flat_store_short v[1:2], v5 offset:128
	s_waitcnt lgkmcnt(6)
	flat_store_short v[1:2], v6 offset:256
	;; [unrolled: 2-line block ×5, first 2 shown]
.LBB1360_168:
	s_and_saveexec_b32 s3, s2
	s_cbranch_execnz .LBB1360_170
; %bb.169:
	s_endpgm
.LBB1360_170:
	v_lshlrev_b32_e32 v0, 1, v0
	v_add_co_u32 v0, s0, s0, v0
	s_waitcnt lgkmcnt(0)
	v_add_co_ci_u32_e64 v1, null, s1, 0, s0
	flat_store_short v[0:1], v3 offset:768
	s_endpgm
.LBB1360_171:
	v_add_co_u32 v7, s7, s31, v3
	v_add_co_ci_u32_e64 v8, null, s33, 0, s7
	v_mov_b32_e32 v6, v5
	v_mov_b32_e32 v9, v5
	flat_load_short_d16 v6, v[7:8]
	v_mov_b32_e32 v7, v5
	v_mov_b32_e32 v8, v5
	s_waitcnt vmcnt(0) lgkmcnt(0)
	v_mov_b32_e32 v5, v6
	v_mov_b32_e32 v6, v7
	;; [unrolled: 1-line block ×4, first 2 shown]
	s_or_b32 exec_lo, exec_lo, s16
	s_and_saveexec_b32 s7, s5
	s_cbranch_execz .LBB1360_23
.LBB1360_172:
	v_add_co_u32 v9, s5, s31, v3
	v_add_co_ci_u32_e64 v10, null, s33, 0, s5
	flat_load_short_d16_hi v5, v[9:10] offset:128
	s_or_b32 exec_lo, exec_lo, s7
	s_and_saveexec_b32 s5, s4
	s_cbranch_execz .LBB1360_24
.LBB1360_173:
	v_add_co_u32 v9, s4, s31, v3
	v_add_co_ci_u32_e64 v10, null, s33, 0, s4
	flat_load_short_d16 v6, v[9:10] offset:256
	s_or_b32 exec_lo, exec_lo, s5
	s_and_saveexec_b32 s4, s3
	s_cbranch_execz .LBB1360_25
.LBB1360_174:
	v_add_co_u32 v9, s3, s31, v3
	v_add_co_ci_u32_e64 v10, null, s33, 0, s3
	s_waitcnt vmcnt(0) lgkmcnt(0)
	flat_load_short_d16_hi v6, v[9:10] offset:384
	s_or_b32 exec_lo, exec_lo, s4
	s_and_saveexec_b32 s3, s2
	s_cbranch_execz .LBB1360_26
.LBB1360_175:
	v_add_co_u32 v9, s2, s31, v3
	v_add_co_ci_u32_e64 v10, null, s33, 0, s2
	flat_load_short_d16 v7, v[9:10] offset:512
	s_or_b32 exec_lo, exec_lo, s3
	s_and_saveexec_b32 s2, s1
	s_cbranch_execz .LBB1360_27
.LBB1360_176:
	v_add_co_u32 v9, s1, s31, v3
	v_add_co_ci_u32_e64 v10, null, s33, 0, s1
	s_waitcnt vmcnt(0) lgkmcnt(0)
	flat_load_short_d16_hi v7, v[9:10] offset:640
	s_or_b32 exec_lo, exec_lo, s2
	s_and_saveexec_b32 s1, s0
	s_cbranch_execnz .LBB1360_28
	s_branch .LBB1360_29
.LBB1360_177:
                                        ; implicit-def: $sgpr16_sgpr17
	s_branch .LBB1360_18
.LBB1360_178:
                                        ; implicit-def: $sgpr0_sgpr1
	s_branch .LBB1360_46
	.section	.rodata,"a",@progbits
	.p2align	6, 0x0
	.amdhsa_kernel _ZN7rocprim17ROCPRIM_400000_NS6detail17trampoline_kernelINS0_14default_configENS1_27scan_by_key_config_selectorIisEEZZNS1_16scan_by_key_implILNS1_25lookback_scan_determinismE0ELb0ES3_N6thrust23THRUST_200600_302600_NS6detail15normal_iteratorINS9_10device_ptrIiEEEENSB_INSC_IsEEEESG_sNS9_4plusIvEENS9_8equal_toIvEEsEE10hipError_tPvRmT2_T3_T4_T5_mT6_T7_P12ihipStream_tbENKUlT_T0_E_clISt17integral_constantIbLb0EES11_EEDaSW_SX_EUlSW_E_NS1_11comp_targetILNS1_3genE8ELNS1_11target_archE1030ELNS1_3gpuE2ELNS1_3repE0EEENS1_30default_config_static_selectorELNS0_4arch9wavefront6targetE0EEEvT1_
		.amdhsa_group_segment_fixed_size 2304
		.amdhsa_private_segment_fixed_size 0
		.amdhsa_kernarg_size 112
		.amdhsa_user_sgpr_count 6
		.amdhsa_user_sgpr_private_segment_buffer 1
		.amdhsa_user_sgpr_dispatch_ptr 0
		.amdhsa_user_sgpr_queue_ptr 0
		.amdhsa_user_sgpr_kernarg_segment_ptr 1
		.amdhsa_user_sgpr_dispatch_id 0
		.amdhsa_user_sgpr_flat_scratch_init 0
		.amdhsa_user_sgpr_private_segment_size 0
		.amdhsa_wavefront_size32 1
		.amdhsa_uses_dynamic_stack 0
		.amdhsa_system_sgpr_private_segment_wavefront_offset 0
		.amdhsa_system_sgpr_workgroup_id_x 1
		.amdhsa_system_sgpr_workgroup_id_y 0
		.amdhsa_system_sgpr_workgroup_id_z 0
		.amdhsa_system_sgpr_workgroup_info 0
		.amdhsa_system_vgpr_workitem_id 0
		.amdhsa_next_free_vgpr 37
		.amdhsa_next_free_sgpr 36
		.amdhsa_reserve_vcc 1
		.amdhsa_reserve_flat_scratch 1
		.amdhsa_float_round_mode_32 0
		.amdhsa_float_round_mode_16_64 0
		.amdhsa_float_denorm_mode_32 3
		.amdhsa_float_denorm_mode_16_64 3
		.amdhsa_dx10_clamp 1
		.amdhsa_ieee_mode 1
		.amdhsa_fp16_overflow 0
		.amdhsa_workgroup_processor_mode 1
		.amdhsa_memory_ordered 1
		.amdhsa_forward_progress 1
		.amdhsa_shared_vgpr_count 0
		.amdhsa_exception_fp_ieee_invalid_op 0
		.amdhsa_exception_fp_denorm_src 0
		.amdhsa_exception_fp_ieee_div_zero 0
		.amdhsa_exception_fp_ieee_overflow 0
		.amdhsa_exception_fp_ieee_underflow 0
		.amdhsa_exception_fp_ieee_inexact 0
		.amdhsa_exception_int_div_zero 0
	.end_amdhsa_kernel
	.section	.text._ZN7rocprim17ROCPRIM_400000_NS6detail17trampoline_kernelINS0_14default_configENS1_27scan_by_key_config_selectorIisEEZZNS1_16scan_by_key_implILNS1_25lookback_scan_determinismE0ELb0ES3_N6thrust23THRUST_200600_302600_NS6detail15normal_iteratorINS9_10device_ptrIiEEEENSB_INSC_IsEEEESG_sNS9_4plusIvEENS9_8equal_toIvEEsEE10hipError_tPvRmT2_T3_T4_T5_mT6_T7_P12ihipStream_tbENKUlT_T0_E_clISt17integral_constantIbLb0EES11_EEDaSW_SX_EUlSW_E_NS1_11comp_targetILNS1_3genE8ELNS1_11target_archE1030ELNS1_3gpuE2ELNS1_3repE0EEENS1_30default_config_static_selectorELNS0_4arch9wavefront6targetE0EEEvT1_,"axG",@progbits,_ZN7rocprim17ROCPRIM_400000_NS6detail17trampoline_kernelINS0_14default_configENS1_27scan_by_key_config_selectorIisEEZZNS1_16scan_by_key_implILNS1_25lookback_scan_determinismE0ELb0ES3_N6thrust23THRUST_200600_302600_NS6detail15normal_iteratorINS9_10device_ptrIiEEEENSB_INSC_IsEEEESG_sNS9_4plusIvEENS9_8equal_toIvEEsEE10hipError_tPvRmT2_T3_T4_T5_mT6_T7_P12ihipStream_tbENKUlT_T0_E_clISt17integral_constantIbLb0EES11_EEDaSW_SX_EUlSW_E_NS1_11comp_targetILNS1_3genE8ELNS1_11target_archE1030ELNS1_3gpuE2ELNS1_3repE0EEENS1_30default_config_static_selectorELNS0_4arch9wavefront6targetE0EEEvT1_,comdat
.Lfunc_end1360:
	.size	_ZN7rocprim17ROCPRIM_400000_NS6detail17trampoline_kernelINS0_14default_configENS1_27scan_by_key_config_selectorIisEEZZNS1_16scan_by_key_implILNS1_25lookback_scan_determinismE0ELb0ES3_N6thrust23THRUST_200600_302600_NS6detail15normal_iteratorINS9_10device_ptrIiEEEENSB_INSC_IsEEEESG_sNS9_4plusIvEENS9_8equal_toIvEEsEE10hipError_tPvRmT2_T3_T4_T5_mT6_T7_P12ihipStream_tbENKUlT_T0_E_clISt17integral_constantIbLb0EES11_EEDaSW_SX_EUlSW_E_NS1_11comp_targetILNS1_3genE8ELNS1_11target_archE1030ELNS1_3gpuE2ELNS1_3repE0EEENS1_30default_config_static_selectorELNS0_4arch9wavefront6targetE0EEEvT1_, .Lfunc_end1360-_ZN7rocprim17ROCPRIM_400000_NS6detail17trampoline_kernelINS0_14default_configENS1_27scan_by_key_config_selectorIisEEZZNS1_16scan_by_key_implILNS1_25lookback_scan_determinismE0ELb0ES3_N6thrust23THRUST_200600_302600_NS6detail15normal_iteratorINS9_10device_ptrIiEEEENSB_INSC_IsEEEESG_sNS9_4plusIvEENS9_8equal_toIvEEsEE10hipError_tPvRmT2_T3_T4_T5_mT6_T7_P12ihipStream_tbENKUlT_T0_E_clISt17integral_constantIbLb0EES11_EEDaSW_SX_EUlSW_E_NS1_11comp_targetILNS1_3genE8ELNS1_11target_archE1030ELNS1_3gpuE2ELNS1_3repE0EEENS1_30default_config_static_selectorELNS0_4arch9wavefront6targetE0EEEvT1_
                                        ; -- End function
	.set _ZN7rocprim17ROCPRIM_400000_NS6detail17trampoline_kernelINS0_14default_configENS1_27scan_by_key_config_selectorIisEEZZNS1_16scan_by_key_implILNS1_25lookback_scan_determinismE0ELb0ES3_N6thrust23THRUST_200600_302600_NS6detail15normal_iteratorINS9_10device_ptrIiEEEENSB_INSC_IsEEEESG_sNS9_4plusIvEENS9_8equal_toIvEEsEE10hipError_tPvRmT2_T3_T4_T5_mT6_T7_P12ihipStream_tbENKUlT_T0_E_clISt17integral_constantIbLb0EES11_EEDaSW_SX_EUlSW_E_NS1_11comp_targetILNS1_3genE8ELNS1_11target_archE1030ELNS1_3gpuE2ELNS1_3repE0EEENS1_30default_config_static_selectorELNS0_4arch9wavefront6targetE0EEEvT1_.num_vgpr, 37
	.set _ZN7rocprim17ROCPRIM_400000_NS6detail17trampoline_kernelINS0_14default_configENS1_27scan_by_key_config_selectorIisEEZZNS1_16scan_by_key_implILNS1_25lookback_scan_determinismE0ELb0ES3_N6thrust23THRUST_200600_302600_NS6detail15normal_iteratorINS9_10device_ptrIiEEEENSB_INSC_IsEEEESG_sNS9_4plusIvEENS9_8equal_toIvEEsEE10hipError_tPvRmT2_T3_T4_T5_mT6_T7_P12ihipStream_tbENKUlT_T0_E_clISt17integral_constantIbLb0EES11_EEDaSW_SX_EUlSW_E_NS1_11comp_targetILNS1_3genE8ELNS1_11target_archE1030ELNS1_3gpuE2ELNS1_3repE0EEENS1_30default_config_static_selectorELNS0_4arch9wavefront6targetE0EEEvT1_.num_agpr, 0
	.set _ZN7rocprim17ROCPRIM_400000_NS6detail17trampoline_kernelINS0_14default_configENS1_27scan_by_key_config_selectorIisEEZZNS1_16scan_by_key_implILNS1_25lookback_scan_determinismE0ELb0ES3_N6thrust23THRUST_200600_302600_NS6detail15normal_iteratorINS9_10device_ptrIiEEEENSB_INSC_IsEEEESG_sNS9_4plusIvEENS9_8equal_toIvEEsEE10hipError_tPvRmT2_T3_T4_T5_mT6_T7_P12ihipStream_tbENKUlT_T0_E_clISt17integral_constantIbLb0EES11_EEDaSW_SX_EUlSW_E_NS1_11comp_targetILNS1_3genE8ELNS1_11target_archE1030ELNS1_3gpuE2ELNS1_3repE0EEENS1_30default_config_static_selectorELNS0_4arch9wavefront6targetE0EEEvT1_.numbered_sgpr, 36
	.set _ZN7rocprim17ROCPRIM_400000_NS6detail17trampoline_kernelINS0_14default_configENS1_27scan_by_key_config_selectorIisEEZZNS1_16scan_by_key_implILNS1_25lookback_scan_determinismE0ELb0ES3_N6thrust23THRUST_200600_302600_NS6detail15normal_iteratorINS9_10device_ptrIiEEEENSB_INSC_IsEEEESG_sNS9_4plusIvEENS9_8equal_toIvEEsEE10hipError_tPvRmT2_T3_T4_T5_mT6_T7_P12ihipStream_tbENKUlT_T0_E_clISt17integral_constantIbLb0EES11_EEDaSW_SX_EUlSW_E_NS1_11comp_targetILNS1_3genE8ELNS1_11target_archE1030ELNS1_3gpuE2ELNS1_3repE0EEENS1_30default_config_static_selectorELNS0_4arch9wavefront6targetE0EEEvT1_.num_named_barrier, 0
	.set _ZN7rocprim17ROCPRIM_400000_NS6detail17trampoline_kernelINS0_14default_configENS1_27scan_by_key_config_selectorIisEEZZNS1_16scan_by_key_implILNS1_25lookback_scan_determinismE0ELb0ES3_N6thrust23THRUST_200600_302600_NS6detail15normal_iteratorINS9_10device_ptrIiEEEENSB_INSC_IsEEEESG_sNS9_4plusIvEENS9_8equal_toIvEEsEE10hipError_tPvRmT2_T3_T4_T5_mT6_T7_P12ihipStream_tbENKUlT_T0_E_clISt17integral_constantIbLb0EES11_EEDaSW_SX_EUlSW_E_NS1_11comp_targetILNS1_3genE8ELNS1_11target_archE1030ELNS1_3gpuE2ELNS1_3repE0EEENS1_30default_config_static_selectorELNS0_4arch9wavefront6targetE0EEEvT1_.private_seg_size, 0
	.set _ZN7rocprim17ROCPRIM_400000_NS6detail17trampoline_kernelINS0_14default_configENS1_27scan_by_key_config_selectorIisEEZZNS1_16scan_by_key_implILNS1_25lookback_scan_determinismE0ELb0ES3_N6thrust23THRUST_200600_302600_NS6detail15normal_iteratorINS9_10device_ptrIiEEEENSB_INSC_IsEEEESG_sNS9_4plusIvEENS9_8equal_toIvEEsEE10hipError_tPvRmT2_T3_T4_T5_mT6_T7_P12ihipStream_tbENKUlT_T0_E_clISt17integral_constantIbLb0EES11_EEDaSW_SX_EUlSW_E_NS1_11comp_targetILNS1_3genE8ELNS1_11target_archE1030ELNS1_3gpuE2ELNS1_3repE0EEENS1_30default_config_static_selectorELNS0_4arch9wavefront6targetE0EEEvT1_.uses_vcc, 1
	.set _ZN7rocprim17ROCPRIM_400000_NS6detail17trampoline_kernelINS0_14default_configENS1_27scan_by_key_config_selectorIisEEZZNS1_16scan_by_key_implILNS1_25lookback_scan_determinismE0ELb0ES3_N6thrust23THRUST_200600_302600_NS6detail15normal_iteratorINS9_10device_ptrIiEEEENSB_INSC_IsEEEESG_sNS9_4plusIvEENS9_8equal_toIvEEsEE10hipError_tPvRmT2_T3_T4_T5_mT6_T7_P12ihipStream_tbENKUlT_T0_E_clISt17integral_constantIbLb0EES11_EEDaSW_SX_EUlSW_E_NS1_11comp_targetILNS1_3genE8ELNS1_11target_archE1030ELNS1_3gpuE2ELNS1_3repE0EEENS1_30default_config_static_selectorELNS0_4arch9wavefront6targetE0EEEvT1_.uses_flat_scratch, 1
	.set _ZN7rocprim17ROCPRIM_400000_NS6detail17trampoline_kernelINS0_14default_configENS1_27scan_by_key_config_selectorIisEEZZNS1_16scan_by_key_implILNS1_25lookback_scan_determinismE0ELb0ES3_N6thrust23THRUST_200600_302600_NS6detail15normal_iteratorINS9_10device_ptrIiEEEENSB_INSC_IsEEEESG_sNS9_4plusIvEENS9_8equal_toIvEEsEE10hipError_tPvRmT2_T3_T4_T5_mT6_T7_P12ihipStream_tbENKUlT_T0_E_clISt17integral_constantIbLb0EES11_EEDaSW_SX_EUlSW_E_NS1_11comp_targetILNS1_3genE8ELNS1_11target_archE1030ELNS1_3gpuE2ELNS1_3repE0EEENS1_30default_config_static_selectorELNS0_4arch9wavefront6targetE0EEEvT1_.has_dyn_sized_stack, 0
	.set _ZN7rocprim17ROCPRIM_400000_NS6detail17trampoline_kernelINS0_14default_configENS1_27scan_by_key_config_selectorIisEEZZNS1_16scan_by_key_implILNS1_25lookback_scan_determinismE0ELb0ES3_N6thrust23THRUST_200600_302600_NS6detail15normal_iteratorINS9_10device_ptrIiEEEENSB_INSC_IsEEEESG_sNS9_4plusIvEENS9_8equal_toIvEEsEE10hipError_tPvRmT2_T3_T4_T5_mT6_T7_P12ihipStream_tbENKUlT_T0_E_clISt17integral_constantIbLb0EES11_EEDaSW_SX_EUlSW_E_NS1_11comp_targetILNS1_3genE8ELNS1_11target_archE1030ELNS1_3gpuE2ELNS1_3repE0EEENS1_30default_config_static_selectorELNS0_4arch9wavefront6targetE0EEEvT1_.has_recursion, 0
	.set _ZN7rocprim17ROCPRIM_400000_NS6detail17trampoline_kernelINS0_14default_configENS1_27scan_by_key_config_selectorIisEEZZNS1_16scan_by_key_implILNS1_25lookback_scan_determinismE0ELb0ES3_N6thrust23THRUST_200600_302600_NS6detail15normal_iteratorINS9_10device_ptrIiEEEENSB_INSC_IsEEEESG_sNS9_4plusIvEENS9_8equal_toIvEEsEE10hipError_tPvRmT2_T3_T4_T5_mT6_T7_P12ihipStream_tbENKUlT_T0_E_clISt17integral_constantIbLb0EES11_EEDaSW_SX_EUlSW_E_NS1_11comp_targetILNS1_3genE8ELNS1_11target_archE1030ELNS1_3gpuE2ELNS1_3repE0EEENS1_30default_config_static_selectorELNS0_4arch9wavefront6targetE0EEEvT1_.has_indirect_call, 0
	.section	.AMDGPU.csdata,"",@progbits
; Kernel info:
; codeLenInByte = 8160
; TotalNumSgprs: 38
; NumVgprs: 37
; ScratchSize: 0
; MemoryBound: 0
; FloatMode: 240
; IeeeMode: 1
; LDSByteSize: 2304 bytes/workgroup (compile time only)
; SGPRBlocks: 0
; VGPRBlocks: 4
; NumSGPRsForWavesPerEU: 38
; NumVGPRsForWavesPerEU: 37
; Occupancy: 16
; WaveLimiterHint : 1
; COMPUTE_PGM_RSRC2:SCRATCH_EN: 0
; COMPUTE_PGM_RSRC2:USER_SGPR: 6
; COMPUTE_PGM_RSRC2:TRAP_HANDLER: 0
; COMPUTE_PGM_RSRC2:TGID_X_EN: 1
; COMPUTE_PGM_RSRC2:TGID_Y_EN: 0
; COMPUTE_PGM_RSRC2:TGID_Z_EN: 0
; COMPUTE_PGM_RSRC2:TIDIG_COMP_CNT: 0
	.section	.text._ZN7rocprim17ROCPRIM_400000_NS6detail30init_device_scan_by_key_kernelINS1_19lookback_scan_stateINS0_5tupleIJsbEEELb1ELb1EEEN6thrust23THRUST_200600_302600_NS6detail15normal_iteratorINS8_10device_ptrIiEEEEjNS1_16block_id_wrapperIjLb1EEEEEvT_jjPNSG_10value_typeET0_PNSt15iterator_traitsISJ_E10value_typeEmT1_T2_,"axG",@progbits,_ZN7rocprim17ROCPRIM_400000_NS6detail30init_device_scan_by_key_kernelINS1_19lookback_scan_stateINS0_5tupleIJsbEEELb1ELb1EEEN6thrust23THRUST_200600_302600_NS6detail15normal_iteratorINS8_10device_ptrIiEEEEjNS1_16block_id_wrapperIjLb1EEEEEvT_jjPNSG_10value_typeET0_PNSt15iterator_traitsISJ_E10value_typeEmT1_T2_,comdat
	.protected	_ZN7rocprim17ROCPRIM_400000_NS6detail30init_device_scan_by_key_kernelINS1_19lookback_scan_stateINS0_5tupleIJsbEEELb1ELb1EEEN6thrust23THRUST_200600_302600_NS6detail15normal_iteratorINS8_10device_ptrIiEEEEjNS1_16block_id_wrapperIjLb1EEEEEvT_jjPNSG_10value_typeET0_PNSt15iterator_traitsISJ_E10value_typeEmT1_T2_ ; -- Begin function _ZN7rocprim17ROCPRIM_400000_NS6detail30init_device_scan_by_key_kernelINS1_19lookback_scan_stateINS0_5tupleIJsbEEELb1ELb1EEEN6thrust23THRUST_200600_302600_NS6detail15normal_iteratorINS8_10device_ptrIiEEEEjNS1_16block_id_wrapperIjLb1EEEEEvT_jjPNSG_10value_typeET0_PNSt15iterator_traitsISJ_E10value_typeEmT1_T2_
	.globl	_ZN7rocprim17ROCPRIM_400000_NS6detail30init_device_scan_by_key_kernelINS1_19lookback_scan_stateINS0_5tupleIJsbEEELb1ELb1EEEN6thrust23THRUST_200600_302600_NS6detail15normal_iteratorINS8_10device_ptrIiEEEEjNS1_16block_id_wrapperIjLb1EEEEEvT_jjPNSG_10value_typeET0_PNSt15iterator_traitsISJ_E10value_typeEmT1_T2_
	.p2align	8
	.type	_ZN7rocprim17ROCPRIM_400000_NS6detail30init_device_scan_by_key_kernelINS1_19lookback_scan_stateINS0_5tupleIJsbEEELb1ELb1EEEN6thrust23THRUST_200600_302600_NS6detail15normal_iteratorINS8_10device_ptrIiEEEEjNS1_16block_id_wrapperIjLb1EEEEEvT_jjPNSG_10value_typeET0_PNSt15iterator_traitsISJ_E10value_typeEmT1_T2_,@function
_ZN7rocprim17ROCPRIM_400000_NS6detail30init_device_scan_by_key_kernelINS1_19lookback_scan_stateINS0_5tupleIJsbEEELb1ELb1EEEN6thrust23THRUST_200600_302600_NS6detail15normal_iteratorINS8_10device_ptrIiEEEEjNS1_16block_id_wrapperIjLb1EEEEEvT_jjPNSG_10value_typeET0_PNSt15iterator_traitsISJ_E10value_typeEmT1_T2_: ; @_ZN7rocprim17ROCPRIM_400000_NS6detail30init_device_scan_by_key_kernelINS1_19lookback_scan_stateINS0_5tupleIJsbEEELb1ELb1EEEN6thrust23THRUST_200600_302600_NS6detail15normal_iteratorINS8_10device_ptrIiEEEEjNS1_16block_id_wrapperIjLb1EEEEEvT_jjPNSG_10value_typeET0_PNSt15iterator_traitsISJ_E10value_typeEmT1_T2_
; %bb.0:
	s_clause 0x2
	s_load_dword s0, s[4:5], 0x4c
	s_load_dwordx8 s[8:15], s[4:5], 0x0
	s_load_dword s7, s[4:5], 0x40
	s_waitcnt lgkmcnt(0)
	s_and_b32 s16, s0, 0xffff
	s_cmp_eq_u64 s[12:13], 0
	v_mad_u64_u32 v[0:1], null, s6, s16, v[0:1]
	s_cbranch_scc1 .LBB1361_9
; %bb.1:
	s_cmp_lt_u32 s11, s10
	s_mov_b32 s1, 0
	s_cselect_b32 s0, s11, 0
	s_mov_b32 s2, exec_lo
	v_cmpx_eq_u32_e64 s0, v0
	s_cbranch_execz .LBB1361_8
; %bb.2:
	s_add_i32 s0, s11, 32
	v_mov_b32_e32 v1, 0
	s_lshl_b64 s[0:1], s[0:1], 3
	s_add_u32 s0, s8, s0
	s_addc_u32 s1, s9, s1
	global_load_dwordx2 v[3:4], v1, s[0:1] glc dlc
	s_waitcnt vmcnt(0)
	v_and_b32_e32 v2, 0xff, v4
	v_cmp_ne_u64_e32 vcc_lo, 0, v[1:2]
	s_cbranch_vccnz .LBB1361_7
; %bb.3:
	s_mov_b32 s3, 1
.LBB1361_4:                             ; =>This Loop Header: Depth=1
                                        ;     Child Loop BB1361_5 Depth 2
	s_mov_b32 s6, s3
.LBB1361_5:                             ;   Parent Loop BB1361_4 Depth=1
                                        ; =>  This Inner Loop Header: Depth=2
	s_add_i32 s6, s6, -1
	s_sleep 1
	s_cmp_eq_u32 s6, 0
	s_cbranch_scc0 .LBB1361_5
; %bb.6:                                ;   in Loop: Header=BB1361_4 Depth=1
	global_load_dwordx2 v[3:4], v1, s[0:1] glc dlc
	s_cmp_lt_u32 s3, 32
	s_cselect_b32 s6, -1, 0
	s_cmp_lg_u32 s6, 0
	s_addc_u32 s3, s3, 0
	s_waitcnt vmcnt(0)
	v_and_b32_e32 v2, 0xff, v4
	v_cmp_ne_u64_e32 vcc_lo, 0, v[1:2]
	s_cbranch_vccz .LBB1361_4
.LBB1361_7:
	v_mov_b32_e32 v1, 0
	global_store_short v1, v3, s[12:13]
	global_store_byte_d16_hi v1, v3, s[12:13] offset:2
.LBB1361_8:
	s_or_b32 exec_lo, exec_lo, s2
.LBB1361_9:
	s_mov_b32 s0, exec_lo
	v_cmpx_eq_u32_e32 0, v0
	s_cbranch_execz .LBB1361_11
; %bb.10:
	s_load_dwordx2 s[2:3], s[4:5], 0x38
	v_mov_b32_e32 v1, 0
	s_waitcnt lgkmcnt(0)
	global_store_dword v1, v1, s[2:3]
.LBB1361_11:
	s_or_b32 exec_lo, exec_lo, s0
	s_mov_b32 s0, exec_lo
	v_cmpx_gt_u32_e64 s10, v0
	s_cbranch_execz .LBB1361_13
; %bb.12:
	v_add_nc_u32_e32 v1, 32, v0
	v_mov_b32_e32 v2, 0
	v_lshlrev_b64 v[3:4], 3, v[1:2]
	v_mov_b32_e32 v1, v2
	v_add_co_u32 v3, vcc_lo, s8, v3
	v_add_co_ci_u32_e64 v4, null, s9, v4, vcc_lo
	global_store_dwordx2 v[3:4], v[1:2], off
.LBB1361_13:
	s_or_b32 exec_lo, exec_lo, s0
	v_mov_b32_e32 v1, 0
	s_mov_b32 s0, exec_lo
	v_cmpx_gt_u32_e32 32, v0
	s_cbranch_execz .LBB1361_15
; %bb.14:
	v_lshlrev_b64 v[2:3], 3, v[0:1]
	v_mov_b32_e32 v4, 0xff
	v_add_co_u32 v5, vcc_lo, s8, v2
	v_add_co_ci_u32_e64 v6, null, s9, v3, vcc_lo
	v_mov_b32_e32 v3, v1
	global_store_dwordx2 v[5:6], v[3:4], off
.LBB1361_15:
	s_or_b32 exec_lo, exec_lo, s0
	s_load_dwordx2 s[2:3], s[4:5], 0x28
	s_mov_b32 s0, exec_lo
	s_waitcnt lgkmcnt(0)
	v_cmpx_gt_u64_e64 s[2:3], v[0:1]
	s_cbranch_execz .LBB1361_18
; %bb.16:
	s_clause 0x1
	s_load_dword s6, s[4:5], 0x30
	s_load_dwordx2 s[8:9], s[4:5], 0x20
	s_mov_b32 s1, 0
	v_lshlrev_b64 v[4:5], 2, v[0:1]
	s_mul_i32 s4, s7, s16
	s_waitcnt lgkmcnt(0)
	v_mad_u64_u32 v[2:3], null, s6, v0, 0
	s_add_i32 s0, s6, -1
	s_mul_hi_u32 s7, s6, s4
	s_lshl_b64 s[10:11], s[0:1], 2
	s_mul_i32 s6, s6, s4
	s_add_u32 s0, s14, s10
	s_addc_u32 s5, s15, s11
	v_lshlrev_b64 v[2:3], 2, v[2:3]
	s_lshl_b64 s[6:7], s[6:7], 2
	v_add_co_u32 v2, vcc_lo, s0, v2
	v_add_co_ci_u32_e64 v3, null, s5, v3, vcc_lo
	v_add_co_u32 v4, vcc_lo, s8, v4
	v_add_co_ci_u32_e64 v5, null, s9, v5, vcc_lo
	s_mov_b32 s5, s1
	s_lshl_b64 s[8:9], s[4:5], 2
	.p2align	6
.LBB1361_17:                            ; =>This Inner Loop Header: Depth=1
	global_load_dword v6, v[2:3], off
	v_add_co_u32 v0, vcc_lo, v0, s4
	v_add_co_ci_u32_e64 v1, null, 0, v1, vcc_lo
	v_add_co_u32 v2, vcc_lo, v2, s6
	v_add_co_ci_u32_e64 v3, null, s7, v3, vcc_lo
	v_cmp_le_u64_e32 vcc_lo, s[2:3], v[0:1]
	s_or_b32 s1, vcc_lo, s1
	s_waitcnt vmcnt(0)
	global_store_dword v[4:5], v6, off
	v_add_co_u32 v4, s0, v4, s8
	v_add_co_ci_u32_e64 v5, null, s9, v5, s0
	s_andn2_b32 exec_lo, exec_lo, s1
	s_cbranch_execnz .LBB1361_17
.LBB1361_18:
	s_endpgm
	.section	.rodata,"a",@progbits
	.p2align	6, 0x0
	.amdhsa_kernel _ZN7rocprim17ROCPRIM_400000_NS6detail30init_device_scan_by_key_kernelINS1_19lookback_scan_stateINS0_5tupleIJsbEEELb1ELb1EEEN6thrust23THRUST_200600_302600_NS6detail15normal_iteratorINS8_10device_ptrIiEEEEjNS1_16block_id_wrapperIjLb1EEEEEvT_jjPNSG_10value_typeET0_PNSt15iterator_traitsISJ_E10value_typeEmT1_T2_
		.amdhsa_group_segment_fixed_size 0
		.amdhsa_private_segment_fixed_size 0
		.amdhsa_kernarg_size 320
		.amdhsa_user_sgpr_count 6
		.amdhsa_user_sgpr_private_segment_buffer 1
		.amdhsa_user_sgpr_dispatch_ptr 0
		.amdhsa_user_sgpr_queue_ptr 0
		.amdhsa_user_sgpr_kernarg_segment_ptr 1
		.amdhsa_user_sgpr_dispatch_id 0
		.amdhsa_user_sgpr_flat_scratch_init 0
		.amdhsa_user_sgpr_private_segment_size 0
		.amdhsa_wavefront_size32 1
		.amdhsa_uses_dynamic_stack 0
		.amdhsa_system_sgpr_private_segment_wavefront_offset 0
		.amdhsa_system_sgpr_workgroup_id_x 1
		.amdhsa_system_sgpr_workgroup_id_y 0
		.amdhsa_system_sgpr_workgroup_id_z 0
		.amdhsa_system_sgpr_workgroup_info 0
		.amdhsa_system_vgpr_workitem_id 0
		.amdhsa_next_free_vgpr 7
		.amdhsa_next_free_sgpr 17
		.amdhsa_reserve_vcc 1
		.amdhsa_reserve_flat_scratch 0
		.amdhsa_float_round_mode_32 0
		.amdhsa_float_round_mode_16_64 0
		.amdhsa_float_denorm_mode_32 3
		.amdhsa_float_denorm_mode_16_64 3
		.amdhsa_dx10_clamp 1
		.amdhsa_ieee_mode 1
		.amdhsa_fp16_overflow 0
		.amdhsa_workgroup_processor_mode 1
		.amdhsa_memory_ordered 1
		.amdhsa_forward_progress 1
		.amdhsa_shared_vgpr_count 0
		.amdhsa_exception_fp_ieee_invalid_op 0
		.amdhsa_exception_fp_denorm_src 0
		.amdhsa_exception_fp_ieee_div_zero 0
		.amdhsa_exception_fp_ieee_overflow 0
		.amdhsa_exception_fp_ieee_underflow 0
		.amdhsa_exception_fp_ieee_inexact 0
		.amdhsa_exception_int_div_zero 0
	.end_amdhsa_kernel
	.section	.text._ZN7rocprim17ROCPRIM_400000_NS6detail30init_device_scan_by_key_kernelINS1_19lookback_scan_stateINS0_5tupleIJsbEEELb1ELb1EEEN6thrust23THRUST_200600_302600_NS6detail15normal_iteratorINS8_10device_ptrIiEEEEjNS1_16block_id_wrapperIjLb1EEEEEvT_jjPNSG_10value_typeET0_PNSt15iterator_traitsISJ_E10value_typeEmT1_T2_,"axG",@progbits,_ZN7rocprim17ROCPRIM_400000_NS6detail30init_device_scan_by_key_kernelINS1_19lookback_scan_stateINS0_5tupleIJsbEEELb1ELb1EEEN6thrust23THRUST_200600_302600_NS6detail15normal_iteratorINS8_10device_ptrIiEEEEjNS1_16block_id_wrapperIjLb1EEEEEvT_jjPNSG_10value_typeET0_PNSt15iterator_traitsISJ_E10value_typeEmT1_T2_,comdat
.Lfunc_end1361:
	.size	_ZN7rocprim17ROCPRIM_400000_NS6detail30init_device_scan_by_key_kernelINS1_19lookback_scan_stateINS0_5tupleIJsbEEELb1ELb1EEEN6thrust23THRUST_200600_302600_NS6detail15normal_iteratorINS8_10device_ptrIiEEEEjNS1_16block_id_wrapperIjLb1EEEEEvT_jjPNSG_10value_typeET0_PNSt15iterator_traitsISJ_E10value_typeEmT1_T2_, .Lfunc_end1361-_ZN7rocprim17ROCPRIM_400000_NS6detail30init_device_scan_by_key_kernelINS1_19lookback_scan_stateINS0_5tupleIJsbEEELb1ELb1EEEN6thrust23THRUST_200600_302600_NS6detail15normal_iteratorINS8_10device_ptrIiEEEEjNS1_16block_id_wrapperIjLb1EEEEEvT_jjPNSG_10value_typeET0_PNSt15iterator_traitsISJ_E10value_typeEmT1_T2_
                                        ; -- End function
	.set _ZN7rocprim17ROCPRIM_400000_NS6detail30init_device_scan_by_key_kernelINS1_19lookback_scan_stateINS0_5tupleIJsbEEELb1ELb1EEEN6thrust23THRUST_200600_302600_NS6detail15normal_iteratorINS8_10device_ptrIiEEEEjNS1_16block_id_wrapperIjLb1EEEEEvT_jjPNSG_10value_typeET0_PNSt15iterator_traitsISJ_E10value_typeEmT1_T2_.num_vgpr, 7
	.set _ZN7rocprim17ROCPRIM_400000_NS6detail30init_device_scan_by_key_kernelINS1_19lookback_scan_stateINS0_5tupleIJsbEEELb1ELb1EEEN6thrust23THRUST_200600_302600_NS6detail15normal_iteratorINS8_10device_ptrIiEEEEjNS1_16block_id_wrapperIjLb1EEEEEvT_jjPNSG_10value_typeET0_PNSt15iterator_traitsISJ_E10value_typeEmT1_T2_.num_agpr, 0
	.set _ZN7rocprim17ROCPRIM_400000_NS6detail30init_device_scan_by_key_kernelINS1_19lookback_scan_stateINS0_5tupleIJsbEEELb1ELb1EEEN6thrust23THRUST_200600_302600_NS6detail15normal_iteratorINS8_10device_ptrIiEEEEjNS1_16block_id_wrapperIjLb1EEEEEvT_jjPNSG_10value_typeET0_PNSt15iterator_traitsISJ_E10value_typeEmT1_T2_.numbered_sgpr, 17
	.set _ZN7rocprim17ROCPRIM_400000_NS6detail30init_device_scan_by_key_kernelINS1_19lookback_scan_stateINS0_5tupleIJsbEEELb1ELb1EEEN6thrust23THRUST_200600_302600_NS6detail15normal_iteratorINS8_10device_ptrIiEEEEjNS1_16block_id_wrapperIjLb1EEEEEvT_jjPNSG_10value_typeET0_PNSt15iterator_traitsISJ_E10value_typeEmT1_T2_.num_named_barrier, 0
	.set _ZN7rocprim17ROCPRIM_400000_NS6detail30init_device_scan_by_key_kernelINS1_19lookback_scan_stateINS0_5tupleIJsbEEELb1ELb1EEEN6thrust23THRUST_200600_302600_NS6detail15normal_iteratorINS8_10device_ptrIiEEEEjNS1_16block_id_wrapperIjLb1EEEEEvT_jjPNSG_10value_typeET0_PNSt15iterator_traitsISJ_E10value_typeEmT1_T2_.private_seg_size, 0
	.set _ZN7rocprim17ROCPRIM_400000_NS6detail30init_device_scan_by_key_kernelINS1_19lookback_scan_stateINS0_5tupleIJsbEEELb1ELb1EEEN6thrust23THRUST_200600_302600_NS6detail15normal_iteratorINS8_10device_ptrIiEEEEjNS1_16block_id_wrapperIjLb1EEEEEvT_jjPNSG_10value_typeET0_PNSt15iterator_traitsISJ_E10value_typeEmT1_T2_.uses_vcc, 1
	.set _ZN7rocprim17ROCPRIM_400000_NS6detail30init_device_scan_by_key_kernelINS1_19lookback_scan_stateINS0_5tupleIJsbEEELb1ELb1EEEN6thrust23THRUST_200600_302600_NS6detail15normal_iteratorINS8_10device_ptrIiEEEEjNS1_16block_id_wrapperIjLb1EEEEEvT_jjPNSG_10value_typeET0_PNSt15iterator_traitsISJ_E10value_typeEmT1_T2_.uses_flat_scratch, 0
	.set _ZN7rocprim17ROCPRIM_400000_NS6detail30init_device_scan_by_key_kernelINS1_19lookback_scan_stateINS0_5tupleIJsbEEELb1ELb1EEEN6thrust23THRUST_200600_302600_NS6detail15normal_iteratorINS8_10device_ptrIiEEEEjNS1_16block_id_wrapperIjLb1EEEEEvT_jjPNSG_10value_typeET0_PNSt15iterator_traitsISJ_E10value_typeEmT1_T2_.has_dyn_sized_stack, 0
	.set _ZN7rocprim17ROCPRIM_400000_NS6detail30init_device_scan_by_key_kernelINS1_19lookback_scan_stateINS0_5tupleIJsbEEELb1ELb1EEEN6thrust23THRUST_200600_302600_NS6detail15normal_iteratorINS8_10device_ptrIiEEEEjNS1_16block_id_wrapperIjLb1EEEEEvT_jjPNSG_10value_typeET0_PNSt15iterator_traitsISJ_E10value_typeEmT1_T2_.has_recursion, 0
	.set _ZN7rocprim17ROCPRIM_400000_NS6detail30init_device_scan_by_key_kernelINS1_19lookback_scan_stateINS0_5tupleIJsbEEELb1ELb1EEEN6thrust23THRUST_200600_302600_NS6detail15normal_iteratorINS8_10device_ptrIiEEEEjNS1_16block_id_wrapperIjLb1EEEEEvT_jjPNSG_10value_typeET0_PNSt15iterator_traitsISJ_E10value_typeEmT1_T2_.has_indirect_call, 0
	.section	.AMDGPU.csdata,"",@progbits
; Kernel info:
; codeLenInByte = 664
; TotalNumSgprs: 19
; NumVgprs: 7
; ScratchSize: 0
; MemoryBound: 0
; FloatMode: 240
; IeeeMode: 1
; LDSByteSize: 0 bytes/workgroup (compile time only)
; SGPRBlocks: 0
; VGPRBlocks: 0
; NumSGPRsForWavesPerEU: 19
; NumVGPRsForWavesPerEU: 7
; Occupancy: 16
; WaveLimiterHint : 0
; COMPUTE_PGM_RSRC2:SCRATCH_EN: 0
; COMPUTE_PGM_RSRC2:USER_SGPR: 6
; COMPUTE_PGM_RSRC2:TRAP_HANDLER: 0
; COMPUTE_PGM_RSRC2:TGID_X_EN: 1
; COMPUTE_PGM_RSRC2:TGID_Y_EN: 0
; COMPUTE_PGM_RSRC2:TGID_Z_EN: 0
; COMPUTE_PGM_RSRC2:TIDIG_COMP_CNT: 0
	.section	.text._ZN7rocprim17ROCPRIM_400000_NS6detail17trampoline_kernelINS0_14default_configENS1_27scan_by_key_config_selectorIisEEZZNS1_16scan_by_key_implILNS1_25lookback_scan_determinismE0ELb0ES3_N6thrust23THRUST_200600_302600_NS6detail15normal_iteratorINS9_10device_ptrIiEEEENSB_INSC_IsEEEESG_sNS9_4plusIvEENS9_8equal_toIvEEsEE10hipError_tPvRmT2_T3_T4_T5_mT6_T7_P12ihipStream_tbENKUlT_T0_E_clISt17integral_constantIbLb1EES11_EEDaSW_SX_EUlSW_E_NS1_11comp_targetILNS1_3genE0ELNS1_11target_archE4294967295ELNS1_3gpuE0ELNS1_3repE0EEENS1_30default_config_static_selectorELNS0_4arch9wavefront6targetE0EEEvT1_,"axG",@progbits,_ZN7rocprim17ROCPRIM_400000_NS6detail17trampoline_kernelINS0_14default_configENS1_27scan_by_key_config_selectorIisEEZZNS1_16scan_by_key_implILNS1_25lookback_scan_determinismE0ELb0ES3_N6thrust23THRUST_200600_302600_NS6detail15normal_iteratorINS9_10device_ptrIiEEEENSB_INSC_IsEEEESG_sNS9_4plusIvEENS9_8equal_toIvEEsEE10hipError_tPvRmT2_T3_T4_T5_mT6_T7_P12ihipStream_tbENKUlT_T0_E_clISt17integral_constantIbLb1EES11_EEDaSW_SX_EUlSW_E_NS1_11comp_targetILNS1_3genE0ELNS1_11target_archE4294967295ELNS1_3gpuE0ELNS1_3repE0EEENS1_30default_config_static_selectorELNS0_4arch9wavefront6targetE0EEEvT1_,comdat
	.protected	_ZN7rocprim17ROCPRIM_400000_NS6detail17trampoline_kernelINS0_14default_configENS1_27scan_by_key_config_selectorIisEEZZNS1_16scan_by_key_implILNS1_25lookback_scan_determinismE0ELb0ES3_N6thrust23THRUST_200600_302600_NS6detail15normal_iteratorINS9_10device_ptrIiEEEENSB_INSC_IsEEEESG_sNS9_4plusIvEENS9_8equal_toIvEEsEE10hipError_tPvRmT2_T3_T4_T5_mT6_T7_P12ihipStream_tbENKUlT_T0_E_clISt17integral_constantIbLb1EES11_EEDaSW_SX_EUlSW_E_NS1_11comp_targetILNS1_3genE0ELNS1_11target_archE4294967295ELNS1_3gpuE0ELNS1_3repE0EEENS1_30default_config_static_selectorELNS0_4arch9wavefront6targetE0EEEvT1_ ; -- Begin function _ZN7rocprim17ROCPRIM_400000_NS6detail17trampoline_kernelINS0_14default_configENS1_27scan_by_key_config_selectorIisEEZZNS1_16scan_by_key_implILNS1_25lookback_scan_determinismE0ELb0ES3_N6thrust23THRUST_200600_302600_NS6detail15normal_iteratorINS9_10device_ptrIiEEEENSB_INSC_IsEEEESG_sNS9_4plusIvEENS9_8equal_toIvEEsEE10hipError_tPvRmT2_T3_T4_T5_mT6_T7_P12ihipStream_tbENKUlT_T0_E_clISt17integral_constantIbLb1EES11_EEDaSW_SX_EUlSW_E_NS1_11comp_targetILNS1_3genE0ELNS1_11target_archE4294967295ELNS1_3gpuE0ELNS1_3repE0EEENS1_30default_config_static_selectorELNS0_4arch9wavefront6targetE0EEEvT1_
	.globl	_ZN7rocprim17ROCPRIM_400000_NS6detail17trampoline_kernelINS0_14default_configENS1_27scan_by_key_config_selectorIisEEZZNS1_16scan_by_key_implILNS1_25lookback_scan_determinismE0ELb0ES3_N6thrust23THRUST_200600_302600_NS6detail15normal_iteratorINS9_10device_ptrIiEEEENSB_INSC_IsEEEESG_sNS9_4plusIvEENS9_8equal_toIvEEsEE10hipError_tPvRmT2_T3_T4_T5_mT6_T7_P12ihipStream_tbENKUlT_T0_E_clISt17integral_constantIbLb1EES11_EEDaSW_SX_EUlSW_E_NS1_11comp_targetILNS1_3genE0ELNS1_11target_archE4294967295ELNS1_3gpuE0ELNS1_3repE0EEENS1_30default_config_static_selectorELNS0_4arch9wavefront6targetE0EEEvT1_
	.p2align	8
	.type	_ZN7rocprim17ROCPRIM_400000_NS6detail17trampoline_kernelINS0_14default_configENS1_27scan_by_key_config_selectorIisEEZZNS1_16scan_by_key_implILNS1_25lookback_scan_determinismE0ELb0ES3_N6thrust23THRUST_200600_302600_NS6detail15normal_iteratorINS9_10device_ptrIiEEEENSB_INSC_IsEEEESG_sNS9_4plusIvEENS9_8equal_toIvEEsEE10hipError_tPvRmT2_T3_T4_T5_mT6_T7_P12ihipStream_tbENKUlT_T0_E_clISt17integral_constantIbLb1EES11_EEDaSW_SX_EUlSW_E_NS1_11comp_targetILNS1_3genE0ELNS1_11target_archE4294967295ELNS1_3gpuE0ELNS1_3repE0EEENS1_30default_config_static_selectorELNS0_4arch9wavefront6targetE0EEEvT1_,@function
_ZN7rocprim17ROCPRIM_400000_NS6detail17trampoline_kernelINS0_14default_configENS1_27scan_by_key_config_selectorIisEEZZNS1_16scan_by_key_implILNS1_25lookback_scan_determinismE0ELb0ES3_N6thrust23THRUST_200600_302600_NS6detail15normal_iteratorINS9_10device_ptrIiEEEENSB_INSC_IsEEEESG_sNS9_4plusIvEENS9_8equal_toIvEEsEE10hipError_tPvRmT2_T3_T4_T5_mT6_T7_P12ihipStream_tbENKUlT_T0_E_clISt17integral_constantIbLb1EES11_EEDaSW_SX_EUlSW_E_NS1_11comp_targetILNS1_3genE0ELNS1_11target_archE4294967295ELNS1_3gpuE0ELNS1_3repE0EEENS1_30default_config_static_selectorELNS0_4arch9wavefront6targetE0EEEvT1_: ; @_ZN7rocprim17ROCPRIM_400000_NS6detail17trampoline_kernelINS0_14default_configENS1_27scan_by_key_config_selectorIisEEZZNS1_16scan_by_key_implILNS1_25lookback_scan_determinismE0ELb0ES3_N6thrust23THRUST_200600_302600_NS6detail15normal_iteratorINS9_10device_ptrIiEEEENSB_INSC_IsEEEESG_sNS9_4plusIvEENS9_8equal_toIvEEsEE10hipError_tPvRmT2_T3_T4_T5_mT6_T7_P12ihipStream_tbENKUlT_T0_E_clISt17integral_constantIbLb1EES11_EEDaSW_SX_EUlSW_E_NS1_11comp_targetILNS1_3genE0ELNS1_11target_archE4294967295ELNS1_3gpuE0ELNS1_3repE0EEENS1_30default_config_static_selectorELNS0_4arch9wavefront6targetE0EEEvT1_
; %bb.0:
	.section	.rodata,"a",@progbits
	.p2align	6, 0x0
	.amdhsa_kernel _ZN7rocprim17ROCPRIM_400000_NS6detail17trampoline_kernelINS0_14default_configENS1_27scan_by_key_config_selectorIisEEZZNS1_16scan_by_key_implILNS1_25lookback_scan_determinismE0ELb0ES3_N6thrust23THRUST_200600_302600_NS6detail15normal_iteratorINS9_10device_ptrIiEEEENSB_INSC_IsEEEESG_sNS9_4plusIvEENS9_8equal_toIvEEsEE10hipError_tPvRmT2_T3_T4_T5_mT6_T7_P12ihipStream_tbENKUlT_T0_E_clISt17integral_constantIbLb1EES11_EEDaSW_SX_EUlSW_E_NS1_11comp_targetILNS1_3genE0ELNS1_11target_archE4294967295ELNS1_3gpuE0ELNS1_3repE0EEENS1_30default_config_static_selectorELNS0_4arch9wavefront6targetE0EEEvT1_
		.amdhsa_group_segment_fixed_size 0
		.amdhsa_private_segment_fixed_size 0
		.amdhsa_kernarg_size 112
		.amdhsa_user_sgpr_count 6
		.amdhsa_user_sgpr_private_segment_buffer 1
		.amdhsa_user_sgpr_dispatch_ptr 0
		.amdhsa_user_sgpr_queue_ptr 0
		.amdhsa_user_sgpr_kernarg_segment_ptr 1
		.amdhsa_user_sgpr_dispatch_id 0
		.amdhsa_user_sgpr_flat_scratch_init 0
		.amdhsa_user_sgpr_private_segment_size 0
		.amdhsa_wavefront_size32 1
		.amdhsa_uses_dynamic_stack 0
		.amdhsa_system_sgpr_private_segment_wavefront_offset 0
		.amdhsa_system_sgpr_workgroup_id_x 1
		.amdhsa_system_sgpr_workgroup_id_y 0
		.amdhsa_system_sgpr_workgroup_id_z 0
		.amdhsa_system_sgpr_workgroup_info 0
		.amdhsa_system_vgpr_workitem_id 0
		.amdhsa_next_free_vgpr 1
		.amdhsa_next_free_sgpr 1
		.amdhsa_reserve_vcc 0
		.amdhsa_reserve_flat_scratch 0
		.amdhsa_float_round_mode_32 0
		.amdhsa_float_round_mode_16_64 0
		.amdhsa_float_denorm_mode_32 3
		.amdhsa_float_denorm_mode_16_64 3
		.amdhsa_dx10_clamp 1
		.amdhsa_ieee_mode 1
		.amdhsa_fp16_overflow 0
		.amdhsa_workgroup_processor_mode 1
		.amdhsa_memory_ordered 1
		.amdhsa_forward_progress 1
		.amdhsa_shared_vgpr_count 0
		.amdhsa_exception_fp_ieee_invalid_op 0
		.amdhsa_exception_fp_denorm_src 0
		.amdhsa_exception_fp_ieee_div_zero 0
		.amdhsa_exception_fp_ieee_overflow 0
		.amdhsa_exception_fp_ieee_underflow 0
		.amdhsa_exception_fp_ieee_inexact 0
		.amdhsa_exception_int_div_zero 0
	.end_amdhsa_kernel
	.section	.text._ZN7rocprim17ROCPRIM_400000_NS6detail17trampoline_kernelINS0_14default_configENS1_27scan_by_key_config_selectorIisEEZZNS1_16scan_by_key_implILNS1_25lookback_scan_determinismE0ELb0ES3_N6thrust23THRUST_200600_302600_NS6detail15normal_iteratorINS9_10device_ptrIiEEEENSB_INSC_IsEEEESG_sNS9_4plusIvEENS9_8equal_toIvEEsEE10hipError_tPvRmT2_T3_T4_T5_mT6_T7_P12ihipStream_tbENKUlT_T0_E_clISt17integral_constantIbLb1EES11_EEDaSW_SX_EUlSW_E_NS1_11comp_targetILNS1_3genE0ELNS1_11target_archE4294967295ELNS1_3gpuE0ELNS1_3repE0EEENS1_30default_config_static_selectorELNS0_4arch9wavefront6targetE0EEEvT1_,"axG",@progbits,_ZN7rocprim17ROCPRIM_400000_NS6detail17trampoline_kernelINS0_14default_configENS1_27scan_by_key_config_selectorIisEEZZNS1_16scan_by_key_implILNS1_25lookback_scan_determinismE0ELb0ES3_N6thrust23THRUST_200600_302600_NS6detail15normal_iteratorINS9_10device_ptrIiEEEENSB_INSC_IsEEEESG_sNS9_4plusIvEENS9_8equal_toIvEEsEE10hipError_tPvRmT2_T3_T4_T5_mT6_T7_P12ihipStream_tbENKUlT_T0_E_clISt17integral_constantIbLb1EES11_EEDaSW_SX_EUlSW_E_NS1_11comp_targetILNS1_3genE0ELNS1_11target_archE4294967295ELNS1_3gpuE0ELNS1_3repE0EEENS1_30default_config_static_selectorELNS0_4arch9wavefront6targetE0EEEvT1_,comdat
.Lfunc_end1362:
	.size	_ZN7rocprim17ROCPRIM_400000_NS6detail17trampoline_kernelINS0_14default_configENS1_27scan_by_key_config_selectorIisEEZZNS1_16scan_by_key_implILNS1_25lookback_scan_determinismE0ELb0ES3_N6thrust23THRUST_200600_302600_NS6detail15normal_iteratorINS9_10device_ptrIiEEEENSB_INSC_IsEEEESG_sNS9_4plusIvEENS9_8equal_toIvEEsEE10hipError_tPvRmT2_T3_T4_T5_mT6_T7_P12ihipStream_tbENKUlT_T0_E_clISt17integral_constantIbLb1EES11_EEDaSW_SX_EUlSW_E_NS1_11comp_targetILNS1_3genE0ELNS1_11target_archE4294967295ELNS1_3gpuE0ELNS1_3repE0EEENS1_30default_config_static_selectorELNS0_4arch9wavefront6targetE0EEEvT1_, .Lfunc_end1362-_ZN7rocprim17ROCPRIM_400000_NS6detail17trampoline_kernelINS0_14default_configENS1_27scan_by_key_config_selectorIisEEZZNS1_16scan_by_key_implILNS1_25lookback_scan_determinismE0ELb0ES3_N6thrust23THRUST_200600_302600_NS6detail15normal_iteratorINS9_10device_ptrIiEEEENSB_INSC_IsEEEESG_sNS9_4plusIvEENS9_8equal_toIvEEsEE10hipError_tPvRmT2_T3_T4_T5_mT6_T7_P12ihipStream_tbENKUlT_T0_E_clISt17integral_constantIbLb1EES11_EEDaSW_SX_EUlSW_E_NS1_11comp_targetILNS1_3genE0ELNS1_11target_archE4294967295ELNS1_3gpuE0ELNS1_3repE0EEENS1_30default_config_static_selectorELNS0_4arch9wavefront6targetE0EEEvT1_
                                        ; -- End function
	.set _ZN7rocprim17ROCPRIM_400000_NS6detail17trampoline_kernelINS0_14default_configENS1_27scan_by_key_config_selectorIisEEZZNS1_16scan_by_key_implILNS1_25lookback_scan_determinismE0ELb0ES3_N6thrust23THRUST_200600_302600_NS6detail15normal_iteratorINS9_10device_ptrIiEEEENSB_INSC_IsEEEESG_sNS9_4plusIvEENS9_8equal_toIvEEsEE10hipError_tPvRmT2_T3_T4_T5_mT6_T7_P12ihipStream_tbENKUlT_T0_E_clISt17integral_constantIbLb1EES11_EEDaSW_SX_EUlSW_E_NS1_11comp_targetILNS1_3genE0ELNS1_11target_archE4294967295ELNS1_3gpuE0ELNS1_3repE0EEENS1_30default_config_static_selectorELNS0_4arch9wavefront6targetE0EEEvT1_.num_vgpr, 0
	.set _ZN7rocprim17ROCPRIM_400000_NS6detail17trampoline_kernelINS0_14default_configENS1_27scan_by_key_config_selectorIisEEZZNS1_16scan_by_key_implILNS1_25lookback_scan_determinismE0ELb0ES3_N6thrust23THRUST_200600_302600_NS6detail15normal_iteratorINS9_10device_ptrIiEEEENSB_INSC_IsEEEESG_sNS9_4plusIvEENS9_8equal_toIvEEsEE10hipError_tPvRmT2_T3_T4_T5_mT6_T7_P12ihipStream_tbENKUlT_T0_E_clISt17integral_constantIbLb1EES11_EEDaSW_SX_EUlSW_E_NS1_11comp_targetILNS1_3genE0ELNS1_11target_archE4294967295ELNS1_3gpuE0ELNS1_3repE0EEENS1_30default_config_static_selectorELNS0_4arch9wavefront6targetE0EEEvT1_.num_agpr, 0
	.set _ZN7rocprim17ROCPRIM_400000_NS6detail17trampoline_kernelINS0_14default_configENS1_27scan_by_key_config_selectorIisEEZZNS1_16scan_by_key_implILNS1_25lookback_scan_determinismE0ELb0ES3_N6thrust23THRUST_200600_302600_NS6detail15normal_iteratorINS9_10device_ptrIiEEEENSB_INSC_IsEEEESG_sNS9_4plusIvEENS9_8equal_toIvEEsEE10hipError_tPvRmT2_T3_T4_T5_mT6_T7_P12ihipStream_tbENKUlT_T0_E_clISt17integral_constantIbLb1EES11_EEDaSW_SX_EUlSW_E_NS1_11comp_targetILNS1_3genE0ELNS1_11target_archE4294967295ELNS1_3gpuE0ELNS1_3repE0EEENS1_30default_config_static_selectorELNS0_4arch9wavefront6targetE0EEEvT1_.numbered_sgpr, 0
	.set _ZN7rocprim17ROCPRIM_400000_NS6detail17trampoline_kernelINS0_14default_configENS1_27scan_by_key_config_selectorIisEEZZNS1_16scan_by_key_implILNS1_25lookback_scan_determinismE0ELb0ES3_N6thrust23THRUST_200600_302600_NS6detail15normal_iteratorINS9_10device_ptrIiEEEENSB_INSC_IsEEEESG_sNS9_4plusIvEENS9_8equal_toIvEEsEE10hipError_tPvRmT2_T3_T4_T5_mT6_T7_P12ihipStream_tbENKUlT_T0_E_clISt17integral_constantIbLb1EES11_EEDaSW_SX_EUlSW_E_NS1_11comp_targetILNS1_3genE0ELNS1_11target_archE4294967295ELNS1_3gpuE0ELNS1_3repE0EEENS1_30default_config_static_selectorELNS0_4arch9wavefront6targetE0EEEvT1_.num_named_barrier, 0
	.set _ZN7rocprim17ROCPRIM_400000_NS6detail17trampoline_kernelINS0_14default_configENS1_27scan_by_key_config_selectorIisEEZZNS1_16scan_by_key_implILNS1_25lookback_scan_determinismE0ELb0ES3_N6thrust23THRUST_200600_302600_NS6detail15normal_iteratorINS9_10device_ptrIiEEEENSB_INSC_IsEEEESG_sNS9_4plusIvEENS9_8equal_toIvEEsEE10hipError_tPvRmT2_T3_T4_T5_mT6_T7_P12ihipStream_tbENKUlT_T0_E_clISt17integral_constantIbLb1EES11_EEDaSW_SX_EUlSW_E_NS1_11comp_targetILNS1_3genE0ELNS1_11target_archE4294967295ELNS1_3gpuE0ELNS1_3repE0EEENS1_30default_config_static_selectorELNS0_4arch9wavefront6targetE0EEEvT1_.private_seg_size, 0
	.set _ZN7rocprim17ROCPRIM_400000_NS6detail17trampoline_kernelINS0_14default_configENS1_27scan_by_key_config_selectorIisEEZZNS1_16scan_by_key_implILNS1_25lookback_scan_determinismE0ELb0ES3_N6thrust23THRUST_200600_302600_NS6detail15normal_iteratorINS9_10device_ptrIiEEEENSB_INSC_IsEEEESG_sNS9_4plusIvEENS9_8equal_toIvEEsEE10hipError_tPvRmT2_T3_T4_T5_mT6_T7_P12ihipStream_tbENKUlT_T0_E_clISt17integral_constantIbLb1EES11_EEDaSW_SX_EUlSW_E_NS1_11comp_targetILNS1_3genE0ELNS1_11target_archE4294967295ELNS1_3gpuE0ELNS1_3repE0EEENS1_30default_config_static_selectorELNS0_4arch9wavefront6targetE0EEEvT1_.uses_vcc, 0
	.set _ZN7rocprim17ROCPRIM_400000_NS6detail17trampoline_kernelINS0_14default_configENS1_27scan_by_key_config_selectorIisEEZZNS1_16scan_by_key_implILNS1_25lookback_scan_determinismE0ELb0ES3_N6thrust23THRUST_200600_302600_NS6detail15normal_iteratorINS9_10device_ptrIiEEEENSB_INSC_IsEEEESG_sNS9_4plusIvEENS9_8equal_toIvEEsEE10hipError_tPvRmT2_T3_T4_T5_mT6_T7_P12ihipStream_tbENKUlT_T0_E_clISt17integral_constantIbLb1EES11_EEDaSW_SX_EUlSW_E_NS1_11comp_targetILNS1_3genE0ELNS1_11target_archE4294967295ELNS1_3gpuE0ELNS1_3repE0EEENS1_30default_config_static_selectorELNS0_4arch9wavefront6targetE0EEEvT1_.uses_flat_scratch, 0
	.set _ZN7rocprim17ROCPRIM_400000_NS6detail17trampoline_kernelINS0_14default_configENS1_27scan_by_key_config_selectorIisEEZZNS1_16scan_by_key_implILNS1_25lookback_scan_determinismE0ELb0ES3_N6thrust23THRUST_200600_302600_NS6detail15normal_iteratorINS9_10device_ptrIiEEEENSB_INSC_IsEEEESG_sNS9_4plusIvEENS9_8equal_toIvEEsEE10hipError_tPvRmT2_T3_T4_T5_mT6_T7_P12ihipStream_tbENKUlT_T0_E_clISt17integral_constantIbLb1EES11_EEDaSW_SX_EUlSW_E_NS1_11comp_targetILNS1_3genE0ELNS1_11target_archE4294967295ELNS1_3gpuE0ELNS1_3repE0EEENS1_30default_config_static_selectorELNS0_4arch9wavefront6targetE0EEEvT1_.has_dyn_sized_stack, 0
	.set _ZN7rocprim17ROCPRIM_400000_NS6detail17trampoline_kernelINS0_14default_configENS1_27scan_by_key_config_selectorIisEEZZNS1_16scan_by_key_implILNS1_25lookback_scan_determinismE0ELb0ES3_N6thrust23THRUST_200600_302600_NS6detail15normal_iteratorINS9_10device_ptrIiEEEENSB_INSC_IsEEEESG_sNS9_4plusIvEENS9_8equal_toIvEEsEE10hipError_tPvRmT2_T3_T4_T5_mT6_T7_P12ihipStream_tbENKUlT_T0_E_clISt17integral_constantIbLb1EES11_EEDaSW_SX_EUlSW_E_NS1_11comp_targetILNS1_3genE0ELNS1_11target_archE4294967295ELNS1_3gpuE0ELNS1_3repE0EEENS1_30default_config_static_selectorELNS0_4arch9wavefront6targetE0EEEvT1_.has_recursion, 0
	.set _ZN7rocprim17ROCPRIM_400000_NS6detail17trampoline_kernelINS0_14default_configENS1_27scan_by_key_config_selectorIisEEZZNS1_16scan_by_key_implILNS1_25lookback_scan_determinismE0ELb0ES3_N6thrust23THRUST_200600_302600_NS6detail15normal_iteratorINS9_10device_ptrIiEEEENSB_INSC_IsEEEESG_sNS9_4plusIvEENS9_8equal_toIvEEsEE10hipError_tPvRmT2_T3_T4_T5_mT6_T7_P12ihipStream_tbENKUlT_T0_E_clISt17integral_constantIbLb1EES11_EEDaSW_SX_EUlSW_E_NS1_11comp_targetILNS1_3genE0ELNS1_11target_archE4294967295ELNS1_3gpuE0ELNS1_3repE0EEENS1_30default_config_static_selectorELNS0_4arch9wavefront6targetE0EEEvT1_.has_indirect_call, 0
	.section	.AMDGPU.csdata,"",@progbits
; Kernel info:
; codeLenInByte = 0
; TotalNumSgprs: 0
; NumVgprs: 0
; ScratchSize: 0
; MemoryBound: 0
; FloatMode: 240
; IeeeMode: 1
; LDSByteSize: 0 bytes/workgroup (compile time only)
; SGPRBlocks: 0
; VGPRBlocks: 0
; NumSGPRsForWavesPerEU: 1
; NumVGPRsForWavesPerEU: 1
; Occupancy: 16
; WaveLimiterHint : 0
; COMPUTE_PGM_RSRC2:SCRATCH_EN: 0
; COMPUTE_PGM_RSRC2:USER_SGPR: 6
; COMPUTE_PGM_RSRC2:TRAP_HANDLER: 0
; COMPUTE_PGM_RSRC2:TGID_X_EN: 1
; COMPUTE_PGM_RSRC2:TGID_Y_EN: 0
; COMPUTE_PGM_RSRC2:TGID_Z_EN: 0
; COMPUTE_PGM_RSRC2:TIDIG_COMP_CNT: 0
	.section	.text._ZN7rocprim17ROCPRIM_400000_NS6detail17trampoline_kernelINS0_14default_configENS1_27scan_by_key_config_selectorIisEEZZNS1_16scan_by_key_implILNS1_25lookback_scan_determinismE0ELb0ES3_N6thrust23THRUST_200600_302600_NS6detail15normal_iteratorINS9_10device_ptrIiEEEENSB_INSC_IsEEEESG_sNS9_4plusIvEENS9_8equal_toIvEEsEE10hipError_tPvRmT2_T3_T4_T5_mT6_T7_P12ihipStream_tbENKUlT_T0_E_clISt17integral_constantIbLb1EES11_EEDaSW_SX_EUlSW_E_NS1_11comp_targetILNS1_3genE10ELNS1_11target_archE1201ELNS1_3gpuE5ELNS1_3repE0EEENS1_30default_config_static_selectorELNS0_4arch9wavefront6targetE0EEEvT1_,"axG",@progbits,_ZN7rocprim17ROCPRIM_400000_NS6detail17trampoline_kernelINS0_14default_configENS1_27scan_by_key_config_selectorIisEEZZNS1_16scan_by_key_implILNS1_25lookback_scan_determinismE0ELb0ES3_N6thrust23THRUST_200600_302600_NS6detail15normal_iteratorINS9_10device_ptrIiEEEENSB_INSC_IsEEEESG_sNS9_4plusIvEENS9_8equal_toIvEEsEE10hipError_tPvRmT2_T3_T4_T5_mT6_T7_P12ihipStream_tbENKUlT_T0_E_clISt17integral_constantIbLb1EES11_EEDaSW_SX_EUlSW_E_NS1_11comp_targetILNS1_3genE10ELNS1_11target_archE1201ELNS1_3gpuE5ELNS1_3repE0EEENS1_30default_config_static_selectorELNS0_4arch9wavefront6targetE0EEEvT1_,comdat
	.protected	_ZN7rocprim17ROCPRIM_400000_NS6detail17trampoline_kernelINS0_14default_configENS1_27scan_by_key_config_selectorIisEEZZNS1_16scan_by_key_implILNS1_25lookback_scan_determinismE0ELb0ES3_N6thrust23THRUST_200600_302600_NS6detail15normal_iteratorINS9_10device_ptrIiEEEENSB_INSC_IsEEEESG_sNS9_4plusIvEENS9_8equal_toIvEEsEE10hipError_tPvRmT2_T3_T4_T5_mT6_T7_P12ihipStream_tbENKUlT_T0_E_clISt17integral_constantIbLb1EES11_EEDaSW_SX_EUlSW_E_NS1_11comp_targetILNS1_3genE10ELNS1_11target_archE1201ELNS1_3gpuE5ELNS1_3repE0EEENS1_30default_config_static_selectorELNS0_4arch9wavefront6targetE0EEEvT1_ ; -- Begin function _ZN7rocprim17ROCPRIM_400000_NS6detail17trampoline_kernelINS0_14default_configENS1_27scan_by_key_config_selectorIisEEZZNS1_16scan_by_key_implILNS1_25lookback_scan_determinismE0ELb0ES3_N6thrust23THRUST_200600_302600_NS6detail15normal_iteratorINS9_10device_ptrIiEEEENSB_INSC_IsEEEESG_sNS9_4plusIvEENS9_8equal_toIvEEsEE10hipError_tPvRmT2_T3_T4_T5_mT6_T7_P12ihipStream_tbENKUlT_T0_E_clISt17integral_constantIbLb1EES11_EEDaSW_SX_EUlSW_E_NS1_11comp_targetILNS1_3genE10ELNS1_11target_archE1201ELNS1_3gpuE5ELNS1_3repE0EEENS1_30default_config_static_selectorELNS0_4arch9wavefront6targetE0EEEvT1_
	.globl	_ZN7rocprim17ROCPRIM_400000_NS6detail17trampoline_kernelINS0_14default_configENS1_27scan_by_key_config_selectorIisEEZZNS1_16scan_by_key_implILNS1_25lookback_scan_determinismE0ELb0ES3_N6thrust23THRUST_200600_302600_NS6detail15normal_iteratorINS9_10device_ptrIiEEEENSB_INSC_IsEEEESG_sNS9_4plusIvEENS9_8equal_toIvEEsEE10hipError_tPvRmT2_T3_T4_T5_mT6_T7_P12ihipStream_tbENKUlT_T0_E_clISt17integral_constantIbLb1EES11_EEDaSW_SX_EUlSW_E_NS1_11comp_targetILNS1_3genE10ELNS1_11target_archE1201ELNS1_3gpuE5ELNS1_3repE0EEENS1_30default_config_static_selectorELNS0_4arch9wavefront6targetE0EEEvT1_
	.p2align	8
	.type	_ZN7rocprim17ROCPRIM_400000_NS6detail17trampoline_kernelINS0_14default_configENS1_27scan_by_key_config_selectorIisEEZZNS1_16scan_by_key_implILNS1_25lookback_scan_determinismE0ELb0ES3_N6thrust23THRUST_200600_302600_NS6detail15normal_iteratorINS9_10device_ptrIiEEEENSB_INSC_IsEEEESG_sNS9_4plusIvEENS9_8equal_toIvEEsEE10hipError_tPvRmT2_T3_T4_T5_mT6_T7_P12ihipStream_tbENKUlT_T0_E_clISt17integral_constantIbLb1EES11_EEDaSW_SX_EUlSW_E_NS1_11comp_targetILNS1_3genE10ELNS1_11target_archE1201ELNS1_3gpuE5ELNS1_3repE0EEENS1_30default_config_static_selectorELNS0_4arch9wavefront6targetE0EEEvT1_,@function
_ZN7rocprim17ROCPRIM_400000_NS6detail17trampoline_kernelINS0_14default_configENS1_27scan_by_key_config_selectorIisEEZZNS1_16scan_by_key_implILNS1_25lookback_scan_determinismE0ELb0ES3_N6thrust23THRUST_200600_302600_NS6detail15normal_iteratorINS9_10device_ptrIiEEEENSB_INSC_IsEEEESG_sNS9_4plusIvEENS9_8equal_toIvEEsEE10hipError_tPvRmT2_T3_T4_T5_mT6_T7_P12ihipStream_tbENKUlT_T0_E_clISt17integral_constantIbLb1EES11_EEDaSW_SX_EUlSW_E_NS1_11comp_targetILNS1_3genE10ELNS1_11target_archE1201ELNS1_3gpuE5ELNS1_3repE0EEENS1_30default_config_static_selectorELNS0_4arch9wavefront6targetE0EEEvT1_: ; @_ZN7rocprim17ROCPRIM_400000_NS6detail17trampoline_kernelINS0_14default_configENS1_27scan_by_key_config_selectorIisEEZZNS1_16scan_by_key_implILNS1_25lookback_scan_determinismE0ELb0ES3_N6thrust23THRUST_200600_302600_NS6detail15normal_iteratorINS9_10device_ptrIiEEEENSB_INSC_IsEEEESG_sNS9_4plusIvEENS9_8equal_toIvEEsEE10hipError_tPvRmT2_T3_T4_T5_mT6_T7_P12ihipStream_tbENKUlT_T0_E_clISt17integral_constantIbLb1EES11_EEDaSW_SX_EUlSW_E_NS1_11comp_targetILNS1_3genE10ELNS1_11target_archE1201ELNS1_3gpuE5ELNS1_3repE0EEENS1_30default_config_static_selectorELNS0_4arch9wavefront6targetE0EEEvT1_
; %bb.0:
	.section	.rodata,"a",@progbits
	.p2align	6, 0x0
	.amdhsa_kernel _ZN7rocprim17ROCPRIM_400000_NS6detail17trampoline_kernelINS0_14default_configENS1_27scan_by_key_config_selectorIisEEZZNS1_16scan_by_key_implILNS1_25lookback_scan_determinismE0ELb0ES3_N6thrust23THRUST_200600_302600_NS6detail15normal_iteratorINS9_10device_ptrIiEEEENSB_INSC_IsEEEESG_sNS9_4plusIvEENS9_8equal_toIvEEsEE10hipError_tPvRmT2_T3_T4_T5_mT6_T7_P12ihipStream_tbENKUlT_T0_E_clISt17integral_constantIbLb1EES11_EEDaSW_SX_EUlSW_E_NS1_11comp_targetILNS1_3genE10ELNS1_11target_archE1201ELNS1_3gpuE5ELNS1_3repE0EEENS1_30default_config_static_selectorELNS0_4arch9wavefront6targetE0EEEvT1_
		.amdhsa_group_segment_fixed_size 0
		.amdhsa_private_segment_fixed_size 0
		.amdhsa_kernarg_size 112
		.amdhsa_user_sgpr_count 6
		.amdhsa_user_sgpr_private_segment_buffer 1
		.amdhsa_user_sgpr_dispatch_ptr 0
		.amdhsa_user_sgpr_queue_ptr 0
		.amdhsa_user_sgpr_kernarg_segment_ptr 1
		.amdhsa_user_sgpr_dispatch_id 0
		.amdhsa_user_sgpr_flat_scratch_init 0
		.amdhsa_user_sgpr_private_segment_size 0
		.amdhsa_wavefront_size32 1
		.amdhsa_uses_dynamic_stack 0
		.amdhsa_system_sgpr_private_segment_wavefront_offset 0
		.amdhsa_system_sgpr_workgroup_id_x 1
		.amdhsa_system_sgpr_workgroup_id_y 0
		.amdhsa_system_sgpr_workgroup_id_z 0
		.amdhsa_system_sgpr_workgroup_info 0
		.amdhsa_system_vgpr_workitem_id 0
		.amdhsa_next_free_vgpr 1
		.amdhsa_next_free_sgpr 1
		.amdhsa_reserve_vcc 0
		.amdhsa_reserve_flat_scratch 0
		.amdhsa_float_round_mode_32 0
		.amdhsa_float_round_mode_16_64 0
		.amdhsa_float_denorm_mode_32 3
		.amdhsa_float_denorm_mode_16_64 3
		.amdhsa_dx10_clamp 1
		.amdhsa_ieee_mode 1
		.amdhsa_fp16_overflow 0
		.amdhsa_workgroup_processor_mode 1
		.amdhsa_memory_ordered 1
		.amdhsa_forward_progress 1
		.amdhsa_shared_vgpr_count 0
		.amdhsa_exception_fp_ieee_invalid_op 0
		.amdhsa_exception_fp_denorm_src 0
		.amdhsa_exception_fp_ieee_div_zero 0
		.amdhsa_exception_fp_ieee_overflow 0
		.amdhsa_exception_fp_ieee_underflow 0
		.amdhsa_exception_fp_ieee_inexact 0
		.amdhsa_exception_int_div_zero 0
	.end_amdhsa_kernel
	.section	.text._ZN7rocprim17ROCPRIM_400000_NS6detail17trampoline_kernelINS0_14default_configENS1_27scan_by_key_config_selectorIisEEZZNS1_16scan_by_key_implILNS1_25lookback_scan_determinismE0ELb0ES3_N6thrust23THRUST_200600_302600_NS6detail15normal_iteratorINS9_10device_ptrIiEEEENSB_INSC_IsEEEESG_sNS9_4plusIvEENS9_8equal_toIvEEsEE10hipError_tPvRmT2_T3_T4_T5_mT6_T7_P12ihipStream_tbENKUlT_T0_E_clISt17integral_constantIbLb1EES11_EEDaSW_SX_EUlSW_E_NS1_11comp_targetILNS1_3genE10ELNS1_11target_archE1201ELNS1_3gpuE5ELNS1_3repE0EEENS1_30default_config_static_selectorELNS0_4arch9wavefront6targetE0EEEvT1_,"axG",@progbits,_ZN7rocprim17ROCPRIM_400000_NS6detail17trampoline_kernelINS0_14default_configENS1_27scan_by_key_config_selectorIisEEZZNS1_16scan_by_key_implILNS1_25lookback_scan_determinismE0ELb0ES3_N6thrust23THRUST_200600_302600_NS6detail15normal_iteratorINS9_10device_ptrIiEEEENSB_INSC_IsEEEESG_sNS9_4plusIvEENS9_8equal_toIvEEsEE10hipError_tPvRmT2_T3_T4_T5_mT6_T7_P12ihipStream_tbENKUlT_T0_E_clISt17integral_constantIbLb1EES11_EEDaSW_SX_EUlSW_E_NS1_11comp_targetILNS1_3genE10ELNS1_11target_archE1201ELNS1_3gpuE5ELNS1_3repE0EEENS1_30default_config_static_selectorELNS0_4arch9wavefront6targetE0EEEvT1_,comdat
.Lfunc_end1363:
	.size	_ZN7rocprim17ROCPRIM_400000_NS6detail17trampoline_kernelINS0_14default_configENS1_27scan_by_key_config_selectorIisEEZZNS1_16scan_by_key_implILNS1_25lookback_scan_determinismE0ELb0ES3_N6thrust23THRUST_200600_302600_NS6detail15normal_iteratorINS9_10device_ptrIiEEEENSB_INSC_IsEEEESG_sNS9_4plusIvEENS9_8equal_toIvEEsEE10hipError_tPvRmT2_T3_T4_T5_mT6_T7_P12ihipStream_tbENKUlT_T0_E_clISt17integral_constantIbLb1EES11_EEDaSW_SX_EUlSW_E_NS1_11comp_targetILNS1_3genE10ELNS1_11target_archE1201ELNS1_3gpuE5ELNS1_3repE0EEENS1_30default_config_static_selectorELNS0_4arch9wavefront6targetE0EEEvT1_, .Lfunc_end1363-_ZN7rocprim17ROCPRIM_400000_NS6detail17trampoline_kernelINS0_14default_configENS1_27scan_by_key_config_selectorIisEEZZNS1_16scan_by_key_implILNS1_25lookback_scan_determinismE0ELb0ES3_N6thrust23THRUST_200600_302600_NS6detail15normal_iteratorINS9_10device_ptrIiEEEENSB_INSC_IsEEEESG_sNS9_4plusIvEENS9_8equal_toIvEEsEE10hipError_tPvRmT2_T3_T4_T5_mT6_T7_P12ihipStream_tbENKUlT_T0_E_clISt17integral_constantIbLb1EES11_EEDaSW_SX_EUlSW_E_NS1_11comp_targetILNS1_3genE10ELNS1_11target_archE1201ELNS1_3gpuE5ELNS1_3repE0EEENS1_30default_config_static_selectorELNS0_4arch9wavefront6targetE0EEEvT1_
                                        ; -- End function
	.set _ZN7rocprim17ROCPRIM_400000_NS6detail17trampoline_kernelINS0_14default_configENS1_27scan_by_key_config_selectorIisEEZZNS1_16scan_by_key_implILNS1_25lookback_scan_determinismE0ELb0ES3_N6thrust23THRUST_200600_302600_NS6detail15normal_iteratorINS9_10device_ptrIiEEEENSB_INSC_IsEEEESG_sNS9_4plusIvEENS9_8equal_toIvEEsEE10hipError_tPvRmT2_T3_T4_T5_mT6_T7_P12ihipStream_tbENKUlT_T0_E_clISt17integral_constantIbLb1EES11_EEDaSW_SX_EUlSW_E_NS1_11comp_targetILNS1_3genE10ELNS1_11target_archE1201ELNS1_3gpuE5ELNS1_3repE0EEENS1_30default_config_static_selectorELNS0_4arch9wavefront6targetE0EEEvT1_.num_vgpr, 0
	.set _ZN7rocprim17ROCPRIM_400000_NS6detail17trampoline_kernelINS0_14default_configENS1_27scan_by_key_config_selectorIisEEZZNS1_16scan_by_key_implILNS1_25lookback_scan_determinismE0ELb0ES3_N6thrust23THRUST_200600_302600_NS6detail15normal_iteratorINS9_10device_ptrIiEEEENSB_INSC_IsEEEESG_sNS9_4plusIvEENS9_8equal_toIvEEsEE10hipError_tPvRmT2_T3_T4_T5_mT6_T7_P12ihipStream_tbENKUlT_T0_E_clISt17integral_constantIbLb1EES11_EEDaSW_SX_EUlSW_E_NS1_11comp_targetILNS1_3genE10ELNS1_11target_archE1201ELNS1_3gpuE5ELNS1_3repE0EEENS1_30default_config_static_selectorELNS0_4arch9wavefront6targetE0EEEvT1_.num_agpr, 0
	.set _ZN7rocprim17ROCPRIM_400000_NS6detail17trampoline_kernelINS0_14default_configENS1_27scan_by_key_config_selectorIisEEZZNS1_16scan_by_key_implILNS1_25lookback_scan_determinismE0ELb0ES3_N6thrust23THRUST_200600_302600_NS6detail15normal_iteratorINS9_10device_ptrIiEEEENSB_INSC_IsEEEESG_sNS9_4plusIvEENS9_8equal_toIvEEsEE10hipError_tPvRmT2_T3_T4_T5_mT6_T7_P12ihipStream_tbENKUlT_T0_E_clISt17integral_constantIbLb1EES11_EEDaSW_SX_EUlSW_E_NS1_11comp_targetILNS1_3genE10ELNS1_11target_archE1201ELNS1_3gpuE5ELNS1_3repE0EEENS1_30default_config_static_selectorELNS0_4arch9wavefront6targetE0EEEvT1_.numbered_sgpr, 0
	.set _ZN7rocprim17ROCPRIM_400000_NS6detail17trampoline_kernelINS0_14default_configENS1_27scan_by_key_config_selectorIisEEZZNS1_16scan_by_key_implILNS1_25lookback_scan_determinismE0ELb0ES3_N6thrust23THRUST_200600_302600_NS6detail15normal_iteratorINS9_10device_ptrIiEEEENSB_INSC_IsEEEESG_sNS9_4plusIvEENS9_8equal_toIvEEsEE10hipError_tPvRmT2_T3_T4_T5_mT6_T7_P12ihipStream_tbENKUlT_T0_E_clISt17integral_constantIbLb1EES11_EEDaSW_SX_EUlSW_E_NS1_11comp_targetILNS1_3genE10ELNS1_11target_archE1201ELNS1_3gpuE5ELNS1_3repE0EEENS1_30default_config_static_selectorELNS0_4arch9wavefront6targetE0EEEvT1_.num_named_barrier, 0
	.set _ZN7rocprim17ROCPRIM_400000_NS6detail17trampoline_kernelINS0_14default_configENS1_27scan_by_key_config_selectorIisEEZZNS1_16scan_by_key_implILNS1_25lookback_scan_determinismE0ELb0ES3_N6thrust23THRUST_200600_302600_NS6detail15normal_iteratorINS9_10device_ptrIiEEEENSB_INSC_IsEEEESG_sNS9_4plusIvEENS9_8equal_toIvEEsEE10hipError_tPvRmT2_T3_T4_T5_mT6_T7_P12ihipStream_tbENKUlT_T0_E_clISt17integral_constantIbLb1EES11_EEDaSW_SX_EUlSW_E_NS1_11comp_targetILNS1_3genE10ELNS1_11target_archE1201ELNS1_3gpuE5ELNS1_3repE0EEENS1_30default_config_static_selectorELNS0_4arch9wavefront6targetE0EEEvT1_.private_seg_size, 0
	.set _ZN7rocprim17ROCPRIM_400000_NS6detail17trampoline_kernelINS0_14default_configENS1_27scan_by_key_config_selectorIisEEZZNS1_16scan_by_key_implILNS1_25lookback_scan_determinismE0ELb0ES3_N6thrust23THRUST_200600_302600_NS6detail15normal_iteratorINS9_10device_ptrIiEEEENSB_INSC_IsEEEESG_sNS9_4plusIvEENS9_8equal_toIvEEsEE10hipError_tPvRmT2_T3_T4_T5_mT6_T7_P12ihipStream_tbENKUlT_T0_E_clISt17integral_constantIbLb1EES11_EEDaSW_SX_EUlSW_E_NS1_11comp_targetILNS1_3genE10ELNS1_11target_archE1201ELNS1_3gpuE5ELNS1_3repE0EEENS1_30default_config_static_selectorELNS0_4arch9wavefront6targetE0EEEvT1_.uses_vcc, 0
	.set _ZN7rocprim17ROCPRIM_400000_NS6detail17trampoline_kernelINS0_14default_configENS1_27scan_by_key_config_selectorIisEEZZNS1_16scan_by_key_implILNS1_25lookback_scan_determinismE0ELb0ES3_N6thrust23THRUST_200600_302600_NS6detail15normal_iteratorINS9_10device_ptrIiEEEENSB_INSC_IsEEEESG_sNS9_4plusIvEENS9_8equal_toIvEEsEE10hipError_tPvRmT2_T3_T4_T5_mT6_T7_P12ihipStream_tbENKUlT_T0_E_clISt17integral_constantIbLb1EES11_EEDaSW_SX_EUlSW_E_NS1_11comp_targetILNS1_3genE10ELNS1_11target_archE1201ELNS1_3gpuE5ELNS1_3repE0EEENS1_30default_config_static_selectorELNS0_4arch9wavefront6targetE0EEEvT1_.uses_flat_scratch, 0
	.set _ZN7rocprim17ROCPRIM_400000_NS6detail17trampoline_kernelINS0_14default_configENS1_27scan_by_key_config_selectorIisEEZZNS1_16scan_by_key_implILNS1_25lookback_scan_determinismE0ELb0ES3_N6thrust23THRUST_200600_302600_NS6detail15normal_iteratorINS9_10device_ptrIiEEEENSB_INSC_IsEEEESG_sNS9_4plusIvEENS9_8equal_toIvEEsEE10hipError_tPvRmT2_T3_T4_T5_mT6_T7_P12ihipStream_tbENKUlT_T0_E_clISt17integral_constantIbLb1EES11_EEDaSW_SX_EUlSW_E_NS1_11comp_targetILNS1_3genE10ELNS1_11target_archE1201ELNS1_3gpuE5ELNS1_3repE0EEENS1_30default_config_static_selectorELNS0_4arch9wavefront6targetE0EEEvT1_.has_dyn_sized_stack, 0
	.set _ZN7rocprim17ROCPRIM_400000_NS6detail17trampoline_kernelINS0_14default_configENS1_27scan_by_key_config_selectorIisEEZZNS1_16scan_by_key_implILNS1_25lookback_scan_determinismE0ELb0ES3_N6thrust23THRUST_200600_302600_NS6detail15normal_iteratorINS9_10device_ptrIiEEEENSB_INSC_IsEEEESG_sNS9_4plusIvEENS9_8equal_toIvEEsEE10hipError_tPvRmT2_T3_T4_T5_mT6_T7_P12ihipStream_tbENKUlT_T0_E_clISt17integral_constantIbLb1EES11_EEDaSW_SX_EUlSW_E_NS1_11comp_targetILNS1_3genE10ELNS1_11target_archE1201ELNS1_3gpuE5ELNS1_3repE0EEENS1_30default_config_static_selectorELNS0_4arch9wavefront6targetE0EEEvT1_.has_recursion, 0
	.set _ZN7rocprim17ROCPRIM_400000_NS6detail17trampoline_kernelINS0_14default_configENS1_27scan_by_key_config_selectorIisEEZZNS1_16scan_by_key_implILNS1_25lookback_scan_determinismE0ELb0ES3_N6thrust23THRUST_200600_302600_NS6detail15normal_iteratorINS9_10device_ptrIiEEEENSB_INSC_IsEEEESG_sNS9_4plusIvEENS9_8equal_toIvEEsEE10hipError_tPvRmT2_T3_T4_T5_mT6_T7_P12ihipStream_tbENKUlT_T0_E_clISt17integral_constantIbLb1EES11_EEDaSW_SX_EUlSW_E_NS1_11comp_targetILNS1_3genE10ELNS1_11target_archE1201ELNS1_3gpuE5ELNS1_3repE0EEENS1_30default_config_static_selectorELNS0_4arch9wavefront6targetE0EEEvT1_.has_indirect_call, 0
	.section	.AMDGPU.csdata,"",@progbits
; Kernel info:
; codeLenInByte = 0
; TotalNumSgprs: 0
; NumVgprs: 0
; ScratchSize: 0
; MemoryBound: 0
; FloatMode: 240
; IeeeMode: 1
; LDSByteSize: 0 bytes/workgroup (compile time only)
; SGPRBlocks: 0
; VGPRBlocks: 0
; NumSGPRsForWavesPerEU: 1
; NumVGPRsForWavesPerEU: 1
; Occupancy: 16
; WaveLimiterHint : 0
; COMPUTE_PGM_RSRC2:SCRATCH_EN: 0
; COMPUTE_PGM_RSRC2:USER_SGPR: 6
; COMPUTE_PGM_RSRC2:TRAP_HANDLER: 0
; COMPUTE_PGM_RSRC2:TGID_X_EN: 1
; COMPUTE_PGM_RSRC2:TGID_Y_EN: 0
; COMPUTE_PGM_RSRC2:TGID_Z_EN: 0
; COMPUTE_PGM_RSRC2:TIDIG_COMP_CNT: 0
	.section	.text._ZN7rocprim17ROCPRIM_400000_NS6detail17trampoline_kernelINS0_14default_configENS1_27scan_by_key_config_selectorIisEEZZNS1_16scan_by_key_implILNS1_25lookback_scan_determinismE0ELb0ES3_N6thrust23THRUST_200600_302600_NS6detail15normal_iteratorINS9_10device_ptrIiEEEENSB_INSC_IsEEEESG_sNS9_4plusIvEENS9_8equal_toIvEEsEE10hipError_tPvRmT2_T3_T4_T5_mT6_T7_P12ihipStream_tbENKUlT_T0_E_clISt17integral_constantIbLb1EES11_EEDaSW_SX_EUlSW_E_NS1_11comp_targetILNS1_3genE5ELNS1_11target_archE942ELNS1_3gpuE9ELNS1_3repE0EEENS1_30default_config_static_selectorELNS0_4arch9wavefront6targetE0EEEvT1_,"axG",@progbits,_ZN7rocprim17ROCPRIM_400000_NS6detail17trampoline_kernelINS0_14default_configENS1_27scan_by_key_config_selectorIisEEZZNS1_16scan_by_key_implILNS1_25lookback_scan_determinismE0ELb0ES3_N6thrust23THRUST_200600_302600_NS6detail15normal_iteratorINS9_10device_ptrIiEEEENSB_INSC_IsEEEESG_sNS9_4plusIvEENS9_8equal_toIvEEsEE10hipError_tPvRmT2_T3_T4_T5_mT6_T7_P12ihipStream_tbENKUlT_T0_E_clISt17integral_constantIbLb1EES11_EEDaSW_SX_EUlSW_E_NS1_11comp_targetILNS1_3genE5ELNS1_11target_archE942ELNS1_3gpuE9ELNS1_3repE0EEENS1_30default_config_static_selectorELNS0_4arch9wavefront6targetE0EEEvT1_,comdat
	.protected	_ZN7rocprim17ROCPRIM_400000_NS6detail17trampoline_kernelINS0_14default_configENS1_27scan_by_key_config_selectorIisEEZZNS1_16scan_by_key_implILNS1_25lookback_scan_determinismE0ELb0ES3_N6thrust23THRUST_200600_302600_NS6detail15normal_iteratorINS9_10device_ptrIiEEEENSB_INSC_IsEEEESG_sNS9_4plusIvEENS9_8equal_toIvEEsEE10hipError_tPvRmT2_T3_T4_T5_mT6_T7_P12ihipStream_tbENKUlT_T0_E_clISt17integral_constantIbLb1EES11_EEDaSW_SX_EUlSW_E_NS1_11comp_targetILNS1_3genE5ELNS1_11target_archE942ELNS1_3gpuE9ELNS1_3repE0EEENS1_30default_config_static_selectorELNS0_4arch9wavefront6targetE0EEEvT1_ ; -- Begin function _ZN7rocprim17ROCPRIM_400000_NS6detail17trampoline_kernelINS0_14default_configENS1_27scan_by_key_config_selectorIisEEZZNS1_16scan_by_key_implILNS1_25lookback_scan_determinismE0ELb0ES3_N6thrust23THRUST_200600_302600_NS6detail15normal_iteratorINS9_10device_ptrIiEEEENSB_INSC_IsEEEESG_sNS9_4plusIvEENS9_8equal_toIvEEsEE10hipError_tPvRmT2_T3_T4_T5_mT6_T7_P12ihipStream_tbENKUlT_T0_E_clISt17integral_constantIbLb1EES11_EEDaSW_SX_EUlSW_E_NS1_11comp_targetILNS1_3genE5ELNS1_11target_archE942ELNS1_3gpuE9ELNS1_3repE0EEENS1_30default_config_static_selectorELNS0_4arch9wavefront6targetE0EEEvT1_
	.globl	_ZN7rocprim17ROCPRIM_400000_NS6detail17trampoline_kernelINS0_14default_configENS1_27scan_by_key_config_selectorIisEEZZNS1_16scan_by_key_implILNS1_25lookback_scan_determinismE0ELb0ES3_N6thrust23THRUST_200600_302600_NS6detail15normal_iteratorINS9_10device_ptrIiEEEENSB_INSC_IsEEEESG_sNS9_4plusIvEENS9_8equal_toIvEEsEE10hipError_tPvRmT2_T3_T4_T5_mT6_T7_P12ihipStream_tbENKUlT_T0_E_clISt17integral_constantIbLb1EES11_EEDaSW_SX_EUlSW_E_NS1_11comp_targetILNS1_3genE5ELNS1_11target_archE942ELNS1_3gpuE9ELNS1_3repE0EEENS1_30default_config_static_selectorELNS0_4arch9wavefront6targetE0EEEvT1_
	.p2align	8
	.type	_ZN7rocprim17ROCPRIM_400000_NS6detail17trampoline_kernelINS0_14default_configENS1_27scan_by_key_config_selectorIisEEZZNS1_16scan_by_key_implILNS1_25lookback_scan_determinismE0ELb0ES3_N6thrust23THRUST_200600_302600_NS6detail15normal_iteratorINS9_10device_ptrIiEEEENSB_INSC_IsEEEESG_sNS9_4plusIvEENS9_8equal_toIvEEsEE10hipError_tPvRmT2_T3_T4_T5_mT6_T7_P12ihipStream_tbENKUlT_T0_E_clISt17integral_constantIbLb1EES11_EEDaSW_SX_EUlSW_E_NS1_11comp_targetILNS1_3genE5ELNS1_11target_archE942ELNS1_3gpuE9ELNS1_3repE0EEENS1_30default_config_static_selectorELNS0_4arch9wavefront6targetE0EEEvT1_,@function
_ZN7rocprim17ROCPRIM_400000_NS6detail17trampoline_kernelINS0_14default_configENS1_27scan_by_key_config_selectorIisEEZZNS1_16scan_by_key_implILNS1_25lookback_scan_determinismE0ELb0ES3_N6thrust23THRUST_200600_302600_NS6detail15normal_iteratorINS9_10device_ptrIiEEEENSB_INSC_IsEEEESG_sNS9_4plusIvEENS9_8equal_toIvEEsEE10hipError_tPvRmT2_T3_T4_T5_mT6_T7_P12ihipStream_tbENKUlT_T0_E_clISt17integral_constantIbLb1EES11_EEDaSW_SX_EUlSW_E_NS1_11comp_targetILNS1_3genE5ELNS1_11target_archE942ELNS1_3gpuE9ELNS1_3repE0EEENS1_30default_config_static_selectorELNS0_4arch9wavefront6targetE0EEEvT1_: ; @_ZN7rocprim17ROCPRIM_400000_NS6detail17trampoline_kernelINS0_14default_configENS1_27scan_by_key_config_selectorIisEEZZNS1_16scan_by_key_implILNS1_25lookback_scan_determinismE0ELb0ES3_N6thrust23THRUST_200600_302600_NS6detail15normal_iteratorINS9_10device_ptrIiEEEENSB_INSC_IsEEEESG_sNS9_4plusIvEENS9_8equal_toIvEEsEE10hipError_tPvRmT2_T3_T4_T5_mT6_T7_P12ihipStream_tbENKUlT_T0_E_clISt17integral_constantIbLb1EES11_EEDaSW_SX_EUlSW_E_NS1_11comp_targetILNS1_3genE5ELNS1_11target_archE942ELNS1_3gpuE9ELNS1_3repE0EEENS1_30default_config_static_selectorELNS0_4arch9wavefront6targetE0EEEvT1_
; %bb.0:
	.section	.rodata,"a",@progbits
	.p2align	6, 0x0
	.amdhsa_kernel _ZN7rocprim17ROCPRIM_400000_NS6detail17trampoline_kernelINS0_14default_configENS1_27scan_by_key_config_selectorIisEEZZNS1_16scan_by_key_implILNS1_25lookback_scan_determinismE0ELb0ES3_N6thrust23THRUST_200600_302600_NS6detail15normal_iteratorINS9_10device_ptrIiEEEENSB_INSC_IsEEEESG_sNS9_4plusIvEENS9_8equal_toIvEEsEE10hipError_tPvRmT2_T3_T4_T5_mT6_T7_P12ihipStream_tbENKUlT_T0_E_clISt17integral_constantIbLb1EES11_EEDaSW_SX_EUlSW_E_NS1_11comp_targetILNS1_3genE5ELNS1_11target_archE942ELNS1_3gpuE9ELNS1_3repE0EEENS1_30default_config_static_selectorELNS0_4arch9wavefront6targetE0EEEvT1_
		.amdhsa_group_segment_fixed_size 0
		.amdhsa_private_segment_fixed_size 0
		.amdhsa_kernarg_size 112
		.amdhsa_user_sgpr_count 6
		.amdhsa_user_sgpr_private_segment_buffer 1
		.amdhsa_user_sgpr_dispatch_ptr 0
		.amdhsa_user_sgpr_queue_ptr 0
		.amdhsa_user_sgpr_kernarg_segment_ptr 1
		.amdhsa_user_sgpr_dispatch_id 0
		.amdhsa_user_sgpr_flat_scratch_init 0
		.amdhsa_user_sgpr_private_segment_size 0
		.amdhsa_wavefront_size32 1
		.amdhsa_uses_dynamic_stack 0
		.amdhsa_system_sgpr_private_segment_wavefront_offset 0
		.amdhsa_system_sgpr_workgroup_id_x 1
		.amdhsa_system_sgpr_workgroup_id_y 0
		.amdhsa_system_sgpr_workgroup_id_z 0
		.amdhsa_system_sgpr_workgroup_info 0
		.amdhsa_system_vgpr_workitem_id 0
		.amdhsa_next_free_vgpr 1
		.amdhsa_next_free_sgpr 1
		.amdhsa_reserve_vcc 0
		.amdhsa_reserve_flat_scratch 0
		.amdhsa_float_round_mode_32 0
		.amdhsa_float_round_mode_16_64 0
		.amdhsa_float_denorm_mode_32 3
		.amdhsa_float_denorm_mode_16_64 3
		.amdhsa_dx10_clamp 1
		.amdhsa_ieee_mode 1
		.amdhsa_fp16_overflow 0
		.amdhsa_workgroup_processor_mode 1
		.amdhsa_memory_ordered 1
		.amdhsa_forward_progress 1
		.amdhsa_shared_vgpr_count 0
		.amdhsa_exception_fp_ieee_invalid_op 0
		.amdhsa_exception_fp_denorm_src 0
		.amdhsa_exception_fp_ieee_div_zero 0
		.amdhsa_exception_fp_ieee_overflow 0
		.amdhsa_exception_fp_ieee_underflow 0
		.amdhsa_exception_fp_ieee_inexact 0
		.amdhsa_exception_int_div_zero 0
	.end_amdhsa_kernel
	.section	.text._ZN7rocprim17ROCPRIM_400000_NS6detail17trampoline_kernelINS0_14default_configENS1_27scan_by_key_config_selectorIisEEZZNS1_16scan_by_key_implILNS1_25lookback_scan_determinismE0ELb0ES3_N6thrust23THRUST_200600_302600_NS6detail15normal_iteratorINS9_10device_ptrIiEEEENSB_INSC_IsEEEESG_sNS9_4plusIvEENS9_8equal_toIvEEsEE10hipError_tPvRmT2_T3_T4_T5_mT6_T7_P12ihipStream_tbENKUlT_T0_E_clISt17integral_constantIbLb1EES11_EEDaSW_SX_EUlSW_E_NS1_11comp_targetILNS1_3genE5ELNS1_11target_archE942ELNS1_3gpuE9ELNS1_3repE0EEENS1_30default_config_static_selectorELNS0_4arch9wavefront6targetE0EEEvT1_,"axG",@progbits,_ZN7rocprim17ROCPRIM_400000_NS6detail17trampoline_kernelINS0_14default_configENS1_27scan_by_key_config_selectorIisEEZZNS1_16scan_by_key_implILNS1_25lookback_scan_determinismE0ELb0ES3_N6thrust23THRUST_200600_302600_NS6detail15normal_iteratorINS9_10device_ptrIiEEEENSB_INSC_IsEEEESG_sNS9_4plusIvEENS9_8equal_toIvEEsEE10hipError_tPvRmT2_T3_T4_T5_mT6_T7_P12ihipStream_tbENKUlT_T0_E_clISt17integral_constantIbLb1EES11_EEDaSW_SX_EUlSW_E_NS1_11comp_targetILNS1_3genE5ELNS1_11target_archE942ELNS1_3gpuE9ELNS1_3repE0EEENS1_30default_config_static_selectorELNS0_4arch9wavefront6targetE0EEEvT1_,comdat
.Lfunc_end1364:
	.size	_ZN7rocprim17ROCPRIM_400000_NS6detail17trampoline_kernelINS0_14default_configENS1_27scan_by_key_config_selectorIisEEZZNS1_16scan_by_key_implILNS1_25lookback_scan_determinismE0ELb0ES3_N6thrust23THRUST_200600_302600_NS6detail15normal_iteratorINS9_10device_ptrIiEEEENSB_INSC_IsEEEESG_sNS9_4plusIvEENS9_8equal_toIvEEsEE10hipError_tPvRmT2_T3_T4_T5_mT6_T7_P12ihipStream_tbENKUlT_T0_E_clISt17integral_constantIbLb1EES11_EEDaSW_SX_EUlSW_E_NS1_11comp_targetILNS1_3genE5ELNS1_11target_archE942ELNS1_3gpuE9ELNS1_3repE0EEENS1_30default_config_static_selectorELNS0_4arch9wavefront6targetE0EEEvT1_, .Lfunc_end1364-_ZN7rocprim17ROCPRIM_400000_NS6detail17trampoline_kernelINS0_14default_configENS1_27scan_by_key_config_selectorIisEEZZNS1_16scan_by_key_implILNS1_25lookback_scan_determinismE0ELb0ES3_N6thrust23THRUST_200600_302600_NS6detail15normal_iteratorINS9_10device_ptrIiEEEENSB_INSC_IsEEEESG_sNS9_4plusIvEENS9_8equal_toIvEEsEE10hipError_tPvRmT2_T3_T4_T5_mT6_T7_P12ihipStream_tbENKUlT_T0_E_clISt17integral_constantIbLb1EES11_EEDaSW_SX_EUlSW_E_NS1_11comp_targetILNS1_3genE5ELNS1_11target_archE942ELNS1_3gpuE9ELNS1_3repE0EEENS1_30default_config_static_selectorELNS0_4arch9wavefront6targetE0EEEvT1_
                                        ; -- End function
	.set _ZN7rocprim17ROCPRIM_400000_NS6detail17trampoline_kernelINS0_14default_configENS1_27scan_by_key_config_selectorIisEEZZNS1_16scan_by_key_implILNS1_25lookback_scan_determinismE0ELb0ES3_N6thrust23THRUST_200600_302600_NS6detail15normal_iteratorINS9_10device_ptrIiEEEENSB_INSC_IsEEEESG_sNS9_4plusIvEENS9_8equal_toIvEEsEE10hipError_tPvRmT2_T3_T4_T5_mT6_T7_P12ihipStream_tbENKUlT_T0_E_clISt17integral_constantIbLb1EES11_EEDaSW_SX_EUlSW_E_NS1_11comp_targetILNS1_3genE5ELNS1_11target_archE942ELNS1_3gpuE9ELNS1_3repE0EEENS1_30default_config_static_selectorELNS0_4arch9wavefront6targetE0EEEvT1_.num_vgpr, 0
	.set _ZN7rocprim17ROCPRIM_400000_NS6detail17trampoline_kernelINS0_14default_configENS1_27scan_by_key_config_selectorIisEEZZNS1_16scan_by_key_implILNS1_25lookback_scan_determinismE0ELb0ES3_N6thrust23THRUST_200600_302600_NS6detail15normal_iteratorINS9_10device_ptrIiEEEENSB_INSC_IsEEEESG_sNS9_4plusIvEENS9_8equal_toIvEEsEE10hipError_tPvRmT2_T3_T4_T5_mT6_T7_P12ihipStream_tbENKUlT_T0_E_clISt17integral_constantIbLb1EES11_EEDaSW_SX_EUlSW_E_NS1_11comp_targetILNS1_3genE5ELNS1_11target_archE942ELNS1_3gpuE9ELNS1_3repE0EEENS1_30default_config_static_selectorELNS0_4arch9wavefront6targetE0EEEvT1_.num_agpr, 0
	.set _ZN7rocprim17ROCPRIM_400000_NS6detail17trampoline_kernelINS0_14default_configENS1_27scan_by_key_config_selectorIisEEZZNS1_16scan_by_key_implILNS1_25lookback_scan_determinismE0ELb0ES3_N6thrust23THRUST_200600_302600_NS6detail15normal_iteratorINS9_10device_ptrIiEEEENSB_INSC_IsEEEESG_sNS9_4plusIvEENS9_8equal_toIvEEsEE10hipError_tPvRmT2_T3_T4_T5_mT6_T7_P12ihipStream_tbENKUlT_T0_E_clISt17integral_constantIbLb1EES11_EEDaSW_SX_EUlSW_E_NS1_11comp_targetILNS1_3genE5ELNS1_11target_archE942ELNS1_3gpuE9ELNS1_3repE0EEENS1_30default_config_static_selectorELNS0_4arch9wavefront6targetE0EEEvT1_.numbered_sgpr, 0
	.set _ZN7rocprim17ROCPRIM_400000_NS6detail17trampoline_kernelINS0_14default_configENS1_27scan_by_key_config_selectorIisEEZZNS1_16scan_by_key_implILNS1_25lookback_scan_determinismE0ELb0ES3_N6thrust23THRUST_200600_302600_NS6detail15normal_iteratorINS9_10device_ptrIiEEEENSB_INSC_IsEEEESG_sNS9_4plusIvEENS9_8equal_toIvEEsEE10hipError_tPvRmT2_T3_T4_T5_mT6_T7_P12ihipStream_tbENKUlT_T0_E_clISt17integral_constantIbLb1EES11_EEDaSW_SX_EUlSW_E_NS1_11comp_targetILNS1_3genE5ELNS1_11target_archE942ELNS1_3gpuE9ELNS1_3repE0EEENS1_30default_config_static_selectorELNS0_4arch9wavefront6targetE0EEEvT1_.num_named_barrier, 0
	.set _ZN7rocprim17ROCPRIM_400000_NS6detail17trampoline_kernelINS0_14default_configENS1_27scan_by_key_config_selectorIisEEZZNS1_16scan_by_key_implILNS1_25lookback_scan_determinismE0ELb0ES3_N6thrust23THRUST_200600_302600_NS6detail15normal_iteratorINS9_10device_ptrIiEEEENSB_INSC_IsEEEESG_sNS9_4plusIvEENS9_8equal_toIvEEsEE10hipError_tPvRmT2_T3_T4_T5_mT6_T7_P12ihipStream_tbENKUlT_T0_E_clISt17integral_constantIbLb1EES11_EEDaSW_SX_EUlSW_E_NS1_11comp_targetILNS1_3genE5ELNS1_11target_archE942ELNS1_3gpuE9ELNS1_3repE0EEENS1_30default_config_static_selectorELNS0_4arch9wavefront6targetE0EEEvT1_.private_seg_size, 0
	.set _ZN7rocprim17ROCPRIM_400000_NS6detail17trampoline_kernelINS0_14default_configENS1_27scan_by_key_config_selectorIisEEZZNS1_16scan_by_key_implILNS1_25lookback_scan_determinismE0ELb0ES3_N6thrust23THRUST_200600_302600_NS6detail15normal_iteratorINS9_10device_ptrIiEEEENSB_INSC_IsEEEESG_sNS9_4plusIvEENS9_8equal_toIvEEsEE10hipError_tPvRmT2_T3_T4_T5_mT6_T7_P12ihipStream_tbENKUlT_T0_E_clISt17integral_constantIbLb1EES11_EEDaSW_SX_EUlSW_E_NS1_11comp_targetILNS1_3genE5ELNS1_11target_archE942ELNS1_3gpuE9ELNS1_3repE0EEENS1_30default_config_static_selectorELNS0_4arch9wavefront6targetE0EEEvT1_.uses_vcc, 0
	.set _ZN7rocprim17ROCPRIM_400000_NS6detail17trampoline_kernelINS0_14default_configENS1_27scan_by_key_config_selectorIisEEZZNS1_16scan_by_key_implILNS1_25lookback_scan_determinismE0ELb0ES3_N6thrust23THRUST_200600_302600_NS6detail15normal_iteratorINS9_10device_ptrIiEEEENSB_INSC_IsEEEESG_sNS9_4plusIvEENS9_8equal_toIvEEsEE10hipError_tPvRmT2_T3_T4_T5_mT6_T7_P12ihipStream_tbENKUlT_T0_E_clISt17integral_constantIbLb1EES11_EEDaSW_SX_EUlSW_E_NS1_11comp_targetILNS1_3genE5ELNS1_11target_archE942ELNS1_3gpuE9ELNS1_3repE0EEENS1_30default_config_static_selectorELNS0_4arch9wavefront6targetE0EEEvT1_.uses_flat_scratch, 0
	.set _ZN7rocprim17ROCPRIM_400000_NS6detail17trampoline_kernelINS0_14default_configENS1_27scan_by_key_config_selectorIisEEZZNS1_16scan_by_key_implILNS1_25lookback_scan_determinismE0ELb0ES3_N6thrust23THRUST_200600_302600_NS6detail15normal_iteratorINS9_10device_ptrIiEEEENSB_INSC_IsEEEESG_sNS9_4plusIvEENS9_8equal_toIvEEsEE10hipError_tPvRmT2_T3_T4_T5_mT6_T7_P12ihipStream_tbENKUlT_T0_E_clISt17integral_constantIbLb1EES11_EEDaSW_SX_EUlSW_E_NS1_11comp_targetILNS1_3genE5ELNS1_11target_archE942ELNS1_3gpuE9ELNS1_3repE0EEENS1_30default_config_static_selectorELNS0_4arch9wavefront6targetE0EEEvT1_.has_dyn_sized_stack, 0
	.set _ZN7rocprim17ROCPRIM_400000_NS6detail17trampoline_kernelINS0_14default_configENS1_27scan_by_key_config_selectorIisEEZZNS1_16scan_by_key_implILNS1_25lookback_scan_determinismE0ELb0ES3_N6thrust23THRUST_200600_302600_NS6detail15normal_iteratorINS9_10device_ptrIiEEEENSB_INSC_IsEEEESG_sNS9_4plusIvEENS9_8equal_toIvEEsEE10hipError_tPvRmT2_T3_T4_T5_mT6_T7_P12ihipStream_tbENKUlT_T0_E_clISt17integral_constantIbLb1EES11_EEDaSW_SX_EUlSW_E_NS1_11comp_targetILNS1_3genE5ELNS1_11target_archE942ELNS1_3gpuE9ELNS1_3repE0EEENS1_30default_config_static_selectorELNS0_4arch9wavefront6targetE0EEEvT1_.has_recursion, 0
	.set _ZN7rocprim17ROCPRIM_400000_NS6detail17trampoline_kernelINS0_14default_configENS1_27scan_by_key_config_selectorIisEEZZNS1_16scan_by_key_implILNS1_25lookback_scan_determinismE0ELb0ES3_N6thrust23THRUST_200600_302600_NS6detail15normal_iteratorINS9_10device_ptrIiEEEENSB_INSC_IsEEEESG_sNS9_4plusIvEENS9_8equal_toIvEEsEE10hipError_tPvRmT2_T3_T4_T5_mT6_T7_P12ihipStream_tbENKUlT_T0_E_clISt17integral_constantIbLb1EES11_EEDaSW_SX_EUlSW_E_NS1_11comp_targetILNS1_3genE5ELNS1_11target_archE942ELNS1_3gpuE9ELNS1_3repE0EEENS1_30default_config_static_selectorELNS0_4arch9wavefront6targetE0EEEvT1_.has_indirect_call, 0
	.section	.AMDGPU.csdata,"",@progbits
; Kernel info:
; codeLenInByte = 0
; TotalNumSgprs: 0
; NumVgprs: 0
; ScratchSize: 0
; MemoryBound: 0
; FloatMode: 240
; IeeeMode: 1
; LDSByteSize: 0 bytes/workgroup (compile time only)
; SGPRBlocks: 0
; VGPRBlocks: 0
; NumSGPRsForWavesPerEU: 1
; NumVGPRsForWavesPerEU: 1
; Occupancy: 16
; WaveLimiterHint : 0
; COMPUTE_PGM_RSRC2:SCRATCH_EN: 0
; COMPUTE_PGM_RSRC2:USER_SGPR: 6
; COMPUTE_PGM_RSRC2:TRAP_HANDLER: 0
; COMPUTE_PGM_RSRC2:TGID_X_EN: 1
; COMPUTE_PGM_RSRC2:TGID_Y_EN: 0
; COMPUTE_PGM_RSRC2:TGID_Z_EN: 0
; COMPUTE_PGM_RSRC2:TIDIG_COMP_CNT: 0
	.section	.text._ZN7rocprim17ROCPRIM_400000_NS6detail17trampoline_kernelINS0_14default_configENS1_27scan_by_key_config_selectorIisEEZZNS1_16scan_by_key_implILNS1_25lookback_scan_determinismE0ELb0ES3_N6thrust23THRUST_200600_302600_NS6detail15normal_iteratorINS9_10device_ptrIiEEEENSB_INSC_IsEEEESG_sNS9_4plusIvEENS9_8equal_toIvEEsEE10hipError_tPvRmT2_T3_T4_T5_mT6_T7_P12ihipStream_tbENKUlT_T0_E_clISt17integral_constantIbLb1EES11_EEDaSW_SX_EUlSW_E_NS1_11comp_targetILNS1_3genE4ELNS1_11target_archE910ELNS1_3gpuE8ELNS1_3repE0EEENS1_30default_config_static_selectorELNS0_4arch9wavefront6targetE0EEEvT1_,"axG",@progbits,_ZN7rocprim17ROCPRIM_400000_NS6detail17trampoline_kernelINS0_14default_configENS1_27scan_by_key_config_selectorIisEEZZNS1_16scan_by_key_implILNS1_25lookback_scan_determinismE0ELb0ES3_N6thrust23THRUST_200600_302600_NS6detail15normal_iteratorINS9_10device_ptrIiEEEENSB_INSC_IsEEEESG_sNS9_4plusIvEENS9_8equal_toIvEEsEE10hipError_tPvRmT2_T3_T4_T5_mT6_T7_P12ihipStream_tbENKUlT_T0_E_clISt17integral_constantIbLb1EES11_EEDaSW_SX_EUlSW_E_NS1_11comp_targetILNS1_3genE4ELNS1_11target_archE910ELNS1_3gpuE8ELNS1_3repE0EEENS1_30default_config_static_selectorELNS0_4arch9wavefront6targetE0EEEvT1_,comdat
	.protected	_ZN7rocprim17ROCPRIM_400000_NS6detail17trampoline_kernelINS0_14default_configENS1_27scan_by_key_config_selectorIisEEZZNS1_16scan_by_key_implILNS1_25lookback_scan_determinismE0ELb0ES3_N6thrust23THRUST_200600_302600_NS6detail15normal_iteratorINS9_10device_ptrIiEEEENSB_INSC_IsEEEESG_sNS9_4plusIvEENS9_8equal_toIvEEsEE10hipError_tPvRmT2_T3_T4_T5_mT6_T7_P12ihipStream_tbENKUlT_T0_E_clISt17integral_constantIbLb1EES11_EEDaSW_SX_EUlSW_E_NS1_11comp_targetILNS1_3genE4ELNS1_11target_archE910ELNS1_3gpuE8ELNS1_3repE0EEENS1_30default_config_static_selectorELNS0_4arch9wavefront6targetE0EEEvT1_ ; -- Begin function _ZN7rocprim17ROCPRIM_400000_NS6detail17trampoline_kernelINS0_14default_configENS1_27scan_by_key_config_selectorIisEEZZNS1_16scan_by_key_implILNS1_25lookback_scan_determinismE0ELb0ES3_N6thrust23THRUST_200600_302600_NS6detail15normal_iteratorINS9_10device_ptrIiEEEENSB_INSC_IsEEEESG_sNS9_4plusIvEENS9_8equal_toIvEEsEE10hipError_tPvRmT2_T3_T4_T5_mT6_T7_P12ihipStream_tbENKUlT_T0_E_clISt17integral_constantIbLb1EES11_EEDaSW_SX_EUlSW_E_NS1_11comp_targetILNS1_3genE4ELNS1_11target_archE910ELNS1_3gpuE8ELNS1_3repE0EEENS1_30default_config_static_selectorELNS0_4arch9wavefront6targetE0EEEvT1_
	.globl	_ZN7rocprim17ROCPRIM_400000_NS6detail17trampoline_kernelINS0_14default_configENS1_27scan_by_key_config_selectorIisEEZZNS1_16scan_by_key_implILNS1_25lookback_scan_determinismE0ELb0ES3_N6thrust23THRUST_200600_302600_NS6detail15normal_iteratorINS9_10device_ptrIiEEEENSB_INSC_IsEEEESG_sNS9_4plusIvEENS9_8equal_toIvEEsEE10hipError_tPvRmT2_T3_T4_T5_mT6_T7_P12ihipStream_tbENKUlT_T0_E_clISt17integral_constantIbLb1EES11_EEDaSW_SX_EUlSW_E_NS1_11comp_targetILNS1_3genE4ELNS1_11target_archE910ELNS1_3gpuE8ELNS1_3repE0EEENS1_30default_config_static_selectorELNS0_4arch9wavefront6targetE0EEEvT1_
	.p2align	8
	.type	_ZN7rocprim17ROCPRIM_400000_NS6detail17trampoline_kernelINS0_14default_configENS1_27scan_by_key_config_selectorIisEEZZNS1_16scan_by_key_implILNS1_25lookback_scan_determinismE0ELb0ES3_N6thrust23THRUST_200600_302600_NS6detail15normal_iteratorINS9_10device_ptrIiEEEENSB_INSC_IsEEEESG_sNS9_4plusIvEENS9_8equal_toIvEEsEE10hipError_tPvRmT2_T3_T4_T5_mT6_T7_P12ihipStream_tbENKUlT_T0_E_clISt17integral_constantIbLb1EES11_EEDaSW_SX_EUlSW_E_NS1_11comp_targetILNS1_3genE4ELNS1_11target_archE910ELNS1_3gpuE8ELNS1_3repE0EEENS1_30default_config_static_selectorELNS0_4arch9wavefront6targetE0EEEvT1_,@function
_ZN7rocprim17ROCPRIM_400000_NS6detail17trampoline_kernelINS0_14default_configENS1_27scan_by_key_config_selectorIisEEZZNS1_16scan_by_key_implILNS1_25lookback_scan_determinismE0ELb0ES3_N6thrust23THRUST_200600_302600_NS6detail15normal_iteratorINS9_10device_ptrIiEEEENSB_INSC_IsEEEESG_sNS9_4plusIvEENS9_8equal_toIvEEsEE10hipError_tPvRmT2_T3_T4_T5_mT6_T7_P12ihipStream_tbENKUlT_T0_E_clISt17integral_constantIbLb1EES11_EEDaSW_SX_EUlSW_E_NS1_11comp_targetILNS1_3genE4ELNS1_11target_archE910ELNS1_3gpuE8ELNS1_3repE0EEENS1_30default_config_static_selectorELNS0_4arch9wavefront6targetE0EEEvT1_: ; @_ZN7rocprim17ROCPRIM_400000_NS6detail17trampoline_kernelINS0_14default_configENS1_27scan_by_key_config_selectorIisEEZZNS1_16scan_by_key_implILNS1_25lookback_scan_determinismE0ELb0ES3_N6thrust23THRUST_200600_302600_NS6detail15normal_iteratorINS9_10device_ptrIiEEEENSB_INSC_IsEEEESG_sNS9_4plusIvEENS9_8equal_toIvEEsEE10hipError_tPvRmT2_T3_T4_T5_mT6_T7_P12ihipStream_tbENKUlT_T0_E_clISt17integral_constantIbLb1EES11_EEDaSW_SX_EUlSW_E_NS1_11comp_targetILNS1_3genE4ELNS1_11target_archE910ELNS1_3gpuE8ELNS1_3repE0EEENS1_30default_config_static_selectorELNS0_4arch9wavefront6targetE0EEEvT1_
; %bb.0:
	.section	.rodata,"a",@progbits
	.p2align	6, 0x0
	.amdhsa_kernel _ZN7rocprim17ROCPRIM_400000_NS6detail17trampoline_kernelINS0_14default_configENS1_27scan_by_key_config_selectorIisEEZZNS1_16scan_by_key_implILNS1_25lookback_scan_determinismE0ELb0ES3_N6thrust23THRUST_200600_302600_NS6detail15normal_iteratorINS9_10device_ptrIiEEEENSB_INSC_IsEEEESG_sNS9_4plusIvEENS9_8equal_toIvEEsEE10hipError_tPvRmT2_T3_T4_T5_mT6_T7_P12ihipStream_tbENKUlT_T0_E_clISt17integral_constantIbLb1EES11_EEDaSW_SX_EUlSW_E_NS1_11comp_targetILNS1_3genE4ELNS1_11target_archE910ELNS1_3gpuE8ELNS1_3repE0EEENS1_30default_config_static_selectorELNS0_4arch9wavefront6targetE0EEEvT1_
		.amdhsa_group_segment_fixed_size 0
		.amdhsa_private_segment_fixed_size 0
		.amdhsa_kernarg_size 112
		.amdhsa_user_sgpr_count 6
		.amdhsa_user_sgpr_private_segment_buffer 1
		.amdhsa_user_sgpr_dispatch_ptr 0
		.amdhsa_user_sgpr_queue_ptr 0
		.amdhsa_user_sgpr_kernarg_segment_ptr 1
		.amdhsa_user_sgpr_dispatch_id 0
		.amdhsa_user_sgpr_flat_scratch_init 0
		.amdhsa_user_sgpr_private_segment_size 0
		.amdhsa_wavefront_size32 1
		.amdhsa_uses_dynamic_stack 0
		.amdhsa_system_sgpr_private_segment_wavefront_offset 0
		.amdhsa_system_sgpr_workgroup_id_x 1
		.amdhsa_system_sgpr_workgroup_id_y 0
		.amdhsa_system_sgpr_workgroup_id_z 0
		.amdhsa_system_sgpr_workgroup_info 0
		.amdhsa_system_vgpr_workitem_id 0
		.amdhsa_next_free_vgpr 1
		.amdhsa_next_free_sgpr 1
		.amdhsa_reserve_vcc 0
		.amdhsa_reserve_flat_scratch 0
		.amdhsa_float_round_mode_32 0
		.amdhsa_float_round_mode_16_64 0
		.amdhsa_float_denorm_mode_32 3
		.amdhsa_float_denorm_mode_16_64 3
		.amdhsa_dx10_clamp 1
		.amdhsa_ieee_mode 1
		.amdhsa_fp16_overflow 0
		.amdhsa_workgroup_processor_mode 1
		.amdhsa_memory_ordered 1
		.amdhsa_forward_progress 1
		.amdhsa_shared_vgpr_count 0
		.amdhsa_exception_fp_ieee_invalid_op 0
		.amdhsa_exception_fp_denorm_src 0
		.amdhsa_exception_fp_ieee_div_zero 0
		.amdhsa_exception_fp_ieee_overflow 0
		.amdhsa_exception_fp_ieee_underflow 0
		.amdhsa_exception_fp_ieee_inexact 0
		.amdhsa_exception_int_div_zero 0
	.end_amdhsa_kernel
	.section	.text._ZN7rocprim17ROCPRIM_400000_NS6detail17trampoline_kernelINS0_14default_configENS1_27scan_by_key_config_selectorIisEEZZNS1_16scan_by_key_implILNS1_25lookback_scan_determinismE0ELb0ES3_N6thrust23THRUST_200600_302600_NS6detail15normal_iteratorINS9_10device_ptrIiEEEENSB_INSC_IsEEEESG_sNS9_4plusIvEENS9_8equal_toIvEEsEE10hipError_tPvRmT2_T3_T4_T5_mT6_T7_P12ihipStream_tbENKUlT_T0_E_clISt17integral_constantIbLb1EES11_EEDaSW_SX_EUlSW_E_NS1_11comp_targetILNS1_3genE4ELNS1_11target_archE910ELNS1_3gpuE8ELNS1_3repE0EEENS1_30default_config_static_selectorELNS0_4arch9wavefront6targetE0EEEvT1_,"axG",@progbits,_ZN7rocprim17ROCPRIM_400000_NS6detail17trampoline_kernelINS0_14default_configENS1_27scan_by_key_config_selectorIisEEZZNS1_16scan_by_key_implILNS1_25lookback_scan_determinismE0ELb0ES3_N6thrust23THRUST_200600_302600_NS6detail15normal_iteratorINS9_10device_ptrIiEEEENSB_INSC_IsEEEESG_sNS9_4plusIvEENS9_8equal_toIvEEsEE10hipError_tPvRmT2_T3_T4_T5_mT6_T7_P12ihipStream_tbENKUlT_T0_E_clISt17integral_constantIbLb1EES11_EEDaSW_SX_EUlSW_E_NS1_11comp_targetILNS1_3genE4ELNS1_11target_archE910ELNS1_3gpuE8ELNS1_3repE0EEENS1_30default_config_static_selectorELNS0_4arch9wavefront6targetE0EEEvT1_,comdat
.Lfunc_end1365:
	.size	_ZN7rocprim17ROCPRIM_400000_NS6detail17trampoline_kernelINS0_14default_configENS1_27scan_by_key_config_selectorIisEEZZNS1_16scan_by_key_implILNS1_25lookback_scan_determinismE0ELb0ES3_N6thrust23THRUST_200600_302600_NS6detail15normal_iteratorINS9_10device_ptrIiEEEENSB_INSC_IsEEEESG_sNS9_4plusIvEENS9_8equal_toIvEEsEE10hipError_tPvRmT2_T3_T4_T5_mT6_T7_P12ihipStream_tbENKUlT_T0_E_clISt17integral_constantIbLb1EES11_EEDaSW_SX_EUlSW_E_NS1_11comp_targetILNS1_3genE4ELNS1_11target_archE910ELNS1_3gpuE8ELNS1_3repE0EEENS1_30default_config_static_selectorELNS0_4arch9wavefront6targetE0EEEvT1_, .Lfunc_end1365-_ZN7rocprim17ROCPRIM_400000_NS6detail17trampoline_kernelINS0_14default_configENS1_27scan_by_key_config_selectorIisEEZZNS1_16scan_by_key_implILNS1_25lookback_scan_determinismE0ELb0ES3_N6thrust23THRUST_200600_302600_NS6detail15normal_iteratorINS9_10device_ptrIiEEEENSB_INSC_IsEEEESG_sNS9_4plusIvEENS9_8equal_toIvEEsEE10hipError_tPvRmT2_T3_T4_T5_mT6_T7_P12ihipStream_tbENKUlT_T0_E_clISt17integral_constantIbLb1EES11_EEDaSW_SX_EUlSW_E_NS1_11comp_targetILNS1_3genE4ELNS1_11target_archE910ELNS1_3gpuE8ELNS1_3repE0EEENS1_30default_config_static_selectorELNS0_4arch9wavefront6targetE0EEEvT1_
                                        ; -- End function
	.set _ZN7rocprim17ROCPRIM_400000_NS6detail17trampoline_kernelINS0_14default_configENS1_27scan_by_key_config_selectorIisEEZZNS1_16scan_by_key_implILNS1_25lookback_scan_determinismE0ELb0ES3_N6thrust23THRUST_200600_302600_NS6detail15normal_iteratorINS9_10device_ptrIiEEEENSB_INSC_IsEEEESG_sNS9_4plusIvEENS9_8equal_toIvEEsEE10hipError_tPvRmT2_T3_T4_T5_mT6_T7_P12ihipStream_tbENKUlT_T0_E_clISt17integral_constantIbLb1EES11_EEDaSW_SX_EUlSW_E_NS1_11comp_targetILNS1_3genE4ELNS1_11target_archE910ELNS1_3gpuE8ELNS1_3repE0EEENS1_30default_config_static_selectorELNS0_4arch9wavefront6targetE0EEEvT1_.num_vgpr, 0
	.set _ZN7rocprim17ROCPRIM_400000_NS6detail17trampoline_kernelINS0_14default_configENS1_27scan_by_key_config_selectorIisEEZZNS1_16scan_by_key_implILNS1_25lookback_scan_determinismE0ELb0ES3_N6thrust23THRUST_200600_302600_NS6detail15normal_iteratorINS9_10device_ptrIiEEEENSB_INSC_IsEEEESG_sNS9_4plusIvEENS9_8equal_toIvEEsEE10hipError_tPvRmT2_T3_T4_T5_mT6_T7_P12ihipStream_tbENKUlT_T0_E_clISt17integral_constantIbLb1EES11_EEDaSW_SX_EUlSW_E_NS1_11comp_targetILNS1_3genE4ELNS1_11target_archE910ELNS1_3gpuE8ELNS1_3repE0EEENS1_30default_config_static_selectorELNS0_4arch9wavefront6targetE0EEEvT1_.num_agpr, 0
	.set _ZN7rocprim17ROCPRIM_400000_NS6detail17trampoline_kernelINS0_14default_configENS1_27scan_by_key_config_selectorIisEEZZNS1_16scan_by_key_implILNS1_25lookback_scan_determinismE0ELb0ES3_N6thrust23THRUST_200600_302600_NS6detail15normal_iteratorINS9_10device_ptrIiEEEENSB_INSC_IsEEEESG_sNS9_4plusIvEENS9_8equal_toIvEEsEE10hipError_tPvRmT2_T3_T4_T5_mT6_T7_P12ihipStream_tbENKUlT_T0_E_clISt17integral_constantIbLb1EES11_EEDaSW_SX_EUlSW_E_NS1_11comp_targetILNS1_3genE4ELNS1_11target_archE910ELNS1_3gpuE8ELNS1_3repE0EEENS1_30default_config_static_selectorELNS0_4arch9wavefront6targetE0EEEvT1_.numbered_sgpr, 0
	.set _ZN7rocprim17ROCPRIM_400000_NS6detail17trampoline_kernelINS0_14default_configENS1_27scan_by_key_config_selectorIisEEZZNS1_16scan_by_key_implILNS1_25lookback_scan_determinismE0ELb0ES3_N6thrust23THRUST_200600_302600_NS6detail15normal_iteratorINS9_10device_ptrIiEEEENSB_INSC_IsEEEESG_sNS9_4plusIvEENS9_8equal_toIvEEsEE10hipError_tPvRmT2_T3_T4_T5_mT6_T7_P12ihipStream_tbENKUlT_T0_E_clISt17integral_constantIbLb1EES11_EEDaSW_SX_EUlSW_E_NS1_11comp_targetILNS1_3genE4ELNS1_11target_archE910ELNS1_3gpuE8ELNS1_3repE0EEENS1_30default_config_static_selectorELNS0_4arch9wavefront6targetE0EEEvT1_.num_named_barrier, 0
	.set _ZN7rocprim17ROCPRIM_400000_NS6detail17trampoline_kernelINS0_14default_configENS1_27scan_by_key_config_selectorIisEEZZNS1_16scan_by_key_implILNS1_25lookback_scan_determinismE0ELb0ES3_N6thrust23THRUST_200600_302600_NS6detail15normal_iteratorINS9_10device_ptrIiEEEENSB_INSC_IsEEEESG_sNS9_4plusIvEENS9_8equal_toIvEEsEE10hipError_tPvRmT2_T3_T4_T5_mT6_T7_P12ihipStream_tbENKUlT_T0_E_clISt17integral_constantIbLb1EES11_EEDaSW_SX_EUlSW_E_NS1_11comp_targetILNS1_3genE4ELNS1_11target_archE910ELNS1_3gpuE8ELNS1_3repE0EEENS1_30default_config_static_selectorELNS0_4arch9wavefront6targetE0EEEvT1_.private_seg_size, 0
	.set _ZN7rocprim17ROCPRIM_400000_NS6detail17trampoline_kernelINS0_14default_configENS1_27scan_by_key_config_selectorIisEEZZNS1_16scan_by_key_implILNS1_25lookback_scan_determinismE0ELb0ES3_N6thrust23THRUST_200600_302600_NS6detail15normal_iteratorINS9_10device_ptrIiEEEENSB_INSC_IsEEEESG_sNS9_4plusIvEENS9_8equal_toIvEEsEE10hipError_tPvRmT2_T3_T4_T5_mT6_T7_P12ihipStream_tbENKUlT_T0_E_clISt17integral_constantIbLb1EES11_EEDaSW_SX_EUlSW_E_NS1_11comp_targetILNS1_3genE4ELNS1_11target_archE910ELNS1_3gpuE8ELNS1_3repE0EEENS1_30default_config_static_selectorELNS0_4arch9wavefront6targetE0EEEvT1_.uses_vcc, 0
	.set _ZN7rocprim17ROCPRIM_400000_NS6detail17trampoline_kernelINS0_14default_configENS1_27scan_by_key_config_selectorIisEEZZNS1_16scan_by_key_implILNS1_25lookback_scan_determinismE0ELb0ES3_N6thrust23THRUST_200600_302600_NS6detail15normal_iteratorINS9_10device_ptrIiEEEENSB_INSC_IsEEEESG_sNS9_4plusIvEENS9_8equal_toIvEEsEE10hipError_tPvRmT2_T3_T4_T5_mT6_T7_P12ihipStream_tbENKUlT_T0_E_clISt17integral_constantIbLb1EES11_EEDaSW_SX_EUlSW_E_NS1_11comp_targetILNS1_3genE4ELNS1_11target_archE910ELNS1_3gpuE8ELNS1_3repE0EEENS1_30default_config_static_selectorELNS0_4arch9wavefront6targetE0EEEvT1_.uses_flat_scratch, 0
	.set _ZN7rocprim17ROCPRIM_400000_NS6detail17trampoline_kernelINS0_14default_configENS1_27scan_by_key_config_selectorIisEEZZNS1_16scan_by_key_implILNS1_25lookback_scan_determinismE0ELb0ES3_N6thrust23THRUST_200600_302600_NS6detail15normal_iteratorINS9_10device_ptrIiEEEENSB_INSC_IsEEEESG_sNS9_4plusIvEENS9_8equal_toIvEEsEE10hipError_tPvRmT2_T3_T4_T5_mT6_T7_P12ihipStream_tbENKUlT_T0_E_clISt17integral_constantIbLb1EES11_EEDaSW_SX_EUlSW_E_NS1_11comp_targetILNS1_3genE4ELNS1_11target_archE910ELNS1_3gpuE8ELNS1_3repE0EEENS1_30default_config_static_selectorELNS0_4arch9wavefront6targetE0EEEvT1_.has_dyn_sized_stack, 0
	.set _ZN7rocprim17ROCPRIM_400000_NS6detail17trampoline_kernelINS0_14default_configENS1_27scan_by_key_config_selectorIisEEZZNS1_16scan_by_key_implILNS1_25lookback_scan_determinismE0ELb0ES3_N6thrust23THRUST_200600_302600_NS6detail15normal_iteratorINS9_10device_ptrIiEEEENSB_INSC_IsEEEESG_sNS9_4plusIvEENS9_8equal_toIvEEsEE10hipError_tPvRmT2_T3_T4_T5_mT6_T7_P12ihipStream_tbENKUlT_T0_E_clISt17integral_constantIbLb1EES11_EEDaSW_SX_EUlSW_E_NS1_11comp_targetILNS1_3genE4ELNS1_11target_archE910ELNS1_3gpuE8ELNS1_3repE0EEENS1_30default_config_static_selectorELNS0_4arch9wavefront6targetE0EEEvT1_.has_recursion, 0
	.set _ZN7rocprim17ROCPRIM_400000_NS6detail17trampoline_kernelINS0_14default_configENS1_27scan_by_key_config_selectorIisEEZZNS1_16scan_by_key_implILNS1_25lookback_scan_determinismE0ELb0ES3_N6thrust23THRUST_200600_302600_NS6detail15normal_iteratorINS9_10device_ptrIiEEEENSB_INSC_IsEEEESG_sNS9_4plusIvEENS9_8equal_toIvEEsEE10hipError_tPvRmT2_T3_T4_T5_mT6_T7_P12ihipStream_tbENKUlT_T0_E_clISt17integral_constantIbLb1EES11_EEDaSW_SX_EUlSW_E_NS1_11comp_targetILNS1_3genE4ELNS1_11target_archE910ELNS1_3gpuE8ELNS1_3repE0EEENS1_30default_config_static_selectorELNS0_4arch9wavefront6targetE0EEEvT1_.has_indirect_call, 0
	.section	.AMDGPU.csdata,"",@progbits
; Kernel info:
; codeLenInByte = 0
; TotalNumSgprs: 0
; NumVgprs: 0
; ScratchSize: 0
; MemoryBound: 0
; FloatMode: 240
; IeeeMode: 1
; LDSByteSize: 0 bytes/workgroup (compile time only)
; SGPRBlocks: 0
; VGPRBlocks: 0
; NumSGPRsForWavesPerEU: 1
; NumVGPRsForWavesPerEU: 1
; Occupancy: 16
; WaveLimiterHint : 0
; COMPUTE_PGM_RSRC2:SCRATCH_EN: 0
; COMPUTE_PGM_RSRC2:USER_SGPR: 6
; COMPUTE_PGM_RSRC2:TRAP_HANDLER: 0
; COMPUTE_PGM_RSRC2:TGID_X_EN: 1
; COMPUTE_PGM_RSRC2:TGID_Y_EN: 0
; COMPUTE_PGM_RSRC2:TGID_Z_EN: 0
; COMPUTE_PGM_RSRC2:TIDIG_COMP_CNT: 0
	.section	.text._ZN7rocprim17ROCPRIM_400000_NS6detail17trampoline_kernelINS0_14default_configENS1_27scan_by_key_config_selectorIisEEZZNS1_16scan_by_key_implILNS1_25lookback_scan_determinismE0ELb0ES3_N6thrust23THRUST_200600_302600_NS6detail15normal_iteratorINS9_10device_ptrIiEEEENSB_INSC_IsEEEESG_sNS9_4plusIvEENS9_8equal_toIvEEsEE10hipError_tPvRmT2_T3_T4_T5_mT6_T7_P12ihipStream_tbENKUlT_T0_E_clISt17integral_constantIbLb1EES11_EEDaSW_SX_EUlSW_E_NS1_11comp_targetILNS1_3genE3ELNS1_11target_archE908ELNS1_3gpuE7ELNS1_3repE0EEENS1_30default_config_static_selectorELNS0_4arch9wavefront6targetE0EEEvT1_,"axG",@progbits,_ZN7rocprim17ROCPRIM_400000_NS6detail17trampoline_kernelINS0_14default_configENS1_27scan_by_key_config_selectorIisEEZZNS1_16scan_by_key_implILNS1_25lookback_scan_determinismE0ELb0ES3_N6thrust23THRUST_200600_302600_NS6detail15normal_iteratorINS9_10device_ptrIiEEEENSB_INSC_IsEEEESG_sNS9_4plusIvEENS9_8equal_toIvEEsEE10hipError_tPvRmT2_T3_T4_T5_mT6_T7_P12ihipStream_tbENKUlT_T0_E_clISt17integral_constantIbLb1EES11_EEDaSW_SX_EUlSW_E_NS1_11comp_targetILNS1_3genE3ELNS1_11target_archE908ELNS1_3gpuE7ELNS1_3repE0EEENS1_30default_config_static_selectorELNS0_4arch9wavefront6targetE0EEEvT1_,comdat
	.protected	_ZN7rocprim17ROCPRIM_400000_NS6detail17trampoline_kernelINS0_14default_configENS1_27scan_by_key_config_selectorIisEEZZNS1_16scan_by_key_implILNS1_25lookback_scan_determinismE0ELb0ES3_N6thrust23THRUST_200600_302600_NS6detail15normal_iteratorINS9_10device_ptrIiEEEENSB_INSC_IsEEEESG_sNS9_4plusIvEENS9_8equal_toIvEEsEE10hipError_tPvRmT2_T3_T4_T5_mT6_T7_P12ihipStream_tbENKUlT_T0_E_clISt17integral_constantIbLb1EES11_EEDaSW_SX_EUlSW_E_NS1_11comp_targetILNS1_3genE3ELNS1_11target_archE908ELNS1_3gpuE7ELNS1_3repE0EEENS1_30default_config_static_selectorELNS0_4arch9wavefront6targetE0EEEvT1_ ; -- Begin function _ZN7rocprim17ROCPRIM_400000_NS6detail17trampoline_kernelINS0_14default_configENS1_27scan_by_key_config_selectorIisEEZZNS1_16scan_by_key_implILNS1_25lookback_scan_determinismE0ELb0ES3_N6thrust23THRUST_200600_302600_NS6detail15normal_iteratorINS9_10device_ptrIiEEEENSB_INSC_IsEEEESG_sNS9_4plusIvEENS9_8equal_toIvEEsEE10hipError_tPvRmT2_T3_T4_T5_mT6_T7_P12ihipStream_tbENKUlT_T0_E_clISt17integral_constantIbLb1EES11_EEDaSW_SX_EUlSW_E_NS1_11comp_targetILNS1_3genE3ELNS1_11target_archE908ELNS1_3gpuE7ELNS1_3repE0EEENS1_30default_config_static_selectorELNS0_4arch9wavefront6targetE0EEEvT1_
	.globl	_ZN7rocprim17ROCPRIM_400000_NS6detail17trampoline_kernelINS0_14default_configENS1_27scan_by_key_config_selectorIisEEZZNS1_16scan_by_key_implILNS1_25lookback_scan_determinismE0ELb0ES3_N6thrust23THRUST_200600_302600_NS6detail15normal_iteratorINS9_10device_ptrIiEEEENSB_INSC_IsEEEESG_sNS9_4plusIvEENS9_8equal_toIvEEsEE10hipError_tPvRmT2_T3_T4_T5_mT6_T7_P12ihipStream_tbENKUlT_T0_E_clISt17integral_constantIbLb1EES11_EEDaSW_SX_EUlSW_E_NS1_11comp_targetILNS1_3genE3ELNS1_11target_archE908ELNS1_3gpuE7ELNS1_3repE0EEENS1_30default_config_static_selectorELNS0_4arch9wavefront6targetE0EEEvT1_
	.p2align	8
	.type	_ZN7rocprim17ROCPRIM_400000_NS6detail17trampoline_kernelINS0_14default_configENS1_27scan_by_key_config_selectorIisEEZZNS1_16scan_by_key_implILNS1_25lookback_scan_determinismE0ELb0ES3_N6thrust23THRUST_200600_302600_NS6detail15normal_iteratorINS9_10device_ptrIiEEEENSB_INSC_IsEEEESG_sNS9_4plusIvEENS9_8equal_toIvEEsEE10hipError_tPvRmT2_T3_T4_T5_mT6_T7_P12ihipStream_tbENKUlT_T0_E_clISt17integral_constantIbLb1EES11_EEDaSW_SX_EUlSW_E_NS1_11comp_targetILNS1_3genE3ELNS1_11target_archE908ELNS1_3gpuE7ELNS1_3repE0EEENS1_30default_config_static_selectorELNS0_4arch9wavefront6targetE0EEEvT1_,@function
_ZN7rocprim17ROCPRIM_400000_NS6detail17trampoline_kernelINS0_14default_configENS1_27scan_by_key_config_selectorIisEEZZNS1_16scan_by_key_implILNS1_25lookback_scan_determinismE0ELb0ES3_N6thrust23THRUST_200600_302600_NS6detail15normal_iteratorINS9_10device_ptrIiEEEENSB_INSC_IsEEEESG_sNS9_4plusIvEENS9_8equal_toIvEEsEE10hipError_tPvRmT2_T3_T4_T5_mT6_T7_P12ihipStream_tbENKUlT_T0_E_clISt17integral_constantIbLb1EES11_EEDaSW_SX_EUlSW_E_NS1_11comp_targetILNS1_3genE3ELNS1_11target_archE908ELNS1_3gpuE7ELNS1_3repE0EEENS1_30default_config_static_selectorELNS0_4arch9wavefront6targetE0EEEvT1_: ; @_ZN7rocprim17ROCPRIM_400000_NS6detail17trampoline_kernelINS0_14default_configENS1_27scan_by_key_config_selectorIisEEZZNS1_16scan_by_key_implILNS1_25lookback_scan_determinismE0ELb0ES3_N6thrust23THRUST_200600_302600_NS6detail15normal_iteratorINS9_10device_ptrIiEEEENSB_INSC_IsEEEESG_sNS9_4plusIvEENS9_8equal_toIvEEsEE10hipError_tPvRmT2_T3_T4_T5_mT6_T7_P12ihipStream_tbENKUlT_T0_E_clISt17integral_constantIbLb1EES11_EEDaSW_SX_EUlSW_E_NS1_11comp_targetILNS1_3genE3ELNS1_11target_archE908ELNS1_3gpuE7ELNS1_3repE0EEENS1_30default_config_static_selectorELNS0_4arch9wavefront6targetE0EEEvT1_
; %bb.0:
	.section	.rodata,"a",@progbits
	.p2align	6, 0x0
	.amdhsa_kernel _ZN7rocprim17ROCPRIM_400000_NS6detail17trampoline_kernelINS0_14default_configENS1_27scan_by_key_config_selectorIisEEZZNS1_16scan_by_key_implILNS1_25lookback_scan_determinismE0ELb0ES3_N6thrust23THRUST_200600_302600_NS6detail15normal_iteratorINS9_10device_ptrIiEEEENSB_INSC_IsEEEESG_sNS9_4plusIvEENS9_8equal_toIvEEsEE10hipError_tPvRmT2_T3_T4_T5_mT6_T7_P12ihipStream_tbENKUlT_T0_E_clISt17integral_constantIbLb1EES11_EEDaSW_SX_EUlSW_E_NS1_11comp_targetILNS1_3genE3ELNS1_11target_archE908ELNS1_3gpuE7ELNS1_3repE0EEENS1_30default_config_static_selectorELNS0_4arch9wavefront6targetE0EEEvT1_
		.amdhsa_group_segment_fixed_size 0
		.amdhsa_private_segment_fixed_size 0
		.amdhsa_kernarg_size 112
		.amdhsa_user_sgpr_count 6
		.amdhsa_user_sgpr_private_segment_buffer 1
		.amdhsa_user_sgpr_dispatch_ptr 0
		.amdhsa_user_sgpr_queue_ptr 0
		.amdhsa_user_sgpr_kernarg_segment_ptr 1
		.amdhsa_user_sgpr_dispatch_id 0
		.amdhsa_user_sgpr_flat_scratch_init 0
		.amdhsa_user_sgpr_private_segment_size 0
		.amdhsa_wavefront_size32 1
		.amdhsa_uses_dynamic_stack 0
		.amdhsa_system_sgpr_private_segment_wavefront_offset 0
		.amdhsa_system_sgpr_workgroup_id_x 1
		.amdhsa_system_sgpr_workgroup_id_y 0
		.amdhsa_system_sgpr_workgroup_id_z 0
		.amdhsa_system_sgpr_workgroup_info 0
		.amdhsa_system_vgpr_workitem_id 0
		.amdhsa_next_free_vgpr 1
		.amdhsa_next_free_sgpr 1
		.amdhsa_reserve_vcc 0
		.amdhsa_reserve_flat_scratch 0
		.amdhsa_float_round_mode_32 0
		.amdhsa_float_round_mode_16_64 0
		.amdhsa_float_denorm_mode_32 3
		.amdhsa_float_denorm_mode_16_64 3
		.amdhsa_dx10_clamp 1
		.amdhsa_ieee_mode 1
		.amdhsa_fp16_overflow 0
		.amdhsa_workgroup_processor_mode 1
		.amdhsa_memory_ordered 1
		.amdhsa_forward_progress 1
		.amdhsa_shared_vgpr_count 0
		.amdhsa_exception_fp_ieee_invalid_op 0
		.amdhsa_exception_fp_denorm_src 0
		.amdhsa_exception_fp_ieee_div_zero 0
		.amdhsa_exception_fp_ieee_overflow 0
		.amdhsa_exception_fp_ieee_underflow 0
		.amdhsa_exception_fp_ieee_inexact 0
		.amdhsa_exception_int_div_zero 0
	.end_amdhsa_kernel
	.section	.text._ZN7rocprim17ROCPRIM_400000_NS6detail17trampoline_kernelINS0_14default_configENS1_27scan_by_key_config_selectorIisEEZZNS1_16scan_by_key_implILNS1_25lookback_scan_determinismE0ELb0ES3_N6thrust23THRUST_200600_302600_NS6detail15normal_iteratorINS9_10device_ptrIiEEEENSB_INSC_IsEEEESG_sNS9_4plusIvEENS9_8equal_toIvEEsEE10hipError_tPvRmT2_T3_T4_T5_mT6_T7_P12ihipStream_tbENKUlT_T0_E_clISt17integral_constantIbLb1EES11_EEDaSW_SX_EUlSW_E_NS1_11comp_targetILNS1_3genE3ELNS1_11target_archE908ELNS1_3gpuE7ELNS1_3repE0EEENS1_30default_config_static_selectorELNS0_4arch9wavefront6targetE0EEEvT1_,"axG",@progbits,_ZN7rocprim17ROCPRIM_400000_NS6detail17trampoline_kernelINS0_14default_configENS1_27scan_by_key_config_selectorIisEEZZNS1_16scan_by_key_implILNS1_25lookback_scan_determinismE0ELb0ES3_N6thrust23THRUST_200600_302600_NS6detail15normal_iteratorINS9_10device_ptrIiEEEENSB_INSC_IsEEEESG_sNS9_4plusIvEENS9_8equal_toIvEEsEE10hipError_tPvRmT2_T3_T4_T5_mT6_T7_P12ihipStream_tbENKUlT_T0_E_clISt17integral_constantIbLb1EES11_EEDaSW_SX_EUlSW_E_NS1_11comp_targetILNS1_3genE3ELNS1_11target_archE908ELNS1_3gpuE7ELNS1_3repE0EEENS1_30default_config_static_selectorELNS0_4arch9wavefront6targetE0EEEvT1_,comdat
.Lfunc_end1366:
	.size	_ZN7rocprim17ROCPRIM_400000_NS6detail17trampoline_kernelINS0_14default_configENS1_27scan_by_key_config_selectorIisEEZZNS1_16scan_by_key_implILNS1_25lookback_scan_determinismE0ELb0ES3_N6thrust23THRUST_200600_302600_NS6detail15normal_iteratorINS9_10device_ptrIiEEEENSB_INSC_IsEEEESG_sNS9_4plusIvEENS9_8equal_toIvEEsEE10hipError_tPvRmT2_T3_T4_T5_mT6_T7_P12ihipStream_tbENKUlT_T0_E_clISt17integral_constantIbLb1EES11_EEDaSW_SX_EUlSW_E_NS1_11comp_targetILNS1_3genE3ELNS1_11target_archE908ELNS1_3gpuE7ELNS1_3repE0EEENS1_30default_config_static_selectorELNS0_4arch9wavefront6targetE0EEEvT1_, .Lfunc_end1366-_ZN7rocprim17ROCPRIM_400000_NS6detail17trampoline_kernelINS0_14default_configENS1_27scan_by_key_config_selectorIisEEZZNS1_16scan_by_key_implILNS1_25lookback_scan_determinismE0ELb0ES3_N6thrust23THRUST_200600_302600_NS6detail15normal_iteratorINS9_10device_ptrIiEEEENSB_INSC_IsEEEESG_sNS9_4plusIvEENS9_8equal_toIvEEsEE10hipError_tPvRmT2_T3_T4_T5_mT6_T7_P12ihipStream_tbENKUlT_T0_E_clISt17integral_constantIbLb1EES11_EEDaSW_SX_EUlSW_E_NS1_11comp_targetILNS1_3genE3ELNS1_11target_archE908ELNS1_3gpuE7ELNS1_3repE0EEENS1_30default_config_static_selectorELNS0_4arch9wavefront6targetE0EEEvT1_
                                        ; -- End function
	.set _ZN7rocprim17ROCPRIM_400000_NS6detail17trampoline_kernelINS0_14default_configENS1_27scan_by_key_config_selectorIisEEZZNS1_16scan_by_key_implILNS1_25lookback_scan_determinismE0ELb0ES3_N6thrust23THRUST_200600_302600_NS6detail15normal_iteratorINS9_10device_ptrIiEEEENSB_INSC_IsEEEESG_sNS9_4plusIvEENS9_8equal_toIvEEsEE10hipError_tPvRmT2_T3_T4_T5_mT6_T7_P12ihipStream_tbENKUlT_T0_E_clISt17integral_constantIbLb1EES11_EEDaSW_SX_EUlSW_E_NS1_11comp_targetILNS1_3genE3ELNS1_11target_archE908ELNS1_3gpuE7ELNS1_3repE0EEENS1_30default_config_static_selectorELNS0_4arch9wavefront6targetE0EEEvT1_.num_vgpr, 0
	.set _ZN7rocprim17ROCPRIM_400000_NS6detail17trampoline_kernelINS0_14default_configENS1_27scan_by_key_config_selectorIisEEZZNS1_16scan_by_key_implILNS1_25lookback_scan_determinismE0ELb0ES3_N6thrust23THRUST_200600_302600_NS6detail15normal_iteratorINS9_10device_ptrIiEEEENSB_INSC_IsEEEESG_sNS9_4plusIvEENS9_8equal_toIvEEsEE10hipError_tPvRmT2_T3_T4_T5_mT6_T7_P12ihipStream_tbENKUlT_T0_E_clISt17integral_constantIbLb1EES11_EEDaSW_SX_EUlSW_E_NS1_11comp_targetILNS1_3genE3ELNS1_11target_archE908ELNS1_3gpuE7ELNS1_3repE0EEENS1_30default_config_static_selectorELNS0_4arch9wavefront6targetE0EEEvT1_.num_agpr, 0
	.set _ZN7rocprim17ROCPRIM_400000_NS6detail17trampoline_kernelINS0_14default_configENS1_27scan_by_key_config_selectorIisEEZZNS1_16scan_by_key_implILNS1_25lookback_scan_determinismE0ELb0ES3_N6thrust23THRUST_200600_302600_NS6detail15normal_iteratorINS9_10device_ptrIiEEEENSB_INSC_IsEEEESG_sNS9_4plusIvEENS9_8equal_toIvEEsEE10hipError_tPvRmT2_T3_T4_T5_mT6_T7_P12ihipStream_tbENKUlT_T0_E_clISt17integral_constantIbLb1EES11_EEDaSW_SX_EUlSW_E_NS1_11comp_targetILNS1_3genE3ELNS1_11target_archE908ELNS1_3gpuE7ELNS1_3repE0EEENS1_30default_config_static_selectorELNS0_4arch9wavefront6targetE0EEEvT1_.numbered_sgpr, 0
	.set _ZN7rocprim17ROCPRIM_400000_NS6detail17trampoline_kernelINS0_14default_configENS1_27scan_by_key_config_selectorIisEEZZNS1_16scan_by_key_implILNS1_25lookback_scan_determinismE0ELb0ES3_N6thrust23THRUST_200600_302600_NS6detail15normal_iteratorINS9_10device_ptrIiEEEENSB_INSC_IsEEEESG_sNS9_4plusIvEENS9_8equal_toIvEEsEE10hipError_tPvRmT2_T3_T4_T5_mT6_T7_P12ihipStream_tbENKUlT_T0_E_clISt17integral_constantIbLb1EES11_EEDaSW_SX_EUlSW_E_NS1_11comp_targetILNS1_3genE3ELNS1_11target_archE908ELNS1_3gpuE7ELNS1_3repE0EEENS1_30default_config_static_selectorELNS0_4arch9wavefront6targetE0EEEvT1_.num_named_barrier, 0
	.set _ZN7rocprim17ROCPRIM_400000_NS6detail17trampoline_kernelINS0_14default_configENS1_27scan_by_key_config_selectorIisEEZZNS1_16scan_by_key_implILNS1_25lookback_scan_determinismE0ELb0ES3_N6thrust23THRUST_200600_302600_NS6detail15normal_iteratorINS9_10device_ptrIiEEEENSB_INSC_IsEEEESG_sNS9_4plusIvEENS9_8equal_toIvEEsEE10hipError_tPvRmT2_T3_T4_T5_mT6_T7_P12ihipStream_tbENKUlT_T0_E_clISt17integral_constantIbLb1EES11_EEDaSW_SX_EUlSW_E_NS1_11comp_targetILNS1_3genE3ELNS1_11target_archE908ELNS1_3gpuE7ELNS1_3repE0EEENS1_30default_config_static_selectorELNS0_4arch9wavefront6targetE0EEEvT1_.private_seg_size, 0
	.set _ZN7rocprim17ROCPRIM_400000_NS6detail17trampoline_kernelINS0_14default_configENS1_27scan_by_key_config_selectorIisEEZZNS1_16scan_by_key_implILNS1_25lookback_scan_determinismE0ELb0ES3_N6thrust23THRUST_200600_302600_NS6detail15normal_iteratorINS9_10device_ptrIiEEEENSB_INSC_IsEEEESG_sNS9_4plusIvEENS9_8equal_toIvEEsEE10hipError_tPvRmT2_T3_T4_T5_mT6_T7_P12ihipStream_tbENKUlT_T0_E_clISt17integral_constantIbLb1EES11_EEDaSW_SX_EUlSW_E_NS1_11comp_targetILNS1_3genE3ELNS1_11target_archE908ELNS1_3gpuE7ELNS1_3repE0EEENS1_30default_config_static_selectorELNS0_4arch9wavefront6targetE0EEEvT1_.uses_vcc, 0
	.set _ZN7rocprim17ROCPRIM_400000_NS6detail17trampoline_kernelINS0_14default_configENS1_27scan_by_key_config_selectorIisEEZZNS1_16scan_by_key_implILNS1_25lookback_scan_determinismE0ELb0ES3_N6thrust23THRUST_200600_302600_NS6detail15normal_iteratorINS9_10device_ptrIiEEEENSB_INSC_IsEEEESG_sNS9_4plusIvEENS9_8equal_toIvEEsEE10hipError_tPvRmT2_T3_T4_T5_mT6_T7_P12ihipStream_tbENKUlT_T0_E_clISt17integral_constantIbLb1EES11_EEDaSW_SX_EUlSW_E_NS1_11comp_targetILNS1_3genE3ELNS1_11target_archE908ELNS1_3gpuE7ELNS1_3repE0EEENS1_30default_config_static_selectorELNS0_4arch9wavefront6targetE0EEEvT1_.uses_flat_scratch, 0
	.set _ZN7rocprim17ROCPRIM_400000_NS6detail17trampoline_kernelINS0_14default_configENS1_27scan_by_key_config_selectorIisEEZZNS1_16scan_by_key_implILNS1_25lookback_scan_determinismE0ELb0ES3_N6thrust23THRUST_200600_302600_NS6detail15normal_iteratorINS9_10device_ptrIiEEEENSB_INSC_IsEEEESG_sNS9_4plusIvEENS9_8equal_toIvEEsEE10hipError_tPvRmT2_T3_T4_T5_mT6_T7_P12ihipStream_tbENKUlT_T0_E_clISt17integral_constantIbLb1EES11_EEDaSW_SX_EUlSW_E_NS1_11comp_targetILNS1_3genE3ELNS1_11target_archE908ELNS1_3gpuE7ELNS1_3repE0EEENS1_30default_config_static_selectorELNS0_4arch9wavefront6targetE0EEEvT1_.has_dyn_sized_stack, 0
	.set _ZN7rocprim17ROCPRIM_400000_NS6detail17trampoline_kernelINS0_14default_configENS1_27scan_by_key_config_selectorIisEEZZNS1_16scan_by_key_implILNS1_25lookback_scan_determinismE0ELb0ES3_N6thrust23THRUST_200600_302600_NS6detail15normal_iteratorINS9_10device_ptrIiEEEENSB_INSC_IsEEEESG_sNS9_4plusIvEENS9_8equal_toIvEEsEE10hipError_tPvRmT2_T3_T4_T5_mT6_T7_P12ihipStream_tbENKUlT_T0_E_clISt17integral_constantIbLb1EES11_EEDaSW_SX_EUlSW_E_NS1_11comp_targetILNS1_3genE3ELNS1_11target_archE908ELNS1_3gpuE7ELNS1_3repE0EEENS1_30default_config_static_selectorELNS0_4arch9wavefront6targetE0EEEvT1_.has_recursion, 0
	.set _ZN7rocprim17ROCPRIM_400000_NS6detail17trampoline_kernelINS0_14default_configENS1_27scan_by_key_config_selectorIisEEZZNS1_16scan_by_key_implILNS1_25lookback_scan_determinismE0ELb0ES3_N6thrust23THRUST_200600_302600_NS6detail15normal_iteratorINS9_10device_ptrIiEEEENSB_INSC_IsEEEESG_sNS9_4plusIvEENS9_8equal_toIvEEsEE10hipError_tPvRmT2_T3_T4_T5_mT6_T7_P12ihipStream_tbENKUlT_T0_E_clISt17integral_constantIbLb1EES11_EEDaSW_SX_EUlSW_E_NS1_11comp_targetILNS1_3genE3ELNS1_11target_archE908ELNS1_3gpuE7ELNS1_3repE0EEENS1_30default_config_static_selectorELNS0_4arch9wavefront6targetE0EEEvT1_.has_indirect_call, 0
	.section	.AMDGPU.csdata,"",@progbits
; Kernel info:
; codeLenInByte = 0
; TotalNumSgprs: 0
; NumVgprs: 0
; ScratchSize: 0
; MemoryBound: 0
; FloatMode: 240
; IeeeMode: 1
; LDSByteSize: 0 bytes/workgroup (compile time only)
; SGPRBlocks: 0
; VGPRBlocks: 0
; NumSGPRsForWavesPerEU: 1
; NumVGPRsForWavesPerEU: 1
; Occupancy: 16
; WaveLimiterHint : 0
; COMPUTE_PGM_RSRC2:SCRATCH_EN: 0
; COMPUTE_PGM_RSRC2:USER_SGPR: 6
; COMPUTE_PGM_RSRC2:TRAP_HANDLER: 0
; COMPUTE_PGM_RSRC2:TGID_X_EN: 1
; COMPUTE_PGM_RSRC2:TGID_Y_EN: 0
; COMPUTE_PGM_RSRC2:TGID_Z_EN: 0
; COMPUTE_PGM_RSRC2:TIDIG_COMP_CNT: 0
	.section	.text._ZN7rocprim17ROCPRIM_400000_NS6detail17trampoline_kernelINS0_14default_configENS1_27scan_by_key_config_selectorIisEEZZNS1_16scan_by_key_implILNS1_25lookback_scan_determinismE0ELb0ES3_N6thrust23THRUST_200600_302600_NS6detail15normal_iteratorINS9_10device_ptrIiEEEENSB_INSC_IsEEEESG_sNS9_4plusIvEENS9_8equal_toIvEEsEE10hipError_tPvRmT2_T3_T4_T5_mT6_T7_P12ihipStream_tbENKUlT_T0_E_clISt17integral_constantIbLb1EES11_EEDaSW_SX_EUlSW_E_NS1_11comp_targetILNS1_3genE2ELNS1_11target_archE906ELNS1_3gpuE6ELNS1_3repE0EEENS1_30default_config_static_selectorELNS0_4arch9wavefront6targetE0EEEvT1_,"axG",@progbits,_ZN7rocprim17ROCPRIM_400000_NS6detail17trampoline_kernelINS0_14default_configENS1_27scan_by_key_config_selectorIisEEZZNS1_16scan_by_key_implILNS1_25lookback_scan_determinismE0ELb0ES3_N6thrust23THRUST_200600_302600_NS6detail15normal_iteratorINS9_10device_ptrIiEEEENSB_INSC_IsEEEESG_sNS9_4plusIvEENS9_8equal_toIvEEsEE10hipError_tPvRmT2_T3_T4_T5_mT6_T7_P12ihipStream_tbENKUlT_T0_E_clISt17integral_constantIbLb1EES11_EEDaSW_SX_EUlSW_E_NS1_11comp_targetILNS1_3genE2ELNS1_11target_archE906ELNS1_3gpuE6ELNS1_3repE0EEENS1_30default_config_static_selectorELNS0_4arch9wavefront6targetE0EEEvT1_,comdat
	.protected	_ZN7rocprim17ROCPRIM_400000_NS6detail17trampoline_kernelINS0_14default_configENS1_27scan_by_key_config_selectorIisEEZZNS1_16scan_by_key_implILNS1_25lookback_scan_determinismE0ELb0ES3_N6thrust23THRUST_200600_302600_NS6detail15normal_iteratorINS9_10device_ptrIiEEEENSB_INSC_IsEEEESG_sNS9_4plusIvEENS9_8equal_toIvEEsEE10hipError_tPvRmT2_T3_T4_T5_mT6_T7_P12ihipStream_tbENKUlT_T0_E_clISt17integral_constantIbLb1EES11_EEDaSW_SX_EUlSW_E_NS1_11comp_targetILNS1_3genE2ELNS1_11target_archE906ELNS1_3gpuE6ELNS1_3repE0EEENS1_30default_config_static_selectorELNS0_4arch9wavefront6targetE0EEEvT1_ ; -- Begin function _ZN7rocprim17ROCPRIM_400000_NS6detail17trampoline_kernelINS0_14default_configENS1_27scan_by_key_config_selectorIisEEZZNS1_16scan_by_key_implILNS1_25lookback_scan_determinismE0ELb0ES3_N6thrust23THRUST_200600_302600_NS6detail15normal_iteratorINS9_10device_ptrIiEEEENSB_INSC_IsEEEESG_sNS9_4plusIvEENS9_8equal_toIvEEsEE10hipError_tPvRmT2_T3_T4_T5_mT6_T7_P12ihipStream_tbENKUlT_T0_E_clISt17integral_constantIbLb1EES11_EEDaSW_SX_EUlSW_E_NS1_11comp_targetILNS1_3genE2ELNS1_11target_archE906ELNS1_3gpuE6ELNS1_3repE0EEENS1_30default_config_static_selectorELNS0_4arch9wavefront6targetE0EEEvT1_
	.globl	_ZN7rocprim17ROCPRIM_400000_NS6detail17trampoline_kernelINS0_14default_configENS1_27scan_by_key_config_selectorIisEEZZNS1_16scan_by_key_implILNS1_25lookback_scan_determinismE0ELb0ES3_N6thrust23THRUST_200600_302600_NS6detail15normal_iteratorINS9_10device_ptrIiEEEENSB_INSC_IsEEEESG_sNS9_4plusIvEENS9_8equal_toIvEEsEE10hipError_tPvRmT2_T3_T4_T5_mT6_T7_P12ihipStream_tbENKUlT_T0_E_clISt17integral_constantIbLb1EES11_EEDaSW_SX_EUlSW_E_NS1_11comp_targetILNS1_3genE2ELNS1_11target_archE906ELNS1_3gpuE6ELNS1_3repE0EEENS1_30default_config_static_selectorELNS0_4arch9wavefront6targetE0EEEvT1_
	.p2align	8
	.type	_ZN7rocprim17ROCPRIM_400000_NS6detail17trampoline_kernelINS0_14default_configENS1_27scan_by_key_config_selectorIisEEZZNS1_16scan_by_key_implILNS1_25lookback_scan_determinismE0ELb0ES3_N6thrust23THRUST_200600_302600_NS6detail15normal_iteratorINS9_10device_ptrIiEEEENSB_INSC_IsEEEESG_sNS9_4plusIvEENS9_8equal_toIvEEsEE10hipError_tPvRmT2_T3_T4_T5_mT6_T7_P12ihipStream_tbENKUlT_T0_E_clISt17integral_constantIbLb1EES11_EEDaSW_SX_EUlSW_E_NS1_11comp_targetILNS1_3genE2ELNS1_11target_archE906ELNS1_3gpuE6ELNS1_3repE0EEENS1_30default_config_static_selectorELNS0_4arch9wavefront6targetE0EEEvT1_,@function
_ZN7rocprim17ROCPRIM_400000_NS6detail17trampoline_kernelINS0_14default_configENS1_27scan_by_key_config_selectorIisEEZZNS1_16scan_by_key_implILNS1_25lookback_scan_determinismE0ELb0ES3_N6thrust23THRUST_200600_302600_NS6detail15normal_iteratorINS9_10device_ptrIiEEEENSB_INSC_IsEEEESG_sNS9_4plusIvEENS9_8equal_toIvEEsEE10hipError_tPvRmT2_T3_T4_T5_mT6_T7_P12ihipStream_tbENKUlT_T0_E_clISt17integral_constantIbLb1EES11_EEDaSW_SX_EUlSW_E_NS1_11comp_targetILNS1_3genE2ELNS1_11target_archE906ELNS1_3gpuE6ELNS1_3repE0EEENS1_30default_config_static_selectorELNS0_4arch9wavefront6targetE0EEEvT1_: ; @_ZN7rocprim17ROCPRIM_400000_NS6detail17trampoline_kernelINS0_14default_configENS1_27scan_by_key_config_selectorIisEEZZNS1_16scan_by_key_implILNS1_25lookback_scan_determinismE0ELb0ES3_N6thrust23THRUST_200600_302600_NS6detail15normal_iteratorINS9_10device_ptrIiEEEENSB_INSC_IsEEEESG_sNS9_4plusIvEENS9_8equal_toIvEEsEE10hipError_tPvRmT2_T3_T4_T5_mT6_T7_P12ihipStream_tbENKUlT_T0_E_clISt17integral_constantIbLb1EES11_EEDaSW_SX_EUlSW_E_NS1_11comp_targetILNS1_3genE2ELNS1_11target_archE906ELNS1_3gpuE6ELNS1_3repE0EEENS1_30default_config_static_selectorELNS0_4arch9wavefront6targetE0EEEvT1_
; %bb.0:
	.section	.rodata,"a",@progbits
	.p2align	6, 0x0
	.amdhsa_kernel _ZN7rocprim17ROCPRIM_400000_NS6detail17trampoline_kernelINS0_14default_configENS1_27scan_by_key_config_selectorIisEEZZNS1_16scan_by_key_implILNS1_25lookback_scan_determinismE0ELb0ES3_N6thrust23THRUST_200600_302600_NS6detail15normal_iteratorINS9_10device_ptrIiEEEENSB_INSC_IsEEEESG_sNS9_4plusIvEENS9_8equal_toIvEEsEE10hipError_tPvRmT2_T3_T4_T5_mT6_T7_P12ihipStream_tbENKUlT_T0_E_clISt17integral_constantIbLb1EES11_EEDaSW_SX_EUlSW_E_NS1_11comp_targetILNS1_3genE2ELNS1_11target_archE906ELNS1_3gpuE6ELNS1_3repE0EEENS1_30default_config_static_selectorELNS0_4arch9wavefront6targetE0EEEvT1_
		.amdhsa_group_segment_fixed_size 0
		.amdhsa_private_segment_fixed_size 0
		.amdhsa_kernarg_size 112
		.amdhsa_user_sgpr_count 6
		.amdhsa_user_sgpr_private_segment_buffer 1
		.amdhsa_user_sgpr_dispatch_ptr 0
		.amdhsa_user_sgpr_queue_ptr 0
		.amdhsa_user_sgpr_kernarg_segment_ptr 1
		.amdhsa_user_sgpr_dispatch_id 0
		.amdhsa_user_sgpr_flat_scratch_init 0
		.amdhsa_user_sgpr_private_segment_size 0
		.amdhsa_wavefront_size32 1
		.amdhsa_uses_dynamic_stack 0
		.amdhsa_system_sgpr_private_segment_wavefront_offset 0
		.amdhsa_system_sgpr_workgroup_id_x 1
		.amdhsa_system_sgpr_workgroup_id_y 0
		.amdhsa_system_sgpr_workgroup_id_z 0
		.amdhsa_system_sgpr_workgroup_info 0
		.amdhsa_system_vgpr_workitem_id 0
		.amdhsa_next_free_vgpr 1
		.amdhsa_next_free_sgpr 1
		.amdhsa_reserve_vcc 0
		.amdhsa_reserve_flat_scratch 0
		.amdhsa_float_round_mode_32 0
		.amdhsa_float_round_mode_16_64 0
		.amdhsa_float_denorm_mode_32 3
		.amdhsa_float_denorm_mode_16_64 3
		.amdhsa_dx10_clamp 1
		.amdhsa_ieee_mode 1
		.amdhsa_fp16_overflow 0
		.amdhsa_workgroup_processor_mode 1
		.amdhsa_memory_ordered 1
		.amdhsa_forward_progress 1
		.amdhsa_shared_vgpr_count 0
		.amdhsa_exception_fp_ieee_invalid_op 0
		.amdhsa_exception_fp_denorm_src 0
		.amdhsa_exception_fp_ieee_div_zero 0
		.amdhsa_exception_fp_ieee_overflow 0
		.amdhsa_exception_fp_ieee_underflow 0
		.amdhsa_exception_fp_ieee_inexact 0
		.amdhsa_exception_int_div_zero 0
	.end_amdhsa_kernel
	.section	.text._ZN7rocprim17ROCPRIM_400000_NS6detail17trampoline_kernelINS0_14default_configENS1_27scan_by_key_config_selectorIisEEZZNS1_16scan_by_key_implILNS1_25lookback_scan_determinismE0ELb0ES3_N6thrust23THRUST_200600_302600_NS6detail15normal_iteratorINS9_10device_ptrIiEEEENSB_INSC_IsEEEESG_sNS9_4plusIvEENS9_8equal_toIvEEsEE10hipError_tPvRmT2_T3_T4_T5_mT6_T7_P12ihipStream_tbENKUlT_T0_E_clISt17integral_constantIbLb1EES11_EEDaSW_SX_EUlSW_E_NS1_11comp_targetILNS1_3genE2ELNS1_11target_archE906ELNS1_3gpuE6ELNS1_3repE0EEENS1_30default_config_static_selectorELNS0_4arch9wavefront6targetE0EEEvT1_,"axG",@progbits,_ZN7rocprim17ROCPRIM_400000_NS6detail17trampoline_kernelINS0_14default_configENS1_27scan_by_key_config_selectorIisEEZZNS1_16scan_by_key_implILNS1_25lookback_scan_determinismE0ELb0ES3_N6thrust23THRUST_200600_302600_NS6detail15normal_iteratorINS9_10device_ptrIiEEEENSB_INSC_IsEEEESG_sNS9_4plusIvEENS9_8equal_toIvEEsEE10hipError_tPvRmT2_T3_T4_T5_mT6_T7_P12ihipStream_tbENKUlT_T0_E_clISt17integral_constantIbLb1EES11_EEDaSW_SX_EUlSW_E_NS1_11comp_targetILNS1_3genE2ELNS1_11target_archE906ELNS1_3gpuE6ELNS1_3repE0EEENS1_30default_config_static_selectorELNS0_4arch9wavefront6targetE0EEEvT1_,comdat
.Lfunc_end1367:
	.size	_ZN7rocprim17ROCPRIM_400000_NS6detail17trampoline_kernelINS0_14default_configENS1_27scan_by_key_config_selectorIisEEZZNS1_16scan_by_key_implILNS1_25lookback_scan_determinismE0ELb0ES3_N6thrust23THRUST_200600_302600_NS6detail15normal_iteratorINS9_10device_ptrIiEEEENSB_INSC_IsEEEESG_sNS9_4plusIvEENS9_8equal_toIvEEsEE10hipError_tPvRmT2_T3_T4_T5_mT6_T7_P12ihipStream_tbENKUlT_T0_E_clISt17integral_constantIbLb1EES11_EEDaSW_SX_EUlSW_E_NS1_11comp_targetILNS1_3genE2ELNS1_11target_archE906ELNS1_3gpuE6ELNS1_3repE0EEENS1_30default_config_static_selectorELNS0_4arch9wavefront6targetE0EEEvT1_, .Lfunc_end1367-_ZN7rocprim17ROCPRIM_400000_NS6detail17trampoline_kernelINS0_14default_configENS1_27scan_by_key_config_selectorIisEEZZNS1_16scan_by_key_implILNS1_25lookback_scan_determinismE0ELb0ES3_N6thrust23THRUST_200600_302600_NS6detail15normal_iteratorINS9_10device_ptrIiEEEENSB_INSC_IsEEEESG_sNS9_4plusIvEENS9_8equal_toIvEEsEE10hipError_tPvRmT2_T3_T4_T5_mT6_T7_P12ihipStream_tbENKUlT_T0_E_clISt17integral_constantIbLb1EES11_EEDaSW_SX_EUlSW_E_NS1_11comp_targetILNS1_3genE2ELNS1_11target_archE906ELNS1_3gpuE6ELNS1_3repE0EEENS1_30default_config_static_selectorELNS0_4arch9wavefront6targetE0EEEvT1_
                                        ; -- End function
	.set _ZN7rocprim17ROCPRIM_400000_NS6detail17trampoline_kernelINS0_14default_configENS1_27scan_by_key_config_selectorIisEEZZNS1_16scan_by_key_implILNS1_25lookback_scan_determinismE0ELb0ES3_N6thrust23THRUST_200600_302600_NS6detail15normal_iteratorINS9_10device_ptrIiEEEENSB_INSC_IsEEEESG_sNS9_4plusIvEENS9_8equal_toIvEEsEE10hipError_tPvRmT2_T3_T4_T5_mT6_T7_P12ihipStream_tbENKUlT_T0_E_clISt17integral_constantIbLb1EES11_EEDaSW_SX_EUlSW_E_NS1_11comp_targetILNS1_3genE2ELNS1_11target_archE906ELNS1_3gpuE6ELNS1_3repE0EEENS1_30default_config_static_selectorELNS0_4arch9wavefront6targetE0EEEvT1_.num_vgpr, 0
	.set _ZN7rocprim17ROCPRIM_400000_NS6detail17trampoline_kernelINS0_14default_configENS1_27scan_by_key_config_selectorIisEEZZNS1_16scan_by_key_implILNS1_25lookback_scan_determinismE0ELb0ES3_N6thrust23THRUST_200600_302600_NS6detail15normal_iteratorINS9_10device_ptrIiEEEENSB_INSC_IsEEEESG_sNS9_4plusIvEENS9_8equal_toIvEEsEE10hipError_tPvRmT2_T3_T4_T5_mT6_T7_P12ihipStream_tbENKUlT_T0_E_clISt17integral_constantIbLb1EES11_EEDaSW_SX_EUlSW_E_NS1_11comp_targetILNS1_3genE2ELNS1_11target_archE906ELNS1_3gpuE6ELNS1_3repE0EEENS1_30default_config_static_selectorELNS0_4arch9wavefront6targetE0EEEvT1_.num_agpr, 0
	.set _ZN7rocprim17ROCPRIM_400000_NS6detail17trampoline_kernelINS0_14default_configENS1_27scan_by_key_config_selectorIisEEZZNS1_16scan_by_key_implILNS1_25lookback_scan_determinismE0ELb0ES3_N6thrust23THRUST_200600_302600_NS6detail15normal_iteratorINS9_10device_ptrIiEEEENSB_INSC_IsEEEESG_sNS9_4plusIvEENS9_8equal_toIvEEsEE10hipError_tPvRmT2_T3_T4_T5_mT6_T7_P12ihipStream_tbENKUlT_T0_E_clISt17integral_constantIbLb1EES11_EEDaSW_SX_EUlSW_E_NS1_11comp_targetILNS1_3genE2ELNS1_11target_archE906ELNS1_3gpuE6ELNS1_3repE0EEENS1_30default_config_static_selectorELNS0_4arch9wavefront6targetE0EEEvT1_.numbered_sgpr, 0
	.set _ZN7rocprim17ROCPRIM_400000_NS6detail17trampoline_kernelINS0_14default_configENS1_27scan_by_key_config_selectorIisEEZZNS1_16scan_by_key_implILNS1_25lookback_scan_determinismE0ELb0ES3_N6thrust23THRUST_200600_302600_NS6detail15normal_iteratorINS9_10device_ptrIiEEEENSB_INSC_IsEEEESG_sNS9_4plusIvEENS9_8equal_toIvEEsEE10hipError_tPvRmT2_T3_T4_T5_mT6_T7_P12ihipStream_tbENKUlT_T0_E_clISt17integral_constantIbLb1EES11_EEDaSW_SX_EUlSW_E_NS1_11comp_targetILNS1_3genE2ELNS1_11target_archE906ELNS1_3gpuE6ELNS1_3repE0EEENS1_30default_config_static_selectorELNS0_4arch9wavefront6targetE0EEEvT1_.num_named_barrier, 0
	.set _ZN7rocprim17ROCPRIM_400000_NS6detail17trampoline_kernelINS0_14default_configENS1_27scan_by_key_config_selectorIisEEZZNS1_16scan_by_key_implILNS1_25lookback_scan_determinismE0ELb0ES3_N6thrust23THRUST_200600_302600_NS6detail15normal_iteratorINS9_10device_ptrIiEEEENSB_INSC_IsEEEESG_sNS9_4plusIvEENS9_8equal_toIvEEsEE10hipError_tPvRmT2_T3_T4_T5_mT6_T7_P12ihipStream_tbENKUlT_T0_E_clISt17integral_constantIbLb1EES11_EEDaSW_SX_EUlSW_E_NS1_11comp_targetILNS1_3genE2ELNS1_11target_archE906ELNS1_3gpuE6ELNS1_3repE0EEENS1_30default_config_static_selectorELNS0_4arch9wavefront6targetE0EEEvT1_.private_seg_size, 0
	.set _ZN7rocprim17ROCPRIM_400000_NS6detail17trampoline_kernelINS0_14default_configENS1_27scan_by_key_config_selectorIisEEZZNS1_16scan_by_key_implILNS1_25lookback_scan_determinismE0ELb0ES3_N6thrust23THRUST_200600_302600_NS6detail15normal_iteratorINS9_10device_ptrIiEEEENSB_INSC_IsEEEESG_sNS9_4plusIvEENS9_8equal_toIvEEsEE10hipError_tPvRmT2_T3_T4_T5_mT6_T7_P12ihipStream_tbENKUlT_T0_E_clISt17integral_constantIbLb1EES11_EEDaSW_SX_EUlSW_E_NS1_11comp_targetILNS1_3genE2ELNS1_11target_archE906ELNS1_3gpuE6ELNS1_3repE0EEENS1_30default_config_static_selectorELNS0_4arch9wavefront6targetE0EEEvT1_.uses_vcc, 0
	.set _ZN7rocprim17ROCPRIM_400000_NS6detail17trampoline_kernelINS0_14default_configENS1_27scan_by_key_config_selectorIisEEZZNS1_16scan_by_key_implILNS1_25lookback_scan_determinismE0ELb0ES3_N6thrust23THRUST_200600_302600_NS6detail15normal_iteratorINS9_10device_ptrIiEEEENSB_INSC_IsEEEESG_sNS9_4plusIvEENS9_8equal_toIvEEsEE10hipError_tPvRmT2_T3_T4_T5_mT6_T7_P12ihipStream_tbENKUlT_T0_E_clISt17integral_constantIbLb1EES11_EEDaSW_SX_EUlSW_E_NS1_11comp_targetILNS1_3genE2ELNS1_11target_archE906ELNS1_3gpuE6ELNS1_3repE0EEENS1_30default_config_static_selectorELNS0_4arch9wavefront6targetE0EEEvT1_.uses_flat_scratch, 0
	.set _ZN7rocprim17ROCPRIM_400000_NS6detail17trampoline_kernelINS0_14default_configENS1_27scan_by_key_config_selectorIisEEZZNS1_16scan_by_key_implILNS1_25lookback_scan_determinismE0ELb0ES3_N6thrust23THRUST_200600_302600_NS6detail15normal_iteratorINS9_10device_ptrIiEEEENSB_INSC_IsEEEESG_sNS9_4plusIvEENS9_8equal_toIvEEsEE10hipError_tPvRmT2_T3_T4_T5_mT6_T7_P12ihipStream_tbENKUlT_T0_E_clISt17integral_constantIbLb1EES11_EEDaSW_SX_EUlSW_E_NS1_11comp_targetILNS1_3genE2ELNS1_11target_archE906ELNS1_3gpuE6ELNS1_3repE0EEENS1_30default_config_static_selectorELNS0_4arch9wavefront6targetE0EEEvT1_.has_dyn_sized_stack, 0
	.set _ZN7rocprim17ROCPRIM_400000_NS6detail17trampoline_kernelINS0_14default_configENS1_27scan_by_key_config_selectorIisEEZZNS1_16scan_by_key_implILNS1_25lookback_scan_determinismE0ELb0ES3_N6thrust23THRUST_200600_302600_NS6detail15normal_iteratorINS9_10device_ptrIiEEEENSB_INSC_IsEEEESG_sNS9_4plusIvEENS9_8equal_toIvEEsEE10hipError_tPvRmT2_T3_T4_T5_mT6_T7_P12ihipStream_tbENKUlT_T0_E_clISt17integral_constantIbLb1EES11_EEDaSW_SX_EUlSW_E_NS1_11comp_targetILNS1_3genE2ELNS1_11target_archE906ELNS1_3gpuE6ELNS1_3repE0EEENS1_30default_config_static_selectorELNS0_4arch9wavefront6targetE0EEEvT1_.has_recursion, 0
	.set _ZN7rocprim17ROCPRIM_400000_NS6detail17trampoline_kernelINS0_14default_configENS1_27scan_by_key_config_selectorIisEEZZNS1_16scan_by_key_implILNS1_25lookback_scan_determinismE0ELb0ES3_N6thrust23THRUST_200600_302600_NS6detail15normal_iteratorINS9_10device_ptrIiEEEENSB_INSC_IsEEEESG_sNS9_4plusIvEENS9_8equal_toIvEEsEE10hipError_tPvRmT2_T3_T4_T5_mT6_T7_P12ihipStream_tbENKUlT_T0_E_clISt17integral_constantIbLb1EES11_EEDaSW_SX_EUlSW_E_NS1_11comp_targetILNS1_3genE2ELNS1_11target_archE906ELNS1_3gpuE6ELNS1_3repE0EEENS1_30default_config_static_selectorELNS0_4arch9wavefront6targetE0EEEvT1_.has_indirect_call, 0
	.section	.AMDGPU.csdata,"",@progbits
; Kernel info:
; codeLenInByte = 0
; TotalNumSgprs: 0
; NumVgprs: 0
; ScratchSize: 0
; MemoryBound: 0
; FloatMode: 240
; IeeeMode: 1
; LDSByteSize: 0 bytes/workgroup (compile time only)
; SGPRBlocks: 0
; VGPRBlocks: 0
; NumSGPRsForWavesPerEU: 1
; NumVGPRsForWavesPerEU: 1
; Occupancy: 16
; WaveLimiterHint : 0
; COMPUTE_PGM_RSRC2:SCRATCH_EN: 0
; COMPUTE_PGM_RSRC2:USER_SGPR: 6
; COMPUTE_PGM_RSRC2:TRAP_HANDLER: 0
; COMPUTE_PGM_RSRC2:TGID_X_EN: 1
; COMPUTE_PGM_RSRC2:TGID_Y_EN: 0
; COMPUTE_PGM_RSRC2:TGID_Z_EN: 0
; COMPUTE_PGM_RSRC2:TIDIG_COMP_CNT: 0
	.section	.text._ZN7rocprim17ROCPRIM_400000_NS6detail17trampoline_kernelINS0_14default_configENS1_27scan_by_key_config_selectorIisEEZZNS1_16scan_by_key_implILNS1_25lookback_scan_determinismE0ELb0ES3_N6thrust23THRUST_200600_302600_NS6detail15normal_iteratorINS9_10device_ptrIiEEEENSB_INSC_IsEEEESG_sNS9_4plusIvEENS9_8equal_toIvEEsEE10hipError_tPvRmT2_T3_T4_T5_mT6_T7_P12ihipStream_tbENKUlT_T0_E_clISt17integral_constantIbLb1EES11_EEDaSW_SX_EUlSW_E_NS1_11comp_targetILNS1_3genE10ELNS1_11target_archE1200ELNS1_3gpuE4ELNS1_3repE0EEENS1_30default_config_static_selectorELNS0_4arch9wavefront6targetE0EEEvT1_,"axG",@progbits,_ZN7rocprim17ROCPRIM_400000_NS6detail17trampoline_kernelINS0_14default_configENS1_27scan_by_key_config_selectorIisEEZZNS1_16scan_by_key_implILNS1_25lookback_scan_determinismE0ELb0ES3_N6thrust23THRUST_200600_302600_NS6detail15normal_iteratorINS9_10device_ptrIiEEEENSB_INSC_IsEEEESG_sNS9_4plusIvEENS9_8equal_toIvEEsEE10hipError_tPvRmT2_T3_T4_T5_mT6_T7_P12ihipStream_tbENKUlT_T0_E_clISt17integral_constantIbLb1EES11_EEDaSW_SX_EUlSW_E_NS1_11comp_targetILNS1_3genE10ELNS1_11target_archE1200ELNS1_3gpuE4ELNS1_3repE0EEENS1_30default_config_static_selectorELNS0_4arch9wavefront6targetE0EEEvT1_,comdat
	.protected	_ZN7rocprim17ROCPRIM_400000_NS6detail17trampoline_kernelINS0_14default_configENS1_27scan_by_key_config_selectorIisEEZZNS1_16scan_by_key_implILNS1_25lookback_scan_determinismE0ELb0ES3_N6thrust23THRUST_200600_302600_NS6detail15normal_iteratorINS9_10device_ptrIiEEEENSB_INSC_IsEEEESG_sNS9_4plusIvEENS9_8equal_toIvEEsEE10hipError_tPvRmT2_T3_T4_T5_mT6_T7_P12ihipStream_tbENKUlT_T0_E_clISt17integral_constantIbLb1EES11_EEDaSW_SX_EUlSW_E_NS1_11comp_targetILNS1_3genE10ELNS1_11target_archE1200ELNS1_3gpuE4ELNS1_3repE0EEENS1_30default_config_static_selectorELNS0_4arch9wavefront6targetE0EEEvT1_ ; -- Begin function _ZN7rocprim17ROCPRIM_400000_NS6detail17trampoline_kernelINS0_14default_configENS1_27scan_by_key_config_selectorIisEEZZNS1_16scan_by_key_implILNS1_25lookback_scan_determinismE0ELb0ES3_N6thrust23THRUST_200600_302600_NS6detail15normal_iteratorINS9_10device_ptrIiEEEENSB_INSC_IsEEEESG_sNS9_4plusIvEENS9_8equal_toIvEEsEE10hipError_tPvRmT2_T3_T4_T5_mT6_T7_P12ihipStream_tbENKUlT_T0_E_clISt17integral_constantIbLb1EES11_EEDaSW_SX_EUlSW_E_NS1_11comp_targetILNS1_3genE10ELNS1_11target_archE1200ELNS1_3gpuE4ELNS1_3repE0EEENS1_30default_config_static_selectorELNS0_4arch9wavefront6targetE0EEEvT1_
	.globl	_ZN7rocprim17ROCPRIM_400000_NS6detail17trampoline_kernelINS0_14default_configENS1_27scan_by_key_config_selectorIisEEZZNS1_16scan_by_key_implILNS1_25lookback_scan_determinismE0ELb0ES3_N6thrust23THRUST_200600_302600_NS6detail15normal_iteratorINS9_10device_ptrIiEEEENSB_INSC_IsEEEESG_sNS9_4plusIvEENS9_8equal_toIvEEsEE10hipError_tPvRmT2_T3_T4_T5_mT6_T7_P12ihipStream_tbENKUlT_T0_E_clISt17integral_constantIbLb1EES11_EEDaSW_SX_EUlSW_E_NS1_11comp_targetILNS1_3genE10ELNS1_11target_archE1200ELNS1_3gpuE4ELNS1_3repE0EEENS1_30default_config_static_selectorELNS0_4arch9wavefront6targetE0EEEvT1_
	.p2align	8
	.type	_ZN7rocprim17ROCPRIM_400000_NS6detail17trampoline_kernelINS0_14default_configENS1_27scan_by_key_config_selectorIisEEZZNS1_16scan_by_key_implILNS1_25lookback_scan_determinismE0ELb0ES3_N6thrust23THRUST_200600_302600_NS6detail15normal_iteratorINS9_10device_ptrIiEEEENSB_INSC_IsEEEESG_sNS9_4plusIvEENS9_8equal_toIvEEsEE10hipError_tPvRmT2_T3_T4_T5_mT6_T7_P12ihipStream_tbENKUlT_T0_E_clISt17integral_constantIbLb1EES11_EEDaSW_SX_EUlSW_E_NS1_11comp_targetILNS1_3genE10ELNS1_11target_archE1200ELNS1_3gpuE4ELNS1_3repE0EEENS1_30default_config_static_selectorELNS0_4arch9wavefront6targetE0EEEvT1_,@function
_ZN7rocprim17ROCPRIM_400000_NS6detail17trampoline_kernelINS0_14default_configENS1_27scan_by_key_config_selectorIisEEZZNS1_16scan_by_key_implILNS1_25lookback_scan_determinismE0ELb0ES3_N6thrust23THRUST_200600_302600_NS6detail15normal_iteratorINS9_10device_ptrIiEEEENSB_INSC_IsEEEESG_sNS9_4plusIvEENS9_8equal_toIvEEsEE10hipError_tPvRmT2_T3_T4_T5_mT6_T7_P12ihipStream_tbENKUlT_T0_E_clISt17integral_constantIbLb1EES11_EEDaSW_SX_EUlSW_E_NS1_11comp_targetILNS1_3genE10ELNS1_11target_archE1200ELNS1_3gpuE4ELNS1_3repE0EEENS1_30default_config_static_selectorELNS0_4arch9wavefront6targetE0EEEvT1_: ; @_ZN7rocprim17ROCPRIM_400000_NS6detail17trampoline_kernelINS0_14default_configENS1_27scan_by_key_config_selectorIisEEZZNS1_16scan_by_key_implILNS1_25lookback_scan_determinismE0ELb0ES3_N6thrust23THRUST_200600_302600_NS6detail15normal_iteratorINS9_10device_ptrIiEEEENSB_INSC_IsEEEESG_sNS9_4plusIvEENS9_8equal_toIvEEsEE10hipError_tPvRmT2_T3_T4_T5_mT6_T7_P12ihipStream_tbENKUlT_T0_E_clISt17integral_constantIbLb1EES11_EEDaSW_SX_EUlSW_E_NS1_11comp_targetILNS1_3genE10ELNS1_11target_archE1200ELNS1_3gpuE4ELNS1_3repE0EEENS1_30default_config_static_selectorELNS0_4arch9wavefront6targetE0EEEvT1_
; %bb.0:
	.section	.rodata,"a",@progbits
	.p2align	6, 0x0
	.amdhsa_kernel _ZN7rocprim17ROCPRIM_400000_NS6detail17trampoline_kernelINS0_14default_configENS1_27scan_by_key_config_selectorIisEEZZNS1_16scan_by_key_implILNS1_25lookback_scan_determinismE0ELb0ES3_N6thrust23THRUST_200600_302600_NS6detail15normal_iteratorINS9_10device_ptrIiEEEENSB_INSC_IsEEEESG_sNS9_4plusIvEENS9_8equal_toIvEEsEE10hipError_tPvRmT2_T3_T4_T5_mT6_T7_P12ihipStream_tbENKUlT_T0_E_clISt17integral_constantIbLb1EES11_EEDaSW_SX_EUlSW_E_NS1_11comp_targetILNS1_3genE10ELNS1_11target_archE1200ELNS1_3gpuE4ELNS1_3repE0EEENS1_30default_config_static_selectorELNS0_4arch9wavefront6targetE0EEEvT1_
		.amdhsa_group_segment_fixed_size 0
		.amdhsa_private_segment_fixed_size 0
		.amdhsa_kernarg_size 112
		.amdhsa_user_sgpr_count 6
		.amdhsa_user_sgpr_private_segment_buffer 1
		.amdhsa_user_sgpr_dispatch_ptr 0
		.amdhsa_user_sgpr_queue_ptr 0
		.amdhsa_user_sgpr_kernarg_segment_ptr 1
		.amdhsa_user_sgpr_dispatch_id 0
		.amdhsa_user_sgpr_flat_scratch_init 0
		.amdhsa_user_sgpr_private_segment_size 0
		.amdhsa_wavefront_size32 1
		.amdhsa_uses_dynamic_stack 0
		.amdhsa_system_sgpr_private_segment_wavefront_offset 0
		.amdhsa_system_sgpr_workgroup_id_x 1
		.amdhsa_system_sgpr_workgroup_id_y 0
		.amdhsa_system_sgpr_workgroup_id_z 0
		.amdhsa_system_sgpr_workgroup_info 0
		.amdhsa_system_vgpr_workitem_id 0
		.amdhsa_next_free_vgpr 1
		.amdhsa_next_free_sgpr 1
		.amdhsa_reserve_vcc 0
		.amdhsa_reserve_flat_scratch 0
		.amdhsa_float_round_mode_32 0
		.amdhsa_float_round_mode_16_64 0
		.amdhsa_float_denorm_mode_32 3
		.amdhsa_float_denorm_mode_16_64 3
		.amdhsa_dx10_clamp 1
		.amdhsa_ieee_mode 1
		.amdhsa_fp16_overflow 0
		.amdhsa_workgroup_processor_mode 1
		.amdhsa_memory_ordered 1
		.amdhsa_forward_progress 1
		.amdhsa_shared_vgpr_count 0
		.amdhsa_exception_fp_ieee_invalid_op 0
		.amdhsa_exception_fp_denorm_src 0
		.amdhsa_exception_fp_ieee_div_zero 0
		.amdhsa_exception_fp_ieee_overflow 0
		.amdhsa_exception_fp_ieee_underflow 0
		.amdhsa_exception_fp_ieee_inexact 0
		.amdhsa_exception_int_div_zero 0
	.end_amdhsa_kernel
	.section	.text._ZN7rocprim17ROCPRIM_400000_NS6detail17trampoline_kernelINS0_14default_configENS1_27scan_by_key_config_selectorIisEEZZNS1_16scan_by_key_implILNS1_25lookback_scan_determinismE0ELb0ES3_N6thrust23THRUST_200600_302600_NS6detail15normal_iteratorINS9_10device_ptrIiEEEENSB_INSC_IsEEEESG_sNS9_4plusIvEENS9_8equal_toIvEEsEE10hipError_tPvRmT2_T3_T4_T5_mT6_T7_P12ihipStream_tbENKUlT_T0_E_clISt17integral_constantIbLb1EES11_EEDaSW_SX_EUlSW_E_NS1_11comp_targetILNS1_3genE10ELNS1_11target_archE1200ELNS1_3gpuE4ELNS1_3repE0EEENS1_30default_config_static_selectorELNS0_4arch9wavefront6targetE0EEEvT1_,"axG",@progbits,_ZN7rocprim17ROCPRIM_400000_NS6detail17trampoline_kernelINS0_14default_configENS1_27scan_by_key_config_selectorIisEEZZNS1_16scan_by_key_implILNS1_25lookback_scan_determinismE0ELb0ES3_N6thrust23THRUST_200600_302600_NS6detail15normal_iteratorINS9_10device_ptrIiEEEENSB_INSC_IsEEEESG_sNS9_4plusIvEENS9_8equal_toIvEEsEE10hipError_tPvRmT2_T3_T4_T5_mT6_T7_P12ihipStream_tbENKUlT_T0_E_clISt17integral_constantIbLb1EES11_EEDaSW_SX_EUlSW_E_NS1_11comp_targetILNS1_3genE10ELNS1_11target_archE1200ELNS1_3gpuE4ELNS1_3repE0EEENS1_30default_config_static_selectorELNS0_4arch9wavefront6targetE0EEEvT1_,comdat
.Lfunc_end1368:
	.size	_ZN7rocprim17ROCPRIM_400000_NS6detail17trampoline_kernelINS0_14default_configENS1_27scan_by_key_config_selectorIisEEZZNS1_16scan_by_key_implILNS1_25lookback_scan_determinismE0ELb0ES3_N6thrust23THRUST_200600_302600_NS6detail15normal_iteratorINS9_10device_ptrIiEEEENSB_INSC_IsEEEESG_sNS9_4plusIvEENS9_8equal_toIvEEsEE10hipError_tPvRmT2_T3_T4_T5_mT6_T7_P12ihipStream_tbENKUlT_T0_E_clISt17integral_constantIbLb1EES11_EEDaSW_SX_EUlSW_E_NS1_11comp_targetILNS1_3genE10ELNS1_11target_archE1200ELNS1_3gpuE4ELNS1_3repE0EEENS1_30default_config_static_selectorELNS0_4arch9wavefront6targetE0EEEvT1_, .Lfunc_end1368-_ZN7rocprim17ROCPRIM_400000_NS6detail17trampoline_kernelINS0_14default_configENS1_27scan_by_key_config_selectorIisEEZZNS1_16scan_by_key_implILNS1_25lookback_scan_determinismE0ELb0ES3_N6thrust23THRUST_200600_302600_NS6detail15normal_iteratorINS9_10device_ptrIiEEEENSB_INSC_IsEEEESG_sNS9_4plusIvEENS9_8equal_toIvEEsEE10hipError_tPvRmT2_T3_T4_T5_mT6_T7_P12ihipStream_tbENKUlT_T0_E_clISt17integral_constantIbLb1EES11_EEDaSW_SX_EUlSW_E_NS1_11comp_targetILNS1_3genE10ELNS1_11target_archE1200ELNS1_3gpuE4ELNS1_3repE0EEENS1_30default_config_static_selectorELNS0_4arch9wavefront6targetE0EEEvT1_
                                        ; -- End function
	.set _ZN7rocprim17ROCPRIM_400000_NS6detail17trampoline_kernelINS0_14default_configENS1_27scan_by_key_config_selectorIisEEZZNS1_16scan_by_key_implILNS1_25lookback_scan_determinismE0ELb0ES3_N6thrust23THRUST_200600_302600_NS6detail15normal_iteratorINS9_10device_ptrIiEEEENSB_INSC_IsEEEESG_sNS9_4plusIvEENS9_8equal_toIvEEsEE10hipError_tPvRmT2_T3_T4_T5_mT6_T7_P12ihipStream_tbENKUlT_T0_E_clISt17integral_constantIbLb1EES11_EEDaSW_SX_EUlSW_E_NS1_11comp_targetILNS1_3genE10ELNS1_11target_archE1200ELNS1_3gpuE4ELNS1_3repE0EEENS1_30default_config_static_selectorELNS0_4arch9wavefront6targetE0EEEvT1_.num_vgpr, 0
	.set _ZN7rocprim17ROCPRIM_400000_NS6detail17trampoline_kernelINS0_14default_configENS1_27scan_by_key_config_selectorIisEEZZNS1_16scan_by_key_implILNS1_25lookback_scan_determinismE0ELb0ES3_N6thrust23THRUST_200600_302600_NS6detail15normal_iteratorINS9_10device_ptrIiEEEENSB_INSC_IsEEEESG_sNS9_4plusIvEENS9_8equal_toIvEEsEE10hipError_tPvRmT2_T3_T4_T5_mT6_T7_P12ihipStream_tbENKUlT_T0_E_clISt17integral_constantIbLb1EES11_EEDaSW_SX_EUlSW_E_NS1_11comp_targetILNS1_3genE10ELNS1_11target_archE1200ELNS1_3gpuE4ELNS1_3repE0EEENS1_30default_config_static_selectorELNS0_4arch9wavefront6targetE0EEEvT1_.num_agpr, 0
	.set _ZN7rocprim17ROCPRIM_400000_NS6detail17trampoline_kernelINS0_14default_configENS1_27scan_by_key_config_selectorIisEEZZNS1_16scan_by_key_implILNS1_25lookback_scan_determinismE0ELb0ES3_N6thrust23THRUST_200600_302600_NS6detail15normal_iteratorINS9_10device_ptrIiEEEENSB_INSC_IsEEEESG_sNS9_4plusIvEENS9_8equal_toIvEEsEE10hipError_tPvRmT2_T3_T4_T5_mT6_T7_P12ihipStream_tbENKUlT_T0_E_clISt17integral_constantIbLb1EES11_EEDaSW_SX_EUlSW_E_NS1_11comp_targetILNS1_3genE10ELNS1_11target_archE1200ELNS1_3gpuE4ELNS1_3repE0EEENS1_30default_config_static_selectorELNS0_4arch9wavefront6targetE0EEEvT1_.numbered_sgpr, 0
	.set _ZN7rocprim17ROCPRIM_400000_NS6detail17trampoline_kernelINS0_14default_configENS1_27scan_by_key_config_selectorIisEEZZNS1_16scan_by_key_implILNS1_25lookback_scan_determinismE0ELb0ES3_N6thrust23THRUST_200600_302600_NS6detail15normal_iteratorINS9_10device_ptrIiEEEENSB_INSC_IsEEEESG_sNS9_4plusIvEENS9_8equal_toIvEEsEE10hipError_tPvRmT2_T3_T4_T5_mT6_T7_P12ihipStream_tbENKUlT_T0_E_clISt17integral_constantIbLb1EES11_EEDaSW_SX_EUlSW_E_NS1_11comp_targetILNS1_3genE10ELNS1_11target_archE1200ELNS1_3gpuE4ELNS1_3repE0EEENS1_30default_config_static_selectorELNS0_4arch9wavefront6targetE0EEEvT1_.num_named_barrier, 0
	.set _ZN7rocprim17ROCPRIM_400000_NS6detail17trampoline_kernelINS0_14default_configENS1_27scan_by_key_config_selectorIisEEZZNS1_16scan_by_key_implILNS1_25lookback_scan_determinismE0ELb0ES3_N6thrust23THRUST_200600_302600_NS6detail15normal_iteratorINS9_10device_ptrIiEEEENSB_INSC_IsEEEESG_sNS9_4plusIvEENS9_8equal_toIvEEsEE10hipError_tPvRmT2_T3_T4_T5_mT6_T7_P12ihipStream_tbENKUlT_T0_E_clISt17integral_constantIbLb1EES11_EEDaSW_SX_EUlSW_E_NS1_11comp_targetILNS1_3genE10ELNS1_11target_archE1200ELNS1_3gpuE4ELNS1_3repE0EEENS1_30default_config_static_selectorELNS0_4arch9wavefront6targetE0EEEvT1_.private_seg_size, 0
	.set _ZN7rocprim17ROCPRIM_400000_NS6detail17trampoline_kernelINS0_14default_configENS1_27scan_by_key_config_selectorIisEEZZNS1_16scan_by_key_implILNS1_25lookback_scan_determinismE0ELb0ES3_N6thrust23THRUST_200600_302600_NS6detail15normal_iteratorINS9_10device_ptrIiEEEENSB_INSC_IsEEEESG_sNS9_4plusIvEENS9_8equal_toIvEEsEE10hipError_tPvRmT2_T3_T4_T5_mT6_T7_P12ihipStream_tbENKUlT_T0_E_clISt17integral_constantIbLb1EES11_EEDaSW_SX_EUlSW_E_NS1_11comp_targetILNS1_3genE10ELNS1_11target_archE1200ELNS1_3gpuE4ELNS1_3repE0EEENS1_30default_config_static_selectorELNS0_4arch9wavefront6targetE0EEEvT1_.uses_vcc, 0
	.set _ZN7rocprim17ROCPRIM_400000_NS6detail17trampoline_kernelINS0_14default_configENS1_27scan_by_key_config_selectorIisEEZZNS1_16scan_by_key_implILNS1_25lookback_scan_determinismE0ELb0ES3_N6thrust23THRUST_200600_302600_NS6detail15normal_iteratorINS9_10device_ptrIiEEEENSB_INSC_IsEEEESG_sNS9_4plusIvEENS9_8equal_toIvEEsEE10hipError_tPvRmT2_T3_T4_T5_mT6_T7_P12ihipStream_tbENKUlT_T0_E_clISt17integral_constantIbLb1EES11_EEDaSW_SX_EUlSW_E_NS1_11comp_targetILNS1_3genE10ELNS1_11target_archE1200ELNS1_3gpuE4ELNS1_3repE0EEENS1_30default_config_static_selectorELNS0_4arch9wavefront6targetE0EEEvT1_.uses_flat_scratch, 0
	.set _ZN7rocprim17ROCPRIM_400000_NS6detail17trampoline_kernelINS0_14default_configENS1_27scan_by_key_config_selectorIisEEZZNS1_16scan_by_key_implILNS1_25lookback_scan_determinismE0ELb0ES3_N6thrust23THRUST_200600_302600_NS6detail15normal_iteratorINS9_10device_ptrIiEEEENSB_INSC_IsEEEESG_sNS9_4plusIvEENS9_8equal_toIvEEsEE10hipError_tPvRmT2_T3_T4_T5_mT6_T7_P12ihipStream_tbENKUlT_T0_E_clISt17integral_constantIbLb1EES11_EEDaSW_SX_EUlSW_E_NS1_11comp_targetILNS1_3genE10ELNS1_11target_archE1200ELNS1_3gpuE4ELNS1_3repE0EEENS1_30default_config_static_selectorELNS0_4arch9wavefront6targetE0EEEvT1_.has_dyn_sized_stack, 0
	.set _ZN7rocprim17ROCPRIM_400000_NS6detail17trampoline_kernelINS0_14default_configENS1_27scan_by_key_config_selectorIisEEZZNS1_16scan_by_key_implILNS1_25lookback_scan_determinismE0ELb0ES3_N6thrust23THRUST_200600_302600_NS6detail15normal_iteratorINS9_10device_ptrIiEEEENSB_INSC_IsEEEESG_sNS9_4plusIvEENS9_8equal_toIvEEsEE10hipError_tPvRmT2_T3_T4_T5_mT6_T7_P12ihipStream_tbENKUlT_T0_E_clISt17integral_constantIbLb1EES11_EEDaSW_SX_EUlSW_E_NS1_11comp_targetILNS1_3genE10ELNS1_11target_archE1200ELNS1_3gpuE4ELNS1_3repE0EEENS1_30default_config_static_selectorELNS0_4arch9wavefront6targetE0EEEvT1_.has_recursion, 0
	.set _ZN7rocprim17ROCPRIM_400000_NS6detail17trampoline_kernelINS0_14default_configENS1_27scan_by_key_config_selectorIisEEZZNS1_16scan_by_key_implILNS1_25lookback_scan_determinismE0ELb0ES3_N6thrust23THRUST_200600_302600_NS6detail15normal_iteratorINS9_10device_ptrIiEEEENSB_INSC_IsEEEESG_sNS9_4plusIvEENS9_8equal_toIvEEsEE10hipError_tPvRmT2_T3_T4_T5_mT6_T7_P12ihipStream_tbENKUlT_T0_E_clISt17integral_constantIbLb1EES11_EEDaSW_SX_EUlSW_E_NS1_11comp_targetILNS1_3genE10ELNS1_11target_archE1200ELNS1_3gpuE4ELNS1_3repE0EEENS1_30default_config_static_selectorELNS0_4arch9wavefront6targetE0EEEvT1_.has_indirect_call, 0
	.section	.AMDGPU.csdata,"",@progbits
; Kernel info:
; codeLenInByte = 0
; TotalNumSgprs: 0
; NumVgprs: 0
; ScratchSize: 0
; MemoryBound: 0
; FloatMode: 240
; IeeeMode: 1
; LDSByteSize: 0 bytes/workgroup (compile time only)
; SGPRBlocks: 0
; VGPRBlocks: 0
; NumSGPRsForWavesPerEU: 1
; NumVGPRsForWavesPerEU: 1
; Occupancy: 16
; WaveLimiterHint : 0
; COMPUTE_PGM_RSRC2:SCRATCH_EN: 0
; COMPUTE_PGM_RSRC2:USER_SGPR: 6
; COMPUTE_PGM_RSRC2:TRAP_HANDLER: 0
; COMPUTE_PGM_RSRC2:TGID_X_EN: 1
; COMPUTE_PGM_RSRC2:TGID_Y_EN: 0
; COMPUTE_PGM_RSRC2:TGID_Z_EN: 0
; COMPUTE_PGM_RSRC2:TIDIG_COMP_CNT: 0
	.section	.text._ZN7rocprim17ROCPRIM_400000_NS6detail17trampoline_kernelINS0_14default_configENS1_27scan_by_key_config_selectorIisEEZZNS1_16scan_by_key_implILNS1_25lookback_scan_determinismE0ELb0ES3_N6thrust23THRUST_200600_302600_NS6detail15normal_iteratorINS9_10device_ptrIiEEEENSB_INSC_IsEEEESG_sNS9_4plusIvEENS9_8equal_toIvEEsEE10hipError_tPvRmT2_T3_T4_T5_mT6_T7_P12ihipStream_tbENKUlT_T0_E_clISt17integral_constantIbLb1EES11_EEDaSW_SX_EUlSW_E_NS1_11comp_targetILNS1_3genE9ELNS1_11target_archE1100ELNS1_3gpuE3ELNS1_3repE0EEENS1_30default_config_static_selectorELNS0_4arch9wavefront6targetE0EEEvT1_,"axG",@progbits,_ZN7rocprim17ROCPRIM_400000_NS6detail17trampoline_kernelINS0_14default_configENS1_27scan_by_key_config_selectorIisEEZZNS1_16scan_by_key_implILNS1_25lookback_scan_determinismE0ELb0ES3_N6thrust23THRUST_200600_302600_NS6detail15normal_iteratorINS9_10device_ptrIiEEEENSB_INSC_IsEEEESG_sNS9_4plusIvEENS9_8equal_toIvEEsEE10hipError_tPvRmT2_T3_T4_T5_mT6_T7_P12ihipStream_tbENKUlT_T0_E_clISt17integral_constantIbLb1EES11_EEDaSW_SX_EUlSW_E_NS1_11comp_targetILNS1_3genE9ELNS1_11target_archE1100ELNS1_3gpuE3ELNS1_3repE0EEENS1_30default_config_static_selectorELNS0_4arch9wavefront6targetE0EEEvT1_,comdat
	.protected	_ZN7rocprim17ROCPRIM_400000_NS6detail17trampoline_kernelINS0_14default_configENS1_27scan_by_key_config_selectorIisEEZZNS1_16scan_by_key_implILNS1_25lookback_scan_determinismE0ELb0ES3_N6thrust23THRUST_200600_302600_NS6detail15normal_iteratorINS9_10device_ptrIiEEEENSB_INSC_IsEEEESG_sNS9_4plusIvEENS9_8equal_toIvEEsEE10hipError_tPvRmT2_T3_T4_T5_mT6_T7_P12ihipStream_tbENKUlT_T0_E_clISt17integral_constantIbLb1EES11_EEDaSW_SX_EUlSW_E_NS1_11comp_targetILNS1_3genE9ELNS1_11target_archE1100ELNS1_3gpuE3ELNS1_3repE0EEENS1_30default_config_static_selectorELNS0_4arch9wavefront6targetE0EEEvT1_ ; -- Begin function _ZN7rocprim17ROCPRIM_400000_NS6detail17trampoline_kernelINS0_14default_configENS1_27scan_by_key_config_selectorIisEEZZNS1_16scan_by_key_implILNS1_25lookback_scan_determinismE0ELb0ES3_N6thrust23THRUST_200600_302600_NS6detail15normal_iteratorINS9_10device_ptrIiEEEENSB_INSC_IsEEEESG_sNS9_4plusIvEENS9_8equal_toIvEEsEE10hipError_tPvRmT2_T3_T4_T5_mT6_T7_P12ihipStream_tbENKUlT_T0_E_clISt17integral_constantIbLb1EES11_EEDaSW_SX_EUlSW_E_NS1_11comp_targetILNS1_3genE9ELNS1_11target_archE1100ELNS1_3gpuE3ELNS1_3repE0EEENS1_30default_config_static_selectorELNS0_4arch9wavefront6targetE0EEEvT1_
	.globl	_ZN7rocprim17ROCPRIM_400000_NS6detail17trampoline_kernelINS0_14default_configENS1_27scan_by_key_config_selectorIisEEZZNS1_16scan_by_key_implILNS1_25lookback_scan_determinismE0ELb0ES3_N6thrust23THRUST_200600_302600_NS6detail15normal_iteratorINS9_10device_ptrIiEEEENSB_INSC_IsEEEESG_sNS9_4plusIvEENS9_8equal_toIvEEsEE10hipError_tPvRmT2_T3_T4_T5_mT6_T7_P12ihipStream_tbENKUlT_T0_E_clISt17integral_constantIbLb1EES11_EEDaSW_SX_EUlSW_E_NS1_11comp_targetILNS1_3genE9ELNS1_11target_archE1100ELNS1_3gpuE3ELNS1_3repE0EEENS1_30default_config_static_selectorELNS0_4arch9wavefront6targetE0EEEvT1_
	.p2align	8
	.type	_ZN7rocprim17ROCPRIM_400000_NS6detail17trampoline_kernelINS0_14default_configENS1_27scan_by_key_config_selectorIisEEZZNS1_16scan_by_key_implILNS1_25lookback_scan_determinismE0ELb0ES3_N6thrust23THRUST_200600_302600_NS6detail15normal_iteratorINS9_10device_ptrIiEEEENSB_INSC_IsEEEESG_sNS9_4plusIvEENS9_8equal_toIvEEsEE10hipError_tPvRmT2_T3_T4_T5_mT6_T7_P12ihipStream_tbENKUlT_T0_E_clISt17integral_constantIbLb1EES11_EEDaSW_SX_EUlSW_E_NS1_11comp_targetILNS1_3genE9ELNS1_11target_archE1100ELNS1_3gpuE3ELNS1_3repE0EEENS1_30default_config_static_selectorELNS0_4arch9wavefront6targetE0EEEvT1_,@function
_ZN7rocprim17ROCPRIM_400000_NS6detail17trampoline_kernelINS0_14default_configENS1_27scan_by_key_config_selectorIisEEZZNS1_16scan_by_key_implILNS1_25lookback_scan_determinismE0ELb0ES3_N6thrust23THRUST_200600_302600_NS6detail15normal_iteratorINS9_10device_ptrIiEEEENSB_INSC_IsEEEESG_sNS9_4plusIvEENS9_8equal_toIvEEsEE10hipError_tPvRmT2_T3_T4_T5_mT6_T7_P12ihipStream_tbENKUlT_T0_E_clISt17integral_constantIbLb1EES11_EEDaSW_SX_EUlSW_E_NS1_11comp_targetILNS1_3genE9ELNS1_11target_archE1100ELNS1_3gpuE3ELNS1_3repE0EEENS1_30default_config_static_selectorELNS0_4arch9wavefront6targetE0EEEvT1_: ; @_ZN7rocprim17ROCPRIM_400000_NS6detail17trampoline_kernelINS0_14default_configENS1_27scan_by_key_config_selectorIisEEZZNS1_16scan_by_key_implILNS1_25lookback_scan_determinismE0ELb0ES3_N6thrust23THRUST_200600_302600_NS6detail15normal_iteratorINS9_10device_ptrIiEEEENSB_INSC_IsEEEESG_sNS9_4plusIvEENS9_8equal_toIvEEsEE10hipError_tPvRmT2_T3_T4_T5_mT6_T7_P12ihipStream_tbENKUlT_T0_E_clISt17integral_constantIbLb1EES11_EEDaSW_SX_EUlSW_E_NS1_11comp_targetILNS1_3genE9ELNS1_11target_archE1100ELNS1_3gpuE3ELNS1_3repE0EEENS1_30default_config_static_selectorELNS0_4arch9wavefront6targetE0EEEvT1_
; %bb.0:
	.section	.rodata,"a",@progbits
	.p2align	6, 0x0
	.amdhsa_kernel _ZN7rocprim17ROCPRIM_400000_NS6detail17trampoline_kernelINS0_14default_configENS1_27scan_by_key_config_selectorIisEEZZNS1_16scan_by_key_implILNS1_25lookback_scan_determinismE0ELb0ES3_N6thrust23THRUST_200600_302600_NS6detail15normal_iteratorINS9_10device_ptrIiEEEENSB_INSC_IsEEEESG_sNS9_4plusIvEENS9_8equal_toIvEEsEE10hipError_tPvRmT2_T3_T4_T5_mT6_T7_P12ihipStream_tbENKUlT_T0_E_clISt17integral_constantIbLb1EES11_EEDaSW_SX_EUlSW_E_NS1_11comp_targetILNS1_3genE9ELNS1_11target_archE1100ELNS1_3gpuE3ELNS1_3repE0EEENS1_30default_config_static_selectorELNS0_4arch9wavefront6targetE0EEEvT1_
		.amdhsa_group_segment_fixed_size 0
		.amdhsa_private_segment_fixed_size 0
		.amdhsa_kernarg_size 112
		.amdhsa_user_sgpr_count 6
		.amdhsa_user_sgpr_private_segment_buffer 1
		.amdhsa_user_sgpr_dispatch_ptr 0
		.amdhsa_user_sgpr_queue_ptr 0
		.amdhsa_user_sgpr_kernarg_segment_ptr 1
		.amdhsa_user_sgpr_dispatch_id 0
		.amdhsa_user_sgpr_flat_scratch_init 0
		.amdhsa_user_sgpr_private_segment_size 0
		.amdhsa_wavefront_size32 1
		.amdhsa_uses_dynamic_stack 0
		.amdhsa_system_sgpr_private_segment_wavefront_offset 0
		.amdhsa_system_sgpr_workgroup_id_x 1
		.amdhsa_system_sgpr_workgroup_id_y 0
		.amdhsa_system_sgpr_workgroup_id_z 0
		.amdhsa_system_sgpr_workgroup_info 0
		.amdhsa_system_vgpr_workitem_id 0
		.amdhsa_next_free_vgpr 1
		.amdhsa_next_free_sgpr 1
		.amdhsa_reserve_vcc 0
		.amdhsa_reserve_flat_scratch 0
		.amdhsa_float_round_mode_32 0
		.amdhsa_float_round_mode_16_64 0
		.amdhsa_float_denorm_mode_32 3
		.amdhsa_float_denorm_mode_16_64 3
		.amdhsa_dx10_clamp 1
		.amdhsa_ieee_mode 1
		.amdhsa_fp16_overflow 0
		.amdhsa_workgroup_processor_mode 1
		.amdhsa_memory_ordered 1
		.amdhsa_forward_progress 1
		.amdhsa_shared_vgpr_count 0
		.amdhsa_exception_fp_ieee_invalid_op 0
		.amdhsa_exception_fp_denorm_src 0
		.amdhsa_exception_fp_ieee_div_zero 0
		.amdhsa_exception_fp_ieee_overflow 0
		.amdhsa_exception_fp_ieee_underflow 0
		.amdhsa_exception_fp_ieee_inexact 0
		.amdhsa_exception_int_div_zero 0
	.end_amdhsa_kernel
	.section	.text._ZN7rocprim17ROCPRIM_400000_NS6detail17trampoline_kernelINS0_14default_configENS1_27scan_by_key_config_selectorIisEEZZNS1_16scan_by_key_implILNS1_25lookback_scan_determinismE0ELb0ES3_N6thrust23THRUST_200600_302600_NS6detail15normal_iteratorINS9_10device_ptrIiEEEENSB_INSC_IsEEEESG_sNS9_4plusIvEENS9_8equal_toIvEEsEE10hipError_tPvRmT2_T3_T4_T5_mT6_T7_P12ihipStream_tbENKUlT_T0_E_clISt17integral_constantIbLb1EES11_EEDaSW_SX_EUlSW_E_NS1_11comp_targetILNS1_3genE9ELNS1_11target_archE1100ELNS1_3gpuE3ELNS1_3repE0EEENS1_30default_config_static_selectorELNS0_4arch9wavefront6targetE0EEEvT1_,"axG",@progbits,_ZN7rocprim17ROCPRIM_400000_NS6detail17trampoline_kernelINS0_14default_configENS1_27scan_by_key_config_selectorIisEEZZNS1_16scan_by_key_implILNS1_25lookback_scan_determinismE0ELb0ES3_N6thrust23THRUST_200600_302600_NS6detail15normal_iteratorINS9_10device_ptrIiEEEENSB_INSC_IsEEEESG_sNS9_4plusIvEENS9_8equal_toIvEEsEE10hipError_tPvRmT2_T3_T4_T5_mT6_T7_P12ihipStream_tbENKUlT_T0_E_clISt17integral_constantIbLb1EES11_EEDaSW_SX_EUlSW_E_NS1_11comp_targetILNS1_3genE9ELNS1_11target_archE1100ELNS1_3gpuE3ELNS1_3repE0EEENS1_30default_config_static_selectorELNS0_4arch9wavefront6targetE0EEEvT1_,comdat
.Lfunc_end1369:
	.size	_ZN7rocprim17ROCPRIM_400000_NS6detail17trampoline_kernelINS0_14default_configENS1_27scan_by_key_config_selectorIisEEZZNS1_16scan_by_key_implILNS1_25lookback_scan_determinismE0ELb0ES3_N6thrust23THRUST_200600_302600_NS6detail15normal_iteratorINS9_10device_ptrIiEEEENSB_INSC_IsEEEESG_sNS9_4plusIvEENS9_8equal_toIvEEsEE10hipError_tPvRmT2_T3_T4_T5_mT6_T7_P12ihipStream_tbENKUlT_T0_E_clISt17integral_constantIbLb1EES11_EEDaSW_SX_EUlSW_E_NS1_11comp_targetILNS1_3genE9ELNS1_11target_archE1100ELNS1_3gpuE3ELNS1_3repE0EEENS1_30default_config_static_selectorELNS0_4arch9wavefront6targetE0EEEvT1_, .Lfunc_end1369-_ZN7rocprim17ROCPRIM_400000_NS6detail17trampoline_kernelINS0_14default_configENS1_27scan_by_key_config_selectorIisEEZZNS1_16scan_by_key_implILNS1_25lookback_scan_determinismE0ELb0ES3_N6thrust23THRUST_200600_302600_NS6detail15normal_iteratorINS9_10device_ptrIiEEEENSB_INSC_IsEEEESG_sNS9_4plusIvEENS9_8equal_toIvEEsEE10hipError_tPvRmT2_T3_T4_T5_mT6_T7_P12ihipStream_tbENKUlT_T0_E_clISt17integral_constantIbLb1EES11_EEDaSW_SX_EUlSW_E_NS1_11comp_targetILNS1_3genE9ELNS1_11target_archE1100ELNS1_3gpuE3ELNS1_3repE0EEENS1_30default_config_static_selectorELNS0_4arch9wavefront6targetE0EEEvT1_
                                        ; -- End function
	.set _ZN7rocprim17ROCPRIM_400000_NS6detail17trampoline_kernelINS0_14default_configENS1_27scan_by_key_config_selectorIisEEZZNS1_16scan_by_key_implILNS1_25lookback_scan_determinismE0ELb0ES3_N6thrust23THRUST_200600_302600_NS6detail15normal_iteratorINS9_10device_ptrIiEEEENSB_INSC_IsEEEESG_sNS9_4plusIvEENS9_8equal_toIvEEsEE10hipError_tPvRmT2_T3_T4_T5_mT6_T7_P12ihipStream_tbENKUlT_T0_E_clISt17integral_constantIbLb1EES11_EEDaSW_SX_EUlSW_E_NS1_11comp_targetILNS1_3genE9ELNS1_11target_archE1100ELNS1_3gpuE3ELNS1_3repE0EEENS1_30default_config_static_selectorELNS0_4arch9wavefront6targetE0EEEvT1_.num_vgpr, 0
	.set _ZN7rocprim17ROCPRIM_400000_NS6detail17trampoline_kernelINS0_14default_configENS1_27scan_by_key_config_selectorIisEEZZNS1_16scan_by_key_implILNS1_25lookback_scan_determinismE0ELb0ES3_N6thrust23THRUST_200600_302600_NS6detail15normal_iteratorINS9_10device_ptrIiEEEENSB_INSC_IsEEEESG_sNS9_4plusIvEENS9_8equal_toIvEEsEE10hipError_tPvRmT2_T3_T4_T5_mT6_T7_P12ihipStream_tbENKUlT_T0_E_clISt17integral_constantIbLb1EES11_EEDaSW_SX_EUlSW_E_NS1_11comp_targetILNS1_3genE9ELNS1_11target_archE1100ELNS1_3gpuE3ELNS1_3repE0EEENS1_30default_config_static_selectorELNS0_4arch9wavefront6targetE0EEEvT1_.num_agpr, 0
	.set _ZN7rocprim17ROCPRIM_400000_NS6detail17trampoline_kernelINS0_14default_configENS1_27scan_by_key_config_selectorIisEEZZNS1_16scan_by_key_implILNS1_25lookback_scan_determinismE0ELb0ES3_N6thrust23THRUST_200600_302600_NS6detail15normal_iteratorINS9_10device_ptrIiEEEENSB_INSC_IsEEEESG_sNS9_4plusIvEENS9_8equal_toIvEEsEE10hipError_tPvRmT2_T3_T4_T5_mT6_T7_P12ihipStream_tbENKUlT_T0_E_clISt17integral_constantIbLb1EES11_EEDaSW_SX_EUlSW_E_NS1_11comp_targetILNS1_3genE9ELNS1_11target_archE1100ELNS1_3gpuE3ELNS1_3repE0EEENS1_30default_config_static_selectorELNS0_4arch9wavefront6targetE0EEEvT1_.numbered_sgpr, 0
	.set _ZN7rocprim17ROCPRIM_400000_NS6detail17trampoline_kernelINS0_14default_configENS1_27scan_by_key_config_selectorIisEEZZNS1_16scan_by_key_implILNS1_25lookback_scan_determinismE0ELb0ES3_N6thrust23THRUST_200600_302600_NS6detail15normal_iteratorINS9_10device_ptrIiEEEENSB_INSC_IsEEEESG_sNS9_4plusIvEENS9_8equal_toIvEEsEE10hipError_tPvRmT2_T3_T4_T5_mT6_T7_P12ihipStream_tbENKUlT_T0_E_clISt17integral_constantIbLb1EES11_EEDaSW_SX_EUlSW_E_NS1_11comp_targetILNS1_3genE9ELNS1_11target_archE1100ELNS1_3gpuE3ELNS1_3repE0EEENS1_30default_config_static_selectorELNS0_4arch9wavefront6targetE0EEEvT1_.num_named_barrier, 0
	.set _ZN7rocprim17ROCPRIM_400000_NS6detail17trampoline_kernelINS0_14default_configENS1_27scan_by_key_config_selectorIisEEZZNS1_16scan_by_key_implILNS1_25lookback_scan_determinismE0ELb0ES3_N6thrust23THRUST_200600_302600_NS6detail15normal_iteratorINS9_10device_ptrIiEEEENSB_INSC_IsEEEESG_sNS9_4plusIvEENS9_8equal_toIvEEsEE10hipError_tPvRmT2_T3_T4_T5_mT6_T7_P12ihipStream_tbENKUlT_T0_E_clISt17integral_constantIbLb1EES11_EEDaSW_SX_EUlSW_E_NS1_11comp_targetILNS1_3genE9ELNS1_11target_archE1100ELNS1_3gpuE3ELNS1_3repE0EEENS1_30default_config_static_selectorELNS0_4arch9wavefront6targetE0EEEvT1_.private_seg_size, 0
	.set _ZN7rocprim17ROCPRIM_400000_NS6detail17trampoline_kernelINS0_14default_configENS1_27scan_by_key_config_selectorIisEEZZNS1_16scan_by_key_implILNS1_25lookback_scan_determinismE0ELb0ES3_N6thrust23THRUST_200600_302600_NS6detail15normal_iteratorINS9_10device_ptrIiEEEENSB_INSC_IsEEEESG_sNS9_4plusIvEENS9_8equal_toIvEEsEE10hipError_tPvRmT2_T3_T4_T5_mT6_T7_P12ihipStream_tbENKUlT_T0_E_clISt17integral_constantIbLb1EES11_EEDaSW_SX_EUlSW_E_NS1_11comp_targetILNS1_3genE9ELNS1_11target_archE1100ELNS1_3gpuE3ELNS1_3repE0EEENS1_30default_config_static_selectorELNS0_4arch9wavefront6targetE0EEEvT1_.uses_vcc, 0
	.set _ZN7rocprim17ROCPRIM_400000_NS6detail17trampoline_kernelINS0_14default_configENS1_27scan_by_key_config_selectorIisEEZZNS1_16scan_by_key_implILNS1_25lookback_scan_determinismE0ELb0ES3_N6thrust23THRUST_200600_302600_NS6detail15normal_iteratorINS9_10device_ptrIiEEEENSB_INSC_IsEEEESG_sNS9_4plusIvEENS9_8equal_toIvEEsEE10hipError_tPvRmT2_T3_T4_T5_mT6_T7_P12ihipStream_tbENKUlT_T0_E_clISt17integral_constantIbLb1EES11_EEDaSW_SX_EUlSW_E_NS1_11comp_targetILNS1_3genE9ELNS1_11target_archE1100ELNS1_3gpuE3ELNS1_3repE0EEENS1_30default_config_static_selectorELNS0_4arch9wavefront6targetE0EEEvT1_.uses_flat_scratch, 0
	.set _ZN7rocprim17ROCPRIM_400000_NS6detail17trampoline_kernelINS0_14default_configENS1_27scan_by_key_config_selectorIisEEZZNS1_16scan_by_key_implILNS1_25lookback_scan_determinismE0ELb0ES3_N6thrust23THRUST_200600_302600_NS6detail15normal_iteratorINS9_10device_ptrIiEEEENSB_INSC_IsEEEESG_sNS9_4plusIvEENS9_8equal_toIvEEsEE10hipError_tPvRmT2_T3_T4_T5_mT6_T7_P12ihipStream_tbENKUlT_T0_E_clISt17integral_constantIbLb1EES11_EEDaSW_SX_EUlSW_E_NS1_11comp_targetILNS1_3genE9ELNS1_11target_archE1100ELNS1_3gpuE3ELNS1_3repE0EEENS1_30default_config_static_selectorELNS0_4arch9wavefront6targetE0EEEvT1_.has_dyn_sized_stack, 0
	.set _ZN7rocprim17ROCPRIM_400000_NS6detail17trampoline_kernelINS0_14default_configENS1_27scan_by_key_config_selectorIisEEZZNS1_16scan_by_key_implILNS1_25lookback_scan_determinismE0ELb0ES3_N6thrust23THRUST_200600_302600_NS6detail15normal_iteratorINS9_10device_ptrIiEEEENSB_INSC_IsEEEESG_sNS9_4plusIvEENS9_8equal_toIvEEsEE10hipError_tPvRmT2_T3_T4_T5_mT6_T7_P12ihipStream_tbENKUlT_T0_E_clISt17integral_constantIbLb1EES11_EEDaSW_SX_EUlSW_E_NS1_11comp_targetILNS1_3genE9ELNS1_11target_archE1100ELNS1_3gpuE3ELNS1_3repE0EEENS1_30default_config_static_selectorELNS0_4arch9wavefront6targetE0EEEvT1_.has_recursion, 0
	.set _ZN7rocprim17ROCPRIM_400000_NS6detail17trampoline_kernelINS0_14default_configENS1_27scan_by_key_config_selectorIisEEZZNS1_16scan_by_key_implILNS1_25lookback_scan_determinismE0ELb0ES3_N6thrust23THRUST_200600_302600_NS6detail15normal_iteratorINS9_10device_ptrIiEEEENSB_INSC_IsEEEESG_sNS9_4plusIvEENS9_8equal_toIvEEsEE10hipError_tPvRmT2_T3_T4_T5_mT6_T7_P12ihipStream_tbENKUlT_T0_E_clISt17integral_constantIbLb1EES11_EEDaSW_SX_EUlSW_E_NS1_11comp_targetILNS1_3genE9ELNS1_11target_archE1100ELNS1_3gpuE3ELNS1_3repE0EEENS1_30default_config_static_selectorELNS0_4arch9wavefront6targetE0EEEvT1_.has_indirect_call, 0
	.section	.AMDGPU.csdata,"",@progbits
; Kernel info:
; codeLenInByte = 0
; TotalNumSgprs: 0
; NumVgprs: 0
; ScratchSize: 0
; MemoryBound: 0
; FloatMode: 240
; IeeeMode: 1
; LDSByteSize: 0 bytes/workgroup (compile time only)
; SGPRBlocks: 0
; VGPRBlocks: 0
; NumSGPRsForWavesPerEU: 1
; NumVGPRsForWavesPerEU: 1
; Occupancy: 16
; WaveLimiterHint : 0
; COMPUTE_PGM_RSRC2:SCRATCH_EN: 0
; COMPUTE_PGM_RSRC2:USER_SGPR: 6
; COMPUTE_PGM_RSRC2:TRAP_HANDLER: 0
; COMPUTE_PGM_RSRC2:TGID_X_EN: 1
; COMPUTE_PGM_RSRC2:TGID_Y_EN: 0
; COMPUTE_PGM_RSRC2:TGID_Z_EN: 0
; COMPUTE_PGM_RSRC2:TIDIG_COMP_CNT: 0
	.section	.text._ZN7rocprim17ROCPRIM_400000_NS6detail17trampoline_kernelINS0_14default_configENS1_27scan_by_key_config_selectorIisEEZZNS1_16scan_by_key_implILNS1_25lookback_scan_determinismE0ELb0ES3_N6thrust23THRUST_200600_302600_NS6detail15normal_iteratorINS9_10device_ptrIiEEEENSB_INSC_IsEEEESG_sNS9_4plusIvEENS9_8equal_toIvEEsEE10hipError_tPvRmT2_T3_T4_T5_mT6_T7_P12ihipStream_tbENKUlT_T0_E_clISt17integral_constantIbLb1EES11_EEDaSW_SX_EUlSW_E_NS1_11comp_targetILNS1_3genE8ELNS1_11target_archE1030ELNS1_3gpuE2ELNS1_3repE0EEENS1_30default_config_static_selectorELNS0_4arch9wavefront6targetE0EEEvT1_,"axG",@progbits,_ZN7rocprim17ROCPRIM_400000_NS6detail17trampoline_kernelINS0_14default_configENS1_27scan_by_key_config_selectorIisEEZZNS1_16scan_by_key_implILNS1_25lookback_scan_determinismE0ELb0ES3_N6thrust23THRUST_200600_302600_NS6detail15normal_iteratorINS9_10device_ptrIiEEEENSB_INSC_IsEEEESG_sNS9_4plusIvEENS9_8equal_toIvEEsEE10hipError_tPvRmT2_T3_T4_T5_mT6_T7_P12ihipStream_tbENKUlT_T0_E_clISt17integral_constantIbLb1EES11_EEDaSW_SX_EUlSW_E_NS1_11comp_targetILNS1_3genE8ELNS1_11target_archE1030ELNS1_3gpuE2ELNS1_3repE0EEENS1_30default_config_static_selectorELNS0_4arch9wavefront6targetE0EEEvT1_,comdat
	.protected	_ZN7rocprim17ROCPRIM_400000_NS6detail17trampoline_kernelINS0_14default_configENS1_27scan_by_key_config_selectorIisEEZZNS1_16scan_by_key_implILNS1_25lookback_scan_determinismE0ELb0ES3_N6thrust23THRUST_200600_302600_NS6detail15normal_iteratorINS9_10device_ptrIiEEEENSB_INSC_IsEEEESG_sNS9_4plusIvEENS9_8equal_toIvEEsEE10hipError_tPvRmT2_T3_T4_T5_mT6_T7_P12ihipStream_tbENKUlT_T0_E_clISt17integral_constantIbLb1EES11_EEDaSW_SX_EUlSW_E_NS1_11comp_targetILNS1_3genE8ELNS1_11target_archE1030ELNS1_3gpuE2ELNS1_3repE0EEENS1_30default_config_static_selectorELNS0_4arch9wavefront6targetE0EEEvT1_ ; -- Begin function _ZN7rocprim17ROCPRIM_400000_NS6detail17trampoline_kernelINS0_14default_configENS1_27scan_by_key_config_selectorIisEEZZNS1_16scan_by_key_implILNS1_25lookback_scan_determinismE0ELb0ES3_N6thrust23THRUST_200600_302600_NS6detail15normal_iteratorINS9_10device_ptrIiEEEENSB_INSC_IsEEEESG_sNS9_4plusIvEENS9_8equal_toIvEEsEE10hipError_tPvRmT2_T3_T4_T5_mT6_T7_P12ihipStream_tbENKUlT_T0_E_clISt17integral_constantIbLb1EES11_EEDaSW_SX_EUlSW_E_NS1_11comp_targetILNS1_3genE8ELNS1_11target_archE1030ELNS1_3gpuE2ELNS1_3repE0EEENS1_30default_config_static_selectorELNS0_4arch9wavefront6targetE0EEEvT1_
	.globl	_ZN7rocprim17ROCPRIM_400000_NS6detail17trampoline_kernelINS0_14default_configENS1_27scan_by_key_config_selectorIisEEZZNS1_16scan_by_key_implILNS1_25lookback_scan_determinismE0ELb0ES3_N6thrust23THRUST_200600_302600_NS6detail15normal_iteratorINS9_10device_ptrIiEEEENSB_INSC_IsEEEESG_sNS9_4plusIvEENS9_8equal_toIvEEsEE10hipError_tPvRmT2_T3_T4_T5_mT6_T7_P12ihipStream_tbENKUlT_T0_E_clISt17integral_constantIbLb1EES11_EEDaSW_SX_EUlSW_E_NS1_11comp_targetILNS1_3genE8ELNS1_11target_archE1030ELNS1_3gpuE2ELNS1_3repE0EEENS1_30default_config_static_selectorELNS0_4arch9wavefront6targetE0EEEvT1_
	.p2align	8
	.type	_ZN7rocprim17ROCPRIM_400000_NS6detail17trampoline_kernelINS0_14default_configENS1_27scan_by_key_config_selectorIisEEZZNS1_16scan_by_key_implILNS1_25lookback_scan_determinismE0ELb0ES3_N6thrust23THRUST_200600_302600_NS6detail15normal_iteratorINS9_10device_ptrIiEEEENSB_INSC_IsEEEESG_sNS9_4plusIvEENS9_8equal_toIvEEsEE10hipError_tPvRmT2_T3_T4_T5_mT6_T7_P12ihipStream_tbENKUlT_T0_E_clISt17integral_constantIbLb1EES11_EEDaSW_SX_EUlSW_E_NS1_11comp_targetILNS1_3genE8ELNS1_11target_archE1030ELNS1_3gpuE2ELNS1_3repE0EEENS1_30default_config_static_selectorELNS0_4arch9wavefront6targetE0EEEvT1_,@function
_ZN7rocprim17ROCPRIM_400000_NS6detail17trampoline_kernelINS0_14default_configENS1_27scan_by_key_config_selectorIisEEZZNS1_16scan_by_key_implILNS1_25lookback_scan_determinismE0ELb0ES3_N6thrust23THRUST_200600_302600_NS6detail15normal_iteratorINS9_10device_ptrIiEEEENSB_INSC_IsEEEESG_sNS9_4plusIvEENS9_8equal_toIvEEsEE10hipError_tPvRmT2_T3_T4_T5_mT6_T7_P12ihipStream_tbENKUlT_T0_E_clISt17integral_constantIbLb1EES11_EEDaSW_SX_EUlSW_E_NS1_11comp_targetILNS1_3genE8ELNS1_11target_archE1030ELNS1_3gpuE2ELNS1_3repE0EEENS1_30default_config_static_selectorELNS0_4arch9wavefront6targetE0EEEvT1_: ; @_ZN7rocprim17ROCPRIM_400000_NS6detail17trampoline_kernelINS0_14default_configENS1_27scan_by_key_config_selectorIisEEZZNS1_16scan_by_key_implILNS1_25lookback_scan_determinismE0ELb0ES3_N6thrust23THRUST_200600_302600_NS6detail15normal_iteratorINS9_10device_ptrIiEEEENSB_INSC_IsEEEESG_sNS9_4plusIvEENS9_8equal_toIvEEsEE10hipError_tPvRmT2_T3_T4_T5_mT6_T7_P12ihipStream_tbENKUlT_T0_E_clISt17integral_constantIbLb1EES11_EEDaSW_SX_EUlSW_E_NS1_11comp_targetILNS1_3genE8ELNS1_11target_archE1030ELNS1_3gpuE2ELNS1_3repE0EEENS1_30default_config_static_selectorELNS0_4arch9wavefront6targetE0EEEvT1_
; %bb.0:
	s_endpgm
	.section	.rodata,"a",@progbits
	.p2align	6, 0x0
	.amdhsa_kernel _ZN7rocprim17ROCPRIM_400000_NS6detail17trampoline_kernelINS0_14default_configENS1_27scan_by_key_config_selectorIisEEZZNS1_16scan_by_key_implILNS1_25lookback_scan_determinismE0ELb0ES3_N6thrust23THRUST_200600_302600_NS6detail15normal_iteratorINS9_10device_ptrIiEEEENSB_INSC_IsEEEESG_sNS9_4plusIvEENS9_8equal_toIvEEsEE10hipError_tPvRmT2_T3_T4_T5_mT6_T7_P12ihipStream_tbENKUlT_T0_E_clISt17integral_constantIbLb1EES11_EEDaSW_SX_EUlSW_E_NS1_11comp_targetILNS1_3genE8ELNS1_11target_archE1030ELNS1_3gpuE2ELNS1_3repE0EEENS1_30default_config_static_selectorELNS0_4arch9wavefront6targetE0EEEvT1_
		.amdhsa_group_segment_fixed_size 0
		.amdhsa_private_segment_fixed_size 0
		.amdhsa_kernarg_size 112
		.amdhsa_user_sgpr_count 6
		.amdhsa_user_sgpr_private_segment_buffer 1
		.amdhsa_user_sgpr_dispatch_ptr 0
		.amdhsa_user_sgpr_queue_ptr 0
		.amdhsa_user_sgpr_kernarg_segment_ptr 1
		.amdhsa_user_sgpr_dispatch_id 0
		.amdhsa_user_sgpr_flat_scratch_init 0
		.amdhsa_user_sgpr_private_segment_size 0
		.amdhsa_wavefront_size32 1
		.amdhsa_uses_dynamic_stack 0
		.amdhsa_system_sgpr_private_segment_wavefront_offset 0
		.amdhsa_system_sgpr_workgroup_id_x 1
		.amdhsa_system_sgpr_workgroup_id_y 0
		.amdhsa_system_sgpr_workgroup_id_z 0
		.amdhsa_system_sgpr_workgroup_info 0
		.amdhsa_system_vgpr_workitem_id 0
		.amdhsa_next_free_vgpr 1
		.amdhsa_next_free_sgpr 1
		.amdhsa_reserve_vcc 0
		.amdhsa_reserve_flat_scratch 0
		.amdhsa_float_round_mode_32 0
		.amdhsa_float_round_mode_16_64 0
		.amdhsa_float_denorm_mode_32 3
		.amdhsa_float_denorm_mode_16_64 3
		.amdhsa_dx10_clamp 1
		.amdhsa_ieee_mode 1
		.amdhsa_fp16_overflow 0
		.amdhsa_workgroup_processor_mode 1
		.amdhsa_memory_ordered 1
		.amdhsa_forward_progress 1
		.amdhsa_shared_vgpr_count 0
		.amdhsa_exception_fp_ieee_invalid_op 0
		.amdhsa_exception_fp_denorm_src 0
		.amdhsa_exception_fp_ieee_div_zero 0
		.amdhsa_exception_fp_ieee_overflow 0
		.amdhsa_exception_fp_ieee_underflow 0
		.amdhsa_exception_fp_ieee_inexact 0
		.amdhsa_exception_int_div_zero 0
	.end_amdhsa_kernel
	.section	.text._ZN7rocprim17ROCPRIM_400000_NS6detail17trampoline_kernelINS0_14default_configENS1_27scan_by_key_config_selectorIisEEZZNS1_16scan_by_key_implILNS1_25lookback_scan_determinismE0ELb0ES3_N6thrust23THRUST_200600_302600_NS6detail15normal_iteratorINS9_10device_ptrIiEEEENSB_INSC_IsEEEESG_sNS9_4plusIvEENS9_8equal_toIvEEsEE10hipError_tPvRmT2_T3_T4_T5_mT6_T7_P12ihipStream_tbENKUlT_T0_E_clISt17integral_constantIbLb1EES11_EEDaSW_SX_EUlSW_E_NS1_11comp_targetILNS1_3genE8ELNS1_11target_archE1030ELNS1_3gpuE2ELNS1_3repE0EEENS1_30default_config_static_selectorELNS0_4arch9wavefront6targetE0EEEvT1_,"axG",@progbits,_ZN7rocprim17ROCPRIM_400000_NS6detail17trampoline_kernelINS0_14default_configENS1_27scan_by_key_config_selectorIisEEZZNS1_16scan_by_key_implILNS1_25lookback_scan_determinismE0ELb0ES3_N6thrust23THRUST_200600_302600_NS6detail15normal_iteratorINS9_10device_ptrIiEEEENSB_INSC_IsEEEESG_sNS9_4plusIvEENS9_8equal_toIvEEsEE10hipError_tPvRmT2_T3_T4_T5_mT6_T7_P12ihipStream_tbENKUlT_T0_E_clISt17integral_constantIbLb1EES11_EEDaSW_SX_EUlSW_E_NS1_11comp_targetILNS1_3genE8ELNS1_11target_archE1030ELNS1_3gpuE2ELNS1_3repE0EEENS1_30default_config_static_selectorELNS0_4arch9wavefront6targetE0EEEvT1_,comdat
.Lfunc_end1370:
	.size	_ZN7rocprim17ROCPRIM_400000_NS6detail17trampoline_kernelINS0_14default_configENS1_27scan_by_key_config_selectorIisEEZZNS1_16scan_by_key_implILNS1_25lookback_scan_determinismE0ELb0ES3_N6thrust23THRUST_200600_302600_NS6detail15normal_iteratorINS9_10device_ptrIiEEEENSB_INSC_IsEEEESG_sNS9_4plusIvEENS9_8equal_toIvEEsEE10hipError_tPvRmT2_T3_T4_T5_mT6_T7_P12ihipStream_tbENKUlT_T0_E_clISt17integral_constantIbLb1EES11_EEDaSW_SX_EUlSW_E_NS1_11comp_targetILNS1_3genE8ELNS1_11target_archE1030ELNS1_3gpuE2ELNS1_3repE0EEENS1_30default_config_static_selectorELNS0_4arch9wavefront6targetE0EEEvT1_, .Lfunc_end1370-_ZN7rocprim17ROCPRIM_400000_NS6detail17trampoline_kernelINS0_14default_configENS1_27scan_by_key_config_selectorIisEEZZNS1_16scan_by_key_implILNS1_25lookback_scan_determinismE0ELb0ES3_N6thrust23THRUST_200600_302600_NS6detail15normal_iteratorINS9_10device_ptrIiEEEENSB_INSC_IsEEEESG_sNS9_4plusIvEENS9_8equal_toIvEEsEE10hipError_tPvRmT2_T3_T4_T5_mT6_T7_P12ihipStream_tbENKUlT_T0_E_clISt17integral_constantIbLb1EES11_EEDaSW_SX_EUlSW_E_NS1_11comp_targetILNS1_3genE8ELNS1_11target_archE1030ELNS1_3gpuE2ELNS1_3repE0EEENS1_30default_config_static_selectorELNS0_4arch9wavefront6targetE0EEEvT1_
                                        ; -- End function
	.set _ZN7rocprim17ROCPRIM_400000_NS6detail17trampoline_kernelINS0_14default_configENS1_27scan_by_key_config_selectorIisEEZZNS1_16scan_by_key_implILNS1_25lookback_scan_determinismE0ELb0ES3_N6thrust23THRUST_200600_302600_NS6detail15normal_iteratorINS9_10device_ptrIiEEEENSB_INSC_IsEEEESG_sNS9_4plusIvEENS9_8equal_toIvEEsEE10hipError_tPvRmT2_T3_T4_T5_mT6_T7_P12ihipStream_tbENKUlT_T0_E_clISt17integral_constantIbLb1EES11_EEDaSW_SX_EUlSW_E_NS1_11comp_targetILNS1_3genE8ELNS1_11target_archE1030ELNS1_3gpuE2ELNS1_3repE0EEENS1_30default_config_static_selectorELNS0_4arch9wavefront6targetE0EEEvT1_.num_vgpr, 0
	.set _ZN7rocprim17ROCPRIM_400000_NS6detail17trampoline_kernelINS0_14default_configENS1_27scan_by_key_config_selectorIisEEZZNS1_16scan_by_key_implILNS1_25lookback_scan_determinismE0ELb0ES3_N6thrust23THRUST_200600_302600_NS6detail15normal_iteratorINS9_10device_ptrIiEEEENSB_INSC_IsEEEESG_sNS9_4plusIvEENS9_8equal_toIvEEsEE10hipError_tPvRmT2_T3_T4_T5_mT6_T7_P12ihipStream_tbENKUlT_T0_E_clISt17integral_constantIbLb1EES11_EEDaSW_SX_EUlSW_E_NS1_11comp_targetILNS1_3genE8ELNS1_11target_archE1030ELNS1_3gpuE2ELNS1_3repE0EEENS1_30default_config_static_selectorELNS0_4arch9wavefront6targetE0EEEvT1_.num_agpr, 0
	.set _ZN7rocprim17ROCPRIM_400000_NS6detail17trampoline_kernelINS0_14default_configENS1_27scan_by_key_config_selectorIisEEZZNS1_16scan_by_key_implILNS1_25lookback_scan_determinismE0ELb0ES3_N6thrust23THRUST_200600_302600_NS6detail15normal_iteratorINS9_10device_ptrIiEEEENSB_INSC_IsEEEESG_sNS9_4plusIvEENS9_8equal_toIvEEsEE10hipError_tPvRmT2_T3_T4_T5_mT6_T7_P12ihipStream_tbENKUlT_T0_E_clISt17integral_constantIbLb1EES11_EEDaSW_SX_EUlSW_E_NS1_11comp_targetILNS1_3genE8ELNS1_11target_archE1030ELNS1_3gpuE2ELNS1_3repE0EEENS1_30default_config_static_selectorELNS0_4arch9wavefront6targetE0EEEvT1_.numbered_sgpr, 0
	.set _ZN7rocprim17ROCPRIM_400000_NS6detail17trampoline_kernelINS0_14default_configENS1_27scan_by_key_config_selectorIisEEZZNS1_16scan_by_key_implILNS1_25lookback_scan_determinismE0ELb0ES3_N6thrust23THRUST_200600_302600_NS6detail15normal_iteratorINS9_10device_ptrIiEEEENSB_INSC_IsEEEESG_sNS9_4plusIvEENS9_8equal_toIvEEsEE10hipError_tPvRmT2_T3_T4_T5_mT6_T7_P12ihipStream_tbENKUlT_T0_E_clISt17integral_constantIbLb1EES11_EEDaSW_SX_EUlSW_E_NS1_11comp_targetILNS1_3genE8ELNS1_11target_archE1030ELNS1_3gpuE2ELNS1_3repE0EEENS1_30default_config_static_selectorELNS0_4arch9wavefront6targetE0EEEvT1_.num_named_barrier, 0
	.set _ZN7rocprim17ROCPRIM_400000_NS6detail17trampoline_kernelINS0_14default_configENS1_27scan_by_key_config_selectorIisEEZZNS1_16scan_by_key_implILNS1_25lookback_scan_determinismE0ELb0ES3_N6thrust23THRUST_200600_302600_NS6detail15normal_iteratorINS9_10device_ptrIiEEEENSB_INSC_IsEEEESG_sNS9_4plusIvEENS9_8equal_toIvEEsEE10hipError_tPvRmT2_T3_T4_T5_mT6_T7_P12ihipStream_tbENKUlT_T0_E_clISt17integral_constantIbLb1EES11_EEDaSW_SX_EUlSW_E_NS1_11comp_targetILNS1_3genE8ELNS1_11target_archE1030ELNS1_3gpuE2ELNS1_3repE0EEENS1_30default_config_static_selectorELNS0_4arch9wavefront6targetE0EEEvT1_.private_seg_size, 0
	.set _ZN7rocprim17ROCPRIM_400000_NS6detail17trampoline_kernelINS0_14default_configENS1_27scan_by_key_config_selectorIisEEZZNS1_16scan_by_key_implILNS1_25lookback_scan_determinismE0ELb0ES3_N6thrust23THRUST_200600_302600_NS6detail15normal_iteratorINS9_10device_ptrIiEEEENSB_INSC_IsEEEESG_sNS9_4plusIvEENS9_8equal_toIvEEsEE10hipError_tPvRmT2_T3_T4_T5_mT6_T7_P12ihipStream_tbENKUlT_T0_E_clISt17integral_constantIbLb1EES11_EEDaSW_SX_EUlSW_E_NS1_11comp_targetILNS1_3genE8ELNS1_11target_archE1030ELNS1_3gpuE2ELNS1_3repE0EEENS1_30default_config_static_selectorELNS0_4arch9wavefront6targetE0EEEvT1_.uses_vcc, 0
	.set _ZN7rocprim17ROCPRIM_400000_NS6detail17trampoline_kernelINS0_14default_configENS1_27scan_by_key_config_selectorIisEEZZNS1_16scan_by_key_implILNS1_25lookback_scan_determinismE0ELb0ES3_N6thrust23THRUST_200600_302600_NS6detail15normal_iteratorINS9_10device_ptrIiEEEENSB_INSC_IsEEEESG_sNS9_4plusIvEENS9_8equal_toIvEEsEE10hipError_tPvRmT2_T3_T4_T5_mT6_T7_P12ihipStream_tbENKUlT_T0_E_clISt17integral_constantIbLb1EES11_EEDaSW_SX_EUlSW_E_NS1_11comp_targetILNS1_3genE8ELNS1_11target_archE1030ELNS1_3gpuE2ELNS1_3repE0EEENS1_30default_config_static_selectorELNS0_4arch9wavefront6targetE0EEEvT1_.uses_flat_scratch, 0
	.set _ZN7rocprim17ROCPRIM_400000_NS6detail17trampoline_kernelINS0_14default_configENS1_27scan_by_key_config_selectorIisEEZZNS1_16scan_by_key_implILNS1_25lookback_scan_determinismE0ELb0ES3_N6thrust23THRUST_200600_302600_NS6detail15normal_iteratorINS9_10device_ptrIiEEEENSB_INSC_IsEEEESG_sNS9_4plusIvEENS9_8equal_toIvEEsEE10hipError_tPvRmT2_T3_T4_T5_mT6_T7_P12ihipStream_tbENKUlT_T0_E_clISt17integral_constantIbLb1EES11_EEDaSW_SX_EUlSW_E_NS1_11comp_targetILNS1_3genE8ELNS1_11target_archE1030ELNS1_3gpuE2ELNS1_3repE0EEENS1_30default_config_static_selectorELNS0_4arch9wavefront6targetE0EEEvT1_.has_dyn_sized_stack, 0
	.set _ZN7rocprim17ROCPRIM_400000_NS6detail17trampoline_kernelINS0_14default_configENS1_27scan_by_key_config_selectorIisEEZZNS1_16scan_by_key_implILNS1_25lookback_scan_determinismE0ELb0ES3_N6thrust23THRUST_200600_302600_NS6detail15normal_iteratorINS9_10device_ptrIiEEEENSB_INSC_IsEEEESG_sNS9_4plusIvEENS9_8equal_toIvEEsEE10hipError_tPvRmT2_T3_T4_T5_mT6_T7_P12ihipStream_tbENKUlT_T0_E_clISt17integral_constantIbLb1EES11_EEDaSW_SX_EUlSW_E_NS1_11comp_targetILNS1_3genE8ELNS1_11target_archE1030ELNS1_3gpuE2ELNS1_3repE0EEENS1_30default_config_static_selectorELNS0_4arch9wavefront6targetE0EEEvT1_.has_recursion, 0
	.set _ZN7rocprim17ROCPRIM_400000_NS6detail17trampoline_kernelINS0_14default_configENS1_27scan_by_key_config_selectorIisEEZZNS1_16scan_by_key_implILNS1_25lookback_scan_determinismE0ELb0ES3_N6thrust23THRUST_200600_302600_NS6detail15normal_iteratorINS9_10device_ptrIiEEEENSB_INSC_IsEEEESG_sNS9_4plusIvEENS9_8equal_toIvEEsEE10hipError_tPvRmT2_T3_T4_T5_mT6_T7_P12ihipStream_tbENKUlT_T0_E_clISt17integral_constantIbLb1EES11_EEDaSW_SX_EUlSW_E_NS1_11comp_targetILNS1_3genE8ELNS1_11target_archE1030ELNS1_3gpuE2ELNS1_3repE0EEENS1_30default_config_static_selectorELNS0_4arch9wavefront6targetE0EEEvT1_.has_indirect_call, 0
	.section	.AMDGPU.csdata,"",@progbits
; Kernel info:
; codeLenInByte = 4
; TotalNumSgprs: 0
; NumVgprs: 0
; ScratchSize: 0
; MemoryBound: 0
; FloatMode: 240
; IeeeMode: 1
; LDSByteSize: 0 bytes/workgroup (compile time only)
; SGPRBlocks: 0
; VGPRBlocks: 0
; NumSGPRsForWavesPerEU: 1
; NumVGPRsForWavesPerEU: 1
; Occupancy: 16
; WaveLimiterHint : 0
; COMPUTE_PGM_RSRC2:SCRATCH_EN: 0
; COMPUTE_PGM_RSRC2:USER_SGPR: 6
; COMPUTE_PGM_RSRC2:TRAP_HANDLER: 0
; COMPUTE_PGM_RSRC2:TGID_X_EN: 1
; COMPUTE_PGM_RSRC2:TGID_Y_EN: 0
; COMPUTE_PGM_RSRC2:TGID_Z_EN: 0
; COMPUTE_PGM_RSRC2:TIDIG_COMP_CNT: 0
	.section	.text._ZN7rocprim17ROCPRIM_400000_NS6detail30init_device_scan_by_key_kernelINS1_19lookback_scan_stateINS0_5tupleIJsbEEELb1ELb1EEEN6thrust23THRUST_200600_302600_NS6detail15normal_iteratorINS8_10device_ptrIiEEEEjNS1_16block_id_wrapperIjLb0EEEEEvT_jjPNSG_10value_typeET0_PNSt15iterator_traitsISJ_E10value_typeEmT1_T2_,"axG",@progbits,_ZN7rocprim17ROCPRIM_400000_NS6detail30init_device_scan_by_key_kernelINS1_19lookback_scan_stateINS0_5tupleIJsbEEELb1ELb1EEEN6thrust23THRUST_200600_302600_NS6detail15normal_iteratorINS8_10device_ptrIiEEEEjNS1_16block_id_wrapperIjLb0EEEEEvT_jjPNSG_10value_typeET0_PNSt15iterator_traitsISJ_E10value_typeEmT1_T2_,comdat
	.protected	_ZN7rocprim17ROCPRIM_400000_NS6detail30init_device_scan_by_key_kernelINS1_19lookback_scan_stateINS0_5tupleIJsbEEELb1ELb1EEEN6thrust23THRUST_200600_302600_NS6detail15normal_iteratorINS8_10device_ptrIiEEEEjNS1_16block_id_wrapperIjLb0EEEEEvT_jjPNSG_10value_typeET0_PNSt15iterator_traitsISJ_E10value_typeEmT1_T2_ ; -- Begin function _ZN7rocprim17ROCPRIM_400000_NS6detail30init_device_scan_by_key_kernelINS1_19lookback_scan_stateINS0_5tupleIJsbEEELb1ELb1EEEN6thrust23THRUST_200600_302600_NS6detail15normal_iteratorINS8_10device_ptrIiEEEEjNS1_16block_id_wrapperIjLb0EEEEEvT_jjPNSG_10value_typeET0_PNSt15iterator_traitsISJ_E10value_typeEmT1_T2_
	.globl	_ZN7rocprim17ROCPRIM_400000_NS6detail30init_device_scan_by_key_kernelINS1_19lookback_scan_stateINS0_5tupleIJsbEEELb1ELb1EEEN6thrust23THRUST_200600_302600_NS6detail15normal_iteratorINS8_10device_ptrIiEEEEjNS1_16block_id_wrapperIjLb0EEEEEvT_jjPNSG_10value_typeET0_PNSt15iterator_traitsISJ_E10value_typeEmT1_T2_
	.p2align	8
	.type	_ZN7rocprim17ROCPRIM_400000_NS6detail30init_device_scan_by_key_kernelINS1_19lookback_scan_stateINS0_5tupleIJsbEEELb1ELb1EEEN6thrust23THRUST_200600_302600_NS6detail15normal_iteratorINS8_10device_ptrIiEEEEjNS1_16block_id_wrapperIjLb0EEEEEvT_jjPNSG_10value_typeET0_PNSt15iterator_traitsISJ_E10value_typeEmT1_T2_,@function
_ZN7rocprim17ROCPRIM_400000_NS6detail30init_device_scan_by_key_kernelINS1_19lookback_scan_stateINS0_5tupleIJsbEEELb1ELb1EEEN6thrust23THRUST_200600_302600_NS6detail15normal_iteratorINS8_10device_ptrIiEEEEjNS1_16block_id_wrapperIjLb0EEEEEvT_jjPNSG_10value_typeET0_PNSt15iterator_traitsISJ_E10value_typeEmT1_T2_: ; @_ZN7rocprim17ROCPRIM_400000_NS6detail30init_device_scan_by_key_kernelINS1_19lookback_scan_stateINS0_5tupleIJsbEEELb1ELb1EEEN6thrust23THRUST_200600_302600_NS6detail15normal_iteratorINS8_10device_ptrIiEEEEjNS1_16block_id_wrapperIjLb0EEEEEvT_jjPNSG_10value_typeET0_PNSt15iterator_traitsISJ_E10value_typeEmT1_T2_
; %bb.0:
	s_clause 0x2
	s_load_dword s0, s[4:5], 0x44
	s_load_dwordx8 s[8:15], s[4:5], 0x0
	s_load_dword s7, s[4:5], 0x38
	s_waitcnt lgkmcnt(0)
	s_and_b32 s16, s0, 0xffff
	s_cmp_eq_u64 s[12:13], 0
	v_mad_u64_u32 v[0:1], null, s6, s16, v[0:1]
	s_cbranch_scc1 .LBB1371_9
; %bb.1:
	s_cmp_lt_u32 s11, s10
	s_mov_b32 s1, 0
	s_cselect_b32 s0, s11, 0
	s_mov_b32 s2, exec_lo
	v_cmpx_eq_u32_e64 s0, v0
	s_cbranch_execz .LBB1371_8
; %bb.2:
	s_add_i32 s0, s11, 32
	v_mov_b32_e32 v1, 0
	s_lshl_b64 s[0:1], s[0:1], 3
	s_add_u32 s0, s8, s0
	s_addc_u32 s1, s9, s1
	global_load_dwordx2 v[3:4], v1, s[0:1] glc dlc
	s_waitcnt vmcnt(0)
	v_and_b32_e32 v2, 0xff, v4
	v_cmp_ne_u64_e32 vcc_lo, 0, v[1:2]
	s_cbranch_vccnz .LBB1371_7
; %bb.3:
	s_mov_b32 s3, 1
.LBB1371_4:                             ; =>This Loop Header: Depth=1
                                        ;     Child Loop BB1371_5 Depth 2
	s_mov_b32 s6, s3
.LBB1371_5:                             ;   Parent Loop BB1371_4 Depth=1
                                        ; =>  This Inner Loop Header: Depth=2
	s_add_i32 s6, s6, -1
	s_sleep 1
	s_cmp_eq_u32 s6, 0
	s_cbranch_scc0 .LBB1371_5
; %bb.6:                                ;   in Loop: Header=BB1371_4 Depth=1
	global_load_dwordx2 v[3:4], v1, s[0:1] glc dlc
	s_cmp_lt_u32 s3, 32
	s_cselect_b32 s6, -1, 0
	s_cmp_lg_u32 s6, 0
	s_addc_u32 s3, s3, 0
	s_waitcnt vmcnt(0)
	v_and_b32_e32 v2, 0xff, v4
	v_cmp_ne_u64_e32 vcc_lo, 0, v[1:2]
	s_cbranch_vccz .LBB1371_4
.LBB1371_7:
	v_mov_b32_e32 v1, 0
	global_store_short v1, v3, s[12:13]
	global_store_byte_d16_hi v1, v3, s[12:13] offset:2
.LBB1371_8:
	s_or_b32 exec_lo, exec_lo, s2
.LBB1371_9:
	s_mov_b32 s0, exec_lo
	v_cmpx_gt_u32_e64 s10, v0
	s_cbranch_execz .LBB1371_11
; %bb.10:
	v_add_nc_u32_e32 v1, 32, v0
	v_mov_b32_e32 v2, 0
	v_lshlrev_b64 v[3:4], 3, v[1:2]
	v_mov_b32_e32 v1, v2
	v_add_co_u32 v3, vcc_lo, s8, v3
	v_add_co_ci_u32_e64 v4, null, s9, v4, vcc_lo
	global_store_dwordx2 v[3:4], v[1:2], off
.LBB1371_11:
	s_or_b32 exec_lo, exec_lo, s0
	v_mov_b32_e32 v1, 0
	s_mov_b32 s0, exec_lo
	v_cmpx_gt_u32_e32 32, v0
	s_cbranch_execz .LBB1371_13
; %bb.12:
	v_lshlrev_b64 v[2:3], 3, v[0:1]
	v_mov_b32_e32 v4, 0xff
	v_add_co_u32 v5, vcc_lo, s8, v2
	v_add_co_ci_u32_e64 v6, null, s9, v3, vcc_lo
	v_mov_b32_e32 v3, v1
	global_store_dwordx2 v[5:6], v[3:4], off
.LBB1371_13:
	s_or_b32 exec_lo, exec_lo, s0
	s_load_dwordx2 s[2:3], s[4:5], 0x28
	s_mov_b32 s0, exec_lo
	s_waitcnt lgkmcnt(0)
	v_cmpx_gt_u64_e64 s[2:3], v[0:1]
	s_cbranch_execz .LBB1371_16
; %bb.14:
	s_clause 0x1
	s_load_dword s6, s[4:5], 0x30
	s_load_dwordx2 s[8:9], s[4:5], 0x20
	s_mov_b32 s1, 0
	v_lshlrev_b64 v[4:5], 2, v[0:1]
	s_mul_i32 s4, s7, s16
	s_waitcnt lgkmcnt(0)
	v_mad_u64_u32 v[2:3], null, s6, v0, 0
	s_add_i32 s0, s6, -1
	s_mul_hi_u32 s7, s6, s4
	s_lshl_b64 s[10:11], s[0:1], 2
	s_mul_i32 s6, s6, s4
	s_add_u32 s0, s14, s10
	s_addc_u32 s5, s15, s11
	v_lshlrev_b64 v[2:3], 2, v[2:3]
	s_lshl_b64 s[6:7], s[6:7], 2
	v_add_co_u32 v2, vcc_lo, s0, v2
	v_add_co_ci_u32_e64 v3, null, s5, v3, vcc_lo
	v_add_co_u32 v4, vcc_lo, s8, v4
	v_add_co_ci_u32_e64 v5, null, s9, v5, vcc_lo
	s_mov_b32 s5, s1
	s_lshl_b64 s[8:9], s[4:5], 2
	.p2align	6
.LBB1371_15:                            ; =>This Inner Loop Header: Depth=1
	global_load_dword v6, v[2:3], off
	v_add_co_u32 v0, vcc_lo, v0, s4
	v_add_co_ci_u32_e64 v1, null, 0, v1, vcc_lo
	v_add_co_u32 v2, vcc_lo, v2, s6
	v_add_co_ci_u32_e64 v3, null, s7, v3, vcc_lo
	v_cmp_le_u64_e32 vcc_lo, s[2:3], v[0:1]
	s_or_b32 s1, vcc_lo, s1
	s_waitcnt vmcnt(0)
	global_store_dword v[4:5], v6, off
	v_add_co_u32 v4, s0, v4, s8
	v_add_co_ci_u32_e64 v5, null, s9, v5, s0
	s_andn2_b32 exec_lo, exec_lo, s1
	s_cbranch_execnz .LBB1371_15
.LBB1371_16:
	s_endpgm
	.section	.rodata,"a",@progbits
	.p2align	6, 0x0
	.amdhsa_kernel _ZN7rocprim17ROCPRIM_400000_NS6detail30init_device_scan_by_key_kernelINS1_19lookback_scan_stateINS0_5tupleIJsbEEELb1ELb1EEEN6thrust23THRUST_200600_302600_NS6detail15normal_iteratorINS8_10device_ptrIiEEEEjNS1_16block_id_wrapperIjLb0EEEEEvT_jjPNSG_10value_typeET0_PNSt15iterator_traitsISJ_E10value_typeEmT1_T2_
		.amdhsa_group_segment_fixed_size 0
		.amdhsa_private_segment_fixed_size 0
		.amdhsa_kernarg_size 312
		.amdhsa_user_sgpr_count 6
		.amdhsa_user_sgpr_private_segment_buffer 1
		.amdhsa_user_sgpr_dispatch_ptr 0
		.amdhsa_user_sgpr_queue_ptr 0
		.amdhsa_user_sgpr_kernarg_segment_ptr 1
		.amdhsa_user_sgpr_dispatch_id 0
		.amdhsa_user_sgpr_flat_scratch_init 0
		.amdhsa_user_sgpr_private_segment_size 0
		.amdhsa_wavefront_size32 1
		.amdhsa_uses_dynamic_stack 0
		.amdhsa_system_sgpr_private_segment_wavefront_offset 0
		.amdhsa_system_sgpr_workgroup_id_x 1
		.amdhsa_system_sgpr_workgroup_id_y 0
		.amdhsa_system_sgpr_workgroup_id_z 0
		.amdhsa_system_sgpr_workgroup_info 0
		.amdhsa_system_vgpr_workitem_id 0
		.amdhsa_next_free_vgpr 7
		.amdhsa_next_free_sgpr 17
		.amdhsa_reserve_vcc 1
		.amdhsa_reserve_flat_scratch 0
		.amdhsa_float_round_mode_32 0
		.amdhsa_float_round_mode_16_64 0
		.amdhsa_float_denorm_mode_32 3
		.amdhsa_float_denorm_mode_16_64 3
		.amdhsa_dx10_clamp 1
		.amdhsa_ieee_mode 1
		.amdhsa_fp16_overflow 0
		.amdhsa_workgroup_processor_mode 1
		.amdhsa_memory_ordered 1
		.amdhsa_forward_progress 1
		.amdhsa_shared_vgpr_count 0
		.amdhsa_exception_fp_ieee_invalid_op 0
		.amdhsa_exception_fp_denorm_src 0
		.amdhsa_exception_fp_ieee_div_zero 0
		.amdhsa_exception_fp_ieee_overflow 0
		.amdhsa_exception_fp_ieee_underflow 0
		.amdhsa_exception_fp_ieee_inexact 0
		.amdhsa_exception_int_div_zero 0
	.end_amdhsa_kernel
	.section	.text._ZN7rocprim17ROCPRIM_400000_NS6detail30init_device_scan_by_key_kernelINS1_19lookback_scan_stateINS0_5tupleIJsbEEELb1ELb1EEEN6thrust23THRUST_200600_302600_NS6detail15normal_iteratorINS8_10device_ptrIiEEEEjNS1_16block_id_wrapperIjLb0EEEEEvT_jjPNSG_10value_typeET0_PNSt15iterator_traitsISJ_E10value_typeEmT1_T2_,"axG",@progbits,_ZN7rocprim17ROCPRIM_400000_NS6detail30init_device_scan_by_key_kernelINS1_19lookback_scan_stateINS0_5tupleIJsbEEELb1ELb1EEEN6thrust23THRUST_200600_302600_NS6detail15normal_iteratorINS8_10device_ptrIiEEEEjNS1_16block_id_wrapperIjLb0EEEEEvT_jjPNSG_10value_typeET0_PNSt15iterator_traitsISJ_E10value_typeEmT1_T2_,comdat
.Lfunc_end1371:
	.size	_ZN7rocprim17ROCPRIM_400000_NS6detail30init_device_scan_by_key_kernelINS1_19lookback_scan_stateINS0_5tupleIJsbEEELb1ELb1EEEN6thrust23THRUST_200600_302600_NS6detail15normal_iteratorINS8_10device_ptrIiEEEEjNS1_16block_id_wrapperIjLb0EEEEEvT_jjPNSG_10value_typeET0_PNSt15iterator_traitsISJ_E10value_typeEmT1_T2_, .Lfunc_end1371-_ZN7rocprim17ROCPRIM_400000_NS6detail30init_device_scan_by_key_kernelINS1_19lookback_scan_stateINS0_5tupleIJsbEEELb1ELb1EEEN6thrust23THRUST_200600_302600_NS6detail15normal_iteratorINS8_10device_ptrIiEEEEjNS1_16block_id_wrapperIjLb0EEEEEvT_jjPNSG_10value_typeET0_PNSt15iterator_traitsISJ_E10value_typeEmT1_T2_
                                        ; -- End function
	.set _ZN7rocprim17ROCPRIM_400000_NS6detail30init_device_scan_by_key_kernelINS1_19lookback_scan_stateINS0_5tupleIJsbEEELb1ELb1EEEN6thrust23THRUST_200600_302600_NS6detail15normal_iteratorINS8_10device_ptrIiEEEEjNS1_16block_id_wrapperIjLb0EEEEEvT_jjPNSG_10value_typeET0_PNSt15iterator_traitsISJ_E10value_typeEmT1_T2_.num_vgpr, 7
	.set _ZN7rocprim17ROCPRIM_400000_NS6detail30init_device_scan_by_key_kernelINS1_19lookback_scan_stateINS0_5tupleIJsbEEELb1ELb1EEEN6thrust23THRUST_200600_302600_NS6detail15normal_iteratorINS8_10device_ptrIiEEEEjNS1_16block_id_wrapperIjLb0EEEEEvT_jjPNSG_10value_typeET0_PNSt15iterator_traitsISJ_E10value_typeEmT1_T2_.num_agpr, 0
	.set _ZN7rocprim17ROCPRIM_400000_NS6detail30init_device_scan_by_key_kernelINS1_19lookback_scan_stateINS0_5tupleIJsbEEELb1ELb1EEEN6thrust23THRUST_200600_302600_NS6detail15normal_iteratorINS8_10device_ptrIiEEEEjNS1_16block_id_wrapperIjLb0EEEEEvT_jjPNSG_10value_typeET0_PNSt15iterator_traitsISJ_E10value_typeEmT1_T2_.numbered_sgpr, 17
	.set _ZN7rocprim17ROCPRIM_400000_NS6detail30init_device_scan_by_key_kernelINS1_19lookback_scan_stateINS0_5tupleIJsbEEELb1ELb1EEEN6thrust23THRUST_200600_302600_NS6detail15normal_iteratorINS8_10device_ptrIiEEEEjNS1_16block_id_wrapperIjLb0EEEEEvT_jjPNSG_10value_typeET0_PNSt15iterator_traitsISJ_E10value_typeEmT1_T2_.num_named_barrier, 0
	.set _ZN7rocprim17ROCPRIM_400000_NS6detail30init_device_scan_by_key_kernelINS1_19lookback_scan_stateINS0_5tupleIJsbEEELb1ELb1EEEN6thrust23THRUST_200600_302600_NS6detail15normal_iteratorINS8_10device_ptrIiEEEEjNS1_16block_id_wrapperIjLb0EEEEEvT_jjPNSG_10value_typeET0_PNSt15iterator_traitsISJ_E10value_typeEmT1_T2_.private_seg_size, 0
	.set _ZN7rocprim17ROCPRIM_400000_NS6detail30init_device_scan_by_key_kernelINS1_19lookback_scan_stateINS0_5tupleIJsbEEELb1ELb1EEEN6thrust23THRUST_200600_302600_NS6detail15normal_iteratorINS8_10device_ptrIiEEEEjNS1_16block_id_wrapperIjLb0EEEEEvT_jjPNSG_10value_typeET0_PNSt15iterator_traitsISJ_E10value_typeEmT1_T2_.uses_vcc, 1
	.set _ZN7rocprim17ROCPRIM_400000_NS6detail30init_device_scan_by_key_kernelINS1_19lookback_scan_stateINS0_5tupleIJsbEEELb1ELb1EEEN6thrust23THRUST_200600_302600_NS6detail15normal_iteratorINS8_10device_ptrIiEEEEjNS1_16block_id_wrapperIjLb0EEEEEvT_jjPNSG_10value_typeET0_PNSt15iterator_traitsISJ_E10value_typeEmT1_T2_.uses_flat_scratch, 0
	.set _ZN7rocprim17ROCPRIM_400000_NS6detail30init_device_scan_by_key_kernelINS1_19lookback_scan_stateINS0_5tupleIJsbEEELb1ELb1EEEN6thrust23THRUST_200600_302600_NS6detail15normal_iteratorINS8_10device_ptrIiEEEEjNS1_16block_id_wrapperIjLb0EEEEEvT_jjPNSG_10value_typeET0_PNSt15iterator_traitsISJ_E10value_typeEmT1_T2_.has_dyn_sized_stack, 0
	.set _ZN7rocprim17ROCPRIM_400000_NS6detail30init_device_scan_by_key_kernelINS1_19lookback_scan_stateINS0_5tupleIJsbEEELb1ELb1EEEN6thrust23THRUST_200600_302600_NS6detail15normal_iteratorINS8_10device_ptrIiEEEEjNS1_16block_id_wrapperIjLb0EEEEEvT_jjPNSG_10value_typeET0_PNSt15iterator_traitsISJ_E10value_typeEmT1_T2_.has_recursion, 0
	.set _ZN7rocprim17ROCPRIM_400000_NS6detail30init_device_scan_by_key_kernelINS1_19lookback_scan_stateINS0_5tupleIJsbEEELb1ELb1EEEN6thrust23THRUST_200600_302600_NS6detail15normal_iteratorINS8_10device_ptrIiEEEEjNS1_16block_id_wrapperIjLb0EEEEEvT_jjPNSG_10value_typeET0_PNSt15iterator_traitsISJ_E10value_typeEmT1_T2_.has_indirect_call, 0
	.section	.AMDGPU.csdata,"",@progbits
; Kernel info:
; codeLenInByte = 600
; TotalNumSgprs: 19
; NumVgprs: 7
; ScratchSize: 0
; MemoryBound: 0
; FloatMode: 240
; IeeeMode: 1
; LDSByteSize: 0 bytes/workgroup (compile time only)
; SGPRBlocks: 0
; VGPRBlocks: 0
; NumSGPRsForWavesPerEU: 19
; NumVGPRsForWavesPerEU: 7
; Occupancy: 16
; WaveLimiterHint : 0
; COMPUTE_PGM_RSRC2:SCRATCH_EN: 0
; COMPUTE_PGM_RSRC2:USER_SGPR: 6
; COMPUTE_PGM_RSRC2:TRAP_HANDLER: 0
; COMPUTE_PGM_RSRC2:TGID_X_EN: 1
; COMPUTE_PGM_RSRC2:TGID_Y_EN: 0
; COMPUTE_PGM_RSRC2:TGID_Z_EN: 0
; COMPUTE_PGM_RSRC2:TIDIG_COMP_CNT: 0
	.section	.text._ZN7rocprim17ROCPRIM_400000_NS6detail17trampoline_kernelINS0_14default_configENS1_27scan_by_key_config_selectorIisEEZZNS1_16scan_by_key_implILNS1_25lookback_scan_determinismE0ELb0ES3_N6thrust23THRUST_200600_302600_NS6detail15normal_iteratorINS9_10device_ptrIiEEEENSB_INSC_IsEEEESG_sNS9_4plusIvEENS9_8equal_toIvEEsEE10hipError_tPvRmT2_T3_T4_T5_mT6_T7_P12ihipStream_tbENKUlT_T0_E_clISt17integral_constantIbLb1EES10_IbLb0EEEEDaSW_SX_EUlSW_E_NS1_11comp_targetILNS1_3genE0ELNS1_11target_archE4294967295ELNS1_3gpuE0ELNS1_3repE0EEENS1_30default_config_static_selectorELNS0_4arch9wavefront6targetE0EEEvT1_,"axG",@progbits,_ZN7rocprim17ROCPRIM_400000_NS6detail17trampoline_kernelINS0_14default_configENS1_27scan_by_key_config_selectorIisEEZZNS1_16scan_by_key_implILNS1_25lookback_scan_determinismE0ELb0ES3_N6thrust23THRUST_200600_302600_NS6detail15normal_iteratorINS9_10device_ptrIiEEEENSB_INSC_IsEEEESG_sNS9_4plusIvEENS9_8equal_toIvEEsEE10hipError_tPvRmT2_T3_T4_T5_mT6_T7_P12ihipStream_tbENKUlT_T0_E_clISt17integral_constantIbLb1EES10_IbLb0EEEEDaSW_SX_EUlSW_E_NS1_11comp_targetILNS1_3genE0ELNS1_11target_archE4294967295ELNS1_3gpuE0ELNS1_3repE0EEENS1_30default_config_static_selectorELNS0_4arch9wavefront6targetE0EEEvT1_,comdat
	.protected	_ZN7rocprim17ROCPRIM_400000_NS6detail17trampoline_kernelINS0_14default_configENS1_27scan_by_key_config_selectorIisEEZZNS1_16scan_by_key_implILNS1_25lookback_scan_determinismE0ELb0ES3_N6thrust23THRUST_200600_302600_NS6detail15normal_iteratorINS9_10device_ptrIiEEEENSB_INSC_IsEEEESG_sNS9_4plusIvEENS9_8equal_toIvEEsEE10hipError_tPvRmT2_T3_T4_T5_mT6_T7_P12ihipStream_tbENKUlT_T0_E_clISt17integral_constantIbLb1EES10_IbLb0EEEEDaSW_SX_EUlSW_E_NS1_11comp_targetILNS1_3genE0ELNS1_11target_archE4294967295ELNS1_3gpuE0ELNS1_3repE0EEENS1_30default_config_static_selectorELNS0_4arch9wavefront6targetE0EEEvT1_ ; -- Begin function _ZN7rocprim17ROCPRIM_400000_NS6detail17trampoline_kernelINS0_14default_configENS1_27scan_by_key_config_selectorIisEEZZNS1_16scan_by_key_implILNS1_25lookback_scan_determinismE0ELb0ES3_N6thrust23THRUST_200600_302600_NS6detail15normal_iteratorINS9_10device_ptrIiEEEENSB_INSC_IsEEEESG_sNS9_4plusIvEENS9_8equal_toIvEEsEE10hipError_tPvRmT2_T3_T4_T5_mT6_T7_P12ihipStream_tbENKUlT_T0_E_clISt17integral_constantIbLb1EES10_IbLb0EEEEDaSW_SX_EUlSW_E_NS1_11comp_targetILNS1_3genE0ELNS1_11target_archE4294967295ELNS1_3gpuE0ELNS1_3repE0EEENS1_30default_config_static_selectorELNS0_4arch9wavefront6targetE0EEEvT1_
	.globl	_ZN7rocprim17ROCPRIM_400000_NS6detail17trampoline_kernelINS0_14default_configENS1_27scan_by_key_config_selectorIisEEZZNS1_16scan_by_key_implILNS1_25lookback_scan_determinismE0ELb0ES3_N6thrust23THRUST_200600_302600_NS6detail15normal_iteratorINS9_10device_ptrIiEEEENSB_INSC_IsEEEESG_sNS9_4plusIvEENS9_8equal_toIvEEsEE10hipError_tPvRmT2_T3_T4_T5_mT6_T7_P12ihipStream_tbENKUlT_T0_E_clISt17integral_constantIbLb1EES10_IbLb0EEEEDaSW_SX_EUlSW_E_NS1_11comp_targetILNS1_3genE0ELNS1_11target_archE4294967295ELNS1_3gpuE0ELNS1_3repE0EEENS1_30default_config_static_selectorELNS0_4arch9wavefront6targetE0EEEvT1_
	.p2align	8
	.type	_ZN7rocprim17ROCPRIM_400000_NS6detail17trampoline_kernelINS0_14default_configENS1_27scan_by_key_config_selectorIisEEZZNS1_16scan_by_key_implILNS1_25lookback_scan_determinismE0ELb0ES3_N6thrust23THRUST_200600_302600_NS6detail15normal_iteratorINS9_10device_ptrIiEEEENSB_INSC_IsEEEESG_sNS9_4plusIvEENS9_8equal_toIvEEsEE10hipError_tPvRmT2_T3_T4_T5_mT6_T7_P12ihipStream_tbENKUlT_T0_E_clISt17integral_constantIbLb1EES10_IbLb0EEEEDaSW_SX_EUlSW_E_NS1_11comp_targetILNS1_3genE0ELNS1_11target_archE4294967295ELNS1_3gpuE0ELNS1_3repE0EEENS1_30default_config_static_selectorELNS0_4arch9wavefront6targetE0EEEvT1_,@function
_ZN7rocprim17ROCPRIM_400000_NS6detail17trampoline_kernelINS0_14default_configENS1_27scan_by_key_config_selectorIisEEZZNS1_16scan_by_key_implILNS1_25lookback_scan_determinismE0ELb0ES3_N6thrust23THRUST_200600_302600_NS6detail15normal_iteratorINS9_10device_ptrIiEEEENSB_INSC_IsEEEESG_sNS9_4plusIvEENS9_8equal_toIvEEsEE10hipError_tPvRmT2_T3_T4_T5_mT6_T7_P12ihipStream_tbENKUlT_T0_E_clISt17integral_constantIbLb1EES10_IbLb0EEEEDaSW_SX_EUlSW_E_NS1_11comp_targetILNS1_3genE0ELNS1_11target_archE4294967295ELNS1_3gpuE0ELNS1_3repE0EEENS1_30default_config_static_selectorELNS0_4arch9wavefront6targetE0EEEvT1_: ; @_ZN7rocprim17ROCPRIM_400000_NS6detail17trampoline_kernelINS0_14default_configENS1_27scan_by_key_config_selectorIisEEZZNS1_16scan_by_key_implILNS1_25lookback_scan_determinismE0ELb0ES3_N6thrust23THRUST_200600_302600_NS6detail15normal_iteratorINS9_10device_ptrIiEEEENSB_INSC_IsEEEESG_sNS9_4plusIvEENS9_8equal_toIvEEsEE10hipError_tPvRmT2_T3_T4_T5_mT6_T7_P12ihipStream_tbENKUlT_T0_E_clISt17integral_constantIbLb1EES10_IbLb0EEEEDaSW_SX_EUlSW_E_NS1_11comp_targetILNS1_3genE0ELNS1_11target_archE4294967295ELNS1_3gpuE0ELNS1_3repE0EEENS1_30default_config_static_selectorELNS0_4arch9wavefront6targetE0EEEvT1_
; %bb.0:
	.section	.rodata,"a",@progbits
	.p2align	6, 0x0
	.amdhsa_kernel _ZN7rocprim17ROCPRIM_400000_NS6detail17trampoline_kernelINS0_14default_configENS1_27scan_by_key_config_selectorIisEEZZNS1_16scan_by_key_implILNS1_25lookback_scan_determinismE0ELb0ES3_N6thrust23THRUST_200600_302600_NS6detail15normal_iteratorINS9_10device_ptrIiEEEENSB_INSC_IsEEEESG_sNS9_4plusIvEENS9_8equal_toIvEEsEE10hipError_tPvRmT2_T3_T4_T5_mT6_T7_P12ihipStream_tbENKUlT_T0_E_clISt17integral_constantIbLb1EES10_IbLb0EEEEDaSW_SX_EUlSW_E_NS1_11comp_targetILNS1_3genE0ELNS1_11target_archE4294967295ELNS1_3gpuE0ELNS1_3repE0EEENS1_30default_config_static_selectorELNS0_4arch9wavefront6targetE0EEEvT1_
		.amdhsa_group_segment_fixed_size 0
		.amdhsa_private_segment_fixed_size 0
		.amdhsa_kernarg_size 112
		.amdhsa_user_sgpr_count 6
		.amdhsa_user_sgpr_private_segment_buffer 1
		.amdhsa_user_sgpr_dispatch_ptr 0
		.amdhsa_user_sgpr_queue_ptr 0
		.amdhsa_user_sgpr_kernarg_segment_ptr 1
		.amdhsa_user_sgpr_dispatch_id 0
		.amdhsa_user_sgpr_flat_scratch_init 0
		.amdhsa_user_sgpr_private_segment_size 0
		.amdhsa_wavefront_size32 1
		.amdhsa_uses_dynamic_stack 0
		.amdhsa_system_sgpr_private_segment_wavefront_offset 0
		.amdhsa_system_sgpr_workgroup_id_x 1
		.amdhsa_system_sgpr_workgroup_id_y 0
		.amdhsa_system_sgpr_workgroup_id_z 0
		.amdhsa_system_sgpr_workgroup_info 0
		.amdhsa_system_vgpr_workitem_id 0
		.amdhsa_next_free_vgpr 1
		.amdhsa_next_free_sgpr 1
		.amdhsa_reserve_vcc 0
		.amdhsa_reserve_flat_scratch 0
		.amdhsa_float_round_mode_32 0
		.amdhsa_float_round_mode_16_64 0
		.amdhsa_float_denorm_mode_32 3
		.amdhsa_float_denorm_mode_16_64 3
		.amdhsa_dx10_clamp 1
		.amdhsa_ieee_mode 1
		.amdhsa_fp16_overflow 0
		.amdhsa_workgroup_processor_mode 1
		.amdhsa_memory_ordered 1
		.amdhsa_forward_progress 1
		.amdhsa_shared_vgpr_count 0
		.amdhsa_exception_fp_ieee_invalid_op 0
		.amdhsa_exception_fp_denorm_src 0
		.amdhsa_exception_fp_ieee_div_zero 0
		.amdhsa_exception_fp_ieee_overflow 0
		.amdhsa_exception_fp_ieee_underflow 0
		.amdhsa_exception_fp_ieee_inexact 0
		.amdhsa_exception_int_div_zero 0
	.end_amdhsa_kernel
	.section	.text._ZN7rocprim17ROCPRIM_400000_NS6detail17trampoline_kernelINS0_14default_configENS1_27scan_by_key_config_selectorIisEEZZNS1_16scan_by_key_implILNS1_25lookback_scan_determinismE0ELb0ES3_N6thrust23THRUST_200600_302600_NS6detail15normal_iteratorINS9_10device_ptrIiEEEENSB_INSC_IsEEEESG_sNS9_4plusIvEENS9_8equal_toIvEEsEE10hipError_tPvRmT2_T3_T4_T5_mT6_T7_P12ihipStream_tbENKUlT_T0_E_clISt17integral_constantIbLb1EES10_IbLb0EEEEDaSW_SX_EUlSW_E_NS1_11comp_targetILNS1_3genE0ELNS1_11target_archE4294967295ELNS1_3gpuE0ELNS1_3repE0EEENS1_30default_config_static_selectorELNS0_4arch9wavefront6targetE0EEEvT1_,"axG",@progbits,_ZN7rocprim17ROCPRIM_400000_NS6detail17trampoline_kernelINS0_14default_configENS1_27scan_by_key_config_selectorIisEEZZNS1_16scan_by_key_implILNS1_25lookback_scan_determinismE0ELb0ES3_N6thrust23THRUST_200600_302600_NS6detail15normal_iteratorINS9_10device_ptrIiEEEENSB_INSC_IsEEEESG_sNS9_4plusIvEENS9_8equal_toIvEEsEE10hipError_tPvRmT2_T3_T4_T5_mT6_T7_P12ihipStream_tbENKUlT_T0_E_clISt17integral_constantIbLb1EES10_IbLb0EEEEDaSW_SX_EUlSW_E_NS1_11comp_targetILNS1_3genE0ELNS1_11target_archE4294967295ELNS1_3gpuE0ELNS1_3repE0EEENS1_30default_config_static_selectorELNS0_4arch9wavefront6targetE0EEEvT1_,comdat
.Lfunc_end1372:
	.size	_ZN7rocprim17ROCPRIM_400000_NS6detail17trampoline_kernelINS0_14default_configENS1_27scan_by_key_config_selectorIisEEZZNS1_16scan_by_key_implILNS1_25lookback_scan_determinismE0ELb0ES3_N6thrust23THRUST_200600_302600_NS6detail15normal_iteratorINS9_10device_ptrIiEEEENSB_INSC_IsEEEESG_sNS9_4plusIvEENS9_8equal_toIvEEsEE10hipError_tPvRmT2_T3_T4_T5_mT6_T7_P12ihipStream_tbENKUlT_T0_E_clISt17integral_constantIbLb1EES10_IbLb0EEEEDaSW_SX_EUlSW_E_NS1_11comp_targetILNS1_3genE0ELNS1_11target_archE4294967295ELNS1_3gpuE0ELNS1_3repE0EEENS1_30default_config_static_selectorELNS0_4arch9wavefront6targetE0EEEvT1_, .Lfunc_end1372-_ZN7rocprim17ROCPRIM_400000_NS6detail17trampoline_kernelINS0_14default_configENS1_27scan_by_key_config_selectorIisEEZZNS1_16scan_by_key_implILNS1_25lookback_scan_determinismE0ELb0ES3_N6thrust23THRUST_200600_302600_NS6detail15normal_iteratorINS9_10device_ptrIiEEEENSB_INSC_IsEEEESG_sNS9_4plusIvEENS9_8equal_toIvEEsEE10hipError_tPvRmT2_T3_T4_T5_mT6_T7_P12ihipStream_tbENKUlT_T0_E_clISt17integral_constantIbLb1EES10_IbLb0EEEEDaSW_SX_EUlSW_E_NS1_11comp_targetILNS1_3genE0ELNS1_11target_archE4294967295ELNS1_3gpuE0ELNS1_3repE0EEENS1_30default_config_static_selectorELNS0_4arch9wavefront6targetE0EEEvT1_
                                        ; -- End function
	.set _ZN7rocprim17ROCPRIM_400000_NS6detail17trampoline_kernelINS0_14default_configENS1_27scan_by_key_config_selectorIisEEZZNS1_16scan_by_key_implILNS1_25lookback_scan_determinismE0ELb0ES3_N6thrust23THRUST_200600_302600_NS6detail15normal_iteratorINS9_10device_ptrIiEEEENSB_INSC_IsEEEESG_sNS9_4plusIvEENS9_8equal_toIvEEsEE10hipError_tPvRmT2_T3_T4_T5_mT6_T7_P12ihipStream_tbENKUlT_T0_E_clISt17integral_constantIbLb1EES10_IbLb0EEEEDaSW_SX_EUlSW_E_NS1_11comp_targetILNS1_3genE0ELNS1_11target_archE4294967295ELNS1_3gpuE0ELNS1_3repE0EEENS1_30default_config_static_selectorELNS0_4arch9wavefront6targetE0EEEvT1_.num_vgpr, 0
	.set _ZN7rocprim17ROCPRIM_400000_NS6detail17trampoline_kernelINS0_14default_configENS1_27scan_by_key_config_selectorIisEEZZNS1_16scan_by_key_implILNS1_25lookback_scan_determinismE0ELb0ES3_N6thrust23THRUST_200600_302600_NS6detail15normal_iteratorINS9_10device_ptrIiEEEENSB_INSC_IsEEEESG_sNS9_4plusIvEENS9_8equal_toIvEEsEE10hipError_tPvRmT2_T3_T4_T5_mT6_T7_P12ihipStream_tbENKUlT_T0_E_clISt17integral_constantIbLb1EES10_IbLb0EEEEDaSW_SX_EUlSW_E_NS1_11comp_targetILNS1_3genE0ELNS1_11target_archE4294967295ELNS1_3gpuE0ELNS1_3repE0EEENS1_30default_config_static_selectorELNS0_4arch9wavefront6targetE0EEEvT1_.num_agpr, 0
	.set _ZN7rocprim17ROCPRIM_400000_NS6detail17trampoline_kernelINS0_14default_configENS1_27scan_by_key_config_selectorIisEEZZNS1_16scan_by_key_implILNS1_25lookback_scan_determinismE0ELb0ES3_N6thrust23THRUST_200600_302600_NS6detail15normal_iteratorINS9_10device_ptrIiEEEENSB_INSC_IsEEEESG_sNS9_4plusIvEENS9_8equal_toIvEEsEE10hipError_tPvRmT2_T3_T4_T5_mT6_T7_P12ihipStream_tbENKUlT_T0_E_clISt17integral_constantIbLb1EES10_IbLb0EEEEDaSW_SX_EUlSW_E_NS1_11comp_targetILNS1_3genE0ELNS1_11target_archE4294967295ELNS1_3gpuE0ELNS1_3repE0EEENS1_30default_config_static_selectorELNS0_4arch9wavefront6targetE0EEEvT1_.numbered_sgpr, 0
	.set _ZN7rocprim17ROCPRIM_400000_NS6detail17trampoline_kernelINS0_14default_configENS1_27scan_by_key_config_selectorIisEEZZNS1_16scan_by_key_implILNS1_25lookback_scan_determinismE0ELb0ES3_N6thrust23THRUST_200600_302600_NS6detail15normal_iteratorINS9_10device_ptrIiEEEENSB_INSC_IsEEEESG_sNS9_4plusIvEENS9_8equal_toIvEEsEE10hipError_tPvRmT2_T3_T4_T5_mT6_T7_P12ihipStream_tbENKUlT_T0_E_clISt17integral_constantIbLb1EES10_IbLb0EEEEDaSW_SX_EUlSW_E_NS1_11comp_targetILNS1_3genE0ELNS1_11target_archE4294967295ELNS1_3gpuE0ELNS1_3repE0EEENS1_30default_config_static_selectorELNS0_4arch9wavefront6targetE0EEEvT1_.num_named_barrier, 0
	.set _ZN7rocprim17ROCPRIM_400000_NS6detail17trampoline_kernelINS0_14default_configENS1_27scan_by_key_config_selectorIisEEZZNS1_16scan_by_key_implILNS1_25lookback_scan_determinismE0ELb0ES3_N6thrust23THRUST_200600_302600_NS6detail15normal_iteratorINS9_10device_ptrIiEEEENSB_INSC_IsEEEESG_sNS9_4plusIvEENS9_8equal_toIvEEsEE10hipError_tPvRmT2_T3_T4_T5_mT6_T7_P12ihipStream_tbENKUlT_T0_E_clISt17integral_constantIbLb1EES10_IbLb0EEEEDaSW_SX_EUlSW_E_NS1_11comp_targetILNS1_3genE0ELNS1_11target_archE4294967295ELNS1_3gpuE0ELNS1_3repE0EEENS1_30default_config_static_selectorELNS0_4arch9wavefront6targetE0EEEvT1_.private_seg_size, 0
	.set _ZN7rocprim17ROCPRIM_400000_NS6detail17trampoline_kernelINS0_14default_configENS1_27scan_by_key_config_selectorIisEEZZNS1_16scan_by_key_implILNS1_25lookback_scan_determinismE0ELb0ES3_N6thrust23THRUST_200600_302600_NS6detail15normal_iteratorINS9_10device_ptrIiEEEENSB_INSC_IsEEEESG_sNS9_4plusIvEENS9_8equal_toIvEEsEE10hipError_tPvRmT2_T3_T4_T5_mT6_T7_P12ihipStream_tbENKUlT_T0_E_clISt17integral_constantIbLb1EES10_IbLb0EEEEDaSW_SX_EUlSW_E_NS1_11comp_targetILNS1_3genE0ELNS1_11target_archE4294967295ELNS1_3gpuE0ELNS1_3repE0EEENS1_30default_config_static_selectorELNS0_4arch9wavefront6targetE0EEEvT1_.uses_vcc, 0
	.set _ZN7rocprim17ROCPRIM_400000_NS6detail17trampoline_kernelINS0_14default_configENS1_27scan_by_key_config_selectorIisEEZZNS1_16scan_by_key_implILNS1_25lookback_scan_determinismE0ELb0ES3_N6thrust23THRUST_200600_302600_NS6detail15normal_iteratorINS9_10device_ptrIiEEEENSB_INSC_IsEEEESG_sNS9_4plusIvEENS9_8equal_toIvEEsEE10hipError_tPvRmT2_T3_T4_T5_mT6_T7_P12ihipStream_tbENKUlT_T0_E_clISt17integral_constantIbLb1EES10_IbLb0EEEEDaSW_SX_EUlSW_E_NS1_11comp_targetILNS1_3genE0ELNS1_11target_archE4294967295ELNS1_3gpuE0ELNS1_3repE0EEENS1_30default_config_static_selectorELNS0_4arch9wavefront6targetE0EEEvT1_.uses_flat_scratch, 0
	.set _ZN7rocprim17ROCPRIM_400000_NS6detail17trampoline_kernelINS0_14default_configENS1_27scan_by_key_config_selectorIisEEZZNS1_16scan_by_key_implILNS1_25lookback_scan_determinismE0ELb0ES3_N6thrust23THRUST_200600_302600_NS6detail15normal_iteratorINS9_10device_ptrIiEEEENSB_INSC_IsEEEESG_sNS9_4plusIvEENS9_8equal_toIvEEsEE10hipError_tPvRmT2_T3_T4_T5_mT6_T7_P12ihipStream_tbENKUlT_T0_E_clISt17integral_constantIbLb1EES10_IbLb0EEEEDaSW_SX_EUlSW_E_NS1_11comp_targetILNS1_3genE0ELNS1_11target_archE4294967295ELNS1_3gpuE0ELNS1_3repE0EEENS1_30default_config_static_selectorELNS0_4arch9wavefront6targetE0EEEvT1_.has_dyn_sized_stack, 0
	.set _ZN7rocprim17ROCPRIM_400000_NS6detail17trampoline_kernelINS0_14default_configENS1_27scan_by_key_config_selectorIisEEZZNS1_16scan_by_key_implILNS1_25lookback_scan_determinismE0ELb0ES3_N6thrust23THRUST_200600_302600_NS6detail15normal_iteratorINS9_10device_ptrIiEEEENSB_INSC_IsEEEESG_sNS9_4plusIvEENS9_8equal_toIvEEsEE10hipError_tPvRmT2_T3_T4_T5_mT6_T7_P12ihipStream_tbENKUlT_T0_E_clISt17integral_constantIbLb1EES10_IbLb0EEEEDaSW_SX_EUlSW_E_NS1_11comp_targetILNS1_3genE0ELNS1_11target_archE4294967295ELNS1_3gpuE0ELNS1_3repE0EEENS1_30default_config_static_selectorELNS0_4arch9wavefront6targetE0EEEvT1_.has_recursion, 0
	.set _ZN7rocprim17ROCPRIM_400000_NS6detail17trampoline_kernelINS0_14default_configENS1_27scan_by_key_config_selectorIisEEZZNS1_16scan_by_key_implILNS1_25lookback_scan_determinismE0ELb0ES3_N6thrust23THRUST_200600_302600_NS6detail15normal_iteratorINS9_10device_ptrIiEEEENSB_INSC_IsEEEESG_sNS9_4plusIvEENS9_8equal_toIvEEsEE10hipError_tPvRmT2_T3_T4_T5_mT6_T7_P12ihipStream_tbENKUlT_T0_E_clISt17integral_constantIbLb1EES10_IbLb0EEEEDaSW_SX_EUlSW_E_NS1_11comp_targetILNS1_3genE0ELNS1_11target_archE4294967295ELNS1_3gpuE0ELNS1_3repE0EEENS1_30default_config_static_selectorELNS0_4arch9wavefront6targetE0EEEvT1_.has_indirect_call, 0
	.section	.AMDGPU.csdata,"",@progbits
; Kernel info:
; codeLenInByte = 0
; TotalNumSgprs: 0
; NumVgprs: 0
; ScratchSize: 0
; MemoryBound: 0
; FloatMode: 240
; IeeeMode: 1
; LDSByteSize: 0 bytes/workgroup (compile time only)
; SGPRBlocks: 0
; VGPRBlocks: 0
; NumSGPRsForWavesPerEU: 1
; NumVGPRsForWavesPerEU: 1
; Occupancy: 16
; WaveLimiterHint : 0
; COMPUTE_PGM_RSRC2:SCRATCH_EN: 0
; COMPUTE_PGM_RSRC2:USER_SGPR: 6
; COMPUTE_PGM_RSRC2:TRAP_HANDLER: 0
; COMPUTE_PGM_RSRC2:TGID_X_EN: 1
; COMPUTE_PGM_RSRC2:TGID_Y_EN: 0
; COMPUTE_PGM_RSRC2:TGID_Z_EN: 0
; COMPUTE_PGM_RSRC2:TIDIG_COMP_CNT: 0
	.section	.text._ZN7rocprim17ROCPRIM_400000_NS6detail17trampoline_kernelINS0_14default_configENS1_27scan_by_key_config_selectorIisEEZZNS1_16scan_by_key_implILNS1_25lookback_scan_determinismE0ELb0ES3_N6thrust23THRUST_200600_302600_NS6detail15normal_iteratorINS9_10device_ptrIiEEEENSB_INSC_IsEEEESG_sNS9_4plusIvEENS9_8equal_toIvEEsEE10hipError_tPvRmT2_T3_T4_T5_mT6_T7_P12ihipStream_tbENKUlT_T0_E_clISt17integral_constantIbLb1EES10_IbLb0EEEEDaSW_SX_EUlSW_E_NS1_11comp_targetILNS1_3genE10ELNS1_11target_archE1201ELNS1_3gpuE5ELNS1_3repE0EEENS1_30default_config_static_selectorELNS0_4arch9wavefront6targetE0EEEvT1_,"axG",@progbits,_ZN7rocprim17ROCPRIM_400000_NS6detail17trampoline_kernelINS0_14default_configENS1_27scan_by_key_config_selectorIisEEZZNS1_16scan_by_key_implILNS1_25lookback_scan_determinismE0ELb0ES3_N6thrust23THRUST_200600_302600_NS6detail15normal_iteratorINS9_10device_ptrIiEEEENSB_INSC_IsEEEESG_sNS9_4plusIvEENS9_8equal_toIvEEsEE10hipError_tPvRmT2_T3_T4_T5_mT6_T7_P12ihipStream_tbENKUlT_T0_E_clISt17integral_constantIbLb1EES10_IbLb0EEEEDaSW_SX_EUlSW_E_NS1_11comp_targetILNS1_3genE10ELNS1_11target_archE1201ELNS1_3gpuE5ELNS1_3repE0EEENS1_30default_config_static_selectorELNS0_4arch9wavefront6targetE0EEEvT1_,comdat
	.protected	_ZN7rocprim17ROCPRIM_400000_NS6detail17trampoline_kernelINS0_14default_configENS1_27scan_by_key_config_selectorIisEEZZNS1_16scan_by_key_implILNS1_25lookback_scan_determinismE0ELb0ES3_N6thrust23THRUST_200600_302600_NS6detail15normal_iteratorINS9_10device_ptrIiEEEENSB_INSC_IsEEEESG_sNS9_4plusIvEENS9_8equal_toIvEEsEE10hipError_tPvRmT2_T3_T4_T5_mT6_T7_P12ihipStream_tbENKUlT_T0_E_clISt17integral_constantIbLb1EES10_IbLb0EEEEDaSW_SX_EUlSW_E_NS1_11comp_targetILNS1_3genE10ELNS1_11target_archE1201ELNS1_3gpuE5ELNS1_3repE0EEENS1_30default_config_static_selectorELNS0_4arch9wavefront6targetE0EEEvT1_ ; -- Begin function _ZN7rocprim17ROCPRIM_400000_NS6detail17trampoline_kernelINS0_14default_configENS1_27scan_by_key_config_selectorIisEEZZNS1_16scan_by_key_implILNS1_25lookback_scan_determinismE0ELb0ES3_N6thrust23THRUST_200600_302600_NS6detail15normal_iteratorINS9_10device_ptrIiEEEENSB_INSC_IsEEEESG_sNS9_4plusIvEENS9_8equal_toIvEEsEE10hipError_tPvRmT2_T3_T4_T5_mT6_T7_P12ihipStream_tbENKUlT_T0_E_clISt17integral_constantIbLb1EES10_IbLb0EEEEDaSW_SX_EUlSW_E_NS1_11comp_targetILNS1_3genE10ELNS1_11target_archE1201ELNS1_3gpuE5ELNS1_3repE0EEENS1_30default_config_static_selectorELNS0_4arch9wavefront6targetE0EEEvT1_
	.globl	_ZN7rocprim17ROCPRIM_400000_NS6detail17trampoline_kernelINS0_14default_configENS1_27scan_by_key_config_selectorIisEEZZNS1_16scan_by_key_implILNS1_25lookback_scan_determinismE0ELb0ES3_N6thrust23THRUST_200600_302600_NS6detail15normal_iteratorINS9_10device_ptrIiEEEENSB_INSC_IsEEEESG_sNS9_4plusIvEENS9_8equal_toIvEEsEE10hipError_tPvRmT2_T3_T4_T5_mT6_T7_P12ihipStream_tbENKUlT_T0_E_clISt17integral_constantIbLb1EES10_IbLb0EEEEDaSW_SX_EUlSW_E_NS1_11comp_targetILNS1_3genE10ELNS1_11target_archE1201ELNS1_3gpuE5ELNS1_3repE0EEENS1_30default_config_static_selectorELNS0_4arch9wavefront6targetE0EEEvT1_
	.p2align	8
	.type	_ZN7rocprim17ROCPRIM_400000_NS6detail17trampoline_kernelINS0_14default_configENS1_27scan_by_key_config_selectorIisEEZZNS1_16scan_by_key_implILNS1_25lookback_scan_determinismE0ELb0ES3_N6thrust23THRUST_200600_302600_NS6detail15normal_iteratorINS9_10device_ptrIiEEEENSB_INSC_IsEEEESG_sNS9_4plusIvEENS9_8equal_toIvEEsEE10hipError_tPvRmT2_T3_T4_T5_mT6_T7_P12ihipStream_tbENKUlT_T0_E_clISt17integral_constantIbLb1EES10_IbLb0EEEEDaSW_SX_EUlSW_E_NS1_11comp_targetILNS1_3genE10ELNS1_11target_archE1201ELNS1_3gpuE5ELNS1_3repE0EEENS1_30default_config_static_selectorELNS0_4arch9wavefront6targetE0EEEvT1_,@function
_ZN7rocprim17ROCPRIM_400000_NS6detail17trampoline_kernelINS0_14default_configENS1_27scan_by_key_config_selectorIisEEZZNS1_16scan_by_key_implILNS1_25lookback_scan_determinismE0ELb0ES3_N6thrust23THRUST_200600_302600_NS6detail15normal_iteratorINS9_10device_ptrIiEEEENSB_INSC_IsEEEESG_sNS9_4plusIvEENS9_8equal_toIvEEsEE10hipError_tPvRmT2_T3_T4_T5_mT6_T7_P12ihipStream_tbENKUlT_T0_E_clISt17integral_constantIbLb1EES10_IbLb0EEEEDaSW_SX_EUlSW_E_NS1_11comp_targetILNS1_3genE10ELNS1_11target_archE1201ELNS1_3gpuE5ELNS1_3repE0EEENS1_30default_config_static_selectorELNS0_4arch9wavefront6targetE0EEEvT1_: ; @_ZN7rocprim17ROCPRIM_400000_NS6detail17trampoline_kernelINS0_14default_configENS1_27scan_by_key_config_selectorIisEEZZNS1_16scan_by_key_implILNS1_25lookback_scan_determinismE0ELb0ES3_N6thrust23THRUST_200600_302600_NS6detail15normal_iteratorINS9_10device_ptrIiEEEENSB_INSC_IsEEEESG_sNS9_4plusIvEENS9_8equal_toIvEEsEE10hipError_tPvRmT2_T3_T4_T5_mT6_T7_P12ihipStream_tbENKUlT_T0_E_clISt17integral_constantIbLb1EES10_IbLb0EEEEDaSW_SX_EUlSW_E_NS1_11comp_targetILNS1_3genE10ELNS1_11target_archE1201ELNS1_3gpuE5ELNS1_3repE0EEENS1_30default_config_static_selectorELNS0_4arch9wavefront6targetE0EEEvT1_
; %bb.0:
	.section	.rodata,"a",@progbits
	.p2align	6, 0x0
	.amdhsa_kernel _ZN7rocprim17ROCPRIM_400000_NS6detail17trampoline_kernelINS0_14default_configENS1_27scan_by_key_config_selectorIisEEZZNS1_16scan_by_key_implILNS1_25lookback_scan_determinismE0ELb0ES3_N6thrust23THRUST_200600_302600_NS6detail15normal_iteratorINS9_10device_ptrIiEEEENSB_INSC_IsEEEESG_sNS9_4plusIvEENS9_8equal_toIvEEsEE10hipError_tPvRmT2_T3_T4_T5_mT6_T7_P12ihipStream_tbENKUlT_T0_E_clISt17integral_constantIbLb1EES10_IbLb0EEEEDaSW_SX_EUlSW_E_NS1_11comp_targetILNS1_3genE10ELNS1_11target_archE1201ELNS1_3gpuE5ELNS1_3repE0EEENS1_30default_config_static_selectorELNS0_4arch9wavefront6targetE0EEEvT1_
		.amdhsa_group_segment_fixed_size 0
		.amdhsa_private_segment_fixed_size 0
		.amdhsa_kernarg_size 112
		.amdhsa_user_sgpr_count 6
		.amdhsa_user_sgpr_private_segment_buffer 1
		.amdhsa_user_sgpr_dispatch_ptr 0
		.amdhsa_user_sgpr_queue_ptr 0
		.amdhsa_user_sgpr_kernarg_segment_ptr 1
		.amdhsa_user_sgpr_dispatch_id 0
		.amdhsa_user_sgpr_flat_scratch_init 0
		.amdhsa_user_sgpr_private_segment_size 0
		.amdhsa_wavefront_size32 1
		.amdhsa_uses_dynamic_stack 0
		.amdhsa_system_sgpr_private_segment_wavefront_offset 0
		.amdhsa_system_sgpr_workgroup_id_x 1
		.amdhsa_system_sgpr_workgroup_id_y 0
		.amdhsa_system_sgpr_workgroup_id_z 0
		.amdhsa_system_sgpr_workgroup_info 0
		.amdhsa_system_vgpr_workitem_id 0
		.amdhsa_next_free_vgpr 1
		.amdhsa_next_free_sgpr 1
		.amdhsa_reserve_vcc 0
		.amdhsa_reserve_flat_scratch 0
		.amdhsa_float_round_mode_32 0
		.amdhsa_float_round_mode_16_64 0
		.amdhsa_float_denorm_mode_32 3
		.amdhsa_float_denorm_mode_16_64 3
		.amdhsa_dx10_clamp 1
		.amdhsa_ieee_mode 1
		.amdhsa_fp16_overflow 0
		.amdhsa_workgroup_processor_mode 1
		.amdhsa_memory_ordered 1
		.amdhsa_forward_progress 1
		.amdhsa_shared_vgpr_count 0
		.amdhsa_exception_fp_ieee_invalid_op 0
		.amdhsa_exception_fp_denorm_src 0
		.amdhsa_exception_fp_ieee_div_zero 0
		.amdhsa_exception_fp_ieee_overflow 0
		.amdhsa_exception_fp_ieee_underflow 0
		.amdhsa_exception_fp_ieee_inexact 0
		.amdhsa_exception_int_div_zero 0
	.end_amdhsa_kernel
	.section	.text._ZN7rocprim17ROCPRIM_400000_NS6detail17trampoline_kernelINS0_14default_configENS1_27scan_by_key_config_selectorIisEEZZNS1_16scan_by_key_implILNS1_25lookback_scan_determinismE0ELb0ES3_N6thrust23THRUST_200600_302600_NS6detail15normal_iteratorINS9_10device_ptrIiEEEENSB_INSC_IsEEEESG_sNS9_4plusIvEENS9_8equal_toIvEEsEE10hipError_tPvRmT2_T3_T4_T5_mT6_T7_P12ihipStream_tbENKUlT_T0_E_clISt17integral_constantIbLb1EES10_IbLb0EEEEDaSW_SX_EUlSW_E_NS1_11comp_targetILNS1_3genE10ELNS1_11target_archE1201ELNS1_3gpuE5ELNS1_3repE0EEENS1_30default_config_static_selectorELNS0_4arch9wavefront6targetE0EEEvT1_,"axG",@progbits,_ZN7rocprim17ROCPRIM_400000_NS6detail17trampoline_kernelINS0_14default_configENS1_27scan_by_key_config_selectorIisEEZZNS1_16scan_by_key_implILNS1_25lookback_scan_determinismE0ELb0ES3_N6thrust23THRUST_200600_302600_NS6detail15normal_iteratorINS9_10device_ptrIiEEEENSB_INSC_IsEEEESG_sNS9_4plusIvEENS9_8equal_toIvEEsEE10hipError_tPvRmT2_T3_T4_T5_mT6_T7_P12ihipStream_tbENKUlT_T0_E_clISt17integral_constantIbLb1EES10_IbLb0EEEEDaSW_SX_EUlSW_E_NS1_11comp_targetILNS1_3genE10ELNS1_11target_archE1201ELNS1_3gpuE5ELNS1_3repE0EEENS1_30default_config_static_selectorELNS0_4arch9wavefront6targetE0EEEvT1_,comdat
.Lfunc_end1373:
	.size	_ZN7rocprim17ROCPRIM_400000_NS6detail17trampoline_kernelINS0_14default_configENS1_27scan_by_key_config_selectorIisEEZZNS1_16scan_by_key_implILNS1_25lookback_scan_determinismE0ELb0ES3_N6thrust23THRUST_200600_302600_NS6detail15normal_iteratorINS9_10device_ptrIiEEEENSB_INSC_IsEEEESG_sNS9_4plusIvEENS9_8equal_toIvEEsEE10hipError_tPvRmT2_T3_T4_T5_mT6_T7_P12ihipStream_tbENKUlT_T0_E_clISt17integral_constantIbLb1EES10_IbLb0EEEEDaSW_SX_EUlSW_E_NS1_11comp_targetILNS1_3genE10ELNS1_11target_archE1201ELNS1_3gpuE5ELNS1_3repE0EEENS1_30default_config_static_selectorELNS0_4arch9wavefront6targetE0EEEvT1_, .Lfunc_end1373-_ZN7rocprim17ROCPRIM_400000_NS6detail17trampoline_kernelINS0_14default_configENS1_27scan_by_key_config_selectorIisEEZZNS1_16scan_by_key_implILNS1_25lookback_scan_determinismE0ELb0ES3_N6thrust23THRUST_200600_302600_NS6detail15normal_iteratorINS9_10device_ptrIiEEEENSB_INSC_IsEEEESG_sNS9_4plusIvEENS9_8equal_toIvEEsEE10hipError_tPvRmT2_T3_T4_T5_mT6_T7_P12ihipStream_tbENKUlT_T0_E_clISt17integral_constantIbLb1EES10_IbLb0EEEEDaSW_SX_EUlSW_E_NS1_11comp_targetILNS1_3genE10ELNS1_11target_archE1201ELNS1_3gpuE5ELNS1_3repE0EEENS1_30default_config_static_selectorELNS0_4arch9wavefront6targetE0EEEvT1_
                                        ; -- End function
	.set _ZN7rocprim17ROCPRIM_400000_NS6detail17trampoline_kernelINS0_14default_configENS1_27scan_by_key_config_selectorIisEEZZNS1_16scan_by_key_implILNS1_25lookback_scan_determinismE0ELb0ES3_N6thrust23THRUST_200600_302600_NS6detail15normal_iteratorINS9_10device_ptrIiEEEENSB_INSC_IsEEEESG_sNS9_4plusIvEENS9_8equal_toIvEEsEE10hipError_tPvRmT2_T3_T4_T5_mT6_T7_P12ihipStream_tbENKUlT_T0_E_clISt17integral_constantIbLb1EES10_IbLb0EEEEDaSW_SX_EUlSW_E_NS1_11comp_targetILNS1_3genE10ELNS1_11target_archE1201ELNS1_3gpuE5ELNS1_3repE0EEENS1_30default_config_static_selectorELNS0_4arch9wavefront6targetE0EEEvT1_.num_vgpr, 0
	.set _ZN7rocprim17ROCPRIM_400000_NS6detail17trampoline_kernelINS0_14default_configENS1_27scan_by_key_config_selectorIisEEZZNS1_16scan_by_key_implILNS1_25lookback_scan_determinismE0ELb0ES3_N6thrust23THRUST_200600_302600_NS6detail15normal_iteratorINS9_10device_ptrIiEEEENSB_INSC_IsEEEESG_sNS9_4plusIvEENS9_8equal_toIvEEsEE10hipError_tPvRmT2_T3_T4_T5_mT6_T7_P12ihipStream_tbENKUlT_T0_E_clISt17integral_constantIbLb1EES10_IbLb0EEEEDaSW_SX_EUlSW_E_NS1_11comp_targetILNS1_3genE10ELNS1_11target_archE1201ELNS1_3gpuE5ELNS1_3repE0EEENS1_30default_config_static_selectorELNS0_4arch9wavefront6targetE0EEEvT1_.num_agpr, 0
	.set _ZN7rocprim17ROCPRIM_400000_NS6detail17trampoline_kernelINS0_14default_configENS1_27scan_by_key_config_selectorIisEEZZNS1_16scan_by_key_implILNS1_25lookback_scan_determinismE0ELb0ES3_N6thrust23THRUST_200600_302600_NS6detail15normal_iteratorINS9_10device_ptrIiEEEENSB_INSC_IsEEEESG_sNS9_4plusIvEENS9_8equal_toIvEEsEE10hipError_tPvRmT2_T3_T4_T5_mT6_T7_P12ihipStream_tbENKUlT_T0_E_clISt17integral_constantIbLb1EES10_IbLb0EEEEDaSW_SX_EUlSW_E_NS1_11comp_targetILNS1_3genE10ELNS1_11target_archE1201ELNS1_3gpuE5ELNS1_3repE0EEENS1_30default_config_static_selectorELNS0_4arch9wavefront6targetE0EEEvT1_.numbered_sgpr, 0
	.set _ZN7rocprim17ROCPRIM_400000_NS6detail17trampoline_kernelINS0_14default_configENS1_27scan_by_key_config_selectorIisEEZZNS1_16scan_by_key_implILNS1_25lookback_scan_determinismE0ELb0ES3_N6thrust23THRUST_200600_302600_NS6detail15normal_iteratorINS9_10device_ptrIiEEEENSB_INSC_IsEEEESG_sNS9_4plusIvEENS9_8equal_toIvEEsEE10hipError_tPvRmT2_T3_T4_T5_mT6_T7_P12ihipStream_tbENKUlT_T0_E_clISt17integral_constantIbLb1EES10_IbLb0EEEEDaSW_SX_EUlSW_E_NS1_11comp_targetILNS1_3genE10ELNS1_11target_archE1201ELNS1_3gpuE5ELNS1_3repE0EEENS1_30default_config_static_selectorELNS0_4arch9wavefront6targetE0EEEvT1_.num_named_barrier, 0
	.set _ZN7rocprim17ROCPRIM_400000_NS6detail17trampoline_kernelINS0_14default_configENS1_27scan_by_key_config_selectorIisEEZZNS1_16scan_by_key_implILNS1_25lookback_scan_determinismE0ELb0ES3_N6thrust23THRUST_200600_302600_NS6detail15normal_iteratorINS9_10device_ptrIiEEEENSB_INSC_IsEEEESG_sNS9_4plusIvEENS9_8equal_toIvEEsEE10hipError_tPvRmT2_T3_T4_T5_mT6_T7_P12ihipStream_tbENKUlT_T0_E_clISt17integral_constantIbLb1EES10_IbLb0EEEEDaSW_SX_EUlSW_E_NS1_11comp_targetILNS1_3genE10ELNS1_11target_archE1201ELNS1_3gpuE5ELNS1_3repE0EEENS1_30default_config_static_selectorELNS0_4arch9wavefront6targetE0EEEvT1_.private_seg_size, 0
	.set _ZN7rocprim17ROCPRIM_400000_NS6detail17trampoline_kernelINS0_14default_configENS1_27scan_by_key_config_selectorIisEEZZNS1_16scan_by_key_implILNS1_25lookback_scan_determinismE0ELb0ES3_N6thrust23THRUST_200600_302600_NS6detail15normal_iteratorINS9_10device_ptrIiEEEENSB_INSC_IsEEEESG_sNS9_4plusIvEENS9_8equal_toIvEEsEE10hipError_tPvRmT2_T3_T4_T5_mT6_T7_P12ihipStream_tbENKUlT_T0_E_clISt17integral_constantIbLb1EES10_IbLb0EEEEDaSW_SX_EUlSW_E_NS1_11comp_targetILNS1_3genE10ELNS1_11target_archE1201ELNS1_3gpuE5ELNS1_3repE0EEENS1_30default_config_static_selectorELNS0_4arch9wavefront6targetE0EEEvT1_.uses_vcc, 0
	.set _ZN7rocprim17ROCPRIM_400000_NS6detail17trampoline_kernelINS0_14default_configENS1_27scan_by_key_config_selectorIisEEZZNS1_16scan_by_key_implILNS1_25lookback_scan_determinismE0ELb0ES3_N6thrust23THRUST_200600_302600_NS6detail15normal_iteratorINS9_10device_ptrIiEEEENSB_INSC_IsEEEESG_sNS9_4plusIvEENS9_8equal_toIvEEsEE10hipError_tPvRmT2_T3_T4_T5_mT6_T7_P12ihipStream_tbENKUlT_T0_E_clISt17integral_constantIbLb1EES10_IbLb0EEEEDaSW_SX_EUlSW_E_NS1_11comp_targetILNS1_3genE10ELNS1_11target_archE1201ELNS1_3gpuE5ELNS1_3repE0EEENS1_30default_config_static_selectorELNS0_4arch9wavefront6targetE0EEEvT1_.uses_flat_scratch, 0
	.set _ZN7rocprim17ROCPRIM_400000_NS6detail17trampoline_kernelINS0_14default_configENS1_27scan_by_key_config_selectorIisEEZZNS1_16scan_by_key_implILNS1_25lookback_scan_determinismE0ELb0ES3_N6thrust23THRUST_200600_302600_NS6detail15normal_iteratorINS9_10device_ptrIiEEEENSB_INSC_IsEEEESG_sNS9_4plusIvEENS9_8equal_toIvEEsEE10hipError_tPvRmT2_T3_T4_T5_mT6_T7_P12ihipStream_tbENKUlT_T0_E_clISt17integral_constantIbLb1EES10_IbLb0EEEEDaSW_SX_EUlSW_E_NS1_11comp_targetILNS1_3genE10ELNS1_11target_archE1201ELNS1_3gpuE5ELNS1_3repE0EEENS1_30default_config_static_selectorELNS0_4arch9wavefront6targetE0EEEvT1_.has_dyn_sized_stack, 0
	.set _ZN7rocprim17ROCPRIM_400000_NS6detail17trampoline_kernelINS0_14default_configENS1_27scan_by_key_config_selectorIisEEZZNS1_16scan_by_key_implILNS1_25lookback_scan_determinismE0ELb0ES3_N6thrust23THRUST_200600_302600_NS6detail15normal_iteratorINS9_10device_ptrIiEEEENSB_INSC_IsEEEESG_sNS9_4plusIvEENS9_8equal_toIvEEsEE10hipError_tPvRmT2_T3_T4_T5_mT6_T7_P12ihipStream_tbENKUlT_T0_E_clISt17integral_constantIbLb1EES10_IbLb0EEEEDaSW_SX_EUlSW_E_NS1_11comp_targetILNS1_3genE10ELNS1_11target_archE1201ELNS1_3gpuE5ELNS1_3repE0EEENS1_30default_config_static_selectorELNS0_4arch9wavefront6targetE0EEEvT1_.has_recursion, 0
	.set _ZN7rocprim17ROCPRIM_400000_NS6detail17trampoline_kernelINS0_14default_configENS1_27scan_by_key_config_selectorIisEEZZNS1_16scan_by_key_implILNS1_25lookback_scan_determinismE0ELb0ES3_N6thrust23THRUST_200600_302600_NS6detail15normal_iteratorINS9_10device_ptrIiEEEENSB_INSC_IsEEEESG_sNS9_4plusIvEENS9_8equal_toIvEEsEE10hipError_tPvRmT2_T3_T4_T5_mT6_T7_P12ihipStream_tbENKUlT_T0_E_clISt17integral_constantIbLb1EES10_IbLb0EEEEDaSW_SX_EUlSW_E_NS1_11comp_targetILNS1_3genE10ELNS1_11target_archE1201ELNS1_3gpuE5ELNS1_3repE0EEENS1_30default_config_static_selectorELNS0_4arch9wavefront6targetE0EEEvT1_.has_indirect_call, 0
	.section	.AMDGPU.csdata,"",@progbits
; Kernel info:
; codeLenInByte = 0
; TotalNumSgprs: 0
; NumVgprs: 0
; ScratchSize: 0
; MemoryBound: 0
; FloatMode: 240
; IeeeMode: 1
; LDSByteSize: 0 bytes/workgroup (compile time only)
; SGPRBlocks: 0
; VGPRBlocks: 0
; NumSGPRsForWavesPerEU: 1
; NumVGPRsForWavesPerEU: 1
; Occupancy: 16
; WaveLimiterHint : 0
; COMPUTE_PGM_RSRC2:SCRATCH_EN: 0
; COMPUTE_PGM_RSRC2:USER_SGPR: 6
; COMPUTE_PGM_RSRC2:TRAP_HANDLER: 0
; COMPUTE_PGM_RSRC2:TGID_X_EN: 1
; COMPUTE_PGM_RSRC2:TGID_Y_EN: 0
; COMPUTE_PGM_RSRC2:TGID_Z_EN: 0
; COMPUTE_PGM_RSRC2:TIDIG_COMP_CNT: 0
	.section	.text._ZN7rocprim17ROCPRIM_400000_NS6detail17trampoline_kernelINS0_14default_configENS1_27scan_by_key_config_selectorIisEEZZNS1_16scan_by_key_implILNS1_25lookback_scan_determinismE0ELb0ES3_N6thrust23THRUST_200600_302600_NS6detail15normal_iteratorINS9_10device_ptrIiEEEENSB_INSC_IsEEEESG_sNS9_4plusIvEENS9_8equal_toIvEEsEE10hipError_tPvRmT2_T3_T4_T5_mT6_T7_P12ihipStream_tbENKUlT_T0_E_clISt17integral_constantIbLb1EES10_IbLb0EEEEDaSW_SX_EUlSW_E_NS1_11comp_targetILNS1_3genE5ELNS1_11target_archE942ELNS1_3gpuE9ELNS1_3repE0EEENS1_30default_config_static_selectorELNS0_4arch9wavefront6targetE0EEEvT1_,"axG",@progbits,_ZN7rocprim17ROCPRIM_400000_NS6detail17trampoline_kernelINS0_14default_configENS1_27scan_by_key_config_selectorIisEEZZNS1_16scan_by_key_implILNS1_25lookback_scan_determinismE0ELb0ES3_N6thrust23THRUST_200600_302600_NS6detail15normal_iteratorINS9_10device_ptrIiEEEENSB_INSC_IsEEEESG_sNS9_4plusIvEENS9_8equal_toIvEEsEE10hipError_tPvRmT2_T3_T4_T5_mT6_T7_P12ihipStream_tbENKUlT_T0_E_clISt17integral_constantIbLb1EES10_IbLb0EEEEDaSW_SX_EUlSW_E_NS1_11comp_targetILNS1_3genE5ELNS1_11target_archE942ELNS1_3gpuE9ELNS1_3repE0EEENS1_30default_config_static_selectorELNS0_4arch9wavefront6targetE0EEEvT1_,comdat
	.protected	_ZN7rocprim17ROCPRIM_400000_NS6detail17trampoline_kernelINS0_14default_configENS1_27scan_by_key_config_selectorIisEEZZNS1_16scan_by_key_implILNS1_25lookback_scan_determinismE0ELb0ES3_N6thrust23THRUST_200600_302600_NS6detail15normal_iteratorINS9_10device_ptrIiEEEENSB_INSC_IsEEEESG_sNS9_4plusIvEENS9_8equal_toIvEEsEE10hipError_tPvRmT2_T3_T4_T5_mT6_T7_P12ihipStream_tbENKUlT_T0_E_clISt17integral_constantIbLb1EES10_IbLb0EEEEDaSW_SX_EUlSW_E_NS1_11comp_targetILNS1_3genE5ELNS1_11target_archE942ELNS1_3gpuE9ELNS1_3repE0EEENS1_30default_config_static_selectorELNS0_4arch9wavefront6targetE0EEEvT1_ ; -- Begin function _ZN7rocprim17ROCPRIM_400000_NS6detail17trampoline_kernelINS0_14default_configENS1_27scan_by_key_config_selectorIisEEZZNS1_16scan_by_key_implILNS1_25lookback_scan_determinismE0ELb0ES3_N6thrust23THRUST_200600_302600_NS6detail15normal_iteratorINS9_10device_ptrIiEEEENSB_INSC_IsEEEESG_sNS9_4plusIvEENS9_8equal_toIvEEsEE10hipError_tPvRmT2_T3_T4_T5_mT6_T7_P12ihipStream_tbENKUlT_T0_E_clISt17integral_constantIbLb1EES10_IbLb0EEEEDaSW_SX_EUlSW_E_NS1_11comp_targetILNS1_3genE5ELNS1_11target_archE942ELNS1_3gpuE9ELNS1_3repE0EEENS1_30default_config_static_selectorELNS0_4arch9wavefront6targetE0EEEvT1_
	.globl	_ZN7rocprim17ROCPRIM_400000_NS6detail17trampoline_kernelINS0_14default_configENS1_27scan_by_key_config_selectorIisEEZZNS1_16scan_by_key_implILNS1_25lookback_scan_determinismE0ELb0ES3_N6thrust23THRUST_200600_302600_NS6detail15normal_iteratorINS9_10device_ptrIiEEEENSB_INSC_IsEEEESG_sNS9_4plusIvEENS9_8equal_toIvEEsEE10hipError_tPvRmT2_T3_T4_T5_mT6_T7_P12ihipStream_tbENKUlT_T0_E_clISt17integral_constantIbLb1EES10_IbLb0EEEEDaSW_SX_EUlSW_E_NS1_11comp_targetILNS1_3genE5ELNS1_11target_archE942ELNS1_3gpuE9ELNS1_3repE0EEENS1_30default_config_static_selectorELNS0_4arch9wavefront6targetE0EEEvT1_
	.p2align	8
	.type	_ZN7rocprim17ROCPRIM_400000_NS6detail17trampoline_kernelINS0_14default_configENS1_27scan_by_key_config_selectorIisEEZZNS1_16scan_by_key_implILNS1_25lookback_scan_determinismE0ELb0ES3_N6thrust23THRUST_200600_302600_NS6detail15normal_iteratorINS9_10device_ptrIiEEEENSB_INSC_IsEEEESG_sNS9_4plusIvEENS9_8equal_toIvEEsEE10hipError_tPvRmT2_T3_T4_T5_mT6_T7_P12ihipStream_tbENKUlT_T0_E_clISt17integral_constantIbLb1EES10_IbLb0EEEEDaSW_SX_EUlSW_E_NS1_11comp_targetILNS1_3genE5ELNS1_11target_archE942ELNS1_3gpuE9ELNS1_3repE0EEENS1_30default_config_static_selectorELNS0_4arch9wavefront6targetE0EEEvT1_,@function
_ZN7rocprim17ROCPRIM_400000_NS6detail17trampoline_kernelINS0_14default_configENS1_27scan_by_key_config_selectorIisEEZZNS1_16scan_by_key_implILNS1_25lookback_scan_determinismE0ELb0ES3_N6thrust23THRUST_200600_302600_NS6detail15normal_iteratorINS9_10device_ptrIiEEEENSB_INSC_IsEEEESG_sNS9_4plusIvEENS9_8equal_toIvEEsEE10hipError_tPvRmT2_T3_T4_T5_mT6_T7_P12ihipStream_tbENKUlT_T0_E_clISt17integral_constantIbLb1EES10_IbLb0EEEEDaSW_SX_EUlSW_E_NS1_11comp_targetILNS1_3genE5ELNS1_11target_archE942ELNS1_3gpuE9ELNS1_3repE0EEENS1_30default_config_static_selectorELNS0_4arch9wavefront6targetE0EEEvT1_: ; @_ZN7rocprim17ROCPRIM_400000_NS6detail17trampoline_kernelINS0_14default_configENS1_27scan_by_key_config_selectorIisEEZZNS1_16scan_by_key_implILNS1_25lookback_scan_determinismE0ELb0ES3_N6thrust23THRUST_200600_302600_NS6detail15normal_iteratorINS9_10device_ptrIiEEEENSB_INSC_IsEEEESG_sNS9_4plusIvEENS9_8equal_toIvEEsEE10hipError_tPvRmT2_T3_T4_T5_mT6_T7_P12ihipStream_tbENKUlT_T0_E_clISt17integral_constantIbLb1EES10_IbLb0EEEEDaSW_SX_EUlSW_E_NS1_11comp_targetILNS1_3genE5ELNS1_11target_archE942ELNS1_3gpuE9ELNS1_3repE0EEENS1_30default_config_static_selectorELNS0_4arch9wavefront6targetE0EEEvT1_
; %bb.0:
	.section	.rodata,"a",@progbits
	.p2align	6, 0x0
	.amdhsa_kernel _ZN7rocprim17ROCPRIM_400000_NS6detail17trampoline_kernelINS0_14default_configENS1_27scan_by_key_config_selectorIisEEZZNS1_16scan_by_key_implILNS1_25lookback_scan_determinismE0ELb0ES3_N6thrust23THRUST_200600_302600_NS6detail15normal_iteratorINS9_10device_ptrIiEEEENSB_INSC_IsEEEESG_sNS9_4plusIvEENS9_8equal_toIvEEsEE10hipError_tPvRmT2_T3_T4_T5_mT6_T7_P12ihipStream_tbENKUlT_T0_E_clISt17integral_constantIbLb1EES10_IbLb0EEEEDaSW_SX_EUlSW_E_NS1_11comp_targetILNS1_3genE5ELNS1_11target_archE942ELNS1_3gpuE9ELNS1_3repE0EEENS1_30default_config_static_selectorELNS0_4arch9wavefront6targetE0EEEvT1_
		.amdhsa_group_segment_fixed_size 0
		.amdhsa_private_segment_fixed_size 0
		.amdhsa_kernarg_size 112
		.amdhsa_user_sgpr_count 6
		.amdhsa_user_sgpr_private_segment_buffer 1
		.amdhsa_user_sgpr_dispatch_ptr 0
		.amdhsa_user_sgpr_queue_ptr 0
		.amdhsa_user_sgpr_kernarg_segment_ptr 1
		.amdhsa_user_sgpr_dispatch_id 0
		.amdhsa_user_sgpr_flat_scratch_init 0
		.amdhsa_user_sgpr_private_segment_size 0
		.amdhsa_wavefront_size32 1
		.amdhsa_uses_dynamic_stack 0
		.amdhsa_system_sgpr_private_segment_wavefront_offset 0
		.amdhsa_system_sgpr_workgroup_id_x 1
		.amdhsa_system_sgpr_workgroup_id_y 0
		.amdhsa_system_sgpr_workgroup_id_z 0
		.amdhsa_system_sgpr_workgroup_info 0
		.amdhsa_system_vgpr_workitem_id 0
		.amdhsa_next_free_vgpr 1
		.amdhsa_next_free_sgpr 1
		.amdhsa_reserve_vcc 0
		.amdhsa_reserve_flat_scratch 0
		.amdhsa_float_round_mode_32 0
		.amdhsa_float_round_mode_16_64 0
		.amdhsa_float_denorm_mode_32 3
		.amdhsa_float_denorm_mode_16_64 3
		.amdhsa_dx10_clamp 1
		.amdhsa_ieee_mode 1
		.amdhsa_fp16_overflow 0
		.amdhsa_workgroup_processor_mode 1
		.amdhsa_memory_ordered 1
		.amdhsa_forward_progress 1
		.amdhsa_shared_vgpr_count 0
		.amdhsa_exception_fp_ieee_invalid_op 0
		.amdhsa_exception_fp_denorm_src 0
		.amdhsa_exception_fp_ieee_div_zero 0
		.amdhsa_exception_fp_ieee_overflow 0
		.amdhsa_exception_fp_ieee_underflow 0
		.amdhsa_exception_fp_ieee_inexact 0
		.amdhsa_exception_int_div_zero 0
	.end_amdhsa_kernel
	.section	.text._ZN7rocprim17ROCPRIM_400000_NS6detail17trampoline_kernelINS0_14default_configENS1_27scan_by_key_config_selectorIisEEZZNS1_16scan_by_key_implILNS1_25lookback_scan_determinismE0ELb0ES3_N6thrust23THRUST_200600_302600_NS6detail15normal_iteratorINS9_10device_ptrIiEEEENSB_INSC_IsEEEESG_sNS9_4plusIvEENS9_8equal_toIvEEsEE10hipError_tPvRmT2_T3_T4_T5_mT6_T7_P12ihipStream_tbENKUlT_T0_E_clISt17integral_constantIbLb1EES10_IbLb0EEEEDaSW_SX_EUlSW_E_NS1_11comp_targetILNS1_3genE5ELNS1_11target_archE942ELNS1_3gpuE9ELNS1_3repE0EEENS1_30default_config_static_selectorELNS0_4arch9wavefront6targetE0EEEvT1_,"axG",@progbits,_ZN7rocprim17ROCPRIM_400000_NS6detail17trampoline_kernelINS0_14default_configENS1_27scan_by_key_config_selectorIisEEZZNS1_16scan_by_key_implILNS1_25lookback_scan_determinismE0ELb0ES3_N6thrust23THRUST_200600_302600_NS6detail15normal_iteratorINS9_10device_ptrIiEEEENSB_INSC_IsEEEESG_sNS9_4plusIvEENS9_8equal_toIvEEsEE10hipError_tPvRmT2_T3_T4_T5_mT6_T7_P12ihipStream_tbENKUlT_T0_E_clISt17integral_constantIbLb1EES10_IbLb0EEEEDaSW_SX_EUlSW_E_NS1_11comp_targetILNS1_3genE5ELNS1_11target_archE942ELNS1_3gpuE9ELNS1_3repE0EEENS1_30default_config_static_selectorELNS0_4arch9wavefront6targetE0EEEvT1_,comdat
.Lfunc_end1374:
	.size	_ZN7rocprim17ROCPRIM_400000_NS6detail17trampoline_kernelINS0_14default_configENS1_27scan_by_key_config_selectorIisEEZZNS1_16scan_by_key_implILNS1_25lookback_scan_determinismE0ELb0ES3_N6thrust23THRUST_200600_302600_NS6detail15normal_iteratorINS9_10device_ptrIiEEEENSB_INSC_IsEEEESG_sNS9_4plusIvEENS9_8equal_toIvEEsEE10hipError_tPvRmT2_T3_T4_T5_mT6_T7_P12ihipStream_tbENKUlT_T0_E_clISt17integral_constantIbLb1EES10_IbLb0EEEEDaSW_SX_EUlSW_E_NS1_11comp_targetILNS1_3genE5ELNS1_11target_archE942ELNS1_3gpuE9ELNS1_3repE0EEENS1_30default_config_static_selectorELNS0_4arch9wavefront6targetE0EEEvT1_, .Lfunc_end1374-_ZN7rocprim17ROCPRIM_400000_NS6detail17trampoline_kernelINS0_14default_configENS1_27scan_by_key_config_selectorIisEEZZNS1_16scan_by_key_implILNS1_25lookback_scan_determinismE0ELb0ES3_N6thrust23THRUST_200600_302600_NS6detail15normal_iteratorINS9_10device_ptrIiEEEENSB_INSC_IsEEEESG_sNS9_4plusIvEENS9_8equal_toIvEEsEE10hipError_tPvRmT2_T3_T4_T5_mT6_T7_P12ihipStream_tbENKUlT_T0_E_clISt17integral_constantIbLb1EES10_IbLb0EEEEDaSW_SX_EUlSW_E_NS1_11comp_targetILNS1_3genE5ELNS1_11target_archE942ELNS1_3gpuE9ELNS1_3repE0EEENS1_30default_config_static_selectorELNS0_4arch9wavefront6targetE0EEEvT1_
                                        ; -- End function
	.set _ZN7rocprim17ROCPRIM_400000_NS6detail17trampoline_kernelINS0_14default_configENS1_27scan_by_key_config_selectorIisEEZZNS1_16scan_by_key_implILNS1_25lookback_scan_determinismE0ELb0ES3_N6thrust23THRUST_200600_302600_NS6detail15normal_iteratorINS9_10device_ptrIiEEEENSB_INSC_IsEEEESG_sNS9_4plusIvEENS9_8equal_toIvEEsEE10hipError_tPvRmT2_T3_T4_T5_mT6_T7_P12ihipStream_tbENKUlT_T0_E_clISt17integral_constantIbLb1EES10_IbLb0EEEEDaSW_SX_EUlSW_E_NS1_11comp_targetILNS1_3genE5ELNS1_11target_archE942ELNS1_3gpuE9ELNS1_3repE0EEENS1_30default_config_static_selectorELNS0_4arch9wavefront6targetE0EEEvT1_.num_vgpr, 0
	.set _ZN7rocprim17ROCPRIM_400000_NS6detail17trampoline_kernelINS0_14default_configENS1_27scan_by_key_config_selectorIisEEZZNS1_16scan_by_key_implILNS1_25lookback_scan_determinismE0ELb0ES3_N6thrust23THRUST_200600_302600_NS6detail15normal_iteratorINS9_10device_ptrIiEEEENSB_INSC_IsEEEESG_sNS9_4plusIvEENS9_8equal_toIvEEsEE10hipError_tPvRmT2_T3_T4_T5_mT6_T7_P12ihipStream_tbENKUlT_T0_E_clISt17integral_constantIbLb1EES10_IbLb0EEEEDaSW_SX_EUlSW_E_NS1_11comp_targetILNS1_3genE5ELNS1_11target_archE942ELNS1_3gpuE9ELNS1_3repE0EEENS1_30default_config_static_selectorELNS0_4arch9wavefront6targetE0EEEvT1_.num_agpr, 0
	.set _ZN7rocprim17ROCPRIM_400000_NS6detail17trampoline_kernelINS0_14default_configENS1_27scan_by_key_config_selectorIisEEZZNS1_16scan_by_key_implILNS1_25lookback_scan_determinismE0ELb0ES3_N6thrust23THRUST_200600_302600_NS6detail15normal_iteratorINS9_10device_ptrIiEEEENSB_INSC_IsEEEESG_sNS9_4plusIvEENS9_8equal_toIvEEsEE10hipError_tPvRmT2_T3_T4_T5_mT6_T7_P12ihipStream_tbENKUlT_T0_E_clISt17integral_constantIbLb1EES10_IbLb0EEEEDaSW_SX_EUlSW_E_NS1_11comp_targetILNS1_3genE5ELNS1_11target_archE942ELNS1_3gpuE9ELNS1_3repE0EEENS1_30default_config_static_selectorELNS0_4arch9wavefront6targetE0EEEvT1_.numbered_sgpr, 0
	.set _ZN7rocprim17ROCPRIM_400000_NS6detail17trampoline_kernelINS0_14default_configENS1_27scan_by_key_config_selectorIisEEZZNS1_16scan_by_key_implILNS1_25lookback_scan_determinismE0ELb0ES3_N6thrust23THRUST_200600_302600_NS6detail15normal_iteratorINS9_10device_ptrIiEEEENSB_INSC_IsEEEESG_sNS9_4plusIvEENS9_8equal_toIvEEsEE10hipError_tPvRmT2_T3_T4_T5_mT6_T7_P12ihipStream_tbENKUlT_T0_E_clISt17integral_constantIbLb1EES10_IbLb0EEEEDaSW_SX_EUlSW_E_NS1_11comp_targetILNS1_3genE5ELNS1_11target_archE942ELNS1_3gpuE9ELNS1_3repE0EEENS1_30default_config_static_selectorELNS0_4arch9wavefront6targetE0EEEvT1_.num_named_barrier, 0
	.set _ZN7rocprim17ROCPRIM_400000_NS6detail17trampoline_kernelINS0_14default_configENS1_27scan_by_key_config_selectorIisEEZZNS1_16scan_by_key_implILNS1_25lookback_scan_determinismE0ELb0ES3_N6thrust23THRUST_200600_302600_NS6detail15normal_iteratorINS9_10device_ptrIiEEEENSB_INSC_IsEEEESG_sNS9_4plusIvEENS9_8equal_toIvEEsEE10hipError_tPvRmT2_T3_T4_T5_mT6_T7_P12ihipStream_tbENKUlT_T0_E_clISt17integral_constantIbLb1EES10_IbLb0EEEEDaSW_SX_EUlSW_E_NS1_11comp_targetILNS1_3genE5ELNS1_11target_archE942ELNS1_3gpuE9ELNS1_3repE0EEENS1_30default_config_static_selectorELNS0_4arch9wavefront6targetE0EEEvT1_.private_seg_size, 0
	.set _ZN7rocprim17ROCPRIM_400000_NS6detail17trampoline_kernelINS0_14default_configENS1_27scan_by_key_config_selectorIisEEZZNS1_16scan_by_key_implILNS1_25lookback_scan_determinismE0ELb0ES3_N6thrust23THRUST_200600_302600_NS6detail15normal_iteratorINS9_10device_ptrIiEEEENSB_INSC_IsEEEESG_sNS9_4plusIvEENS9_8equal_toIvEEsEE10hipError_tPvRmT2_T3_T4_T5_mT6_T7_P12ihipStream_tbENKUlT_T0_E_clISt17integral_constantIbLb1EES10_IbLb0EEEEDaSW_SX_EUlSW_E_NS1_11comp_targetILNS1_3genE5ELNS1_11target_archE942ELNS1_3gpuE9ELNS1_3repE0EEENS1_30default_config_static_selectorELNS0_4arch9wavefront6targetE0EEEvT1_.uses_vcc, 0
	.set _ZN7rocprim17ROCPRIM_400000_NS6detail17trampoline_kernelINS0_14default_configENS1_27scan_by_key_config_selectorIisEEZZNS1_16scan_by_key_implILNS1_25lookback_scan_determinismE0ELb0ES3_N6thrust23THRUST_200600_302600_NS6detail15normal_iteratorINS9_10device_ptrIiEEEENSB_INSC_IsEEEESG_sNS9_4plusIvEENS9_8equal_toIvEEsEE10hipError_tPvRmT2_T3_T4_T5_mT6_T7_P12ihipStream_tbENKUlT_T0_E_clISt17integral_constantIbLb1EES10_IbLb0EEEEDaSW_SX_EUlSW_E_NS1_11comp_targetILNS1_3genE5ELNS1_11target_archE942ELNS1_3gpuE9ELNS1_3repE0EEENS1_30default_config_static_selectorELNS0_4arch9wavefront6targetE0EEEvT1_.uses_flat_scratch, 0
	.set _ZN7rocprim17ROCPRIM_400000_NS6detail17trampoline_kernelINS0_14default_configENS1_27scan_by_key_config_selectorIisEEZZNS1_16scan_by_key_implILNS1_25lookback_scan_determinismE0ELb0ES3_N6thrust23THRUST_200600_302600_NS6detail15normal_iteratorINS9_10device_ptrIiEEEENSB_INSC_IsEEEESG_sNS9_4plusIvEENS9_8equal_toIvEEsEE10hipError_tPvRmT2_T3_T4_T5_mT6_T7_P12ihipStream_tbENKUlT_T0_E_clISt17integral_constantIbLb1EES10_IbLb0EEEEDaSW_SX_EUlSW_E_NS1_11comp_targetILNS1_3genE5ELNS1_11target_archE942ELNS1_3gpuE9ELNS1_3repE0EEENS1_30default_config_static_selectorELNS0_4arch9wavefront6targetE0EEEvT1_.has_dyn_sized_stack, 0
	.set _ZN7rocprim17ROCPRIM_400000_NS6detail17trampoline_kernelINS0_14default_configENS1_27scan_by_key_config_selectorIisEEZZNS1_16scan_by_key_implILNS1_25lookback_scan_determinismE0ELb0ES3_N6thrust23THRUST_200600_302600_NS6detail15normal_iteratorINS9_10device_ptrIiEEEENSB_INSC_IsEEEESG_sNS9_4plusIvEENS9_8equal_toIvEEsEE10hipError_tPvRmT2_T3_T4_T5_mT6_T7_P12ihipStream_tbENKUlT_T0_E_clISt17integral_constantIbLb1EES10_IbLb0EEEEDaSW_SX_EUlSW_E_NS1_11comp_targetILNS1_3genE5ELNS1_11target_archE942ELNS1_3gpuE9ELNS1_3repE0EEENS1_30default_config_static_selectorELNS0_4arch9wavefront6targetE0EEEvT1_.has_recursion, 0
	.set _ZN7rocprim17ROCPRIM_400000_NS6detail17trampoline_kernelINS0_14default_configENS1_27scan_by_key_config_selectorIisEEZZNS1_16scan_by_key_implILNS1_25lookback_scan_determinismE0ELb0ES3_N6thrust23THRUST_200600_302600_NS6detail15normal_iteratorINS9_10device_ptrIiEEEENSB_INSC_IsEEEESG_sNS9_4plusIvEENS9_8equal_toIvEEsEE10hipError_tPvRmT2_T3_T4_T5_mT6_T7_P12ihipStream_tbENKUlT_T0_E_clISt17integral_constantIbLb1EES10_IbLb0EEEEDaSW_SX_EUlSW_E_NS1_11comp_targetILNS1_3genE5ELNS1_11target_archE942ELNS1_3gpuE9ELNS1_3repE0EEENS1_30default_config_static_selectorELNS0_4arch9wavefront6targetE0EEEvT1_.has_indirect_call, 0
	.section	.AMDGPU.csdata,"",@progbits
; Kernel info:
; codeLenInByte = 0
; TotalNumSgprs: 0
; NumVgprs: 0
; ScratchSize: 0
; MemoryBound: 0
; FloatMode: 240
; IeeeMode: 1
; LDSByteSize: 0 bytes/workgroup (compile time only)
; SGPRBlocks: 0
; VGPRBlocks: 0
; NumSGPRsForWavesPerEU: 1
; NumVGPRsForWavesPerEU: 1
; Occupancy: 16
; WaveLimiterHint : 0
; COMPUTE_PGM_RSRC2:SCRATCH_EN: 0
; COMPUTE_PGM_RSRC2:USER_SGPR: 6
; COMPUTE_PGM_RSRC2:TRAP_HANDLER: 0
; COMPUTE_PGM_RSRC2:TGID_X_EN: 1
; COMPUTE_PGM_RSRC2:TGID_Y_EN: 0
; COMPUTE_PGM_RSRC2:TGID_Z_EN: 0
; COMPUTE_PGM_RSRC2:TIDIG_COMP_CNT: 0
	.section	.text._ZN7rocprim17ROCPRIM_400000_NS6detail17trampoline_kernelINS0_14default_configENS1_27scan_by_key_config_selectorIisEEZZNS1_16scan_by_key_implILNS1_25lookback_scan_determinismE0ELb0ES3_N6thrust23THRUST_200600_302600_NS6detail15normal_iteratorINS9_10device_ptrIiEEEENSB_INSC_IsEEEESG_sNS9_4plusIvEENS9_8equal_toIvEEsEE10hipError_tPvRmT2_T3_T4_T5_mT6_T7_P12ihipStream_tbENKUlT_T0_E_clISt17integral_constantIbLb1EES10_IbLb0EEEEDaSW_SX_EUlSW_E_NS1_11comp_targetILNS1_3genE4ELNS1_11target_archE910ELNS1_3gpuE8ELNS1_3repE0EEENS1_30default_config_static_selectorELNS0_4arch9wavefront6targetE0EEEvT1_,"axG",@progbits,_ZN7rocprim17ROCPRIM_400000_NS6detail17trampoline_kernelINS0_14default_configENS1_27scan_by_key_config_selectorIisEEZZNS1_16scan_by_key_implILNS1_25lookback_scan_determinismE0ELb0ES3_N6thrust23THRUST_200600_302600_NS6detail15normal_iteratorINS9_10device_ptrIiEEEENSB_INSC_IsEEEESG_sNS9_4plusIvEENS9_8equal_toIvEEsEE10hipError_tPvRmT2_T3_T4_T5_mT6_T7_P12ihipStream_tbENKUlT_T0_E_clISt17integral_constantIbLb1EES10_IbLb0EEEEDaSW_SX_EUlSW_E_NS1_11comp_targetILNS1_3genE4ELNS1_11target_archE910ELNS1_3gpuE8ELNS1_3repE0EEENS1_30default_config_static_selectorELNS0_4arch9wavefront6targetE0EEEvT1_,comdat
	.protected	_ZN7rocprim17ROCPRIM_400000_NS6detail17trampoline_kernelINS0_14default_configENS1_27scan_by_key_config_selectorIisEEZZNS1_16scan_by_key_implILNS1_25lookback_scan_determinismE0ELb0ES3_N6thrust23THRUST_200600_302600_NS6detail15normal_iteratorINS9_10device_ptrIiEEEENSB_INSC_IsEEEESG_sNS9_4plusIvEENS9_8equal_toIvEEsEE10hipError_tPvRmT2_T3_T4_T5_mT6_T7_P12ihipStream_tbENKUlT_T0_E_clISt17integral_constantIbLb1EES10_IbLb0EEEEDaSW_SX_EUlSW_E_NS1_11comp_targetILNS1_3genE4ELNS1_11target_archE910ELNS1_3gpuE8ELNS1_3repE0EEENS1_30default_config_static_selectorELNS0_4arch9wavefront6targetE0EEEvT1_ ; -- Begin function _ZN7rocprim17ROCPRIM_400000_NS6detail17trampoline_kernelINS0_14default_configENS1_27scan_by_key_config_selectorIisEEZZNS1_16scan_by_key_implILNS1_25lookback_scan_determinismE0ELb0ES3_N6thrust23THRUST_200600_302600_NS6detail15normal_iteratorINS9_10device_ptrIiEEEENSB_INSC_IsEEEESG_sNS9_4plusIvEENS9_8equal_toIvEEsEE10hipError_tPvRmT2_T3_T4_T5_mT6_T7_P12ihipStream_tbENKUlT_T0_E_clISt17integral_constantIbLb1EES10_IbLb0EEEEDaSW_SX_EUlSW_E_NS1_11comp_targetILNS1_3genE4ELNS1_11target_archE910ELNS1_3gpuE8ELNS1_3repE0EEENS1_30default_config_static_selectorELNS0_4arch9wavefront6targetE0EEEvT1_
	.globl	_ZN7rocprim17ROCPRIM_400000_NS6detail17trampoline_kernelINS0_14default_configENS1_27scan_by_key_config_selectorIisEEZZNS1_16scan_by_key_implILNS1_25lookback_scan_determinismE0ELb0ES3_N6thrust23THRUST_200600_302600_NS6detail15normal_iteratorINS9_10device_ptrIiEEEENSB_INSC_IsEEEESG_sNS9_4plusIvEENS9_8equal_toIvEEsEE10hipError_tPvRmT2_T3_T4_T5_mT6_T7_P12ihipStream_tbENKUlT_T0_E_clISt17integral_constantIbLb1EES10_IbLb0EEEEDaSW_SX_EUlSW_E_NS1_11comp_targetILNS1_3genE4ELNS1_11target_archE910ELNS1_3gpuE8ELNS1_3repE0EEENS1_30default_config_static_selectorELNS0_4arch9wavefront6targetE0EEEvT1_
	.p2align	8
	.type	_ZN7rocprim17ROCPRIM_400000_NS6detail17trampoline_kernelINS0_14default_configENS1_27scan_by_key_config_selectorIisEEZZNS1_16scan_by_key_implILNS1_25lookback_scan_determinismE0ELb0ES3_N6thrust23THRUST_200600_302600_NS6detail15normal_iteratorINS9_10device_ptrIiEEEENSB_INSC_IsEEEESG_sNS9_4plusIvEENS9_8equal_toIvEEsEE10hipError_tPvRmT2_T3_T4_T5_mT6_T7_P12ihipStream_tbENKUlT_T0_E_clISt17integral_constantIbLb1EES10_IbLb0EEEEDaSW_SX_EUlSW_E_NS1_11comp_targetILNS1_3genE4ELNS1_11target_archE910ELNS1_3gpuE8ELNS1_3repE0EEENS1_30default_config_static_selectorELNS0_4arch9wavefront6targetE0EEEvT1_,@function
_ZN7rocprim17ROCPRIM_400000_NS6detail17trampoline_kernelINS0_14default_configENS1_27scan_by_key_config_selectorIisEEZZNS1_16scan_by_key_implILNS1_25lookback_scan_determinismE0ELb0ES3_N6thrust23THRUST_200600_302600_NS6detail15normal_iteratorINS9_10device_ptrIiEEEENSB_INSC_IsEEEESG_sNS9_4plusIvEENS9_8equal_toIvEEsEE10hipError_tPvRmT2_T3_T4_T5_mT6_T7_P12ihipStream_tbENKUlT_T0_E_clISt17integral_constantIbLb1EES10_IbLb0EEEEDaSW_SX_EUlSW_E_NS1_11comp_targetILNS1_3genE4ELNS1_11target_archE910ELNS1_3gpuE8ELNS1_3repE0EEENS1_30default_config_static_selectorELNS0_4arch9wavefront6targetE0EEEvT1_: ; @_ZN7rocprim17ROCPRIM_400000_NS6detail17trampoline_kernelINS0_14default_configENS1_27scan_by_key_config_selectorIisEEZZNS1_16scan_by_key_implILNS1_25lookback_scan_determinismE0ELb0ES3_N6thrust23THRUST_200600_302600_NS6detail15normal_iteratorINS9_10device_ptrIiEEEENSB_INSC_IsEEEESG_sNS9_4plusIvEENS9_8equal_toIvEEsEE10hipError_tPvRmT2_T3_T4_T5_mT6_T7_P12ihipStream_tbENKUlT_T0_E_clISt17integral_constantIbLb1EES10_IbLb0EEEEDaSW_SX_EUlSW_E_NS1_11comp_targetILNS1_3genE4ELNS1_11target_archE910ELNS1_3gpuE8ELNS1_3repE0EEENS1_30default_config_static_selectorELNS0_4arch9wavefront6targetE0EEEvT1_
; %bb.0:
	.section	.rodata,"a",@progbits
	.p2align	6, 0x0
	.amdhsa_kernel _ZN7rocprim17ROCPRIM_400000_NS6detail17trampoline_kernelINS0_14default_configENS1_27scan_by_key_config_selectorIisEEZZNS1_16scan_by_key_implILNS1_25lookback_scan_determinismE0ELb0ES3_N6thrust23THRUST_200600_302600_NS6detail15normal_iteratorINS9_10device_ptrIiEEEENSB_INSC_IsEEEESG_sNS9_4plusIvEENS9_8equal_toIvEEsEE10hipError_tPvRmT2_T3_T4_T5_mT6_T7_P12ihipStream_tbENKUlT_T0_E_clISt17integral_constantIbLb1EES10_IbLb0EEEEDaSW_SX_EUlSW_E_NS1_11comp_targetILNS1_3genE4ELNS1_11target_archE910ELNS1_3gpuE8ELNS1_3repE0EEENS1_30default_config_static_selectorELNS0_4arch9wavefront6targetE0EEEvT1_
		.amdhsa_group_segment_fixed_size 0
		.amdhsa_private_segment_fixed_size 0
		.amdhsa_kernarg_size 112
		.amdhsa_user_sgpr_count 6
		.amdhsa_user_sgpr_private_segment_buffer 1
		.amdhsa_user_sgpr_dispatch_ptr 0
		.amdhsa_user_sgpr_queue_ptr 0
		.amdhsa_user_sgpr_kernarg_segment_ptr 1
		.amdhsa_user_sgpr_dispatch_id 0
		.amdhsa_user_sgpr_flat_scratch_init 0
		.amdhsa_user_sgpr_private_segment_size 0
		.amdhsa_wavefront_size32 1
		.amdhsa_uses_dynamic_stack 0
		.amdhsa_system_sgpr_private_segment_wavefront_offset 0
		.amdhsa_system_sgpr_workgroup_id_x 1
		.amdhsa_system_sgpr_workgroup_id_y 0
		.amdhsa_system_sgpr_workgroup_id_z 0
		.amdhsa_system_sgpr_workgroup_info 0
		.amdhsa_system_vgpr_workitem_id 0
		.amdhsa_next_free_vgpr 1
		.amdhsa_next_free_sgpr 1
		.amdhsa_reserve_vcc 0
		.amdhsa_reserve_flat_scratch 0
		.amdhsa_float_round_mode_32 0
		.amdhsa_float_round_mode_16_64 0
		.amdhsa_float_denorm_mode_32 3
		.amdhsa_float_denorm_mode_16_64 3
		.amdhsa_dx10_clamp 1
		.amdhsa_ieee_mode 1
		.amdhsa_fp16_overflow 0
		.amdhsa_workgroup_processor_mode 1
		.amdhsa_memory_ordered 1
		.amdhsa_forward_progress 1
		.amdhsa_shared_vgpr_count 0
		.amdhsa_exception_fp_ieee_invalid_op 0
		.amdhsa_exception_fp_denorm_src 0
		.amdhsa_exception_fp_ieee_div_zero 0
		.amdhsa_exception_fp_ieee_overflow 0
		.amdhsa_exception_fp_ieee_underflow 0
		.amdhsa_exception_fp_ieee_inexact 0
		.amdhsa_exception_int_div_zero 0
	.end_amdhsa_kernel
	.section	.text._ZN7rocprim17ROCPRIM_400000_NS6detail17trampoline_kernelINS0_14default_configENS1_27scan_by_key_config_selectorIisEEZZNS1_16scan_by_key_implILNS1_25lookback_scan_determinismE0ELb0ES3_N6thrust23THRUST_200600_302600_NS6detail15normal_iteratorINS9_10device_ptrIiEEEENSB_INSC_IsEEEESG_sNS9_4plusIvEENS9_8equal_toIvEEsEE10hipError_tPvRmT2_T3_T4_T5_mT6_T7_P12ihipStream_tbENKUlT_T0_E_clISt17integral_constantIbLb1EES10_IbLb0EEEEDaSW_SX_EUlSW_E_NS1_11comp_targetILNS1_3genE4ELNS1_11target_archE910ELNS1_3gpuE8ELNS1_3repE0EEENS1_30default_config_static_selectorELNS0_4arch9wavefront6targetE0EEEvT1_,"axG",@progbits,_ZN7rocprim17ROCPRIM_400000_NS6detail17trampoline_kernelINS0_14default_configENS1_27scan_by_key_config_selectorIisEEZZNS1_16scan_by_key_implILNS1_25lookback_scan_determinismE0ELb0ES3_N6thrust23THRUST_200600_302600_NS6detail15normal_iteratorINS9_10device_ptrIiEEEENSB_INSC_IsEEEESG_sNS9_4plusIvEENS9_8equal_toIvEEsEE10hipError_tPvRmT2_T3_T4_T5_mT6_T7_P12ihipStream_tbENKUlT_T0_E_clISt17integral_constantIbLb1EES10_IbLb0EEEEDaSW_SX_EUlSW_E_NS1_11comp_targetILNS1_3genE4ELNS1_11target_archE910ELNS1_3gpuE8ELNS1_3repE0EEENS1_30default_config_static_selectorELNS0_4arch9wavefront6targetE0EEEvT1_,comdat
.Lfunc_end1375:
	.size	_ZN7rocprim17ROCPRIM_400000_NS6detail17trampoline_kernelINS0_14default_configENS1_27scan_by_key_config_selectorIisEEZZNS1_16scan_by_key_implILNS1_25lookback_scan_determinismE0ELb0ES3_N6thrust23THRUST_200600_302600_NS6detail15normal_iteratorINS9_10device_ptrIiEEEENSB_INSC_IsEEEESG_sNS9_4plusIvEENS9_8equal_toIvEEsEE10hipError_tPvRmT2_T3_T4_T5_mT6_T7_P12ihipStream_tbENKUlT_T0_E_clISt17integral_constantIbLb1EES10_IbLb0EEEEDaSW_SX_EUlSW_E_NS1_11comp_targetILNS1_3genE4ELNS1_11target_archE910ELNS1_3gpuE8ELNS1_3repE0EEENS1_30default_config_static_selectorELNS0_4arch9wavefront6targetE0EEEvT1_, .Lfunc_end1375-_ZN7rocprim17ROCPRIM_400000_NS6detail17trampoline_kernelINS0_14default_configENS1_27scan_by_key_config_selectorIisEEZZNS1_16scan_by_key_implILNS1_25lookback_scan_determinismE0ELb0ES3_N6thrust23THRUST_200600_302600_NS6detail15normal_iteratorINS9_10device_ptrIiEEEENSB_INSC_IsEEEESG_sNS9_4plusIvEENS9_8equal_toIvEEsEE10hipError_tPvRmT2_T3_T4_T5_mT6_T7_P12ihipStream_tbENKUlT_T0_E_clISt17integral_constantIbLb1EES10_IbLb0EEEEDaSW_SX_EUlSW_E_NS1_11comp_targetILNS1_3genE4ELNS1_11target_archE910ELNS1_3gpuE8ELNS1_3repE0EEENS1_30default_config_static_selectorELNS0_4arch9wavefront6targetE0EEEvT1_
                                        ; -- End function
	.set _ZN7rocprim17ROCPRIM_400000_NS6detail17trampoline_kernelINS0_14default_configENS1_27scan_by_key_config_selectorIisEEZZNS1_16scan_by_key_implILNS1_25lookback_scan_determinismE0ELb0ES3_N6thrust23THRUST_200600_302600_NS6detail15normal_iteratorINS9_10device_ptrIiEEEENSB_INSC_IsEEEESG_sNS9_4plusIvEENS9_8equal_toIvEEsEE10hipError_tPvRmT2_T3_T4_T5_mT6_T7_P12ihipStream_tbENKUlT_T0_E_clISt17integral_constantIbLb1EES10_IbLb0EEEEDaSW_SX_EUlSW_E_NS1_11comp_targetILNS1_3genE4ELNS1_11target_archE910ELNS1_3gpuE8ELNS1_3repE0EEENS1_30default_config_static_selectorELNS0_4arch9wavefront6targetE0EEEvT1_.num_vgpr, 0
	.set _ZN7rocprim17ROCPRIM_400000_NS6detail17trampoline_kernelINS0_14default_configENS1_27scan_by_key_config_selectorIisEEZZNS1_16scan_by_key_implILNS1_25lookback_scan_determinismE0ELb0ES3_N6thrust23THRUST_200600_302600_NS6detail15normal_iteratorINS9_10device_ptrIiEEEENSB_INSC_IsEEEESG_sNS9_4plusIvEENS9_8equal_toIvEEsEE10hipError_tPvRmT2_T3_T4_T5_mT6_T7_P12ihipStream_tbENKUlT_T0_E_clISt17integral_constantIbLb1EES10_IbLb0EEEEDaSW_SX_EUlSW_E_NS1_11comp_targetILNS1_3genE4ELNS1_11target_archE910ELNS1_3gpuE8ELNS1_3repE0EEENS1_30default_config_static_selectorELNS0_4arch9wavefront6targetE0EEEvT1_.num_agpr, 0
	.set _ZN7rocprim17ROCPRIM_400000_NS6detail17trampoline_kernelINS0_14default_configENS1_27scan_by_key_config_selectorIisEEZZNS1_16scan_by_key_implILNS1_25lookback_scan_determinismE0ELb0ES3_N6thrust23THRUST_200600_302600_NS6detail15normal_iteratorINS9_10device_ptrIiEEEENSB_INSC_IsEEEESG_sNS9_4plusIvEENS9_8equal_toIvEEsEE10hipError_tPvRmT2_T3_T4_T5_mT6_T7_P12ihipStream_tbENKUlT_T0_E_clISt17integral_constantIbLb1EES10_IbLb0EEEEDaSW_SX_EUlSW_E_NS1_11comp_targetILNS1_3genE4ELNS1_11target_archE910ELNS1_3gpuE8ELNS1_3repE0EEENS1_30default_config_static_selectorELNS0_4arch9wavefront6targetE0EEEvT1_.numbered_sgpr, 0
	.set _ZN7rocprim17ROCPRIM_400000_NS6detail17trampoline_kernelINS0_14default_configENS1_27scan_by_key_config_selectorIisEEZZNS1_16scan_by_key_implILNS1_25lookback_scan_determinismE0ELb0ES3_N6thrust23THRUST_200600_302600_NS6detail15normal_iteratorINS9_10device_ptrIiEEEENSB_INSC_IsEEEESG_sNS9_4plusIvEENS9_8equal_toIvEEsEE10hipError_tPvRmT2_T3_T4_T5_mT6_T7_P12ihipStream_tbENKUlT_T0_E_clISt17integral_constantIbLb1EES10_IbLb0EEEEDaSW_SX_EUlSW_E_NS1_11comp_targetILNS1_3genE4ELNS1_11target_archE910ELNS1_3gpuE8ELNS1_3repE0EEENS1_30default_config_static_selectorELNS0_4arch9wavefront6targetE0EEEvT1_.num_named_barrier, 0
	.set _ZN7rocprim17ROCPRIM_400000_NS6detail17trampoline_kernelINS0_14default_configENS1_27scan_by_key_config_selectorIisEEZZNS1_16scan_by_key_implILNS1_25lookback_scan_determinismE0ELb0ES3_N6thrust23THRUST_200600_302600_NS6detail15normal_iteratorINS9_10device_ptrIiEEEENSB_INSC_IsEEEESG_sNS9_4plusIvEENS9_8equal_toIvEEsEE10hipError_tPvRmT2_T3_T4_T5_mT6_T7_P12ihipStream_tbENKUlT_T0_E_clISt17integral_constantIbLb1EES10_IbLb0EEEEDaSW_SX_EUlSW_E_NS1_11comp_targetILNS1_3genE4ELNS1_11target_archE910ELNS1_3gpuE8ELNS1_3repE0EEENS1_30default_config_static_selectorELNS0_4arch9wavefront6targetE0EEEvT1_.private_seg_size, 0
	.set _ZN7rocprim17ROCPRIM_400000_NS6detail17trampoline_kernelINS0_14default_configENS1_27scan_by_key_config_selectorIisEEZZNS1_16scan_by_key_implILNS1_25lookback_scan_determinismE0ELb0ES3_N6thrust23THRUST_200600_302600_NS6detail15normal_iteratorINS9_10device_ptrIiEEEENSB_INSC_IsEEEESG_sNS9_4plusIvEENS9_8equal_toIvEEsEE10hipError_tPvRmT2_T3_T4_T5_mT6_T7_P12ihipStream_tbENKUlT_T0_E_clISt17integral_constantIbLb1EES10_IbLb0EEEEDaSW_SX_EUlSW_E_NS1_11comp_targetILNS1_3genE4ELNS1_11target_archE910ELNS1_3gpuE8ELNS1_3repE0EEENS1_30default_config_static_selectorELNS0_4arch9wavefront6targetE0EEEvT1_.uses_vcc, 0
	.set _ZN7rocprim17ROCPRIM_400000_NS6detail17trampoline_kernelINS0_14default_configENS1_27scan_by_key_config_selectorIisEEZZNS1_16scan_by_key_implILNS1_25lookback_scan_determinismE0ELb0ES3_N6thrust23THRUST_200600_302600_NS6detail15normal_iteratorINS9_10device_ptrIiEEEENSB_INSC_IsEEEESG_sNS9_4plusIvEENS9_8equal_toIvEEsEE10hipError_tPvRmT2_T3_T4_T5_mT6_T7_P12ihipStream_tbENKUlT_T0_E_clISt17integral_constantIbLb1EES10_IbLb0EEEEDaSW_SX_EUlSW_E_NS1_11comp_targetILNS1_3genE4ELNS1_11target_archE910ELNS1_3gpuE8ELNS1_3repE0EEENS1_30default_config_static_selectorELNS0_4arch9wavefront6targetE0EEEvT1_.uses_flat_scratch, 0
	.set _ZN7rocprim17ROCPRIM_400000_NS6detail17trampoline_kernelINS0_14default_configENS1_27scan_by_key_config_selectorIisEEZZNS1_16scan_by_key_implILNS1_25lookback_scan_determinismE0ELb0ES3_N6thrust23THRUST_200600_302600_NS6detail15normal_iteratorINS9_10device_ptrIiEEEENSB_INSC_IsEEEESG_sNS9_4plusIvEENS9_8equal_toIvEEsEE10hipError_tPvRmT2_T3_T4_T5_mT6_T7_P12ihipStream_tbENKUlT_T0_E_clISt17integral_constantIbLb1EES10_IbLb0EEEEDaSW_SX_EUlSW_E_NS1_11comp_targetILNS1_3genE4ELNS1_11target_archE910ELNS1_3gpuE8ELNS1_3repE0EEENS1_30default_config_static_selectorELNS0_4arch9wavefront6targetE0EEEvT1_.has_dyn_sized_stack, 0
	.set _ZN7rocprim17ROCPRIM_400000_NS6detail17trampoline_kernelINS0_14default_configENS1_27scan_by_key_config_selectorIisEEZZNS1_16scan_by_key_implILNS1_25lookback_scan_determinismE0ELb0ES3_N6thrust23THRUST_200600_302600_NS6detail15normal_iteratorINS9_10device_ptrIiEEEENSB_INSC_IsEEEESG_sNS9_4plusIvEENS9_8equal_toIvEEsEE10hipError_tPvRmT2_T3_T4_T5_mT6_T7_P12ihipStream_tbENKUlT_T0_E_clISt17integral_constantIbLb1EES10_IbLb0EEEEDaSW_SX_EUlSW_E_NS1_11comp_targetILNS1_3genE4ELNS1_11target_archE910ELNS1_3gpuE8ELNS1_3repE0EEENS1_30default_config_static_selectorELNS0_4arch9wavefront6targetE0EEEvT1_.has_recursion, 0
	.set _ZN7rocprim17ROCPRIM_400000_NS6detail17trampoline_kernelINS0_14default_configENS1_27scan_by_key_config_selectorIisEEZZNS1_16scan_by_key_implILNS1_25lookback_scan_determinismE0ELb0ES3_N6thrust23THRUST_200600_302600_NS6detail15normal_iteratorINS9_10device_ptrIiEEEENSB_INSC_IsEEEESG_sNS9_4plusIvEENS9_8equal_toIvEEsEE10hipError_tPvRmT2_T3_T4_T5_mT6_T7_P12ihipStream_tbENKUlT_T0_E_clISt17integral_constantIbLb1EES10_IbLb0EEEEDaSW_SX_EUlSW_E_NS1_11comp_targetILNS1_3genE4ELNS1_11target_archE910ELNS1_3gpuE8ELNS1_3repE0EEENS1_30default_config_static_selectorELNS0_4arch9wavefront6targetE0EEEvT1_.has_indirect_call, 0
	.section	.AMDGPU.csdata,"",@progbits
; Kernel info:
; codeLenInByte = 0
; TotalNumSgprs: 0
; NumVgprs: 0
; ScratchSize: 0
; MemoryBound: 0
; FloatMode: 240
; IeeeMode: 1
; LDSByteSize: 0 bytes/workgroup (compile time only)
; SGPRBlocks: 0
; VGPRBlocks: 0
; NumSGPRsForWavesPerEU: 1
; NumVGPRsForWavesPerEU: 1
; Occupancy: 16
; WaveLimiterHint : 0
; COMPUTE_PGM_RSRC2:SCRATCH_EN: 0
; COMPUTE_PGM_RSRC2:USER_SGPR: 6
; COMPUTE_PGM_RSRC2:TRAP_HANDLER: 0
; COMPUTE_PGM_RSRC2:TGID_X_EN: 1
; COMPUTE_PGM_RSRC2:TGID_Y_EN: 0
; COMPUTE_PGM_RSRC2:TGID_Z_EN: 0
; COMPUTE_PGM_RSRC2:TIDIG_COMP_CNT: 0
	.section	.text._ZN7rocprim17ROCPRIM_400000_NS6detail17trampoline_kernelINS0_14default_configENS1_27scan_by_key_config_selectorIisEEZZNS1_16scan_by_key_implILNS1_25lookback_scan_determinismE0ELb0ES3_N6thrust23THRUST_200600_302600_NS6detail15normal_iteratorINS9_10device_ptrIiEEEENSB_INSC_IsEEEESG_sNS9_4plusIvEENS9_8equal_toIvEEsEE10hipError_tPvRmT2_T3_T4_T5_mT6_T7_P12ihipStream_tbENKUlT_T0_E_clISt17integral_constantIbLb1EES10_IbLb0EEEEDaSW_SX_EUlSW_E_NS1_11comp_targetILNS1_3genE3ELNS1_11target_archE908ELNS1_3gpuE7ELNS1_3repE0EEENS1_30default_config_static_selectorELNS0_4arch9wavefront6targetE0EEEvT1_,"axG",@progbits,_ZN7rocprim17ROCPRIM_400000_NS6detail17trampoline_kernelINS0_14default_configENS1_27scan_by_key_config_selectorIisEEZZNS1_16scan_by_key_implILNS1_25lookback_scan_determinismE0ELb0ES3_N6thrust23THRUST_200600_302600_NS6detail15normal_iteratorINS9_10device_ptrIiEEEENSB_INSC_IsEEEESG_sNS9_4plusIvEENS9_8equal_toIvEEsEE10hipError_tPvRmT2_T3_T4_T5_mT6_T7_P12ihipStream_tbENKUlT_T0_E_clISt17integral_constantIbLb1EES10_IbLb0EEEEDaSW_SX_EUlSW_E_NS1_11comp_targetILNS1_3genE3ELNS1_11target_archE908ELNS1_3gpuE7ELNS1_3repE0EEENS1_30default_config_static_selectorELNS0_4arch9wavefront6targetE0EEEvT1_,comdat
	.protected	_ZN7rocprim17ROCPRIM_400000_NS6detail17trampoline_kernelINS0_14default_configENS1_27scan_by_key_config_selectorIisEEZZNS1_16scan_by_key_implILNS1_25lookback_scan_determinismE0ELb0ES3_N6thrust23THRUST_200600_302600_NS6detail15normal_iteratorINS9_10device_ptrIiEEEENSB_INSC_IsEEEESG_sNS9_4plusIvEENS9_8equal_toIvEEsEE10hipError_tPvRmT2_T3_T4_T5_mT6_T7_P12ihipStream_tbENKUlT_T0_E_clISt17integral_constantIbLb1EES10_IbLb0EEEEDaSW_SX_EUlSW_E_NS1_11comp_targetILNS1_3genE3ELNS1_11target_archE908ELNS1_3gpuE7ELNS1_3repE0EEENS1_30default_config_static_selectorELNS0_4arch9wavefront6targetE0EEEvT1_ ; -- Begin function _ZN7rocprim17ROCPRIM_400000_NS6detail17trampoline_kernelINS0_14default_configENS1_27scan_by_key_config_selectorIisEEZZNS1_16scan_by_key_implILNS1_25lookback_scan_determinismE0ELb0ES3_N6thrust23THRUST_200600_302600_NS6detail15normal_iteratorINS9_10device_ptrIiEEEENSB_INSC_IsEEEESG_sNS9_4plusIvEENS9_8equal_toIvEEsEE10hipError_tPvRmT2_T3_T4_T5_mT6_T7_P12ihipStream_tbENKUlT_T0_E_clISt17integral_constantIbLb1EES10_IbLb0EEEEDaSW_SX_EUlSW_E_NS1_11comp_targetILNS1_3genE3ELNS1_11target_archE908ELNS1_3gpuE7ELNS1_3repE0EEENS1_30default_config_static_selectorELNS0_4arch9wavefront6targetE0EEEvT1_
	.globl	_ZN7rocprim17ROCPRIM_400000_NS6detail17trampoline_kernelINS0_14default_configENS1_27scan_by_key_config_selectorIisEEZZNS1_16scan_by_key_implILNS1_25lookback_scan_determinismE0ELb0ES3_N6thrust23THRUST_200600_302600_NS6detail15normal_iteratorINS9_10device_ptrIiEEEENSB_INSC_IsEEEESG_sNS9_4plusIvEENS9_8equal_toIvEEsEE10hipError_tPvRmT2_T3_T4_T5_mT6_T7_P12ihipStream_tbENKUlT_T0_E_clISt17integral_constantIbLb1EES10_IbLb0EEEEDaSW_SX_EUlSW_E_NS1_11comp_targetILNS1_3genE3ELNS1_11target_archE908ELNS1_3gpuE7ELNS1_3repE0EEENS1_30default_config_static_selectorELNS0_4arch9wavefront6targetE0EEEvT1_
	.p2align	8
	.type	_ZN7rocprim17ROCPRIM_400000_NS6detail17trampoline_kernelINS0_14default_configENS1_27scan_by_key_config_selectorIisEEZZNS1_16scan_by_key_implILNS1_25lookback_scan_determinismE0ELb0ES3_N6thrust23THRUST_200600_302600_NS6detail15normal_iteratorINS9_10device_ptrIiEEEENSB_INSC_IsEEEESG_sNS9_4plusIvEENS9_8equal_toIvEEsEE10hipError_tPvRmT2_T3_T4_T5_mT6_T7_P12ihipStream_tbENKUlT_T0_E_clISt17integral_constantIbLb1EES10_IbLb0EEEEDaSW_SX_EUlSW_E_NS1_11comp_targetILNS1_3genE3ELNS1_11target_archE908ELNS1_3gpuE7ELNS1_3repE0EEENS1_30default_config_static_selectorELNS0_4arch9wavefront6targetE0EEEvT1_,@function
_ZN7rocprim17ROCPRIM_400000_NS6detail17trampoline_kernelINS0_14default_configENS1_27scan_by_key_config_selectorIisEEZZNS1_16scan_by_key_implILNS1_25lookback_scan_determinismE0ELb0ES3_N6thrust23THRUST_200600_302600_NS6detail15normal_iteratorINS9_10device_ptrIiEEEENSB_INSC_IsEEEESG_sNS9_4plusIvEENS9_8equal_toIvEEsEE10hipError_tPvRmT2_T3_T4_T5_mT6_T7_P12ihipStream_tbENKUlT_T0_E_clISt17integral_constantIbLb1EES10_IbLb0EEEEDaSW_SX_EUlSW_E_NS1_11comp_targetILNS1_3genE3ELNS1_11target_archE908ELNS1_3gpuE7ELNS1_3repE0EEENS1_30default_config_static_selectorELNS0_4arch9wavefront6targetE0EEEvT1_: ; @_ZN7rocprim17ROCPRIM_400000_NS6detail17trampoline_kernelINS0_14default_configENS1_27scan_by_key_config_selectorIisEEZZNS1_16scan_by_key_implILNS1_25lookback_scan_determinismE0ELb0ES3_N6thrust23THRUST_200600_302600_NS6detail15normal_iteratorINS9_10device_ptrIiEEEENSB_INSC_IsEEEESG_sNS9_4plusIvEENS9_8equal_toIvEEsEE10hipError_tPvRmT2_T3_T4_T5_mT6_T7_P12ihipStream_tbENKUlT_T0_E_clISt17integral_constantIbLb1EES10_IbLb0EEEEDaSW_SX_EUlSW_E_NS1_11comp_targetILNS1_3genE3ELNS1_11target_archE908ELNS1_3gpuE7ELNS1_3repE0EEENS1_30default_config_static_selectorELNS0_4arch9wavefront6targetE0EEEvT1_
; %bb.0:
	.section	.rodata,"a",@progbits
	.p2align	6, 0x0
	.amdhsa_kernel _ZN7rocprim17ROCPRIM_400000_NS6detail17trampoline_kernelINS0_14default_configENS1_27scan_by_key_config_selectorIisEEZZNS1_16scan_by_key_implILNS1_25lookback_scan_determinismE0ELb0ES3_N6thrust23THRUST_200600_302600_NS6detail15normal_iteratorINS9_10device_ptrIiEEEENSB_INSC_IsEEEESG_sNS9_4plusIvEENS9_8equal_toIvEEsEE10hipError_tPvRmT2_T3_T4_T5_mT6_T7_P12ihipStream_tbENKUlT_T0_E_clISt17integral_constantIbLb1EES10_IbLb0EEEEDaSW_SX_EUlSW_E_NS1_11comp_targetILNS1_3genE3ELNS1_11target_archE908ELNS1_3gpuE7ELNS1_3repE0EEENS1_30default_config_static_selectorELNS0_4arch9wavefront6targetE0EEEvT1_
		.amdhsa_group_segment_fixed_size 0
		.amdhsa_private_segment_fixed_size 0
		.amdhsa_kernarg_size 112
		.amdhsa_user_sgpr_count 6
		.amdhsa_user_sgpr_private_segment_buffer 1
		.amdhsa_user_sgpr_dispatch_ptr 0
		.amdhsa_user_sgpr_queue_ptr 0
		.amdhsa_user_sgpr_kernarg_segment_ptr 1
		.amdhsa_user_sgpr_dispatch_id 0
		.amdhsa_user_sgpr_flat_scratch_init 0
		.amdhsa_user_sgpr_private_segment_size 0
		.amdhsa_wavefront_size32 1
		.amdhsa_uses_dynamic_stack 0
		.amdhsa_system_sgpr_private_segment_wavefront_offset 0
		.amdhsa_system_sgpr_workgroup_id_x 1
		.amdhsa_system_sgpr_workgroup_id_y 0
		.amdhsa_system_sgpr_workgroup_id_z 0
		.amdhsa_system_sgpr_workgroup_info 0
		.amdhsa_system_vgpr_workitem_id 0
		.amdhsa_next_free_vgpr 1
		.amdhsa_next_free_sgpr 1
		.amdhsa_reserve_vcc 0
		.amdhsa_reserve_flat_scratch 0
		.amdhsa_float_round_mode_32 0
		.amdhsa_float_round_mode_16_64 0
		.amdhsa_float_denorm_mode_32 3
		.amdhsa_float_denorm_mode_16_64 3
		.amdhsa_dx10_clamp 1
		.amdhsa_ieee_mode 1
		.amdhsa_fp16_overflow 0
		.amdhsa_workgroup_processor_mode 1
		.amdhsa_memory_ordered 1
		.amdhsa_forward_progress 1
		.amdhsa_shared_vgpr_count 0
		.amdhsa_exception_fp_ieee_invalid_op 0
		.amdhsa_exception_fp_denorm_src 0
		.amdhsa_exception_fp_ieee_div_zero 0
		.amdhsa_exception_fp_ieee_overflow 0
		.amdhsa_exception_fp_ieee_underflow 0
		.amdhsa_exception_fp_ieee_inexact 0
		.amdhsa_exception_int_div_zero 0
	.end_amdhsa_kernel
	.section	.text._ZN7rocprim17ROCPRIM_400000_NS6detail17trampoline_kernelINS0_14default_configENS1_27scan_by_key_config_selectorIisEEZZNS1_16scan_by_key_implILNS1_25lookback_scan_determinismE0ELb0ES3_N6thrust23THRUST_200600_302600_NS6detail15normal_iteratorINS9_10device_ptrIiEEEENSB_INSC_IsEEEESG_sNS9_4plusIvEENS9_8equal_toIvEEsEE10hipError_tPvRmT2_T3_T4_T5_mT6_T7_P12ihipStream_tbENKUlT_T0_E_clISt17integral_constantIbLb1EES10_IbLb0EEEEDaSW_SX_EUlSW_E_NS1_11comp_targetILNS1_3genE3ELNS1_11target_archE908ELNS1_3gpuE7ELNS1_3repE0EEENS1_30default_config_static_selectorELNS0_4arch9wavefront6targetE0EEEvT1_,"axG",@progbits,_ZN7rocprim17ROCPRIM_400000_NS6detail17trampoline_kernelINS0_14default_configENS1_27scan_by_key_config_selectorIisEEZZNS1_16scan_by_key_implILNS1_25lookback_scan_determinismE0ELb0ES3_N6thrust23THRUST_200600_302600_NS6detail15normal_iteratorINS9_10device_ptrIiEEEENSB_INSC_IsEEEESG_sNS9_4plusIvEENS9_8equal_toIvEEsEE10hipError_tPvRmT2_T3_T4_T5_mT6_T7_P12ihipStream_tbENKUlT_T0_E_clISt17integral_constantIbLb1EES10_IbLb0EEEEDaSW_SX_EUlSW_E_NS1_11comp_targetILNS1_3genE3ELNS1_11target_archE908ELNS1_3gpuE7ELNS1_3repE0EEENS1_30default_config_static_selectorELNS0_4arch9wavefront6targetE0EEEvT1_,comdat
.Lfunc_end1376:
	.size	_ZN7rocprim17ROCPRIM_400000_NS6detail17trampoline_kernelINS0_14default_configENS1_27scan_by_key_config_selectorIisEEZZNS1_16scan_by_key_implILNS1_25lookback_scan_determinismE0ELb0ES3_N6thrust23THRUST_200600_302600_NS6detail15normal_iteratorINS9_10device_ptrIiEEEENSB_INSC_IsEEEESG_sNS9_4plusIvEENS9_8equal_toIvEEsEE10hipError_tPvRmT2_T3_T4_T5_mT6_T7_P12ihipStream_tbENKUlT_T0_E_clISt17integral_constantIbLb1EES10_IbLb0EEEEDaSW_SX_EUlSW_E_NS1_11comp_targetILNS1_3genE3ELNS1_11target_archE908ELNS1_3gpuE7ELNS1_3repE0EEENS1_30default_config_static_selectorELNS0_4arch9wavefront6targetE0EEEvT1_, .Lfunc_end1376-_ZN7rocprim17ROCPRIM_400000_NS6detail17trampoline_kernelINS0_14default_configENS1_27scan_by_key_config_selectorIisEEZZNS1_16scan_by_key_implILNS1_25lookback_scan_determinismE0ELb0ES3_N6thrust23THRUST_200600_302600_NS6detail15normal_iteratorINS9_10device_ptrIiEEEENSB_INSC_IsEEEESG_sNS9_4plusIvEENS9_8equal_toIvEEsEE10hipError_tPvRmT2_T3_T4_T5_mT6_T7_P12ihipStream_tbENKUlT_T0_E_clISt17integral_constantIbLb1EES10_IbLb0EEEEDaSW_SX_EUlSW_E_NS1_11comp_targetILNS1_3genE3ELNS1_11target_archE908ELNS1_3gpuE7ELNS1_3repE0EEENS1_30default_config_static_selectorELNS0_4arch9wavefront6targetE0EEEvT1_
                                        ; -- End function
	.set _ZN7rocprim17ROCPRIM_400000_NS6detail17trampoline_kernelINS0_14default_configENS1_27scan_by_key_config_selectorIisEEZZNS1_16scan_by_key_implILNS1_25lookback_scan_determinismE0ELb0ES3_N6thrust23THRUST_200600_302600_NS6detail15normal_iteratorINS9_10device_ptrIiEEEENSB_INSC_IsEEEESG_sNS9_4plusIvEENS9_8equal_toIvEEsEE10hipError_tPvRmT2_T3_T4_T5_mT6_T7_P12ihipStream_tbENKUlT_T0_E_clISt17integral_constantIbLb1EES10_IbLb0EEEEDaSW_SX_EUlSW_E_NS1_11comp_targetILNS1_3genE3ELNS1_11target_archE908ELNS1_3gpuE7ELNS1_3repE0EEENS1_30default_config_static_selectorELNS0_4arch9wavefront6targetE0EEEvT1_.num_vgpr, 0
	.set _ZN7rocprim17ROCPRIM_400000_NS6detail17trampoline_kernelINS0_14default_configENS1_27scan_by_key_config_selectorIisEEZZNS1_16scan_by_key_implILNS1_25lookback_scan_determinismE0ELb0ES3_N6thrust23THRUST_200600_302600_NS6detail15normal_iteratorINS9_10device_ptrIiEEEENSB_INSC_IsEEEESG_sNS9_4plusIvEENS9_8equal_toIvEEsEE10hipError_tPvRmT2_T3_T4_T5_mT6_T7_P12ihipStream_tbENKUlT_T0_E_clISt17integral_constantIbLb1EES10_IbLb0EEEEDaSW_SX_EUlSW_E_NS1_11comp_targetILNS1_3genE3ELNS1_11target_archE908ELNS1_3gpuE7ELNS1_3repE0EEENS1_30default_config_static_selectorELNS0_4arch9wavefront6targetE0EEEvT1_.num_agpr, 0
	.set _ZN7rocprim17ROCPRIM_400000_NS6detail17trampoline_kernelINS0_14default_configENS1_27scan_by_key_config_selectorIisEEZZNS1_16scan_by_key_implILNS1_25lookback_scan_determinismE0ELb0ES3_N6thrust23THRUST_200600_302600_NS6detail15normal_iteratorINS9_10device_ptrIiEEEENSB_INSC_IsEEEESG_sNS9_4plusIvEENS9_8equal_toIvEEsEE10hipError_tPvRmT2_T3_T4_T5_mT6_T7_P12ihipStream_tbENKUlT_T0_E_clISt17integral_constantIbLb1EES10_IbLb0EEEEDaSW_SX_EUlSW_E_NS1_11comp_targetILNS1_3genE3ELNS1_11target_archE908ELNS1_3gpuE7ELNS1_3repE0EEENS1_30default_config_static_selectorELNS0_4arch9wavefront6targetE0EEEvT1_.numbered_sgpr, 0
	.set _ZN7rocprim17ROCPRIM_400000_NS6detail17trampoline_kernelINS0_14default_configENS1_27scan_by_key_config_selectorIisEEZZNS1_16scan_by_key_implILNS1_25lookback_scan_determinismE0ELb0ES3_N6thrust23THRUST_200600_302600_NS6detail15normal_iteratorINS9_10device_ptrIiEEEENSB_INSC_IsEEEESG_sNS9_4plusIvEENS9_8equal_toIvEEsEE10hipError_tPvRmT2_T3_T4_T5_mT6_T7_P12ihipStream_tbENKUlT_T0_E_clISt17integral_constantIbLb1EES10_IbLb0EEEEDaSW_SX_EUlSW_E_NS1_11comp_targetILNS1_3genE3ELNS1_11target_archE908ELNS1_3gpuE7ELNS1_3repE0EEENS1_30default_config_static_selectorELNS0_4arch9wavefront6targetE0EEEvT1_.num_named_barrier, 0
	.set _ZN7rocprim17ROCPRIM_400000_NS6detail17trampoline_kernelINS0_14default_configENS1_27scan_by_key_config_selectorIisEEZZNS1_16scan_by_key_implILNS1_25lookback_scan_determinismE0ELb0ES3_N6thrust23THRUST_200600_302600_NS6detail15normal_iteratorINS9_10device_ptrIiEEEENSB_INSC_IsEEEESG_sNS9_4plusIvEENS9_8equal_toIvEEsEE10hipError_tPvRmT2_T3_T4_T5_mT6_T7_P12ihipStream_tbENKUlT_T0_E_clISt17integral_constantIbLb1EES10_IbLb0EEEEDaSW_SX_EUlSW_E_NS1_11comp_targetILNS1_3genE3ELNS1_11target_archE908ELNS1_3gpuE7ELNS1_3repE0EEENS1_30default_config_static_selectorELNS0_4arch9wavefront6targetE0EEEvT1_.private_seg_size, 0
	.set _ZN7rocprim17ROCPRIM_400000_NS6detail17trampoline_kernelINS0_14default_configENS1_27scan_by_key_config_selectorIisEEZZNS1_16scan_by_key_implILNS1_25lookback_scan_determinismE0ELb0ES3_N6thrust23THRUST_200600_302600_NS6detail15normal_iteratorINS9_10device_ptrIiEEEENSB_INSC_IsEEEESG_sNS9_4plusIvEENS9_8equal_toIvEEsEE10hipError_tPvRmT2_T3_T4_T5_mT6_T7_P12ihipStream_tbENKUlT_T0_E_clISt17integral_constantIbLb1EES10_IbLb0EEEEDaSW_SX_EUlSW_E_NS1_11comp_targetILNS1_3genE3ELNS1_11target_archE908ELNS1_3gpuE7ELNS1_3repE0EEENS1_30default_config_static_selectorELNS0_4arch9wavefront6targetE0EEEvT1_.uses_vcc, 0
	.set _ZN7rocprim17ROCPRIM_400000_NS6detail17trampoline_kernelINS0_14default_configENS1_27scan_by_key_config_selectorIisEEZZNS1_16scan_by_key_implILNS1_25lookback_scan_determinismE0ELb0ES3_N6thrust23THRUST_200600_302600_NS6detail15normal_iteratorINS9_10device_ptrIiEEEENSB_INSC_IsEEEESG_sNS9_4plusIvEENS9_8equal_toIvEEsEE10hipError_tPvRmT2_T3_T4_T5_mT6_T7_P12ihipStream_tbENKUlT_T0_E_clISt17integral_constantIbLb1EES10_IbLb0EEEEDaSW_SX_EUlSW_E_NS1_11comp_targetILNS1_3genE3ELNS1_11target_archE908ELNS1_3gpuE7ELNS1_3repE0EEENS1_30default_config_static_selectorELNS0_4arch9wavefront6targetE0EEEvT1_.uses_flat_scratch, 0
	.set _ZN7rocprim17ROCPRIM_400000_NS6detail17trampoline_kernelINS0_14default_configENS1_27scan_by_key_config_selectorIisEEZZNS1_16scan_by_key_implILNS1_25lookback_scan_determinismE0ELb0ES3_N6thrust23THRUST_200600_302600_NS6detail15normal_iteratorINS9_10device_ptrIiEEEENSB_INSC_IsEEEESG_sNS9_4plusIvEENS9_8equal_toIvEEsEE10hipError_tPvRmT2_T3_T4_T5_mT6_T7_P12ihipStream_tbENKUlT_T0_E_clISt17integral_constantIbLb1EES10_IbLb0EEEEDaSW_SX_EUlSW_E_NS1_11comp_targetILNS1_3genE3ELNS1_11target_archE908ELNS1_3gpuE7ELNS1_3repE0EEENS1_30default_config_static_selectorELNS0_4arch9wavefront6targetE0EEEvT1_.has_dyn_sized_stack, 0
	.set _ZN7rocprim17ROCPRIM_400000_NS6detail17trampoline_kernelINS0_14default_configENS1_27scan_by_key_config_selectorIisEEZZNS1_16scan_by_key_implILNS1_25lookback_scan_determinismE0ELb0ES3_N6thrust23THRUST_200600_302600_NS6detail15normal_iteratorINS9_10device_ptrIiEEEENSB_INSC_IsEEEESG_sNS9_4plusIvEENS9_8equal_toIvEEsEE10hipError_tPvRmT2_T3_T4_T5_mT6_T7_P12ihipStream_tbENKUlT_T0_E_clISt17integral_constantIbLb1EES10_IbLb0EEEEDaSW_SX_EUlSW_E_NS1_11comp_targetILNS1_3genE3ELNS1_11target_archE908ELNS1_3gpuE7ELNS1_3repE0EEENS1_30default_config_static_selectorELNS0_4arch9wavefront6targetE0EEEvT1_.has_recursion, 0
	.set _ZN7rocprim17ROCPRIM_400000_NS6detail17trampoline_kernelINS0_14default_configENS1_27scan_by_key_config_selectorIisEEZZNS1_16scan_by_key_implILNS1_25lookback_scan_determinismE0ELb0ES3_N6thrust23THRUST_200600_302600_NS6detail15normal_iteratorINS9_10device_ptrIiEEEENSB_INSC_IsEEEESG_sNS9_4plusIvEENS9_8equal_toIvEEsEE10hipError_tPvRmT2_T3_T4_T5_mT6_T7_P12ihipStream_tbENKUlT_T0_E_clISt17integral_constantIbLb1EES10_IbLb0EEEEDaSW_SX_EUlSW_E_NS1_11comp_targetILNS1_3genE3ELNS1_11target_archE908ELNS1_3gpuE7ELNS1_3repE0EEENS1_30default_config_static_selectorELNS0_4arch9wavefront6targetE0EEEvT1_.has_indirect_call, 0
	.section	.AMDGPU.csdata,"",@progbits
; Kernel info:
; codeLenInByte = 0
; TotalNumSgprs: 0
; NumVgprs: 0
; ScratchSize: 0
; MemoryBound: 0
; FloatMode: 240
; IeeeMode: 1
; LDSByteSize: 0 bytes/workgroup (compile time only)
; SGPRBlocks: 0
; VGPRBlocks: 0
; NumSGPRsForWavesPerEU: 1
; NumVGPRsForWavesPerEU: 1
; Occupancy: 16
; WaveLimiterHint : 0
; COMPUTE_PGM_RSRC2:SCRATCH_EN: 0
; COMPUTE_PGM_RSRC2:USER_SGPR: 6
; COMPUTE_PGM_RSRC2:TRAP_HANDLER: 0
; COMPUTE_PGM_RSRC2:TGID_X_EN: 1
; COMPUTE_PGM_RSRC2:TGID_Y_EN: 0
; COMPUTE_PGM_RSRC2:TGID_Z_EN: 0
; COMPUTE_PGM_RSRC2:TIDIG_COMP_CNT: 0
	.section	.text._ZN7rocprim17ROCPRIM_400000_NS6detail17trampoline_kernelINS0_14default_configENS1_27scan_by_key_config_selectorIisEEZZNS1_16scan_by_key_implILNS1_25lookback_scan_determinismE0ELb0ES3_N6thrust23THRUST_200600_302600_NS6detail15normal_iteratorINS9_10device_ptrIiEEEENSB_INSC_IsEEEESG_sNS9_4plusIvEENS9_8equal_toIvEEsEE10hipError_tPvRmT2_T3_T4_T5_mT6_T7_P12ihipStream_tbENKUlT_T0_E_clISt17integral_constantIbLb1EES10_IbLb0EEEEDaSW_SX_EUlSW_E_NS1_11comp_targetILNS1_3genE2ELNS1_11target_archE906ELNS1_3gpuE6ELNS1_3repE0EEENS1_30default_config_static_selectorELNS0_4arch9wavefront6targetE0EEEvT1_,"axG",@progbits,_ZN7rocprim17ROCPRIM_400000_NS6detail17trampoline_kernelINS0_14default_configENS1_27scan_by_key_config_selectorIisEEZZNS1_16scan_by_key_implILNS1_25lookback_scan_determinismE0ELb0ES3_N6thrust23THRUST_200600_302600_NS6detail15normal_iteratorINS9_10device_ptrIiEEEENSB_INSC_IsEEEESG_sNS9_4plusIvEENS9_8equal_toIvEEsEE10hipError_tPvRmT2_T3_T4_T5_mT6_T7_P12ihipStream_tbENKUlT_T0_E_clISt17integral_constantIbLb1EES10_IbLb0EEEEDaSW_SX_EUlSW_E_NS1_11comp_targetILNS1_3genE2ELNS1_11target_archE906ELNS1_3gpuE6ELNS1_3repE0EEENS1_30default_config_static_selectorELNS0_4arch9wavefront6targetE0EEEvT1_,comdat
	.protected	_ZN7rocprim17ROCPRIM_400000_NS6detail17trampoline_kernelINS0_14default_configENS1_27scan_by_key_config_selectorIisEEZZNS1_16scan_by_key_implILNS1_25lookback_scan_determinismE0ELb0ES3_N6thrust23THRUST_200600_302600_NS6detail15normal_iteratorINS9_10device_ptrIiEEEENSB_INSC_IsEEEESG_sNS9_4plusIvEENS9_8equal_toIvEEsEE10hipError_tPvRmT2_T3_T4_T5_mT6_T7_P12ihipStream_tbENKUlT_T0_E_clISt17integral_constantIbLb1EES10_IbLb0EEEEDaSW_SX_EUlSW_E_NS1_11comp_targetILNS1_3genE2ELNS1_11target_archE906ELNS1_3gpuE6ELNS1_3repE0EEENS1_30default_config_static_selectorELNS0_4arch9wavefront6targetE0EEEvT1_ ; -- Begin function _ZN7rocprim17ROCPRIM_400000_NS6detail17trampoline_kernelINS0_14default_configENS1_27scan_by_key_config_selectorIisEEZZNS1_16scan_by_key_implILNS1_25lookback_scan_determinismE0ELb0ES3_N6thrust23THRUST_200600_302600_NS6detail15normal_iteratorINS9_10device_ptrIiEEEENSB_INSC_IsEEEESG_sNS9_4plusIvEENS9_8equal_toIvEEsEE10hipError_tPvRmT2_T3_T4_T5_mT6_T7_P12ihipStream_tbENKUlT_T0_E_clISt17integral_constantIbLb1EES10_IbLb0EEEEDaSW_SX_EUlSW_E_NS1_11comp_targetILNS1_3genE2ELNS1_11target_archE906ELNS1_3gpuE6ELNS1_3repE0EEENS1_30default_config_static_selectorELNS0_4arch9wavefront6targetE0EEEvT1_
	.globl	_ZN7rocprim17ROCPRIM_400000_NS6detail17trampoline_kernelINS0_14default_configENS1_27scan_by_key_config_selectorIisEEZZNS1_16scan_by_key_implILNS1_25lookback_scan_determinismE0ELb0ES3_N6thrust23THRUST_200600_302600_NS6detail15normal_iteratorINS9_10device_ptrIiEEEENSB_INSC_IsEEEESG_sNS9_4plusIvEENS9_8equal_toIvEEsEE10hipError_tPvRmT2_T3_T4_T5_mT6_T7_P12ihipStream_tbENKUlT_T0_E_clISt17integral_constantIbLb1EES10_IbLb0EEEEDaSW_SX_EUlSW_E_NS1_11comp_targetILNS1_3genE2ELNS1_11target_archE906ELNS1_3gpuE6ELNS1_3repE0EEENS1_30default_config_static_selectorELNS0_4arch9wavefront6targetE0EEEvT1_
	.p2align	8
	.type	_ZN7rocprim17ROCPRIM_400000_NS6detail17trampoline_kernelINS0_14default_configENS1_27scan_by_key_config_selectorIisEEZZNS1_16scan_by_key_implILNS1_25lookback_scan_determinismE0ELb0ES3_N6thrust23THRUST_200600_302600_NS6detail15normal_iteratorINS9_10device_ptrIiEEEENSB_INSC_IsEEEESG_sNS9_4plusIvEENS9_8equal_toIvEEsEE10hipError_tPvRmT2_T3_T4_T5_mT6_T7_P12ihipStream_tbENKUlT_T0_E_clISt17integral_constantIbLb1EES10_IbLb0EEEEDaSW_SX_EUlSW_E_NS1_11comp_targetILNS1_3genE2ELNS1_11target_archE906ELNS1_3gpuE6ELNS1_3repE0EEENS1_30default_config_static_selectorELNS0_4arch9wavefront6targetE0EEEvT1_,@function
_ZN7rocprim17ROCPRIM_400000_NS6detail17trampoline_kernelINS0_14default_configENS1_27scan_by_key_config_selectorIisEEZZNS1_16scan_by_key_implILNS1_25lookback_scan_determinismE0ELb0ES3_N6thrust23THRUST_200600_302600_NS6detail15normal_iteratorINS9_10device_ptrIiEEEENSB_INSC_IsEEEESG_sNS9_4plusIvEENS9_8equal_toIvEEsEE10hipError_tPvRmT2_T3_T4_T5_mT6_T7_P12ihipStream_tbENKUlT_T0_E_clISt17integral_constantIbLb1EES10_IbLb0EEEEDaSW_SX_EUlSW_E_NS1_11comp_targetILNS1_3genE2ELNS1_11target_archE906ELNS1_3gpuE6ELNS1_3repE0EEENS1_30default_config_static_selectorELNS0_4arch9wavefront6targetE0EEEvT1_: ; @_ZN7rocprim17ROCPRIM_400000_NS6detail17trampoline_kernelINS0_14default_configENS1_27scan_by_key_config_selectorIisEEZZNS1_16scan_by_key_implILNS1_25lookback_scan_determinismE0ELb0ES3_N6thrust23THRUST_200600_302600_NS6detail15normal_iteratorINS9_10device_ptrIiEEEENSB_INSC_IsEEEESG_sNS9_4plusIvEENS9_8equal_toIvEEsEE10hipError_tPvRmT2_T3_T4_T5_mT6_T7_P12ihipStream_tbENKUlT_T0_E_clISt17integral_constantIbLb1EES10_IbLb0EEEEDaSW_SX_EUlSW_E_NS1_11comp_targetILNS1_3genE2ELNS1_11target_archE906ELNS1_3gpuE6ELNS1_3repE0EEENS1_30default_config_static_selectorELNS0_4arch9wavefront6targetE0EEEvT1_
; %bb.0:
	.section	.rodata,"a",@progbits
	.p2align	6, 0x0
	.amdhsa_kernel _ZN7rocprim17ROCPRIM_400000_NS6detail17trampoline_kernelINS0_14default_configENS1_27scan_by_key_config_selectorIisEEZZNS1_16scan_by_key_implILNS1_25lookback_scan_determinismE0ELb0ES3_N6thrust23THRUST_200600_302600_NS6detail15normal_iteratorINS9_10device_ptrIiEEEENSB_INSC_IsEEEESG_sNS9_4plusIvEENS9_8equal_toIvEEsEE10hipError_tPvRmT2_T3_T4_T5_mT6_T7_P12ihipStream_tbENKUlT_T0_E_clISt17integral_constantIbLb1EES10_IbLb0EEEEDaSW_SX_EUlSW_E_NS1_11comp_targetILNS1_3genE2ELNS1_11target_archE906ELNS1_3gpuE6ELNS1_3repE0EEENS1_30default_config_static_selectorELNS0_4arch9wavefront6targetE0EEEvT1_
		.amdhsa_group_segment_fixed_size 0
		.amdhsa_private_segment_fixed_size 0
		.amdhsa_kernarg_size 112
		.amdhsa_user_sgpr_count 6
		.amdhsa_user_sgpr_private_segment_buffer 1
		.amdhsa_user_sgpr_dispatch_ptr 0
		.amdhsa_user_sgpr_queue_ptr 0
		.amdhsa_user_sgpr_kernarg_segment_ptr 1
		.amdhsa_user_sgpr_dispatch_id 0
		.amdhsa_user_sgpr_flat_scratch_init 0
		.amdhsa_user_sgpr_private_segment_size 0
		.amdhsa_wavefront_size32 1
		.amdhsa_uses_dynamic_stack 0
		.amdhsa_system_sgpr_private_segment_wavefront_offset 0
		.amdhsa_system_sgpr_workgroup_id_x 1
		.amdhsa_system_sgpr_workgroup_id_y 0
		.amdhsa_system_sgpr_workgroup_id_z 0
		.amdhsa_system_sgpr_workgroup_info 0
		.amdhsa_system_vgpr_workitem_id 0
		.amdhsa_next_free_vgpr 1
		.amdhsa_next_free_sgpr 1
		.amdhsa_reserve_vcc 0
		.amdhsa_reserve_flat_scratch 0
		.amdhsa_float_round_mode_32 0
		.amdhsa_float_round_mode_16_64 0
		.amdhsa_float_denorm_mode_32 3
		.amdhsa_float_denorm_mode_16_64 3
		.amdhsa_dx10_clamp 1
		.amdhsa_ieee_mode 1
		.amdhsa_fp16_overflow 0
		.amdhsa_workgroup_processor_mode 1
		.amdhsa_memory_ordered 1
		.amdhsa_forward_progress 1
		.amdhsa_shared_vgpr_count 0
		.amdhsa_exception_fp_ieee_invalid_op 0
		.amdhsa_exception_fp_denorm_src 0
		.amdhsa_exception_fp_ieee_div_zero 0
		.amdhsa_exception_fp_ieee_overflow 0
		.amdhsa_exception_fp_ieee_underflow 0
		.amdhsa_exception_fp_ieee_inexact 0
		.amdhsa_exception_int_div_zero 0
	.end_amdhsa_kernel
	.section	.text._ZN7rocprim17ROCPRIM_400000_NS6detail17trampoline_kernelINS0_14default_configENS1_27scan_by_key_config_selectorIisEEZZNS1_16scan_by_key_implILNS1_25lookback_scan_determinismE0ELb0ES3_N6thrust23THRUST_200600_302600_NS6detail15normal_iteratorINS9_10device_ptrIiEEEENSB_INSC_IsEEEESG_sNS9_4plusIvEENS9_8equal_toIvEEsEE10hipError_tPvRmT2_T3_T4_T5_mT6_T7_P12ihipStream_tbENKUlT_T0_E_clISt17integral_constantIbLb1EES10_IbLb0EEEEDaSW_SX_EUlSW_E_NS1_11comp_targetILNS1_3genE2ELNS1_11target_archE906ELNS1_3gpuE6ELNS1_3repE0EEENS1_30default_config_static_selectorELNS0_4arch9wavefront6targetE0EEEvT1_,"axG",@progbits,_ZN7rocprim17ROCPRIM_400000_NS6detail17trampoline_kernelINS0_14default_configENS1_27scan_by_key_config_selectorIisEEZZNS1_16scan_by_key_implILNS1_25lookback_scan_determinismE0ELb0ES3_N6thrust23THRUST_200600_302600_NS6detail15normal_iteratorINS9_10device_ptrIiEEEENSB_INSC_IsEEEESG_sNS9_4plusIvEENS9_8equal_toIvEEsEE10hipError_tPvRmT2_T3_T4_T5_mT6_T7_P12ihipStream_tbENKUlT_T0_E_clISt17integral_constantIbLb1EES10_IbLb0EEEEDaSW_SX_EUlSW_E_NS1_11comp_targetILNS1_3genE2ELNS1_11target_archE906ELNS1_3gpuE6ELNS1_3repE0EEENS1_30default_config_static_selectorELNS0_4arch9wavefront6targetE0EEEvT1_,comdat
.Lfunc_end1377:
	.size	_ZN7rocprim17ROCPRIM_400000_NS6detail17trampoline_kernelINS0_14default_configENS1_27scan_by_key_config_selectorIisEEZZNS1_16scan_by_key_implILNS1_25lookback_scan_determinismE0ELb0ES3_N6thrust23THRUST_200600_302600_NS6detail15normal_iteratorINS9_10device_ptrIiEEEENSB_INSC_IsEEEESG_sNS9_4plusIvEENS9_8equal_toIvEEsEE10hipError_tPvRmT2_T3_T4_T5_mT6_T7_P12ihipStream_tbENKUlT_T0_E_clISt17integral_constantIbLb1EES10_IbLb0EEEEDaSW_SX_EUlSW_E_NS1_11comp_targetILNS1_3genE2ELNS1_11target_archE906ELNS1_3gpuE6ELNS1_3repE0EEENS1_30default_config_static_selectorELNS0_4arch9wavefront6targetE0EEEvT1_, .Lfunc_end1377-_ZN7rocprim17ROCPRIM_400000_NS6detail17trampoline_kernelINS0_14default_configENS1_27scan_by_key_config_selectorIisEEZZNS1_16scan_by_key_implILNS1_25lookback_scan_determinismE0ELb0ES3_N6thrust23THRUST_200600_302600_NS6detail15normal_iteratorINS9_10device_ptrIiEEEENSB_INSC_IsEEEESG_sNS9_4plusIvEENS9_8equal_toIvEEsEE10hipError_tPvRmT2_T3_T4_T5_mT6_T7_P12ihipStream_tbENKUlT_T0_E_clISt17integral_constantIbLb1EES10_IbLb0EEEEDaSW_SX_EUlSW_E_NS1_11comp_targetILNS1_3genE2ELNS1_11target_archE906ELNS1_3gpuE6ELNS1_3repE0EEENS1_30default_config_static_selectorELNS0_4arch9wavefront6targetE0EEEvT1_
                                        ; -- End function
	.set _ZN7rocprim17ROCPRIM_400000_NS6detail17trampoline_kernelINS0_14default_configENS1_27scan_by_key_config_selectorIisEEZZNS1_16scan_by_key_implILNS1_25lookback_scan_determinismE0ELb0ES3_N6thrust23THRUST_200600_302600_NS6detail15normal_iteratorINS9_10device_ptrIiEEEENSB_INSC_IsEEEESG_sNS9_4plusIvEENS9_8equal_toIvEEsEE10hipError_tPvRmT2_T3_T4_T5_mT6_T7_P12ihipStream_tbENKUlT_T0_E_clISt17integral_constantIbLb1EES10_IbLb0EEEEDaSW_SX_EUlSW_E_NS1_11comp_targetILNS1_3genE2ELNS1_11target_archE906ELNS1_3gpuE6ELNS1_3repE0EEENS1_30default_config_static_selectorELNS0_4arch9wavefront6targetE0EEEvT1_.num_vgpr, 0
	.set _ZN7rocprim17ROCPRIM_400000_NS6detail17trampoline_kernelINS0_14default_configENS1_27scan_by_key_config_selectorIisEEZZNS1_16scan_by_key_implILNS1_25lookback_scan_determinismE0ELb0ES3_N6thrust23THRUST_200600_302600_NS6detail15normal_iteratorINS9_10device_ptrIiEEEENSB_INSC_IsEEEESG_sNS9_4plusIvEENS9_8equal_toIvEEsEE10hipError_tPvRmT2_T3_T4_T5_mT6_T7_P12ihipStream_tbENKUlT_T0_E_clISt17integral_constantIbLb1EES10_IbLb0EEEEDaSW_SX_EUlSW_E_NS1_11comp_targetILNS1_3genE2ELNS1_11target_archE906ELNS1_3gpuE6ELNS1_3repE0EEENS1_30default_config_static_selectorELNS0_4arch9wavefront6targetE0EEEvT1_.num_agpr, 0
	.set _ZN7rocprim17ROCPRIM_400000_NS6detail17trampoline_kernelINS0_14default_configENS1_27scan_by_key_config_selectorIisEEZZNS1_16scan_by_key_implILNS1_25lookback_scan_determinismE0ELb0ES3_N6thrust23THRUST_200600_302600_NS6detail15normal_iteratorINS9_10device_ptrIiEEEENSB_INSC_IsEEEESG_sNS9_4plusIvEENS9_8equal_toIvEEsEE10hipError_tPvRmT2_T3_T4_T5_mT6_T7_P12ihipStream_tbENKUlT_T0_E_clISt17integral_constantIbLb1EES10_IbLb0EEEEDaSW_SX_EUlSW_E_NS1_11comp_targetILNS1_3genE2ELNS1_11target_archE906ELNS1_3gpuE6ELNS1_3repE0EEENS1_30default_config_static_selectorELNS0_4arch9wavefront6targetE0EEEvT1_.numbered_sgpr, 0
	.set _ZN7rocprim17ROCPRIM_400000_NS6detail17trampoline_kernelINS0_14default_configENS1_27scan_by_key_config_selectorIisEEZZNS1_16scan_by_key_implILNS1_25lookback_scan_determinismE0ELb0ES3_N6thrust23THRUST_200600_302600_NS6detail15normal_iteratorINS9_10device_ptrIiEEEENSB_INSC_IsEEEESG_sNS9_4plusIvEENS9_8equal_toIvEEsEE10hipError_tPvRmT2_T3_T4_T5_mT6_T7_P12ihipStream_tbENKUlT_T0_E_clISt17integral_constantIbLb1EES10_IbLb0EEEEDaSW_SX_EUlSW_E_NS1_11comp_targetILNS1_3genE2ELNS1_11target_archE906ELNS1_3gpuE6ELNS1_3repE0EEENS1_30default_config_static_selectorELNS0_4arch9wavefront6targetE0EEEvT1_.num_named_barrier, 0
	.set _ZN7rocprim17ROCPRIM_400000_NS6detail17trampoline_kernelINS0_14default_configENS1_27scan_by_key_config_selectorIisEEZZNS1_16scan_by_key_implILNS1_25lookback_scan_determinismE0ELb0ES3_N6thrust23THRUST_200600_302600_NS6detail15normal_iteratorINS9_10device_ptrIiEEEENSB_INSC_IsEEEESG_sNS9_4plusIvEENS9_8equal_toIvEEsEE10hipError_tPvRmT2_T3_T4_T5_mT6_T7_P12ihipStream_tbENKUlT_T0_E_clISt17integral_constantIbLb1EES10_IbLb0EEEEDaSW_SX_EUlSW_E_NS1_11comp_targetILNS1_3genE2ELNS1_11target_archE906ELNS1_3gpuE6ELNS1_3repE0EEENS1_30default_config_static_selectorELNS0_4arch9wavefront6targetE0EEEvT1_.private_seg_size, 0
	.set _ZN7rocprim17ROCPRIM_400000_NS6detail17trampoline_kernelINS0_14default_configENS1_27scan_by_key_config_selectorIisEEZZNS1_16scan_by_key_implILNS1_25lookback_scan_determinismE0ELb0ES3_N6thrust23THRUST_200600_302600_NS6detail15normal_iteratorINS9_10device_ptrIiEEEENSB_INSC_IsEEEESG_sNS9_4plusIvEENS9_8equal_toIvEEsEE10hipError_tPvRmT2_T3_T4_T5_mT6_T7_P12ihipStream_tbENKUlT_T0_E_clISt17integral_constantIbLb1EES10_IbLb0EEEEDaSW_SX_EUlSW_E_NS1_11comp_targetILNS1_3genE2ELNS1_11target_archE906ELNS1_3gpuE6ELNS1_3repE0EEENS1_30default_config_static_selectorELNS0_4arch9wavefront6targetE0EEEvT1_.uses_vcc, 0
	.set _ZN7rocprim17ROCPRIM_400000_NS6detail17trampoline_kernelINS0_14default_configENS1_27scan_by_key_config_selectorIisEEZZNS1_16scan_by_key_implILNS1_25lookback_scan_determinismE0ELb0ES3_N6thrust23THRUST_200600_302600_NS6detail15normal_iteratorINS9_10device_ptrIiEEEENSB_INSC_IsEEEESG_sNS9_4plusIvEENS9_8equal_toIvEEsEE10hipError_tPvRmT2_T3_T4_T5_mT6_T7_P12ihipStream_tbENKUlT_T0_E_clISt17integral_constantIbLb1EES10_IbLb0EEEEDaSW_SX_EUlSW_E_NS1_11comp_targetILNS1_3genE2ELNS1_11target_archE906ELNS1_3gpuE6ELNS1_3repE0EEENS1_30default_config_static_selectorELNS0_4arch9wavefront6targetE0EEEvT1_.uses_flat_scratch, 0
	.set _ZN7rocprim17ROCPRIM_400000_NS6detail17trampoline_kernelINS0_14default_configENS1_27scan_by_key_config_selectorIisEEZZNS1_16scan_by_key_implILNS1_25lookback_scan_determinismE0ELb0ES3_N6thrust23THRUST_200600_302600_NS6detail15normal_iteratorINS9_10device_ptrIiEEEENSB_INSC_IsEEEESG_sNS9_4plusIvEENS9_8equal_toIvEEsEE10hipError_tPvRmT2_T3_T4_T5_mT6_T7_P12ihipStream_tbENKUlT_T0_E_clISt17integral_constantIbLb1EES10_IbLb0EEEEDaSW_SX_EUlSW_E_NS1_11comp_targetILNS1_3genE2ELNS1_11target_archE906ELNS1_3gpuE6ELNS1_3repE0EEENS1_30default_config_static_selectorELNS0_4arch9wavefront6targetE0EEEvT1_.has_dyn_sized_stack, 0
	.set _ZN7rocprim17ROCPRIM_400000_NS6detail17trampoline_kernelINS0_14default_configENS1_27scan_by_key_config_selectorIisEEZZNS1_16scan_by_key_implILNS1_25lookback_scan_determinismE0ELb0ES3_N6thrust23THRUST_200600_302600_NS6detail15normal_iteratorINS9_10device_ptrIiEEEENSB_INSC_IsEEEESG_sNS9_4plusIvEENS9_8equal_toIvEEsEE10hipError_tPvRmT2_T3_T4_T5_mT6_T7_P12ihipStream_tbENKUlT_T0_E_clISt17integral_constantIbLb1EES10_IbLb0EEEEDaSW_SX_EUlSW_E_NS1_11comp_targetILNS1_3genE2ELNS1_11target_archE906ELNS1_3gpuE6ELNS1_3repE0EEENS1_30default_config_static_selectorELNS0_4arch9wavefront6targetE0EEEvT1_.has_recursion, 0
	.set _ZN7rocprim17ROCPRIM_400000_NS6detail17trampoline_kernelINS0_14default_configENS1_27scan_by_key_config_selectorIisEEZZNS1_16scan_by_key_implILNS1_25lookback_scan_determinismE0ELb0ES3_N6thrust23THRUST_200600_302600_NS6detail15normal_iteratorINS9_10device_ptrIiEEEENSB_INSC_IsEEEESG_sNS9_4plusIvEENS9_8equal_toIvEEsEE10hipError_tPvRmT2_T3_T4_T5_mT6_T7_P12ihipStream_tbENKUlT_T0_E_clISt17integral_constantIbLb1EES10_IbLb0EEEEDaSW_SX_EUlSW_E_NS1_11comp_targetILNS1_3genE2ELNS1_11target_archE906ELNS1_3gpuE6ELNS1_3repE0EEENS1_30default_config_static_selectorELNS0_4arch9wavefront6targetE0EEEvT1_.has_indirect_call, 0
	.section	.AMDGPU.csdata,"",@progbits
; Kernel info:
; codeLenInByte = 0
; TotalNumSgprs: 0
; NumVgprs: 0
; ScratchSize: 0
; MemoryBound: 0
; FloatMode: 240
; IeeeMode: 1
; LDSByteSize: 0 bytes/workgroup (compile time only)
; SGPRBlocks: 0
; VGPRBlocks: 0
; NumSGPRsForWavesPerEU: 1
; NumVGPRsForWavesPerEU: 1
; Occupancy: 16
; WaveLimiterHint : 0
; COMPUTE_PGM_RSRC2:SCRATCH_EN: 0
; COMPUTE_PGM_RSRC2:USER_SGPR: 6
; COMPUTE_PGM_RSRC2:TRAP_HANDLER: 0
; COMPUTE_PGM_RSRC2:TGID_X_EN: 1
; COMPUTE_PGM_RSRC2:TGID_Y_EN: 0
; COMPUTE_PGM_RSRC2:TGID_Z_EN: 0
; COMPUTE_PGM_RSRC2:TIDIG_COMP_CNT: 0
	.section	.text._ZN7rocprim17ROCPRIM_400000_NS6detail17trampoline_kernelINS0_14default_configENS1_27scan_by_key_config_selectorIisEEZZNS1_16scan_by_key_implILNS1_25lookback_scan_determinismE0ELb0ES3_N6thrust23THRUST_200600_302600_NS6detail15normal_iteratorINS9_10device_ptrIiEEEENSB_INSC_IsEEEESG_sNS9_4plusIvEENS9_8equal_toIvEEsEE10hipError_tPvRmT2_T3_T4_T5_mT6_T7_P12ihipStream_tbENKUlT_T0_E_clISt17integral_constantIbLb1EES10_IbLb0EEEEDaSW_SX_EUlSW_E_NS1_11comp_targetILNS1_3genE10ELNS1_11target_archE1200ELNS1_3gpuE4ELNS1_3repE0EEENS1_30default_config_static_selectorELNS0_4arch9wavefront6targetE0EEEvT1_,"axG",@progbits,_ZN7rocprim17ROCPRIM_400000_NS6detail17trampoline_kernelINS0_14default_configENS1_27scan_by_key_config_selectorIisEEZZNS1_16scan_by_key_implILNS1_25lookback_scan_determinismE0ELb0ES3_N6thrust23THRUST_200600_302600_NS6detail15normal_iteratorINS9_10device_ptrIiEEEENSB_INSC_IsEEEESG_sNS9_4plusIvEENS9_8equal_toIvEEsEE10hipError_tPvRmT2_T3_T4_T5_mT6_T7_P12ihipStream_tbENKUlT_T0_E_clISt17integral_constantIbLb1EES10_IbLb0EEEEDaSW_SX_EUlSW_E_NS1_11comp_targetILNS1_3genE10ELNS1_11target_archE1200ELNS1_3gpuE4ELNS1_3repE0EEENS1_30default_config_static_selectorELNS0_4arch9wavefront6targetE0EEEvT1_,comdat
	.protected	_ZN7rocprim17ROCPRIM_400000_NS6detail17trampoline_kernelINS0_14default_configENS1_27scan_by_key_config_selectorIisEEZZNS1_16scan_by_key_implILNS1_25lookback_scan_determinismE0ELb0ES3_N6thrust23THRUST_200600_302600_NS6detail15normal_iteratorINS9_10device_ptrIiEEEENSB_INSC_IsEEEESG_sNS9_4plusIvEENS9_8equal_toIvEEsEE10hipError_tPvRmT2_T3_T4_T5_mT6_T7_P12ihipStream_tbENKUlT_T0_E_clISt17integral_constantIbLb1EES10_IbLb0EEEEDaSW_SX_EUlSW_E_NS1_11comp_targetILNS1_3genE10ELNS1_11target_archE1200ELNS1_3gpuE4ELNS1_3repE0EEENS1_30default_config_static_selectorELNS0_4arch9wavefront6targetE0EEEvT1_ ; -- Begin function _ZN7rocprim17ROCPRIM_400000_NS6detail17trampoline_kernelINS0_14default_configENS1_27scan_by_key_config_selectorIisEEZZNS1_16scan_by_key_implILNS1_25lookback_scan_determinismE0ELb0ES3_N6thrust23THRUST_200600_302600_NS6detail15normal_iteratorINS9_10device_ptrIiEEEENSB_INSC_IsEEEESG_sNS9_4plusIvEENS9_8equal_toIvEEsEE10hipError_tPvRmT2_T3_T4_T5_mT6_T7_P12ihipStream_tbENKUlT_T0_E_clISt17integral_constantIbLb1EES10_IbLb0EEEEDaSW_SX_EUlSW_E_NS1_11comp_targetILNS1_3genE10ELNS1_11target_archE1200ELNS1_3gpuE4ELNS1_3repE0EEENS1_30default_config_static_selectorELNS0_4arch9wavefront6targetE0EEEvT1_
	.globl	_ZN7rocprim17ROCPRIM_400000_NS6detail17trampoline_kernelINS0_14default_configENS1_27scan_by_key_config_selectorIisEEZZNS1_16scan_by_key_implILNS1_25lookback_scan_determinismE0ELb0ES3_N6thrust23THRUST_200600_302600_NS6detail15normal_iteratorINS9_10device_ptrIiEEEENSB_INSC_IsEEEESG_sNS9_4plusIvEENS9_8equal_toIvEEsEE10hipError_tPvRmT2_T3_T4_T5_mT6_T7_P12ihipStream_tbENKUlT_T0_E_clISt17integral_constantIbLb1EES10_IbLb0EEEEDaSW_SX_EUlSW_E_NS1_11comp_targetILNS1_3genE10ELNS1_11target_archE1200ELNS1_3gpuE4ELNS1_3repE0EEENS1_30default_config_static_selectorELNS0_4arch9wavefront6targetE0EEEvT1_
	.p2align	8
	.type	_ZN7rocprim17ROCPRIM_400000_NS6detail17trampoline_kernelINS0_14default_configENS1_27scan_by_key_config_selectorIisEEZZNS1_16scan_by_key_implILNS1_25lookback_scan_determinismE0ELb0ES3_N6thrust23THRUST_200600_302600_NS6detail15normal_iteratorINS9_10device_ptrIiEEEENSB_INSC_IsEEEESG_sNS9_4plusIvEENS9_8equal_toIvEEsEE10hipError_tPvRmT2_T3_T4_T5_mT6_T7_P12ihipStream_tbENKUlT_T0_E_clISt17integral_constantIbLb1EES10_IbLb0EEEEDaSW_SX_EUlSW_E_NS1_11comp_targetILNS1_3genE10ELNS1_11target_archE1200ELNS1_3gpuE4ELNS1_3repE0EEENS1_30default_config_static_selectorELNS0_4arch9wavefront6targetE0EEEvT1_,@function
_ZN7rocprim17ROCPRIM_400000_NS6detail17trampoline_kernelINS0_14default_configENS1_27scan_by_key_config_selectorIisEEZZNS1_16scan_by_key_implILNS1_25lookback_scan_determinismE0ELb0ES3_N6thrust23THRUST_200600_302600_NS6detail15normal_iteratorINS9_10device_ptrIiEEEENSB_INSC_IsEEEESG_sNS9_4plusIvEENS9_8equal_toIvEEsEE10hipError_tPvRmT2_T3_T4_T5_mT6_T7_P12ihipStream_tbENKUlT_T0_E_clISt17integral_constantIbLb1EES10_IbLb0EEEEDaSW_SX_EUlSW_E_NS1_11comp_targetILNS1_3genE10ELNS1_11target_archE1200ELNS1_3gpuE4ELNS1_3repE0EEENS1_30default_config_static_selectorELNS0_4arch9wavefront6targetE0EEEvT1_: ; @_ZN7rocprim17ROCPRIM_400000_NS6detail17trampoline_kernelINS0_14default_configENS1_27scan_by_key_config_selectorIisEEZZNS1_16scan_by_key_implILNS1_25lookback_scan_determinismE0ELb0ES3_N6thrust23THRUST_200600_302600_NS6detail15normal_iteratorINS9_10device_ptrIiEEEENSB_INSC_IsEEEESG_sNS9_4plusIvEENS9_8equal_toIvEEsEE10hipError_tPvRmT2_T3_T4_T5_mT6_T7_P12ihipStream_tbENKUlT_T0_E_clISt17integral_constantIbLb1EES10_IbLb0EEEEDaSW_SX_EUlSW_E_NS1_11comp_targetILNS1_3genE10ELNS1_11target_archE1200ELNS1_3gpuE4ELNS1_3repE0EEENS1_30default_config_static_selectorELNS0_4arch9wavefront6targetE0EEEvT1_
; %bb.0:
	.section	.rodata,"a",@progbits
	.p2align	6, 0x0
	.amdhsa_kernel _ZN7rocprim17ROCPRIM_400000_NS6detail17trampoline_kernelINS0_14default_configENS1_27scan_by_key_config_selectorIisEEZZNS1_16scan_by_key_implILNS1_25lookback_scan_determinismE0ELb0ES3_N6thrust23THRUST_200600_302600_NS6detail15normal_iteratorINS9_10device_ptrIiEEEENSB_INSC_IsEEEESG_sNS9_4plusIvEENS9_8equal_toIvEEsEE10hipError_tPvRmT2_T3_T4_T5_mT6_T7_P12ihipStream_tbENKUlT_T0_E_clISt17integral_constantIbLb1EES10_IbLb0EEEEDaSW_SX_EUlSW_E_NS1_11comp_targetILNS1_3genE10ELNS1_11target_archE1200ELNS1_3gpuE4ELNS1_3repE0EEENS1_30default_config_static_selectorELNS0_4arch9wavefront6targetE0EEEvT1_
		.amdhsa_group_segment_fixed_size 0
		.amdhsa_private_segment_fixed_size 0
		.amdhsa_kernarg_size 112
		.amdhsa_user_sgpr_count 6
		.amdhsa_user_sgpr_private_segment_buffer 1
		.amdhsa_user_sgpr_dispatch_ptr 0
		.amdhsa_user_sgpr_queue_ptr 0
		.amdhsa_user_sgpr_kernarg_segment_ptr 1
		.amdhsa_user_sgpr_dispatch_id 0
		.amdhsa_user_sgpr_flat_scratch_init 0
		.amdhsa_user_sgpr_private_segment_size 0
		.amdhsa_wavefront_size32 1
		.amdhsa_uses_dynamic_stack 0
		.amdhsa_system_sgpr_private_segment_wavefront_offset 0
		.amdhsa_system_sgpr_workgroup_id_x 1
		.amdhsa_system_sgpr_workgroup_id_y 0
		.amdhsa_system_sgpr_workgroup_id_z 0
		.amdhsa_system_sgpr_workgroup_info 0
		.amdhsa_system_vgpr_workitem_id 0
		.amdhsa_next_free_vgpr 1
		.amdhsa_next_free_sgpr 1
		.amdhsa_reserve_vcc 0
		.amdhsa_reserve_flat_scratch 0
		.amdhsa_float_round_mode_32 0
		.amdhsa_float_round_mode_16_64 0
		.amdhsa_float_denorm_mode_32 3
		.amdhsa_float_denorm_mode_16_64 3
		.amdhsa_dx10_clamp 1
		.amdhsa_ieee_mode 1
		.amdhsa_fp16_overflow 0
		.amdhsa_workgroup_processor_mode 1
		.amdhsa_memory_ordered 1
		.amdhsa_forward_progress 1
		.amdhsa_shared_vgpr_count 0
		.amdhsa_exception_fp_ieee_invalid_op 0
		.amdhsa_exception_fp_denorm_src 0
		.amdhsa_exception_fp_ieee_div_zero 0
		.amdhsa_exception_fp_ieee_overflow 0
		.amdhsa_exception_fp_ieee_underflow 0
		.amdhsa_exception_fp_ieee_inexact 0
		.amdhsa_exception_int_div_zero 0
	.end_amdhsa_kernel
	.section	.text._ZN7rocprim17ROCPRIM_400000_NS6detail17trampoline_kernelINS0_14default_configENS1_27scan_by_key_config_selectorIisEEZZNS1_16scan_by_key_implILNS1_25lookback_scan_determinismE0ELb0ES3_N6thrust23THRUST_200600_302600_NS6detail15normal_iteratorINS9_10device_ptrIiEEEENSB_INSC_IsEEEESG_sNS9_4plusIvEENS9_8equal_toIvEEsEE10hipError_tPvRmT2_T3_T4_T5_mT6_T7_P12ihipStream_tbENKUlT_T0_E_clISt17integral_constantIbLb1EES10_IbLb0EEEEDaSW_SX_EUlSW_E_NS1_11comp_targetILNS1_3genE10ELNS1_11target_archE1200ELNS1_3gpuE4ELNS1_3repE0EEENS1_30default_config_static_selectorELNS0_4arch9wavefront6targetE0EEEvT1_,"axG",@progbits,_ZN7rocprim17ROCPRIM_400000_NS6detail17trampoline_kernelINS0_14default_configENS1_27scan_by_key_config_selectorIisEEZZNS1_16scan_by_key_implILNS1_25lookback_scan_determinismE0ELb0ES3_N6thrust23THRUST_200600_302600_NS6detail15normal_iteratorINS9_10device_ptrIiEEEENSB_INSC_IsEEEESG_sNS9_4plusIvEENS9_8equal_toIvEEsEE10hipError_tPvRmT2_T3_T4_T5_mT6_T7_P12ihipStream_tbENKUlT_T0_E_clISt17integral_constantIbLb1EES10_IbLb0EEEEDaSW_SX_EUlSW_E_NS1_11comp_targetILNS1_3genE10ELNS1_11target_archE1200ELNS1_3gpuE4ELNS1_3repE0EEENS1_30default_config_static_selectorELNS0_4arch9wavefront6targetE0EEEvT1_,comdat
.Lfunc_end1378:
	.size	_ZN7rocprim17ROCPRIM_400000_NS6detail17trampoline_kernelINS0_14default_configENS1_27scan_by_key_config_selectorIisEEZZNS1_16scan_by_key_implILNS1_25lookback_scan_determinismE0ELb0ES3_N6thrust23THRUST_200600_302600_NS6detail15normal_iteratorINS9_10device_ptrIiEEEENSB_INSC_IsEEEESG_sNS9_4plusIvEENS9_8equal_toIvEEsEE10hipError_tPvRmT2_T3_T4_T5_mT6_T7_P12ihipStream_tbENKUlT_T0_E_clISt17integral_constantIbLb1EES10_IbLb0EEEEDaSW_SX_EUlSW_E_NS1_11comp_targetILNS1_3genE10ELNS1_11target_archE1200ELNS1_3gpuE4ELNS1_3repE0EEENS1_30default_config_static_selectorELNS0_4arch9wavefront6targetE0EEEvT1_, .Lfunc_end1378-_ZN7rocprim17ROCPRIM_400000_NS6detail17trampoline_kernelINS0_14default_configENS1_27scan_by_key_config_selectorIisEEZZNS1_16scan_by_key_implILNS1_25lookback_scan_determinismE0ELb0ES3_N6thrust23THRUST_200600_302600_NS6detail15normal_iteratorINS9_10device_ptrIiEEEENSB_INSC_IsEEEESG_sNS9_4plusIvEENS9_8equal_toIvEEsEE10hipError_tPvRmT2_T3_T4_T5_mT6_T7_P12ihipStream_tbENKUlT_T0_E_clISt17integral_constantIbLb1EES10_IbLb0EEEEDaSW_SX_EUlSW_E_NS1_11comp_targetILNS1_3genE10ELNS1_11target_archE1200ELNS1_3gpuE4ELNS1_3repE0EEENS1_30default_config_static_selectorELNS0_4arch9wavefront6targetE0EEEvT1_
                                        ; -- End function
	.set _ZN7rocprim17ROCPRIM_400000_NS6detail17trampoline_kernelINS0_14default_configENS1_27scan_by_key_config_selectorIisEEZZNS1_16scan_by_key_implILNS1_25lookback_scan_determinismE0ELb0ES3_N6thrust23THRUST_200600_302600_NS6detail15normal_iteratorINS9_10device_ptrIiEEEENSB_INSC_IsEEEESG_sNS9_4plusIvEENS9_8equal_toIvEEsEE10hipError_tPvRmT2_T3_T4_T5_mT6_T7_P12ihipStream_tbENKUlT_T0_E_clISt17integral_constantIbLb1EES10_IbLb0EEEEDaSW_SX_EUlSW_E_NS1_11comp_targetILNS1_3genE10ELNS1_11target_archE1200ELNS1_3gpuE4ELNS1_3repE0EEENS1_30default_config_static_selectorELNS0_4arch9wavefront6targetE0EEEvT1_.num_vgpr, 0
	.set _ZN7rocprim17ROCPRIM_400000_NS6detail17trampoline_kernelINS0_14default_configENS1_27scan_by_key_config_selectorIisEEZZNS1_16scan_by_key_implILNS1_25lookback_scan_determinismE0ELb0ES3_N6thrust23THRUST_200600_302600_NS6detail15normal_iteratorINS9_10device_ptrIiEEEENSB_INSC_IsEEEESG_sNS9_4plusIvEENS9_8equal_toIvEEsEE10hipError_tPvRmT2_T3_T4_T5_mT6_T7_P12ihipStream_tbENKUlT_T0_E_clISt17integral_constantIbLb1EES10_IbLb0EEEEDaSW_SX_EUlSW_E_NS1_11comp_targetILNS1_3genE10ELNS1_11target_archE1200ELNS1_3gpuE4ELNS1_3repE0EEENS1_30default_config_static_selectorELNS0_4arch9wavefront6targetE0EEEvT1_.num_agpr, 0
	.set _ZN7rocprim17ROCPRIM_400000_NS6detail17trampoline_kernelINS0_14default_configENS1_27scan_by_key_config_selectorIisEEZZNS1_16scan_by_key_implILNS1_25lookback_scan_determinismE0ELb0ES3_N6thrust23THRUST_200600_302600_NS6detail15normal_iteratorINS9_10device_ptrIiEEEENSB_INSC_IsEEEESG_sNS9_4plusIvEENS9_8equal_toIvEEsEE10hipError_tPvRmT2_T3_T4_T5_mT6_T7_P12ihipStream_tbENKUlT_T0_E_clISt17integral_constantIbLb1EES10_IbLb0EEEEDaSW_SX_EUlSW_E_NS1_11comp_targetILNS1_3genE10ELNS1_11target_archE1200ELNS1_3gpuE4ELNS1_3repE0EEENS1_30default_config_static_selectorELNS0_4arch9wavefront6targetE0EEEvT1_.numbered_sgpr, 0
	.set _ZN7rocprim17ROCPRIM_400000_NS6detail17trampoline_kernelINS0_14default_configENS1_27scan_by_key_config_selectorIisEEZZNS1_16scan_by_key_implILNS1_25lookback_scan_determinismE0ELb0ES3_N6thrust23THRUST_200600_302600_NS6detail15normal_iteratorINS9_10device_ptrIiEEEENSB_INSC_IsEEEESG_sNS9_4plusIvEENS9_8equal_toIvEEsEE10hipError_tPvRmT2_T3_T4_T5_mT6_T7_P12ihipStream_tbENKUlT_T0_E_clISt17integral_constantIbLb1EES10_IbLb0EEEEDaSW_SX_EUlSW_E_NS1_11comp_targetILNS1_3genE10ELNS1_11target_archE1200ELNS1_3gpuE4ELNS1_3repE0EEENS1_30default_config_static_selectorELNS0_4arch9wavefront6targetE0EEEvT1_.num_named_barrier, 0
	.set _ZN7rocprim17ROCPRIM_400000_NS6detail17trampoline_kernelINS0_14default_configENS1_27scan_by_key_config_selectorIisEEZZNS1_16scan_by_key_implILNS1_25lookback_scan_determinismE0ELb0ES3_N6thrust23THRUST_200600_302600_NS6detail15normal_iteratorINS9_10device_ptrIiEEEENSB_INSC_IsEEEESG_sNS9_4plusIvEENS9_8equal_toIvEEsEE10hipError_tPvRmT2_T3_T4_T5_mT6_T7_P12ihipStream_tbENKUlT_T0_E_clISt17integral_constantIbLb1EES10_IbLb0EEEEDaSW_SX_EUlSW_E_NS1_11comp_targetILNS1_3genE10ELNS1_11target_archE1200ELNS1_3gpuE4ELNS1_3repE0EEENS1_30default_config_static_selectorELNS0_4arch9wavefront6targetE0EEEvT1_.private_seg_size, 0
	.set _ZN7rocprim17ROCPRIM_400000_NS6detail17trampoline_kernelINS0_14default_configENS1_27scan_by_key_config_selectorIisEEZZNS1_16scan_by_key_implILNS1_25lookback_scan_determinismE0ELb0ES3_N6thrust23THRUST_200600_302600_NS6detail15normal_iteratorINS9_10device_ptrIiEEEENSB_INSC_IsEEEESG_sNS9_4plusIvEENS9_8equal_toIvEEsEE10hipError_tPvRmT2_T3_T4_T5_mT6_T7_P12ihipStream_tbENKUlT_T0_E_clISt17integral_constantIbLb1EES10_IbLb0EEEEDaSW_SX_EUlSW_E_NS1_11comp_targetILNS1_3genE10ELNS1_11target_archE1200ELNS1_3gpuE4ELNS1_3repE0EEENS1_30default_config_static_selectorELNS0_4arch9wavefront6targetE0EEEvT1_.uses_vcc, 0
	.set _ZN7rocprim17ROCPRIM_400000_NS6detail17trampoline_kernelINS0_14default_configENS1_27scan_by_key_config_selectorIisEEZZNS1_16scan_by_key_implILNS1_25lookback_scan_determinismE0ELb0ES3_N6thrust23THRUST_200600_302600_NS6detail15normal_iteratorINS9_10device_ptrIiEEEENSB_INSC_IsEEEESG_sNS9_4plusIvEENS9_8equal_toIvEEsEE10hipError_tPvRmT2_T3_T4_T5_mT6_T7_P12ihipStream_tbENKUlT_T0_E_clISt17integral_constantIbLb1EES10_IbLb0EEEEDaSW_SX_EUlSW_E_NS1_11comp_targetILNS1_3genE10ELNS1_11target_archE1200ELNS1_3gpuE4ELNS1_3repE0EEENS1_30default_config_static_selectorELNS0_4arch9wavefront6targetE0EEEvT1_.uses_flat_scratch, 0
	.set _ZN7rocprim17ROCPRIM_400000_NS6detail17trampoline_kernelINS0_14default_configENS1_27scan_by_key_config_selectorIisEEZZNS1_16scan_by_key_implILNS1_25lookback_scan_determinismE0ELb0ES3_N6thrust23THRUST_200600_302600_NS6detail15normal_iteratorINS9_10device_ptrIiEEEENSB_INSC_IsEEEESG_sNS9_4plusIvEENS9_8equal_toIvEEsEE10hipError_tPvRmT2_T3_T4_T5_mT6_T7_P12ihipStream_tbENKUlT_T0_E_clISt17integral_constantIbLb1EES10_IbLb0EEEEDaSW_SX_EUlSW_E_NS1_11comp_targetILNS1_3genE10ELNS1_11target_archE1200ELNS1_3gpuE4ELNS1_3repE0EEENS1_30default_config_static_selectorELNS0_4arch9wavefront6targetE0EEEvT1_.has_dyn_sized_stack, 0
	.set _ZN7rocprim17ROCPRIM_400000_NS6detail17trampoline_kernelINS0_14default_configENS1_27scan_by_key_config_selectorIisEEZZNS1_16scan_by_key_implILNS1_25lookback_scan_determinismE0ELb0ES3_N6thrust23THRUST_200600_302600_NS6detail15normal_iteratorINS9_10device_ptrIiEEEENSB_INSC_IsEEEESG_sNS9_4plusIvEENS9_8equal_toIvEEsEE10hipError_tPvRmT2_T3_T4_T5_mT6_T7_P12ihipStream_tbENKUlT_T0_E_clISt17integral_constantIbLb1EES10_IbLb0EEEEDaSW_SX_EUlSW_E_NS1_11comp_targetILNS1_3genE10ELNS1_11target_archE1200ELNS1_3gpuE4ELNS1_3repE0EEENS1_30default_config_static_selectorELNS0_4arch9wavefront6targetE0EEEvT1_.has_recursion, 0
	.set _ZN7rocprim17ROCPRIM_400000_NS6detail17trampoline_kernelINS0_14default_configENS1_27scan_by_key_config_selectorIisEEZZNS1_16scan_by_key_implILNS1_25lookback_scan_determinismE0ELb0ES3_N6thrust23THRUST_200600_302600_NS6detail15normal_iteratorINS9_10device_ptrIiEEEENSB_INSC_IsEEEESG_sNS9_4plusIvEENS9_8equal_toIvEEsEE10hipError_tPvRmT2_T3_T4_T5_mT6_T7_P12ihipStream_tbENKUlT_T0_E_clISt17integral_constantIbLb1EES10_IbLb0EEEEDaSW_SX_EUlSW_E_NS1_11comp_targetILNS1_3genE10ELNS1_11target_archE1200ELNS1_3gpuE4ELNS1_3repE0EEENS1_30default_config_static_selectorELNS0_4arch9wavefront6targetE0EEEvT1_.has_indirect_call, 0
	.section	.AMDGPU.csdata,"",@progbits
; Kernel info:
; codeLenInByte = 0
; TotalNumSgprs: 0
; NumVgprs: 0
; ScratchSize: 0
; MemoryBound: 0
; FloatMode: 240
; IeeeMode: 1
; LDSByteSize: 0 bytes/workgroup (compile time only)
; SGPRBlocks: 0
; VGPRBlocks: 0
; NumSGPRsForWavesPerEU: 1
; NumVGPRsForWavesPerEU: 1
; Occupancy: 16
; WaveLimiterHint : 0
; COMPUTE_PGM_RSRC2:SCRATCH_EN: 0
; COMPUTE_PGM_RSRC2:USER_SGPR: 6
; COMPUTE_PGM_RSRC2:TRAP_HANDLER: 0
; COMPUTE_PGM_RSRC2:TGID_X_EN: 1
; COMPUTE_PGM_RSRC2:TGID_Y_EN: 0
; COMPUTE_PGM_RSRC2:TGID_Z_EN: 0
; COMPUTE_PGM_RSRC2:TIDIG_COMP_CNT: 0
	.section	.text._ZN7rocprim17ROCPRIM_400000_NS6detail17trampoline_kernelINS0_14default_configENS1_27scan_by_key_config_selectorIisEEZZNS1_16scan_by_key_implILNS1_25lookback_scan_determinismE0ELb0ES3_N6thrust23THRUST_200600_302600_NS6detail15normal_iteratorINS9_10device_ptrIiEEEENSB_INSC_IsEEEESG_sNS9_4plusIvEENS9_8equal_toIvEEsEE10hipError_tPvRmT2_T3_T4_T5_mT6_T7_P12ihipStream_tbENKUlT_T0_E_clISt17integral_constantIbLb1EES10_IbLb0EEEEDaSW_SX_EUlSW_E_NS1_11comp_targetILNS1_3genE9ELNS1_11target_archE1100ELNS1_3gpuE3ELNS1_3repE0EEENS1_30default_config_static_selectorELNS0_4arch9wavefront6targetE0EEEvT1_,"axG",@progbits,_ZN7rocprim17ROCPRIM_400000_NS6detail17trampoline_kernelINS0_14default_configENS1_27scan_by_key_config_selectorIisEEZZNS1_16scan_by_key_implILNS1_25lookback_scan_determinismE0ELb0ES3_N6thrust23THRUST_200600_302600_NS6detail15normal_iteratorINS9_10device_ptrIiEEEENSB_INSC_IsEEEESG_sNS9_4plusIvEENS9_8equal_toIvEEsEE10hipError_tPvRmT2_T3_T4_T5_mT6_T7_P12ihipStream_tbENKUlT_T0_E_clISt17integral_constantIbLb1EES10_IbLb0EEEEDaSW_SX_EUlSW_E_NS1_11comp_targetILNS1_3genE9ELNS1_11target_archE1100ELNS1_3gpuE3ELNS1_3repE0EEENS1_30default_config_static_selectorELNS0_4arch9wavefront6targetE0EEEvT1_,comdat
	.protected	_ZN7rocprim17ROCPRIM_400000_NS6detail17trampoline_kernelINS0_14default_configENS1_27scan_by_key_config_selectorIisEEZZNS1_16scan_by_key_implILNS1_25lookback_scan_determinismE0ELb0ES3_N6thrust23THRUST_200600_302600_NS6detail15normal_iteratorINS9_10device_ptrIiEEEENSB_INSC_IsEEEESG_sNS9_4plusIvEENS9_8equal_toIvEEsEE10hipError_tPvRmT2_T3_T4_T5_mT6_T7_P12ihipStream_tbENKUlT_T0_E_clISt17integral_constantIbLb1EES10_IbLb0EEEEDaSW_SX_EUlSW_E_NS1_11comp_targetILNS1_3genE9ELNS1_11target_archE1100ELNS1_3gpuE3ELNS1_3repE0EEENS1_30default_config_static_selectorELNS0_4arch9wavefront6targetE0EEEvT1_ ; -- Begin function _ZN7rocprim17ROCPRIM_400000_NS6detail17trampoline_kernelINS0_14default_configENS1_27scan_by_key_config_selectorIisEEZZNS1_16scan_by_key_implILNS1_25lookback_scan_determinismE0ELb0ES3_N6thrust23THRUST_200600_302600_NS6detail15normal_iteratorINS9_10device_ptrIiEEEENSB_INSC_IsEEEESG_sNS9_4plusIvEENS9_8equal_toIvEEsEE10hipError_tPvRmT2_T3_T4_T5_mT6_T7_P12ihipStream_tbENKUlT_T0_E_clISt17integral_constantIbLb1EES10_IbLb0EEEEDaSW_SX_EUlSW_E_NS1_11comp_targetILNS1_3genE9ELNS1_11target_archE1100ELNS1_3gpuE3ELNS1_3repE0EEENS1_30default_config_static_selectorELNS0_4arch9wavefront6targetE0EEEvT1_
	.globl	_ZN7rocprim17ROCPRIM_400000_NS6detail17trampoline_kernelINS0_14default_configENS1_27scan_by_key_config_selectorIisEEZZNS1_16scan_by_key_implILNS1_25lookback_scan_determinismE0ELb0ES3_N6thrust23THRUST_200600_302600_NS6detail15normal_iteratorINS9_10device_ptrIiEEEENSB_INSC_IsEEEESG_sNS9_4plusIvEENS9_8equal_toIvEEsEE10hipError_tPvRmT2_T3_T4_T5_mT6_T7_P12ihipStream_tbENKUlT_T0_E_clISt17integral_constantIbLb1EES10_IbLb0EEEEDaSW_SX_EUlSW_E_NS1_11comp_targetILNS1_3genE9ELNS1_11target_archE1100ELNS1_3gpuE3ELNS1_3repE0EEENS1_30default_config_static_selectorELNS0_4arch9wavefront6targetE0EEEvT1_
	.p2align	8
	.type	_ZN7rocprim17ROCPRIM_400000_NS6detail17trampoline_kernelINS0_14default_configENS1_27scan_by_key_config_selectorIisEEZZNS1_16scan_by_key_implILNS1_25lookback_scan_determinismE0ELb0ES3_N6thrust23THRUST_200600_302600_NS6detail15normal_iteratorINS9_10device_ptrIiEEEENSB_INSC_IsEEEESG_sNS9_4plusIvEENS9_8equal_toIvEEsEE10hipError_tPvRmT2_T3_T4_T5_mT6_T7_P12ihipStream_tbENKUlT_T0_E_clISt17integral_constantIbLb1EES10_IbLb0EEEEDaSW_SX_EUlSW_E_NS1_11comp_targetILNS1_3genE9ELNS1_11target_archE1100ELNS1_3gpuE3ELNS1_3repE0EEENS1_30default_config_static_selectorELNS0_4arch9wavefront6targetE0EEEvT1_,@function
_ZN7rocprim17ROCPRIM_400000_NS6detail17trampoline_kernelINS0_14default_configENS1_27scan_by_key_config_selectorIisEEZZNS1_16scan_by_key_implILNS1_25lookback_scan_determinismE0ELb0ES3_N6thrust23THRUST_200600_302600_NS6detail15normal_iteratorINS9_10device_ptrIiEEEENSB_INSC_IsEEEESG_sNS9_4plusIvEENS9_8equal_toIvEEsEE10hipError_tPvRmT2_T3_T4_T5_mT6_T7_P12ihipStream_tbENKUlT_T0_E_clISt17integral_constantIbLb1EES10_IbLb0EEEEDaSW_SX_EUlSW_E_NS1_11comp_targetILNS1_3genE9ELNS1_11target_archE1100ELNS1_3gpuE3ELNS1_3repE0EEENS1_30default_config_static_selectorELNS0_4arch9wavefront6targetE0EEEvT1_: ; @_ZN7rocprim17ROCPRIM_400000_NS6detail17trampoline_kernelINS0_14default_configENS1_27scan_by_key_config_selectorIisEEZZNS1_16scan_by_key_implILNS1_25lookback_scan_determinismE0ELb0ES3_N6thrust23THRUST_200600_302600_NS6detail15normal_iteratorINS9_10device_ptrIiEEEENSB_INSC_IsEEEESG_sNS9_4plusIvEENS9_8equal_toIvEEsEE10hipError_tPvRmT2_T3_T4_T5_mT6_T7_P12ihipStream_tbENKUlT_T0_E_clISt17integral_constantIbLb1EES10_IbLb0EEEEDaSW_SX_EUlSW_E_NS1_11comp_targetILNS1_3genE9ELNS1_11target_archE1100ELNS1_3gpuE3ELNS1_3repE0EEENS1_30default_config_static_selectorELNS0_4arch9wavefront6targetE0EEEvT1_
; %bb.0:
	.section	.rodata,"a",@progbits
	.p2align	6, 0x0
	.amdhsa_kernel _ZN7rocprim17ROCPRIM_400000_NS6detail17trampoline_kernelINS0_14default_configENS1_27scan_by_key_config_selectorIisEEZZNS1_16scan_by_key_implILNS1_25lookback_scan_determinismE0ELb0ES3_N6thrust23THRUST_200600_302600_NS6detail15normal_iteratorINS9_10device_ptrIiEEEENSB_INSC_IsEEEESG_sNS9_4plusIvEENS9_8equal_toIvEEsEE10hipError_tPvRmT2_T3_T4_T5_mT6_T7_P12ihipStream_tbENKUlT_T0_E_clISt17integral_constantIbLb1EES10_IbLb0EEEEDaSW_SX_EUlSW_E_NS1_11comp_targetILNS1_3genE9ELNS1_11target_archE1100ELNS1_3gpuE3ELNS1_3repE0EEENS1_30default_config_static_selectorELNS0_4arch9wavefront6targetE0EEEvT1_
		.amdhsa_group_segment_fixed_size 0
		.amdhsa_private_segment_fixed_size 0
		.amdhsa_kernarg_size 112
		.amdhsa_user_sgpr_count 6
		.amdhsa_user_sgpr_private_segment_buffer 1
		.amdhsa_user_sgpr_dispatch_ptr 0
		.amdhsa_user_sgpr_queue_ptr 0
		.amdhsa_user_sgpr_kernarg_segment_ptr 1
		.amdhsa_user_sgpr_dispatch_id 0
		.amdhsa_user_sgpr_flat_scratch_init 0
		.amdhsa_user_sgpr_private_segment_size 0
		.amdhsa_wavefront_size32 1
		.amdhsa_uses_dynamic_stack 0
		.amdhsa_system_sgpr_private_segment_wavefront_offset 0
		.amdhsa_system_sgpr_workgroup_id_x 1
		.amdhsa_system_sgpr_workgroup_id_y 0
		.amdhsa_system_sgpr_workgroup_id_z 0
		.amdhsa_system_sgpr_workgroup_info 0
		.amdhsa_system_vgpr_workitem_id 0
		.amdhsa_next_free_vgpr 1
		.amdhsa_next_free_sgpr 1
		.amdhsa_reserve_vcc 0
		.amdhsa_reserve_flat_scratch 0
		.amdhsa_float_round_mode_32 0
		.amdhsa_float_round_mode_16_64 0
		.amdhsa_float_denorm_mode_32 3
		.amdhsa_float_denorm_mode_16_64 3
		.amdhsa_dx10_clamp 1
		.amdhsa_ieee_mode 1
		.amdhsa_fp16_overflow 0
		.amdhsa_workgroup_processor_mode 1
		.amdhsa_memory_ordered 1
		.amdhsa_forward_progress 1
		.amdhsa_shared_vgpr_count 0
		.amdhsa_exception_fp_ieee_invalid_op 0
		.amdhsa_exception_fp_denorm_src 0
		.amdhsa_exception_fp_ieee_div_zero 0
		.amdhsa_exception_fp_ieee_overflow 0
		.amdhsa_exception_fp_ieee_underflow 0
		.amdhsa_exception_fp_ieee_inexact 0
		.amdhsa_exception_int_div_zero 0
	.end_amdhsa_kernel
	.section	.text._ZN7rocprim17ROCPRIM_400000_NS6detail17trampoline_kernelINS0_14default_configENS1_27scan_by_key_config_selectorIisEEZZNS1_16scan_by_key_implILNS1_25lookback_scan_determinismE0ELb0ES3_N6thrust23THRUST_200600_302600_NS6detail15normal_iteratorINS9_10device_ptrIiEEEENSB_INSC_IsEEEESG_sNS9_4plusIvEENS9_8equal_toIvEEsEE10hipError_tPvRmT2_T3_T4_T5_mT6_T7_P12ihipStream_tbENKUlT_T0_E_clISt17integral_constantIbLb1EES10_IbLb0EEEEDaSW_SX_EUlSW_E_NS1_11comp_targetILNS1_3genE9ELNS1_11target_archE1100ELNS1_3gpuE3ELNS1_3repE0EEENS1_30default_config_static_selectorELNS0_4arch9wavefront6targetE0EEEvT1_,"axG",@progbits,_ZN7rocprim17ROCPRIM_400000_NS6detail17trampoline_kernelINS0_14default_configENS1_27scan_by_key_config_selectorIisEEZZNS1_16scan_by_key_implILNS1_25lookback_scan_determinismE0ELb0ES3_N6thrust23THRUST_200600_302600_NS6detail15normal_iteratorINS9_10device_ptrIiEEEENSB_INSC_IsEEEESG_sNS9_4plusIvEENS9_8equal_toIvEEsEE10hipError_tPvRmT2_T3_T4_T5_mT6_T7_P12ihipStream_tbENKUlT_T0_E_clISt17integral_constantIbLb1EES10_IbLb0EEEEDaSW_SX_EUlSW_E_NS1_11comp_targetILNS1_3genE9ELNS1_11target_archE1100ELNS1_3gpuE3ELNS1_3repE0EEENS1_30default_config_static_selectorELNS0_4arch9wavefront6targetE0EEEvT1_,comdat
.Lfunc_end1379:
	.size	_ZN7rocprim17ROCPRIM_400000_NS6detail17trampoline_kernelINS0_14default_configENS1_27scan_by_key_config_selectorIisEEZZNS1_16scan_by_key_implILNS1_25lookback_scan_determinismE0ELb0ES3_N6thrust23THRUST_200600_302600_NS6detail15normal_iteratorINS9_10device_ptrIiEEEENSB_INSC_IsEEEESG_sNS9_4plusIvEENS9_8equal_toIvEEsEE10hipError_tPvRmT2_T3_T4_T5_mT6_T7_P12ihipStream_tbENKUlT_T0_E_clISt17integral_constantIbLb1EES10_IbLb0EEEEDaSW_SX_EUlSW_E_NS1_11comp_targetILNS1_3genE9ELNS1_11target_archE1100ELNS1_3gpuE3ELNS1_3repE0EEENS1_30default_config_static_selectorELNS0_4arch9wavefront6targetE0EEEvT1_, .Lfunc_end1379-_ZN7rocprim17ROCPRIM_400000_NS6detail17trampoline_kernelINS0_14default_configENS1_27scan_by_key_config_selectorIisEEZZNS1_16scan_by_key_implILNS1_25lookback_scan_determinismE0ELb0ES3_N6thrust23THRUST_200600_302600_NS6detail15normal_iteratorINS9_10device_ptrIiEEEENSB_INSC_IsEEEESG_sNS9_4plusIvEENS9_8equal_toIvEEsEE10hipError_tPvRmT2_T3_T4_T5_mT6_T7_P12ihipStream_tbENKUlT_T0_E_clISt17integral_constantIbLb1EES10_IbLb0EEEEDaSW_SX_EUlSW_E_NS1_11comp_targetILNS1_3genE9ELNS1_11target_archE1100ELNS1_3gpuE3ELNS1_3repE0EEENS1_30default_config_static_selectorELNS0_4arch9wavefront6targetE0EEEvT1_
                                        ; -- End function
	.set _ZN7rocprim17ROCPRIM_400000_NS6detail17trampoline_kernelINS0_14default_configENS1_27scan_by_key_config_selectorIisEEZZNS1_16scan_by_key_implILNS1_25lookback_scan_determinismE0ELb0ES3_N6thrust23THRUST_200600_302600_NS6detail15normal_iteratorINS9_10device_ptrIiEEEENSB_INSC_IsEEEESG_sNS9_4plusIvEENS9_8equal_toIvEEsEE10hipError_tPvRmT2_T3_T4_T5_mT6_T7_P12ihipStream_tbENKUlT_T0_E_clISt17integral_constantIbLb1EES10_IbLb0EEEEDaSW_SX_EUlSW_E_NS1_11comp_targetILNS1_3genE9ELNS1_11target_archE1100ELNS1_3gpuE3ELNS1_3repE0EEENS1_30default_config_static_selectorELNS0_4arch9wavefront6targetE0EEEvT1_.num_vgpr, 0
	.set _ZN7rocprim17ROCPRIM_400000_NS6detail17trampoline_kernelINS0_14default_configENS1_27scan_by_key_config_selectorIisEEZZNS1_16scan_by_key_implILNS1_25lookback_scan_determinismE0ELb0ES3_N6thrust23THRUST_200600_302600_NS6detail15normal_iteratorINS9_10device_ptrIiEEEENSB_INSC_IsEEEESG_sNS9_4plusIvEENS9_8equal_toIvEEsEE10hipError_tPvRmT2_T3_T4_T5_mT6_T7_P12ihipStream_tbENKUlT_T0_E_clISt17integral_constantIbLb1EES10_IbLb0EEEEDaSW_SX_EUlSW_E_NS1_11comp_targetILNS1_3genE9ELNS1_11target_archE1100ELNS1_3gpuE3ELNS1_3repE0EEENS1_30default_config_static_selectorELNS0_4arch9wavefront6targetE0EEEvT1_.num_agpr, 0
	.set _ZN7rocprim17ROCPRIM_400000_NS6detail17trampoline_kernelINS0_14default_configENS1_27scan_by_key_config_selectorIisEEZZNS1_16scan_by_key_implILNS1_25lookback_scan_determinismE0ELb0ES3_N6thrust23THRUST_200600_302600_NS6detail15normal_iteratorINS9_10device_ptrIiEEEENSB_INSC_IsEEEESG_sNS9_4plusIvEENS9_8equal_toIvEEsEE10hipError_tPvRmT2_T3_T4_T5_mT6_T7_P12ihipStream_tbENKUlT_T0_E_clISt17integral_constantIbLb1EES10_IbLb0EEEEDaSW_SX_EUlSW_E_NS1_11comp_targetILNS1_3genE9ELNS1_11target_archE1100ELNS1_3gpuE3ELNS1_3repE0EEENS1_30default_config_static_selectorELNS0_4arch9wavefront6targetE0EEEvT1_.numbered_sgpr, 0
	.set _ZN7rocprim17ROCPRIM_400000_NS6detail17trampoline_kernelINS0_14default_configENS1_27scan_by_key_config_selectorIisEEZZNS1_16scan_by_key_implILNS1_25lookback_scan_determinismE0ELb0ES3_N6thrust23THRUST_200600_302600_NS6detail15normal_iteratorINS9_10device_ptrIiEEEENSB_INSC_IsEEEESG_sNS9_4plusIvEENS9_8equal_toIvEEsEE10hipError_tPvRmT2_T3_T4_T5_mT6_T7_P12ihipStream_tbENKUlT_T0_E_clISt17integral_constantIbLb1EES10_IbLb0EEEEDaSW_SX_EUlSW_E_NS1_11comp_targetILNS1_3genE9ELNS1_11target_archE1100ELNS1_3gpuE3ELNS1_3repE0EEENS1_30default_config_static_selectorELNS0_4arch9wavefront6targetE0EEEvT1_.num_named_barrier, 0
	.set _ZN7rocprim17ROCPRIM_400000_NS6detail17trampoline_kernelINS0_14default_configENS1_27scan_by_key_config_selectorIisEEZZNS1_16scan_by_key_implILNS1_25lookback_scan_determinismE0ELb0ES3_N6thrust23THRUST_200600_302600_NS6detail15normal_iteratorINS9_10device_ptrIiEEEENSB_INSC_IsEEEESG_sNS9_4plusIvEENS9_8equal_toIvEEsEE10hipError_tPvRmT2_T3_T4_T5_mT6_T7_P12ihipStream_tbENKUlT_T0_E_clISt17integral_constantIbLb1EES10_IbLb0EEEEDaSW_SX_EUlSW_E_NS1_11comp_targetILNS1_3genE9ELNS1_11target_archE1100ELNS1_3gpuE3ELNS1_3repE0EEENS1_30default_config_static_selectorELNS0_4arch9wavefront6targetE0EEEvT1_.private_seg_size, 0
	.set _ZN7rocprim17ROCPRIM_400000_NS6detail17trampoline_kernelINS0_14default_configENS1_27scan_by_key_config_selectorIisEEZZNS1_16scan_by_key_implILNS1_25lookback_scan_determinismE0ELb0ES3_N6thrust23THRUST_200600_302600_NS6detail15normal_iteratorINS9_10device_ptrIiEEEENSB_INSC_IsEEEESG_sNS9_4plusIvEENS9_8equal_toIvEEsEE10hipError_tPvRmT2_T3_T4_T5_mT6_T7_P12ihipStream_tbENKUlT_T0_E_clISt17integral_constantIbLb1EES10_IbLb0EEEEDaSW_SX_EUlSW_E_NS1_11comp_targetILNS1_3genE9ELNS1_11target_archE1100ELNS1_3gpuE3ELNS1_3repE0EEENS1_30default_config_static_selectorELNS0_4arch9wavefront6targetE0EEEvT1_.uses_vcc, 0
	.set _ZN7rocprim17ROCPRIM_400000_NS6detail17trampoline_kernelINS0_14default_configENS1_27scan_by_key_config_selectorIisEEZZNS1_16scan_by_key_implILNS1_25lookback_scan_determinismE0ELb0ES3_N6thrust23THRUST_200600_302600_NS6detail15normal_iteratorINS9_10device_ptrIiEEEENSB_INSC_IsEEEESG_sNS9_4plusIvEENS9_8equal_toIvEEsEE10hipError_tPvRmT2_T3_T4_T5_mT6_T7_P12ihipStream_tbENKUlT_T0_E_clISt17integral_constantIbLb1EES10_IbLb0EEEEDaSW_SX_EUlSW_E_NS1_11comp_targetILNS1_3genE9ELNS1_11target_archE1100ELNS1_3gpuE3ELNS1_3repE0EEENS1_30default_config_static_selectorELNS0_4arch9wavefront6targetE0EEEvT1_.uses_flat_scratch, 0
	.set _ZN7rocprim17ROCPRIM_400000_NS6detail17trampoline_kernelINS0_14default_configENS1_27scan_by_key_config_selectorIisEEZZNS1_16scan_by_key_implILNS1_25lookback_scan_determinismE0ELb0ES3_N6thrust23THRUST_200600_302600_NS6detail15normal_iteratorINS9_10device_ptrIiEEEENSB_INSC_IsEEEESG_sNS9_4plusIvEENS9_8equal_toIvEEsEE10hipError_tPvRmT2_T3_T4_T5_mT6_T7_P12ihipStream_tbENKUlT_T0_E_clISt17integral_constantIbLb1EES10_IbLb0EEEEDaSW_SX_EUlSW_E_NS1_11comp_targetILNS1_3genE9ELNS1_11target_archE1100ELNS1_3gpuE3ELNS1_3repE0EEENS1_30default_config_static_selectorELNS0_4arch9wavefront6targetE0EEEvT1_.has_dyn_sized_stack, 0
	.set _ZN7rocprim17ROCPRIM_400000_NS6detail17trampoline_kernelINS0_14default_configENS1_27scan_by_key_config_selectorIisEEZZNS1_16scan_by_key_implILNS1_25lookback_scan_determinismE0ELb0ES3_N6thrust23THRUST_200600_302600_NS6detail15normal_iteratorINS9_10device_ptrIiEEEENSB_INSC_IsEEEESG_sNS9_4plusIvEENS9_8equal_toIvEEsEE10hipError_tPvRmT2_T3_T4_T5_mT6_T7_P12ihipStream_tbENKUlT_T0_E_clISt17integral_constantIbLb1EES10_IbLb0EEEEDaSW_SX_EUlSW_E_NS1_11comp_targetILNS1_3genE9ELNS1_11target_archE1100ELNS1_3gpuE3ELNS1_3repE0EEENS1_30default_config_static_selectorELNS0_4arch9wavefront6targetE0EEEvT1_.has_recursion, 0
	.set _ZN7rocprim17ROCPRIM_400000_NS6detail17trampoline_kernelINS0_14default_configENS1_27scan_by_key_config_selectorIisEEZZNS1_16scan_by_key_implILNS1_25lookback_scan_determinismE0ELb0ES3_N6thrust23THRUST_200600_302600_NS6detail15normal_iteratorINS9_10device_ptrIiEEEENSB_INSC_IsEEEESG_sNS9_4plusIvEENS9_8equal_toIvEEsEE10hipError_tPvRmT2_T3_T4_T5_mT6_T7_P12ihipStream_tbENKUlT_T0_E_clISt17integral_constantIbLb1EES10_IbLb0EEEEDaSW_SX_EUlSW_E_NS1_11comp_targetILNS1_3genE9ELNS1_11target_archE1100ELNS1_3gpuE3ELNS1_3repE0EEENS1_30default_config_static_selectorELNS0_4arch9wavefront6targetE0EEEvT1_.has_indirect_call, 0
	.section	.AMDGPU.csdata,"",@progbits
; Kernel info:
; codeLenInByte = 0
; TotalNumSgprs: 0
; NumVgprs: 0
; ScratchSize: 0
; MemoryBound: 0
; FloatMode: 240
; IeeeMode: 1
; LDSByteSize: 0 bytes/workgroup (compile time only)
; SGPRBlocks: 0
; VGPRBlocks: 0
; NumSGPRsForWavesPerEU: 1
; NumVGPRsForWavesPerEU: 1
; Occupancy: 16
; WaveLimiterHint : 0
; COMPUTE_PGM_RSRC2:SCRATCH_EN: 0
; COMPUTE_PGM_RSRC2:USER_SGPR: 6
; COMPUTE_PGM_RSRC2:TRAP_HANDLER: 0
; COMPUTE_PGM_RSRC2:TGID_X_EN: 1
; COMPUTE_PGM_RSRC2:TGID_Y_EN: 0
; COMPUTE_PGM_RSRC2:TGID_Z_EN: 0
; COMPUTE_PGM_RSRC2:TIDIG_COMP_CNT: 0
	.section	.text._ZN7rocprim17ROCPRIM_400000_NS6detail17trampoline_kernelINS0_14default_configENS1_27scan_by_key_config_selectorIisEEZZNS1_16scan_by_key_implILNS1_25lookback_scan_determinismE0ELb0ES3_N6thrust23THRUST_200600_302600_NS6detail15normal_iteratorINS9_10device_ptrIiEEEENSB_INSC_IsEEEESG_sNS9_4plusIvEENS9_8equal_toIvEEsEE10hipError_tPvRmT2_T3_T4_T5_mT6_T7_P12ihipStream_tbENKUlT_T0_E_clISt17integral_constantIbLb1EES10_IbLb0EEEEDaSW_SX_EUlSW_E_NS1_11comp_targetILNS1_3genE8ELNS1_11target_archE1030ELNS1_3gpuE2ELNS1_3repE0EEENS1_30default_config_static_selectorELNS0_4arch9wavefront6targetE0EEEvT1_,"axG",@progbits,_ZN7rocprim17ROCPRIM_400000_NS6detail17trampoline_kernelINS0_14default_configENS1_27scan_by_key_config_selectorIisEEZZNS1_16scan_by_key_implILNS1_25lookback_scan_determinismE0ELb0ES3_N6thrust23THRUST_200600_302600_NS6detail15normal_iteratorINS9_10device_ptrIiEEEENSB_INSC_IsEEEESG_sNS9_4plusIvEENS9_8equal_toIvEEsEE10hipError_tPvRmT2_T3_T4_T5_mT6_T7_P12ihipStream_tbENKUlT_T0_E_clISt17integral_constantIbLb1EES10_IbLb0EEEEDaSW_SX_EUlSW_E_NS1_11comp_targetILNS1_3genE8ELNS1_11target_archE1030ELNS1_3gpuE2ELNS1_3repE0EEENS1_30default_config_static_selectorELNS0_4arch9wavefront6targetE0EEEvT1_,comdat
	.protected	_ZN7rocprim17ROCPRIM_400000_NS6detail17trampoline_kernelINS0_14default_configENS1_27scan_by_key_config_selectorIisEEZZNS1_16scan_by_key_implILNS1_25lookback_scan_determinismE0ELb0ES3_N6thrust23THRUST_200600_302600_NS6detail15normal_iteratorINS9_10device_ptrIiEEEENSB_INSC_IsEEEESG_sNS9_4plusIvEENS9_8equal_toIvEEsEE10hipError_tPvRmT2_T3_T4_T5_mT6_T7_P12ihipStream_tbENKUlT_T0_E_clISt17integral_constantIbLb1EES10_IbLb0EEEEDaSW_SX_EUlSW_E_NS1_11comp_targetILNS1_3genE8ELNS1_11target_archE1030ELNS1_3gpuE2ELNS1_3repE0EEENS1_30default_config_static_selectorELNS0_4arch9wavefront6targetE0EEEvT1_ ; -- Begin function _ZN7rocprim17ROCPRIM_400000_NS6detail17trampoline_kernelINS0_14default_configENS1_27scan_by_key_config_selectorIisEEZZNS1_16scan_by_key_implILNS1_25lookback_scan_determinismE0ELb0ES3_N6thrust23THRUST_200600_302600_NS6detail15normal_iteratorINS9_10device_ptrIiEEEENSB_INSC_IsEEEESG_sNS9_4plusIvEENS9_8equal_toIvEEsEE10hipError_tPvRmT2_T3_T4_T5_mT6_T7_P12ihipStream_tbENKUlT_T0_E_clISt17integral_constantIbLb1EES10_IbLb0EEEEDaSW_SX_EUlSW_E_NS1_11comp_targetILNS1_3genE8ELNS1_11target_archE1030ELNS1_3gpuE2ELNS1_3repE0EEENS1_30default_config_static_selectorELNS0_4arch9wavefront6targetE0EEEvT1_
	.globl	_ZN7rocprim17ROCPRIM_400000_NS6detail17trampoline_kernelINS0_14default_configENS1_27scan_by_key_config_selectorIisEEZZNS1_16scan_by_key_implILNS1_25lookback_scan_determinismE0ELb0ES3_N6thrust23THRUST_200600_302600_NS6detail15normal_iteratorINS9_10device_ptrIiEEEENSB_INSC_IsEEEESG_sNS9_4plusIvEENS9_8equal_toIvEEsEE10hipError_tPvRmT2_T3_T4_T5_mT6_T7_P12ihipStream_tbENKUlT_T0_E_clISt17integral_constantIbLb1EES10_IbLb0EEEEDaSW_SX_EUlSW_E_NS1_11comp_targetILNS1_3genE8ELNS1_11target_archE1030ELNS1_3gpuE2ELNS1_3repE0EEENS1_30default_config_static_selectorELNS0_4arch9wavefront6targetE0EEEvT1_
	.p2align	8
	.type	_ZN7rocprim17ROCPRIM_400000_NS6detail17trampoline_kernelINS0_14default_configENS1_27scan_by_key_config_selectorIisEEZZNS1_16scan_by_key_implILNS1_25lookback_scan_determinismE0ELb0ES3_N6thrust23THRUST_200600_302600_NS6detail15normal_iteratorINS9_10device_ptrIiEEEENSB_INSC_IsEEEESG_sNS9_4plusIvEENS9_8equal_toIvEEsEE10hipError_tPvRmT2_T3_T4_T5_mT6_T7_P12ihipStream_tbENKUlT_T0_E_clISt17integral_constantIbLb1EES10_IbLb0EEEEDaSW_SX_EUlSW_E_NS1_11comp_targetILNS1_3genE8ELNS1_11target_archE1030ELNS1_3gpuE2ELNS1_3repE0EEENS1_30default_config_static_selectorELNS0_4arch9wavefront6targetE0EEEvT1_,@function
_ZN7rocprim17ROCPRIM_400000_NS6detail17trampoline_kernelINS0_14default_configENS1_27scan_by_key_config_selectorIisEEZZNS1_16scan_by_key_implILNS1_25lookback_scan_determinismE0ELb0ES3_N6thrust23THRUST_200600_302600_NS6detail15normal_iteratorINS9_10device_ptrIiEEEENSB_INSC_IsEEEESG_sNS9_4plusIvEENS9_8equal_toIvEEsEE10hipError_tPvRmT2_T3_T4_T5_mT6_T7_P12ihipStream_tbENKUlT_T0_E_clISt17integral_constantIbLb1EES10_IbLb0EEEEDaSW_SX_EUlSW_E_NS1_11comp_targetILNS1_3genE8ELNS1_11target_archE1030ELNS1_3gpuE2ELNS1_3repE0EEENS1_30default_config_static_selectorELNS0_4arch9wavefront6targetE0EEEvT1_: ; @_ZN7rocprim17ROCPRIM_400000_NS6detail17trampoline_kernelINS0_14default_configENS1_27scan_by_key_config_selectorIisEEZZNS1_16scan_by_key_implILNS1_25lookback_scan_determinismE0ELb0ES3_N6thrust23THRUST_200600_302600_NS6detail15normal_iteratorINS9_10device_ptrIiEEEENSB_INSC_IsEEEESG_sNS9_4plusIvEENS9_8equal_toIvEEsEE10hipError_tPvRmT2_T3_T4_T5_mT6_T7_P12ihipStream_tbENKUlT_T0_E_clISt17integral_constantIbLb1EES10_IbLb0EEEEDaSW_SX_EUlSW_E_NS1_11comp_targetILNS1_3genE8ELNS1_11target_archE1030ELNS1_3gpuE2ELNS1_3repE0EEENS1_30default_config_static_selectorELNS0_4arch9wavefront6targetE0EEEvT1_
; %bb.0:
	s_endpgm
	.section	.rodata,"a",@progbits
	.p2align	6, 0x0
	.amdhsa_kernel _ZN7rocprim17ROCPRIM_400000_NS6detail17trampoline_kernelINS0_14default_configENS1_27scan_by_key_config_selectorIisEEZZNS1_16scan_by_key_implILNS1_25lookback_scan_determinismE0ELb0ES3_N6thrust23THRUST_200600_302600_NS6detail15normal_iteratorINS9_10device_ptrIiEEEENSB_INSC_IsEEEESG_sNS9_4plusIvEENS9_8equal_toIvEEsEE10hipError_tPvRmT2_T3_T4_T5_mT6_T7_P12ihipStream_tbENKUlT_T0_E_clISt17integral_constantIbLb1EES10_IbLb0EEEEDaSW_SX_EUlSW_E_NS1_11comp_targetILNS1_3genE8ELNS1_11target_archE1030ELNS1_3gpuE2ELNS1_3repE0EEENS1_30default_config_static_selectorELNS0_4arch9wavefront6targetE0EEEvT1_
		.amdhsa_group_segment_fixed_size 0
		.amdhsa_private_segment_fixed_size 0
		.amdhsa_kernarg_size 112
		.amdhsa_user_sgpr_count 6
		.amdhsa_user_sgpr_private_segment_buffer 1
		.amdhsa_user_sgpr_dispatch_ptr 0
		.amdhsa_user_sgpr_queue_ptr 0
		.amdhsa_user_sgpr_kernarg_segment_ptr 1
		.amdhsa_user_sgpr_dispatch_id 0
		.amdhsa_user_sgpr_flat_scratch_init 0
		.amdhsa_user_sgpr_private_segment_size 0
		.amdhsa_wavefront_size32 1
		.amdhsa_uses_dynamic_stack 0
		.amdhsa_system_sgpr_private_segment_wavefront_offset 0
		.amdhsa_system_sgpr_workgroup_id_x 1
		.amdhsa_system_sgpr_workgroup_id_y 0
		.amdhsa_system_sgpr_workgroup_id_z 0
		.amdhsa_system_sgpr_workgroup_info 0
		.amdhsa_system_vgpr_workitem_id 0
		.amdhsa_next_free_vgpr 1
		.amdhsa_next_free_sgpr 1
		.amdhsa_reserve_vcc 0
		.amdhsa_reserve_flat_scratch 0
		.amdhsa_float_round_mode_32 0
		.amdhsa_float_round_mode_16_64 0
		.amdhsa_float_denorm_mode_32 3
		.amdhsa_float_denorm_mode_16_64 3
		.amdhsa_dx10_clamp 1
		.amdhsa_ieee_mode 1
		.amdhsa_fp16_overflow 0
		.amdhsa_workgroup_processor_mode 1
		.amdhsa_memory_ordered 1
		.amdhsa_forward_progress 1
		.amdhsa_shared_vgpr_count 0
		.amdhsa_exception_fp_ieee_invalid_op 0
		.amdhsa_exception_fp_denorm_src 0
		.amdhsa_exception_fp_ieee_div_zero 0
		.amdhsa_exception_fp_ieee_overflow 0
		.amdhsa_exception_fp_ieee_underflow 0
		.amdhsa_exception_fp_ieee_inexact 0
		.amdhsa_exception_int_div_zero 0
	.end_amdhsa_kernel
	.section	.text._ZN7rocprim17ROCPRIM_400000_NS6detail17trampoline_kernelINS0_14default_configENS1_27scan_by_key_config_selectorIisEEZZNS1_16scan_by_key_implILNS1_25lookback_scan_determinismE0ELb0ES3_N6thrust23THRUST_200600_302600_NS6detail15normal_iteratorINS9_10device_ptrIiEEEENSB_INSC_IsEEEESG_sNS9_4plusIvEENS9_8equal_toIvEEsEE10hipError_tPvRmT2_T3_T4_T5_mT6_T7_P12ihipStream_tbENKUlT_T0_E_clISt17integral_constantIbLb1EES10_IbLb0EEEEDaSW_SX_EUlSW_E_NS1_11comp_targetILNS1_3genE8ELNS1_11target_archE1030ELNS1_3gpuE2ELNS1_3repE0EEENS1_30default_config_static_selectorELNS0_4arch9wavefront6targetE0EEEvT1_,"axG",@progbits,_ZN7rocprim17ROCPRIM_400000_NS6detail17trampoline_kernelINS0_14default_configENS1_27scan_by_key_config_selectorIisEEZZNS1_16scan_by_key_implILNS1_25lookback_scan_determinismE0ELb0ES3_N6thrust23THRUST_200600_302600_NS6detail15normal_iteratorINS9_10device_ptrIiEEEENSB_INSC_IsEEEESG_sNS9_4plusIvEENS9_8equal_toIvEEsEE10hipError_tPvRmT2_T3_T4_T5_mT6_T7_P12ihipStream_tbENKUlT_T0_E_clISt17integral_constantIbLb1EES10_IbLb0EEEEDaSW_SX_EUlSW_E_NS1_11comp_targetILNS1_3genE8ELNS1_11target_archE1030ELNS1_3gpuE2ELNS1_3repE0EEENS1_30default_config_static_selectorELNS0_4arch9wavefront6targetE0EEEvT1_,comdat
.Lfunc_end1380:
	.size	_ZN7rocprim17ROCPRIM_400000_NS6detail17trampoline_kernelINS0_14default_configENS1_27scan_by_key_config_selectorIisEEZZNS1_16scan_by_key_implILNS1_25lookback_scan_determinismE0ELb0ES3_N6thrust23THRUST_200600_302600_NS6detail15normal_iteratorINS9_10device_ptrIiEEEENSB_INSC_IsEEEESG_sNS9_4plusIvEENS9_8equal_toIvEEsEE10hipError_tPvRmT2_T3_T4_T5_mT6_T7_P12ihipStream_tbENKUlT_T0_E_clISt17integral_constantIbLb1EES10_IbLb0EEEEDaSW_SX_EUlSW_E_NS1_11comp_targetILNS1_3genE8ELNS1_11target_archE1030ELNS1_3gpuE2ELNS1_3repE0EEENS1_30default_config_static_selectorELNS0_4arch9wavefront6targetE0EEEvT1_, .Lfunc_end1380-_ZN7rocprim17ROCPRIM_400000_NS6detail17trampoline_kernelINS0_14default_configENS1_27scan_by_key_config_selectorIisEEZZNS1_16scan_by_key_implILNS1_25lookback_scan_determinismE0ELb0ES3_N6thrust23THRUST_200600_302600_NS6detail15normal_iteratorINS9_10device_ptrIiEEEENSB_INSC_IsEEEESG_sNS9_4plusIvEENS9_8equal_toIvEEsEE10hipError_tPvRmT2_T3_T4_T5_mT6_T7_P12ihipStream_tbENKUlT_T0_E_clISt17integral_constantIbLb1EES10_IbLb0EEEEDaSW_SX_EUlSW_E_NS1_11comp_targetILNS1_3genE8ELNS1_11target_archE1030ELNS1_3gpuE2ELNS1_3repE0EEENS1_30default_config_static_selectorELNS0_4arch9wavefront6targetE0EEEvT1_
                                        ; -- End function
	.set _ZN7rocprim17ROCPRIM_400000_NS6detail17trampoline_kernelINS0_14default_configENS1_27scan_by_key_config_selectorIisEEZZNS1_16scan_by_key_implILNS1_25lookback_scan_determinismE0ELb0ES3_N6thrust23THRUST_200600_302600_NS6detail15normal_iteratorINS9_10device_ptrIiEEEENSB_INSC_IsEEEESG_sNS9_4plusIvEENS9_8equal_toIvEEsEE10hipError_tPvRmT2_T3_T4_T5_mT6_T7_P12ihipStream_tbENKUlT_T0_E_clISt17integral_constantIbLb1EES10_IbLb0EEEEDaSW_SX_EUlSW_E_NS1_11comp_targetILNS1_3genE8ELNS1_11target_archE1030ELNS1_3gpuE2ELNS1_3repE0EEENS1_30default_config_static_selectorELNS0_4arch9wavefront6targetE0EEEvT1_.num_vgpr, 0
	.set _ZN7rocprim17ROCPRIM_400000_NS6detail17trampoline_kernelINS0_14default_configENS1_27scan_by_key_config_selectorIisEEZZNS1_16scan_by_key_implILNS1_25lookback_scan_determinismE0ELb0ES3_N6thrust23THRUST_200600_302600_NS6detail15normal_iteratorINS9_10device_ptrIiEEEENSB_INSC_IsEEEESG_sNS9_4plusIvEENS9_8equal_toIvEEsEE10hipError_tPvRmT2_T3_T4_T5_mT6_T7_P12ihipStream_tbENKUlT_T0_E_clISt17integral_constantIbLb1EES10_IbLb0EEEEDaSW_SX_EUlSW_E_NS1_11comp_targetILNS1_3genE8ELNS1_11target_archE1030ELNS1_3gpuE2ELNS1_3repE0EEENS1_30default_config_static_selectorELNS0_4arch9wavefront6targetE0EEEvT1_.num_agpr, 0
	.set _ZN7rocprim17ROCPRIM_400000_NS6detail17trampoline_kernelINS0_14default_configENS1_27scan_by_key_config_selectorIisEEZZNS1_16scan_by_key_implILNS1_25lookback_scan_determinismE0ELb0ES3_N6thrust23THRUST_200600_302600_NS6detail15normal_iteratorINS9_10device_ptrIiEEEENSB_INSC_IsEEEESG_sNS9_4plusIvEENS9_8equal_toIvEEsEE10hipError_tPvRmT2_T3_T4_T5_mT6_T7_P12ihipStream_tbENKUlT_T0_E_clISt17integral_constantIbLb1EES10_IbLb0EEEEDaSW_SX_EUlSW_E_NS1_11comp_targetILNS1_3genE8ELNS1_11target_archE1030ELNS1_3gpuE2ELNS1_3repE0EEENS1_30default_config_static_selectorELNS0_4arch9wavefront6targetE0EEEvT1_.numbered_sgpr, 0
	.set _ZN7rocprim17ROCPRIM_400000_NS6detail17trampoline_kernelINS0_14default_configENS1_27scan_by_key_config_selectorIisEEZZNS1_16scan_by_key_implILNS1_25lookback_scan_determinismE0ELb0ES3_N6thrust23THRUST_200600_302600_NS6detail15normal_iteratorINS9_10device_ptrIiEEEENSB_INSC_IsEEEESG_sNS9_4plusIvEENS9_8equal_toIvEEsEE10hipError_tPvRmT2_T3_T4_T5_mT6_T7_P12ihipStream_tbENKUlT_T0_E_clISt17integral_constantIbLb1EES10_IbLb0EEEEDaSW_SX_EUlSW_E_NS1_11comp_targetILNS1_3genE8ELNS1_11target_archE1030ELNS1_3gpuE2ELNS1_3repE0EEENS1_30default_config_static_selectorELNS0_4arch9wavefront6targetE0EEEvT1_.num_named_barrier, 0
	.set _ZN7rocprim17ROCPRIM_400000_NS6detail17trampoline_kernelINS0_14default_configENS1_27scan_by_key_config_selectorIisEEZZNS1_16scan_by_key_implILNS1_25lookback_scan_determinismE0ELb0ES3_N6thrust23THRUST_200600_302600_NS6detail15normal_iteratorINS9_10device_ptrIiEEEENSB_INSC_IsEEEESG_sNS9_4plusIvEENS9_8equal_toIvEEsEE10hipError_tPvRmT2_T3_T4_T5_mT6_T7_P12ihipStream_tbENKUlT_T0_E_clISt17integral_constantIbLb1EES10_IbLb0EEEEDaSW_SX_EUlSW_E_NS1_11comp_targetILNS1_3genE8ELNS1_11target_archE1030ELNS1_3gpuE2ELNS1_3repE0EEENS1_30default_config_static_selectorELNS0_4arch9wavefront6targetE0EEEvT1_.private_seg_size, 0
	.set _ZN7rocprim17ROCPRIM_400000_NS6detail17trampoline_kernelINS0_14default_configENS1_27scan_by_key_config_selectorIisEEZZNS1_16scan_by_key_implILNS1_25lookback_scan_determinismE0ELb0ES3_N6thrust23THRUST_200600_302600_NS6detail15normal_iteratorINS9_10device_ptrIiEEEENSB_INSC_IsEEEESG_sNS9_4plusIvEENS9_8equal_toIvEEsEE10hipError_tPvRmT2_T3_T4_T5_mT6_T7_P12ihipStream_tbENKUlT_T0_E_clISt17integral_constantIbLb1EES10_IbLb0EEEEDaSW_SX_EUlSW_E_NS1_11comp_targetILNS1_3genE8ELNS1_11target_archE1030ELNS1_3gpuE2ELNS1_3repE0EEENS1_30default_config_static_selectorELNS0_4arch9wavefront6targetE0EEEvT1_.uses_vcc, 0
	.set _ZN7rocprim17ROCPRIM_400000_NS6detail17trampoline_kernelINS0_14default_configENS1_27scan_by_key_config_selectorIisEEZZNS1_16scan_by_key_implILNS1_25lookback_scan_determinismE0ELb0ES3_N6thrust23THRUST_200600_302600_NS6detail15normal_iteratorINS9_10device_ptrIiEEEENSB_INSC_IsEEEESG_sNS9_4plusIvEENS9_8equal_toIvEEsEE10hipError_tPvRmT2_T3_T4_T5_mT6_T7_P12ihipStream_tbENKUlT_T0_E_clISt17integral_constantIbLb1EES10_IbLb0EEEEDaSW_SX_EUlSW_E_NS1_11comp_targetILNS1_3genE8ELNS1_11target_archE1030ELNS1_3gpuE2ELNS1_3repE0EEENS1_30default_config_static_selectorELNS0_4arch9wavefront6targetE0EEEvT1_.uses_flat_scratch, 0
	.set _ZN7rocprim17ROCPRIM_400000_NS6detail17trampoline_kernelINS0_14default_configENS1_27scan_by_key_config_selectorIisEEZZNS1_16scan_by_key_implILNS1_25lookback_scan_determinismE0ELb0ES3_N6thrust23THRUST_200600_302600_NS6detail15normal_iteratorINS9_10device_ptrIiEEEENSB_INSC_IsEEEESG_sNS9_4plusIvEENS9_8equal_toIvEEsEE10hipError_tPvRmT2_T3_T4_T5_mT6_T7_P12ihipStream_tbENKUlT_T0_E_clISt17integral_constantIbLb1EES10_IbLb0EEEEDaSW_SX_EUlSW_E_NS1_11comp_targetILNS1_3genE8ELNS1_11target_archE1030ELNS1_3gpuE2ELNS1_3repE0EEENS1_30default_config_static_selectorELNS0_4arch9wavefront6targetE0EEEvT1_.has_dyn_sized_stack, 0
	.set _ZN7rocprim17ROCPRIM_400000_NS6detail17trampoline_kernelINS0_14default_configENS1_27scan_by_key_config_selectorIisEEZZNS1_16scan_by_key_implILNS1_25lookback_scan_determinismE0ELb0ES3_N6thrust23THRUST_200600_302600_NS6detail15normal_iteratorINS9_10device_ptrIiEEEENSB_INSC_IsEEEESG_sNS9_4plusIvEENS9_8equal_toIvEEsEE10hipError_tPvRmT2_T3_T4_T5_mT6_T7_P12ihipStream_tbENKUlT_T0_E_clISt17integral_constantIbLb1EES10_IbLb0EEEEDaSW_SX_EUlSW_E_NS1_11comp_targetILNS1_3genE8ELNS1_11target_archE1030ELNS1_3gpuE2ELNS1_3repE0EEENS1_30default_config_static_selectorELNS0_4arch9wavefront6targetE0EEEvT1_.has_recursion, 0
	.set _ZN7rocprim17ROCPRIM_400000_NS6detail17trampoline_kernelINS0_14default_configENS1_27scan_by_key_config_selectorIisEEZZNS1_16scan_by_key_implILNS1_25lookback_scan_determinismE0ELb0ES3_N6thrust23THRUST_200600_302600_NS6detail15normal_iteratorINS9_10device_ptrIiEEEENSB_INSC_IsEEEESG_sNS9_4plusIvEENS9_8equal_toIvEEsEE10hipError_tPvRmT2_T3_T4_T5_mT6_T7_P12ihipStream_tbENKUlT_T0_E_clISt17integral_constantIbLb1EES10_IbLb0EEEEDaSW_SX_EUlSW_E_NS1_11comp_targetILNS1_3genE8ELNS1_11target_archE1030ELNS1_3gpuE2ELNS1_3repE0EEENS1_30default_config_static_selectorELNS0_4arch9wavefront6targetE0EEEvT1_.has_indirect_call, 0
	.section	.AMDGPU.csdata,"",@progbits
; Kernel info:
; codeLenInByte = 4
; TotalNumSgprs: 0
; NumVgprs: 0
; ScratchSize: 0
; MemoryBound: 0
; FloatMode: 240
; IeeeMode: 1
; LDSByteSize: 0 bytes/workgroup (compile time only)
; SGPRBlocks: 0
; VGPRBlocks: 0
; NumSGPRsForWavesPerEU: 1
; NumVGPRsForWavesPerEU: 1
; Occupancy: 16
; WaveLimiterHint : 0
; COMPUTE_PGM_RSRC2:SCRATCH_EN: 0
; COMPUTE_PGM_RSRC2:USER_SGPR: 6
; COMPUTE_PGM_RSRC2:TRAP_HANDLER: 0
; COMPUTE_PGM_RSRC2:TGID_X_EN: 1
; COMPUTE_PGM_RSRC2:TGID_Y_EN: 0
; COMPUTE_PGM_RSRC2:TGID_Z_EN: 0
; COMPUTE_PGM_RSRC2:TIDIG_COMP_CNT: 0
	.section	.text._ZN7rocprim17ROCPRIM_400000_NS6detail30init_device_scan_by_key_kernelINS1_19lookback_scan_stateINS0_5tupleIJsbEEELb0ELb1EEEN6thrust23THRUST_200600_302600_NS6detail15normal_iteratorINS8_10device_ptrIiEEEEjNS1_16block_id_wrapperIjLb1EEEEEvT_jjPNSG_10value_typeET0_PNSt15iterator_traitsISJ_E10value_typeEmT1_T2_,"axG",@progbits,_ZN7rocprim17ROCPRIM_400000_NS6detail30init_device_scan_by_key_kernelINS1_19lookback_scan_stateINS0_5tupleIJsbEEELb0ELb1EEEN6thrust23THRUST_200600_302600_NS6detail15normal_iteratorINS8_10device_ptrIiEEEEjNS1_16block_id_wrapperIjLb1EEEEEvT_jjPNSG_10value_typeET0_PNSt15iterator_traitsISJ_E10value_typeEmT1_T2_,comdat
	.protected	_ZN7rocprim17ROCPRIM_400000_NS6detail30init_device_scan_by_key_kernelINS1_19lookback_scan_stateINS0_5tupleIJsbEEELb0ELb1EEEN6thrust23THRUST_200600_302600_NS6detail15normal_iteratorINS8_10device_ptrIiEEEEjNS1_16block_id_wrapperIjLb1EEEEEvT_jjPNSG_10value_typeET0_PNSt15iterator_traitsISJ_E10value_typeEmT1_T2_ ; -- Begin function _ZN7rocprim17ROCPRIM_400000_NS6detail30init_device_scan_by_key_kernelINS1_19lookback_scan_stateINS0_5tupleIJsbEEELb0ELb1EEEN6thrust23THRUST_200600_302600_NS6detail15normal_iteratorINS8_10device_ptrIiEEEEjNS1_16block_id_wrapperIjLb1EEEEEvT_jjPNSG_10value_typeET0_PNSt15iterator_traitsISJ_E10value_typeEmT1_T2_
	.globl	_ZN7rocprim17ROCPRIM_400000_NS6detail30init_device_scan_by_key_kernelINS1_19lookback_scan_stateINS0_5tupleIJsbEEELb0ELb1EEEN6thrust23THRUST_200600_302600_NS6detail15normal_iteratorINS8_10device_ptrIiEEEEjNS1_16block_id_wrapperIjLb1EEEEEvT_jjPNSG_10value_typeET0_PNSt15iterator_traitsISJ_E10value_typeEmT1_T2_
	.p2align	8
	.type	_ZN7rocprim17ROCPRIM_400000_NS6detail30init_device_scan_by_key_kernelINS1_19lookback_scan_stateINS0_5tupleIJsbEEELb0ELb1EEEN6thrust23THRUST_200600_302600_NS6detail15normal_iteratorINS8_10device_ptrIiEEEEjNS1_16block_id_wrapperIjLb1EEEEEvT_jjPNSG_10value_typeET0_PNSt15iterator_traitsISJ_E10value_typeEmT1_T2_,@function
_ZN7rocprim17ROCPRIM_400000_NS6detail30init_device_scan_by_key_kernelINS1_19lookback_scan_stateINS0_5tupleIJsbEEELb0ELb1EEEN6thrust23THRUST_200600_302600_NS6detail15normal_iteratorINS8_10device_ptrIiEEEEjNS1_16block_id_wrapperIjLb1EEEEEvT_jjPNSG_10value_typeET0_PNSt15iterator_traitsISJ_E10value_typeEmT1_T2_: ; @_ZN7rocprim17ROCPRIM_400000_NS6detail30init_device_scan_by_key_kernelINS1_19lookback_scan_stateINS0_5tupleIJsbEEELb0ELb1EEEN6thrust23THRUST_200600_302600_NS6detail15normal_iteratorINS8_10device_ptrIiEEEEjNS1_16block_id_wrapperIjLb1EEEEEvT_jjPNSG_10value_typeET0_PNSt15iterator_traitsISJ_E10value_typeEmT1_T2_
; %bb.0:
	s_clause 0x2
	s_load_dword s0, s[4:5], 0x4c
	s_load_dwordx8 s[8:15], s[4:5], 0x0
	s_load_dword s7, s[4:5], 0x40
	s_waitcnt lgkmcnt(0)
	s_and_b32 s16, s0, 0xffff
	s_cmp_eq_u64 s[12:13], 0
	v_mad_u64_u32 v[0:1], null, s6, s16, v[0:1]
	s_cbranch_scc1 .LBB1381_6
; %bb.1:
	s_cmp_lt_u32 s11, s10
	s_mov_b32 s1, 0
	s_cselect_b32 s0, s11, 0
	s_mov_b32 s2, exec_lo
	v_cmpx_eq_u32_e64 s0, v0
	s_cbranch_execz .LBB1381_5
; %bb.2:
	s_add_i32 s0, s11, 32
	v_mov_b32_e32 v3, 0
	s_lshl_b64 s[0:1], s[0:1], 3
	s_add_u32 s0, s8, s0
	s_addc_u32 s1, s9, s1
	global_load_dwordx2 v[1:2], v3, s[0:1] glc dlc
	s_waitcnt vmcnt(0)
	v_and_b32_e32 v4, 0xff, v2
	v_cmp_ne_u64_e32 vcc_lo, 0, v[3:4]
	s_cbranch_vccnz .LBB1381_4
.LBB1381_3:                             ; =>This Inner Loop Header: Depth=1
	global_load_dwordx2 v[1:2], v3, s[0:1] glc dlc
	s_waitcnt vmcnt(0)
	v_and_b32_e32 v4, 0xff, v2
	v_cmp_eq_u64_e32 vcc_lo, 0, v[3:4]
	s_cbranch_vccnz .LBB1381_3
.LBB1381_4:
	v_mov_b32_e32 v2, 0
	global_store_short v2, v1, s[12:13]
	global_store_byte_d16_hi v2, v1, s[12:13] offset:2
.LBB1381_5:
	s_or_b32 exec_lo, exec_lo, s2
.LBB1381_6:
	s_mov_b32 s0, exec_lo
	v_cmpx_eq_u32_e32 0, v0
	s_cbranch_execz .LBB1381_8
; %bb.7:
	s_load_dwordx2 s[2:3], s[4:5], 0x38
	v_mov_b32_e32 v1, 0
	s_waitcnt lgkmcnt(0)
	global_store_dword v1, v1, s[2:3]
.LBB1381_8:
	s_or_b32 exec_lo, exec_lo, s0
	s_mov_b32 s0, exec_lo
	v_cmpx_gt_u32_e64 s10, v0
	s_cbranch_execz .LBB1381_10
; %bb.9:
	v_add_nc_u32_e32 v1, 32, v0
	v_mov_b32_e32 v2, 0
	v_lshlrev_b64 v[3:4], 3, v[1:2]
	v_mov_b32_e32 v1, v2
	v_add_co_u32 v3, vcc_lo, s8, v3
	v_add_co_ci_u32_e64 v4, null, s9, v4, vcc_lo
	global_store_dwordx2 v[3:4], v[1:2], off
.LBB1381_10:
	s_or_b32 exec_lo, exec_lo, s0
	v_mov_b32_e32 v1, 0
	s_mov_b32 s0, exec_lo
	v_cmpx_gt_u32_e32 32, v0
	s_cbranch_execz .LBB1381_12
; %bb.11:
	v_lshlrev_b64 v[2:3], 3, v[0:1]
	v_mov_b32_e32 v4, 0xff
	v_add_co_u32 v5, vcc_lo, s8, v2
	v_add_co_ci_u32_e64 v6, null, s9, v3, vcc_lo
	v_mov_b32_e32 v3, v1
	global_store_dwordx2 v[5:6], v[3:4], off
.LBB1381_12:
	s_or_b32 exec_lo, exec_lo, s0
	s_load_dwordx2 s[2:3], s[4:5], 0x28
	s_mov_b32 s0, exec_lo
	s_waitcnt lgkmcnt(0)
	v_cmpx_gt_u64_e64 s[2:3], v[0:1]
	s_cbranch_execz .LBB1381_15
; %bb.13:
	s_clause 0x1
	s_load_dword s6, s[4:5], 0x30
	s_load_dwordx2 s[8:9], s[4:5], 0x20
	s_mov_b32 s1, 0
	v_lshlrev_b64 v[4:5], 2, v[0:1]
	s_mul_i32 s4, s7, s16
	s_waitcnt lgkmcnt(0)
	v_mad_u64_u32 v[2:3], null, s6, v0, 0
	s_add_i32 s0, s6, -1
	s_mul_hi_u32 s7, s6, s4
	s_lshl_b64 s[10:11], s[0:1], 2
	s_mul_i32 s6, s6, s4
	s_add_u32 s0, s14, s10
	s_addc_u32 s5, s15, s11
	v_lshlrev_b64 v[2:3], 2, v[2:3]
	s_lshl_b64 s[6:7], s[6:7], 2
	v_add_co_u32 v2, vcc_lo, s0, v2
	v_add_co_ci_u32_e64 v3, null, s5, v3, vcc_lo
	v_add_co_u32 v4, vcc_lo, s8, v4
	v_add_co_ci_u32_e64 v5, null, s9, v5, vcc_lo
	s_mov_b32 s5, s1
	s_lshl_b64 s[8:9], s[4:5], 2
	.p2align	6
.LBB1381_14:                            ; =>This Inner Loop Header: Depth=1
	global_load_dword v6, v[2:3], off
	v_add_co_u32 v0, vcc_lo, v0, s4
	v_add_co_ci_u32_e64 v1, null, 0, v1, vcc_lo
	v_add_co_u32 v2, vcc_lo, v2, s6
	v_add_co_ci_u32_e64 v3, null, s7, v3, vcc_lo
	v_cmp_le_u64_e32 vcc_lo, s[2:3], v[0:1]
	s_or_b32 s1, vcc_lo, s1
	s_waitcnt vmcnt(0)
	global_store_dword v[4:5], v6, off
	v_add_co_u32 v4, s0, v4, s8
	v_add_co_ci_u32_e64 v5, null, s9, v5, s0
	s_andn2_b32 exec_lo, exec_lo, s1
	s_cbranch_execnz .LBB1381_14
.LBB1381_15:
	s_endpgm
	.section	.rodata,"a",@progbits
	.p2align	6, 0x0
	.amdhsa_kernel _ZN7rocprim17ROCPRIM_400000_NS6detail30init_device_scan_by_key_kernelINS1_19lookback_scan_stateINS0_5tupleIJsbEEELb0ELb1EEEN6thrust23THRUST_200600_302600_NS6detail15normal_iteratorINS8_10device_ptrIiEEEEjNS1_16block_id_wrapperIjLb1EEEEEvT_jjPNSG_10value_typeET0_PNSt15iterator_traitsISJ_E10value_typeEmT1_T2_
		.amdhsa_group_segment_fixed_size 0
		.amdhsa_private_segment_fixed_size 0
		.amdhsa_kernarg_size 320
		.amdhsa_user_sgpr_count 6
		.amdhsa_user_sgpr_private_segment_buffer 1
		.amdhsa_user_sgpr_dispatch_ptr 0
		.amdhsa_user_sgpr_queue_ptr 0
		.amdhsa_user_sgpr_kernarg_segment_ptr 1
		.amdhsa_user_sgpr_dispatch_id 0
		.amdhsa_user_sgpr_flat_scratch_init 0
		.amdhsa_user_sgpr_private_segment_size 0
		.amdhsa_wavefront_size32 1
		.amdhsa_uses_dynamic_stack 0
		.amdhsa_system_sgpr_private_segment_wavefront_offset 0
		.amdhsa_system_sgpr_workgroup_id_x 1
		.amdhsa_system_sgpr_workgroup_id_y 0
		.amdhsa_system_sgpr_workgroup_id_z 0
		.amdhsa_system_sgpr_workgroup_info 0
		.amdhsa_system_vgpr_workitem_id 0
		.amdhsa_next_free_vgpr 7
		.amdhsa_next_free_sgpr 17
		.amdhsa_reserve_vcc 1
		.amdhsa_reserve_flat_scratch 0
		.amdhsa_float_round_mode_32 0
		.amdhsa_float_round_mode_16_64 0
		.amdhsa_float_denorm_mode_32 3
		.amdhsa_float_denorm_mode_16_64 3
		.amdhsa_dx10_clamp 1
		.amdhsa_ieee_mode 1
		.amdhsa_fp16_overflow 0
		.amdhsa_workgroup_processor_mode 1
		.amdhsa_memory_ordered 1
		.amdhsa_forward_progress 1
		.amdhsa_shared_vgpr_count 0
		.amdhsa_exception_fp_ieee_invalid_op 0
		.amdhsa_exception_fp_denorm_src 0
		.amdhsa_exception_fp_ieee_div_zero 0
		.amdhsa_exception_fp_ieee_overflow 0
		.amdhsa_exception_fp_ieee_underflow 0
		.amdhsa_exception_fp_ieee_inexact 0
		.amdhsa_exception_int_div_zero 0
	.end_amdhsa_kernel
	.section	.text._ZN7rocprim17ROCPRIM_400000_NS6detail30init_device_scan_by_key_kernelINS1_19lookback_scan_stateINS0_5tupleIJsbEEELb0ELb1EEEN6thrust23THRUST_200600_302600_NS6detail15normal_iteratorINS8_10device_ptrIiEEEEjNS1_16block_id_wrapperIjLb1EEEEEvT_jjPNSG_10value_typeET0_PNSt15iterator_traitsISJ_E10value_typeEmT1_T2_,"axG",@progbits,_ZN7rocprim17ROCPRIM_400000_NS6detail30init_device_scan_by_key_kernelINS1_19lookback_scan_stateINS0_5tupleIJsbEEELb0ELb1EEEN6thrust23THRUST_200600_302600_NS6detail15normal_iteratorINS8_10device_ptrIiEEEEjNS1_16block_id_wrapperIjLb1EEEEEvT_jjPNSG_10value_typeET0_PNSt15iterator_traitsISJ_E10value_typeEmT1_T2_,comdat
.Lfunc_end1381:
	.size	_ZN7rocprim17ROCPRIM_400000_NS6detail30init_device_scan_by_key_kernelINS1_19lookback_scan_stateINS0_5tupleIJsbEEELb0ELb1EEEN6thrust23THRUST_200600_302600_NS6detail15normal_iteratorINS8_10device_ptrIiEEEEjNS1_16block_id_wrapperIjLb1EEEEEvT_jjPNSG_10value_typeET0_PNSt15iterator_traitsISJ_E10value_typeEmT1_T2_, .Lfunc_end1381-_ZN7rocprim17ROCPRIM_400000_NS6detail30init_device_scan_by_key_kernelINS1_19lookback_scan_stateINS0_5tupleIJsbEEELb0ELb1EEEN6thrust23THRUST_200600_302600_NS6detail15normal_iteratorINS8_10device_ptrIiEEEEjNS1_16block_id_wrapperIjLb1EEEEEvT_jjPNSG_10value_typeET0_PNSt15iterator_traitsISJ_E10value_typeEmT1_T2_
                                        ; -- End function
	.set _ZN7rocprim17ROCPRIM_400000_NS6detail30init_device_scan_by_key_kernelINS1_19lookback_scan_stateINS0_5tupleIJsbEEELb0ELb1EEEN6thrust23THRUST_200600_302600_NS6detail15normal_iteratorINS8_10device_ptrIiEEEEjNS1_16block_id_wrapperIjLb1EEEEEvT_jjPNSG_10value_typeET0_PNSt15iterator_traitsISJ_E10value_typeEmT1_T2_.num_vgpr, 7
	.set _ZN7rocprim17ROCPRIM_400000_NS6detail30init_device_scan_by_key_kernelINS1_19lookback_scan_stateINS0_5tupleIJsbEEELb0ELb1EEEN6thrust23THRUST_200600_302600_NS6detail15normal_iteratorINS8_10device_ptrIiEEEEjNS1_16block_id_wrapperIjLb1EEEEEvT_jjPNSG_10value_typeET0_PNSt15iterator_traitsISJ_E10value_typeEmT1_T2_.num_agpr, 0
	.set _ZN7rocprim17ROCPRIM_400000_NS6detail30init_device_scan_by_key_kernelINS1_19lookback_scan_stateINS0_5tupleIJsbEEELb0ELb1EEEN6thrust23THRUST_200600_302600_NS6detail15normal_iteratorINS8_10device_ptrIiEEEEjNS1_16block_id_wrapperIjLb1EEEEEvT_jjPNSG_10value_typeET0_PNSt15iterator_traitsISJ_E10value_typeEmT1_T2_.numbered_sgpr, 17
	.set _ZN7rocprim17ROCPRIM_400000_NS6detail30init_device_scan_by_key_kernelINS1_19lookback_scan_stateINS0_5tupleIJsbEEELb0ELb1EEEN6thrust23THRUST_200600_302600_NS6detail15normal_iteratorINS8_10device_ptrIiEEEEjNS1_16block_id_wrapperIjLb1EEEEEvT_jjPNSG_10value_typeET0_PNSt15iterator_traitsISJ_E10value_typeEmT1_T2_.num_named_barrier, 0
	.set _ZN7rocprim17ROCPRIM_400000_NS6detail30init_device_scan_by_key_kernelINS1_19lookback_scan_stateINS0_5tupleIJsbEEELb0ELb1EEEN6thrust23THRUST_200600_302600_NS6detail15normal_iteratorINS8_10device_ptrIiEEEEjNS1_16block_id_wrapperIjLb1EEEEEvT_jjPNSG_10value_typeET0_PNSt15iterator_traitsISJ_E10value_typeEmT1_T2_.private_seg_size, 0
	.set _ZN7rocprim17ROCPRIM_400000_NS6detail30init_device_scan_by_key_kernelINS1_19lookback_scan_stateINS0_5tupleIJsbEEELb0ELb1EEEN6thrust23THRUST_200600_302600_NS6detail15normal_iteratorINS8_10device_ptrIiEEEEjNS1_16block_id_wrapperIjLb1EEEEEvT_jjPNSG_10value_typeET0_PNSt15iterator_traitsISJ_E10value_typeEmT1_T2_.uses_vcc, 1
	.set _ZN7rocprim17ROCPRIM_400000_NS6detail30init_device_scan_by_key_kernelINS1_19lookback_scan_stateINS0_5tupleIJsbEEELb0ELb1EEEN6thrust23THRUST_200600_302600_NS6detail15normal_iteratorINS8_10device_ptrIiEEEEjNS1_16block_id_wrapperIjLb1EEEEEvT_jjPNSG_10value_typeET0_PNSt15iterator_traitsISJ_E10value_typeEmT1_T2_.uses_flat_scratch, 0
	.set _ZN7rocprim17ROCPRIM_400000_NS6detail30init_device_scan_by_key_kernelINS1_19lookback_scan_stateINS0_5tupleIJsbEEELb0ELb1EEEN6thrust23THRUST_200600_302600_NS6detail15normal_iteratorINS8_10device_ptrIiEEEEjNS1_16block_id_wrapperIjLb1EEEEEvT_jjPNSG_10value_typeET0_PNSt15iterator_traitsISJ_E10value_typeEmT1_T2_.has_dyn_sized_stack, 0
	.set _ZN7rocprim17ROCPRIM_400000_NS6detail30init_device_scan_by_key_kernelINS1_19lookback_scan_stateINS0_5tupleIJsbEEELb0ELb1EEEN6thrust23THRUST_200600_302600_NS6detail15normal_iteratorINS8_10device_ptrIiEEEEjNS1_16block_id_wrapperIjLb1EEEEEvT_jjPNSG_10value_typeET0_PNSt15iterator_traitsISJ_E10value_typeEmT1_T2_.has_recursion, 0
	.set _ZN7rocprim17ROCPRIM_400000_NS6detail30init_device_scan_by_key_kernelINS1_19lookback_scan_stateINS0_5tupleIJsbEEELb0ELb1EEEN6thrust23THRUST_200600_302600_NS6detail15normal_iteratorINS8_10device_ptrIiEEEEjNS1_16block_id_wrapperIjLb1EEEEEvT_jjPNSG_10value_typeET0_PNSt15iterator_traitsISJ_E10value_typeEmT1_T2_.has_indirect_call, 0
	.section	.AMDGPU.csdata,"",@progbits
; Kernel info:
; codeLenInByte = 600
; TotalNumSgprs: 19
; NumVgprs: 7
; ScratchSize: 0
; MemoryBound: 0
; FloatMode: 240
; IeeeMode: 1
; LDSByteSize: 0 bytes/workgroup (compile time only)
; SGPRBlocks: 0
; VGPRBlocks: 0
; NumSGPRsForWavesPerEU: 19
; NumVGPRsForWavesPerEU: 7
; Occupancy: 16
; WaveLimiterHint : 0
; COMPUTE_PGM_RSRC2:SCRATCH_EN: 0
; COMPUTE_PGM_RSRC2:USER_SGPR: 6
; COMPUTE_PGM_RSRC2:TRAP_HANDLER: 0
; COMPUTE_PGM_RSRC2:TGID_X_EN: 1
; COMPUTE_PGM_RSRC2:TGID_Y_EN: 0
; COMPUTE_PGM_RSRC2:TGID_Z_EN: 0
; COMPUTE_PGM_RSRC2:TIDIG_COMP_CNT: 0
	.section	.text._ZN7rocprim17ROCPRIM_400000_NS6detail17trampoline_kernelINS0_14default_configENS1_27scan_by_key_config_selectorIisEEZZNS1_16scan_by_key_implILNS1_25lookback_scan_determinismE0ELb0ES3_N6thrust23THRUST_200600_302600_NS6detail15normal_iteratorINS9_10device_ptrIiEEEENSB_INSC_IsEEEESG_sNS9_4plusIvEENS9_8equal_toIvEEsEE10hipError_tPvRmT2_T3_T4_T5_mT6_T7_P12ihipStream_tbENKUlT_T0_E_clISt17integral_constantIbLb0EES10_IbLb1EEEEDaSW_SX_EUlSW_E_NS1_11comp_targetILNS1_3genE0ELNS1_11target_archE4294967295ELNS1_3gpuE0ELNS1_3repE0EEENS1_30default_config_static_selectorELNS0_4arch9wavefront6targetE0EEEvT1_,"axG",@progbits,_ZN7rocprim17ROCPRIM_400000_NS6detail17trampoline_kernelINS0_14default_configENS1_27scan_by_key_config_selectorIisEEZZNS1_16scan_by_key_implILNS1_25lookback_scan_determinismE0ELb0ES3_N6thrust23THRUST_200600_302600_NS6detail15normal_iteratorINS9_10device_ptrIiEEEENSB_INSC_IsEEEESG_sNS9_4plusIvEENS9_8equal_toIvEEsEE10hipError_tPvRmT2_T3_T4_T5_mT6_T7_P12ihipStream_tbENKUlT_T0_E_clISt17integral_constantIbLb0EES10_IbLb1EEEEDaSW_SX_EUlSW_E_NS1_11comp_targetILNS1_3genE0ELNS1_11target_archE4294967295ELNS1_3gpuE0ELNS1_3repE0EEENS1_30default_config_static_selectorELNS0_4arch9wavefront6targetE0EEEvT1_,comdat
	.protected	_ZN7rocprim17ROCPRIM_400000_NS6detail17trampoline_kernelINS0_14default_configENS1_27scan_by_key_config_selectorIisEEZZNS1_16scan_by_key_implILNS1_25lookback_scan_determinismE0ELb0ES3_N6thrust23THRUST_200600_302600_NS6detail15normal_iteratorINS9_10device_ptrIiEEEENSB_INSC_IsEEEESG_sNS9_4plusIvEENS9_8equal_toIvEEsEE10hipError_tPvRmT2_T3_T4_T5_mT6_T7_P12ihipStream_tbENKUlT_T0_E_clISt17integral_constantIbLb0EES10_IbLb1EEEEDaSW_SX_EUlSW_E_NS1_11comp_targetILNS1_3genE0ELNS1_11target_archE4294967295ELNS1_3gpuE0ELNS1_3repE0EEENS1_30default_config_static_selectorELNS0_4arch9wavefront6targetE0EEEvT1_ ; -- Begin function _ZN7rocprim17ROCPRIM_400000_NS6detail17trampoline_kernelINS0_14default_configENS1_27scan_by_key_config_selectorIisEEZZNS1_16scan_by_key_implILNS1_25lookback_scan_determinismE0ELb0ES3_N6thrust23THRUST_200600_302600_NS6detail15normal_iteratorINS9_10device_ptrIiEEEENSB_INSC_IsEEEESG_sNS9_4plusIvEENS9_8equal_toIvEEsEE10hipError_tPvRmT2_T3_T4_T5_mT6_T7_P12ihipStream_tbENKUlT_T0_E_clISt17integral_constantIbLb0EES10_IbLb1EEEEDaSW_SX_EUlSW_E_NS1_11comp_targetILNS1_3genE0ELNS1_11target_archE4294967295ELNS1_3gpuE0ELNS1_3repE0EEENS1_30default_config_static_selectorELNS0_4arch9wavefront6targetE0EEEvT1_
	.globl	_ZN7rocprim17ROCPRIM_400000_NS6detail17trampoline_kernelINS0_14default_configENS1_27scan_by_key_config_selectorIisEEZZNS1_16scan_by_key_implILNS1_25lookback_scan_determinismE0ELb0ES3_N6thrust23THRUST_200600_302600_NS6detail15normal_iteratorINS9_10device_ptrIiEEEENSB_INSC_IsEEEESG_sNS9_4plusIvEENS9_8equal_toIvEEsEE10hipError_tPvRmT2_T3_T4_T5_mT6_T7_P12ihipStream_tbENKUlT_T0_E_clISt17integral_constantIbLb0EES10_IbLb1EEEEDaSW_SX_EUlSW_E_NS1_11comp_targetILNS1_3genE0ELNS1_11target_archE4294967295ELNS1_3gpuE0ELNS1_3repE0EEENS1_30default_config_static_selectorELNS0_4arch9wavefront6targetE0EEEvT1_
	.p2align	8
	.type	_ZN7rocprim17ROCPRIM_400000_NS6detail17trampoline_kernelINS0_14default_configENS1_27scan_by_key_config_selectorIisEEZZNS1_16scan_by_key_implILNS1_25lookback_scan_determinismE0ELb0ES3_N6thrust23THRUST_200600_302600_NS6detail15normal_iteratorINS9_10device_ptrIiEEEENSB_INSC_IsEEEESG_sNS9_4plusIvEENS9_8equal_toIvEEsEE10hipError_tPvRmT2_T3_T4_T5_mT6_T7_P12ihipStream_tbENKUlT_T0_E_clISt17integral_constantIbLb0EES10_IbLb1EEEEDaSW_SX_EUlSW_E_NS1_11comp_targetILNS1_3genE0ELNS1_11target_archE4294967295ELNS1_3gpuE0ELNS1_3repE0EEENS1_30default_config_static_selectorELNS0_4arch9wavefront6targetE0EEEvT1_,@function
_ZN7rocprim17ROCPRIM_400000_NS6detail17trampoline_kernelINS0_14default_configENS1_27scan_by_key_config_selectorIisEEZZNS1_16scan_by_key_implILNS1_25lookback_scan_determinismE0ELb0ES3_N6thrust23THRUST_200600_302600_NS6detail15normal_iteratorINS9_10device_ptrIiEEEENSB_INSC_IsEEEESG_sNS9_4plusIvEENS9_8equal_toIvEEsEE10hipError_tPvRmT2_T3_T4_T5_mT6_T7_P12ihipStream_tbENKUlT_T0_E_clISt17integral_constantIbLb0EES10_IbLb1EEEEDaSW_SX_EUlSW_E_NS1_11comp_targetILNS1_3genE0ELNS1_11target_archE4294967295ELNS1_3gpuE0ELNS1_3repE0EEENS1_30default_config_static_selectorELNS0_4arch9wavefront6targetE0EEEvT1_: ; @_ZN7rocprim17ROCPRIM_400000_NS6detail17trampoline_kernelINS0_14default_configENS1_27scan_by_key_config_selectorIisEEZZNS1_16scan_by_key_implILNS1_25lookback_scan_determinismE0ELb0ES3_N6thrust23THRUST_200600_302600_NS6detail15normal_iteratorINS9_10device_ptrIiEEEENSB_INSC_IsEEEESG_sNS9_4plusIvEENS9_8equal_toIvEEsEE10hipError_tPvRmT2_T3_T4_T5_mT6_T7_P12ihipStream_tbENKUlT_T0_E_clISt17integral_constantIbLb0EES10_IbLb1EEEEDaSW_SX_EUlSW_E_NS1_11comp_targetILNS1_3genE0ELNS1_11target_archE4294967295ELNS1_3gpuE0ELNS1_3repE0EEENS1_30default_config_static_selectorELNS0_4arch9wavefront6targetE0EEEvT1_
; %bb.0:
	.section	.rodata,"a",@progbits
	.p2align	6, 0x0
	.amdhsa_kernel _ZN7rocprim17ROCPRIM_400000_NS6detail17trampoline_kernelINS0_14default_configENS1_27scan_by_key_config_selectorIisEEZZNS1_16scan_by_key_implILNS1_25lookback_scan_determinismE0ELb0ES3_N6thrust23THRUST_200600_302600_NS6detail15normal_iteratorINS9_10device_ptrIiEEEENSB_INSC_IsEEEESG_sNS9_4plusIvEENS9_8equal_toIvEEsEE10hipError_tPvRmT2_T3_T4_T5_mT6_T7_P12ihipStream_tbENKUlT_T0_E_clISt17integral_constantIbLb0EES10_IbLb1EEEEDaSW_SX_EUlSW_E_NS1_11comp_targetILNS1_3genE0ELNS1_11target_archE4294967295ELNS1_3gpuE0ELNS1_3repE0EEENS1_30default_config_static_selectorELNS0_4arch9wavefront6targetE0EEEvT1_
		.amdhsa_group_segment_fixed_size 0
		.amdhsa_private_segment_fixed_size 0
		.amdhsa_kernarg_size 112
		.amdhsa_user_sgpr_count 6
		.amdhsa_user_sgpr_private_segment_buffer 1
		.amdhsa_user_sgpr_dispatch_ptr 0
		.amdhsa_user_sgpr_queue_ptr 0
		.amdhsa_user_sgpr_kernarg_segment_ptr 1
		.amdhsa_user_sgpr_dispatch_id 0
		.amdhsa_user_sgpr_flat_scratch_init 0
		.amdhsa_user_sgpr_private_segment_size 0
		.amdhsa_wavefront_size32 1
		.amdhsa_uses_dynamic_stack 0
		.amdhsa_system_sgpr_private_segment_wavefront_offset 0
		.amdhsa_system_sgpr_workgroup_id_x 1
		.amdhsa_system_sgpr_workgroup_id_y 0
		.amdhsa_system_sgpr_workgroup_id_z 0
		.amdhsa_system_sgpr_workgroup_info 0
		.amdhsa_system_vgpr_workitem_id 0
		.amdhsa_next_free_vgpr 1
		.amdhsa_next_free_sgpr 1
		.amdhsa_reserve_vcc 0
		.amdhsa_reserve_flat_scratch 0
		.amdhsa_float_round_mode_32 0
		.amdhsa_float_round_mode_16_64 0
		.amdhsa_float_denorm_mode_32 3
		.amdhsa_float_denorm_mode_16_64 3
		.amdhsa_dx10_clamp 1
		.amdhsa_ieee_mode 1
		.amdhsa_fp16_overflow 0
		.amdhsa_workgroup_processor_mode 1
		.amdhsa_memory_ordered 1
		.amdhsa_forward_progress 1
		.amdhsa_shared_vgpr_count 0
		.amdhsa_exception_fp_ieee_invalid_op 0
		.amdhsa_exception_fp_denorm_src 0
		.amdhsa_exception_fp_ieee_div_zero 0
		.amdhsa_exception_fp_ieee_overflow 0
		.amdhsa_exception_fp_ieee_underflow 0
		.amdhsa_exception_fp_ieee_inexact 0
		.amdhsa_exception_int_div_zero 0
	.end_amdhsa_kernel
	.section	.text._ZN7rocprim17ROCPRIM_400000_NS6detail17trampoline_kernelINS0_14default_configENS1_27scan_by_key_config_selectorIisEEZZNS1_16scan_by_key_implILNS1_25lookback_scan_determinismE0ELb0ES3_N6thrust23THRUST_200600_302600_NS6detail15normal_iteratorINS9_10device_ptrIiEEEENSB_INSC_IsEEEESG_sNS9_4plusIvEENS9_8equal_toIvEEsEE10hipError_tPvRmT2_T3_T4_T5_mT6_T7_P12ihipStream_tbENKUlT_T0_E_clISt17integral_constantIbLb0EES10_IbLb1EEEEDaSW_SX_EUlSW_E_NS1_11comp_targetILNS1_3genE0ELNS1_11target_archE4294967295ELNS1_3gpuE0ELNS1_3repE0EEENS1_30default_config_static_selectorELNS0_4arch9wavefront6targetE0EEEvT1_,"axG",@progbits,_ZN7rocprim17ROCPRIM_400000_NS6detail17trampoline_kernelINS0_14default_configENS1_27scan_by_key_config_selectorIisEEZZNS1_16scan_by_key_implILNS1_25lookback_scan_determinismE0ELb0ES3_N6thrust23THRUST_200600_302600_NS6detail15normal_iteratorINS9_10device_ptrIiEEEENSB_INSC_IsEEEESG_sNS9_4plusIvEENS9_8equal_toIvEEsEE10hipError_tPvRmT2_T3_T4_T5_mT6_T7_P12ihipStream_tbENKUlT_T0_E_clISt17integral_constantIbLb0EES10_IbLb1EEEEDaSW_SX_EUlSW_E_NS1_11comp_targetILNS1_3genE0ELNS1_11target_archE4294967295ELNS1_3gpuE0ELNS1_3repE0EEENS1_30default_config_static_selectorELNS0_4arch9wavefront6targetE0EEEvT1_,comdat
.Lfunc_end1382:
	.size	_ZN7rocprim17ROCPRIM_400000_NS6detail17trampoline_kernelINS0_14default_configENS1_27scan_by_key_config_selectorIisEEZZNS1_16scan_by_key_implILNS1_25lookback_scan_determinismE0ELb0ES3_N6thrust23THRUST_200600_302600_NS6detail15normal_iteratorINS9_10device_ptrIiEEEENSB_INSC_IsEEEESG_sNS9_4plusIvEENS9_8equal_toIvEEsEE10hipError_tPvRmT2_T3_T4_T5_mT6_T7_P12ihipStream_tbENKUlT_T0_E_clISt17integral_constantIbLb0EES10_IbLb1EEEEDaSW_SX_EUlSW_E_NS1_11comp_targetILNS1_3genE0ELNS1_11target_archE4294967295ELNS1_3gpuE0ELNS1_3repE0EEENS1_30default_config_static_selectorELNS0_4arch9wavefront6targetE0EEEvT1_, .Lfunc_end1382-_ZN7rocprim17ROCPRIM_400000_NS6detail17trampoline_kernelINS0_14default_configENS1_27scan_by_key_config_selectorIisEEZZNS1_16scan_by_key_implILNS1_25lookback_scan_determinismE0ELb0ES3_N6thrust23THRUST_200600_302600_NS6detail15normal_iteratorINS9_10device_ptrIiEEEENSB_INSC_IsEEEESG_sNS9_4plusIvEENS9_8equal_toIvEEsEE10hipError_tPvRmT2_T3_T4_T5_mT6_T7_P12ihipStream_tbENKUlT_T0_E_clISt17integral_constantIbLb0EES10_IbLb1EEEEDaSW_SX_EUlSW_E_NS1_11comp_targetILNS1_3genE0ELNS1_11target_archE4294967295ELNS1_3gpuE0ELNS1_3repE0EEENS1_30default_config_static_selectorELNS0_4arch9wavefront6targetE0EEEvT1_
                                        ; -- End function
	.set _ZN7rocprim17ROCPRIM_400000_NS6detail17trampoline_kernelINS0_14default_configENS1_27scan_by_key_config_selectorIisEEZZNS1_16scan_by_key_implILNS1_25lookback_scan_determinismE0ELb0ES3_N6thrust23THRUST_200600_302600_NS6detail15normal_iteratorINS9_10device_ptrIiEEEENSB_INSC_IsEEEESG_sNS9_4plusIvEENS9_8equal_toIvEEsEE10hipError_tPvRmT2_T3_T4_T5_mT6_T7_P12ihipStream_tbENKUlT_T0_E_clISt17integral_constantIbLb0EES10_IbLb1EEEEDaSW_SX_EUlSW_E_NS1_11comp_targetILNS1_3genE0ELNS1_11target_archE4294967295ELNS1_3gpuE0ELNS1_3repE0EEENS1_30default_config_static_selectorELNS0_4arch9wavefront6targetE0EEEvT1_.num_vgpr, 0
	.set _ZN7rocprim17ROCPRIM_400000_NS6detail17trampoline_kernelINS0_14default_configENS1_27scan_by_key_config_selectorIisEEZZNS1_16scan_by_key_implILNS1_25lookback_scan_determinismE0ELb0ES3_N6thrust23THRUST_200600_302600_NS6detail15normal_iteratorINS9_10device_ptrIiEEEENSB_INSC_IsEEEESG_sNS9_4plusIvEENS9_8equal_toIvEEsEE10hipError_tPvRmT2_T3_T4_T5_mT6_T7_P12ihipStream_tbENKUlT_T0_E_clISt17integral_constantIbLb0EES10_IbLb1EEEEDaSW_SX_EUlSW_E_NS1_11comp_targetILNS1_3genE0ELNS1_11target_archE4294967295ELNS1_3gpuE0ELNS1_3repE0EEENS1_30default_config_static_selectorELNS0_4arch9wavefront6targetE0EEEvT1_.num_agpr, 0
	.set _ZN7rocprim17ROCPRIM_400000_NS6detail17trampoline_kernelINS0_14default_configENS1_27scan_by_key_config_selectorIisEEZZNS1_16scan_by_key_implILNS1_25lookback_scan_determinismE0ELb0ES3_N6thrust23THRUST_200600_302600_NS6detail15normal_iteratorINS9_10device_ptrIiEEEENSB_INSC_IsEEEESG_sNS9_4plusIvEENS9_8equal_toIvEEsEE10hipError_tPvRmT2_T3_T4_T5_mT6_T7_P12ihipStream_tbENKUlT_T0_E_clISt17integral_constantIbLb0EES10_IbLb1EEEEDaSW_SX_EUlSW_E_NS1_11comp_targetILNS1_3genE0ELNS1_11target_archE4294967295ELNS1_3gpuE0ELNS1_3repE0EEENS1_30default_config_static_selectorELNS0_4arch9wavefront6targetE0EEEvT1_.numbered_sgpr, 0
	.set _ZN7rocprim17ROCPRIM_400000_NS6detail17trampoline_kernelINS0_14default_configENS1_27scan_by_key_config_selectorIisEEZZNS1_16scan_by_key_implILNS1_25lookback_scan_determinismE0ELb0ES3_N6thrust23THRUST_200600_302600_NS6detail15normal_iteratorINS9_10device_ptrIiEEEENSB_INSC_IsEEEESG_sNS9_4plusIvEENS9_8equal_toIvEEsEE10hipError_tPvRmT2_T3_T4_T5_mT6_T7_P12ihipStream_tbENKUlT_T0_E_clISt17integral_constantIbLb0EES10_IbLb1EEEEDaSW_SX_EUlSW_E_NS1_11comp_targetILNS1_3genE0ELNS1_11target_archE4294967295ELNS1_3gpuE0ELNS1_3repE0EEENS1_30default_config_static_selectorELNS0_4arch9wavefront6targetE0EEEvT1_.num_named_barrier, 0
	.set _ZN7rocprim17ROCPRIM_400000_NS6detail17trampoline_kernelINS0_14default_configENS1_27scan_by_key_config_selectorIisEEZZNS1_16scan_by_key_implILNS1_25lookback_scan_determinismE0ELb0ES3_N6thrust23THRUST_200600_302600_NS6detail15normal_iteratorINS9_10device_ptrIiEEEENSB_INSC_IsEEEESG_sNS9_4plusIvEENS9_8equal_toIvEEsEE10hipError_tPvRmT2_T3_T4_T5_mT6_T7_P12ihipStream_tbENKUlT_T0_E_clISt17integral_constantIbLb0EES10_IbLb1EEEEDaSW_SX_EUlSW_E_NS1_11comp_targetILNS1_3genE0ELNS1_11target_archE4294967295ELNS1_3gpuE0ELNS1_3repE0EEENS1_30default_config_static_selectorELNS0_4arch9wavefront6targetE0EEEvT1_.private_seg_size, 0
	.set _ZN7rocprim17ROCPRIM_400000_NS6detail17trampoline_kernelINS0_14default_configENS1_27scan_by_key_config_selectorIisEEZZNS1_16scan_by_key_implILNS1_25lookback_scan_determinismE0ELb0ES3_N6thrust23THRUST_200600_302600_NS6detail15normal_iteratorINS9_10device_ptrIiEEEENSB_INSC_IsEEEESG_sNS9_4plusIvEENS9_8equal_toIvEEsEE10hipError_tPvRmT2_T3_T4_T5_mT6_T7_P12ihipStream_tbENKUlT_T0_E_clISt17integral_constantIbLb0EES10_IbLb1EEEEDaSW_SX_EUlSW_E_NS1_11comp_targetILNS1_3genE0ELNS1_11target_archE4294967295ELNS1_3gpuE0ELNS1_3repE0EEENS1_30default_config_static_selectorELNS0_4arch9wavefront6targetE0EEEvT1_.uses_vcc, 0
	.set _ZN7rocprim17ROCPRIM_400000_NS6detail17trampoline_kernelINS0_14default_configENS1_27scan_by_key_config_selectorIisEEZZNS1_16scan_by_key_implILNS1_25lookback_scan_determinismE0ELb0ES3_N6thrust23THRUST_200600_302600_NS6detail15normal_iteratorINS9_10device_ptrIiEEEENSB_INSC_IsEEEESG_sNS9_4plusIvEENS9_8equal_toIvEEsEE10hipError_tPvRmT2_T3_T4_T5_mT6_T7_P12ihipStream_tbENKUlT_T0_E_clISt17integral_constantIbLb0EES10_IbLb1EEEEDaSW_SX_EUlSW_E_NS1_11comp_targetILNS1_3genE0ELNS1_11target_archE4294967295ELNS1_3gpuE0ELNS1_3repE0EEENS1_30default_config_static_selectorELNS0_4arch9wavefront6targetE0EEEvT1_.uses_flat_scratch, 0
	.set _ZN7rocprim17ROCPRIM_400000_NS6detail17trampoline_kernelINS0_14default_configENS1_27scan_by_key_config_selectorIisEEZZNS1_16scan_by_key_implILNS1_25lookback_scan_determinismE0ELb0ES3_N6thrust23THRUST_200600_302600_NS6detail15normal_iteratorINS9_10device_ptrIiEEEENSB_INSC_IsEEEESG_sNS9_4plusIvEENS9_8equal_toIvEEsEE10hipError_tPvRmT2_T3_T4_T5_mT6_T7_P12ihipStream_tbENKUlT_T0_E_clISt17integral_constantIbLb0EES10_IbLb1EEEEDaSW_SX_EUlSW_E_NS1_11comp_targetILNS1_3genE0ELNS1_11target_archE4294967295ELNS1_3gpuE0ELNS1_3repE0EEENS1_30default_config_static_selectorELNS0_4arch9wavefront6targetE0EEEvT1_.has_dyn_sized_stack, 0
	.set _ZN7rocprim17ROCPRIM_400000_NS6detail17trampoline_kernelINS0_14default_configENS1_27scan_by_key_config_selectorIisEEZZNS1_16scan_by_key_implILNS1_25lookback_scan_determinismE0ELb0ES3_N6thrust23THRUST_200600_302600_NS6detail15normal_iteratorINS9_10device_ptrIiEEEENSB_INSC_IsEEEESG_sNS9_4plusIvEENS9_8equal_toIvEEsEE10hipError_tPvRmT2_T3_T4_T5_mT6_T7_P12ihipStream_tbENKUlT_T0_E_clISt17integral_constantIbLb0EES10_IbLb1EEEEDaSW_SX_EUlSW_E_NS1_11comp_targetILNS1_3genE0ELNS1_11target_archE4294967295ELNS1_3gpuE0ELNS1_3repE0EEENS1_30default_config_static_selectorELNS0_4arch9wavefront6targetE0EEEvT1_.has_recursion, 0
	.set _ZN7rocprim17ROCPRIM_400000_NS6detail17trampoline_kernelINS0_14default_configENS1_27scan_by_key_config_selectorIisEEZZNS1_16scan_by_key_implILNS1_25lookback_scan_determinismE0ELb0ES3_N6thrust23THRUST_200600_302600_NS6detail15normal_iteratorINS9_10device_ptrIiEEEENSB_INSC_IsEEEESG_sNS9_4plusIvEENS9_8equal_toIvEEsEE10hipError_tPvRmT2_T3_T4_T5_mT6_T7_P12ihipStream_tbENKUlT_T0_E_clISt17integral_constantIbLb0EES10_IbLb1EEEEDaSW_SX_EUlSW_E_NS1_11comp_targetILNS1_3genE0ELNS1_11target_archE4294967295ELNS1_3gpuE0ELNS1_3repE0EEENS1_30default_config_static_selectorELNS0_4arch9wavefront6targetE0EEEvT1_.has_indirect_call, 0
	.section	.AMDGPU.csdata,"",@progbits
; Kernel info:
; codeLenInByte = 0
; TotalNumSgprs: 0
; NumVgprs: 0
; ScratchSize: 0
; MemoryBound: 0
; FloatMode: 240
; IeeeMode: 1
; LDSByteSize: 0 bytes/workgroup (compile time only)
; SGPRBlocks: 0
; VGPRBlocks: 0
; NumSGPRsForWavesPerEU: 1
; NumVGPRsForWavesPerEU: 1
; Occupancy: 16
; WaveLimiterHint : 0
; COMPUTE_PGM_RSRC2:SCRATCH_EN: 0
; COMPUTE_PGM_RSRC2:USER_SGPR: 6
; COMPUTE_PGM_RSRC2:TRAP_HANDLER: 0
; COMPUTE_PGM_RSRC2:TGID_X_EN: 1
; COMPUTE_PGM_RSRC2:TGID_Y_EN: 0
; COMPUTE_PGM_RSRC2:TGID_Z_EN: 0
; COMPUTE_PGM_RSRC2:TIDIG_COMP_CNT: 0
	.section	.text._ZN7rocprim17ROCPRIM_400000_NS6detail17trampoline_kernelINS0_14default_configENS1_27scan_by_key_config_selectorIisEEZZNS1_16scan_by_key_implILNS1_25lookback_scan_determinismE0ELb0ES3_N6thrust23THRUST_200600_302600_NS6detail15normal_iteratorINS9_10device_ptrIiEEEENSB_INSC_IsEEEESG_sNS9_4plusIvEENS9_8equal_toIvEEsEE10hipError_tPvRmT2_T3_T4_T5_mT6_T7_P12ihipStream_tbENKUlT_T0_E_clISt17integral_constantIbLb0EES10_IbLb1EEEEDaSW_SX_EUlSW_E_NS1_11comp_targetILNS1_3genE10ELNS1_11target_archE1201ELNS1_3gpuE5ELNS1_3repE0EEENS1_30default_config_static_selectorELNS0_4arch9wavefront6targetE0EEEvT1_,"axG",@progbits,_ZN7rocprim17ROCPRIM_400000_NS6detail17trampoline_kernelINS0_14default_configENS1_27scan_by_key_config_selectorIisEEZZNS1_16scan_by_key_implILNS1_25lookback_scan_determinismE0ELb0ES3_N6thrust23THRUST_200600_302600_NS6detail15normal_iteratorINS9_10device_ptrIiEEEENSB_INSC_IsEEEESG_sNS9_4plusIvEENS9_8equal_toIvEEsEE10hipError_tPvRmT2_T3_T4_T5_mT6_T7_P12ihipStream_tbENKUlT_T0_E_clISt17integral_constantIbLb0EES10_IbLb1EEEEDaSW_SX_EUlSW_E_NS1_11comp_targetILNS1_3genE10ELNS1_11target_archE1201ELNS1_3gpuE5ELNS1_3repE0EEENS1_30default_config_static_selectorELNS0_4arch9wavefront6targetE0EEEvT1_,comdat
	.protected	_ZN7rocprim17ROCPRIM_400000_NS6detail17trampoline_kernelINS0_14default_configENS1_27scan_by_key_config_selectorIisEEZZNS1_16scan_by_key_implILNS1_25lookback_scan_determinismE0ELb0ES3_N6thrust23THRUST_200600_302600_NS6detail15normal_iteratorINS9_10device_ptrIiEEEENSB_INSC_IsEEEESG_sNS9_4plusIvEENS9_8equal_toIvEEsEE10hipError_tPvRmT2_T3_T4_T5_mT6_T7_P12ihipStream_tbENKUlT_T0_E_clISt17integral_constantIbLb0EES10_IbLb1EEEEDaSW_SX_EUlSW_E_NS1_11comp_targetILNS1_3genE10ELNS1_11target_archE1201ELNS1_3gpuE5ELNS1_3repE0EEENS1_30default_config_static_selectorELNS0_4arch9wavefront6targetE0EEEvT1_ ; -- Begin function _ZN7rocprim17ROCPRIM_400000_NS6detail17trampoline_kernelINS0_14default_configENS1_27scan_by_key_config_selectorIisEEZZNS1_16scan_by_key_implILNS1_25lookback_scan_determinismE0ELb0ES3_N6thrust23THRUST_200600_302600_NS6detail15normal_iteratorINS9_10device_ptrIiEEEENSB_INSC_IsEEEESG_sNS9_4plusIvEENS9_8equal_toIvEEsEE10hipError_tPvRmT2_T3_T4_T5_mT6_T7_P12ihipStream_tbENKUlT_T0_E_clISt17integral_constantIbLb0EES10_IbLb1EEEEDaSW_SX_EUlSW_E_NS1_11comp_targetILNS1_3genE10ELNS1_11target_archE1201ELNS1_3gpuE5ELNS1_3repE0EEENS1_30default_config_static_selectorELNS0_4arch9wavefront6targetE0EEEvT1_
	.globl	_ZN7rocprim17ROCPRIM_400000_NS6detail17trampoline_kernelINS0_14default_configENS1_27scan_by_key_config_selectorIisEEZZNS1_16scan_by_key_implILNS1_25lookback_scan_determinismE0ELb0ES3_N6thrust23THRUST_200600_302600_NS6detail15normal_iteratorINS9_10device_ptrIiEEEENSB_INSC_IsEEEESG_sNS9_4plusIvEENS9_8equal_toIvEEsEE10hipError_tPvRmT2_T3_T4_T5_mT6_T7_P12ihipStream_tbENKUlT_T0_E_clISt17integral_constantIbLb0EES10_IbLb1EEEEDaSW_SX_EUlSW_E_NS1_11comp_targetILNS1_3genE10ELNS1_11target_archE1201ELNS1_3gpuE5ELNS1_3repE0EEENS1_30default_config_static_selectorELNS0_4arch9wavefront6targetE0EEEvT1_
	.p2align	8
	.type	_ZN7rocprim17ROCPRIM_400000_NS6detail17trampoline_kernelINS0_14default_configENS1_27scan_by_key_config_selectorIisEEZZNS1_16scan_by_key_implILNS1_25lookback_scan_determinismE0ELb0ES3_N6thrust23THRUST_200600_302600_NS6detail15normal_iteratorINS9_10device_ptrIiEEEENSB_INSC_IsEEEESG_sNS9_4plusIvEENS9_8equal_toIvEEsEE10hipError_tPvRmT2_T3_T4_T5_mT6_T7_P12ihipStream_tbENKUlT_T0_E_clISt17integral_constantIbLb0EES10_IbLb1EEEEDaSW_SX_EUlSW_E_NS1_11comp_targetILNS1_3genE10ELNS1_11target_archE1201ELNS1_3gpuE5ELNS1_3repE0EEENS1_30default_config_static_selectorELNS0_4arch9wavefront6targetE0EEEvT1_,@function
_ZN7rocprim17ROCPRIM_400000_NS6detail17trampoline_kernelINS0_14default_configENS1_27scan_by_key_config_selectorIisEEZZNS1_16scan_by_key_implILNS1_25lookback_scan_determinismE0ELb0ES3_N6thrust23THRUST_200600_302600_NS6detail15normal_iteratorINS9_10device_ptrIiEEEENSB_INSC_IsEEEESG_sNS9_4plusIvEENS9_8equal_toIvEEsEE10hipError_tPvRmT2_T3_T4_T5_mT6_T7_P12ihipStream_tbENKUlT_T0_E_clISt17integral_constantIbLb0EES10_IbLb1EEEEDaSW_SX_EUlSW_E_NS1_11comp_targetILNS1_3genE10ELNS1_11target_archE1201ELNS1_3gpuE5ELNS1_3repE0EEENS1_30default_config_static_selectorELNS0_4arch9wavefront6targetE0EEEvT1_: ; @_ZN7rocprim17ROCPRIM_400000_NS6detail17trampoline_kernelINS0_14default_configENS1_27scan_by_key_config_selectorIisEEZZNS1_16scan_by_key_implILNS1_25lookback_scan_determinismE0ELb0ES3_N6thrust23THRUST_200600_302600_NS6detail15normal_iteratorINS9_10device_ptrIiEEEENSB_INSC_IsEEEESG_sNS9_4plusIvEENS9_8equal_toIvEEsEE10hipError_tPvRmT2_T3_T4_T5_mT6_T7_P12ihipStream_tbENKUlT_T0_E_clISt17integral_constantIbLb0EES10_IbLb1EEEEDaSW_SX_EUlSW_E_NS1_11comp_targetILNS1_3genE10ELNS1_11target_archE1201ELNS1_3gpuE5ELNS1_3repE0EEENS1_30default_config_static_selectorELNS0_4arch9wavefront6targetE0EEEvT1_
; %bb.0:
	.section	.rodata,"a",@progbits
	.p2align	6, 0x0
	.amdhsa_kernel _ZN7rocprim17ROCPRIM_400000_NS6detail17trampoline_kernelINS0_14default_configENS1_27scan_by_key_config_selectorIisEEZZNS1_16scan_by_key_implILNS1_25lookback_scan_determinismE0ELb0ES3_N6thrust23THRUST_200600_302600_NS6detail15normal_iteratorINS9_10device_ptrIiEEEENSB_INSC_IsEEEESG_sNS9_4plusIvEENS9_8equal_toIvEEsEE10hipError_tPvRmT2_T3_T4_T5_mT6_T7_P12ihipStream_tbENKUlT_T0_E_clISt17integral_constantIbLb0EES10_IbLb1EEEEDaSW_SX_EUlSW_E_NS1_11comp_targetILNS1_3genE10ELNS1_11target_archE1201ELNS1_3gpuE5ELNS1_3repE0EEENS1_30default_config_static_selectorELNS0_4arch9wavefront6targetE0EEEvT1_
		.amdhsa_group_segment_fixed_size 0
		.amdhsa_private_segment_fixed_size 0
		.amdhsa_kernarg_size 112
		.amdhsa_user_sgpr_count 6
		.amdhsa_user_sgpr_private_segment_buffer 1
		.amdhsa_user_sgpr_dispatch_ptr 0
		.amdhsa_user_sgpr_queue_ptr 0
		.amdhsa_user_sgpr_kernarg_segment_ptr 1
		.amdhsa_user_sgpr_dispatch_id 0
		.amdhsa_user_sgpr_flat_scratch_init 0
		.amdhsa_user_sgpr_private_segment_size 0
		.amdhsa_wavefront_size32 1
		.amdhsa_uses_dynamic_stack 0
		.amdhsa_system_sgpr_private_segment_wavefront_offset 0
		.amdhsa_system_sgpr_workgroup_id_x 1
		.amdhsa_system_sgpr_workgroup_id_y 0
		.amdhsa_system_sgpr_workgroup_id_z 0
		.amdhsa_system_sgpr_workgroup_info 0
		.amdhsa_system_vgpr_workitem_id 0
		.amdhsa_next_free_vgpr 1
		.amdhsa_next_free_sgpr 1
		.amdhsa_reserve_vcc 0
		.amdhsa_reserve_flat_scratch 0
		.amdhsa_float_round_mode_32 0
		.amdhsa_float_round_mode_16_64 0
		.amdhsa_float_denorm_mode_32 3
		.amdhsa_float_denorm_mode_16_64 3
		.amdhsa_dx10_clamp 1
		.amdhsa_ieee_mode 1
		.amdhsa_fp16_overflow 0
		.amdhsa_workgroup_processor_mode 1
		.amdhsa_memory_ordered 1
		.amdhsa_forward_progress 1
		.amdhsa_shared_vgpr_count 0
		.amdhsa_exception_fp_ieee_invalid_op 0
		.amdhsa_exception_fp_denorm_src 0
		.amdhsa_exception_fp_ieee_div_zero 0
		.amdhsa_exception_fp_ieee_overflow 0
		.amdhsa_exception_fp_ieee_underflow 0
		.amdhsa_exception_fp_ieee_inexact 0
		.amdhsa_exception_int_div_zero 0
	.end_amdhsa_kernel
	.section	.text._ZN7rocprim17ROCPRIM_400000_NS6detail17trampoline_kernelINS0_14default_configENS1_27scan_by_key_config_selectorIisEEZZNS1_16scan_by_key_implILNS1_25lookback_scan_determinismE0ELb0ES3_N6thrust23THRUST_200600_302600_NS6detail15normal_iteratorINS9_10device_ptrIiEEEENSB_INSC_IsEEEESG_sNS9_4plusIvEENS9_8equal_toIvEEsEE10hipError_tPvRmT2_T3_T4_T5_mT6_T7_P12ihipStream_tbENKUlT_T0_E_clISt17integral_constantIbLb0EES10_IbLb1EEEEDaSW_SX_EUlSW_E_NS1_11comp_targetILNS1_3genE10ELNS1_11target_archE1201ELNS1_3gpuE5ELNS1_3repE0EEENS1_30default_config_static_selectorELNS0_4arch9wavefront6targetE0EEEvT1_,"axG",@progbits,_ZN7rocprim17ROCPRIM_400000_NS6detail17trampoline_kernelINS0_14default_configENS1_27scan_by_key_config_selectorIisEEZZNS1_16scan_by_key_implILNS1_25lookback_scan_determinismE0ELb0ES3_N6thrust23THRUST_200600_302600_NS6detail15normal_iteratorINS9_10device_ptrIiEEEENSB_INSC_IsEEEESG_sNS9_4plusIvEENS9_8equal_toIvEEsEE10hipError_tPvRmT2_T3_T4_T5_mT6_T7_P12ihipStream_tbENKUlT_T0_E_clISt17integral_constantIbLb0EES10_IbLb1EEEEDaSW_SX_EUlSW_E_NS1_11comp_targetILNS1_3genE10ELNS1_11target_archE1201ELNS1_3gpuE5ELNS1_3repE0EEENS1_30default_config_static_selectorELNS0_4arch9wavefront6targetE0EEEvT1_,comdat
.Lfunc_end1383:
	.size	_ZN7rocprim17ROCPRIM_400000_NS6detail17trampoline_kernelINS0_14default_configENS1_27scan_by_key_config_selectorIisEEZZNS1_16scan_by_key_implILNS1_25lookback_scan_determinismE0ELb0ES3_N6thrust23THRUST_200600_302600_NS6detail15normal_iteratorINS9_10device_ptrIiEEEENSB_INSC_IsEEEESG_sNS9_4plusIvEENS9_8equal_toIvEEsEE10hipError_tPvRmT2_T3_T4_T5_mT6_T7_P12ihipStream_tbENKUlT_T0_E_clISt17integral_constantIbLb0EES10_IbLb1EEEEDaSW_SX_EUlSW_E_NS1_11comp_targetILNS1_3genE10ELNS1_11target_archE1201ELNS1_3gpuE5ELNS1_3repE0EEENS1_30default_config_static_selectorELNS0_4arch9wavefront6targetE0EEEvT1_, .Lfunc_end1383-_ZN7rocprim17ROCPRIM_400000_NS6detail17trampoline_kernelINS0_14default_configENS1_27scan_by_key_config_selectorIisEEZZNS1_16scan_by_key_implILNS1_25lookback_scan_determinismE0ELb0ES3_N6thrust23THRUST_200600_302600_NS6detail15normal_iteratorINS9_10device_ptrIiEEEENSB_INSC_IsEEEESG_sNS9_4plusIvEENS9_8equal_toIvEEsEE10hipError_tPvRmT2_T3_T4_T5_mT6_T7_P12ihipStream_tbENKUlT_T0_E_clISt17integral_constantIbLb0EES10_IbLb1EEEEDaSW_SX_EUlSW_E_NS1_11comp_targetILNS1_3genE10ELNS1_11target_archE1201ELNS1_3gpuE5ELNS1_3repE0EEENS1_30default_config_static_selectorELNS0_4arch9wavefront6targetE0EEEvT1_
                                        ; -- End function
	.set _ZN7rocprim17ROCPRIM_400000_NS6detail17trampoline_kernelINS0_14default_configENS1_27scan_by_key_config_selectorIisEEZZNS1_16scan_by_key_implILNS1_25lookback_scan_determinismE0ELb0ES3_N6thrust23THRUST_200600_302600_NS6detail15normal_iteratorINS9_10device_ptrIiEEEENSB_INSC_IsEEEESG_sNS9_4plusIvEENS9_8equal_toIvEEsEE10hipError_tPvRmT2_T3_T4_T5_mT6_T7_P12ihipStream_tbENKUlT_T0_E_clISt17integral_constantIbLb0EES10_IbLb1EEEEDaSW_SX_EUlSW_E_NS1_11comp_targetILNS1_3genE10ELNS1_11target_archE1201ELNS1_3gpuE5ELNS1_3repE0EEENS1_30default_config_static_selectorELNS0_4arch9wavefront6targetE0EEEvT1_.num_vgpr, 0
	.set _ZN7rocprim17ROCPRIM_400000_NS6detail17trampoline_kernelINS0_14default_configENS1_27scan_by_key_config_selectorIisEEZZNS1_16scan_by_key_implILNS1_25lookback_scan_determinismE0ELb0ES3_N6thrust23THRUST_200600_302600_NS6detail15normal_iteratorINS9_10device_ptrIiEEEENSB_INSC_IsEEEESG_sNS9_4plusIvEENS9_8equal_toIvEEsEE10hipError_tPvRmT2_T3_T4_T5_mT6_T7_P12ihipStream_tbENKUlT_T0_E_clISt17integral_constantIbLb0EES10_IbLb1EEEEDaSW_SX_EUlSW_E_NS1_11comp_targetILNS1_3genE10ELNS1_11target_archE1201ELNS1_3gpuE5ELNS1_3repE0EEENS1_30default_config_static_selectorELNS0_4arch9wavefront6targetE0EEEvT1_.num_agpr, 0
	.set _ZN7rocprim17ROCPRIM_400000_NS6detail17trampoline_kernelINS0_14default_configENS1_27scan_by_key_config_selectorIisEEZZNS1_16scan_by_key_implILNS1_25lookback_scan_determinismE0ELb0ES3_N6thrust23THRUST_200600_302600_NS6detail15normal_iteratorINS9_10device_ptrIiEEEENSB_INSC_IsEEEESG_sNS9_4plusIvEENS9_8equal_toIvEEsEE10hipError_tPvRmT2_T3_T4_T5_mT6_T7_P12ihipStream_tbENKUlT_T0_E_clISt17integral_constantIbLb0EES10_IbLb1EEEEDaSW_SX_EUlSW_E_NS1_11comp_targetILNS1_3genE10ELNS1_11target_archE1201ELNS1_3gpuE5ELNS1_3repE0EEENS1_30default_config_static_selectorELNS0_4arch9wavefront6targetE0EEEvT1_.numbered_sgpr, 0
	.set _ZN7rocprim17ROCPRIM_400000_NS6detail17trampoline_kernelINS0_14default_configENS1_27scan_by_key_config_selectorIisEEZZNS1_16scan_by_key_implILNS1_25lookback_scan_determinismE0ELb0ES3_N6thrust23THRUST_200600_302600_NS6detail15normal_iteratorINS9_10device_ptrIiEEEENSB_INSC_IsEEEESG_sNS9_4plusIvEENS9_8equal_toIvEEsEE10hipError_tPvRmT2_T3_T4_T5_mT6_T7_P12ihipStream_tbENKUlT_T0_E_clISt17integral_constantIbLb0EES10_IbLb1EEEEDaSW_SX_EUlSW_E_NS1_11comp_targetILNS1_3genE10ELNS1_11target_archE1201ELNS1_3gpuE5ELNS1_3repE0EEENS1_30default_config_static_selectorELNS0_4arch9wavefront6targetE0EEEvT1_.num_named_barrier, 0
	.set _ZN7rocprim17ROCPRIM_400000_NS6detail17trampoline_kernelINS0_14default_configENS1_27scan_by_key_config_selectorIisEEZZNS1_16scan_by_key_implILNS1_25lookback_scan_determinismE0ELb0ES3_N6thrust23THRUST_200600_302600_NS6detail15normal_iteratorINS9_10device_ptrIiEEEENSB_INSC_IsEEEESG_sNS9_4plusIvEENS9_8equal_toIvEEsEE10hipError_tPvRmT2_T3_T4_T5_mT6_T7_P12ihipStream_tbENKUlT_T0_E_clISt17integral_constantIbLb0EES10_IbLb1EEEEDaSW_SX_EUlSW_E_NS1_11comp_targetILNS1_3genE10ELNS1_11target_archE1201ELNS1_3gpuE5ELNS1_3repE0EEENS1_30default_config_static_selectorELNS0_4arch9wavefront6targetE0EEEvT1_.private_seg_size, 0
	.set _ZN7rocprim17ROCPRIM_400000_NS6detail17trampoline_kernelINS0_14default_configENS1_27scan_by_key_config_selectorIisEEZZNS1_16scan_by_key_implILNS1_25lookback_scan_determinismE0ELb0ES3_N6thrust23THRUST_200600_302600_NS6detail15normal_iteratorINS9_10device_ptrIiEEEENSB_INSC_IsEEEESG_sNS9_4plusIvEENS9_8equal_toIvEEsEE10hipError_tPvRmT2_T3_T4_T5_mT6_T7_P12ihipStream_tbENKUlT_T0_E_clISt17integral_constantIbLb0EES10_IbLb1EEEEDaSW_SX_EUlSW_E_NS1_11comp_targetILNS1_3genE10ELNS1_11target_archE1201ELNS1_3gpuE5ELNS1_3repE0EEENS1_30default_config_static_selectorELNS0_4arch9wavefront6targetE0EEEvT1_.uses_vcc, 0
	.set _ZN7rocprim17ROCPRIM_400000_NS6detail17trampoline_kernelINS0_14default_configENS1_27scan_by_key_config_selectorIisEEZZNS1_16scan_by_key_implILNS1_25lookback_scan_determinismE0ELb0ES3_N6thrust23THRUST_200600_302600_NS6detail15normal_iteratorINS9_10device_ptrIiEEEENSB_INSC_IsEEEESG_sNS9_4plusIvEENS9_8equal_toIvEEsEE10hipError_tPvRmT2_T3_T4_T5_mT6_T7_P12ihipStream_tbENKUlT_T0_E_clISt17integral_constantIbLb0EES10_IbLb1EEEEDaSW_SX_EUlSW_E_NS1_11comp_targetILNS1_3genE10ELNS1_11target_archE1201ELNS1_3gpuE5ELNS1_3repE0EEENS1_30default_config_static_selectorELNS0_4arch9wavefront6targetE0EEEvT1_.uses_flat_scratch, 0
	.set _ZN7rocprim17ROCPRIM_400000_NS6detail17trampoline_kernelINS0_14default_configENS1_27scan_by_key_config_selectorIisEEZZNS1_16scan_by_key_implILNS1_25lookback_scan_determinismE0ELb0ES3_N6thrust23THRUST_200600_302600_NS6detail15normal_iteratorINS9_10device_ptrIiEEEENSB_INSC_IsEEEESG_sNS9_4plusIvEENS9_8equal_toIvEEsEE10hipError_tPvRmT2_T3_T4_T5_mT6_T7_P12ihipStream_tbENKUlT_T0_E_clISt17integral_constantIbLb0EES10_IbLb1EEEEDaSW_SX_EUlSW_E_NS1_11comp_targetILNS1_3genE10ELNS1_11target_archE1201ELNS1_3gpuE5ELNS1_3repE0EEENS1_30default_config_static_selectorELNS0_4arch9wavefront6targetE0EEEvT1_.has_dyn_sized_stack, 0
	.set _ZN7rocprim17ROCPRIM_400000_NS6detail17trampoline_kernelINS0_14default_configENS1_27scan_by_key_config_selectorIisEEZZNS1_16scan_by_key_implILNS1_25lookback_scan_determinismE0ELb0ES3_N6thrust23THRUST_200600_302600_NS6detail15normal_iteratorINS9_10device_ptrIiEEEENSB_INSC_IsEEEESG_sNS9_4plusIvEENS9_8equal_toIvEEsEE10hipError_tPvRmT2_T3_T4_T5_mT6_T7_P12ihipStream_tbENKUlT_T0_E_clISt17integral_constantIbLb0EES10_IbLb1EEEEDaSW_SX_EUlSW_E_NS1_11comp_targetILNS1_3genE10ELNS1_11target_archE1201ELNS1_3gpuE5ELNS1_3repE0EEENS1_30default_config_static_selectorELNS0_4arch9wavefront6targetE0EEEvT1_.has_recursion, 0
	.set _ZN7rocprim17ROCPRIM_400000_NS6detail17trampoline_kernelINS0_14default_configENS1_27scan_by_key_config_selectorIisEEZZNS1_16scan_by_key_implILNS1_25lookback_scan_determinismE0ELb0ES3_N6thrust23THRUST_200600_302600_NS6detail15normal_iteratorINS9_10device_ptrIiEEEENSB_INSC_IsEEEESG_sNS9_4plusIvEENS9_8equal_toIvEEsEE10hipError_tPvRmT2_T3_T4_T5_mT6_T7_P12ihipStream_tbENKUlT_T0_E_clISt17integral_constantIbLb0EES10_IbLb1EEEEDaSW_SX_EUlSW_E_NS1_11comp_targetILNS1_3genE10ELNS1_11target_archE1201ELNS1_3gpuE5ELNS1_3repE0EEENS1_30default_config_static_selectorELNS0_4arch9wavefront6targetE0EEEvT1_.has_indirect_call, 0
	.section	.AMDGPU.csdata,"",@progbits
; Kernel info:
; codeLenInByte = 0
; TotalNumSgprs: 0
; NumVgprs: 0
; ScratchSize: 0
; MemoryBound: 0
; FloatMode: 240
; IeeeMode: 1
; LDSByteSize: 0 bytes/workgroup (compile time only)
; SGPRBlocks: 0
; VGPRBlocks: 0
; NumSGPRsForWavesPerEU: 1
; NumVGPRsForWavesPerEU: 1
; Occupancy: 16
; WaveLimiterHint : 0
; COMPUTE_PGM_RSRC2:SCRATCH_EN: 0
; COMPUTE_PGM_RSRC2:USER_SGPR: 6
; COMPUTE_PGM_RSRC2:TRAP_HANDLER: 0
; COMPUTE_PGM_RSRC2:TGID_X_EN: 1
; COMPUTE_PGM_RSRC2:TGID_Y_EN: 0
; COMPUTE_PGM_RSRC2:TGID_Z_EN: 0
; COMPUTE_PGM_RSRC2:TIDIG_COMP_CNT: 0
	.section	.text._ZN7rocprim17ROCPRIM_400000_NS6detail17trampoline_kernelINS0_14default_configENS1_27scan_by_key_config_selectorIisEEZZNS1_16scan_by_key_implILNS1_25lookback_scan_determinismE0ELb0ES3_N6thrust23THRUST_200600_302600_NS6detail15normal_iteratorINS9_10device_ptrIiEEEENSB_INSC_IsEEEESG_sNS9_4plusIvEENS9_8equal_toIvEEsEE10hipError_tPvRmT2_T3_T4_T5_mT6_T7_P12ihipStream_tbENKUlT_T0_E_clISt17integral_constantIbLb0EES10_IbLb1EEEEDaSW_SX_EUlSW_E_NS1_11comp_targetILNS1_3genE5ELNS1_11target_archE942ELNS1_3gpuE9ELNS1_3repE0EEENS1_30default_config_static_selectorELNS0_4arch9wavefront6targetE0EEEvT1_,"axG",@progbits,_ZN7rocprim17ROCPRIM_400000_NS6detail17trampoline_kernelINS0_14default_configENS1_27scan_by_key_config_selectorIisEEZZNS1_16scan_by_key_implILNS1_25lookback_scan_determinismE0ELb0ES3_N6thrust23THRUST_200600_302600_NS6detail15normal_iteratorINS9_10device_ptrIiEEEENSB_INSC_IsEEEESG_sNS9_4plusIvEENS9_8equal_toIvEEsEE10hipError_tPvRmT2_T3_T4_T5_mT6_T7_P12ihipStream_tbENKUlT_T0_E_clISt17integral_constantIbLb0EES10_IbLb1EEEEDaSW_SX_EUlSW_E_NS1_11comp_targetILNS1_3genE5ELNS1_11target_archE942ELNS1_3gpuE9ELNS1_3repE0EEENS1_30default_config_static_selectorELNS0_4arch9wavefront6targetE0EEEvT1_,comdat
	.protected	_ZN7rocprim17ROCPRIM_400000_NS6detail17trampoline_kernelINS0_14default_configENS1_27scan_by_key_config_selectorIisEEZZNS1_16scan_by_key_implILNS1_25lookback_scan_determinismE0ELb0ES3_N6thrust23THRUST_200600_302600_NS6detail15normal_iteratorINS9_10device_ptrIiEEEENSB_INSC_IsEEEESG_sNS9_4plusIvEENS9_8equal_toIvEEsEE10hipError_tPvRmT2_T3_T4_T5_mT6_T7_P12ihipStream_tbENKUlT_T0_E_clISt17integral_constantIbLb0EES10_IbLb1EEEEDaSW_SX_EUlSW_E_NS1_11comp_targetILNS1_3genE5ELNS1_11target_archE942ELNS1_3gpuE9ELNS1_3repE0EEENS1_30default_config_static_selectorELNS0_4arch9wavefront6targetE0EEEvT1_ ; -- Begin function _ZN7rocprim17ROCPRIM_400000_NS6detail17trampoline_kernelINS0_14default_configENS1_27scan_by_key_config_selectorIisEEZZNS1_16scan_by_key_implILNS1_25lookback_scan_determinismE0ELb0ES3_N6thrust23THRUST_200600_302600_NS6detail15normal_iteratorINS9_10device_ptrIiEEEENSB_INSC_IsEEEESG_sNS9_4plusIvEENS9_8equal_toIvEEsEE10hipError_tPvRmT2_T3_T4_T5_mT6_T7_P12ihipStream_tbENKUlT_T0_E_clISt17integral_constantIbLb0EES10_IbLb1EEEEDaSW_SX_EUlSW_E_NS1_11comp_targetILNS1_3genE5ELNS1_11target_archE942ELNS1_3gpuE9ELNS1_3repE0EEENS1_30default_config_static_selectorELNS0_4arch9wavefront6targetE0EEEvT1_
	.globl	_ZN7rocprim17ROCPRIM_400000_NS6detail17trampoline_kernelINS0_14default_configENS1_27scan_by_key_config_selectorIisEEZZNS1_16scan_by_key_implILNS1_25lookback_scan_determinismE0ELb0ES3_N6thrust23THRUST_200600_302600_NS6detail15normal_iteratorINS9_10device_ptrIiEEEENSB_INSC_IsEEEESG_sNS9_4plusIvEENS9_8equal_toIvEEsEE10hipError_tPvRmT2_T3_T4_T5_mT6_T7_P12ihipStream_tbENKUlT_T0_E_clISt17integral_constantIbLb0EES10_IbLb1EEEEDaSW_SX_EUlSW_E_NS1_11comp_targetILNS1_3genE5ELNS1_11target_archE942ELNS1_3gpuE9ELNS1_3repE0EEENS1_30default_config_static_selectorELNS0_4arch9wavefront6targetE0EEEvT1_
	.p2align	8
	.type	_ZN7rocprim17ROCPRIM_400000_NS6detail17trampoline_kernelINS0_14default_configENS1_27scan_by_key_config_selectorIisEEZZNS1_16scan_by_key_implILNS1_25lookback_scan_determinismE0ELb0ES3_N6thrust23THRUST_200600_302600_NS6detail15normal_iteratorINS9_10device_ptrIiEEEENSB_INSC_IsEEEESG_sNS9_4plusIvEENS9_8equal_toIvEEsEE10hipError_tPvRmT2_T3_T4_T5_mT6_T7_P12ihipStream_tbENKUlT_T0_E_clISt17integral_constantIbLb0EES10_IbLb1EEEEDaSW_SX_EUlSW_E_NS1_11comp_targetILNS1_3genE5ELNS1_11target_archE942ELNS1_3gpuE9ELNS1_3repE0EEENS1_30default_config_static_selectorELNS0_4arch9wavefront6targetE0EEEvT1_,@function
_ZN7rocprim17ROCPRIM_400000_NS6detail17trampoline_kernelINS0_14default_configENS1_27scan_by_key_config_selectorIisEEZZNS1_16scan_by_key_implILNS1_25lookback_scan_determinismE0ELb0ES3_N6thrust23THRUST_200600_302600_NS6detail15normal_iteratorINS9_10device_ptrIiEEEENSB_INSC_IsEEEESG_sNS9_4plusIvEENS9_8equal_toIvEEsEE10hipError_tPvRmT2_T3_T4_T5_mT6_T7_P12ihipStream_tbENKUlT_T0_E_clISt17integral_constantIbLb0EES10_IbLb1EEEEDaSW_SX_EUlSW_E_NS1_11comp_targetILNS1_3genE5ELNS1_11target_archE942ELNS1_3gpuE9ELNS1_3repE0EEENS1_30default_config_static_selectorELNS0_4arch9wavefront6targetE0EEEvT1_: ; @_ZN7rocprim17ROCPRIM_400000_NS6detail17trampoline_kernelINS0_14default_configENS1_27scan_by_key_config_selectorIisEEZZNS1_16scan_by_key_implILNS1_25lookback_scan_determinismE0ELb0ES3_N6thrust23THRUST_200600_302600_NS6detail15normal_iteratorINS9_10device_ptrIiEEEENSB_INSC_IsEEEESG_sNS9_4plusIvEENS9_8equal_toIvEEsEE10hipError_tPvRmT2_T3_T4_T5_mT6_T7_P12ihipStream_tbENKUlT_T0_E_clISt17integral_constantIbLb0EES10_IbLb1EEEEDaSW_SX_EUlSW_E_NS1_11comp_targetILNS1_3genE5ELNS1_11target_archE942ELNS1_3gpuE9ELNS1_3repE0EEENS1_30default_config_static_selectorELNS0_4arch9wavefront6targetE0EEEvT1_
; %bb.0:
	.section	.rodata,"a",@progbits
	.p2align	6, 0x0
	.amdhsa_kernel _ZN7rocprim17ROCPRIM_400000_NS6detail17trampoline_kernelINS0_14default_configENS1_27scan_by_key_config_selectorIisEEZZNS1_16scan_by_key_implILNS1_25lookback_scan_determinismE0ELb0ES3_N6thrust23THRUST_200600_302600_NS6detail15normal_iteratorINS9_10device_ptrIiEEEENSB_INSC_IsEEEESG_sNS9_4plusIvEENS9_8equal_toIvEEsEE10hipError_tPvRmT2_T3_T4_T5_mT6_T7_P12ihipStream_tbENKUlT_T0_E_clISt17integral_constantIbLb0EES10_IbLb1EEEEDaSW_SX_EUlSW_E_NS1_11comp_targetILNS1_3genE5ELNS1_11target_archE942ELNS1_3gpuE9ELNS1_3repE0EEENS1_30default_config_static_selectorELNS0_4arch9wavefront6targetE0EEEvT1_
		.amdhsa_group_segment_fixed_size 0
		.amdhsa_private_segment_fixed_size 0
		.amdhsa_kernarg_size 112
		.amdhsa_user_sgpr_count 6
		.amdhsa_user_sgpr_private_segment_buffer 1
		.amdhsa_user_sgpr_dispatch_ptr 0
		.amdhsa_user_sgpr_queue_ptr 0
		.amdhsa_user_sgpr_kernarg_segment_ptr 1
		.amdhsa_user_sgpr_dispatch_id 0
		.amdhsa_user_sgpr_flat_scratch_init 0
		.amdhsa_user_sgpr_private_segment_size 0
		.amdhsa_wavefront_size32 1
		.amdhsa_uses_dynamic_stack 0
		.amdhsa_system_sgpr_private_segment_wavefront_offset 0
		.amdhsa_system_sgpr_workgroup_id_x 1
		.amdhsa_system_sgpr_workgroup_id_y 0
		.amdhsa_system_sgpr_workgroup_id_z 0
		.amdhsa_system_sgpr_workgroup_info 0
		.amdhsa_system_vgpr_workitem_id 0
		.amdhsa_next_free_vgpr 1
		.amdhsa_next_free_sgpr 1
		.amdhsa_reserve_vcc 0
		.amdhsa_reserve_flat_scratch 0
		.amdhsa_float_round_mode_32 0
		.amdhsa_float_round_mode_16_64 0
		.amdhsa_float_denorm_mode_32 3
		.amdhsa_float_denorm_mode_16_64 3
		.amdhsa_dx10_clamp 1
		.amdhsa_ieee_mode 1
		.amdhsa_fp16_overflow 0
		.amdhsa_workgroup_processor_mode 1
		.amdhsa_memory_ordered 1
		.amdhsa_forward_progress 1
		.amdhsa_shared_vgpr_count 0
		.amdhsa_exception_fp_ieee_invalid_op 0
		.amdhsa_exception_fp_denorm_src 0
		.amdhsa_exception_fp_ieee_div_zero 0
		.amdhsa_exception_fp_ieee_overflow 0
		.amdhsa_exception_fp_ieee_underflow 0
		.amdhsa_exception_fp_ieee_inexact 0
		.amdhsa_exception_int_div_zero 0
	.end_amdhsa_kernel
	.section	.text._ZN7rocprim17ROCPRIM_400000_NS6detail17trampoline_kernelINS0_14default_configENS1_27scan_by_key_config_selectorIisEEZZNS1_16scan_by_key_implILNS1_25lookback_scan_determinismE0ELb0ES3_N6thrust23THRUST_200600_302600_NS6detail15normal_iteratorINS9_10device_ptrIiEEEENSB_INSC_IsEEEESG_sNS9_4plusIvEENS9_8equal_toIvEEsEE10hipError_tPvRmT2_T3_T4_T5_mT6_T7_P12ihipStream_tbENKUlT_T0_E_clISt17integral_constantIbLb0EES10_IbLb1EEEEDaSW_SX_EUlSW_E_NS1_11comp_targetILNS1_3genE5ELNS1_11target_archE942ELNS1_3gpuE9ELNS1_3repE0EEENS1_30default_config_static_selectorELNS0_4arch9wavefront6targetE0EEEvT1_,"axG",@progbits,_ZN7rocprim17ROCPRIM_400000_NS6detail17trampoline_kernelINS0_14default_configENS1_27scan_by_key_config_selectorIisEEZZNS1_16scan_by_key_implILNS1_25lookback_scan_determinismE0ELb0ES3_N6thrust23THRUST_200600_302600_NS6detail15normal_iteratorINS9_10device_ptrIiEEEENSB_INSC_IsEEEESG_sNS9_4plusIvEENS9_8equal_toIvEEsEE10hipError_tPvRmT2_T3_T4_T5_mT6_T7_P12ihipStream_tbENKUlT_T0_E_clISt17integral_constantIbLb0EES10_IbLb1EEEEDaSW_SX_EUlSW_E_NS1_11comp_targetILNS1_3genE5ELNS1_11target_archE942ELNS1_3gpuE9ELNS1_3repE0EEENS1_30default_config_static_selectorELNS0_4arch9wavefront6targetE0EEEvT1_,comdat
.Lfunc_end1384:
	.size	_ZN7rocprim17ROCPRIM_400000_NS6detail17trampoline_kernelINS0_14default_configENS1_27scan_by_key_config_selectorIisEEZZNS1_16scan_by_key_implILNS1_25lookback_scan_determinismE0ELb0ES3_N6thrust23THRUST_200600_302600_NS6detail15normal_iteratorINS9_10device_ptrIiEEEENSB_INSC_IsEEEESG_sNS9_4plusIvEENS9_8equal_toIvEEsEE10hipError_tPvRmT2_T3_T4_T5_mT6_T7_P12ihipStream_tbENKUlT_T0_E_clISt17integral_constantIbLb0EES10_IbLb1EEEEDaSW_SX_EUlSW_E_NS1_11comp_targetILNS1_3genE5ELNS1_11target_archE942ELNS1_3gpuE9ELNS1_3repE0EEENS1_30default_config_static_selectorELNS0_4arch9wavefront6targetE0EEEvT1_, .Lfunc_end1384-_ZN7rocprim17ROCPRIM_400000_NS6detail17trampoline_kernelINS0_14default_configENS1_27scan_by_key_config_selectorIisEEZZNS1_16scan_by_key_implILNS1_25lookback_scan_determinismE0ELb0ES3_N6thrust23THRUST_200600_302600_NS6detail15normal_iteratorINS9_10device_ptrIiEEEENSB_INSC_IsEEEESG_sNS9_4plusIvEENS9_8equal_toIvEEsEE10hipError_tPvRmT2_T3_T4_T5_mT6_T7_P12ihipStream_tbENKUlT_T0_E_clISt17integral_constantIbLb0EES10_IbLb1EEEEDaSW_SX_EUlSW_E_NS1_11comp_targetILNS1_3genE5ELNS1_11target_archE942ELNS1_3gpuE9ELNS1_3repE0EEENS1_30default_config_static_selectorELNS0_4arch9wavefront6targetE0EEEvT1_
                                        ; -- End function
	.set _ZN7rocprim17ROCPRIM_400000_NS6detail17trampoline_kernelINS0_14default_configENS1_27scan_by_key_config_selectorIisEEZZNS1_16scan_by_key_implILNS1_25lookback_scan_determinismE0ELb0ES3_N6thrust23THRUST_200600_302600_NS6detail15normal_iteratorINS9_10device_ptrIiEEEENSB_INSC_IsEEEESG_sNS9_4plusIvEENS9_8equal_toIvEEsEE10hipError_tPvRmT2_T3_T4_T5_mT6_T7_P12ihipStream_tbENKUlT_T0_E_clISt17integral_constantIbLb0EES10_IbLb1EEEEDaSW_SX_EUlSW_E_NS1_11comp_targetILNS1_3genE5ELNS1_11target_archE942ELNS1_3gpuE9ELNS1_3repE0EEENS1_30default_config_static_selectorELNS0_4arch9wavefront6targetE0EEEvT1_.num_vgpr, 0
	.set _ZN7rocprim17ROCPRIM_400000_NS6detail17trampoline_kernelINS0_14default_configENS1_27scan_by_key_config_selectorIisEEZZNS1_16scan_by_key_implILNS1_25lookback_scan_determinismE0ELb0ES3_N6thrust23THRUST_200600_302600_NS6detail15normal_iteratorINS9_10device_ptrIiEEEENSB_INSC_IsEEEESG_sNS9_4plusIvEENS9_8equal_toIvEEsEE10hipError_tPvRmT2_T3_T4_T5_mT6_T7_P12ihipStream_tbENKUlT_T0_E_clISt17integral_constantIbLb0EES10_IbLb1EEEEDaSW_SX_EUlSW_E_NS1_11comp_targetILNS1_3genE5ELNS1_11target_archE942ELNS1_3gpuE9ELNS1_3repE0EEENS1_30default_config_static_selectorELNS0_4arch9wavefront6targetE0EEEvT1_.num_agpr, 0
	.set _ZN7rocprim17ROCPRIM_400000_NS6detail17trampoline_kernelINS0_14default_configENS1_27scan_by_key_config_selectorIisEEZZNS1_16scan_by_key_implILNS1_25lookback_scan_determinismE0ELb0ES3_N6thrust23THRUST_200600_302600_NS6detail15normal_iteratorINS9_10device_ptrIiEEEENSB_INSC_IsEEEESG_sNS9_4plusIvEENS9_8equal_toIvEEsEE10hipError_tPvRmT2_T3_T4_T5_mT6_T7_P12ihipStream_tbENKUlT_T0_E_clISt17integral_constantIbLb0EES10_IbLb1EEEEDaSW_SX_EUlSW_E_NS1_11comp_targetILNS1_3genE5ELNS1_11target_archE942ELNS1_3gpuE9ELNS1_3repE0EEENS1_30default_config_static_selectorELNS0_4arch9wavefront6targetE0EEEvT1_.numbered_sgpr, 0
	.set _ZN7rocprim17ROCPRIM_400000_NS6detail17trampoline_kernelINS0_14default_configENS1_27scan_by_key_config_selectorIisEEZZNS1_16scan_by_key_implILNS1_25lookback_scan_determinismE0ELb0ES3_N6thrust23THRUST_200600_302600_NS6detail15normal_iteratorINS9_10device_ptrIiEEEENSB_INSC_IsEEEESG_sNS9_4plusIvEENS9_8equal_toIvEEsEE10hipError_tPvRmT2_T3_T4_T5_mT6_T7_P12ihipStream_tbENKUlT_T0_E_clISt17integral_constantIbLb0EES10_IbLb1EEEEDaSW_SX_EUlSW_E_NS1_11comp_targetILNS1_3genE5ELNS1_11target_archE942ELNS1_3gpuE9ELNS1_3repE0EEENS1_30default_config_static_selectorELNS0_4arch9wavefront6targetE0EEEvT1_.num_named_barrier, 0
	.set _ZN7rocprim17ROCPRIM_400000_NS6detail17trampoline_kernelINS0_14default_configENS1_27scan_by_key_config_selectorIisEEZZNS1_16scan_by_key_implILNS1_25lookback_scan_determinismE0ELb0ES3_N6thrust23THRUST_200600_302600_NS6detail15normal_iteratorINS9_10device_ptrIiEEEENSB_INSC_IsEEEESG_sNS9_4plusIvEENS9_8equal_toIvEEsEE10hipError_tPvRmT2_T3_T4_T5_mT6_T7_P12ihipStream_tbENKUlT_T0_E_clISt17integral_constantIbLb0EES10_IbLb1EEEEDaSW_SX_EUlSW_E_NS1_11comp_targetILNS1_3genE5ELNS1_11target_archE942ELNS1_3gpuE9ELNS1_3repE0EEENS1_30default_config_static_selectorELNS0_4arch9wavefront6targetE0EEEvT1_.private_seg_size, 0
	.set _ZN7rocprim17ROCPRIM_400000_NS6detail17trampoline_kernelINS0_14default_configENS1_27scan_by_key_config_selectorIisEEZZNS1_16scan_by_key_implILNS1_25lookback_scan_determinismE0ELb0ES3_N6thrust23THRUST_200600_302600_NS6detail15normal_iteratorINS9_10device_ptrIiEEEENSB_INSC_IsEEEESG_sNS9_4plusIvEENS9_8equal_toIvEEsEE10hipError_tPvRmT2_T3_T4_T5_mT6_T7_P12ihipStream_tbENKUlT_T0_E_clISt17integral_constantIbLb0EES10_IbLb1EEEEDaSW_SX_EUlSW_E_NS1_11comp_targetILNS1_3genE5ELNS1_11target_archE942ELNS1_3gpuE9ELNS1_3repE0EEENS1_30default_config_static_selectorELNS0_4arch9wavefront6targetE0EEEvT1_.uses_vcc, 0
	.set _ZN7rocprim17ROCPRIM_400000_NS6detail17trampoline_kernelINS0_14default_configENS1_27scan_by_key_config_selectorIisEEZZNS1_16scan_by_key_implILNS1_25lookback_scan_determinismE0ELb0ES3_N6thrust23THRUST_200600_302600_NS6detail15normal_iteratorINS9_10device_ptrIiEEEENSB_INSC_IsEEEESG_sNS9_4plusIvEENS9_8equal_toIvEEsEE10hipError_tPvRmT2_T3_T4_T5_mT6_T7_P12ihipStream_tbENKUlT_T0_E_clISt17integral_constantIbLb0EES10_IbLb1EEEEDaSW_SX_EUlSW_E_NS1_11comp_targetILNS1_3genE5ELNS1_11target_archE942ELNS1_3gpuE9ELNS1_3repE0EEENS1_30default_config_static_selectorELNS0_4arch9wavefront6targetE0EEEvT1_.uses_flat_scratch, 0
	.set _ZN7rocprim17ROCPRIM_400000_NS6detail17trampoline_kernelINS0_14default_configENS1_27scan_by_key_config_selectorIisEEZZNS1_16scan_by_key_implILNS1_25lookback_scan_determinismE0ELb0ES3_N6thrust23THRUST_200600_302600_NS6detail15normal_iteratorINS9_10device_ptrIiEEEENSB_INSC_IsEEEESG_sNS9_4plusIvEENS9_8equal_toIvEEsEE10hipError_tPvRmT2_T3_T4_T5_mT6_T7_P12ihipStream_tbENKUlT_T0_E_clISt17integral_constantIbLb0EES10_IbLb1EEEEDaSW_SX_EUlSW_E_NS1_11comp_targetILNS1_3genE5ELNS1_11target_archE942ELNS1_3gpuE9ELNS1_3repE0EEENS1_30default_config_static_selectorELNS0_4arch9wavefront6targetE0EEEvT1_.has_dyn_sized_stack, 0
	.set _ZN7rocprim17ROCPRIM_400000_NS6detail17trampoline_kernelINS0_14default_configENS1_27scan_by_key_config_selectorIisEEZZNS1_16scan_by_key_implILNS1_25lookback_scan_determinismE0ELb0ES3_N6thrust23THRUST_200600_302600_NS6detail15normal_iteratorINS9_10device_ptrIiEEEENSB_INSC_IsEEEESG_sNS9_4plusIvEENS9_8equal_toIvEEsEE10hipError_tPvRmT2_T3_T4_T5_mT6_T7_P12ihipStream_tbENKUlT_T0_E_clISt17integral_constantIbLb0EES10_IbLb1EEEEDaSW_SX_EUlSW_E_NS1_11comp_targetILNS1_3genE5ELNS1_11target_archE942ELNS1_3gpuE9ELNS1_3repE0EEENS1_30default_config_static_selectorELNS0_4arch9wavefront6targetE0EEEvT1_.has_recursion, 0
	.set _ZN7rocprim17ROCPRIM_400000_NS6detail17trampoline_kernelINS0_14default_configENS1_27scan_by_key_config_selectorIisEEZZNS1_16scan_by_key_implILNS1_25lookback_scan_determinismE0ELb0ES3_N6thrust23THRUST_200600_302600_NS6detail15normal_iteratorINS9_10device_ptrIiEEEENSB_INSC_IsEEEESG_sNS9_4plusIvEENS9_8equal_toIvEEsEE10hipError_tPvRmT2_T3_T4_T5_mT6_T7_P12ihipStream_tbENKUlT_T0_E_clISt17integral_constantIbLb0EES10_IbLb1EEEEDaSW_SX_EUlSW_E_NS1_11comp_targetILNS1_3genE5ELNS1_11target_archE942ELNS1_3gpuE9ELNS1_3repE0EEENS1_30default_config_static_selectorELNS0_4arch9wavefront6targetE0EEEvT1_.has_indirect_call, 0
	.section	.AMDGPU.csdata,"",@progbits
; Kernel info:
; codeLenInByte = 0
; TotalNumSgprs: 0
; NumVgprs: 0
; ScratchSize: 0
; MemoryBound: 0
; FloatMode: 240
; IeeeMode: 1
; LDSByteSize: 0 bytes/workgroup (compile time only)
; SGPRBlocks: 0
; VGPRBlocks: 0
; NumSGPRsForWavesPerEU: 1
; NumVGPRsForWavesPerEU: 1
; Occupancy: 16
; WaveLimiterHint : 0
; COMPUTE_PGM_RSRC2:SCRATCH_EN: 0
; COMPUTE_PGM_RSRC2:USER_SGPR: 6
; COMPUTE_PGM_RSRC2:TRAP_HANDLER: 0
; COMPUTE_PGM_RSRC2:TGID_X_EN: 1
; COMPUTE_PGM_RSRC2:TGID_Y_EN: 0
; COMPUTE_PGM_RSRC2:TGID_Z_EN: 0
; COMPUTE_PGM_RSRC2:TIDIG_COMP_CNT: 0
	.section	.text._ZN7rocprim17ROCPRIM_400000_NS6detail17trampoline_kernelINS0_14default_configENS1_27scan_by_key_config_selectorIisEEZZNS1_16scan_by_key_implILNS1_25lookback_scan_determinismE0ELb0ES3_N6thrust23THRUST_200600_302600_NS6detail15normal_iteratorINS9_10device_ptrIiEEEENSB_INSC_IsEEEESG_sNS9_4plusIvEENS9_8equal_toIvEEsEE10hipError_tPvRmT2_T3_T4_T5_mT6_T7_P12ihipStream_tbENKUlT_T0_E_clISt17integral_constantIbLb0EES10_IbLb1EEEEDaSW_SX_EUlSW_E_NS1_11comp_targetILNS1_3genE4ELNS1_11target_archE910ELNS1_3gpuE8ELNS1_3repE0EEENS1_30default_config_static_selectorELNS0_4arch9wavefront6targetE0EEEvT1_,"axG",@progbits,_ZN7rocprim17ROCPRIM_400000_NS6detail17trampoline_kernelINS0_14default_configENS1_27scan_by_key_config_selectorIisEEZZNS1_16scan_by_key_implILNS1_25lookback_scan_determinismE0ELb0ES3_N6thrust23THRUST_200600_302600_NS6detail15normal_iteratorINS9_10device_ptrIiEEEENSB_INSC_IsEEEESG_sNS9_4plusIvEENS9_8equal_toIvEEsEE10hipError_tPvRmT2_T3_T4_T5_mT6_T7_P12ihipStream_tbENKUlT_T0_E_clISt17integral_constantIbLb0EES10_IbLb1EEEEDaSW_SX_EUlSW_E_NS1_11comp_targetILNS1_3genE4ELNS1_11target_archE910ELNS1_3gpuE8ELNS1_3repE0EEENS1_30default_config_static_selectorELNS0_4arch9wavefront6targetE0EEEvT1_,comdat
	.protected	_ZN7rocprim17ROCPRIM_400000_NS6detail17trampoline_kernelINS0_14default_configENS1_27scan_by_key_config_selectorIisEEZZNS1_16scan_by_key_implILNS1_25lookback_scan_determinismE0ELb0ES3_N6thrust23THRUST_200600_302600_NS6detail15normal_iteratorINS9_10device_ptrIiEEEENSB_INSC_IsEEEESG_sNS9_4plusIvEENS9_8equal_toIvEEsEE10hipError_tPvRmT2_T3_T4_T5_mT6_T7_P12ihipStream_tbENKUlT_T0_E_clISt17integral_constantIbLb0EES10_IbLb1EEEEDaSW_SX_EUlSW_E_NS1_11comp_targetILNS1_3genE4ELNS1_11target_archE910ELNS1_3gpuE8ELNS1_3repE0EEENS1_30default_config_static_selectorELNS0_4arch9wavefront6targetE0EEEvT1_ ; -- Begin function _ZN7rocprim17ROCPRIM_400000_NS6detail17trampoline_kernelINS0_14default_configENS1_27scan_by_key_config_selectorIisEEZZNS1_16scan_by_key_implILNS1_25lookback_scan_determinismE0ELb0ES3_N6thrust23THRUST_200600_302600_NS6detail15normal_iteratorINS9_10device_ptrIiEEEENSB_INSC_IsEEEESG_sNS9_4plusIvEENS9_8equal_toIvEEsEE10hipError_tPvRmT2_T3_T4_T5_mT6_T7_P12ihipStream_tbENKUlT_T0_E_clISt17integral_constantIbLb0EES10_IbLb1EEEEDaSW_SX_EUlSW_E_NS1_11comp_targetILNS1_3genE4ELNS1_11target_archE910ELNS1_3gpuE8ELNS1_3repE0EEENS1_30default_config_static_selectorELNS0_4arch9wavefront6targetE0EEEvT1_
	.globl	_ZN7rocprim17ROCPRIM_400000_NS6detail17trampoline_kernelINS0_14default_configENS1_27scan_by_key_config_selectorIisEEZZNS1_16scan_by_key_implILNS1_25lookback_scan_determinismE0ELb0ES3_N6thrust23THRUST_200600_302600_NS6detail15normal_iteratorINS9_10device_ptrIiEEEENSB_INSC_IsEEEESG_sNS9_4plusIvEENS9_8equal_toIvEEsEE10hipError_tPvRmT2_T3_T4_T5_mT6_T7_P12ihipStream_tbENKUlT_T0_E_clISt17integral_constantIbLb0EES10_IbLb1EEEEDaSW_SX_EUlSW_E_NS1_11comp_targetILNS1_3genE4ELNS1_11target_archE910ELNS1_3gpuE8ELNS1_3repE0EEENS1_30default_config_static_selectorELNS0_4arch9wavefront6targetE0EEEvT1_
	.p2align	8
	.type	_ZN7rocprim17ROCPRIM_400000_NS6detail17trampoline_kernelINS0_14default_configENS1_27scan_by_key_config_selectorIisEEZZNS1_16scan_by_key_implILNS1_25lookback_scan_determinismE0ELb0ES3_N6thrust23THRUST_200600_302600_NS6detail15normal_iteratorINS9_10device_ptrIiEEEENSB_INSC_IsEEEESG_sNS9_4plusIvEENS9_8equal_toIvEEsEE10hipError_tPvRmT2_T3_T4_T5_mT6_T7_P12ihipStream_tbENKUlT_T0_E_clISt17integral_constantIbLb0EES10_IbLb1EEEEDaSW_SX_EUlSW_E_NS1_11comp_targetILNS1_3genE4ELNS1_11target_archE910ELNS1_3gpuE8ELNS1_3repE0EEENS1_30default_config_static_selectorELNS0_4arch9wavefront6targetE0EEEvT1_,@function
_ZN7rocprim17ROCPRIM_400000_NS6detail17trampoline_kernelINS0_14default_configENS1_27scan_by_key_config_selectorIisEEZZNS1_16scan_by_key_implILNS1_25lookback_scan_determinismE0ELb0ES3_N6thrust23THRUST_200600_302600_NS6detail15normal_iteratorINS9_10device_ptrIiEEEENSB_INSC_IsEEEESG_sNS9_4plusIvEENS9_8equal_toIvEEsEE10hipError_tPvRmT2_T3_T4_T5_mT6_T7_P12ihipStream_tbENKUlT_T0_E_clISt17integral_constantIbLb0EES10_IbLb1EEEEDaSW_SX_EUlSW_E_NS1_11comp_targetILNS1_3genE4ELNS1_11target_archE910ELNS1_3gpuE8ELNS1_3repE0EEENS1_30default_config_static_selectorELNS0_4arch9wavefront6targetE0EEEvT1_: ; @_ZN7rocprim17ROCPRIM_400000_NS6detail17trampoline_kernelINS0_14default_configENS1_27scan_by_key_config_selectorIisEEZZNS1_16scan_by_key_implILNS1_25lookback_scan_determinismE0ELb0ES3_N6thrust23THRUST_200600_302600_NS6detail15normal_iteratorINS9_10device_ptrIiEEEENSB_INSC_IsEEEESG_sNS9_4plusIvEENS9_8equal_toIvEEsEE10hipError_tPvRmT2_T3_T4_T5_mT6_T7_P12ihipStream_tbENKUlT_T0_E_clISt17integral_constantIbLb0EES10_IbLb1EEEEDaSW_SX_EUlSW_E_NS1_11comp_targetILNS1_3genE4ELNS1_11target_archE910ELNS1_3gpuE8ELNS1_3repE0EEENS1_30default_config_static_selectorELNS0_4arch9wavefront6targetE0EEEvT1_
; %bb.0:
	.section	.rodata,"a",@progbits
	.p2align	6, 0x0
	.amdhsa_kernel _ZN7rocprim17ROCPRIM_400000_NS6detail17trampoline_kernelINS0_14default_configENS1_27scan_by_key_config_selectorIisEEZZNS1_16scan_by_key_implILNS1_25lookback_scan_determinismE0ELb0ES3_N6thrust23THRUST_200600_302600_NS6detail15normal_iteratorINS9_10device_ptrIiEEEENSB_INSC_IsEEEESG_sNS9_4plusIvEENS9_8equal_toIvEEsEE10hipError_tPvRmT2_T3_T4_T5_mT6_T7_P12ihipStream_tbENKUlT_T0_E_clISt17integral_constantIbLb0EES10_IbLb1EEEEDaSW_SX_EUlSW_E_NS1_11comp_targetILNS1_3genE4ELNS1_11target_archE910ELNS1_3gpuE8ELNS1_3repE0EEENS1_30default_config_static_selectorELNS0_4arch9wavefront6targetE0EEEvT1_
		.amdhsa_group_segment_fixed_size 0
		.amdhsa_private_segment_fixed_size 0
		.amdhsa_kernarg_size 112
		.amdhsa_user_sgpr_count 6
		.amdhsa_user_sgpr_private_segment_buffer 1
		.amdhsa_user_sgpr_dispatch_ptr 0
		.amdhsa_user_sgpr_queue_ptr 0
		.amdhsa_user_sgpr_kernarg_segment_ptr 1
		.amdhsa_user_sgpr_dispatch_id 0
		.amdhsa_user_sgpr_flat_scratch_init 0
		.amdhsa_user_sgpr_private_segment_size 0
		.amdhsa_wavefront_size32 1
		.amdhsa_uses_dynamic_stack 0
		.amdhsa_system_sgpr_private_segment_wavefront_offset 0
		.amdhsa_system_sgpr_workgroup_id_x 1
		.amdhsa_system_sgpr_workgroup_id_y 0
		.amdhsa_system_sgpr_workgroup_id_z 0
		.amdhsa_system_sgpr_workgroup_info 0
		.amdhsa_system_vgpr_workitem_id 0
		.amdhsa_next_free_vgpr 1
		.amdhsa_next_free_sgpr 1
		.amdhsa_reserve_vcc 0
		.amdhsa_reserve_flat_scratch 0
		.amdhsa_float_round_mode_32 0
		.amdhsa_float_round_mode_16_64 0
		.amdhsa_float_denorm_mode_32 3
		.amdhsa_float_denorm_mode_16_64 3
		.amdhsa_dx10_clamp 1
		.amdhsa_ieee_mode 1
		.amdhsa_fp16_overflow 0
		.amdhsa_workgroup_processor_mode 1
		.amdhsa_memory_ordered 1
		.amdhsa_forward_progress 1
		.amdhsa_shared_vgpr_count 0
		.amdhsa_exception_fp_ieee_invalid_op 0
		.amdhsa_exception_fp_denorm_src 0
		.amdhsa_exception_fp_ieee_div_zero 0
		.amdhsa_exception_fp_ieee_overflow 0
		.amdhsa_exception_fp_ieee_underflow 0
		.amdhsa_exception_fp_ieee_inexact 0
		.amdhsa_exception_int_div_zero 0
	.end_amdhsa_kernel
	.section	.text._ZN7rocprim17ROCPRIM_400000_NS6detail17trampoline_kernelINS0_14default_configENS1_27scan_by_key_config_selectorIisEEZZNS1_16scan_by_key_implILNS1_25lookback_scan_determinismE0ELb0ES3_N6thrust23THRUST_200600_302600_NS6detail15normal_iteratorINS9_10device_ptrIiEEEENSB_INSC_IsEEEESG_sNS9_4plusIvEENS9_8equal_toIvEEsEE10hipError_tPvRmT2_T3_T4_T5_mT6_T7_P12ihipStream_tbENKUlT_T0_E_clISt17integral_constantIbLb0EES10_IbLb1EEEEDaSW_SX_EUlSW_E_NS1_11comp_targetILNS1_3genE4ELNS1_11target_archE910ELNS1_3gpuE8ELNS1_3repE0EEENS1_30default_config_static_selectorELNS0_4arch9wavefront6targetE0EEEvT1_,"axG",@progbits,_ZN7rocprim17ROCPRIM_400000_NS6detail17trampoline_kernelINS0_14default_configENS1_27scan_by_key_config_selectorIisEEZZNS1_16scan_by_key_implILNS1_25lookback_scan_determinismE0ELb0ES3_N6thrust23THRUST_200600_302600_NS6detail15normal_iteratorINS9_10device_ptrIiEEEENSB_INSC_IsEEEESG_sNS9_4plusIvEENS9_8equal_toIvEEsEE10hipError_tPvRmT2_T3_T4_T5_mT6_T7_P12ihipStream_tbENKUlT_T0_E_clISt17integral_constantIbLb0EES10_IbLb1EEEEDaSW_SX_EUlSW_E_NS1_11comp_targetILNS1_3genE4ELNS1_11target_archE910ELNS1_3gpuE8ELNS1_3repE0EEENS1_30default_config_static_selectorELNS0_4arch9wavefront6targetE0EEEvT1_,comdat
.Lfunc_end1385:
	.size	_ZN7rocprim17ROCPRIM_400000_NS6detail17trampoline_kernelINS0_14default_configENS1_27scan_by_key_config_selectorIisEEZZNS1_16scan_by_key_implILNS1_25lookback_scan_determinismE0ELb0ES3_N6thrust23THRUST_200600_302600_NS6detail15normal_iteratorINS9_10device_ptrIiEEEENSB_INSC_IsEEEESG_sNS9_4plusIvEENS9_8equal_toIvEEsEE10hipError_tPvRmT2_T3_T4_T5_mT6_T7_P12ihipStream_tbENKUlT_T0_E_clISt17integral_constantIbLb0EES10_IbLb1EEEEDaSW_SX_EUlSW_E_NS1_11comp_targetILNS1_3genE4ELNS1_11target_archE910ELNS1_3gpuE8ELNS1_3repE0EEENS1_30default_config_static_selectorELNS0_4arch9wavefront6targetE0EEEvT1_, .Lfunc_end1385-_ZN7rocprim17ROCPRIM_400000_NS6detail17trampoline_kernelINS0_14default_configENS1_27scan_by_key_config_selectorIisEEZZNS1_16scan_by_key_implILNS1_25lookback_scan_determinismE0ELb0ES3_N6thrust23THRUST_200600_302600_NS6detail15normal_iteratorINS9_10device_ptrIiEEEENSB_INSC_IsEEEESG_sNS9_4plusIvEENS9_8equal_toIvEEsEE10hipError_tPvRmT2_T3_T4_T5_mT6_T7_P12ihipStream_tbENKUlT_T0_E_clISt17integral_constantIbLb0EES10_IbLb1EEEEDaSW_SX_EUlSW_E_NS1_11comp_targetILNS1_3genE4ELNS1_11target_archE910ELNS1_3gpuE8ELNS1_3repE0EEENS1_30default_config_static_selectorELNS0_4arch9wavefront6targetE0EEEvT1_
                                        ; -- End function
	.set _ZN7rocprim17ROCPRIM_400000_NS6detail17trampoline_kernelINS0_14default_configENS1_27scan_by_key_config_selectorIisEEZZNS1_16scan_by_key_implILNS1_25lookback_scan_determinismE0ELb0ES3_N6thrust23THRUST_200600_302600_NS6detail15normal_iteratorINS9_10device_ptrIiEEEENSB_INSC_IsEEEESG_sNS9_4plusIvEENS9_8equal_toIvEEsEE10hipError_tPvRmT2_T3_T4_T5_mT6_T7_P12ihipStream_tbENKUlT_T0_E_clISt17integral_constantIbLb0EES10_IbLb1EEEEDaSW_SX_EUlSW_E_NS1_11comp_targetILNS1_3genE4ELNS1_11target_archE910ELNS1_3gpuE8ELNS1_3repE0EEENS1_30default_config_static_selectorELNS0_4arch9wavefront6targetE0EEEvT1_.num_vgpr, 0
	.set _ZN7rocprim17ROCPRIM_400000_NS6detail17trampoline_kernelINS0_14default_configENS1_27scan_by_key_config_selectorIisEEZZNS1_16scan_by_key_implILNS1_25lookback_scan_determinismE0ELb0ES3_N6thrust23THRUST_200600_302600_NS6detail15normal_iteratorINS9_10device_ptrIiEEEENSB_INSC_IsEEEESG_sNS9_4plusIvEENS9_8equal_toIvEEsEE10hipError_tPvRmT2_T3_T4_T5_mT6_T7_P12ihipStream_tbENKUlT_T0_E_clISt17integral_constantIbLb0EES10_IbLb1EEEEDaSW_SX_EUlSW_E_NS1_11comp_targetILNS1_3genE4ELNS1_11target_archE910ELNS1_3gpuE8ELNS1_3repE0EEENS1_30default_config_static_selectorELNS0_4arch9wavefront6targetE0EEEvT1_.num_agpr, 0
	.set _ZN7rocprim17ROCPRIM_400000_NS6detail17trampoline_kernelINS0_14default_configENS1_27scan_by_key_config_selectorIisEEZZNS1_16scan_by_key_implILNS1_25lookback_scan_determinismE0ELb0ES3_N6thrust23THRUST_200600_302600_NS6detail15normal_iteratorINS9_10device_ptrIiEEEENSB_INSC_IsEEEESG_sNS9_4plusIvEENS9_8equal_toIvEEsEE10hipError_tPvRmT2_T3_T4_T5_mT6_T7_P12ihipStream_tbENKUlT_T0_E_clISt17integral_constantIbLb0EES10_IbLb1EEEEDaSW_SX_EUlSW_E_NS1_11comp_targetILNS1_3genE4ELNS1_11target_archE910ELNS1_3gpuE8ELNS1_3repE0EEENS1_30default_config_static_selectorELNS0_4arch9wavefront6targetE0EEEvT1_.numbered_sgpr, 0
	.set _ZN7rocprim17ROCPRIM_400000_NS6detail17trampoline_kernelINS0_14default_configENS1_27scan_by_key_config_selectorIisEEZZNS1_16scan_by_key_implILNS1_25lookback_scan_determinismE0ELb0ES3_N6thrust23THRUST_200600_302600_NS6detail15normal_iteratorINS9_10device_ptrIiEEEENSB_INSC_IsEEEESG_sNS9_4plusIvEENS9_8equal_toIvEEsEE10hipError_tPvRmT2_T3_T4_T5_mT6_T7_P12ihipStream_tbENKUlT_T0_E_clISt17integral_constantIbLb0EES10_IbLb1EEEEDaSW_SX_EUlSW_E_NS1_11comp_targetILNS1_3genE4ELNS1_11target_archE910ELNS1_3gpuE8ELNS1_3repE0EEENS1_30default_config_static_selectorELNS0_4arch9wavefront6targetE0EEEvT1_.num_named_barrier, 0
	.set _ZN7rocprim17ROCPRIM_400000_NS6detail17trampoline_kernelINS0_14default_configENS1_27scan_by_key_config_selectorIisEEZZNS1_16scan_by_key_implILNS1_25lookback_scan_determinismE0ELb0ES3_N6thrust23THRUST_200600_302600_NS6detail15normal_iteratorINS9_10device_ptrIiEEEENSB_INSC_IsEEEESG_sNS9_4plusIvEENS9_8equal_toIvEEsEE10hipError_tPvRmT2_T3_T4_T5_mT6_T7_P12ihipStream_tbENKUlT_T0_E_clISt17integral_constantIbLb0EES10_IbLb1EEEEDaSW_SX_EUlSW_E_NS1_11comp_targetILNS1_3genE4ELNS1_11target_archE910ELNS1_3gpuE8ELNS1_3repE0EEENS1_30default_config_static_selectorELNS0_4arch9wavefront6targetE0EEEvT1_.private_seg_size, 0
	.set _ZN7rocprim17ROCPRIM_400000_NS6detail17trampoline_kernelINS0_14default_configENS1_27scan_by_key_config_selectorIisEEZZNS1_16scan_by_key_implILNS1_25lookback_scan_determinismE0ELb0ES3_N6thrust23THRUST_200600_302600_NS6detail15normal_iteratorINS9_10device_ptrIiEEEENSB_INSC_IsEEEESG_sNS9_4plusIvEENS9_8equal_toIvEEsEE10hipError_tPvRmT2_T3_T4_T5_mT6_T7_P12ihipStream_tbENKUlT_T0_E_clISt17integral_constantIbLb0EES10_IbLb1EEEEDaSW_SX_EUlSW_E_NS1_11comp_targetILNS1_3genE4ELNS1_11target_archE910ELNS1_3gpuE8ELNS1_3repE0EEENS1_30default_config_static_selectorELNS0_4arch9wavefront6targetE0EEEvT1_.uses_vcc, 0
	.set _ZN7rocprim17ROCPRIM_400000_NS6detail17trampoline_kernelINS0_14default_configENS1_27scan_by_key_config_selectorIisEEZZNS1_16scan_by_key_implILNS1_25lookback_scan_determinismE0ELb0ES3_N6thrust23THRUST_200600_302600_NS6detail15normal_iteratorINS9_10device_ptrIiEEEENSB_INSC_IsEEEESG_sNS9_4plusIvEENS9_8equal_toIvEEsEE10hipError_tPvRmT2_T3_T4_T5_mT6_T7_P12ihipStream_tbENKUlT_T0_E_clISt17integral_constantIbLb0EES10_IbLb1EEEEDaSW_SX_EUlSW_E_NS1_11comp_targetILNS1_3genE4ELNS1_11target_archE910ELNS1_3gpuE8ELNS1_3repE0EEENS1_30default_config_static_selectorELNS0_4arch9wavefront6targetE0EEEvT1_.uses_flat_scratch, 0
	.set _ZN7rocprim17ROCPRIM_400000_NS6detail17trampoline_kernelINS0_14default_configENS1_27scan_by_key_config_selectorIisEEZZNS1_16scan_by_key_implILNS1_25lookback_scan_determinismE0ELb0ES3_N6thrust23THRUST_200600_302600_NS6detail15normal_iteratorINS9_10device_ptrIiEEEENSB_INSC_IsEEEESG_sNS9_4plusIvEENS9_8equal_toIvEEsEE10hipError_tPvRmT2_T3_T4_T5_mT6_T7_P12ihipStream_tbENKUlT_T0_E_clISt17integral_constantIbLb0EES10_IbLb1EEEEDaSW_SX_EUlSW_E_NS1_11comp_targetILNS1_3genE4ELNS1_11target_archE910ELNS1_3gpuE8ELNS1_3repE0EEENS1_30default_config_static_selectorELNS0_4arch9wavefront6targetE0EEEvT1_.has_dyn_sized_stack, 0
	.set _ZN7rocprim17ROCPRIM_400000_NS6detail17trampoline_kernelINS0_14default_configENS1_27scan_by_key_config_selectorIisEEZZNS1_16scan_by_key_implILNS1_25lookback_scan_determinismE0ELb0ES3_N6thrust23THRUST_200600_302600_NS6detail15normal_iteratorINS9_10device_ptrIiEEEENSB_INSC_IsEEEESG_sNS9_4plusIvEENS9_8equal_toIvEEsEE10hipError_tPvRmT2_T3_T4_T5_mT6_T7_P12ihipStream_tbENKUlT_T0_E_clISt17integral_constantIbLb0EES10_IbLb1EEEEDaSW_SX_EUlSW_E_NS1_11comp_targetILNS1_3genE4ELNS1_11target_archE910ELNS1_3gpuE8ELNS1_3repE0EEENS1_30default_config_static_selectorELNS0_4arch9wavefront6targetE0EEEvT1_.has_recursion, 0
	.set _ZN7rocprim17ROCPRIM_400000_NS6detail17trampoline_kernelINS0_14default_configENS1_27scan_by_key_config_selectorIisEEZZNS1_16scan_by_key_implILNS1_25lookback_scan_determinismE0ELb0ES3_N6thrust23THRUST_200600_302600_NS6detail15normal_iteratorINS9_10device_ptrIiEEEENSB_INSC_IsEEEESG_sNS9_4plusIvEENS9_8equal_toIvEEsEE10hipError_tPvRmT2_T3_T4_T5_mT6_T7_P12ihipStream_tbENKUlT_T0_E_clISt17integral_constantIbLb0EES10_IbLb1EEEEDaSW_SX_EUlSW_E_NS1_11comp_targetILNS1_3genE4ELNS1_11target_archE910ELNS1_3gpuE8ELNS1_3repE0EEENS1_30default_config_static_selectorELNS0_4arch9wavefront6targetE0EEEvT1_.has_indirect_call, 0
	.section	.AMDGPU.csdata,"",@progbits
; Kernel info:
; codeLenInByte = 0
; TotalNumSgprs: 0
; NumVgprs: 0
; ScratchSize: 0
; MemoryBound: 0
; FloatMode: 240
; IeeeMode: 1
; LDSByteSize: 0 bytes/workgroup (compile time only)
; SGPRBlocks: 0
; VGPRBlocks: 0
; NumSGPRsForWavesPerEU: 1
; NumVGPRsForWavesPerEU: 1
; Occupancy: 16
; WaveLimiterHint : 0
; COMPUTE_PGM_RSRC2:SCRATCH_EN: 0
; COMPUTE_PGM_RSRC2:USER_SGPR: 6
; COMPUTE_PGM_RSRC2:TRAP_HANDLER: 0
; COMPUTE_PGM_RSRC2:TGID_X_EN: 1
; COMPUTE_PGM_RSRC2:TGID_Y_EN: 0
; COMPUTE_PGM_RSRC2:TGID_Z_EN: 0
; COMPUTE_PGM_RSRC2:TIDIG_COMP_CNT: 0
	.section	.text._ZN7rocprim17ROCPRIM_400000_NS6detail17trampoline_kernelINS0_14default_configENS1_27scan_by_key_config_selectorIisEEZZNS1_16scan_by_key_implILNS1_25lookback_scan_determinismE0ELb0ES3_N6thrust23THRUST_200600_302600_NS6detail15normal_iteratorINS9_10device_ptrIiEEEENSB_INSC_IsEEEESG_sNS9_4plusIvEENS9_8equal_toIvEEsEE10hipError_tPvRmT2_T3_T4_T5_mT6_T7_P12ihipStream_tbENKUlT_T0_E_clISt17integral_constantIbLb0EES10_IbLb1EEEEDaSW_SX_EUlSW_E_NS1_11comp_targetILNS1_3genE3ELNS1_11target_archE908ELNS1_3gpuE7ELNS1_3repE0EEENS1_30default_config_static_selectorELNS0_4arch9wavefront6targetE0EEEvT1_,"axG",@progbits,_ZN7rocprim17ROCPRIM_400000_NS6detail17trampoline_kernelINS0_14default_configENS1_27scan_by_key_config_selectorIisEEZZNS1_16scan_by_key_implILNS1_25lookback_scan_determinismE0ELb0ES3_N6thrust23THRUST_200600_302600_NS6detail15normal_iteratorINS9_10device_ptrIiEEEENSB_INSC_IsEEEESG_sNS9_4plusIvEENS9_8equal_toIvEEsEE10hipError_tPvRmT2_T3_T4_T5_mT6_T7_P12ihipStream_tbENKUlT_T0_E_clISt17integral_constantIbLb0EES10_IbLb1EEEEDaSW_SX_EUlSW_E_NS1_11comp_targetILNS1_3genE3ELNS1_11target_archE908ELNS1_3gpuE7ELNS1_3repE0EEENS1_30default_config_static_selectorELNS0_4arch9wavefront6targetE0EEEvT1_,comdat
	.protected	_ZN7rocprim17ROCPRIM_400000_NS6detail17trampoline_kernelINS0_14default_configENS1_27scan_by_key_config_selectorIisEEZZNS1_16scan_by_key_implILNS1_25lookback_scan_determinismE0ELb0ES3_N6thrust23THRUST_200600_302600_NS6detail15normal_iteratorINS9_10device_ptrIiEEEENSB_INSC_IsEEEESG_sNS9_4plusIvEENS9_8equal_toIvEEsEE10hipError_tPvRmT2_T3_T4_T5_mT6_T7_P12ihipStream_tbENKUlT_T0_E_clISt17integral_constantIbLb0EES10_IbLb1EEEEDaSW_SX_EUlSW_E_NS1_11comp_targetILNS1_3genE3ELNS1_11target_archE908ELNS1_3gpuE7ELNS1_3repE0EEENS1_30default_config_static_selectorELNS0_4arch9wavefront6targetE0EEEvT1_ ; -- Begin function _ZN7rocprim17ROCPRIM_400000_NS6detail17trampoline_kernelINS0_14default_configENS1_27scan_by_key_config_selectorIisEEZZNS1_16scan_by_key_implILNS1_25lookback_scan_determinismE0ELb0ES3_N6thrust23THRUST_200600_302600_NS6detail15normal_iteratorINS9_10device_ptrIiEEEENSB_INSC_IsEEEESG_sNS9_4plusIvEENS9_8equal_toIvEEsEE10hipError_tPvRmT2_T3_T4_T5_mT6_T7_P12ihipStream_tbENKUlT_T0_E_clISt17integral_constantIbLb0EES10_IbLb1EEEEDaSW_SX_EUlSW_E_NS1_11comp_targetILNS1_3genE3ELNS1_11target_archE908ELNS1_3gpuE7ELNS1_3repE0EEENS1_30default_config_static_selectorELNS0_4arch9wavefront6targetE0EEEvT1_
	.globl	_ZN7rocprim17ROCPRIM_400000_NS6detail17trampoline_kernelINS0_14default_configENS1_27scan_by_key_config_selectorIisEEZZNS1_16scan_by_key_implILNS1_25lookback_scan_determinismE0ELb0ES3_N6thrust23THRUST_200600_302600_NS6detail15normal_iteratorINS9_10device_ptrIiEEEENSB_INSC_IsEEEESG_sNS9_4plusIvEENS9_8equal_toIvEEsEE10hipError_tPvRmT2_T3_T4_T5_mT6_T7_P12ihipStream_tbENKUlT_T0_E_clISt17integral_constantIbLb0EES10_IbLb1EEEEDaSW_SX_EUlSW_E_NS1_11comp_targetILNS1_3genE3ELNS1_11target_archE908ELNS1_3gpuE7ELNS1_3repE0EEENS1_30default_config_static_selectorELNS0_4arch9wavefront6targetE0EEEvT1_
	.p2align	8
	.type	_ZN7rocprim17ROCPRIM_400000_NS6detail17trampoline_kernelINS0_14default_configENS1_27scan_by_key_config_selectorIisEEZZNS1_16scan_by_key_implILNS1_25lookback_scan_determinismE0ELb0ES3_N6thrust23THRUST_200600_302600_NS6detail15normal_iteratorINS9_10device_ptrIiEEEENSB_INSC_IsEEEESG_sNS9_4plusIvEENS9_8equal_toIvEEsEE10hipError_tPvRmT2_T3_T4_T5_mT6_T7_P12ihipStream_tbENKUlT_T0_E_clISt17integral_constantIbLb0EES10_IbLb1EEEEDaSW_SX_EUlSW_E_NS1_11comp_targetILNS1_3genE3ELNS1_11target_archE908ELNS1_3gpuE7ELNS1_3repE0EEENS1_30default_config_static_selectorELNS0_4arch9wavefront6targetE0EEEvT1_,@function
_ZN7rocprim17ROCPRIM_400000_NS6detail17trampoline_kernelINS0_14default_configENS1_27scan_by_key_config_selectorIisEEZZNS1_16scan_by_key_implILNS1_25lookback_scan_determinismE0ELb0ES3_N6thrust23THRUST_200600_302600_NS6detail15normal_iteratorINS9_10device_ptrIiEEEENSB_INSC_IsEEEESG_sNS9_4plusIvEENS9_8equal_toIvEEsEE10hipError_tPvRmT2_T3_T4_T5_mT6_T7_P12ihipStream_tbENKUlT_T0_E_clISt17integral_constantIbLb0EES10_IbLb1EEEEDaSW_SX_EUlSW_E_NS1_11comp_targetILNS1_3genE3ELNS1_11target_archE908ELNS1_3gpuE7ELNS1_3repE0EEENS1_30default_config_static_selectorELNS0_4arch9wavefront6targetE0EEEvT1_: ; @_ZN7rocprim17ROCPRIM_400000_NS6detail17trampoline_kernelINS0_14default_configENS1_27scan_by_key_config_selectorIisEEZZNS1_16scan_by_key_implILNS1_25lookback_scan_determinismE0ELb0ES3_N6thrust23THRUST_200600_302600_NS6detail15normal_iteratorINS9_10device_ptrIiEEEENSB_INSC_IsEEEESG_sNS9_4plusIvEENS9_8equal_toIvEEsEE10hipError_tPvRmT2_T3_T4_T5_mT6_T7_P12ihipStream_tbENKUlT_T0_E_clISt17integral_constantIbLb0EES10_IbLb1EEEEDaSW_SX_EUlSW_E_NS1_11comp_targetILNS1_3genE3ELNS1_11target_archE908ELNS1_3gpuE7ELNS1_3repE0EEENS1_30default_config_static_selectorELNS0_4arch9wavefront6targetE0EEEvT1_
; %bb.0:
	.section	.rodata,"a",@progbits
	.p2align	6, 0x0
	.amdhsa_kernel _ZN7rocprim17ROCPRIM_400000_NS6detail17trampoline_kernelINS0_14default_configENS1_27scan_by_key_config_selectorIisEEZZNS1_16scan_by_key_implILNS1_25lookback_scan_determinismE0ELb0ES3_N6thrust23THRUST_200600_302600_NS6detail15normal_iteratorINS9_10device_ptrIiEEEENSB_INSC_IsEEEESG_sNS9_4plusIvEENS9_8equal_toIvEEsEE10hipError_tPvRmT2_T3_T4_T5_mT6_T7_P12ihipStream_tbENKUlT_T0_E_clISt17integral_constantIbLb0EES10_IbLb1EEEEDaSW_SX_EUlSW_E_NS1_11comp_targetILNS1_3genE3ELNS1_11target_archE908ELNS1_3gpuE7ELNS1_3repE0EEENS1_30default_config_static_selectorELNS0_4arch9wavefront6targetE0EEEvT1_
		.amdhsa_group_segment_fixed_size 0
		.amdhsa_private_segment_fixed_size 0
		.amdhsa_kernarg_size 112
		.amdhsa_user_sgpr_count 6
		.amdhsa_user_sgpr_private_segment_buffer 1
		.amdhsa_user_sgpr_dispatch_ptr 0
		.amdhsa_user_sgpr_queue_ptr 0
		.amdhsa_user_sgpr_kernarg_segment_ptr 1
		.amdhsa_user_sgpr_dispatch_id 0
		.amdhsa_user_sgpr_flat_scratch_init 0
		.amdhsa_user_sgpr_private_segment_size 0
		.amdhsa_wavefront_size32 1
		.amdhsa_uses_dynamic_stack 0
		.amdhsa_system_sgpr_private_segment_wavefront_offset 0
		.amdhsa_system_sgpr_workgroup_id_x 1
		.amdhsa_system_sgpr_workgroup_id_y 0
		.amdhsa_system_sgpr_workgroup_id_z 0
		.amdhsa_system_sgpr_workgroup_info 0
		.amdhsa_system_vgpr_workitem_id 0
		.amdhsa_next_free_vgpr 1
		.amdhsa_next_free_sgpr 1
		.amdhsa_reserve_vcc 0
		.amdhsa_reserve_flat_scratch 0
		.amdhsa_float_round_mode_32 0
		.amdhsa_float_round_mode_16_64 0
		.amdhsa_float_denorm_mode_32 3
		.amdhsa_float_denorm_mode_16_64 3
		.amdhsa_dx10_clamp 1
		.amdhsa_ieee_mode 1
		.amdhsa_fp16_overflow 0
		.amdhsa_workgroup_processor_mode 1
		.amdhsa_memory_ordered 1
		.amdhsa_forward_progress 1
		.amdhsa_shared_vgpr_count 0
		.amdhsa_exception_fp_ieee_invalid_op 0
		.amdhsa_exception_fp_denorm_src 0
		.amdhsa_exception_fp_ieee_div_zero 0
		.amdhsa_exception_fp_ieee_overflow 0
		.amdhsa_exception_fp_ieee_underflow 0
		.amdhsa_exception_fp_ieee_inexact 0
		.amdhsa_exception_int_div_zero 0
	.end_amdhsa_kernel
	.section	.text._ZN7rocprim17ROCPRIM_400000_NS6detail17trampoline_kernelINS0_14default_configENS1_27scan_by_key_config_selectorIisEEZZNS1_16scan_by_key_implILNS1_25lookback_scan_determinismE0ELb0ES3_N6thrust23THRUST_200600_302600_NS6detail15normal_iteratorINS9_10device_ptrIiEEEENSB_INSC_IsEEEESG_sNS9_4plusIvEENS9_8equal_toIvEEsEE10hipError_tPvRmT2_T3_T4_T5_mT6_T7_P12ihipStream_tbENKUlT_T0_E_clISt17integral_constantIbLb0EES10_IbLb1EEEEDaSW_SX_EUlSW_E_NS1_11comp_targetILNS1_3genE3ELNS1_11target_archE908ELNS1_3gpuE7ELNS1_3repE0EEENS1_30default_config_static_selectorELNS0_4arch9wavefront6targetE0EEEvT1_,"axG",@progbits,_ZN7rocprim17ROCPRIM_400000_NS6detail17trampoline_kernelINS0_14default_configENS1_27scan_by_key_config_selectorIisEEZZNS1_16scan_by_key_implILNS1_25lookback_scan_determinismE0ELb0ES3_N6thrust23THRUST_200600_302600_NS6detail15normal_iteratorINS9_10device_ptrIiEEEENSB_INSC_IsEEEESG_sNS9_4plusIvEENS9_8equal_toIvEEsEE10hipError_tPvRmT2_T3_T4_T5_mT6_T7_P12ihipStream_tbENKUlT_T0_E_clISt17integral_constantIbLb0EES10_IbLb1EEEEDaSW_SX_EUlSW_E_NS1_11comp_targetILNS1_3genE3ELNS1_11target_archE908ELNS1_3gpuE7ELNS1_3repE0EEENS1_30default_config_static_selectorELNS0_4arch9wavefront6targetE0EEEvT1_,comdat
.Lfunc_end1386:
	.size	_ZN7rocprim17ROCPRIM_400000_NS6detail17trampoline_kernelINS0_14default_configENS1_27scan_by_key_config_selectorIisEEZZNS1_16scan_by_key_implILNS1_25lookback_scan_determinismE0ELb0ES3_N6thrust23THRUST_200600_302600_NS6detail15normal_iteratorINS9_10device_ptrIiEEEENSB_INSC_IsEEEESG_sNS9_4plusIvEENS9_8equal_toIvEEsEE10hipError_tPvRmT2_T3_T4_T5_mT6_T7_P12ihipStream_tbENKUlT_T0_E_clISt17integral_constantIbLb0EES10_IbLb1EEEEDaSW_SX_EUlSW_E_NS1_11comp_targetILNS1_3genE3ELNS1_11target_archE908ELNS1_3gpuE7ELNS1_3repE0EEENS1_30default_config_static_selectorELNS0_4arch9wavefront6targetE0EEEvT1_, .Lfunc_end1386-_ZN7rocprim17ROCPRIM_400000_NS6detail17trampoline_kernelINS0_14default_configENS1_27scan_by_key_config_selectorIisEEZZNS1_16scan_by_key_implILNS1_25lookback_scan_determinismE0ELb0ES3_N6thrust23THRUST_200600_302600_NS6detail15normal_iteratorINS9_10device_ptrIiEEEENSB_INSC_IsEEEESG_sNS9_4plusIvEENS9_8equal_toIvEEsEE10hipError_tPvRmT2_T3_T4_T5_mT6_T7_P12ihipStream_tbENKUlT_T0_E_clISt17integral_constantIbLb0EES10_IbLb1EEEEDaSW_SX_EUlSW_E_NS1_11comp_targetILNS1_3genE3ELNS1_11target_archE908ELNS1_3gpuE7ELNS1_3repE0EEENS1_30default_config_static_selectorELNS0_4arch9wavefront6targetE0EEEvT1_
                                        ; -- End function
	.set _ZN7rocprim17ROCPRIM_400000_NS6detail17trampoline_kernelINS0_14default_configENS1_27scan_by_key_config_selectorIisEEZZNS1_16scan_by_key_implILNS1_25lookback_scan_determinismE0ELb0ES3_N6thrust23THRUST_200600_302600_NS6detail15normal_iteratorINS9_10device_ptrIiEEEENSB_INSC_IsEEEESG_sNS9_4plusIvEENS9_8equal_toIvEEsEE10hipError_tPvRmT2_T3_T4_T5_mT6_T7_P12ihipStream_tbENKUlT_T0_E_clISt17integral_constantIbLb0EES10_IbLb1EEEEDaSW_SX_EUlSW_E_NS1_11comp_targetILNS1_3genE3ELNS1_11target_archE908ELNS1_3gpuE7ELNS1_3repE0EEENS1_30default_config_static_selectorELNS0_4arch9wavefront6targetE0EEEvT1_.num_vgpr, 0
	.set _ZN7rocprim17ROCPRIM_400000_NS6detail17trampoline_kernelINS0_14default_configENS1_27scan_by_key_config_selectorIisEEZZNS1_16scan_by_key_implILNS1_25lookback_scan_determinismE0ELb0ES3_N6thrust23THRUST_200600_302600_NS6detail15normal_iteratorINS9_10device_ptrIiEEEENSB_INSC_IsEEEESG_sNS9_4plusIvEENS9_8equal_toIvEEsEE10hipError_tPvRmT2_T3_T4_T5_mT6_T7_P12ihipStream_tbENKUlT_T0_E_clISt17integral_constantIbLb0EES10_IbLb1EEEEDaSW_SX_EUlSW_E_NS1_11comp_targetILNS1_3genE3ELNS1_11target_archE908ELNS1_3gpuE7ELNS1_3repE0EEENS1_30default_config_static_selectorELNS0_4arch9wavefront6targetE0EEEvT1_.num_agpr, 0
	.set _ZN7rocprim17ROCPRIM_400000_NS6detail17trampoline_kernelINS0_14default_configENS1_27scan_by_key_config_selectorIisEEZZNS1_16scan_by_key_implILNS1_25lookback_scan_determinismE0ELb0ES3_N6thrust23THRUST_200600_302600_NS6detail15normal_iteratorINS9_10device_ptrIiEEEENSB_INSC_IsEEEESG_sNS9_4plusIvEENS9_8equal_toIvEEsEE10hipError_tPvRmT2_T3_T4_T5_mT6_T7_P12ihipStream_tbENKUlT_T0_E_clISt17integral_constantIbLb0EES10_IbLb1EEEEDaSW_SX_EUlSW_E_NS1_11comp_targetILNS1_3genE3ELNS1_11target_archE908ELNS1_3gpuE7ELNS1_3repE0EEENS1_30default_config_static_selectorELNS0_4arch9wavefront6targetE0EEEvT1_.numbered_sgpr, 0
	.set _ZN7rocprim17ROCPRIM_400000_NS6detail17trampoline_kernelINS0_14default_configENS1_27scan_by_key_config_selectorIisEEZZNS1_16scan_by_key_implILNS1_25lookback_scan_determinismE0ELb0ES3_N6thrust23THRUST_200600_302600_NS6detail15normal_iteratorINS9_10device_ptrIiEEEENSB_INSC_IsEEEESG_sNS9_4plusIvEENS9_8equal_toIvEEsEE10hipError_tPvRmT2_T3_T4_T5_mT6_T7_P12ihipStream_tbENKUlT_T0_E_clISt17integral_constantIbLb0EES10_IbLb1EEEEDaSW_SX_EUlSW_E_NS1_11comp_targetILNS1_3genE3ELNS1_11target_archE908ELNS1_3gpuE7ELNS1_3repE0EEENS1_30default_config_static_selectorELNS0_4arch9wavefront6targetE0EEEvT1_.num_named_barrier, 0
	.set _ZN7rocprim17ROCPRIM_400000_NS6detail17trampoline_kernelINS0_14default_configENS1_27scan_by_key_config_selectorIisEEZZNS1_16scan_by_key_implILNS1_25lookback_scan_determinismE0ELb0ES3_N6thrust23THRUST_200600_302600_NS6detail15normal_iteratorINS9_10device_ptrIiEEEENSB_INSC_IsEEEESG_sNS9_4plusIvEENS9_8equal_toIvEEsEE10hipError_tPvRmT2_T3_T4_T5_mT6_T7_P12ihipStream_tbENKUlT_T0_E_clISt17integral_constantIbLb0EES10_IbLb1EEEEDaSW_SX_EUlSW_E_NS1_11comp_targetILNS1_3genE3ELNS1_11target_archE908ELNS1_3gpuE7ELNS1_3repE0EEENS1_30default_config_static_selectorELNS0_4arch9wavefront6targetE0EEEvT1_.private_seg_size, 0
	.set _ZN7rocprim17ROCPRIM_400000_NS6detail17trampoline_kernelINS0_14default_configENS1_27scan_by_key_config_selectorIisEEZZNS1_16scan_by_key_implILNS1_25lookback_scan_determinismE0ELb0ES3_N6thrust23THRUST_200600_302600_NS6detail15normal_iteratorINS9_10device_ptrIiEEEENSB_INSC_IsEEEESG_sNS9_4plusIvEENS9_8equal_toIvEEsEE10hipError_tPvRmT2_T3_T4_T5_mT6_T7_P12ihipStream_tbENKUlT_T0_E_clISt17integral_constantIbLb0EES10_IbLb1EEEEDaSW_SX_EUlSW_E_NS1_11comp_targetILNS1_3genE3ELNS1_11target_archE908ELNS1_3gpuE7ELNS1_3repE0EEENS1_30default_config_static_selectorELNS0_4arch9wavefront6targetE0EEEvT1_.uses_vcc, 0
	.set _ZN7rocprim17ROCPRIM_400000_NS6detail17trampoline_kernelINS0_14default_configENS1_27scan_by_key_config_selectorIisEEZZNS1_16scan_by_key_implILNS1_25lookback_scan_determinismE0ELb0ES3_N6thrust23THRUST_200600_302600_NS6detail15normal_iteratorINS9_10device_ptrIiEEEENSB_INSC_IsEEEESG_sNS9_4plusIvEENS9_8equal_toIvEEsEE10hipError_tPvRmT2_T3_T4_T5_mT6_T7_P12ihipStream_tbENKUlT_T0_E_clISt17integral_constantIbLb0EES10_IbLb1EEEEDaSW_SX_EUlSW_E_NS1_11comp_targetILNS1_3genE3ELNS1_11target_archE908ELNS1_3gpuE7ELNS1_3repE0EEENS1_30default_config_static_selectorELNS0_4arch9wavefront6targetE0EEEvT1_.uses_flat_scratch, 0
	.set _ZN7rocprim17ROCPRIM_400000_NS6detail17trampoline_kernelINS0_14default_configENS1_27scan_by_key_config_selectorIisEEZZNS1_16scan_by_key_implILNS1_25lookback_scan_determinismE0ELb0ES3_N6thrust23THRUST_200600_302600_NS6detail15normal_iteratorINS9_10device_ptrIiEEEENSB_INSC_IsEEEESG_sNS9_4plusIvEENS9_8equal_toIvEEsEE10hipError_tPvRmT2_T3_T4_T5_mT6_T7_P12ihipStream_tbENKUlT_T0_E_clISt17integral_constantIbLb0EES10_IbLb1EEEEDaSW_SX_EUlSW_E_NS1_11comp_targetILNS1_3genE3ELNS1_11target_archE908ELNS1_3gpuE7ELNS1_3repE0EEENS1_30default_config_static_selectorELNS0_4arch9wavefront6targetE0EEEvT1_.has_dyn_sized_stack, 0
	.set _ZN7rocprim17ROCPRIM_400000_NS6detail17trampoline_kernelINS0_14default_configENS1_27scan_by_key_config_selectorIisEEZZNS1_16scan_by_key_implILNS1_25lookback_scan_determinismE0ELb0ES3_N6thrust23THRUST_200600_302600_NS6detail15normal_iteratorINS9_10device_ptrIiEEEENSB_INSC_IsEEEESG_sNS9_4plusIvEENS9_8equal_toIvEEsEE10hipError_tPvRmT2_T3_T4_T5_mT6_T7_P12ihipStream_tbENKUlT_T0_E_clISt17integral_constantIbLb0EES10_IbLb1EEEEDaSW_SX_EUlSW_E_NS1_11comp_targetILNS1_3genE3ELNS1_11target_archE908ELNS1_3gpuE7ELNS1_3repE0EEENS1_30default_config_static_selectorELNS0_4arch9wavefront6targetE0EEEvT1_.has_recursion, 0
	.set _ZN7rocprim17ROCPRIM_400000_NS6detail17trampoline_kernelINS0_14default_configENS1_27scan_by_key_config_selectorIisEEZZNS1_16scan_by_key_implILNS1_25lookback_scan_determinismE0ELb0ES3_N6thrust23THRUST_200600_302600_NS6detail15normal_iteratorINS9_10device_ptrIiEEEENSB_INSC_IsEEEESG_sNS9_4plusIvEENS9_8equal_toIvEEsEE10hipError_tPvRmT2_T3_T4_T5_mT6_T7_P12ihipStream_tbENKUlT_T0_E_clISt17integral_constantIbLb0EES10_IbLb1EEEEDaSW_SX_EUlSW_E_NS1_11comp_targetILNS1_3genE3ELNS1_11target_archE908ELNS1_3gpuE7ELNS1_3repE0EEENS1_30default_config_static_selectorELNS0_4arch9wavefront6targetE0EEEvT1_.has_indirect_call, 0
	.section	.AMDGPU.csdata,"",@progbits
; Kernel info:
; codeLenInByte = 0
; TotalNumSgprs: 0
; NumVgprs: 0
; ScratchSize: 0
; MemoryBound: 0
; FloatMode: 240
; IeeeMode: 1
; LDSByteSize: 0 bytes/workgroup (compile time only)
; SGPRBlocks: 0
; VGPRBlocks: 0
; NumSGPRsForWavesPerEU: 1
; NumVGPRsForWavesPerEU: 1
; Occupancy: 16
; WaveLimiterHint : 0
; COMPUTE_PGM_RSRC2:SCRATCH_EN: 0
; COMPUTE_PGM_RSRC2:USER_SGPR: 6
; COMPUTE_PGM_RSRC2:TRAP_HANDLER: 0
; COMPUTE_PGM_RSRC2:TGID_X_EN: 1
; COMPUTE_PGM_RSRC2:TGID_Y_EN: 0
; COMPUTE_PGM_RSRC2:TGID_Z_EN: 0
; COMPUTE_PGM_RSRC2:TIDIG_COMP_CNT: 0
	.section	.text._ZN7rocprim17ROCPRIM_400000_NS6detail17trampoline_kernelINS0_14default_configENS1_27scan_by_key_config_selectorIisEEZZNS1_16scan_by_key_implILNS1_25lookback_scan_determinismE0ELb0ES3_N6thrust23THRUST_200600_302600_NS6detail15normal_iteratorINS9_10device_ptrIiEEEENSB_INSC_IsEEEESG_sNS9_4plusIvEENS9_8equal_toIvEEsEE10hipError_tPvRmT2_T3_T4_T5_mT6_T7_P12ihipStream_tbENKUlT_T0_E_clISt17integral_constantIbLb0EES10_IbLb1EEEEDaSW_SX_EUlSW_E_NS1_11comp_targetILNS1_3genE2ELNS1_11target_archE906ELNS1_3gpuE6ELNS1_3repE0EEENS1_30default_config_static_selectorELNS0_4arch9wavefront6targetE0EEEvT1_,"axG",@progbits,_ZN7rocprim17ROCPRIM_400000_NS6detail17trampoline_kernelINS0_14default_configENS1_27scan_by_key_config_selectorIisEEZZNS1_16scan_by_key_implILNS1_25lookback_scan_determinismE0ELb0ES3_N6thrust23THRUST_200600_302600_NS6detail15normal_iteratorINS9_10device_ptrIiEEEENSB_INSC_IsEEEESG_sNS9_4plusIvEENS9_8equal_toIvEEsEE10hipError_tPvRmT2_T3_T4_T5_mT6_T7_P12ihipStream_tbENKUlT_T0_E_clISt17integral_constantIbLb0EES10_IbLb1EEEEDaSW_SX_EUlSW_E_NS1_11comp_targetILNS1_3genE2ELNS1_11target_archE906ELNS1_3gpuE6ELNS1_3repE0EEENS1_30default_config_static_selectorELNS0_4arch9wavefront6targetE0EEEvT1_,comdat
	.protected	_ZN7rocprim17ROCPRIM_400000_NS6detail17trampoline_kernelINS0_14default_configENS1_27scan_by_key_config_selectorIisEEZZNS1_16scan_by_key_implILNS1_25lookback_scan_determinismE0ELb0ES3_N6thrust23THRUST_200600_302600_NS6detail15normal_iteratorINS9_10device_ptrIiEEEENSB_INSC_IsEEEESG_sNS9_4plusIvEENS9_8equal_toIvEEsEE10hipError_tPvRmT2_T3_T4_T5_mT6_T7_P12ihipStream_tbENKUlT_T0_E_clISt17integral_constantIbLb0EES10_IbLb1EEEEDaSW_SX_EUlSW_E_NS1_11comp_targetILNS1_3genE2ELNS1_11target_archE906ELNS1_3gpuE6ELNS1_3repE0EEENS1_30default_config_static_selectorELNS0_4arch9wavefront6targetE0EEEvT1_ ; -- Begin function _ZN7rocprim17ROCPRIM_400000_NS6detail17trampoline_kernelINS0_14default_configENS1_27scan_by_key_config_selectorIisEEZZNS1_16scan_by_key_implILNS1_25lookback_scan_determinismE0ELb0ES3_N6thrust23THRUST_200600_302600_NS6detail15normal_iteratorINS9_10device_ptrIiEEEENSB_INSC_IsEEEESG_sNS9_4plusIvEENS9_8equal_toIvEEsEE10hipError_tPvRmT2_T3_T4_T5_mT6_T7_P12ihipStream_tbENKUlT_T0_E_clISt17integral_constantIbLb0EES10_IbLb1EEEEDaSW_SX_EUlSW_E_NS1_11comp_targetILNS1_3genE2ELNS1_11target_archE906ELNS1_3gpuE6ELNS1_3repE0EEENS1_30default_config_static_selectorELNS0_4arch9wavefront6targetE0EEEvT1_
	.globl	_ZN7rocprim17ROCPRIM_400000_NS6detail17trampoline_kernelINS0_14default_configENS1_27scan_by_key_config_selectorIisEEZZNS1_16scan_by_key_implILNS1_25lookback_scan_determinismE0ELb0ES3_N6thrust23THRUST_200600_302600_NS6detail15normal_iteratorINS9_10device_ptrIiEEEENSB_INSC_IsEEEESG_sNS9_4plusIvEENS9_8equal_toIvEEsEE10hipError_tPvRmT2_T3_T4_T5_mT6_T7_P12ihipStream_tbENKUlT_T0_E_clISt17integral_constantIbLb0EES10_IbLb1EEEEDaSW_SX_EUlSW_E_NS1_11comp_targetILNS1_3genE2ELNS1_11target_archE906ELNS1_3gpuE6ELNS1_3repE0EEENS1_30default_config_static_selectorELNS0_4arch9wavefront6targetE0EEEvT1_
	.p2align	8
	.type	_ZN7rocprim17ROCPRIM_400000_NS6detail17trampoline_kernelINS0_14default_configENS1_27scan_by_key_config_selectorIisEEZZNS1_16scan_by_key_implILNS1_25lookback_scan_determinismE0ELb0ES3_N6thrust23THRUST_200600_302600_NS6detail15normal_iteratorINS9_10device_ptrIiEEEENSB_INSC_IsEEEESG_sNS9_4plusIvEENS9_8equal_toIvEEsEE10hipError_tPvRmT2_T3_T4_T5_mT6_T7_P12ihipStream_tbENKUlT_T0_E_clISt17integral_constantIbLb0EES10_IbLb1EEEEDaSW_SX_EUlSW_E_NS1_11comp_targetILNS1_3genE2ELNS1_11target_archE906ELNS1_3gpuE6ELNS1_3repE0EEENS1_30default_config_static_selectorELNS0_4arch9wavefront6targetE0EEEvT1_,@function
_ZN7rocprim17ROCPRIM_400000_NS6detail17trampoline_kernelINS0_14default_configENS1_27scan_by_key_config_selectorIisEEZZNS1_16scan_by_key_implILNS1_25lookback_scan_determinismE0ELb0ES3_N6thrust23THRUST_200600_302600_NS6detail15normal_iteratorINS9_10device_ptrIiEEEENSB_INSC_IsEEEESG_sNS9_4plusIvEENS9_8equal_toIvEEsEE10hipError_tPvRmT2_T3_T4_T5_mT6_T7_P12ihipStream_tbENKUlT_T0_E_clISt17integral_constantIbLb0EES10_IbLb1EEEEDaSW_SX_EUlSW_E_NS1_11comp_targetILNS1_3genE2ELNS1_11target_archE906ELNS1_3gpuE6ELNS1_3repE0EEENS1_30default_config_static_selectorELNS0_4arch9wavefront6targetE0EEEvT1_: ; @_ZN7rocprim17ROCPRIM_400000_NS6detail17trampoline_kernelINS0_14default_configENS1_27scan_by_key_config_selectorIisEEZZNS1_16scan_by_key_implILNS1_25lookback_scan_determinismE0ELb0ES3_N6thrust23THRUST_200600_302600_NS6detail15normal_iteratorINS9_10device_ptrIiEEEENSB_INSC_IsEEEESG_sNS9_4plusIvEENS9_8equal_toIvEEsEE10hipError_tPvRmT2_T3_T4_T5_mT6_T7_P12ihipStream_tbENKUlT_T0_E_clISt17integral_constantIbLb0EES10_IbLb1EEEEDaSW_SX_EUlSW_E_NS1_11comp_targetILNS1_3genE2ELNS1_11target_archE906ELNS1_3gpuE6ELNS1_3repE0EEENS1_30default_config_static_selectorELNS0_4arch9wavefront6targetE0EEEvT1_
; %bb.0:
	.section	.rodata,"a",@progbits
	.p2align	6, 0x0
	.amdhsa_kernel _ZN7rocprim17ROCPRIM_400000_NS6detail17trampoline_kernelINS0_14default_configENS1_27scan_by_key_config_selectorIisEEZZNS1_16scan_by_key_implILNS1_25lookback_scan_determinismE0ELb0ES3_N6thrust23THRUST_200600_302600_NS6detail15normal_iteratorINS9_10device_ptrIiEEEENSB_INSC_IsEEEESG_sNS9_4plusIvEENS9_8equal_toIvEEsEE10hipError_tPvRmT2_T3_T4_T5_mT6_T7_P12ihipStream_tbENKUlT_T0_E_clISt17integral_constantIbLb0EES10_IbLb1EEEEDaSW_SX_EUlSW_E_NS1_11comp_targetILNS1_3genE2ELNS1_11target_archE906ELNS1_3gpuE6ELNS1_3repE0EEENS1_30default_config_static_selectorELNS0_4arch9wavefront6targetE0EEEvT1_
		.amdhsa_group_segment_fixed_size 0
		.amdhsa_private_segment_fixed_size 0
		.amdhsa_kernarg_size 112
		.amdhsa_user_sgpr_count 6
		.amdhsa_user_sgpr_private_segment_buffer 1
		.amdhsa_user_sgpr_dispatch_ptr 0
		.amdhsa_user_sgpr_queue_ptr 0
		.amdhsa_user_sgpr_kernarg_segment_ptr 1
		.amdhsa_user_sgpr_dispatch_id 0
		.amdhsa_user_sgpr_flat_scratch_init 0
		.amdhsa_user_sgpr_private_segment_size 0
		.amdhsa_wavefront_size32 1
		.amdhsa_uses_dynamic_stack 0
		.amdhsa_system_sgpr_private_segment_wavefront_offset 0
		.amdhsa_system_sgpr_workgroup_id_x 1
		.amdhsa_system_sgpr_workgroup_id_y 0
		.amdhsa_system_sgpr_workgroup_id_z 0
		.amdhsa_system_sgpr_workgroup_info 0
		.amdhsa_system_vgpr_workitem_id 0
		.amdhsa_next_free_vgpr 1
		.amdhsa_next_free_sgpr 1
		.amdhsa_reserve_vcc 0
		.amdhsa_reserve_flat_scratch 0
		.amdhsa_float_round_mode_32 0
		.amdhsa_float_round_mode_16_64 0
		.amdhsa_float_denorm_mode_32 3
		.amdhsa_float_denorm_mode_16_64 3
		.amdhsa_dx10_clamp 1
		.amdhsa_ieee_mode 1
		.amdhsa_fp16_overflow 0
		.amdhsa_workgroup_processor_mode 1
		.amdhsa_memory_ordered 1
		.amdhsa_forward_progress 1
		.amdhsa_shared_vgpr_count 0
		.amdhsa_exception_fp_ieee_invalid_op 0
		.amdhsa_exception_fp_denorm_src 0
		.amdhsa_exception_fp_ieee_div_zero 0
		.amdhsa_exception_fp_ieee_overflow 0
		.amdhsa_exception_fp_ieee_underflow 0
		.amdhsa_exception_fp_ieee_inexact 0
		.amdhsa_exception_int_div_zero 0
	.end_amdhsa_kernel
	.section	.text._ZN7rocprim17ROCPRIM_400000_NS6detail17trampoline_kernelINS0_14default_configENS1_27scan_by_key_config_selectorIisEEZZNS1_16scan_by_key_implILNS1_25lookback_scan_determinismE0ELb0ES3_N6thrust23THRUST_200600_302600_NS6detail15normal_iteratorINS9_10device_ptrIiEEEENSB_INSC_IsEEEESG_sNS9_4plusIvEENS9_8equal_toIvEEsEE10hipError_tPvRmT2_T3_T4_T5_mT6_T7_P12ihipStream_tbENKUlT_T0_E_clISt17integral_constantIbLb0EES10_IbLb1EEEEDaSW_SX_EUlSW_E_NS1_11comp_targetILNS1_3genE2ELNS1_11target_archE906ELNS1_3gpuE6ELNS1_3repE0EEENS1_30default_config_static_selectorELNS0_4arch9wavefront6targetE0EEEvT1_,"axG",@progbits,_ZN7rocprim17ROCPRIM_400000_NS6detail17trampoline_kernelINS0_14default_configENS1_27scan_by_key_config_selectorIisEEZZNS1_16scan_by_key_implILNS1_25lookback_scan_determinismE0ELb0ES3_N6thrust23THRUST_200600_302600_NS6detail15normal_iteratorINS9_10device_ptrIiEEEENSB_INSC_IsEEEESG_sNS9_4plusIvEENS9_8equal_toIvEEsEE10hipError_tPvRmT2_T3_T4_T5_mT6_T7_P12ihipStream_tbENKUlT_T0_E_clISt17integral_constantIbLb0EES10_IbLb1EEEEDaSW_SX_EUlSW_E_NS1_11comp_targetILNS1_3genE2ELNS1_11target_archE906ELNS1_3gpuE6ELNS1_3repE0EEENS1_30default_config_static_selectorELNS0_4arch9wavefront6targetE0EEEvT1_,comdat
.Lfunc_end1387:
	.size	_ZN7rocprim17ROCPRIM_400000_NS6detail17trampoline_kernelINS0_14default_configENS1_27scan_by_key_config_selectorIisEEZZNS1_16scan_by_key_implILNS1_25lookback_scan_determinismE0ELb0ES3_N6thrust23THRUST_200600_302600_NS6detail15normal_iteratorINS9_10device_ptrIiEEEENSB_INSC_IsEEEESG_sNS9_4plusIvEENS9_8equal_toIvEEsEE10hipError_tPvRmT2_T3_T4_T5_mT6_T7_P12ihipStream_tbENKUlT_T0_E_clISt17integral_constantIbLb0EES10_IbLb1EEEEDaSW_SX_EUlSW_E_NS1_11comp_targetILNS1_3genE2ELNS1_11target_archE906ELNS1_3gpuE6ELNS1_3repE0EEENS1_30default_config_static_selectorELNS0_4arch9wavefront6targetE0EEEvT1_, .Lfunc_end1387-_ZN7rocprim17ROCPRIM_400000_NS6detail17trampoline_kernelINS0_14default_configENS1_27scan_by_key_config_selectorIisEEZZNS1_16scan_by_key_implILNS1_25lookback_scan_determinismE0ELb0ES3_N6thrust23THRUST_200600_302600_NS6detail15normal_iteratorINS9_10device_ptrIiEEEENSB_INSC_IsEEEESG_sNS9_4plusIvEENS9_8equal_toIvEEsEE10hipError_tPvRmT2_T3_T4_T5_mT6_T7_P12ihipStream_tbENKUlT_T0_E_clISt17integral_constantIbLb0EES10_IbLb1EEEEDaSW_SX_EUlSW_E_NS1_11comp_targetILNS1_3genE2ELNS1_11target_archE906ELNS1_3gpuE6ELNS1_3repE0EEENS1_30default_config_static_selectorELNS0_4arch9wavefront6targetE0EEEvT1_
                                        ; -- End function
	.set _ZN7rocprim17ROCPRIM_400000_NS6detail17trampoline_kernelINS0_14default_configENS1_27scan_by_key_config_selectorIisEEZZNS1_16scan_by_key_implILNS1_25lookback_scan_determinismE0ELb0ES3_N6thrust23THRUST_200600_302600_NS6detail15normal_iteratorINS9_10device_ptrIiEEEENSB_INSC_IsEEEESG_sNS9_4plusIvEENS9_8equal_toIvEEsEE10hipError_tPvRmT2_T3_T4_T5_mT6_T7_P12ihipStream_tbENKUlT_T0_E_clISt17integral_constantIbLb0EES10_IbLb1EEEEDaSW_SX_EUlSW_E_NS1_11comp_targetILNS1_3genE2ELNS1_11target_archE906ELNS1_3gpuE6ELNS1_3repE0EEENS1_30default_config_static_selectorELNS0_4arch9wavefront6targetE0EEEvT1_.num_vgpr, 0
	.set _ZN7rocprim17ROCPRIM_400000_NS6detail17trampoline_kernelINS0_14default_configENS1_27scan_by_key_config_selectorIisEEZZNS1_16scan_by_key_implILNS1_25lookback_scan_determinismE0ELb0ES3_N6thrust23THRUST_200600_302600_NS6detail15normal_iteratorINS9_10device_ptrIiEEEENSB_INSC_IsEEEESG_sNS9_4plusIvEENS9_8equal_toIvEEsEE10hipError_tPvRmT2_T3_T4_T5_mT6_T7_P12ihipStream_tbENKUlT_T0_E_clISt17integral_constantIbLb0EES10_IbLb1EEEEDaSW_SX_EUlSW_E_NS1_11comp_targetILNS1_3genE2ELNS1_11target_archE906ELNS1_3gpuE6ELNS1_3repE0EEENS1_30default_config_static_selectorELNS0_4arch9wavefront6targetE0EEEvT1_.num_agpr, 0
	.set _ZN7rocprim17ROCPRIM_400000_NS6detail17trampoline_kernelINS0_14default_configENS1_27scan_by_key_config_selectorIisEEZZNS1_16scan_by_key_implILNS1_25lookback_scan_determinismE0ELb0ES3_N6thrust23THRUST_200600_302600_NS6detail15normal_iteratorINS9_10device_ptrIiEEEENSB_INSC_IsEEEESG_sNS9_4plusIvEENS9_8equal_toIvEEsEE10hipError_tPvRmT2_T3_T4_T5_mT6_T7_P12ihipStream_tbENKUlT_T0_E_clISt17integral_constantIbLb0EES10_IbLb1EEEEDaSW_SX_EUlSW_E_NS1_11comp_targetILNS1_3genE2ELNS1_11target_archE906ELNS1_3gpuE6ELNS1_3repE0EEENS1_30default_config_static_selectorELNS0_4arch9wavefront6targetE0EEEvT1_.numbered_sgpr, 0
	.set _ZN7rocprim17ROCPRIM_400000_NS6detail17trampoline_kernelINS0_14default_configENS1_27scan_by_key_config_selectorIisEEZZNS1_16scan_by_key_implILNS1_25lookback_scan_determinismE0ELb0ES3_N6thrust23THRUST_200600_302600_NS6detail15normal_iteratorINS9_10device_ptrIiEEEENSB_INSC_IsEEEESG_sNS9_4plusIvEENS9_8equal_toIvEEsEE10hipError_tPvRmT2_T3_T4_T5_mT6_T7_P12ihipStream_tbENKUlT_T0_E_clISt17integral_constantIbLb0EES10_IbLb1EEEEDaSW_SX_EUlSW_E_NS1_11comp_targetILNS1_3genE2ELNS1_11target_archE906ELNS1_3gpuE6ELNS1_3repE0EEENS1_30default_config_static_selectorELNS0_4arch9wavefront6targetE0EEEvT1_.num_named_barrier, 0
	.set _ZN7rocprim17ROCPRIM_400000_NS6detail17trampoline_kernelINS0_14default_configENS1_27scan_by_key_config_selectorIisEEZZNS1_16scan_by_key_implILNS1_25lookback_scan_determinismE0ELb0ES3_N6thrust23THRUST_200600_302600_NS6detail15normal_iteratorINS9_10device_ptrIiEEEENSB_INSC_IsEEEESG_sNS9_4plusIvEENS9_8equal_toIvEEsEE10hipError_tPvRmT2_T3_T4_T5_mT6_T7_P12ihipStream_tbENKUlT_T0_E_clISt17integral_constantIbLb0EES10_IbLb1EEEEDaSW_SX_EUlSW_E_NS1_11comp_targetILNS1_3genE2ELNS1_11target_archE906ELNS1_3gpuE6ELNS1_3repE0EEENS1_30default_config_static_selectorELNS0_4arch9wavefront6targetE0EEEvT1_.private_seg_size, 0
	.set _ZN7rocprim17ROCPRIM_400000_NS6detail17trampoline_kernelINS0_14default_configENS1_27scan_by_key_config_selectorIisEEZZNS1_16scan_by_key_implILNS1_25lookback_scan_determinismE0ELb0ES3_N6thrust23THRUST_200600_302600_NS6detail15normal_iteratorINS9_10device_ptrIiEEEENSB_INSC_IsEEEESG_sNS9_4plusIvEENS9_8equal_toIvEEsEE10hipError_tPvRmT2_T3_T4_T5_mT6_T7_P12ihipStream_tbENKUlT_T0_E_clISt17integral_constantIbLb0EES10_IbLb1EEEEDaSW_SX_EUlSW_E_NS1_11comp_targetILNS1_3genE2ELNS1_11target_archE906ELNS1_3gpuE6ELNS1_3repE0EEENS1_30default_config_static_selectorELNS0_4arch9wavefront6targetE0EEEvT1_.uses_vcc, 0
	.set _ZN7rocprim17ROCPRIM_400000_NS6detail17trampoline_kernelINS0_14default_configENS1_27scan_by_key_config_selectorIisEEZZNS1_16scan_by_key_implILNS1_25lookback_scan_determinismE0ELb0ES3_N6thrust23THRUST_200600_302600_NS6detail15normal_iteratorINS9_10device_ptrIiEEEENSB_INSC_IsEEEESG_sNS9_4plusIvEENS9_8equal_toIvEEsEE10hipError_tPvRmT2_T3_T4_T5_mT6_T7_P12ihipStream_tbENKUlT_T0_E_clISt17integral_constantIbLb0EES10_IbLb1EEEEDaSW_SX_EUlSW_E_NS1_11comp_targetILNS1_3genE2ELNS1_11target_archE906ELNS1_3gpuE6ELNS1_3repE0EEENS1_30default_config_static_selectorELNS0_4arch9wavefront6targetE0EEEvT1_.uses_flat_scratch, 0
	.set _ZN7rocprim17ROCPRIM_400000_NS6detail17trampoline_kernelINS0_14default_configENS1_27scan_by_key_config_selectorIisEEZZNS1_16scan_by_key_implILNS1_25lookback_scan_determinismE0ELb0ES3_N6thrust23THRUST_200600_302600_NS6detail15normal_iteratorINS9_10device_ptrIiEEEENSB_INSC_IsEEEESG_sNS9_4plusIvEENS9_8equal_toIvEEsEE10hipError_tPvRmT2_T3_T4_T5_mT6_T7_P12ihipStream_tbENKUlT_T0_E_clISt17integral_constantIbLb0EES10_IbLb1EEEEDaSW_SX_EUlSW_E_NS1_11comp_targetILNS1_3genE2ELNS1_11target_archE906ELNS1_3gpuE6ELNS1_3repE0EEENS1_30default_config_static_selectorELNS0_4arch9wavefront6targetE0EEEvT1_.has_dyn_sized_stack, 0
	.set _ZN7rocprim17ROCPRIM_400000_NS6detail17trampoline_kernelINS0_14default_configENS1_27scan_by_key_config_selectorIisEEZZNS1_16scan_by_key_implILNS1_25lookback_scan_determinismE0ELb0ES3_N6thrust23THRUST_200600_302600_NS6detail15normal_iteratorINS9_10device_ptrIiEEEENSB_INSC_IsEEEESG_sNS9_4plusIvEENS9_8equal_toIvEEsEE10hipError_tPvRmT2_T3_T4_T5_mT6_T7_P12ihipStream_tbENKUlT_T0_E_clISt17integral_constantIbLb0EES10_IbLb1EEEEDaSW_SX_EUlSW_E_NS1_11comp_targetILNS1_3genE2ELNS1_11target_archE906ELNS1_3gpuE6ELNS1_3repE0EEENS1_30default_config_static_selectorELNS0_4arch9wavefront6targetE0EEEvT1_.has_recursion, 0
	.set _ZN7rocprim17ROCPRIM_400000_NS6detail17trampoline_kernelINS0_14default_configENS1_27scan_by_key_config_selectorIisEEZZNS1_16scan_by_key_implILNS1_25lookback_scan_determinismE0ELb0ES3_N6thrust23THRUST_200600_302600_NS6detail15normal_iteratorINS9_10device_ptrIiEEEENSB_INSC_IsEEEESG_sNS9_4plusIvEENS9_8equal_toIvEEsEE10hipError_tPvRmT2_T3_T4_T5_mT6_T7_P12ihipStream_tbENKUlT_T0_E_clISt17integral_constantIbLb0EES10_IbLb1EEEEDaSW_SX_EUlSW_E_NS1_11comp_targetILNS1_3genE2ELNS1_11target_archE906ELNS1_3gpuE6ELNS1_3repE0EEENS1_30default_config_static_selectorELNS0_4arch9wavefront6targetE0EEEvT1_.has_indirect_call, 0
	.section	.AMDGPU.csdata,"",@progbits
; Kernel info:
; codeLenInByte = 0
; TotalNumSgprs: 0
; NumVgprs: 0
; ScratchSize: 0
; MemoryBound: 0
; FloatMode: 240
; IeeeMode: 1
; LDSByteSize: 0 bytes/workgroup (compile time only)
; SGPRBlocks: 0
; VGPRBlocks: 0
; NumSGPRsForWavesPerEU: 1
; NumVGPRsForWavesPerEU: 1
; Occupancy: 16
; WaveLimiterHint : 0
; COMPUTE_PGM_RSRC2:SCRATCH_EN: 0
; COMPUTE_PGM_RSRC2:USER_SGPR: 6
; COMPUTE_PGM_RSRC2:TRAP_HANDLER: 0
; COMPUTE_PGM_RSRC2:TGID_X_EN: 1
; COMPUTE_PGM_RSRC2:TGID_Y_EN: 0
; COMPUTE_PGM_RSRC2:TGID_Z_EN: 0
; COMPUTE_PGM_RSRC2:TIDIG_COMP_CNT: 0
	.section	.text._ZN7rocprim17ROCPRIM_400000_NS6detail17trampoline_kernelINS0_14default_configENS1_27scan_by_key_config_selectorIisEEZZNS1_16scan_by_key_implILNS1_25lookback_scan_determinismE0ELb0ES3_N6thrust23THRUST_200600_302600_NS6detail15normal_iteratorINS9_10device_ptrIiEEEENSB_INSC_IsEEEESG_sNS9_4plusIvEENS9_8equal_toIvEEsEE10hipError_tPvRmT2_T3_T4_T5_mT6_T7_P12ihipStream_tbENKUlT_T0_E_clISt17integral_constantIbLb0EES10_IbLb1EEEEDaSW_SX_EUlSW_E_NS1_11comp_targetILNS1_3genE10ELNS1_11target_archE1200ELNS1_3gpuE4ELNS1_3repE0EEENS1_30default_config_static_selectorELNS0_4arch9wavefront6targetE0EEEvT1_,"axG",@progbits,_ZN7rocprim17ROCPRIM_400000_NS6detail17trampoline_kernelINS0_14default_configENS1_27scan_by_key_config_selectorIisEEZZNS1_16scan_by_key_implILNS1_25lookback_scan_determinismE0ELb0ES3_N6thrust23THRUST_200600_302600_NS6detail15normal_iteratorINS9_10device_ptrIiEEEENSB_INSC_IsEEEESG_sNS9_4plusIvEENS9_8equal_toIvEEsEE10hipError_tPvRmT2_T3_T4_T5_mT6_T7_P12ihipStream_tbENKUlT_T0_E_clISt17integral_constantIbLb0EES10_IbLb1EEEEDaSW_SX_EUlSW_E_NS1_11comp_targetILNS1_3genE10ELNS1_11target_archE1200ELNS1_3gpuE4ELNS1_3repE0EEENS1_30default_config_static_selectorELNS0_4arch9wavefront6targetE0EEEvT1_,comdat
	.protected	_ZN7rocprim17ROCPRIM_400000_NS6detail17trampoline_kernelINS0_14default_configENS1_27scan_by_key_config_selectorIisEEZZNS1_16scan_by_key_implILNS1_25lookback_scan_determinismE0ELb0ES3_N6thrust23THRUST_200600_302600_NS6detail15normal_iteratorINS9_10device_ptrIiEEEENSB_INSC_IsEEEESG_sNS9_4plusIvEENS9_8equal_toIvEEsEE10hipError_tPvRmT2_T3_T4_T5_mT6_T7_P12ihipStream_tbENKUlT_T0_E_clISt17integral_constantIbLb0EES10_IbLb1EEEEDaSW_SX_EUlSW_E_NS1_11comp_targetILNS1_3genE10ELNS1_11target_archE1200ELNS1_3gpuE4ELNS1_3repE0EEENS1_30default_config_static_selectorELNS0_4arch9wavefront6targetE0EEEvT1_ ; -- Begin function _ZN7rocprim17ROCPRIM_400000_NS6detail17trampoline_kernelINS0_14default_configENS1_27scan_by_key_config_selectorIisEEZZNS1_16scan_by_key_implILNS1_25lookback_scan_determinismE0ELb0ES3_N6thrust23THRUST_200600_302600_NS6detail15normal_iteratorINS9_10device_ptrIiEEEENSB_INSC_IsEEEESG_sNS9_4plusIvEENS9_8equal_toIvEEsEE10hipError_tPvRmT2_T3_T4_T5_mT6_T7_P12ihipStream_tbENKUlT_T0_E_clISt17integral_constantIbLb0EES10_IbLb1EEEEDaSW_SX_EUlSW_E_NS1_11comp_targetILNS1_3genE10ELNS1_11target_archE1200ELNS1_3gpuE4ELNS1_3repE0EEENS1_30default_config_static_selectorELNS0_4arch9wavefront6targetE0EEEvT1_
	.globl	_ZN7rocprim17ROCPRIM_400000_NS6detail17trampoline_kernelINS0_14default_configENS1_27scan_by_key_config_selectorIisEEZZNS1_16scan_by_key_implILNS1_25lookback_scan_determinismE0ELb0ES3_N6thrust23THRUST_200600_302600_NS6detail15normal_iteratorINS9_10device_ptrIiEEEENSB_INSC_IsEEEESG_sNS9_4plusIvEENS9_8equal_toIvEEsEE10hipError_tPvRmT2_T3_T4_T5_mT6_T7_P12ihipStream_tbENKUlT_T0_E_clISt17integral_constantIbLb0EES10_IbLb1EEEEDaSW_SX_EUlSW_E_NS1_11comp_targetILNS1_3genE10ELNS1_11target_archE1200ELNS1_3gpuE4ELNS1_3repE0EEENS1_30default_config_static_selectorELNS0_4arch9wavefront6targetE0EEEvT1_
	.p2align	8
	.type	_ZN7rocprim17ROCPRIM_400000_NS6detail17trampoline_kernelINS0_14default_configENS1_27scan_by_key_config_selectorIisEEZZNS1_16scan_by_key_implILNS1_25lookback_scan_determinismE0ELb0ES3_N6thrust23THRUST_200600_302600_NS6detail15normal_iteratorINS9_10device_ptrIiEEEENSB_INSC_IsEEEESG_sNS9_4plusIvEENS9_8equal_toIvEEsEE10hipError_tPvRmT2_T3_T4_T5_mT6_T7_P12ihipStream_tbENKUlT_T0_E_clISt17integral_constantIbLb0EES10_IbLb1EEEEDaSW_SX_EUlSW_E_NS1_11comp_targetILNS1_3genE10ELNS1_11target_archE1200ELNS1_3gpuE4ELNS1_3repE0EEENS1_30default_config_static_selectorELNS0_4arch9wavefront6targetE0EEEvT1_,@function
_ZN7rocprim17ROCPRIM_400000_NS6detail17trampoline_kernelINS0_14default_configENS1_27scan_by_key_config_selectorIisEEZZNS1_16scan_by_key_implILNS1_25lookback_scan_determinismE0ELb0ES3_N6thrust23THRUST_200600_302600_NS6detail15normal_iteratorINS9_10device_ptrIiEEEENSB_INSC_IsEEEESG_sNS9_4plusIvEENS9_8equal_toIvEEsEE10hipError_tPvRmT2_T3_T4_T5_mT6_T7_P12ihipStream_tbENKUlT_T0_E_clISt17integral_constantIbLb0EES10_IbLb1EEEEDaSW_SX_EUlSW_E_NS1_11comp_targetILNS1_3genE10ELNS1_11target_archE1200ELNS1_3gpuE4ELNS1_3repE0EEENS1_30default_config_static_selectorELNS0_4arch9wavefront6targetE0EEEvT1_: ; @_ZN7rocprim17ROCPRIM_400000_NS6detail17trampoline_kernelINS0_14default_configENS1_27scan_by_key_config_selectorIisEEZZNS1_16scan_by_key_implILNS1_25lookback_scan_determinismE0ELb0ES3_N6thrust23THRUST_200600_302600_NS6detail15normal_iteratorINS9_10device_ptrIiEEEENSB_INSC_IsEEEESG_sNS9_4plusIvEENS9_8equal_toIvEEsEE10hipError_tPvRmT2_T3_T4_T5_mT6_T7_P12ihipStream_tbENKUlT_T0_E_clISt17integral_constantIbLb0EES10_IbLb1EEEEDaSW_SX_EUlSW_E_NS1_11comp_targetILNS1_3genE10ELNS1_11target_archE1200ELNS1_3gpuE4ELNS1_3repE0EEENS1_30default_config_static_selectorELNS0_4arch9wavefront6targetE0EEEvT1_
; %bb.0:
	.section	.rodata,"a",@progbits
	.p2align	6, 0x0
	.amdhsa_kernel _ZN7rocprim17ROCPRIM_400000_NS6detail17trampoline_kernelINS0_14default_configENS1_27scan_by_key_config_selectorIisEEZZNS1_16scan_by_key_implILNS1_25lookback_scan_determinismE0ELb0ES3_N6thrust23THRUST_200600_302600_NS6detail15normal_iteratorINS9_10device_ptrIiEEEENSB_INSC_IsEEEESG_sNS9_4plusIvEENS9_8equal_toIvEEsEE10hipError_tPvRmT2_T3_T4_T5_mT6_T7_P12ihipStream_tbENKUlT_T0_E_clISt17integral_constantIbLb0EES10_IbLb1EEEEDaSW_SX_EUlSW_E_NS1_11comp_targetILNS1_3genE10ELNS1_11target_archE1200ELNS1_3gpuE4ELNS1_3repE0EEENS1_30default_config_static_selectorELNS0_4arch9wavefront6targetE0EEEvT1_
		.amdhsa_group_segment_fixed_size 0
		.amdhsa_private_segment_fixed_size 0
		.amdhsa_kernarg_size 112
		.amdhsa_user_sgpr_count 6
		.amdhsa_user_sgpr_private_segment_buffer 1
		.amdhsa_user_sgpr_dispatch_ptr 0
		.amdhsa_user_sgpr_queue_ptr 0
		.amdhsa_user_sgpr_kernarg_segment_ptr 1
		.amdhsa_user_sgpr_dispatch_id 0
		.amdhsa_user_sgpr_flat_scratch_init 0
		.amdhsa_user_sgpr_private_segment_size 0
		.amdhsa_wavefront_size32 1
		.amdhsa_uses_dynamic_stack 0
		.amdhsa_system_sgpr_private_segment_wavefront_offset 0
		.amdhsa_system_sgpr_workgroup_id_x 1
		.amdhsa_system_sgpr_workgroup_id_y 0
		.amdhsa_system_sgpr_workgroup_id_z 0
		.amdhsa_system_sgpr_workgroup_info 0
		.amdhsa_system_vgpr_workitem_id 0
		.amdhsa_next_free_vgpr 1
		.amdhsa_next_free_sgpr 1
		.amdhsa_reserve_vcc 0
		.amdhsa_reserve_flat_scratch 0
		.amdhsa_float_round_mode_32 0
		.amdhsa_float_round_mode_16_64 0
		.amdhsa_float_denorm_mode_32 3
		.amdhsa_float_denorm_mode_16_64 3
		.amdhsa_dx10_clamp 1
		.amdhsa_ieee_mode 1
		.amdhsa_fp16_overflow 0
		.amdhsa_workgroup_processor_mode 1
		.amdhsa_memory_ordered 1
		.amdhsa_forward_progress 1
		.amdhsa_shared_vgpr_count 0
		.amdhsa_exception_fp_ieee_invalid_op 0
		.amdhsa_exception_fp_denorm_src 0
		.amdhsa_exception_fp_ieee_div_zero 0
		.amdhsa_exception_fp_ieee_overflow 0
		.amdhsa_exception_fp_ieee_underflow 0
		.amdhsa_exception_fp_ieee_inexact 0
		.amdhsa_exception_int_div_zero 0
	.end_amdhsa_kernel
	.section	.text._ZN7rocprim17ROCPRIM_400000_NS6detail17trampoline_kernelINS0_14default_configENS1_27scan_by_key_config_selectorIisEEZZNS1_16scan_by_key_implILNS1_25lookback_scan_determinismE0ELb0ES3_N6thrust23THRUST_200600_302600_NS6detail15normal_iteratorINS9_10device_ptrIiEEEENSB_INSC_IsEEEESG_sNS9_4plusIvEENS9_8equal_toIvEEsEE10hipError_tPvRmT2_T3_T4_T5_mT6_T7_P12ihipStream_tbENKUlT_T0_E_clISt17integral_constantIbLb0EES10_IbLb1EEEEDaSW_SX_EUlSW_E_NS1_11comp_targetILNS1_3genE10ELNS1_11target_archE1200ELNS1_3gpuE4ELNS1_3repE0EEENS1_30default_config_static_selectorELNS0_4arch9wavefront6targetE0EEEvT1_,"axG",@progbits,_ZN7rocprim17ROCPRIM_400000_NS6detail17trampoline_kernelINS0_14default_configENS1_27scan_by_key_config_selectorIisEEZZNS1_16scan_by_key_implILNS1_25lookback_scan_determinismE0ELb0ES3_N6thrust23THRUST_200600_302600_NS6detail15normal_iteratorINS9_10device_ptrIiEEEENSB_INSC_IsEEEESG_sNS9_4plusIvEENS9_8equal_toIvEEsEE10hipError_tPvRmT2_T3_T4_T5_mT6_T7_P12ihipStream_tbENKUlT_T0_E_clISt17integral_constantIbLb0EES10_IbLb1EEEEDaSW_SX_EUlSW_E_NS1_11comp_targetILNS1_3genE10ELNS1_11target_archE1200ELNS1_3gpuE4ELNS1_3repE0EEENS1_30default_config_static_selectorELNS0_4arch9wavefront6targetE0EEEvT1_,comdat
.Lfunc_end1388:
	.size	_ZN7rocprim17ROCPRIM_400000_NS6detail17trampoline_kernelINS0_14default_configENS1_27scan_by_key_config_selectorIisEEZZNS1_16scan_by_key_implILNS1_25lookback_scan_determinismE0ELb0ES3_N6thrust23THRUST_200600_302600_NS6detail15normal_iteratorINS9_10device_ptrIiEEEENSB_INSC_IsEEEESG_sNS9_4plusIvEENS9_8equal_toIvEEsEE10hipError_tPvRmT2_T3_T4_T5_mT6_T7_P12ihipStream_tbENKUlT_T0_E_clISt17integral_constantIbLb0EES10_IbLb1EEEEDaSW_SX_EUlSW_E_NS1_11comp_targetILNS1_3genE10ELNS1_11target_archE1200ELNS1_3gpuE4ELNS1_3repE0EEENS1_30default_config_static_selectorELNS0_4arch9wavefront6targetE0EEEvT1_, .Lfunc_end1388-_ZN7rocprim17ROCPRIM_400000_NS6detail17trampoline_kernelINS0_14default_configENS1_27scan_by_key_config_selectorIisEEZZNS1_16scan_by_key_implILNS1_25lookback_scan_determinismE0ELb0ES3_N6thrust23THRUST_200600_302600_NS6detail15normal_iteratorINS9_10device_ptrIiEEEENSB_INSC_IsEEEESG_sNS9_4plusIvEENS9_8equal_toIvEEsEE10hipError_tPvRmT2_T3_T4_T5_mT6_T7_P12ihipStream_tbENKUlT_T0_E_clISt17integral_constantIbLb0EES10_IbLb1EEEEDaSW_SX_EUlSW_E_NS1_11comp_targetILNS1_3genE10ELNS1_11target_archE1200ELNS1_3gpuE4ELNS1_3repE0EEENS1_30default_config_static_selectorELNS0_4arch9wavefront6targetE0EEEvT1_
                                        ; -- End function
	.set _ZN7rocprim17ROCPRIM_400000_NS6detail17trampoline_kernelINS0_14default_configENS1_27scan_by_key_config_selectorIisEEZZNS1_16scan_by_key_implILNS1_25lookback_scan_determinismE0ELb0ES3_N6thrust23THRUST_200600_302600_NS6detail15normal_iteratorINS9_10device_ptrIiEEEENSB_INSC_IsEEEESG_sNS9_4plusIvEENS9_8equal_toIvEEsEE10hipError_tPvRmT2_T3_T4_T5_mT6_T7_P12ihipStream_tbENKUlT_T0_E_clISt17integral_constantIbLb0EES10_IbLb1EEEEDaSW_SX_EUlSW_E_NS1_11comp_targetILNS1_3genE10ELNS1_11target_archE1200ELNS1_3gpuE4ELNS1_3repE0EEENS1_30default_config_static_selectorELNS0_4arch9wavefront6targetE0EEEvT1_.num_vgpr, 0
	.set _ZN7rocprim17ROCPRIM_400000_NS6detail17trampoline_kernelINS0_14default_configENS1_27scan_by_key_config_selectorIisEEZZNS1_16scan_by_key_implILNS1_25lookback_scan_determinismE0ELb0ES3_N6thrust23THRUST_200600_302600_NS6detail15normal_iteratorINS9_10device_ptrIiEEEENSB_INSC_IsEEEESG_sNS9_4plusIvEENS9_8equal_toIvEEsEE10hipError_tPvRmT2_T3_T4_T5_mT6_T7_P12ihipStream_tbENKUlT_T0_E_clISt17integral_constantIbLb0EES10_IbLb1EEEEDaSW_SX_EUlSW_E_NS1_11comp_targetILNS1_3genE10ELNS1_11target_archE1200ELNS1_3gpuE4ELNS1_3repE0EEENS1_30default_config_static_selectorELNS0_4arch9wavefront6targetE0EEEvT1_.num_agpr, 0
	.set _ZN7rocprim17ROCPRIM_400000_NS6detail17trampoline_kernelINS0_14default_configENS1_27scan_by_key_config_selectorIisEEZZNS1_16scan_by_key_implILNS1_25lookback_scan_determinismE0ELb0ES3_N6thrust23THRUST_200600_302600_NS6detail15normal_iteratorINS9_10device_ptrIiEEEENSB_INSC_IsEEEESG_sNS9_4plusIvEENS9_8equal_toIvEEsEE10hipError_tPvRmT2_T3_T4_T5_mT6_T7_P12ihipStream_tbENKUlT_T0_E_clISt17integral_constantIbLb0EES10_IbLb1EEEEDaSW_SX_EUlSW_E_NS1_11comp_targetILNS1_3genE10ELNS1_11target_archE1200ELNS1_3gpuE4ELNS1_3repE0EEENS1_30default_config_static_selectorELNS0_4arch9wavefront6targetE0EEEvT1_.numbered_sgpr, 0
	.set _ZN7rocprim17ROCPRIM_400000_NS6detail17trampoline_kernelINS0_14default_configENS1_27scan_by_key_config_selectorIisEEZZNS1_16scan_by_key_implILNS1_25lookback_scan_determinismE0ELb0ES3_N6thrust23THRUST_200600_302600_NS6detail15normal_iteratorINS9_10device_ptrIiEEEENSB_INSC_IsEEEESG_sNS9_4plusIvEENS9_8equal_toIvEEsEE10hipError_tPvRmT2_T3_T4_T5_mT6_T7_P12ihipStream_tbENKUlT_T0_E_clISt17integral_constantIbLb0EES10_IbLb1EEEEDaSW_SX_EUlSW_E_NS1_11comp_targetILNS1_3genE10ELNS1_11target_archE1200ELNS1_3gpuE4ELNS1_3repE0EEENS1_30default_config_static_selectorELNS0_4arch9wavefront6targetE0EEEvT1_.num_named_barrier, 0
	.set _ZN7rocprim17ROCPRIM_400000_NS6detail17trampoline_kernelINS0_14default_configENS1_27scan_by_key_config_selectorIisEEZZNS1_16scan_by_key_implILNS1_25lookback_scan_determinismE0ELb0ES3_N6thrust23THRUST_200600_302600_NS6detail15normal_iteratorINS9_10device_ptrIiEEEENSB_INSC_IsEEEESG_sNS9_4plusIvEENS9_8equal_toIvEEsEE10hipError_tPvRmT2_T3_T4_T5_mT6_T7_P12ihipStream_tbENKUlT_T0_E_clISt17integral_constantIbLb0EES10_IbLb1EEEEDaSW_SX_EUlSW_E_NS1_11comp_targetILNS1_3genE10ELNS1_11target_archE1200ELNS1_3gpuE4ELNS1_3repE0EEENS1_30default_config_static_selectorELNS0_4arch9wavefront6targetE0EEEvT1_.private_seg_size, 0
	.set _ZN7rocprim17ROCPRIM_400000_NS6detail17trampoline_kernelINS0_14default_configENS1_27scan_by_key_config_selectorIisEEZZNS1_16scan_by_key_implILNS1_25lookback_scan_determinismE0ELb0ES3_N6thrust23THRUST_200600_302600_NS6detail15normal_iteratorINS9_10device_ptrIiEEEENSB_INSC_IsEEEESG_sNS9_4plusIvEENS9_8equal_toIvEEsEE10hipError_tPvRmT2_T3_T4_T5_mT6_T7_P12ihipStream_tbENKUlT_T0_E_clISt17integral_constantIbLb0EES10_IbLb1EEEEDaSW_SX_EUlSW_E_NS1_11comp_targetILNS1_3genE10ELNS1_11target_archE1200ELNS1_3gpuE4ELNS1_3repE0EEENS1_30default_config_static_selectorELNS0_4arch9wavefront6targetE0EEEvT1_.uses_vcc, 0
	.set _ZN7rocprim17ROCPRIM_400000_NS6detail17trampoline_kernelINS0_14default_configENS1_27scan_by_key_config_selectorIisEEZZNS1_16scan_by_key_implILNS1_25lookback_scan_determinismE0ELb0ES3_N6thrust23THRUST_200600_302600_NS6detail15normal_iteratorINS9_10device_ptrIiEEEENSB_INSC_IsEEEESG_sNS9_4plusIvEENS9_8equal_toIvEEsEE10hipError_tPvRmT2_T3_T4_T5_mT6_T7_P12ihipStream_tbENKUlT_T0_E_clISt17integral_constantIbLb0EES10_IbLb1EEEEDaSW_SX_EUlSW_E_NS1_11comp_targetILNS1_3genE10ELNS1_11target_archE1200ELNS1_3gpuE4ELNS1_3repE0EEENS1_30default_config_static_selectorELNS0_4arch9wavefront6targetE0EEEvT1_.uses_flat_scratch, 0
	.set _ZN7rocprim17ROCPRIM_400000_NS6detail17trampoline_kernelINS0_14default_configENS1_27scan_by_key_config_selectorIisEEZZNS1_16scan_by_key_implILNS1_25lookback_scan_determinismE0ELb0ES3_N6thrust23THRUST_200600_302600_NS6detail15normal_iteratorINS9_10device_ptrIiEEEENSB_INSC_IsEEEESG_sNS9_4plusIvEENS9_8equal_toIvEEsEE10hipError_tPvRmT2_T3_T4_T5_mT6_T7_P12ihipStream_tbENKUlT_T0_E_clISt17integral_constantIbLb0EES10_IbLb1EEEEDaSW_SX_EUlSW_E_NS1_11comp_targetILNS1_3genE10ELNS1_11target_archE1200ELNS1_3gpuE4ELNS1_3repE0EEENS1_30default_config_static_selectorELNS0_4arch9wavefront6targetE0EEEvT1_.has_dyn_sized_stack, 0
	.set _ZN7rocprim17ROCPRIM_400000_NS6detail17trampoline_kernelINS0_14default_configENS1_27scan_by_key_config_selectorIisEEZZNS1_16scan_by_key_implILNS1_25lookback_scan_determinismE0ELb0ES3_N6thrust23THRUST_200600_302600_NS6detail15normal_iteratorINS9_10device_ptrIiEEEENSB_INSC_IsEEEESG_sNS9_4plusIvEENS9_8equal_toIvEEsEE10hipError_tPvRmT2_T3_T4_T5_mT6_T7_P12ihipStream_tbENKUlT_T0_E_clISt17integral_constantIbLb0EES10_IbLb1EEEEDaSW_SX_EUlSW_E_NS1_11comp_targetILNS1_3genE10ELNS1_11target_archE1200ELNS1_3gpuE4ELNS1_3repE0EEENS1_30default_config_static_selectorELNS0_4arch9wavefront6targetE0EEEvT1_.has_recursion, 0
	.set _ZN7rocprim17ROCPRIM_400000_NS6detail17trampoline_kernelINS0_14default_configENS1_27scan_by_key_config_selectorIisEEZZNS1_16scan_by_key_implILNS1_25lookback_scan_determinismE0ELb0ES3_N6thrust23THRUST_200600_302600_NS6detail15normal_iteratorINS9_10device_ptrIiEEEENSB_INSC_IsEEEESG_sNS9_4plusIvEENS9_8equal_toIvEEsEE10hipError_tPvRmT2_T3_T4_T5_mT6_T7_P12ihipStream_tbENKUlT_T0_E_clISt17integral_constantIbLb0EES10_IbLb1EEEEDaSW_SX_EUlSW_E_NS1_11comp_targetILNS1_3genE10ELNS1_11target_archE1200ELNS1_3gpuE4ELNS1_3repE0EEENS1_30default_config_static_selectorELNS0_4arch9wavefront6targetE0EEEvT1_.has_indirect_call, 0
	.section	.AMDGPU.csdata,"",@progbits
; Kernel info:
; codeLenInByte = 0
; TotalNumSgprs: 0
; NumVgprs: 0
; ScratchSize: 0
; MemoryBound: 0
; FloatMode: 240
; IeeeMode: 1
; LDSByteSize: 0 bytes/workgroup (compile time only)
; SGPRBlocks: 0
; VGPRBlocks: 0
; NumSGPRsForWavesPerEU: 1
; NumVGPRsForWavesPerEU: 1
; Occupancy: 16
; WaveLimiterHint : 0
; COMPUTE_PGM_RSRC2:SCRATCH_EN: 0
; COMPUTE_PGM_RSRC2:USER_SGPR: 6
; COMPUTE_PGM_RSRC2:TRAP_HANDLER: 0
; COMPUTE_PGM_RSRC2:TGID_X_EN: 1
; COMPUTE_PGM_RSRC2:TGID_Y_EN: 0
; COMPUTE_PGM_RSRC2:TGID_Z_EN: 0
; COMPUTE_PGM_RSRC2:TIDIG_COMP_CNT: 0
	.section	.text._ZN7rocprim17ROCPRIM_400000_NS6detail17trampoline_kernelINS0_14default_configENS1_27scan_by_key_config_selectorIisEEZZNS1_16scan_by_key_implILNS1_25lookback_scan_determinismE0ELb0ES3_N6thrust23THRUST_200600_302600_NS6detail15normal_iteratorINS9_10device_ptrIiEEEENSB_INSC_IsEEEESG_sNS9_4plusIvEENS9_8equal_toIvEEsEE10hipError_tPvRmT2_T3_T4_T5_mT6_T7_P12ihipStream_tbENKUlT_T0_E_clISt17integral_constantIbLb0EES10_IbLb1EEEEDaSW_SX_EUlSW_E_NS1_11comp_targetILNS1_3genE9ELNS1_11target_archE1100ELNS1_3gpuE3ELNS1_3repE0EEENS1_30default_config_static_selectorELNS0_4arch9wavefront6targetE0EEEvT1_,"axG",@progbits,_ZN7rocprim17ROCPRIM_400000_NS6detail17trampoline_kernelINS0_14default_configENS1_27scan_by_key_config_selectorIisEEZZNS1_16scan_by_key_implILNS1_25lookback_scan_determinismE0ELb0ES3_N6thrust23THRUST_200600_302600_NS6detail15normal_iteratorINS9_10device_ptrIiEEEENSB_INSC_IsEEEESG_sNS9_4plusIvEENS9_8equal_toIvEEsEE10hipError_tPvRmT2_T3_T4_T5_mT6_T7_P12ihipStream_tbENKUlT_T0_E_clISt17integral_constantIbLb0EES10_IbLb1EEEEDaSW_SX_EUlSW_E_NS1_11comp_targetILNS1_3genE9ELNS1_11target_archE1100ELNS1_3gpuE3ELNS1_3repE0EEENS1_30default_config_static_selectorELNS0_4arch9wavefront6targetE0EEEvT1_,comdat
	.protected	_ZN7rocprim17ROCPRIM_400000_NS6detail17trampoline_kernelINS0_14default_configENS1_27scan_by_key_config_selectorIisEEZZNS1_16scan_by_key_implILNS1_25lookback_scan_determinismE0ELb0ES3_N6thrust23THRUST_200600_302600_NS6detail15normal_iteratorINS9_10device_ptrIiEEEENSB_INSC_IsEEEESG_sNS9_4plusIvEENS9_8equal_toIvEEsEE10hipError_tPvRmT2_T3_T4_T5_mT6_T7_P12ihipStream_tbENKUlT_T0_E_clISt17integral_constantIbLb0EES10_IbLb1EEEEDaSW_SX_EUlSW_E_NS1_11comp_targetILNS1_3genE9ELNS1_11target_archE1100ELNS1_3gpuE3ELNS1_3repE0EEENS1_30default_config_static_selectorELNS0_4arch9wavefront6targetE0EEEvT1_ ; -- Begin function _ZN7rocprim17ROCPRIM_400000_NS6detail17trampoline_kernelINS0_14default_configENS1_27scan_by_key_config_selectorIisEEZZNS1_16scan_by_key_implILNS1_25lookback_scan_determinismE0ELb0ES3_N6thrust23THRUST_200600_302600_NS6detail15normal_iteratorINS9_10device_ptrIiEEEENSB_INSC_IsEEEESG_sNS9_4plusIvEENS9_8equal_toIvEEsEE10hipError_tPvRmT2_T3_T4_T5_mT6_T7_P12ihipStream_tbENKUlT_T0_E_clISt17integral_constantIbLb0EES10_IbLb1EEEEDaSW_SX_EUlSW_E_NS1_11comp_targetILNS1_3genE9ELNS1_11target_archE1100ELNS1_3gpuE3ELNS1_3repE0EEENS1_30default_config_static_selectorELNS0_4arch9wavefront6targetE0EEEvT1_
	.globl	_ZN7rocprim17ROCPRIM_400000_NS6detail17trampoline_kernelINS0_14default_configENS1_27scan_by_key_config_selectorIisEEZZNS1_16scan_by_key_implILNS1_25lookback_scan_determinismE0ELb0ES3_N6thrust23THRUST_200600_302600_NS6detail15normal_iteratorINS9_10device_ptrIiEEEENSB_INSC_IsEEEESG_sNS9_4plusIvEENS9_8equal_toIvEEsEE10hipError_tPvRmT2_T3_T4_T5_mT6_T7_P12ihipStream_tbENKUlT_T0_E_clISt17integral_constantIbLb0EES10_IbLb1EEEEDaSW_SX_EUlSW_E_NS1_11comp_targetILNS1_3genE9ELNS1_11target_archE1100ELNS1_3gpuE3ELNS1_3repE0EEENS1_30default_config_static_selectorELNS0_4arch9wavefront6targetE0EEEvT1_
	.p2align	8
	.type	_ZN7rocprim17ROCPRIM_400000_NS6detail17trampoline_kernelINS0_14default_configENS1_27scan_by_key_config_selectorIisEEZZNS1_16scan_by_key_implILNS1_25lookback_scan_determinismE0ELb0ES3_N6thrust23THRUST_200600_302600_NS6detail15normal_iteratorINS9_10device_ptrIiEEEENSB_INSC_IsEEEESG_sNS9_4plusIvEENS9_8equal_toIvEEsEE10hipError_tPvRmT2_T3_T4_T5_mT6_T7_P12ihipStream_tbENKUlT_T0_E_clISt17integral_constantIbLb0EES10_IbLb1EEEEDaSW_SX_EUlSW_E_NS1_11comp_targetILNS1_3genE9ELNS1_11target_archE1100ELNS1_3gpuE3ELNS1_3repE0EEENS1_30default_config_static_selectorELNS0_4arch9wavefront6targetE0EEEvT1_,@function
_ZN7rocprim17ROCPRIM_400000_NS6detail17trampoline_kernelINS0_14default_configENS1_27scan_by_key_config_selectorIisEEZZNS1_16scan_by_key_implILNS1_25lookback_scan_determinismE0ELb0ES3_N6thrust23THRUST_200600_302600_NS6detail15normal_iteratorINS9_10device_ptrIiEEEENSB_INSC_IsEEEESG_sNS9_4plusIvEENS9_8equal_toIvEEsEE10hipError_tPvRmT2_T3_T4_T5_mT6_T7_P12ihipStream_tbENKUlT_T0_E_clISt17integral_constantIbLb0EES10_IbLb1EEEEDaSW_SX_EUlSW_E_NS1_11comp_targetILNS1_3genE9ELNS1_11target_archE1100ELNS1_3gpuE3ELNS1_3repE0EEENS1_30default_config_static_selectorELNS0_4arch9wavefront6targetE0EEEvT1_: ; @_ZN7rocprim17ROCPRIM_400000_NS6detail17trampoline_kernelINS0_14default_configENS1_27scan_by_key_config_selectorIisEEZZNS1_16scan_by_key_implILNS1_25lookback_scan_determinismE0ELb0ES3_N6thrust23THRUST_200600_302600_NS6detail15normal_iteratorINS9_10device_ptrIiEEEENSB_INSC_IsEEEESG_sNS9_4plusIvEENS9_8equal_toIvEEsEE10hipError_tPvRmT2_T3_T4_T5_mT6_T7_P12ihipStream_tbENKUlT_T0_E_clISt17integral_constantIbLb0EES10_IbLb1EEEEDaSW_SX_EUlSW_E_NS1_11comp_targetILNS1_3genE9ELNS1_11target_archE1100ELNS1_3gpuE3ELNS1_3repE0EEENS1_30default_config_static_selectorELNS0_4arch9wavefront6targetE0EEEvT1_
; %bb.0:
	.section	.rodata,"a",@progbits
	.p2align	6, 0x0
	.amdhsa_kernel _ZN7rocprim17ROCPRIM_400000_NS6detail17trampoline_kernelINS0_14default_configENS1_27scan_by_key_config_selectorIisEEZZNS1_16scan_by_key_implILNS1_25lookback_scan_determinismE0ELb0ES3_N6thrust23THRUST_200600_302600_NS6detail15normal_iteratorINS9_10device_ptrIiEEEENSB_INSC_IsEEEESG_sNS9_4plusIvEENS9_8equal_toIvEEsEE10hipError_tPvRmT2_T3_T4_T5_mT6_T7_P12ihipStream_tbENKUlT_T0_E_clISt17integral_constantIbLb0EES10_IbLb1EEEEDaSW_SX_EUlSW_E_NS1_11comp_targetILNS1_3genE9ELNS1_11target_archE1100ELNS1_3gpuE3ELNS1_3repE0EEENS1_30default_config_static_selectorELNS0_4arch9wavefront6targetE0EEEvT1_
		.amdhsa_group_segment_fixed_size 0
		.amdhsa_private_segment_fixed_size 0
		.amdhsa_kernarg_size 112
		.amdhsa_user_sgpr_count 6
		.amdhsa_user_sgpr_private_segment_buffer 1
		.amdhsa_user_sgpr_dispatch_ptr 0
		.amdhsa_user_sgpr_queue_ptr 0
		.amdhsa_user_sgpr_kernarg_segment_ptr 1
		.amdhsa_user_sgpr_dispatch_id 0
		.amdhsa_user_sgpr_flat_scratch_init 0
		.amdhsa_user_sgpr_private_segment_size 0
		.amdhsa_wavefront_size32 1
		.amdhsa_uses_dynamic_stack 0
		.amdhsa_system_sgpr_private_segment_wavefront_offset 0
		.amdhsa_system_sgpr_workgroup_id_x 1
		.amdhsa_system_sgpr_workgroup_id_y 0
		.amdhsa_system_sgpr_workgroup_id_z 0
		.amdhsa_system_sgpr_workgroup_info 0
		.amdhsa_system_vgpr_workitem_id 0
		.amdhsa_next_free_vgpr 1
		.amdhsa_next_free_sgpr 1
		.amdhsa_reserve_vcc 0
		.amdhsa_reserve_flat_scratch 0
		.amdhsa_float_round_mode_32 0
		.amdhsa_float_round_mode_16_64 0
		.amdhsa_float_denorm_mode_32 3
		.amdhsa_float_denorm_mode_16_64 3
		.amdhsa_dx10_clamp 1
		.amdhsa_ieee_mode 1
		.amdhsa_fp16_overflow 0
		.amdhsa_workgroup_processor_mode 1
		.amdhsa_memory_ordered 1
		.amdhsa_forward_progress 1
		.amdhsa_shared_vgpr_count 0
		.amdhsa_exception_fp_ieee_invalid_op 0
		.amdhsa_exception_fp_denorm_src 0
		.amdhsa_exception_fp_ieee_div_zero 0
		.amdhsa_exception_fp_ieee_overflow 0
		.amdhsa_exception_fp_ieee_underflow 0
		.amdhsa_exception_fp_ieee_inexact 0
		.amdhsa_exception_int_div_zero 0
	.end_amdhsa_kernel
	.section	.text._ZN7rocprim17ROCPRIM_400000_NS6detail17trampoline_kernelINS0_14default_configENS1_27scan_by_key_config_selectorIisEEZZNS1_16scan_by_key_implILNS1_25lookback_scan_determinismE0ELb0ES3_N6thrust23THRUST_200600_302600_NS6detail15normal_iteratorINS9_10device_ptrIiEEEENSB_INSC_IsEEEESG_sNS9_4plusIvEENS9_8equal_toIvEEsEE10hipError_tPvRmT2_T3_T4_T5_mT6_T7_P12ihipStream_tbENKUlT_T0_E_clISt17integral_constantIbLb0EES10_IbLb1EEEEDaSW_SX_EUlSW_E_NS1_11comp_targetILNS1_3genE9ELNS1_11target_archE1100ELNS1_3gpuE3ELNS1_3repE0EEENS1_30default_config_static_selectorELNS0_4arch9wavefront6targetE0EEEvT1_,"axG",@progbits,_ZN7rocprim17ROCPRIM_400000_NS6detail17trampoline_kernelINS0_14default_configENS1_27scan_by_key_config_selectorIisEEZZNS1_16scan_by_key_implILNS1_25lookback_scan_determinismE0ELb0ES3_N6thrust23THRUST_200600_302600_NS6detail15normal_iteratorINS9_10device_ptrIiEEEENSB_INSC_IsEEEESG_sNS9_4plusIvEENS9_8equal_toIvEEsEE10hipError_tPvRmT2_T3_T4_T5_mT6_T7_P12ihipStream_tbENKUlT_T0_E_clISt17integral_constantIbLb0EES10_IbLb1EEEEDaSW_SX_EUlSW_E_NS1_11comp_targetILNS1_3genE9ELNS1_11target_archE1100ELNS1_3gpuE3ELNS1_3repE0EEENS1_30default_config_static_selectorELNS0_4arch9wavefront6targetE0EEEvT1_,comdat
.Lfunc_end1389:
	.size	_ZN7rocprim17ROCPRIM_400000_NS6detail17trampoline_kernelINS0_14default_configENS1_27scan_by_key_config_selectorIisEEZZNS1_16scan_by_key_implILNS1_25lookback_scan_determinismE0ELb0ES3_N6thrust23THRUST_200600_302600_NS6detail15normal_iteratorINS9_10device_ptrIiEEEENSB_INSC_IsEEEESG_sNS9_4plusIvEENS9_8equal_toIvEEsEE10hipError_tPvRmT2_T3_T4_T5_mT6_T7_P12ihipStream_tbENKUlT_T0_E_clISt17integral_constantIbLb0EES10_IbLb1EEEEDaSW_SX_EUlSW_E_NS1_11comp_targetILNS1_3genE9ELNS1_11target_archE1100ELNS1_3gpuE3ELNS1_3repE0EEENS1_30default_config_static_selectorELNS0_4arch9wavefront6targetE0EEEvT1_, .Lfunc_end1389-_ZN7rocprim17ROCPRIM_400000_NS6detail17trampoline_kernelINS0_14default_configENS1_27scan_by_key_config_selectorIisEEZZNS1_16scan_by_key_implILNS1_25lookback_scan_determinismE0ELb0ES3_N6thrust23THRUST_200600_302600_NS6detail15normal_iteratorINS9_10device_ptrIiEEEENSB_INSC_IsEEEESG_sNS9_4plusIvEENS9_8equal_toIvEEsEE10hipError_tPvRmT2_T3_T4_T5_mT6_T7_P12ihipStream_tbENKUlT_T0_E_clISt17integral_constantIbLb0EES10_IbLb1EEEEDaSW_SX_EUlSW_E_NS1_11comp_targetILNS1_3genE9ELNS1_11target_archE1100ELNS1_3gpuE3ELNS1_3repE0EEENS1_30default_config_static_selectorELNS0_4arch9wavefront6targetE0EEEvT1_
                                        ; -- End function
	.set _ZN7rocprim17ROCPRIM_400000_NS6detail17trampoline_kernelINS0_14default_configENS1_27scan_by_key_config_selectorIisEEZZNS1_16scan_by_key_implILNS1_25lookback_scan_determinismE0ELb0ES3_N6thrust23THRUST_200600_302600_NS6detail15normal_iteratorINS9_10device_ptrIiEEEENSB_INSC_IsEEEESG_sNS9_4plusIvEENS9_8equal_toIvEEsEE10hipError_tPvRmT2_T3_T4_T5_mT6_T7_P12ihipStream_tbENKUlT_T0_E_clISt17integral_constantIbLb0EES10_IbLb1EEEEDaSW_SX_EUlSW_E_NS1_11comp_targetILNS1_3genE9ELNS1_11target_archE1100ELNS1_3gpuE3ELNS1_3repE0EEENS1_30default_config_static_selectorELNS0_4arch9wavefront6targetE0EEEvT1_.num_vgpr, 0
	.set _ZN7rocprim17ROCPRIM_400000_NS6detail17trampoline_kernelINS0_14default_configENS1_27scan_by_key_config_selectorIisEEZZNS1_16scan_by_key_implILNS1_25lookback_scan_determinismE0ELb0ES3_N6thrust23THRUST_200600_302600_NS6detail15normal_iteratorINS9_10device_ptrIiEEEENSB_INSC_IsEEEESG_sNS9_4plusIvEENS9_8equal_toIvEEsEE10hipError_tPvRmT2_T3_T4_T5_mT6_T7_P12ihipStream_tbENKUlT_T0_E_clISt17integral_constantIbLb0EES10_IbLb1EEEEDaSW_SX_EUlSW_E_NS1_11comp_targetILNS1_3genE9ELNS1_11target_archE1100ELNS1_3gpuE3ELNS1_3repE0EEENS1_30default_config_static_selectorELNS0_4arch9wavefront6targetE0EEEvT1_.num_agpr, 0
	.set _ZN7rocprim17ROCPRIM_400000_NS6detail17trampoline_kernelINS0_14default_configENS1_27scan_by_key_config_selectorIisEEZZNS1_16scan_by_key_implILNS1_25lookback_scan_determinismE0ELb0ES3_N6thrust23THRUST_200600_302600_NS6detail15normal_iteratorINS9_10device_ptrIiEEEENSB_INSC_IsEEEESG_sNS9_4plusIvEENS9_8equal_toIvEEsEE10hipError_tPvRmT2_T3_T4_T5_mT6_T7_P12ihipStream_tbENKUlT_T0_E_clISt17integral_constantIbLb0EES10_IbLb1EEEEDaSW_SX_EUlSW_E_NS1_11comp_targetILNS1_3genE9ELNS1_11target_archE1100ELNS1_3gpuE3ELNS1_3repE0EEENS1_30default_config_static_selectorELNS0_4arch9wavefront6targetE0EEEvT1_.numbered_sgpr, 0
	.set _ZN7rocprim17ROCPRIM_400000_NS6detail17trampoline_kernelINS0_14default_configENS1_27scan_by_key_config_selectorIisEEZZNS1_16scan_by_key_implILNS1_25lookback_scan_determinismE0ELb0ES3_N6thrust23THRUST_200600_302600_NS6detail15normal_iteratorINS9_10device_ptrIiEEEENSB_INSC_IsEEEESG_sNS9_4plusIvEENS9_8equal_toIvEEsEE10hipError_tPvRmT2_T3_T4_T5_mT6_T7_P12ihipStream_tbENKUlT_T0_E_clISt17integral_constantIbLb0EES10_IbLb1EEEEDaSW_SX_EUlSW_E_NS1_11comp_targetILNS1_3genE9ELNS1_11target_archE1100ELNS1_3gpuE3ELNS1_3repE0EEENS1_30default_config_static_selectorELNS0_4arch9wavefront6targetE0EEEvT1_.num_named_barrier, 0
	.set _ZN7rocprim17ROCPRIM_400000_NS6detail17trampoline_kernelINS0_14default_configENS1_27scan_by_key_config_selectorIisEEZZNS1_16scan_by_key_implILNS1_25lookback_scan_determinismE0ELb0ES3_N6thrust23THRUST_200600_302600_NS6detail15normal_iteratorINS9_10device_ptrIiEEEENSB_INSC_IsEEEESG_sNS9_4plusIvEENS9_8equal_toIvEEsEE10hipError_tPvRmT2_T3_T4_T5_mT6_T7_P12ihipStream_tbENKUlT_T0_E_clISt17integral_constantIbLb0EES10_IbLb1EEEEDaSW_SX_EUlSW_E_NS1_11comp_targetILNS1_3genE9ELNS1_11target_archE1100ELNS1_3gpuE3ELNS1_3repE0EEENS1_30default_config_static_selectorELNS0_4arch9wavefront6targetE0EEEvT1_.private_seg_size, 0
	.set _ZN7rocprim17ROCPRIM_400000_NS6detail17trampoline_kernelINS0_14default_configENS1_27scan_by_key_config_selectorIisEEZZNS1_16scan_by_key_implILNS1_25lookback_scan_determinismE0ELb0ES3_N6thrust23THRUST_200600_302600_NS6detail15normal_iteratorINS9_10device_ptrIiEEEENSB_INSC_IsEEEESG_sNS9_4plusIvEENS9_8equal_toIvEEsEE10hipError_tPvRmT2_T3_T4_T5_mT6_T7_P12ihipStream_tbENKUlT_T0_E_clISt17integral_constantIbLb0EES10_IbLb1EEEEDaSW_SX_EUlSW_E_NS1_11comp_targetILNS1_3genE9ELNS1_11target_archE1100ELNS1_3gpuE3ELNS1_3repE0EEENS1_30default_config_static_selectorELNS0_4arch9wavefront6targetE0EEEvT1_.uses_vcc, 0
	.set _ZN7rocprim17ROCPRIM_400000_NS6detail17trampoline_kernelINS0_14default_configENS1_27scan_by_key_config_selectorIisEEZZNS1_16scan_by_key_implILNS1_25lookback_scan_determinismE0ELb0ES3_N6thrust23THRUST_200600_302600_NS6detail15normal_iteratorINS9_10device_ptrIiEEEENSB_INSC_IsEEEESG_sNS9_4plusIvEENS9_8equal_toIvEEsEE10hipError_tPvRmT2_T3_T4_T5_mT6_T7_P12ihipStream_tbENKUlT_T0_E_clISt17integral_constantIbLb0EES10_IbLb1EEEEDaSW_SX_EUlSW_E_NS1_11comp_targetILNS1_3genE9ELNS1_11target_archE1100ELNS1_3gpuE3ELNS1_3repE0EEENS1_30default_config_static_selectorELNS0_4arch9wavefront6targetE0EEEvT1_.uses_flat_scratch, 0
	.set _ZN7rocprim17ROCPRIM_400000_NS6detail17trampoline_kernelINS0_14default_configENS1_27scan_by_key_config_selectorIisEEZZNS1_16scan_by_key_implILNS1_25lookback_scan_determinismE0ELb0ES3_N6thrust23THRUST_200600_302600_NS6detail15normal_iteratorINS9_10device_ptrIiEEEENSB_INSC_IsEEEESG_sNS9_4plusIvEENS9_8equal_toIvEEsEE10hipError_tPvRmT2_T3_T4_T5_mT6_T7_P12ihipStream_tbENKUlT_T0_E_clISt17integral_constantIbLb0EES10_IbLb1EEEEDaSW_SX_EUlSW_E_NS1_11comp_targetILNS1_3genE9ELNS1_11target_archE1100ELNS1_3gpuE3ELNS1_3repE0EEENS1_30default_config_static_selectorELNS0_4arch9wavefront6targetE0EEEvT1_.has_dyn_sized_stack, 0
	.set _ZN7rocprim17ROCPRIM_400000_NS6detail17trampoline_kernelINS0_14default_configENS1_27scan_by_key_config_selectorIisEEZZNS1_16scan_by_key_implILNS1_25lookback_scan_determinismE0ELb0ES3_N6thrust23THRUST_200600_302600_NS6detail15normal_iteratorINS9_10device_ptrIiEEEENSB_INSC_IsEEEESG_sNS9_4plusIvEENS9_8equal_toIvEEsEE10hipError_tPvRmT2_T3_T4_T5_mT6_T7_P12ihipStream_tbENKUlT_T0_E_clISt17integral_constantIbLb0EES10_IbLb1EEEEDaSW_SX_EUlSW_E_NS1_11comp_targetILNS1_3genE9ELNS1_11target_archE1100ELNS1_3gpuE3ELNS1_3repE0EEENS1_30default_config_static_selectorELNS0_4arch9wavefront6targetE0EEEvT1_.has_recursion, 0
	.set _ZN7rocprim17ROCPRIM_400000_NS6detail17trampoline_kernelINS0_14default_configENS1_27scan_by_key_config_selectorIisEEZZNS1_16scan_by_key_implILNS1_25lookback_scan_determinismE0ELb0ES3_N6thrust23THRUST_200600_302600_NS6detail15normal_iteratorINS9_10device_ptrIiEEEENSB_INSC_IsEEEESG_sNS9_4plusIvEENS9_8equal_toIvEEsEE10hipError_tPvRmT2_T3_T4_T5_mT6_T7_P12ihipStream_tbENKUlT_T0_E_clISt17integral_constantIbLb0EES10_IbLb1EEEEDaSW_SX_EUlSW_E_NS1_11comp_targetILNS1_3genE9ELNS1_11target_archE1100ELNS1_3gpuE3ELNS1_3repE0EEENS1_30default_config_static_selectorELNS0_4arch9wavefront6targetE0EEEvT1_.has_indirect_call, 0
	.section	.AMDGPU.csdata,"",@progbits
; Kernel info:
; codeLenInByte = 0
; TotalNumSgprs: 0
; NumVgprs: 0
; ScratchSize: 0
; MemoryBound: 0
; FloatMode: 240
; IeeeMode: 1
; LDSByteSize: 0 bytes/workgroup (compile time only)
; SGPRBlocks: 0
; VGPRBlocks: 0
; NumSGPRsForWavesPerEU: 1
; NumVGPRsForWavesPerEU: 1
; Occupancy: 16
; WaveLimiterHint : 0
; COMPUTE_PGM_RSRC2:SCRATCH_EN: 0
; COMPUTE_PGM_RSRC2:USER_SGPR: 6
; COMPUTE_PGM_RSRC2:TRAP_HANDLER: 0
; COMPUTE_PGM_RSRC2:TGID_X_EN: 1
; COMPUTE_PGM_RSRC2:TGID_Y_EN: 0
; COMPUTE_PGM_RSRC2:TGID_Z_EN: 0
; COMPUTE_PGM_RSRC2:TIDIG_COMP_CNT: 0
	.section	.text._ZN7rocprim17ROCPRIM_400000_NS6detail17trampoline_kernelINS0_14default_configENS1_27scan_by_key_config_selectorIisEEZZNS1_16scan_by_key_implILNS1_25lookback_scan_determinismE0ELb0ES3_N6thrust23THRUST_200600_302600_NS6detail15normal_iteratorINS9_10device_ptrIiEEEENSB_INSC_IsEEEESG_sNS9_4plusIvEENS9_8equal_toIvEEsEE10hipError_tPvRmT2_T3_T4_T5_mT6_T7_P12ihipStream_tbENKUlT_T0_E_clISt17integral_constantIbLb0EES10_IbLb1EEEEDaSW_SX_EUlSW_E_NS1_11comp_targetILNS1_3genE8ELNS1_11target_archE1030ELNS1_3gpuE2ELNS1_3repE0EEENS1_30default_config_static_selectorELNS0_4arch9wavefront6targetE0EEEvT1_,"axG",@progbits,_ZN7rocprim17ROCPRIM_400000_NS6detail17trampoline_kernelINS0_14default_configENS1_27scan_by_key_config_selectorIisEEZZNS1_16scan_by_key_implILNS1_25lookback_scan_determinismE0ELb0ES3_N6thrust23THRUST_200600_302600_NS6detail15normal_iteratorINS9_10device_ptrIiEEEENSB_INSC_IsEEEESG_sNS9_4plusIvEENS9_8equal_toIvEEsEE10hipError_tPvRmT2_T3_T4_T5_mT6_T7_P12ihipStream_tbENKUlT_T0_E_clISt17integral_constantIbLb0EES10_IbLb1EEEEDaSW_SX_EUlSW_E_NS1_11comp_targetILNS1_3genE8ELNS1_11target_archE1030ELNS1_3gpuE2ELNS1_3repE0EEENS1_30default_config_static_selectorELNS0_4arch9wavefront6targetE0EEEvT1_,comdat
	.protected	_ZN7rocprim17ROCPRIM_400000_NS6detail17trampoline_kernelINS0_14default_configENS1_27scan_by_key_config_selectorIisEEZZNS1_16scan_by_key_implILNS1_25lookback_scan_determinismE0ELb0ES3_N6thrust23THRUST_200600_302600_NS6detail15normal_iteratorINS9_10device_ptrIiEEEENSB_INSC_IsEEEESG_sNS9_4plusIvEENS9_8equal_toIvEEsEE10hipError_tPvRmT2_T3_T4_T5_mT6_T7_P12ihipStream_tbENKUlT_T0_E_clISt17integral_constantIbLb0EES10_IbLb1EEEEDaSW_SX_EUlSW_E_NS1_11comp_targetILNS1_3genE8ELNS1_11target_archE1030ELNS1_3gpuE2ELNS1_3repE0EEENS1_30default_config_static_selectorELNS0_4arch9wavefront6targetE0EEEvT1_ ; -- Begin function _ZN7rocprim17ROCPRIM_400000_NS6detail17trampoline_kernelINS0_14default_configENS1_27scan_by_key_config_selectorIisEEZZNS1_16scan_by_key_implILNS1_25lookback_scan_determinismE0ELb0ES3_N6thrust23THRUST_200600_302600_NS6detail15normal_iteratorINS9_10device_ptrIiEEEENSB_INSC_IsEEEESG_sNS9_4plusIvEENS9_8equal_toIvEEsEE10hipError_tPvRmT2_T3_T4_T5_mT6_T7_P12ihipStream_tbENKUlT_T0_E_clISt17integral_constantIbLb0EES10_IbLb1EEEEDaSW_SX_EUlSW_E_NS1_11comp_targetILNS1_3genE8ELNS1_11target_archE1030ELNS1_3gpuE2ELNS1_3repE0EEENS1_30default_config_static_selectorELNS0_4arch9wavefront6targetE0EEEvT1_
	.globl	_ZN7rocprim17ROCPRIM_400000_NS6detail17trampoline_kernelINS0_14default_configENS1_27scan_by_key_config_selectorIisEEZZNS1_16scan_by_key_implILNS1_25lookback_scan_determinismE0ELb0ES3_N6thrust23THRUST_200600_302600_NS6detail15normal_iteratorINS9_10device_ptrIiEEEENSB_INSC_IsEEEESG_sNS9_4plusIvEENS9_8equal_toIvEEsEE10hipError_tPvRmT2_T3_T4_T5_mT6_T7_P12ihipStream_tbENKUlT_T0_E_clISt17integral_constantIbLb0EES10_IbLb1EEEEDaSW_SX_EUlSW_E_NS1_11comp_targetILNS1_3genE8ELNS1_11target_archE1030ELNS1_3gpuE2ELNS1_3repE0EEENS1_30default_config_static_selectorELNS0_4arch9wavefront6targetE0EEEvT1_
	.p2align	8
	.type	_ZN7rocprim17ROCPRIM_400000_NS6detail17trampoline_kernelINS0_14default_configENS1_27scan_by_key_config_selectorIisEEZZNS1_16scan_by_key_implILNS1_25lookback_scan_determinismE0ELb0ES3_N6thrust23THRUST_200600_302600_NS6detail15normal_iteratorINS9_10device_ptrIiEEEENSB_INSC_IsEEEESG_sNS9_4plusIvEENS9_8equal_toIvEEsEE10hipError_tPvRmT2_T3_T4_T5_mT6_T7_P12ihipStream_tbENKUlT_T0_E_clISt17integral_constantIbLb0EES10_IbLb1EEEEDaSW_SX_EUlSW_E_NS1_11comp_targetILNS1_3genE8ELNS1_11target_archE1030ELNS1_3gpuE2ELNS1_3repE0EEENS1_30default_config_static_selectorELNS0_4arch9wavefront6targetE0EEEvT1_,@function
_ZN7rocprim17ROCPRIM_400000_NS6detail17trampoline_kernelINS0_14default_configENS1_27scan_by_key_config_selectorIisEEZZNS1_16scan_by_key_implILNS1_25lookback_scan_determinismE0ELb0ES3_N6thrust23THRUST_200600_302600_NS6detail15normal_iteratorINS9_10device_ptrIiEEEENSB_INSC_IsEEEESG_sNS9_4plusIvEENS9_8equal_toIvEEsEE10hipError_tPvRmT2_T3_T4_T5_mT6_T7_P12ihipStream_tbENKUlT_T0_E_clISt17integral_constantIbLb0EES10_IbLb1EEEEDaSW_SX_EUlSW_E_NS1_11comp_targetILNS1_3genE8ELNS1_11target_archE1030ELNS1_3gpuE2ELNS1_3repE0EEENS1_30default_config_static_selectorELNS0_4arch9wavefront6targetE0EEEvT1_: ; @_ZN7rocprim17ROCPRIM_400000_NS6detail17trampoline_kernelINS0_14default_configENS1_27scan_by_key_config_selectorIisEEZZNS1_16scan_by_key_implILNS1_25lookback_scan_determinismE0ELb0ES3_N6thrust23THRUST_200600_302600_NS6detail15normal_iteratorINS9_10device_ptrIiEEEENSB_INSC_IsEEEESG_sNS9_4plusIvEENS9_8equal_toIvEEsEE10hipError_tPvRmT2_T3_T4_T5_mT6_T7_P12ihipStream_tbENKUlT_T0_E_clISt17integral_constantIbLb0EES10_IbLb1EEEEDaSW_SX_EUlSW_E_NS1_11comp_targetILNS1_3genE8ELNS1_11target_archE1030ELNS1_3gpuE2ELNS1_3repE0EEENS1_30default_config_static_selectorELNS0_4arch9wavefront6targetE0EEEvT1_
; %bb.0:
	s_clause 0x1
	s_load_dwordx4 s[24:27], s[4:5], 0x28
	s_load_dwordx2 s[28:29], s[4:5], 0x38
	v_cmp_ne_u32_e64 s1, 0, v0
	v_cmp_eq_u32_e64 s0, 0, v0
	s_and_saveexec_b32 s2, s0
	s_cbranch_execz .LBB1390_4
; %bb.1:
	s_mov_b32 s6, exec_lo
	s_mov_b32 s3, exec_lo
	v_mbcnt_lo_u32_b32 v1, s6, 0
                                        ; implicit-def: $vgpr2
	v_cmpx_eq_u32_e32 0, v1
	s_cbranch_execz .LBB1390_3
; %bb.2:
	s_load_dwordx2 s[8:9], s[4:5], 0x68
	s_bcnt1_i32_b32 s6, s6
	v_mov_b32_e32 v2, 0
	v_mov_b32_e32 v3, s6
	s_waitcnt lgkmcnt(0)
	global_atomic_add v2, v2, v3, s[8:9] glc
.LBB1390_3:
	s_or_b32 exec_lo, exec_lo, s3
	s_waitcnt vmcnt(0)
	v_readfirstlane_b32 s3, v2
	v_mov_b32_e32 v2, 0
	v_add_nc_u32_e32 v1, s3, v1
	ds_write_b32 v2, v1
.LBB1390_4:
	s_or_b32 exec_lo, exec_lo, s2
	v_mov_b32_e32 v1, 0
	s_clause 0x2
	s_load_dwordx8 s[8:15], s[4:5], 0x0
	s_load_dword s6, s[4:5], 0x40
	s_load_dwordx8 s[16:23], s[4:5], 0x48
	s_waitcnt lgkmcnt(0)
	s_barrier
	buffer_gl0_inv
	ds_read_b32 v1, v1
	s_mov_b32 s3, 0
	s_waitcnt lgkmcnt(0)
	s_barrier
	buffer_gl0_inv
	s_barrier
	buffer_gl0_inv
	s_lshl_b64 s[4:5], s[10:11], 2
	s_mul_i32 s2, s29, s6
	s_add_u32 s8, s8, s4
	s_addc_u32 s9, s9, s5
	s_lshl_b64 s[10:11], s[10:11], 1
	s_mul_hi_u32 s7, s28, s6
	v_readfirstlane_b32 s34, v1
	s_add_u32 s27, s12, s10
	s_addc_u32 s30, s13, s11
	s_add_i32 s7, s7, s2
	s_cmp_lg_u64 s[20:21], 0
	s_mul_i32 s2, s34, 0x1c0
	s_cselect_b32 s36, -1, 0
	s_lshl_b64 s[4:5], s[2:3], 2
	s_add_u32 s20, s8, s4
	s_addc_u32 s21, s9, s5
	s_lshl_b64 s[12:13], s[2:3], 1
	s_mul_i32 s2, s28, s6
	s_add_u32 s9, s27, s12
	s_addc_u32 s35, s30, s13
	s_add_u32 s30, s2, s34
	s_addc_u32 s31, s7, 0
	s_add_u32 s4, s16, -1
	s_addc_u32 s5, s17, -1
	s_mul_i32 s33, s4, 0xfffffe40
	v_cmp_ge_u64_e64 s27, s[30:31], s[4:5]
	s_and_b32 vcc_lo, exec_lo, s27
	s_cbranch_vccz .LBB1390_46
; %bb.5:
	v_mov_b32_e32 v1, s20
	v_mov_b32_e32 v2, s21
	s_add_i32 s37, s33, s26
	v_cmp_gt_u32_e64 s8, s37, v0
	flat_load_dword v1, v[1:2]
	s_waitcnt vmcnt(0) lgkmcnt(0)
	v_mov_b32_e32 v2, v1
	s_and_saveexec_b32 s2, s8
	s_cbranch_execz .LBB1390_7
; %bb.6:
	v_lshlrev_b32_e32 v2, 2, v0
	v_add_co_u32 v2, s3, s20, v2
	v_add_co_ci_u32_e64 v3, null, s21, 0, s3
	flat_load_dword v2, v[2:3]
.LBB1390_7:
	s_or_b32 exec_lo, exec_lo, s2
	v_or_b32_e32 v3, 64, v0
	v_cmp_gt_u32_e64 s7, s37, v3
	v_mov_b32_e32 v3, v1
	s_and_saveexec_b32 s2, s7
	s_cbranch_execz .LBB1390_9
; %bb.8:
	v_lshlrev_b32_e32 v3, 2, v0
	v_add_co_u32 v3, s3, s20, v3
	v_add_co_ci_u32_e64 v4, null, s21, 0, s3
	flat_load_dword v3, v[3:4] offset:256
.LBB1390_9:
	s_or_b32 exec_lo, exec_lo, s2
	v_or_b32_e32 v4, 0x80, v0
	v_cmp_gt_u32_e64 s6, s37, v4
	v_mov_b32_e32 v4, v1
	s_and_saveexec_b32 s2, s6
	s_cbranch_execz .LBB1390_11
; %bb.10:
	v_lshlrev_b32_e32 v4, 2, v0
	v_add_co_u32 v4, s3, s20, v4
	v_add_co_ci_u32_e64 v5, null, s21, 0, s3
	flat_load_dword v4, v[4:5] offset:512
.LBB1390_11:
	;; [unrolled: 12-line block ×5, first 2 shown]
	s_or_b32 exec_lo, exec_lo, s2
	v_or_b32_e32 v8, 0x180, v0
	s_mov_b32 s16, exec_lo
	v_cmp_gt_u32_e64 s2, s37, v8
	v_cmpx_le_u32_e64 s37, v8
	s_xor_b32 s16, exec_lo, s16
	s_andn2_saveexec_b32 s16, s16
	s_cbranch_execz .LBB1390_19
; %bb.18:
	v_lshlrev_b32_e32 v1, 2, v0
	v_add_co_u32 v8, s17, s20, v1
	v_add_co_ci_u32_e64 v9, null, s21, 0, s17
	flat_load_dword v1, v[8:9] offset:1536
.LBB1390_19:
	s_or_b32 exec_lo, exec_lo, s16
	v_lshlrev_b32_e32 v8, 2, v0
	s_cmp_eq_u64 s[30:31], 0
	s_mov_b64 s[16:17], s[20:21]
	s_waitcnt vmcnt(0) lgkmcnt(0)
	ds_write2st64_b32 v8, v2, v3 offset1:1
	ds_write2st64_b32 v8, v4, v5 offset0:2 offset1:3
	ds_write2st64_b32 v8, v6, v7 offset0:4 offset1:5
	v_mad_u32_u24 v2, v0, 24, v8
	ds_write_b32 v8, v1 offset:1536
	s_waitcnt lgkmcnt(0)
	s_barrier
	buffer_gl0_inv
	ds_read2_b32 v[15:16], v2 offset1:1
	ds_read2_b32 v[13:14], v2 offset0:2 offset1:3
	ds_read2_b32 v[11:12], v2 offset0:4 offset1:5
	ds_read_b32 v18, v2 offset:24
	s_cbranch_scc1 .LBB1390_23
; %bb.20:
	s_andn2_b32 vcc_lo, exec_lo, s36
	s_cbranch_vccnz .LBB1390_181
; %bb.21:
	s_lshl_b64 s[16:17], s[30:31], 2
	s_add_u32 s16, s22, s16
	s_addc_u32 s17, s23, s17
	s_add_u32 s16, s16, -4
	s_addc_u32 s17, s17, -1
	s_cbranch_execnz .LBB1390_23
.LBB1390_22:
	s_add_u32 s16, s20, -4
	s_addc_u32 s17, s21, -1
.LBB1390_23:
	v_mov_b32_e32 v3, s16
	v_mov_b32_e32 v4, s17
	v_mad_i32_i24 v2, 0xffffffe8, v0, v2
	flat_load_dword v1, v[3:4]
	s_waitcnt lgkmcnt(1)
	ds_write_b32 v2, v18 offset:1792
	s_waitcnt vmcnt(0) lgkmcnt(0)
	s_barrier
	buffer_gl0_inv
	s_and_saveexec_b32 s16, s1
; %bb.24:
	ds_read_b32 v1, v2 offset:1788
; %bb.25:
	s_or_b32 exec_lo, exec_lo, s16
	v_mov_b32_e32 v5, 0
	v_lshlrev_b32_e32 v3, 1, v0
	s_waitcnt lgkmcnt(0)
	s_barrier
	buffer_gl0_inv
	v_mov_b32_e32 v6, v5
	v_mov_b32_e32 v7, v5
	;; [unrolled: 1-line block ×3, first 2 shown]
	s_and_saveexec_b32 s16, s8
	s_cbranch_execnz .LBB1390_175
; %bb.26:
	s_or_b32 exec_lo, exec_lo, s16
	s_and_saveexec_b32 s8, s7
	s_cbranch_execnz .LBB1390_176
.LBB1390_27:
	s_or_b32 exec_lo, exec_lo, s8
	s_and_saveexec_b32 s7, s6
	s_cbranch_execnz .LBB1390_177
.LBB1390_28:
	s_or_b32 exec_lo, exec_lo, s7
	s_and_saveexec_b32 s6, s5
	s_cbranch_execnz .LBB1390_178
.LBB1390_29:
	s_or_b32 exec_lo, exec_lo, s6
	s_and_saveexec_b32 s5, s4
	s_cbranch_execnz .LBB1390_179
.LBB1390_30:
	s_or_b32 exec_lo, exec_lo, s5
	s_and_saveexec_b32 s4, s3
	s_cbranch_execnz .LBB1390_180
.LBB1390_31:
	s_or_b32 exec_lo, exec_lo, s4
	s_and_saveexec_b32 s3, s2
	s_cbranch_execz .LBB1390_33
.LBB1390_32:
	v_add_co_u32 v3, s2, s9, v3
	v_add_co_ci_u32_e64 v4, null, s35, 0, s2
	flat_load_short_d16 v8, v[3:4] offset:768
.LBB1390_33:
	s_or_b32 exec_lo, exec_lo, s3
	v_lshlrev_b32_e32 v3, 1, v0
	v_mov_b32_e32 v4, 0
	v_mul_u32_u24_e32 v21, 7, v0
	s_mov_b32 s2, 0
	s_mov_b32 s3, 0
	v_sub_nc_u32_e32 v9, v2, v3
	v_mov_b32_e32 v2, v4
	v_mov_b32_e32 v17, v4
	v_mov_b32_e32 v3, v4
	s_mov_b32 s5, exec_lo
	s_waitcnt vmcnt(0) lgkmcnt(0)
	ds_write_b16 v9, v5
	ds_write_b16_d16_hi v9, v5 offset:128
	ds_write_b16 v9, v6 offset:256
	ds_write_b16_d16_hi v9, v6 offset:384
	ds_write_b16 v9, v7 offset:512
	;; [unrolled: 2-line block ×3, first 2 shown]
	v_mov_b32_e32 v5, v4
	v_mov_b32_e32 v6, v4
	;; [unrolled: 1-line block ×3, first 2 shown]
	s_waitcnt lgkmcnt(0)
	s_barrier
	buffer_gl0_inv
                                        ; implicit-def: $sgpr4
                                        ; implicit-def: $vgpr19
	v_cmpx_gt_u32_e64 s37, v21
	s_cbranch_execz .LBB1390_45
; %bb.34:
	v_mad_u32_u24 v2, v0, 12, v9
	v_mov_b32_e32 v4, 0
	v_cmp_eq_u32_e32 vcc_lo, v1, v15
	s_mov_b32 s6, 0
	s_mov_b32 s3, exec_lo
	ds_read_u16 v17, v2
	v_add_nc_u32_e32 v2, 1, v21
	v_cndmask_b32_e64 v20, 0x10000, 0, vcc_lo
	v_mov_b32_e32 v5, v4
	v_mov_b32_e32 v6, v4
	;; [unrolled: 1-line block ×4, first 2 shown]
                                        ; implicit-def: $sgpr4
                                        ; implicit-def: $vgpr19
	v_cmpx_gt_u32_e64 s37, v2
	s_cbranch_execz .LBB1390_44
; %bb.35:
	v_mul_u32_u24_e32 v1, 12, v0
	v_cmp_eq_u32_e32 vcc_lo, v15, v16
	v_mov_b32_e32 v3, 0
	v_add_nc_u32_e32 v5, 2, v21
	s_mov_b32 s7, 0
	v_add_nc_u32_e32 v1, v9, v1
                                        ; implicit-def: $sgpr4
                                        ; implicit-def: $vgpr19
	v_mov_b32_e32 v4, v3
	v_mov_b32_e32 v2, v3
	ds_read_b96 v[8:10], v1 offset:2
	v_cndmask_b32_e64 v1, 0x10000, 0, vcc_lo
	v_cmp_gt_u32_e32 vcc_lo, s37, v5
	s_waitcnt lgkmcnt(0)
	v_and_or_b32 v1, 0xffff, v8, v1
	v_mov_b32_e32 v7, v4
	v_mov_b32_e32 v6, v3
	;; [unrolled: 1-line block ×4, first 2 shown]
	s_and_saveexec_b32 s6, vcc_lo
	s_cbranch_execz .LBB1390_43
; %bb.36:
	v_cmp_eq_u32_e32 vcc_lo, v16, v13
	v_add_nc_u32_e32 v5, 3, v21
	v_mov_b32_e32 v4, v3
	s_mov_b32 s8, 0
                                        ; implicit-def: $sgpr4
                                        ; implicit-def: $vgpr19
	v_cndmask_b32_e64 v2, 0x10000, 0, vcc_lo
	v_cmp_gt_u32_e32 vcc_lo, s37, v5
	v_or_b32_sdwa v2, v2, v8 dst_sel:DWORD dst_unused:UNUSED_PAD src0_sel:DWORD src1_sel:WORD_1
	v_mov_b32_e32 v7, v4
	v_mov_b32_e32 v6, v3
	;; [unrolled: 1-line block ×4, first 2 shown]
	s_and_saveexec_b32 s7, vcc_lo
	s_cbranch_execz .LBB1390_42
; %bb.37:
	v_cmp_eq_u32_e32 vcc_lo, v13, v14
	v_add_nc_u32_e32 v4, 4, v21
	s_mov_b32 s16, 0
	v_mov_b32_e32 v8, 0
                                        ; implicit-def: $sgpr4
                                        ; implicit-def: $vgpr19
	v_cndmask_b32_e64 v3, 0x10000, 0, vcc_lo
	v_cmp_gt_u32_e32 vcc_lo, s37, v4
	v_mov_b32_e32 v4, s16
	v_and_or_b32 v3, 0xffff, v9, v3
	s_and_saveexec_b32 s8, vcc_lo
	s_cbranch_execz .LBB1390_41
; %bb.38:
	v_cmp_eq_u32_e32 vcc_lo, v14, v11
	v_add_nc_u32_e32 v5, 5, v21
	v_mov_b32_e32 v8, 0
	s_mov_b32 s17, 0
	s_mov_b32 s16, exec_lo
	v_cndmask_b32_e64 v4, 0x10000, 0, vcc_lo
                                        ; implicit-def: $sgpr4
                                        ; implicit-def: $vgpr19
	v_or_b32_sdwa v4, v4, v9 dst_sel:DWORD dst_unused:UNUSED_PAD src0_sel:DWORD src1_sel:WORD_1
	v_cmpx_gt_u32_e64 s37, v5
	s_xor_b32 s16, exec_lo, s16
	s_cbranch_execz .LBB1390_40
; %bb.39:
	v_cmp_eq_u32_e32 vcc_lo, v11, v12
	v_add_nc_u32_e32 v5, 6, v21
	v_lshrrev_b32_e32 v19, 16, v10
	v_cmp_ne_u32_e64 s4, v12, v18
	v_cndmask_b32_e64 v6, 0x10000, 0, vcc_lo
	v_cmp_gt_u32_e32 vcc_lo, s37, v5
	v_and_or_b32 v8, 0xffff, v10, v6
	s_and_b32 s17, vcc_lo, exec_lo
.LBB1390_40:
	s_or_b32 exec_lo, exec_lo, s16
	s_and_b32 s16, s17, exec_lo
.LBB1390_41:
	s_or_b32 exec_lo, exec_lo, s8
	v_mov_b32_e32 v7, v4
	v_mov_b32_e32 v6, v3
	;; [unrolled: 1-line block ×5, first 2 shown]
	s_and_b32 s8, s16, exec_lo
.LBB1390_42:
	s_or_b32 exec_lo, exec_lo, s7
	s_and_b32 s7, s8, exec_lo
.LBB1390_43:
	s_or_b32 exec_lo, exec_lo, s6
	s_and_b32 s6, s7, exec_lo
.LBB1390_44:
	s_or_b32 exec_lo, exec_lo, s3
	s_waitcnt lgkmcnt(0)
	v_or_b32_e32 v2, v20, v17
	s_and_b32 s3, s6, exec_lo
	v_mov_b32_e32 v17, v2
.LBB1390_45:
	s_or_b32 exec_lo, exec_lo, s5
	s_and_b32 vcc_lo, exec_lo, s2
	s_cbranch_vccnz .LBB1390_47
	s_branch .LBB1390_55
.LBB1390_46:
                                        ; implicit-def: $sgpr4
                                        ; implicit-def: $vgpr4_vgpr5_vgpr6_vgpr7
                                        ; implicit-def: $vgpr19
                                        ; implicit-def: $vgpr2
                                        ; implicit-def: $vgpr17
                                        ; implicit-def: $vgpr3
	s_cbranch_execz .LBB1390_55
.LBB1390_47:
	v_lshlrev_b32_e32 v3, 2, v0
	s_cmp_eq_u64 s[30:31], 0
	v_add_co_u32 v1, s2, s20, v3
	v_add_co_ci_u32_e64 v2, null, s21, 0, s2
	v_mad_u32_u24 v12, v0, 24, v3
	s_clause 0x6
	flat_load_dword v4, v[1:2]
	flat_load_dword v5, v[1:2] offset:256
	flat_load_dword v6, v[1:2] offset:512
	flat_load_dword v7, v[1:2] offset:768
	flat_load_dword v8, v[1:2] offset:1024
	flat_load_dword v9, v[1:2] offset:1280
	flat_load_dword v1, v[1:2] offset:1536
	s_waitcnt vmcnt(5) lgkmcnt(5)
	ds_write2st64_b32 v3, v4, v5 offset1:1
	s_waitcnt vmcnt(3) lgkmcnt(4)
	ds_write2st64_b32 v3, v6, v7 offset0:2 offset1:3
	s_waitcnt vmcnt(1) lgkmcnt(3)
	ds_write2st64_b32 v3, v8, v9 offset0:4 offset1:5
	s_waitcnt vmcnt(0) lgkmcnt(3)
	ds_write_b32 v3, v1 offset:1536
	s_waitcnt lgkmcnt(0)
	s_barrier
	buffer_gl0_inv
	ds_read2_b32 v[7:8], v12 offset0:2 offset1:3
	ds_read2_b32 v[3:4], v12 offset1:1
	ds_read2_b32 v[1:2], v12 offset0:3 offset1:4
	ds_read2_b32 v[9:10], v12 offset0:1 offset1:2
	;; [unrolled: 1-line block ×3, first 2 shown]
	s_cbranch_scc1 .LBB1390_52
; %bb.48:
	s_andn2_b32 vcc_lo, exec_lo, s36
	s_cbranch_vccnz .LBB1390_182
; %bb.49:
	s_lshl_b64 s[2:3], s[30:31], 2
	s_add_u32 s2, s22, s2
	s_addc_u32 s3, s23, s3
	s_add_u32 s2, s2, -4
	s_addc_u32 s3, s3, -1
	s_cbranch_execnz .LBB1390_51
.LBB1390_50:
	s_add_u32 s2, s20, -4
	s_addc_u32 s3, s21, -1
.LBB1390_51:
	s_mov_b64 s[20:21], s[2:3]
.LBB1390_52:
	v_mov_b32_e32 v13, s20
	v_mov_b32_e32 v14, s21
	v_mad_i32_i24 v12, 0xffffffe8, v0, v12
	flat_load_dword v11, v[13:14]
	s_waitcnt lgkmcnt(1)
	ds_write_b32 v12, v6 offset:1792
	s_waitcnt vmcnt(0) lgkmcnt(0)
	s_barrier
	buffer_gl0_inv
	s_and_saveexec_b32 s2, s1
; %bb.53:
	ds_read_b32 v11, v12 offset:1788
; %bb.54:
	s_or_b32 exec_lo, exec_lo, s2
	v_lshlrev_b32_e32 v15, 1, v0
	s_waitcnt lgkmcnt(0)
	s_barrier
	buffer_gl0_inv
	v_cmp_eq_u32_e32 vcc_lo, v11, v3
	v_add_co_u32 v13, s2, s9, v15
	v_add_co_ci_u32_e64 v14, null, s35, 0, s2
	v_sub_nc_u32_e32 v12, v12, v15
	v_cmp_ne_u32_e64 s4, v5, v6
	v_cndmask_b32_e64 v6, 0x10000, 0, vcc_lo
	s_clause 0x6
	flat_load_ushort v16, v[13:14]
	flat_load_ushort v17, v[13:14] offset:128
	flat_load_ushort v18, v[13:14] offset:256
	;; [unrolled: 1-line block ×6, first 2 shown]
	v_cmp_ne_u32_e32 vcc_lo, v3, v9
	v_mad_u32_u24 v15, v0, 12, v12
	s_mov_b32 s3, -1
	s_waitcnt vmcnt(6) lgkmcnt(6)
	ds_write_b16 v12, v16
	s_waitcnt vmcnt(5) lgkmcnt(6)
	ds_write_b16 v12, v17 offset:128
	s_waitcnt vmcnt(4) lgkmcnt(6)
	ds_write_b16 v12, v18 offset:256
	s_waitcnt vmcnt(3) lgkmcnt(6)
	ds_write_b16 v12, v19 offset:384
	s_waitcnt vmcnt(2) lgkmcnt(6)
	ds_write_b16 v12, v20 offset:512
	s_waitcnt vmcnt(1) lgkmcnt(6)
	ds_write_b16 v12, v21 offset:640
	s_waitcnt vmcnt(0) lgkmcnt(6)
	ds_write_b16 v12, v13 offset:768
	s_waitcnt lgkmcnt(0)
	s_barrier
	buffer_gl0_inv
	ds_read_b96 v[12:14], v15
	ds_read_u16 v19, v15 offset:12
	v_cndmask_b32_e64 v3, 0, 0x10000, vcc_lo
	v_cmp_ne_u32_e32 vcc_lo, v7, v1
	v_cndmask_b32_e64 v1, 0, 0x10000, vcc_lo
	v_cmp_ne_u32_e32 vcc_lo, v8, v2
	;; [unrolled: 2-line block ×3, first 2 shown]
	v_cndmask_b32_e64 v4, 0, 0x10000, vcc_lo
	v_cmp_eq_u32_e32 vcc_lo, v2, v5
	s_waitcnt lgkmcnt(1)
	v_and_or_b32 v2, 0xffff, v12, v6
	v_and_or_b32 v7, 0xffff, v14, v7
	v_or_b32_sdwa v6, v1, v13 dst_sel:DWORD dst_unused:UNUSED_PAD src0_sel:DWORD src1_sel:WORD_1
	v_and_or_b32 v5, 0xffff, v13, v4
	v_cndmask_b32_e64 v8, 0x10000, 0, vcc_lo
	v_or_b32_sdwa v4, v3, v12 dst_sel:DWORD dst_unused:UNUSED_PAD src0_sel:DWORD src1_sel:WORD_1
	v_mov_b32_e32 v17, v2
	v_or_b32_sdwa v3, v8, v14 dst_sel:DWORD dst_unused:UNUSED_PAD src0_sel:DWORD src1_sel:WORD_1
.LBB1390_55:
	v_mov_b32_e32 v15, 0
	s_and_saveexec_b32 s2, s3
	s_cbranch_execz .LBB1390_57
; %bb.56:
	v_cndmask_b32_e64 v1, 0, 0x10000, s4
	v_mov_b32_e32 v17, v2
	s_waitcnt lgkmcnt(0)
	v_or_b32_sdwa v15, v1, v19 dst_sel:DWORD dst_unused:UNUSED_PAD src0_sel:DWORD src1_sel:WORD_0
.LBB1390_57:
	s_or_b32 exec_lo, exec_lo, s2
	v_cmp_gt_u32_e64 s7, 0x10000, v4
	v_cmp_gt_u32_e64 s6, 0x10000, v5
	;; [unrolled: 1-line block ×6, first 2 shown]
	v_mbcnt_lo_u32_b32 v16, -1, 0
	s_cmp_lg_u32 s34, 0
	s_waitcnt lgkmcnt(0)
	s_barrier
	buffer_gl0_inv
	s_cbranch_scc0 .LBB1390_111
; %bb.58:
	v_cndmask_b32_e64 v1, 0, v17, s7
	v_or_b32_e32 v2, v3, v15
	v_lshrrev_b32_e32 v18, 16, v17
	s_mov_b32 s8, exec_lo
	v_add_nc_u16 v1, v1, v4
	v_or3_b32 v2, v2, v7, v6
	v_cndmask_b32_e64 v1, 0, v1, s6
	v_or3_b32 v2, v2, v5, v4
	v_add_nc_u16 v1, v1, v5
	v_and_b32_e32 v2, 0xff0000, v2
	v_cndmask_b32_e64 v1, 0, v1, s5
	v_cmp_eq_u32_e32 vcc_lo, 0, v2
	v_add_nc_u16 v1, v1, v6
	v_cndmask_b32_e32 v2, 1, v18, vcc_lo
	v_cndmask_b32_e64 v1, 0, v1, s4
	v_and_b32_e32 v9, 0xff, v2
	v_add_nc_u16 v1, v1, v7
	v_cndmask_b32_e64 v1, 0, v1, s3
	v_add_nc_u16 v1, v1, v3
	v_cndmask_b32_e64 v1, 0, v1, s2
	v_add_nc_u16 v1, v1, v15
	v_and_b32_e32 v8, 0xffff, v1
	v_lshl_or_b32 v10, v9, 16, v8
	v_and_b32_e32 v8, 15, v16
	v_mov_b32_dpp v11, v10 row_shr:1 row_mask:0xf bank_mask:0xf
	v_cmpx_ne_u32_e32 0, v8
	s_cbranch_execz .LBB1390_60
; %bb.59:
	v_mov_b32_e32 v10, 1
	v_and_b32_e32 v2, 1, v2
	v_cmp_eq_u16_e32 vcc_lo, 0, v9
	v_and_b32_sdwa v10, v11, v10 dst_sel:DWORD dst_unused:UNUSED_PAD src0_sel:WORD_1 src1_sel:DWORD
	v_cndmask_b32_e32 v9, 0, v11, vcc_lo
	v_cmp_eq_u32_e32 vcc_lo, 1, v2
	v_add_nc_u16 v1, v9, v1
	v_cndmask_b32_e64 v2, v10, 1, vcc_lo
	v_lshlrev_b32_e32 v9, 16, v2
	v_or_b32_sdwa v10, v9, v1 dst_sel:DWORD dst_unused:UNUSED_PAD src0_sel:DWORD src1_sel:WORD_0
.LBB1390_60:
	s_or_b32 exec_lo, exec_lo, s8
	v_lshrrev_b32_e32 v9, 16, v10
	v_mov_b32_dpp v11, v10 row_shr:2 row_mask:0xf bank_mask:0xf
	s_mov_b32 s8, exec_lo
	v_cmpx_lt_u32_e32 1, v8
	s_cbranch_execz .LBB1390_62
; %bb.61:
	v_mov_b32_e32 v2, 1
	v_and_b32_e32 v9, 0x10000, v10
	v_cmp_gt_u32_e32 vcc_lo, 0x10000, v10
	v_and_b32_sdwa v2, v11, v2 dst_sel:DWORD dst_unused:UNUSED_PAD src0_sel:WORD_1 src1_sel:DWORD
	v_cndmask_b32_e32 v10, 0, v11, vcc_lo
	v_cmp_ne_u32_e32 vcc_lo, 0, v9
	v_add_nc_u16 v1, v10, v1
	v_cndmask_b32_e64 v2, v2, 1, vcc_lo
	v_lshlrev_b32_e32 v9, 16, v2
	v_or_b32_sdwa v10, v9, v1 dst_sel:DWORD dst_unused:UNUSED_PAD src0_sel:DWORD src1_sel:WORD_0
	v_mov_b32_e32 v9, v2
.LBB1390_62:
	s_or_b32 exec_lo, exec_lo, s8
	v_mov_b32_dpp v11, v10 row_shr:4 row_mask:0xf bank_mask:0xf
	s_mov_b32 s8, exec_lo
	v_cmpx_lt_u32_e32 3, v8
	s_cbranch_execz .LBB1390_64
; %bb.63:
	v_mov_b32_e32 v2, 1
	v_and_b32_e32 v10, 1, v9
	v_cmp_eq_u16_e32 vcc_lo, 0, v9
	v_and_b32_sdwa v2, v11, v2 dst_sel:DWORD dst_unused:UNUSED_PAD src0_sel:WORD_1 src1_sel:DWORD
	v_cndmask_b32_e32 v9, 0, v11, vcc_lo
	v_cmp_eq_u32_e32 vcc_lo, 1, v10
	v_add_nc_u16 v1, v9, v1
	v_cndmask_b32_e64 v2, v2, 1, vcc_lo
	v_lshlrev_b32_e32 v9, 16, v2
	v_or_b32_sdwa v10, v9, v1 dst_sel:DWORD dst_unused:UNUSED_PAD src0_sel:DWORD src1_sel:WORD_0
	v_mov_b32_e32 v9, v2
.LBB1390_64:
	s_or_b32 exec_lo, exec_lo, s8
	v_mov_b32_dpp v11, v10 row_shr:8 row_mask:0xf bank_mask:0xf
	s_mov_b32 s8, exec_lo
	v_cmpx_lt_u32_e32 7, v8
	s_cbranch_execz .LBB1390_66
; %bb.65:
	v_mov_b32_e32 v2, 1
	v_and_b32_e32 v8, 1, v9
	v_cmp_eq_u16_e32 vcc_lo, 0, v9
	v_and_b32_sdwa v2, v11, v2 dst_sel:DWORD dst_unused:UNUSED_PAD src0_sel:WORD_1 src1_sel:DWORD
	v_cndmask_b32_e32 v9, 0, v11, vcc_lo
	v_cmp_eq_u32_e32 vcc_lo, 1, v8
	v_add_nc_u16 v1, v9, v1
	v_cndmask_b32_e64 v2, v2, 1, vcc_lo
	v_lshlrev_b32_e32 v8, 16, v2
	v_mov_b32_e32 v9, v2
	v_or_b32_sdwa v10, v8, v1 dst_sel:DWORD dst_unused:UNUSED_PAD src0_sel:DWORD src1_sel:WORD_0
.LBB1390_66:
	s_or_b32 exec_lo, exec_lo, s8
	ds_swizzle_b32 v8, v10 offset:swizzle(BROADCAST,32,15)
	v_and_b32_e32 v10, 16, v16
	s_mov_b32 s8, exec_lo
	v_cmpx_ne_u32_e32 0, v10
	s_cbranch_execz .LBB1390_68
; %bb.67:
	v_mov_b32_e32 v2, 1
	v_cmp_eq_u16_e32 vcc_lo, 0, v9
	v_and_b32_e32 v9, 1, v9
	s_waitcnt lgkmcnt(0)
	v_and_b32_sdwa v2, v8, v2 dst_sel:DWORD dst_unused:UNUSED_PAD src0_sel:WORD_1 src1_sel:DWORD
	v_cndmask_b32_e32 v10, 0, v8, vcc_lo
	v_cmp_eq_u32_e32 vcc_lo, 1, v9
	v_add_nc_u16 v1, v10, v1
	v_cndmask_b32_e64 v2, v2, 1, vcc_lo
.LBB1390_68:
	s_or_b32 exec_lo, exec_lo, s8
	s_waitcnt lgkmcnt(0)
	v_or_b32_e32 v8, 31, v0
	v_lshrrev_b32_e32 v9, 5, v0
	v_cmp_eq_u32_e32 vcc_lo, v0, v8
	v_lshlrev_b32_e32 v8, 2, v9
	s_and_saveexec_b32 s8, vcc_lo
	s_cbranch_execz .LBB1390_70
; %bb.69:
	ds_write_b16 v8, v1
	ds_write_b8 v8, v2 offset:2
.LBB1390_70:
	s_or_b32 exec_lo, exec_lo, s8
	s_mov_b32 s8, exec_lo
	s_waitcnt lgkmcnt(0)
	s_barrier
	buffer_gl0_inv
	v_cmpx_gt_u32_e32 2, v0
	s_cbranch_execz .LBB1390_74
; %bb.71:
	v_lshlrev_b32_e32 v9, 2, v0
	v_and_b32_e32 v13, 1, v16
	s_mov_b32 s9, exec_lo
	ds_read_b32 v10, v9
	s_waitcnt lgkmcnt(0)
	v_lshrrev_b32_e32 v11, 16, v10
	v_mov_b32_dpp v12, v10 row_shr:1 row_mask:0xf bank_mask:0xf
	v_cmpx_eq_u32_e32 1, v13
	s_cbranch_execz .LBB1390_73
; %bb.72:
	v_mov_b32_e32 v13, 0
	v_mov_b32_e32 v14, 1
	v_cmp_eq_u16_sdwa vcc_lo, v11, v13 src0_sel:BYTE_0 src1_sel:DWORD
	v_and_b32_e32 v13, 0x10000, v10
	v_cndmask_b32_e32 v11, 0, v12, vcc_lo
	v_and_b32_sdwa v12, v12, v14 dst_sel:DWORD dst_unused:UNUSED_PAD src0_sel:WORD_1 src1_sel:DWORD
	v_cmp_ne_u32_e32 vcc_lo, 0, v13
	v_add_nc_u16 v10, v11, v10
	v_cndmask_b32_e64 v11, v12, 1, vcc_lo
.LBB1390_73:
	s_or_b32 exec_lo, exec_lo, s9
	ds_write_b16 v9, v10
	ds_write_b8 v9, v11 offset:2
.LBB1390_74:
	s_or_b32 exec_lo, exec_lo, s8
	v_mov_b32_e32 v19, 0
	v_mov_b32_e32 v20, 0
	s_mov_b32 s9, exec_lo
	v_cmp_gt_u32_e32 vcc_lo, 32, v0
	s_waitcnt lgkmcnt(0)
	s_barrier
	buffer_gl0_inv
	v_cmpx_lt_u32_e32 31, v0
	s_cbranch_execz .LBB1390_76
; %bb.75:
	v_add_nc_u32_e32 v9, -4, v8
	v_add_nc_u32_e32 v8, -2, v8
	ds_read_u16 v19, v9
	ds_read_u8 v20, v8
	v_mov_b32_e32 v8, 0
	v_cmp_eq_u16_sdwa s8, v2, v8 src0_sel:BYTE_0 src1_sel:DWORD
	v_and_b32_e32 v2, 1, v2
	s_waitcnt lgkmcnt(1)
	v_cndmask_b32_e64 v8, 0, v19, s8
	v_cmp_eq_u32_e64 s8, 1, v2
	v_add_nc_u16 v1, v8, v1
	s_waitcnt lgkmcnt(0)
	v_cndmask_b32_e64 v2, v20, 1, s8
.LBB1390_76:
	s_or_b32 exec_lo, exec_lo, s9
	v_sub_co_u32 v8, s8, v16, 1
	v_and_b32_e32 v2, 0xff, v2
	v_and_b32_e32 v1, 0xffff, v1
	v_cmp_gt_i32_e64 s9, 0, v8
	v_lshl_or_b32 v1, v2, 16, v1
	v_cndmask_b32_e64 v8, v8, v16, s9
	v_lshlrev_b32_e32 v2, 2, v8
	ds_bpermute_b32 v21, v2, v1
	s_and_saveexec_b32 s9, vcc_lo
	s_cbranch_execz .LBB1390_116
; %bb.77:
	v_mov_b32_e32 v12, 0
	ds_read_b32 v1, v12 offset:4
	s_and_saveexec_b32 s16, s8
	s_cbranch_execz .LBB1390_79
; %bb.78:
	s_add_i32 s20, s34, 32
	s_mov_b32 s21, 0
	v_mov_b32_e32 v2, 1
	s_lshl_b64 s[20:21], s[20:21], 3
	s_add_u32 s20, s24, s20
	s_addc_u32 s21, s25, s21
	s_waitcnt lgkmcnt(0)
	global_store_dwordx2 v12, v[1:2], s[20:21]
.LBB1390_79:
	s_or_b32 exec_lo, exec_lo, s16
	v_xad_u32 v8, v16, -1, s34
	s_mov_b32 s17, 0
	v_add_nc_u32_e32 v11, 32, v8
	v_lshlrev_b64 v[9:10], 3, v[11:12]
	v_add_co_u32 v13, vcc_lo, s24, v9
	v_add_co_ci_u32_e64 v14, null, s25, v10, vcc_lo
	global_load_dwordx2 v[10:11], v[13:14], off glc dlc
	s_waitcnt vmcnt(0)
	v_cmp_eq_u16_sdwa s20, v11, v12 src0_sel:BYTE_0 src1_sel:DWORD
	s_and_saveexec_b32 s16, s20
	s_cbranch_execz .LBB1390_83
; %bb.80:
	v_mov_b32_e32 v2, 0
.LBB1390_81:                            ; =>This Inner Loop Header: Depth=1
	global_load_dwordx2 v[10:11], v[13:14], off glc dlc
	s_waitcnt vmcnt(0)
	v_cmp_ne_u16_sdwa s20, v11, v2 src0_sel:BYTE_0 src1_sel:DWORD
	s_or_b32 s17, s20, s17
	s_andn2_b32 exec_lo, exec_lo, s17
	s_cbranch_execnz .LBB1390_81
; %bb.82:
	s_or_b32 exec_lo, exec_lo, s17
.LBB1390_83:
	s_or_b32 exec_lo, exec_lo, s16
	v_cmp_ne_u32_e32 vcc_lo, 31, v16
	v_and_b32_e32 v28, 0xffffff, v10
	v_mov_b32_e32 v9, 2
	v_lshlrev_b32_e64 v14, v16, -1
	v_lshrrev_b32_e32 v12, 16, v10
	v_add_co_ci_u32_e64 v2, null, 0, v16, vcc_lo
	v_cmp_eq_u16_sdwa s16, v11, v9 src0_sel:BYTE_0 src1_sel:DWORD
	v_bfe_u32 v13, v10, 16, 8
	v_lshlrev_b32_e32 v2, 2, v2
	v_and_or_b32 v9, s16, v14, 0x80000000
	s_mov_b32 s16, exec_lo
	ds_bpermute_b32 v22, v2, v28
	v_ffbl_b32_e32 v9, v9
	v_cmpx_lt_u32_e64 v16, v9
	s_cbranch_execz .LBB1390_85
; %bb.84:
	v_and_b32_e32 v12, 0xff0000, v10
	v_mov_b32_e32 v13, 1
	v_and_b32_e32 v23, 0x10000, v12
	v_cmp_eq_u32_e32 vcc_lo, 0, v12
	s_waitcnt lgkmcnt(0)
	v_and_b32_sdwa v13, v22, v13 dst_sel:DWORD dst_unused:UNUSED_PAD src0_sel:WORD_1 src1_sel:DWORD
	v_cndmask_b32_e32 v22, 0, v22, vcc_lo
	v_cmp_ne_u32_e32 vcc_lo, 0, v23
	v_add_nc_u16 v10, v22, v10
	v_cndmask_b32_e64 v12, v13, 1, vcc_lo
	v_lshlrev_b32_e32 v13, 16, v12
	v_or_b32_sdwa v28, v13, v10 dst_sel:DWORD dst_unused:UNUSED_PAD src0_sel:DWORD src1_sel:WORD_0
	v_mov_b32_e32 v13, v12
.LBB1390_85:
	s_or_b32 exec_lo, exec_lo, s16
	v_cmp_gt_u32_e32 vcc_lo, 30, v16
	v_add_nc_u32_e32 v23, 2, v16
	s_mov_b32 s16, exec_lo
	s_waitcnt lgkmcnt(0)
	v_cndmask_b32_e64 v22, 0, 2, vcc_lo
	v_add_lshl_u32 v22, v22, v16, 2
	ds_bpermute_b32 v24, v22, v28
	v_cmpx_le_u32_e64 v23, v9
	s_cbranch_execz .LBB1390_87
; %bb.86:
	v_mov_b32_e32 v12, 1
	v_and_b32_e32 v25, 1, v13
	v_cmp_eq_u16_e32 vcc_lo, 0, v13
	s_waitcnt lgkmcnt(0)
	v_and_b32_sdwa v12, v24, v12 dst_sel:DWORD dst_unused:UNUSED_PAD src0_sel:WORD_1 src1_sel:DWORD
	v_cndmask_b32_e32 v13, 0, v24, vcc_lo
	v_cmp_eq_u32_e32 vcc_lo, 1, v25
	v_add_nc_u16 v10, v13, v10
	v_cndmask_b32_e64 v12, v12, 1, vcc_lo
	v_lshlrev_b32_e32 v13, 16, v12
	v_or_b32_sdwa v28, v13, v10 dst_sel:DWORD dst_unused:UNUSED_PAD src0_sel:DWORD src1_sel:WORD_0
	v_mov_b32_e32 v13, v12
.LBB1390_87:
	s_or_b32 exec_lo, exec_lo, s16
	v_cmp_gt_u32_e32 vcc_lo, 28, v16
	v_add_nc_u32_e32 v25, 4, v16
	s_mov_b32 s16, exec_lo
	s_waitcnt lgkmcnt(0)
	v_cndmask_b32_e64 v24, 0, 4, vcc_lo
	v_add_lshl_u32 v24, v24, v16, 2
	ds_bpermute_b32 v26, v24, v28
	v_cmpx_le_u32_e64 v25, v9
	s_cbranch_execz .LBB1390_89
; %bb.88:
	v_mov_b32_e32 v12, 1
	v_and_b32_e32 v27, 1, v13
	v_cmp_eq_u16_e32 vcc_lo, 0, v13
	s_waitcnt lgkmcnt(0)
	v_and_b32_sdwa v12, v26, v12 dst_sel:DWORD dst_unused:UNUSED_PAD src0_sel:WORD_1 src1_sel:DWORD
	v_cndmask_b32_e32 v13, 0, v26, vcc_lo
	v_cmp_eq_u32_e32 vcc_lo, 1, v27
	v_add_nc_u16 v10, v13, v10
	v_cndmask_b32_e64 v12, v12, 1, vcc_lo
	v_lshlrev_b32_e32 v13, 16, v12
	v_or_b32_sdwa v28, v13, v10 dst_sel:DWORD dst_unused:UNUSED_PAD src0_sel:DWORD src1_sel:WORD_0
	v_mov_b32_e32 v13, v12
.LBB1390_89:
	;; [unrolled: 24-line block ×3, first 2 shown]
	s_or_b32 exec_lo, exec_lo, s16
	v_lshl_or_b32 v30, v16, 2, 64
	v_add_nc_u32_e32 v31, 16, v16
	s_mov_b32 s16, exec_lo
	ds_bpermute_b32 v28, v30, v28
	v_cmpx_le_u32_e64 v31, v9
	s_cbranch_execz .LBB1390_93
; %bb.92:
	v_mov_b32_e32 v9, 1
	v_cmp_eq_u16_e32 vcc_lo, 0, v13
	v_and_b32_e32 v13, 1, v13
	s_waitcnt lgkmcnt(0)
	v_and_b32_sdwa v9, v28, v9 dst_sel:DWORD dst_unused:UNUSED_PAD src0_sel:WORD_1 src1_sel:DWORD
	v_cndmask_b32_e32 v12, 0, v28, vcc_lo
	v_cmp_eq_u32_e32 vcc_lo, 1, v13
	v_add_nc_u16 v10, v12, v10
	v_cndmask_b32_e64 v12, v9, 1, vcc_lo
.LBB1390_93:
	s_or_b32 exec_lo, exec_lo, s16
	v_mov_b32_e32 v9, 0
	v_mov_b32_e32 v32, 2
	;; [unrolled: 1-line block ×3, first 2 shown]
	s_branch .LBB1390_96
.LBB1390_94:                            ;   in Loop: Header=BB1390_96 Depth=1
	s_or_b32 exec_lo, exec_lo, s16
	v_cmp_eq_u16_sdwa vcc_lo, v28, v9 src0_sel:BYTE_0 src1_sel:DWORD
	v_and_b32_e32 v12, 1, v28
	v_and_b32_e32 v13, 1, v13
	v_subrev_nc_u32_e32 v8, 32, v8
	s_mov_b32 s16, 0
	v_cndmask_b32_e32 v10, 0, v10, vcc_lo
	v_cmp_eq_u32_e32 vcc_lo, 1, v12
	v_add_nc_u16 v10, v10, v29
	v_cndmask_b32_e64 v12, v13, 1, vcc_lo
.LBB1390_95:                            ;   in Loop: Header=BB1390_96 Depth=1
	s_and_b32 vcc_lo, exec_lo, s16
	s_cbranch_vccnz .LBB1390_112
.LBB1390_96:                            ; =>This Loop Header: Depth=1
                                        ;     Child Loop BB1390_99 Depth 2
	v_cmp_ne_u16_sdwa s16, v11, v32 src0_sel:BYTE_0 src1_sel:DWORD
	s_waitcnt lgkmcnt(0)
	v_mov_b32_e32 v28, v12
	v_mov_b32_e32 v29, v10
                                        ; implicit-def: $vgpr12
                                        ; implicit-def: $vgpr10
	s_cmp_lg_u32 s16, exec_lo
	s_mov_b32 s16, -1
	s_cbranch_scc1 .LBB1390_95
; %bb.97:                               ;   in Loop: Header=BB1390_96 Depth=1
	v_lshlrev_b64 v[10:11], 3, v[8:9]
	v_add_co_u32 v12, vcc_lo, s24, v10
	v_add_co_ci_u32_e64 v13, null, s25, v11, vcc_lo
	global_load_dwordx2 v[10:11], v[12:13], off glc dlc
	s_waitcnt vmcnt(0)
	v_cmp_eq_u16_sdwa s17, v11, v9 src0_sel:BYTE_0 src1_sel:DWORD
	s_and_saveexec_b32 s16, s17
	s_cbranch_execz .LBB1390_101
; %bb.98:                               ;   in Loop: Header=BB1390_96 Depth=1
	s_mov_b32 s17, 0
.LBB1390_99:                            ;   Parent Loop BB1390_96 Depth=1
                                        ; =>  This Inner Loop Header: Depth=2
	global_load_dwordx2 v[10:11], v[12:13], off glc dlc
	s_waitcnt vmcnt(0)
	v_cmp_ne_u16_sdwa s20, v11, v9 src0_sel:BYTE_0 src1_sel:DWORD
	s_or_b32 s17, s20, s17
	s_andn2_b32 exec_lo, exec_lo, s17
	s_cbranch_execnz .LBB1390_99
; %bb.100:                              ;   in Loop: Header=BB1390_96 Depth=1
	s_or_b32 exec_lo, exec_lo, s17
.LBB1390_101:                           ;   in Loop: Header=BB1390_96 Depth=1
	s_or_b32 exec_lo, exec_lo, s16
	v_and_b32_e32 v35, 0xffffff, v10
	v_cmp_eq_u16_sdwa s16, v11, v32 src0_sel:BYTE_0 src1_sel:DWORD
	v_lshrrev_b32_e32 v13, 16, v10
	v_bfe_u32 v34, v10, 16, 8
	ds_bpermute_b32 v36, v2, v35
	v_and_or_b32 v12, s16, v14, 0x80000000
	s_mov_b32 s16, exec_lo
	v_ffbl_b32_e32 v12, v12
	v_cmpx_lt_u32_e64 v16, v12
	s_cbranch_execz .LBB1390_103
; %bb.102:                              ;   in Loop: Header=BB1390_96 Depth=1
	v_and_b32_e32 v13, 0xff0000, v10
	s_waitcnt lgkmcnt(0)
	v_and_b32_sdwa v35, v36, v33 dst_sel:DWORD dst_unused:UNUSED_PAD src0_sel:WORD_1 src1_sel:DWORD
	v_and_b32_e32 v34, 0x10000, v13
	v_cmp_eq_u32_e32 vcc_lo, 0, v13
	v_cndmask_b32_e32 v36, 0, v36, vcc_lo
	v_cmp_ne_u32_e32 vcc_lo, 0, v34
	v_add_nc_u16 v10, v36, v10
	v_cndmask_b32_e64 v13, v35, 1, vcc_lo
	v_lshlrev_b32_e32 v34, 16, v13
	v_or_b32_sdwa v35, v34, v10 dst_sel:DWORD dst_unused:UNUSED_PAD src0_sel:DWORD src1_sel:WORD_0
	v_mov_b32_e32 v34, v13
.LBB1390_103:                           ;   in Loop: Header=BB1390_96 Depth=1
	s_or_b32 exec_lo, exec_lo, s16
	s_waitcnt lgkmcnt(0)
	ds_bpermute_b32 v36, v22, v35
	s_mov_b32 s16, exec_lo
	v_cmpx_le_u32_e64 v23, v12
	s_cbranch_execz .LBB1390_105
; %bb.104:                              ;   in Loop: Header=BB1390_96 Depth=1
	v_and_b32_e32 v13, 1, v34
	v_cmp_eq_u16_e32 vcc_lo, 0, v34
	s_waitcnt lgkmcnt(0)
	v_and_b32_sdwa v35, v36, v33 dst_sel:DWORD dst_unused:UNUSED_PAD src0_sel:WORD_1 src1_sel:DWORD
	v_cndmask_b32_e32 v34, 0, v36, vcc_lo
	v_cmp_eq_u32_e32 vcc_lo, 1, v13
	v_add_nc_u16 v10, v34, v10
	v_cndmask_b32_e64 v13, v35, 1, vcc_lo
	v_lshlrev_b32_e32 v34, 16, v13
	v_or_b32_sdwa v35, v34, v10 dst_sel:DWORD dst_unused:UNUSED_PAD src0_sel:DWORD src1_sel:WORD_0
	v_mov_b32_e32 v34, v13
.LBB1390_105:                           ;   in Loop: Header=BB1390_96 Depth=1
	s_or_b32 exec_lo, exec_lo, s16
	s_waitcnt lgkmcnt(0)
	ds_bpermute_b32 v36, v24, v35
	s_mov_b32 s16, exec_lo
	v_cmpx_le_u32_e64 v25, v12
	s_cbranch_execz .LBB1390_107
; %bb.106:                              ;   in Loop: Header=BB1390_96 Depth=1
	v_and_b32_e32 v13, 1, v34
	v_cmp_eq_u16_e32 vcc_lo, 0, v34
	s_waitcnt lgkmcnt(0)
	v_and_b32_sdwa v35, v36, v33 dst_sel:DWORD dst_unused:UNUSED_PAD src0_sel:WORD_1 src1_sel:DWORD
	v_cndmask_b32_e32 v34, 0, v36, vcc_lo
	v_cmp_eq_u32_e32 vcc_lo, 1, v13
	v_add_nc_u16 v10, v34, v10
	v_cndmask_b32_e64 v13, v35, 1, vcc_lo
	v_lshlrev_b32_e32 v34, 16, v13
	v_or_b32_sdwa v35, v34, v10 dst_sel:DWORD dst_unused:UNUSED_PAD src0_sel:DWORD src1_sel:WORD_0
	v_mov_b32_e32 v34, v13
.LBB1390_107:                           ;   in Loop: Header=BB1390_96 Depth=1
	s_or_b32 exec_lo, exec_lo, s16
	s_waitcnt lgkmcnt(0)
	ds_bpermute_b32 v36, v26, v35
	s_mov_b32 s16, exec_lo
	v_cmpx_le_u32_e64 v27, v12
	s_cbranch_execz .LBB1390_109
; %bb.108:                              ;   in Loop: Header=BB1390_96 Depth=1
	v_and_b32_e32 v13, 1, v34
	v_cmp_eq_u16_e32 vcc_lo, 0, v34
	s_waitcnt lgkmcnt(0)
	v_and_b32_sdwa v35, v36, v33 dst_sel:DWORD dst_unused:UNUSED_PAD src0_sel:WORD_1 src1_sel:DWORD
	v_cndmask_b32_e32 v34, 0, v36, vcc_lo
	v_cmp_eq_u32_e32 vcc_lo, 1, v13
	v_add_nc_u16 v10, v34, v10
	v_cndmask_b32_e64 v13, v35, 1, vcc_lo
	v_lshlrev_b32_e32 v34, 16, v13
	v_or_b32_sdwa v35, v34, v10 dst_sel:DWORD dst_unused:UNUSED_PAD src0_sel:DWORD src1_sel:WORD_0
	v_mov_b32_e32 v34, v13
.LBB1390_109:                           ;   in Loop: Header=BB1390_96 Depth=1
	s_or_b32 exec_lo, exec_lo, s16
	ds_bpermute_b32 v35, v30, v35
	s_mov_b32 s16, exec_lo
	v_cmpx_le_u32_e64 v31, v12
	s_cbranch_execz .LBB1390_94
; %bb.110:                              ;   in Loop: Header=BB1390_96 Depth=1
	v_cmp_eq_u16_e32 vcc_lo, 0, v34
	v_and_b32_e32 v13, 1, v34
	s_waitcnt lgkmcnt(0)
	v_lshrrev_b32_e32 v34, 16, v35
	v_cndmask_b32_e32 v12, 0, v35, vcc_lo
	v_cmp_eq_u32_e32 vcc_lo, 1, v13
	v_add_nc_u16 v10, v12, v10
	v_cndmask_b32_e64 v13, v34, 1, vcc_lo
	s_branch .LBB1390_94
.LBB1390_111:
                                        ; implicit-def: $vgpr14
                                        ; implicit-def: $vgpr8
                                        ; implicit-def: $vgpr9
                                        ; implicit-def: $vgpr10
                                        ; implicit-def: $vgpr11
                                        ; implicit-def: $vgpr12
                                        ; implicit-def: $vgpr13
	s_cbranch_execnz .LBB1390_117
	s_branch .LBB1390_142
.LBB1390_112:
	s_and_saveexec_b32 s16, s8
	s_cbranch_execz .LBB1390_114
; %bb.113:
	v_and_b32_e32 v2, 0xff0000, v1
	v_mov_b32_e32 v8, 1
	v_and_b32_e32 v9, 0x10000, v1
	s_mov_b32 s21, 0
	s_add_i32 s20, s34, 32
	v_cmp_eq_u32_e32 vcc_lo, 0, v2
	v_and_b32_sdwa v8, v28, v8 dst_sel:WORD_1 dst_unused:UNUSED_PAD src0_sel:DWORD src1_sel:DWORD
	s_lshl_b64 s[20:21], s[20:21], 3
	s_add_u32 s20, s24, s20
	v_cndmask_b32_e32 v2, 0, v29, vcc_lo
	v_cmp_eq_u32_e32 vcc_lo, 0, v9
	s_addc_u32 s21, s25, s21
	v_add_nc_u16 v1, v2, v1
	v_cndmask_b32_e32 v2, 0x10000, v8, vcc_lo
	v_mov_b32_e32 v8, 0
	v_or_b32_sdwa v1, v2, v1 dst_sel:DWORD dst_unused:UNUSED_PAD src0_sel:DWORD src1_sel:WORD_0
	v_mov_b32_e32 v2, 2
	global_store_dwordx2 v8, v[1:2], s[20:21]
.LBB1390_114:
	s_or_b32 exec_lo, exec_lo, s16
	s_and_b32 exec_lo, exec_lo, s0
	s_cbranch_execz .LBB1390_116
; %bb.115:
	v_mov_b32_e32 v1, 0
	ds_write_b16 v1, v29 offset:4
	ds_write_b8 v1, v28 offset:6
.LBB1390_116:
	s_or_b32 exec_lo, exec_lo, s9
	s_mov_b32 vcc_lo, s8
	v_mov_b32_e32 v1, 0
	s_waitcnt lgkmcnt(0)
	v_cndmask_b32_sdwa v2, v21, v20, vcc_lo dst_sel:DWORD dst_unused:UNUSED_PAD src0_sel:WORD_1 src1_sel:DWORD
	v_cndmask_b32_e64 v9, v21, v19, s8
	v_and_b32_e32 v10, 0x10000, v17
	v_cmp_gt_u32_e32 vcc_lo, 0x10000, v17
	s_waitcnt_vscnt null, 0x0
	s_barrier
	buffer_gl0_inv
	ds_read_b32 v8, v1 offset:4
	v_and_b32_e32 v2, 1, v2
	v_cndmask_b32_e32 v9, 0, v9, vcc_lo
	v_cmp_ne_u32_e32 vcc_lo, 0, v10
	v_cndmask_b32_e64 v9, v9, 0, s0
	v_cndmask_b32_e64 v2, v2, 1, vcc_lo
	v_add_nc_u16 v9, v9, v17
	v_cndmask_b32_e64 v2, v2, v18, s0
	v_cmp_eq_u16_sdwa vcc_lo, v2, v1 src0_sel:BYTE_0 src1_sel:DWORD
	s_waitcnt lgkmcnt(0)
	v_cndmask_b32_e32 v1, 0, v8, vcc_lo
	v_add_nc_u16 v1, v9, v1
	v_cndmask_b32_e64 v2, 0, v1, s7
	v_and_b32_e32 v14, 0xffff, v1
	v_add_nc_u16 v8, v2, v4
	v_cndmask_b32_e64 v2, 0, v8, s6
	v_add_nc_u16 v9, v2, v5
	v_cndmask_b32_e64 v2, 0, v9, s5
	;; [unrolled: 2-line block ×5, first 2 shown]
	v_add_nc_u16 v2, v2, v15
	v_and_b32_e32 v13, 0xffff, v2
	s_branch .LBB1390_142
.LBB1390_117:
	s_cmp_lg_u64 s[28:29], 0
	s_cselect_b32 s2, -1, 0
	s_cmp_lg_u64 s[18:19], 0
	s_cselect_b32 s3, -1, 0
	s_and_b32 s2, s2, s3
	s_and_b32 s3, s0, s2
	s_and_saveexec_b32 s2, s3
	s_cbranch_execz .LBB1390_119
; %bb.118:
	v_mov_b32_e32 v1, 0
	v_mov_b32_e32 v8, 1
	v_cmp_gt_u32_e32 vcc_lo, 0x10000, v17
	v_and_b32_e32 v9, 0x10000, v17
	s_clause 0x1
	global_load_ushort v2, v1, s[18:19]
	global_load_ubyte v1, v1, s[18:19] offset:2
	s_waitcnt vmcnt(1)
	v_cndmask_b32_e32 v2, 0, v2, vcc_lo
	s_waitcnt vmcnt(0)
	v_and_b32_sdwa v1, v1, v8 dst_sel:WORD_1 dst_unused:UNUSED_PAD src0_sel:DWORD src1_sel:DWORD
	v_cmp_eq_u32_e32 vcc_lo, 0, v9
	v_add_nc_u16 v2, v2, v17
	v_cndmask_b32_e32 v1, 0x10000, v1, vcc_lo
	v_or_b32_sdwa v17, v1, v2 dst_sel:DWORD dst_unused:UNUSED_PAD src0_sel:DWORD src1_sel:WORD_0
.LBB1390_119:
	s_or_b32 exec_lo, exec_lo, s2
	v_cmp_gt_u32_e64 s2, 0x10000, v4
	v_cmp_gt_u32_e64 s3, 0x10000, v5
	;; [unrolled: 1-line block ×4, first 2 shown]
	v_or_b32_e32 v2, v5, v7
	v_cndmask_b32_e64 v1, 0, v17, s2
	v_cmp_gt_u32_e64 s6, 0x10000, v3
	v_cmp_gt_u32_e64 s7, 0x10000, v15
	v_and_b32_e32 v14, 15, v16
	s_mov_b32 s8, exec_lo
	v_add_nc_u16 v8, v1, v4
	v_cndmask_b32_e64 v1, 0, v8, s3
	v_add_nc_u16 v9, v1, v5
	v_cndmask_b32_e64 v1, 0, v9, s4
	;; [unrolled: 2-line block ×3, first 2 shown]
	v_add_nc_u16 v11, v1, v7
	v_or3_b32 v1, v4, v6, v2
	v_cndmask_b32_e64 v2, 0, v11, s6
	v_or3_b32 v1, v1, v3, v15
	v_add_nc_u16 v12, v2, v3
	v_and_b32_e32 v1, 0xff0000, v1
	v_lshrrev_b32_e32 v2, 16, v17
	v_cndmask_b32_e64 v13, 0, v12, s7
	v_cmp_eq_u32_e32 vcc_lo, 0, v1
	v_add_nc_u16 v1, v13, v15
	v_cndmask_b32_e32 v2, 1, v2, vcc_lo
	v_and_b32_e32 v13, 0xffff, v1
	v_and_b32_e32 v18, 0xff, v2
	v_lshl_or_b32 v19, v18, 16, v13
	v_mov_b32_dpp v20, v19 row_shr:1 row_mask:0xf bank_mask:0xf
	v_cmpx_ne_u32_e32 0, v14
	s_cbranch_execz .LBB1390_121
; %bb.120:
	v_mov_b32_e32 v19, 1
	v_and_b32_e32 v2, 1, v2
	v_cmp_eq_u16_e32 vcc_lo, 0, v18
	v_and_b32_sdwa v19, v20, v19 dst_sel:DWORD dst_unused:UNUSED_PAD src0_sel:WORD_1 src1_sel:DWORD
	v_cndmask_b32_e32 v18, 0, v20, vcc_lo
	v_cmp_eq_u32_e32 vcc_lo, 1, v2
	v_add_nc_u16 v1, v1, v18
	v_cndmask_b32_e64 v2, v19, 1, vcc_lo
	v_lshlrev_b32_e32 v18, 16, v2
	v_or_b32_sdwa v19, v18, v1 dst_sel:DWORD dst_unused:UNUSED_PAD src0_sel:DWORD src1_sel:WORD_0
.LBB1390_121:
	s_or_b32 exec_lo, exec_lo, s8
	v_lshrrev_b32_e32 v18, 16, v19
	v_mov_b32_dpp v20, v19 row_shr:2 row_mask:0xf bank_mask:0xf
	s_mov_b32 s8, exec_lo
	v_cmpx_lt_u32_e32 1, v14
	s_cbranch_execz .LBB1390_123
; %bb.122:
	v_mov_b32_e32 v2, 1
	v_and_b32_e32 v18, 0x10000, v19
	v_cmp_gt_u32_e32 vcc_lo, 0x10000, v19
	v_and_b32_sdwa v2, v20, v2 dst_sel:DWORD dst_unused:UNUSED_PAD src0_sel:WORD_1 src1_sel:DWORD
	v_cndmask_b32_e32 v19, 0, v20, vcc_lo
	v_cmp_ne_u32_e32 vcc_lo, 0, v18
	v_add_nc_u16 v1, v19, v1
	v_cndmask_b32_e64 v2, v2, 1, vcc_lo
	v_lshlrev_b32_e32 v18, 16, v2
	v_or_b32_sdwa v19, v18, v1 dst_sel:DWORD dst_unused:UNUSED_PAD src0_sel:DWORD src1_sel:WORD_0
	v_mov_b32_e32 v18, v2
.LBB1390_123:
	s_or_b32 exec_lo, exec_lo, s8
	v_mov_b32_dpp v20, v19 row_shr:4 row_mask:0xf bank_mask:0xf
	s_mov_b32 s8, exec_lo
	v_cmpx_lt_u32_e32 3, v14
	s_cbranch_execz .LBB1390_125
; %bb.124:
	v_mov_b32_e32 v2, 1
	v_and_b32_e32 v19, 1, v18
	v_cmp_eq_u16_e32 vcc_lo, 0, v18
	v_and_b32_sdwa v2, v20, v2 dst_sel:DWORD dst_unused:UNUSED_PAD src0_sel:WORD_1 src1_sel:DWORD
	v_cndmask_b32_e32 v18, 0, v20, vcc_lo
	v_cmp_eq_u32_e32 vcc_lo, 1, v19
	v_add_nc_u16 v1, v18, v1
	v_cndmask_b32_e64 v2, v2, 1, vcc_lo
	v_lshlrev_b32_e32 v18, 16, v2
	v_or_b32_sdwa v19, v18, v1 dst_sel:DWORD dst_unused:UNUSED_PAD src0_sel:DWORD src1_sel:WORD_0
	v_mov_b32_e32 v18, v2
.LBB1390_125:
	s_or_b32 exec_lo, exec_lo, s8
	v_mov_b32_dpp v20, v19 row_shr:8 row_mask:0xf bank_mask:0xf
	s_mov_b32 s8, exec_lo
	v_cmpx_lt_u32_e32 7, v14
	s_cbranch_execz .LBB1390_127
; %bb.126:
	v_mov_b32_e32 v2, 1
	v_and_b32_e32 v14, 1, v18
	v_cmp_eq_u16_e32 vcc_lo, 0, v18
	v_and_b32_sdwa v2, v20, v2 dst_sel:DWORD dst_unused:UNUSED_PAD src0_sel:WORD_1 src1_sel:DWORD
	v_cndmask_b32_e32 v18, 0, v20, vcc_lo
	v_cmp_eq_u32_e32 vcc_lo, 1, v14
	v_add_nc_u16 v1, v18, v1
	v_cndmask_b32_e64 v2, v2, 1, vcc_lo
	v_lshlrev_b32_e32 v14, 16, v2
	v_mov_b32_e32 v18, v2
	v_or_b32_sdwa v19, v14, v1 dst_sel:DWORD dst_unused:UNUSED_PAD src0_sel:DWORD src1_sel:WORD_0
.LBB1390_127:
	s_or_b32 exec_lo, exec_lo, s8
	ds_swizzle_b32 v14, v19 offset:swizzle(BROADCAST,32,15)
	v_and_b32_e32 v19, 16, v16
	s_mov_b32 s8, exec_lo
	v_cmpx_ne_u32_e32 0, v19
	s_cbranch_execz .LBB1390_129
; %bb.128:
	v_mov_b32_e32 v2, 1
	v_cmp_eq_u16_e32 vcc_lo, 0, v18
	v_and_b32_e32 v18, 1, v18
	s_waitcnt lgkmcnt(0)
	v_and_b32_sdwa v2, v14, v2 dst_sel:DWORD dst_unused:UNUSED_PAD src0_sel:WORD_1 src1_sel:DWORD
	v_cndmask_b32_e32 v19, 0, v14, vcc_lo
	v_cmp_eq_u32_e32 vcc_lo, 1, v18
	v_add_nc_u16 v1, v19, v1
	v_cndmask_b32_e64 v2, v2, 1, vcc_lo
.LBB1390_129:
	s_or_b32 exec_lo, exec_lo, s8
	s_waitcnt lgkmcnt(0)
	v_or_b32_e32 v14, 31, v0
	v_lshrrev_b32_e32 v18, 5, v0
	v_cmp_eq_u32_e32 vcc_lo, v0, v14
	v_lshlrev_b32_e32 v14, 2, v18
	s_and_saveexec_b32 s8, vcc_lo
	s_cbranch_execz .LBB1390_131
; %bb.130:
	ds_write_b16 v14, v1
	ds_write_b8 v14, v2 offset:2
.LBB1390_131:
	s_or_b32 exec_lo, exec_lo, s8
	s_mov_b32 s8, exec_lo
	s_waitcnt lgkmcnt(0)
	s_barrier
	buffer_gl0_inv
	v_cmpx_gt_u32_e32 2, v0
	s_cbranch_execz .LBB1390_135
; %bb.132:
	v_lshlrev_b32_e32 v18, 2, v0
	v_and_b32_e32 v22, 1, v16
	s_mov_b32 s9, exec_lo
	ds_read_b32 v19, v18
	s_waitcnt lgkmcnt(0)
	v_lshrrev_b32_e32 v20, 16, v19
	v_mov_b32_dpp v21, v19 row_shr:1 row_mask:0xf bank_mask:0xf
	v_cmpx_eq_u32_e32 1, v22
	s_cbranch_execz .LBB1390_134
; %bb.133:
	v_mov_b32_e32 v22, 0
	v_mov_b32_e32 v23, 1
	v_cmp_eq_u16_sdwa vcc_lo, v20, v22 src0_sel:BYTE_0 src1_sel:DWORD
	v_and_b32_e32 v22, 0x10000, v19
	v_cndmask_b32_e32 v20, 0, v21, vcc_lo
	v_and_b32_sdwa v21, v21, v23 dst_sel:DWORD dst_unused:UNUSED_PAD src0_sel:WORD_1 src1_sel:DWORD
	v_cmp_ne_u32_e32 vcc_lo, 0, v22
	v_add_nc_u16 v19, v20, v19
	v_cndmask_b32_e64 v20, v21, 1, vcc_lo
.LBB1390_134:
	s_or_b32 exec_lo, exec_lo, s9
	ds_write_b16 v18, v19
	ds_write_b8 v18, v20 offset:2
.LBB1390_135:
	s_or_b32 exec_lo, exec_lo, s8
	v_mov_b32_e32 v18, 0
	s_mov_b32 s8, exec_lo
	s_waitcnt lgkmcnt(0)
	s_barrier
	buffer_gl0_inv
	v_cmpx_lt_u32_e32 31, v0
	s_cbranch_execz .LBB1390_137
; %bb.136:
	v_add_nc_u32_e32 v18, -4, v14
	v_add_nc_u32_e32 v14, -2, v14
	v_mov_b32_e32 v19, 0
	ds_read_u16 v18, v18
	ds_read_u8 v14, v14
	v_cmp_eq_u16_sdwa vcc_lo, v2, v19 src0_sel:BYTE_0 src1_sel:DWORD
	v_and_b32_e32 v2, 1, v2
	s_waitcnt lgkmcnt(1)
	v_cndmask_b32_e32 v19, 0, v18, vcc_lo
	v_cmp_eq_u32_e32 vcc_lo, 1, v2
	v_add_nc_u16 v1, v19, v1
	s_waitcnt lgkmcnt(0)
	v_cndmask_b32_e64 v2, v14, 1, vcc_lo
.LBB1390_137:
	s_or_b32 exec_lo, exec_lo, s8
	v_add_nc_u32_e32 v14, -1, v16
	v_and_b32_e32 v2, 0xff, v2
	v_and_b32_e32 v1, 0xffff, v1
	v_cmp_gt_i32_e32 vcc_lo, 0, v14
	v_lshl_or_b32 v1, v2, 16, v1
	v_cndmask_b32_e32 v14, v14, v16, vcc_lo
	v_lshlrev_b32_e32 v2, 2, v14
	ds_bpermute_b32 v1, v2, v1
	s_and_saveexec_b32 s8, s1
	s_cbranch_execz .LBB1390_139
; %bb.138:
	v_cmp_eq_u32_e64 s1, 0, v16
	v_cmp_gt_u32_e32 vcc_lo, 0x10000, v17
	v_mov_b32_e32 v2, 0
	;;#ASMSTART
	;;#ASMEND
	s_waitcnt lgkmcnt(0)
	v_cndmask_b32_e64 v1, v1, v18, s1
	v_cndmask_b32_sdwa v1, v2, v1, vcc_lo dst_sel:DWORD dst_unused:UNUSED_PAD src0_sel:DWORD src1_sel:WORD_0
	v_add_nc_u32_e32 v17, v1, v17
	v_cndmask_b32_e64 v1, 0, v17, s2
	v_add_nc_u16 v8, v1, v4
	v_cndmask_b32_e64 v1, 0, v8, s3
	v_add_nc_u16 v9, v1, v5
	;; [unrolled: 2-line block ×6, first 2 shown]
	v_and_b32_e32 v13, 0xffff, v1
.LBB1390_139:
	s_or_b32 exec_lo, exec_lo, s8
	s_and_saveexec_b32 s1, s0
	s_cbranch_execz .LBB1390_141
; %bb.140:
	v_mov_b32_e32 v3, 0
	s_waitcnt lgkmcnt(0)
	ds_read_u8 v1, v3 offset:6
	ds_read_u16 v2, v3 offset:4
	s_waitcnt lgkmcnt(1)
	v_lshlrev_b32_e32 v1, 16, v1
	s_waitcnt lgkmcnt(0)
	v_or_b32_e32 v1, v1, v2
	v_mov_b32_e32 v2, 2
	global_store_dwordx2 v3, v[1:2], s[24:25] offset:256
.LBB1390_141:
	s_or_b32 exec_lo, exec_lo, s1
	v_mov_b32_e32 v14, v17
.LBB1390_142:
	s_add_u32 s0, s14, s10
	v_mov_b32_e32 v5, 0
	s_addc_u32 s1, s15, s11
	s_add_u32 s0, s0, s12
	s_addc_u32 s1, s1, s13
	s_and_b32 vcc_lo, exec_lo, s27
	s_cbranch_vccz .LBB1390_170
; %bb.143:
	s_waitcnt lgkmcnt(0)
	v_mov_b32_e32 v1, 0
	v_mul_u32_u24_e32 v4, 7, v0
	s_add_i32 s33, s33, s26
	s_mov_b32 s2, exec_lo
	v_mov_b32_e32 v2, v1
	v_mov_b32_e32 v3, v1
	v_cmpx_gt_u32_e64 s33, v4
	s_cbranch_execz .LBB1390_157
; %bb.144:
	v_add_nc_u32_e32 v3, 1, v4
	v_and_b32_e32 v1, 0xffff, v14
	v_mov_b32_e32 v5, 0
	v_mov_b32_e32 v2, 0
	v_cmp_gt_u32_e32 vcc_lo, s33, v3
	v_mov_b32_e32 v3, 0
	s_and_saveexec_b32 s3, vcc_lo
	s_cbranch_execz .LBB1390_156
; %bb.145:
	v_add_nc_u32_e32 v5, 2, v4
	v_perm_b32 v1, v8, v1, 0x5040100
	v_mov_b32_e32 v3, 0
	v_mov_b32_e32 v2, 0
	v_cmp_gt_u32_e32 vcc_lo, s33, v5
	v_mov_b32_e32 v5, 0
	s_and_saveexec_b32 s4, vcc_lo
	s_cbranch_execz .LBB1390_155
; %bb.146:
	v_add_nc_u32_e32 v5, 3, v4
	v_bfi_b32 v2, 0xffff, v9, 0
	v_mov_b32_e32 v3, 0
	v_cmp_gt_u32_e32 vcc_lo, s33, v5
	v_mov_b32_e32 v5, 0
	s_and_saveexec_b32 s5, vcc_lo
	s_cbranch_execz .LBB1390_154
; %bb.147:
	v_add_nc_u32_e32 v5, 4, v4
	v_perm_b32 v2, v10, v2, 0x5040100
	v_mov_b32_e32 v3, 0
	v_cmp_gt_u32_e32 vcc_lo, s33, v5
	v_mov_b32_e32 v5, 0
	s_and_saveexec_b32 s6, vcc_lo
	s_cbranch_execz .LBB1390_153
; %bb.148:
	v_add_nc_u32_e32 v5, 5, v4
	v_bfi_b32 v3, 0xffff, v11, 0
	v_cmp_gt_u32_e32 vcc_lo, s33, v5
	v_mov_b32_e32 v5, 0
	s_and_saveexec_b32 s7, vcc_lo
	s_cbranch_execz .LBB1390_152
; %bb.149:
	v_add_nc_u32_e32 v5, 6, v4
	v_perm_b32 v3, v12, v3, 0x5040100
	v_cmp_gt_u32_e32 vcc_lo, s33, v5
	v_mov_b32_e32 v5, 0
	s_and_saveexec_b32 s8, vcc_lo
; %bb.150:
	v_mov_b32_e32 v5, v13
; %bb.151:
	s_or_b32 exec_lo, exec_lo, s8
.LBB1390_152:
	s_or_b32 exec_lo, exec_lo, s7
.LBB1390_153:
	s_or_b32 exec_lo, exec_lo, s6
.LBB1390_154:
	s_or_b32 exec_lo, exec_lo, s5
.LBB1390_155:
	s_or_b32 exec_lo, exec_lo, s4
.LBB1390_156:
	s_or_b32 exec_lo, exec_lo, s3
.LBB1390_157:
	s_or_b32 exec_lo, exec_lo, s2
	v_lshlrev_b32_e32 v15, 1, v4
	s_waitcnt_vscnt null, 0x0
	s_barrier
	buffer_gl0_inv
	ds_write_b96 v15, v[1:3]
	v_mad_i32_i24 v1, v0, -12, v15
	ds_write_b16 v15, v5 offset:12
	s_waitcnt lgkmcnt(0)
	s_barrier
	buffer_gl0_inv
	ds_read_u16 v16, v1 offset:128
	ds_read_u16 v7, v1 offset:256
	;; [unrolled: 1-line block ×6, first 2 shown]
	v_lshlrev_b32_e32 v1, 1, v0
	v_add_co_u32 v1, s2, s0, v1
	v_add_co_ci_u32_e64 v2, null, s1, 0, s2
	s_mov_b32 s2, exec_lo
	v_cmpx_gt_u32_e64 s33, v0
	s_cbranch_execz .LBB1390_159
; %bb.158:
	v_mul_i32_i24_e32 v17, -12, v0
	v_add_nc_u32_e32 v15, v15, v17
	ds_read_u16 v15, v15
	s_waitcnt lgkmcnt(0)
	flat_store_short v[1:2], v15
.LBB1390_159:
	s_or_b32 exec_lo, exec_lo, s2
	v_or_b32_e32 v15, 64, v0
	s_mov_b32 s2, exec_lo
	v_cmpx_gt_u32_e64 s33, v15
	s_cbranch_execz .LBB1390_161
; %bb.160:
	s_waitcnt lgkmcnt(5)
	flat_store_short v[1:2], v16 offset:128
.LBB1390_161:
	s_or_b32 exec_lo, exec_lo, s2
	v_or_b32_e32 v15, 0x80, v0
	s_mov_b32 s2, exec_lo
	v_cmpx_gt_u32_e64 s33, v15
	s_cbranch_execz .LBB1390_163
; %bb.162:
	s_waitcnt lgkmcnt(4)
	flat_store_short v[1:2], v7 offset:256
.LBB1390_163:
	s_or_b32 exec_lo, exec_lo, s2
	s_waitcnt lgkmcnt(4)
	v_or_b32_e32 v7, 0xc0, v0
	s_mov_b32 s2, exec_lo
	v_cmpx_gt_u32_e64 s33, v7
	s_cbranch_execz .LBB1390_165
; %bb.164:
	s_waitcnt lgkmcnt(3)
	flat_store_short v[1:2], v6 offset:384
.LBB1390_165:
	s_or_b32 exec_lo, exec_lo, s2
	s_waitcnt lgkmcnt(3)
	;; [unrolled: 10-line block ×3, first 2 shown]
	v_or_b32_e32 v5, 0x140, v0
	s_mov_b32 s2, exec_lo
	v_cmpx_gt_u32_e64 s33, v5
	s_cbranch_execz .LBB1390_169
; %bb.168:
	s_waitcnt lgkmcnt(1)
	flat_store_short v[1:2], v4 offset:640
.LBB1390_169:
	s_or_b32 exec_lo, exec_lo, s2
	v_or_b32_e32 v1, 0x180, v0
	v_cmp_gt_u32_e64 s2, s33, v1
	s_branch .LBB1390_172
.LBB1390_170:
	s_mov_b32 s2, 0
                                        ; implicit-def: $vgpr3
	s_cbranch_execz .LBB1390_172
; %bb.171:
	s_waitcnt lgkmcnt(1)
	v_mul_u32_u24_e32 v4, 14, v0
	s_waitcnt lgkmcnt(0)
	v_perm_b32 v3, v12, v11, 0x5040100
	v_perm_b32 v2, v10, v9, 0x5040100
	;; [unrolled: 1-line block ×3, first 2 shown]
	v_mul_i32_i24_e32 v5, -12, v0
	s_waitcnt_vscnt null, 0x0
	s_barrier
	buffer_gl0_inv
	ds_write_b96 v4, v[1:3]
	v_mad_u32_u24 v1, v0, 14, v5
	ds_write_b16 v4, v13 offset:12
	s_waitcnt lgkmcnt(0)
	s_barrier
	buffer_gl0_inv
	ds_read_u16 v4, v1
	ds_read_u16 v5, v1 offset:128
	ds_read_u16 v6, v1 offset:256
	;; [unrolled: 1-line block ×6, first 2 shown]
	v_lshlrev_b32_e32 v1, 1, v0
	s_or_b32 s2, s2, exec_lo
	v_add_co_u32 v1, s3, s0, v1
	v_add_co_ci_u32_e64 v2, null, s1, 0, s3
	s_waitcnt lgkmcnt(6)
	flat_store_short v[1:2], v4
	s_waitcnt lgkmcnt(6)
	flat_store_short v[1:2], v5 offset:128
	s_waitcnt lgkmcnt(6)
	flat_store_short v[1:2], v6 offset:256
	;; [unrolled: 2-line block ×5, first 2 shown]
.LBB1390_172:
	s_and_saveexec_b32 s3, s2
	s_cbranch_execnz .LBB1390_174
; %bb.173:
	s_endpgm
.LBB1390_174:
	v_lshlrev_b32_e32 v0, 1, v0
	v_add_co_u32 v0, s0, s0, v0
	s_waitcnt lgkmcnt(0)
	v_add_co_ci_u32_e64 v1, null, s1, 0, s0
	flat_store_short v[0:1], v3 offset:768
	s_endpgm
.LBB1390_175:
	v_add_co_u32 v7, s8, s9, v3
	v_add_co_ci_u32_e64 v8, null, s35, 0, s8
	v_mov_b32_e32 v6, v5
	v_mov_b32_e32 v9, v5
	flat_load_short_d16 v6, v[7:8]
	v_mov_b32_e32 v7, v5
	v_mov_b32_e32 v8, v5
	s_waitcnt vmcnt(0) lgkmcnt(0)
	v_mov_b32_e32 v5, v6
	v_mov_b32_e32 v6, v7
	;; [unrolled: 1-line block ×4, first 2 shown]
	s_or_b32 exec_lo, exec_lo, s16
	s_and_saveexec_b32 s8, s7
	s_cbranch_execz .LBB1390_27
.LBB1390_176:
	v_add_co_u32 v9, s7, s9, v3
	v_add_co_ci_u32_e64 v10, null, s35, 0, s7
	flat_load_short_d16_hi v5, v[9:10] offset:128
	s_or_b32 exec_lo, exec_lo, s8
	s_and_saveexec_b32 s7, s6
	s_cbranch_execz .LBB1390_28
.LBB1390_177:
	v_add_co_u32 v9, s6, s9, v3
	v_add_co_ci_u32_e64 v10, null, s35, 0, s6
	flat_load_short_d16 v6, v[9:10] offset:256
	s_or_b32 exec_lo, exec_lo, s7
	s_and_saveexec_b32 s6, s5
	s_cbranch_execz .LBB1390_29
.LBB1390_178:
	v_add_co_u32 v9, s5, s9, v3
	v_add_co_ci_u32_e64 v10, null, s35, 0, s5
	s_waitcnt vmcnt(0) lgkmcnt(0)
	flat_load_short_d16_hi v6, v[9:10] offset:384
	s_or_b32 exec_lo, exec_lo, s6
	s_and_saveexec_b32 s5, s4
	s_cbranch_execz .LBB1390_30
.LBB1390_179:
	v_add_co_u32 v9, s4, s9, v3
	v_add_co_ci_u32_e64 v10, null, s35, 0, s4
	flat_load_short_d16 v7, v[9:10] offset:512
	s_or_b32 exec_lo, exec_lo, s5
	s_and_saveexec_b32 s4, s3
	s_cbranch_execz .LBB1390_31
.LBB1390_180:
	v_add_co_u32 v9, s3, s9, v3
	v_add_co_ci_u32_e64 v10, null, s35, 0, s3
	s_waitcnt vmcnt(0) lgkmcnt(0)
	flat_load_short_d16_hi v7, v[9:10] offset:640
	s_or_b32 exec_lo, exec_lo, s4
	s_and_saveexec_b32 s3, s2
	s_cbranch_execnz .LBB1390_32
	s_branch .LBB1390_33
.LBB1390_181:
                                        ; implicit-def: $sgpr16_sgpr17
	s_branch .LBB1390_22
.LBB1390_182:
                                        ; implicit-def: $sgpr2_sgpr3
	s_branch .LBB1390_50
	.section	.rodata,"a",@progbits
	.p2align	6, 0x0
	.amdhsa_kernel _ZN7rocprim17ROCPRIM_400000_NS6detail17trampoline_kernelINS0_14default_configENS1_27scan_by_key_config_selectorIisEEZZNS1_16scan_by_key_implILNS1_25lookback_scan_determinismE0ELb0ES3_N6thrust23THRUST_200600_302600_NS6detail15normal_iteratorINS9_10device_ptrIiEEEENSB_INSC_IsEEEESG_sNS9_4plusIvEENS9_8equal_toIvEEsEE10hipError_tPvRmT2_T3_T4_T5_mT6_T7_P12ihipStream_tbENKUlT_T0_E_clISt17integral_constantIbLb0EES10_IbLb1EEEEDaSW_SX_EUlSW_E_NS1_11comp_targetILNS1_3genE8ELNS1_11target_archE1030ELNS1_3gpuE2ELNS1_3repE0EEENS1_30default_config_static_selectorELNS0_4arch9wavefront6targetE0EEEvT1_
		.amdhsa_group_segment_fixed_size 2304
		.amdhsa_private_segment_fixed_size 0
		.amdhsa_kernarg_size 112
		.amdhsa_user_sgpr_count 6
		.amdhsa_user_sgpr_private_segment_buffer 1
		.amdhsa_user_sgpr_dispatch_ptr 0
		.amdhsa_user_sgpr_queue_ptr 0
		.amdhsa_user_sgpr_kernarg_segment_ptr 1
		.amdhsa_user_sgpr_dispatch_id 0
		.amdhsa_user_sgpr_flat_scratch_init 0
		.amdhsa_user_sgpr_private_segment_size 0
		.amdhsa_wavefront_size32 1
		.amdhsa_uses_dynamic_stack 0
		.amdhsa_system_sgpr_private_segment_wavefront_offset 0
		.amdhsa_system_sgpr_workgroup_id_x 1
		.amdhsa_system_sgpr_workgroup_id_y 0
		.amdhsa_system_sgpr_workgroup_id_z 0
		.amdhsa_system_sgpr_workgroup_info 0
		.amdhsa_system_vgpr_workitem_id 0
		.amdhsa_next_free_vgpr 37
		.amdhsa_next_free_sgpr 38
		.amdhsa_reserve_vcc 1
		.amdhsa_reserve_flat_scratch 1
		.amdhsa_float_round_mode_32 0
		.amdhsa_float_round_mode_16_64 0
		.amdhsa_float_denorm_mode_32 3
		.amdhsa_float_denorm_mode_16_64 3
		.amdhsa_dx10_clamp 1
		.amdhsa_ieee_mode 1
		.amdhsa_fp16_overflow 0
		.amdhsa_workgroup_processor_mode 1
		.amdhsa_memory_ordered 1
		.amdhsa_forward_progress 1
		.amdhsa_shared_vgpr_count 0
		.amdhsa_exception_fp_ieee_invalid_op 0
		.amdhsa_exception_fp_denorm_src 0
		.amdhsa_exception_fp_ieee_div_zero 0
		.amdhsa_exception_fp_ieee_overflow 0
		.amdhsa_exception_fp_ieee_underflow 0
		.amdhsa_exception_fp_ieee_inexact 0
		.amdhsa_exception_int_div_zero 0
	.end_amdhsa_kernel
	.section	.text._ZN7rocprim17ROCPRIM_400000_NS6detail17trampoline_kernelINS0_14default_configENS1_27scan_by_key_config_selectorIisEEZZNS1_16scan_by_key_implILNS1_25lookback_scan_determinismE0ELb0ES3_N6thrust23THRUST_200600_302600_NS6detail15normal_iteratorINS9_10device_ptrIiEEEENSB_INSC_IsEEEESG_sNS9_4plusIvEENS9_8equal_toIvEEsEE10hipError_tPvRmT2_T3_T4_T5_mT6_T7_P12ihipStream_tbENKUlT_T0_E_clISt17integral_constantIbLb0EES10_IbLb1EEEEDaSW_SX_EUlSW_E_NS1_11comp_targetILNS1_3genE8ELNS1_11target_archE1030ELNS1_3gpuE2ELNS1_3repE0EEENS1_30default_config_static_selectorELNS0_4arch9wavefront6targetE0EEEvT1_,"axG",@progbits,_ZN7rocprim17ROCPRIM_400000_NS6detail17trampoline_kernelINS0_14default_configENS1_27scan_by_key_config_selectorIisEEZZNS1_16scan_by_key_implILNS1_25lookback_scan_determinismE0ELb0ES3_N6thrust23THRUST_200600_302600_NS6detail15normal_iteratorINS9_10device_ptrIiEEEENSB_INSC_IsEEEESG_sNS9_4plusIvEENS9_8equal_toIvEEsEE10hipError_tPvRmT2_T3_T4_T5_mT6_T7_P12ihipStream_tbENKUlT_T0_E_clISt17integral_constantIbLb0EES10_IbLb1EEEEDaSW_SX_EUlSW_E_NS1_11comp_targetILNS1_3genE8ELNS1_11target_archE1030ELNS1_3gpuE2ELNS1_3repE0EEENS1_30default_config_static_selectorELNS0_4arch9wavefront6targetE0EEEvT1_,comdat
.Lfunc_end1390:
	.size	_ZN7rocprim17ROCPRIM_400000_NS6detail17trampoline_kernelINS0_14default_configENS1_27scan_by_key_config_selectorIisEEZZNS1_16scan_by_key_implILNS1_25lookback_scan_determinismE0ELb0ES3_N6thrust23THRUST_200600_302600_NS6detail15normal_iteratorINS9_10device_ptrIiEEEENSB_INSC_IsEEEESG_sNS9_4plusIvEENS9_8equal_toIvEEsEE10hipError_tPvRmT2_T3_T4_T5_mT6_T7_P12ihipStream_tbENKUlT_T0_E_clISt17integral_constantIbLb0EES10_IbLb1EEEEDaSW_SX_EUlSW_E_NS1_11comp_targetILNS1_3genE8ELNS1_11target_archE1030ELNS1_3gpuE2ELNS1_3repE0EEENS1_30default_config_static_selectorELNS0_4arch9wavefront6targetE0EEEvT1_, .Lfunc_end1390-_ZN7rocprim17ROCPRIM_400000_NS6detail17trampoline_kernelINS0_14default_configENS1_27scan_by_key_config_selectorIisEEZZNS1_16scan_by_key_implILNS1_25lookback_scan_determinismE0ELb0ES3_N6thrust23THRUST_200600_302600_NS6detail15normal_iteratorINS9_10device_ptrIiEEEENSB_INSC_IsEEEESG_sNS9_4plusIvEENS9_8equal_toIvEEsEE10hipError_tPvRmT2_T3_T4_T5_mT6_T7_P12ihipStream_tbENKUlT_T0_E_clISt17integral_constantIbLb0EES10_IbLb1EEEEDaSW_SX_EUlSW_E_NS1_11comp_targetILNS1_3genE8ELNS1_11target_archE1030ELNS1_3gpuE2ELNS1_3repE0EEENS1_30default_config_static_selectorELNS0_4arch9wavefront6targetE0EEEvT1_
                                        ; -- End function
	.set _ZN7rocprim17ROCPRIM_400000_NS6detail17trampoline_kernelINS0_14default_configENS1_27scan_by_key_config_selectorIisEEZZNS1_16scan_by_key_implILNS1_25lookback_scan_determinismE0ELb0ES3_N6thrust23THRUST_200600_302600_NS6detail15normal_iteratorINS9_10device_ptrIiEEEENSB_INSC_IsEEEESG_sNS9_4plusIvEENS9_8equal_toIvEEsEE10hipError_tPvRmT2_T3_T4_T5_mT6_T7_P12ihipStream_tbENKUlT_T0_E_clISt17integral_constantIbLb0EES10_IbLb1EEEEDaSW_SX_EUlSW_E_NS1_11comp_targetILNS1_3genE8ELNS1_11target_archE1030ELNS1_3gpuE2ELNS1_3repE0EEENS1_30default_config_static_selectorELNS0_4arch9wavefront6targetE0EEEvT1_.num_vgpr, 37
	.set _ZN7rocprim17ROCPRIM_400000_NS6detail17trampoline_kernelINS0_14default_configENS1_27scan_by_key_config_selectorIisEEZZNS1_16scan_by_key_implILNS1_25lookback_scan_determinismE0ELb0ES3_N6thrust23THRUST_200600_302600_NS6detail15normal_iteratorINS9_10device_ptrIiEEEENSB_INSC_IsEEEESG_sNS9_4plusIvEENS9_8equal_toIvEEsEE10hipError_tPvRmT2_T3_T4_T5_mT6_T7_P12ihipStream_tbENKUlT_T0_E_clISt17integral_constantIbLb0EES10_IbLb1EEEEDaSW_SX_EUlSW_E_NS1_11comp_targetILNS1_3genE8ELNS1_11target_archE1030ELNS1_3gpuE2ELNS1_3repE0EEENS1_30default_config_static_selectorELNS0_4arch9wavefront6targetE0EEEvT1_.num_agpr, 0
	.set _ZN7rocprim17ROCPRIM_400000_NS6detail17trampoline_kernelINS0_14default_configENS1_27scan_by_key_config_selectorIisEEZZNS1_16scan_by_key_implILNS1_25lookback_scan_determinismE0ELb0ES3_N6thrust23THRUST_200600_302600_NS6detail15normal_iteratorINS9_10device_ptrIiEEEENSB_INSC_IsEEEESG_sNS9_4plusIvEENS9_8equal_toIvEEsEE10hipError_tPvRmT2_T3_T4_T5_mT6_T7_P12ihipStream_tbENKUlT_T0_E_clISt17integral_constantIbLb0EES10_IbLb1EEEEDaSW_SX_EUlSW_E_NS1_11comp_targetILNS1_3genE8ELNS1_11target_archE1030ELNS1_3gpuE2ELNS1_3repE0EEENS1_30default_config_static_selectorELNS0_4arch9wavefront6targetE0EEEvT1_.numbered_sgpr, 38
	.set _ZN7rocprim17ROCPRIM_400000_NS6detail17trampoline_kernelINS0_14default_configENS1_27scan_by_key_config_selectorIisEEZZNS1_16scan_by_key_implILNS1_25lookback_scan_determinismE0ELb0ES3_N6thrust23THRUST_200600_302600_NS6detail15normal_iteratorINS9_10device_ptrIiEEEENSB_INSC_IsEEEESG_sNS9_4plusIvEENS9_8equal_toIvEEsEE10hipError_tPvRmT2_T3_T4_T5_mT6_T7_P12ihipStream_tbENKUlT_T0_E_clISt17integral_constantIbLb0EES10_IbLb1EEEEDaSW_SX_EUlSW_E_NS1_11comp_targetILNS1_3genE8ELNS1_11target_archE1030ELNS1_3gpuE2ELNS1_3repE0EEENS1_30default_config_static_selectorELNS0_4arch9wavefront6targetE0EEEvT1_.num_named_barrier, 0
	.set _ZN7rocprim17ROCPRIM_400000_NS6detail17trampoline_kernelINS0_14default_configENS1_27scan_by_key_config_selectorIisEEZZNS1_16scan_by_key_implILNS1_25lookback_scan_determinismE0ELb0ES3_N6thrust23THRUST_200600_302600_NS6detail15normal_iteratorINS9_10device_ptrIiEEEENSB_INSC_IsEEEESG_sNS9_4plusIvEENS9_8equal_toIvEEsEE10hipError_tPvRmT2_T3_T4_T5_mT6_T7_P12ihipStream_tbENKUlT_T0_E_clISt17integral_constantIbLb0EES10_IbLb1EEEEDaSW_SX_EUlSW_E_NS1_11comp_targetILNS1_3genE8ELNS1_11target_archE1030ELNS1_3gpuE2ELNS1_3repE0EEENS1_30default_config_static_selectorELNS0_4arch9wavefront6targetE0EEEvT1_.private_seg_size, 0
	.set _ZN7rocprim17ROCPRIM_400000_NS6detail17trampoline_kernelINS0_14default_configENS1_27scan_by_key_config_selectorIisEEZZNS1_16scan_by_key_implILNS1_25lookback_scan_determinismE0ELb0ES3_N6thrust23THRUST_200600_302600_NS6detail15normal_iteratorINS9_10device_ptrIiEEEENSB_INSC_IsEEEESG_sNS9_4plusIvEENS9_8equal_toIvEEsEE10hipError_tPvRmT2_T3_T4_T5_mT6_T7_P12ihipStream_tbENKUlT_T0_E_clISt17integral_constantIbLb0EES10_IbLb1EEEEDaSW_SX_EUlSW_E_NS1_11comp_targetILNS1_3genE8ELNS1_11target_archE1030ELNS1_3gpuE2ELNS1_3repE0EEENS1_30default_config_static_selectorELNS0_4arch9wavefront6targetE0EEEvT1_.uses_vcc, 1
	.set _ZN7rocprim17ROCPRIM_400000_NS6detail17trampoline_kernelINS0_14default_configENS1_27scan_by_key_config_selectorIisEEZZNS1_16scan_by_key_implILNS1_25lookback_scan_determinismE0ELb0ES3_N6thrust23THRUST_200600_302600_NS6detail15normal_iteratorINS9_10device_ptrIiEEEENSB_INSC_IsEEEESG_sNS9_4plusIvEENS9_8equal_toIvEEsEE10hipError_tPvRmT2_T3_T4_T5_mT6_T7_P12ihipStream_tbENKUlT_T0_E_clISt17integral_constantIbLb0EES10_IbLb1EEEEDaSW_SX_EUlSW_E_NS1_11comp_targetILNS1_3genE8ELNS1_11target_archE1030ELNS1_3gpuE2ELNS1_3repE0EEENS1_30default_config_static_selectorELNS0_4arch9wavefront6targetE0EEEvT1_.uses_flat_scratch, 1
	.set _ZN7rocprim17ROCPRIM_400000_NS6detail17trampoline_kernelINS0_14default_configENS1_27scan_by_key_config_selectorIisEEZZNS1_16scan_by_key_implILNS1_25lookback_scan_determinismE0ELb0ES3_N6thrust23THRUST_200600_302600_NS6detail15normal_iteratorINS9_10device_ptrIiEEEENSB_INSC_IsEEEESG_sNS9_4plusIvEENS9_8equal_toIvEEsEE10hipError_tPvRmT2_T3_T4_T5_mT6_T7_P12ihipStream_tbENKUlT_T0_E_clISt17integral_constantIbLb0EES10_IbLb1EEEEDaSW_SX_EUlSW_E_NS1_11comp_targetILNS1_3genE8ELNS1_11target_archE1030ELNS1_3gpuE2ELNS1_3repE0EEENS1_30default_config_static_selectorELNS0_4arch9wavefront6targetE0EEEvT1_.has_dyn_sized_stack, 0
	.set _ZN7rocprim17ROCPRIM_400000_NS6detail17trampoline_kernelINS0_14default_configENS1_27scan_by_key_config_selectorIisEEZZNS1_16scan_by_key_implILNS1_25lookback_scan_determinismE0ELb0ES3_N6thrust23THRUST_200600_302600_NS6detail15normal_iteratorINS9_10device_ptrIiEEEENSB_INSC_IsEEEESG_sNS9_4plusIvEENS9_8equal_toIvEEsEE10hipError_tPvRmT2_T3_T4_T5_mT6_T7_P12ihipStream_tbENKUlT_T0_E_clISt17integral_constantIbLb0EES10_IbLb1EEEEDaSW_SX_EUlSW_E_NS1_11comp_targetILNS1_3genE8ELNS1_11target_archE1030ELNS1_3gpuE2ELNS1_3repE0EEENS1_30default_config_static_selectorELNS0_4arch9wavefront6targetE0EEEvT1_.has_recursion, 0
	.set _ZN7rocprim17ROCPRIM_400000_NS6detail17trampoline_kernelINS0_14default_configENS1_27scan_by_key_config_selectorIisEEZZNS1_16scan_by_key_implILNS1_25lookback_scan_determinismE0ELb0ES3_N6thrust23THRUST_200600_302600_NS6detail15normal_iteratorINS9_10device_ptrIiEEEENSB_INSC_IsEEEESG_sNS9_4plusIvEENS9_8equal_toIvEEsEE10hipError_tPvRmT2_T3_T4_T5_mT6_T7_P12ihipStream_tbENKUlT_T0_E_clISt17integral_constantIbLb0EES10_IbLb1EEEEDaSW_SX_EUlSW_E_NS1_11comp_targetILNS1_3genE8ELNS1_11target_archE1030ELNS1_3gpuE2ELNS1_3repE0EEENS1_30default_config_static_selectorELNS0_4arch9wavefront6targetE0EEEvT1_.has_indirect_call, 0
	.section	.AMDGPU.csdata,"",@progbits
; Kernel info:
; codeLenInByte = 8184
; TotalNumSgprs: 40
; NumVgprs: 37
; ScratchSize: 0
; MemoryBound: 0
; FloatMode: 240
; IeeeMode: 1
; LDSByteSize: 2304 bytes/workgroup (compile time only)
; SGPRBlocks: 0
; VGPRBlocks: 4
; NumSGPRsForWavesPerEU: 40
; NumVGPRsForWavesPerEU: 37
; Occupancy: 16
; WaveLimiterHint : 1
; COMPUTE_PGM_RSRC2:SCRATCH_EN: 0
; COMPUTE_PGM_RSRC2:USER_SGPR: 6
; COMPUTE_PGM_RSRC2:TRAP_HANDLER: 0
; COMPUTE_PGM_RSRC2:TGID_X_EN: 1
; COMPUTE_PGM_RSRC2:TGID_Y_EN: 0
; COMPUTE_PGM_RSRC2:TGID_Z_EN: 0
; COMPUTE_PGM_RSRC2:TIDIG_COMP_CNT: 0
	.section	.text._ZN7rocprim17ROCPRIM_400000_NS6detail17trampoline_kernelINS0_14default_configENS1_27scan_by_key_config_selectorIidEEZZNS1_16scan_by_key_implILNS1_25lookback_scan_determinismE0ELb1ES3_N6thrust23THRUST_200600_302600_NS6detail15normal_iteratorINS9_10device_ptrIiEEEENSB_INSC_IdEEEESG_dNS9_4plusIvEENS9_8equal_toIvEEdEE10hipError_tPvRmT2_T3_T4_T5_mT6_T7_P12ihipStream_tbENKUlT_T0_E_clISt17integral_constantIbLb0EES11_EEDaSW_SX_EUlSW_E_NS1_11comp_targetILNS1_3genE0ELNS1_11target_archE4294967295ELNS1_3gpuE0ELNS1_3repE0EEENS1_30default_config_static_selectorELNS0_4arch9wavefront6targetE0EEEvT1_,"axG",@progbits,_ZN7rocprim17ROCPRIM_400000_NS6detail17trampoline_kernelINS0_14default_configENS1_27scan_by_key_config_selectorIidEEZZNS1_16scan_by_key_implILNS1_25lookback_scan_determinismE0ELb1ES3_N6thrust23THRUST_200600_302600_NS6detail15normal_iteratorINS9_10device_ptrIiEEEENSB_INSC_IdEEEESG_dNS9_4plusIvEENS9_8equal_toIvEEdEE10hipError_tPvRmT2_T3_T4_T5_mT6_T7_P12ihipStream_tbENKUlT_T0_E_clISt17integral_constantIbLb0EES11_EEDaSW_SX_EUlSW_E_NS1_11comp_targetILNS1_3genE0ELNS1_11target_archE4294967295ELNS1_3gpuE0ELNS1_3repE0EEENS1_30default_config_static_selectorELNS0_4arch9wavefront6targetE0EEEvT1_,comdat
	.protected	_ZN7rocprim17ROCPRIM_400000_NS6detail17trampoline_kernelINS0_14default_configENS1_27scan_by_key_config_selectorIidEEZZNS1_16scan_by_key_implILNS1_25lookback_scan_determinismE0ELb1ES3_N6thrust23THRUST_200600_302600_NS6detail15normal_iteratorINS9_10device_ptrIiEEEENSB_INSC_IdEEEESG_dNS9_4plusIvEENS9_8equal_toIvEEdEE10hipError_tPvRmT2_T3_T4_T5_mT6_T7_P12ihipStream_tbENKUlT_T0_E_clISt17integral_constantIbLb0EES11_EEDaSW_SX_EUlSW_E_NS1_11comp_targetILNS1_3genE0ELNS1_11target_archE4294967295ELNS1_3gpuE0ELNS1_3repE0EEENS1_30default_config_static_selectorELNS0_4arch9wavefront6targetE0EEEvT1_ ; -- Begin function _ZN7rocprim17ROCPRIM_400000_NS6detail17trampoline_kernelINS0_14default_configENS1_27scan_by_key_config_selectorIidEEZZNS1_16scan_by_key_implILNS1_25lookback_scan_determinismE0ELb1ES3_N6thrust23THRUST_200600_302600_NS6detail15normal_iteratorINS9_10device_ptrIiEEEENSB_INSC_IdEEEESG_dNS9_4plusIvEENS9_8equal_toIvEEdEE10hipError_tPvRmT2_T3_T4_T5_mT6_T7_P12ihipStream_tbENKUlT_T0_E_clISt17integral_constantIbLb0EES11_EEDaSW_SX_EUlSW_E_NS1_11comp_targetILNS1_3genE0ELNS1_11target_archE4294967295ELNS1_3gpuE0ELNS1_3repE0EEENS1_30default_config_static_selectorELNS0_4arch9wavefront6targetE0EEEvT1_
	.globl	_ZN7rocprim17ROCPRIM_400000_NS6detail17trampoline_kernelINS0_14default_configENS1_27scan_by_key_config_selectorIidEEZZNS1_16scan_by_key_implILNS1_25lookback_scan_determinismE0ELb1ES3_N6thrust23THRUST_200600_302600_NS6detail15normal_iteratorINS9_10device_ptrIiEEEENSB_INSC_IdEEEESG_dNS9_4plusIvEENS9_8equal_toIvEEdEE10hipError_tPvRmT2_T3_T4_T5_mT6_T7_P12ihipStream_tbENKUlT_T0_E_clISt17integral_constantIbLb0EES11_EEDaSW_SX_EUlSW_E_NS1_11comp_targetILNS1_3genE0ELNS1_11target_archE4294967295ELNS1_3gpuE0ELNS1_3repE0EEENS1_30default_config_static_selectorELNS0_4arch9wavefront6targetE0EEEvT1_
	.p2align	8
	.type	_ZN7rocprim17ROCPRIM_400000_NS6detail17trampoline_kernelINS0_14default_configENS1_27scan_by_key_config_selectorIidEEZZNS1_16scan_by_key_implILNS1_25lookback_scan_determinismE0ELb1ES3_N6thrust23THRUST_200600_302600_NS6detail15normal_iteratorINS9_10device_ptrIiEEEENSB_INSC_IdEEEESG_dNS9_4plusIvEENS9_8equal_toIvEEdEE10hipError_tPvRmT2_T3_T4_T5_mT6_T7_P12ihipStream_tbENKUlT_T0_E_clISt17integral_constantIbLb0EES11_EEDaSW_SX_EUlSW_E_NS1_11comp_targetILNS1_3genE0ELNS1_11target_archE4294967295ELNS1_3gpuE0ELNS1_3repE0EEENS1_30default_config_static_selectorELNS0_4arch9wavefront6targetE0EEEvT1_,@function
_ZN7rocprim17ROCPRIM_400000_NS6detail17trampoline_kernelINS0_14default_configENS1_27scan_by_key_config_selectorIidEEZZNS1_16scan_by_key_implILNS1_25lookback_scan_determinismE0ELb1ES3_N6thrust23THRUST_200600_302600_NS6detail15normal_iteratorINS9_10device_ptrIiEEEENSB_INSC_IdEEEESG_dNS9_4plusIvEENS9_8equal_toIvEEdEE10hipError_tPvRmT2_T3_T4_T5_mT6_T7_P12ihipStream_tbENKUlT_T0_E_clISt17integral_constantIbLb0EES11_EEDaSW_SX_EUlSW_E_NS1_11comp_targetILNS1_3genE0ELNS1_11target_archE4294967295ELNS1_3gpuE0ELNS1_3repE0EEENS1_30default_config_static_selectorELNS0_4arch9wavefront6targetE0EEEvT1_: ; @_ZN7rocprim17ROCPRIM_400000_NS6detail17trampoline_kernelINS0_14default_configENS1_27scan_by_key_config_selectorIidEEZZNS1_16scan_by_key_implILNS1_25lookback_scan_determinismE0ELb1ES3_N6thrust23THRUST_200600_302600_NS6detail15normal_iteratorINS9_10device_ptrIiEEEENSB_INSC_IdEEEESG_dNS9_4plusIvEENS9_8equal_toIvEEdEE10hipError_tPvRmT2_T3_T4_T5_mT6_T7_P12ihipStream_tbENKUlT_T0_E_clISt17integral_constantIbLb0EES11_EEDaSW_SX_EUlSW_E_NS1_11comp_targetILNS1_3genE0ELNS1_11target_archE4294967295ELNS1_3gpuE0ELNS1_3repE0EEENS1_30default_config_static_selectorELNS0_4arch9wavefront6targetE0EEEvT1_
; %bb.0:
	.section	.rodata,"a",@progbits
	.p2align	6, 0x0
	.amdhsa_kernel _ZN7rocprim17ROCPRIM_400000_NS6detail17trampoline_kernelINS0_14default_configENS1_27scan_by_key_config_selectorIidEEZZNS1_16scan_by_key_implILNS1_25lookback_scan_determinismE0ELb1ES3_N6thrust23THRUST_200600_302600_NS6detail15normal_iteratorINS9_10device_ptrIiEEEENSB_INSC_IdEEEESG_dNS9_4plusIvEENS9_8equal_toIvEEdEE10hipError_tPvRmT2_T3_T4_T5_mT6_T7_P12ihipStream_tbENKUlT_T0_E_clISt17integral_constantIbLb0EES11_EEDaSW_SX_EUlSW_E_NS1_11comp_targetILNS1_3genE0ELNS1_11target_archE4294967295ELNS1_3gpuE0ELNS1_3repE0EEENS1_30default_config_static_selectorELNS0_4arch9wavefront6targetE0EEEvT1_
		.amdhsa_group_segment_fixed_size 0
		.amdhsa_private_segment_fixed_size 0
		.amdhsa_kernarg_size 136
		.amdhsa_user_sgpr_count 6
		.amdhsa_user_sgpr_private_segment_buffer 1
		.amdhsa_user_sgpr_dispatch_ptr 0
		.amdhsa_user_sgpr_queue_ptr 0
		.amdhsa_user_sgpr_kernarg_segment_ptr 1
		.amdhsa_user_sgpr_dispatch_id 0
		.amdhsa_user_sgpr_flat_scratch_init 0
		.amdhsa_user_sgpr_private_segment_size 0
		.amdhsa_wavefront_size32 1
		.amdhsa_uses_dynamic_stack 0
		.amdhsa_system_sgpr_private_segment_wavefront_offset 0
		.amdhsa_system_sgpr_workgroup_id_x 1
		.amdhsa_system_sgpr_workgroup_id_y 0
		.amdhsa_system_sgpr_workgroup_id_z 0
		.amdhsa_system_sgpr_workgroup_info 0
		.amdhsa_system_vgpr_workitem_id 0
		.amdhsa_next_free_vgpr 1
		.amdhsa_next_free_sgpr 1
		.amdhsa_reserve_vcc 0
		.amdhsa_reserve_flat_scratch 0
		.amdhsa_float_round_mode_32 0
		.amdhsa_float_round_mode_16_64 0
		.amdhsa_float_denorm_mode_32 3
		.amdhsa_float_denorm_mode_16_64 3
		.amdhsa_dx10_clamp 1
		.amdhsa_ieee_mode 1
		.amdhsa_fp16_overflow 0
		.amdhsa_workgroup_processor_mode 1
		.amdhsa_memory_ordered 1
		.amdhsa_forward_progress 1
		.amdhsa_shared_vgpr_count 0
		.amdhsa_exception_fp_ieee_invalid_op 0
		.amdhsa_exception_fp_denorm_src 0
		.amdhsa_exception_fp_ieee_div_zero 0
		.amdhsa_exception_fp_ieee_overflow 0
		.amdhsa_exception_fp_ieee_underflow 0
		.amdhsa_exception_fp_ieee_inexact 0
		.amdhsa_exception_int_div_zero 0
	.end_amdhsa_kernel
	.section	.text._ZN7rocprim17ROCPRIM_400000_NS6detail17trampoline_kernelINS0_14default_configENS1_27scan_by_key_config_selectorIidEEZZNS1_16scan_by_key_implILNS1_25lookback_scan_determinismE0ELb1ES3_N6thrust23THRUST_200600_302600_NS6detail15normal_iteratorINS9_10device_ptrIiEEEENSB_INSC_IdEEEESG_dNS9_4plusIvEENS9_8equal_toIvEEdEE10hipError_tPvRmT2_T3_T4_T5_mT6_T7_P12ihipStream_tbENKUlT_T0_E_clISt17integral_constantIbLb0EES11_EEDaSW_SX_EUlSW_E_NS1_11comp_targetILNS1_3genE0ELNS1_11target_archE4294967295ELNS1_3gpuE0ELNS1_3repE0EEENS1_30default_config_static_selectorELNS0_4arch9wavefront6targetE0EEEvT1_,"axG",@progbits,_ZN7rocprim17ROCPRIM_400000_NS6detail17trampoline_kernelINS0_14default_configENS1_27scan_by_key_config_selectorIidEEZZNS1_16scan_by_key_implILNS1_25lookback_scan_determinismE0ELb1ES3_N6thrust23THRUST_200600_302600_NS6detail15normal_iteratorINS9_10device_ptrIiEEEENSB_INSC_IdEEEESG_dNS9_4plusIvEENS9_8equal_toIvEEdEE10hipError_tPvRmT2_T3_T4_T5_mT6_T7_P12ihipStream_tbENKUlT_T0_E_clISt17integral_constantIbLb0EES11_EEDaSW_SX_EUlSW_E_NS1_11comp_targetILNS1_3genE0ELNS1_11target_archE4294967295ELNS1_3gpuE0ELNS1_3repE0EEENS1_30default_config_static_selectorELNS0_4arch9wavefront6targetE0EEEvT1_,comdat
.Lfunc_end1391:
	.size	_ZN7rocprim17ROCPRIM_400000_NS6detail17trampoline_kernelINS0_14default_configENS1_27scan_by_key_config_selectorIidEEZZNS1_16scan_by_key_implILNS1_25lookback_scan_determinismE0ELb1ES3_N6thrust23THRUST_200600_302600_NS6detail15normal_iteratorINS9_10device_ptrIiEEEENSB_INSC_IdEEEESG_dNS9_4plusIvEENS9_8equal_toIvEEdEE10hipError_tPvRmT2_T3_T4_T5_mT6_T7_P12ihipStream_tbENKUlT_T0_E_clISt17integral_constantIbLb0EES11_EEDaSW_SX_EUlSW_E_NS1_11comp_targetILNS1_3genE0ELNS1_11target_archE4294967295ELNS1_3gpuE0ELNS1_3repE0EEENS1_30default_config_static_selectorELNS0_4arch9wavefront6targetE0EEEvT1_, .Lfunc_end1391-_ZN7rocprim17ROCPRIM_400000_NS6detail17trampoline_kernelINS0_14default_configENS1_27scan_by_key_config_selectorIidEEZZNS1_16scan_by_key_implILNS1_25lookback_scan_determinismE0ELb1ES3_N6thrust23THRUST_200600_302600_NS6detail15normal_iteratorINS9_10device_ptrIiEEEENSB_INSC_IdEEEESG_dNS9_4plusIvEENS9_8equal_toIvEEdEE10hipError_tPvRmT2_T3_T4_T5_mT6_T7_P12ihipStream_tbENKUlT_T0_E_clISt17integral_constantIbLb0EES11_EEDaSW_SX_EUlSW_E_NS1_11comp_targetILNS1_3genE0ELNS1_11target_archE4294967295ELNS1_3gpuE0ELNS1_3repE0EEENS1_30default_config_static_selectorELNS0_4arch9wavefront6targetE0EEEvT1_
                                        ; -- End function
	.set _ZN7rocprim17ROCPRIM_400000_NS6detail17trampoline_kernelINS0_14default_configENS1_27scan_by_key_config_selectorIidEEZZNS1_16scan_by_key_implILNS1_25lookback_scan_determinismE0ELb1ES3_N6thrust23THRUST_200600_302600_NS6detail15normal_iteratorINS9_10device_ptrIiEEEENSB_INSC_IdEEEESG_dNS9_4plusIvEENS9_8equal_toIvEEdEE10hipError_tPvRmT2_T3_T4_T5_mT6_T7_P12ihipStream_tbENKUlT_T0_E_clISt17integral_constantIbLb0EES11_EEDaSW_SX_EUlSW_E_NS1_11comp_targetILNS1_3genE0ELNS1_11target_archE4294967295ELNS1_3gpuE0ELNS1_3repE0EEENS1_30default_config_static_selectorELNS0_4arch9wavefront6targetE0EEEvT1_.num_vgpr, 0
	.set _ZN7rocprim17ROCPRIM_400000_NS6detail17trampoline_kernelINS0_14default_configENS1_27scan_by_key_config_selectorIidEEZZNS1_16scan_by_key_implILNS1_25lookback_scan_determinismE0ELb1ES3_N6thrust23THRUST_200600_302600_NS6detail15normal_iteratorINS9_10device_ptrIiEEEENSB_INSC_IdEEEESG_dNS9_4plusIvEENS9_8equal_toIvEEdEE10hipError_tPvRmT2_T3_T4_T5_mT6_T7_P12ihipStream_tbENKUlT_T0_E_clISt17integral_constantIbLb0EES11_EEDaSW_SX_EUlSW_E_NS1_11comp_targetILNS1_3genE0ELNS1_11target_archE4294967295ELNS1_3gpuE0ELNS1_3repE0EEENS1_30default_config_static_selectorELNS0_4arch9wavefront6targetE0EEEvT1_.num_agpr, 0
	.set _ZN7rocprim17ROCPRIM_400000_NS6detail17trampoline_kernelINS0_14default_configENS1_27scan_by_key_config_selectorIidEEZZNS1_16scan_by_key_implILNS1_25lookback_scan_determinismE0ELb1ES3_N6thrust23THRUST_200600_302600_NS6detail15normal_iteratorINS9_10device_ptrIiEEEENSB_INSC_IdEEEESG_dNS9_4plusIvEENS9_8equal_toIvEEdEE10hipError_tPvRmT2_T3_T4_T5_mT6_T7_P12ihipStream_tbENKUlT_T0_E_clISt17integral_constantIbLb0EES11_EEDaSW_SX_EUlSW_E_NS1_11comp_targetILNS1_3genE0ELNS1_11target_archE4294967295ELNS1_3gpuE0ELNS1_3repE0EEENS1_30default_config_static_selectorELNS0_4arch9wavefront6targetE0EEEvT1_.numbered_sgpr, 0
	.set _ZN7rocprim17ROCPRIM_400000_NS6detail17trampoline_kernelINS0_14default_configENS1_27scan_by_key_config_selectorIidEEZZNS1_16scan_by_key_implILNS1_25lookback_scan_determinismE0ELb1ES3_N6thrust23THRUST_200600_302600_NS6detail15normal_iteratorINS9_10device_ptrIiEEEENSB_INSC_IdEEEESG_dNS9_4plusIvEENS9_8equal_toIvEEdEE10hipError_tPvRmT2_T3_T4_T5_mT6_T7_P12ihipStream_tbENKUlT_T0_E_clISt17integral_constantIbLb0EES11_EEDaSW_SX_EUlSW_E_NS1_11comp_targetILNS1_3genE0ELNS1_11target_archE4294967295ELNS1_3gpuE0ELNS1_3repE0EEENS1_30default_config_static_selectorELNS0_4arch9wavefront6targetE0EEEvT1_.num_named_barrier, 0
	.set _ZN7rocprim17ROCPRIM_400000_NS6detail17trampoline_kernelINS0_14default_configENS1_27scan_by_key_config_selectorIidEEZZNS1_16scan_by_key_implILNS1_25lookback_scan_determinismE0ELb1ES3_N6thrust23THRUST_200600_302600_NS6detail15normal_iteratorINS9_10device_ptrIiEEEENSB_INSC_IdEEEESG_dNS9_4plusIvEENS9_8equal_toIvEEdEE10hipError_tPvRmT2_T3_T4_T5_mT6_T7_P12ihipStream_tbENKUlT_T0_E_clISt17integral_constantIbLb0EES11_EEDaSW_SX_EUlSW_E_NS1_11comp_targetILNS1_3genE0ELNS1_11target_archE4294967295ELNS1_3gpuE0ELNS1_3repE0EEENS1_30default_config_static_selectorELNS0_4arch9wavefront6targetE0EEEvT1_.private_seg_size, 0
	.set _ZN7rocprim17ROCPRIM_400000_NS6detail17trampoline_kernelINS0_14default_configENS1_27scan_by_key_config_selectorIidEEZZNS1_16scan_by_key_implILNS1_25lookback_scan_determinismE0ELb1ES3_N6thrust23THRUST_200600_302600_NS6detail15normal_iteratorINS9_10device_ptrIiEEEENSB_INSC_IdEEEESG_dNS9_4plusIvEENS9_8equal_toIvEEdEE10hipError_tPvRmT2_T3_T4_T5_mT6_T7_P12ihipStream_tbENKUlT_T0_E_clISt17integral_constantIbLb0EES11_EEDaSW_SX_EUlSW_E_NS1_11comp_targetILNS1_3genE0ELNS1_11target_archE4294967295ELNS1_3gpuE0ELNS1_3repE0EEENS1_30default_config_static_selectorELNS0_4arch9wavefront6targetE0EEEvT1_.uses_vcc, 0
	.set _ZN7rocprim17ROCPRIM_400000_NS6detail17trampoline_kernelINS0_14default_configENS1_27scan_by_key_config_selectorIidEEZZNS1_16scan_by_key_implILNS1_25lookback_scan_determinismE0ELb1ES3_N6thrust23THRUST_200600_302600_NS6detail15normal_iteratorINS9_10device_ptrIiEEEENSB_INSC_IdEEEESG_dNS9_4plusIvEENS9_8equal_toIvEEdEE10hipError_tPvRmT2_T3_T4_T5_mT6_T7_P12ihipStream_tbENKUlT_T0_E_clISt17integral_constantIbLb0EES11_EEDaSW_SX_EUlSW_E_NS1_11comp_targetILNS1_3genE0ELNS1_11target_archE4294967295ELNS1_3gpuE0ELNS1_3repE0EEENS1_30default_config_static_selectorELNS0_4arch9wavefront6targetE0EEEvT1_.uses_flat_scratch, 0
	.set _ZN7rocprim17ROCPRIM_400000_NS6detail17trampoline_kernelINS0_14default_configENS1_27scan_by_key_config_selectorIidEEZZNS1_16scan_by_key_implILNS1_25lookback_scan_determinismE0ELb1ES3_N6thrust23THRUST_200600_302600_NS6detail15normal_iteratorINS9_10device_ptrIiEEEENSB_INSC_IdEEEESG_dNS9_4plusIvEENS9_8equal_toIvEEdEE10hipError_tPvRmT2_T3_T4_T5_mT6_T7_P12ihipStream_tbENKUlT_T0_E_clISt17integral_constantIbLb0EES11_EEDaSW_SX_EUlSW_E_NS1_11comp_targetILNS1_3genE0ELNS1_11target_archE4294967295ELNS1_3gpuE0ELNS1_3repE0EEENS1_30default_config_static_selectorELNS0_4arch9wavefront6targetE0EEEvT1_.has_dyn_sized_stack, 0
	.set _ZN7rocprim17ROCPRIM_400000_NS6detail17trampoline_kernelINS0_14default_configENS1_27scan_by_key_config_selectorIidEEZZNS1_16scan_by_key_implILNS1_25lookback_scan_determinismE0ELb1ES3_N6thrust23THRUST_200600_302600_NS6detail15normal_iteratorINS9_10device_ptrIiEEEENSB_INSC_IdEEEESG_dNS9_4plusIvEENS9_8equal_toIvEEdEE10hipError_tPvRmT2_T3_T4_T5_mT6_T7_P12ihipStream_tbENKUlT_T0_E_clISt17integral_constantIbLb0EES11_EEDaSW_SX_EUlSW_E_NS1_11comp_targetILNS1_3genE0ELNS1_11target_archE4294967295ELNS1_3gpuE0ELNS1_3repE0EEENS1_30default_config_static_selectorELNS0_4arch9wavefront6targetE0EEEvT1_.has_recursion, 0
	.set _ZN7rocprim17ROCPRIM_400000_NS6detail17trampoline_kernelINS0_14default_configENS1_27scan_by_key_config_selectorIidEEZZNS1_16scan_by_key_implILNS1_25lookback_scan_determinismE0ELb1ES3_N6thrust23THRUST_200600_302600_NS6detail15normal_iteratorINS9_10device_ptrIiEEEENSB_INSC_IdEEEESG_dNS9_4plusIvEENS9_8equal_toIvEEdEE10hipError_tPvRmT2_T3_T4_T5_mT6_T7_P12ihipStream_tbENKUlT_T0_E_clISt17integral_constantIbLb0EES11_EEDaSW_SX_EUlSW_E_NS1_11comp_targetILNS1_3genE0ELNS1_11target_archE4294967295ELNS1_3gpuE0ELNS1_3repE0EEENS1_30default_config_static_selectorELNS0_4arch9wavefront6targetE0EEEvT1_.has_indirect_call, 0
	.section	.AMDGPU.csdata,"",@progbits
; Kernel info:
; codeLenInByte = 0
; TotalNumSgprs: 0
; NumVgprs: 0
; ScratchSize: 0
; MemoryBound: 0
; FloatMode: 240
; IeeeMode: 1
; LDSByteSize: 0 bytes/workgroup (compile time only)
; SGPRBlocks: 0
; VGPRBlocks: 0
; NumSGPRsForWavesPerEU: 1
; NumVGPRsForWavesPerEU: 1
; Occupancy: 16
; WaveLimiterHint : 0
; COMPUTE_PGM_RSRC2:SCRATCH_EN: 0
; COMPUTE_PGM_RSRC2:USER_SGPR: 6
; COMPUTE_PGM_RSRC2:TRAP_HANDLER: 0
; COMPUTE_PGM_RSRC2:TGID_X_EN: 1
; COMPUTE_PGM_RSRC2:TGID_Y_EN: 0
; COMPUTE_PGM_RSRC2:TGID_Z_EN: 0
; COMPUTE_PGM_RSRC2:TIDIG_COMP_CNT: 0
	.section	.text._ZN7rocprim17ROCPRIM_400000_NS6detail17trampoline_kernelINS0_14default_configENS1_27scan_by_key_config_selectorIidEEZZNS1_16scan_by_key_implILNS1_25lookback_scan_determinismE0ELb1ES3_N6thrust23THRUST_200600_302600_NS6detail15normal_iteratorINS9_10device_ptrIiEEEENSB_INSC_IdEEEESG_dNS9_4plusIvEENS9_8equal_toIvEEdEE10hipError_tPvRmT2_T3_T4_T5_mT6_T7_P12ihipStream_tbENKUlT_T0_E_clISt17integral_constantIbLb0EES11_EEDaSW_SX_EUlSW_E_NS1_11comp_targetILNS1_3genE10ELNS1_11target_archE1201ELNS1_3gpuE5ELNS1_3repE0EEENS1_30default_config_static_selectorELNS0_4arch9wavefront6targetE0EEEvT1_,"axG",@progbits,_ZN7rocprim17ROCPRIM_400000_NS6detail17trampoline_kernelINS0_14default_configENS1_27scan_by_key_config_selectorIidEEZZNS1_16scan_by_key_implILNS1_25lookback_scan_determinismE0ELb1ES3_N6thrust23THRUST_200600_302600_NS6detail15normal_iteratorINS9_10device_ptrIiEEEENSB_INSC_IdEEEESG_dNS9_4plusIvEENS9_8equal_toIvEEdEE10hipError_tPvRmT2_T3_T4_T5_mT6_T7_P12ihipStream_tbENKUlT_T0_E_clISt17integral_constantIbLb0EES11_EEDaSW_SX_EUlSW_E_NS1_11comp_targetILNS1_3genE10ELNS1_11target_archE1201ELNS1_3gpuE5ELNS1_3repE0EEENS1_30default_config_static_selectorELNS0_4arch9wavefront6targetE0EEEvT1_,comdat
	.protected	_ZN7rocprim17ROCPRIM_400000_NS6detail17trampoline_kernelINS0_14default_configENS1_27scan_by_key_config_selectorIidEEZZNS1_16scan_by_key_implILNS1_25lookback_scan_determinismE0ELb1ES3_N6thrust23THRUST_200600_302600_NS6detail15normal_iteratorINS9_10device_ptrIiEEEENSB_INSC_IdEEEESG_dNS9_4plusIvEENS9_8equal_toIvEEdEE10hipError_tPvRmT2_T3_T4_T5_mT6_T7_P12ihipStream_tbENKUlT_T0_E_clISt17integral_constantIbLb0EES11_EEDaSW_SX_EUlSW_E_NS1_11comp_targetILNS1_3genE10ELNS1_11target_archE1201ELNS1_3gpuE5ELNS1_3repE0EEENS1_30default_config_static_selectorELNS0_4arch9wavefront6targetE0EEEvT1_ ; -- Begin function _ZN7rocprim17ROCPRIM_400000_NS6detail17trampoline_kernelINS0_14default_configENS1_27scan_by_key_config_selectorIidEEZZNS1_16scan_by_key_implILNS1_25lookback_scan_determinismE0ELb1ES3_N6thrust23THRUST_200600_302600_NS6detail15normal_iteratorINS9_10device_ptrIiEEEENSB_INSC_IdEEEESG_dNS9_4plusIvEENS9_8equal_toIvEEdEE10hipError_tPvRmT2_T3_T4_T5_mT6_T7_P12ihipStream_tbENKUlT_T0_E_clISt17integral_constantIbLb0EES11_EEDaSW_SX_EUlSW_E_NS1_11comp_targetILNS1_3genE10ELNS1_11target_archE1201ELNS1_3gpuE5ELNS1_3repE0EEENS1_30default_config_static_selectorELNS0_4arch9wavefront6targetE0EEEvT1_
	.globl	_ZN7rocprim17ROCPRIM_400000_NS6detail17trampoline_kernelINS0_14default_configENS1_27scan_by_key_config_selectorIidEEZZNS1_16scan_by_key_implILNS1_25lookback_scan_determinismE0ELb1ES3_N6thrust23THRUST_200600_302600_NS6detail15normal_iteratorINS9_10device_ptrIiEEEENSB_INSC_IdEEEESG_dNS9_4plusIvEENS9_8equal_toIvEEdEE10hipError_tPvRmT2_T3_T4_T5_mT6_T7_P12ihipStream_tbENKUlT_T0_E_clISt17integral_constantIbLb0EES11_EEDaSW_SX_EUlSW_E_NS1_11comp_targetILNS1_3genE10ELNS1_11target_archE1201ELNS1_3gpuE5ELNS1_3repE0EEENS1_30default_config_static_selectorELNS0_4arch9wavefront6targetE0EEEvT1_
	.p2align	8
	.type	_ZN7rocprim17ROCPRIM_400000_NS6detail17trampoline_kernelINS0_14default_configENS1_27scan_by_key_config_selectorIidEEZZNS1_16scan_by_key_implILNS1_25lookback_scan_determinismE0ELb1ES3_N6thrust23THRUST_200600_302600_NS6detail15normal_iteratorINS9_10device_ptrIiEEEENSB_INSC_IdEEEESG_dNS9_4plusIvEENS9_8equal_toIvEEdEE10hipError_tPvRmT2_T3_T4_T5_mT6_T7_P12ihipStream_tbENKUlT_T0_E_clISt17integral_constantIbLb0EES11_EEDaSW_SX_EUlSW_E_NS1_11comp_targetILNS1_3genE10ELNS1_11target_archE1201ELNS1_3gpuE5ELNS1_3repE0EEENS1_30default_config_static_selectorELNS0_4arch9wavefront6targetE0EEEvT1_,@function
_ZN7rocprim17ROCPRIM_400000_NS6detail17trampoline_kernelINS0_14default_configENS1_27scan_by_key_config_selectorIidEEZZNS1_16scan_by_key_implILNS1_25lookback_scan_determinismE0ELb1ES3_N6thrust23THRUST_200600_302600_NS6detail15normal_iteratorINS9_10device_ptrIiEEEENSB_INSC_IdEEEESG_dNS9_4plusIvEENS9_8equal_toIvEEdEE10hipError_tPvRmT2_T3_T4_T5_mT6_T7_P12ihipStream_tbENKUlT_T0_E_clISt17integral_constantIbLb0EES11_EEDaSW_SX_EUlSW_E_NS1_11comp_targetILNS1_3genE10ELNS1_11target_archE1201ELNS1_3gpuE5ELNS1_3repE0EEENS1_30default_config_static_selectorELNS0_4arch9wavefront6targetE0EEEvT1_: ; @_ZN7rocprim17ROCPRIM_400000_NS6detail17trampoline_kernelINS0_14default_configENS1_27scan_by_key_config_selectorIidEEZZNS1_16scan_by_key_implILNS1_25lookback_scan_determinismE0ELb1ES3_N6thrust23THRUST_200600_302600_NS6detail15normal_iteratorINS9_10device_ptrIiEEEENSB_INSC_IdEEEESG_dNS9_4plusIvEENS9_8equal_toIvEEdEE10hipError_tPvRmT2_T3_T4_T5_mT6_T7_P12ihipStream_tbENKUlT_T0_E_clISt17integral_constantIbLb0EES11_EEDaSW_SX_EUlSW_E_NS1_11comp_targetILNS1_3genE10ELNS1_11target_archE1201ELNS1_3gpuE5ELNS1_3repE0EEENS1_30default_config_static_selectorELNS0_4arch9wavefront6targetE0EEEvT1_
; %bb.0:
	.section	.rodata,"a",@progbits
	.p2align	6, 0x0
	.amdhsa_kernel _ZN7rocprim17ROCPRIM_400000_NS6detail17trampoline_kernelINS0_14default_configENS1_27scan_by_key_config_selectorIidEEZZNS1_16scan_by_key_implILNS1_25lookback_scan_determinismE0ELb1ES3_N6thrust23THRUST_200600_302600_NS6detail15normal_iteratorINS9_10device_ptrIiEEEENSB_INSC_IdEEEESG_dNS9_4plusIvEENS9_8equal_toIvEEdEE10hipError_tPvRmT2_T3_T4_T5_mT6_T7_P12ihipStream_tbENKUlT_T0_E_clISt17integral_constantIbLb0EES11_EEDaSW_SX_EUlSW_E_NS1_11comp_targetILNS1_3genE10ELNS1_11target_archE1201ELNS1_3gpuE5ELNS1_3repE0EEENS1_30default_config_static_selectorELNS0_4arch9wavefront6targetE0EEEvT1_
		.amdhsa_group_segment_fixed_size 0
		.amdhsa_private_segment_fixed_size 0
		.amdhsa_kernarg_size 136
		.amdhsa_user_sgpr_count 6
		.amdhsa_user_sgpr_private_segment_buffer 1
		.amdhsa_user_sgpr_dispatch_ptr 0
		.amdhsa_user_sgpr_queue_ptr 0
		.amdhsa_user_sgpr_kernarg_segment_ptr 1
		.amdhsa_user_sgpr_dispatch_id 0
		.amdhsa_user_sgpr_flat_scratch_init 0
		.amdhsa_user_sgpr_private_segment_size 0
		.amdhsa_wavefront_size32 1
		.amdhsa_uses_dynamic_stack 0
		.amdhsa_system_sgpr_private_segment_wavefront_offset 0
		.amdhsa_system_sgpr_workgroup_id_x 1
		.amdhsa_system_sgpr_workgroup_id_y 0
		.amdhsa_system_sgpr_workgroup_id_z 0
		.amdhsa_system_sgpr_workgroup_info 0
		.amdhsa_system_vgpr_workitem_id 0
		.amdhsa_next_free_vgpr 1
		.amdhsa_next_free_sgpr 1
		.amdhsa_reserve_vcc 0
		.amdhsa_reserve_flat_scratch 0
		.amdhsa_float_round_mode_32 0
		.amdhsa_float_round_mode_16_64 0
		.amdhsa_float_denorm_mode_32 3
		.amdhsa_float_denorm_mode_16_64 3
		.amdhsa_dx10_clamp 1
		.amdhsa_ieee_mode 1
		.amdhsa_fp16_overflow 0
		.amdhsa_workgroup_processor_mode 1
		.amdhsa_memory_ordered 1
		.amdhsa_forward_progress 1
		.amdhsa_shared_vgpr_count 0
		.amdhsa_exception_fp_ieee_invalid_op 0
		.amdhsa_exception_fp_denorm_src 0
		.amdhsa_exception_fp_ieee_div_zero 0
		.amdhsa_exception_fp_ieee_overflow 0
		.amdhsa_exception_fp_ieee_underflow 0
		.amdhsa_exception_fp_ieee_inexact 0
		.amdhsa_exception_int_div_zero 0
	.end_amdhsa_kernel
	.section	.text._ZN7rocprim17ROCPRIM_400000_NS6detail17trampoline_kernelINS0_14default_configENS1_27scan_by_key_config_selectorIidEEZZNS1_16scan_by_key_implILNS1_25lookback_scan_determinismE0ELb1ES3_N6thrust23THRUST_200600_302600_NS6detail15normal_iteratorINS9_10device_ptrIiEEEENSB_INSC_IdEEEESG_dNS9_4plusIvEENS9_8equal_toIvEEdEE10hipError_tPvRmT2_T3_T4_T5_mT6_T7_P12ihipStream_tbENKUlT_T0_E_clISt17integral_constantIbLb0EES11_EEDaSW_SX_EUlSW_E_NS1_11comp_targetILNS1_3genE10ELNS1_11target_archE1201ELNS1_3gpuE5ELNS1_3repE0EEENS1_30default_config_static_selectorELNS0_4arch9wavefront6targetE0EEEvT1_,"axG",@progbits,_ZN7rocprim17ROCPRIM_400000_NS6detail17trampoline_kernelINS0_14default_configENS1_27scan_by_key_config_selectorIidEEZZNS1_16scan_by_key_implILNS1_25lookback_scan_determinismE0ELb1ES3_N6thrust23THRUST_200600_302600_NS6detail15normal_iteratorINS9_10device_ptrIiEEEENSB_INSC_IdEEEESG_dNS9_4plusIvEENS9_8equal_toIvEEdEE10hipError_tPvRmT2_T3_T4_T5_mT6_T7_P12ihipStream_tbENKUlT_T0_E_clISt17integral_constantIbLb0EES11_EEDaSW_SX_EUlSW_E_NS1_11comp_targetILNS1_3genE10ELNS1_11target_archE1201ELNS1_3gpuE5ELNS1_3repE0EEENS1_30default_config_static_selectorELNS0_4arch9wavefront6targetE0EEEvT1_,comdat
.Lfunc_end1392:
	.size	_ZN7rocprim17ROCPRIM_400000_NS6detail17trampoline_kernelINS0_14default_configENS1_27scan_by_key_config_selectorIidEEZZNS1_16scan_by_key_implILNS1_25lookback_scan_determinismE0ELb1ES3_N6thrust23THRUST_200600_302600_NS6detail15normal_iteratorINS9_10device_ptrIiEEEENSB_INSC_IdEEEESG_dNS9_4plusIvEENS9_8equal_toIvEEdEE10hipError_tPvRmT2_T3_T4_T5_mT6_T7_P12ihipStream_tbENKUlT_T0_E_clISt17integral_constantIbLb0EES11_EEDaSW_SX_EUlSW_E_NS1_11comp_targetILNS1_3genE10ELNS1_11target_archE1201ELNS1_3gpuE5ELNS1_3repE0EEENS1_30default_config_static_selectorELNS0_4arch9wavefront6targetE0EEEvT1_, .Lfunc_end1392-_ZN7rocprim17ROCPRIM_400000_NS6detail17trampoline_kernelINS0_14default_configENS1_27scan_by_key_config_selectorIidEEZZNS1_16scan_by_key_implILNS1_25lookback_scan_determinismE0ELb1ES3_N6thrust23THRUST_200600_302600_NS6detail15normal_iteratorINS9_10device_ptrIiEEEENSB_INSC_IdEEEESG_dNS9_4plusIvEENS9_8equal_toIvEEdEE10hipError_tPvRmT2_T3_T4_T5_mT6_T7_P12ihipStream_tbENKUlT_T0_E_clISt17integral_constantIbLb0EES11_EEDaSW_SX_EUlSW_E_NS1_11comp_targetILNS1_3genE10ELNS1_11target_archE1201ELNS1_3gpuE5ELNS1_3repE0EEENS1_30default_config_static_selectorELNS0_4arch9wavefront6targetE0EEEvT1_
                                        ; -- End function
	.set _ZN7rocprim17ROCPRIM_400000_NS6detail17trampoline_kernelINS0_14default_configENS1_27scan_by_key_config_selectorIidEEZZNS1_16scan_by_key_implILNS1_25lookback_scan_determinismE0ELb1ES3_N6thrust23THRUST_200600_302600_NS6detail15normal_iteratorINS9_10device_ptrIiEEEENSB_INSC_IdEEEESG_dNS9_4plusIvEENS9_8equal_toIvEEdEE10hipError_tPvRmT2_T3_T4_T5_mT6_T7_P12ihipStream_tbENKUlT_T0_E_clISt17integral_constantIbLb0EES11_EEDaSW_SX_EUlSW_E_NS1_11comp_targetILNS1_3genE10ELNS1_11target_archE1201ELNS1_3gpuE5ELNS1_3repE0EEENS1_30default_config_static_selectorELNS0_4arch9wavefront6targetE0EEEvT1_.num_vgpr, 0
	.set _ZN7rocprim17ROCPRIM_400000_NS6detail17trampoline_kernelINS0_14default_configENS1_27scan_by_key_config_selectorIidEEZZNS1_16scan_by_key_implILNS1_25lookback_scan_determinismE0ELb1ES3_N6thrust23THRUST_200600_302600_NS6detail15normal_iteratorINS9_10device_ptrIiEEEENSB_INSC_IdEEEESG_dNS9_4plusIvEENS9_8equal_toIvEEdEE10hipError_tPvRmT2_T3_T4_T5_mT6_T7_P12ihipStream_tbENKUlT_T0_E_clISt17integral_constantIbLb0EES11_EEDaSW_SX_EUlSW_E_NS1_11comp_targetILNS1_3genE10ELNS1_11target_archE1201ELNS1_3gpuE5ELNS1_3repE0EEENS1_30default_config_static_selectorELNS0_4arch9wavefront6targetE0EEEvT1_.num_agpr, 0
	.set _ZN7rocprim17ROCPRIM_400000_NS6detail17trampoline_kernelINS0_14default_configENS1_27scan_by_key_config_selectorIidEEZZNS1_16scan_by_key_implILNS1_25lookback_scan_determinismE0ELb1ES3_N6thrust23THRUST_200600_302600_NS6detail15normal_iteratorINS9_10device_ptrIiEEEENSB_INSC_IdEEEESG_dNS9_4plusIvEENS9_8equal_toIvEEdEE10hipError_tPvRmT2_T3_T4_T5_mT6_T7_P12ihipStream_tbENKUlT_T0_E_clISt17integral_constantIbLb0EES11_EEDaSW_SX_EUlSW_E_NS1_11comp_targetILNS1_3genE10ELNS1_11target_archE1201ELNS1_3gpuE5ELNS1_3repE0EEENS1_30default_config_static_selectorELNS0_4arch9wavefront6targetE0EEEvT1_.numbered_sgpr, 0
	.set _ZN7rocprim17ROCPRIM_400000_NS6detail17trampoline_kernelINS0_14default_configENS1_27scan_by_key_config_selectorIidEEZZNS1_16scan_by_key_implILNS1_25lookback_scan_determinismE0ELb1ES3_N6thrust23THRUST_200600_302600_NS6detail15normal_iteratorINS9_10device_ptrIiEEEENSB_INSC_IdEEEESG_dNS9_4plusIvEENS9_8equal_toIvEEdEE10hipError_tPvRmT2_T3_T4_T5_mT6_T7_P12ihipStream_tbENKUlT_T0_E_clISt17integral_constantIbLb0EES11_EEDaSW_SX_EUlSW_E_NS1_11comp_targetILNS1_3genE10ELNS1_11target_archE1201ELNS1_3gpuE5ELNS1_3repE0EEENS1_30default_config_static_selectorELNS0_4arch9wavefront6targetE0EEEvT1_.num_named_barrier, 0
	.set _ZN7rocprim17ROCPRIM_400000_NS6detail17trampoline_kernelINS0_14default_configENS1_27scan_by_key_config_selectorIidEEZZNS1_16scan_by_key_implILNS1_25lookback_scan_determinismE0ELb1ES3_N6thrust23THRUST_200600_302600_NS6detail15normal_iteratorINS9_10device_ptrIiEEEENSB_INSC_IdEEEESG_dNS9_4plusIvEENS9_8equal_toIvEEdEE10hipError_tPvRmT2_T3_T4_T5_mT6_T7_P12ihipStream_tbENKUlT_T0_E_clISt17integral_constantIbLb0EES11_EEDaSW_SX_EUlSW_E_NS1_11comp_targetILNS1_3genE10ELNS1_11target_archE1201ELNS1_3gpuE5ELNS1_3repE0EEENS1_30default_config_static_selectorELNS0_4arch9wavefront6targetE0EEEvT1_.private_seg_size, 0
	.set _ZN7rocprim17ROCPRIM_400000_NS6detail17trampoline_kernelINS0_14default_configENS1_27scan_by_key_config_selectorIidEEZZNS1_16scan_by_key_implILNS1_25lookback_scan_determinismE0ELb1ES3_N6thrust23THRUST_200600_302600_NS6detail15normal_iteratorINS9_10device_ptrIiEEEENSB_INSC_IdEEEESG_dNS9_4plusIvEENS9_8equal_toIvEEdEE10hipError_tPvRmT2_T3_T4_T5_mT6_T7_P12ihipStream_tbENKUlT_T0_E_clISt17integral_constantIbLb0EES11_EEDaSW_SX_EUlSW_E_NS1_11comp_targetILNS1_3genE10ELNS1_11target_archE1201ELNS1_3gpuE5ELNS1_3repE0EEENS1_30default_config_static_selectorELNS0_4arch9wavefront6targetE0EEEvT1_.uses_vcc, 0
	.set _ZN7rocprim17ROCPRIM_400000_NS6detail17trampoline_kernelINS0_14default_configENS1_27scan_by_key_config_selectorIidEEZZNS1_16scan_by_key_implILNS1_25lookback_scan_determinismE0ELb1ES3_N6thrust23THRUST_200600_302600_NS6detail15normal_iteratorINS9_10device_ptrIiEEEENSB_INSC_IdEEEESG_dNS9_4plusIvEENS9_8equal_toIvEEdEE10hipError_tPvRmT2_T3_T4_T5_mT6_T7_P12ihipStream_tbENKUlT_T0_E_clISt17integral_constantIbLb0EES11_EEDaSW_SX_EUlSW_E_NS1_11comp_targetILNS1_3genE10ELNS1_11target_archE1201ELNS1_3gpuE5ELNS1_3repE0EEENS1_30default_config_static_selectorELNS0_4arch9wavefront6targetE0EEEvT1_.uses_flat_scratch, 0
	.set _ZN7rocprim17ROCPRIM_400000_NS6detail17trampoline_kernelINS0_14default_configENS1_27scan_by_key_config_selectorIidEEZZNS1_16scan_by_key_implILNS1_25lookback_scan_determinismE0ELb1ES3_N6thrust23THRUST_200600_302600_NS6detail15normal_iteratorINS9_10device_ptrIiEEEENSB_INSC_IdEEEESG_dNS9_4plusIvEENS9_8equal_toIvEEdEE10hipError_tPvRmT2_T3_T4_T5_mT6_T7_P12ihipStream_tbENKUlT_T0_E_clISt17integral_constantIbLb0EES11_EEDaSW_SX_EUlSW_E_NS1_11comp_targetILNS1_3genE10ELNS1_11target_archE1201ELNS1_3gpuE5ELNS1_3repE0EEENS1_30default_config_static_selectorELNS0_4arch9wavefront6targetE0EEEvT1_.has_dyn_sized_stack, 0
	.set _ZN7rocprim17ROCPRIM_400000_NS6detail17trampoline_kernelINS0_14default_configENS1_27scan_by_key_config_selectorIidEEZZNS1_16scan_by_key_implILNS1_25lookback_scan_determinismE0ELb1ES3_N6thrust23THRUST_200600_302600_NS6detail15normal_iteratorINS9_10device_ptrIiEEEENSB_INSC_IdEEEESG_dNS9_4plusIvEENS9_8equal_toIvEEdEE10hipError_tPvRmT2_T3_T4_T5_mT6_T7_P12ihipStream_tbENKUlT_T0_E_clISt17integral_constantIbLb0EES11_EEDaSW_SX_EUlSW_E_NS1_11comp_targetILNS1_3genE10ELNS1_11target_archE1201ELNS1_3gpuE5ELNS1_3repE0EEENS1_30default_config_static_selectorELNS0_4arch9wavefront6targetE0EEEvT1_.has_recursion, 0
	.set _ZN7rocprim17ROCPRIM_400000_NS6detail17trampoline_kernelINS0_14default_configENS1_27scan_by_key_config_selectorIidEEZZNS1_16scan_by_key_implILNS1_25lookback_scan_determinismE0ELb1ES3_N6thrust23THRUST_200600_302600_NS6detail15normal_iteratorINS9_10device_ptrIiEEEENSB_INSC_IdEEEESG_dNS9_4plusIvEENS9_8equal_toIvEEdEE10hipError_tPvRmT2_T3_T4_T5_mT6_T7_P12ihipStream_tbENKUlT_T0_E_clISt17integral_constantIbLb0EES11_EEDaSW_SX_EUlSW_E_NS1_11comp_targetILNS1_3genE10ELNS1_11target_archE1201ELNS1_3gpuE5ELNS1_3repE0EEENS1_30default_config_static_selectorELNS0_4arch9wavefront6targetE0EEEvT1_.has_indirect_call, 0
	.section	.AMDGPU.csdata,"",@progbits
; Kernel info:
; codeLenInByte = 0
; TotalNumSgprs: 0
; NumVgprs: 0
; ScratchSize: 0
; MemoryBound: 0
; FloatMode: 240
; IeeeMode: 1
; LDSByteSize: 0 bytes/workgroup (compile time only)
; SGPRBlocks: 0
; VGPRBlocks: 0
; NumSGPRsForWavesPerEU: 1
; NumVGPRsForWavesPerEU: 1
; Occupancy: 16
; WaveLimiterHint : 0
; COMPUTE_PGM_RSRC2:SCRATCH_EN: 0
; COMPUTE_PGM_RSRC2:USER_SGPR: 6
; COMPUTE_PGM_RSRC2:TRAP_HANDLER: 0
; COMPUTE_PGM_RSRC2:TGID_X_EN: 1
; COMPUTE_PGM_RSRC2:TGID_Y_EN: 0
; COMPUTE_PGM_RSRC2:TGID_Z_EN: 0
; COMPUTE_PGM_RSRC2:TIDIG_COMP_CNT: 0
	.section	.text._ZN7rocprim17ROCPRIM_400000_NS6detail17trampoline_kernelINS0_14default_configENS1_27scan_by_key_config_selectorIidEEZZNS1_16scan_by_key_implILNS1_25lookback_scan_determinismE0ELb1ES3_N6thrust23THRUST_200600_302600_NS6detail15normal_iteratorINS9_10device_ptrIiEEEENSB_INSC_IdEEEESG_dNS9_4plusIvEENS9_8equal_toIvEEdEE10hipError_tPvRmT2_T3_T4_T5_mT6_T7_P12ihipStream_tbENKUlT_T0_E_clISt17integral_constantIbLb0EES11_EEDaSW_SX_EUlSW_E_NS1_11comp_targetILNS1_3genE5ELNS1_11target_archE942ELNS1_3gpuE9ELNS1_3repE0EEENS1_30default_config_static_selectorELNS0_4arch9wavefront6targetE0EEEvT1_,"axG",@progbits,_ZN7rocprim17ROCPRIM_400000_NS6detail17trampoline_kernelINS0_14default_configENS1_27scan_by_key_config_selectorIidEEZZNS1_16scan_by_key_implILNS1_25lookback_scan_determinismE0ELb1ES3_N6thrust23THRUST_200600_302600_NS6detail15normal_iteratorINS9_10device_ptrIiEEEENSB_INSC_IdEEEESG_dNS9_4plusIvEENS9_8equal_toIvEEdEE10hipError_tPvRmT2_T3_T4_T5_mT6_T7_P12ihipStream_tbENKUlT_T0_E_clISt17integral_constantIbLb0EES11_EEDaSW_SX_EUlSW_E_NS1_11comp_targetILNS1_3genE5ELNS1_11target_archE942ELNS1_3gpuE9ELNS1_3repE0EEENS1_30default_config_static_selectorELNS0_4arch9wavefront6targetE0EEEvT1_,comdat
	.protected	_ZN7rocprim17ROCPRIM_400000_NS6detail17trampoline_kernelINS0_14default_configENS1_27scan_by_key_config_selectorIidEEZZNS1_16scan_by_key_implILNS1_25lookback_scan_determinismE0ELb1ES3_N6thrust23THRUST_200600_302600_NS6detail15normal_iteratorINS9_10device_ptrIiEEEENSB_INSC_IdEEEESG_dNS9_4plusIvEENS9_8equal_toIvEEdEE10hipError_tPvRmT2_T3_T4_T5_mT6_T7_P12ihipStream_tbENKUlT_T0_E_clISt17integral_constantIbLb0EES11_EEDaSW_SX_EUlSW_E_NS1_11comp_targetILNS1_3genE5ELNS1_11target_archE942ELNS1_3gpuE9ELNS1_3repE0EEENS1_30default_config_static_selectorELNS0_4arch9wavefront6targetE0EEEvT1_ ; -- Begin function _ZN7rocprim17ROCPRIM_400000_NS6detail17trampoline_kernelINS0_14default_configENS1_27scan_by_key_config_selectorIidEEZZNS1_16scan_by_key_implILNS1_25lookback_scan_determinismE0ELb1ES3_N6thrust23THRUST_200600_302600_NS6detail15normal_iteratorINS9_10device_ptrIiEEEENSB_INSC_IdEEEESG_dNS9_4plusIvEENS9_8equal_toIvEEdEE10hipError_tPvRmT2_T3_T4_T5_mT6_T7_P12ihipStream_tbENKUlT_T0_E_clISt17integral_constantIbLb0EES11_EEDaSW_SX_EUlSW_E_NS1_11comp_targetILNS1_3genE5ELNS1_11target_archE942ELNS1_3gpuE9ELNS1_3repE0EEENS1_30default_config_static_selectorELNS0_4arch9wavefront6targetE0EEEvT1_
	.globl	_ZN7rocprim17ROCPRIM_400000_NS6detail17trampoline_kernelINS0_14default_configENS1_27scan_by_key_config_selectorIidEEZZNS1_16scan_by_key_implILNS1_25lookback_scan_determinismE0ELb1ES3_N6thrust23THRUST_200600_302600_NS6detail15normal_iteratorINS9_10device_ptrIiEEEENSB_INSC_IdEEEESG_dNS9_4plusIvEENS9_8equal_toIvEEdEE10hipError_tPvRmT2_T3_T4_T5_mT6_T7_P12ihipStream_tbENKUlT_T0_E_clISt17integral_constantIbLb0EES11_EEDaSW_SX_EUlSW_E_NS1_11comp_targetILNS1_3genE5ELNS1_11target_archE942ELNS1_3gpuE9ELNS1_3repE0EEENS1_30default_config_static_selectorELNS0_4arch9wavefront6targetE0EEEvT1_
	.p2align	8
	.type	_ZN7rocprim17ROCPRIM_400000_NS6detail17trampoline_kernelINS0_14default_configENS1_27scan_by_key_config_selectorIidEEZZNS1_16scan_by_key_implILNS1_25lookback_scan_determinismE0ELb1ES3_N6thrust23THRUST_200600_302600_NS6detail15normal_iteratorINS9_10device_ptrIiEEEENSB_INSC_IdEEEESG_dNS9_4plusIvEENS9_8equal_toIvEEdEE10hipError_tPvRmT2_T3_T4_T5_mT6_T7_P12ihipStream_tbENKUlT_T0_E_clISt17integral_constantIbLb0EES11_EEDaSW_SX_EUlSW_E_NS1_11comp_targetILNS1_3genE5ELNS1_11target_archE942ELNS1_3gpuE9ELNS1_3repE0EEENS1_30default_config_static_selectorELNS0_4arch9wavefront6targetE0EEEvT1_,@function
_ZN7rocprim17ROCPRIM_400000_NS6detail17trampoline_kernelINS0_14default_configENS1_27scan_by_key_config_selectorIidEEZZNS1_16scan_by_key_implILNS1_25lookback_scan_determinismE0ELb1ES3_N6thrust23THRUST_200600_302600_NS6detail15normal_iteratorINS9_10device_ptrIiEEEENSB_INSC_IdEEEESG_dNS9_4plusIvEENS9_8equal_toIvEEdEE10hipError_tPvRmT2_T3_T4_T5_mT6_T7_P12ihipStream_tbENKUlT_T0_E_clISt17integral_constantIbLb0EES11_EEDaSW_SX_EUlSW_E_NS1_11comp_targetILNS1_3genE5ELNS1_11target_archE942ELNS1_3gpuE9ELNS1_3repE0EEENS1_30default_config_static_selectorELNS0_4arch9wavefront6targetE0EEEvT1_: ; @_ZN7rocprim17ROCPRIM_400000_NS6detail17trampoline_kernelINS0_14default_configENS1_27scan_by_key_config_selectorIidEEZZNS1_16scan_by_key_implILNS1_25lookback_scan_determinismE0ELb1ES3_N6thrust23THRUST_200600_302600_NS6detail15normal_iteratorINS9_10device_ptrIiEEEENSB_INSC_IdEEEESG_dNS9_4plusIvEENS9_8equal_toIvEEdEE10hipError_tPvRmT2_T3_T4_T5_mT6_T7_P12ihipStream_tbENKUlT_T0_E_clISt17integral_constantIbLb0EES11_EEDaSW_SX_EUlSW_E_NS1_11comp_targetILNS1_3genE5ELNS1_11target_archE942ELNS1_3gpuE9ELNS1_3repE0EEENS1_30default_config_static_selectorELNS0_4arch9wavefront6targetE0EEEvT1_
; %bb.0:
	.section	.rodata,"a",@progbits
	.p2align	6, 0x0
	.amdhsa_kernel _ZN7rocprim17ROCPRIM_400000_NS6detail17trampoline_kernelINS0_14default_configENS1_27scan_by_key_config_selectorIidEEZZNS1_16scan_by_key_implILNS1_25lookback_scan_determinismE0ELb1ES3_N6thrust23THRUST_200600_302600_NS6detail15normal_iteratorINS9_10device_ptrIiEEEENSB_INSC_IdEEEESG_dNS9_4plusIvEENS9_8equal_toIvEEdEE10hipError_tPvRmT2_T3_T4_T5_mT6_T7_P12ihipStream_tbENKUlT_T0_E_clISt17integral_constantIbLb0EES11_EEDaSW_SX_EUlSW_E_NS1_11comp_targetILNS1_3genE5ELNS1_11target_archE942ELNS1_3gpuE9ELNS1_3repE0EEENS1_30default_config_static_selectorELNS0_4arch9wavefront6targetE0EEEvT1_
		.amdhsa_group_segment_fixed_size 0
		.amdhsa_private_segment_fixed_size 0
		.amdhsa_kernarg_size 136
		.amdhsa_user_sgpr_count 6
		.amdhsa_user_sgpr_private_segment_buffer 1
		.amdhsa_user_sgpr_dispatch_ptr 0
		.amdhsa_user_sgpr_queue_ptr 0
		.amdhsa_user_sgpr_kernarg_segment_ptr 1
		.amdhsa_user_sgpr_dispatch_id 0
		.amdhsa_user_sgpr_flat_scratch_init 0
		.amdhsa_user_sgpr_private_segment_size 0
		.amdhsa_wavefront_size32 1
		.amdhsa_uses_dynamic_stack 0
		.amdhsa_system_sgpr_private_segment_wavefront_offset 0
		.amdhsa_system_sgpr_workgroup_id_x 1
		.amdhsa_system_sgpr_workgroup_id_y 0
		.amdhsa_system_sgpr_workgroup_id_z 0
		.amdhsa_system_sgpr_workgroup_info 0
		.amdhsa_system_vgpr_workitem_id 0
		.amdhsa_next_free_vgpr 1
		.amdhsa_next_free_sgpr 1
		.amdhsa_reserve_vcc 0
		.amdhsa_reserve_flat_scratch 0
		.amdhsa_float_round_mode_32 0
		.amdhsa_float_round_mode_16_64 0
		.amdhsa_float_denorm_mode_32 3
		.amdhsa_float_denorm_mode_16_64 3
		.amdhsa_dx10_clamp 1
		.amdhsa_ieee_mode 1
		.amdhsa_fp16_overflow 0
		.amdhsa_workgroup_processor_mode 1
		.amdhsa_memory_ordered 1
		.amdhsa_forward_progress 1
		.amdhsa_shared_vgpr_count 0
		.amdhsa_exception_fp_ieee_invalid_op 0
		.amdhsa_exception_fp_denorm_src 0
		.amdhsa_exception_fp_ieee_div_zero 0
		.amdhsa_exception_fp_ieee_overflow 0
		.amdhsa_exception_fp_ieee_underflow 0
		.amdhsa_exception_fp_ieee_inexact 0
		.amdhsa_exception_int_div_zero 0
	.end_amdhsa_kernel
	.section	.text._ZN7rocprim17ROCPRIM_400000_NS6detail17trampoline_kernelINS0_14default_configENS1_27scan_by_key_config_selectorIidEEZZNS1_16scan_by_key_implILNS1_25lookback_scan_determinismE0ELb1ES3_N6thrust23THRUST_200600_302600_NS6detail15normal_iteratorINS9_10device_ptrIiEEEENSB_INSC_IdEEEESG_dNS9_4plusIvEENS9_8equal_toIvEEdEE10hipError_tPvRmT2_T3_T4_T5_mT6_T7_P12ihipStream_tbENKUlT_T0_E_clISt17integral_constantIbLb0EES11_EEDaSW_SX_EUlSW_E_NS1_11comp_targetILNS1_3genE5ELNS1_11target_archE942ELNS1_3gpuE9ELNS1_3repE0EEENS1_30default_config_static_selectorELNS0_4arch9wavefront6targetE0EEEvT1_,"axG",@progbits,_ZN7rocprim17ROCPRIM_400000_NS6detail17trampoline_kernelINS0_14default_configENS1_27scan_by_key_config_selectorIidEEZZNS1_16scan_by_key_implILNS1_25lookback_scan_determinismE0ELb1ES3_N6thrust23THRUST_200600_302600_NS6detail15normal_iteratorINS9_10device_ptrIiEEEENSB_INSC_IdEEEESG_dNS9_4plusIvEENS9_8equal_toIvEEdEE10hipError_tPvRmT2_T3_T4_T5_mT6_T7_P12ihipStream_tbENKUlT_T0_E_clISt17integral_constantIbLb0EES11_EEDaSW_SX_EUlSW_E_NS1_11comp_targetILNS1_3genE5ELNS1_11target_archE942ELNS1_3gpuE9ELNS1_3repE0EEENS1_30default_config_static_selectorELNS0_4arch9wavefront6targetE0EEEvT1_,comdat
.Lfunc_end1393:
	.size	_ZN7rocprim17ROCPRIM_400000_NS6detail17trampoline_kernelINS0_14default_configENS1_27scan_by_key_config_selectorIidEEZZNS1_16scan_by_key_implILNS1_25lookback_scan_determinismE0ELb1ES3_N6thrust23THRUST_200600_302600_NS6detail15normal_iteratorINS9_10device_ptrIiEEEENSB_INSC_IdEEEESG_dNS9_4plusIvEENS9_8equal_toIvEEdEE10hipError_tPvRmT2_T3_T4_T5_mT6_T7_P12ihipStream_tbENKUlT_T0_E_clISt17integral_constantIbLb0EES11_EEDaSW_SX_EUlSW_E_NS1_11comp_targetILNS1_3genE5ELNS1_11target_archE942ELNS1_3gpuE9ELNS1_3repE0EEENS1_30default_config_static_selectorELNS0_4arch9wavefront6targetE0EEEvT1_, .Lfunc_end1393-_ZN7rocprim17ROCPRIM_400000_NS6detail17trampoline_kernelINS0_14default_configENS1_27scan_by_key_config_selectorIidEEZZNS1_16scan_by_key_implILNS1_25lookback_scan_determinismE0ELb1ES3_N6thrust23THRUST_200600_302600_NS6detail15normal_iteratorINS9_10device_ptrIiEEEENSB_INSC_IdEEEESG_dNS9_4plusIvEENS9_8equal_toIvEEdEE10hipError_tPvRmT2_T3_T4_T5_mT6_T7_P12ihipStream_tbENKUlT_T0_E_clISt17integral_constantIbLb0EES11_EEDaSW_SX_EUlSW_E_NS1_11comp_targetILNS1_3genE5ELNS1_11target_archE942ELNS1_3gpuE9ELNS1_3repE0EEENS1_30default_config_static_selectorELNS0_4arch9wavefront6targetE0EEEvT1_
                                        ; -- End function
	.set _ZN7rocprim17ROCPRIM_400000_NS6detail17trampoline_kernelINS0_14default_configENS1_27scan_by_key_config_selectorIidEEZZNS1_16scan_by_key_implILNS1_25lookback_scan_determinismE0ELb1ES3_N6thrust23THRUST_200600_302600_NS6detail15normal_iteratorINS9_10device_ptrIiEEEENSB_INSC_IdEEEESG_dNS9_4plusIvEENS9_8equal_toIvEEdEE10hipError_tPvRmT2_T3_T4_T5_mT6_T7_P12ihipStream_tbENKUlT_T0_E_clISt17integral_constantIbLb0EES11_EEDaSW_SX_EUlSW_E_NS1_11comp_targetILNS1_3genE5ELNS1_11target_archE942ELNS1_3gpuE9ELNS1_3repE0EEENS1_30default_config_static_selectorELNS0_4arch9wavefront6targetE0EEEvT1_.num_vgpr, 0
	.set _ZN7rocprim17ROCPRIM_400000_NS6detail17trampoline_kernelINS0_14default_configENS1_27scan_by_key_config_selectorIidEEZZNS1_16scan_by_key_implILNS1_25lookback_scan_determinismE0ELb1ES3_N6thrust23THRUST_200600_302600_NS6detail15normal_iteratorINS9_10device_ptrIiEEEENSB_INSC_IdEEEESG_dNS9_4plusIvEENS9_8equal_toIvEEdEE10hipError_tPvRmT2_T3_T4_T5_mT6_T7_P12ihipStream_tbENKUlT_T0_E_clISt17integral_constantIbLb0EES11_EEDaSW_SX_EUlSW_E_NS1_11comp_targetILNS1_3genE5ELNS1_11target_archE942ELNS1_3gpuE9ELNS1_3repE0EEENS1_30default_config_static_selectorELNS0_4arch9wavefront6targetE0EEEvT1_.num_agpr, 0
	.set _ZN7rocprim17ROCPRIM_400000_NS6detail17trampoline_kernelINS0_14default_configENS1_27scan_by_key_config_selectorIidEEZZNS1_16scan_by_key_implILNS1_25lookback_scan_determinismE0ELb1ES3_N6thrust23THRUST_200600_302600_NS6detail15normal_iteratorINS9_10device_ptrIiEEEENSB_INSC_IdEEEESG_dNS9_4plusIvEENS9_8equal_toIvEEdEE10hipError_tPvRmT2_T3_T4_T5_mT6_T7_P12ihipStream_tbENKUlT_T0_E_clISt17integral_constantIbLb0EES11_EEDaSW_SX_EUlSW_E_NS1_11comp_targetILNS1_3genE5ELNS1_11target_archE942ELNS1_3gpuE9ELNS1_3repE0EEENS1_30default_config_static_selectorELNS0_4arch9wavefront6targetE0EEEvT1_.numbered_sgpr, 0
	.set _ZN7rocprim17ROCPRIM_400000_NS6detail17trampoline_kernelINS0_14default_configENS1_27scan_by_key_config_selectorIidEEZZNS1_16scan_by_key_implILNS1_25lookback_scan_determinismE0ELb1ES3_N6thrust23THRUST_200600_302600_NS6detail15normal_iteratorINS9_10device_ptrIiEEEENSB_INSC_IdEEEESG_dNS9_4plusIvEENS9_8equal_toIvEEdEE10hipError_tPvRmT2_T3_T4_T5_mT6_T7_P12ihipStream_tbENKUlT_T0_E_clISt17integral_constantIbLb0EES11_EEDaSW_SX_EUlSW_E_NS1_11comp_targetILNS1_3genE5ELNS1_11target_archE942ELNS1_3gpuE9ELNS1_3repE0EEENS1_30default_config_static_selectorELNS0_4arch9wavefront6targetE0EEEvT1_.num_named_barrier, 0
	.set _ZN7rocprim17ROCPRIM_400000_NS6detail17trampoline_kernelINS0_14default_configENS1_27scan_by_key_config_selectorIidEEZZNS1_16scan_by_key_implILNS1_25lookback_scan_determinismE0ELb1ES3_N6thrust23THRUST_200600_302600_NS6detail15normal_iteratorINS9_10device_ptrIiEEEENSB_INSC_IdEEEESG_dNS9_4plusIvEENS9_8equal_toIvEEdEE10hipError_tPvRmT2_T3_T4_T5_mT6_T7_P12ihipStream_tbENKUlT_T0_E_clISt17integral_constantIbLb0EES11_EEDaSW_SX_EUlSW_E_NS1_11comp_targetILNS1_3genE5ELNS1_11target_archE942ELNS1_3gpuE9ELNS1_3repE0EEENS1_30default_config_static_selectorELNS0_4arch9wavefront6targetE0EEEvT1_.private_seg_size, 0
	.set _ZN7rocprim17ROCPRIM_400000_NS6detail17trampoline_kernelINS0_14default_configENS1_27scan_by_key_config_selectorIidEEZZNS1_16scan_by_key_implILNS1_25lookback_scan_determinismE0ELb1ES3_N6thrust23THRUST_200600_302600_NS6detail15normal_iteratorINS9_10device_ptrIiEEEENSB_INSC_IdEEEESG_dNS9_4plusIvEENS9_8equal_toIvEEdEE10hipError_tPvRmT2_T3_T4_T5_mT6_T7_P12ihipStream_tbENKUlT_T0_E_clISt17integral_constantIbLb0EES11_EEDaSW_SX_EUlSW_E_NS1_11comp_targetILNS1_3genE5ELNS1_11target_archE942ELNS1_3gpuE9ELNS1_3repE0EEENS1_30default_config_static_selectorELNS0_4arch9wavefront6targetE0EEEvT1_.uses_vcc, 0
	.set _ZN7rocprim17ROCPRIM_400000_NS6detail17trampoline_kernelINS0_14default_configENS1_27scan_by_key_config_selectorIidEEZZNS1_16scan_by_key_implILNS1_25lookback_scan_determinismE0ELb1ES3_N6thrust23THRUST_200600_302600_NS6detail15normal_iteratorINS9_10device_ptrIiEEEENSB_INSC_IdEEEESG_dNS9_4plusIvEENS9_8equal_toIvEEdEE10hipError_tPvRmT2_T3_T4_T5_mT6_T7_P12ihipStream_tbENKUlT_T0_E_clISt17integral_constantIbLb0EES11_EEDaSW_SX_EUlSW_E_NS1_11comp_targetILNS1_3genE5ELNS1_11target_archE942ELNS1_3gpuE9ELNS1_3repE0EEENS1_30default_config_static_selectorELNS0_4arch9wavefront6targetE0EEEvT1_.uses_flat_scratch, 0
	.set _ZN7rocprim17ROCPRIM_400000_NS6detail17trampoline_kernelINS0_14default_configENS1_27scan_by_key_config_selectorIidEEZZNS1_16scan_by_key_implILNS1_25lookback_scan_determinismE0ELb1ES3_N6thrust23THRUST_200600_302600_NS6detail15normal_iteratorINS9_10device_ptrIiEEEENSB_INSC_IdEEEESG_dNS9_4plusIvEENS9_8equal_toIvEEdEE10hipError_tPvRmT2_T3_T4_T5_mT6_T7_P12ihipStream_tbENKUlT_T0_E_clISt17integral_constantIbLb0EES11_EEDaSW_SX_EUlSW_E_NS1_11comp_targetILNS1_3genE5ELNS1_11target_archE942ELNS1_3gpuE9ELNS1_3repE0EEENS1_30default_config_static_selectorELNS0_4arch9wavefront6targetE0EEEvT1_.has_dyn_sized_stack, 0
	.set _ZN7rocprim17ROCPRIM_400000_NS6detail17trampoline_kernelINS0_14default_configENS1_27scan_by_key_config_selectorIidEEZZNS1_16scan_by_key_implILNS1_25lookback_scan_determinismE0ELb1ES3_N6thrust23THRUST_200600_302600_NS6detail15normal_iteratorINS9_10device_ptrIiEEEENSB_INSC_IdEEEESG_dNS9_4plusIvEENS9_8equal_toIvEEdEE10hipError_tPvRmT2_T3_T4_T5_mT6_T7_P12ihipStream_tbENKUlT_T0_E_clISt17integral_constantIbLb0EES11_EEDaSW_SX_EUlSW_E_NS1_11comp_targetILNS1_3genE5ELNS1_11target_archE942ELNS1_3gpuE9ELNS1_3repE0EEENS1_30default_config_static_selectorELNS0_4arch9wavefront6targetE0EEEvT1_.has_recursion, 0
	.set _ZN7rocprim17ROCPRIM_400000_NS6detail17trampoline_kernelINS0_14default_configENS1_27scan_by_key_config_selectorIidEEZZNS1_16scan_by_key_implILNS1_25lookback_scan_determinismE0ELb1ES3_N6thrust23THRUST_200600_302600_NS6detail15normal_iteratorINS9_10device_ptrIiEEEENSB_INSC_IdEEEESG_dNS9_4plusIvEENS9_8equal_toIvEEdEE10hipError_tPvRmT2_T3_T4_T5_mT6_T7_P12ihipStream_tbENKUlT_T0_E_clISt17integral_constantIbLb0EES11_EEDaSW_SX_EUlSW_E_NS1_11comp_targetILNS1_3genE5ELNS1_11target_archE942ELNS1_3gpuE9ELNS1_3repE0EEENS1_30default_config_static_selectorELNS0_4arch9wavefront6targetE0EEEvT1_.has_indirect_call, 0
	.section	.AMDGPU.csdata,"",@progbits
; Kernel info:
; codeLenInByte = 0
; TotalNumSgprs: 0
; NumVgprs: 0
; ScratchSize: 0
; MemoryBound: 0
; FloatMode: 240
; IeeeMode: 1
; LDSByteSize: 0 bytes/workgroup (compile time only)
; SGPRBlocks: 0
; VGPRBlocks: 0
; NumSGPRsForWavesPerEU: 1
; NumVGPRsForWavesPerEU: 1
; Occupancy: 16
; WaveLimiterHint : 0
; COMPUTE_PGM_RSRC2:SCRATCH_EN: 0
; COMPUTE_PGM_RSRC2:USER_SGPR: 6
; COMPUTE_PGM_RSRC2:TRAP_HANDLER: 0
; COMPUTE_PGM_RSRC2:TGID_X_EN: 1
; COMPUTE_PGM_RSRC2:TGID_Y_EN: 0
; COMPUTE_PGM_RSRC2:TGID_Z_EN: 0
; COMPUTE_PGM_RSRC2:TIDIG_COMP_CNT: 0
	.section	.text._ZN7rocprim17ROCPRIM_400000_NS6detail17trampoline_kernelINS0_14default_configENS1_27scan_by_key_config_selectorIidEEZZNS1_16scan_by_key_implILNS1_25lookback_scan_determinismE0ELb1ES3_N6thrust23THRUST_200600_302600_NS6detail15normal_iteratorINS9_10device_ptrIiEEEENSB_INSC_IdEEEESG_dNS9_4plusIvEENS9_8equal_toIvEEdEE10hipError_tPvRmT2_T3_T4_T5_mT6_T7_P12ihipStream_tbENKUlT_T0_E_clISt17integral_constantIbLb0EES11_EEDaSW_SX_EUlSW_E_NS1_11comp_targetILNS1_3genE4ELNS1_11target_archE910ELNS1_3gpuE8ELNS1_3repE0EEENS1_30default_config_static_selectorELNS0_4arch9wavefront6targetE0EEEvT1_,"axG",@progbits,_ZN7rocprim17ROCPRIM_400000_NS6detail17trampoline_kernelINS0_14default_configENS1_27scan_by_key_config_selectorIidEEZZNS1_16scan_by_key_implILNS1_25lookback_scan_determinismE0ELb1ES3_N6thrust23THRUST_200600_302600_NS6detail15normal_iteratorINS9_10device_ptrIiEEEENSB_INSC_IdEEEESG_dNS9_4plusIvEENS9_8equal_toIvEEdEE10hipError_tPvRmT2_T3_T4_T5_mT6_T7_P12ihipStream_tbENKUlT_T0_E_clISt17integral_constantIbLb0EES11_EEDaSW_SX_EUlSW_E_NS1_11comp_targetILNS1_3genE4ELNS1_11target_archE910ELNS1_3gpuE8ELNS1_3repE0EEENS1_30default_config_static_selectorELNS0_4arch9wavefront6targetE0EEEvT1_,comdat
	.protected	_ZN7rocprim17ROCPRIM_400000_NS6detail17trampoline_kernelINS0_14default_configENS1_27scan_by_key_config_selectorIidEEZZNS1_16scan_by_key_implILNS1_25lookback_scan_determinismE0ELb1ES3_N6thrust23THRUST_200600_302600_NS6detail15normal_iteratorINS9_10device_ptrIiEEEENSB_INSC_IdEEEESG_dNS9_4plusIvEENS9_8equal_toIvEEdEE10hipError_tPvRmT2_T3_T4_T5_mT6_T7_P12ihipStream_tbENKUlT_T0_E_clISt17integral_constantIbLb0EES11_EEDaSW_SX_EUlSW_E_NS1_11comp_targetILNS1_3genE4ELNS1_11target_archE910ELNS1_3gpuE8ELNS1_3repE0EEENS1_30default_config_static_selectorELNS0_4arch9wavefront6targetE0EEEvT1_ ; -- Begin function _ZN7rocprim17ROCPRIM_400000_NS6detail17trampoline_kernelINS0_14default_configENS1_27scan_by_key_config_selectorIidEEZZNS1_16scan_by_key_implILNS1_25lookback_scan_determinismE0ELb1ES3_N6thrust23THRUST_200600_302600_NS6detail15normal_iteratorINS9_10device_ptrIiEEEENSB_INSC_IdEEEESG_dNS9_4plusIvEENS9_8equal_toIvEEdEE10hipError_tPvRmT2_T3_T4_T5_mT6_T7_P12ihipStream_tbENKUlT_T0_E_clISt17integral_constantIbLb0EES11_EEDaSW_SX_EUlSW_E_NS1_11comp_targetILNS1_3genE4ELNS1_11target_archE910ELNS1_3gpuE8ELNS1_3repE0EEENS1_30default_config_static_selectorELNS0_4arch9wavefront6targetE0EEEvT1_
	.globl	_ZN7rocprim17ROCPRIM_400000_NS6detail17trampoline_kernelINS0_14default_configENS1_27scan_by_key_config_selectorIidEEZZNS1_16scan_by_key_implILNS1_25lookback_scan_determinismE0ELb1ES3_N6thrust23THRUST_200600_302600_NS6detail15normal_iteratorINS9_10device_ptrIiEEEENSB_INSC_IdEEEESG_dNS9_4plusIvEENS9_8equal_toIvEEdEE10hipError_tPvRmT2_T3_T4_T5_mT6_T7_P12ihipStream_tbENKUlT_T0_E_clISt17integral_constantIbLb0EES11_EEDaSW_SX_EUlSW_E_NS1_11comp_targetILNS1_3genE4ELNS1_11target_archE910ELNS1_3gpuE8ELNS1_3repE0EEENS1_30default_config_static_selectorELNS0_4arch9wavefront6targetE0EEEvT1_
	.p2align	8
	.type	_ZN7rocprim17ROCPRIM_400000_NS6detail17trampoline_kernelINS0_14default_configENS1_27scan_by_key_config_selectorIidEEZZNS1_16scan_by_key_implILNS1_25lookback_scan_determinismE0ELb1ES3_N6thrust23THRUST_200600_302600_NS6detail15normal_iteratorINS9_10device_ptrIiEEEENSB_INSC_IdEEEESG_dNS9_4plusIvEENS9_8equal_toIvEEdEE10hipError_tPvRmT2_T3_T4_T5_mT6_T7_P12ihipStream_tbENKUlT_T0_E_clISt17integral_constantIbLb0EES11_EEDaSW_SX_EUlSW_E_NS1_11comp_targetILNS1_3genE4ELNS1_11target_archE910ELNS1_3gpuE8ELNS1_3repE0EEENS1_30default_config_static_selectorELNS0_4arch9wavefront6targetE0EEEvT1_,@function
_ZN7rocprim17ROCPRIM_400000_NS6detail17trampoline_kernelINS0_14default_configENS1_27scan_by_key_config_selectorIidEEZZNS1_16scan_by_key_implILNS1_25lookback_scan_determinismE0ELb1ES3_N6thrust23THRUST_200600_302600_NS6detail15normal_iteratorINS9_10device_ptrIiEEEENSB_INSC_IdEEEESG_dNS9_4plusIvEENS9_8equal_toIvEEdEE10hipError_tPvRmT2_T3_T4_T5_mT6_T7_P12ihipStream_tbENKUlT_T0_E_clISt17integral_constantIbLb0EES11_EEDaSW_SX_EUlSW_E_NS1_11comp_targetILNS1_3genE4ELNS1_11target_archE910ELNS1_3gpuE8ELNS1_3repE0EEENS1_30default_config_static_selectorELNS0_4arch9wavefront6targetE0EEEvT1_: ; @_ZN7rocprim17ROCPRIM_400000_NS6detail17trampoline_kernelINS0_14default_configENS1_27scan_by_key_config_selectorIidEEZZNS1_16scan_by_key_implILNS1_25lookback_scan_determinismE0ELb1ES3_N6thrust23THRUST_200600_302600_NS6detail15normal_iteratorINS9_10device_ptrIiEEEENSB_INSC_IdEEEESG_dNS9_4plusIvEENS9_8equal_toIvEEdEE10hipError_tPvRmT2_T3_T4_T5_mT6_T7_P12ihipStream_tbENKUlT_T0_E_clISt17integral_constantIbLb0EES11_EEDaSW_SX_EUlSW_E_NS1_11comp_targetILNS1_3genE4ELNS1_11target_archE910ELNS1_3gpuE8ELNS1_3repE0EEENS1_30default_config_static_selectorELNS0_4arch9wavefront6targetE0EEEvT1_
; %bb.0:
	.section	.rodata,"a",@progbits
	.p2align	6, 0x0
	.amdhsa_kernel _ZN7rocprim17ROCPRIM_400000_NS6detail17trampoline_kernelINS0_14default_configENS1_27scan_by_key_config_selectorIidEEZZNS1_16scan_by_key_implILNS1_25lookback_scan_determinismE0ELb1ES3_N6thrust23THRUST_200600_302600_NS6detail15normal_iteratorINS9_10device_ptrIiEEEENSB_INSC_IdEEEESG_dNS9_4plusIvEENS9_8equal_toIvEEdEE10hipError_tPvRmT2_T3_T4_T5_mT6_T7_P12ihipStream_tbENKUlT_T0_E_clISt17integral_constantIbLb0EES11_EEDaSW_SX_EUlSW_E_NS1_11comp_targetILNS1_3genE4ELNS1_11target_archE910ELNS1_3gpuE8ELNS1_3repE0EEENS1_30default_config_static_selectorELNS0_4arch9wavefront6targetE0EEEvT1_
		.amdhsa_group_segment_fixed_size 0
		.amdhsa_private_segment_fixed_size 0
		.amdhsa_kernarg_size 136
		.amdhsa_user_sgpr_count 6
		.amdhsa_user_sgpr_private_segment_buffer 1
		.amdhsa_user_sgpr_dispatch_ptr 0
		.amdhsa_user_sgpr_queue_ptr 0
		.amdhsa_user_sgpr_kernarg_segment_ptr 1
		.amdhsa_user_sgpr_dispatch_id 0
		.amdhsa_user_sgpr_flat_scratch_init 0
		.amdhsa_user_sgpr_private_segment_size 0
		.amdhsa_wavefront_size32 1
		.amdhsa_uses_dynamic_stack 0
		.amdhsa_system_sgpr_private_segment_wavefront_offset 0
		.amdhsa_system_sgpr_workgroup_id_x 1
		.amdhsa_system_sgpr_workgroup_id_y 0
		.amdhsa_system_sgpr_workgroup_id_z 0
		.amdhsa_system_sgpr_workgroup_info 0
		.amdhsa_system_vgpr_workitem_id 0
		.amdhsa_next_free_vgpr 1
		.amdhsa_next_free_sgpr 1
		.amdhsa_reserve_vcc 0
		.amdhsa_reserve_flat_scratch 0
		.amdhsa_float_round_mode_32 0
		.amdhsa_float_round_mode_16_64 0
		.amdhsa_float_denorm_mode_32 3
		.amdhsa_float_denorm_mode_16_64 3
		.amdhsa_dx10_clamp 1
		.amdhsa_ieee_mode 1
		.amdhsa_fp16_overflow 0
		.amdhsa_workgroup_processor_mode 1
		.amdhsa_memory_ordered 1
		.amdhsa_forward_progress 1
		.amdhsa_shared_vgpr_count 0
		.amdhsa_exception_fp_ieee_invalid_op 0
		.amdhsa_exception_fp_denorm_src 0
		.amdhsa_exception_fp_ieee_div_zero 0
		.amdhsa_exception_fp_ieee_overflow 0
		.amdhsa_exception_fp_ieee_underflow 0
		.amdhsa_exception_fp_ieee_inexact 0
		.amdhsa_exception_int_div_zero 0
	.end_amdhsa_kernel
	.section	.text._ZN7rocprim17ROCPRIM_400000_NS6detail17trampoline_kernelINS0_14default_configENS1_27scan_by_key_config_selectorIidEEZZNS1_16scan_by_key_implILNS1_25lookback_scan_determinismE0ELb1ES3_N6thrust23THRUST_200600_302600_NS6detail15normal_iteratorINS9_10device_ptrIiEEEENSB_INSC_IdEEEESG_dNS9_4plusIvEENS9_8equal_toIvEEdEE10hipError_tPvRmT2_T3_T4_T5_mT6_T7_P12ihipStream_tbENKUlT_T0_E_clISt17integral_constantIbLb0EES11_EEDaSW_SX_EUlSW_E_NS1_11comp_targetILNS1_3genE4ELNS1_11target_archE910ELNS1_3gpuE8ELNS1_3repE0EEENS1_30default_config_static_selectorELNS0_4arch9wavefront6targetE0EEEvT1_,"axG",@progbits,_ZN7rocprim17ROCPRIM_400000_NS6detail17trampoline_kernelINS0_14default_configENS1_27scan_by_key_config_selectorIidEEZZNS1_16scan_by_key_implILNS1_25lookback_scan_determinismE0ELb1ES3_N6thrust23THRUST_200600_302600_NS6detail15normal_iteratorINS9_10device_ptrIiEEEENSB_INSC_IdEEEESG_dNS9_4plusIvEENS9_8equal_toIvEEdEE10hipError_tPvRmT2_T3_T4_T5_mT6_T7_P12ihipStream_tbENKUlT_T0_E_clISt17integral_constantIbLb0EES11_EEDaSW_SX_EUlSW_E_NS1_11comp_targetILNS1_3genE4ELNS1_11target_archE910ELNS1_3gpuE8ELNS1_3repE0EEENS1_30default_config_static_selectorELNS0_4arch9wavefront6targetE0EEEvT1_,comdat
.Lfunc_end1394:
	.size	_ZN7rocprim17ROCPRIM_400000_NS6detail17trampoline_kernelINS0_14default_configENS1_27scan_by_key_config_selectorIidEEZZNS1_16scan_by_key_implILNS1_25lookback_scan_determinismE0ELb1ES3_N6thrust23THRUST_200600_302600_NS6detail15normal_iteratorINS9_10device_ptrIiEEEENSB_INSC_IdEEEESG_dNS9_4plusIvEENS9_8equal_toIvEEdEE10hipError_tPvRmT2_T3_T4_T5_mT6_T7_P12ihipStream_tbENKUlT_T0_E_clISt17integral_constantIbLb0EES11_EEDaSW_SX_EUlSW_E_NS1_11comp_targetILNS1_3genE4ELNS1_11target_archE910ELNS1_3gpuE8ELNS1_3repE0EEENS1_30default_config_static_selectorELNS0_4arch9wavefront6targetE0EEEvT1_, .Lfunc_end1394-_ZN7rocprim17ROCPRIM_400000_NS6detail17trampoline_kernelINS0_14default_configENS1_27scan_by_key_config_selectorIidEEZZNS1_16scan_by_key_implILNS1_25lookback_scan_determinismE0ELb1ES3_N6thrust23THRUST_200600_302600_NS6detail15normal_iteratorINS9_10device_ptrIiEEEENSB_INSC_IdEEEESG_dNS9_4plusIvEENS9_8equal_toIvEEdEE10hipError_tPvRmT2_T3_T4_T5_mT6_T7_P12ihipStream_tbENKUlT_T0_E_clISt17integral_constantIbLb0EES11_EEDaSW_SX_EUlSW_E_NS1_11comp_targetILNS1_3genE4ELNS1_11target_archE910ELNS1_3gpuE8ELNS1_3repE0EEENS1_30default_config_static_selectorELNS0_4arch9wavefront6targetE0EEEvT1_
                                        ; -- End function
	.set _ZN7rocprim17ROCPRIM_400000_NS6detail17trampoline_kernelINS0_14default_configENS1_27scan_by_key_config_selectorIidEEZZNS1_16scan_by_key_implILNS1_25lookback_scan_determinismE0ELb1ES3_N6thrust23THRUST_200600_302600_NS6detail15normal_iteratorINS9_10device_ptrIiEEEENSB_INSC_IdEEEESG_dNS9_4plusIvEENS9_8equal_toIvEEdEE10hipError_tPvRmT2_T3_T4_T5_mT6_T7_P12ihipStream_tbENKUlT_T0_E_clISt17integral_constantIbLb0EES11_EEDaSW_SX_EUlSW_E_NS1_11comp_targetILNS1_3genE4ELNS1_11target_archE910ELNS1_3gpuE8ELNS1_3repE0EEENS1_30default_config_static_selectorELNS0_4arch9wavefront6targetE0EEEvT1_.num_vgpr, 0
	.set _ZN7rocprim17ROCPRIM_400000_NS6detail17trampoline_kernelINS0_14default_configENS1_27scan_by_key_config_selectorIidEEZZNS1_16scan_by_key_implILNS1_25lookback_scan_determinismE0ELb1ES3_N6thrust23THRUST_200600_302600_NS6detail15normal_iteratorINS9_10device_ptrIiEEEENSB_INSC_IdEEEESG_dNS9_4plusIvEENS9_8equal_toIvEEdEE10hipError_tPvRmT2_T3_T4_T5_mT6_T7_P12ihipStream_tbENKUlT_T0_E_clISt17integral_constantIbLb0EES11_EEDaSW_SX_EUlSW_E_NS1_11comp_targetILNS1_3genE4ELNS1_11target_archE910ELNS1_3gpuE8ELNS1_3repE0EEENS1_30default_config_static_selectorELNS0_4arch9wavefront6targetE0EEEvT1_.num_agpr, 0
	.set _ZN7rocprim17ROCPRIM_400000_NS6detail17trampoline_kernelINS0_14default_configENS1_27scan_by_key_config_selectorIidEEZZNS1_16scan_by_key_implILNS1_25lookback_scan_determinismE0ELb1ES3_N6thrust23THRUST_200600_302600_NS6detail15normal_iteratorINS9_10device_ptrIiEEEENSB_INSC_IdEEEESG_dNS9_4plusIvEENS9_8equal_toIvEEdEE10hipError_tPvRmT2_T3_T4_T5_mT6_T7_P12ihipStream_tbENKUlT_T0_E_clISt17integral_constantIbLb0EES11_EEDaSW_SX_EUlSW_E_NS1_11comp_targetILNS1_3genE4ELNS1_11target_archE910ELNS1_3gpuE8ELNS1_3repE0EEENS1_30default_config_static_selectorELNS0_4arch9wavefront6targetE0EEEvT1_.numbered_sgpr, 0
	.set _ZN7rocprim17ROCPRIM_400000_NS6detail17trampoline_kernelINS0_14default_configENS1_27scan_by_key_config_selectorIidEEZZNS1_16scan_by_key_implILNS1_25lookback_scan_determinismE0ELb1ES3_N6thrust23THRUST_200600_302600_NS6detail15normal_iteratorINS9_10device_ptrIiEEEENSB_INSC_IdEEEESG_dNS9_4plusIvEENS9_8equal_toIvEEdEE10hipError_tPvRmT2_T3_T4_T5_mT6_T7_P12ihipStream_tbENKUlT_T0_E_clISt17integral_constantIbLb0EES11_EEDaSW_SX_EUlSW_E_NS1_11comp_targetILNS1_3genE4ELNS1_11target_archE910ELNS1_3gpuE8ELNS1_3repE0EEENS1_30default_config_static_selectorELNS0_4arch9wavefront6targetE0EEEvT1_.num_named_barrier, 0
	.set _ZN7rocprim17ROCPRIM_400000_NS6detail17trampoline_kernelINS0_14default_configENS1_27scan_by_key_config_selectorIidEEZZNS1_16scan_by_key_implILNS1_25lookback_scan_determinismE0ELb1ES3_N6thrust23THRUST_200600_302600_NS6detail15normal_iteratorINS9_10device_ptrIiEEEENSB_INSC_IdEEEESG_dNS9_4plusIvEENS9_8equal_toIvEEdEE10hipError_tPvRmT2_T3_T4_T5_mT6_T7_P12ihipStream_tbENKUlT_T0_E_clISt17integral_constantIbLb0EES11_EEDaSW_SX_EUlSW_E_NS1_11comp_targetILNS1_3genE4ELNS1_11target_archE910ELNS1_3gpuE8ELNS1_3repE0EEENS1_30default_config_static_selectorELNS0_4arch9wavefront6targetE0EEEvT1_.private_seg_size, 0
	.set _ZN7rocprim17ROCPRIM_400000_NS6detail17trampoline_kernelINS0_14default_configENS1_27scan_by_key_config_selectorIidEEZZNS1_16scan_by_key_implILNS1_25lookback_scan_determinismE0ELb1ES3_N6thrust23THRUST_200600_302600_NS6detail15normal_iteratorINS9_10device_ptrIiEEEENSB_INSC_IdEEEESG_dNS9_4plusIvEENS9_8equal_toIvEEdEE10hipError_tPvRmT2_T3_T4_T5_mT6_T7_P12ihipStream_tbENKUlT_T0_E_clISt17integral_constantIbLb0EES11_EEDaSW_SX_EUlSW_E_NS1_11comp_targetILNS1_3genE4ELNS1_11target_archE910ELNS1_3gpuE8ELNS1_3repE0EEENS1_30default_config_static_selectorELNS0_4arch9wavefront6targetE0EEEvT1_.uses_vcc, 0
	.set _ZN7rocprim17ROCPRIM_400000_NS6detail17trampoline_kernelINS0_14default_configENS1_27scan_by_key_config_selectorIidEEZZNS1_16scan_by_key_implILNS1_25lookback_scan_determinismE0ELb1ES3_N6thrust23THRUST_200600_302600_NS6detail15normal_iteratorINS9_10device_ptrIiEEEENSB_INSC_IdEEEESG_dNS9_4plusIvEENS9_8equal_toIvEEdEE10hipError_tPvRmT2_T3_T4_T5_mT6_T7_P12ihipStream_tbENKUlT_T0_E_clISt17integral_constantIbLb0EES11_EEDaSW_SX_EUlSW_E_NS1_11comp_targetILNS1_3genE4ELNS1_11target_archE910ELNS1_3gpuE8ELNS1_3repE0EEENS1_30default_config_static_selectorELNS0_4arch9wavefront6targetE0EEEvT1_.uses_flat_scratch, 0
	.set _ZN7rocprim17ROCPRIM_400000_NS6detail17trampoline_kernelINS0_14default_configENS1_27scan_by_key_config_selectorIidEEZZNS1_16scan_by_key_implILNS1_25lookback_scan_determinismE0ELb1ES3_N6thrust23THRUST_200600_302600_NS6detail15normal_iteratorINS9_10device_ptrIiEEEENSB_INSC_IdEEEESG_dNS9_4plusIvEENS9_8equal_toIvEEdEE10hipError_tPvRmT2_T3_T4_T5_mT6_T7_P12ihipStream_tbENKUlT_T0_E_clISt17integral_constantIbLb0EES11_EEDaSW_SX_EUlSW_E_NS1_11comp_targetILNS1_3genE4ELNS1_11target_archE910ELNS1_3gpuE8ELNS1_3repE0EEENS1_30default_config_static_selectorELNS0_4arch9wavefront6targetE0EEEvT1_.has_dyn_sized_stack, 0
	.set _ZN7rocprim17ROCPRIM_400000_NS6detail17trampoline_kernelINS0_14default_configENS1_27scan_by_key_config_selectorIidEEZZNS1_16scan_by_key_implILNS1_25lookback_scan_determinismE0ELb1ES3_N6thrust23THRUST_200600_302600_NS6detail15normal_iteratorINS9_10device_ptrIiEEEENSB_INSC_IdEEEESG_dNS9_4plusIvEENS9_8equal_toIvEEdEE10hipError_tPvRmT2_T3_T4_T5_mT6_T7_P12ihipStream_tbENKUlT_T0_E_clISt17integral_constantIbLb0EES11_EEDaSW_SX_EUlSW_E_NS1_11comp_targetILNS1_3genE4ELNS1_11target_archE910ELNS1_3gpuE8ELNS1_3repE0EEENS1_30default_config_static_selectorELNS0_4arch9wavefront6targetE0EEEvT1_.has_recursion, 0
	.set _ZN7rocprim17ROCPRIM_400000_NS6detail17trampoline_kernelINS0_14default_configENS1_27scan_by_key_config_selectorIidEEZZNS1_16scan_by_key_implILNS1_25lookback_scan_determinismE0ELb1ES3_N6thrust23THRUST_200600_302600_NS6detail15normal_iteratorINS9_10device_ptrIiEEEENSB_INSC_IdEEEESG_dNS9_4plusIvEENS9_8equal_toIvEEdEE10hipError_tPvRmT2_T3_T4_T5_mT6_T7_P12ihipStream_tbENKUlT_T0_E_clISt17integral_constantIbLb0EES11_EEDaSW_SX_EUlSW_E_NS1_11comp_targetILNS1_3genE4ELNS1_11target_archE910ELNS1_3gpuE8ELNS1_3repE0EEENS1_30default_config_static_selectorELNS0_4arch9wavefront6targetE0EEEvT1_.has_indirect_call, 0
	.section	.AMDGPU.csdata,"",@progbits
; Kernel info:
; codeLenInByte = 0
; TotalNumSgprs: 0
; NumVgprs: 0
; ScratchSize: 0
; MemoryBound: 0
; FloatMode: 240
; IeeeMode: 1
; LDSByteSize: 0 bytes/workgroup (compile time only)
; SGPRBlocks: 0
; VGPRBlocks: 0
; NumSGPRsForWavesPerEU: 1
; NumVGPRsForWavesPerEU: 1
; Occupancy: 16
; WaveLimiterHint : 0
; COMPUTE_PGM_RSRC2:SCRATCH_EN: 0
; COMPUTE_PGM_RSRC2:USER_SGPR: 6
; COMPUTE_PGM_RSRC2:TRAP_HANDLER: 0
; COMPUTE_PGM_RSRC2:TGID_X_EN: 1
; COMPUTE_PGM_RSRC2:TGID_Y_EN: 0
; COMPUTE_PGM_RSRC2:TGID_Z_EN: 0
; COMPUTE_PGM_RSRC2:TIDIG_COMP_CNT: 0
	.section	.text._ZN7rocprim17ROCPRIM_400000_NS6detail17trampoline_kernelINS0_14default_configENS1_27scan_by_key_config_selectorIidEEZZNS1_16scan_by_key_implILNS1_25lookback_scan_determinismE0ELb1ES3_N6thrust23THRUST_200600_302600_NS6detail15normal_iteratorINS9_10device_ptrIiEEEENSB_INSC_IdEEEESG_dNS9_4plusIvEENS9_8equal_toIvEEdEE10hipError_tPvRmT2_T3_T4_T5_mT6_T7_P12ihipStream_tbENKUlT_T0_E_clISt17integral_constantIbLb0EES11_EEDaSW_SX_EUlSW_E_NS1_11comp_targetILNS1_3genE3ELNS1_11target_archE908ELNS1_3gpuE7ELNS1_3repE0EEENS1_30default_config_static_selectorELNS0_4arch9wavefront6targetE0EEEvT1_,"axG",@progbits,_ZN7rocprim17ROCPRIM_400000_NS6detail17trampoline_kernelINS0_14default_configENS1_27scan_by_key_config_selectorIidEEZZNS1_16scan_by_key_implILNS1_25lookback_scan_determinismE0ELb1ES3_N6thrust23THRUST_200600_302600_NS6detail15normal_iteratorINS9_10device_ptrIiEEEENSB_INSC_IdEEEESG_dNS9_4plusIvEENS9_8equal_toIvEEdEE10hipError_tPvRmT2_T3_T4_T5_mT6_T7_P12ihipStream_tbENKUlT_T0_E_clISt17integral_constantIbLb0EES11_EEDaSW_SX_EUlSW_E_NS1_11comp_targetILNS1_3genE3ELNS1_11target_archE908ELNS1_3gpuE7ELNS1_3repE0EEENS1_30default_config_static_selectorELNS0_4arch9wavefront6targetE0EEEvT1_,comdat
	.protected	_ZN7rocprim17ROCPRIM_400000_NS6detail17trampoline_kernelINS0_14default_configENS1_27scan_by_key_config_selectorIidEEZZNS1_16scan_by_key_implILNS1_25lookback_scan_determinismE0ELb1ES3_N6thrust23THRUST_200600_302600_NS6detail15normal_iteratorINS9_10device_ptrIiEEEENSB_INSC_IdEEEESG_dNS9_4plusIvEENS9_8equal_toIvEEdEE10hipError_tPvRmT2_T3_T4_T5_mT6_T7_P12ihipStream_tbENKUlT_T0_E_clISt17integral_constantIbLb0EES11_EEDaSW_SX_EUlSW_E_NS1_11comp_targetILNS1_3genE3ELNS1_11target_archE908ELNS1_3gpuE7ELNS1_3repE0EEENS1_30default_config_static_selectorELNS0_4arch9wavefront6targetE0EEEvT1_ ; -- Begin function _ZN7rocprim17ROCPRIM_400000_NS6detail17trampoline_kernelINS0_14default_configENS1_27scan_by_key_config_selectorIidEEZZNS1_16scan_by_key_implILNS1_25lookback_scan_determinismE0ELb1ES3_N6thrust23THRUST_200600_302600_NS6detail15normal_iteratorINS9_10device_ptrIiEEEENSB_INSC_IdEEEESG_dNS9_4plusIvEENS9_8equal_toIvEEdEE10hipError_tPvRmT2_T3_T4_T5_mT6_T7_P12ihipStream_tbENKUlT_T0_E_clISt17integral_constantIbLb0EES11_EEDaSW_SX_EUlSW_E_NS1_11comp_targetILNS1_3genE3ELNS1_11target_archE908ELNS1_3gpuE7ELNS1_3repE0EEENS1_30default_config_static_selectorELNS0_4arch9wavefront6targetE0EEEvT1_
	.globl	_ZN7rocprim17ROCPRIM_400000_NS6detail17trampoline_kernelINS0_14default_configENS1_27scan_by_key_config_selectorIidEEZZNS1_16scan_by_key_implILNS1_25lookback_scan_determinismE0ELb1ES3_N6thrust23THRUST_200600_302600_NS6detail15normal_iteratorINS9_10device_ptrIiEEEENSB_INSC_IdEEEESG_dNS9_4plusIvEENS9_8equal_toIvEEdEE10hipError_tPvRmT2_T3_T4_T5_mT6_T7_P12ihipStream_tbENKUlT_T0_E_clISt17integral_constantIbLb0EES11_EEDaSW_SX_EUlSW_E_NS1_11comp_targetILNS1_3genE3ELNS1_11target_archE908ELNS1_3gpuE7ELNS1_3repE0EEENS1_30default_config_static_selectorELNS0_4arch9wavefront6targetE0EEEvT1_
	.p2align	8
	.type	_ZN7rocprim17ROCPRIM_400000_NS6detail17trampoline_kernelINS0_14default_configENS1_27scan_by_key_config_selectorIidEEZZNS1_16scan_by_key_implILNS1_25lookback_scan_determinismE0ELb1ES3_N6thrust23THRUST_200600_302600_NS6detail15normal_iteratorINS9_10device_ptrIiEEEENSB_INSC_IdEEEESG_dNS9_4plusIvEENS9_8equal_toIvEEdEE10hipError_tPvRmT2_T3_T4_T5_mT6_T7_P12ihipStream_tbENKUlT_T0_E_clISt17integral_constantIbLb0EES11_EEDaSW_SX_EUlSW_E_NS1_11comp_targetILNS1_3genE3ELNS1_11target_archE908ELNS1_3gpuE7ELNS1_3repE0EEENS1_30default_config_static_selectorELNS0_4arch9wavefront6targetE0EEEvT1_,@function
_ZN7rocprim17ROCPRIM_400000_NS6detail17trampoline_kernelINS0_14default_configENS1_27scan_by_key_config_selectorIidEEZZNS1_16scan_by_key_implILNS1_25lookback_scan_determinismE0ELb1ES3_N6thrust23THRUST_200600_302600_NS6detail15normal_iteratorINS9_10device_ptrIiEEEENSB_INSC_IdEEEESG_dNS9_4plusIvEENS9_8equal_toIvEEdEE10hipError_tPvRmT2_T3_T4_T5_mT6_T7_P12ihipStream_tbENKUlT_T0_E_clISt17integral_constantIbLb0EES11_EEDaSW_SX_EUlSW_E_NS1_11comp_targetILNS1_3genE3ELNS1_11target_archE908ELNS1_3gpuE7ELNS1_3repE0EEENS1_30default_config_static_selectorELNS0_4arch9wavefront6targetE0EEEvT1_: ; @_ZN7rocprim17ROCPRIM_400000_NS6detail17trampoline_kernelINS0_14default_configENS1_27scan_by_key_config_selectorIidEEZZNS1_16scan_by_key_implILNS1_25lookback_scan_determinismE0ELb1ES3_N6thrust23THRUST_200600_302600_NS6detail15normal_iteratorINS9_10device_ptrIiEEEENSB_INSC_IdEEEESG_dNS9_4plusIvEENS9_8equal_toIvEEdEE10hipError_tPvRmT2_T3_T4_T5_mT6_T7_P12ihipStream_tbENKUlT_T0_E_clISt17integral_constantIbLb0EES11_EEDaSW_SX_EUlSW_E_NS1_11comp_targetILNS1_3genE3ELNS1_11target_archE908ELNS1_3gpuE7ELNS1_3repE0EEENS1_30default_config_static_selectorELNS0_4arch9wavefront6targetE0EEEvT1_
; %bb.0:
	.section	.rodata,"a",@progbits
	.p2align	6, 0x0
	.amdhsa_kernel _ZN7rocprim17ROCPRIM_400000_NS6detail17trampoline_kernelINS0_14default_configENS1_27scan_by_key_config_selectorIidEEZZNS1_16scan_by_key_implILNS1_25lookback_scan_determinismE0ELb1ES3_N6thrust23THRUST_200600_302600_NS6detail15normal_iteratorINS9_10device_ptrIiEEEENSB_INSC_IdEEEESG_dNS9_4plusIvEENS9_8equal_toIvEEdEE10hipError_tPvRmT2_T3_T4_T5_mT6_T7_P12ihipStream_tbENKUlT_T0_E_clISt17integral_constantIbLb0EES11_EEDaSW_SX_EUlSW_E_NS1_11comp_targetILNS1_3genE3ELNS1_11target_archE908ELNS1_3gpuE7ELNS1_3repE0EEENS1_30default_config_static_selectorELNS0_4arch9wavefront6targetE0EEEvT1_
		.amdhsa_group_segment_fixed_size 0
		.amdhsa_private_segment_fixed_size 0
		.amdhsa_kernarg_size 136
		.amdhsa_user_sgpr_count 6
		.amdhsa_user_sgpr_private_segment_buffer 1
		.amdhsa_user_sgpr_dispatch_ptr 0
		.amdhsa_user_sgpr_queue_ptr 0
		.amdhsa_user_sgpr_kernarg_segment_ptr 1
		.amdhsa_user_sgpr_dispatch_id 0
		.amdhsa_user_sgpr_flat_scratch_init 0
		.amdhsa_user_sgpr_private_segment_size 0
		.amdhsa_wavefront_size32 1
		.amdhsa_uses_dynamic_stack 0
		.amdhsa_system_sgpr_private_segment_wavefront_offset 0
		.amdhsa_system_sgpr_workgroup_id_x 1
		.amdhsa_system_sgpr_workgroup_id_y 0
		.amdhsa_system_sgpr_workgroup_id_z 0
		.amdhsa_system_sgpr_workgroup_info 0
		.amdhsa_system_vgpr_workitem_id 0
		.amdhsa_next_free_vgpr 1
		.amdhsa_next_free_sgpr 1
		.amdhsa_reserve_vcc 0
		.amdhsa_reserve_flat_scratch 0
		.amdhsa_float_round_mode_32 0
		.amdhsa_float_round_mode_16_64 0
		.amdhsa_float_denorm_mode_32 3
		.amdhsa_float_denorm_mode_16_64 3
		.amdhsa_dx10_clamp 1
		.amdhsa_ieee_mode 1
		.amdhsa_fp16_overflow 0
		.amdhsa_workgroup_processor_mode 1
		.amdhsa_memory_ordered 1
		.amdhsa_forward_progress 1
		.amdhsa_shared_vgpr_count 0
		.amdhsa_exception_fp_ieee_invalid_op 0
		.amdhsa_exception_fp_denorm_src 0
		.amdhsa_exception_fp_ieee_div_zero 0
		.amdhsa_exception_fp_ieee_overflow 0
		.amdhsa_exception_fp_ieee_underflow 0
		.amdhsa_exception_fp_ieee_inexact 0
		.amdhsa_exception_int_div_zero 0
	.end_amdhsa_kernel
	.section	.text._ZN7rocprim17ROCPRIM_400000_NS6detail17trampoline_kernelINS0_14default_configENS1_27scan_by_key_config_selectorIidEEZZNS1_16scan_by_key_implILNS1_25lookback_scan_determinismE0ELb1ES3_N6thrust23THRUST_200600_302600_NS6detail15normal_iteratorINS9_10device_ptrIiEEEENSB_INSC_IdEEEESG_dNS9_4plusIvEENS9_8equal_toIvEEdEE10hipError_tPvRmT2_T3_T4_T5_mT6_T7_P12ihipStream_tbENKUlT_T0_E_clISt17integral_constantIbLb0EES11_EEDaSW_SX_EUlSW_E_NS1_11comp_targetILNS1_3genE3ELNS1_11target_archE908ELNS1_3gpuE7ELNS1_3repE0EEENS1_30default_config_static_selectorELNS0_4arch9wavefront6targetE0EEEvT1_,"axG",@progbits,_ZN7rocprim17ROCPRIM_400000_NS6detail17trampoline_kernelINS0_14default_configENS1_27scan_by_key_config_selectorIidEEZZNS1_16scan_by_key_implILNS1_25lookback_scan_determinismE0ELb1ES3_N6thrust23THRUST_200600_302600_NS6detail15normal_iteratorINS9_10device_ptrIiEEEENSB_INSC_IdEEEESG_dNS9_4plusIvEENS9_8equal_toIvEEdEE10hipError_tPvRmT2_T3_T4_T5_mT6_T7_P12ihipStream_tbENKUlT_T0_E_clISt17integral_constantIbLb0EES11_EEDaSW_SX_EUlSW_E_NS1_11comp_targetILNS1_3genE3ELNS1_11target_archE908ELNS1_3gpuE7ELNS1_3repE0EEENS1_30default_config_static_selectorELNS0_4arch9wavefront6targetE0EEEvT1_,comdat
.Lfunc_end1395:
	.size	_ZN7rocprim17ROCPRIM_400000_NS6detail17trampoline_kernelINS0_14default_configENS1_27scan_by_key_config_selectorIidEEZZNS1_16scan_by_key_implILNS1_25lookback_scan_determinismE0ELb1ES3_N6thrust23THRUST_200600_302600_NS6detail15normal_iteratorINS9_10device_ptrIiEEEENSB_INSC_IdEEEESG_dNS9_4plusIvEENS9_8equal_toIvEEdEE10hipError_tPvRmT2_T3_T4_T5_mT6_T7_P12ihipStream_tbENKUlT_T0_E_clISt17integral_constantIbLb0EES11_EEDaSW_SX_EUlSW_E_NS1_11comp_targetILNS1_3genE3ELNS1_11target_archE908ELNS1_3gpuE7ELNS1_3repE0EEENS1_30default_config_static_selectorELNS0_4arch9wavefront6targetE0EEEvT1_, .Lfunc_end1395-_ZN7rocprim17ROCPRIM_400000_NS6detail17trampoline_kernelINS0_14default_configENS1_27scan_by_key_config_selectorIidEEZZNS1_16scan_by_key_implILNS1_25lookback_scan_determinismE0ELb1ES3_N6thrust23THRUST_200600_302600_NS6detail15normal_iteratorINS9_10device_ptrIiEEEENSB_INSC_IdEEEESG_dNS9_4plusIvEENS9_8equal_toIvEEdEE10hipError_tPvRmT2_T3_T4_T5_mT6_T7_P12ihipStream_tbENKUlT_T0_E_clISt17integral_constantIbLb0EES11_EEDaSW_SX_EUlSW_E_NS1_11comp_targetILNS1_3genE3ELNS1_11target_archE908ELNS1_3gpuE7ELNS1_3repE0EEENS1_30default_config_static_selectorELNS0_4arch9wavefront6targetE0EEEvT1_
                                        ; -- End function
	.set _ZN7rocprim17ROCPRIM_400000_NS6detail17trampoline_kernelINS0_14default_configENS1_27scan_by_key_config_selectorIidEEZZNS1_16scan_by_key_implILNS1_25lookback_scan_determinismE0ELb1ES3_N6thrust23THRUST_200600_302600_NS6detail15normal_iteratorINS9_10device_ptrIiEEEENSB_INSC_IdEEEESG_dNS9_4plusIvEENS9_8equal_toIvEEdEE10hipError_tPvRmT2_T3_T4_T5_mT6_T7_P12ihipStream_tbENKUlT_T0_E_clISt17integral_constantIbLb0EES11_EEDaSW_SX_EUlSW_E_NS1_11comp_targetILNS1_3genE3ELNS1_11target_archE908ELNS1_3gpuE7ELNS1_3repE0EEENS1_30default_config_static_selectorELNS0_4arch9wavefront6targetE0EEEvT1_.num_vgpr, 0
	.set _ZN7rocprim17ROCPRIM_400000_NS6detail17trampoline_kernelINS0_14default_configENS1_27scan_by_key_config_selectorIidEEZZNS1_16scan_by_key_implILNS1_25lookback_scan_determinismE0ELb1ES3_N6thrust23THRUST_200600_302600_NS6detail15normal_iteratorINS9_10device_ptrIiEEEENSB_INSC_IdEEEESG_dNS9_4plusIvEENS9_8equal_toIvEEdEE10hipError_tPvRmT2_T3_T4_T5_mT6_T7_P12ihipStream_tbENKUlT_T0_E_clISt17integral_constantIbLb0EES11_EEDaSW_SX_EUlSW_E_NS1_11comp_targetILNS1_3genE3ELNS1_11target_archE908ELNS1_3gpuE7ELNS1_3repE0EEENS1_30default_config_static_selectorELNS0_4arch9wavefront6targetE0EEEvT1_.num_agpr, 0
	.set _ZN7rocprim17ROCPRIM_400000_NS6detail17trampoline_kernelINS0_14default_configENS1_27scan_by_key_config_selectorIidEEZZNS1_16scan_by_key_implILNS1_25lookback_scan_determinismE0ELb1ES3_N6thrust23THRUST_200600_302600_NS6detail15normal_iteratorINS9_10device_ptrIiEEEENSB_INSC_IdEEEESG_dNS9_4plusIvEENS9_8equal_toIvEEdEE10hipError_tPvRmT2_T3_T4_T5_mT6_T7_P12ihipStream_tbENKUlT_T0_E_clISt17integral_constantIbLb0EES11_EEDaSW_SX_EUlSW_E_NS1_11comp_targetILNS1_3genE3ELNS1_11target_archE908ELNS1_3gpuE7ELNS1_3repE0EEENS1_30default_config_static_selectorELNS0_4arch9wavefront6targetE0EEEvT1_.numbered_sgpr, 0
	.set _ZN7rocprim17ROCPRIM_400000_NS6detail17trampoline_kernelINS0_14default_configENS1_27scan_by_key_config_selectorIidEEZZNS1_16scan_by_key_implILNS1_25lookback_scan_determinismE0ELb1ES3_N6thrust23THRUST_200600_302600_NS6detail15normal_iteratorINS9_10device_ptrIiEEEENSB_INSC_IdEEEESG_dNS9_4plusIvEENS9_8equal_toIvEEdEE10hipError_tPvRmT2_T3_T4_T5_mT6_T7_P12ihipStream_tbENKUlT_T0_E_clISt17integral_constantIbLb0EES11_EEDaSW_SX_EUlSW_E_NS1_11comp_targetILNS1_3genE3ELNS1_11target_archE908ELNS1_3gpuE7ELNS1_3repE0EEENS1_30default_config_static_selectorELNS0_4arch9wavefront6targetE0EEEvT1_.num_named_barrier, 0
	.set _ZN7rocprim17ROCPRIM_400000_NS6detail17trampoline_kernelINS0_14default_configENS1_27scan_by_key_config_selectorIidEEZZNS1_16scan_by_key_implILNS1_25lookback_scan_determinismE0ELb1ES3_N6thrust23THRUST_200600_302600_NS6detail15normal_iteratorINS9_10device_ptrIiEEEENSB_INSC_IdEEEESG_dNS9_4plusIvEENS9_8equal_toIvEEdEE10hipError_tPvRmT2_T3_T4_T5_mT6_T7_P12ihipStream_tbENKUlT_T0_E_clISt17integral_constantIbLb0EES11_EEDaSW_SX_EUlSW_E_NS1_11comp_targetILNS1_3genE3ELNS1_11target_archE908ELNS1_3gpuE7ELNS1_3repE0EEENS1_30default_config_static_selectorELNS0_4arch9wavefront6targetE0EEEvT1_.private_seg_size, 0
	.set _ZN7rocprim17ROCPRIM_400000_NS6detail17trampoline_kernelINS0_14default_configENS1_27scan_by_key_config_selectorIidEEZZNS1_16scan_by_key_implILNS1_25lookback_scan_determinismE0ELb1ES3_N6thrust23THRUST_200600_302600_NS6detail15normal_iteratorINS9_10device_ptrIiEEEENSB_INSC_IdEEEESG_dNS9_4plusIvEENS9_8equal_toIvEEdEE10hipError_tPvRmT2_T3_T4_T5_mT6_T7_P12ihipStream_tbENKUlT_T0_E_clISt17integral_constantIbLb0EES11_EEDaSW_SX_EUlSW_E_NS1_11comp_targetILNS1_3genE3ELNS1_11target_archE908ELNS1_3gpuE7ELNS1_3repE0EEENS1_30default_config_static_selectorELNS0_4arch9wavefront6targetE0EEEvT1_.uses_vcc, 0
	.set _ZN7rocprim17ROCPRIM_400000_NS6detail17trampoline_kernelINS0_14default_configENS1_27scan_by_key_config_selectorIidEEZZNS1_16scan_by_key_implILNS1_25lookback_scan_determinismE0ELb1ES3_N6thrust23THRUST_200600_302600_NS6detail15normal_iteratorINS9_10device_ptrIiEEEENSB_INSC_IdEEEESG_dNS9_4plusIvEENS9_8equal_toIvEEdEE10hipError_tPvRmT2_T3_T4_T5_mT6_T7_P12ihipStream_tbENKUlT_T0_E_clISt17integral_constantIbLb0EES11_EEDaSW_SX_EUlSW_E_NS1_11comp_targetILNS1_3genE3ELNS1_11target_archE908ELNS1_3gpuE7ELNS1_3repE0EEENS1_30default_config_static_selectorELNS0_4arch9wavefront6targetE0EEEvT1_.uses_flat_scratch, 0
	.set _ZN7rocprim17ROCPRIM_400000_NS6detail17trampoline_kernelINS0_14default_configENS1_27scan_by_key_config_selectorIidEEZZNS1_16scan_by_key_implILNS1_25lookback_scan_determinismE0ELb1ES3_N6thrust23THRUST_200600_302600_NS6detail15normal_iteratorINS9_10device_ptrIiEEEENSB_INSC_IdEEEESG_dNS9_4plusIvEENS9_8equal_toIvEEdEE10hipError_tPvRmT2_T3_T4_T5_mT6_T7_P12ihipStream_tbENKUlT_T0_E_clISt17integral_constantIbLb0EES11_EEDaSW_SX_EUlSW_E_NS1_11comp_targetILNS1_3genE3ELNS1_11target_archE908ELNS1_3gpuE7ELNS1_3repE0EEENS1_30default_config_static_selectorELNS0_4arch9wavefront6targetE0EEEvT1_.has_dyn_sized_stack, 0
	.set _ZN7rocprim17ROCPRIM_400000_NS6detail17trampoline_kernelINS0_14default_configENS1_27scan_by_key_config_selectorIidEEZZNS1_16scan_by_key_implILNS1_25lookback_scan_determinismE0ELb1ES3_N6thrust23THRUST_200600_302600_NS6detail15normal_iteratorINS9_10device_ptrIiEEEENSB_INSC_IdEEEESG_dNS9_4plusIvEENS9_8equal_toIvEEdEE10hipError_tPvRmT2_T3_T4_T5_mT6_T7_P12ihipStream_tbENKUlT_T0_E_clISt17integral_constantIbLb0EES11_EEDaSW_SX_EUlSW_E_NS1_11comp_targetILNS1_3genE3ELNS1_11target_archE908ELNS1_3gpuE7ELNS1_3repE0EEENS1_30default_config_static_selectorELNS0_4arch9wavefront6targetE0EEEvT1_.has_recursion, 0
	.set _ZN7rocprim17ROCPRIM_400000_NS6detail17trampoline_kernelINS0_14default_configENS1_27scan_by_key_config_selectorIidEEZZNS1_16scan_by_key_implILNS1_25lookback_scan_determinismE0ELb1ES3_N6thrust23THRUST_200600_302600_NS6detail15normal_iteratorINS9_10device_ptrIiEEEENSB_INSC_IdEEEESG_dNS9_4plusIvEENS9_8equal_toIvEEdEE10hipError_tPvRmT2_T3_T4_T5_mT6_T7_P12ihipStream_tbENKUlT_T0_E_clISt17integral_constantIbLb0EES11_EEDaSW_SX_EUlSW_E_NS1_11comp_targetILNS1_3genE3ELNS1_11target_archE908ELNS1_3gpuE7ELNS1_3repE0EEENS1_30default_config_static_selectorELNS0_4arch9wavefront6targetE0EEEvT1_.has_indirect_call, 0
	.section	.AMDGPU.csdata,"",@progbits
; Kernel info:
; codeLenInByte = 0
; TotalNumSgprs: 0
; NumVgprs: 0
; ScratchSize: 0
; MemoryBound: 0
; FloatMode: 240
; IeeeMode: 1
; LDSByteSize: 0 bytes/workgroup (compile time only)
; SGPRBlocks: 0
; VGPRBlocks: 0
; NumSGPRsForWavesPerEU: 1
; NumVGPRsForWavesPerEU: 1
; Occupancy: 16
; WaveLimiterHint : 0
; COMPUTE_PGM_RSRC2:SCRATCH_EN: 0
; COMPUTE_PGM_RSRC2:USER_SGPR: 6
; COMPUTE_PGM_RSRC2:TRAP_HANDLER: 0
; COMPUTE_PGM_RSRC2:TGID_X_EN: 1
; COMPUTE_PGM_RSRC2:TGID_Y_EN: 0
; COMPUTE_PGM_RSRC2:TGID_Z_EN: 0
; COMPUTE_PGM_RSRC2:TIDIG_COMP_CNT: 0
	.section	.text._ZN7rocprim17ROCPRIM_400000_NS6detail17trampoline_kernelINS0_14default_configENS1_27scan_by_key_config_selectorIidEEZZNS1_16scan_by_key_implILNS1_25lookback_scan_determinismE0ELb1ES3_N6thrust23THRUST_200600_302600_NS6detail15normal_iteratorINS9_10device_ptrIiEEEENSB_INSC_IdEEEESG_dNS9_4plusIvEENS9_8equal_toIvEEdEE10hipError_tPvRmT2_T3_T4_T5_mT6_T7_P12ihipStream_tbENKUlT_T0_E_clISt17integral_constantIbLb0EES11_EEDaSW_SX_EUlSW_E_NS1_11comp_targetILNS1_3genE2ELNS1_11target_archE906ELNS1_3gpuE6ELNS1_3repE0EEENS1_30default_config_static_selectorELNS0_4arch9wavefront6targetE0EEEvT1_,"axG",@progbits,_ZN7rocprim17ROCPRIM_400000_NS6detail17trampoline_kernelINS0_14default_configENS1_27scan_by_key_config_selectorIidEEZZNS1_16scan_by_key_implILNS1_25lookback_scan_determinismE0ELb1ES3_N6thrust23THRUST_200600_302600_NS6detail15normal_iteratorINS9_10device_ptrIiEEEENSB_INSC_IdEEEESG_dNS9_4plusIvEENS9_8equal_toIvEEdEE10hipError_tPvRmT2_T3_T4_T5_mT6_T7_P12ihipStream_tbENKUlT_T0_E_clISt17integral_constantIbLb0EES11_EEDaSW_SX_EUlSW_E_NS1_11comp_targetILNS1_3genE2ELNS1_11target_archE906ELNS1_3gpuE6ELNS1_3repE0EEENS1_30default_config_static_selectorELNS0_4arch9wavefront6targetE0EEEvT1_,comdat
	.protected	_ZN7rocprim17ROCPRIM_400000_NS6detail17trampoline_kernelINS0_14default_configENS1_27scan_by_key_config_selectorIidEEZZNS1_16scan_by_key_implILNS1_25lookback_scan_determinismE0ELb1ES3_N6thrust23THRUST_200600_302600_NS6detail15normal_iteratorINS9_10device_ptrIiEEEENSB_INSC_IdEEEESG_dNS9_4plusIvEENS9_8equal_toIvEEdEE10hipError_tPvRmT2_T3_T4_T5_mT6_T7_P12ihipStream_tbENKUlT_T0_E_clISt17integral_constantIbLb0EES11_EEDaSW_SX_EUlSW_E_NS1_11comp_targetILNS1_3genE2ELNS1_11target_archE906ELNS1_3gpuE6ELNS1_3repE0EEENS1_30default_config_static_selectorELNS0_4arch9wavefront6targetE0EEEvT1_ ; -- Begin function _ZN7rocprim17ROCPRIM_400000_NS6detail17trampoline_kernelINS0_14default_configENS1_27scan_by_key_config_selectorIidEEZZNS1_16scan_by_key_implILNS1_25lookback_scan_determinismE0ELb1ES3_N6thrust23THRUST_200600_302600_NS6detail15normal_iteratorINS9_10device_ptrIiEEEENSB_INSC_IdEEEESG_dNS9_4plusIvEENS9_8equal_toIvEEdEE10hipError_tPvRmT2_T3_T4_T5_mT6_T7_P12ihipStream_tbENKUlT_T0_E_clISt17integral_constantIbLb0EES11_EEDaSW_SX_EUlSW_E_NS1_11comp_targetILNS1_3genE2ELNS1_11target_archE906ELNS1_3gpuE6ELNS1_3repE0EEENS1_30default_config_static_selectorELNS0_4arch9wavefront6targetE0EEEvT1_
	.globl	_ZN7rocprim17ROCPRIM_400000_NS6detail17trampoline_kernelINS0_14default_configENS1_27scan_by_key_config_selectorIidEEZZNS1_16scan_by_key_implILNS1_25lookback_scan_determinismE0ELb1ES3_N6thrust23THRUST_200600_302600_NS6detail15normal_iteratorINS9_10device_ptrIiEEEENSB_INSC_IdEEEESG_dNS9_4plusIvEENS9_8equal_toIvEEdEE10hipError_tPvRmT2_T3_T4_T5_mT6_T7_P12ihipStream_tbENKUlT_T0_E_clISt17integral_constantIbLb0EES11_EEDaSW_SX_EUlSW_E_NS1_11comp_targetILNS1_3genE2ELNS1_11target_archE906ELNS1_3gpuE6ELNS1_3repE0EEENS1_30default_config_static_selectorELNS0_4arch9wavefront6targetE0EEEvT1_
	.p2align	8
	.type	_ZN7rocprim17ROCPRIM_400000_NS6detail17trampoline_kernelINS0_14default_configENS1_27scan_by_key_config_selectorIidEEZZNS1_16scan_by_key_implILNS1_25lookback_scan_determinismE0ELb1ES3_N6thrust23THRUST_200600_302600_NS6detail15normal_iteratorINS9_10device_ptrIiEEEENSB_INSC_IdEEEESG_dNS9_4plusIvEENS9_8equal_toIvEEdEE10hipError_tPvRmT2_T3_T4_T5_mT6_T7_P12ihipStream_tbENKUlT_T0_E_clISt17integral_constantIbLb0EES11_EEDaSW_SX_EUlSW_E_NS1_11comp_targetILNS1_3genE2ELNS1_11target_archE906ELNS1_3gpuE6ELNS1_3repE0EEENS1_30default_config_static_selectorELNS0_4arch9wavefront6targetE0EEEvT1_,@function
_ZN7rocprim17ROCPRIM_400000_NS6detail17trampoline_kernelINS0_14default_configENS1_27scan_by_key_config_selectorIidEEZZNS1_16scan_by_key_implILNS1_25lookback_scan_determinismE0ELb1ES3_N6thrust23THRUST_200600_302600_NS6detail15normal_iteratorINS9_10device_ptrIiEEEENSB_INSC_IdEEEESG_dNS9_4plusIvEENS9_8equal_toIvEEdEE10hipError_tPvRmT2_T3_T4_T5_mT6_T7_P12ihipStream_tbENKUlT_T0_E_clISt17integral_constantIbLb0EES11_EEDaSW_SX_EUlSW_E_NS1_11comp_targetILNS1_3genE2ELNS1_11target_archE906ELNS1_3gpuE6ELNS1_3repE0EEENS1_30default_config_static_selectorELNS0_4arch9wavefront6targetE0EEEvT1_: ; @_ZN7rocprim17ROCPRIM_400000_NS6detail17trampoline_kernelINS0_14default_configENS1_27scan_by_key_config_selectorIidEEZZNS1_16scan_by_key_implILNS1_25lookback_scan_determinismE0ELb1ES3_N6thrust23THRUST_200600_302600_NS6detail15normal_iteratorINS9_10device_ptrIiEEEENSB_INSC_IdEEEESG_dNS9_4plusIvEENS9_8equal_toIvEEdEE10hipError_tPvRmT2_T3_T4_T5_mT6_T7_P12ihipStream_tbENKUlT_T0_E_clISt17integral_constantIbLb0EES11_EEDaSW_SX_EUlSW_E_NS1_11comp_targetILNS1_3genE2ELNS1_11target_archE906ELNS1_3gpuE6ELNS1_3repE0EEENS1_30default_config_static_selectorELNS0_4arch9wavefront6targetE0EEEvT1_
; %bb.0:
	.section	.rodata,"a",@progbits
	.p2align	6, 0x0
	.amdhsa_kernel _ZN7rocprim17ROCPRIM_400000_NS6detail17trampoline_kernelINS0_14default_configENS1_27scan_by_key_config_selectorIidEEZZNS1_16scan_by_key_implILNS1_25lookback_scan_determinismE0ELb1ES3_N6thrust23THRUST_200600_302600_NS6detail15normal_iteratorINS9_10device_ptrIiEEEENSB_INSC_IdEEEESG_dNS9_4plusIvEENS9_8equal_toIvEEdEE10hipError_tPvRmT2_T3_T4_T5_mT6_T7_P12ihipStream_tbENKUlT_T0_E_clISt17integral_constantIbLb0EES11_EEDaSW_SX_EUlSW_E_NS1_11comp_targetILNS1_3genE2ELNS1_11target_archE906ELNS1_3gpuE6ELNS1_3repE0EEENS1_30default_config_static_selectorELNS0_4arch9wavefront6targetE0EEEvT1_
		.amdhsa_group_segment_fixed_size 0
		.amdhsa_private_segment_fixed_size 0
		.amdhsa_kernarg_size 136
		.amdhsa_user_sgpr_count 6
		.amdhsa_user_sgpr_private_segment_buffer 1
		.amdhsa_user_sgpr_dispatch_ptr 0
		.amdhsa_user_sgpr_queue_ptr 0
		.amdhsa_user_sgpr_kernarg_segment_ptr 1
		.amdhsa_user_sgpr_dispatch_id 0
		.amdhsa_user_sgpr_flat_scratch_init 0
		.amdhsa_user_sgpr_private_segment_size 0
		.amdhsa_wavefront_size32 1
		.amdhsa_uses_dynamic_stack 0
		.amdhsa_system_sgpr_private_segment_wavefront_offset 0
		.amdhsa_system_sgpr_workgroup_id_x 1
		.amdhsa_system_sgpr_workgroup_id_y 0
		.amdhsa_system_sgpr_workgroup_id_z 0
		.amdhsa_system_sgpr_workgroup_info 0
		.amdhsa_system_vgpr_workitem_id 0
		.amdhsa_next_free_vgpr 1
		.amdhsa_next_free_sgpr 1
		.amdhsa_reserve_vcc 0
		.amdhsa_reserve_flat_scratch 0
		.amdhsa_float_round_mode_32 0
		.amdhsa_float_round_mode_16_64 0
		.amdhsa_float_denorm_mode_32 3
		.amdhsa_float_denorm_mode_16_64 3
		.amdhsa_dx10_clamp 1
		.amdhsa_ieee_mode 1
		.amdhsa_fp16_overflow 0
		.amdhsa_workgroup_processor_mode 1
		.amdhsa_memory_ordered 1
		.amdhsa_forward_progress 1
		.amdhsa_shared_vgpr_count 0
		.amdhsa_exception_fp_ieee_invalid_op 0
		.amdhsa_exception_fp_denorm_src 0
		.amdhsa_exception_fp_ieee_div_zero 0
		.amdhsa_exception_fp_ieee_overflow 0
		.amdhsa_exception_fp_ieee_underflow 0
		.amdhsa_exception_fp_ieee_inexact 0
		.amdhsa_exception_int_div_zero 0
	.end_amdhsa_kernel
	.section	.text._ZN7rocprim17ROCPRIM_400000_NS6detail17trampoline_kernelINS0_14default_configENS1_27scan_by_key_config_selectorIidEEZZNS1_16scan_by_key_implILNS1_25lookback_scan_determinismE0ELb1ES3_N6thrust23THRUST_200600_302600_NS6detail15normal_iteratorINS9_10device_ptrIiEEEENSB_INSC_IdEEEESG_dNS9_4plusIvEENS9_8equal_toIvEEdEE10hipError_tPvRmT2_T3_T4_T5_mT6_T7_P12ihipStream_tbENKUlT_T0_E_clISt17integral_constantIbLb0EES11_EEDaSW_SX_EUlSW_E_NS1_11comp_targetILNS1_3genE2ELNS1_11target_archE906ELNS1_3gpuE6ELNS1_3repE0EEENS1_30default_config_static_selectorELNS0_4arch9wavefront6targetE0EEEvT1_,"axG",@progbits,_ZN7rocprim17ROCPRIM_400000_NS6detail17trampoline_kernelINS0_14default_configENS1_27scan_by_key_config_selectorIidEEZZNS1_16scan_by_key_implILNS1_25lookback_scan_determinismE0ELb1ES3_N6thrust23THRUST_200600_302600_NS6detail15normal_iteratorINS9_10device_ptrIiEEEENSB_INSC_IdEEEESG_dNS9_4plusIvEENS9_8equal_toIvEEdEE10hipError_tPvRmT2_T3_T4_T5_mT6_T7_P12ihipStream_tbENKUlT_T0_E_clISt17integral_constantIbLb0EES11_EEDaSW_SX_EUlSW_E_NS1_11comp_targetILNS1_3genE2ELNS1_11target_archE906ELNS1_3gpuE6ELNS1_3repE0EEENS1_30default_config_static_selectorELNS0_4arch9wavefront6targetE0EEEvT1_,comdat
.Lfunc_end1396:
	.size	_ZN7rocprim17ROCPRIM_400000_NS6detail17trampoline_kernelINS0_14default_configENS1_27scan_by_key_config_selectorIidEEZZNS1_16scan_by_key_implILNS1_25lookback_scan_determinismE0ELb1ES3_N6thrust23THRUST_200600_302600_NS6detail15normal_iteratorINS9_10device_ptrIiEEEENSB_INSC_IdEEEESG_dNS9_4plusIvEENS9_8equal_toIvEEdEE10hipError_tPvRmT2_T3_T4_T5_mT6_T7_P12ihipStream_tbENKUlT_T0_E_clISt17integral_constantIbLb0EES11_EEDaSW_SX_EUlSW_E_NS1_11comp_targetILNS1_3genE2ELNS1_11target_archE906ELNS1_3gpuE6ELNS1_3repE0EEENS1_30default_config_static_selectorELNS0_4arch9wavefront6targetE0EEEvT1_, .Lfunc_end1396-_ZN7rocprim17ROCPRIM_400000_NS6detail17trampoline_kernelINS0_14default_configENS1_27scan_by_key_config_selectorIidEEZZNS1_16scan_by_key_implILNS1_25lookback_scan_determinismE0ELb1ES3_N6thrust23THRUST_200600_302600_NS6detail15normal_iteratorINS9_10device_ptrIiEEEENSB_INSC_IdEEEESG_dNS9_4plusIvEENS9_8equal_toIvEEdEE10hipError_tPvRmT2_T3_T4_T5_mT6_T7_P12ihipStream_tbENKUlT_T0_E_clISt17integral_constantIbLb0EES11_EEDaSW_SX_EUlSW_E_NS1_11comp_targetILNS1_3genE2ELNS1_11target_archE906ELNS1_3gpuE6ELNS1_3repE0EEENS1_30default_config_static_selectorELNS0_4arch9wavefront6targetE0EEEvT1_
                                        ; -- End function
	.set _ZN7rocprim17ROCPRIM_400000_NS6detail17trampoline_kernelINS0_14default_configENS1_27scan_by_key_config_selectorIidEEZZNS1_16scan_by_key_implILNS1_25lookback_scan_determinismE0ELb1ES3_N6thrust23THRUST_200600_302600_NS6detail15normal_iteratorINS9_10device_ptrIiEEEENSB_INSC_IdEEEESG_dNS9_4plusIvEENS9_8equal_toIvEEdEE10hipError_tPvRmT2_T3_T4_T5_mT6_T7_P12ihipStream_tbENKUlT_T0_E_clISt17integral_constantIbLb0EES11_EEDaSW_SX_EUlSW_E_NS1_11comp_targetILNS1_3genE2ELNS1_11target_archE906ELNS1_3gpuE6ELNS1_3repE0EEENS1_30default_config_static_selectorELNS0_4arch9wavefront6targetE0EEEvT1_.num_vgpr, 0
	.set _ZN7rocprim17ROCPRIM_400000_NS6detail17trampoline_kernelINS0_14default_configENS1_27scan_by_key_config_selectorIidEEZZNS1_16scan_by_key_implILNS1_25lookback_scan_determinismE0ELb1ES3_N6thrust23THRUST_200600_302600_NS6detail15normal_iteratorINS9_10device_ptrIiEEEENSB_INSC_IdEEEESG_dNS9_4plusIvEENS9_8equal_toIvEEdEE10hipError_tPvRmT2_T3_T4_T5_mT6_T7_P12ihipStream_tbENKUlT_T0_E_clISt17integral_constantIbLb0EES11_EEDaSW_SX_EUlSW_E_NS1_11comp_targetILNS1_3genE2ELNS1_11target_archE906ELNS1_3gpuE6ELNS1_3repE0EEENS1_30default_config_static_selectorELNS0_4arch9wavefront6targetE0EEEvT1_.num_agpr, 0
	.set _ZN7rocprim17ROCPRIM_400000_NS6detail17trampoline_kernelINS0_14default_configENS1_27scan_by_key_config_selectorIidEEZZNS1_16scan_by_key_implILNS1_25lookback_scan_determinismE0ELb1ES3_N6thrust23THRUST_200600_302600_NS6detail15normal_iteratorINS9_10device_ptrIiEEEENSB_INSC_IdEEEESG_dNS9_4plusIvEENS9_8equal_toIvEEdEE10hipError_tPvRmT2_T3_T4_T5_mT6_T7_P12ihipStream_tbENKUlT_T0_E_clISt17integral_constantIbLb0EES11_EEDaSW_SX_EUlSW_E_NS1_11comp_targetILNS1_3genE2ELNS1_11target_archE906ELNS1_3gpuE6ELNS1_3repE0EEENS1_30default_config_static_selectorELNS0_4arch9wavefront6targetE0EEEvT1_.numbered_sgpr, 0
	.set _ZN7rocprim17ROCPRIM_400000_NS6detail17trampoline_kernelINS0_14default_configENS1_27scan_by_key_config_selectorIidEEZZNS1_16scan_by_key_implILNS1_25lookback_scan_determinismE0ELb1ES3_N6thrust23THRUST_200600_302600_NS6detail15normal_iteratorINS9_10device_ptrIiEEEENSB_INSC_IdEEEESG_dNS9_4plusIvEENS9_8equal_toIvEEdEE10hipError_tPvRmT2_T3_T4_T5_mT6_T7_P12ihipStream_tbENKUlT_T0_E_clISt17integral_constantIbLb0EES11_EEDaSW_SX_EUlSW_E_NS1_11comp_targetILNS1_3genE2ELNS1_11target_archE906ELNS1_3gpuE6ELNS1_3repE0EEENS1_30default_config_static_selectorELNS0_4arch9wavefront6targetE0EEEvT1_.num_named_barrier, 0
	.set _ZN7rocprim17ROCPRIM_400000_NS6detail17trampoline_kernelINS0_14default_configENS1_27scan_by_key_config_selectorIidEEZZNS1_16scan_by_key_implILNS1_25lookback_scan_determinismE0ELb1ES3_N6thrust23THRUST_200600_302600_NS6detail15normal_iteratorINS9_10device_ptrIiEEEENSB_INSC_IdEEEESG_dNS9_4plusIvEENS9_8equal_toIvEEdEE10hipError_tPvRmT2_T3_T4_T5_mT6_T7_P12ihipStream_tbENKUlT_T0_E_clISt17integral_constantIbLb0EES11_EEDaSW_SX_EUlSW_E_NS1_11comp_targetILNS1_3genE2ELNS1_11target_archE906ELNS1_3gpuE6ELNS1_3repE0EEENS1_30default_config_static_selectorELNS0_4arch9wavefront6targetE0EEEvT1_.private_seg_size, 0
	.set _ZN7rocprim17ROCPRIM_400000_NS6detail17trampoline_kernelINS0_14default_configENS1_27scan_by_key_config_selectorIidEEZZNS1_16scan_by_key_implILNS1_25lookback_scan_determinismE0ELb1ES3_N6thrust23THRUST_200600_302600_NS6detail15normal_iteratorINS9_10device_ptrIiEEEENSB_INSC_IdEEEESG_dNS9_4plusIvEENS9_8equal_toIvEEdEE10hipError_tPvRmT2_T3_T4_T5_mT6_T7_P12ihipStream_tbENKUlT_T0_E_clISt17integral_constantIbLb0EES11_EEDaSW_SX_EUlSW_E_NS1_11comp_targetILNS1_3genE2ELNS1_11target_archE906ELNS1_3gpuE6ELNS1_3repE0EEENS1_30default_config_static_selectorELNS0_4arch9wavefront6targetE0EEEvT1_.uses_vcc, 0
	.set _ZN7rocprim17ROCPRIM_400000_NS6detail17trampoline_kernelINS0_14default_configENS1_27scan_by_key_config_selectorIidEEZZNS1_16scan_by_key_implILNS1_25lookback_scan_determinismE0ELb1ES3_N6thrust23THRUST_200600_302600_NS6detail15normal_iteratorINS9_10device_ptrIiEEEENSB_INSC_IdEEEESG_dNS9_4plusIvEENS9_8equal_toIvEEdEE10hipError_tPvRmT2_T3_T4_T5_mT6_T7_P12ihipStream_tbENKUlT_T0_E_clISt17integral_constantIbLb0EES11_EEDaSW_SX_EUlSW_E_NS1_11comp_targetILNS1_3genE2ELNS1_11target_archE906ELNS1_3gpuE6ELNS1_3repE0EEENS1_30default_config_static_selectorELNS0_4arch9wavefront6targetE0EEEvT1_.uses_flat_scratch, 0
	.set _ZN7rocprim17ROCPRIM_400000_NS6detail17trampoline_kernelINS0_14default_configENS1_27scan_by_key_config_selectorIidEEZZNS1_16scan_by_key_implILNS1_25lookback_scan_determinismE0ELb1ES3_N6thrust23THRUST_200600_302600_NS6detail15normal_iteratorINS9_10device_ptrIiEEEENSB_INSC_IdEEEESG_dNS9_4plusIvEENS9_8equal_toIvEEdEE10hipError_tPvRmT2_T3_T4_T5_mT6_T7_P12ihipStream_tbENKUlT_T0_E_clISt17integral_constantIbLb0EES11_EEDaSW_SX_EUlSW_E_NS1_11comp_targetILNS1_3genE2ELNS1_11target_archE906ELNS1_3gpuE6ELNS1_3repE0EEENS1_30default_config_static_selectorELNS0_4arch9wavefront6targetE0EEEvT1_.has_dyn_sized_stack, 0
	.set _ZN7rocprim17ROCPRIM_400000_NS6detail17trampoline_kernelINS0_14default_configENS1_27scan_by_key_config_selectorIidEEZZNS1_16scan_by_key_implILNS1_25lookback_scan_determinismE0ELb1ES3_N6thrust23THRUST_200600_302600_NS6detail15normal_iteratorINS9_10device_ptrIiEEEENSB_INSC_IdEEEESG_dNS9_4plusIvEENS9_8equal_toIvEEdEE10hipError_tPvRmT2_T3_T4_T5_mT6_T7_P12ihipStream_tbENKUlT_T0_E_clISt17integral_constantIbLb0EES11_EEDaSW_SX_EUlSW_E_NS1_11comp_targetILNS1_3genE2ELNS1_11target_archE906ELNS1_3gpuE6ELNS1_3repE0EEENS1_30default_config_static_selectorELNS0_4arch9wavefront6targetE0EEEvT1_.has_recursion, 0
	.set _ZN7rocprim17ROCPRIM_400000_NS6detail17trampoline_kernelINS0_14default_configENS1_27scan_by_key_config_selectorIidEEZZNS1_16scan_by_key_implILNS1_25lookback_scan_determinismE0ELb1ES3_N6thrust23THRUST_200600_302600_NS6detail15normal_iteratorINS9_10device_ptrIiEEEENSB_INSC_IdEEEESG_dNS9_4plusIvEENS9_8equal_toIvEEdEE10hipError_tPvRmT2_T3_T4_T5_mT6_T7_P12ihipStream_tbENKUlT_T0_E_clISt17integral_constantIbLb0EES11_EEDaSW_SX_EUlSW_E_NS1_11comp_targetILNS1_3genE2ELNS1_11target_archE906ELNS1_3gpuE6ELNS1_3repE0EEENS1_30default_config_static_selectorELNS0_4arch9wavefront6targetE0EEEvT1_.has_indirect_call, 0
	.section	.AMDGPU.csdata,"",@progbits
; Kernel info:
; codeLenInByte = 0
; TotalNumSgprs: 0
; NumVgprs: 0
; ScratchSize: 0
; MemoryBound: 0
; FloatMode: 240
; IeeeMode: 1
; LDSByteSize: 0 bytes/workgroup (compile time only)
; SGPRBlocks: 0
; VGPRBlocks: 0
; NumSGPRsForWavesPerEU: 1
; NumVGPRsForWavesPerEU: 1
; Occupancy: 16
; WaveLimiterHint : 0
; COMPUTE_PGM_RSRC2:SCRATCH_EN: 0
; COMPUTE_PGM_RSRC2:USER_SGPR: 6
; COMPUTE_PGM_RSRC2:TRAP_HANDLER: 0
; COMPUTE_PGM_RSRC2:TGID_X_EN: 1
; COMPUTE_PGM_RSRC2:TGID_Y_EN: 0
; COMPUTE_PGM_RSRC2:TGID_Z_EN: 0
; COMPUTE_PGM_RSRC2:TIDIG_COMP_CNT: 0
	.section	.text._ZN7rocprim17ROCPRIM_400000_NS6detail17trampoline_kernelINS0_14default_configENS1_27scan_by_key_config_selectorIidEEZZNS1_16scan_by_key_implILNS1_25lookback_scan_determinismE0ELb1ES3_N6thrust23THRUST_200600_302600_NS6detail15normal_iteratorINS9_10device_ptrIiEEEENSB_INSC_IdEEEESG_dNS9_4plusIvEENS9_8equal_toIvEEdEE10hipError_tPvRmT2_T3_T4_T5_mT6_T7_P12ihipStream_tbENKUlT_T0_E_clISt17integral_constantIbLb0EES11_EEDaSW_SX_EUlSW_E_NS1_11comp_targetILNS1_3genE10ELNS1_11target_archE1200ELNS1_3gpuE4ELNS1_3repE0EEENS1_30default_config_static_selectorELNS0_4arch9wavefront6targetE0EEEvT1_,"axG",@progbits,_ZN7rocprim17ROCPRIM_400000_NS6detail17trampoline_kernelINS0_14default_configENS1_27scan_by_key_config_selectorIidEEZZNS1_16scan_by_key_implILNS1_25lookback_scan_determinismE0ELb1ES3_N6thrust23THRUST_200600_302600_NS6detail15normal_iteratorINS9_10device_ptrIiEEEENSB_INSC_IdEEEESG_dNS9_4plusIvEENS9_8equal_toIvEEdEE10hipError_tPvRmT2_T3_T4_T5_mT6_T7_P12ihipStream_tbENKUlT_T0_E_clISt17integral_constantIbLb0EES11_EEDaSW_SX_EUlSW_E_NS1_11comp_targetILNS1_3genE10ELNS1_11target_archE1200ELNS1_3gpuE4ELNS1_3repE0EEENS1_30default_config_static_selectorELNS0_4arch9wavefront6targetE0EEEvT1_,comdat
	.protected	_ZN7rocprim17ROCPRIM_400000_NS6detail17trampoline_kernelINS0_14default_configENS1_27scan_by_key_config_selectorIidEEZZNS1_16scan_by_key_implILNS1_25lookback_scan_determinismE0ELb1ES3_N6thrust23THRUST_200600_302600_NS6detail15normal_iteratorINS9_10device_ptrIiEEEENSB_INSC_IdEEEESG_dNS9_4plusIvEENS9_8equal_toIvEEdEE10hipError_tPvRmT2_T3_T4_T5_mT6_T7_P12ihipStream_tbENKUlT_T0_E_clISt17integral_constantIbLb0EES11_EEDaSW_SX_EUlSW_E_NS1_11comp_targetILNS1_3genE10ELNS1_11target_archE1200ELNS1_3gpuE4ELNS1_3repE0EEENS1_30default_config_static_selectorELNS0_4arch9wavefront6targetE0EEEvT1_ ; -- Begin function _ZN7rocprim17ROCPRIM_400000_NS6detail17trampoline_kernelINS0_14default_configENS1_27scan_by_key_config_selectorIidEEZZNS1_16scan_by_key_implILNS1_25lookback_scan_determinismE0ELb1ES3_N6thrust23THRUST_200600_302600_NS6detail15normal_iteratorINS9_10device_ptrIiEEEENSB_INSC_IdEEEESG_dNS9_4plusIvEENS9_8equal_toIvEEdEE10hipError_tPvRmT2_T3_T4_T5_mT6_T7_P12ihipStream_tbENKUlT_T0_E_clISt17integral_constantIbLb0EES11_EEDaSW_SX_EUlSW_E_NS1_11comp_targetILNS1_3genE10ELNS1_11target_archE1200ELNS1_3gpuE4ELNS1_3repE0EEENS1_30default_config_static_selectorELNS0_4arch9wavefront6targetE0EEEvT1_
	.globl	_ZN7rocprim17ROCPRIM_400000_NS6detail17trampoline_kernelINS0_14default_configENS1_27scan_by_key_config_selectorIidEEZZNS1_16scan_by_key_implILNS1_25lookback_scan_determinismE0ELb1ES3_N6thrust23THRUST_200600_302600_NS6detail15normal_iteratorINS9_10device_ptrIiEEEENSB_INSC_IdEEEESG_dNS9_4plusIvEENS9_8equal_toIvEEdEE10hipError_tPvRmT2_T3_T4_T5_mT6_T7_P12ihipStream_tbENKUlT_T0_E_clISt17integral_constantIbLb0EES11_EEDaSW_SX_EUlSW_E_NS1_11comp_targetILNS1_3genE10ELNS1_11target_archE1200ELNS1_3gpuE4ELNS1_3repE0EEENS1_30default_config_static_selectorELNS0_4arch9wavefront6targetE0EEEvT1_
	.p2align	8
	.type	_ZN7rocprim17ROCPRIM_400000_NS6detail17trampoline_kernelINS0_14default_configENS1_27scan_by_key_config_selectorIidEEZZNS1_16scan_by_key_implILNS1_25lookback_scan_determinismE0ELb1ES3_N6thrust23THRUST_200600_302600_NS6detail15normal_iteratorINS9_10device_ptrIiEEEENSB_INSC_IdEEEESG_dNS9_4plusIvEENS9_8equal_toIvEEdEE10hipError_tPvRmT2_T3_T4_T5_mT6_T7_P12ihipStream_tbENKUlT_T0_E_clISt17integral_constantIbLb0EES11_EEDaSW_SX_EUlSW_E_NS1_11comp_targetILNS1_3genE10ELNS1_11target_archE1200ELNS1_3gpuE4ELNS1_3repE0EEENS1_30default_config_static_selectorELNS0_4arch9wavefront6targetE0EEEvT1_,@function
_ZN7rocprim17ROCPRIM_400000_NS6detail17trampoline_kernelINS0_14default_configENS1_27scan_by_key_config_selectorIidEEZZNS1_16scan_by_key_implILNS1_25lookback_scan_determinismE0ELb1ES3_N6thrust23THRUST_200600_302600_NS6detail15normal_iteratorINS9_10device_ptrIiEEEENSB_INSC_IdEEEESG_dNS9_4plusIvEENS9_8equal_toIvEEdEE10hipError_tPvRmT2_T3_T4_T5_mT6_T7_P12ihipStream_tbENKUlT_T0_E_clISt17integral_constantIbLb0EES11_EEDaSW_SX_EUlSW_E_NS1_11comp_targetILNS1_3genE10ELNS1_11target_archE1200ELNS1_3gpuE4ELNS1_3repE0EEENS1_30default_config_static_selectorELNS0_4arch9wavefront6targetE0EEEvT1_: ; @_ZN7rocprim17ROCPRIM_400000_NS6detail17trampoline_kernelINS0_14default_configENS1_27scan_by_key_config_selectorIidEEZZNS1_16scan_by_key_implILNS1_25lookback_scan_determinismE0ELb1ES3_N6thrust23THRUST_200600_302600_NS6detail15normal_iteratorINS9_10device_ptrIiEEEENSB_INSC_IdEEEESG_dNS9_4plusIvEENS9_8equal_toIvEEdEE10hipError_tPvRmT2_T3_T4_T5_mT6_T7_P12ihipStream_tbENKUlT_T0_E_clISt17integral_constantIbLb0EES11_EEDaSW_SX_EUlSW_E_NS1_11comp_targetILNS1_3genE10ELNS1_11target_archE1200ELNS1_3gpuE4ELNS1_3repE0EEENS1_30default_config_static_selectorELNS0_4arch9wavefront6targetE0EEEvT1_
; %bb.0:
	.section	.rodata,"a",@progbits
	.p2align	6, 0x0
	.amdhsa_kernel _ZN7rocprim17ROCPRIM_400000_NS6detail17trampoline_kernelINS0_14default_configENS1_27scan_by_key_config_selectorIidEEZZNS1_16scan_by_key_implILNS1_25lookback_scan_determinismE0ELb1ES3_N6thrust23THRUST_200600_302600_NS6detail15normal_iteratorINS9_10device_ptrIiEEEENSB_INSC_IdEEEESG_dNS9_4plusIvEENS9_8equal_toIvEEdEE10hipError_tPvRmT2_T3_T4_T5_mT6_T7_P12ihipStream_tbENKUlT_T0_E_clISt17integral_constantIbLb0EES11_EEDaSW_SX_EUlSW_E_NS1_11comp_targetILNS1_3genE10ELNS1_11target_archE1200ELNS1_3gpuE4ELNS1_3repE0EEENS1_30default_config_static_selectorELNS0_4arch9wavefront6targetE0EEEvT1_
		.amdhsa_group_segment_fixed_size 0
		.amdhsa_private_segment_fixed_size 0
		.amdhsa_kernarg_size 136
		.amdhsa_user_sgpr_count 6
		.amdhsa_user_sgpr_private_segment_buffer 1
		.amdhsa_user_sgpr_dispatch_ptr 0
		.amdhsa_user_sgpr_queue_ptr 0
		.amdhsa_user_sgpr_kernarg_segment_ptr 1
		.amdhsa_user_sgpr_dispatch_id 0
		.amdhsa_user_sgpr_flat_scratch_init 0
		.amdhsa_user_sgpr_private_segment_size 0
		.amdhsa_wavefront_size32 1
		.amdhsa_uses_dynamic_stack 0
		.amdhsa_system_sgpr_private_segment_wavefront_offset 0
		.amdhsa_system_sgpr_workgroup_id_x 1
		.amdhsa_system_sgpr_workgroup_id_y 0
		.amdhsa_system_sgpr_workgroup_id_z 0
		.amdhsa_system_sgpr_workgroup_info 0
		.amdhsa_system_vgpr_workitem_id 0
		.amdhsa_next_free_vgpr 1
		.amdhsa_next_free_sgpr 1
		.amdhsa_reserve_vcc 0
		.amdhsa_reserve_flat_scratch 0
		.amdhsa_float_round_mode_32 0
		.amdhsa_float_round_mode_16_64 0
		.amdhsa_float_denorm_mode_32 3
		.amdhsa_float_denorm_mode_16_64 3
		.amdhsa_dx10_clamp 1
		.amdhsa_ieee_mode 1
		.amdhsa_fp16_overflow 0
		.amdhsa_workgroup_processor_mode 1
		.amdhsa_memory_ordered 1
		.amdhsa_forward_progress 1
		.amdhsa_shared_vgpr_count 0
		.amdhsa_exception_fp_ieee_invalid_op 0
		.amdhsa_exception_fp_denorm_src 0
		.amdhsa_exception_fp_ieee_div_zero 0
		.amdhsa_exception_fp_ieee_overflow 0
		.amdhsa_exception_fp_ieee_underflow 0
		.amdhsa_exception_fp_ieee_inexact 0
		.amdhsa_exception_int_div_zero 0
	.end_amdhsa_kernel
	.section	.text._ZN7rocprim17ROCPRIM_400000_NS6detail17trampoline_kernelINS0_14default_configENS1_27scan_by_key_config_selectorIidEEZZNS1_16scan_by_key_implILNS1_25lookback_scan_determinismE0ELb1ES3_N6thrust23THRUST_200600_302600_NS6detail15normal_iteratorINS9_10device_ptrIiEEEENSB_INSC_IdEEEESG_dNS9_4plusIvEENS9_8equal_toIvEEdEE10hipError_tPvRmT2_T3_T4_T5_mT6_T7_P12ihipStream_tbENKUlT_T0_E_clISt17integral_constantIbLb0EES11_EEDaSW_SX_EUlSW_E_NS1_11comp_targetILNS1_3genE10ELNS1_11target_archE1200ELNS1_3gpuE4ELNS1_3repE0EEENS1_30default_config_static_selectorELNS0_4arch9wavefront6targetE0EEEvT1_,"axG",@progbits,_ZN7rocprim17ROCPRIM_400000_NS6detail17trampoline_kernelINS0_14default_configENS1_27scan_by_key_config_selectorIidEEZZNS1_16scan_by_key_implILNS1_25lookback_scan_determinismE0ELb1ES3_N6thrust23THRUST_200600_302600_NS6detail15normal_iteratorINS9_10device_ptrIiEEEENSB_INSC_IdEEEESG_dNS9_4plusIvEENS9_8equal_toIvEEdEE10hipError_tPvRmT2_T3_T4_T5_mT6_T7_P12ihipStream_tbENKUlT_T0_E_clISt17integral_constantIbLb0EES11_EEDaSW_SX_EUlSW_E_NS1_11comp_targetILNS1_3genE10ELNS1_11target_archE1200ELNS1_3gpuE4ELNS1_3repE0EEENS1_30default_config_static_selectorELNS0_4arch9wavefront6targetE0EEEvT1_,comdat
.Lfunc_end1397:
	.size	_ZN7rocprim17ROCPRIM_400000_NS6detail17trampoline_kernelINS0_14default_configENS1_27scan_by_key_config_selectorIidEEZZNS1_16scan_by_key_implILNS1_25lookback_scan_determinismE0ELb1ES3_N6thrust23THRUST_200600_302600_NS6detail15normal_iteratorINS9_10device_ptrIiEEEENSB_INSC_IdEEEESG_dNS9_4plusIvEENS9_8equal_toIvEEdEE10hipError_tPvRmT2_T3_T4_T5_mT6_T7_P12ihipStream_tbENKUlT_T0_E_clISt17integral_constantIbLb0EES11_EEDaSW_SX_EUlSW_E_NS1_11comp_targetILNS1_3genE10ELNS1_11target_archE1200ELNS1_3gpuE4ELNS1_3repE0EEENS1_30default_config_static_selectorELNS0_4arch9wavefront6targetE0EEEvT1_, .Lfunc_end1397-_ZN7rocprim17ROCPRIM_400000_NS6detail17trampoline_kernelINS0_14default_configENS1_27scan_by_key_config_selectorIidEEZZNS1_16scan_by_key_implILNS1_25lookback_scan_determinismE0ELb1ES3_N6thrust23THRUST_200600_302600_NS6detail15normal_iteratorINS9_10device_ptrIiEEEENSB_INSC_IdEEEESG_dNS9_4plusIvEENS9_8equal_toIvEEdEE10hipError_tPvRmT2_T3_T4_T5_mT6_T7_P12ihipStream_tbENKUlT_T0_E_clISt17integral_constantIbLb0EES11_EEDaSW_SX_EUlSW_E_NS1_11comp_targetILNS1_3genE10ELNS1_11target_archE1200ELNS1_3gpuE4ELNS1_3repE0EEENS1_30default_config_static_selectorELNS0_4arch9wavefront6targetE0EEEvT1_
                                        ; -- End function
	.set _ZN7rocprim17ROCPRIM_400000_NS6detail17trampoline_kernelINS0_14default_configENS1_27scan_by_key_config_selectorIidEEZZNS1_16scan_by_key_implILNS1_25lookback_scan_determinismE0ELb1ES3_N6thrust23THRUST_200600_302600_NS6detail15normal_iteratorINS9_10device_ptrIiEEEENSB_INSC_IdEEEESG_dNS9_4plusIvEENS9_8equal_toIvEEdEE10hipError_tPvRmT2_T3_T4_T5_mT6_T7_P12ihipStream_tbENKUlT_T0_E_clISt17integral_constantIbLb0EES11_EEDaSW_SX_EUlSW_E_NS1_11comp_targetILNS1_3genE10ELNS1_11target_archE1200ELNS1_3gpuE4ELNS1_3repE0EEENS1_30default_config_static_selectorELNS0_4arch9wavefront6targetE0EEEvT1_.num_vgpr, 0
	.set _ZN7rocprim17ROCPRIM_400000_NS6detail17trampoline_kernelINS0_14default_configENS1_27scan_by_key_config_selectorIidEEZZNS1_16scan_by_key_implILNS1_25lookback_scan_determinismE0ELb1ES3_N6thrust23THRUST_200600_302600_NS6detail15normal_iteratorINS9_10device_ptrIiEEEENSB_INSC_IdEEEESG_dNS9_4plusIvEENS9_8equal_toIvEEdEE10hipError_tPvRmT2_T3_T4_T5_mT6_T7_P12ihipStream_tbENKUlT_T0_E_clISt17integral_constantIbLb0EES11_EEDaSW_SX_EUlSW_E_NS1_11comp_targetILNS1_3genE10ELNS1_11target_archE1200ELNS1_3gpuE4ELNS1_3repE0EEENS1_30default_config_static_selectorELNS0_4arch9wavefront6targetE0EEEvT1_.num_agpr, 0
	.set _ZN7rocprim17ROCPRIM_400000_NS6detail17trampoline_kernelINS0_14default_configENS1_27scan_by_key_config_selectorIidEEZZNS1_16scan_by_key_implILNS1_25lookback_scan_determinismE0ELb1ES3_N6thrust23THRUST_200600_302600_NS6detail15normal_iteratorINS9_10device_ptrIiEEEENSB_INSC_IdEEEESG_dNS9_4plusIvEENS9_8equal_toIvEEdEE10hipError_tPvRmT2_T3_T4_T5_mT6_T7_P12ihipStream_tbENKUlT_T0_E_clISt17integral_constantIbLb0EES11_EEDaSW_SX_EUlSW_E_NS1_11comp_targetILNS1_3genE10ELNS1_11target_archE1200ELNS1_3gpuE4ELNS1_3repE0EEENS1_30default_config_static_selectorELNS0_4arch9wavefront6targetE0EEEvT1_.numbered_sgpr, 0
	.set _ZN7rocprim17ROCPRIM_400000_NS6detail17trampoline_kernelINS0_14default_configENS1_27scan_by_key_config_selectorIidEEZZNS1_16scan_by_key_implILNS1_25lookback_scan_determinismE0ELb1ES3_N6thrust23THRUST_200600_302600_NS6detail15normal_iteratorINS9_10device_ptrIiEEEENSB_INSC_IdEEEESG_dNS9_4plusIvEENS9_8equal_toIvEEdEE10hipError_tPvRmT2_T3_T4_T5_mT6_T7_P12ihipStream_tbENKUlT_T0_E_clISt17integral_constantIbLb0EES11_EEDaSW_SX_EUlSW_E_NS1_11comp_targetILNS1_3genE10ELNS1_11target_archE1200ELNS1_3gpuE4ELNS1_3repE0EEENS1_30default_config_static_selectorELNS0_4arch9wavefront6targetE0EEEvT1_.num_named_barrier, 0
	.set _ZN7rocprim17ROCPRIM_400000_NS6detail17trampoline_kernelINS0_14default_configENS1_27scan_by_key_config_selectorIidEEZZNS1_16scan_by_key_implILNS1_25lookback_scan_determinismE0ELb1ES3_N6thrust23THRUST_200600_302600_NS6detail15normal_iteratorINS9_10device_ptrIiEEEENSB_INSC_IdEEEESG_dNS9_4plusIvEENS9_8equal_toIvEEdEE10hipError_tPvRmT2_T3_T4_T5_mT6_T7_P12ihipStream_tbENKUlT_T0_E_clISt17integral_constantIbLb0EES11_EEDaSW_SX_EUlSW_E_NS1_11comp_targetILNS1_3genE10ELNS1_11target_archE1200ELNS1_3gpuE4ELNS1_3repE0EEENS1_30default_config_static_selectorELNS0_4arch9wavefront6targetE0EEEvT1_.private_seg_size, 0
	.set _ZN7rocprim17ROCPRIM_400000_NS6detail17trampoline_kernelINS0_14default_configENS1_27scan_by_key_config_selectorIidEEZZNS1_16scan_by_key_implILNS1_25lookback_scan_determinismE0ELb1ES3_N6thrust23THRUST_200600_302600_NS6detail15normal_iteratorINS9_10device_ptrIiEEEENSB_INSC_IdEEEESG_dNS9_4plusIvEENS9_8equal_toIvEEdEE10hipError_tPvRmT2_T3_T4_T5_mT6_T7_P12ihipStream_tbENKUlT_T0_E_clISt17integral_constantIbLb0EES11_EEDaSW_SX_EUlSW_E_NS1_11comp_targetILNS1_3genE10ELNS1_11target_archE1200ELNS1_3gpuE4ELNS1_3repE0EEENS1_30default_config_static_selectorELNS0_4arch9wavefront6targetE0EEEvT1_.uses_vcc, 0
	.set _ZN7rocprim17ROCPRIM_400000_NS6detail17trampoline_kernelINS0_14default_configENS1_27scan_by_key_config_selectorIidEEZZNS1_16scan_by_key_implILNS1_25lookback_scan_determinismE0ELb1ES3_N6thrust23THRUST_200600_302600_NS6detail15normal_iteratorINS9_10device_ptrIiEEEENSB_INSC_IdEEEESG_dNS9_4plusIvEENS9_8equal_toIvEEdEE10hipError_tPvRmT2_T3_T4_T5_mT6_T7_P12ihipStream_tbENKUlT_T0_E_clISt17integral_constantIbLb0EES11_EEDaSW_SX_EUlSW_E_NS1_11comp_targetILNS1_3genE10ELNS1_11target_archE1200ELNS1_3gpuE4ELNS1_3repE0EEENS1_30default_config_static_selectorELNS0_4arch9wavefront6targetE0EEEvT1_.uses_flat_scratch, 0
	.set _ZN7rocprim17ROCPRIM_400000_NS6detail17trampoline_kernelINS0_14default_configENS1_27scan_by_key_config_selectorIidEEZZNS1_16scan_by_key_implILNS1_25lookback_scan_determinismE0ELb1ES3_N6thrust23THRUST_200600_302600_NS6detail15normal_iteratorINS9_10device_ptrIiEEEENSB_INSC_IdEEEESG_dNS9_4plusIvEENS9_8equal_toIvEEdEE10hipError_tPvRmT2_T3_T4_T5_mT6_T7_P12ihipStream_tbENKUlT_T0_E_clISt17integral_constantIbLb0EES11_EEDaSW_SX_EUlSW_E_NS1_11comp_targetILNS1_3genE10ELNS1_11target_archE1200ELNS1_3gpuE4ELNS1_3repE0EEENS1_30default_config_static_selectorELNS0_4arch9wavefront6targetE0EEEvT1_.has_dyn_sized_stack, 0
	.set _ZN7rocprim17ROCPRIM_400000_NS6detail17trampoline_kernelINS0_14default_configENS1_27scan_by_key_config_selectorIidEEZZNS1_16scan_by_key_implILNS1_25lookback_scan_determinismE0ELb1ES3_N6thrust23THRUST_200600_302600_NS6detail15normal_iteratorINS9_10device_ptrIiEEEENSB_INSC_IdEEEESG_dNS9_4plusIvEENS9_8equal_toIvEEdEE10hipError_tPvRmT2_T3_T4_T5_mT6_T7_P12ihipStream_tbENKUlT_T0_E_clISt17integral_constantIbLb0EES11_EEDaSW_SX_EUlSW_E_NS1_11comp_targetILNS1_3genE10ELNS1_11target_archE1200ELNS1_3gpuE4ELNS1_3repE0EEENS1_30default_config_static_selectorELNS0_4arch9wavefront6targetE0EEEvT1_.has_recursion, 0
	.set _ZN7rocprim17ROCPRIM_400000_NS6detail17trampoline_kernelINS0_14default_configENS1_27scan_by_key_config_selectorIidEEZZNS1_16scan_by_key_implILNS1_25lookback_scan_determinismE0ELb1ES3_N6thrust23THRUST_200600_302600_NS6detail15normal_iteratorINS9_10device_ptrIiEEEENSB_INSC_IdEEEESG_dNS9_4plusIvEENS9_8equal_toIvEEdEE10hipError_tPvRmT2_T3_T4_T5_mT6_T7_P12ihipStream_tbENKUlT_T0_E_clISt17integral_constantIbLb0EES11_EEDaSW_SX_EUlSW_E_NS1_11comp_targetILNS1_3genE10ELNS1_11target_archE1200ELNS1_3gpuE4ELNS1_3repE0EEENS1_30default_config_static_selectorELNS0_4arch9wavefront6targetE0EEEvT1_.has_indirect_call, 0
	.section	.AMDGPU.csdata,"",@progbits
; Kernel info:
; codeLenInByte = 0
; TotalNumSgprs: 0
; NumVgprs: 0
; ScratchSize: 0
; MemoryBound: 0
; FloatMode: 240
; IeeeMode: 1
; LDSByteSize: 0 bytes/workgroup (compile time only)
; SGPRBlocks: 0
; VGPRBlocks: 0
; NumSGPRsForWavesPerEU: 1
; NumVGPRsForWavesPerEU: 1
; Occupancy: 16
; WaveLimiterHint : 0
; COMPUTE_PGM_RSRC2:SCRATCH_EN: 0
; COMPUTE_PGM_RSRC2:USER_SGPR: 6
; COMPUTE_PGM_RSRC2:TRAP_HANDLER: 0
; COMPUTE_PGM_RSRC2:TGID_X_EN: 1
; COMPUTE_PGM_RSRC2:TGID_Y_EN: 0
; COMPUTE_PGM_RSRC2:TGID_Z_EN: 0
; COMPUTE_PGM_RSRC2:TIDIG_COMP_CNT: 0
	.section	.text._ZN7rocprim17ROCPRIM_400000_NS6detail17trampoline_kernelINS0_14default_configENS1_27scan_by_key_config_selectorIidEEZZNS1_16scan_by_key_implILNS1_25lookback_scan_determinismE0ELb1ES3_N6thrust23THRUST_200600_302600_NS6detail15normal_iteratorINS9_10device_ptrIiEEEENSB_INSC_IdEEEESG_dNS9_4plusIvEENS9_8equal_toIvEEdEE10hipError_tPvRmT2_T3_T4_T5_mT6_T7_P12ihipStream_tbENKUlT_T0_E_clISt17integral_constantIbLb0EES11_EEDaSW_SX_EUlSW_E_NS1_11comp_targetILNS1_3genE9ELNS1_11target_archE1100ELNS1_3gpuE3ELNS1_3repE0EEENS1_30default_config_static_selectorELNS0_4arch9wavefront6targetE0EEEvT1_,"axG",@progbits,_ZN7rocprim17ROCPRIM_400000_NS6detail17trampoline_kernelINS0_14default_configENS1_27scan_by_key_config_selectorIidEEZZNS1_16scan_by_key_implILNS1_25lookback_scan_determinismE0ELb1ES3_N6thrust23THRUST_200600_302600_NS6detail15normal_iteratorINS9_10device_ptrIiEEEENSB_INSC_IdEEEESG_dNS9_4plusIvEENS9_8equal_toIvEEdEE10hipError_tPvRmT2_T3_T4_T5_mT6_T7_P12ihipStream_tbENKUlT_T0_E_clISt17integral_constantIbLb0EES11_EEDaSW_SX_EUlSW_E_NS1_11comp_targetILNS1_3genE9ELNS1_11target_archE1100ELNS1_3gpuE3ELNS1_3repE0EEENS1_30default_config_static_selectorELNS0_4arch9wavefront6targetE0EEEvT1_,comdat
	.protected	_ZN7rocprim17ROCPRIM_400000_NS6detail17trampoline_kernelINS0_14default_configENS1_27scan_by_key_config_selectorIidEEZZNS1_16scan_by_key_implILNS1_25lookback_scan_determinismE0ELb1ES3_N6thrust23THRUST_200600_302600_NS6detail15normal_iteratorINS9_10device_ptrIiEEEENSB_INSC_IdEEEESG_dNS9_4plusIvEENS9_8equal_toIvEEdEE10hipError_tPvRmT2_T3_T4_T5_mT6_T7_P12ihipStream_tbENKUlT_T0_E_clISt17integral_constantIbLb0EES11_EEDaSW_SX_EUlSW_E_NS1_11comp_targetILNS1_3genE9ELNS1_11target_archE1100ELNS1_3gpuE3ELNS1_3repE0EEENS1_30default_config_static_selectorELNS0_4arch9wavefront6targetE0EEEvT1_ ; -- Begin function _ZN7rocprim17ROCPRIM_400000_NS6detail17trampoline_kernelINS0_14default_configENS1_27scan_by_key_config_selectorIidEEZZNS1_16scan_by_key_implILNS1_25lookback_scan_determinismE0ELb1ES3_N6thrust23THRUST_200600_302600_NS6detail15normal_iteratorINS9_10device_ptrIiEEEENSB_INSC_IdEEEESG_dNS9_4plusIvEENS9_8equal_toIvEEdEE10hipError_tPvRmT2_T3_T4_T5_mT6_T7_P12ihipStream_tbENKUlT_T0_E_clISt17integral_constantIbLb0EES11_EEDaSW_SX_EUlSW_E_NS1_11comp_targetILNS1_3genE9ELNS1_11target_archE1100ELNS1_3gpuE3ELNS1_3repE0EEENS1_30default_config_static_selectorELNS0_4arch9wavefront6targetE0EEEvT1_
	.globl	_ZN7rocprim17ROCPRIM_400000_NS6detail17trampoline_kernelINS0_14default_configENS1_27scan_by_key_config_selectorIidEEZZNS1_16scan_by_key_implILNS1_25lookback_scan_determinismE0ELb1ES3_N6thrust23THRUST_200600_302600_NS6detail15normal_iteratorINS9_10device_ptrIiEEEENSB_INSC_IdEEEESG_dNS9_4plusIvEENS9_8equal_toIvEEdEE10hipError_tPvRmT2_T3_T4_T5_mT6_T7_P12ihipStream_tbENKUlT_T0_E_clISt17integral_constantIbLb0EES11_EEDaSW_SX_EUlSW_E_NS1_11comp_targetILNS1_3genE9ELNS1_11target_archE1100ELNS1_3gpuE3ELNS1_3repE0EEENS1_30default_config_static_selectorELNS0_4arch9wavefront6targetE0EEEvT1_
	.p2align	8
	.type	_ZN7rocprim17ROCPRIM_400000_NS6detail17trampoline_kernelINS0_14default_configENS1_27scan_by_key_config_selectorIidEEZZNS1_16scan_by_key_implILNS1_25lookback_scan_determinismE0ELb1ES3_N6thrust23THRUST_200600_302600_NS6detail15normal_iteratorINS9_10device_ptrIiEEEENSB_INSC_IdEEEESG_dNS9_4plusIvEENS9_8equal_toIvEEdEE10hipError_tPvRmT2_T3_T4_T5_mT6_T7_P12ihipStream_tbENKUlT_T0_E_clISt17integral_constantIbLb0EES11_EEDaSW_SX_EUlSW_E_NS1_11comp_targetILNS1_3genE9ELNS1_11target_archE1100ELNS1_3gpuE3ELNS1_3repE0EEENS1_30default_config_static_selectorELNS0_4arch9wavefront6targetE0EEEvT1_,@function
_ZN7rocprim17ROCPRIM_400000_NS6detail17trampoline_kernelINS0_14default_configENS1_27scan_by_key_config_selectorIidEEZZNS1_16scan_by_key_implILNS1_25lookback_scan_determinismE0ELb1ES3_N6thrust23THRUST_200600_302600_NS6detail15normal_iteratorINS9_10device_ptrIiEEEENSB_INSC_IdEEEESG_dNS9_4plusIvEENS9_8equal_toIvEEdEE10hipError_tPvRmT2_T3_T4_T5_mT6_T7_P12ihipStream_tbENKUlT_T0_E_clISt17integral_constantIbLb0EES11_EEDaSW_SX_EUlSW_E_NS1_11comp_targetILNS1_3genE9ELNS1_11target_archE1100ELNS1_3gpuE3ELNS1_3repE0EEENS1_30default_config_static_selectorELNS0_4arch9wavefront6targetE0EEEvT1_: ; @_ZN7rocprim17ROCPRIM_400000_NS6detail17trampoline_kernelINS0_14default_configENS1_27scan_by_key_config_selectorIidEEZZNS1_16scan_by_key_implILNS1_25lookback_scan_determinismE0ELb1ES3_N6thrust23THRUST_200600_302600_NS6detail15normal_iteratorINS9_10device_ptrIiEEEENSB_INSC_IdEEEESG_dNS9_4plusIvEENS9_8equal_toIvEEdEE10hipError_tPvRmT2_T3_T4_T5_mT6_T7_P12ihipStream_tbENKUlT_T0_E_clISt17integral_constantIbLb0EES11_EEDaSW_SX_EUlSW_E_NS1_11comp_targetILNS1_3genE9ELNS1_11target_archE1100ELNS1_3gpuE3ELNS1_3repE0EEENS1_30default_config_static_selectorELNS0_4arch9wavefront6targetE0EEEvT1_
; %bb.0:
	.section	.rodata,"a",@progbits
	.p2align	6, 0x0
	.amdhsa_kernel _ZN7rocprim17ROCPRIM_400000_NS6detail17trampoline_kernelINS0_14default_configENS1_27scan_by_key_config_selectorIidEEZZNS1_16scan_by_key_implILNS1_25lookback_scan_determinismE0ELb1ES3_N6thrust23THRUST_200600_302600_NS6detail15normal_iteratorINS9_10device_ptrIiEEEENSB_INSC_IdEEEESG_dNS9_4plusIvEENS9_8equal_toIvEEdEE10hipError_tPvRmT2_T3_T4_T5_mT6_T7_P12ihipStream_tbENKUlT_T0_E_clISt17integral_constantIbLb0EES11_EEDaSW_SX_EUlSW_E_NS1_11comp_targetILNS1_3genE9ELNS1_11target_archE1100ELNS1_3gpuE3ELNS1_3repE0EEENS1_30default_config_static_selectorELNS0_4arch9wavefront6targetE0EEEvT1_
		.amdhsa_group_segment_fixed_size 0
		.amdhsa_private_segment_fixed_size 0
		.amdhsa_kernarg_size 136
		.amdhsa_user_sgpr_count 6
		.amdhsa_user_sgpr_private_segment_buffer 1
		.amdhsa_user_sgpr_dispatch_ptr 0
		.amdhsa_user_sgpr_queue_ptr 0
		.amdhsa_user_sgpr_kernarg_segment_ptr 1
		.amdhsa_user_sgpr_dispatch_id 0
		.amdhsa_user_sgpr_flat_scratch_init 0
		.amdhsa_user_sgpr_private_segment_size 0
		.amdhsa_wavefront_size32 1
		.amdhsa_uses_dynamic_stack 0
		.amdhsa_system_sgpr_private_segment_wavefront_offset 0
		.amdhsa_system_sgpr_workgroup_id_x 1
		.amdhsa_system_sgpr_workgroup_id_y 0
		.amdhsa_system_sgpr_workgroup_id_z 0
		.amdhsa_system_sgpr_workgroup_info 0
		.amdhsa_system_vgpr_workitem_id 0
		.amdhsa_next_free_vgpr 1
		.amdhsa_next_free_sgpr 1
		.amdhsa_reserve_vcc 0
		.amdhsa_reserve_flat_scratch 0
		.amdhsa_float_round_mode_32 0
		.amdhsa_float_round_mode_16_64 0
		.amdhsa_float_denorm_mode_32 3
		.amdhsa_float_denorm_mode_16_64 3
		.amdhsa_dx10_clamp 1
		.amdhsa_ieee_mode 1
		.amdhsa_fp16_overflow 0
		.amdhsa_workgroup_processor_mode 1
		.amdhsa_memory_ordered 1
		.amdhsa_forward_progress 1
		.amdhsa_shared_vgpr_count 0
		.amdhsa_exception_fp_ieee_invalid_op 0
		.amdhsa_exception_fp_denorm_src 0
		.amdhsa_exception_fp_ieee_div_zero 0
		.amdhsa_exception_fp_ieee_overflow 0
		.amdhsa_exception_fp_ieee_underflow 0
		.amdhsa_exception_fp_ieee_inexact 0
		.amdhsa_exception_int_div_zero 0
	.end_amdhsa_kernel
	.section	.text._ZN7rocprim17ROCPRIM_400000_NS6detail17trampoline_kernelINS0_14default_configENS1_27scan_by_key_config_selectorIidEEZZNS1_16scan_by_key_implILNS1_25lookback_scan_determinismE0ELb1ES3_N6thrust23THRUST_200600_302600_NS6detail15normal_iteratorINS9_10device_ptrIiEEEENSB_INSC_IdEEEESG_dNS9_4plusIvEENS9_8equal_toIvEEdEE10hipError_tPvRmT2_T3_T4_T5_mT6_T7_P12ihipStream_tbENKUlT_T0_E_clISt17integral_constantIbLb0EES11_EEDaSW_SX_EUlSW_E_NS1_11comp_targetILNS1_3genE9ELNS1_11target_archE1100ELNS1_3gpuE3ELNS1_3repE0EEENS1_30default_config_static_selectorELNS0_4arch9wavefront6targetE0EEEvT1_,"axG",@progbits,_ZN7rocprim17ROCPRIM_400000_NS6detail17trampoline_kernelINS0_14default_configENS1_27scan_by_key_config_selectorIidEEZZNS1_16scan_by_key_implILNS1_25lookback_scan_determinismE0ELb1ES3_N6thrust23THRUST_200600_302600_NS6detail15normal_iteratorINS9_10device_ptrIiEEEENSB_INSC_IdEEEESG_dNS9_4plusIvEENS9_8equal_toIvEEdEE10hipError_tPvRmT2_T3_T4_T5_mT6_T7_P12ihipStream_tbENKUlT_T0_E_clISt17integral_constantIbLb0EES11_EEDaSW_SX_EUlSW_E_NS1_11comp_targetILNS1_3genE9ELNS1_11target_archE1100ELNS1_3gpuE3ELNS1_3repE0EEENS1_30default_config_static_selectorELNS0_4arch9wavefront6targetE0EEEvT1_,comdat
.Lfunc_end1398:
	.size	_ZN7rocprim17ROCPRIM_400000_NS6detail17trampoline_kernelINS0_14default_configENS1_27scan_by_key_config_selectorIidEEZZNS1_16scan_by_key_implILNS1_25lookback_scan_determinismE0ELb1ES3_N6thrust23THRUST_200600_302600_NS6detail15normal_iteratorINS9_10device_ptrIiEEEENSB_INSC_IdEEEESG_dNS9_4plusIvEENS9_8equal_toIvEEdEE10hipError_tPvRmT2_T3_T4_T5_mT6_T7_P12ihipStream_tbENKUlT_T0_E_clISt17integral_constantIbLb0EES11_EEDaSW_SX_EUlSW_E_NS1_11comp_targetILNS1_3genE9ELNS1_11target_archE1100ELNS1_3gpuE3ELNS1_3repE0EEENS1_30default_config_static_selectorELNS0_4arch9wavefront6targetE0EEEvT1_, .Lfunc_end1398-_ZN7rocprim17ROCPRIM_400000_NS6detail17trampoline_kernelINS0_14default_configENS1_27scan_by_key_config_selectorIidEEZZNS1_16scan_by_key_implILNS1_25lookback_scan_determinismE0ELb1ES3_N6thrust23THRUST_200600_302600_NS6detail15normal_iteratorINS9_10device_ptrIiEEEENSB_INSC_IdEEEESG_dNS9_4plusIvEENS9_8equal_toIvEEdEE10hipError_tPvRmT2_T3_T4_T5_mT6_T7_P12ihipStream_tbENKUlT_T0_E_clISt17integral_constantIbLb0EES11_EEDaSW_SX_EUlSW_E_NS1_11comp_targetILNS1_3genE9ELNS1_11target_archE1100ELNS1_3gpuE3ELNS1_3repE0EEENS1_30default_config_static_selectorELNS0_4arch9wavefront6targetE0EEEvT1_
                                        ; -- End function
	.set _ZN7rocprim17ROCPRIM_400000_NS6detail17trampoline_kernelINS0_14default_configENS1_27scan_by_key_config_selectorIidEEZZNS1_16scan_by_key_implILNS1_25lookback_scan_determinismE0ELb1ES3_N6thrust23THRUST_200600_302600_NS6detail15normal_iteratorINS9_10device_ptrIiEEEENSB_INSC_IdEEEESG_dNS9_4plusIvEENS9_8equal_toIvEEdEE10hipError_tPvRmT2_T3_T4_T5_mT6_T7_P12ihipStream_tbENKUlT_T0_E_clISt17integral_constantIbLb0EES11_EEDaSW_SX_EUlSW_E_NS1_11comp_targetILNS1_3genE9ELNS1_11target_archE1100ELNS1_3gpuE3ELNS1_3repE0EEENS1_30default_config_static_selectorELNS0_4arch9wavefront6targetE0EEEvT1_.num_vgpr, 0
	.set _ZN7rocprim17ROCPRIM_400000_NS6detail17trampoline_kernelINS0_14default_configENS1_27scan_by_key_config_selectorIidEEZZNS1_16scan_by_key_implILNS1_25lookback_scan_determinismE0ELb1ES3_N6thrust23THRUST_200600_302600_NS6detail15normal_iteratorINS9_10device_ptrIiEEEENSB_INSC_IdEEEESG_dNS9_4plusIvEENS9_8equal_toIvEEdEE10hipError_tPvRmT2_T3_T4_T5_mT6_T7_P12ihipStream_tbENKUlT_T0_E_clISt17integral_constantIbLb0EES11_EEDaSW_SX_EUlSW_E_NS1_11comp_targetILNS1_3genE9ELNS1_11target_archE1100ELNS1_3gpuE3ELNS1_3repE0EEENS1_30default_config_static_selectorELNS0_4arch9wavefront6targetE0EEEvT1_.num_agpr, 0
	.set _ZN7rocprim17ROCPRIM_400000_NS6detail17trampoline_kernelINS0_14default_configENS1_27scan_by_key_config_selectorIidEEZZNS1_16scan_by_key_implILNS1_25lookback_scan_determinismE0ELb1ES3_N6thrust23THRUST_200600_302600_NS6detail15normal_iteratorINS9_10device_ptrIiEEEENSB_INSC_IdEEEESG_dNS9_4plusIvEENS9_8equal_toIvEEdEE10hipError_tPvRmT2_T3_T4_T5_mT6_T7_P12ihipStream_tbENKUlT_T0_E_clISt17integral_constantIbLb0EES11_EEDaSW_SX_EUlSW_E_NS1_11comp_targetILNS1_3genE9ELNS1_11target_archE1100ELNS1_3gpuE3ELNS1_3repE0EEENS1_30default_config_static_selectorELNS0_4arch9wavefront6targetE0EEEvT1_.numbered_sgpr, 0
	.set _ZN7rocprim17ROCPRIM_400000_NS6detail17trampoline_kernelINS0_14default_configENS1_27scan_by_key_config_selectorIidEEZZNS1_16scan_by_key_implILNS1_25lookback_scan_determinismE0ELb1ES3_N6thrust23THRUST_200600_302600_NS6detail15normal_iteratorINS9_10device_ptrIiEEEENSB_INSC_IdEEEESG_dNS9_4plusIvEENS9_8equal_toIvEEdEE10hipError_tPvRmT2_T3_T4_T5_mT6_T7_P12ihipStream_tbENKUlT_T0_E_clISt17integral_constantIbLb0EES11_EEDaSW_SX_EUlSW_E_NS1_11comp_targetILNS1_3genE9ELNS1_11target_archE1100ELNS1_3gpuE3ELNS1_3repE0EEENS1_30default_config_static_selectorELNS0_4arch9wavefront6targetE0EEEvT1_.num_named_barrier, 0
	.set _ZN7rocprim17ROCPRIM_400000_NS6detail17trampoline_kernelINS0_14default_configENS1_27scan_by_key_config_selectorIidEEZZNS1_16scan_by_key_implILNS1_25lookback_scan_determinismE0ELb1ES3_N6thrust23THRUST_200600_302600_NS6detail15normal_iteratorINS9_10device_ptrIiEEEENSB_INSC_IdEEEESG_dNS9_4plusIvEENS9_8equal_toIvEEdEE10hipError_tPvRmT2_T3_T4_T5_mT6_T7_P12ihipStream_tbENKUlT_T0_E_clISt17integral_constantIbLb0EES11_EEDaSW_SX_EUlSW_E_NS1_11comp_targetILNS1_3genE9ELNS1_11target_archE1100ELNS1_3gpuE3ELNS1_3repE0EEENS1_30default_config_static_selectorELNS0_4arch9wavefront6targetE0EEEvT1_.private_seg_size, 0
	.set _ZN7rocprim17ROCPRIM_400000_NS6detail17trampoline_kernelINS0_14default_configENS1_27scan_by_key_config_selectorIidEEZZNS1_16scan_by_key_implILNS1_25lookback_scan_determinismE0ELb1ES3_N6thrust23THRUST_200600_302600_NS6detail15normal_iteratorINS9_10device_ptrIiEEEENSB_INSC_IdEEEESG_dNS9_4plusIvEENS9_8equal_toIvEEdEE10hipError_tPvRmT2_T3_T4_T5_mT6_T7_P12ihipStream_tbENKUlT_T0_E_clISt17integral_constantIbLb0EES11_EEDaSW_SX_EUlSW_E_NS1_11comp_targetILNS1_3genE9ELNS1_11target_archE1100ELNS1_3gpuE3ELNS1_3repE0EEENS1_30default_config_static_selectorELNS0_4arch9wavefront6targetE0EEEvT1_.uses_vcc, 0
	.set _ZN7rocprim17ROCPRIM_400000_NS6detail17trampoline_kernelINS0_14default_configENS1_27scan_by_key_config_selectorIidEEZZNS1_16scan_by_key_implILNS1_25lookback_scan_determinismE0ELb1ES3_N6thrust23THRUST_200600_302600_NS6detail15normal_iteratorINS9_10device_ptrIiEEEENSB_INSC_IdEEEESG_dNS9_4plusIvEENS9_8equal_toIvEEdEE10hipError_tPvRmT2_T3_T4_T5_mT6_T7_P12ihipStream_tbENKUlT_T0_E_clISt17integral_constantIbLb0EES11_EEDaSW_SX_EUlSW_E_NS1_11comp_targetILNS1_3genE9ELNS1_11target_archE1100ELNS1_3gpuE3ELNS1_3repE0EEENS1_30default_config_static_selectorELNS0_4arch9wavefront6targetE0EEEvT1_.uses_flat_scratch, 0
	.set _ZN7rocprim17ROCPRIM_400000_NS6detail17trampoline_kernelINS0_14default_configENS1_27scan_by_key_config_selectorIidEEZZNS1_16scan_by_key_implILNS1_25lookback_scan_determinismE0ELb1ES3_N6thrust23THRUST_200600_302600_NS6detail15normal_iteratorINS9_10device_ptrIiEEEENSB_INSC_IdEEEESG_dNS9_4plusIvEENS9_8equal_toIvEEdEE10hipError_tPvRmT2_T3_T4_T5_mT6_T7_P12ihipStream_tbENKUlT_T0_E_clISt17integral_constantIbLb0EES11_EEDaSW_SX_EUlSW_E_NS1_11comp_targetILNS1_3genE9ELNS1_11target_archE1100ELNS1_3gpuE3ELNS1_3repE0EEENS1_30default_config_static_selectorELNS0_4arch9wavefront6targetE0EEEvT1_.has_dyn_sized_stack, 0
	.set _ZN7rocprim17ROCPRIM_400000_NS6detail17trampoline_kernelINS0_14default_configENS1_27scan_by_key_config_selectorIidEEZZNS1_16scan_by_key_implILNS1_25lookback_scan_determinismE0ELb1ES3_N6thrust23THRUST_200600_302600_NS6detail15normal_iteratorINS9_10device_ptrIiEEEENSB_INSC_IdEEEESG_dNS9_4plusIvEENS9_8equal_toIvEEdEE10hipError_tPvRmT2_T3_T4_T5_mT6_T7_P12ihipStream_tbENKUlT_T0_E_clISt17integral_constantIbLb0EES11_EEDaSW_SX_EUlSW_E_NS1_11comp_targetILNS1_3genE9ELNS1_11target_archE1100ELNS1_3gpuE3ELNS1_3repE0EEENS1_30default_config_static_selectorELNS0_4arch9wavefront6targetE0EEEvT1_.has_recursion, 0
	.set _ZN7rocprim17ROCPRIM_400000_NS6detail17trampoline_kernelINS0_14default_configENS1_27scan_by_key_config_selectorIidEEZZNS1_16scan_by_key_implILNS1_25lookback_scan_determinismE0ELb1ES3_N6thrust23THRUST_200600_302600_NS6detail15normal_iteratorINS9_10device_ptrIiEEEENSB_INSC_IdEEEESG_dNS9_4plusIvEENS9_8equal_toIvEEdEE10hipError_tPvRmT2_T3_T4_T5_mT6_T7_P12ihipStream_tbENKUlT_T0_E_clISt17integral_constantIbLb0EES11_EEDaSW_SX_EUlSW_E_NS1_11comp_targetILNS1_3genE9ELNS1_11target_archE1100ELNS1_3gpuE3ELNS1_3repE0EEENS1_30default_config_static_selectorELNS0_4arch9wavefront6targetE0EEEvT1_.has_indirect_call, 0
	.section	.AMDGPU.csdata,"",@progbits
; Kernel info:
; codeLenInByte = 0
; TotalNumSgprs: 0
; NumVgprs: 0
; ScratchSize: 0
; MemoryBound: 0
; FloatMode: 240
; IeeeMode: 1
; LDSByteSize: 0 bytes/workgroup (compile time only)
; SGPRBlocks: 0
; VGPRBlocks: 0
; NumSGPRsForWavesPerEU: 1
; NumVGPRsForWavesPerEU: 1
; Occupancy: 16
; WaveLimiterHint : 0
; COMPUTE_PGM_RSRC2:SCRATCH_EN: 0
; COMPUTE_PGM_RSRC2:USER_SGPR: 6
; COMPUTE_PGM_RSRC2:TRAP_HANDLER: 0
; COMPUTE_PGM_RSRC2:TGID_X_EN: 1
; COMPUTE_PGM_RSRC2:TGID_Y_EN: 0
; COMPUTE_PGM_RSRC2:TGID_Z_EN: 0
; COMPUTE_PGM_RSRC2:TIDIG_COMP_CNT: 0
	.section	.text._ZN7rocprim17ROCPRIM_400000_NS6detail17trampoline_kernelINS0_14default_configENS1_27scan_by_key_config_selectorIidEEZZNS1_16scan_by_key_implILNS1_25lookback_scan_determinismE0ELb1ES3_N6thrust23THRUST_200600_302600_NS6detail15normal_iteratorINS9_10device_ptrIiEEEENSB_INSC_IdEEEESG_dNS9_4plusIvEENS9_8equal_toIvEEdEE10hipError_tPvRmT2_T3_T4_T5_mT6_T7_P12ihipStream_tbENKUlT_T0_E_clISt17integral_constantIbLb0EES11_EEDaSW_SX_EUlSW_E_NS1_11comp_targetILNS1_3genE8ELNS1_11target_archE1030ELNS1_3gpuE2ELNS1_3repE0EEENS1_30default_config_static_selectorELNS0_4arch9wavefront6targetE0EEEvT1_,"axG",@progbits,_ZN7rocprim17ROCPRIM_400000_NS6detail17trampoline_kernelINS0_14default_configENS1_27scan_by_key_config_selectorIidEEZZNS1_16scan_by_key_implILNS1_25lookback_scan_determinismE0ELb1ES3_N6thrust23THRUST_200600_302600_NS6detail15normal_iteratorINS9_10device_ptrIiEEEENSB_INSC_IdEEEESG_dNS9_4plusIvEENS9_8equal_toIvEEdEE10hipError_tPvRmT2_T3_T4_T5_mT6_T7_P12ihipStream_tbENKUlT_T0_E_clISt17integral_constantIbLb0EES11_EEDaSW_SX_EUlSW_E_NS1_11comp_targetILNS1_3genE8ELNS1_11target_archE1030ELNS1_3gpuE2ELNS1_3repE0EEENS1_30default_config_static_selectorELNS0_4arch9wavefront6targetE0EEEvT1_,comdat
	.protected	_ZN7rocprim17ROCPRIM_400000_NS6detail17trampoline_kernelINS0_14default_configENS1_27scan_by_key_config_selectorIidEEZZNS1_16scan_by_key_implILNS1_25lookback_scan_determinismE0ELb1ES3_N6thrust23THRUST_200600_302600_NS6detail15normal_iteratorINS9_10device_ptrIiEEEENSB_INSC_IdEEEESG_dNS9_4plusIvEENS9_8equal_toIvEEdEE10hipError_tPvRmT2_T3_T4_T5_mT6_T7_P12ihipStream_tbENKUlT_T0_E_clISt17integral_constantIbLb0EES11_EEDaSW_SX_EUlSW_E_NS1_11comp_targetILNS1_3genE8ELNS1_11target_archE1030ELNS1_3gpuE2ELNS1_3repE0EEENS1_30default_config_static_selectorELNS0_4arch9wavefront6targetE0EEEvT1_ ; -- Begin function _ZN7rocprim17ROCPRIM_400000_NS6detail17trampoline_kernelINS0_14default_configENS1_27scan_by_key_config_selectorIidEEZZNS1_16scan_by_key_implILNS1_25lookback_scan_determinismE0ELb1ES3_N6thrust23THRUST_200600_302600_NS6detail15normal_iteratorINS9_10device_ptrIiEEEENSB_INSC_IdEEEESG_dNS9_4plusIvEENS9_8equal_toIvEEdEE10hipError_tPvRmT2_T3_T4_T5_mT6_T7_P12ihipStream_tbENKUlT_T0_E_clISt17integral_constantIbLb0EES11_EEDaSW_SX_EUlSW_E_NS1_11comp_targetILNS1_3genE8ELNS1_11target_archE1030ELNS1_3gpuE2ELNS1_3repE0EEENS1_30default_config_static_selectorELNS0_4arch9wavefront6targetE0EEEvT1_
	.globl	_ZN7rocprim17ROCPRIM_400000_NS6detail17trampoline_kernelINS0_14default_configENS1_27scan_by_key_config_selectorIidEEZZNS1_16scan_by_key_implILNS1_25lookback_scan_determinismE0ELb1ES3_N6thrust23THRUST_200600_302600_NS6detail15normal_iteratorINS9_10device_ptrIiEEEENSB_INSC_IdEEEESG_dNS9_4plusIvEENS9_8equal_toIvEEdEE10hipError_tPvRmT2_T3_T4_T5_mT6_T7_P12ihipStream_tbENKUlT_T0_E_clISt17integral_constantIbLb0EES11_EEDaSW_SX_EUlSW_E_NS1_11comp_targetILNS1_3genE8ELNS1_11target_archE1030ELNS1_3gpuE2ELNS1_3repE0EEENS1_30default_config_static_selectorELNS0_4arch9wavefront6targetE0EEEvT1_
	.p2align	8
	.type	_ZN7rocprim17ROCPRIM_400000_NS6detail17trampoline_kernelINS0_14default_configENS1_27scan_by_key_config_selectorIidEEZZNS1_16scan_by_key_implILNS1_25lookback_scan_determinismE0ELb1ES3_N6thrust23THRUST_200600_302600_NS6detail15normal_iteratorINS9_10device_ptrIiEEEENSB_INSC_IdEEEESG_dNS9_4plusIvEENS9_8equal_toIvEEdEE10hipError_tPvRmT2_T3_T4_T5_mT6_T7_P12ihipStream_tbENKUlT_T0_E_clISt17integral_constantIbLb0EES11_EEDaSW_SX_EUlSW_E_NS1_11comp_targetILNS1_3genE8ELNS1_11target_archE1030ELNS1_3gpuE2ELNS1_3repE0EEENS1_30default_config_static_selectorELNS0_4arch9wavefront6targetE0EEEvT1_,@function
_ZN7rocprim17ROCPRIM_400000_NS6detail17trampoline_kernelINS0_14default_configENS1_27scan_by_key_config_selectorIidEEZZNS1_16scan_by_key_implILNS1_25lookback_scan_determinismE0ELb1ES3_N6thrust23THRUST_200600_302600_NS6detail15normal_iteratorINS9_10device_ptrIiEEEENSB_INSC_IdEEEESG_dNS9_4plusIvEENS9_8equal_toIvEEdEE10hipError_tPvRmT2_T3_T4_T5_mT6_T7_P12ihipStream_tbENKUlT_T0_E_clISt17integral_constantIbLb0EES11_EEDaSW_SX_EUlSW_E_NS1_11comp_targetILNS1_3genE8ELNS1_11target_archE1030ELNS1_3gpuE2ELNS1_3repE0EEENS1_30default_config_static_selectorELNS0_4arch9wavefront6targetE0EEEvT1_: ; @_ZN7rocprim17ROCPRIM_400000_NS6detail17trampoline_kernelINS0_14default_configENS1_27scan_by_key_config_selectorIidEEZZNS1_16scan_by_key_implILNS1_25lookback_scan_determinismE0ELb1ES3_N6thrust23THRUST_200600_302600_NS6detail15normal_iteratorINS9_10device_ptrIiEEEENSB_INSC_IdEEEESG_dNS9_4plusIvEENS9_8equal_toIvEEdEE10hipError_tPvRmT2_T3_T4_T5_mT6_T7_P12ihipStream_tbENKUlT_T0_E_clISt17integral_constantIbLb0EES11_EEDaSW_SX_EUlSW_E_NS1_11comp_targetILNS1_3genE8ELNS1_11target_archE1030ELNS1_3gpuE2ELNS1_3repE0EEENS1_30default_config_static_selectorELNS0_4arch9wavefront6targetE0EEEvT1_
; %bb.0:
	s_clause 0x5
	s_load_dwordx8 s[8:15], s[4:5], 0x0
	s_load_dwordx2 s[28:29], s[4:5], 0x50
	s_load_dword s7, s[4:5], 0x58
	s_load_dwordx2 s[30:31], s[4:5], 0x20
	s_load_dwordx8 s[16:23], s[4:5], 0x30
	s_load_dwordx4 s[24:27], s[4:5], 0x60
	s_mov_b32 s1, 0
	s_mul_i32 s0, s6, 0x300
	s_waitcnt lgkmcnt(0)
	s_barrier
	buffer_gl0_inv
	s_lshl_b64 s[2:3], s[10:11], 2
	s_add_u32 s8, s8, s2
	s_addc_u32 s9, s9, s3
	s_lshl_b64 s[4:5], s[10:11], 3
	s_mul_i32 s23, s29, s7
	s_mul_hi_u32 s10, s28, s7
	s_add_u32 s12, s12, s4
	s_addc_u32 s13, s13, s5
	s_lshl_b64 s[2:3], s[0:1], 2
	s_add_i32 s23, s10, s23
	s_add_u32 s10, s8, s2
	s_addc_u32 s11, s9, s3
	s_lshl_b64 s[8:9], s[0:1], 3
	s_mul_i32 s0, s28, s7
	s_add_u32 s3, s12, s8
	s_addc_u32 s13, s13, s9
	s_add_u32 s34, s0, s6
	s_addc_u32 s35, s23, 0
	s_add_u32 s24, s24, -1
	s_addc_u32 s25, s25, -1
	s_mul_i32 s7, s24, 0xfffffd00
	v_cmp_ge_u64_e64 s12, s[34:35], s[24:25]
	s_and_b32 vcc_lo, exec_lo, s12
	s_cbranch_vccz .LBB1399_20
; %bb.1:
	v_mov_b32_e32 v1, s10
	v_mov_b32_e32 v2, s11
	s_add_i32 s23, s7, s22
	v_cmp_gt_u32_e64 s1, s23, v0
	flat_load_dword v1, v[1:2]
	s_waitcnt vmcnt(0) lgkmcnt(0)
	v_mov_b32_e32 v2, v1
	s_and_saveexec_b32 s0, s1
	s_cbranch_execz .LBB1399_3
; %bb.2:
	v_lshlrev_b32_e32 v2, 2, v0
	v_add_co_u32 v2, s2, s10, v2
	v_add_co_ci_u32_e64 v3, null, s11, 0, s2
	flat_load_dword v2, v[2:3]
.LBB1399_3:
	s_or_b32 exec_lo, exec_lo, s0
	v_or_b32_e32 v8, 0x100, v0
	v_mov_b32_e32 v3, v1
	v_cmp_gt_u32_e64 s0, s23, v8
	s_and_saveexec_b32 s2, s0
	s_cbranch_execz .LBB1399_5
; %bb.4:
	v_lshlrev_b32_e32 v3, 2, v0
	v_add_co_u32 v3, s24, s10, v3
	v_add_co_ci_u32_e64 v4, null, s11, 0, s24
	flat_load_dword v3, v[3:4] offset:1024
.LBB1399_5:
	s_or_b32 exec_lo, exec_lo, s2
	v_or_b32_e32 v7, 0x200, v0
	v_cmp_gt_u32_e32 vcc_lo, s23, v7
	s_and_saveexec_b32 s2, vcc_lo
	s_cbranch_execz .LBB1399_7
; %bb.6:
	v_lshlrev_b32_e32 v1, 2, v7
	v_add_co_u32 v4, s24, s10, v1
	v_add_co_ci_u32_e64 v5, null, s11, 0, s24
	flat_load_dword v1, v[4:5]
.LBB1399_7:
	s_or_b32 exec_lo, exec_lo, s2
	v_mov_b32_e32 v4, s10
	v_lshlrev_b32_e32 v9, 2, v0
	v_mov_b32_e32 v5, s11
	s_mov_b32 s24, exec_lo
	s_waitcnt vmcnt(0) lgkmcnt(0)
	ds_write2st64_b32 v9, v2, v3 offset1:4
	ds_write_b32 v9, v1 offset:2048
	s_waitcnt lgkmcnt(0)
	s_barrier
	buffer_gl0_inv
	flat_load_dword v14, v[4:5]
	v_lshl_add_u32 v1, v0, 3, v9
	ds_read_b32 v15, v1
	ds_read2_b32 v[11:12], v1 offset0:1 offset1:2
	s_waitcnt lgkmcnt(1)
	ds_write_b32 v9, v15 offset:4096
	s_waitcnt vmcnt(0) lgkmcnt(0)
	s_barrier
	buffer_gl0_inv
	v_cmpx_ne_u32_e32 0xff, v0
; %bb.8:
	ds_read_b32 v14, v9 offset:4100
; %bb.9:
	s_or_b32 exec_lo, exec_lo, s24
	v_mov_b32_e32 v1, 0
	s_waitcnt lgkmcnt(0)
	s_barrier
	buffer_gl0_inv
	v_mov_b32_e32 v2, v1
	v_mov_b32_e32 v3, v1
	v_mov_b32_e32 v4, v1
	v_mov_b32_e32 v5, v1
	v_mov_b32_e32 v6, v1
	s_and_saveexec_b32 s2, s1
	s_cbranch_execnz .LBB1399_134
; %bb.10:
	s_or_b32 exec_lo, exec_lo, s2
	s_and_saveexec_b32 s1, s0
	s_cbranch_execnz .LBB1399_135
.LBB1399_11:
	s_or_b32 exec_lo, exec_lo, s1
	v_mul_u32_u24_e32 v16, 3, v0
	s_and_saveexec_b32 s0, vcc_lo
	s_cbranch_execz .LBB1399_13
.LBB1399_12:
	v_lshlrev_b32_e32 v5, 3, v7
	v_add_co_u32 v5, s1, s3, v5
	v_add_co_ci_u32_e64 v6, null, s13, 0, s1
	flat_load_dwordx2 v[5:6], v[5:6]
.LBB1399_13:
	s_or_b32 exec_lo, exec_lo, s0
	v_lshl_add_u32 v17, v0, 2, v9
	v_mov_b32_e32 v9, 0
	v_mov_b32_e32 v7, 0
	;; [unrolled: 1-line block ×4, first 2 shown]
	s_waitcnt vmcnt(0) lgkmcnt(0)
	ds_write2st64_b64 v17, v[1:2], v[3:4] offset1:4
	ds_write_b64 v17, v[5:6] offset:4096
	v_mov_b32_e32 v5, 0
	v_mov_b32_e32 v1, 0
	;; [unrolled: 1-line block ×8, first 2 shown]
	s_mov_b32 s24, 0
	s_mov_b32 s1, 0
	s_mov_b32 s25, exec_lo
	s_waitcnt lgkmcnt(0)
	s_barrier
	buffer_gl0_inv
                                        ; implicit-def: $sgpr2
	v_cmpx_gt_u32_e64 s23, v16
	s_cbranch_execz .LBB1399_19
; %bb.14:
	v_lshlrev_b32_e32 v1, 4, v0
	v_cmp_ne_u32_e32 vcc_lo, v15, v11
	v_mov_b32_e32 v9, 0
	v_mov_b32_e32 v7, 0
	v_add_nc_u32_e32 v4, 1, v16
	v_add_nc_u32_e32 v1, v17, v1
	v_mov_b32_e32 v10, 0
	v_mov_b32_e32 v8, 0
	;; [unrolled: 1-line block ×3, first 2 shown]
	s_mov_b32 s33, exec_lo
	ds_read_b64 v[2:3], v1
                                        ; implicit-def: $sgpr2
	s_waitcnt lgkmcnt(0)
	v_cndmask_b32_e64 v6, v3, s31, vcc_lo
	v_cndmask_b32_e64 v5, v2, s30, vcc_lo
	v_cmpx_gt_u32_e64 s23, v4
	s_cbranch_execz .LBB1399_18
; %bb.15:
	ds_read2_b64 v[1:4], v1 offset0:1 offset1:2
	v_cmp_ne_u32_e64 s0, v11, v12
	v_add_nc_u32_e32 v11, 2, v16
	v_mov_b32_e32 v7, 0
	v_mov_b32_e32 v8, 0
                                        ; implicit-def: $sgpr2
	v_cmp_gt_u32_e64 s1, s23, v11
	s_mov_b32 s23, 0
	s_waitcnt lgkmcnt(0)
	v_cndmask_b32_e64 v10, v2, s31, s0
	v_cndmask_b32_e64 v9, v1, s30, s0
	s_and_saveexec_b32 s34, s1
	s_xor_b32 s1, exec_lo, s34
; %bb.16:
	v_cmp_ne_u32_e64 s2, v12, v14
	s_mov_b32 s23, exec_lo
	v_cndmask_b32_e64 v8, v4, s31, s2
	v_cndmask_b32_e64 v7, v3, s30, s2
; %bb.17:
	s_or_b32 exec_lo, exec_lo, s1
	v_cndmask_b32_e64 v13, 0, 1, s0
	s_and_b32 s1, s23, exec_lo
.LBB1399_18:
	s_or_b32 exec_lo, exec_lo, s33
	v_cndmask_b32_e64 v3, 0, 1, vcc_lo
	v_mov_b32_e32 v1, v9
	v_mov_b32_e32 v23, v13
	;; [unrolled: 1-line block ×3, first 2 shown]
	s_and_b32 s1, s1, exec_lo
	v_mov_b32_e32 v21, v3
.LBB1399_19:
	s_or_b32 exec_lo, exec_lo, s25
	s_and_b32 vcc_lo, exec_lo, s24
	s_cbranch_vccnz .LBB1399_21
	s_branch .LBB1399_24
.LBB1399_20:
                                        ; implicit-def: $sgpr2
                                        ; implicit-def: $vgpr5_vgpr6
                                        ; implicit-def: $vgpr13
                                        ; implicit-def: $vgpr9_vgpr10
                                        ; implicit-def: $vgpr3
                                        ; implicit-def: $vgpr7_vgpr8
                                        ; implicit-def: $vgpr23
                                        ; implicit-def: $vgpr1_vgpr2
                                        ; implicit-def: $vgpr21
	s_cbranch_execz .LBB1399_24
.LBB1399_21:
	v_lshlrev_b32_e32 v3, 2, v0
	v_add_co_u32 v1, s0, s10, v3
	v_add_co_ci_u32_e64 v2, null, s11, 0, s0
	v_add_co_u32 v4, vcc_lo, 0x800, v1
	v_add_co_ci_u32_e64 v5, null, 0, v2, vcc_lo
	s_clause 0x2
	flat_load_dword v6, v[1:2]
	flat_load_dword v7, v[1:2] offset:1024
	flat_load_dword v4, v[4:5]
	v_add_co_u32 v1, s0, 0x800, s10
	v_add_co_ci_u32_e64 v2, null, 0, s11, s0
	s_mov_b32 s0, exec_lo
	s_waitcnt vmcnt(1) lgkmcnt(1)
	ds_write2st64_b32 v3, v6, v7 offset1:4
	s_waitcnt vmcnt(0) lgkmcnt(1)
	ds_write_b32 v3, v4 offset:2048
	s_waitcnt lgkmcnt(0)
	s_barrier
	buffer_gl0_inv
	flat_load_dword v4, v[1:2] offset:1024
	v_lshl_add_u32 v1, v0, 3, v3
	ds_read_b32 v5, v1
	ds_read2_b32 v[1:2], v1 offset0:1 offset1:2
	s_waitcnt lgkmcnt(1)
	ds_write_b32 v3, v5 offset:4096
	s_waitcnt vmcnt(0) lgkmcnt(0)
	s_barrier
	buffer_gl0_inv
	v_cmpx_ne_u32_e32 0xff, v0
; %bb.22:
	ds_read_b32 v4, v3 offset:4100
; %bb.23:
	s_or_b32 exec_lo, exec_lo, s0
	v_lshlrev_b32_e32 v6, 3, v0
	s_waitcnt lgkmcnt(0)
	s_barrier
	buffer_gl0_inv
	v_lshl_add_u32 v3, v0, 2, v3
	v_add_co_u32 v6, s0, s3, v6
	v_add_co_ci_u32_e64 v7, null, s13, 0, s0
	v_lshl_add_u32 v12, v0, 4, v3
	v_add_co_u32 v8, vcc_lo, 0x800, v6
	v_add_co_ci_u32_e64 v9, null, 0, v7, vcc_lo
	v_add_co_u32 v10, vcc_lo, 0x1000, v6
	v_add_co_ci_u32_e64 v11, null, 0, v7, vcc_lo
	s_clause 0x2
	flat_load_dwordx2 v[6:7], v[6:7]
	flat_load_dwordx2 v[8:9], v[8:9]
	flat_load_dwordx2 v[10:11], v[10:11]
	v_cmp_ne_u32_e32 vcc_lo, v1, v2
	v_cmp_ne_u32_e64 s0, v5, v1
	v_cmp_ne_u32_e64 s2, v2, v4
	s_mov_b32 s1, -1
	s_waitcnt vmcnt(1) lgkmcnt(1)
	ds_write2st64_b64 v3, v[6:7], v[8:9] offset1:4
	s_waitcnt vmcnt(0) lgkmcnt(1)
	ds_write_b64 v3, v[10:11] offset:4096
	s_waitcnt lgkmcnt(0)
	s_barrier
	buffer_gl0_inv
	ds_read2_b64 v[7:10], v12 offset1:1
	ds_read_b64 v[11:12], v12 offset:16
	v_cndmask_b32_e64 v13, 0, 1, vcc_lo
	v_cndmask_b32_e64 v3, 0, 1, s0
	v_mov_b32_e32 v23, v13
	v_mov_b32_e32 v21, v3
	s_waitcnt lgkmcnt(1)
	v_cndmask_b32_e64 v9, v9, s30, vcc_lo
	v_cndmask_b32_e64 v10, v10, s31, vcc_lo
	v_cndmask_b32_e64 v6, v8, s31, s0
	v_cndmask_b32_e64 v5, v7, s30, s0
	s_waitcnt lgkmcnt(0)
	v_cndmask_b32_e64 v8, v12, s31, s2
	v_mov_b32_e32 v1, v9
	v_cndmask_b32_e64 v7, v11, s30, s2
	v_mov_b32_e32 v2, v10
.LBB1399_24:
	v_mov_b32_e32 v24, 0
	s_and_saveexec_b32 s0, s1
; %bb.25:
	v_mov_b32_e32 v1, v9
	v_cndmask_b32_e64 v24, 0, 1, s2
	v_mov_b32_e32 v21, v3
	v_mov_b32_e32 v2, v10
	;; [unrolled: 1-line block ×3, first 2 shown]
; %bb.26:
	s_or_b32 exec_lo, exec_lo, s0
	v_add_f64 v[3:4], v[1:2], v[5:6]
	v_and_b32_e32 v26, 1, v21
	v_cmp_eq_u16_e64 s1, 0, v24
	v_or_b32_e32 v25, v24, v23
	v_mbcnt_lo_u32_b32 v22, -1, 0
	s_cmp_lg_u32 s6, 0
	v_cmp_eq_u32_e32 vcc_lo, 1, v26
	s_barrier
	buffer_gl0_inv
	s_cbranch_scc0 .LBB1399_84
; %bb.27:
	v_mov_b32_e32 v11, 0
	v_and_b32_e32 v13, 15, v22
	v_cmp_eq_u16_sdwa s0, v23, v11 src0_sel:BYTE_0 src1_sel:DWORD
	v_cmp_ne_u16_sdwa s2, v25, v11 src0_sel:BYTE_0 src1_sel:DWORD
	v_cndmask_b32_e64 v10, v2, v4, s0
	v_cndmask_b32_e64 v9, v1, v3, s0
	s_or_b32 vcc_lo, s2, vcc_lo
	s_mov_b32 s2, exec_lo
	v_cndmask_b32_e64 v14, 0, 1, vcc_lo
	v_cndmask_b32_e64 v15, 0, 1, vcc_lo
	v_add_f64 v[9:10], v[7:8], v[9:10]
	v_mov_b32_dpp v16, v14 row_shr:1 row_mask:0xf bank_mask:0xf
	v_cndmask_b32_e64 v11, v7, v9, s1
	v_cndmask_b32_e64 v12, v8, v10, s1
	v_mov_b32_dpp v9, v11 row_shr:1 row_mask:0xf bank_mask:0xf
	v_mov_b32_dpp v10, v12 row_shr:1 row_mask:0xf bank_mask:0xf
	v_cmpx_ne_u32_e32 0, v13
	s_cbranch_execz .LBB1399_29
; %bb.28:
	v_add_f64 v[9:10], v[11:12], v[9:10]
	v_and_b32_e32 v14, 1, v16
	v_or_b32_e32 v15, v14, v15
	v_and_b32_e32 v14, 0xffff, v15
	v_cndmask_b32_e32 v12, v10, v12, vcc_lo
	v_cndmask_b32_e32 v11, v9, v11, vcc_lo
.LBB1399_29:
	s_or_b32 exec_lo, exec_lo, s2
	v_mov_b32_dpp v9, v11 row_shr:2 row_mask:0xf bank_mask:0xf
	v_mov_b32_dpp v10, v12 row_shr:2 row_mask:0xf bank_mask:0xf
	v_mov_b32_dpp v16, v14 row_shr:2 row_mask:0xf bank_mask:0xf
	s_mov_b32 s3, exec_lo
	v_cmpx_lt_u32_e32 1, v13
	s_cbranch_execz .LBB1399_31
; %bb.30:
	v_add_f64 v[9:10], v[11:12], v[9:10]
	v_and_b32_e32 v14, 1, v15
	v_and_b32_e32 v16, 1, v16
	v_cmp_eq_u16_e64 s2, 0, v15
	v_cmp_eq_u32_e32 vcc_lo, 1, v14
	v_cmp_eq_u32_e64 s1, 1, v16
	s_or_b32 s1, vcc_lo, s1
	v_cndmask_b32_e64 v15, 0, 1, s1
	v_cndmask_b32_e64 v14, 0, 1, s1
	v_cndmask_b32_e64 v12, v12, v10, s2
	v_cndmask_b32_e64 v11, v11, v9, s2
.LBB1399_31:
	s_or_b32 exec_lo, exec_lo, s3
	v_mov_b32_dpp v9, v11 row_shr:4 row_mask:0xf bank_mask:0xf
	v_mov_b32_dpp v10, v12 row_shr:4 row_mask:0xf bank_mask:0xf
	v_mov_b32_dpp v16, v14 row_shr:4 row_mask:0xf bank_mask:0xf
	s_mov_b32 s3, exec_lo
	v_cmpx_lt_u32_e32 3, v13
	s_cbranch_execz .LBB1399_33
; %bb.32:
	v_add_f64 v[9:10], v[11:12], v[9:10]
	v_and_b32_e32 v14, 1, v15
	v_and_b32_e32 v16, 1, v16
	v_cmp_eq_u16_e64 s2, 0, v15
	v_cmp_eq_u32_e32 vcc_lo, 1, v14
	v_cmp_eq_u32_e64 s1, 1, v16
	s_or_b32 s1, vcc_lo, s1
	v_cndmask_b32_e64 v15, 0, 1, s1
	v_cndmask_b32_e64 v14, 0, 1, s1
	v_cndmask_b32_e64 v12, v12, v10, s2
	v_cndmask_b32_e64 v11, v11, v9, s2
.LBB1399_33:
	;; [unrolled: 20-line block ×3, first 2 shown]
	s_or_b32 exec_lo, exec_lo, s3
	ds_swizzle_b32 v9, v11 offset:swizzle(BROADCAST,32,15)
	ds_swizzle_b32 v10, v12 offset:swizzle(BROADCAST,32,15)
	;; [unrolled: 1-line block ×3, first 2 shown]
	v_and_b32_e32 v14, 16, v22
	s_mov_b32 s3, exec_lo
	v_cmpx_ne_u32_e32 0, v14
	s_cbranch_execz .LBB1399_37
; %bb.36:
	s_waitcnt lgkmcnt(1)
	v_add_f64 v[9:10], v[11:12], v[9:10]
	v_and_b32_e32 v14, 1, v15
	s_waitcnt lgkmcnt(0)
	v_and_b32_e32 v13, 1, v13
	v_cmp_eq_u16_e32 vcc_lo, 0, v15
	v_cmp_eq_u32_e64 s1, 1, v14
	v_cmp_eq_u32_e64 s2, 1, v13
	s_or_b32 s1, s1, s2
	v_cndmask_b32_e64 v15, 0, 1, s1
	v_cndmask_b32_e32 v12, v12, v10, vcc_lo
	v_cndmask_b32_e32 v11, v11, v9, vcc_lo
.LBB1399_37:
	s_or_b32 exec_lo, exec_lo, s3
	s_waitcnt lgkmcnt(1)
	v_lshrrev_b32_e32 v10, 5, v0
	v_or_b32_e32 v9, 31, v0
	s_mov_b32 s1, exec_lo
	v_lshlrev_b32_e32 v16, 4, v10
	v_cmpx_eq_u32_e64 v0, v9
	s_cbranch_execz .LBB1399_39
; %bb.38:
	ds_write_b64 v16, v[11:12]
	ds_write_b8 v16, v15 offset:8
.LBB1399_39:
	s_or_b32 exec_lo, exec_lo, s1
	s_mov_b32 s3, exec_lo
	s_waitcnt lgkmcnt(0)
	s_barrier
	buffer_gl0_inv
	v_cmpx_gt_u32_e32 8, v0
	s_cbranch_execz .LBB1399_47
; %bb.40:
	v_lshlrev_b32_e32 v17, 4, v0
	v_and_b32_e32 v18, 7, v22
	s_mov_b32 s1, exec_lo
	ds_read_b64 v[9:10], v17
	ds_read_b32 v20, v17 offset:8
	s_waitcnt lgkmcnt(1)
	v_mov_b32_dpp v13, v9 row_shr:1 row_mask:0xf bank_mask:0xf
	v_mov_b32_dpp v14, v10 row_shr:1 row_mask:0xf bank_mask:0xf
	s_waitcnt lgkmcnt(0)
	v_and_b32_e32 v27, 0xffffff00, v20
	v_mov_b32_dpp v29, v20 row_shr:1 row_mask:0xf bank_mask:0xf
	v_mov_b32_e32 v28, v20
	v_mov_b32_e32 v19, v20
	v_cmpx_ne_u32_e32 0, v18
	s_cbranch_execz .LBB1399_42
; %bb.41:
	v_add_f64 v[13:14], v[9:10], v[13:14]
	v_mov_b32_e32 v19, 0
	v_or_b32_e32 v28, v29, v20
	v_cmp_eq_u16_sdwa vcc_lo, v20, v19 src0_sel:BYTE_0 src1_sel:DWORD
	v_and_b32_e32 v19, 1, v28
	v_and_b32_e32 v28, 1, v28
	v_or_b32_e32 v20, v19, v27
	v_cndmask_b32_e32 v10, v10, v14, vcc_lo
	v_cndmask_b32_e32 v9, v9, v13, vcc_lo
.LBB1399_42:
	s_or_b32 exec_lo, exec_lo, s1
	v_mov_b32_dpp v13, v9 row_shr:2 row_mask:0xf bank_mask:0xf
	v_mov_b32_dpp v14, v10 row_shr:2 row_mask:0xf bank_mask:0xf
	;; [unrolled: 1-line block ×3, first 2 shown]
	s_mov_b32 s2, exec_lo
	v_cmpx_lt_u32_e32 1, v18
	s_cbranch_execz .LBB1399_44
; %bb.43:
	v_add_f64 v[13:14], v[9:10], v[13:14]
	v_and_b32_e32 v20, 1, v19
	v_and_b32_e32 v28, 1, v29
	v_cmp_eq_u32_e32 vcc_lo, 1, v20
	v_cmp_eq_u32_e64 s1, 1, v28
	v_mov_b32_e32 v20, 0
	s_or_b32 s1, vcc_lo, s1
	v_cmp_eq_u16_sdwa vcc_lo, v19, v20 src0_sel:BYTE_0 src1_sel:DWORD
	v_cndmask_b32_e64 v28, 0, 1, s1
	v_cndmask_b32_e64 v29, 0, 1, s1
	v_mov_b32_e32 v19, v28
	v_or_b32_e32 v20, v27, v29
	v_cndmask_b32_e32 v10, v10, v14, vcc_lo
	v_cndmask_b32_e32 v9, v9, v13, vcc_lo
.LBB1399_44:
	s_or_b32 exec_lo, exec_lo, s2
	v_mov_b32_dpp v13, v9 row_shr:4 row_mask:0xf bank_mask:0xf
	v_mov_b32_dpp v14, v10 row_shr:4 row_mask:0xf bank_mask:0xf
	;; [unrolled: 1-line block ×3, first 2 shown]
	s_mov_b32 s10, exec_lo
	v_cmpx_lt_u32_e32 3, v18
	s_cbranch_execz .LBB1399_46
; %bb.45:
	v_add_f64 v[13:14], v[9:10], v[13:14]
	v_and_b32_e32 v27, 1, v19
	v_and_b32_e32 v20, 1, v20
	v_mov_b32_e32 v18, 0
	v_cmp_eq_u32_e64 s1, 1, v27
	v_cmp_eq_u32_e64 s2, 1, v20
	v_cmp_eq_u16_sdwa vcc_lo, v19, v18 src0_sel:BYTE_0 src1_sel:DWORD
	s_or_b32 s1, s1, s2
	v_cndmask_b32_e64 v28, 0, 1, s1
	v_cndmask_b32_e32 v10, v10, v14, vcc_lo
	v_cndmask_b32_e32 v9, v9, v13, vcc_lo
.LBB1399_46:
	s_or_b32 exec_lo, exec_lo, s10
	ds_write_b64 v17, v[9:10]
	ds_write_b8 v17, v28 offset:8
.LBB1399_47:
	s_or_b32 exec_lo, exec_lo, s3
	v_mov_b32_e32 v9, 0
	v_mov_b32_e32 v10, 0
	;; [unrolled: 1-line block ×3, first 2 shown]
	s_mov_b32 s2, exec_lo
	v_cmp_gt_u32_e32 vcc_lo, 32, v0
	s_waitcnt lgkmcnt(0)
	s_barrier
	buffer_gl0_inv
	v_cmpx_lt_u32_e32 31, v0
	s_cbranch_execz .LBB1399_49
; %bb.48:
	v_add_nc_u32_e32 v9, -16, v16
	v_add_nc_u32_e32 v13, -8, v16
	v_cmp_eq_u16_e64 s1, 0, v15
	ds_read_b64 v[9:10], v9
	ds_read_u8 v27, v13
	s_waitcnt lgkmcnt(1)
	v_add_f64 v[13:14], v[11:12], v[9:10]
	s_waitcnt lgkmcnt(0)
	v_or_b32_e32 v15, v27, v15
	v_cndmask_b32_e64 v12, v12, v14, s1
	v_cndmask_b32_e64 v11, v11, v13, s1
.LBB1399_49:
	s_or_b32 exec_lo, exec_lo, s2
	v_sub_co_u32 v13, s1, v22, 1
	v_and_b32_e32 v14, 0xff, v15
	v_cmp_gt_i32_e64 s2, 0, v13
	v_cndmask_b32_e64 v13, v13, v22, s2
	v_lshlrev_b32_e32 v13, 2, v13
	ds_bpermute_b32 v29, v13, v11
	ds_bpermute_b32 v30, v13, v12
	;; [unrolled: 1-line block ×3, first 2 shown]
	s_and_saveexec_b32 s10, vcc_lo
	s_cbranch_execz .LBB1399_89
; %bb.50:
	v_mov_b32_e32 v15, 0
	ds_read_b64 v[11:12], v15 offset:112
	ds_read_u8 v31, v15 offset:120
	s_and_saveexec_b32 s2, s1
	s_cbranch_execz .LBB1399_52
; %bb.51:
	s_add_i32 s24, s6, 32
	s_mov_b32 s25, 0
	v_mov_b32_e32 v13, 1
	s_lshl_b64 s[34:35], s[24:25], 4
	v_mov_b32_e32 v14, s24
	s_add_u32 s34, s16, s34
	s_addc_u32 s35, s17, s35
	s_waitcnt lgkmcnt(1)
	global_store_dwordx2 v15, v[11:12], s[34:35]
	s_waitcnt lgkmcnt(0)
	global_store_byte v15, v31, s[34:35] offset:8
	s_waitcnt_vscnt null, 0x0
	buffer_gl1_inv
	buffer_gl0_inv
	global_store_byte v14, v13, s[20:21]
.LBB1399_52:
	s_or_b32 exec_lo, exec_lo, s2
	v_xad_u32 v13, v22, -1, s6
	s_mov_b32 s3, 0
	s_mov_b32 s2, exec_lo
	v_add_nc_u32_e32 v14, 32, v13
	global_load_ubyte v32, v14, s[20:21] glc dlc
	s_waitcnt vmcnt(0)
	v_cmpx_eq_u16_e32 0, v32
	s_cbranch_execz .LBB1399_56
; %bb.53:
	v_add_co_u32 v16, s11, s20, v14
	v_add_co_ci_u32_e64 v17, null, s21, 0, s11
.LBB1399_54:                            ; =>This Inner Loop Header: Depth=1
	global_load_ubyte v32, v[16:17], off glc dlc
	s_waitcnt vmcnt(0)
	v_cmp_ne_u16_e32 vcc_lo, 0, v32
	s_or_b32 s3, vcc_lo, s3
	s_andn2_b32 exec_lo, exec_lo, s3
	s_cbranch_execnz .LBB1399_54
; %bb.55:
	s_or_b32 exec_lo, exec_lo, s3
.LBB1399_56:
	s_or_b32 exec_lo, exec_lo, s2
	v_cmp_eq_u16_e32 vcc_lo, 1, v32
	v_mov_b32_e32 v17, s16
	v_mov_b32_e32 v16, s17
	v_lshlrev_b64 v[14:15], 4, v[14:15]
	s_waitcnt lgkmcnt(0)
	s_waitcnt_vscnt null, 0x0
	buffer_gl1_inv
	buffer_gl0_inv
	v_lshlrev_b32_e64 v34, v22, -1
	v_cndmask_b32_e32 v17, s18, v17, vcc_lo
	v_cndmask_b32_e32 v16, s19, v16, vcc_lo
	s_mov_b32 s2, exec_lo
	v_add_co_u32 v14, vcc_lo, v17, v14
	v_add_co_ci_u32_e64 v15, null, v16, v15, vcc_lo
	v_cmp_ne_u32_e32 vcc_lo, 31, v22
	s_clause 0x1
	global_load_ubyte v19, v[14:15], off offset:8
	global_load_dwordx2 v[17:18], v[14:15], off
	v_add_co_ci_u32_e64 v14, null, 0, v22, vcc_lo
	v_cmp_eq_u16_e32 vcc_lo, 2, v32
	v_lshlrev_b32_e32 v33, 2, v14
	v_and_or_b32 v16, vcc_lo, v34, 0x80000000
	v_ffbl_b32_e32 v16, v16
	s_waitcnt vmcnt(1)
	v_and_b32_e32 v20, 1, v19
	s_waitcnt vmcnt(0)
	ds_bpermute_b32 v14, v33, v17
	ds_bpermute_b32 v15, v33, v18
	;; [unrolled: 1-line block ×3, first 2 shown]
	v_cmpx_lt_u32_e64 v22, v16
	s_cbranch_execz .LBB1399_58
; %bb.57:
	s_waitcnt lgkmcnt(1)
	v_add_f64 v[14:15], v[17:18], v[14:15]
	v_mov_b32_e32 v20, 0
	s_waitcnt lgkmcnt(0)
	v_and_b32_e32 v35, 1, v35
	v_cmp_eq_u16_sdwa vcc_lo, v19, v20 src0_sel:BYTE_0 src1_sel:DWORD
	v_or_b32_e32 v19, v35, v19
	v_and_b32_e32 v20, 0xff, v19
	v_cndmask_b32_e32 v18, v18, v15, vcc_lo
	v_cndmask_b32_e32 v17, v17, v14, vcc_lo
.LBB1399_58:
	s_or_b32 exec_lo, exec_lo, s2
	v_cmp_gt_u32_e32 vcc_lo, 30, v22
	v_add_nc_u32_e32 v36, 2, v22
	s_mov_b32 s11, exec_lo
	s_waitcnt lgkmcnt(2)
	v_cndmask_b32_e64 v14, 0, 2, vcc_lo
	s_waitcnt lgkmcnt(0)
	v_add_lshl_u32 v35, v14, v22, 2
	ds_bpermute_b32 v14, v35, v17
	ds_bpermute_b32 v15, v35, v18
	ds_bpermute_b32 v37, v35, v20
	v_cmpx_le_u32_e64 v36, v16
	s_cbranch_execz .LBB1399_60
; %bb.59:
	s_waitcnt lgkmcnt(1)
	v_add_f64 v[14:15], v[17:18], v[14:15]
	v_and_b32_e32 v20, 1, v19
	s_waitcnt lgkmcnt(0)
	v_and_b32_e32 v37, 1, v37
	v_mov_b32_e32 v38, 0
	v_cmp_eq_u32_e32 vcc_lo, 1, v20
	v_cmp_eq_u32_e64 s2, 1, v37
	v_cmp_eq_u16_sdwa s3, v19, v38 src0_sel:BYTE_0 src1_sel:DWORD
	s_or_b32 s2, vcc_lo, s2
	v_cndmask_b32_e64 v19, 0, 1, s2
	v_cndmask_b32_e64 v20, 0, 1, s2
	v_cndmask_b32_e64 v18, v18, v15, s3
	v_cndmask_b32_e64 v17, v17, v14, s3
.LBB1399_60:
	s_or_b32 exec_lo, exec_lo, s11
	v_cmp_gt_u32_e32 vcc_lo, 28, v22
	v_add_nc_u32_e32 v38, 4, v22
	s_mov_b32 s11, exec_lo
	s_waitcnt lgkmcnt(2)
	v_cndmask_b32_e64 v14, 0, 4, vcc_lo
	s_waitcnt lgkmcnt(0)
	v_add_lshl_u32 v37, v14, v22, 2
	ds_bpermute_b32 v14, v37, v17
	ds_bpermute_b32 v15, v37, v18
	ds_bpermute_b32 v39, v37, v20
	v_cmpx_le_u32_e64 v38, v16
	s_cbranch_execz .LBB1399_62
; %bb.61:
	s_waitcnt lgkmcnt(1)
	v_add_f64 v[14:15], v[17:18], v[14:15]
	v_and_b32_e32 v20, 1, v19
	s_waitcnt lgkmcnt(0)
	v_and_b32_e32 v39, 1, v39
	v_mov_b32_e32 v40, 0
	v_cmp_eq_u32_e32 vcc_lo, 1, v20
	v_cmp_eq_u32_e64 s2, 1, v39
	v_cmp_eq_u16_sdwa s3, v19, v40 src0_sel:BYTE_0 src1_sel:DWORD
	s_or_b32 s2, vcc_lo, s2
	v_cndmask_b32_e64 v19, 0, 1, s2
	v_cndmask_b32_e64 v20, 0, 1, s2
	v_cndmask_b32_e64 v18, v18, v15, s3
	v_cndmask_b32_e64 v17, v17, v14, s3
.LBB1399_62:
	;; [unrolled: 29-line block ×3, first 2 shown]
	s_or_b32 exec_lo, exec_lo, s11
	v_lshl_or_b32 v42, v22, 2, 64
	v_add_nc_u32_e32 v43, 16, v22
	s_mov_b32 s11, exec_lo
	s_waitcnt lgkmcnt(2)
	ds_bpermute_b32 v14, v42, v17
	s_waitcnt lgkmcnt(2)
	ds_bpermute_b32 v15, v42, v18
	ds_bpermute_b32 v20, v42, v20
	v_cmpx_le_u32_e64 v43, v16
	s_cbranch_execz .LBB1399_66
; %bb.65:
	s_waitcnt lgkmcnt(1)
	v_add_f64 v[14:15], v[17:18], v[14:15]
	v_and_b32_e32 v41, 1, v19
	s_waitcnt lgkmcnt(0)
	v_and_b32_e32 v20, 1, v20
	v_mov_b32_e32 v16, 0
	v_cmp_eq_u32_e64 s2, 1, v41
	v_cmp_eq_u32_e64 s3, 1, v20
	v_cmp_eq_u16_sdwa vcc_lo, v19, v16 src0_sel:BYTE_0 src1_sel:DWORD
	s_or_b32 s2, s2, s3
	v_cndmask_b32_e64 v19, 0, 1, s2
	v_cndmask_b32_e32 v18, v18, v15, vcc_lo
	v_cndmask_b32_e32 v17, v17, v14, vcc_lo
.LBB1399_66:
	s_or_b32 exec_lo, exec_lo, s11
	s_waitcnt lgkmcnt(2)
	v_mov_b32_e32 v14, 0
	v_mov_b32_e32 v44, 2
	s_branch .LBB1399_69
.LBB1399_67:                            ;   in Loop: Header=BB1399_69 Depth=1
	s_or_b32 exec_lo, exec_lo, s13
	v_add_f64 v[17:18], v[15:16], v[17:18]
	s_waitcnt lgkmcnt(2)
	v_and_b32_e32 v19, 1, v41
	v_cmp_eq_u16_sdwa vcc_lo, v41, v14 src0_sel:BYTE_0 src1_sel:DWORD
	v_subrev_nc_u32_e32 v13, 32, v13
	v_cmp_eq_u32_e64 s2, 1, v19
	s_or_b32 s2, s2, s11
	v_cndmask_b32_e64 v19, 0, 1, s2
	s_mov_b32 s2, 0
	v_cndmask_b32_e32 v18, v16, v18, vcc_lo
	v_cndmask_b32_e32 v17, v15, v17, vcc_lo
.LBB1399_68:                            ;   in Loop: Header=BB1399_69 Depth=1
	s_and_b32 vcc_lo, exec_lo, s2
	s_cbranch_vccnz .LBB1399_85
.LBB1399_69:                            ; =>This Loop Header: Depth=1
                                        ;     Child Loop BB1399_72 Depth 2
	v_cmp_ne_u16_sdwa s2, v32, v44 src0_sel:BYTE_0 src1_sel:DWORD
	s_waitcnt lgkmcnt(1)
	v_mov_b32_e32 v15, v17
	v_mov_b32_e32 v41, v19
	v_mov_b32_e32 v16, v18
                                        ; implicit-def: $vgpr19
                                        ; implicit-def: $vgpr17_vgpr18
                                        ; implicit-def: $vgpr32
	s_cmp_lg_u32 s2, exec_lo
	s_mov_b32 s2, -1
	s_cbranch_scc1 .LBB1399_68
; %bb.70:                               ;   in Loop: Header=BB1399_69 Depth=1
	global_load_ubyte v32, v13, s[20:21] glc dlc
	s_mov_b32 s2, exec_lo
	s_waitcnt vmcnt(0)
	v_cmpx_eq_u16_e32 0, v32
	s_cbranch_execz .LBB1399_74
; %bb.71:                               ;   in Loop: Header=BB1399_69 Depth=1
	v_add_co_u32 v17, s3, s20, v13
	v_add_co_ci_u32_e64 v18, null, s21, 0, s3
	s_mov_b32 s3, 0
.LBB1399_72:                            ;   Parent Loop BB1399_69 Depth=1
                                        ; =>  This Inner Loop Header: Depth=2
	global_load_ubyte v32, v[17:18], off glc dlc
	s_waitcnt vmcnt(0)
	v_cmp_ne_u16_e32 vcc_lo, 0, v32
	s_or_b32 s3, vcc_lo, s3
	s_andn2_b32 exec_lo, exec_lo, s3
	s_cbranch_execnz .LBB1399_72
; %bb.73:                               ;   in Loop: Header=BB1399_69 Depth=1
	s_or_b32 exec_lo, exec_lo, s3
.LBB1399_74:                            ;   in Loop: Header=BB1399_69 Depth=1
	s_or_b32 exec_lo, exec_lo, s2
	v_cmp_eq_u16_e32 vcc_lo, 1, v32
	s_waitcnt lgkmcnt(0)
	v_mov_b32_e32 v20, s16
	v_mov_b32_e32 v19, s17
	v_lshlrev_b64 v[17:18], 4, v[13:14]
	buffer_gl1_inv
	buffer_gl0_inv
	s_mov_b32 s2, exec_lo
	v_cndmask_b32_e32 v20, s18, v20, vcc_lo
	v_cndmask_b32_e32 v19, s19, v19, vcc_lo
	v_add_co_u32 v17, vcc_lo, v20, v17
	v_add_co_ci_u32_e64 v18, null, v19, v18, vcc_lo
	v_cmp_eq_u16_e32 vcc_lo, 2, v32
	s_clause 0x1
	global_load_ubyte v45, v[17:18], off offset:8
	global_load_dwordx2 v[17:18], v[17:18], off
	v_and_or_b32 v46, vcc_lo, v34, 0x80000000
	v_ffbl_b32_e32 v46, v46
	s_waitcnt vmcnt(1)
	v_and_b32_e32 v47, 1, v45
	s_waitcnt vmcnt(0)
	ds_bpermute_b32 v19, v33, v17
	ds_bpermute_b32 v20, v33, v18
	;; [unrolled: 1-line block ×3, first 2 shown]
	v_cmpx_lt_u32_e64 v22, v46
	s_cbranch_execz .LBB1399_76
; %bb.75:                               ;   in Loop: Header=BB1399_69 Depth=1
	s_waitcnt lgkmcnt(1)
	v_add_f64 v[19:20], v[17:18], v[19:20]
	s_waitcnt lgkmcnt(0)
	v_and_b32_e32 v47, 1, v48
	v_cmp_eq_u16_sdwa vcc_lo, v45, v14 src0_sel:BYTE_0 src1_sel:DWORD
	v_or_b32_e32 v45, v47, v45
	v_and_b32_e32 v47, 0xff, v45
	v_cndmask_b32_e32 v18, v18, v20, vcc_lo
	v_cndmask_b32_e32 v17, v17, v19, vcc_lo
.LBB1399_76:                            ;   in Loop: Header=BB1399_69 Depth=1
	s_or_b32 exec_lo, exec_lo, s2
	s_waitcnt lgkmcnt(2)
	ds_bpermute_b32 v19, v35, v17
	s_waitcnt lgkmcnt(2)
	ds_bpermute_b32 v20, v35, v18
	;; [unrolled: 2-line block ×3, first 2 shown]
	v_and_b32_e32 v49, 1, v45
	s_mov_b32 s3, exec_lo
	v_cmp_eq_u32_e64 s11, 1, v49
	v_cmpx_le_u32_e64 v36, v46
	s_cbranch_execz .LBB1399_78
; %bb.77:                               ;   in Loop: Header=BB1399_69 Depth=1
	s_waitcnt lgkmcnt(1)
	v_add_f64 v[19:20], v[17:18], v[19:20]
	s_waitcnt lgkmcnt(0)
	v_and_b32_e32 v47, 1, v48
	v_cmp_eq_u16_sdwa s2, v45, v14 src0_sel:BYTE_0 src1_sel:DWORD
	v_cmp_eq_u32_e32 vcc_lo, 1, v47
	s_or_b32 s13, s11, vcc_lo
	v_cndmask_b32_e64 v45, 0, 1, s13
	v_cndmask_b32_e64 v47, 0, 1, s13
	;; [unrolled: 1-line block ×4, first 2 shown]
	s_andn2_b32 s2, s11, exec_lo
	s_and_b32 s11, s13, exec_lo
	s_or_b32 s11, s2, s11
.LBB1399_78:                            ;   in Loop: Header=BB1399_69 Depth=1
	s_or_b32 exec_lo, exec_lo, s3
	s_waitcnt lgkmcnt(2)
	ds_bpermute_b32 v19, v37, v17
	s_waitcnt lgkmcnt(2)
	ds_bpermute_b32 v20, v37, v18
	;; [unrolled: 2-line block ×3, first 2 shown]
	s_mov_b32 s13, exec_lo
	v_cmpx_le_u32_e64 v38, v46
	s_cbranch_execz .LBB1399_80
; %bb.79:                               ;   in Loop: Header=BB1399_69 Depth=1
	s_waitcnt lgkmcnt(1)
	v_add_f64 v[19:20], v[17:18], v[19:20]
	v_and_b32_e32 v47, 1, v45
	s_waitcnt lgkmcnt(0)
	v_and_b32_e32 v48, 1, v48
	v_cmp_eq_u16_sdwa s3, v45, v14 src0_sel:BYTE_0 src1_sel:DWORD
	v_cmp_eq_u32_e32 vcc_lo, 1, v47
	v_cmp_eq_u32_e64 s2, 1, v48
	s_or_b32 s2, vcc_lo, s2
	v_cndmask_b32_e64 v45, 0, 1, s2
	v_cndmask_b32_e64 v47, 0, 1, s2
	s_and_b32 s2, s2, exec_lo
	v_cndmask_b32_e64 v18, v18, v20, s3
	v_cndmask_b32_e64 v17, v17, v19, s3
	s_andn2_b32 s3, s11, exec_lo
	s_or_b32 s11, s3, s2
.LBB1399_80:                            ;   in Loop: Header=BB1399_69 Depth=1
	s_or_b32 exec_lo, exec_lo, s13
	s_waitcnt lgkmcnt(2)
	ds_bpermute_b32 v19, v39, v17
	s_waitcnt lgkmcnt(2)
	ds_bpermute_b32 v20, v39, v18
	;; [unrolled: 2-line block ×3, first 2 shown]
	s_mov_b32 s13, exec_lo
	v_cmpx_le_u32_e64 v40, v46
	s_cbranch_execz .LBB1399_82
; %bb.81:                               ;   in Loop: Header=BB1399_69 Depth=1
	s_waitcnt lgkmcnt(1)
	v_add_f64 v[19:20], v[17:18], v[19:20]
	v_and_b32_e32 v47, 1, v45
	s_waitcnt lgkmcnt(0)
	v_and_b32_e32 v48, 1, v48
	v_cmp_eq_u16_sdwa s3, v45, v14 src0_sel:BYTE_0 src1_sel:DWORD
	v_cmp_eq_u32_e32 vcc_lo, 1, v47
	v_cmp_eq_u32_e64 s2, 1, v48
	s_or_b32 s2, vcc_lo, s2
	v_cndmask_b32_e64 v45, 0, 1, s2
	v_cndmask_b32_e64 v47, 0, 1, s2
	s_and_b32 s2, s2, exec_lo
	v_cndmask_b32_e64 v18, v18, v20, s3
	v_cndmask_b32_e64 v17, v17, v19, s3
	s_andn2_b32 s3, s11, exec_lo
	s_or_b32 s11, s3, s2
.LBB1399_82:                            ;   in Loop: Header=BB1399_69 Depth=1
	s_or_b32 exec_lo, exec_lo, s13
	s_waitcnt lgkmcnt(2)
	ds_bpermute_b32 v19, v42, v17
	s_waitcnt lgkmcnt(2)
	ds_bpermute_b32 v20, v42, v18
	ds_bpermute_b32 v47, v42, v47
	s_mov_b32 s13, exec_lo
	v_cmpx_le_u32_e64 v43, v46
	s_cbranch_execz .LBB1399_67
; %bb.83:                               ;   in Loop: Header=BB1399_69 Depth=1
	s_waitcnt lgkmcnt(1)
	v_add_f64 v[19:20], v[17:18], v[19:20]
	v_and_b32_e32 v46, 1, v45
	s_waitcnt lgkmcnt(0)
	v_and_b32_e32 v47, 1, v47
	v_cmp_eq_u16_sdwa s3, v45, v14 src0_sel:BYTE_0 src1_sel:DWORD
	v_cmp_eq_u32_e32 vcc_lo, 1, v46
	v_cmp_eq_u32_e64 s2, 1, v47
	s_or_b32 s2, vcc_lo, s2
	s_and_b32 s2, s2, exec_lo
	v_cndmask_b32_e64 v18, v18, v20, s3
	v_cndmask_b32_e64 v17, v17, v19, s3
	s_andn2_b32 s3, s11, exec_lo
	s_or_b32 s11, s3, s2
	s_branch .LBB1399_67
.LBB1399_84:
                                        ; implicit-def: $vgpr11_vgpr12
                                        ; implicit-def: $vgpr15_vgpr16
                                        ; implicit-def: $vgpr13_vgpr14
	s_cbranch_execnz .LBB1399_90
	s_branch .LBB1399_117
.LBB1399_85:
	s_and_saveexec_b32 s2, s1
	s_cbranch_execz .LBB1399_87
; %bb.86:
	v_add_f64 v[13:14], v[11:12], v[15:16]
	v_mov_b32_e32 v17, 0
	v_or_b32_e32 v18, v31, v41
	s_mov_b32 s17, 0
	s_add_i32 s16, s6, 32
	v_mov_b32_e32 v19, 2
	v_cmp_eq_u32_sdwa vcc_lo, v31, v17 src0_sel:BYTE_0 src1_sel:DWORD
	s_lshl_b64 s[24:25], s[16:17], 4
	s_waitcnt lgkmcnt(0)
	v_mov_b32_e32 v20, s16
	v_and_b32_e32 v18, 1, v18
	s_add_u32 s16, s18, s24
	s_addc_u32 s17, s19, s25
	v_cndmask_b32_e32 v12, v12, v14, vcc_lo
	v_cndmask_b32_e32 v11, v11, v13, vcc_lo
	global_store_byte v17, v18, s[16:17] offset:8
	global_store_dwordx2 v17, v[11:12], s[16:17]
	s_waitcnt_vscnt null, 0x0
	buffer_gl1_inv
	buffer_gl0_inv
	global_store_byte v20, v19, s[20:21]
.LBB1399_87:
	s_or_b32 exec_lo, exec_lo, s2
	v_cmp_eq_u32_e32 vcc_lo, 0, v0
	s_and_b32 exec_lo, exec_lo, vcc_lo
	s_cbranch_execz .LBB1399_89
; %bb.88:
	v_mov_b32_e32 v11, 0
	ds_write_b64 v11, v[15:16] offset:112
	ds_write_b8 v11, v41 offset:120
.LBB1399_89:
	s_or_b32 exec_lo, exec_lo, s10
	v_mov_b32_e32 v15, 0
	s_waitcnt lgkmcnt(0)
	s_waitcnt_vscnt null, 0x0
	s_barrier
	buffer_gl0_inv
	v_cndmask_b32_e64 v10, v30, v10, s1
	ds_read_b64 v[11:12], v15 offset:112
	v_cndmask_b32_e64 v9, v29, v9, s1
	v_cndmask_b32_e64 v16, v28, v27, s1
	v_cmp_eq_u16_sdwa vcc_lo, v16, v15 src0_sel:BYTE_0 src1_sel:DWORD
	s_waitcnt lgkmcnt(0)
	v_add_f64 v[13:14], v[9:10], v[11:12]
	v_cndmask_b32_e32 v9, v9, v13, vcc_lo
	v_cndmask_b32_e32 v10, v10, v14, vcc_lo
	v_cmp_eq_u32_e32 vcc_lo, 0, v0
	v_cndmask_b32_e32 v12, v10, v12, vcc_lo
	v_cndmask_b32_e32 v11, v9, v11, vcc_lo
	v_cmp_eq_u16_sdwa vcc_lo, v21, v15 src0_sel:BYTE_0 src1_sel:DWORD
	v_add_f64 v[9:10], v[5:6], v[11:12]
	v_cndmask_b32_e32 v14, v6, v10, vcc_lo
	v_cndmask_b32_e32 v13, v5, v9, vcc_lo
	v_add_f64 v[9:10], v[1:2], v[13:14]
	v_cndmask_b32_e64 v16, v2, v10, s0
	v_cndmask_b32_e64 v15, v1, v9, s0
	s_branch .LBB1399_117
.LBB1399_90:
	s_cmp_eq_u64 s[28:29], 0
	v_mov_b32_e32 v9, s30
	s_cselect_b32 s0, -1, 0
	s_cmp_eq_u64 s[26:27], 0
	v_mov_b32_e32 v10, s31
	s_cselect_b32 s1, -1, 0
	s_or_b32 s0, s0, s1
	s_and_b32 vcc_lo, exec_lo, s0
	s_cbranch_vccnz .LBB1399_92
; %bb.91:
	v_mov_b32_e32 v9, 0
	global_load_dwordx2 v[9:10], v9, s[26:27]
.LBB1399_92:
	v_mov_b32_e32 v11, 0
	v_cmp_eq_u32_e64 s0, 1, v26
	v_cmp_eq_u16_e64 s1, 0, v24
	v_cmp_eq_u16_sdwa vcc_lo, v23, v11 src0_sel:BYTE_0 src1_sel:DWORD
	v_cmp_ne_u16_sdwa s2, v25, v11 src0_sel:BYTE_0 src1_sel:DWORD
	v_and_b32_e32 v11, 15, v22
	v_cndmask_b32_e32 v4, v2, v4, vcc_lo
	v_cndmask_b32_e32 v3, v1, v3, vcc_lo
	s_or_b32 s0, s2, s0
	s_mov_b32 s2, exec_lo
	v_cndmask_b32_e64 v12, 0, 1, s0
	v_cndmask_b32_e64 v13, 0, 1, s0
	v_add_f64 v[3:4], v[7:8], v[3:4]
	v_mov_b32_dpp v14, v12 row_shr:1 row_mask:0xf bank_mask:0xf
	v_cndmask_b32_e64 v4, v8, v4, s1
	v_cndmask_b32_e64 v3, v7, v3, s1
	v_mov_b32_dpp v8, v4 row_shr:1 row_mask:0xf bank_mask:0xf
	v_mov_b32_dpp v7, v3 row_shr:1 row_mask:0xf bank_mask:0xf
	v_cmpx_ne_u32_e32 0, v11
	s_cbranch_execz .LBB1399_94
; %bb.93:
	v_add_f64 v[7:8], v[3:4], v[7:8]
	v_and_b32_e32 v12, 1, v14
	v_or_b32_e32 v13, v12, v13
	v_and_b32_e32 v12, 0xffff, v13
	v_cndmask_b32_e64 v4, v8, v4, s0
	v_cndmask_b32_e64 v3, v7, v3, s0
.LBB1399_94:
	s_or_b32 exec_lo, exec_lo, s2
	v_mov_b32_dpp v7, v3 row_shr:2 row_mask:0xf bank_mask:0xf
	v_mov_b32_dpp v8, v4 row_shr:2 row_mask:0xf bank_mask:0xf
	v_mov_b32_dpp v14, v12 row_shr:2 row_mask:0xf bank_mask:0xf
	s_mov_b32 s3, exec_lo
	v_cmpx_lt_u32_e32 1, v11
	s_cbranch_execz .LBB1399_96
; %bb.95:
	v_add_f64 v[7:8], v[3:4], v[7:8]
	v_and_b32_e32 v12, 1, v13
	v_and_b32_e32 v14, 1, v14
	v_cmp_eq_u16_e64 s2, 0, v13
	v_cmp_eq_u32_e64 s0, 1, v12
	v_cmp_eq_u32_e64 s1, 1, v14
	s_or_b32 s0, s0, s1
	v_cndmask_b32_e64 v13, 0, 1, s0
	v_cndmask_b32_e64 v12, 0, 1, s0
	v_cndmask_b32_e64 v4, v4, v8, s2
	v_cndmask_b32_e64 v3, v3, v7, s2
.LBB1399_96:
	s_or_b32 exec_lo, exec_lo, s3
	v_mov_b32_dpp v7, v3 row_shr:4 row_mask:0xf bank_mask:0xf
	v_mov_b32_dpp v8, v4 row_shr:4 row_mask:0xf bank_mask:0xf
	v_mov_b32_dpp v14, v12 row_shr:4 row_mask:0xf bank_mask:0xf
	s_mov_b32 s3, exec_lo
	v_cmpx_lt_u32_e32 3, v11
	s_cbranch_execz .LBB1399_98
; %bb.97:
	v_add_f64 v[7:8], v[3:4], v[7:8]
	v_and_b32_e32 v12, 1, v13
	v_and_b32_e32 v14, 1, v14
	v_cmp_eq_u16_e64 s2, 0, v13
	v_cmp_eq_u32_e64 s0, 1, v12
	v_cmp_eq_u32_e64 s1, 1, v14
	s_or_b32 s0, s0, s1
	v_cndmask_b32_e64 v13, 0, 1, s0
	v_cndmask_b32_e64 v12, 0, 1, s0
	v_cndmask_b32_e64 v4, v4, v8, s2
	v_cndmask_b32_e64 v3, v3, v7, s2
.LBB1399_98:
	s_or_b32 exec_lo, exec_lo, s3
	v_mov_b32_dpp v7, v3 row_shr:8 row_mask:0xf bank_mask:0xf
	v_mov_b32_dpp v8, v4 row_shr:8 row_mask:0xf bank_mask:0xf
	v_mov_b32_dpp v14, v12 row_shr:8 row_mask:0xf bank_mask:0xf
	s_mov_b32 s3, exec_lo
	v_cmpx_lt_u32_e32 7, v11
	s_cbranch_execz .LBB1399_100
; %bb.99:
	v_add_f64 v[7:8], v[3:4], v[7:8]
	v_and_b32_e32 v11, 1, v13
	v_and_b32_e32 v12, 1, v14
	v_cmp_eq_u16_e64 s2, 0, v13
	v_cmp_eq_u32_e64 s0, 1, v11
	v_cmp_eq_u32_e64 s1, 1, v12
	s_or_b32 s0, s0, s1
	v_cndmask_b32_e64 v13, 0, 1, s0
	v_cndmask_b32_e64 v12, 0, 1, s0
	v_cndmask_b32_e64 v4, v4, v8, s2
	v_cndmask_b32_e64 v3, v3, v7, s2
.LBB1399_100:
	s_or_b32 exec_lo, exec_lo, s3
	ds_swizzle_b32 v7, v3 offset:swizzle(BROADCAST,32,15)
	ds_swizzle_b32 v8, v4 offset:swizzle(BROADCAST,32,15)
	;; [unrolled: 1-line block ×3, first 2 shown]
	v_and_b32_e32 v12, 16, v22
	s_mov_b32 s3, exec_lo
	v_cmpx_ne_u32_e32 0, v12
	s_cbranch_execz .LBB1399_102
; %bb.101:
	s_waitcnt lgkmcnt(1)
	v_add_f64 v[7:8], v[3:4], v[7:8]
	v_and_b32_e32 v12, 1, v13
	s_waitcnt lgkmcnt(0)
	v_and_b32_e32 v11, 1, v11
	v_cmp_eq_u16_e64 s0, 0, v13
	v_cmp_eq_u32_e64 s1, 1, v12
	v_cmp_eq_u32_e64 s2, 1, v11
	v_cndmask_b32_e64 v4, v4, v8, s0
	v_cndmask_b32_e64 v3, v3, v7, s0
	s_or_b32 s0, s1, s2
	v_cndmask_b32_e64 v13, 0, 1, s0
.LBB1399_102:
	s_or_b32 exec_lo, exec_lo, s3
	s_waitcnt lgkmcnt(1)
	v_lshrrev_b32_e32 v8, 5, v0
	v_or_b32_e32 v7, 31, v0
	s_mov_b32 s1, exec_lo
	v_lshlrev_b32_e32 v14, 4, v8
	v_cmpx_eq_u32_e64 v0, v7
	s_cbranch_execz .LBB1399_104
; %bb.103:
	ds_write_b64 v14, v[3:4]
	ds_write_b8 v14, v13 offset:8
.LBB1399_104:
	s_or_b32 exec_lo, exec_lo, s1
	s_mov_b32 s3, exec_lo
	s_waitcnt vmcnt(0) lgkmcnt(0)
	s_barrier
	buffer_gl0_inv
	v_cmpx_gt_u32_e32 8, v0
	s_cbranch_execz .LBB1399_112
; %bb.105:
	v_lshlrev_b32_e32 v15, 4, v0
	v_and_b32_e32 v16, 7, v22
	s_mov_b32 s1, exec_lo
	ds_read_b64 v[7:8], v15
	ds_read_b32 v18, v15 offset:8
	s_waitcnt lgkmcnt(1)
	v_mov_b32_dpp v11, v7 row_shr:1 row_mask:0xf bank_mask:0xf
	v_mov_b32_dpp v12, v8 row_shr:1 row_mask:0xf bank_mask:0xf
	s_waitcnt lgkmcnt(0)
	v_and_b32_e32 v19, 0xffffff00, v18
	v_mov_b32_dpp v23, v18 row_shr:1 row_mask:0xf bank_mask:0xf
	v_mov_b32_e32 v20, v18
	v_mov_b32_e32 v17, v18
	v_cmpx_ne_u32_e32 0, v16
	s_cbranch_execz .LBB1399_107
; %bb.106:
	v_add_f64 v[11:12], v[7:8], v[11:12]
	v_mov_b32_e32 v17, 0
	v_or_b32_e32 v20, v23, v18
	v_cmp_eq_u16_sdwa s0, v18, v17 src0_sel:BYTE_0 src1_sel:DWORD
	v_and_b32_e32 v17, 1, v20
	v_and_b32_e32 v20, 1, v20
	v_or_b32_e32 v18, v17, v19
	v_cndmask_b32_e64 v8, v8, v12, s0
	v_cndmask_b32_e64 v7, v7, v11, s0
.LBB1399_107:
	s_or_b32 exec_lo, exec_lo, s1
	v_mov_b32_dpp v11, v7 row_shr:2 row_mask:0xf bank_mask:0xf
	v_mov_b32_dpp v12, v8 row_shr:2 row_mask:0xf bank_mask:0xf
	;; [unrolled: 1-line block ×3, first 2 shown]
	s_mov_b32 s2, exec_lo
	v_cmpx_lt_u32_e32 1, v16
	s_cbranch_execz .LBB1399_109
; %bb.108:
	v_add_f64 v[11:12], v[7:8], v[11:12]
	v_and_b32_e32 v18, 1, v17
	v_and_b32_e32 v20, 1, v23
	v_cmp_eq_u32_e64 s0, 1, v18
	v_cmp_eq_u32_e64 s1, 1, v20
	v_mov_b32_e32 v18, 0
	s_or_b32 s0, s0, s1
	v_cndmask_b32_e64 v20, 0, 1, s0
	v_cndmask_b32_e64 v23, 0, 1, s0
	v_cmp_eq_u16_sdwa s0, v17, v18 src0_sel:BYTE_0 src1_sel:DWORD
	v_mov_b32_e32 v17, v20
	v_or_b32_e32 v18, v19, v23
	v_cndmask_b32_e64 v8, v8, v12, s0
	v_cndmask_b32_e64 v7, v7, v11, s0
.LBB1399_109:
	s_or_b32 exec_lo, exec_lo, s2
	v_mov_b32_dpp v11, v7 row_shr:4 row_mask:0xf bank_mask:0xf
	v_mov_b32_dpp v12, v8 row_shr:4 row_mask:0xf bank_mask:0xf
	;; [unrolled: 1-line block ×3, first 2 shown]
	s_mov_b32 s6, exec_lo
	v_cmpx_lt_u32_e32 3, v16
	s_cbranch_execz .LBB1399_111
; %bb.110:
	v_add_f64 v[11:12], v[7:8], v[11:12]
	v_mov_b32_e32 v16, 0
	v_and_b32_e32 v19, 1, v17
	v_and_b32_e32 v18, 1, v18
	v_cmp_eq_u16_sdwa s0, v17, v16 src0_sel:BYTE_0 src1_sel:DWORD
	v_cmp_eq_u32_e64 s1, 1, v19
	v_cmp_eq_u32_e64 s2, 1, v18
	v_cndmask_b32_e64 v8, v8, v12, s0
	v_cndmask_b32_e64 v7, v7, v11, s0
	s_or_b32 s0, s1, s2
	v_cndmask_b32_e64 v20, 0, 1, s0
.LBB1399_111:
	s_or_b32 exec_lo, exec_lo, s6
	ds_write_b64 v15, v[7:8]
	ds_write_b8 v15, v20 offset:8
.LBB1399_112:
	s_or_b32 exec_lo, exec_lo, s3
	v_mov_b32_e32 v7, v9
	v_mov_b32_e32 v8, v10
	s_mov_b32 s1, exec_lo
	s_waitcnt lgkmcnt(0)
	s_barrier
	buffer_gl0_inv
	v_cmpx_lt_u32_e32 31, v0
	s_cbranch_execz .LBB1399_114
; %bb.113:
	v_add_nc_u32_e32 v7, -16, v14
	v_add_nc_u32_e32 v11, -8, v14
	ds_read_b64 v[7:8], v7
	ds_read_u8 v14, v11
	s_waitcnt lgkmcnt(1)
	v_add_f64 v[11:12], v[9:10], v[7:8]
	s_waitcnt lgkmcnt(0)
	v_cmp_eq_u16_e64 s0, 0, v14
	v_cndmask_b32_e64 v8, v8, v12, s0
	v_cndmask_b32_e64 v7, v7, v11, s0
.LBB1399_114:
	s_or_b32 exec_lo, exec_lo, s1
	v_add_f64 v[11:12], v[3:4], v[7:8]
	v_sub_co_u32 v14, s0, v22, 1
	v_cmp_gt_i32_e64 s1, 0, v14
	v_cndmask_b32_e64 v14, v14, v22, s1
	v_cmp_eq_u16_e64 s1, 0, v13
	v_lshlrev_b32_e32 v13, 2, v14
	v_cndmask_b32_e64 v4, v4, v12, s1
	v_cndmask_b32_e64 v3, v3, v11, s1
	ds_bpermute_b32 v4, v13, v4
	ds_bpermute_b32 v3, v13, v3
	s_waitcnt lgkmcnt(1)
	v_cndmask_b32_e64 v12, v4, v8, s0
	s_waitcnt lgkmcnt(0)
	v_cndmask_b32_e64 v11, v3, v7, s0
	v_cmp_eq_u32_e64 s0, 0, v0
	v_cndmask_b32_e64 v4, v12, v10, s0
	v_cndmask_b32_e64 v3, v11, v9, s0
	v_add_f64 v[7:8], v[5:6], v[3:4]
	v_mov_b32_e32 v3, 0
	v_cmp_eq_u16_sdwa s1, v21, v3 src0_sel:BYTE_0 src1_sel:DWORD
	v_cndmask_b32_e64 v14, v6, v8, s1
	v_cndmask_b32_e64 v13, v5, v7, s1
	v_add_f64 v[4:5], v[1:2], v[13:14]
	v_cndmask_b32_e32 v16, v2, v5, vcc_lo
	v_cndmask_b32_e32 v15, v1, v4, vcc_lo
	s_and_saveexec_b32 s1, s0
	s_cbranch_execz .LBB1399_116
; %bb.115:
	ds_read_b64 v[1:2], v3 offset:112
	ds_read_u8 v6, v3 offset:120
	v_mov_b32_e32 v12, v10
	v_mov_b32_e32 v11, v9
	s_waitcnt lgkmcnt(1)
	v_add_f64 v[4:5], v[9:10], v[1:2]
	s_waitcnt lgkmcnt(0)
	v_cmp_eq_u32_sdwa vcc_lo, v6, v3 src0_sel:WORD_0 src1_sel:DWORD
	v_cndmask_b32_e32 v1, v1, v4, vcc_lo
	v_mov_b32_e32 v4, 2
	v_cndmask_b32_e32 v2, v2, v5, vcc_lo
	global_store_byte v3, v6, s[18:19] offset:520
	global_store_dwordx2 v3, v[1:2], s[18:19] offset:512
	s_waitcnt_vscnt null, 0x0
	buffer_gl1_inv
	buffer_gl0_inv
	global_store_byte v3, v4, s[20:21] offset:32
.LBB1399_116:
	s_or_b32 exec_lo, exec_lo, s1
.LBB1399_117:
	s_add_u32 s0, s14, s4
	s_addc_u32 s1, s15, s5
	s_add_u32 s0, s0, s8
	s_addc_u32 s1, s1, s9
	s_and_b32 vcc_lo, exec_lo, s12
	s_cbranch_vccz .LBB1399_129
; %bb.118:
	v_mov_b32_e32 v5, 0
	v_mov_b32_e32 v6, 0
	;; [unrolled: 1-line block ×4, first 2 shown]
	v_mul_u32_u24_e32 v7, 3, v0
	s_add_i32 s7, s7, s22
	v_mov_b32_e32 v4, v6
	v_mov_b32_e32 v2, v6
	s_mov_b32 s2, exec_lo
	v_cmpx_gt_u32_e64 s7, v7
	s_cbranch_execz .LBB1399_124
; %bb.119:
	v_mov_b32_e32 v1, 0
	v_mov_b32_e32 v3, 0
	v_add_nc_u32_e32 v5, 1, v7
	v_mov_b32_e32 v2, 0
	v_mov_b32_e32 v4, 0
	s_mov_b32 s3, exec_lo
	v_cmpx_gt_u32_e64 s7, v5
	s_cbranch_execz .LBB1399_123
; %bb.120:
	v_mov_b32_e32 v1, 0
	v_add_nc_u32_e32 v3, 2, v7
	v_mov_b32_e32 v2, 0
	s_mov_b32 s4, exec_lo
	v_cmpx_gt_u32_e64 s7, v3
; %bb.121:
	v_mov_b32_e32 v1, v15
	v_mov_b32_e32 v2, v16
; %bb.122:
	s_or_b32 exec_lo, exec_lo, s4
	v_mov_b32_e32 v3, v13
	v_mov_b32_e32 v4, v14
.LBB1399_123:
	s_or_b32 exec_lo, exec_lo, s3
	v_mov_b32_e32 v5, v11
	v_mov_b32_e32 v6, v12
.LBB1399_124:
	s_or_b32 exec_lo, exec_lo, s2
	v_lshlrev_b32_e32 v7, 3, v7
	v_lshlrev_b32_e32 v8, 4, v0
	s_waitcnt_vscnt null, 0x0
	s_barrier
	buffer_gl0_inv
	ds_write2_b64 v7, v[5:6], v[3:4] offset1:1
	v_sub_nc_u32_e32 v3, v7, v8
	ds_write_b64 v7, v[1:2] offset:16
	s_waitcnt lgkmcnt(0)
	s_barrier
	buffer_gl0_inv
	ds_read2st64_b64 v[1:4], v3 offset0:4 offset1:8
	v_lshlrev_b32_e32 v5, 3, v0
	v_add_co_u32 v5, s2, s0, v5
	v_add_co_ci_u32_e64 v6, null, s1, 0, s2
	s_mov_b32 s2, exec_lo
	v_cmpx_gt_u32_e64 s7, v0
	s_cbranch_execz .LBB1399_126
; %bb.125:
	v_sub_nc_u32_e32 v8, 0, v8
	v_add_nc_u32_e32 v7, v7, v8
	ds_read_b64 v[7:8], v7
	s_waitcnt lgkmcnt(0)
	flat_store_dwordx2 v[5:6], v[7:8]
.LBB1399_126:
	s_or_b32 exec_lo, exec_lo, s2
	v_or_b32_e32 v7, 0x100, v0
	s_mov_b32 s2, exec_lo
	v_cmpx_gt_u32_e64 s7, v7
	s_cbranch_execz .LBB1399_128
; %bb.127:
	v_add_co_u32 v5, vcc_lo, 0x800, v5
	v_add_co_ci_u32_e64 v6, null, 0, v6, vcc_lo
	s_waitcnt lgkmcnt(0)
	flat_store_dwordx2 v[5:6], v[1:2]
.LBB1399_128:
	s_or_b32 exec_lo, exec_lo, s2
	s_waitcnt lgkmcnt(0)
	v_or_b32_e32 v1, 0x200, v0
	v_cmp_gt_u32_e64 s2, s7, v1
	s_branch .LBB1399_131
.LBB1399_129:
	s_mov_b32 s2, 0
                                        ; implicit-def: $vgpr3_vgpr4
	s_cbranch_execz .LBB1399_131
; %bb.130:
	v_mul_u32_u24_e32 v1, 24, v0
	v_lshlrev_b32_e32 v2, 4, v0
	s_waitcnt_vscnt null, 0x0
	s_barrier
	buffer_gl0_inv
	ds_write2_b64 v1, v[11:12], v[13:14] offset1:1
	v_sub_nc_u32_e32 v2, v1, v2
	ds_write_b64 v1, v[15:16] offset:16
	s_waitcnt lgkmcnt(0)
	s_barrier
	buffer_gl0_inv
	ds_read2st64_b64 v[5:8], v2 offset1:4
	ds_read_b64 v[3:4], v2 offset:4096
	v_lshlrev_b32_e32 v1, 3, v0
	s_or_b32 s2, s2, exec_lo
	v_add_co_u32 v1, s3, s0, v1
	v_add_co_ci_u32_e64 v2, null, s1, 0, s3
	v_add_co_u32 v9, vcc_lo, 0x800, v1
	v_add_co_ci_u32_e64 v10, null, 0, v2, vcc_lo
	s_waitcnt lgkmcnt(1)
	flat_store_dwordx2 v[1:2], v[5:6]
	flat_store_dwordx2 v[9:10], v[7:8]
.LBB1399_131:
	s_and_saveexec_b32 s3, s2
	s_cbranch_execnz .LBB1399_133
; %bb.132:
	s_endpgm
.LBB1399_133:
	v_lshlrev_b32_e32 v0, 3, v0
	v_add_co_u32 v0, s0, s0, v0
	v_add_co_ci_u32_e64 v1, null, s1, 0, s0
	v_add_co_u32 v0, vcc_lo, 0x1000, v0
	v_add_co_ci_u32_e64 v1, null, 0, v1, vcc_lo
	s_waitcnt lgkmcnt(2)
	flat_store_dwordx2 v[0:1], v[3:4]
	s_endpgm
.LBB1399_134:
	v_lshlrev_b32_e32 v2, 3, v0
	v_mov_b32_e32 v18, v1
	v_mov_b32_e32 v19, v1
	;; [unrolled: 1-line block ×4, first 2 shown]
	v_add_co_u32 v2, s1, s3, v2
	v_add_co_ci_u32_e64 v3, null, s13, 0, s1
	flat_load_dwordx2 v[16:17], v[2:3]
	s_waitcnt vmcnt(0) lgkmcnt(0)
	v_mov_b32_e32 v1, v16
	v_mov_b32_e32 v2, v17
	;; [unrolled: 1-line block ×6, first 2 shown]
	s_or_b32 exec_lo, exec_lo, s2
	s_and_saveexec_b32 s1, s0
	s_cbranch_execz .LBB1399_11
.LBB1399_135:
	v_lshlrev_b32_e32 v3, 3, v8
	v_add_co_u32 v3, s0, s3, v3
	v_add_co_ci_u32_e64 v4, null, s13, 0, s0
	flat_load_dwordx2 v[3:4], v[3:4]
	s_or_b32 exec_lo, exec_lo, s1
	v_mul_u32_u24_e32 v16, 3, v0
	s_and_saveexec_b32 s0, vcc_lo
	s_cbranch_execnz .LBB1399_12
	s_branch .LBB1399_13
	.section	.rodata,"a",@progbits
	.p2align	6, 0x0
	.amdhsa_kernel _ZN7rocprim17ROCPRIM_400000_NS6detail17trampoline_kernelINS0_14default_configENS1_27scan_by_key_config_selectorIidEEZZNS1_16scan_by_key_implILNS1_25lookback_scan_determinismE0ELb1ES3_N6thrust23THRUST_200600_302600_NS6detail15normal_iteratorINS9_10device_ptrIiEEEENSB_INSC_IdEEEESG_dNS9_4plusIvEENS9_8equal_toIvEEdEE10hipError_tPvRmT2_T3_T4_T5_mT6_T7_P12ihipStream_tbENKUlT_T0_E_clISt17integral_constantIbLb0EES11_EEDaSW_SX_EUlSW_E_NS1_11comp_targetILNS1_3genE8ELNS1_11target_archE1030ELNS1_3gpuE2ELNS1_3repE0EEENS1_30default_config_static_selectorELNS0_4arch9wavefront6targetE0EEEvT1_
		.amdhsa_group_segment_fixed_size 6144
		.amdhsa_private_segment_fixed_size 0
		.amdhsa_kernarg_size 136
		.amdhsa_user_sgpr_count 6
		.amdhsa_user_sgpr_private_segment_buffer 1
		.amdhsa_user_sgpr_dispatch_ptr 0
		.amdhsa_user_sgpr_queue_ptr 0
		.amdhsa_user_sgpr_kernarg_segment_ptr 1
		.amdhsa_user_sgpr_dispatch_id 0
		.amdhsa_user_sgpr_flat_scratch_init 0
		.amdhsa_user_sgpr_private_segment_size 0
		.amdhsa_wavefront_size32 1
		.amdhsa_uses_dynamic_stack 0
		.amdhsa_system_sgpr_private_segment_wavefront_offset 0
		.amdhsa_system_sgpr_workgroup_id_x 1
		.amdhsa_system_sgpr_workgroup_id_y 0
		.amdhsa_system_sgpr_workgroup_id_z 0
		.amdhsa_system_sgpr_workgroup_info 0
		.amdhsa_system_vgpr_workitem_id 0
		.amdhsa_next_free_vgpr 50
		.amdhsa_next_free_sgpr 36
		.amdhsa_reserve_vcc 1
		.amdhsa_reserve_flat_scratch 1
		.amdhsa_float_round_mode_32 0
		.amdhsa_float_round_mode_16_64 0
		.amdhsa_float_denorm_mode_32 3
		.amdhsa_float_denorm_mode_16_64 3
		.amdhsa_dx10_clamp 1
		.amdhsa_ieee_mode 1
		.amdhsa_fp16_overflow 0
		.amdhsa_workgroup_processor_mode 1
		.amdhsa_memory_ordered 1
		.amdhsa_forward_progress 1
		.amdhsa_shared_vgpr_count 0
		.amdhsa_exception_fp_ieee_invalid_op 0
		.amdhsa_exception_fp_denorm_src 0
		.amdhsa_exception_fp_ieee_div_zero 0
		.amdhsa_exception_fp_ieee_overflow 0
		.amdhsa_exception_fp_ieee_underflow 0
		.amdhsa_exception_fp_ieee_inexact 0
		.amdhsa_exception_int_div_zero 0
	.end_amdhsa_kernel
	.section	.text._ZN7rocprim17ROCPRIM_400000_NS6detail17trampoline_kernelINS0_14default_configENS1_27scan_by_key_config_selectorIidEEZZNS1_16scan_by_key_implILNS1_25lookback_scan_determinismE0ELb1ES3_N6thrust23THRUST_200600_302600_NS6detail15normal_iteratorINS9_10device_ptrIiEEEENSB_INSC_IdEEEESG_dNS9_4plusIvEENS9_8equal_toIvEEdEE10hipError_tPvRmT2_T3_T4_T5_mT6_T7_P12ihipStream_tbENKUlT_T0_E_clISt17integral_constantIbLb0EES11_EEDaSW_SX_EUlSW_E_NS1_11comp_targetILNS1_3genE8ELNS1_11target_archE1030ELNS1_3gpuE2ELNS1_3repE0EEENS1_30default_config_static_selectorELNS0_4arch9wavefront6targetE0EEEvT1_,"axG",@progbits,_ZN7rocprim17ROCPRIM_400000_NS6detail17trampoline_kernelINS0_14default_configENS1_27scan_by_key_config_selectorIidEEZZNS1_16scan_by_key_implILNS1_25lookback_scan_determinismE0ELb1ES3_N6thrust23THRUST_200600_302600_NS6detail15normal_iteratorINS9_10device_ptrIiEEEENSB_INSC_IdEEEESG_dNS9_4plusIvEENS9_8equal_toIvEEdEE10hipError_tPvRmT2_T3_T4_T5_mT6_T7_P12ihipStream_tbENKUlT_T0_E_clISt17integral_constantIbLb0EES11_EEDaSW_SX_EUlSW_E_NS1_11comp_targetILNS1_3genE8ELNS1_11target_archE1030ELNS1_3gpuE2ELNS1_3repE0EEENS1_30default_config_static_selectorELNS0_4arch9wavefront6targetE0EEEvT1_,comdat
.Lfunc_end1399:
	.size	_ZN7rocprim17ROCPRIM_400000_NS6detail17trampoline_kernelINS0_14default_configENS1_27scan_by_key_config_selectorIidEEZZNS1_16scan_by_key_implILNS1_25lookback_scan_determinismE0ELb1ES3_N6thrust23THRUST_200600_302600_NS6detail15normal_iteratorINS9_10device_ptrIiEEEENSB_INSC_IdEEEESG_dNS9_4plusIvEENS9_8equal_toIvEEdEE10hipError_tPvRmT2_T3_T4_T5_mT6_T7_P12ihipStream_tbENKUlT_T0_E_clISt17integral_constantIbLb0EES11_EEDaSW_SX_EUlSW_E_NS1_11comp_targetILNS1_3genE8ELNS1_11target_archE1030ELNS1_3gpuE2ELNS1_3repE0EEENS1_30default_config_static_selectorELNS0_4arch9wavefront6targetE0EEEvT1_, .Lfunc_end1399-_ZN7rocprim17ROCPRIM_400000_NS6detail17trampoline_kernelINS0_14default_configENS1_27scan_by_key_config_selectorIidEEZZNS1_16scan_by_key_implILNS1_25lookback_scan_determinismE0ELb1ES3_N6thrust23THRUST_200600_302600_NS6detail15normal_iteratorINS9_10device_ptrIiEEEENSB_INSC_IdEEEESG_dNS9_4plusIvEENS9_8equal_toIvEEdEE10hipError_tPvRmT2_T3_T4_T5_mT6_T7_P12ihipStream_tbENKUlT_T0_E_clISt17integral_constantIbLb0EES11_EEDaSW_SX_EUlSW_E_NS1_11comp_targetILNS1_3genE8ELNS1_11target_archE1030ELNS1_3gpuE2ELNS1_3repE0EEENS1_30default_config_static_selectorELNS0_4arch9wavefront6targetE0EEEvT1_
                                        ; -- End function
	.set _ZN7rocprim17ROCPRIM_400000_NS6detail17trampoline_kernelINS0_14default_configENS1_27scan_by_key_config_selectorIidEEZZNS1_16scan_by_key_implILNS1_25lookback_scan_determinismE0ELb1ES3_N6thrust23THRUST_200600_302600_NS6detail15normal_iteratorINS9_10device_ptrIiEEEENSB_INSC_IdEEEESG_dNS9_4plusIvEENS9_8equal_toIvEEdEE10hipError_tPvRmT2_T3_T4_T5_mT6_T7_P12ihipStream_tbENKUlT_T0_E_clISt17integral_constantIbLb0EES11_EEDaSW_SX_EUlSW_E_NS1_11comp_targetILNS1_3genE8ELNS1_11target_archE1030ELNS1_3gpuE2ELNS1_3repE0EEENS1_30default_config_static_selectorELNS0_4arch9wavefront6targetE0EEEvT1_.num_vgpr, 50
	.set _ZN7rocprim17ROCPRIM_400000_NS6detail17trampoline_kernelINS0_14default_configENS1_27scan_by_key_config_selectorIidEEZZNS1_16scan_by_key_implILNS1_25lookback_scan_determinismE0ELb1ES3_N6thrust23THRUST_200600_302600_NS6detail15normal_iteratorINS9_10device_ptrIiEEEENSB_INSC_IdEEEESG_dNS9_4plusIvEENS9_8equal_toIvEEdEE10hipError_tPvRmT2_T3_T4_T5_mT6_T7_P12ihipStream_tbENKUlT_T0_E_clISt17integral_constantIbLb0EES11_EEDaSW_SX_EUlSW_E_NS1_11comp_targetILNS1_3genE8ELNS1_11target_archE1030ELNS1_3gpuE2ELNS1_3repE0EEENS1_30default_config_static_selectorELNS0_4arch9wavefront6targetE0EEEvT1_.num_agpr, 0
	.set _ZN7rocprim17ROCPRIM_400000_NS6detail17trampoline_kernelINS0_14default_configENS1_27scan_by_key_config_selectorIidEEZZNS1_16scan_by_key_implILNS1_25lookback_scan_determinismE0ELb1ES3_N6thrust23THRUST_200600_302600_NS6detail15normal_iteratorINS9_10device_ptrIiEEEENSB_INSC_IdEEEESG_dNS9_4plusIvEENS9_8equal_toIvEEdEE10hipError_tPvRmT2_T3_T4_T5_mT6_T7_P12ihipStream_tbENKUlT_T0_E_clISt17integral_constantIbLb0EES11_EEDaSW_SX_EUlSW_E_NS1_11comp_targetILNS1_3genE8ELNS1_11target_archE1030ELNS1_3gpuE2ELNS1_3repE0EEENS1_30default_config_static_selectorELNS0_4arch9wavefront6targetE0EEEvT1_.numbered_sgpr, 36
	.set _ZN7rocprim17ROCPRIM_400000_NS6detail17trampoline_kernelINS0_14default_configENS1_27scan_by_key_config_selectorIidEEZZNS1_16scan_by_key_implILNS1_25lookback_scan_determinismE0ELb1ES3_N6thrust23THRUST_200600_302600_NS6detail15normal_iteratorINS9_10device_ptrIiEEEENSB_INSC_IdEEEESG_dNS9_4plusIvEENS9_8equal_toIvEEdEE10hipError_tPvRmT2_T3_T4_T5_mT6_T7_P12ihipStream_tbENKUlT_T0_E_clISt17integral_constantIbLb0EES11_EEDaSW_SX_EUlSW_E_NS1_11comp_targetILNS1_3genE8ELNS1_11target_archE1030ELNS1_3gpuE2ELNS1_3repE0EEENS1_30default_config_static_selectorELNS0_4arch9wavefront6targetE0EEEvT1_.num_named_barrier, 0
	.set _ZN7rocprim17ROCPRIM_400000_NS6detail17trampoline_kernelINS0_14default_configENS1_27scan_by_key_config_selectorIidEEZZNS1_16scan_by_key_implILNS1_25lookback_scan_determinismE0ELb1ES3_N6thrust23THRUST_200600_302600_NS6detail15normal_iteratorINS9_10device_ptrIiEEEENSB_INSC_IdEEEESG_dNS9_4plusIvEENS9_8equal_toIvEEdEE10hipError_tPvRmT2_T3_T4_T5_mT6_T7_P12ihipStream_tbENKUlT_T0_E_clISt17integral_constantIbLb0EES11_EEDaSW_SX_EUlSW_E_NS1_11comp_targetILNS1_3genE8ELNS1_11target_archE1030ELNS1_3gpuE2ELNS1_3repE0EEENS1_30default_config_static_selectorELNS0_4arch9wavefront6targetE0EEEvT1_.private_seg_size, 0
	.set _ZN7rocprim17ROCPRIM_400000_NS6detail17trampoline_kernelINS0_14default_configENS1_27scan_by_key_config_selectorIidEEZZNS1_16scan_by_key_implILNS1_25lookback_scan_determinismE0ELb1ES3_N6thrust23THRUST_200600_302600_NS6detail15normal_iteratorINS9_10device_ptrIiEEEENSB_INSC_IdEEEESG_dNS9_4plusIvEENS9_8equal_toIvEEdEE10hipError_tPvRmT2_T3_T4_T5_mT6_T7_P12ihipStream_tbENKUlT_T0_E_clISt17integral_constantIbLb0EES11_EEDaSW_SX_EUlSW_E_NS1_11comp_targetILNS1_3genE8ELNS1_11target_archE1030ELNS1_3gpuE2ELNS1_3repE0EEENS1_30default_config_static_selectorELNS0_4arch9wavefront6targetE0EEEvT1_.uses_vcc, 1
	.set _ZN7rocprim17ROCPRIM_400000_NS6detail17trampoline_kernelINS0_14default_configENS1_27scan_by_key_config_selectorIidEEZZNS1_16scan_by_key_implILNS1_25lookback_scan_determinismE0ELb1ES3_N6thrust23THRUST_200600_302600_NS6detail15normal_iteratorINS9_10device_ptrIiEEEENSB_INSC_IdEEEESG_dNS9_4plusIvEENS9_8equal_toIvEEdEE10hipError_tPvRmT2_T3_T4_T5_mT6_T7_P12ihipStream_tbENKUlT_T0_E_clISt17integral_constantIbLb0EES11_EEDaSW_SX_EUlSW_E_NS1_11comp_targetILNS1_3genE8ELNS1_11target_archE1030ELNS1_3gpuE2ELNS1_3repE0EEENS1_30default_config_static_selectorELNS0_4arch9wavefront6targetE0EEEvT1_.uses_flat_scratch, 1
	.set _ZN7rocprim17ROCPRIM_400000_NS6detail17trampoline_kernelINS0_14default_configENS1_27scan_by_key_config_selectorIidEEZZNS1_16scan_by_key_implILNS1_25lookback_scan_determinismE0ELb1ES3_N6thrust23THRUST_200600_302600_NS6detail15normal_iteratorINS9_10device_ptrIiEEEENSB_INSC_IdEEEESG_dNS9_4plusIvEENS9_8equal_toIvEEdEE10hipError_tPvRmT2_T3_T4_T5_mT6_T7_P12ihipStream_tbENKUlT_T0_E_clISt17integral_constantIbLb0EES11_EEDaSW_SX_EUlSW_E_NS1_11comp_targetILNS1_3genE8ELNS1_11target_archE1030ELNS1_3gpuE2ELNS1_3repE0EEENS1_30default_config_static_selectorELNS0_4arch9wavefront6targetE0EEEvT1_.has_dyn_sized_stack, 0
	.set _ZN7rocprim17ROCPRIM_400000_NS6detail17trampoline_kernelINS0_14default_configENS1_27scan_by_key_config_selectorIidEEZZNS1_16scan_by_key_implILNS1_25lookback_scan_determinismE0ELb1ES3_N6thrust23THRUST_200600_302600_NS6detail15normal_iteratorINS9_10device_ptrIiEEEENSB_INSC_IdEEEESG_dNS9_4plusIvEENS9_8equal_toIvEEdEE10hipError_tPvRmT2_T3_T4_T5_mT6_T7_P12ihipStream_tbENKUlT_T0_E_clISt17integral_constantIbLb0EES11_EEDaSW_SX_EUlSW_E_NS1_11comp_targetILNS1_3genE8ELNS1_11target_archE1030ELNS1_3gpuE2ELNS1_3repE0EEENS1_30default_config_static_selectorELNS0_4arch9wavefront6targetE0EEEvT1_.has_recursion, 0
	.set _ZN7rocprim17ROCPRIM_400000_NS6detail17trampoline_kernelINS0_14default_configENS1_27scan_by_key_config_selectorIidEEZZNS1_16scan_by_key_implILNS1_25lookback_scan_determinismE0ELb1ES3_N6thrust23THRUST_200600_302600_NS6detail15normal_iteratorINS9_10device_ptrIiEEEENSB_INSC_IdEEEESG_dNS9_4plusIvEENS9_8equal_toIvEEdEE10hipError_tPvRmT2_T3_T4_T5_mT6_T7_P12ihipStream_tbENKUlT_T0_E_clISt17integral_constantIbLb0EES11_EEDaSW_SX_EUlSW_E_NS1_11comp_targetILNS1_3genE8ELNS1_11target_archE1030ELNS1_3gpuE2ELNS1_3repE0EEENS1_30default_config_static_selectorELNS0_4arch9wavefront6targetE0EEEvT1_.has_indirect_call, 0
	.section	.AMDGPU.csdata,"",@progbits
; Kernel info:
; codeLenInByte = 7460
; TotalNumSgprs: 38
; NumVgprs: 50
; ScratchSize: 0
; MemoryBound: 0
; FloatMode: 240
; IeeeMode: 1
; LDSByteSize: 6144 bytes/workgroup (compile time only)
; SGPRBlocks: 0
; VGPRBlocks: 6
; NumSGPRsForWavesPerEU: 38
; NumVGPRsForWavesPerEU: 50
; Occupancy: 16
; WaveLimiterHint : 1
; COMPUTE_PGM_RSRC2:SCRATCH_EN: 0
; COMPUTE_PGM_RSRC2:USER_SGPR: 6
; COMPUTE_PGM_RSRC2:TRAP_HANDLER: 0
; COMPUTE_PGM_RSRC2:TGID_X_EN: 1
; COMPUTE_PGM_RSRC2:TGID_Y_EN: 0
; COMPUTE_PGM_RSRC2:TGID_Z_EN: 0
; COMPUTE_PGM_RSRC2:TIDIG_COMP_CNT: 0
	.section	.text._ZN7rocprim17ROCPRIM_400000_NS6detail17trampoline_kernelINS0_14default_configENS1_27scan_by_key_config_selectorIidEEZZNS1_16scan_by_key_implILNS1_25lookback_scan_determinismE0ELb1ES3_N6thrust23THRUST_200600_302600_NS6detail15normal_iteratorINS9_10device_ptrIiEEEENSB_INSC_IdEEEESG_dNS9_4plusIvEENS9_8equal_toIvEEdEE10hipError_tPvRmT2_T3_T4_T5_mT6_T7_P12ihipStream_tbENKUlT_T0_E_clISt17integral_constantIbLb1EES11_EEDaSW_SX_EUlSW_E_NS1_11comp_targetILNS1_3genE0ELNS1_11target_archE4294967295ELNS1_3gpuE0ELNS1_3repE0EEENS1_30default_config_static_selectorELNS0_4arch9wavefront6targetE0EEEvT1_,"axG",@progbits,_ZN7rocprim17ROCPRIM_400000_NS6detail17trampoline_kernelINS0_14default_configENS1_27scan_by_key_config_selectorIidEEZZNS1_16scan_by_key_implILNS1_25lookback_scan_determinismE0ELb1ES3_N6thrust23THRUST_200600_302600_NS6detail15normal_iteratorINS9_10device_ptrIiEEEENSB_INSC_IdEEEESG_dNS9_4plusIvEENS9_8equal_toIvEEdEE10hipError_tPvRmT2_T3_T4_T5_mT6_T7_P12ihipStream_tbENKUlT_T0_E_clISt17integral_constantIbLb1EES11_EEDaSW_SX_EUlSW_E_NS1_11comp_targetILNS1_3genE0ELNS1_11target_archE4294967295ELNS1_3gpuE0ELNS1_3repE0EEENS1_30default_config_static_selectorELNS0_4arch9wavefront6targetE0EEEvT1_,comdat
	.protected	_ZN7rocprim17ROCPRIM_400000_NS6detail17trampoline_kernelINS0_14default_configENS1_27scan_by_key_config_selectorIidEEZZNS1_16scan_by_key_implILNS1_25lookback_scan_determinismE0ELb1ES3_N6thrust23THRUST_200600_302600_NS6detail15normal_iteratorINS9_10device_ptrIiEEEENSB_INSC_IdEEEESG_dNS9_4plusIvEENS9_8equal_toIvEEdEE10hipError_tPvRmT2_T3_T4_T5_mT6_T7_P12ihipStream_tbENKUlT_T0_E_clISt17integral_constantIbLb1EES11_EEDaSW_SX_EUlSW_E_NS1_11comp_targetILNS1_3genE0ELNS1_11target_archE4294967295ELNS1_3gpuE0ELNS1_3repE0EEENS1_30default_config_static_selectorELNS0_4arch9wavefront6targetE0EEEvT1_ ; -- Begin function _ZN7rocprim17ROCPRIM_400000_NS6detail17trampoline_kernelINS0_14default_configENS1_27scan_by_key_config_selectorIidEEZZNS1_16scan_by_key_implILNS1_25lookback_scan_determinismE0ELb1ES3_N6thrust23THRUST_200600_302600_NS6detail15normal_iteratorINS9_10device_ptrIiEEEENSB_INSC_IdEEEESG_dNS9_4plusIvEENS9_8equal_toIvEEdEE10hipError_tPvRmT2_T3_T4_T5_mT6_T7_P12ihipStream_tbENKUlT_T0_E_clISt17integral_constantIbLb1EES11_EEDaSW_SX_EUlSW_E_NS1_11comp_targetILNS1_3genE0ELNS1_11target_archE4294967295ELNS1_3gpuE0ELNS1_3repE0EEENS1_30default_config_static_selectorELNS0_4arch9wavefront6targetE0EEEvT1_
	.globl	_ZN7rocprim17ROCPRIM_400000_NS6detail17trampoline_kernelINS0_14default_configENS1_27scan_by_key_config_selectorIidEEZZNS1_16scan_by_key_implILNS1_25lookback_scan_determinismE0ELb1ES3_N6thrust23THRUST_200600_302600_NS6detail15normal_iteratorINS9_10device_ptrIiEEEENSB_INSC_IdEEEESG_dNS9_4plusIvEENS9_8equal_toIvEEdEE10hipError_tPvRmT2_T3_T4_T5_mT6_T7_P12ihipStream_tbENKUlT_T0_E_clISt17integral_constantIbLb1EES11_EEDaSW_SX_EUlSW_E_NS1_11comp_targetILNS1_3genE0ELNS1_11target_archE4294967295ELNS1_3gpuE0ELNS1_3repE0EEENS1_30default_config_static_selectorELNS0_4arch9wavefront6targetE0EEEvT1_
	.p2align	8
	.type	_ZN7rocprim17ROCPRIM_400000_NS6detail17trampoline_kernelINS0_14default_configENS1_27scan_by_key_config_selectorIidEEZZNS1_16scan_by_key_implILNS1_25lookback_scan_determinismE0ELb1ES3_N6thrust23THRUST_200600_302600_NS6detail15normal_iteratorINS9_10device_ptrIiEEEENSB_INSC_IdEEEESG_dNS9_4plusIvEENS9_8equal_toIvEEdEE10hipError_tPvRmT2_T3_T4_T5_mT6_T7_P12ihipStream_tbENKUlT_T0_E_clISt17integral_constantIbLb1EES11_EEDaSW_SX_EUlSW_E_NS1_11comp_targetILNS1_3genE0ELNS1_11target_archE4294967295ELNS1_3gpuE0ELNS1_3repE0EEENS1_30default_config_static_selectorELNS0_4arch9wavefront6targetE0EEEvT1_,@function
_ZN7rocprim17ROCPRIM_400000_NS6detail17trampoline_kernelINS0_14default_configENS1_27scan_by_key_config_selectorIidEEZZNS1_16scan_by_key_implILNS1_25lookback_scan_determinismE0ELb1ES3_N6thrust23THRUST_200600_302600_NS6detail15normal_iteratorINS9_10device_ptrIiEEEENSB_INSC_IdEEEESG_dNS9_4plusIvEENS9_8equal_toIvEEdEE10hipError_tPvRmT2_T3_T4_T5_mT6_T7_P12ihipStream_tbENKUlT_T0_E_clISt17integral_constantIbLb1EES11_EEDaSW_SX_EUlSW_E_NS1_11comp_targetILNS1_3genE0ELNS1_11target_archE4294967295ELNS1_3gpuE0ELNS1_3repE0EEENS1_30default_config_static_selectorELNS0_4arch9wavefront6targetE0EEEvT1_: ; @_ZN7rocprim17ROCPRIM_400000_NS6detail17trampoline_kernelINS0_14default_configENS1_27scan_by_key_config_selectorIidEEZZNS1_16scan_by_key_implILNS1_25lookback_scan_determinismE0ELb1ES3_N6thrust23THRUST_200600_302600_NS6detail15normal_iteratorINS9_10device_ptrIiEEEENSB_INSC_IdEEEESG_dNS9_4plusIvEENS9_8equal_toIvEEdEE10hipError_tPvRmT2_T3_T4_T5_mT6_T7_P12ihipStream_tbENKUlT_T0_E_clISt17integral_constantIbLb1EES11_EEDaSW_SX_EUlSW_E_NS1_11comp_targetILNS1_3genE0ELNS1_11target_archE4294967295ELNS1_3gpuE0ELNS1_3repE0EEENS1_30default_config_static_selectorELNS0_4arch9wavefront6targetE0EEEvT1_
; %bb.0:
	.section	.rodata,"a",@progbits
	.p2align	6, 0x0
	.amdhsa_kernel _ZN7rocprim17ROCPRIM_400000_NS6detail17trampoline_kernelINS0_14default_configENS1_27scan_by_key_config_selectorIidEEZZNS1_16scan_by_key_implILNS1_25lookback_scan_determinismE0ELb1ES3_N6thrust23THRUST_200600_302600_NS6detail15normal_iteratorINS9_10device_ptrIiEEEENSB_INSC_IdEEEESG_dNS9_4plusIvEENS9_8equal_toIvEEdEE10hipError_tPvRmT2_T3_T4_T5_mT6_T7_P12ihipStream_tbENKUlT_T0_E_clISt17integral_constantIbLb1EES11_EEDaSW_SX_EUlSW_E_NS1_11comp_targetILNS1_3genE0ELNS1_11target_archE4294967295ELNS1_3gpuE0ELNS1_3repE0EEENS1_30default_config_static_selectorELNS0_4arch9wavefront6targetE0EEEvT1_
		.amdhsa_group_segment_fixed_size 0
		.amdhsa_private_segment_fixed_size 0
		.amdhsa_kernarg_size 136
		.amdhsa_user_sgpr_count 6
		.amdhsa_user_sgpr_private_segment_buffer 1
		.amdhsa_user_sgpr_dispatch_ptr 0
		.amdhsa_user_sgpr_queue_ptr 0
		.amdhsa_user_sgpr_kernarg_segment_ptr 1
		.amdhsa_user_sgpr_dispatch_id 0
		.amdhsa_user_sgpr_flat_scratch_init 0
		.amdhsa_user_sgpr_private_segment_size 0
		.amdhsa_wavefront_size32 1
		.amdhsa_uses_dynamic_stack 0
		.amdhsa_system_sgpr_private_segment_wavefront_offset 0
		.amdhsa_system_sgpr_workgroup_id_x 1
		.amdhsa_system_sgpr_workgroup_id_y 0
		.amdhsa_system_sgpr_workgroup_id_z 0
		.amdhsa_system_sgpr_workgroup_info 0
		.amdhsa_system_vgpr_workitem_id 0
		.amdhsa_next_free_vgpr 1
		.amdhsa_next_free_sgpr 1
		.amdhsa_reserve_vcc 0
		.amdhsa_reserve_flat_scratch 0
		.amdhsa_float_round_mode_32 0
		.amdhsa_float_round_mode_16_64 0
		.amdhsa_float_denorm_mode_32 3
		.amdhsa_float_denorm_mode_16_64 3
		.amdhsa_dx10_clamp 1
		.amdhsa_ieee_mode 1
		.amdhsa_fp16_overflow 0
		.amdhsa_workgroup_processor_mode 1
		.amdhsa_memory_ordered 1
		.amdhsa_forward_progress 1
		.amdhsa_shared_vgpr_count 0
		.amdhsa_exception_fp_ieee_invalid_op 0
		.amdhsa_exception_fp_denorm_src 0
		.amdhsa_exception_fp_ieee_div_zero 0
		.amdhsa_exception_fp_ieee_overflow 0
		.amdhsa_exception_fp_ieee_underflow 0
		.amdhsa_exception_fp_ieee_inexact 0
		.amdhsa_exception_int_div_zero 0
	.end_amdhsa_kernel
	.section	.text._ZN7rocprim17ROCPRIM_400000_NS6detail17trampoline_kernelINS0_14default_configENS1_27scan_by_key_config_selectorIidEEZZNS1_16scan_by_key_implILNS1_25lookback_scan_determinismE0ELb1ES3_N6thrust23THRUST_200600_302600_NS6detail15normal_iteratorINS9_10device_ptrIiEEEENSB_INSC_IdEEEESG_dNS9_4plusIvEENS9_8equal_toIvEEdEE10hipError_tPvRmT2_T3_T4_T5_mT6_T7_P12ihipStream_tbENKUlT_T0_E_clISt17integral_constantIbLb1EES11_EEDaSW_SX_EUlSW_E_NS1_11comp_targetILNS1_3genE0ELNS1_11target_archE4294967295ELNS1_3gpuE0ELNS1_3repE0EEENS1_30default_config_static_selectorELNS0_4arch9wavefront6targetE0EEEvT1_,"axG",@progbits,_ZN7rocprim17ROCPRIM_400000_NS6detail17trampoline_kernelINS0_14default_configENS1_27scan_by_key_config_selectorIidEEZZNS1_16scan_by_key_implILNS1_25lookback_scan_determinismE0ELb1ES3_N6thrust23THRUST_200600_302600_NS6detail15normal_iteratorINS9_10device_ptrIiEEEENSB_INSC_IdEEEESG_dNS9_4plusIvEENS9_8equal_toIvEEdEE10hipError_tPvRmT2_T3_T4_T5_mT6_T7_P12ihipStream_tbENKUlT_T0_E_clISt17integral_constantIbLb1EES11_EEDaSW_SX_EUlSW_E_NS1_11comp_targetILNS1_3genE0ELNS1_11target_archE4294967295ELNS1_3gpuE0ELNS1_3repE0EEENS1_30default_config_static_selectorELNS0_4arch9wavefront6targetE0EEEvT1_,comdat
.Lfunc_end1400:
	.size	_ZN7rocprim17ROCPRIM_400000_NS6detail17trampoline_kernelINS0_14default_configENS1_27scan_by_key_config_selectorIidEEZZNS1_16scan_by_key_implILNS1_25lookback_scan_determinismE0ELb1ES3_N6thrust23THRUST_200600_302600_NS6detail15normal_iteratorINS9_10device_ptrIiEEEENSB_INSC_IdEEEESG_dNS9_4plusIvEENS9_8equal_toIvEEdEE10hipError_tPvRmT2_T3_T4_T5_mT6_T7_P12ihipStream_tbENKUlT_T0_E_clISt17integral_constantIbLb1EES11_EEDaSW_SX_EUlSW_E_NS1_11comp_targetILNS1_3genE0ELNS1_11target_archE4294967295ELNS1_3gpuE0ELNS1_3repE0EEENS1_30default_config_static_selectorELNS0_4arch9wavefront6targetE0EEEvT1_, .Lfunc_end1400-_ZN7rocprim17ROCPRIM_400000_NS6detail17trampoline_kernelINS0_14default_configENS1_27scan_by_key_config_selectorIidEEZZNS1_16scan_by_key_implILNS1_25lookback_scan_determinismE0ELb1ES3_N6thrust23THRUST_200600_302600_NS6detail15normal_iteratorINS9_10device_ptrIiEEEENSB_INSC_IdEEEESG_dNS9_4plusIvEENS9_8equal_toIvEEdEE10hipError_tPvRmT2_T3_T4_T5_mT6_T7_P12ihipStream_tbENKUlT_T0_E_clISt17integral_constantIbLb1EES11_EEDaSW_SX_EUlSW_E_NS1_11comp_targetILNS1_3genE0ELNS1_11target_archE4294967295ELNS1_3gpuE0ELNS1_3repE0EEENS1_30default_config_static_selectorELNS0_4arch9wavefront6targetE0EEEvT1_
                                        ; -- End function
	.set _ZN7rocprim17ROCPRIM_400000_NS6detail17trampoline_kernelINS0_14default_configENS1_27scan_by_key_config_selectorIidEEZZNS1_16scan_by_key_implILNS1_25lookback_scan_determinismE0ELb1ES3_N6thrust23THRUST_200600_302600_NS6detail15normal_iteratorINS9_10device_ptrIiEEEENSB_INSC_IdEEEESG_dNS9_4plusIvEENS9_8equal_toIvEEdEE10hipError_tPvRmT2_T3_T4_T5_mT6_T7_P12ihipStream_tbENKUlT_T0_E_clISt17integral_constantIbLb1EES11_EEDaSW_SX_EUlSW_E_NS1_11comp_targetILNS1_3genE0ELNS1_11target_archE4294967295ELNS1_3gpuE0ELNS1_3repE0EEENS1_30default_config_static_selectorELNS0_4arch9wavefront6targetE0EEEvT1_.num_vgpr, 0
	.set _ZN7rocprim17ROCPRIM_400000_NS6detail17trampoline_kernelINS0_14default_configENS1_27scan_by_key_config_selectorIidEEZZNS1_16scan_by_key_implILNS1_25lookback_scan_determinismE0ELb1ES3_N6thrust23THRUST_200600_302600_NS6detail15normal_iteratorINS9_10device_ptrIiEEEENSB_INSC_IdEEEESG_dNS9_4plusIvEENS9_8equal_toIvEEdEE10hipError_tPvRmT2_T3_T4_T5_mT6_T7_P12ihipStream_tbENKUlT_T0_E_clISt17integral_constantIbLb1EES11_EEDaSW_SX_EUlSW_E_NS1_11comp_targetILNS1_3genE0ELNS1_11target_archE4294967295ELNS1_3gpuE0ELNS1_3repE0EEENS1_30default_config_static_selectorELNS0_4arch9wavefront6targetE0EEEvT1_.num_agpr, 0
	.set _ZN7rocprim17ROCPRIM_400000_NS6detail17trampoline_kernelINS0_14default_configENS1_27scan_by_key_config_selectorIidEEZZNS1_16scan_by_key_implILNS1_25lookback_scan_determinismE0ELb1ES3_N6thrust23THRUST_200600_302600_NS6detail15normal_iteratorINS9_10device_ptrIiEEEENSB_INSC_IdEEEESG_dNS9_4plusIvEENS9_8equal_toIvEEdEE10hipError_tPvRmT2_T3_T4_T5_mT6_T7_P12ihipStream_tbENKUlT_T0_E_clISt17integral_constantIbLb1EES11_EEDaSW_SX_EUlSW_E_NS1_11comp_targetILNS1_3genE0ELNS1_11target_archE4294967295ELNS1_3gpuE0ELNS1_3repE0EEENS1_30default_config_static_selectorELNS0_4arch9wavefront6targetE0EEEvT1_.numbered_sgpr, 0
	.set _ZN7rocprim17ROCPRIM_400000_NS6detail17trampoline_kernelINS0_14default_configENS1_27scan_by_key_config_selectorIidEEZZNS1_16scan_by_key_implILNS1_25lookback_scan_determinismE0ELb1ES3_N6thrust23THRUST_200600_302600_NS6detail15normal_iteratorINS9_10device_ptrIiEEEENSB_INSC_IdEEEESG_dNS9_4plusIvEENS9_8equal_toIvEEdEE10hipError_tPvRmT2_T3_T4_T5_mT6_T7_P12ihipStream_tbENKUlT_T0_E_clISt17integral_constantIbLb1EES11_EEDaSW_SX_EUlSW_E_NS1_11comp_targetILNS1_3genE0ELNS1_11target_archE4294967295ELNS1_3gpuE0ELNS1_3repE0EEENS1_30default_config_static_selectorELNS0_4arch9wavefront6targetE0EEEvT1_.num_named_barrier, 0
	.set _ZN7rocprim17ROCPRIM_400000_NS6detail17trampoline_kernelINS0_14default_configENS1_27scan_by_key_config_selectorIidEEZZNS1_16scan_by_key_implILNS1_25lookback_scan_determinismE0ELb1ES3_N6thrust23THRUST_200600_302600_NS6detail15normal_iteratorINS9_10device_ptrIiEEEENSB_INSC_IdEEEESG_dNS9_4plusIvEENS9_8equal_toIvEEdEE10hipError_tPvRmT2_T3_T4_T5_mT6_T7_P12ihipStream_tbENKUlT_T0_E_clISt17integral_constantIbLb1EES11_EEDaSW_SX_EUlSW_E_NS1_11comp_targetILNS1_3genE0ELNS1_11target_archE4294967295ELNS1_3gpuE0ELNS1_3repE0EEENS1_30default_config_static_selectorELNS0_4arch9wavefront6targetE0EEEvT1_.private_seg_size, 0
	.set _ZN7rocprim17ROCPRIM_400000_NS6detail17trampoline_kernelINS0_14default_configENS1_27scan_by_key_config_selectorIidEEZZNS1_16scan_by_key_implILNS1_25lookback_scan_determinismE0ELb1ES3_N6thrust23THRUST_200600_302600_NS6detail15normal_iteratorINS9_10device_ptrIiEEEENSB_INSC_IdEEEESG_dNS9_4plusIvEENS9_8equal_toIvEEdEE10hipError_tPvRmT2_T3_T4_T5_mT6_T7_P12ihipStream_tbENKUlT_T0_E_clISt17integral_constantIbLb1EES11_EEDaSW_SX_EUlSW_E_NS1_11comp_targetILNS1_3genE0ELNS1_11target_archE4294967295ELNS1_3gpuE0ELNS1_3repE0EEENS1_30default_config_static_selectorELNS0_4arch9wavefront6targetE0EEEvT1_.uses_vcc, 0
	.set _ZN7rocprim17ROCPRIM_400000_NS6detail17trampoline_kernelINS0_14default_configENS1_27scan_by_key_config_selectorIidEEZZNS1_16scan_by_key_implILNS1_25lookback_scan_determinismE0ELb1ES3_N6thrust23THRUST_200600_302600_NS6detail15normal_iteratorINS9_10device_ptrIiEEEENSB_INSC_IdEEEESG_dNS9_4plusIvEENS9_8equal_toIvEEdEE10hipError_tPvRmT2_T3_T4_T5_mT6_T7_P12ihipStream_tbENKUlT_T0_E_clISt17integral_constantIbLb1EES11_EEDaSW_SX_EUlSW_E_NS1_11comp_targetILNS1_3genE0ELNS1_11target_archE4294967295ELNS1_3gpuE0ELNS1_3repE0EEENS1_30default_config_static_selectorELNS0_4arch9wavefront6targetE0EEEvT1_.uses_flat_scratch, 0
	.set _ZN7rocprim17ROCPRIM_400000_NS6detail17trampoline_kernelINS0_14default_configENS1_27scan_by_key_config_selectorIidEEZZNS1_16scan_by_key_implILNS1_25lookback_scan_determinismE0ELb1ES3_N6thrust23THRUST_200600_302600_NS6detail15normal_iteratorINS9_10device_ptrIiEEEENSB_INSC_IdEEEESG_dNS9_4plusIvEENS9_8equal_toIvEEdEE10hipError_tPvRmT2_T3_T4_T5_mT6_T7_P12ihipStream_tbENKUlT_T0_E_clISt17integral_constantIbLb1EES11_EEDaSW_SX_EUlSW_E_NS1_11comp_targetILNS1_3genE0ELNS1_11target_archE4294967295ELNS1_3gpuE0ELNS1_3repE0EEENS1_30default_config_static_selectorELNS0_4arch9wavefront6targetE0EEEvT1_.has_dyn_sized_stack, 0
	.set _ZN7rocprim17ROCPRIM_400000_NS6detail17trampoline_kernelINS0_14default_configENS1_27scan_by_key_config_selectorIidEEZZNS1_16scan_by_key_implILNS1_25lookback_scan_determinismE0ELb1ES3_N6thrust23THRUST_200600_302600_NS6detail15normal_iteratorINS9_10device_ptrIiEEEENSB_INSC_IdEEEESG_dNS9_4plusIvEENS9_8equal_toIvEEdEE10hipError_tPvRmT2_T3_T4_T5_mT6_T7_P12ihipStream_tbENKUlT_T0_E_clISt17integral_constantIbLb1EES11_EEDaSW_SX_EUlSW_E_NS1_11comp_targetILNS1_3genE0ELNS1_11target_archE4294967295ELNS1_3gpuE0ELNS1_3repE0EEENS1_30default_config_static_selectorELNS0_4arch9wavefront6targetE0EEEvT1_.has_recursion, 0
	.set _ZN7rocprim17ROCPRIM_400000_NS6detail17trampoline_kernelINS0_14default_configENS1_27scan_by_key_config_selectorIidEEZZNS1_16scan_by_key_implILNS1_25lookback_scan_determinismE0ELb1ES3_N6thrust23THRUST_200600_302600_NS6detail15normal_iteratorINS9_10device_ptrIiEEEENSB_INSC_IdEEEESG_dNS9_4plusIvEENS9_8equal_toIvEEdEE10hipError_tPvRmT2_T3_T4_T5_mT6_T7_P12ihipStream_tbENKUlT_T0_E_clISt17integral_constantIbLb1EES11_EEDaSW_SX_EUlSW_E_NS1_11comp_targetILNS1_3genE0ELNS1_11target_archE4294967295ELNS1_3gpuE0ELNS1_3repE0EEENS1_30default_config_static_selectorELNS0_4arch9wavefront6targetE0EEEvT1_.has_indirect_call, 0
	.section	.AMDGPU.csdata,"",@progbits
; Kernel info:
; codeLenInByte = 0
; TotalNumSgprs: 0
; NumVgprs: 0
; ScratchSize: 0
; MemoryBound: 0
; FloatMode: 240
; IeeeMode: 1
; LDSByteSize: 0 bytes/workgroup (compile time only)
; SGPRBlocks: 0
; VGPRBlocks: 0
; NumSGPRsForWavesPerEU: 1
; NumVGPRsForWavesPerEU: 1
; Occupancy: 16
; WaveLimiterHint : 0
; COMPUTE_PGM_RSRC2:SCRATCH_EN: 0
; COMPUTE_PGM_RSRC2:USER_SGPR: 6
; COMPUTE_PGM_RSRC2:TRAP_HANDLER: 0
; COMPUTE_PGM_RSRC2:TGID_X_EN: 1
; COMPUTE_PGM_RSRC2:TGID_Y_EN: 0
; COMPUTE_PGM_RSRC2:TGID_Z_EN: 0
; COMPUTE_PGM_RSRC2:TIDIG_COMP_CNT: 0
	.section	.text._ZN7rocprim17ROCPRIM_400000_NS6detail17trampoline_kernelINS0_14default_configENS1_27scan_by_key_config_selectorIidEEZZNS1_16scan_by_key_implILNS1_25lookback_scan_determinismE0ELb1ES3_N6thrust23THRUST_200600_302600_NS6detail15normal_iteratorINS9_10device_ptrIiEEEENSB_INSC_IdEEEESG_dNS9_4plusIvEENS9_8equal_toIvEEdEE10hipError_tPvRmT2_T3_T4_T5_mT6_T7_P12ihipStream_tbENKUlT_T0_E_clISt17integral_constantIbLb1EES11_EEDaSW_SX_EUlSW_E_NS1_11comp_targetILNS1_3genE10ELNS1_11target_archE1201ELNS1_3gpuE5ELNS1_3repE0EEENS1_30default_config_static_selectorELNS0_4arch9wavefront6targetE0EEEvT1_,"axG",@progbits,_ZN7rocprim17ROCPRIM_400000_NS6detail17trampoline_kernelINS0_14default_configENS1_27scan_by_key_config_selectorIidEEZZNS1_16scan_by_key_implILNS1_25lookback_scan_determinismE0ELb1ES3_N6thrust23THRUST_200600_302600_NS6detail15normal_iteratorINS9_10device_ptrIiEEEENSB_INSC_IdEEEESG_dNS9_4plusIvEENS9_8equal_toIvEEdEE10hipError_tPvRmT2_T3_T4_T5_mT6_T7_P12ihipStream_tbENKUlT_T0_E_clISt17integral_constantIbLb1EES11_EEDaSW_SX_EUlSW_E_NS1_11comp_targetILNS1_3genE10ELNS1_11target_archE1201ELNS1_3gpuE5ELNS1_3repE0EEENS1_30default_config_static_selectorELNS0_4arch9wavefront6targetE0EEEvT1_,comdat
	.protected	_ZN7rocprim17ROCPRIM_400000_NS6detail17trampoline_kernelINS0_14default_configENS1_27scan_by_key_config_selectorIidEEZZNS1_16scan_by_key_implILNS1_25lookback_scan_determinismE0ELb1ES3_N6thrust23THRUST_200600_302600_NS6detail15normal_iteratorINS9_10device_ptrIiEEEENSB_INSC_IdEEEESG_dNS9_4plusIvEENS9_8equal_toIvEEdEE10hipError_tPvRmT2_T3_T4_T5_mT6_T7_P12ihipStream_tbENKUlT_T0_E_clISt17integral_constantIbLb1EES11_EEDaSW_SX_EUlSW_E_NS1_11comp_targetILNS1_3genE10ELNS1_11target_archE1201ELNS1_3gpuE5ELNS1_3repE0EEENS1_30default_config_static_selectorELNS0_4arch9wavefront6targetE0EEEvT1_ ; -- Begin function _ZN7rocprim17ROCPRIM_400000_NS6detail17trampoline_kernelINS0_14default_configENS1_27scan_by_key_config_selectorIidEEZZNS1_16scan_by_key_implILNS1_25lookback_scan_determinismE0ELb1ES3_N6thrust23THRUST_200600_302600_NS6detail15normal_iteratorINS9_10device_ptrIiEEEENSB_INSC_IdEEEESG_dNS9_4plusIvEENS9_8equal_toIvEEdEE10hipError_tPvRmT2_T3_T4_T5_mT6_T7_P12ihipStream_tbENKUlT_T0_E_clISt17integral_constantIbLb1EES11_EEDaSW_SX_EUlSW_E_NS1_11comp_targetILNS1_3genE10ELNS1_11target_archE1201ELNS1_3gpuE5ELNS1_3repE0EEENS1_30default_config_static_selectorELNS0_4arch9wavefront6targetE0EEEvT1_
	.globl	_ZN7rocprim17ROCPRIM_400000_NS6detail17trampoline_kernelINS0_14default_configENS1_27scan_by_key_config_selectorIidEEZZNS1_16scan_by_key_implILNS1_25lookback_scan_determinismE0ELb1ES3_N6thrust23THRUST_200600_302600_NS6detail15normal_iteratorINS9_10device_ptrIiEEEENSB_INSC_IdEEEESG_dNS9_4plusIvEENS9_8equal_toIvEEdEE10hipError_tPvRmT2_T3_T4_T5_mT6_T7_P12ihipStream_tbENKUlT_T0_E_clISt17integral_constantIbLb1EES11_EEDaSW_SX_EUlSW_E_NS1_11comp_targetILNS1_3genE10ELNS1_11target_archE1201ELNS1_3gpuE5ELNS1_3repE0EEENS1_30default_config_static_selectorELNS0_4arch9wavefront6targetE0EEEvT1_
	.p2align	8
	.type	_ZN7rocprim17ROCPRIM_400000_NS6detail17trampoline_kernelINS0_14default_configENS1_27scan_by_key_config_selectorIidEEZZNS1_16scan_by_key_implILNS1_25lookback_scan_determinismE0ELb1ES3_N6thrust23THRUST_200600_302600_NS6detail15normal_iteratorINS9_10device_ptrIiEEEENSB_INSC_IdEEEESG_dNS9_4plusIvEENS9_8equal_toIvEEdEE10hipError_tPvRmT2_T3_T4_T5_mT6_T7_P12ihipStream_tbENKUlT_T0_E_clISt17integral_constantIbLb1EES11_EEDaSW_SX_EUlSW_E_NS1_11comp_targetILNS1_3genE10ELNS1_11target_archE1201ELNS1_3gpuE5ELNS1_3repE0EEENS1_30default_config_static_selectorELNS0_4arch9wavefront6targetE0EEEvT1_,@function
_ZN7rocprim17ROCPRIM_400000_NS6detail17trampoline_kernelINS0_14default_configENS1_27scan_by_key_config_selectorIidEEZZNS1_16scan_by_key_implILNS1_25lookback_scan_determinismE0ELb1ES3_N6thrust23THRUST_200600_302600_NS6detail15normal_iteratorINS9_10device_ptrIiEEEENSB_INSC_IdEEEESG_dNS9_4plusIvEENS9_8equal_toIvEEdEE10hipError_tPvRmT2_T3_T4_T5_mT6_T7_P12ihipStream_tbENKUlT_T0_E_clISt17integral_constantIbLb1EES11_EEDaSW_SX_EUlSW_E_NS1_11comp_targetILNS1_3genE10ELNS1_11target_archE1201ELNS1_3gpuE5ELNS1_3repE0EEENS1_30default_config_static_selectorELNS0_4arch9wavefront6targetE0EEEvT1_: ; @_ZN7rocprim17ROCPRIM_400000_NS6detail17trampoline_kernelINS0_14default_configENS1_27scan_by_key_config_selectorIidEEZZNS1_16scan_by_key_implILNS1_25lookback_scan_determinismE0ELb1ES3_N6thrust23THRUST_200600_302600_NS6detail15normal_iteratorINS9_10device_ptrIiEEEENSB_INSC_IdEEEESG_dNS9_4plusIvEENS9_8equal_toIvEEdEE10hipError_tPvRmT2_T3_T4_T5_mT6_T7_P12ihipStream_tbENKUlT_T0_E_clISt17integral_constantIbLb1EES11_EEDaSW_SX_EUlSW_E_NS1_11comp_targetILNS1_3genE10ELNS1_11target_archE1201ELNS1_3gpuE5ELNS1_3repE0EEENS1_30default_config_static_selectorELNS0_4arch9wavefront6targetE0EEEvT1_
; %bb.0:
	.section	.rodata,"a",@progbits
	.p2align	6, 0x0
	.amdhsa_kernel _ZN7rocprim17ROCPRIM_400000_NS6detail17trampoline_kernelINS0_14default_configENS1_27scan_by_key_config_selectorIidEEZZNS1_16scan_by_key_implILNS1_25lookback_scan_determinismE0ELb1ES3_N6thrust23THRUST_200600_302600_NS6detail15normal_iteratorINS9_10device_ptrIiEEEENSB_INSC_IdEEEESG_dNS9_4plusIvEENS9_8equal_toIvEEdEE10hipError_tPvRmT2_T3_T4_T5_mT6_T7_P12ihipStream_tbENKUlT_T0_E_clISt17integral_constantIbLb1EES11_EEDaSW_SX_EUlSW_E_NS1_11comp_targetILNS1_3genE10ELNS1_11target_archE1201ELNS1_3gpuE5ELNS1_3repE0EEENS1_30default_config_static_selectorELNS0_4arch9wavefront6targetE0EEEvT1_
		.amdhsa_group_segment_fixed_size 0
		.amdhsa_private_segment_fixed_size 0
		.amdhsa_kernarg_size 136
		.amdhsa_user_sgpr_count 6
		.amdhsa_user_sgpr_private_segment_buffer 1
		.amdhsa_user_sgpr_dispatch_ptr 0
		.amdhsa_user_sgpr_queue_ptr 0
		.amdhsa_user_sgpr_kernarg_segment_ptr 1
		.amdhsa_user_sgpr_dispatch_id 0
		.amdhsa_user_sgpr_flat_scratch_init 0
		.amdhsa_user_sgpr_private_segment_size 0
		.amdhsa_wavefront_size32 1
		.amdhsa_uses_dynamic_stack 0
		.amdhsa_system_sgpr_private_segment_wavefront_offset 0
		.amdhsa_system_sgpr_workgroup_id_x 1
		.amdhsa_system_sgpr_workgroup_id_y 0
		.amdhsa_system_sgpr_workgroup_id_z 0
		.amdhsa_system_sgpr_workgroup_info 0
		.amdhsa_system_vgpr_workitem_id 0
		.amdhsa_next_free_vgpr 1
		.amdhsa_next_free_sgpr 1
		.amdhsa_reserve_vcc 0
		.amdhsa_reserve_flat_scratch 0
		.amdhsa_float_round_mode_32 0
		.amdhsa_float_round_mode_16_64 0
		.amdhsa_float_denorm_mode_32 3
		.amdhsa_float_denorm_mode_16_64 3
		.amdhsa_dx10_clamp 1
		.amdhsa_ieee_mode 1
		.amdhsa_fp16_overflow 0
		.amdhsa_workgroup_processor_mode 1
		.amdhsa_memory_ordered 1
		.amdhsa_forward_progress 1
		.amdhsa_shared_vgpr_count 0
		.amdhsa_exception_fp_ieee_invalid_op 0
		.amdhsa_exception_fp_denorm_src 0
		.amdhsa_exception_fp_ieee_div_zero 0
		.amdhsa_exception_fp_ieee_overflow 0
		.amdhsa_exception_fp_ieee_underflow 0
		.amdhsa_exception_fp_ieee_inexact 0
		.amdhsa_exception_int_div_zero 0
	.end_amdhsa_kernel
	.section	.text._ZN7rocprim17ROCPRIM_400000_NS6detail17trampoline_kernelINS0_14default_configENS1_27scan_by_key_config_selectorIidEEZZNS1_16scan_by_key_implILNS1_25lookback_scan_determinismE0ELb1ES3_N6thrust23THRUST_200600_302600_NS6detail15normal_iteratorINS9_10device_ptrIiEEEENSB_INSC_IdEEEESG_dNS9_4plusIvEENS9_8equal_toIvEEdEE10hipError_tPvRmT2_T3_T4_T5_mT6_T7_P12ihipStream_tbENKUlT_T0_E_clISt17integral_constantIbLb1EES11_EEDaSW_SX_EUlSW_E_NS1_11comp_targetILNS1_3genE10ELNS1_11target_archE1201ELNS1_3gpuE5ELNS1_3repE0EEENS1_30default_config_static_selectorELNS0_4arch9wavefront6targetE0EEEvT1_,"axG",@progbits,_ZN7rocprim17ROCPRIM_400000_NS6detail17trampoline_kernelINS0_14default_configENS1_27scan_by_key_config_selectorIidEEZZNS1_16scan_by_key_implILNS1_25lookback_scan_determinismE0ELb1ES3_N6thrust23THRUST_200600_302600_NS6detail15normal_iteratorINS9_10device_ptrIiEEEENSB_INSC_IdEEEESG_dNS9_4plusIvEENS9_8equal_toIvEEdEE10hipError_tPvRmT2_T3_T4_T5_mT6_T7_P12ihipStream_tbENKUlT_T0_E_clISt17integral_constantIbLb1EES11_EEDaSW_SX_EUlSW_E_NS1_11comp_targetILNS1_3genE10ELNS1_11target_archE1201ELNS1_3gpuE5ELNS1_3repE0EEENS1_30default_config_static_selectorELNS0_4arch9wavefront6targetE0EEEvT1_,comdat
.Lfunc_end1401:
	.size	_ZN7rocprim17ROCPRIM_400000_NS6detail17trampoline_kernelINS0_14default_configENS1_27scan_by_key_config_selectorIidEEZZNS1_16scan_by_key_implILNS1_25lookback_scan_determinismE0ELb1ES3_N6thrust23THRUST_200600_302600_NS6detail15normal_iteratorINS9_10device_ptrIiEEEENSB_INSC_IdEEEESG_dNS9_4plusIvEENS9_8equal_toIvEEdEE10hipError_tPvRmT2_T3_T4_T5_mT6_T7_P12ihipStream_tbENKUlT_T0_E_clISt17integral_constantIbLb1EES11_EEDaSW_SX_EUlSW_E_NS1_11comp_targetILNS1_3genE10ELNS1_11target_archE1201ELNS1_3gpuE5ELNS1_3repE0EEENS1_30default_config_static_selectorELNS0_4arch9wavefront6targetE0EEEvT1_, .Lfunc_end1401-_ZN7rocprim17ROCPRIM_400000_NS6detail17trampoline_kernelINS0_14default_configENS1_27scan_by_key_config_selectorIidEEZZNS1_16scan_by_key_implILNS1_25lookback_scan_determinismE0ELb1ES3_N6thrust23THRUST_200600_302600_NS6detail15normal_iteratorINS9_10device_ptrIiEEEENSB_INSC_IdEEEESG_dNS9_4plusIvEENS9_8equal_toIvEEdEE10hipError_tPvRmT2_T3_T4_T5_mT6_T7_P12ihipStream_tbENKUlT_T0_E_clISt17integral_constantIbLb1EES11_EEDaSW_SX_EUlSW_E_NS1_11comp_targetILNS1_3genE10ELNS1_11target_archE1201ELNS1_3gpuE5ELNS1_3repE0EEENS1_30default_config_static_selectorELNS0_4arch9wavefront6targetE0EEEvT1_
                                        ; -- End function
	.set _ZN7rocprim17ROCPRIM_400000_NS6detail17trampoline_kernelINS0_14default_configENS1_27scan_by_key_config_selectorIidEEZZNS1_16scan_by_key_implILNS1_25lookback_scan_determinismE0ELb1ES3_N6thrust23THRUST_200600_302600_NS6detail15normal_iteratorINS9_10device_ptrIiEEEENSB_INSC_IdEEEESG_dNS9_4plusIvEENS9_8equal_toIvEEdEE10hipError_tPvRmT2_T3_T4_T5_mT6_T7_P12ihipStream_tbENKUlT_T0_E_clISt17integral_constantIbLb1EES11_EEDaSW_SX_EUlSW_E_NS1_11comp_targetILNS1_3genE10ELNS1_11target_archE1201ELNS1_3gpuE5ELNS1_3repE0EEENS1_30default_config_static_selectorELNS0_4arch9wavefront6targetE0EEEvT1_.num_vgpr, 0
	.set _ZN7rocprim17ROCPRIM_400000_NS6detail17trampoline_kernelINS0_14default_configENS1_27scan_by_key_config_selectorIidEEZZNS1_16scan_by_key_implILNS1_25lookback_scan_determinismE0ELb1ES3_N6thrust23THRUST_200600_302600_NS6detail15normal_iteratorINS9_10device_ptrIiEEEENSB_INSC_IdEEEESG_dNS9_4plusIvEENS9_8equal_toIvEEdEE10hipError_tPvRmT2_T3_T4_T5_mT6_T7_P12ihipStream_tbENKUlT_T0_E_clISt17integral_constantIbLb1EES11_EEDaSW_SX_EUlSW_E_NS1_11comp_targetILNS1_3genE10ELNS1_11target_archE1201ELNS1_3gpuE5ELNS1_3repE0EEENS1_30default_config_static_selectorELNS0_4arch9wavefront6targetE0EEEvT1_.num_agpr, 0
	.set _ZN7rocprim17ROCPRIM_400000_NS6detail17trampoline_kernelINS0_14default_configENS1_27scan_by_key_config_selectorIidEEZZNS1_16scan_by_key_implILNS1_25lookback_scan_determinismE0ELb1ES3_N6thrust23THRUST_200600_302600_NS6detail15normal_iteratorINS9_10device_ptrIiEEEENSB_INSC_IdEEEESG_dNS9_4plusIvEENS9_8equal_toIvEEdEE10hipError_tPvRmT2_T3_T4_T5_mT6_T7_P12ihipStream_tbENKUlT_T0_E_clISt17integral_constantIbLb1EES11_EEDaSW_SX_EUlSW_E_NS1_11comp_targetILNS1_3genE10ELNS1_11target_archE1201ELNS1_3gpuE5ELNS1_3repE0EEENS1_30default_config_static_selectorELNS0_4arch9wavefront6targetE0EEEvT1_.numbered_sgpr, 0
	.set _ZN7rocprim17ROCPRIM_400000_NS6detail17trampoline_kernelINS0_14default_configENS1_27scan_by_key_config_selectorIidEEZZNS1_16scan_by_key_implILNS1_25lookback_scan_determinismE0ELb1ES3_N6thrust23THRUST_200600_302600_NS6detail15normal_iteratorINS9_10device_ptrIiEEEENSB_INSC_IdEEEESG_dNS9_4plusIvEENS9_8equal_toIvEEdEE10hipError_tPvRmT2_T3_T4_T5_mT6_T7_P12ihipStream_tbENKUlT_T0_E_clISt17integral_constantIbLb1EES11_EEDaSW_SX_EUlSW_E_NS1_11comp_targetILNS1_3genE10ELNS1_11target_archE1201ELNS1_3gpuE5ELNS1_3repE0EEENS1_30default_config_static_selectorELNS0_4arch9wavefront6targetE0EEEvT1_.num_named_barrier, 0
	.set _ZN7rocprim17ROCPRIM_400000_NS6detail17trampoline_kernelINS0_14default_configENS1_27scan_by_key_config_selectorIidEEZZNS1_16scan_by_key_implILNS1_25lookback_scan_determinismE0ELb1ES3_N6thrust23THRUST_200600_302600_NS6detail15normal_iteratorINS9_10device_ptrIiEEEENSB_INSC_IdEEEESG_dNS9_4plusIvEENS9_8equal_toIvEEdEE10hipError_tPvRmT2_T3_T4_T5_mT6_T7_P12ihipStream_tbENKUlT_T0_E_clISt17integral_constantIbLb1EES11_EEDaSW_SX_EUlSW_E_NS1_11comp_targetILNS1_3genE10ELNS1_11target_archE1201ELNS1_3gpuE5ELNS1_3repE0EEENS1_30default_config_static_selectorELNS0_4arch9wavefront6targetE0EEEvT1_.private_seg_size, 0
	.set _ZN7rocprim17ROCPRIM_400000_NS6detail17trampoline_kernelINS0_14default_configENS1_27scan_by_key_config_selectorIidEEZZNS1_16scan_by_key_implILNS1_25lookback_scan_determinismE0ELb1ES3_N6thrust23THRUST_200600_302600_NS6detail15normal_iteratorINS9_10device_ptrIiEEEENSB_INSC_IdEEEESG_dNS9_4plusIvEENS9_8equal_toIvEEdEE10hipError_tPvRmT2_T3_T4_T5_mT6_T7_P12ihipStream_tbENKUlT_T0_E_clISt17integral_constantIbLb1EES11_EEDaSW_SX_EUlSW_E_NS1_11comp_targetILNS1_3genE10ELNS1_11target_archE1201ELNS1_3gpuE5ELNS1_3repE0EEENS1_30default_config_static_selectorELNS0_4arch9wavefront6targetE0EEEvT1_.uses_vcc, 0
	.set _ZN7rocprim17ROCPRIM_400000_NS6detail17trampoline_kernelINS0_14default_configENS1_27scan_by_key_config_selectorIidEEZZNS1_16scan_by_key_implILNS1_25lookback_scan_determinismE0ELb1ES3_N6thrust23THRUST_200600_302600_NS6detail15normal_iteratorINS9_10device_ptrIiEEEENSB_INSC_IdEEEESG_dNS9_4plusIvEENS9_8equal_toIvEEdEE10hipError_tPvRmT2_T3_T4_T5_mT6_T7_P12ihipStream_tbENKUlT_T0_E_clISt17integral_constantIbLb1EES11_EEDaSW_SX_EUlSW_E_NS1_11comp_targetILNS1_3genE10ELNS1_11target_archE1201ELNS1_3gpuE5ELNS1_3repE0EEENS1_30default_config_static_selectorELNS0_4arch9wavefront6targetE0EEEvT1_.uses_flat_scratch, 0
	.set _ZN7rocprim17ROCPRIM_400000_NS6detail17trampoline_kernelINS0_14default_configENS1_27scan_by_key_config_selectorIidEEZZNS1_16scan_by_key_implILNS1_25lookback_scan_determinismE0ELb1ES3_N6thrust23THRUST_200600_302600_NS6detail15normal_iteratorINS9_10device_ptrIiEEEENSB_INSC_IdEEEESG_dNS9_4plusIvEENS9_8equal_toIvEEdEE10hipError_tPvRmT2_T3_T4_T5_mT6_T7_P12ihipStream_tbENKUlT_T0_E_clISt17integral_constantIbLb1EES11_EEDaSW_SX_EUlSW_E_NS1_11comp_targetILNS1_3genE10ELNS1_11target_archE1201ELNS1_3gpuE5ELNS1_3repE0EEENS1_30default_config_static_selectorELNS0_4arch9wavefront6targetE0EEEvT1_.has_dyn_sized_stack, 0
	.set _ZN7rocprim17ROCPRIM_400000_NS6detail17trampoline_kernelINS0_14default_configENS1_27scan_by_key_config_selectorIidEEZZNS1_16scan_by_key_implILNS1_25lookback_scan_determinismE0ELb1ES3_N6thrust23THRUST_200600_302600_NS6detail15normal_iteratorINS9_10device_ptrIiEEEENSB_INSC_IdEEEESG_dNS9_4plusIvEENS9_8equal_toIvEEdEE10hipError_tPvRmT2_T3_T4_T5_mT6_T7_P12ihipStream_tbENKUlT_T0_E_clISt17integral_constantIbLb1EES11_EEDaSW_SX_EUlSW_E_NS1_11comp_targetILNS1_3genE10ELNS1_11target_archE1201ELNS1_3gpuE5ELNS1_3repE0EEENS1_30default_config_static_selectorELNS0_4arch9wavefront6targetE0EEEvT1_.has_recursion, 0
	.set _ZN7rocprim17ROCPRIM_400000_NS6detail17trampoline_kernelINS0_14default_configENS1_27scan_by_key_config_selectorIidEEZZNS1_16scan_by_key_implILNS1_25lookback_scan_determinismE0ELb1ES3_N6thrust23THRUST_200600_302600_NS6detail15normal_iteratorINS9_10device_ptrIiEEEENSB_INSC_IdEEEESG_dNS9_4plusIvEENS9_8equal_toIvEEdEE10hipError_tPvRmT2_T3_T4_T5_mT6_T7_P12ihipStream_tbENKUlT_T0_E_clISt17integral_constantIbLb1EES11_EEDaSW_SX_EUlSW_E_NS1_11comp_targetILNS1_3genE10ELNS1_11target_archE1201ELNS1_3gpuE5ELNS1_3repE0EEENS1_30default_config_static_selectorELNS0_4arch9wavefront6targetE0EEEvT1_.has_indirect_call, 0
	.section	.AMDGPU.csdata,"",@progbits
; Kernel info:
; codeLenInByte = 0
; TotalNumSgprs: 0
; NumVgprs: 0
; ScratchSize: 0
; MemoryBound: 0
; FloatMode: 240
; IeeeMode: 1
; LDSByteSize: 0 bytes/workgroup (compile time only)
; SGPRBlocks: 0
; VGPRBlocks: 0
; NumSGPRsForWavesPerEU: 1
; NumVGPRsForWavesPerEU: 1
; Occupancy: 16
; WaveLimiterHint : 0
; COMPUTE_PGM_RSRC2:SCRATCH_EN: 0
; COMPUTE_PGM_RSRC2:USER_SGPR: 6
; COMPUTE_PGM_RSRC2:TRAP_HANDLER: 0
; COMPUTE_PGM_RSRC2:TGID_X_EN: 1
; COMPUTE_PGM_RSRC2:TGID_Y_EN: 0
; COMPUTE_PGM_RSRC2:TGID_Z_EN: 0
; COMPUTE_PGM_RSRC2:TIDIG_COMP_CNT: 0
	.section	.text._ZN7rocprim17ROCPRIM_400000_NS6detail17trampoline_kernelINS0_14default_configENS1_27scan_by_key_config_selectorIidEEZZNS1_16scan_by_key_implILNS1_25lookback_scan_determinismE0ELb1ES3_N6thrust23THRUST_200600_302600_NS6detail15normal_iteratorINS9_10device_ptrIiEEEENSB_INSC_IdEEEESG_dNS9_4plusIvEENS9_8equal_toIvEEdEE10hipError_tPvRmT2_T3_T4_T5_mT6_T7_P12ihipStream_tbENKUlT_T0_E_clISt17integral_constantIbLb1EES11_EEDaSW_SX_EUlSW_E_NS1_11comp_targetILNS1_3genE5ELNS1_11target_archE942ELNS1_3gpuE9ELNS1_3repE0EEENS1_30default_config_static_selectorELNS0_4arch9wavefront6targetE0EEEvT1_,"axG",@progbits,_ZN7rocprim17ROCPRIM_400000_NS6detail17trampoline_kernelINS0_14default_configENS1_27scan_by_key_config_selectorIidEEZZNS1_16scan_by_key_implILNS1_25lookback_scan_determinismE0ELb1ES3_N6thrust23THRUST_200600_302600_NS6detail15normal_iteratorINS9_10device_ptrIiEEEENSB_INSC_IdEEEESG_dNS9_4plusIvEENS9_8equal_toIvEEdEE10hipError_tPvRmT2_T3_T4_T5_mT6_T7_P12ihipStream_tbENKUlT_T0_E_clISt17integral_constantIbLb1EES11_EEDaSW_SX_EUlSW_E_NS1_11comp_targetILNS1_3genE5ELNS1_11target_archE942ELNS1_3gpuE9ELNS1_3repE0EEENS1_30default_config_static_selectorELNS0_4arch9wavefront6targetE0EEEvT1_,comdat
	.protected	_ZN7rocprim17ROCPRIM_400000_NS6detail17trampoline_kernelINS0_14default_configENS1_27scan_by_key_config_selectorIidEEZZNS1_16scan_by_key_implILNS1_25lookback_scan_determinismE0ELb1ES3_N6thrust23THRUST_200600_302600_NS6detail15normal_iteratorINS9_10device_ptrIiEEEENSB_INSC_IdEEEESG_dNS9_4plusIvEENS9_8equal_toIvEEdEE10hipError_tPvRmT2_T3_T4_T5_mT6_T7_P12ihipStream_tbENKUlT_T0_E_clISt17integral_constantIbLb1EES11_EEDaSW_SX_EUlSW_E_NS1_11comp_targetILNS1_3genE5ELNS1_11target_archE942ELNS1_3gpuE9ELNS1_3repE0EEENS1_30default_config_static_selectorELNS0_4arch9wavefront6targetE0EEEvT1_ ; -- Begin function _ZN7rocprim17ROCPRIM_400000_NS6detail17trampoline_kernelINS0_14default_configENS1_27scan_by_key_config_selectorIidEEZZNS1_16scan_by_key_implILNS1_25lookback_scan_determinismE0ELb1ES3_N6thrust23THRUST_200600_302600_NS6detail15normal_iteratorINS9_10device_ptrIiEEEENSB_INSC_IdEEEESG_dNS9_4plusIvEENS9_8equal_toIvEEdEE10hipError_tPvRmT2_T3_T4_T5_mT6_T7_P12ihipStream_tbENKUlT_T0_E_clISt17integral_constantIbLb1EES11_EEDaSW_SX_EUlSW_E_NS1_11comp_targetILNS1_3genE5ELNS1_11target_archE942ELNS1_3gpuE9ELNS1_3repE0EEENS1_30default_config_static_selectorELNS0_4arch9wavefront6targetE0EEEvT1_
	.globl	_ZN7rocprim17ROCPRIM_400000_NS6detail17trampoline_kernelINS0_14default_configENS1_27scan_by_key_config_selectorIidEEZZNS1_16scan_by_key_implILNS1_25lookback_scan_determinismE0ELb1ES3_N6thrust23THRUST_200600_302600_NS6detail15normal_iteratorINS9_10device_ptrIiEEEENSB_INSC_IdEEEESG_dNS9_4plusIvEENS9_8equal_toIvEEdEE10hipError_tPvRmT2_T3_T4_T5_mT6_T7_P12ihipStream_tbENKUlT_T0_E_clISt17integral_constantIbLb1EES11_EEDaSW_SX_EUlSW_E_NS1_11comp_targetILNS1_3genE5ELNS1_11target_archE942ELNS1_3gpuE9ELNS1_3repE0EEENS1_30default_config_static_selectorELNS0_4arch9wavefront6targetE0EEEvT1_
	.p2align	8
	.type	_ZN7rocprim17ROCPRIM_400000_NS6detail17trampoline_kernelINS0_14default_configENS1_27scan_by_key_config_selectorIidEEZZNS1_16scan_by_key_implILNS1_25lookback_scan_determinismE0ELb1ES3_N6thrust23THRUST_200600_302600_NS6detail15normal_iteratorINS9_10device_ptrIiEEEENSB_INSC_IdEEEESG_dNS9_4plusIvEENS9_8equal_toIvEEdEE10hipError_tPvRmT2_T3_T4_T5_mT6_T7_P12ihipStream_tbENKUlT_T0_E_clISt17integral_constantIbLb1EES11_EEDaSW_SX_EUlSW_E_NS1_11comp_targetILNS1_3genE5ELNS1_11target_archE942ELNS1_3gpuE9ELNS1_3repE0EEENS1_30default_config_static_selectorELNS0_4arch9wavefront6targetE0EEEvT1_,@function
_ZN7rocprim17ROCPRIM_400000_NS6detail17trampoline_kernelINS0_14default_configENS1_27scan_by_key_config_selectorIidEEZZNS1_16scan_by_key_implILNS1_25lookback_scan_determinismE0ELb1ES3_N6thrust23THRUST_200600_302600_NS6detail15normal_iteratorINS9_10device_ptrIiEEEENSB_INSC_IdEEEESG_dNS9_4plusIvEENS9_8equal_toIvEEdEE10hipError_tPvRmT2_T3_T4_T5_mT6_T7_P12ihipStream_tbENKUlT_T0_E_clISt17integral_constantIbLb1EES11_EEDaSW_SX_EUlSW_E_NS1_11comp_targetILNS1_3genE5ELNS1_11target_archE942ELNS1_3gpuE9ELNS1_3repE0EEENS1_30default_config_static_selectorELNS0_4arch9wavefront6targetE0EEEvT1_: ; @_ZN7rocprim17ROCPRIM_400000_NS6detail17trampoline_kernelINS0_14default_configENS1_27scan_by_key_config_selectorIidEEZZNS1_16scan_by_key_implILNS1_25lookback_scan_determinismE0ELb1ES3_N6thrust23THRUST_200600_302600_NS6detail15normal_iteratorINS9_10device_ptrIiEEEENSB_INSC_IdEEEESG_dNS9_4plusIvEENS9_8equal_toIvEEdEE10hipError_tPvRmT2_T3_T4_T5_mT6_T7_P12ihipStream_tbENKUlT_T0_E_clISt17integral_constantIbLb1EES11_EEDaSW_SX_EUlSW_E_NS1_11comp_targetILNS1_3genE5ELNS1_11target_archE942ELNS1_3gpuE9ELNS1_3repE0EEENS1_30default_config_static_selectorELNS0_4arch9wavefront6targetE0EEEvT1_
; %bb.0:
	.section	.rodata,"a",@progbits
	.p2align	6, 0x0
	.amdhsa_kernel _ZN7rocprim17ROCPRIM_400000_NS6detail17trampoline_kernelINS0_14default_configENS1_27scan_by_key_config_selectorIidEEZZNS1_16scan_by_key_implILNS1_25lookback_scan_determinismE0ELb1ES3_N6thrust23THRUST_200600_302600_NS6detail15normal_iteratorINS9_10device_ptrIiEEEENSB_INSC_IdEEEESG_dNS9_4plusIvEENS9_8equal_toIvEEdEE10hipError_tPvRmT2_T3_T4_T5_mT6_T7_P12ihipStream_tbENKUlT_T0_E_clISt17integral_constantIbLb1EES11_EEDaSW_SX_EUlSW_E_NS1_11comp_targetILNS1_3genE5ELNS1_11target_archE942ELNS1_3gpuE9ELNS1_3repE0EEENS1_30default_config_static_selectorELNS0_4arch9wavefront6targetE0EEEvT1_
		.amdhsa_group_segment_fixed_size 0
		.amdhsa_private_segment_fixed_size 0
		.amdhsa_kernarg_size 136
		.amdhsa_user_sgpr_count 6
		.amdhsa_user_sgpr_private_segment_buffer 1
		.amdhsa_user_sgpr_dispatch_ptr 0
		.amdhsa_user_sgpr_queue_ptr 0
		.amdhsa_user_sgpr_kernarg_segment_ptr 1
		.amdhsa_user_sgpr_dispatch_id 0
		.amdhsa_user_sgpr_flat_scratch_init 0
		.amdhsa_user_sgpr_private_segment_size 0
		.amdhsa_wavefront_size32 1
		.amdhsa_uses_dynamic_stack 0
		.amdhsa_system_sgpr_private_segment_wavefront_offset 0
		.amdhsa_system_sgpr_workgroup_id_x 1
		.amdhsa_system_sgpr_workgroup_id_y 0
		.amdhsa_system_sgpr_workgroup_id_z 0
		.amdhsa_system_sgpr_workgroup_info 0
		.amdhsa_system_vgpr_workitem_id 0
		.amdhsa_next_free_vgpr 1
		.amdhsa_next_free_sgpr 1
		.amdhsa_reserve_vcc 0
		.amdhsa_reserve_flat_scratch 0
		.amdhsa_float_round_mode_32 0
		.amdhsa_float_round_mode_16_64 0
		.amdhsa_float_denorm_mode_32 3
		.amdhsa_float_denorm_mode_16_64 3
		.amdhsa_dx10_clamp 1
		.amdhsa_ieee_mode 1
		.amdhsa_fp16_overflow 0
		.amdhsa_workgroup_processor_mode 1
		.amdhsa_memory_ordered 1
		.amdhsa_forward_progress 1
		.amdhsa_shared_vgpr_count 0
		.amdhsa_exception_fp_ieee_invalid_op 0
		.amdhsa_exception_fp_denorm_src 0
		.amdhsa_exception_fp_ieee_div_zero 0
		.amdhsa_exception_fp_ieee_overflow 0
		.amdhsa_exception_fp_ieee_underflow 0
		.amdhsa_exception_fp_ieee_inexact 0
		.amdhsa_exception_int_div_zero 0
	.end_amdhsa_kernel
	.section	.text._ZN7rocprim17ROCPRIM_400000_NS6detail17trampoline_kernelINS0_14default_configENS1_27scan_by_key_config_selectorIidEEZZNS1_16scan_by_key_implILNS1_25lookback_scan_determinismE0ELb1ES3_N6thrust23THRUST_200600_302600_NS6detail15normal_iteratorINS9_10device_ptrIiEEEENSB_INSC_IdEEEESG_dNS9_4plusIvEENS9_8equal_toIvEEdEE10hipError_tPvRmT2_T3_T4_T5_mT6_T7_P12ihipStream_tbENKUlT_T0_E_clISt17integral_constantIbLb1EES11_EEDaSW_SX_EUlSW_E_NS1_11comp_targetILNS1_3genE5ELNS1_11target_archE942ELNS1_3gpuE9ELNS1_3repE0EEENS1_30default_config_static_selectorELNS0_4arch9wavefront6targetE0EEEvT1_,"axG",@progbits,_ZN7rocprim17ROCPRIM_400000_NS6detail17trampoline_kernelINS0_14default_configENS1_27scan_by_key_config_selectorIidEEZZNS1_16scan_by_key_implILNS1_25lookback_scan_determinismE0ELb1ES3_N6thrust23THRUST_200600_302600_NS6detail15normal_iteratorINS9_10device_ptrIiEEEENSB_INSC_IdEEEESG_dNS9_4plusIvEENS9_8equal_toIvEEdEE10hipError_tPvRmT2_T3_T4_T5_mT6_T7_P12ihipStream_tbENKUlT_T0_E_clISt17integral_constantIbLb1EES11_EEDaSW_SX_EUlSW_E_NS1_11comp_targetILNS1_3genE5ELNS1_11target_archE942ELNS1_3gpuE9ELNS1_3repE0EEENS1_30default_config_static_selectorELNS0_4arch9wavefront6targetE0EEEvT1_,comdat
.Lfunc_end1402:
	.size	_ZN7rocprim17ROCPRIM_400000_NS6detail17trampoline_kernelINS0_14default_configENS1_27scan_by_key_config_selectorIidEEZZNS1_16scan_by_key_implILNS1_25lookback_scan_determinismE0ELb1ES3_N6thrust23THRUST_200600_302600_NS6detail15normal_iteratorINS9_10device_ptrIiEEEENSB_INSC_IdEEEESG_dNS9_4plusIvEENS9_8equal_toIvEEdEE10hipError_tPvRmT2_T3_T4_T5_mT6_T7_P12ihipStream_tbENKUlT_T0_E_clISt17integral_constantIbLb1EES11_EEDaSW_SX_EUlSW_E_NS1_11comp_targetILNS1_3genE5ELNS1_11target_archE942ELNS1_3gpuE9ELNS1_3repE0EEENS1_30default_config_static_selectorELNS0_4arch9wavefront6targetE0EEEvT1_, .Lfunc_end1402-_ZN7rocprim17ROCPRIM_400000_NS6detail17trampoline_kernelINS0_14default_configENS1_27scan_by_key_config_selectorIidEEZZNS1_16scan_by_key_implILNS1_25lookback_scan_determinismE0ELb1ES3_N6thrust23THRUST_200600_302600_NS6detail15normal_iteratorINS9_10device_ptrIiEEEENSB_INSC_IdEEEESG_dNS9_4plusIvEENS9_8equal_toIvEEdEE10hipError_tPvRmT2_T3_T4_T5_mT6_T7_P12ihipStream_tbENKUlT_T0_E_clISt17integral_constantIbLb1EES11_EEDaSW_SX_EUlSW_E_NS1_11comp_targetILNS1_3genE5ELNS1_11target_archE942ELNS1_3gpuE9ELNS1_3repE0EEENS1_30default_config_static_selectorELNS0_4arch9wavefront6targetE0EEEvT1_
                                        ; -- End function
	.set _ZN7rocprim17ROCPRIM_400000_NS6detail17trampoline_kernelINS0_14default_configENS1_27scan_by_key_config_selectorIidEEZZNS1_16scan_by_key_implILNS1_25lookback_scan_determinismE0ELb1ES3_N6thrust23THRUST_200600_302600_NS6detail15normal_iteratorINS9_10device_ptrIiEEEENSB_INSC_IdEEEESG_dNS9_4plusIvEENS9_8equal_toIvEEdEE10hipError_tPvRmT2_T3_T4_T5_mT6_T7_P12ihipStream_tbENKUlT_T0_E_clISt17integral_constantIbLb1EES11_EEDaSW_SX_EUlSW_E_NS1_11comp_targetILNS1_3genE5ELNS1_11target_archE942ELNS1_3gpuE9ELNS1_3repE0EEENS1_30default_config_static_selectorELNS0_4arch9wavefront6targetE0EEEvT1_.num_vgpr, 0
	.set _ZN7rocprim17ROCPRIM_400000_NS6detail17trampoline_kernelINS0_14default_configENS1_27scan_by_key_config_selectorIidEEZZNS1_16scan_by_key_implILNS1_25lookback_scan_determinismE0ELb1ES3_N6thrust23THRUST_200600_302600_NS6detail15normal_iteratorINS9_10device_ptrIiEEEENSB_INSC_IdEEEESG_dNS9_4plusIvEENS9_8equal_toIvEEdEE10hipError_tPvRmT2_T3_T4_T5_mT6_T7_P12ihipStream_tbENKUlT_T0_E_clISt17integral_constantIbLb1EES11_EEDaSW_SX_EUlSW_E_NS1_11comp_targetILNS1_3genE5ELNS1_11target_archE942ELNS1_3gpuE9ELNS1_3repE0EEENS1_30default_config_static_selectorELNS0_4arch9wavefront6targetE0EEEvT1_.num_agpr, 0
	.set _ZN7rocprim17ROCPRIM_400000_NS6detail17trampoline_kernelINS0_14default_configENS1_27scan_by_key_config_selectorIidEEZZNS1_16scan_by_key_implILNS1_25lookback_scan_determinismE0ELb1ES3_N6thrust23THRUST_200600_302600_NS6detail15normal_iteratorINS9_10device_ptrIiEEEENSB_INSC_IdEEEESG_dNS9_4plusIvEENS9_8equal_toIvEEdEE10hipError_tPvRmT2_T3_T4_T5_mT6_T7_P12ihipStream_tbENKUlT_T0_E_clISt17integral_constantIbLb1EES11_EEDaSW_SX_EUlSW_E_NS1_11comp_targetILNS1_3genE5ELNS1_11target_archE942ELNS1_3gpuE9ELNS1_3repE0EEENS1_30default_config_static_selectorELNS0_4arch9wavefront6targetE0EEEvT1_.numbered_sgpr, 0
	.set _ZN7rocprim17ROCPRIM_400000_NS6detail17trampoline_kernelINS0_14default_configENS1_27scan_by_key_config_selectorIidEEZZNS1_16scan_by_key_implILNS1_25lookback_scan_determinismE0ELb1ES3_N6thrust23THRUST_200600_302600_NS6detail15normal_iteratorINS9_10device_ptrIiEEEENSB_INSC_IdEEEESG_dNS9_4plusIvEENS9_8equal_toIvEEdEE10hipError_tPvRmT2_T3_T4_T5_mT6_T7_P12ihipStream_tbENKUlT_T0_E_clISt17integral_constantIbLb1EES11_EEDaSW_SX_EUlSW_E_NS1_11comp_targetILNS1_3genE5ELNS1_11target_archE942ELNS1_3gpuE9ELNS1_3repE0EEENS1_30default_config_static_selectorELNS0_4arch9wavefront6targetE0EEEvT1_.num_named_barrier, 0
	.set _ZN7rocprim17ROCPRIM_400000_NS6detail17trampoline_kernelINS0_14default_configENS1_27scan_by_key_config_selectorIidEEZZNS1_16scan_by_key_implILNS1_25lookback_scan_determinismE0ELb1ES3_N6thrust23THRUST_200600_302600_NS6detail15normal_iteratorINS9_10device_ptrIiEEEENSB_INSC_IdEEEESG_dNS9_4plusIvEENS9_8equal_toIvEEdEE10hipError_tPvRmT2_T3_T4_T5_mT6_T7_P12ihipStream_tbENKUlT_T0_E_clISt17integral_constantIbLb1EES11_EEDaSW_SX_EUlSW_E_NS1_11comp_targetILNS1_3genE5ELNS1_11target_archE942ELNS1_3gpuE9ELNS1_3repE0EEENS1_30default_config_static_selectorELNS0_4arch9wavefront6targetE0EEEvT1_.private_seg_size, 0
	.set _ZN7rocprim17ROCPRIM_400000_NS6detail17trampoline_kernelINS0_14default_configENS1_27scan_by_key_config_selectorIidEEZZNS1_16scan_by_key_implILNS1_25lookback_scan_determinismE0ELb1ES3_N6thrust23THRUST_200600_302600_NS6detail15normal_iteratorINS9_10device_ptrIiEEEENSB_INSC_IdEEEESG_dNS9_4plusIvEENS9_8equal_toIvEEdEE10hipError_tPvRmT2_T3_T4_T5_mT6_T7_P12ihipStream_tbENKUlT_T0_E_clISt17integral_constantIbLb1EES11_EEDaSW_SX_EUlSW_E_NS1_11comp_targetILNS1_3genE5ELNS1_11target_archE942ELNS1_3gpuE9ELNS1_3repE0EEENS1_30default_config_static_selectorELNS0_4arch9wavefront6targetE0EEEvT1_.uses_vcc, 0
	.set _ZN7rocprim17ROCPRIM_400000_NS6detail17trampoline_kernelINS0_14default_configENS1_27scan_by_key_config_selectorIidEEZZNS1_16scan_by_key_implILNS1_25lookback_scan_determinismE0ELb1ES3_N6thrust23THRUST_200600_302600_NS6detail15normal_iteratorINS9_10device_ptrIiEEEENSB_INSC_IdEEEESG_dNS9_4plusIvEENS9_8equal_toIvEEdEE10hipError_tPvRmT2_T3_T4_T5_mT6_T7_P12ihipStream_tbENKUlT_T0_E_clISt17integral_constantIbLb1EES11_EEDaSW_SX_EUlSW_E_NS1_11comp_targetILNS1_3genE5ELNS1_11target_archE942ELNS1_3gpuE9ELNS1_3repE0EEENS1_30default_config_static_selectorELNS0_4arch9wavefront6targetE0EEEvT1_.uses_flat_scratch, 0
	.set _ZN7rocprim17ROCPRIM_400000_NS6detail17trampoline_kernelINS0_14default_configENS1_27scan_by_key_config_selectorIidEEZZNS1_16scan_by_key_implILNS1_25lookback_scan_determinismE0ELb1ES3_N6thrust23THRUST_200600_302600_NS6detail15normal_iteratorINS9_10device_ptrIiEEEENSB_INSC_IdEEEESG_dNS9_4plusIvEENS9_8equal_toIvEEdEE10hipError_tPvRmT2_T3_T4_T5_mT6_T7_P12ihipStream_tbENKUlT_T0_E_clISt17integral_constantIbLb1EES11_EEDaSW_SX_EUlSW_E_NS1_11comp_targetILNS1_3genE5ELNS1_11target_archE942ELNS1_3gpuE9ELNS1_3repE0EEENS1_30default_config_static_selectorELNS0_4arch9wavefront6targetE0EEEvT1_.has_dyn_sized_stack, 0
	.set _ZN7rocprim17ROCPRIM_400000_NS6detail17trampoline_kernelINS0_14default_configENS1_27scan_by_key_config_selectorIidEEZZNS1_16scan_by_key_implILNS1_25lookback_scan_determinismE0ELb1ES3_N6thrust23THRUST_200600_302600_NS6detail15normal_iteratorINS9_10device_ptrIiEEEENSB_INSC_IdEEEESG_dNS9_4plusIvEENS9_8equal_toIvEEdEE10hipError_tPvRmT2_T3_T4_T5_mT6_T7_P12ihipStream_tbENKUlT_T0_E_clISt17integral_constantIbLb1EES11_EEDaSW_SX_EUlSW_E_NS1_11comp_targetILNS1_3genE5ELNS1_11target_archE942ELNS1_3gpuE9ELNS1_3repE0EEENS1_30default_config_static_selectorELNS0_4arch9wavefront6targetE0EEEvT1_.has_recursion, 0
	.set _ZN7rocprim17ROCPRIM_400000_NS6detail17trampoline_kernelINS0_14default_configENS1_27scan_by_key_config_selectorIidEEZZNS1_16scan_by_key_implILNS1_25lookback_scan_determinismE0ELb1ES3_N6thrust23THRUST_200600_302600_NS6detail15normal_iteratorINS9_10device_ptrIiEEEENSB_INSC_IdEEEESG_dNS9_4plusIvEENS9_8equal_toIvEEdEE10hipError_tPvRmT2_T3_T4_T5_mT6_T7_P12ihipStream_tbENKUlT_T0_E_clISt17integral_constantIbLb1EES11_EEDaSW_SX_EUlSW_E_NS1_11comp_targetILNS1_3genE5ELNS1_11target_archE942ELNS1_3gpuE9ELNS1_3repE0EEENS1_30default_config_static_selectorELNS0_4arch9wavefront6targetE0EEEvT1_.has_indirect_call, 0
	.section	.AMDGPU.csdata,"",@progbits
; Kernel info:
; codeLenInByte = 0
; TotalNumSgprs: 0
; NumVgprs: 0
; ScratchSize: 0
; MemoryBound: 0
; FloatMode: 240
; IeeeMode: 1
; LDSByteSize: 0 bytes/workgroup (compile time only)
; SGPRBlocks: 0
; VGPRBlocks: 0
; NumSGPRsForWavesPerEU: 1
; NumVGPRsForWavesPerEU: 1
; Occupancy: 16
; WaveLimiterHint : 0
; COMPUTE_PGM_RSRC2:SCRATCH_EN: 0
; COMPUTE_PGM_RSRC2:USER_SGPR: 6
; COMPUTE_PGM_RSRC2:TRAP_HANDLER: 0
; COMPUTE_PGM_RSRC2:TGID_X_EN: 1
; COMPUTE_PGM_RSRC2:TGID_Y_EN: 0
; COMPUTE_PGM_RSRC2:TGID_Z_EN: 0
; COMPUTE_PGM_RSRC2:TIDIG_COMP_CNT: 0
	.section	.text._ZN7rocprim17ROCPRIM_400000_NS6detail17trampoline_kernelINS0_14default_configENS1_27scan_by_key_config_selectorIidEEZZNS1_16scan_by_key_implILNS1_25lookback_scan_determinismE0ELb1ES3_N6thrust23THRUST_200600_302600_NS6detail15normal_iteratorINS9_10device_ptrIiEEEENSB_INSC_IdEEEESG_dNS9_4plusIvEENS9_8equal_toIvEEdEE10hipError_tPvRmT2_T3_T4_T5_mT6_T7_P12ihipStream_tbENKUlT_T0_E_clISt17integral_constantIbLb1EES11_EEDaSW_SX_EUlSW_E_NS1_11comp_targetILNS1_3genE4ELNS1_11target_archE910ELNS1_3gpuE8ELNS1_3repE0EEENS1_30default_config_static_selectorELNS0_4arch9wavefront6targetE0EEEvT1_,"axG",@progbits,_ZN7rocprim17ROCPRIM_400000_NS6detail17trampoline_kernelINS0_14default_configENS1_27scan_by_key_config_selectorIidEEZZNS1_16scan_by_key_implILNS1_25lookback_scan_determinismE0ELb1ES3_N6thrust23THRUST_200600_302600_NS6detail15normal_iteratorINS9_10device_ptrIiEEEENSB_INSC_IdEEEESG_dNS9_4plusIvEENS9_8equal_toIvEEdEE10hipError_tPvRmT2_T3_T4_T5_mT6_T7_P12ihipStream_tbENKUlT_T0_E_clISt17integral_constantIbLb1EES11_EEDaSW_SX_EUlSW_E_NS1_11comp_targetILNS1_3genE4ELNS1_11target_archE910ELNS1_3gpuE8ELNS1_3repE0EEENS1_30default_config_static_selectorELNS0_4arch9wavefront6targetE0EEEvT1_,comdat
	.protected	_ZN7rocprim17ROCPRIM_400000_NS6detail17trampoline_kernelINS0_14default_configENS1_27scan_by_key_config_selectorIidEEZZNS1_16scan_by_key_implILNS1_25lookback_scan_determinismE0ELb1ES3_N6thrust23THRUST_200600_302600_NS6detail15normal_iteratorINS9_10device_ptrIiEEEENSB_INSC_IdEEEESG_dNS9_4plusIvEENS9_8equal_toIvEEdEE10hipError_tPvRmT2_T3_T4_T5_mT6_T7_P12ihipStream_tbENKUlT_T0_E_clISt17integral_constantIbLb1EES11_EEDaSW_SX_EUlSW_E_NS1_11comp_targetILNS1_3genE4ELNS1_11target_archE910ELNS1_3gpuE8ELNS1_3repE0EEENS1_30default_config_static_selectorELNS0_4arch9wavefront6targetE0EEEvT1_ ; -- Begin function _ZN7rocprim17ROCPRIM_400000_NS6detail17trampoline_kernelINS0_14default_configENS1_27scan_by_key_config_selectorIidEEZZNS1_16scan_by_key_implILNS1_25lookback_scan_determinismE0ELb1ES3_N6thrust23THRUST_200600_302600_NS6detail15normal_iteratorINS9_10device_ptrIiEEEENSB_INSC_IdEEEESG_dNS9_4plusIvEENS9_8equal_toIvEEdEE10hipError_tPvRmT2_T3_T4_T5_mT6_T7_P12ihipStream_tbENKUlT_T0_E_clISt17integral_constantIbLb1EES11_EEDaSW_SX_EUlSW_E_NS1_11comp_targetILNS1_3genE4ELNS1_11target_archE910ELNS1_3gpuE8ELNS1_3repE0EEENS1_30default_config_static_selectorELNS0_4arch9wavefront6targetE0EEEvT1_
	.globl	_ZN7rocprim17ROCPRIM_400000_NS6detail17trampoline_kernelINS0_14default_configENS1_27scan_by_key_config_selectorIidEEZZNS1_16scan_by_key_implILNS1_25lookback_scan_determinismE0ELb1ES3_N6thrust23THRUST_200600_302600_NS6detail15normal_iteratorINS9_10device_ptrIiEEEENSB_INSC_IdEEEESG_dNS9_4plusIvEENS9_8equal_toIvEEdEE10hipError_tPvRmT2_T3_T4_T5_mT6_T7_P12ihipStream_tbENKUlT_T0_E_clISt17integral_constantIbLb1EES11_EEDaSW_SX_EUlSW_E_NS1_11comp_targetILNS1_3genE4ELNS1_11target_archE910ELNS1_3gpuE8ELNS1_3repE0EEENS1_30default_config_static_selectorELNS0_4arch9wavefront6targetE0EEEvT1_
	.p2align	8
	.type	_ZN7rocprim17ROCPRIM_400000_NS6detail17trampoline_kernelINS0_14default_configENS1_27scan_by_key_config_selectorIidEEZZNS1_16scan_by_key_implILNS1_25lookback_scan_determinismE0ELb1ES3_N6thrust23THRUST_200600_302600_NS6detail15normal_iteratorINS9_10device_ptrIiEEEENSB_INSC_IdEEEESG_dNS9_4plusIvEENS9_8equal_toIvEEdEE10hipError_tPvRmT2_T3_T4_T5_mT6_T7_P12ihipStream_tbENKUlT_T0_E_clISt17integral_constantIbLb1EES11_EEDaSW_SX_EUlSW_E_NS1_11comp_targetILNS1_3genE4ELNS1_11target_archE910ELNS1_3gpuE8ELNS1_3repE0EEENS1_30default_config_static_selectorELNS0_4arch9wavefront6targetE0EEEvT1_,@function
_ZN7rocprim17ROCPRIM_400000_NS6detail17trampoline_kernelINS0_14default_configENS1_27scan_by_key_config_selectorIidEEZZNS1_16scan_by_key_implILNS1_25lookback_scan_determinismE0ELb1ES3_N6thrust23THRUST_200600_302600_NS6detail15normal_iteratorINS9_10device_ptrIiEEEENSB_INSC_IdEEEESG_dNS9_4plusIvEENS9_8equal_toIvEEdEE10hipError_tPvRmT2_T3_T4_T5_mT6_T7_P12ihipStream_tbENKUlT_T0_E_clISt17integral_constantIbLb1EES11_EEDaSW_SX_EUlSW_E_NS1_11comp_targetILNS1_3genE4ELNS1_11target_archE910ELNS1_3gpuE8ELNS1_3repE0EEENS1_30default_config_static_selectorELNS0_4arch9wavefront6targetE0EEEvT1_: ; @_ZN7rocprim17ROCPRIM_400000_NS6detail17trampoline_kernelINS0_14default_configENS1_27scan_by_key_config_selectorIidEEZZNS1_16scan_by_key_implILNS1_25lookback_scan_determinismE0ELb1ES3_N6thrust23THRUST_200600_302600_NS6detail15normal_iteratorINS9_10device_ptrIiEEEENSB_INSC_IdEEEESG_dNS9_4plusIvEENS9_8equal_toIvEEdEE10hipError_tPvRmT2_T3_T4_T5_mT6_T7_P12ihipStream_tbENKUlT_T0_E_clISt17integral_constantIbLb1EES11_EEDaSW_SX_EUlSW_E_NS1_11comp_targetILNS1_3genE4ELNS1_11target_archE910ELNS1_3gpuE8ELNS1_3repE0EEENS1_30default_config_static_selectorELNS0_4arch9wavefront6targetE0EEEvT1_
; %bb.0:
	.section	.rodata,"a",@progbits
	.p2align	6, 0x0
	.amdhsa_kernel _ZN7rocprim17ROCPRIM_400000_NS6detail17trampoline_kernelINS0_14default_configENS1_27scan_by_key_config_selectorIidEEZZNS1_16scan_by_key_implILNS1_25lookback_scan_determinismE0ELb1ES3_N6thrust23THRUST_200600_302600_NS6detail15normal_iteratorINS9_10device_ptrIiEEEENSB_INSC_IdEEEESG_dNS9_4plusIvEENS9_8equal_toIvEEdEE10hipError_tPvRmT2_T3_T4_T5_mT6_T7_P12ihipStream_tbENKUlT_T0_E_clISt17integral_constantIbLb1EES11_EEDaSW_SX_EUlSW_E_NS1_11comp_targetILNS1_3genE4ELNS1_11target_archE910ELNS1_3gpuE8ELNS1_3repE0EEENS1_30default_config_static_selectorELNS0_4arch9wavefront6targetE0EEEvT1_
		.amdhsa_group_segment_fixed_size 0
		.amdhsa_private_segment_fixed_size 0
		.amdhsa_kernarg_size 136
		.amdhsa_user_sgpr_count 6
		.amdhsa_user_sgpr_private_segment_buffer 1
		.amdhsa_user_sgpr_dispatch_ptr 0
		.amdhsa_user_sgpr_queue_ptr 0
		.amdhsa_user_sgpr_kernarg_segment_ptr 1
		.amdhsa_user_sgpr_dispatch_id 0
		.amdhsa_user_sgpr_flat_scratch_init 0
		.amdhsa_user_sgpr_private_segment_size 0
		.amdhsa_wavefront_size32 1
		.amdhsa_uses_dynamic_stack 0
		.amdhsa_system_sgpr_private_segment_wavefront_offset 0
		.amdhsa_system_sgpr_workgroup_id_x 1
		.amdhsa_system_sgpr_workgroup_id_y 0
		.amdhsa_system_sgpr_workgroup_id_z 0
		.amdhsa_system_sgpr_workgroup_info 0
		.amdhsa_system_vgpr_workitem_id 0
		.amdhsa_next_free_vgpr 1
		.amdhsa_next_free_sgpr 1
		.amdhsa_reserve_vcc 0
		.amdhsa_reserve_flat_scratch 0
		.amdhsa_float_round_mode_32 0
		.amdhsa_float_round_mode_16_64 0
		.amdhsa_float_denorm_mode_32 3
		.amdhsa_float_denorm_mode_16_64 3
		.amdhsa_dx10_clamp 1
		.amdhsa_ieee_mode 1
		.amdhsa_fp16_overflow 0
		.amdhsa_workgroup_processor_mode 1
		.amdhsa_memory_ordered 1
		.amdhsa_forward_progress 1
		.amdhsa_shared_vgpr_count 0
		.amdhsa_exception_fp_ieee_invalid_op 0
		.amdhsa_exception_fp_denorm_src 0
		.amdhsa_exception_fp_ieee_div_zero 0
		.amdhsa_exception_fp_ieee_overflow 0
		.amdhsa_exception_fp_ieee_underflow 0
		.amdhsa_exception_fp_ieee_inexact 0
		.amdhsa_exception_int_div_zero 0
	.end_amdhsa_kernel
	.section	.text._ZN7rocprim17ROCPRIM_400000_NS6detail17trampoline_kernelINS0_14default_configENS1_27scan_by_key_config_selectorIidEEZZNS1_16scan_by_key_implILNS1_25lookback_scan_determinismE0ELb1ES3_N6thrust23THRUST_200600_302600_NS6detail15normal_iteratorINS9_10device_ptrIiEEEENSB_INSC_IdEEEESG_dNS9_4plusIvEENS9_8equal_toIvEEdEE10hipError_tPvRmT2_T3_T4_T5_mT6_T7_P12ihipStream_tbENKUlT_T0_E_clISt17integral_constantIbLb1EES11_EEDaSW_SX_EUlSW_E_NS1_11comp_targetILNS1_3genE4ELNS1_11target_archE910ELNS1_3gpuE8ELNS1_3repE0EEENS1_30default_config_static_selectorELNS0_4arch9wavefront6targetE0EEEvT1_,"axG",@progbits,_ZN7rocprim17ROCPRIM_400000_NS6detail17trampoline_kernelINS0_14default_configENS1_27scan_by_key_config_selectorIidEEZZNS1_16scan_by_key_implILNS1_25lookback_scan_determinismE0ELb1ES3_N6thrust23THRUST_200600_302600_NS6detail15normal_iteratorINS9_10device_ptrIiEEEENSB_INSC_IdEEEESG_dNS9_4plusIvEENS9_8equal_toIvEEdEE10hipError_tPvRmT2_T3_T4_T5_mT6_T7_P12ihipStream_tbENKUlT_T0_E_clISt17integral_constantIbLb1EES11_EEDaSW_SX_EUlSW_E_NS1_11comp_targetILNS1_3genE4ELNS1_11target_archE910ELNS1_3gpuE8ELNS1_3repE0EEENS1_30default_config_static_selectorELNS0_4arch9wavefront6targetE0EEEvT1_,comdat
.Lfunc_end1403:
	.size	_ZN7rocprim17ROCPRIM_400000_NS6detail17trampoline_kernelINS0_14default_configENS1_27scan_by_key_config_selectorIidEEZZNS1_16scan_by_key_implILNS1_25lookback_scan_determinismE0ELb1ES3_N6thrust23THRUST_200600_302600_NS6detail15normal_iteratorINS9_10device_ptrIiEEEENSB_INSC_IdEEEESG_dNS9_4plusIvEENS9_8equal_toIvEEdEE10hipError_tPvRmT2_T3_T4_T5_mT6_T7_P12ihipStream_tbENKUlT_T0_E_clISt17integral_constantIbLb1EES11_EEDaSW_SX_EUlSW_E_NS1_11comp_targetILNS1_3genE4ELNS1_11target_archE910ELNS1_3gpuE8ELNS1_3repE0EEENS1_30default_config_static_selectorELNS0_4arch9wavefront6targetE0EEEvT1_, .Lfunc_end1403-_ZN7rocprim17ROCPRIM_400000_NS6detail17trampoline_kernelINS0_14default_configENS1_27scan_by_key_config_selectorIidEEZZNS1_16scan_by_key_implILNS1_25lookback_scan_determinismE0ELb1ES3_N6thrust23THRUST_200600_302600_NS6detail15normal_iteratorINS9_10device_ptrIiEEEENSB_INSC_IdEEEESG_dNS9_4plusIvEENS9_8equal_toIvEEdEE10hipError_tPvRmT2_T3_T4_T5_mT6_T7_P12ihipStream_tbENKUlT_T0_E_clISt17integral_constantIbLb1EES11_EEDaSW_SX_EUlSW_E_NS1_11comp_targetILNS1_3genE4ELNS1_11target_archE910ELNS1_3gpuE8ELNS1_3repE0EEENS1_30default_config_static_selectorELNS0_4arch9wavefront6targetE0EEEvT1_
                                        ; -- End function
	.set _ZN7rocprim17ROCPRIM_400000_NS6detail17trampoline_kernelINS0_14default_configENS1_27scan_by_key_config_selectorIidEEZZNS1_16scan_by_key_implILNS1_25lookback_scan_determinismE0ELb1ES3_N6thrust23THRUST_200600_302600_NS6detail15normal_iteratorINS9_10device_ptrIiEEEENSB_INSC_IdEEEESG_dNS9_4plusIvEENS9_8equal_toIvEEdEE10hipError_tPvRmT2_T3_T4_T5_mT6_T7_P12ihipStream_tbENKUlT_T0_E_clISt17integral_constantIbLb1EES11_EEDaSW_SX_EUlSW_E_NS1_11comp_targetILNS1_3genE4ELNS1_11target_archE910ELNS1_3gpuE8ELNS1_3repE0EEENS1_30default_config_static_selectorELNS0_4arch9wavefront6targetE0EEEvT1_.num_vgpr, 0
	.set _ZN7rocprim17ROCPRIM_400000_NS6detail17trampoline_kernelINS0_14default_configENS1_27scan_by_key_config_selectorIidEEZZNS1_16scan_by_key_implILNS1_25lookback_scan_determinismE0ELb1ES3_N6thrust23THRUST_200600_302600_NS6detail15normal_iteratorINS9_10device_ptrIiEEEENSB_INSC_IdEEEESG_dNS9_4plusIvEENS9_8equal_toIvEEdEE10hipError_tPvRmT2_T3_T4_T5_mT6_T7_P12ihipStream_tbENKUlT_T0_E_clISt17integral_constantIbLb1EES11_EEDaSW_SX_EUlSW_E_NS1_11comp_targetILNS1_3genE4ELNS1_11target_archE910ELNS1_3gpuE8ELNS1_3repE0EEENS1_30default_config_static_selectorELNS0_4arch9wavefront6targetE0EEEvT1_.num_agpr, 0
	.set _ZN7rocprim17ROCPRIM_400000_NS6detail17trampoline_kernelINS0_14default_configENS1_27scan_by_key_config_selectorIidEEZZNS1_16scan_by_key_implILNS1_25lookback_scan_determinismE0ELb1ES3_N6thrust23THRUST_200600_302600_NS6detail15normal_iteratorINS9_10device_ptrIiEEEENSB_INSC_IdEEEESG_dNS9_4plusIvEENS9_8equal_toIvEEdEE10hipError_tPvRmT2_T3_T4_T5_mT6_T7_P12ihipStream_tbENKUlT_T0_E_clISt17integral_constantIbLb1EES11_EEDaSW_SX_EUlSW_E_NS1_11comp_targetILNS1_3genE4ELNS1_11target_archE910ELNS1_3gpuE8ELNS1_3repE0EEENS1_30default_config_static_selectorELNS0_4arch9wavefront6targetE0EEEvT1_.numbered_sgpr, 0
	.set _ZN7rocprim17ROCPRIM_400000_NS6detail17trampoline_kernelINS0_14default_configENS1_27scan_by_key_config_selectorIidEEZZNS1_16scan_by_key_implILNS1_25lookback_scan_determinismE0ELb1ES3_N6thrust23THRUST_200600_302600_NS6detail15normal_iteratorINS9_10device_ptrIiEEEENSB_INSC_IdEEEESG_dNS9_4plusIvEENS9_8equal_toIvEEdEE10hipError_tPvRmT2_T3_T4_T5_mT6_T7_P12ihipStream_tbENKUlT_T0_E_clISt17integral_constantIbLb1EES11_EEDaSW_SX_EUlSW_E_NS1_11comp_targetILNS1_3genE4ELNS1_11target_archE910ELNS1_3gpuE8ELNS1_3repE0EEENS1_30default_config_static_selectorELNS0_4arch9wavefront6targetE0EEEvT1_.num_named_barrier, 0
	.set _ZN7rocprim17ROCPRIM_400000_NS6detail17trampoline_kernelINS0_14default_configENS1_27scan_by_key_config_selectorIidEEZZNS1_16scan_by_key_implILNS1_25lookback_scan_determinismE0ELb1ES3_N6thrust23THRUST_200600_302600_NS6detail15normal_iteratorINS9_10device_ptrIiEEEENSB_INSC_IdEEEESG_dNS9_4plusIvEENS9_8equal_toIvEEdEE10hipError_tPvRmT2_T3_T4_T5_mT6_T7_P12ihipStream_tbENKUlT_T0_E_clISt17integral_constantIbLb1EES11_EEDaSW_SX_EUlSW_E_NS1_11comp_targetILNS1_3genE4ELNS1_11target_archE910ELNS1_3gpuE8ELNS1_3repE0EEENS1_30default_config_static_selectorELNS0_4arch9wavefront6targetE0EEEvT1_.private_seg_size, 0
	.set _ZN7rocprim17ROCPRIM_400000_NS6detail17trampoline_kernelINS0_14default_configENS1_27scan_by_key_config_selectorIidEEZZNS1_16scan_by_key_implILNS1_25lookback_scan_determinismE0ELb1ES3_N6thrust23THRUST_200600_302600_NS6detail15normal_iteratorINS9_10device_ptrIiEEEENSB_INSC_IdEEEESG_dNS9_4plusIvEENS9_8equal_toIvEEdEE10hipError_tPvRmT2_T3_T4_T5_mT6_T7_P12ihipStream_tbENKUlT_T0_E_clISt17integral_constantIbLb1EES11_EEDaSW_SX_EUlSW_E_NS1_11comp_targetILNS1_3genE4ELNS1_11target_archE910ELNS1_3gpuE8ELNS1_3repE0EEENS1_30default_config_static_selectorELNS0_4arch9wavefront6targetE0EEEvT1_.uses_vcc, 0
	.set _ZN7rocprim17ROCPRIM_400000_NS6detail17trampoline_kernelINS0_14default_configENS1_27scan_by_key_config_selectorIidEEZZNS1_16scan_by_key_implILNS1_25lookback_scan_determinismE0ELb1ES3_N6thrust23THRUST_200600_302600_NS6detail15normal_iteratorINS9_10device_ptrIiEEEENSB_INSC_IdEEEESG_dNS9_4plusIvEENS9_8equal_toIvEEdEE10hipError_tPvRmT2_T3_T4_T5_mT6_T7_P12ihipStream_tbENKUlT_T0_E_clISt17integral_constantIbLb1EES11_EEDaSW_SX_EUlSW_E_NS1_11comp_targetILNS1_3genE4ELNS1_11target_archE910ELNS1_3gpuE8ELNS1_3repE0EEENS1_30default_config_static_selectorELNS0_4arch9wavefront6targetE0EEEvT1_.uses_flat_scratch, 0
	.set _ZN7rocprim17ROCPRIM_400000_NS6detail17trampoline_kernelINS0_14default_configENS1_27scan_by_key_config_selectorIidEEZZNS1_16scan_by_key_implILNS1_25lookback_scan_determinismE0ELb1ES3_N6thrust23THRUST_200600_302600_NS6detail15normal_iteratorINS9_10device_ptrIiEEEENSB_INSC_IdEEEESG_dNS9_4plusIvEENS9_8equal_toIvEEdEE10hipError_tPvRmT2_T3_T4_T5_mT6_T7_P12ihipStream_tbENKUlT_T0_E_clISt17integral_constantIbLb1EES11_EEDaSW_SX_EUlSW_E_NS1_11comp_targetILNS1_3genE4ELNS1_11target_archE910ELNS1_3gpuE8ELNS1_3repE0EEENS1_30default_config_static_selectorELNS0_4arch9wavefront6targetE0EEEvT1_.has_dyn_sized_stack, 0
	.set _ZN7rocprim17ROCPRIM_400000_NS6detail17trampoline_kernelINS0_14default_configENS1_27scan_by_key_config_selectorIidEEZZNS1_16scan_by_key_implILNS1_25lookback_scan_determinismE0ELb1ES3_N6thrust23THRUST_200600_302600_NS6detail15normal_iteratorINS9_10device_ptrIiEEEENSB_INSC_IdEEEESG_dNS9_4plusIvEENS9_8equal_toIvEEdEE10hipError_tPvRmT2_T3_T4_T5_mT6_T7_P12ihipStream_tbENKUlT_T0_E_clISt17integral_constantIbLb1EES11_EEDaSW_SX_EUlSW_E_NS1_11comp_targetILNS1_3genE4ELNS1_11target_archE910ELNS1_3gpuE8ELNS1_3repE0EEENS1_30default_config_static_selectorELNS0_4arch9wavefront6targetE0EEEvT1_.has_recursion, 0
	.set _ZN7rocprim17ROCPRIM_400000_NS6detail17trampoline_kernelINS0_14default_configENS1_27scan_by_key_config_selectorIidEEZZNS1_16scan_by_key_implILNS1_25lookback_scan_determinismE0ELb1ES3_N6thrust23THRUST_200600_302600_NS6detail15normal_iteratorINS9_10device_ptrIiEEEENSB_INSC_IdEEEESG_dNS9_4plusIvEENS9_8equal_toIvEEdEE10hipError_tPvRmT2_T3_T4_T5_mT6_T7_P12ihipStream_tbENKUlT_T0_E_clISt17integral_constantIbLb1EES11_EEDaSW_SX_EUlSW_E_NS1_11comp_targetILNS1_3genE4ELNS1_11target_archE910ELNS1_3gpuE8ELNS1_3repE0EEENS1_30default_config_static_selectorELNS0_4arch9wavefront6targetE0EEEvT1_.has_indirect_call, 0
	.section	.AMDGPU.csdata,"",@progbits
; Kernel info:
; codeLenInByte = 0
; TotalNumSgprs: 0
; NumVgprs: 0
; ScratchSize: 0
; MemoryBound: 0
; FloatMode: 240
; IeeeMode: 1
; LDSByteSize: 0 bytes/workgroup (compile time only)
; SGPRBlocks: 0
; VGPRBlocks: 0
; NumSGPRsForWavesPerEU: 1
; NumVGPRsForWavesPerEU: 1
; Occupancy: 16
; WaveLimiterHint : 0
; COMPUTE_PGM_RSRC2:SCRATCH_EN: 0
; COMPUTE_PGM_RSRC2:USER_SGPR: 6
; COMPUTE_PGM_RSRC2:TRAP_HANDLER: 0
; COMPUTE_PGM_RSRC2:TGID_X_EN: 1
; COMPUTE_PGM_RSRC2:TGID_Y_EN: 0
; COMPUTE_PGM_RSRC2:TGID_Z_EN: 0
; COMPUTE_PGM_RSRC2:TIDIG_COMP_CNT: 0
	.section	.text._ZN7rocprim17ROCPRIM_400000_NS6detail17trampoline_kernelINS0_14default_configENS1_27scan_by_key_config_selectorIidEEZZNS1_16scan_by_key_implILNS1_25lookback_scan_determinismE0ELb1ES3_N6thrust23THRUST_200600_302600_NS6detail15normal_iteratorINS9_10device_ptrIiEEEENSB_INSC_IdEEEESG_dNS9_4plusIvEENS9_8equal_toIvEEdEE10hipError_tPvRmT2_T3_T4_T5_mT6_T7_P12ihipStream_tbENKUlT_T0_E_clISt17integral_constantIbLb1EES11_EEDaSW_SX_EUlSW_E_NS1_11comp_targetILNS1_3genE3ELNS1_11target_archE908ELNS1_3gpuE7ELNS1_3repE0EEENS1_30default_config_static_selectorELNS0_4arch9wavefront6targetE0EEEvT1_,"axG",@progbits,_ZN7rocprim17ROCPRIM_400000_NS6detail17trampoline_kernelINS0_14default_configENS1_27scan_by_key_config_selectorIidEEZZNS1_16scan_by_key_implILNS1_25lookback_scan_determinismE0ELb1ES3_N6thrust23THRUST_200600_302600_NS6detail15normal_iteratorINS9_10device_ptrIiEEEENSB_INSC_IdEEEESG_dNS9_4plusIvEENS9_8equal_toIvEEdEE10hipError_tPvRmT2_T3_T4_T5_mT6_T7_P12ihipStream_tbENKUlT_T0_E_clISt17integral_constantIbLb1EES11_EEDaSW_SX_EUlSW_E_NS1_11comp_targetILNS1_3genE3ELNS1_11target_archE908ELNS1_3gpuE7ELNS1_3repE0EEENS1_30default_config_static_selectorELNS0_4arch9wavefront6targetE0EEEvT1_,comdat
	.protected	_ZN7rocprim17ROCPRIM_400000_NS6detail17trampoline_kernelINS0_14default_configENS1_27scan_by_key_config_selectorIidEEZZNS1_16scan_by_key_implILNS1_25lookback_scan_determinismE0ELb1ES3_N6thrust23THRUST_200600_302600_NS6detail15normal_iteratorINS9_10device_ptrIiEEEENSB_INSC_IdEEEESG_dNS9_4plusIvEENS9_8equal_toIvEEdEE10hipError_tPvRmT2_T3_T4_T5_mT6_T7_P12ihipStream_tbENKUlT_T0_E_clISt17integral_constantIbLb1EES11_EEDaSW_SX_EUlSW_E_NS1_11comp_targetILNS1_3genE3ELNS1_11target_archE908ELNS1_3gpuE7ELNS1_3repE0EEENS1_30default_config_static_selectorELNS0_4arch9wavefront6targetE0EEEvT1_ ; -- Begin function _ZN7rocprim17ROCPRIM_400000_NS6detail17trampoline_kernelINS0_14default_configENS1_27scan_by_key_config_selectorIidEEZZNS1_16scan_by_key_implILNS1_25lookback_scan_determinismE0ELb1ES3_N6thrust23THRUST_200600_302600_NS6detail15normal_iteratorINS9_10device_ptrIiEEEENSB_INSC_IdEEEESG_dNS9_4plusIvEENS9_8equal_toIvEEdEE10hipError_tPvRmT2_T3_T4_T5_mT6_T7_P12ihipStream_tbENKUlT_T0_E_clISt17integral_constantIbLb1EES11_EEDaSW_SX_EUlSW_E_NS1_11comp_targetILNS1_3genE3ELNS1_11target_archE908ELNS1_3gpuE7ELNS1_3repE0EEENS1_30default_config_static_selectorELNS0_4arch9wavefront6targetE0EEEvT1_
	.globl	_ZN7rocprim17ROCPRIM_400000_NS6detail17trampoline_kernelINS0_14default_configENS1_27scan_by_key_config_selectorIidEEZZNS1_16scan_by_key_implILNS1_25lookback_scan_determinismE0ELb1ES3_N6thrust23THRUST_200600_302600_NS6detail15normal_iteratorINS9_10device_ptrIiEEEENSB_INSC_IdEEEESG_dNS9_4plusIvEENS9_8equal_toIvEEdEE10hipError_tPvRmT2_T3_T4_T5_mT6_T7_P12ihipStream_tbENKUlT_T0_E_clISt17integral_constantIbLb1EES11_EEDaSW_SX_EUlSW_E_NS1_11comp_targetILNS1_3genE3ELNS1_11target_archE908ELNS1_3gpuE7ELNS1_3repE0EEENS1_30default_config_static_selectorELNS0_4arch9wavefront6targetE0EEEvT1_
	.p2align	8
	.type	_ZN7rocprim17ROCPRIM_400000_NS6detail17trampoline_kernelINS0_14default_configENS1_27scan_by_key_config_selectorIidEEZZNS1_16scan_by_key_implILNS1_25lookback_scan_determinismE0ELb1ES3_N6thrust23THRUST_200600_302600_NS6detail15normal_iteratorINS9_10device_ptrIiEEEENSB_INSC_IdEEEESG_dNS9_4plusIvEENS9_8equal_toIvEEdEE10hipError_tPvRmT2_T3_T4_T5_mT6_T7_P12ihipStream_tbENKUlT_T0_E_clISt17integral_constantIbLb1EES11_EEDaSW_SX_EUlSW_E_NS1_11comp_targetILNS1_3genE3ELNS1_11target_archE908ELNS1_3gpuE7ELNS1_3repE0EEENS1_30default_config_static_selectorELNS0_4arch9wavefront6targetE0EEEvT1_,@function
_ZN7rocprim17ROCPRIM_400000_NS6detail17trampoline_kernelINS0_14default_configENS1_27scan_by_key_config_selectorIidEEZZNS1_16scan_by_key_implILNS1_25lookback_scan_determinismE0ELb1ES3_N6thrust23THRUST_200600_302600_NS6detail15normal_iteratorINS9_10device_ptrIiEEEENSB_INSC_IdEEEESG_dNS9_4plusIvEENS9_8equal_toIvEEdEE10hipError_tPvRmT2_T3_T4_T5_mT6_T7_P12ihipStream_tbENKUlT_T0_E_clISt17integral_constantIbLb1EES11_EEDaSW_SX_EUlSW_E_NS1_11comp_targetILNS1_3genE3ELNS1_11target_archE908ELNS1_3gpuE7ELNS1_3repE0EEENS1_30default_config_static_selectorELNS0_4arch9wavefront6targetE0EEEvT1_: ; @_ZN7rocprim17ROCPRIM_400000_NS6detail17trampoline_kernelINS0_14default_configENS1_27scan_by_key_config_selectorIidEEZZNS1_16scan_by_key_implILNS1_25lookback_scan_determinismE0ELb1ES3_N6thrust23THRUST_200600_302600_NS6detail15normal_iteratorINS9_10device_ptrIiEEEENSB_INSC_IdEEEESG_dNS9_4plusIvEENS9_8equal_toIvEEdEE10hipError_tPvRmT2_T3_T4_T5_mT6_T7_P12ihipStream_tbENKUlT_T0_E_clISt17integral_constantIbLb1EES11_EEDaSW_SX_EUlSW_E_NS1_11comp_targetILNS1_3genE3ELNS1_11target_archE908ELNS1_3gpuE7ELNS1_3repE0EEENS1_30default_config_static_selectorELNS0_4arch9wavefront6targetE0EEEvT1_
; %bb.0:
	.section	.rodata,"a",@progbits
	.p2align	6, 0x0
	.amdhsa_kernel _ZN7rocprim17ROCPRIM_400000_NS6detail17trampoline_kernelINS0_14default_configENS1_27scan_by_key_config_selectorIidEEZZNS1_16scan_by_key_implILNS1_25lookback_scan_determinismE0ELb1ES3_N6thrust23THRUST_200600_302600_NS6detail15normal_iteratorINS9_10device_ptrIiEEEENSB_INSC_IdEEEESG_dNS9_4plusIvEENS9_8equal_toIvEEdEE10hipError_tPvRmT2_T3_T4_T5_mT6_T7_P12ihipStream_tbENKUlT_T0_E_clISt17integral_constantIbLb1EES11_EEDaSW_SX_EUlSW_E_NS1_11comp_targetILNS1_3genE3ELNS1_11target_archE908ELNS1_3gpuE7ELNS1_3repE0EEENS1_30default_config_static_selectorELNS0_4arch9wavefront6targetE0EEEvT1_
		.amdhsa_group_segment_fixed_size 0
		.amdhsa_private_segment_fixed_size 0
		.amdhsa_kernarg_size 136
		.amdhsa_user_sgpr_count 6
		.amdhsa_user_sgpr_private_segment_buffer 1
		.amdhsa_user_sgpr_dispatch_ptr 0
		.amdhsa_user_sgpr_queue_ptr 0
		.amdhsa_user_sgpr_kernarg_segment_ptr 1
		.amdhsa_user_sgpr_dispatch_id 0
		.amdhsa_user_sgpr_flat_scratch_init 0
		.amdhsa_user_sgpr_private_segment_size 0
		.amdhsa_wavefront_size32 1
		.amdhsa_uses_dynamic_stack 0
		.amdhsa_system_sgpr_private_segment_wavefront_offset 0
		.amdhsa_system_sgpr_workgroup_id_x 1
		.amdhsa_system_sgpr_workgroup_id_y 0
		.amdhsa_system_sgpr_workgroup_id_z 0
		.amdhsa_system_sgpr_workgroup_info 0
		.amdhsa_system_vgpr_workitem_id 0
		.amdhsa_next_free_vgpr 1
		.amdhsa_next_free_sgpr 1
		.amdhsa_reserve_vcc 0
		.amdhsa_reserve_flat_scratch 0
		.amdhsa_float_round_mode_32 0
		.amdhsa_float_round_mode_16_64 0
		.amdhsa_float_denorm_mode_32 3
		.amdhsa_float_denorm_mode_16_64 3
		.amdhsa_dx10_clamp 1
		.amdhsa_ieee_mode 1
		.amdhsa_fp16_overflow 0
		.amdhsa_workgroup_processor_mode 1
		.amdhsa_memory_ordered 1
		.amdhsa_forward_progress 1
		.amdhsa_shared_vgpr_count 0
		.amdhsa_exception_fp_ieee_invalid_op 0
		.amdhsa_exception_fp_denorm_src 0
		.amdhsa_exception_fp_ieee_div_zero 0
		.amdhsa_exception_fp_ieee_overflow 0
		.amdhsa_exception_fp_ieee_underflow 0
		.amdhsa_exception_fp_ieee_inexact 0
		.amdhsa_exception_int_div_zero 0
	.end_amdhsa_kernel
	.section	.text._ZN7rocprim17ROCPRIM_400000_NS6detail17trampoline_kernelINS0_14default_configENS1_27scan_by_key_config_selectorIidEEZZNS1_16scan_by_key_implILNS1_25lookback_scan_determinismE0ELb1ES3_N6thrust23THRUST_200600_302600_NS6detail15normal_iteratorINS9_10device_ptrIiEEEENSB_INSC_IdEEEESG_dNS9_4plusIvEENS9_8equal_toIvEEdEE10hipError_tPvRmT2_T3_T4_T5_mT6_T7_P12ihipStream_tbENKUlT_T0_E_clISt17integral_constantIbLb1EES11_EEDaSW_SX_EUlSW_E_NS1_11comp_targetILNS1_3genE3ELNS1_11target_archE908ELNS1_3gpuE7ELNS1_3repE0EEENS1_30default_config_static_selectorELNS0_4arch9wavefront6targetE0EEEvT1_,"axG",@progbits,_ZN7rocprim17ROCPRIM_400000_NS6detail17trampoline_kernelINS0_14default_configENS1_27scan_by_key_config_selectorIidEEZZNS1_16scan_by_key_implILNS1_25lookback_scan_determinismE0ELb1ES3_N6thrust23THRUST_200600_302600_NS6detail15normal_iteratorINS9_10device_ptrIiEEEENSB_INSC_IdEEEESG_dNS9_4plusIvEENS9_8equal_toIvEEdEE10hipError_tPvRmT2_T3_T4_T5_mT6_T7_P12ihipStream_tbENKUlT_T0_E_clISt17integral_constantIbLb1EES11_EEDaSW_SX_EUlSW_E_NS1_11comp_targetILNS1_3genE3ELNS1_11target_archE908ELNS1_3gpuE7ELNS1_3repE0EEENS1_30default_config_static_selectorELNS0_4arch9wavefront6targetE0EEEvT1_,comdat
.Lfunc_end1404:
	.size	_ZN7rocprim17ROCPRIM_400000_NS6detail17trampoline_kernelINS0_14default_configENS1_27scan_by_key_config_selectorIidEEZZNS1_16scan_by_key_implILNS1_25lookback_scan_determinismE0ELb1ES3_N6thrust23THRUST_200600_302600_NS6detail15normal_iteratorINS9_10device_ptrIiEEEENSB_INSC_IdEEEESG_dNS9_4plusIvEENS9_8equal_toIvEEdEE10hipError_tPvRmT2_T3_T4_T5_mT6_T7_P12ihipStream_tbENKUlT_T0_E_clISt17integral_constantIbLb1EES11_EEDaSW_SX_EUlSW_E_NS1_11comp_targetILNS1_3genE3ELNS1_11target_archE908ELNS1_3gpuE7ELNS1_3repE0EEENS1_30default_config_static_selectorELNS0_4arch9wavefront6targetE0EEEvT1_, .Lfunc_end1404-_ZN7rocprim17ROCPRIM_400000_NS6detail17trampoline_kernelINS0_14default_configENS1_27scan_by_key_config_selectorIidEEZZNS1_16scan_by_key_implILNS1_25lookback_scan_determinismE0ELb1ES3_N6thrust23THRUST_200600_302600_NS6detail15normal_iteratorINS9_10device_ptrIiEEEENSB_INSC_IdEEEESG_dNS9_4plusIvEENS9_8equal_toIvEEdEE10hipError_tPvRmT2_T3_T4_T5_mT6_T7_P12ihipStream_tbENKUlT_T0_E_clISt17integral_constantIbLb1EES11_EEDaSW_SX_EUlSW_E_NS1_11comp_targetILNS1_3genE3ELNS1_11target_archE908ELNS1_3gpuE7ELNS1_3repE0EEENS1_30default_config_static_selectorELNS0_4arch9wavefront6targetE0EEEvT1_
                                        ; -- End function
	.set _ZN7rocprim17ROCPRIM_400000_NS6detail17trampoline_kernelINS0_14default_configENS1_27scan_by_key_config_selectorIidEEZZNS1_16scan_by_key_implILNS1_25lookback_scan_determinismE0ELb1ES3_N6thrust23THRUST_200600_302600_NS6detail15normal_iteratorINS9_10device_ptrIiEEEENSB_INSC_IdEEEESG_dNS9_4plusIvEENS9_8equal_toIvEEdEE10hipError_tPvRmT2_T3_T4_T5_mT6_T7_P12ihipStream_tbENKUlT_T0_E_clISt17integral_constantIbLb1EES11_EEDaSW_SX_EUlSW_E_NS1_11comp_targetILNS1_3genE3ELNS1_11target_archE908ELNS1_3gpuE7ELNS1_3repE0EEENS1_30default_config_static_selectorELNS0_4arch9wavefront6targetE0EEEvT1_.num_vgpr, 0
	.set _ZN7rocprim17ROCPRIM_400000_NS6detail17trampoline_kernelINS0_14default_configENS1_27scan_by_key_config_selectorIidEEZZNS1_16scan_by_key_implILNS1_25lookback_scan_determinismE0ELb1ES3_N6thrust23THRUST_200600_302600_NS6detail15normal_iteratorINS9_10device_ptrIiEEEENSB_INSC_IdEEEESG_dNS9_4plusIvEENS9_8equal_toIvEEdEE10hipError_tPvRmT2_T3_T4_T5_mT6_T7_P12ihipStream_tbENKUlT_T0_E_clISt17integral_constantIbLb1EES11_EEDaSW_SX_EUlSW_E_NS1_11comp_targetILNS1_3genE3ELNS1_11target_archE908ELNS1_3gpuE7ELNS1_3repE0EEENS1_30default_config_static_selectorELNS0_4arch9wavefront6targetE0EEEvT1_.num_agpr, 0
	.set _ZN7rocprim17ROCPRIM_400000_NS6detail17trampoline_kernelINS0_14default_configENS1_27scan_by_key_config_selectorIidEEZZNS1_16scan_by_key_implILNS1_25lookback_scan_determinismE0ELb1ES3_N6thrust23THRUST_200600_302600_NS6detail15normal_iteratorINS9_10device_ptrIiEEEENSB_INSC_IdEEEESG_dNS9_4plusIvEENS9_8equal_toIvEEdEE10hipError_tPvRmT2_T3_T4_T5_mT6_T7_P12ihipStream_tbENKUlT_T0_E_clISt17integral_constantIbLb1EES11_EEDaSW_SX_EUlSW_E_NS1_11comp_targetILNS1_3genE3ELNS1_11target_archE908ELNS1_3gpuE7ELNS1_3repE0EEENS1_30default_config_static_selectorELNS0_4arch9wavefront6targetE0EEEvT1_.numbered_sgpr, 0
	.set _ZN7rocprim17ROCPRIM_400000_NS6detail17trampoline_kernelINS0_14default_configENS1_27scan_by_key_config_selectorIidEEZZNS1_16scan_by_key_implILNS1_25lookback_scan_determinismE0ELb1ES3_N6thrust23THRUST_200600_302600_NS6detail15normal_iteratorINS9_10device_ptrIiEEEENSB_INSC_IdEEEESG_dNS9_4plusIvEENS9_8equal_toIvEEdEE10hipError_tPvRmT2_T3_T4_T5_mT6_T7_P12ihipStream_tbENKUlT_T0_E_clISt17integral_constantIbLb1EES11_EEDaSW_SX_EUlSW_E_NS1_11comp_targetILNS1_3genE3ELNS1_11target_archE908ELNS1_3gpuE7ELNS1_3repE0EEENS1_30default_config_static_selectorELNS0_4arch9wavefront6targetE0EEEvT1_.num_named_barrier, 0
	.set _ZN7rocprim17ROCPRIM_400000_NS6detail17trampoline_kernelINS0_14default_configENS1_27scan_by_key_config_selectorIidEEZZNS1_16scan_by_key_implILNS1_25lookback_scan_determinismE0ELb1ES3_N6thrust23THRUST_200600_302600_NS6detail15normal_iteratorINS9_10device_ptrIiEEEENSB_INSC_IdEEEESG_dNS9_4plusIvEENS9_8equal_toIvEEdEE10hipError_tPvRmT2_T3_T4_T5_mT6_T7_P12ihipStream_tbENKUlT_T0_E_clISt17integral_constantIbLb1EES11_EEDaSW_SX_EUlSW_E_NS1_11comp_targetILNS1_3genE3ELNS1_11target_archE908ELNS1_3gpuE7ELNS1_3repE0EEENS1_30default_config_static_selectorELNS0_4arch9wavefront6targetE0EEEvT1_.private_seg_size, 0
	.set _ZN7rocprim17ROCPRIM_400000_NS6detail17trampoline_kernelINS0_14default_configENS1_27scan_by_key_config_selectorIidEEZZNS1_16scan_by_key_implILNS1_25lookback_scan_determinismE0ELb1ES3_N6thrust23THRUST_200600_302600_NS6detail15normal_iteratorINS9_10device_ptrIiEEEENSB_INSC_IdEEEESG_dNS9_4plusIvEENS9_8equal_toIvEEdEE10hipError_tPvRmT2_T3_T4_T5_mT6_T7_P12ihipStream_tbENKUlT_T0_E_clISt17integral_constantIbLb1EES11_EEDaSW_SX_EUlSW_E_NS1_11comp_targetILNS1_3genE3ELNS1_11target_archE908ELNS1_3gpuE7ELNS1_3repE0EEENS1_30default_config_static_selectorELNS0_4arch9wavefront6targetE0EEEvT1_.uses_vcc, 0
	.set _ZN7rocprim17ROCPRIM_400000_NS6detail17trampoline_kernelINS0_14default_configENS1_27scan_by_key_config_selectorIidEEZZNS1_16scan_by_key_implILNS1_25lookback_scan_determinismE0ELb1ES3_N6thrust23THRUST_200600_302600_NS6detail15normal_iteratorINS9_10device_ptrIiEEEENSB_INSC_IdEEEESG_dNS9_4plusIvEENS9_8equal_toIvEEdEE10hipError_tPvRmT2_T3_T4_T5_mT6_T7_P12ihipStream_tbENKUlT_T0_E_clISt17integral_constantIbLb1EES11_EEDaSW_SX_EUlSW_E_NS1_11comp_targetILNS1_3genE3ELNS1_11target_archE908ELNS1_3gpuE7ELNS1_3repE0EEENS1_30default_config_static_selectorELNS0_4arch9wavefront6targetE0EEEvT1_.uses_flat_scratch, 0
	.set _ZN7rocprim17ROCPRIM_400000_NS6detail17trampoline_kernelINS0_14default_configENS1_27scan_by_key_config_selectorIidEEZZNS1_16scan_by_key_implILNS1_25lookback_scan_determinismE0ELb1ES3_N6thrust23THRUST_200600_302600_NS6detail15normal_iteratorINS9_10device_ptrIiEEEENSB_INSC_IdEEEESG_dNS9_4plusIvEENS9_8equal_toIvEEdEE10hipError_tPvRmT2_T3_T4_T5_mT6_T7_P12ihipStream_tbENKUlT_T0_E_clISt17integral_constantIbLb1EES11_EEDaSW_SX_EUlSW_E_NS1_11comp_targetILNS1_3genE3ELNS1_11target_archE908ELNS1_3gpuE7ELNS1_3repE0EEENS1_30default_config_static_selectorELNS0_4arch9wavefront6targetE0EEEvT1_.has_dyn_sized_stack, 0
	.set _ZN7rocprim17ROCPRIM_400000_NS6detail17trampoline_kernelINS0_14default_configENS1_27scan_by_key_config_selectorIidEEZZNS1_16scan_by_key_implILNS1_25lookback_scan_determinismE0ELb1ES3_N6thrust23THRUST_200600_302600_NS6detail15normal_iteratorINS9_10device_ptrIiEEEENSB_INSC_IdEEEESG_dNS9_4plusIvEENS9_8equal_toIvEEdEE10hipError_tPvRmT2_T3_T4_T5_mT6_T7_P12ihipStream_tbENKUlT_T0_E_clISt17integral_constantIbLb1EES11_EEDaSW_SX_EUlSW_E_NS1_11comp_targetILNS1_3genE3ELNS1_11target_archE908ELNS1_3gpuE7ELNS1_3repE0EEENS1_30default_config_static_selectorELNS0_4arch9wavefront6targetE0EEEvT1_.has_recursion, 0
	.set _ZN7rocprim17ROCPRIM_400000_NS6detail17trampoline_kernelINS0_14default_configENS1_27scan_by_key_config_selectorIidEEZZNS1_16scan_by_key_implILNS1_25lookback_scan_determinismE0ELb1ES3_N6thrust23THRUST_200600_302600_NS6detail15normal_iteratorINS9_10device_ptrIiEEEENSB_INSC_IdEEEESG_dNS9_4plusIvEENS9_8equal_toIvEEdEE10hipError_tPvRmT2_T3_T4_T5_mT6_T7_P12ihipStream_tbENKUlT_T0_E_clISt17integral_constantIbLb1EES11_EEDaSW_SX_EUlSW_E_NS1_11comp_targetILNS1_3genE3ELNS1_11target_archE908ELNS1_3gpuE7ELNS1_3repE0EEENS1_30default_config_static_selectorELNS0_4arch9wavefront6targetE0EEEvT1_.has_indirect_call, 0
	.section	.AMDGPU.csdata,"",@progbits
; Kernel info:
; codeLenInByte = 0
; TotalNumSgprs: 0
; NumVgprs: 0
; ScratchSize: 0
; MemoryBound: 0
; FloatMode: 240
; IeeeMode: 1
; LDSByteSize: 0 bytes/workgroup (compile time only)
; SGPRBlocks: 0
; VGPRBlocks: 0
; NumSGPRsForWavesPerEU: 1
; NumVGPRsForWavesPerEU: 1
; Occupancy: 16
; WaveLimiterHint : 0
; COMPUTE_PGM_RSRC2:SCRATCH_EN: 0
; COMPUTE_PGM_RSRC2:USER_SGPR: 6
; COMPUTE_PGM_RSRC2:TRAP_HANDLER: 0
; COMPUTE_PGM_RSRC2:TGID_X_EN: 1
; COMPUTE_PGM_RSRC2:TGID_Y_EN: 0
; COMPUTE_PGM_RSRC2:TGID_Z_EN: 0
; COMPUTE_PGM_RSRC2:TIDIG_COMP_CNT: 0
	.section	.text._ZN7rocprim17ROCPRIM_400000_NS6detail17trampoline_kernelINS0_14default_configENS1_27scan_by_key_config_selectorIidEEZZNS1_16scan_by_key_implILNS1_25lookback_scan_determinismE0ELb1ES3_N6thrust23THRUST_200600_302600_NS6detail15normal_iteratorINS9_10device_ptrIiEEEENSB_INSC_IdEEEESG_dNS9_4plusIvEENS9_8equal_toIvEEdEE10hipError_tPvRmT2_T3_T4_T5_mT6_T7_P12ihipStream_tbENKUlT_T0_E_clISt17integral_constantIbLb1EES11_EEDaSW_SX_EUlSW_E_NS1_11comp_targetILNS1_3genE2ELNS1_11target_archE906ELNS1_3gpuE6ELNS1_3repE0EEENS1_30default_config_static_selectorELNS0_4arch9wavefront6targetE0EEEvT1_,"axG",@progbits,_ZN7rocprim17ROCPRIM_400000_NS6detail17trampoline_kernelINS0_14default_configENS1_27scan_by_key_config_selectorIidEEZZNS1_16scan_by_key_implILNS1_25lookback_scan_determinismE0ELb1ES3_N6thrust23THRUST_200600_302600_NS6detail15normal_iteratorINS9_10device_ptrIiEEEENSB_INSC_IdEEEESG_dNS9_4plusIvEENS9_8equal_toIvEEdEE10hipError_tPvRmT2_T3_T4_T5_mT6_T7_P12ihipStream_tbENKUlT_T0_E_clISt17integral_constantIbLb1EES11_EEDaSW_SX_EUlSW_E_NS1_11comp_targetILNS1_3genE2ELNS1_11target_archE906ELNS1_3gpuE6ELNS1_3repE0EEENS1_30default_config_static_selectorELNS0_4arch9wavefront6targetE0EEEvT1_,comdat
	.protected	_ZN7rocprim17ROCPRIM_400000_NS6detail17trampoline_kernelINS0_14default_configENS1_27scan_by_key_config_selectorIidEEZZNS1_16scan_by_key_implILNS1_25lookback_scan_determinismE0ELb1ES3_N6thrust23THRUST_200600_302600_NS6detail15normal_iteratorINS9_10device_ptrIiEEEENSB_INSC_IdEEEESG_dNS9_4plusIvEENS9_8equal_toIvEEdEE10hipError_tPvRmT2_T3_T4_T5_mT6_T7_P12ihipStream_tbENKUlT_T0_E_clISt17integral_constantIbLb1EES11_EEDaSW_SX_EUlSW_E_NS1_11comp_targetILNS1_3genE2ELNS1_11target_archE906ELNS1_3gpuE6ELNS1_3repE0EEENS1_30default_config_static_selectorELNS0_4arch9wavefront6targetE0EEEvT1_ ; -- Begin function _ZN7rocprim17ROCPRIM_400000_NS6detail17trampoline_kernelINS0_14default_configENS1_27scan_by_key_config_selectorIidEEZZNS1_16scan_by_key_implILNS1_25lookback_scan_determinismE0ELb1ES3_N6thrust23THRUST_200600_302600_NS6detail15normal_iteratorINS9_10device_ptrIiEEEENSB_INSC_IdEEEESG_dNS9_4plusIvEENS9_8equal_toIvEEdEE10hipError_tPvRmT2_T3_T4_T5_mT6_T7_P12ihipStream_tbENKUlT_T0_E_clISt17integral_constantIbLb1EES11_EEDaSW_SX_EUlSW_E_NS1_11comp_targetILNS1_3genE2ELNS1_11target_archE906ELNS1_3gpuE6ELNS1_3repE0EEENS1_30default_config_static_selectorELNS0_4arch9wavefront6targetE0EEEvT1_
	.globl	_ZN7rocprim17ROCPRIM_400000_NS6detail17trampoline_kernelINS0_14default_configENS1_27scan_by_key_config_selectorIidEEZZNS1_16scan_by_key_implILNS1_25lookback_scan_determinismE0ELb1ES3_N6thrust23THRUST_200600_302600_NS6detail15normal_iteratorINS9_10device_ptrIiEEEENSB_INSC_IdEEEESG_dNS9_4plusIvEENS9_8equal_toIvEEdEE10hipError_tPvRmT2_T3_T4_T5_mT6_T7_P12ihipStream_tbENKUlT_T0_E_clISt17integral_constantIbLb1EES11_EEDaSW_SX_EUlSW_E_NS1_11comp_targetILNS1_3genE2ELNS1_11target_archE906ELNS1_3gpuE6ELNS1_3repE0EEENS1_30default_config_static_selectorELNS0_4arch9wavefront6targetE0EEEvT1_
	.p2align	8
	.type	_ZN7rocprim17ROCPRIM_400000_NS6detail17trampoline_kernelINS0_14default_configENS1_27scan_by_key_config_selectorIidEEZZNS1_16scan_by_key_implILNS1_25lookback_scan_determinismE0ELb1ES3_N6thrust23THRUST_200600_302600_NS6detail15normal_iteratorINS9_10device_ptrIiEEEENSB_INSC_IdEEEESG_dNS9_4plusIvEENS9_8equal_toIvEEdEE10hipError_tPvRmT2_T3_T4_T5_mT6_T7_P12ihipStream_tbENKUlT_T0_E_clISt17integral_constantIbLb1EES11_EEDaSW_SX_EUlSW_E_NS1_11comp_targetILNS1_3genE2ELNS1_11target_archE906ELNS1_3gpuE6ELNS1_3repE0EEENS1_30default_config_static_selectorELNS0_4arch9wavefront6targetE0EEEvT1_,@function
_ZN7rocprim17ROCPRIM_400000_NS6detail17trampoline_kernelINS0_14default_configENS1_27scan_by_key_config_selectorIidEEZZNS1_16scan_by_key_implILNS1_25lookback_scan_determinismE0ELb1ES3_N6thrust23THRUST_200600_302600_NS6detail15normal_iteratorINS9_10device_ptrIiEEEENSB_INSC_IdEEEESG_dNS9_4plusIvEENS9_8equal_toIvEEdEE10hipError_tPvRmT2_T3_T4_T5_mT6_T7_P12ihipStream_tbENKUlT_T0_E_clISt17integral_constantIbLb1EES11_EEDaSW_SX_EUlSW_E_NS1_11comp_targetILNS1_3genE2ELNS1_11target_archE906ELNS1_3gpuE6ELNS1_3repE0EEENS1_30default_config_static_selectorELNS0_4arch9wavefront6targetE0EEEvT1_: ; @_ZN7rocprim17ROCPRIM_400000_NS6detail17trampoline_kernelINS0_14default_configENS1_27scan_by_key_config_selectorIidEEZZNS1_16scan_by_key_implILNS1_25lookback_scan_determinismE0ELb1ES3_N6thrust23THRUST_200600_302600_NS6detail15normal_iteratorINS9_10device_ptrIiEEEENSB_INSC_IdEEEESG_dNS9_4plusIvEENS9_8equal_toIvEEdEE10hipError_tPvRmT2_T3_T4_T5_mT6_T7_P12ihipStream_tbENKUlT_T0_E_clISt17integral_constantIbLb1EES11_EEDaSW_SX_EUlSW_E_NS1_11comp_targetILNS1_3genE2ELNS1_11target_archE906ELNS1_3gpuE6ELNS1_3repE0EEENS1_30default_config_static_selectorELNS0_4arch9wavefront6targetE0EEEvT1_
; %bb.0:
	.section	.rodata,"a",@progbits
	.p2align	6, 0x0
	.amdhsa_kernel _ZN7rocprim17ROCPRIM_400000_NS6detail17trampoline_kernelINS0_14default_configENS1_27scan_by_key_config_selectorIidEEZZNS1_16scan_by_key_implILNS1_25lookback_scan_determinismE0ELb1ES3_N6thrust23THRUST_200600_302600_NS6detail15normal_iteratorINS9_10device_ptrIiEEEENSB_INSC_IdEEEESG_dNS9_4plusIvEENS9_8equal_toIvEEdEE10hipError_tPvRmT2_T3_T4_T5_mT6_T7_P12ihipStream_tbENKUlT_T0_E_clISt17integral_constantIbLb1EES11_EEDaSW_SX_EUlSW_E_NS1_11comp_targetILNS1_3genE2ELNS1_11target_archE906ELNS1_3gpuE6ELNS1_3repE0EEENS1_30default_config_static_selectorELNS0_4arch9wavefront6targetE0EEEvT1_
		.amdhsa_group_segment_fixed_size 0
		.amdhsa_private_segment_fixed_size 0
		.amdhsa_kernarg_size 136
		.amdhsa_user_sgpr_count 6
		.amdhsa_user_sgpr_private_segment_buffer 1
		.amdhsa_user_sgpr_dispatch_ptr 0
		.amdhsa_user_sgpr_queue_ptr 0
		.amdhsa_user_sgpr_kernarg_segment_ptr 1
		.amdhsa_user_sgpr_dispatch_id 0
		.amdhsa_user_sgpr_flat_scratch_init 0
		.amdhsa_user_sgpr_private_segment_size 0
		.amdhsa_wavefront_size32 1
		.amdhsa_uses_dynamic_stack 0
		.amdhsa_system_sgpr_private_segment_wavefront_offset 0
		.amdhsa_system_sgpr_workgroup_id_x 1
		.amdhsa_system_sgpr_workgroup_id_y 0
		.amdhsa_system_sgpr_workgroup_id_z 0
		.amdhsa_system_sgpr_workgroup_info 0
		.amdhsa_system_vgpr_workitem_id 0
		.amdhsa_next_free_vgpr 1
		.amdhsa_next_free_sgpr 1
		.amdhsa_reserve_vcc 0
		.amdhsa_reserve_flat_scratch 0
		.amdhsa_float_round_mode_32 0
		.amdhsa_float_round_mode_16_64 0
		.amdhsa_float_denorm_mode_32 3
		.amdhsa_float_denorm_mode_16_64 3
		.amdhsa_dx10_clamp 1
		.amdhsa_ieee_mode 1
		.amdhsa_fp16_overflow 0
		.amdhsa_workgroup_processor_mode 1
		.amdhsa_memory_ordered 1
		.amdhsa_forward_progress 1
		.amdhsa_shared_vgpr_count 0
		.amdhsa_exception_fp_ieee_invalid_op 0
		.amdhsa_exception_fp_denorm_src 0
		.amdhsa_exception_fp_ieee_div_zero 0
		.amdhsa_exception_fp_ieee_overflow 0
		.amdhsa_exception_fp_ieee_underflow 0
		.amdhsa_exception_fp_ieee_inexact 0
		.amdhsa_exception_int_div_zero 0
	.end_amdhsa_kernel
	.section	.text._ZN7rocprim17ROCPRIM_400000_NS6detail17trampoline_kernelINS0_14default_configENS1_27scan_by_key_config_selectorIidEEZZNS1_16scan_by_key_implILNS1_25lookback_scan_determinismE0ELb1ES3_N6thrust23THRUST_200600_302600_NS6detail15normal_iteratorINS9_10device_ptrIiEEEENSB_INSC_IdEEEESG_dNS9_4plusIvEENS9_8equal_toIvEEdEE10hipError_tPvRmT2_T3_T4_T5_mT6_T7_P12ihipStream_tbENKUlT_T0_E_clISt17integral_constantIbLb1EES11_EEDaSW_SX_EUlSW_E_NS1_11comp_targetILNS1_3genE2ELNS1_11target_archE906ELNS1_3gpuE6ELNS1_3repE0EEENS1_30default_config_static_selectorELNS0_4arch9wavefront6targetE0EEEvT1_,"axG",@progbits,_ZN7rocprim17ROCPRIM_400000_NS6detail17trampoline_kernelINS0_14default_configENS1_27scan_by_key_config_selectorIidEEZZNS1_16scan_by_key_implILNS1_25lookback_scan_determinismE0ELb1ES3_N6thrust23THRUST_200600_302600_NS6detail15normal_iteratorINS9_10device_ptrIiEEEENSB_INSC_IdEEEESG_dNS9_4plusIvEENS9_8equal_toIvEEdEE10hipError_tPvRmT2_T3_T4_T5_mT6_T7_P12ihipStream_tbENKUlT_T0_E_clISt17integral_constantIbLb1EES11_EEDaSW_SX_EUlSW_E_NS1_11comp_targetILNS1_3genE2ELNS1_11target_archE906ELNS1_3gpuE6ELNS1_3repE0EEENS1_30default_config_static_selectorELNS0_4arch9wavefront6targetE0EEEvT1_,comdat
.Lfunc_end1405:
	.size	_ZN7rocprim17ROCPRIM_400000_NS6detail17trampoline_kernelINS0_14default_configENS1_27scan_by_key_config_selectorIidEEZZNS1_16scan_by_key_implILNS1_25lookback_scan_determinismE0ELb1ES3_N6thrust23THRUST_200600_302600_NS6detail15normal_iteratorINS9_10device_ptrIiEEEENSB_INSC_IdEEEESG_dNS9_4plusIvEENS9_8equal_toIvEEdEE10hipError_tPvRmT2_T3_T4_T5_mT6_T7_P12ihipStream_tbENKUlT_T0_E_clISt17integral_constantIbLb1EES11_EEDaSW_SX_EUlSW_E_NS1_11comp_targetILNS1_3genE2ELNS1_11target_archE906ELNS1_3gpuE6ELNS1_3repE0EEENS1_30default_config_static_selectorELNS0_4arch9wavefront6targetE0EEEvT1_, .Lfunc_end1405-_ZN7rocprim17ROCPRIM_400000_NS6detail17trampoline_kernelINS0_14default_configENS1_27scan_by_key_config_selectorIidEEZZNS1_16scan_by_key_implILNS1_25lookback_scan_determinismE0ELb1ES3_N6thrust23THRUST_200600_302600_NS6detail15normal_iteratorINS9_10device_ptrIiEEEENSB_INSC_IdEEEESG_dNS9_4plusIvEENS9_8equal_toIvEEdEE10hipError_tPvRmT2_T3_T4_T5_mT6_T7_P12ihipStream_tbENKUlT_T0_E_clISt17integral_constantIbLb1EES11_EEDaSW_SX_EUlSW_E_NS1_11comp_targetILNS1_3genE2ELNS1_11target_archE906ELNS1_3gpuE6ELNS1_3repE0EEENS1_30default_config_static_selectorELNS0_4arch9wavefront6targetE0EEEvT1_
                                        ; -- End function
	.set _ZN7rocprim17ROCPRIM_400000_NS6detail17trampoline_kernelINS0_14default_configENS1_27scan_by_key_config_selectorIidEEZZNS1_16scan_by_key_implILNS1_25lookback_scan_determinismE0ELb1ES3_N6thrust23THRUST_200600_302600_NS6detail15normal_iteratorINS9_10device_ptrIiEEEENSB_INSC_IdEEEESG_dNS9_4plusIvEENS9_8equal_toIvEEdEE10hipError_tPvRmT2_T3_T4_T5_mT6_T7_P12ihipStream_tbENKUlT_T0_E_clISt17integral_constantIbLb1EES11_EEDaSW_SX_EUlSW_E_NS1_11comp_targetILNS1_3genE2ELNS1_11target_archE906ELNS1_3gpuE6ELNS1_3repE0EEENS1_30default_config_static_selectorELNS0_4arch9wavefront6targetE0EEEvT1_.num_vgpr, 0
	.set _ZN7rocprim17ROCPRIM_400000_NS6detail17trampoline_kernelINS0_14default_configENS1_27scan_by_key_config_selectorIidEEZZNS1_16scan_by_key_implILNS1_25lookback_scan_determinismE0ELb1ES3_N6thrust23THRUST_200600_302600_NS6detail15normal_iteratorINS9_10device_ptrIiEEEENSB_INSC_IdEEEESG_dNS9_4plusIvEENS9_8equal_toIvEEdEE10hipError_tPvRmT2_T3_T4_T5_mT6_T7_P12ihipStream_tbENKUlT_T0_E_clISt17integral_constantIbLb1EES11_EEDaSW_SX_EUlSW_E_NS1_11comp_targetILNS1_3genE2ELNS1_11target_archE906ELNS1_3gpuE6ELNS1_3repE0EEENS1_30default_config_static_selectorELNS0_4arch9wavefront6targetE0EEEvT1_.num_agpr, 0
	.set _ZN7rocprim17ROCPRIM_400000_NS6detail17trampoline_kernelINS0_14default_configENS1_27scan_by_key_config_selectorIidEEZZNS1_16scan_by_key_implILNS1_25lookback_scan_determinismE0ELb1ES3_N6thrust23THRUST_200600_302600_NS6detail15normal_iteratorINS9_10device_ptrIiEEEENSB_INSC_IdEEEESG_dNS9_4plusIvEENS9_8equal_toIvEEdEE10hipError_tPvRmT2_T3_T4_T5_mT6_T7_P12ihipStream_tbENKUlT_T0_E_clISt17integral_constantIbLb1EES11_EEDaSW_SX_EUlSW_E_NS1_11comp_targetILNS1_3genE2ELNS1_11target_archE906ELNS1_3gpuE6ELNS1_3repE0EEENS1_30default_config_static_selectorELNS0_4arch9wavefront6targetE0EEEvT1_.numbered_sgpr, 0
	.set _ZN7rocprim17ROCPRIM_400000_NS6detail17trampoline_kernelINS0_14default_configENS1_27scan_by_key_config_selectorIidEEZZNS1_16scan_by_key_implILNS1_25lookback_scan_determinismE0ELb1ES3_N6thrust23THRUST_200600_302600_NS6detail15normal_iteratorINS9_10device_ptrIiEEEENSB_INSC_IdEEEESG_dNS9_4plusIvEENS9_8equal_toIvEEdEE10hipError_tPvRmT2_T3_T4_T5_mT6_T7_P12ihipStream_tbENKUlT_T0_E_clISt17integral_constantIbLb1EES11_EEDaSW_SX_EUlSW_E_NS1_11comp_targetILNS1_3genE2ELNS1_11target_archE906ELNS1_3gpuE6ELNS1_3repE0EEENS1_30default_config_static_selectorELNS0_4arch9wavefront6targetE0EEEvT1_.num_named_barrier, 0
	.set _ZN7rocprim17ROCPRIM_400000_NS6detail17trampoline_kernelINS0_14default_configENS1_27scan_by_key_config_selectorIidEEZZNS1_16scan_by_key_implILNS1_25lookback_scan_determinismE0ELb1ES3_N6thrust23THRUST_200600_302600_NS6detail15normal_iteratorINS9_10device_ptrIiEEEENSB_INSC_IdEEEESG_dNS9_4plusIvEENS9_8equal_toIvEEdEE10hipError_tPvRmT2_T3_T4_T5_mT6_T7_P12ihipStream_tbENKUlT_T0_E_clISt17integral_constantIbLb1EES11_EEDaSW_SX_EUlSW_E_NS1_11comp_targetILNS1_3genE2ELNS1_11target_archE906ELNS1_3gpuE6ELNS1_3repE0EEENS1_30default_config_static_selectorELNS0_4arch9wavefront6targetE0EEEvT1_.private_seg_size, 0
	.set _ZN7rocprim17ROCPRIM_400000_NS6detail17trampoline_kernelINS0_14default_configENS1_27scan_by_key_config_selectorIidEEZZNS1_16scan_by_key_implILNS1_25lookback_scan_determinismE0ELb1ES3_N6thrust23THRUST_200600_302600_NS6detail15normal_iteratorINS9_10device_ptrIiEEEENSB_INSC_IdEEEESG_dNS9_4plusIvEENS9_8equal_toIvEEdEE10hipError_tPvRmT2_T3_T4_T5_mT6_T7_P12ihipStream_tbENKUlT_T0_E_clISt17integral_constantIbLb1EES11_EEDaSW_SX_EUlSW_E_NS1_11comp_targetILNS1_3genE2ELNS1_11target_archE906ELNS1_3gpuE6ELNS1_3repE0EEENS1_30default_config_static_selectorELNS0_4arch9wavefront6targetE0EEEvT1_.uses_vcc, 0
	.set _ZN7rocprim17ROCPRIM_400000_NS6detail17trampoline_kernelINS0_14default_configENS1_27scan_by_key_config_selectorIidEEZZNS1_16scan_by_key_implILNS1_25lookback_scan_determinismE0ELb1ES3_N6thrust23THRUST_200600_302600_NS6detail15normal_iteratorINS9_10device_ptrIiEEEENSB_INSC_IdEEEESG_dNS9_4plusIvEENS9_8equal_toIvEEdEE10hipError_tPvRmT2_T3_T4_T5_mT6_T7_P12ihipStream_tbENKUlT_T0_E_clISt17integral_constantIbLb1EES11_EEDaSW_SX_EUlSW_E_NS1_11comp_targetILNS1_3genE2ELNS1_11target_archE906ELNS1_3gpuE6ELNS1_3repE0EEENS1_30default_config_static_selectorELNS0_4arch9wavefront6targetE0EEEvT1_.uses_flat_scratch, 0
	.set _ZN7rocprim17ROCPRIM_400000_NS6detail17trampoline_kernelINS0_14default_configENS1_27scan_by_key_config_selectorIidEEZZNS1_16scan_by_key_implILNS1_25lookback_scan_determinismE0ELb1ES3_N6thrust23THRUST_200600_302600_NS6detail15normal_iteratorINS9_10device_ptrIiEEEENSB_INSC_IdEEEESG_dNS9_4plusIvEENS9_8equal_toIvEEdEE10hipError_tPvRmT2_T3_T4_T5_mT6_T7_P12ihipStream_tbENKUlT_T0_E_clISt17integral_constantIbLb1EES11_EEDaSW_SX_EUlSW_E_NS1_11comp_targetILNS1_3genE2ELNS1_11target_archE906ELNS1_3gpuE6ELNS1_3repE0EEENS1_30default_config_static_selectorELNS0_4arch9wavefront6targetE0EEEvT1_.has_dyn_sized_stack, 0
	.set _ZN7rocprim17ROCPRIM_400000_NS6detail17trampoline_kernelINS0_14default_configENS1_27scan_by_key_config_selectorIidEEZZNS1_16scan_by_key_implILNS1_25lookback_scan_determinismE0ELb1ES3_N6thrust23THRUST_200600_302600_NS6detail15normal_iteratorINS9_10device_ptrIiEEEENSB_INSC_IdEEEESG_dNS9_4plusIvEENS9_8equal_toIvEEdEE10hipError_tPvRmT2_T3_T4_T5_mT6_T7_P12ihipStream_tbENKUlT_T0_E_clISt17integral_constantIbLb1EES11_EEDaSW_SX_EUlSW_E_NS1_11comp_targetILNS1_3genE2ELNS1_11target_archE906ELNS1_3gpuE6ELNS1_3repE0EEENS1_30default_config_static_selectorELNS0_4arch9wavefront6targetE0EEEvT1_.has_recursion, 0
	.set _ZN7rocprim17ROCPRIM_400000_NS6detail17trampoline_kernelINS0_14default_configENS1_27scan_by_key_config_selectorIidEEZZNS1_16scan_by_key_implILNS1_25lookback_scan_determinismE0ELb1ES3_N6thrust23THRUST_200600_302600_NS6detail15normal_iteratorINS9_10device_ptrIiEEEENSB_INSC_IdEEEESG_dNS9_4plusIvEENS9_8equal_toIvEEdEE10hipError_tPvRmT2_T3_T4_T5_mT6_T7_P12ihipStream_tbENKUlT_T0_E_clISt17integral_constantIbLb1EES11_EEDaSW_SX_EUlSW_E_NS1_11comp_targetILNS1_3genE2ELNS1_11target_archE906ELNS1_3gpuE6ELNS1_3repE0EEENS1_30default_config_static_selectorELNS0_4arch9wavefront6targetE0EEEvT1_.has_indirect_call, 0
	.section	.AMDGPU.csdata,"",@progbits
; Kernel info:
; codeLenInByte = 0
; TotalNumSgprs: 0
; NumVgprs: 0
; ScratchSize: 0
; MemoryBound: 0
; FloatMode: 240
; IeeeMode: 1
; LDSByteSize: 0 bytes/workgroup (compile time only)
; SGPRBlocks: 0
; VGPRBlocks: 0
; NumSGPRsForWavesPerEU: 1
; NumVGPRsForWavesPerEU: 1
; Occupancy: 16
; WaveLimiterHint : 0
; COMPUTE_PGM_RSRC2:SCRATCH_EN: 0
; COMPUTE_PGM_RSRC2:USER_SGPR: 6
; COMPUTE_PGM_RSRC2:TRAP_HANDLER: 0
; COMPUTE_PGM_RSRC2:TGID_X_EN: 1
; COMPUTE_PGM_RSRC2:TGID_Y_EN: 0
; COMPUTE_PGM_RSRC2:TGID_Z_EN: 0
; COMPUTE_PGM_RSRC2:TIDIG_COMP_CNT: 0
	.section	.text._ZN7rocprim17ROCPRIM_400000_NS6detail17trampoline_kernelINS0_14default_configENS1_27scan_by_key_config_selectorIidEEZZNS1_16scan_by_key_implILNS1_25lookback_scan_determinismE0ELb1ES3_N6thrust23THRUST_200600_302600_NS6detail15normal_iteratorINS9_10device_ptrIiEEEENSB_INSC_IdEEEESG_dNS9_4plusIvEENS9_8equal_toIvEEdEE10hipError_tPvRmT2_T3_T4_T5_mT6_T7_P12ihipStream_tbENKUlT_T0_E_clISt17integral_constantIbLb1EES11_EEDaSW_SX_EUlSW_E_NS1_11comp_targetILNS1_3genE10ELNS1_11target_archE1200ELNS1_3gpuE4ELNS1_3repE0EEENS1_30default_config_static_selectorELNS0_4arch9wavefront6targetE0EEEvT1_,"axG",@progbits,_ZN7rocprim17ROCPRIM_400000_NS6detail17trampoline_kernelINS0_14default_configENS1_27scan_by_key_config_selectorIidEEZZNS1_16scan_by_key_implILNS1_25lookback_scan_determinismE0ELb1ES3_N6thrust23THRUST_200600_302600_NS6detail15normal_iteratorINS9_10device_ptrIiEEEENSB_INSC_IdEEEESG_dNS9_4plusIvEENS9_8equal_toIvEEdEE10hipError_tPvRmT2_T3_T4_T5_mT6_T7_P12ihipStream_tbENKUlT_T0_E_clISt17integral_constantIbLb1EES11_EEDaSW_SX_EUlSW_E_NS1_11comp_targetILNS1_3genE10ELNS1_11target_archE1200ELNS1_3gpuE4ELNS1_3repE0EEENS1_30default_config_static_selectorELNS0_4arch9wavefront6targetE0EEEvT1_,comdat
	.protected	_ZN7rocprim17ROCPRIM_400000_NS6detail17trampoline_kernelINS0_14default_configENS1_27scan_by_key_config_selectorIidEEZZNS1_16scan_by_key_implILNS1_25lookback_scan_determinismE0ELb1ES3_N6thrust23THRUST_200600_302600_NS6detail15normal_iteratorINS9_10device_ptrIiEEEENSB_INSC_IdEEEESG_dNS9_4plusIvEENS9_8equal_toIvEEdEE10hipError_tPvRmT2_T3_T4_T5_mT6_T7_P12ihipStream_tbENKUlT_T0_E_clISt17integral_constantIbLb1EES11_EEDaSW_SX_EUlSW_E_NS1_11comp_targetILNS1_3genE10ELNS1_11target_archE1200ELNS1_3gpuE4ELNS1_3repE0EEENS1_30default_config_static_selectorELNS0_4arch9wavefront6targetE0EEEvT1_ ; -- Begin function _ZN7rocprim17ROCPRIM_400000_NS6detail17trampoline_kernelINS0_14default_configENS1_27scan_by_key_config_selectorIidEEZZNS1_16scan_by_key_implILNS1_25lookback_scan_determinismE0ELb1ES3_N6thrust23THRUST_200600_302600_NS6detail15normal_iteratorINS9_10device_ptrIiEEEENSB_INSC_IdEEEESG_dNS9_4plusIvEENS9_8equal_toIvEEdEE10hipError_tPvRmT2_T3_T4_T5_mT6_T7_P12ihipStream_tbENKUlT_T0_E_clISt17integral_constantIbLb1EES11_EEDaSW_SX_EUlSW_E_NS1_11comp_targetILNS1_3genE10ELNS1_11target_archE1200ELNS1_3gpuE4ELNS1_3repE0EEENS1_30default_config_static_selectorELNS0_4arch9wavefront6targetE0EEEvT1_
	.globl	_ZN7rocprim17ROCPRIM_400000_NS6detail17trampoline_kernelINS0_14default_configENS1_27scan_by_key_config_selectorIidEEZZNS1_16scan_by_key_implILNS1_25lookback_scan_determinismE0ELb1ES3_N6thrust23THRUST_200600_302600_NS6detail15normal_iteratorINS9_10device_ptrIiEEEENSB_INSC_IdEEEESG_dNS9_4plusIvEENS9_8equal_toIvEEdEE10hipError_tPvRmT2_T3_T4_T5_mT6_T7_P12ihipStream_tbENKUlT_T0_E_clISt17integral_constantIbLb1EES11_EEDaSW_SX_EUlSW_E_NS1_11comp_targetILNS1_3genE10ELNS1_11target_archE1200ELNS1_3gpuE4ELNS1_3repE0EEENS1_30default_config_static_selectorELNS0_4arch9wavefront6targetE0EEEvT1_
	.p2align	8
	.type	_ZN7rocprim17ROCPRIM_400000_NS6detail17trampoline_kernelINS0_14default_configENS1_27scan_by_key_config_selectorIidEEZZNS1_16scan_by_key_implILNS1_25lookback_scan_determinismE0ELb1ES3_N6thrust23THRUST_200600_302600_NS6detail15normal_iteratorINS9_10device_ptrIiEEEENSB_INSC_IdEEEESG_dNS9_4plusIvEENS9_8equal_toIvEEdEE10hipError_tPvRmT2_T3_T4_T5_mT6_T7_P12ihipStream_tbENKUlT_T0_E_clISt17integral_constantIbLb1EES11_EEDaSW_SX_EUlSW_E_NS1_11comp_targetILNS1_3genE10ELNS1_11target_archE1200ELNS1_3gpuE4ELNS1_3repE0EEENS1_30default_config_static_selectorELNS0_4arch9wavefront6targetE0EEEvT1_,@function
_ZN7rocprim17ROCPRIM_400000_NS6detail17trampoline_kernelINS0_14default_configENS1_27scan_by_key_config_selectorIidEEZZNS1_16scan_by_key_implILNS1_25lookback_scan_determinismE0ELb1ES3_N6thrust23THRUST_200600_302600_NS6detail15normal_iteratorINS9_10device_ptrIiEEEENSB_INSC_IdEEEESG_dNS9_4plusIvEENS9_8equal_toIvEEdEE10hipError_tPvRmT2_T3_T4_T5_mT6_T7_P12ihipStream_tbENKUlT_T0_E_clISt17integral_constantIbLb1EES11_EEDaSW_SX_EUlSW_E_NS1_11comp_targetILNS1_3genE10ELNS1_11target_archE1200ELNS1_3gpuE4ELNS1_3repE0EEENS1_30default_config_static_selectorELNS0_4arch9wavefront6targetE0EEEvT1_: ; @_ZN7rocprim17ROCPRIM_400000_NS6detail17trampoline_kernelINS0_14default_configENS1_27scan_by_key_config_selectorIidEEZZNS1_16scan_by_key_implILNS1_25lookback_scan_determinismE0ELb1ES3_N6thrust23THRUST_200600_302600_NS6detail15normal_iteratorINS9_10device_ptrIiEEEENSB_INSC_IdEEEESG_dNS9_4plusIvEENS9_8equal_toIvEEdEE10hipError_tPvRmT2_T3_T4_T5_mT6_T7_P12ihipStream_tbENKUlT_T0_E_clISt17integral_constantIbLb1EES11_EEDaSW_SX_EUlSW_E_NS1_11comp_targetILNS1_3genE10ELNS1_11target_archE1200ELNS1_3gpuE4ELNS1_3repE0EEENS1_30default_config_static_selectorELNS0_4arch9wavefront6targetE0EEEvT1_
; %bb.0:
	.section	.rodata,"a",@progbits
	.p2align	6, 0x0
	.amdhsa_kernel _ZN7rocprim17ROCPRIM_400000_NS6detail17trampoline_kernelINS0_14default_configENS1_27scan_by_key_config_selectorIidEEZZNS1_16scan_by_key_implILNS1_25lookback_scan_determinismE0ELb1ES3_N6thrust23THRUST_200600_302600_NS6detail15normal_iteratorINS9_10device_ptrIiEEEENSB_INSC_IdEEEESG_dNS9_4plusIvEENS9_8equal_toIvEEdEE10hipError_tPvRmT2_T3_T4_T5_mT6_T7_P12ihipStream_tbENKUlT_T0_E_clISt17integral_constantIbLb1EES11_EEDaSW_SX_EUlSW_E_NS1_11comp_targetILNS1_3genE10ELNS1_11target_archE1200ELNS1_3gpuE4ELNS1_3repE0EEENS1_30default_config_static_selectorELNS0_4arch9wavefront6targetE0EEEvT1_
		.amdhsa_group_segment_fixed_size 0
		.amdhsa_private_segment_fixed_size 0
		.amdhsa_kernarg_size 136
		.amdhsa_user_sgpr_count 6
		.amdhsa_user_sgpr_private_segment_buffer 1
		.amdhsa_user_sgpr_dispatch_ptr 0
		.amdhsa_user_sgpr_queue_ptr 0
		.amdhsa_user_sgpr_kernarg_segment_ptr 1
		.amdhsa_user_sgpr_dispatch_id 0
		.amdhsa_user_sgpr_flat_scratch_init 0
		.amdhsa_user_sgpr_private_segment_size 0
		.amdhsa_wavefront_size32 1
		.amdhsa_uses_dynamic_stack 0
		.amdhsa_system_sgpr_private_segment_wavefront_offset 0
		.amdhsa_system_sgpr_workgroup_id_x 1
		.amdhsa_system_sgpr_workgroup_id_y 0
		.amdhsa_system_sgpr_workgroup_id_z 0
		.amdhsa_system_sgpr_workgroup_info 0
		.amdhsa_system_vgpr_workitem_id 0
		.amdhsa_next_free_vgpr 1
		.amdhsa_next_free_sgpr 1
		.amdhsa_reserve_vcc 0
		.amdhsa_reserve_flat_scratch 0
		.amdhsa_float_round_mode_32 0
		.amdhsa_float_round_mode_16_64 0
		.amdhsa_float_denorm_mode_32 3
		.amdhsa_float_denorm_mode_16_64 3
		.amdhsa_dx10_clamp 1
		.amdhsa_ieee_mode 1
		.amdhsa_fp16_overflow 0
		.amdhsa_workgroup_processor_mode 1
		.amdhsa_memory_ordered 1
		.amdhsa_forward_progress 1
		.amdhsa_shared_vgpr_count 0
		.amdhsa_exception_fp_ieee_invalid_op 0
		.amdhsa_exception_fp_denorm_src 0
		.amdhsa_exception_fp_ieee_div_zero 0
		.amdhsa_exception_fp_ieee_overflow 0
		.amdhsa_exception_fp_ieee_underflow 0
		.amdhsa_exception_fp_ieee_inexact 0
		.amdhsa_exception_int_div_zero 0
	.end_amdhsa_kernel
	.section	.text._ZN7rocprim17ROCPRIM_400000_NS6detail17trampoline_kernelINS0_14default_configENS1_27scan_by_key_config_selectorIidEEZZNS1_16scan_by_key_implILNS1_25lookback_scan_determinismE0ELb1ES3_N6thrust23THRUST_200600_302600_NS6detail15normal_iteratorINS9_10device_ptrIiEEEENSB_INSC_IdEEEESG_dNS9_4plusIvEENS9_8equal_toIvEEdEE10hipError_tPvRmT2_T3_T4_T5_mT6_T7_P12ihipStream_tbENKUlT_T0_E_clISt17integral_constantIbLb1EES11_EEDaSW_SX_EUlSW_E_NS1_11comp_targetILNS1_3genE10ELNS1_11target_archE1200ELNS1_3gpuE4ELNS1_3repE0EEENS1_30default_config_static_selectorELNS0_4arch9wavefront6targetE0EEEvT1_,"axG",@progbits,_ZN7rocprim17ROCPRIM_400000_NS6detail17trampoline_kernelINS0_14default_configENS1_27scan_by_key_config_selectorIidEEZZNS1_16scan_by_key_implILNS1_25lookback_scan_determinismE0ELb1ES3_N6thrust23THRUST_200600_302600_NS6detail15normal_iteratorINS9_10device_ptrIiEEEENSB_INSC_IdEEEESG_dNS9_4plusIvEENS9_8equal_toIvEEdEE10hipError_tPvRmT2_T3_T4_T5_mT6_T7_P12ihipStream_tbENKUlT_T0_E_clISt17integral_constantIbLb1EES11_EEDaSW_SX_EUlSW_E_NS1_11comp_targetILNS1_3genE10ELNS1_11target_archE1200ELNS1_3gpuE4ELNS1_3repE0EEENS1_30default_config_static_selectorELNS0_4arch9wavefront6targetE0EEEvT1_,comdat
.Lfunc_end1406:
	.size	_ZN7rocprim17ROCPRIM_400000_NS6detail17trampoline_kernelINS0_14default_configENS1_27scan_by_key_config_selectorIidEEZZNS1_16scan_by_key_implILNS1_25lookback_scan_determinismE0ELb1ES3_N6thrust23THRUST_200600_302600_NS6detail15normal_iteratorINS9_10device_ptrIiEEEENSB_INSC_IdEEEESG_dNS9_4plusIvEENS9_8equal_toIvEEdEE10hipError_tPvRmT2_T3_T4_T5_mT6_T7_P12ihipStream_tbENKUlT_T0_E_clISt17integral_constantIbLb1EES11_EEDaSW_SX_EUlSW_E_NS1_11comp_targetILNS1_3genE10ELNS1_11target_archE1200ELNS1_3gpuE4ELNS1_3repE0EEENS1_30default_config_static_selectorELNS0_4arch9wavefront6targetE0EEEvT1_, .Lfunc_end1406-_ZN7rocprim17ROCPRIM_400000_NS6detail17trampoline_kernelINS0_14default_configENS1_27scan_by_key_config_selectorIidEEZZNS1_16scan_by_key_implILNS1_25lookback_scan_determinismE0ELb1ES3_N6thrust23THRUST_200600_302600_NS6detail15normal_iteratorINS9_10device_ptrIiEEEENSB_INSC_IdEEEESG_dNS9_4plusIvEENS9_8equal_toIvEEdEE10hipError_tPvRmT2_T3_T4_T5_mT6_T7_P12ihipStream_tbENKUlT_T0_E_clISt17integral_constantIbLb1EES11_EEDaSW_SX_EUlSW_E_NS1_11comp_targetILNS1_3genE10ELNS1_11target_archE1200ELNS1_3gpuE4ELNS1_3repE0EEENS1_30default_config_static_selectorELNS0_4arch9wavefront6targetE0EEEvT1_
                                        ; -- End function
	.set _ZN7rocprim17ROCPRIM_400000_NS6detail17trampoline_kernelINS0_14default_configENS1_27scan_by_key_config_selectorIidEEZZNS1_16scan_by_key_implILNS1_25lookback_scan_determinismE0ELb1ES3_N6thrust23THRUST_200600_302600_NS6detail15normal_iteratorINS9_10device_ptrIiEEEENSB_INSC_IdEEEESG_dNS9_4plusIvEENS9_8equal_toIvEEdEE10hipError_tPvRmT2_T3_T4_T5_mT6_T7_P12ihipStream_tbENKUlT_T0_E_clISt17integral_constantIbLb1EES11_EEDaSW_SX_EUlSW_E_NS1_11comp_targetILNS1_3genE10ELNS1_11target_archE1200ELNS1_3gpuE4ELNS1_3repE0EEENS1_30default_config_static_selectorELNS0_4arch9wavefront6targetE0EEEvT1_.num_vgpr, 0
	.set _ZN7rocprim17ROCPRIM_400000_NS6detail17trampoline_kernelINS0_14default_configENS1_27scan_by_key_config_selectorIidEEZZNS1_16scan_by_key_implILNS1_25lookback_scan_determinismE0ELb1ES3_N6thrust23THRUST_200600_302600_NS6detail15normal_iteratorINS9_10device_ptrIiEEEENSB_INSC_IdEEEESG_dNS9_4plusIvEENS9_8equal_toIvEEdEE10hipError_tPvRmT2_T3_T4_T5_mT6_T7_P12ihipStream_tbENKUlT_T0_E_clISt17integral_constantIbLb1EES11_EEDaSW_SX_EUlSW_E_NS1_11comp_targetILNS1_3genE10ELNS1_11target_archE1200ELNS1_3gpuE4ELNS1_3repE0EEENS1_30default_config_static_selectorELNS0_4arch9wavefront6targetE0EEEvT1_.num_agpr, 0
	.set _ZN7rocprim17ROCPRIM_400000_NS6detail17trampoline_kernelINS0_14default_configENS1_27scan_by_key_config_selectorIidEEZZNS1_16scan_by_key_implILNS1_25lookback_scan_determinismE0ELb1ES3_N6thrust23THRUST_200600_302600_NS6detail15normal_iteratorINS9_10device_ptrIiEEEENSB_INSC_IdEEEESG_dNS9_4plusIvEENS9_8equal_toIvEEdEE10hipError_tPvRmT2_T3_T4_T5_mT6_T7_P12ihipStream_tbENKUlT_T0_E_clISt17integral_constantIbLb1EES11_EEDaSW_SX_EUlSW_E_NS1_11comp_targetILNS1_3genE10ELNS1_11target_archE1200ELNS1_3gpuE4ELNS1_3repE0EEENS1_30default_config_static_selectorELNS0_4arch9wavefront6targetE0EEEvT1_.numbered_sgpr, 0
	.set _ZN7rocprim17ROCPRIM_400000_NS6detail17trampoline_kernelINS0_14default_configENS1_27scan_by_key_config_selectorIidEEZZNS1_16scan_by_key_implILNS1_25lookback_scan_determinismE0ELb1ES3_N6thrust23THRUST_200600_302600_NS6detail15normal_iteratorINS9_10device_ptrIiEEEENSB_INSC_IdEEEESG_dNS9_4plusIvEENS9_8equal_toIvEEdEE10hipError_tPvRmT2_T3_T4_T5_mT6_T7_P12ihipStream_tbENKUlT_T0_E_clISt17integral_constantIbLb1EES11_EEDaSW_SX_EUlSW_E_NS1_11comp_targetILNS1_3genE10ELNS1_11target_archE1200ELNS1_3gpuE4ELNS1_3repE0EEENS1_30default_config_static_selectorELNS0_4arch9wavefront6targetE0EEEvT1_.num_named_barrier, 0
	.set _ZN7rocprim17ROCPRIM_400000_NS6detail17trampoline_kernelINS0_14default_configENS1_27scan_by_key_config_selectorIidEEZZNS1_16scan_by_key_implILNS1_25lookback_scan_determinismE0ELb1ES3_N6thrust23THRUST_200600_302600_NS6detail15normal_iteratorINS9_10device_ptrIiEEEENSB_INSC_IdEEEESG_dNS9_4plusIvEENS9_8equal_toIvEEdEE10hipError_tPvRmT2_T3_T4_T5_mT6_T7_P12ihipStream_tbENKUlT_T0_E_clISt17integral_constantIbLb1EES11_EEDaSW_SX_EUlSW_E_NS1_11comp_targetILNS1_3genE10ELNS1_11target_archE1200ELNS1_3gpuE4ELNS1_3repE0EEENS1_30default_config_static_selectorELNS0_4arch9wavefront6targetE0EEEvT1_.private_seg_size, 0
	.set _ZN7rocprim17ROCPRIM_400000_NS6detail17trampoline_kernelINS0_14default_configENS1_27scan_by_key_config_selectorIidEEZZNS1_16scan_by_key_implILNS1_25lookback_scan_determinismE0ELb1ES3_N6thrust23THRUST_200600_302600_NS6detail15normal_iteratorINS9_10device_ptrIiEEEENSB_INSC_IdEEEESG_dNS9_4plusIvEENS9_8equal_toIvEEdEE10hipError_tPvRmT2_T3_T4_T5_mT6_T7_P12ihipStream_tbENKUlT_T0_E_clISt17integral_constantIbLb1EES11_EEDaSW_SX_EUlSW_E_NS1_11comp_targetILNS1_3genE10ELNS1_11target_archE1200ELNS1_3gpuE4ELNS1_3repE0EEENS1_30default_config_static_selectorELNS0_4arch9wavefront6targetE0EEEvT1_.uses_vcc, 0
	.set _ZN7rocprim17ROCPRIM_400000_NS6detail17trampoline_kernelINS0_14default_configENS1_27scan_by_key_config_selectorIidEEZZNS1_16scan_by_key_implILNS1_25lookback_scan_determinismE0ELb1ES3_N6thrust23THRUST_200600_302600_NS6detail15normal_iteratorINS9_10device_ptrIiEEEENSB_INSC_IdEEEESG_dNS9_4plusIvEENS9_8equal_toIvEEdEE10hipError_tPvRmT2_T3_T4_T5_mT6_T7_P12ihipStream_tbENKUlT_T0_E_clISt17integral_constantIbLb1EES11_EEDaSW_SX_EUlSW_E_NS1_11comp_targetILNS1_3genE10ELNS1_11target_archE1200ELNS1_3gpuE4ELNS1_3repE0EEENS1_30default_config_static_selectorELNS0_4arch9wavefront6targetE0EEEvT1_.uses_flat_scratch, 0
	.set _ZN7rocprim17ROCPRIM_400000_NS6detail17trampoline_kernelINS0_14default_configENS1_27scan_by_key_config_selectorIidEEZZNS1_16scan_by_key_implILNS1_25lookback_scan_determinismE0ELb1ES3_N6thrust23THRUST_200600_302600_NS6detail15normal_iteratorINS9_10device_ptrIiEEEENSB_INSC_IdEEEESG_dNS9_4plusIvEENS9_8equal_toIvEEdEE10hipError_tPvRmT2_T3_T4_T5_mT6_T7_P12ihipStream_tbENKUlT_T0_E_clISt17integral_constantIbLb1EES11_EEDaSW_SX_EUlSW_E_NS1_11comp_targetILNS1_3genE10ELNS1_11target_archE1200ELNS1_3gpuE4ELNS1_3repE0EEENS1_30default_config_static_selectorELNS0_4arch9wavefront6targetE0EEEvT1_.has_dyn_sized_stack, 0
	.set _ZN7rocprim17ROCPRIM_400000_NS6detail17trampoline_kernelINS0_14default_configENS1_27scan_by_key_config_selectorIidEEZZNS1_16scan_by_key_implILNS1_25lookback_scan_determinismE0ELb1ES3_N6thrust23THRUST_200600_302600_NS6detail15normal_iteratorINS9_10device_ptrIiEEEENSB_INSC_IdEEEESG_dNS9_4plusIvEENS9_8equal_toIvEEdEE10hipError_tPvRmT2_T3_T4_T5_mT6_T7_P12ihipStream_tbENKUlT_T0_E_clISt17integral_constantIbLb1EES11_EEDaSW_SX_EUlSW_E_NS1_11comp_targetILNS1_3genE10ELNS1_11target_archE1200ELNS1_3gpuE4ELNS1_3repE0EEENS1_30default_config_static_selectorELNS0_4arch9wavefront6targetE0EEEvT1_.has_recursion, 0
	.set _ZN7rocprim17ROCPRIM_400000_NS6detail17trampoline_kernelINS0_14default_configENS1_27scan_by_key_config_selectorIidEEZZNS1_16scan_by_key_implILNS1_25lookback_scan_determinismE0ELb1ES3_N6thrust23THRUST_200600_302600_NS6detail15normal_iteratorINS9_10device_ptrIiEEEENSB_INSC_IdEEEESG_dNS9_4plusIvEENS9_8equal_toIvEEdEE10hipError_tPvRmT2_T3_T4_T5_mT6_T7_P12ihipStream_tbENKUlT_T0_E_clISt17integral_constantIbLb1EES11_EEDaSW_SX_EUlSW_E_NS1_11comp_targetILNS1_3genE10ELNS1_11target_archE1200ELNS1_3gpuE4ELNS1_3repE0EEENS1_30default_config_static_selectorELNS0_4arch9wavefront6targetE0EEEvT1_.has_indirect_call, 0
	.section	.AMDGPU.csdata,"",@progbits
; Kernel info:
; codeLenInByte = 0
; TotalNumSgprs: 0
; NumVgprs: 0
; ScratchSize: 0
; MemoryBound: 0
; FloatMode: 240
; IeeeMode: 1
; LDSByteSize: 0 bytes/workgroup (compile time only)
; SGPRBlocks: 0
; VGPRBlocks: 0
; NumSGPRsForWavesPerEU: 1
; NumVGPRsForWavesPerEU: 1
; Occupancy: 16
; WaveLimiterHint : 0
; COMPUTE_PGM_RSRC2:SCRATCH_EN: 0
; COMPUTE_PGM_RSRC2:USER_SGPR: 6
; COMPUTE_PGM_RSRC2:TRAP_HANDLER: 0
; COMPUTE_PGM_RSRC2:TGID_X_EN: 1
; COMPUTE_PGM_RSRC2:TGID_Y_EN: 0
; COMPUTE_PGM_RSRC2:TGID_Z_EN: 0
; COMPUTE_PGM_RSRC2:TIDIG_COMP_CNT: 0
	.section	.text._ZN7rocprim17ROCPRIM_400000_NS6detail17trampoline_kernelINS0_14default_configENS1_27scan_by_key_config_selectorIidEEZZNS1_16scan_by_key_implILNS1_25lookback_scan_determinismE0ELb1ES3_N6thrust23THRUST_200600_302600_NS6detail15normal_iteratorINS9_10device_ptrIiEEEENSB_INSC_IdEEEESG_dNS9_4plusIvEENS9_8equal_toIvEEdEE10hipError_tPvRmT2_T3_T4_T5_mT6_T7_P12ihipStream_tbENKUlT_T0_E_clISt17integral_constantIbLb1EES11_EEDaSW_SX_EUlSW_E_NS1_11comp_targetILNS1_3genE9ELNS1_11target_archE1100ELNS1_3gpuE3ELNS1_3repE0EEENS1_30default_config_static_selectorELNS0_4arch9wavefront6targetE0EEEvT1_,"axG",@progbits,_ZN7rocprim17ROCPRIM_400000_NS6detail17trampoline_kernelINS0_14default_configENS1_27scan_by_key_config_selectorIidEEZZNS1_16scan_by_key_implILNS1_25lookback_scan_determinismE0ELb1ES3_N6thrust23THRUST_200600_302600_NS6detail15normal_iteratorINS9_10device_ptrIiEEEENSB_INSC_IdEEEESG_dNS9_4plusIvEENS9_8equal_toIvEEdEE10hipError_tPvRmT2_T3_T4_T5_mT6_T7_P12ihipStream_tbENKUlT_T0_E_clISt17integral_constantIbLb1EES11_EEDaSW_SX_EUlSW_E_NS1_11comp_targetILNS1_3genE9ELNS1_11target_archE1100ELNS1_3gpuE3ELNS1_3repE0EEENS1_30default_config_static_selectorELNS0_4arch9wavefront6targetE0EEEvT1_,comdat
	.protected	_ZN7rocprim17ROCPRIM_400000_NS6detail17trampoline_kernelINS0_14default_configENS1_27scan_by_key_config_selectorIidEEZZNS1_16scan_by_key_implILNS1_25lookback_scan_determinismE0ELb1ES3_N6thrust23THRUST_200600_302600_NS6detail15normal_iteratorINS9_10device_ptrIiEEEENSB_INSC_IdEEEESG_dNS9_4plusIvEENS9_8equal_toIvEEdEE10hipError_tPvRmT2_T3_T4_T5_mT6_T7_P12ihipStream_tbENKUlT_T0_E_clISt17integral_constantIbLb1EES11_EEDaSW_SX_EUlSW_E_NS1_11comp_targetILNS1_3genE9ELNS1_11target_archE1100ELNS1_3gpuE3ELNS1_3repE0EEENS1_30default_config_static_selectorELNS0_4arch9wavefront6targetE0EEEvT1_ ; -- Begin function _ZN7rocprim17ROCPRIM_400000_NS6detail17trampoline_kernelINS0_14default_configENS1_27scan_by_key_config_selectorIidEEZZNS1_16scan_by_key_implILNS1_25lookback_scan_determinismE0ELb1ES3_N6thrust23THRUST_200600_302600_NS6detail15normal_iteratorINS9_10device_ptrIiEEEENSB_INSC_IdEEEESG_dNS9_4plusIvEENS9_8equal_toIvEEdEE10hipError_tPvRmT2_T3_T4_T5_mT6_T7_P12ihipStream_tbENKUlT_T0_E_clISt17integral_constantIbLb1EES11_EEDaSW_SX_EUlSW_E_NS1_11comp_targetILNS1_3genE9ELNS1_11target_archE1100ELNS1_3gpuE3ELNS1_3repE0EEENS1_30default_config_static_selectorELNS0_4arch9wavefront6targetE0EEEvT1_
	.globl	_ZN7rocprim17ROCPRIM_400000_NS6detail17trampoline_kernelINS0_14default_configENS1_27scan_by_key_config_selectorIidEEZZNS1_16scan_by_key_implILNS1_25lookback_scan_determinismE0ELb1ES3_N6thrust23THRUST_200600_302600_NS6detail15normal_iteratorINS9_10device_ptrIiEEEENSB_INSC_IdEEEESG_dNS9_4plusIvEENS9_8equal_toIvEEdEE10hipError_tPvRmT2_T3_T4_T5_mT6_T7_P12ihipStream_tbENKUlT_T0_E_clISt17integral_constantIbLb1EES11_EEDaSW_SX_EUlSW_E_NS1_11comp_targetILNS1_3genE9ELNS1_11target_archE1100ELNS1_3gpuE3ELNS1_3repE0EEENS1_30default_config_static_selectorELNS0_4arch9wavefront6targetE0EEEvT1_
	.p2align	8
	.type	_ZN7rocprim17ROCPRIM_400000_NS6detail17trampoline_kernelINS0_14default_configENS1_27scan_by_key_config_selectorIidEEZZNS1_16scan_by_key_implILNS1_25lookback_scan_determinismE0ELb1ES3_N6thrust23THRUST_200600_302600_NS6detail15normal_iteratorINS9_10device_ptrIiEEEENSB_INSC_IdEEEESG_dNS9_4plusIvEENS9_8equal_toIvEEdEE10hipError_tPvRmT2_T3_T4_T5_mT6_T7_P12ihipStream_tbENKUlT_T0_E_clISt17integral_constantIbLb1EES11_EEDaSW_SX_EUlSW_E_NS1_11comp_targetILNS1_3genE9ELNS1_11target_archE1100ELNS1_3gpuE3ELNS1_3repE0EEENS1_30default_config_static_selectorELNS0_4arch9wavefront6targetE0EEEvT1_,@function
_ZN7rocprim17ROCPRIM_400000_NS6detail17trampoline_kernelINS0_14default_configENS1_27scan_by_key_config_selectorIidEEZZNS1_16scan_by_key_implILNS1_25lookback_scan_determinismE0ELb1ES3_N6thrust23THRUST_200600_302600_NS6detail15normal_iteratorINS9_10device_ptrIiEEEENSB_INSC_IdEEEESG_dNS9_4plusIvEENS9_8equal_toIvEEdEE10hipError_tPvRmT2_T3_T4_T5_mT6_T7_P12ihipStream_tbENKUlT_T0_E_clISt17integral_constantIbLb1EES11_EEDaSW_SX_EUlSW_E_NS1_11comp_targetILNS1_3genE9ELNS1_11target_archE1100ELNS1_3gpuE3ELNS1_3repE0EEENS1_30default_config_static_selectorELNS0_4arch9wavefront6targetE0EEEvT1_: ; @_ZN7rocprim17ROCPRIM_400000_NS6detail17trampoline_kernelINS0_14default_configENS1_27scan_by_key_config_selectorIidEEZZNS1_16scan_by_key_implILNS1_25lookback_scan_determinismE0ELb1ES3_N6thrust23THRUST_200600_302600_NS6detail15normal_iteratorINS9_10device_ptrIiEEEENSB_INSC_IdEEEESG_dNS9_4plusIvEENS9_8equal_toIvEEdEE10hipError_tPvRmT2_T3_T4_T5_mT6_T7_P12ihipStream_tbENKUlT_T0_E_clISt17integral_constantIbLb1EES11_EEDaSW_SX_EUlSW_E_NS1_11comp_targetILNS1_3genE9ELNS1_11target_archE1100ELNS1_3gpuE3ELNS1_3repE0EEENS1_30default_config_static_selectorELNS0_4arch9wavefront6targetE0EEEvT1_
; %bb.0:
	.section	.rodata,"a",@progbits
	.p2align	6, 0x0
	.amdhsa_kernel _ZN7rocprim17ROCPRIM_400000_NS6detail17trampoline_kernelINS0_14default_configENS1_27scan_by_key_config_selectorIidEEZZNS1_16scan_by_key_implILNS1_25lookback_scan_determinismE0ELb1ES3_N6thrust23THRUST_200600_302600_NS6detail15normal_iteratorINS9_10device_ptrIiEEEENSB_INSC_IdEEEESG_dNS9_4plusIvEENS9_8equal_toIvEEdEE10hipError_tPvRmT2_T3_T4_T5_mT6_T7_P12ihipStream_tbENKUlT_T0_E_clISt17integral_constantIbLb1EES11_EEDaSW_SX_EUlSW_E_NS1_11comp_targetILNS1_3genE9ELNS1_11target_archE1100ELNS1_3gpuE3ELNS1_3repE0EEENS1_30default_config_static_selectorELNS0_4arch9wavefront6targetE0EEEvT1_
		.amdhsa_group_segment_fixed_size 0
		.amdhsa_private_segment_fixed_size 0
		.amdhsa_kernarg_size 136
		.amdhsa_user_sgpr_count 6
		.amdhsa_user_sgpr_private_segment_buffer 1
		.amdhsa_user_sgpr_dispatch_ptr 0
		.amdhsa_user_sgpr_queue_ptr 0
		.amdhsa_user_sgpr_kernarg_segment_ptr 1
		.amdhsa_user_sgpr_dispatch_id 0
		.amdhsa_user_sgpr_flat_scratch_init 0
		.amdhsa_user_sgpr_private_segment_size 0
		.amdhsa_wavefront_size32 1
		.amdhsa_uses_dynamic_stack 0
		.amdhsa_system_sgpr_private_segment_wavefront_offset 0
		.amdhsa_system_sgpr_workgroup_id_x 1
		.amdhsa_system_sgpr_workgroup_id_y 0
		.amdhsa_system_sgpr_workgroup_id_z 0
		.amdhsa_system_sgpr_workgroup_info 0
		.amdhsa_system_vgpr_workitem_id 0
		.amdhsa_next_free_vgpr 1
		.amdhsa_next_free_sgpr 1
		.amdhsa_reserve_vcc 0
		.amdhsa_reserve_flat_scratch 0
		.amdhsa_float_round_mode_32 0
		.amdhsa_float_round_mode_16_64 0
		.amdhsa_float_denorm_mode_32 3
		.amdhsa_float_denorm_mode_16_64 3
		.amdhsa_dx10_clamp 1
		.amdhsa_ieee_mode 1
		.amdhsa_fp16_overflow 0
		.amdhsa_workgroup_processor_mode 1
		.amdhsa_memory_ordered 1
		.amdhsa_forward_progress 1
		.amdhsa_shared_vgpr_count 0
		.amdhsa_exception_fp_ieee_invalid_op 0
		.amdhsa_exception_fp_denorm_src 0
		.amdhsa_exception_fp_ieee_div_zero 0
		.amdhsa_exception_fp_ieee_overflow 0
		.amdhsa_exception_fp_ieee_underflow 0
		.amdhsa_exception_fp_ieee_inexact 0
		.amdhsa_exception_int_div_zero 0
	.end_amdhsa_kernel
	.section	.text._ZN7rocprim17ROCPRIM_400000_NS6detail17trampoline_kernelINS0_14default_configENS1_27scan_by_key_config_selectorIidEEZZNS1_16scan_by_key_implILNS1_25lookback_scan_determinismE0ELb1ES3_N6thrust23THRUST_200600_302600_NS6detail15normal_iteratorINS9_10device_ptrIiEEEENSB_INSC_IdEEEESG_dNS9_4plusIvEENS9_8equal_toIvEEdEE10hipError_tPvRmT2_T3_T4_T5_mT6_T7_P12ihipStream_tbENKUlT_T0_E_clISt17integral_constantIbLb1EES11_EEDaSW_SX_EUlSW_E_NS1_11comp_targetILNS1_3genE9ELNS1_11target_archE1100ELNS1_3gpuE3ELNS1_3repE0EEENS1_30default_config_static_selectorELNS0_4arch9wavefront6targetE0EEEvT1_,"axG",@progbits,_ZN7rocprim17ROCPRIM_400000_NS6detail17trampoline_kernelINS0_14default_configENS1_27scan_by_key_config_selectorIidEEZZNS1_16scan_by_key_implILNS1_25lookback_scan_determinismE0ELb1ES3_N6thrust23THRUST_200600_302600_NS6detail15normal_iteratorINS9_10device_ptrIiEEEENSB_INSC_IdEEEESG_dNS9_4plusIvEENS9_8equal_toIvEEdEE10hipError_tPvRmT2_T3_T4_T5_mT6_T7_P12ihipStream_tbENKUlT_T0_E_clISt17integral_constantIbLb1EES11_EEDaSW_SX_EUlSW_E_NS1_11comp_targetILNS1_3genE9ELNS1_11target_archE1100ELNS1_3gpuE3ELNS1_3repE0EEENS1_30default_config_static_selectorELNS0_4arch9wavefront6targetE0EEEvT1_,comdat
.Lfunc_end1407:
	.size	_ZN7rocprim17ROCPRIM_400000_NS6detail17trampoline_kernelINS0_14default_configENS1_27scan_by_key_config_selectorIidEEZZNS1_16scan_by_key_implILNS1_25lookback_scan_determinismE0ELb1ES3_N6thrust23THRUST_200600_302600_NS6detail15normal_iteratorINS9_10device_ptrIiEEEENSB_INSC_IdEEEESG_dNS9_4plusIvEENS9_8equal_toIvEEdEE10hipError_tPvRmT2_T3_T4_T5_mT6_T7_P12ihipStream_tbENKUlT_T0_E_clISt17integral_constantIbLb1EES11_EEDaSW_SX_EUlSW_E_NS1_11comp_targetILNS1_3genE9ELNS1_11target_archE1100ELNS1_3gpuE3ELNS1_3repE0EEENS1_30default_config_static_selectorELNS0_4arch9wavefront6targetE0EEEvT1_, .Lfunc_end1407-_ZN7rocprim17ROCPRIM_400000_NS6detail17trampoline_kernelINS0_14default_configENS1_27scan_by_key_config_selectorIidEEZZNS1_16scan_by_key_implILNS1_25lookback_scan_determinismE0ELb1ES3_N6thrust23THRUST_200600_302600_NS6detail15normal_iteratorINS9_10device_ptrIiEEEENSB_INSC_IdEEEESG_dNS9_4plusIvEENS9_8equal_toIvEEdEE10hipError_tPvRmT2_T3_T4_T5_mT6_T7_P12ihipStream_tbENKUlT_T0_E_clISt17integral_constantIbLb1EES11_EEDaSW_SX_EUlSW_E_NS1_11comp_targetILNS1_3genE9ELNS1_11target_archE1100ELNS1_3gpuE3ELNS1_3repE0EEENS1_30default_config_static_selectorELNS0_4arch9wavefront6targetE0EEEvT1_
                                        ; -- End function
	.set _ZN7rocprim17ROCPRIM_400000_NS6detail17trampoline_kernelINS0_14default_configENS1_27scan_by_key_config_selectorIidEEZZNS1_16scan_by_key_implILNS1_25lookback_scan_determinismE0ELb1ES3_N6thrust23THRUST_200600_302600_NS6detail15normal_iteratorINS9_10device_ptrIiEEEENSB_INSC_IdEEEESG_dNS9_4plusIvEENS9_8equal_toIvEEdEE10hipError_tPvRmT2_T3_T4_T5_mT6_T7_P12ihipStream_tbENKUlT_T0_E_clISt17integral_constantIbLb1EES11_EEDaSW_SX_EUlSW_E_NS1_11comp_targetILNS1_3genE9ELNS1_11target_archE1100ELNS1_3gpuE3ELNS1_3repE0EEENS1_30default_config_static_selectorELNS0_4arch9wavefront6targetE0EEEvT1_.num_vgpr, 0
	.set _ZN7rocprim17ROCPRIM_400000_NS6detail17trampoline_kernelINS0_14default_configENS1_27scan_by_key_config_selectorIidEEZZNS1_16scan_by_key_implILNS1_25lookback_scan_determinismE0ELb1ES3_N6thrust23THRUST_200600_302600_NS6detail15normal_iteratorINS9_10device_ptrIiEEEENSB_INSC_IdEEEESG_dNS9_4plusIvEENS9_8equal_toIvEEdEE10hipError_tPvRmT2_T3_T4_T5_mT6_T7_P12ihipStream_tbENKUlT_T0_E_clISt17integral_constantIbLb1EES11_EEDaSW_SX_EUlSW_E_NS1_11comp_targetILNS1_3genE9ELNS1_11target_archE1100ELNS1_3gpuE3ELNS1_3repE0EEENS1_30default_config_static_selectorELNS0_4arch9wavefront6targetE0EEEvT1_.num_agpr, 0
	.set _ZN7rocprim17ROCPRIM_400000_NS6detail17trampoline_kernelINS0_14default_configENS1_27scan_by_key_config_selectorIidEEZZNS1_16scan_by_key_implILNS1_25lookback_scan_determinismE0ELb1ES3_N6thrust23THRUST_200600_302600_NS6detail15normal_iteratorINS9_10device_ptrIiEEEENSB_INSC_IdEEEESG_dNS9_4plusIvEENS9_8equal_toIvEEdEE10hipError_tPvRmT2_T3_T4_T5_mT6_T7_P12ihipStream_tbENKUlT_T0_E_clISt17integral_constantIbLb1EES11_EEDaSW_SX_EUlSW_E_NS1_11comp_targetILNS1_3genE9ELNS1_11target_archE1100ELNS1_3gpuE3ELNS1_3repE0EEENS1_30default_config_static_selectorELNS0_4arch9wavefront6targetE0EEEvT1_.numbered_sgpr, 0
	.set _ZN7rocprim17ROCPRIM_400000_NS6detail17trampoline_kernelINS0_14default_configENS1_27scan_by_key_config_selectorIidEEZZNS1_16scan_by_key_implILNS1_25lookback_scan_determinismE0ELb1ES3_N6thrust23THRUST_200600_302600_NS6detail15normal_iteratorINS9_10device_ptrIiEEEENSB_INSC_IdEEEESG_dNS9_4plusIvEENS9_8equal_toIvEEdEE10hipError_tPvRmT2_T3_T4_T5_mT6_T7_P12ihipStream_tbENKUlT_T0_E_clISt17integral_constantIbLb1EES11_EEDaSW_SX_EUlSW_E_NS1_11comp_targetILNS1_3genE9ELNS1_11target_archE1100ELNS1_3gpuE3ELNS1_3repE0EEENS1_30default_config_static_selectorELNS0_4arch9wavefront6targetE0EEEvT1_.num_named_barrier, 0
	.set _ZN7rocprim17ROCPRIM_400000_NS6detail17trampoline_kernelINS0_14default_configENS1_27scan_by_key_config_selectorIidEEZZNS1_16scan_by_key_implILNS1_25lookback_scan_determinismE0ELb1ES3_N6thrust23THRUST_200600_302600_NS6detail15normal_iteratorINS9_10device_ptrIiEEEENSB_INSC_IdEEEESG_dNS9_4plusIvEENS9_8equal_toIvEEdEE10hipError_tPvRmT2_T3_T4_T5_mT6_T7_P12ihipStream_tbENKUlT_T0_E_clISt17integral_constantIbLb1EES11_EEDaSW_SX_EUlSW_E_NS1_11comp_targetILNS1_3genE9ELNS1_11target_archE1100ELNS1_3gpuE3ELNS1_3repE0EEENS1_30default_config_static_selectorELNS0_4arch9wavefront6targetE0EEEvT1_.private_seg_size, 0
	.set _ZN7rocprim17ROCPRIM_400000_NS6detail17trampoline_kernelINS0_14default_configENS1_27scan_by_key_config_selectorIidEEZZNS1_16scan_by_key_implILNS1_25lookback_scan_determinismE0ELb1ES3_N6thrust23THRUST_200600_302600_NS6detail15normal_iteratorINS9_10device_ptrIiEEEENSB_INSC_IdEEEESG_dNS9_4plusIvEENS9_8equal_toIvEEdEE10hipError_tPvRmT2_T3_T4_T5_mT6_T7_P12ihipStream_tbENKUlT_T0_E_clISt17integral_constantIbLb1EES11_EEDaSW_SX_EUlSW_E_NS1_11comp_targetILNS1_3genE9ELNS1_11target_archE1100ELNS1_3gpuE3ELNS1_3repE0EEENS1_30default_config_static_selectorELNS0_4arch9wavefront6targetE0EEEvT1_.uses_vcc, 0
	.set _ZN7rocprim17ROCPRIM_400000_NS6detail17trampoline_kernelINS0_14default_configENS1_27scan_by_key_config_selectorIidEEZZNS1_16scan_by_key_implILNS1_25lookback_scan_determinismE0ELb1ES3_N6thrust23THRUST_200600_302600_NS6detail15normal_iteratorINS9_10device_ptrIiEEEENSB_INSC_IdEEEESG_dNS9_4plusIvEENS9_8equal_toIvEEdEE10hipError_tPvRmT2_T3_T4_T5_mT6_T7_P12ihipStream_tbENKUlT_T0_E_clISt17integral_constantIbLb1EES11_EEDaSW_SX_EUlSW_E_NS1_11comp_targetILNS1_3genE9ELNS1_11target_archE1100ELNS1_3gpuE3ELNS1_3repE0EEENS1_30default_config_static_selectorELNS0_4arch9wavefront6targetE0EEEvT1_.uses_flat_scratch, 0
	.set _ZN7rocprim17ROCPRIM_400000_NS6detail17trampoline_kernelINS0_14default_configENS1_27scan_by_key_config_selectorIidEEZZNS1_16scan_by_key_implILNS1_25lookback_scan_determinismE0ELb1ES3_N6thrust23THRUST_200600_302600_NS6detail15normal_iteratorINS9_10device_ptrIiEEEENSB_INSC_IdEEEESG_dNS9_4plusIvEENS9_8equal_toIvEEdEE10hipError_tPvRmT2_T3_T4_T5_mT6_T7_P12ihipStream_tbENKUlT_T0_E_clISt17integral_constantIbLb1EES11_EEDaSW_SX_EUlSW_E_NS1_11comp_targetILNS1_3genE9ELNS1_11target_archE1100ELNS1_3gpuE3ELNS1_3repE0EEENS1_30default_config_static_selectorELNS0_4arch9wavefront6targetE0EEEvT1_.has_dyn_sized_stack, 0
	.set _ZN7rocprim17ROCPRIM_400000_NS6detail17trampoline_kernelINS0_14default_configENS1_27scan_by_key_config_selectorIidEEZZNS1_16scan_by_key_implILNS1_25lookback_scan_determinismE0ELb1ES3_N6thrust23THRUST_200600_302600_NS6detail15normal_iteratorINS9_10device_ptrIiEEEENSB_INSC_IdEEEESG_dNS9_4plusIvEENS9_8equal_toIvEEdEE10hipError_tPvRmT2_T3_T4_T5_mT6_T7_P12ihipStream_tbENKUlT_T0_E_clISt17integral_constantIbLb1EES11_EEDaSW_SX_EUlSW_E_NS1_11comp_targetILNS1_3genE9ELNS1_11target_archE1100ELNS1_3gpuE3ELNS1_3repE0EEENS1_30default_config_static_selectorELNS0_4arch9wavefront6targetE0EEEvT1_.has_recursion, 0
	.set _ZN7rocprim17ROCPRIM_400000_NS6detail17trampoline_kernelINS0_14default_configENS1_27scan_by_key_config_selectorIidEEZZNS1_16scan_by_key_implILNS1_25lookback_scan_determinismE0ELb1ES3_N6thrust23THRUST_200600_302600_NS6detail15normal_iteratorINS9_10device_ptrIiEEEENSB_INSC_IdEEEESG_dNS9_4plusIvEENS9_8equal_toIvEEdEE10hipError_tPvRmT2_T3_T4_T5_mT6_T7_P12ihipStream_tbENKUlT_T0_E_clISt17integral_constantIbLb1EES11_EEDaSW_SX_EUlSW_E_NS1_11comp_targetILNS1_3genE9ELNS1_11target_archE1100ELNS1_3gpuE3ELNS1_3repE0EEENS1_30default_config_static_selectorELNS0_4arch9wavefront6targetE0EEEvT1_.has_indirect_call, 0
	.section	.AMDGPU.csdata,"",@progbits
; Kernel info:
; codeLenInByte = 0
; TotalNumSgprs: 0
; NumVgprs: 0
; ScratchSize: 0
; MemoryBound: 0
; FloatMode: 240
; IeeeMode: 1
; LDSByteSize: 0 bytes/workgroup (compile time only)
; SGPRBlocks: 0
; VGPRBlocks: 0
; NumSGPRsForWavesPerEU: 1
; NumVGPRsForWavesPerEU: 1
; Occupancy: 16
; WaveLimiterHint : 0
; COMPUTE_PGM_RSRC2:SCRATCH_EN: 0
; COMPUTE_PGM_RSRC2:USER_SGPR: 6
; COMPUTE_PGM_RSRC2:TRAP_HANDLER: 0
; COMPUTE_PGM_RSRC2:TGID_X_EN: 1
; COMPUTE_PGM_RSRC2:TGID_Y_EN: 0
; COMPUTE_PGM_RSRC2:TGID_Z_EN: 0
; COMPUTE_PGM_RSRC2:TIDIG_COMP_CNT: 0
	.section	.text._ZN7rocprim17ROCPRIM_400000_NS6detail17trampoline_kernelINS0_14default_configENS1_27scan_by_key_config_selectorIidEEZZNS1_16scan_by_key_implILNS1_25lookback_scan_determinismE0ELb1ES3_N6thrust23THRUST_200600_302600_NS6detail15normal_iteratorINS9_10device_ptrIiEEEENSB_INSC_IdEEEESG_dNS9_4plusIvEENS9_8equal_toIvEEdEE10hipError_tPvRmT2_T3_T4_T5_mT6_T7_P12ihipStream_tbENKUlT_T0_E_clISt17integral_constantIbLb1EES11_EEDaSW_SX_EUlSW_E_NS1_11comp_targetILNS1_3genE8ELNS1_11target_archE1030ELNS1_3gpuE2ELNS1_3repE0EEENS1_30default_config_static_selectorELNS0_4arch9wavefront6targetE0EEEvT1_,"axG",@progbits,_ZN7rocprim17ROCPRIM_400000_NS6detail17trampoline_kernelINS0_14default_configENS1_27scan_by_key_config_selectorIidEEZZNS1_16scan_by_key_implILNS1_25lookback_scan_determinismE0ELb1ES3_N6thrust23THRUST_200600_302600_NS6detail15normal_iteratorINS9_10device_ptrIiEEEENSB_INSC_IdEEEESG_dNS9_4plusIvEENS9_8equal_toIvEEdEE10hipError_tPvRmT2_T3_T4_T5_mT6_T7_P12ihipStream_tbENKUlT_T0_E_clISt17integral_constantIbLb1EES11_EEDaSW_SX_EUlSW_E_NS1_11comp_targetILNS1_3genE8ELNS1_11target_archE1030ELNS1_3gpuE2ELNS1_3repE0EEENS1_30default_config_static_selectorELNS0_4arch9wavefront6targetE0EEEvT1_,comdat
	.protected	_ZN7rocprim17ROCPRIM_400000_NS6detail17trampoline_kernelINS0_14default_configENS1_27scan_by_key_config_selectorIidEEZZNS1_16scan_by_key_implILNS1_25lookback_scan_determinismE0ELb1ES3_N6thrust23THRUST_200600_302600_NS6detail15normal_iteratorINS9_10device_ptrIiEEEENSB_INSC_IdEEEESG_dNS9_4plusIvEENS9_8equal_toIvEEdEE10hipError_tPvRmT2_T3_T4_T5_mT6_T7_P12ihipStream_tbENKUlT_T0_E_clISt17integral_constantIbLb1EES11_EEDaSW_SX_EUlSW_E_NS1_11comp_targetILNS1_3genE8ELNS1_11target_archE1030ELNS1_3gpuE2ELNS1_3repE0EEENS1_30default_config_static_selectorELNS0_4arch9wavefront6targetE0EEEvT1_ ; -- Begin function _ZN7rocprim17ROCPRIM_400000_NS6detail17trampoline_kernelINS0_14default_configENS1_27scan_by_key_config_selectorIidEEZZNS1_16scan_by_key_implILNS1_25lookback_scan_determinismE0ELb1ES3_N6thrust23THRUST_200600_302600_NS6detail15normal_iteratorINS9_10device_ptrIiEEEENSB_INSC_IdEEEESG_dNS9_4plusIvEENS9_8equal_toIvEEdEE10hipError_tPvRmT2_T3_T4_T5_mT6_T7_P12ihipStream_tbENKUlT_T0_E_clISt17integral_constantIbLb1EES11_EEDaSW_SX_EUlSW_E_NS1_11comp_targetILNS1_3genE8ELNS1_11target_archE1030ELNS1_3gpuE2ELNS1_3repE0EEENS1_30default_config_static_selectorELNS0_4arch9wavefront6targetE0EEEvT1_
	.globl	_ZN7rocprim17ROCPRIM_400000_NS6detail17trampoline_kernelINS0_14default_configENS1_27scan_by_key_config_selectorIidEEZZNS1_16scan_by_key_implILNS1_25lookback_scan_determinismE0ELb1ES3_N6thrust23THRUST_200600_302600_NS6detail15normal_iteratorINS9_10device_ptrIiEEEENSB_INSC_IdEEEESG_dNS9_4plusIvEENS9_8equal_toIvEEdEE10hipError_tPvRmT2_T3_T4_T5_mT6_T7_P12ihipStream_tbENKUlT_T0_E_clISt17integral_constantIbLb1EES11_EEDaSW_SX_EUlSW_E_NS1_11comp_targetILNS1_3genE8ELNS1_11target_archE1030ELNS1_3gpuE2ELNS1_3repE0EEENS1_30default_config_static_selectorELNS0_4arch9wavefront6targetE0EEEvT1_
	.p2align	8
	.type	_ZN7rocprim17ROCPRIM_400000_NS6detail17trampoline_kernelINS0_14default_configENS1_27scan_by_key_config_selectorIidEEZZNS1_16scan_by_key_implILNS1_25lookback_scan_determinismE0ELb1ES3_N6thrust23THRUST_200600_302600_NS6detail15normal_iteratorINS9_10device_ptrIiEEEENSB_INSC_IdEEEESG_dNS9_4plusIvEENS9_8equal_toIvEEdEE10hipError_tPvRmT2_T3_T4_T5_mT6_T7_P12ihipStream_tbENKUlT_T0_E_clISt17integral_constantIbLb1EES11_EEDaSW_SX_EUlSW_E_NS1_11comp_targetILNS1_3genE8ELNS1_11target_archE1030ELNS1_3gpuE2ELNS1_3repE0EEENS1_30default_config_static_selectorELNS0_4arch9wavefront6targetE0EEEvT1_,@function
_ZN7rocprim17ROCPRIM_400000_NS6detail17trampoline_kernelINS0_14default_configENS1_27scan_by_key_config_selectorIidEEZZNS1_16scan_by_key_implILNS1_25lookback_scan_determinismE0ELb1ES3_N6thrust23THRUST_200600_302600_NS6detail15normal_iteratorINS9_10device_ptrIiEEEENSB_INSC_IdEEEESG_dNS9_4plusIvEENS9_8equal_toIvEEdEE10hipError_tPvRmT2_T3_T4_T5_mT6_T7_P12ihipStream_tbENKUlT_T0_E_clISt17integral_constantIbLb1EES11_EEDaSW_SX_EUlSW_E_NS1_11comp_targetILNS1_3genE8ELNS1_11target_archE1030ELNS1_3gpuE2ELNS1_3repE0EEENS1_30default_config_static_selectorELNS0_4arch9wavefront6targetE0EEEvT1_: ; @_ZN7rocprim17ROCPRIM_400000_NS6detail17trampoline_kernelINS0_14default_configENS1_27scan_by_key_config_selectorIidEEZZNS1_16scan_by_key_implILNS1_25lookback_scan_determinismE0ELb1ES3_N6thrust23THRUST_200600_302600_NS6detail15normal_iteratorINS9_10device_ptrIiEEEENSB_INSC_IdEEEESG_dNS9_4plusIvEENS9_8equal_toIvEEdEE10hipError_tPvRmT2_T3_T4_T5_mT6_T7_P12ihipStream_tbENKUlT_T0_E_clISt17integral_constantIbLb1EES11_EEDaSW_SX_EUlSW_E_NS1_11comp_targetILNS1_3genE8ELNS1_11target_archE1030ELNS1_3gpuE2ELNS1_3repE0EEENS1_30default_config_static_selectorELNS0_4arch9wavefront6targetE0EEEvT1_
; %bb.0:
	s_endpgm
	.section	.rodata,"a",@progbits
	.p2align	6, 0x0
	.amdhsa_kernel _ZN7rocprim17ROCPRIM_400000_NS6detail17trampoline_kernelINS0_14default_configENS1_27scan_by_key_config_selectorIidEEZZNS1_16scan_by_key_implILNS1_25lookback_scan_determinismE0ELb1ES3_N6thrust23THRUST_200600_302600_NS6detail15normal_iteratorINS9_10device_ptrIiEEEENSB_INSC_IdEEEESG_dNS9_4plusIvEENS9_8equal_toIvEEdEE10hipError_tPvRmT2_T3_T4_T5_mT6_T7_P12ihipStream_tbENKUlT_T0_E_clISt17integral_constantIbLb1EES11_EEDaSW_SX_EUlSW_E_NS1_11comp_targetILNS1_3genE8ELNS1_11target_archE1030ELNS1_3gpuE2ELNS1_3repE0EEENS1_30default_config_static_selectorELNS0_4arch9wavefront6targetE0EEEvT1_
		.amdhsa_group_segment_fixed_size 0
		.amdhsa_private_segment_fixed_size 0
		.amdhsa_kernarg_size 136
		.amdhsa_user_sgpr_count 6
		.amdhsa_user_sgpr_private_segment_buffer 1
		.amdhsa_user_sgpr_dispatch_ptr 0
		.amdhsa_user_sgpr_queue_ptr 0
		.amdhsa_user_sgpr_kernarg_segment_ptr 1
		.amdhsa_user_sgpr_dispatch_id 0
		.amdhsa_user_sgpr_flat_scratch_init 0
		.amdhsa_user_sgpr_private_segment_size 0
		.amdhsa_wavefront_size32 1
		.amdhsa_uses_dynamic_stack 0
		.amdhsa_system_sgpr_private_segment_wavefront_offset 0
		.amdhsa_system_sgpr_workgroup_id_x 1
		.amdhsa_system_sgpr_workgroup_id_y 0
		.amdhsa_system_sgpr_workgroup_id_z 0
		.amdhsa_system_sgpr_workgroup_info 0
		.amdhsa_system_vgpr_workitem_id 0
		.amdhsa_next_free_vgpr 1
		.amdhsa_next_free_sgpr 1
		.amdhsa_reserve_vcc 0
		.amdhsa_reserve_flat_scratch 0
		.amdhsa_float_round_mode_32 0
		.amdhsa_float_round_mode_16_64 0
		.amdhsa_float_denorm_mode_32 3
		.amdhsa_float_denorm_mode_16_64 3
		.amdhsa_dx10_clamp 1
		.amdhsa_ieee_mode 1
		.amdhsa_fp16_overflow 0
		.amdhsa_workgroup_processor_mode 1
		.amdhsa_memory_ordered 1
		.amdhsa_forward_progress 1
		.amdhsa_shared_vgpr_count 0
		.amdhsa_exception_fp_ieee_invalid_op 0
		.amdhsa_exception_fp_denorm_src 0
		.amdhsa_exception_fp_ieee_div_zero 0
		.amdhsa_exception_fp_ieee_overflow 0
		.amdhsa_exception_fp_ieee_underflow 0
		.amdhsa_exception_fp_ieee_inexact 0
		.amdhsa_exception_int_div_zero 0
	.end_amdhsa_kernel
	.section	.text._ZN7rocprim17ROCPRIM_400000_NS6detail17trampoline_kernelINS0_14default_configENS1_27scan_by_key_config_selectorIidEEZZNS1_16scan_by_key_implILNS1_25lookback_scan_determinismE0ELb1ES3_N6thrust23THRUST_200600_302600_NS6detail15normal_iteratorINS9_10device_ptrIiEEEENSB_INSC_IdEEEESG_dNS9_4plusIvEENS9_8equal_toIvEEdEE10hipError_tPvRmT2_T3_T4_T5_mT6_T7_P12ihipStream_tbENKUlT_T0_E_clISt17integral_constantIbLb1EES11_EEDaSW_SX_EUlSW_E_NS1_11comp_targetILNS1_3genE8ELNS1_11target_archE1030ELNS1_3gpuE2ELNS1_3repE0EEENS1_30default_config_static_selectorELNS0_4arch9wavefront6targetE0EEEvT1_,"axG",@progbits,_ZN7rocprim17ROCPRIM_400000_NS6detail17trampoline_kernelINS0_14default_configENS1_27scan_by_key_config_selectorIidEEZZNS1_16scan_by_key_implILNS1_25lookback_scan_determinismE0ELb1ES3_N6thrust23THRUST_200600_302600_NS6detail15normal_iteratorINS9_10device_ptrIiEEEENSB_INSC_IdEEEESG_dNS9_4plusIvEENS9_8equal_toIvEEdEE10hipError_tPvRmT2_T3_T4_T5_mT6_T7_P12ihipStream_tbENKUlT_T0_E_clISt17integral_constantIbLb1EES11_EEDaSW_SX_EUlSW_E_NS1_11comp_targetILNS1_3genE8ELNS1_11target_archE1030ELNS1_3gpuE2ELNS1_3repE0EEENS1_30default_config_static_selectorELNS0_4arch9wavefront6targetE0EEEvT1_,comdat
.Lfunc_end1408:
	.size	_ZN7rocprim17ROCPRIM_400000_NS6detail17trampoline_kernelINS0_14default_configENS1_27scan_by_key_config_selectorIidEEZZNS1_16scan_by_key_implILNS1_25lookback_scan_determinismE0ELb1ES3_N6thrust23THRUST_200600_302600_NS6detail15normal_iteratorINS9_10device_ptrIiEEEENSB_INSC_IdEEEESG_dNS9_4plusIvEENS9_8equal_toIvEEdEE10hipError_tPvRmT2_T3_T4_T5_mT6_T7_P12ihipStream_tbENKUlT_T0_E_clISt17integral_constantIbLb1EES11_EEDaSW_SX_EUlSW_E_NS1_11comp_targetILNS1_3genE8ELNS1_11target_archE1030ELNS1_3gpuE2ELNS1_3repE0EEENS1_30default_config_static_selectorELNS0_4arch9wavefront6targetE0EEEvT1_, .Lfunc_end1408-_ZN7rocprim17ROCPRIM_400000_NS6detail17trampoline_kernelINS0_14default_configENS1_27scan_by_key_config_selectorIidEEZZNS1_16scan_by_key_implILNS1_25lookback_scan_determinismE0ELb1ES3_N6thrust23THRUST_200600_302600_NS6detail15normal_iteratorINS9_10device_ptrIiEEEENSB_INSC_IdEEEESG_dNS9_4plusIvEENS9_8equal_toIvEEdEE10hipError_tPvRmT2_T3_T4_T5_mT6_T7_P12ihipStream_tbENKUlT_T0_E_clISt17integral_constantIbLb1EES11_EEDaSW_SX_EUlSW_E_NS1_11comp_targetILNS1_3genE8ELNS1_11target_archE1030ELNS1_3gpuE2ELNS1_3repE0EEENS1_30default_config_static_selectorELNS0_4arch9wavefront6targetE0EEEvT1_
                                        ; -- End function
	.set _ZN7rocprim17ROCPRIM_400000_NS6detail17trampoline_kernelINS0_14default_configENS1_27scan_by_key_config_selectorIidEEZZNS1_16scan_by_key_implILNS1_25lookback_scan_determinismE0ELb1ES3_N6thrust23THRUST_200600_302600_NS6detail15normal_iteratorINS9_10device_ptrIiEEEENSB_INSC_IdEEEESG_dNS9_4plusIvEENS9_8equal_toIvEEdEE10hipError_tPvRmT2_T3_T4_T5_mT6_T7_P12ihipStream_tbENKUlT_T0_E_clISt17integral_constantIbLb1EES11_EEDaSW_SX_EUlSW_E_NS1_11comp_targetILNS1_3genE8ELNS1_11target_archE1030ELNS1_3gpuE2ELNS1_3repE0EEENS1_30default_config_static_selectorELNS0_4arch9wavefront6targetE0EEEvT1_.num_vgpr, 0
	.set _ZN7rocprim17ROCPRIM_400000_NS6detail17trampoline_kernelINS0_14default_configENS1_27scan_by_key_config_selectorIidEEZZNS1_16scan_by_key_implILNS1_25lookback_scan_determinismE0ELb1ES3_N6thrust23THRUST_200600_302600_NS6detail15normal_iteratorINS9_10device_ptrIiEEEENSB_INSC_IdEEEESG_dNS9_4plusIvEENS9_8equal_toIvEEdEE10hipError_tPvRmT2_T3_T4_T5_mT6_T7_P12ihipStream_tbENKUlT_T0_E_clISt17integral_constantIbLb1EES11_EEDaSW_SX_EUlSW_E_NS1_11comp_targetILNS1_3genE8ELNS1_11target_archE1030ELNS1_3gpuE2ELNS1_3repE0EEENS1_30default_config_static_selectorELNS0_4arch9wavefront6targetE0EEEvT1_.num_agpr, 0
	.set _ZN7rocprim17ROCPRIM_400000_NS6detail17trampoline_kernelINS0_14default_configENS1_27scan_by_key_config_selectorIidEEZZNS1_16scan_by_key_implILNS1_25lookback_scan_determinismE0ELb1ES3_N6thrust23THRUST_200600_302600_NS6detail15normal_iteratorINS9_10device_ptrIiEEEENSB_INSC_IdEEEESG_dNS9_4plusIvEENS9_8equal_toIvEEdEE10hipError_tPvRmT2_T3_T4_T5_mT6_T7_P12ihipStream_tbENKUlT_T0_E_clISt17integral_constantIbLb1EES11_EEDaSW_SX_EUlSW_E_NS1_11comp_targetILNS1_3genE8ELNS1_11target_archE1030ELNS1_3gpuE2ELNS1_3repE0EEENS1_30default_config_static_selectorELNS0_4arch9wavefront6targetE0EEEvT1_.numbered_sgpr, 0
	.set _ZN7rocprim17ROCPRIM_400000_NS6detail17trampoline_kernelINS0_14default_configENS1_27scan_by_key_config_selectorIidEEZZNS1_16scan_by_key_implILNS1_25lookback_scan_determinismE0ELb1ES3_N6thrust23THRUST_200600_302600_NS6detail15normal_iteratorINS9_10device_ptrIiEEEENSB_INSC_IdEEEESG_dNS9_4plusIvEENS9_8equal_toIvEEdEE10hipError_tPvRmT2_T3_T4_T5_mT6_T7_P12ihipStream_tbENKUlT_T0_E_clISt17integral_constantIbLb1EES11_EEDaSW_SX_EUlSW_E_NS1_11comp_targetILNS1_3genE8ELNS1_11target_archE1030ELNS1_3gpuE2ELNS1_3repE0EEENS1_30default_config_static_selectorELNS0_4arch9wavefront6targetE0EEEvT1_.num_named_barrier, 0
	.set _ZN7rocprim17ROCPRIM_400000_NS6detail17trampoline_kernelINS0_14default_configENS1_27scan_by_key_config_selectorIidEEZZNS1_16scan_by_key_implILNS1_25lookback_scan_determinismE0ELb1ES3_N6thrust23THRUST_200600_302600_NS6detail15normal_iteratorINS9_10device_ptrIiEEEENSB_INSC_IdEEEESG_dNS9_4plusIvEENS9_8equal_toIvEEdEE10hipError_tPvRmT2_T3_T4_T5_mT6_T7_P12ihipStream_tbENKUlT_T0_E_clISt17integral_constantIbLb1EES11_EEDaSW_SX_EUlSW_E_NS1_11comp_targetILNS1_3genE8ELNS1_11target_archE1030ELNS1_3gpuE2ELNS1_3repE0EEENS1_30default_config_static_selectorELNS0_4arch9wavefront6targetE0EEEvT1_.private_seg_size, 0
	.set _ZN7rocprim17ROCPRIM_400000_NS6detail17trampoline_kernelINS0_14default_configENS1_27scan_by_key_config_selectorIidEEZZNS1_16scan_by_key_implILNS1_25lookback_scan_determinismE0ELb1ES3_N6thrust23THRUST_200600_302600_NS6detail15normal_iteratorINS9_10device_ptrIiEEEENSB_INSC_IdEEEESG_dNS9_4plusIvEENS9_8equal_toIvEEdEE10hipError_tPvRmT2_T3_T4_T5_mT6_T7_P12ihipStream_tbENKUlT_T0_E_clISt17integral_constantIbLb1EES11_EEDaSW_SX_EUlSW_E_NS1_11comp_targetILNS1_3genE8ELNS1_11target_archE1030ELNS1_3gpuE2ELNS1_3repE0EEENS1_30default_config_static_selectorELNS0_4arch9wavefront6targetE0EEEvT1_.uses_vcc, 0
	.set _ZN7rocprim17ROCPRIM_400000_NS6detail17trampoline_kernelINS0_14default_configENS1_27scan_by_key_config_selectorIidEEZZNS1_16scan_by_key_implILNS1_25lookback_scan_determinismE0ELb1ES3_N6thrust23THRUST_200600_302600_NS6detail15normal_iteratorINS9_10device_ptrIiEEEENSB_INSC_IdEEEESG_dNS9_4plusIvEENS9_8equal_toIvEEdEE10hipError_tPvRmT2_T3_T4_T5_mT6_T7_P12ihipStream_tbENKUlT_T0_E_clISt17integral_constantIbLb1EES11_EEDaSW_SX_EUlSW_E_NS1_11comp_targetILNS1_3genE8ELNS1_11target_archE1030ELNS1_3gpuE2ELNS1_3repE0EEENS1_30default_config_static_selectorELNS0_4arch9wavefront6targetE0EEEvT1_.uses_flat_scratch, 0
	.set _ZN7rocprim17ROCPRIM_400000_NS6detail17trampoline_kernelINS0_14default_configENS1_27scan_by_key_config_selectorIidEEZZNS1_16scan_by_key_implILNS1_25lookback_scan_determinismE0ELb1ES3_N6thrust23THRUST_200600_302600_NS6detail15normal_iteratorINS9_10device_ptrIiEEEENSB_INSC_IdEEEESG_dNS9_4plusIvEENS9_8equal_toIvEEdEE10hipError_tPvRmT2_T3_T4_T5_mT6_T7_P12ihipStream_tbENKUlT_T0_E_clISt17integral_constantIbLb1EES11_EEDaSW_SX_EUlSW_E_NS1_11comp_targetILNS1_3genE8ELNS1_11target_archE1030ELNS1_3gpuE2ELNS1_3repE0EEENS1_30default_config_static_selectorELNS0_4arch9wavefront6targetE0EEEvT1_.has_dyn_sized_stack, 0
	.set _ZN7rocprim17ROCPRIM_400000_NS6detail17trampoline_kernelINS0_14default_configENS1_27scan_by_key_config_selectorIidEEZZNS1_16scan_by_key_implILNS1_25lookback_scan_determinismE0ELb1ES3_N6thrust23THRUST_200600_302600_NS6detail15normal_iteratorINS9_10device_ptrIiEEEENSB_INSC_IdEEEESG_dNS9_4plusIvEENS9_8equal_toIvEEdEE10hipError_tPvRmT2_T3_T4_T5_mT6_T7_P12ihipStream_tbENKUlT_T0_E_clISt17integral_constantIbLb1EES11_EEDaSW_SX_EUlSW_E_NS1_11comp_targetILNS1_3genE8ELNS1_11target_archE1030ELNS1_3gpuE2ELNS1_3repE0EEENS1_30default_config_static_selectorELNS0_4arch9wavefront6targetE0EEEvT1_.has_recursion, 0
	.set _ZN7rocprim17ROCPRIM_400000_NS6detail17trampoline_kernelINS0_14default_configENS1_27scan_by_key_config_selectorIidEEZZNS1_16scan_by_key_implILNS1_25lookback_scan_determinismE0ELb1ES3_N6thrust23THRUST_200600_302600_NS6detail15normal_iteratorINS9_10device_ptrIiEEEENSB_INSC_IdEEEESG_dNS9_4plusIvEENS9_8equal_toIvEEdEE10hipError_tPvRmT2_T3_T4_T5_mT6_T7_P12ihipStream_tbENKUlT_T0_E_clISt17integral_constantIbLb1EES11_EEDaSW_SX_EUlSW_E_NS1_11comp_targetILNS1_3genE8ELNS1_11target_archE1030ELNS1_3gpuE2ELNS1_3repE0EEENS1_30default_config_static_selectorELNS0_4arch9wavefront6targetE0EEEvT1_.has_indirect_call, 0
	.section	.AMDGPU.csdata,"",@progbits
; Kernel info:
; codeLenInByte = 4
; TotalNumSgprs: 0
; NumVgprs: 0
; ScratchSize: 0
; MemoryBound: 0
; FloatMode: 240
; IeeeMode: 1
; LDSByteSize: 0 bytes/workgroup (compile time only)
; SGPRBlocks: 0
; VGPRBlocks: 0
; NumSGPRsForWavesPerEU: 1
; NumVGPRsForWavesPerEU: 1
; Occupancy: 16
; WaveLimiterHint : 0
; COMPUTE_PGM_RSRC2:SCRATCH_EN: 0
; COMPUTE_PGM_RSRC2:USER_SGPR: 6
; COMPUTE_PGM_RSRC2:TRAP_HANDLER: 0
; COMPUTE_PGM_RSRC2:TGID_X_EN: 1
; COMPUTE_PGM_RSRC2:TGID_Y_EN: 0
; COMPUTE_PGM_RSRC2:TGID_Z_EN: 0
; COMPUTE_PGM_RSRC2:TIDIG_COMP_CNT: 0
	.section	.text._ZN7rocprim17ROCPRIM_400000_NS6detail17trampoline_kernelINS0_14default_configENS1_27scan_by_key_config_selectorIidEEZZNS1_16scan_by_key_implILNS1_25lookback_scan_determinismE0ELb1ES3_N6thrust23THRUST_200600_302600_NS6detail15normal_iteratorINS9_10device_ptrIiEEEENSB_INSC_IdEEEESG_dNS9_4plusIvEENS9_8equal_toIvEEdEE10hipError_tPvRmT2_T3_T4_T5_mT6_T7_P12ihipStream_tbENKUlT_T0_E_clISt17integral_constantIbLb1EES10_IbLb0EEEEDaSW_SX_EUlSW_E_NS1_11comp_targetILNS1_3genE0ELNS1_11target_archE4294967295ELNS1_3gpuE0ELNS1_3repE0EEENS1_30default_config_static_selectorELNS0_4arch9wavefront6targetE0EEEvT1_,"axG",@progbits,_ZN7rocprim17ROCPRIM_400000_NS6detail17trampoline_kernelINS0_14default_configENS1_27scan_by_key_config_selectorIidEEZZNS1_16scan_by_key_implILNS1_25lookback_scan_determinismE0ELb1ES3_N6thrust23THRUST_200600_302600_NS6detail15normal_iteratorINS9_10device_ptrIiEEEENSB_INSC_IdEEEESG_dNS9_4plusIvEENS9_8equal_toIvEEdEE10hipError_tPvRmT2_T3_T4_T5_mT6_T7_P12ihipStream_tbENKUlT_T0_E_clISt17integral_constantIbLb1EES10_IbLb0EEEEDaSW_SX_EUlSW_E_NS1_11comp_targetILNS1_3genE0ELNS1_11target_archE4294967295ELNS1_3gpuE0ELNS1_3repE0EEENS1_30default_config_static_selectorELNS0_4arch9wavefront6targetE0EEEvT1_,comdat
	.protected	_ZN7rocprim17ROCPRIM_400000_NS6detail17trampoline_kernelINS0_14default_configENS1_27scan_by_key_config_selectorIidEEZZNS1_16scan_by_key_implILNS1_25lookback_scan_determinismE0ELb1ES3_N6thrust23THRUST_200600_302600_NS6detail15normal_iteratorINS9_10device_ptrIiEEEENSB_INSC_IdEEEESG_dNS9_4plusIvEENS9_8equal_toIvEEdEE10hipError_tPvRmT2_T3_T4_T5_mT6_T7_P12ihipStream_tbENKUlT_T0_E_clISt17integral_constantIbLb1EES10_IbLb0EEEEDaSW_SX_EUlSW_E_NS1_11comp_targetILNS1_3genE0ELNS1_11target_archE4294967295ELNS1_3gpuE0ELNS1_3repE0EEENS1_30default_config_static_selectorELNS0_4arch9wavefront6targetE0EEEvT1_ ; -- Begin function _ZN7rocprim17ROCPRIM_400000_NS6detail17trampoline_kernelINS0_14default_configENS1_27scan_by_key_config_selectorIidEEZZNS1_16scan_by_key_implILNS1_25lookback_scan_determinismE0ELb1ES3_N6thrust23THRUST_200600_302600_NS6detail15normal_iteratorINS9_10device_ptrIiEEEENSB_INSC_IdEEEESG_dNS9_4plusIvEENS9_8equal_toIvEEdEE10hipError_tPvRmT2_T3_T4_T5_mT6_T7_P12ihipStream_tbENKUlT_T0_E_clISt17integral_constantIbLb1EES10_IbLb0EEEEDaSW_SX_EUlSW_E_NS1_11comp_targetILNS1_3genE0ELNS1_11target_archE4294967295ELNS1_3gpuE0ELNS1_3repE0EEENS1_30default_config_static_selectorELNS0_4arch9wavefront6targetE0EEEvT1_
	.globl	_ZN7rocprim17ROCPRIM_400000_NS6detail17trampoline_kernelINS0_14default_configENS1_27scan_by_key_config_selectorIidEEZZNS1_16scan_by_key_implILNS1_25lookback_scan_determinismE0ELb1ES3_N6thrust23THRUST_200600_302600_NS6detail15normal_iteratorINS9_10device_ptrIiEEEENSB_INSC_IdEEEESG_dNS9_4plusIvEENS9_8equal_toIvEEdEE10hipError_tPvRmT2_T3_T4_T5_mT6_T7_P12ihipStream_tbENKUlT_T0_E_clISt17integral_constantIbLb1EES10_IbLb0EEEEDaSW_SX_EUlSW_E_NS1_11comp_targetILNS1_3genE0ELNS1_11target_archE4294967295ELNS1_3gpuE0ELNS1_3repE0EEENS1_30default_config_static_selectorELNS0_4arch9wavefront6targetE0EEEvT1_
	.p2align	8
	.type	_ZN7rocprim17ROCPRIM_400000_NS6detail17trampoline_kernelINS0_14default_configENS1_27scan_by_key_config_selectorIidEEZZNS1_16scan_by_key_implILNS1_25lookback_scan_determinismE0ELb1ES3_N6thrust23THRUST_200600_302600_NS6detail15normal_iteratorINS9_10device_ptrIiEEEENSB_INSC_IdEEEESG_dNS9_4plusIvEENS9_8equal_toIvEEdEE10hipError_tPvRmT2_T3_T4_T5_mT6_T7_P12ihipStream_tbENKUlT_T0_E_clISt17integral_constantIbLb1EES10_IbLb0EEEEDaSW_SX_EUlSW_E_NS1_11comp_targetILNS1_3genE0ELNS1_11target_archE4294967295ELNS1_3gpuE0ELNS1_3repE0EEENS1_30default_config_static_selectorELNS0_4arch9wavefront6targetE0EEEvT1_,@function
_ZN7rocprim17ROCPRIM_400000_NS6detail17trampoline_kernelINS0_14default_configENS1_27scan_by_key_config_selectorIidEEZZNS1_16scan_by_key_implILNS1_25lookback_scan_determinismE0ELb1ES3_N6thrust23THRUST_200600_302600_NS6detail15normal_iteratorINS9_10device_ptrIiEEEENSB_INSC_IdEEEESG_dNS9_4plusIvEENS9_8equal_toIvEEdEE10hipError_tPvRmT2_T3_T4_T5_mT6_T7_P12ihipStream_tbENKUlT_T0_E_clISt17integral_constantIbLb1EES10_IbLb0EEEEDaSW_SX_EUlSW_E_NS1_11comp_targetILNS1_3genE0ELNS1_11target_archE4294967295ELNS1_3gpuE0ELNS1_3repE0EEENS1_30default_config_static_selectorELNS0_4arch9wavefront6targetE0EEEvT1_: ; @_ZN7rocprim17ROCPRIM_400000_NS6detail17trampoline_kernelINS0_14default_configENS1_27scan_by_key_config_selectorIidEEZZNS1_16scan_by_key_implILNS1_25lookback_scan_determinismE0ELb1ES3_N6thrust23THRUST_200600_302600_NS6detail15normal_iteratorINS9_10device_ptrIiEEEENSB_INSC_IdEEEESG_dNS9_4plusIvEENS9_8equal_toIvEEdEE10hipError_tPvRmT2_T3_T4_T5_mT6_T7_P12ihipStream_tbENKUlT_T0_E_clISt17integral_constantIbLb1EES10_IbLb0EEEEDaSW_SX_EUlSW_E_NS1_11comp_targetILNS1_3genE0ELNS1_11target_archE4294967295ELNS1_3gpuE0ELNS1_3repE0EEENS1_30default_config_static_selectorELNS0_4arch9wavefront6targetE0EEEvT1_
; %bb.0:
	.section	.rodata,"a",@progbits
	.p2align	6, 0x0
	.amdhsa_kernel _ZN7rocprim17ROCPRIM_400000_NS6detail17trampoline_kernelINS0_14default_configENS1_27scan_by_key_config_selectorIidEEZZNS1_16scan_by_key_implILNS1_25lookback_scan_determinismE0ELb1ES3_N6thrust23THRUST_200600_302600_NS6detail15normal_iteratorINS9_10device_ptrIiEEEENSB_INSC_IdEEEESG_dNS9_4plusIvEENS9_8equal_toIvEEdEE10hipError_tPvRmT2_T3_T4_T5_mT6_T7_P12ihipStream_tbENKUlT_T0_E_clISt17integral_constantIbLb1EES10_IbLb0EEEEDaSW_SX_EUlSW_E_NS1_11comp_targetILNS1_3genE0ELNS1_11target_archE4294967295ELNS1_3gpuE0ELNS1_3repE0EEENS1_30default_config_static_selectorELNS0_4arch9wavefront6targetE0EEEvT1_
		.amdhsa_group_segment_fixed_size 0
		.amdhsa_private_segment_fixed_size 0
		.amdhsa_kernarg_size 136
		.amdhsa_user_sgpr_count 6
		.amdhsa_user_sgpr_private_segment_buffer 1
		.amdhsa_user_sgpr_dispatch_ptr 0
		.amdhsa_user_sgpr_queue_ptr 0
		.amdhsa_user_sgpr_kernarg_segment_ptr 1
		.amdhsa_user_sgpr_dispatch_id 0
		.amdhsa_user_sgpr_flat_scratch_init 0
		.amdhsa_user_sgpr_private_segment_size 0
		.amdhsa_wavefront_size32 1
		.amdhsa_uses_dynamic_stack 0
		.amdhsa_system_sgpr_private_segment_wavefront_offset 0
		.amdhsa_system_sgpr_workgroup_id_x 1
		.amdhsa_system_sgpr_workgroup_id_y 0
		.amdhsa_system_sgpr_workgroup_id_z 0
		.amdhsa_system_sgpr_workgroup_info 0
		.amdhsa_system_vgpr_workitem_id 0
		.amdhsa_next_free_vgpr 1
		.amdhsa_next_free_sgpr 1
		.amdhsa_reserve_vcc 0
		.amdhsa_reserve_flat_scratch 0
		.amdhsa_float_round_mode_32 0
		.amdhsa_float_round_mode_16_64 0
		.amdhsa_float_denorm_mode_32 3
		.amdhsa_float_denorm_mode_16_64 3
		.amdhsa_dx10_clamp 1
		.amdhsa_ieee_mode 1
		.amdhsa_fp16_overflow 0
		.amdhsa_workgroup_processor_mode 1
		.amdhsa_memory_ordered 1
		.amdhsa_forward_progress 1
		.amdhsa_shared_vgpr_count 0
		.amdhsa_exception_fp_ieee_invalid_op 0
		.amdhsa_exception_fp_denorm_src 0
		.amdhsa_exception_fp_ieee_div_zero 0
		.amdhsa_exception_fp_ieee_overflow 0
		.amdhsa_exception_fp_ieee_underflow 0
		.amdhsa_exception_fp_ieee_inexact 0
		.amdhsa_exception_int_div_zero 0
	.end_amdhsa_kernel
	.section	.text._ZN7rocprim17ROCPRIM_400000_NS6detail17trampoline_kernelINS0_14default_configENS1_27scan_by_key_config_selectorIidEEZZNS1_16scan_by_key_implILNS1_25lookback_scan_determinismE0ELb1ES3_N6thrust23THRUST_200600_302600_NS6detail15normal_iteratorINS9_10device_ptrIiEEEENSB_INSC_IdEEEESG_dNS9_4plusIvEENS9_8equal_toIvEEdEE10hipError_tPvRmT2_T3_T4_T5_mT6_T7_P12ihipStream_tbENKUlT_T0_E_clISt17integral_constantIbLb1EES10_IbLb0EEEEDaSW_SX_EUlSW_E_NS1_11comp_targetILNS1_3genE0ELNS1_11target_archE4294967295ELNS1_3gpuE0ELNS1_3repE0EEENS1_30default_config_static_selectorELNS0_4arch9wavefront6targetE0EEEvT1_,"axG",@progbits,_ZN7rocprim17ROCPRIM_400000_NS6detail17trampoline_kernelINS0_14default_configENS1_27scan_by_key_config_selectorIidEEZZNS1_16scan_by_key_implILNS1_25lookback_scan_determinismE0ELb1ES3_N6thrust23THRUST_200600_302600_NS6detail15normal_iteratorINS9_10device_ptrIiEEEENSB_INSC_IdEEEESG_dNS9_4plusIvEENS9_8equal_toIvEEdEE10hipError_tPvRmT2_T3_T4_T5_mT6_T7_P12ihipStream_tbENKUlT_T0_E_clISt17integral_constantIbLb1EES10_IbLb0EEEEDaSW_SX_EUlSW_E_NS1_11comp_targetILNS1_3genE0ELNS1_11target_archE4294967295ELNS1_3gpuE0ELNS1_3repE0EEENS1_30default_config_static_selectorELNS0_4arch9wavefront6targetE0EEEvT1_,comdat
.Lfunc_end1409:
	.size	_ZN7rocprim17ROCPRIM_400000_NS6detail17trampoline_kernelINS0_14default_configENS1_27scan_by_key_config_selectorIidEEZZNS1_16scan_by_key_implILNS1_25lookback_scan_determinismE0ELb1ES3_N6thrust23THRUST_200600_302600_NS6detail15normal_iteratorINS9_10device_ptrIiEEEENSB_INSC_IdEEEESG_dNS9_4plusIvEENS9_8equal_toIvEEdEE10hipError_tPvRmT2_T3_T4_T5_mT6_T7_P12ihipStream_tbENKUlT_T0_E_clISt17integral_constantIbLb1EES10_IbLb0EEEEDaSW_SX_EUlSW_E_NS1_11comp_targetILNS1_3genE0ELNS1_11target_archE4294967295ELNS1_3gpuE0ELNS1_3repE0EEENS1_30default_config_static_selectorELNS0_4arch9wavefront6targetE0EEEvT1_, .Lfunc_end1409-_ZN7rocprim17ROCPRIM_400000_NS6detail17trampoline_kernelINS0_14default_configENS1_27scan_by_key_config_selectorIidEEZZNS1_16scan_by_key_implILNS1_25lookback_scan_determinismE0ELb1ES3_N6thrust23THRUST_200600_302600_NS6detail15normal_iteratorINS9_10device_ptrIiEEEENSB_INSC_IdEEEESG_dNS9_4plusIvEENS9_8equal_toIvEEdEE10hipError_tPvRmT2_T3_T4_T5_mT6_T7_P12ihipStream_tbENKUlT_T0_E_clISt17integral_constantIbLb1EES10_IbLb0EEEEDaSW_SX_EUlSW_E_NS1_11comp_targetILNS1_3genE0ELNS1_11target_archE4294967295ELNS1_3gpuE0ELNS1_3repE0EEENS1_30default_config_static_selectorELNS0_4arch9wavefront6targetE0EEEvT1_
                                        ; -- End function
	.set _ZN7rocprim17ROCPRIM_400000_NS6detail17trampoline_kernelINS0_14default_configENS1_27scan_by_key_config_selectorIidEEZZNS1_16scan_by_key_implILNS1_25lookback_scan_determinismE0ELb1ES3_N6thrust23THRUST_200600_302600_NS6detail15normal_iteratorINS9_10device_ptrIiEEEENSB_INSC_IdEEEESG_dNS9_4plusIvEENS9_8equal_toIvEEdEE10hipError_tPvRmT2_T3_T4_T5_mT6_T7_P12ihipStream_tbENKUlT_T0_E_clISt17integral_constantIbLb1EES10_IbLb0EEEEDaSW_SX_EUlSW_E_NS1_11comp_targetILNS1_3genE0ELNS1_11target_archE4294967295ELNS1_3gpuE0ELNS1_3repE0EEENS1_30default_config_static_selectorELNS0_4arch9wavefront6targetE0EEEvT1_.num_vgpr, 0
	.set _ZN7rocprim17ROCPRIM_400000_NS6detail17trampoline_kernelINS0_14default_configENS1_27scan_by_key_config_selectorIidEEZZNS1_16scan_by_key_implILNS1_25lookback_scan_determinismE0ELb1ES3_N6thrust23THRUST_200600_302600_NS6detail15normal_iteratorINS9_10device_ptrIiEEEENSB_INSC_IdEEEESG_dNS9_4plusIvEENS9_8equal_toIvEEdEE10hipError_tPvRmT2_T3_T4_T5_mT6_T7_P12ihipStream_tbENKUlT_T0_E_clISt17integral_constantIbLb1EES10_IbLb0EEEEDaSW_SX_EUlSW_E_NS1_11comp_targetILNS1_3genE0ELNS1_11target_archE4294967295ELNS1_3gpuE0ELNS1_3repE0EEENS1_30default_config_static_selectorELNS0_4arch9wavefront6targetE0EEEvT1_.num_agpr, 0
	.set _ZN7rocprim17ROCPRIM_400000_NS6detail17trampoline_kernelINS0_14default_configENS1_27scan_by_key_config_selectorIidEEZZNS1_16scan_by_key_implILNS1_25lookback_scan_determinismE0ELb1ES3_N6thrust23THRUST_200600_302600_NS6detail15normal_iteratorINS9_10device_ptrIiEEEENSB_INSC_IdEEEESG_dNS9_4plusIvEENS9_8equal_toIvEEdEE10hipError_tPvRmT2_T3_T4_T5_mT6_T7_P12ihipStream_tbENKUlT_T0_E_clISt17integral_constantIbLb1EES10_IbLb0EEEEDaSW_SX_EUlSW_E_NS1_11comp_targetILNS1_3genE0ELNS1_11target_archE4294967295ELNS1_3gpuE0ELNS1_3repE0EEENS1_30default_config_static_selectorELNS0_4arch9wavefront6targetE0EEEvT1_.numbered_sgpr, 0
	.set _ZN7rocprim17ROCPRIM_400000_NS6detail17trampoline_kernelINS0_14default_configENS1_27scan_by_key_config_selectorIidEEZZNS1_16scan_by_key_implILNS1_25lookback_scan_determinismE0ELb1ES3_N6thrust23THRUST_200600_302600_NS6detail15normal_iteratorINS9_10device_ptrIiEEEENSB_INSC_IdEEEESG_dNS9_4plusIvEENS9_8equal_toIvEEdEE10hipError_tPvRmT2_T3_T4_T5_mT6_T7_P12ihipStream_tbENKUlT_T0_E_clISt17integral_constantIbLb1EES10_IbLb0EEEEDaSW_SX_EUlSW_E_NS1_11comp_targetILNS1_3genE0ELNS1_11target_archE4294967295ELNS1_3gpuE0ELNS1_3repE0EEENS1_30default_config_static_selectorELNS0_4arch9wavefront6targetE0EEEvT1_.num_named_barrier, 0
	.set _ZN7rocprim17ROCPRIM_400000_NS6detail17trampoline_kernelINS0_14default_configENS1_27scan_by_key_config_selectorIidEEZZNS1_16scan_by_key_implILNS1_25lookback_scan_determinismE0ELb1ES3_N6thrust23THRUST_200600_302600_NS6detail15normal_iteratorINS9_10device_ptrIiEEEENSB_INSC_IdEEEESG_dNS9_4plusIvEENS9_8equal_toIvEEdEE10hipError_tPvRmT2_T3_T4_T5_mT6_T7_P12ihipStream_tbENKUlT_T0_E_clISt17integral_constantIbLb1EES10_IbLb0EEEEDaSW_SX_EUlSW_E_NS1_11comp_targetILNS1_3genE0ELNS1_11target_archE4294967295ELNS1_3gpuE0ELNS1_3repE0EEENS1_30default_config_static_selectorELNS0_4arch9wavefront6targetE0EEEvT1_.private_seg_size, 0
	.set _ZN7rocprim17ROCPRIM_400000_NS6detail17trampoline_kernelINS0_14default_configENS1_27scan_by_key_config_selectorIidEEZZNS1_16scan_by_key_implILNS1_25lookback_scan_determinismE0ELb1ES3_N6thrust23THRUST_200600_302600_NS6detail15normal_iteratorINS9_10device_ptrIiEEEENSB_INSC_IdEEEESG_dNS9_4plusIvEENS9_8equal_toIvEEdEE10hipError_tPvRmT2_T3_T4_T5_mT6_T7_P12ihipStream_tbENKUlT_T0_E_clISt17integral_constantIbLb1EES10_IbLb0EEEEDaSW_SX_EUlSW_E_NS1_11comp_targetILNS1_3genE0ELNS1_11target_archE4294967295ELNS1_3gpuE0ELNS1_3repE0EEENS1_30default_config_static_selectorELNS0_4arch9wavefront6targetE0EEEvT1_.uses_vcc, 0
	.set _ZN7rocprim17ROCPRIM_400000_NS6detail17trampoline_kernelINS0_14default_configENS1_27scan_by_key_config_selectorIidEEZZNS1_16scan_by_key_implILNS1_25lookback_scan_determinismE0ELb1ES3_N6thrust23THRUST_200600_302600_NS6detail15normal_iteratorINS9_10device_ptrIiEEEENSB_INSC_IdEEEESG_dNS9_4plusIvEENS9_8equal_toIvEEdEE10hipError_tPvRmT2_T3_T4_T5_mT6_T7_P12ihipStream_tbENKUlT_T0_E_clISt17integral_constantIbLb1EES10_IbLb0EEEEDaSW_SX_EUlSW_E_NS1_11comp_targetILNS1_3genE0ELNS1_11target_archE4294967295ELNS1_3gpuE0ELNS1_3repE0EEENS1_30default_config_static_selectorELNS0_4arch9wavefront6targetE0EEEvT1_.uses_flat_scratch, 0
	.set _ZN7rocprim17ROCPRIM_400000_NS6detail17trampoline_kernelINS0_14default_configENS1_27scan_by_key_config_selectorIidEEZZNS1_16scan_by_key_implILNS1_25lookback_scan_determinismE0ELb1ES3_N6thrust23THRUST_200600_302600_NS6detail15normal_iteratorINS9_10device_ptrIiEEEENSB_INSC_IdEEEESG_dNS9_4plusIvEENS9_8equal_toIvEEdEE10hipError_tPvRmT2_T3_T4_T5_mT6_T7_P12ihipStream_tbENKUlT_T0_E_clISt17integral_constantIbLb1EES10_IbLb0EEEEDaSW_SX_EUlSW_E_NS1_11comp_targetILNS1_3genE0ELNS1_11target_archE4294967295ELNS1_3gpuE0ELNS1_3repE0EEENS1_30default_config_static_selectorELNS0_4arch9wavefront6targetE0EEEvT1_.has_dyn_sized_stack, 0
	.set _ZN7rocprim17ROCPRIM_400000_NS6detail17trampoline_kernelINS0_14default_configENS1_27scan_by_key_config_selectorIidEEZZNS1_16scan_by_key_implILNS1_25lookback_scan_determinismE0ELb1ES3_N6thrust23THRUST_200600_302600_NS6detail15normal_iteratorINS9_10device_ptrIiEEEENSB_INSC_IdEEEESG_dNS9_4plusIvEENS9_8equal_toIvEEdEE10hipError_tPvRmT2_T3_T4_T5_mT6_T7_P12ihipStream_tbENKUlT_T0_E_clISt17integral_constantIbLb1EES10_IbLb0EEEEDaSW_SX_EUlSW_E_NS1_11comp_targetILNS1_3genE0ELNS1_11target_archE4294967295ELNS1_3gpuE0ELNS1_3repE0EEENS1_30default_config_static_selectorELNS0_4arch9wavefront6targetE0EEEvT1_.has_recursion, 0
	.set _ZN7rocprim17ROCPRIM_400000_NS6detail17trampoline_kernelINS0_14default_configENS1_27scan_by_key_config_selectorIidEEZZNS1_16scan_by_key_implILNS1_25lookback_scan_determinismE0ELb1ES3_N6thrust23THRUST_200600_302600_NS6detail15normal_iteratorINS9_10device_ptrIiEEEENSB_INSC_IdEEEESG_dNS9_4plusIvEENS9_8equal_toIvEEdEE10hipError_tPvRmT2_T3_T4_T5_mT6_T7_P12ihipStream_tbENKUlT_T0_E_clISt17integral_constantIbLb1EES10_IbLb0EEEEDaSW_SX_EUlSW_E_NS1_11comp_targetILNS1_3genE0ELNS1_11target_archE4294967295ELNS1_3gpuE0ELNS1_3repE0EEENS1_30default_config_static_selectorELNS0_4arch9wavefront6targetE0EEEvT1_.has_indirect_call, 0
	.section	.AMDGPU.csdata,"",@progbits
; Kernel info:
; codeLenInByte = 0
; TotalNumSgprs: 0
; NumVgprs: 0
; ScratchSize: 0
; MemoryBound: 0
; FloatMode: 240
; IeeeMode: 1
; LDSByteSize: 0 bytes/workgroup (compile time only)
; SGPRBlocks: 0
; VGPRBlocks: 0
; NumSGPRsForWavesPerEU: 1
; NumVGPRsForWavesPerEU: 1
; Occupancy: 16
; WaveLimiterHint : 0
; COMPUTE_PGM_RSRC2:SCRATCH_EN: 0
; COMPUTE_PGM_RSRC2:USER_SGPR: 6
; COMPUTE_PGM_RSRC2:TRAP_HANDLER: 0
; COMPUTE_PGM_RSRC2:TGID_X_EN: 1
; COMPUTE_PGM_RSRC2:TGID_Y_EN: 0
; COMPUTE_PGM_RSRC2:TGID_Z_EN: 0
; COMPUTE_PGM_RSRC2:TIDIG_COMP_CNT: 0
	.section	.text._ZN7rocprim17ROCPRIM_400000_NS6detail17trampoline_kernelINS0_14default_configENS1_27scan_by_key_config_selectorIidEEZZNS1_16scan_by_key_implILNS1_25lookback_scan_determinismE0ELb1ES3_N6thrust23THRUST_200600_302600_NS6detail15normal_iteratorINS9_10device_ptrIiEEEENSB_INSC_IdEEEESG_dNS9_4plusIvEENS9_8equal_toIvEEdEE10hipError_tPvRmT2_T3_T4_T5_mT6_T7_P12ihipStream_tbENKUlT_T0_E_clISt17integral_constantIbLb1EES10_IbLb0EEEEDaSW_SX_EUlSW_E_NS1_11comp_targetILNS1_3genE10ELNS1_11target_archE1201ELNS1_3gpuE5ELNS1_3repE0EEENS1_30default_config_static_selectorELNS0_4arch9wavefront6targetE0EEEvT1_,"axG",@progbits,_ZN7rocprim17ROCPRIM_400000_NS6detail17trampoline_kernelINS0_14default_configENS1_27scan_by_key_config_selectorIidEEZZNS1_16scan_by_key_implILNS1_25lookback_scan_determinismE0ELb1ES3_N6thrust23THRUST_200600_302600_NS6detail15normal_iteratorINS9_10device_ptrIiEEEENSB_INSC_IdEEEESG_dNS9_4plusIvEENS9_8equal_toIvEEdEE10hipError_tPvRmT2_T3_T4_T5_mT6_T7_P12ihipStream_tbENKUlT_T0_E_clISt17integral_constantIbLb1EES10_IbLb0EEEEDaSW_SX_EUlSW_E_NS1_11comp_targetILNS1_3genE10ELNS1_11target_archE1201ELNS1_3gpuE5ELNS1_3repE0EEENS1_30default_config_static_selectorELNS0_4arch9wavefront6targetE0EEEvT1_,comdat
	.protected	_ZN7rocprim17ROCPRIM_400000_NS6detail17trampoline_kernelINS0_14default_configENS1_27scan_by_key_config_selectorIidEEZZNS1_16scan_by_key_implILNS1_25lookback_scan_determinismE0ELb1ES3_N6thrust23THRUST_200600_302600_NS6detail15normal_iteratorINS9_10device_ptrIiEEEENSB_INSC_IdEEEESG_dNS9_4plusIvEENS9_8equal_toIvEEdEE10hipError_tPvRmT2_T3_T4_T5_mT6_T7_P12ihipStream_tbENKUlT_T0_E_clISt17integral_constantIbLb1EES10_IbLb0EEEEDaSW_SX_EUlSW_E_NS1_11comp_targetILNS1_3genE10ELNS1_11target_archE1201ELNS1_3gpuE5ELNS1_3repE0EEENS1_30default_config_static_selectorELNS0_4arch9wavefront6targetE0EEEvT1_ ; -- Begin function _ZN7rocprim17ROCPRIM_400000_NS6detail17trampoline_kernelINS0_14default_configENS1_27scan_by_key_config_selectorIidEEZZNS1_16scan_by_key_implILNS1_25lookback_scan_determinismE0ELb1ES3_N6thrust23THRUST_200600_302600_NS6detail15normal_iteratorINS9_10device_ptrIiEEEENSB_INSC_IdEEEESG_dNS9_4plusIvEENS9_8equal_toIvEEdEE10hipError_tPvRmT2_T3_T4_T5_mT6_T7_P12ihipStream_tbENKUlT_T0_E_clISt17integral_constantIbLb1EES10_IbLb0EEEEDaSW_SX_EUlSW_E_NS1_11comp_targetILNS1_3genE10ELNS1_11target_archE1201ELNS1_3gpuE5ELNS1_3repE0EEENS1_30default_config_static_selectorELNS0_4arch9wavefront6targetE0EEEvT1_
	.globl	_ZN7rocprim17ROCPRIM_400000_NS6detail17trampoline_kernelINS0_14default_configENS1_27scan_by_key_config_selectorIidEEZZNS1_16scan_by_key_implILNS1_25lookback_scan_determinismE0ELb1ES3_N6thrust23THRUST_200600_302600_NS6detail15normal_iteratorINS9_10device_ptrIiEEEENSB_INSC_IdEEEESG_dNS9_4plusIvEENS9_8equal_toIvEEdEE10hipError_tPvRmT2_T3_T4_T5_mT6_T7_P12ihipStream_tbENKUlT_T0_E_clISt17integral_constantIbLb1EES10_IbLb0EEEEDaSW_SX_EUlSW_E_NS1_11comp_targetILNS1_3genE10ELNS1_11target_archE1201ELNS1_3gpuE5ELNS1_3repE0EEENS1_30default_config_static_selectorELNS0_4arch9wavefront6targetE0EEEvT1_
	.p2align	8
	.type	_ZN7rocprim17ROCPRIM_400000_NS6detail17trampoline_kernelINS0_14default_configENS1_27scan_by_key_config_selectorIidEEZZNS1_16scan_by_key_implILNS1_25lookback_scan_determinismE0ELb1ES3_N6thrust23THRUST_200600_302600_NS6detail15normal_iteratorINS9_10device_ptrIiEEEENSB_INSC_IdEEEESG_dNS9_4plusIvEENS9_8equal_toIvEEdEE10hipError_tPvRmT2_T3_T4_T5_mT6_T7_P12ihipStream_tbENKUlT_T0_E_clISt17integral_constantIbLb1EES10_IbLb0EEEEDaSW_SX_EUlSW_E_NS1_11comp_targetILNS1_3genE10ELNS1_11target_archE1201ELNS1_3gpuE5ELNS1_3repE0EEENS1_30default_config_static_selectorELNS0_4arch9wavefront6targetE0EEEvT1_,@function
_ZN7rocprim17ROCPRIM_400000_NS6detail17trampoline_kernelINS0_14default_configENS1_27scan_by_key_config_selectorIidEEZZNS1_16scan_by_key_implILNS1_25lookback_scan_determinismE0ELb1ES3_N6thrust23THRUST_200600_302600_NS6detail15normal_iteratorINS9_10device_ptrIiEEEENSB_INSC_IdEEEESG_dNS9_4plusIvEENS9_8equal_toIvEEdEE10hipError_tPvRmT2_T3_T4_T5_mT6_T7_P12ihipStream_tbENKUlT_T0_E_clISt17integral_constantIbLb1EES10_IbLb0EEEEDaSW_SX_EUlSW_E_NS1_11comp_targetILNS1_3genE10ELNS1_11target_archE1201ELNS1_3gpuE5ELNS1_3repE0EEENS1_30default_config_static_selectorELNS0_4arch9wavefront6targetE0EEEvT1_: ; @_ZN7rocprim17ROCPRIM_400000_NS6detail17trampoline_kernelINS0_14default_configENS1_27scan_by_key_config_selectorIidEEZZNS1_16scan_by_key_implILNS1_25lookback_scan_determinismE0ELb1ES3_N6thrust23THRUST_200600_302600_NS6detail15normal_iteratorINS9_10device_ptrIiEEEENSB_INSC_IdEEEESG_dNS9_4plusIvEENS9_8equal_toIvEEdEE10hipError_tPvRmT2_T3_T4_T5_mT6_T7_P12ihipStream_tbENKUlT_T0_E_clISt17integral_constantIbLb1EES10_IbLb0EEEEDaSW_SX_EUlSW_E_NS1_11comp_targetILNS1_3genE10ELNS1_11target_archE1201ELNS1_3gpuE5ELNS1_3repE0EEENS1_30default_config_static_selectorELNS0_4arch9wavefront6targetE0EEEvT1_
; %bb.0:
	.section	.rodata,"a",@progbits
	.p2align	6, 0x0
	.amdhsa_kernel _ZN7rocprim17ROCPRIM_400000_NS6detail17trampoline_kernelINS0_14default_configENS1_27scan_by_key_config_selectorIidEEZZNS1_16scan_by_key_implILNS1_25lookback_scan_determinismE0ELb1ES3_N6thrust23THRUST_200600_302600_NS6detail15normal_iteratorINS9_10device_ptrIiEEEENSB_INSC_IdEEEESG_dNS9_4plusIvEENS9_8equal_toIvEEdEE10hipError_tPvRmT2_T3_T4_T5_mT6_T7_P12ihipStream_tbENKUlT_T0_E_clISt17integral_constantIbLb1EES10_IbLb0EEEEDaSW_SX_EUlSW_E_NS1_11comp_targetILNS1_3genE10ELNS1_11target_archE1201ELNS1_3gpuE5ELNS1_3repE0EEENS1_30default_config_static_selectorELNS0_4arch9wavefront6targetE0EEEvT1_
		.amdhsa_group_segment_fixed_size 0
		.amdhsa_private_segment_fixed_size 0
		.amdhsa_kernarg_size 136
		.amdhsa_user_sgpr_count 6
		.amdhsa_user_sgpr_private_segment_buffer 1
		.amdhsa_user_sgpr_dispatch_ptr 0
		.amdhsa_user_sgpr_queue_ptr 0
		.amdhsa_user_sgpr_kernarg_segment_ptr 1
		.amdhsa_user_sgpr_dispatch_id 0
		.amdhsa_user_sgpr_flat_scratch_init 0
		.amdhsa_user_sgpr_private_segment_size 0
		.amdhsa_wavefront_size32 1
		.amdhsa_uses_dynamic_stack 0
		.amdhsa_system_sgpr_private_segment_wavefront_offset 0
		.amdhsa_system_sgpr_workgroup_id_x 1
		.amdhsa_system_sgpr_workgroup_id_y 0
		.amdhsa_system_sgpr_workgroup_id_z 0
		.amdhsa_system_sgpr_workgroup_info 0
		.amdhsa_system_vgpr_workitem_id 0
		.amdhsa_next_free_vgpr 1
		.amdhsa_next_free_sgpr 1
		.amdhsa_reserve_vcc 0
		.amdhsa_reserve_flat_scratch 0
		.amdhsa_float_round_mode_32 0
		.amdhsa_float_round_mode_16_64 0
		.amdhsa_float_denorm_mode_32 3
		.amdhsa_float_denorm_mode_16_64 3
		.amdhsa_dx10_clamp 1
		.amdhsa_ieee_mode 1
		.amdhsa_fp16_overflow 0
		.amdhsa_workgroup_processor_mode 1
		.amdhsa_memory_ordered 1
		.amdhsa_forward_progress 1
		.amdhsa_shared_vgpr_count 0
		.amdhsa_exception_fp_ieee_invalid_op 0
		.amdhsa_exception_fp_denorm_src 0
		.amdhsa_exception_fp_ieee_div_zero 0
		.amdhsa_exception_fp_ieee_overflow 0
		.amdhsa_exception_fp_ieee_underflow 0
		.amdhsa_exception_fp_ieee_inexact 0
		.amdhsa_exception_int_div_zero 0
	.end_amdhsa_kernel
	.section	.text._ZN7rocprim17ROCPRIM_400000_NS6detail17trampoline_kernelINS0_14default_configENS1_27scan_by_key_config_selectorIidEEZZNS1_16scan_by_key_implILNS1_25lookback_scan_determinismE0ELb1ES3_N6thrust23THRUST_200600_302600_NS6detail15normal_iteratorINS9_10device_ptrIiEEEENSB_INSC_IdEEEESG_dNS9_4plusIvEENS9_8equal_toIvEEdEE10hipError_tPvRmT2_T3_T4_T5_mT6_T7_P12ihipStream_tbENKUlT_T0_E_clISt17integral_constantIbLb1EES10_IbLb0EEEEDaSW_SX_EUlSW_E_NS1_11comp_targetILNS1_3genE10ELNS1_11target_archE1201ELNS1_3gpuE5ELNS1_3repE0EEENS1_30default_config_static_selectorELNS0_4arch9wavefront6targetE0EEEvT1_,"axG",@progbits,_ZN7rocprim17ROCPRIM_400000_NS6detail17trampoline_kernelINS0_14default_configENS1_27scan_by_key_config_selectorIidEEZZNS1_16scan_by_key_implILNS1_25lookback_scan_determinismE0ELb1ES3_N6thrust23THRUST_200600_302600_NS6detail15normal_iteratorINS9_10device_ptrIiEEEENSB_INSC_IdEEEESG_dNS9_4plusIvEENS9_8equal_toIvEEdEE10hipError_tPvRmT2_T3_T4_T5_mT6_T7_P12ihipStream_tbENKUlT_T0_E_clISt17integral_constantIbLb1EES10_IbLb0EEEEDaSW_SX_EUlSW_E_NS1_11comp_targetILNS1_3genE10ELNS1_11target_archE1201ELNS1_3gpuE5ELNS1_3repE0EEENS1_30default_config_static_selectorELNS0_4arch9wavefront6targetE0EEEvT1_,comdat
.Lfunc_end1410:
	.size	_ZN7rocprim17ROCPRIM_400000_NS6detail17trampoline_kernelINS0_14default_configENS1_27scan_by_key_config_selectorIidEEZZNS1_16scan_by_key_implILNS1_25lookback_scan_determinismE0ELb1ES3_N6thrust23THRUST_200600_302600_NS6detail15normal_iteratorINS9_10device_ptrIiEEEENSB_INSC_IdEEEESG_dNS9_4plusIvEENS9_8equal_toIvEEdEE10hipError_tPvRmT2_T3_T4_T5_mT6_T7_P12ihipStream_tbENKUlT_T0_E_clISt17integral_constantIbLb1EES10_IbLb0EEEEDaSW_SX_EUlSW_E_NS1_11comp_targetILNS1_3genE10ELNS1_11target_archE1201ELNS1_3gpuE5ELNS1_3repE0EEENS1_30default_config_static_selectorELNS0_4arch9wavefront6targetE0EEEvT1_, .Lfunc_end1410-_ZN7rocprim17ROCPRIM_400000_NS6detail17trampoline_kernelINS0_14default_configENS1_27scan_by_key_config_selectorIidEEZZNS1_16scan_by_key_implILNS1_25lookback_scan_determinismE0ELb1ES3_N6thrust23THRUST_200600_302600_NS6detail15normal_iteratorINS9_10device_ptrIiEEEENSB_INSC_IdEEEESG_dNS9_4plusIvEENS9_8equal_toIvEEdEE10hipError_tPvRmT2_T3_T4_T5_mT6_T7_P12ihipStream_tbENKUlT_T0_E_clISt17integral_constantIbLb1EES10_IbLb0EEEEDaSW_SX_EUlSW_E_NS1_11comp_targetILNS1_3genE10ELNS1_11target_archE1201ELNS1_3gpuE5ELNS1_3repE0EEENS1_30default_config_static_selectorELNS0_4arch9wavefront6targetE0EEEvT1_
                                        ; -- End function
	.set _ZN7rocprim17ROCPRIM_400000_NS6detail17trampoline_kernelINS0_14default_configENS1_27scan_by_key_config_selectorIidEEZZNS1_16scan_by_key_implILNS1_25lookback_scan_determinismE0ELb1ES3_N6thrust23THRUST_200600_302600_NS6detail15normal_iteratorINS9_10device_ptrIiEEEENSB_INSC_IdEEEESG_dNS9_4plusIvEENS9_8equal_toIvEEdEE10hipError_tPvRmT2_T3_T4_T5_mT6_T7_P12ihipStream_tbENKUlT_T0_E_clISt17integral_constantIbLb1EES10_IbLb0EEEEDaSW_SX_EUlSW_E_NS1_11comp_targetILNS1_3genE10ELNS1_11target_archE1201ELNS1_3gpuE5ELNS1_3repE0EEENS1_30default_config_static_selectorELNS0_4arch9wavefront6targetE0EEEvT1_.num_vgpr, 0
	.set _ZN7rocprim17ROCPRIM_400000_NS6detail17trampoline_kernelINS0_14default_configENS1_27scan_by_key_config_selectorIidEEZZNS1_16scan_by_key_implILNS1_25lookback_scan_determinismE0ELb1ES3_N6thrust23THRUST_200600_302600_NS6detail15normal_iteratorINS9_10device_ptrIiEEEENSB_INSC_IdEEEESG_dNS9_4plusIvEENS9_8equal_toIvEEdEE10hipError_tPvRmT2_T3_T4_T5_mT6_T7_P12ihipStream_tbENKUlT_T0_E_clISt17integral_constantIbLb1EES10_IbLb0EEEEDaSW_SX_EUlSW_E_NS1_11comp_targetILNS1_3genE10ELNS1_11target_archE1201ELNS1_3gpuE5ELNS1_3repE0EEENS1_30default_config_static_selectorELNS0_4arch9wavefront6targetE0EEEvT1_.num_agpr, 0
	.set _ZN7rocprim17ROCPRIM_400000_NS6detail17trampoline_kernelINS0_14default_configENS1_27scan_by_key_config_selectorIidEEZZNS1_16scan_by_key_implILNS1_25lookback_scan_determinismE0ELb1ES3_N6thrust23THRUST_200600_302600_NS6detail15normal_iteratorINS9_10device_ptrIiEEEENSB_INSC_IdEEEESG_dNS9_4plusIvEENS9_8equal_toIvEEdEE10hipError_tPvRmT2_T3_T4_T5_mT6_T7_P12ihipStream_tbENKUlT_T0_E_clISt17integral_constantIbLb1EES10_IbLb0EEEEDaSW_SX_EUlSW_E_NS1_11comp_targetILNS1_3genE10ELNS1_11target_archE1201ELNS1_3gpuE5ELNS1_3repE0EEENS1_30default_config_static_selectorELNS0_4arch9wavefront6targetE0EEEvT1_.numbered_sgpr, 0
	.set _ZN7rocprim17ROCPRIM_400000_NS6detail17trampoline_kernelINS0_14default_configENS1_27scan_by_key_config_selectorIidEEZZNS1_16scan_by_key_implILNS1_25lookback_scan_determinismE0ELb1ES3_N6thrust23THRUST_200600_302600_NS6detail15normal_iteratorINS9_10device_ptrIiEEEENSB_INSC_IdEEEESG_dNS9_4plusIvEENS9_8equal_toIvEEdEE10hipError_tPvRmT2_T3_T4_T5_mT6_T7_P12ihipStream_tbENKUlT_T0_E_clISt17integral_constantIbLb1EES10_IbLb0EEEEDaSW_SX_EUlSW_E_NS1_11comp_targetILNS1_3genE10ELNS1_11target_archE1201ELNS1_3gpuE5ELNS1_3repE0EEENS1_30default_config_static_selectorELNS0_4arch9wavefront6targetE0EEEvT1_.num_named_barrier, 0
	.set _ZN7rocprim17ROCPRIM_400000_NS6detail17trampoline_kernelINS0_14default_configENS1_27scan_by_key_config_selectorIidEEZZNS1_16scan_by_key_implILNS1_25lookback_scan_determinismE0ELb1ES3_N6thrust23THRUST_200600_302600_NS6detail15normal_iteratorINS9_10device_ptrIiEEEENSB_INSC_IdEEEESG_dNS9_4plusIvEENS9_8equal_toIvEEdEE10hipError_tPvRmT2_T3_T4_T5_mT6_T7_P12ihipStream_tbENKUlT_T0_E_clISt17integral_constantIbLb1EES10_IbLb0EEEEDaSW_SX_EUlSW_E_NS1_11comp_targetILNS1_3genE10ELNS1_11target_archE1201ELNS1_3gpuE5ELNS1_3repE0EEENS1_30default_config_static_selectorELNS0_4arch9wavefront6targetE0EEEvT1_.private_seg_size, 0
	.set _ZN7rocprim17ROCPRIM_400000_NS6detail17trampoline_kernelINS0_14default_configENS1_27scan_by_key_config_selectorIidEEZZNS1_16scan_by_key_implILNS1_25lookback_scan_determinismE0ELb1ES3_N6thrust23THRUST_200600_302600_NS6detail15normal_iteratorINS9_10device_ptrIiEEEENSB_INSC_IdEEEESG_dNS9_4plusIvEENS9_8equal_toIvEEdEE10hipError_tPvRmT2_T3_T4_T5_mT6_T7_P12ihipStream_tbENKUlT_T0_E_clISt17integral_constantIbLb1EES10_IbLb0EEEEDaSW_SX_EUlSW_E_NS1_11comp_targetILNS1_3genE10ELNS1_11target_archE1201ELNS1_3gpuE5ELNS1_3repE0EEENS1_30default_config_static_selectorELNS0_4arch9wavefront6targetE0EEEvT1_.uses_vcc, 0
	.set _ZN7rocprim17ROCPRIM_400000_NS6detail17trampoline_kernelINS0_14default_configENS1_27scan_by_key_config_selectorIidEEZZNS1_16scan_by_key_implILNS1_25lookback_scan_determinismE0ELb1ES3_N6thrust23THRUST_200600_302600_NS6detail15normal_iteratorINS9_10device_ptrIiEEEENSB_INSC_IdEEEESG_dNS9_4plusIvEENS9_8equal_toIvEEdEE10hipError_tPvRmT2_T3_T4_T5_mT6_T7_P12ihipStream_tbENKUlT_T0_E_clISt17integral_constantIbLb1EES10_IbLb0EEEEDaSW_SX_EUlSW_E_NS1_11comp_targetILNS1_3genE10ELNS1_11target_archE1201ELNS1_3gpuE5ELNS1_3repE0EEENS1_30default_config_static_selectorELNS0_4arch9wavefront6targetE0EEEvT1_.uses_flat_scratch, 0
	.set _ZN7rocprim17ROCPRIM_400000_NS6detail17trampoline_kernelINS0_14default_configENS1_27scan_by_key_config_selectorIidEEZZNS1_16scan_by_key_implILNS1_25lookback_scan_determinismE0ELb1ES3_N6thrust23THRUST_200600_302600_NS6detail15normal_iteratorINS9_10device_ptrIiEEEENSB_INSC_IdEEEESG_dNS9_4plusIvEENS9_8equal_toIvEEdEE10hipError_tPvRmT2_T3_T4_T5_mT6_T7_P12ihipStream_tbENKUlT_T0_E_clISt17integral_constantIbLb1EES10_IbLb0EEEEDaSW_SX_EUlSW_E_NS1_11comp_targetILNS1_3genE10ELNS1_11target_archE1201ELNS1_3gpuE5ELNS1_3repE0EEENS1_30default_config_static_selectorELNS0_4arch9wavefront6targetE0EEEvT1_.has_dyn_sized_stack, 0
	.set _ZN7rocprim17ROCPRIM_400000_NS6detail17trampoline_kernelINS0_14default_configENS1_27scan_by_key_config_selectorIidEEZZNS1_16scan_by_key_implILNS1_25lookback_scan_determinismE0ELb1ES3_N6thrust23THRUST_200600_302600_NS6detail15normal_iteratorINS9_10device_ptrIiEEEENSB_INSC_IdEEEESG_dNS9_4plusIvEENS9_8equal_toIvEEdEE10hipError_tPvRmT2_T3_T4_T5_mT6_T7_P12ihipStream_tbENKUlT_T0_E_clISt17integral_constantIbLb1EES10_IbLb0EEEEDaSW_SX_EUlSW_E_NS1_11comp_targetILNS1_3genE10ELNS1_11target_archE1201ELNS1_3gpuE5ELNS1_3repE0EEENS1_30default_config_static_selectorELNS0_4arch9wavefront6targetE0EEEvT1_.has_recursion, 0
	.set _ZN7rocprim17ROCPRIM_400000_NS6detail17trampoline_kernelINS0_14default_configENS1_27scan_by_key_config_selectorIidEEZZNS1_16scan_by_key_implILNS1_25lookback_scan_determinismE0ELb1ES3_N6thrust23THRUST_200600_302600_NS6detail15normal_iteratorINS9_10device_ptrIiEEEENSB_INSC_IdEEEESG_dNS9_4plusIvEENS9_8equal_toIvEEdEE10hipError_tPvRmT2_T3_T4_T5_mT6_T7_P12ihipStream_tbENKUlT_T0_E_clISt17integral_constantIbLb1EES10_IbLb0EEEEDaSW_SX_EUlSW_E_NS1_11comp_targetILNS1_3genE10ELNS1_11target_archE1201ELNS1_3gpuE5ELNS1_3repE0EEENS1_30default_config_static_selectorELNS0_4arch9wavefront6targetE0EEEvT1_.has_indirect_call, 0
	.section	.AMDGPU.csdata,"",@progbits
; Kernel info:
; codeLenInByte = 0
; TotalNumSgprs: 0
; NumVgprs: 0
; ScratchSize: 0
; MemoryBound: 0
; FloatMode: 240
; IeeeMode: 1
; LDSByteSize: 0 bytes/workgroup (compile time only)
; SGPRBlocks: 0
; VGPRBlocks: 0
; NumSGPRsForWavesPerEU: 1
; NumVGPRsForWavesPerEU: 1
; Occupancy: 16
; WaveLimiterHint : 0
; COMPUTE_PGM_RSRC2:SCRATCH_EN: 0
; COMPUTE_PGM_RSRC2:USER_SGPR: 6
; COMPUTE_PGM_RSRC2:TRAP_HANDLER: 0
; COMPUTE_PGM_RSRC2:TGID_X_EN: 1
; COMPUTE_PGM_RSRC2:TGID_Y_EN: 0
; COMPUTE_PGM_RSRC2:TGID_Z_EN: 0
; COMPUTE_PGM_RSRC2:TIDIG_COMP_CNT: 0
	.section	.text._ZN7rocprim17ROCPRIM_400000_NS6detail17trampoline_kernelINS0_14default_configENS1_27scan_by_key_config_selectorIidEEZZNS1_16scan_by_key_implILNS1_25lookback_scan_determinismE0ELb1ES3_N6thrust23THRUST_200600_302600_NS6detail15normal_iteratorINS9_10device_ptrIiEEEENSB_INSC_IdEEEESG_dNS9_4plusIvEENS9_8equal_toIvEEdEE10hipError_tPvRmT2_T3_T4_T5_mT6_T7_P12ihipStream_tbENKUlT_T0_E_clISt17integral_constantIbLb1EES10_IbLb0EEEEDaSW_SX_EUlSW_E_NS1_11comp_targetILNS1_3genE5ELNS1_11target_archE942ELNS1_3gpuE9ELNS1_3repE0EEENS1_30default_config_static_selectorELNS0_4arch9wavefront6targetE0EEEvT1_,"axG",@progbits,_ZN7rocprim17ROCPRIM_400000_NS6detail17trampoline_kernelINS0_14default_configENS1_27scan_by_key_config_selectorIidEEZZNS1_16scan_by_key_implILNS1_25lookback_scan_determinismE0ELb1ES3_N6thrust23THRUST_200600_302600_NS6detail15normal_iteratorINS9_10device_ptrIiEEEENSB_INSC_IdEEEESG_dNS9_4plusIvEENS9_8equal_toIvEEdEE10hipError_tPvRmT2_T3_T4_T5_mT6_T7_P12ihipStream_tbENKUlT_T0_E_clISt17integral_constantIbLb1EES10_IbLb0EEEEDaSW_SX_EUlSW_E_NS1_11comp_targetILNS1_3genE5ELNS1_11target_archE942ELNS1_3gpuE9ELNS1_3repE0EEENS1_30default_config_static_selectorELNS0_4arch9wavefront6targetE0EEEvT1_,comdat
	.protected	_ZN7rocprim17ROCPRIM_400000_NS6detail17trampoline_kernelINS0_14default_configENS1_27scan_by_key_config_selectorIidEEZZNS1_16scan_by_key_implILNS1_25lookback_scan_determinismE0ELb1ES3_N6thrust23THRUST_200600_302600_NS6detail15normal_iteratorINS9_10device_ptrIiEEEENSB_INSC_IdEEEESG_dNS9_4plusIvEENS9_8equal_toIvEEdEE10hipError_tPvRmT2_T3_T4_T5_mT6_T7_P12ihipStream_tbENKUlT_T0_E_clISt17integral_constantIbLb1EES10_IbLb0EEEEDaSW_SX_EUlSW_E_NS1_11comp_targetILNS1_3genE5ELNS1_11target_archE942ELNS1_3gpuE9ELNS1_3repE0EEENS1_30default_config_static_selectorELNS0_4arch9wavefront6targetE0EEEvT1_ ; -- Begin function _ZN7rocprim17ROCPRIM_400000_NS6detail17trampoline_kernelINS0_14default_configENS1_27scan_by_key_config_selectorIidEEZZNS1_16scan_by_key_implILNS1_25lookback_scan_determinismE0ELb1ES3_N6thrust23THRUST_200600_302600_NS6detail15normal_iteratorINS9_10device_ptrIiEEEENSB_INSC_IdEEEESG_dNS9_4plusIvEENS9_8equal_toIvEEdEE10hipError_tPvRmT2_T3_T4_T5_mT6_T7_P12ihipStream_tbENKUlT_T0_E_clISt17integral_constantIbLb1EES10_IbLb0EEEEDaSW_SX_EUlSW_E_NS1_11comp_targetILNS1_3genE5ELNS1_11target_archE942ELNS1_3gpuE9ELNS1_3repE0EEENS1_30default_config_static_selectorELNS0_4arch9wavefront6targetE0EEEvT1_
	.globl	_ZN7rocprim17ROCPRIM_400000_NS6detail17trampoline_kernelINS0_14default_configENS1_27scan_by_key_config_selectorIidEEZZNS1_16scan_by_key_implILNS1_25lookback_scan_determinismE0ELb1ES3_N6thrust23THRUST_200600_302600_NS6detail15normal_iteratorINS9_10device_ptrIiEEEENSB_INSC_IdEEEESG_dNS9_4plusIvEENS9_8equal_toIvEEdEE10hipError_tPvRmT2_T3_T4_T5_mT6_T7_P12ihipStream_tbENKUlT_T0_E_clISt17integral_constantIbLb1EES10_IbLb0EEEEDaSW_SX_EUlSW_E_NS1_11comp_targetILNS1_3genE5ELNS1_11target_archE942ELNS1_3gpuE9ELNS1_3repE0EEENS1_30default_config_static_selectorELNS0_4arch9wavefront6targetE0EEEvT1_
	.p2align	8
	.type	_ZN7rocprim17ROCPRIM_400000_NS6detail17trampoline_kernelINS0_14default_configENS1_27scan_by_key_config_selectorIidEEZZNS1_16scan_by_key_implILNS1_25lookback_scan_determinismE0ELb1ES3_N6thrust23THRUST_200600_302600_NS6detail15normal_iteratorINS9_10device_ptrIiEEEENSB_INSC_IdEEEESG_dNS9_4plusIvEENS9_8equal_toIvEEdEE10hipError_tPvRmT2_T3_T4_T5_mT6_T7_P12ihipStream_tbENKUlT_T0_E_clISt17integral_constantIbLb1EES10_IbLb0EEEEDaSW_SX_EUlSW_E_NS1_11comp_targetILNS1_3genE5ELNS1_11target_archE942ELNS1_3gpuE9ELNS1_3repE0EEENS1_30default_config_static_selectorELNS0_4arch9wavefront6targetE0EEEvT1_,@function
_ZN7rocprim17ROCPRIM_400000_NS6detail17trampoline_kernelINS0_14default_configENS1_27scan_by_key_config_selectorIidEEZZNS1_16scan_by_key_implILNS1_25lookback_scan_determinismE0ELb1ES3_N6thrust23THRUST_200600_302600_NS6detail15normal_iteratorINS9_10device_ptrIiEEEENSB_INSC_IdEEEESG_dNS9_4plusIvEENS9_8equal_toIvEEdEE10hipError_tPvRmT2_T3_T4_T5_mT6_T7_P12ihipStream_tbENKUlT_T0_E_clISt17integral_constantIbLb1EES10_IbLb0EEEEDaSW_SX_EUlSW_E_NS1_11comp_targetILNS1_3genE5ELNS1_11target_archE942ELNS1_3gpuE9ELNS1_3repE0EEENS1_30default_config_static_selectorELNS0_4arch9wavefront6targetE0EEEvT1_: ; @_ZN7rocprim17ROCPRIM_400000_NS6detail17trampoline_kernelINS0_14default_configENS1_27scan_by_key_config_selectorIidEEZZNS1_16scan_by_key_implILNS1_25lookback_scan_determinismE0ELb1ES3_N6thrust23THRUST_200600_302600_NS6detail15normal_iteratorINS9_10device_ptrIiEEEENSB_INSC_IdEEEESG_dNS9_4plusIvEENS9_8equal_toIvEEdEE10hipError_tPvRmT2_T3_T4_T5_mT6_T7_P12ihipStream_tbENKUlT_T0_E_clISt17integral_constantIbLb1EES10_IbLb0EEEEDaSW_SX_EUlSW_E_NS1_11comp_targetILNS1_3genE5ELNS1_11target_archE942ELNS1_3gpuE9ELNS1_3repE0EEENS1_30default_config_static_selectorELNS0_4arch9wavefront6targetE0EEEvT1_
; %bb.0:
	.section	.rodata,"a",@progbits
	.p2align	6, 0x0
	.amdhsa_kernel _ZN7rocprim17ROCPRIM_400000_NS6detail17trampoline_kernelINS0_14default_configENS1_27scan_by_key_config_selectorIidEEZZNS1_16scan_by_key_implILNS1_25lookback_scan_determinismE0ELb1ES3_N6thrust23THRUST_200600_302600_NS6detail15normal_iteratorINS9_10device_ptrIiEEEENSB_INSC_IdEEEESG_dNS9_4plusIvEENS9_8equal_toIvEEdEE10hipError_tPvRmT2_T3_T4_T5_mT6_T7_P12ihipStream_tbENKUlT_T0_E_clISt17integral_constantIbLb1EES10_IbLb0EEEEDaSW_SX_EUlSW_E_NS1_11comp_targetILNS1_3genE5ELNS1_11target_archE942ELNS1_3gpuE9ELNS1_3repE0EEENS1_30default_config_static_selectorELNS0_4arch9wavefront6targetE0EEEvT1_
		.amdhsa_group_segment_fixed_size 0
		.amdhsa_private_segment_fixed_size 0
		.amdhsa_kernarg_size 136
		.amdhsa_user_sgpr_count 6
		.amdhsa_user_sgpr_private_segment_buffer 1
		.amdhsa_user_sgpr_dispatch_ptr 0
		.amdhsa_user_sgpr_queue_ptr 0
		.amdhsa_user_sgpr_kernarg_segment_ptr 1
		.amdhsa_user_sgpr_dispatch_id 0
		.amdhsa_user_sgpr_flat_scratch_init 0
		.amdhsa_user_sgpr_private_segment_size 0
		.amdhsa_wavefront_size32 1
		.amdhsa_uses_dynamic_stack 0
		.amdhsa_system_sgpr_private_segment_wavefront_offset 0
		.amdhsa_system_sgpr_workgroup_id_x 1
		.amdhsa_system_sgpr_workgroup_id_y 0
		.amdhsa_system_sgpr_workgroup_id_z 0
		.amdhsa_system_sgpr_workgroup_info 0
		.amdhsa_system_vgpr_workitem_id 0
		.amdhsa_next_free_vgpr 1
		.amdhsa_next_free_sgpr 1
		.amdhsa_reserve_vcc 0
		.amdhsa_reserve_flat_scratch 0
		.amdhsa_float_round_mode_32 0
		.amdhsa_float_round_mode_16_64 0
		.amdhsa_float_denorm_mode_32 3
		.amdhsa_float_denorm_mode_16_64 3
		.amdhsa_dx10_clamp 1
		.amdhsa_ieee_mode 1
		.amdhsa_fp16_overflow 0
		.amdhsa_workgroup_processor_mode 1
		.amdhsa_memory_ordered 1
		.amdhsa_forward_progress 1
		.amdhsa_shared_vgpr_count 0
		.amdhsa_exception_fp_ieee_invalid_op 0
		.amdhsa_exception_fp_denorm_src 0
		.amdhsa_exception_fp_ieee_div_zero 0
		.amdhsa_exception_fp_ieee_overflow 0
		.amdhsa_exception_fp_ieee_underflow 0
		.amdhsa_exception_fp_ieee_inexact 0
		.amdhsa_exception_int_div_zero 0
	.end_amdhsa_kernel
	.section	.text._ZN7rocprim17ROCPRIM_400000_NS6detail17trampoline_kernelINS0_14default_configENS1_27scan_by_key_config_selectorIidEEZZNS1_16scan_by_key_implILNS1_25lookback_scan_determinismE0ELb1ES3_N6thrust23THRUST_200600_302600_NS6detail15normal_iteratorINS9_10device_ptrIiEEEENSB_INSC_IdEEEESG_dNS9_4plusIvEENS9_8equal_toIvEEdEE10hipError_tPvRmT2_T3_T4_T5_mT6_T7_P12ihipStream_tbENKUlT_T0_E_clISt17integral_constantIbLb1EES10_IbLb0EEEEDaSW_SX_EUlSW_E_NS1_11comp_targetILNS1_3genE5ELNS1_11target_archE942ELNS1_3gpuE9ELNS1_3repE0EEENS1_30default_config_static_selectorELNS0_4arch9wavefront6targetE0EEEvT1_,"axG",@progbits,_ZN7rocprim17ROCPRIM_400000_NS6detail17trampoline_kernelINS0_14default_configENS1_27scan_by_key_config_selectorIidEEZZNS1_16scan_by_key_implILNS1_25lookback_scan_determinismE0ELb1ES3_N6thrust23THRUST_200600_302600_NS6detail15normal_iteratorINS9_10device_ptrIiEEEENSB_INSC_IdEEEESG_dNS9_4plusIvEENS9_8equal_toIvEEdEE10hipError_tPvRmT2_T3_T4_T5_mT6_T7_P12ihipStream_tbENKUlT_T0_E_clISt17integral_constantIbLb1EES10_IbLb0EEEEDaSW_SX_EUlSW_E_NS1_11comp_targetILNS1_3genE5ELNS1_11target_archE942ELNS1_3gpuE9ELNS1_3repE0EEENS1_30default_config_static_selectorELNS0_4arch9wavefront6targetE0EEEvT1_,comdat
.Lfunc_end1411:
	.size	_ZN7rocprim17ROCPRIM_400000_NS6detail17trampoline_kernelINS0_14default_configENS1_27scan_by_key_config_selectorIidEEZZNS1_16scan_by_key_implILNS1_25lookback_scan_determinismE0ELb1ES3_N6thrust23THRUST_200600_302600_NS6detail15normal_iteratorINS9_10device_ptrIiEEEENSB_INSC_IdEEEESG_dNS9_4plusIvEENS9_8equal_toIvEEdEE10hipError_tPvRmT2_T3_T4_T5_mT6_T7_P12ihipStream_tbENKUlT_T0_E_clISt17integral_constantIbLb1EES10_IbLb0EEEEDaSW_SX_EUlSW_E_NS1_11comp_targetILNS1_3genE5ELNS1_11target_archE942ELNS1_3gpuE9ELNS1_3repE0EEENS1_30default_config_static_selectorELNS0_4arch9wavefront6targetE0EEEvT1_, .Lfunc_end1411-_ZN7rocprim17ROCPRIM_400000_NS6detail17trampoline_kernelINS0_14default_configENS1_27scan_by_key_config_selectorIidEEZZNS1_16scan_by_key_implILNS1_25lookback_scan_determinismE0ELb1ES3_N6thrust23THRUST_200600_302600_NS6detail15normal_iteratorINS9_10device_ptrIiEEEENSB_INSC_IdEEEESG_dNS9_4plusIvEENS9_8equal_toIvEEdEE10hipError_tPvRmT2_T3_T4_T5_mT6_T7_P12ihipStream_tbENKUlT_T0_E_clISt17integral_constantIbLb1EES10_IbLb0EEEEDaSW_SX_EUlSW_E_NS1_11comp_targetILNS1_3genE5ELNS1_11target_archE942ELNS1_3gpuE9ELNS1_3repE0EEENS1_30default_config_static_selectorELNS0_4arch9wavefront6targetE0EEEvT1_
                                        ; -- End function
	.set _ZN7rocprim17ROCPRIM_400000_NS6detail17trampoline_kernelINS0_14default_configENS1_27scan_by_key_config_selectorIidEEZZNS1_16scan_by_key_implILNS1_25lookback_scan_determinismE0ELb1ES3_N6thrust23THRUST_200600_302600_NS6detail15normal_iteratorINS9_10device_ptrIiEEEENSB_INSC_IdEEEESG_dNS9_4plusIvEENS9_8equal_toIvEEdEE10hipError_tPvRmT2_T3_T4_T5_mT6_T7_P12ihipStream_tbENKUlT_T0_E_clISt17integral_constantIbLb1EES10_IbLb0EEEEDaSW_SX_EUlSW_E_NS1_11comp_targetILNS1_3genE5ELNS1_11target_archE942ELNS1_3gpuE9ELNS1_3repE0EEENS1_30default_config_static_selectorELNS0_4arch9wavefront6targetE0EEEvT1_.num_vgpr, 0
	.set _ZN7rocprim17ROCPRIM_400000_NS6detail17trampoline_kernelINS0_14default_configENS1_27scan_by_key_config_selectorIidEEZZNS1_16scan_by_key_implILNS1_25lookback_scan_determinismE0ELb1ES3_N6thrust23THRUST_200600_302600_NS6detail15normal_iteratorINS9_10device_ptrIiEEEENSB_INSC_IdEEEESG_dNS9_4plusIvEENS9_8equal_toIvEEdEE10hipError_tPvRmT2_T3_T4_T5_mT6_T7_P12ihipStream_tbENKUlT_T0_E_clISt17integral_constantIbLb1EES10_IbLb0EEEEDaSW_SX_EUlSW_E_NS1_11comp_targetILNS1_3genE5ELNS1_11target_archE942ELNS1_3gpuE9ELNS1_3repE0EEENS1_30default_config_static_selectorELNS0_4arch9wavefront6targetE0EEEvT1_.num_agpr, 0
	.set _ZN7rocprim17ROCPRIM_400000_NS6detail17trampoline_kernelINS0_14default_configENS1_27scan_by_key_config_selectorIidEEZZNS1_16scan_by_key_implILNS1_25lookback_scan_determinismE0ELb1ES3_N6thrust23THRUST_200600_302600_NS6detail15normal_iteratorINS9_10device_ptrIiEEEENSB_INSC_IdEEEESG_dNS9_4plusIvEENS9_8equal_toIvEEdEE10hipError_tPvRmT2_T3_T4_T5_mT6_T7_P12ihipStream_tbENKUlT_T0_E_clISt17integral_constantIbLb1EES10_IbLb0EEEEDaSW_SX_EUlSW_E_NS1_11comp_targetILNS1_3genE5ELNS1_11target_archE942ELNS1_3gpuE9ELNS1_3repE0EEENS1_30default_config_static_selectorELNS0_4arch9wavefront6targetE0EEEvT1_.numbered_sgpr, 0
	.set _ZN7rocprim17ROCPRIM_400000_NS6detail17trampoline_kernelINS0_14default_configENS1_27scan_by_key_config_selectorIidEEZZNS1_16scan_by_key_implILNS1_25lookback_scan_determinismE0ELb1ES3_N6thrust23THRUST_200600_302600_NS6detail15normal_iteratorINS9_10device_ptrIiEEEENSB_INSC_IdEEEESG_dNS9_4plusIvEENS9_8equal_toIvEEdEE10hipError_tPvRmT2_T3_T4_T5_mT6_T7_P12ihipStream_tbENKUlT_T0_E_clISt17integral_constantIbLb1EES10_IbLb0EEEEDaSW_SX_EUlSW_E_NS1_11comp_targetILNS1_3genE5ELNS1_11target_archE942ELNS1_3gpuE9ELNS1_3repE0EEENS1_30default_config_static_selectorELNS0_4arch9wavefront6targetE0EEEvT1_.num_named_barrier, 0
	.set _ZN7rocprim17ROCPRIM_400000_NS6detail17trampoline_kernelINS0_14default_configENS1_27scan_by_key_config_selectorIidEEZZNS1_16scan_by_key_implILNS1_25lookback_scan_determinismE0ELb1ES3_N6thrust23THRUST_200600_302600_NS6detail15normal_iteratorINS9_10device_ptrIiEEEENSB_INSC_IdEEEESG_dNS9_4plusIvEENS9_8equal_toIvEEdEE10hipError_tPvRmT2_T3_T4_T5_mT6_T7_P12ihipStream_tbENKUlT_T0_E_clISt17integral_constantIbLb1EES10_IbLb0EEEEDaSW_SX_EUlSW_E_NS1_11comp_targetILNS1_3genE5ELNS1_11target_archE942ELNS1_3gpuE9ELNS1_3repE0EEENS1_30default_config_static_selectorELNS0_4arch9wavefront6targetE0EEEvT1_.private_seg_size, 0
	.set _ZN7rocprim17ROCPRIM_400000_NS6detail17trampoline_kernelINS0_14default_configENS1_27scan_by_key_config_selectorIidEEZZNS1_16scan_by_key_implILNS1_25lookback_scan_determinismE0ELb1ES3_N6thrust23THRUST_200600_302600_NS6detail15normal_iteratorINS9_10device_ptrIiEEEENSB_INSC_IdEEEESG_dNS9_4plusIvEENS9_8equal_toIvEEdEE10hipError_tPvRmT2_T3_T4_T5_mT6_T7_P12ihipStream_tbENKUlT_T0_E_clISt17integral_constantIbLb1EES10_IbLb0EEEEDaSW_SX_EUlSW_E_NS1_11comp_targetILNS1_3genE5ELNS1_11target_archE942ELNS1_3gpuE9ELNS1_3repE0EEENS1_30default_config_static_selectorELNS0_4arch9wavefront6targetE0EEEvT1_.uses_vcc, 0
	.set _ZN7rocprim17ROCPRIM_400000_NS6detail17trampoline_kernelINS0_14default_configENS1_27scan_by_key_config_selectorIidEEZZNS1_16scan_by_key_implILNS1_25lookback_scan_determinismE0ELb1ES3_N6thrust23THRUST_200600_302600_NS6detail15normal_iteratorINS9_10device_ptrIiEEEENSB_INSC_IdEEEESG_dNS9_4plusIvEENS9_8equal_toIvEEdEE10hipError_tPvRmT2_T3_T4_T5_mT6_T7_P12ihipStream_tbENKUlT_T0_E_clISt17integral_constantIbLb1EES10_IbLb0EEEEDaSW_SX_EUlSW_E_NS1_11comp_targetILNS1_3genE5ELNS1_11target_archE942ELNS1_3gpuE9ELNS1_3repE0EEENS1_30default_config_static_selectorELNS0_4arch9wavefront6targetE0EEEvT1_.uses_flat_scratch, 0
	.set _ZN7rocprim17ROCPRIM_400000_NS6detail17trampoline_kernelINS0_14default_configENS1_27scan_by_key_config_selectorIidEEZZNS1_16scan_by_key_implILNS1_25lookback_scan_determinismE0ELb1ES3_N6thrust23THRUST_200600_302600_NS6detail15normal_iteratorINS9_10device_ptrIiEEEENSB_INSC_IdEEEESG_dNS9_4plusIvEENS9_8equal_toIvEEdEE10hipError_tPvRmT2_T3_T4_T5_mT6_T7_P12ihipStream_tbENKUlT_T0_E_clISt17integral_constantIbLb1EES10_IbLb0EEEEDaSW_SX_EUlSW_E_NS1_11comp_targetILNS1_3genE5ELNS1_11target_archE942ELNS1_3gpuE9ELNS1_3repE0EEENS1_30default_config_static_selectorELNS0_4arch9wavefront6targetE0EEEvT1_.has_dyn_sized_stack, 0
	.set _ZN7rocprim17ROCPRIM_400000_NS6detail17trampoline_kernelINS0_14default_configENS1_27scan_by_key_config_selectorIidEEZZNS1_16scan_by_key_implILNS1_25lookback_scan_determinismE0ELb1ES3_N6thrust23THRUST_200600_302600_NS6detail15normal_iteratorINS9_10device_ptrIiEEEENSB_INSC_IdEEEESG_dNS9_4plusIvEENS9_8equal_toIvEEdEE10hipError_tPvRmT2_T3_T4_T5_mT6_T7_P12ihipStream_tbENKUlT_T0_E_clISt17integral_constantIbLb1EES10_IbLb0EEEEDaSW_SX_EUlSW_E_NS1_11comp_targetILNS1_3genE5ELNS1_11target_archE942ELNS1_3gpuE9ELNS1_3repE0EEENS1_30default_config_static_selectorELNS0_4arch9wavefront6targetE0EEEvT1_.has_recursion, 0
	.set _ZN7rocprim17ROCPRIM_400000_NS6detail17trampoline_kernelINS0_14default_configENS1_27scan_by_key_config_selectorIidEEZZNS1_16scan_by_key_implILNS1_25lookback_scan_determinismE0ELb1ES3_N6thrust23THRUST_200600_302600_NS6detail15normal_iteratorINS9_10device_ptrIiEEEENSB_INSC_IdEEEESG_dNS9_4plusIvEENS9_8equal_toIvEEdEE10hipError_tPvRmT2_T3_T4_T5_mT6_T7_P12ihipStream_tbENKUlT_T0_E_clISt17integral_constantIbLb1EES10_IbLb0EEEEDaSW_SX_EUlSW_E_NS1_11comp_targetILNS1_3genE5ELNS1_11target_archE942ELNS1_3gpuE9ELNS1_3repE0EEENS1_30default_config_static_selectorELNS0_4arch9wavefront6targetE0EEEvT1_.has_indirect_call, 0
	.section	.AMDGPU.csdata,"",@progbits
; Kernel info:
; codeLenInByte = 0
; TotalNumSgprs: 0
; NumVgprs: 0
; ScratchSize: 0
; MemoryBound: 0
; FloatMode: 240
; IeeeMode: 1
; LDSByteSize: 0 bytes/workgroup (compile time only)
; SGPRBlocks: 0
; VGPRBlocks: 0
; NumSGPRsForWavesPerEU: 1
; NumVGPRsForWavesPerEU: 1
; Occupancy: 16
; WaveLimiterHint : 0
; COMPUTE_PGM_RSRC2:SCRATCH_EN: 0
; COMPUTE_PGM_RSRC2:USER_SGPR: 6
; COMPUTE_PGM_RSRC2:TRAP_HANDLER: 0
; COMPUTE_PGM_RSRC2:TGID_X_EN: 1
; COMPUTE_PGM_RSRC2:TGID_Y_EN: 0
; COMPUTE_PGM_RSRC2:TGID_Z_EN: 0
; COMPUTE_PGM_RSRC2:TIDIG_COMP_CNT: 0
	.section	.text._ZN7rocprim17ROCPRIM_400000_NS6detail17trampoline_kernelINS0_14default_configENS1_27scan_by_key_config_selectorIidEEZZNS1_16scan_by_key_implILNS1_25lookback_scan_determinismE0ELb1ES3_N6thrust23THRUST_200600_302600_NS6detail15normal_iteratorINS9_10device_ptrIiEEEENSB_INSC_IdEEEESG_dNS9_4plusIvEENS9_8equal_toIvEEdEE10hipError_tPvRmT2_T3_T4_T5_mT6_T7_P12ihipStream_tbENKUlT_T0_E_clISt17integral_constantIbLb1EES10_IbLb0EEEEDaSW_SX_EUlSW_E_NS1_11comp_targetILNS1_3genE4ELNS1_11target_archE910ELNS1_3gpuE8ELNS1_3repE0EEENS1_30default_config_static_selectorELNS0_4arch9wavefront6targetE0EEEvT1_,"axG",@progbits,_ZN7rocprim17ROCPRIM_400000_NS6detail17trampoline_kernelINS0_14default_configENS1_27scan_by_key_config_selectorIidEEZZNS1_16scan_by_key_implILNS1_25lookback_scan_determinismE0ELb1ES3_N6thrust23THRUST_200600_302600_NS6detail15normal_iteratorINS9_10device_ptrIiEEEENSB_INSC_IdEEEESG_dNS9_4plusIvEENS9_8equal_toIvEEdEE10hipError_tPvRmT2_T3_T4_T5_mT6_T7_P12ihipStream_tbENKUlT_T0_E_clISt17integral_constantIbLb1EES10_IbLb0EEEEDaSW_SX_EUlSW_E_NS1_11comp_targetILNS1_3genE4ELNS1_11target_archE910ELNS1_3gpuE8ELNS1_3repE0EEENS1_30default_config_static_selectorELNS0_4arch9wavefront6targetE0EEEvT1_,comdat
	.protected	_ZN7rocprim17ROCPRIM_400000_NS6detail17trampoline_kernelINS0_14default_configENS1_27scan_by_key_config_selectorIidEEZZNS1_16scan_by_key_implILNS1_25lookback_scan_determinismE0ELb1ES3_N6thrust23THRUST_200600_302600_NS6detail15normal_iteratorINS9_10device_ptrIiEEEENSB_INSC_IdEEEESG_dNS9_4plusIvEENS9_8equal_toIvEEdEE10hipError_tPvRmT2_T3_T4_T5_mT6_T7_P12ihipStream_tbENKUlT_T0_E_clISt17integral_constantIbLb1EES10_IbLb0EEEEDaSW_SX_EUlSW_E_NS1_11comp_targetILNS1_3genE4ELNS1_11target_archE910ELNS1_3gpuE8ELNS1_3repE0EEENS1_30default_config_static_selectorELNS0_4arch9wavefront6targetE0EEEvT1_ ; -- Begin function _ZN7rocprim17ROCPRIM_400000_NS6detail17trampoline_kernelINS0_14default_configENS1_27scan_by_key_config_selectorIidEEZZNS1_16scan_by_key_implILNS1_25lookback_scan_determinismE0ELb1ES3_N6thrust23THRUST_200600_302600_NS6detail15normal_iteratorINS9_10device_ptrIiEEEENSB_INSC_IdEEEESG_dNS9_4plusIvEENS9_8equal_toIvEEdEE10hipError_tPvRmT2_T3_T4_T5_mT6_T7_P12ihipStream_tbENKUlT_T0_E_clISt17integral_constantIbLb1EES10_IbLb0EEEEDaSW_SX_EUlSW_E_NS1_11comp_targetILNS1_3genE4ELNS1_11target_archE910ELNS1_3gpuE8ELNS1_3repE0EEENS1_30default_config_static_selectorELNS0_4arch9wavefront6targetE0EEEvT1_
	.globl	_ZN7rocprim17ROCPRIM_400000_NS6detail17trampoline_kernelINS0_14default_configENS1_27scan_by_key_config_selectorIidEEZZNS1_16scan_by_key_implILNS1_25lookback_scan_determinismE0ELb1ES3_N6thrust23THRUST_200600_302600_NS6detail15normal_iteratorINS9_10device_ptrIiEEEENSB_INSC_IdEEEESG_dNS9_4plusIvEENS9_8equal_toIvEEdEE10hipError_tPvRmT2_T3_T4_T5_mT6_T7_P12ihipStream_tbENKUlT_T0_E_clISt17integral_constantIbLb1EES10_IbLb0EEEEDaSW_SX_EUlSW_E_NS1_11comp_targetILNS1_3genE4ELNS1_11target_archE910ELNS1_3gpuE8ELNS1_3repE0EEENS1_30default_config_static_selectorELNS0_4arch9wavefront6targetE0EEEvT1_
	.p2align	8
	.type	_ZN7rocprim17ROCPRIM_400000_NS6detail17trampoline_kernelINS0_14default_configENS1_27scan_by_key_config_selectorIidEEZZNS1_16scan_by_key_implILNS1_25lookback_scan_determinismE0ELb1ES3_N6thrust23THRUST_200600_302600_NS6detail15normal_iteratorINS9_10device_ptrIiEEEENSB_INSC_IdEEEESG_dNS9_4plusIvEENS9_8equal_toIvEEdEE10hipError_tPvRmT2_T3_T4_T5_mT6_T7_P12ihipStream_tbENKUlT_T0_E_clISt17integral_constantIbLb1EES10_IbLb0EEEEDaSW_SX_EUlSW_E_NS1_11comp_targetILNS1_3genE4ELNS1_11target_archE910ELNS1_3gpuE8ELNS1_3repE0EEENS1_30default_config_static_selectorELNS0_4arch9wavefront6targetE0EEEvT1_,@function
_ZN7rocprim17ROCPRIM_400000_NS6detail17trampoline_kernelINS0_14default_configENS1_27scan_by_key_config_selectorIidEEZZNS1_16scan_by_key_implILNS1_25lookback_scan_determinismE0ELb1ES3_N6thrust23THRUST_200600_302600_NS6detail15normal_iteratorINS9_10device_ptrIiEEEENSB_INSC_IdEEEESG_dNS9_4plusIvEENS9_8equal_toIvEEdEE10hipError_tPvRmT2_T3_T4_T5_mT6_T7_P12ihipStream_tbENKUlT_T0_E_clISt17integral_constantIbLb1EES10_IbLb0EEEEDaSW_SX_EUlSW_E_NS1_11comp_targetILNS1_3genE4ELNS1_11target_archE910ELNS1_3gpuE8ELNS1_3repE0EEENS1_30default_config_static_selectorELNS0_4arch9wavefront6targetE0EEEvT1_: ; @_ZN7rocprim17ROCPRIM_400000_NS6detail17trampoline_kernelINS0_14default_configENS1_27scan_by_key_config_selectorIidEEZZNS1_16scan_by_key_implILNS1_25lookback_scan_determinismE0ELb1ES3_N6thrust23THRUST_200600_302600_NS6detail15normal_iteratorINS9_10device_ptrIiEEEENSB_INSC_IdEEEESG_dNS9_4plusIvEENS9_8equal_toIvEEdEE10hipError_tPvRmT2_T3_T4_T5_mT6_T7_P12ihipStream_tbENKUlT_T0_E_clISt17integral_constantIbLb1EES10_IbLb0EEEEDaSW_SX_EUlSW_E_NS1_11comp_targetILNS1_3genE4ELNS1_11target_archE910ELNS1_3gpuE8ELNS1_3repE0EEENS1_30default_config_static_selectorELNS0_4arch9wavefront6targetE0EEEvT1_
; %bb.0:
	.section	.rodata,"a",@progbits
	.p2align	6, 0x0
	.amdhsa_kernel _ZN7rocprim17ROCPRIM_400000_NS6detail17trampoline_kernelINS0_14default_configENS1_27scan_by_key_config_selectorIidEEZZNS1_16scan_by_key_implILNS1_25lookback_scan_determinismE0ELb1ES3_N6thrust23THRUST_200600_302600_NS6detail15normal_iteratorINS9_10device_ptrIiEEEENSB_INSC_IdEEEESG_dNS9_4plusIvEENS9_8equal_toIvEEdEE10hipError_tPvRmT2_T3_T4_T5_mT6_T7_P12ihipStream_tbENKUlT_T0_E_clISt17integral_constantIbLb1EES10_IbLb0EEEEDaSW_SX_EUlSW_E_NS1_11comp_targetILNS1_3genE4ELNS1_11target_archE910ELNS1_3gpuE8ELNS1_3repE0EEENS1_30default_config_static_selectorELNS0_4arch9wavefront6targetE0EEEvT1_
		.amdhsa_group_segment_fixed_size 0
		.amdhsa_private_segment_fixed_size 0
		.amdhsa_kernarg_size 136
		.amdhsa_user_sgpr_count 6
		.amdhsa_user_sgpr_private_segment_buffer 1
		.amdhsa_user_sgpr_dispatch_ptr 0
		.amdhsa_user_sgpr_queue_ptr 0
		.amdhsa_user_sgpr_kernarg_segment_ptr 1
		.amdhsa_user_sgpr_dispatch_id 0
		.amdhsa_user_sgpr_flat_scratch_init 0
		.amdhsa_user_sgpr_private_segment_size 0
		.amdhsa_wavefront_size32 1
		.amdhsa_uses_dynamic_stack 0
		.amdhsa_system_sgpr_private_segment_wavefront_offset 0
		.amdhsa_system_sgpr_workgroup_id_x 1
		.amdhsa_system_sgpr_workgroup_id_y 0
		.amdhsa_system_sgpr_workgroup_id_z 0
		.amdhsa_system_sgpr_workgroup_info 0
		.amdhsa_system_vgpr_workitem_id 0
		.amdhsa_next_free_vgpr 1
		.amdhsa_next_free_sgpr 1
		.amdhsa_reserve_vcc 0
		.amdhsa_reserve_flat_scratch 0
		.amdhsa_float_round_mode_32 0
		.amdhsa_float_round_mode_16_64 0
		.amdhsa_float_denorm_mode_32 3
		.amdhsa_float_denorm_mode_16_64 3
		.amdhsa_dx10_clamp 1
		.amdhsa_ieee_mode 1
		.amdhsa_fp16_overflow 0
		.amdhsa_workgroup_processor_mode 1
		.amdhsa_memory_ordered 1
		.amdhsa_forward_progress 1
		.amdhsa_shared_vgpr_count 0
		.amdhsa_exception_fp_ieee_invalid_op 0
		.amdhsa_exception_fp_denorm_src 0
		.amdhsa_exception_fp_ieee_div_zero 0
		.amdhsa_exception_fp_ieee_overflow 0
		.amdhsa_exception_fp_ieee_underflow 0
		.amdhsa_exception_fp_ieee_inexact 0
		.amdhsa_exception_int_div_zero 0
	.end_amdhsa_kernel
	.section	.text._ZN7rocprim17ROCPRIM_400000_NS6detail17trampoline_kernelINS0_14default_configENS1_27scan_by_key_config_selectorIidEEZZNS1_16scan_by_key_implILNS1_25lookback_scan_determinismE0ELb1ES3_N6thrust23THRUST_200600_302600_NS6detail15normal_iteratorINS9_10device_ptrIiEEEENSB_INSC_IdEEEESG_dNS9_4plusIvEENS9_8equal_toIvEEdEE10hipError_tPvRmT2_T3_T4_T5_mT6_T7_P12ihipStream_tbENKUlT_T0_E_clISt17integral_constantIbLb1EES10_IbLb0EEEEDaSW_SX_EUlSW_E_NS1_11comp_targetILNS1_3genE4ELNS1_11target_archE910ELNS1_3gpuE8ELNS1_3repE0EEENS1_30default_config_static_selectorELNS0_4arch9wavefront6targetE0EEEvT1_,"axG",@progbits,_ZN7rocprim17ROCPRIM_400000_NS6detail17trampoline_kernelINS0_14default_configENS1_27scan_by_key_config_selectorIidEEZZNS1_16scan_by_key_implILNS1_25lookback_scan_determinismE0ELb1ES3_N6thrust23THRUST_200600_302600_NS6detail15normal_iteratorINS9_10device_ptrIiEEEENSB_INSC_IdEEEESG_dNS9_4plusIvEENS9_8equal_toIvEEdEE10hipError_tPvRmT2_T3_T4_T5_mT6_T7_P12ihipStream_tbENKUlT_T0_E_clISt17integral_constantIbLb1EES10_IbLb0EEEEDaSW_SX_EUlSW_E_NS1_11comp_targetILNS1_3genE4ELNS1_11target_archE910ELNS1_3gpuE8ELNS1_3repE0EEENS1_30default_config_static_selectorELNS0_4arch9wavefront6targetE0EEEvT1_,comdat
.Lfunc_end1412:
	.size	_ZN7rocprim17ROCPRIM_400000_NS6detail17trampoline_kernelINS0_14default_configENS1_27scan_by_key_config_selectorIidEEZZNS1_16scan_by_key_implILNS1_25lookback_scan_determinismE0ELb1ES3_N6thrust23THRUST_200600_302600_NS6detail15normal_iteratorINS9_10device_ptrIiEEEENSB_INSC_IdEEEESG_dNS9_4plusIvEENS9_8equal_toIvEEdEE10hipError_tPvRmT2_T3_T4_T5_mT6_T7_P12ihipStream_tbENKUlT_T0_E_clISt17integral_constantIbLb1EES10_IbLb0EEEEDaSW_SX_EUlSW_E_NS1_11comp_targetILNS1_3genE4ELNS1_11target_archE910ELNS1_3gpuE8ELNS1_3repE0EEENS1_30default_config_static_selectorELNS0_4arch9wavefront6targetE0EEEvT1_, .Lfunc_end1412-_ZN7rocprim17ROCPRIM_400000_NS6detail17trampoline_kernelINS0_14default_configENS1_27scan_by_key_config_selectorIidEEZZNS1_16scan_by_key_implILNS1_25lookback_scan_determinismE0ELb1ES3_N6thrust23THRUST_200600_302600_NS6detail15normal_iteratorINS9_10device_ptrIiEEEENSB_INSC_IdEEEESG_dNS9_4plusIvEENS9_8equal_toIvEEdEE10hipError_tPvRmT2_T3_T4_T5_mT6_T7_P12ihipStream_tbENKUlT_T0_E_clISt17integral_constantIbLb1EES10_IbLb0EEEEDaSW_SX_EUlSW_E_NS1_11comp_targetILNS1_3genE4ELNS1_11target_archE910ELNS1_3gpuE8ELNS1_3repE0EEENS1_30default_config_static_selectorELNS0_4arch9wavefront6targetE0EEEvT1_
                                        ; -- End function
	.set _ZN7rocprim17ROCPRIM_400000_NS6detail17trampoline_kernelINS0_14default_configENS1_27scan_by_key_config_selectorIidEEZZNS1_16scan_by_key_implILNS1_25lookback_scan_determinismE0ELb1ES3_N6thrust23THRUST_200600_302600_NS6detail15normal_iteratorINS9_10device_ptrIiEEEENSB_INSC_IdEEEESG_dNS9_4plusIvEENS9_8equal_toIvEEdEE10hipError_tPvRmT2_T3_T4_T5_mT6_T7_P12ihipStream_tbENKUlT_T0_E_clISt17integral_constantIbLb1EES10_IbLb0EEEEDaSW_SX_EUlSW_E_NS1_11comp_targetILNS1_3genE4ELNS1_11target_archE910ELNS1_3gpuE8ELNS1_3repE0EEENS1_30default_config_static_selectorELNS0_4arch9wavefront6targetE0EEEvT1_.num_vgpr, 0
	.set _ZN7rocprim17ROCPRIM_400000_NS6detail17trampoline_kernelINS0_14default_configENS1_27scan_by_key_config_selectorIidEEZZNS1_16scan_by_key_implILNS1_25lookback_scan_determinismE0ELb1ES3_N6thrust23THRUST_200600_302600_NS6detail15normal_iteratorINS9_10device_ptrIiEEEENSB_INSC_IdEEEESG_dNS9_4plusIvEENS9_8equal_toIvEEdEE10hipError_tPvRmT2_T3_T4_T5_mT6_T7_P12ihipStream_tbENKUlT_T0_E_clISt17integral_constantIbLb1EES10_IbLb0EEEEDaSW_SX_EUlSW_E_NS1_11comp_targetILNS1_3genE4ELNS1_11target_archE910ELNS1_3gpuE8ELNS1_3repE0EEENS1_30default_config_static_selectorELNS0_4arch9wavefront6targetE0EEEvT1_.num_agpr, 0
	.set _ZN7rocprim17ROCPRIM_400000_NS6detail17trampoline_kernelINS0_14default_configENS1_27scan_by_key_config_selectorIidEEZZNS1_16scan_by_key_implILNS1_25lookback_scan_determinismE0ELb1ES3_N6thrust23THRUST_200600_302600_NS6detail15normal_iteratorINS9_10device_ptrIiEEEENSB_INSC_IdEEEESG_dNS9_4plusIvEENS9_8equal_toIvEEdEE10hipError_tPvRmT2_T3_T4_T5_mT6_T7_P12ihipStream_tbENKUlT_T0_E_clISt17integral_constantIbLb1EES10_IbLb0EEEEDaSW_SX_EUlSW_E_NS1_11comp_targetILNS1_3genE4ELNS1_11target_archE910ELNS1_3gpuE8ELNS1_3repE0EEENS1_30default_config_static_selectorELNS0_4arch9wavefront6targetE0EEEvT1_.numbered_sgpr, 0
	.set _ZN7rocprim17ROCPRIM_400000_NS6detail17trampoline_kernelINS0_14default_configENS1_27scan_by_key_config_selectorIidEEZZNS1_16scan_by_key_implILNS1_25lookback_scan_determinismE0ELb1ES3_N6thrust23THRUST_200600_302600_NS6detail15normal_iteratorINS9_10device_ptrIiEEEENSB_INSC_IdEEEESG_dNS9_4plusIvEENS9_8equal_toIvEEdEE10hipError_tPvRmT2_T3_T4_T5_mT6_T7_P12ihipStream_tbENKUlT_T0_E_clISt17integral_constantIbLb1EES10_IbLb0EEEEDaSW_SX_EUlSW_E_NS1_11comp_targetILNS1_3genE4ELNS1_11target_archE910ELNS1_3gpuE8ELNS1_3repE0EEENS1_30default_config_static_selectorELNS0_4arch9wavefront6targetE0EEEvT1_.num_named_barrier, 0
	.set _ZN7rocprim17ROCPRIM_400000_NS6detail17trampoline_kernelINS0_14default_configENS1_27scan_by_key_config_selectorIidEEZZNS1_16scan_by_key_implILNS1_25lookback_scan_determinismE0ELb1ES3_N6thrust23THRUST_200600_302600_NS6detail15normal_iteratorINS9_10device_ptrIiEEEENSB_INSC_IdEEEESG_dNS9_4plusIvEENS9_8equal_toIvEEdEE10hipError_tPvRmT2_T3_T4_T5_mT6_T7_P12ihipStream_tbENKUlT_T0_E_clISt17integral_constantIbLb1EES10_IbLb0EEEEDaSW_SX_EUlSW_E_NS1_11comp_targetILNS1_3genE4ELNS1_11target_archE910ELNS1_3gpuE8ELNS1_3repE0EEENS1_30default_config_static_selectorELNS0_4arch9wavefront6targetE0EEEvT1_.private_seg_size, 0
	.set _ZN7rocprim17ROCPRIM_400000_NS6detail17trampoline_kernelINS0_14default_configENS1_27scan_by_key_config_selectorIidEEZZNS1_16scan_by_key_implILNS1_25lookback_scan_determinismE0ELb1ES3_N6thrust23THRUST_200600_302600_NS6detail15normal_iteratorINS9_10device_ptrIiEEEENSB_INSC_IdEEEESG_dNS9_4plusIvEENS9_8equal_toIvEEdEE10hipError_tPvRmT2_T3_T4_T5_mT6_T7_P12ihipStream_tbENKUlT_T0_E_clISt17integral_constantIbLb1EES10_IbLb0EEEEDaSW_SX_EUlSW_E_NS1_11comp_targetILNS1_3genE4ELNS1_11target_archE910ELNS1_3gpuE8ELNS1_3repE0EEENS1_30default_config_static_selectorELNS0_4arch9wavefront6targetE0EEEvT1_.uses_vcc, 0
	.set _ZN7rocprim17ROCPRIM_400000_NS6detail17trampoline_kernelINS0_14default_configENS1_27scan_by_key_config_selectorIidEEZZNS1_16scan_by_key_implILNS1_25lookback_scan_determinismE0ELb1ES3_N6thrust23THRUST_200600_302600_NS6detail15normal_iteratorINS9_10device_ptrIiEEEENSB_INSC_IdEEEESG_dNS9_4plusIvEENS9_8equal_toIvEEdEE10hipError_tPvRmT2_T3_T4_T5_mT6_T7_P12ihipStream_tbENKUlT_T0_E_clISt17integral_constantIbLb1EES10_IbLb0EEEEDaSW_SX_EUlSW_E_NS1_11comp_targetILNS1_3genE4ELNS1_11target_archE910ELNS1_3gpuE8ELNS1_3repE0EEENS1_30default_config_static_selectorELNS0_4arch9wavefront6targetE0EEEvT1_.uses_flat_scratch, 0
	.set _ZN7rocprim17ROCPRIM_400000_NS6detail17trampoline_kernelINS0_14default_configENS1_27scan_by_key_config_selectorIidEEZZNS1_16scan_by_key_implILNS1_25lookback_scan_determinismE0ELb1ES3_N6thrust23THRUST_200600_302600_NS6detail15normal_iteratorINS9_10device_ptrIiEEEENSB_INSC_IdEEEESG_dNS9_4plusIvEENS9_8equal_toIvEEdEE10hipError_tPvRmT2_T3_T4_T5_mT6_T7_P12ihipStream_tbENKUlT_T0_E_clISt17integral_constantIbLb1EES10_IbLb0EEEEDaSW_SX_EUlSW_E_NS1_11comp_targetILNS1_3genE4ELNS1_11target_archE910ELNS1_3gpuE8ELNS1_3repE0EEENS1_30default_config_static_selectorELNS0_4arch9wavefront6targetE0EEEvT1_.has_dyn_sized_stack, 0
	.set _ZN7rocprim17ROCPRIM_400000_NS6detail17trampoline_kernelINS0_14default_configENS1_27scan_by_key_config_selectorIidEEZZNS1_16scan_by_key_implILNS1_25lookback_scan_determinismE0ELb1ES3_N6thrust23THRUST_200600_302600_NS6detail15normal_iteratorINS9_10device_ptrIiEEEENSB_INSC_IdEEEESG_dNS9_4plusIvEENS9_8equal_toIvEEdEE10hipError_tPvRmT2_T3_T4_T5_mT6_T7_P12ihipStream_tbENKUlT_T0_E_clISt17integral_constantIbLb1EES10_IbLb0EEEEDaSW_SX_EUlSW_E_NS1_11comp_targetILNS1_3genE4ELNS1_11target_archE910ELNS1_3gpuE8ELNS1_3repE0EEENS1_30default_config_static_selectorELNS0_4arch9wavefront6targetE0EEEvT1_.has_recursion, 0
	.set _ZN7rocprim17ROCPRIM_400000_NS6detail17trampoline_kernelINS0_14default_configENS1_27scan_by_key_config_selectorIidEEZZNS1_16scan_by_key_implILNS1_25lookback_scan_determinismE0ELb1ES3_N6thrust23THRUST_200600_302600_NS6detail15normal_iteratorINS9_10device_ptrIiEEEENSB_INSC_IdEEEESG_dNS9_4plusIvEENS9_8equal_toIvEEdEE10hipError_tPvRmT2_T3_T4_T5_mT6_T7_P12ihipStream_tbENKUlT_T0_E_clISt17integral_constantIbLb1EES10_IbLb0EEEEDaSW_SX_EUlSW_E_NS1_11comp_targetILNS1_3genE4ELNS1_11target_archE910ELNS1_3gpuE8ELNS1_3repE0EEENS1_30default_config_static_selectorELNS0_4arch9wavefront6targetE0EEEvT1_.has_indirect_call, 0
	.section	.AMDGPU.csdata,"",@progbits
; Kernel info:
; codeLenInByte = 0
; TotalNumSgprs: 0
; NumVgprs: 0
; ScratchSize: 0
; MemoryBound: 0
; FloatMode: 240
; IeeeMode: 1
; LDSByteSize: 0 bytes/workgroup (compile time only)
; SGPRBlocks: 0
; VGPRBlocks: 0
; NumSGPRsForWavesPerEU: 1
; NumVGPRsForWavesPerEU: 1
; Occupancy: 16
; WaveLimiterHint : 0
; COMPUTE_PGM_RSRC2:SCRATCH_EN: 0
; COMPUTE_PGM_RSRC2:USER_SGPR: 6
; COMPUTE_PGM_RSRC2:TRAP_HANDLER: 0
; COMPUTE_PGM_RSRC2:TGID_X_EN: 1
; COMPUTE_PGM_RSRC2:TGID_Y_EN: 0
; COMPUTE_PGM_RSRC2:TGID_Z_EN: 0
; COMPUTE_PGM_RSRC2:TIDIG_COMP_CNT: 0
	.section	.text._ZN7rocprim17ROCPRIM_400000_NS6detail17trampoline_kernelINS0_14default_configENS1_27scan_by_key_config_selectorIidEEZZNS1_16scan_by_key_implILNS1_25lookback_scan_determinismE0ELb1ES3_N6thrust23THRUST_200600_302600_NS6detail15normal_iteratorINS9_10device_ptrIiEEEENSB_INSC_IdEEEESG_dNS9_4plusIvEENS9_8equal_toIvEEdEE10hipError_tPvRmT2_T3_T4_T5_mT6_T7_P12ihipStream_tbENKUlT_T0_E_clISt17integral_constantIbLb1EES10_IbLb0EEEEDaSW_SX_EUlSW_E_NS1_11comp_targetILNS1_3genE3ELNS1_11target_archE908ELNS1_3gpuE7ELNS1_3repE0EEENS1_30default_config_static_selectorELNS0_4arch9wavefront6targetE0EEEvT1_,"axG",@progbits,_ZN7rocprim17ROCPRIM_400000_NS6detail17trampoline_kernelINS0_14default_configENS1_27scan_by_key_config_selectorIidEEZZNS1_16scan_by_key_implILNS1_25lookback_scan_determinismE0ELb1ES3_N6thrust23THRUST_200600_302600_NS6detail15normal_iteratorINS9_10device_ptrIiEEEENSB_INSC_IdEEEESG_dNS9_4plusIvEENS9_8equal_toIvEEdEE10hipError_tPvRmT2_T3_T4_T5_mT6_T7_P12ihipStream_tbENKUlT_T0_E_clISt17integral_constantIbLb1EES10_IbLb0EEEEDaSW_SX_EUlSW_E_NS1_11comp_targetILNS1_3genE3ELNS1_11target_archE908ELNS1_3gpuE7ELNS1_3repE0EEENS1_30default_config_static_selectorELNS0_4arch9wavefront6targetE0EEEvT1_,comdat
	.protected	_ZN7rocprim17ROCPRIM_400000_NS6detail17trampoline_kernelINS0_14default_configENS1_27scan_by_key_config_selectorIidEEZZNS1_16scan_by_key_implILNS1_25lookback_scan_determinismE0ELb1ES3_N6thrust23THRUST_200600_302600_NS6detail15normal_iteratorINS9_10device_ptrIiEEEENSB_INSC_IdEEEESG_dNS9_4plusIvEENS9_8equal_toIvEEdEE10hipError_tPvRmT2_T3_T4_T5_mT6_T7_P12ihipStream_tbENKUlT_T0_E_clISt17integral_constantIbLb1EES10_IbLb0EEEEDaSW_SX_EUlSW_E_NS1_11comp_targetILNS1_3genE3ELNS1_11target_archE908ELNS1_3gpuE7ELNS1_3repE0EEENS1_30default_config_static_selectorELNS0_4arch9wavefront6targetE0EEEvT1_ ; -- Begin function _ZN7rocprim17ROCPRIM_400000_NS6detail17trampoline_kernelINS0_14default_configENS1_27scan_by_key_config_selectorIidEEZZNS1_16scan_by_key_implILNS1_25lookback_scan_determinismE0ELb1ES3_N6thrust23THRUST_200600_302600_NS6detail15normal_iteratorINS9_10device_ptrIiEEEENSB_INSC_IdEEEESG_dNS9_4plusIvEENS9_8equal_toIvEEdEE10hipError_tPvRmT2_T3_T4_T5_mT6_T7_P12ihipStream_tbENKUlT_T0_E_clISt17integral_constantIbLb1EES10_IbLb0EEEEDaSW_SX_EUlSW_E_NS1_11comp_targetILNS1_3genE3ELNS1_11target_archE908ELNS1_3gpuE7ELNS1_3repE0EEENS1_30default_config_static_selectorELNS0_4arch9wavefront6targetE0EEEvT1_
	.globl	_ZN7rocprim17ROCPRIM_400000_NS6detail17trampoline_kernelINS0_14default_configENS1_27scan_by_key_config_selectorIidEEZZNS1_16scan_by_key_implILNS1_25lookback_scan_determinismE0ELb1ES3_N6thrust23THRUST_200600_302600_NS6detail15normal_iteratorINS9_10device_ptrIiEEEENSB_INSC_IdEEEESG_dNS9_4plusIvEENS9_8equal_toIvEEdEE10hipError_tPvRmT2_T3_T4_T5_mT6_T7_P12ihipStream_tbENKUlT_T0_E_clISt17integral_constantIbLb1EES10_IbLb0EEEEDaSW_SX_EUlSW_E_NS1_11comp_targetILNS1_3genE3ELNS1_11target_archE908ELNS1_3gpuE7ELNS1_3repE0EEENS1_30default_config_static_selectorELNS0_4arch9wavefront6targetE0EEEvT1_
	.p2align	8
	.type	_ZN7rocprim17ROCPRIM_400000_NS6detail17trampoline_kernelINS0_14default_configENS1_27scan_by_key_config_selectorIidEEZZNS1_16scan_by_key_implILNS1_25lookback_scan_determinismE0ELb1ES3_N6thrust23THRUST_200600_302600_NS6detail15normal_iteratorINS9_10device_ptrIiEEEENSB_INSC_IdEEEESG_dNS9_4plusIvEENS9_8equal_toIvEEdEE10hipError_tPvRmT2_T3_T4_T5_mT6_T7_P12ihipStream_tbENKUlT_T0_E_clISt17integral_constantIbLb1EES10_IbLb0EEEEDaSW_SX_EUlSW_E_NS1_11comp_targetILNS1_3genE3ELNS1_11target_archE908ELNS1_3gpuE7ELNS1_3repE0EEENS1_30default_config_static_selectorELNS0_4arch9wavefront6targetE0EEEvT1_,@function
_ZN7rocprim17ROCPRIM_400000_NS6detail17trampoline_kernelINS0_14default_configENS1_27scan_by_key_config_selectorIidEEZZNS1_16scan_by_key_implILNS1_25lookback_scan_determinismE0ELb1ES3_N6thrust23THRUST_200600_302600_NS6detail15normal_iteratorINS9_10device_ptrIiEEEENSB_INSC_IdEEEESG_dNS9_4plusIvEENS9_8equal_toIvEEdEE10hipError_tPvRmT2_T3_T4_T5_mT6_T7_P12ihipStream_tbENKUlT_T0_E_clISt17integral_constantIbLb1EES10_IbLb0EEEEDaSW_SX_EUlSW_E_NS1_11comp_targetILNS1_3genE3ELNS1_11target_archE908ELNS1_3gpuE7ELNS1_3repE0EEENS1_30default_config_static_selectorELNS0_4arch9wavefront6targetE0EEEvT1_: ; @_ZN7rocprim17ROCPRIM_400000_NS6detail17trampoline_kernelINS0_14default_configENS1_27scan_by_key_config_selectorIidEEZZNS1_16scan_by_key_implILNS1_25lookback_scan_determinismE0ELb1ES3_N6thrust23THRUST_200600_302600_NS6detail15normal_iteratorINS9_10device_ptrIiEEEENSB_INSC_IdEEEESG_dNS9_4plusIvEENS9_8equal_toIvEEdEE10hipError_tPvRmT2_T3_T4_T5_mT6_T7_P12ihipStream_tbENKUlT_T0_E_clISt17integral_constantIbLb1EES10_IbLb0EEEEDaSW_SX_EUlSW_E_NS1_11comp_targetILNS1_3genE3ELNS1_11target_archE908ELNS1_3gpuE7ELNS1_3repE0EEENS1_30default_config_static_selectorELNS0_4arch9wavefront6targetE0EEEvT1_
; %bb.0:
	.section	.rodata,"a",@progbits
	.p2align	6, 0x0
	.amdhsa_kernel _ZN7rocprim17ROCPRIM_400000_NS6detail17trampoline_kernelINS0_14default_configENS1_27scan_by_key_config_selectorIidEEZZNS1_16scan_by_key_implILNS1_25lookback_scan_determinismE0ELb1ES3_N6thrust23THRUST_200600_302600_NS6detail15normal_iteratorINS9_10device_ptrIiEEEENSB_INSC_IdEEEESG_dNS9_4plusIvEENS9_8equal_toIvEEdEE10hipError_tPvRmT2_T3_T4_T5_mT6_T7_P12ihipStream_tbENKUlT_T0_E_clISt17integral_constantIbLb1EES10_IbLb0EEEEDaSW_SX_EUlSW_E_NS1_11comp_targetILNS1_3genE3ELNS1_11target_archE908ELNS1_3gpuE7ELNS1_3repE0EEENS1_30default_config_static_selectorELNS0_4arch9wavefront6targetE0EEEvT1_
		.amdhsa_group_segment_fixed_size 0
		.amdhsa_private_segment_fixed_size 0
		.amdhsa_kernarg_size 136
		.amdhsa_user_sgpr_count 6
		.amdhsa_user_sgpr_private_segment_buffer 1
		.amdhsa_user_sgpr_dispatch_ptr 0
		.amdhsa_user_sgpr_queue_ptr 0
		.amdhsa_user_sgpr_kernarg_segment_ptr 1
		.amdhsa_user_sgpr_dispatch_id 0
		.amdhsa_user_sgpr_flat_scratch_init 0
		.amdhsa_user_sgpr_private_segment_size 0
		.amdhsa_wavefront_size32 1
		.amdhsa_uses_dynamic_stack 0
		.amdhsa_system_sgpr_private_segment_wavefront_offset 0
		.amdhsa_system_sgpr_workgroup_id_x 1
		.amdhsa_system_sgpr_workgroup_id_y 0
		.amdhsa_system_sgpr_workgroup_id_z 0
		.amdhsa_system_sgpr_workgroup_info 0
		.amdhsa_system_vgpr_workitem_id 0
		.amdhsa_next_free_vgpr 1
		.amdhsa_next_free_sgpr 1
		.amdhsa_reserve_vcc 0
		.amdhsa_reserve_flat_scratch 0
		.amdhsa_float_round_mode_32 0
		.amdhsa_float_round_mode_16_64 0
		.amdhsa_float_denorm_mode_32 3
		.amdhsa_float_denorm_mode_16_64 3
		.amdhsa_dx10_clamp 1
		.amdhsa_ieee_mode 1
		.amdhsa_fp16_overflow 0
		.amdhsa_workgroup_processor_mode 1
		.amdhsa_memory_ordered 1
		.amdhsa_forward_progress 1
		.amdhsa_shared_vgpr_count 0
		.amdhsa_exception_fp_ieee_invalid_op 0
		.amdhsa_exception_fp_denorm_src 0
		.amdhsa_exception_fp_ieee_div_zero 0
		.amdhsa_exception_fp_ieee_overflow 0
		.amdhsa_exception_fp_ieee_underflow 0
		.amdhsa_exception_fp_ieee_inexact 0
		.amdhsa_exception_int_div_zero 0
	.end_amdhsa_kernel
	.section	.text._ZN7rocprim17ROCPRIM_400000_NS6detail17trampoline_kernelINS0_14default_configENS1_27scan_by_key_config_selectorIidEEZZNS1_16scan_by_key_implILNS1_25lookback_scan_determinismE0ELb1ES3_N6thrust23THRUST_200600_302600_NS6detail15normal_iteratorINS9_10device_ptrIiEEEENSB_INSC_IdEEEESG_dNS9_4plusIvEENS9_8equal_toIvEEdEE10hipError_tPvRmT2_T3_T4_T5_mT6_T7_P12ihipStream_tbENKUlT_T0_E_clISt17integral_constantIbLb1EES10_IbLb0EEEEDaSW_SX_EUlSW_E_NS1_11comp_targetILNS1_3genE3ELNS1_11target_archE908ELNS1_3gpuE7ELNS1_3repE0EEENS1_30default_config_static_selectorELNS0_4arch9wavefront6targetE0EEEvT1_,"axG",@progbits,_ZN7rocprim17ROCPRIM_400000_NS6detail17trampoline_kernelINS0_14default_configENS1_27scan_by_key_config_selectorIidEEZZNS1_16scan_by_key_implILNS1_25lookback_scan_determinismE0ELb1ES3_N6thrust23THRUST_200600_302600_NS6detail15normal_iteratorINS9_10device_ptrIiEEEENSB_INSC_IdEEEESG_dNS9_4plusIvEENS9_8equal_toIvEEdEE10hipError_tPvRmT2_T3_T4_T5_mT6_T7_P12ihipStream_tbENKUlT_T0_E_clISt17integral_constantIbLb1EES10_IbLb0EEEEDaSW_SX_EUlSW_E_NS1_11comp_targetILNS1_3genE3ELNS1_11target_archE908ELNS1_3gpuE7ELNS1_3repE0EEENS1_30default_config_static_selectorELNS0_4arch9wavefront6targetE0EEEvT1_,comdat
.Lfunc_end1413:
	.size	_ZN7rocprim17ROCPRIM_400000_NS6detail17trampoline_kernelINS0_14default_configENS1_27scan_by_key_config_selectorIidEEZZNS1_16scan_by_key_implILNS1_25lookback_scan_determinismE0ELb1ES3_N6thrust23THRUST_200600_302600_NS6detail15normal_iteratorINS9_10device_ptrIiEEEENSB_INSC_IdEEEESG_dNS9_4plusIvEENS9_8equal_toIvEEdEE10hipError_tPvRmT2_T3_T4_T5_mT6_T7_P12ihipStream_tbENKUlT_T0_E_clISt17integral_constantIbLb1EES10_IbLb0EEEEDaSW_SX_EUlSW_E_NS1_11comp_targetILNS1_3genE3ELNS1_11target_archE908ELNS1_3gpuE7ELNS1_3repE0EEENS1_30default_config_static_selectorELNS0_4arch9wavefront6targetE0EEEvT1_, .Lfunc_end1413-_ZN7rocprim17ROCPRIM_400000_NS6detail17trampoline_kernelINS0_14default_configENS1_27scan_by_key_config_selectorIidEEZZNS1_16scan_by_key_implILNS1_25lookback_scan_determinismE0ELb1ES3_N6thrust23THRUST_200600_302600_NS6detail15normal_iteratorINS9_10device_ptrIiEEEENSB_INSC_IdEEEESG_dNS9_4plusIvEENS9_8equal_toIvEEdEE10hipError_tPvRmT2_T3_T4_T5_mT6_T7_P12ihipStream_tbENKUlT_T0_E_clISt17integral_constantIbLb1EES10_IbLb0EEEEDaSW_SX_EUlSW_E_NS1_11comp_targetILNS1_3genE3ELNS1_11target_archE908ELNS1_3gpuE7ELNS1_3repE0EEENS1_30default_config_static_selectorELNS0_4arch9wavefront6targetE0EEEvT1_
                                        ; -- End function
	.set _ZN7rocprim17ROCPRIM_400000_NS6detail17trampoline_kernelINS0_14default_configENS1_27scan_by_key_config_selectorIidEEZZNS1_16scan_by_key_implILNS1_25lookback_scan_determinismE0ELb1ES3_N6thrust23THRUST_200600_302600_NS6detail15normal_iteratorINS9_10device_ptrIiEEEENSB_INSC_IdEEEESG_dNS9_4plusIvEENS9_8equal_toIvEEdEE10hipError_tPvRmT2_T3_T4_T5_mT6_T7_P12ihipStream_tbENKUlT_T0_E_clISt17integral_constantIbLb1EES10_IbLb0EEEEDaSW_SX_EUlSW_E_NS1_11comp_targetILNS1_3genE3ELNS1_11target_archE908ELNS1_3gpuE7ELNS1_3repE0EEENS1_30default_config_static_selectorELNS0_4arch9wavefront6targetE0EEEvT1_.num_vgpr, 0
	.set _ZN7rocprim17ROCPRIM_400000_NS6detail17trampoline_kernelINS0_14default_configENS1_27scan_by_key_config_selectorIidEEZZNS1_16scan_by_key_implILNS1_25lookback_scan_determinismE0ELb1ES3_N6thrust23THRUST_200600_302600_NS6detail15normal_iteratorINS9_10device_ptrIiEEEENSB_INSC_IdEEEESG_dNS9_4plusIvEENS9_8equal_toIvEEdEE10hipError_tPvRmT2_T3_T4_T5_mT6_T7_P12ihipStream_tbENKUlT_T0_E_clISt17integral_constantIbLb1EES10_IbLb0EEEEDaSW_SX_EUlSW_E_NS1_11comp_targetILNS1_3genE3ELNS1_11target_archE908ELNS1_3gpuE7ELNS1_3repE0EEENS1_30default_config_static_selectorELNS0_4arch9wavefront6targetE0EEEvT1_.num_agpr, 0
	.set _ZN7rocprim17ROCPRIM_400000_NS6detail17trampoline_kernelINS0_14default_configENS1_27scan_by_key_config_selectorIidEEZZNS1_16scan_by_key_implILNS1_25lookback_scan_determinismE0ELb1ES3_N6thrust23THRUST_200600_302600_NS6detail15normal_iteratorINS9_10device_ptrIiEEEENSB_INSC_IdEEEESG_dNS9_4plusIvEENS9_8equal_toIvEEdEE10hipError_tPvRmT2_T3_T4_T5_mT6_T7_P12ihipStream_tbENKUlT_T0_E_clISt17integral_constantIbLb1EES10_IbLb0EEEEDaSW_SX_EUlSW_E_NS1_11comp_targetILNS1_3genE3ELNS1_11target_archE908ELNS1_3gpuE7ELNS1_3repE0EEENS1_30default_config_static_selectorELNS0_4arch9wavefront6targetE0EEEvT1_.numbered_sgpr, 0
	.set _ZN7rocprim17ROCPRIM_400000_NS6detail17trampoline_kernelINS0_14default_configENS1_27scan_by_key_config_selectorIidEEZZNS1_16scan_by_key_implILNS1_25lookback_scan_determinismE0ELb1ES3_N6thrust23THRUST_200600_302600_NS6detail15normal_iteratorINS9_10device_ptrIiEEEENSB_INSC_IdEEEESG_dNS9_4plusIvEENS9_8equal_toIvEEdEE10hipError_tPvRmT2_T3_T4_T5_mT6_T7_P12ihipStream_tbENKUlT_T0_E_clISt17integral_constantIbLb1EES10_IbLb0EEEEDaSW_SX_EUlSW_E_NS1_11comp_targetILNS1_3genE3ELNS1_11target_archE908ELNS1_3gpuE7ELNS1_3repE0EEENS1_30default_config_static_selectorELNS0_4arch9wavefront6targetE0EEEvT1_.num_named_barrier, 0
	.set _ZN7rocprim17ROCPRIM_400000_NS6detail17trampoline_kernelINS0_14default_configENS1_27scan_by_key_config_selectorIidEEZZNS1_16scan_by_key_implILNS1_25lookback_scan_determinismE0ELb1ES3_N6thrust23THRUST_200600_302600_NS6detail15normal_iteratorINS9_10device_ptrIiEEEENSB_INSC_IdEEEESG_dNS9_4plusIvEENS9_8equal_toIvEEdEE10hipError_tPvRmT2_T3_T4_T5_mT6_T7_P12ihipStream_tbENKUlT_T0_E_clISt17integral_constantIbLb1EES10_IbLb0EEEEDaSW_SX_EUlSW_E_NS1_11comp_targetILNS1_3genE3ELNS1_11target_archE908ELNS1_3gpuE7ELNS1_3repE0EEENS1_30default_config_static_selectorELNS0_4arch9wavefront6targetE0EEEvT1_.private_seg_size, 0
	.set _ZN7rocprim17ROCPRIM_400000_NS6detail17trampoline_kernelINS0_14default_configENS1_27scan_by_key_config_selectorIidEEZZNS1_16scan_by_key_implILNS1_25lookback_scan_determinismE0ELb1ES3_N6thrust23THRUST_200600_302600_NS6detail15normal_iteratorINS9_10device_ptrIiEEEENSB_INSC_IdEEEESG_dNS9_4plusIvEENS9_8equal_toIvEEdEE10hipError_tPvRmT2_T3_T4_T5_mT6_T7_P12ihipStream_tbENKUlT_T0_E_clISt17integral_constantIbLb1EES10_IbLb0EEEEDaSW_SX_EUlSW_E_NS1_11comp_targetILNS1_3genE3ELNS1_11target_archE908ELNS1_3gpuE7ELNS1_3repE0EEENS1_30default_config_static_selectorELNS0_4arch9wavefront6targetE0EEEvT1_.uses_vcc, 0
	.set _ZN7rocprim17ROCPRIM_400000_NS6detail17trampoline_kernelINS0_14default_configENS1_27scan_by_key_config_selectorIidEEZZNS1_16scan_by_key_implILNS1_25lookback_scan_determinismE0ELb1ES3_N6thrust23THRUST_200600_302600_NS6detail15normal_iteratorINS9_10device_ptrIiEEEENSB_INSC_IdEEEESG_dNS9_4plusIvEENS9_8equal_toIvEEdEE10hipError_tPvRmT2_T3_T4_T5_mT6_T7_P12ihipStream_tbENKUlT_T0_E_clISt17integral_constantIbLb1EES10_IbLb0EEEEDaSW_SX_EUlSW_E_NS1_11comp_targetILNS1_3genE3ELNS1_11target_archE908ELNS1_3gpuE7ELNS1_3repE0EEENS1_30default_config_static_selectorELNS0_4arch9wavefront6targetE0EEEvT1_.uses_flat_scratch, 0
	.set _ZN7rocprim17ROCPRIM_400000_NS6detail17trampoline_kernelINS0_14default_configENS1_27scan_by_key_config_selectorIidEEZZNS1_16scan_by_key_implILNS1_25lookback_scan_determinismE0ELb1ES3_N6thrust23THRUST_200600_302600_NS6detail15normal_iteratorINS9_10device_ptrIiEEEENSB_INSC_IdEEEESG_dNS9_4plusIvEENS9_8equal_toIvEEdEE10hipError_tPvRmT2_T3_T4_T5_mT6_T7_P12ihipStream_tbENKUlT_T0_E_clISt17integral_constantIbLb1EES10_IbLb0EEEEDaSW_SX_EUlSW_E_NS1_11comp_targetILNS1_3genE3ELNS1_11target_archE908ELNS1_3gpuE7ELNS1_3repE0EEENS1_30default_config_static_selectorELNS0_4arch9wavefront6targetE0EEEvT1_.has_dyn_sized_stack, 0
	.set _ZN7rocprim17ROCPRIM_400000_NS6detail17trampoline_kernelINS0_14default_configENS1_27scan_by_key_config_selectorIidEEZZNS1_16scan_by_key_implILNS1_25lookback_scan_determinismE0ELb1ES3_N6thrust23THRUST_200600_302600_NS6detail15normal_iteratorINS9_10device_ptrIiEEEENSB_INSC_IdEEEESG_dNS9_4plusIvEENS9_8equal_toIvEEdEE10hipError_tPvRmT2_T3_T4_T5_mT6_T7_P12ihipStream_tbENKUlT_T0_E_clISt17integral_constantIbLb1EES10_IbLb0EEEEDaSW_SX_EUlSW_E_NS1_11comp_targetILNS1_3genE3ELNS1_11target_archE908ELNS1_3gpuE7ELNS1_3repE0EEENS1_30default_config_static_selectorELNS0_4arch9wavefront6targetE0EEEvT1_.has_recursion, 0
	.set _ZN7rocprim17ROCPRIM_400000_NS6detail17trampoline_kernelINS0_14default_configENS1_27scan_by_key_config_selectorIidEEZZNS1_16scan_by_key_implILNS1_25lookback_scan_determinismE0ELb1ES3_N6thrust23THRUST_200600_302600_NS6detail15normal_iteratorINS9_10device_ptrIiEEEENSB_INSC_IdEEEESG_dNS9_4plusIvEENS9_8equal_toIvEEdEE10hipError_tPvRmT2_T3_T4_T5_mT6_T7_P12ihipStream_tbENKUlT_T0_E_clISt17integral_constantIbLb1EES10_IbLb0EEEEDaSW_SX_EUlSW_E_NS1_11comp_targetILNS1_3genE3ELNS1_11target_archE908ELNS1_3gpuE7ELNS1_3repE0EEENS1_30default_config_static_selectorELNS0_4arch9wavefront6targetE0EEEvT1_.has_indirect_call, 0
	.section	.AMDGPU.csdata,"",@progbits
; Kernel info:
; codeLenInByte = 0
; TotalNumSgprs: 0
; NumVgprs: 0
; ScratchSize: 0
; MemoryBound: 0
; FloatMode: 240
; IeeeMode: 1
; LDSByteSize: 0 bytes/workgroup (compile time only)
; SGPRBlocks: 0
; VGPRBlocks: 0
; NumSGPRsForWavesPerEU: 1
; NumVGPRsForWavesPerEU: 1
; Occupancy: 16
; WaveLimiterHint : 0
; COMPUTE_PGM_RSRC2:SCRATCH_EN: 0
; COMPUTE_PGM_RSRC2:USER_SGPR: 6
; COMPUTE_PGM_RSRC2:TRAP_HANDLER: 0
; COMPUTE_PGM_RSRC2:TGID_X_EN: 1
; COMPUTE_PGM_RSRC2:TGID_Y_EN: 0
; COMPUTE_PGM_RSRC2:TGID_Z_EN: 0
; COMPUTE_PGM_RSRC2:TIDIG_COMP_CNT: 0
	.section	.text._ZN7rocprim17ROCPRIM_400000_NS6detail17trampoline_kernelINS0_14default_configENS1_27scan_by_key_config_selectorIidEEZZNS1_16scan_by_key_implILNS1_25lookback_scan_determinismE0ELb1ES3_N6thrust23THRUST_200600_302600_NS6detail15normal_iteratorINS9_10device_ptrIiEEEENSB_INSC_IdEEEESG_dNS9_4plusIvEENS9_8equal_toIvEEdEE10hipError_tPvRmT2_T3_T4_T5_mT6_T7_P12ihipStream_tbENKUlT_T0_E_clISt17integral_constantIbLb1EES10_IbLb0EEEEDaSW_SX_EUlSW_E_NS1_11comp_targetILNS1_3genE2ELNS1_11target_archE906ELNS1_3gpuE6ELNS1_3repE0EEENS1_30default_config_static_selectorELNS0_4arch9wavefront6targetE0EEEvT1_,"axG",@progbits,_ZN7rocprim17ROCPRIM_400000_NS6detail17trampoline_kernelINS0_14default_configENS1_27scan_by_key_config_selectorIidEEZZNS1_16scan_by_key_implILNS1_25lookback_scan_determinismE0ELb1ES3_N6thrust23THRUST_200600_302600_NS6detail15normal_iteratorINS9_10device_ptrIiEEEENSB_INSC_IdEEEESG_dNS9_4plusIvEENS9_8equal_toIvEEdEE10hipError_tPvRmT2_T3_T4_T5_mT6_T7_P12ihipStream_tbENKUlT_T0_E_clISt17integral_constantIbLb1EES10_IbLb0EEEEDaSW_SX_EUlSW_E_NS1_11comp_targetILNS1_3genE2ELNS1_11target_archE906ELNS1_3gpuE6ELNS1_3repE0EEENS1_30default_config_static_selectorELNS0_4arch9wavefront6targetE0EEEvT1_,comdat
	.protected	_ZN7rocprim17ROCPRIM_400000_NS6detail17trampoline_kernelINS0_14default_configENS1_27scan_by_key_config_selectorIidEEZZNS1_16scan_by_key_implILNS1_25lookback_scan_determinismE0ELb1ES3_N6thrust23THRUST_200600_302600_NS6detail15normal_iteratorINS9_10device_ptrIiEEEENSB_INSC_IdEEEESG_dNS9_4plusIvEENS9_8equal_toIvEEdEE10hipError_tPvRmT2_T3_T4_T5_mT6_T7_P12ihipStream_tbENKUlT_T0_E_clISt17integral_constantIbLb1EES10_IbLb0EEEEDaSW_SX_EUlSW_E_NS1_11comp_targetILNS1_3genE2ELNS1_11target_archE906ELNS1_3gpuE6ELNS1_3repE0EEENS1_30default_config_static_selectorELNS0_4arch9wavefront6targetE0EEEvT1_ ; -- Begin function _ZN7rocprim17ROCPRIM_400000_NS6detail17trampoline_kernelINS0_14default_configENS1_27scan_by_key_config_selectorIidEEZZNS1_16scan_by_key_implILNS1_25lookback_scan_determinismE0ELb1ES3_N6thrust23THRUST_200600_302600_NS6detail15normal_iteratorINS9_10device_ptrIiEEEENSB_INSC_IdEEEESG_dNS9_4plusIvEENS9_8equal_toIvEEdEE10hipError_tPvRmT2_T3_T4_T5_mT6_T7_P12ihipStream_tbENKUlT_T0_E_clISt17integral_constantIbLb1EES10_IbLb0EEEEDaSW_SX_EUlSW_E_NS1_11comp_targetILNS1_3genE2ELNS1_11target_archE906ELNS1_3gpuE6ELNS1_3repE0EEENS1_30default_config_static_selectorELNS0_4arch9wavefront6targetE0EEEvT1_
	.globl	_ZN7rocprim17ROCPRIM_400000_NS6detail17trampoline_kernelINS0_14default_configENS1_27scan_by_key_config_selectorIidEEZZNS1_16scan_by_key_implILNS1_25lookback_scan_determinismE0ELb1ES3_N6thrust23THRUST_200600_302600_NS6detail15normal_iteratorINS9_10device_ptrIiEEEENSB_INSC_IdEEEESG_dNS9_4plusIvEENS9_8equal_toIvEEdEE10hipError_tPvRmT2_T3_T4_T5_mT6_T7_P12ihipStream_tbENKUlT_T0_E_clISt17integral_constantIbLb1EES10_IbLb0EEEEDaSW_SX_EUlSW_E_NS1_11comp_targetILNS1_3genE2ELNS1_11target_archE906ELNS1_3gpuE6ELNS1_3repE0EEENS1_30default_config_static_selectorELNS0_4arch9wavefront6targetE0EEEvT1_
	.p2align	8
	.type	_ZN7rocprim17ROCPRIM_400000_NS6detail17trampoline_kernelINS0_14default_configENS1_27scan_by_key_config_selectorIidEEZZNS1_16scan_by_key_implILNS1_25lookback_scan_determinismE0ELb1ES3_N6thrust23THRUST_200600_302600_NS6detail15normal_iteratorINS9_10device_ptrIiEEEENSB_INSC_IdEEEESG_dNS9_4plusIvEENS9_8equal_toIvEEdEE10hipError_tPvRmT2_T3_T4_T5_mT6_T7_P12ihipStream_tbENKUlT_T0_E_clISt17integral_constantIbLb1EES10_IbLb0EEEEDaSW_SX_EUlSW_E_NS1_11comp_targetILNS1_3genE2ELNS1_11target_archE906ELNS1_3gpuE6ELNS1_3repE0EEENS1_30default_config_static_selectorELNS0_4arch9wavefront6targetE0EEEvT1_,@function
_ZN7rocprim17ROCPRIM_400000_NS6detail17trampoline_kernelINS0_14default_configENS1_27scan_by_key_config_selectorIidEEZZNS1_16scan_by_key_implILNS1_25lookback_scan_determinismE0ELb1ES3_N6thrust23THRUST_200600_302600_NS6detail15normal_iteratorINS9_10device_ptrIiEEEENSB_INSC_IdEEEESG_dNS9_4plusIvEENS9_8equal_toIvEEdEE10hipError_tPvRmT2_T3_T4_T5_mT6_T7_P12ihipStream_tbENKUlT_T0_E_clISt17integral_constantIbLb1EES10_IbLb0EEEEDaSW_SX_EUlSW_E_NS1_11comp_targetILNS1_3genE2ELNS1_11target_archE906ELNS1_3gpuE6ELNS1_3repE0EEENS1_30default_config_static_selectorELNS0_4arch9wavefront6targetE0EEEvT1_: ; @_ZN7rocprim17ROCPRIM_400000_NS6detail17trampoline_kernelINS0_14default_configENS1_27scan_by_key_config_selectorIidEEZZNS1_16scan_by_key_implILNS1_25lookback_scan_determinismE0ELb1ES3_N6thrust23THRUST_200600_302600_NS6detail15normal_iteratorINS9_10device_ptrIiEEEENSB_INSC_IdEEEESG_dNS9_4plusIvEENS9_8equal_toIvEEdEE10hipError_tPvRmT2_T3_T4_T5_mT6_T7_P12ihipStream_tbENKUlT_T0_E_clISt17integral_constantIbLb1EES10_IbLb0EEEEDaSW_SX_EUlSW_E_NS1_11comp_targetILNS1_3genE2ELNS1_11target_archE906ELNS1_3gpuE6ELNS1_3repE0EEENS1_30default_config_static_selectorELNS0_4arch9wavefront6targetE0EEEvT1_
; %bb.0:
	.section	.rodata,"a",@progbits
	.p2align	6, 0x0
	.amdhsa_kernel _ZN7rocprim17ROCPRIM_400000_NS6detail17trampoline_kernelINS0_14default_configENS1_27scan_by_key_config_selectorIidEEZZNS1_16scan_by_key_implILNS1_25lookback_scan_determinismE0ELb1ES3_N6thrust23THRUST_200600_302600_NS6detail15normal_iteratorINS9_10device_ptrIiEEEENSB_INSC_IdEEEESG_dNS9_4plusIvEENS9_8equal_toIvEEdEE10hipError_tPvRmT2_T3_T4_T5_mT6_T7_P12ihipStream_tbENKUlT_T0_E_clISt17integral_constantIbLb1EES10_IbLb0EEEEDaSW_SX_EUlSW_E_NS1_11comp_targetILNS1_3genE2ELNS1_11target_archE906ELNS1_3gpuE6ELNS1_3repE0EEENS1_30default_config_static_selectorELNS0_4arch9wavefront6targetE0EEEvT1_
		.amdhsa_group_segment_fixed_size 0
		.amdhsa_private_segment_fixed_size 0
		.amdhsa_kernarg_size 136
		.amdhsa_user_sgpr_count 6
		.amdhsa_user_sgpr_private_segment_buffer 1
		.amdhsa_user_sgpr_dispatch_ptr 0
		.amdhsa_user_sgpr_queue_ptr 0
		.amdhsa_user_sgpr_kernarg_segment_ptr 1
		.amdhsa_user_sgpr_dispatch_id 0
		.amdhsa_user_sgpr_flat_scratch_init 0
		.amdhsa_user_sgpr_private_segment_size 0
		.amdhsa_wavefront_size32 1
		.amdhsa_uses_dynamic_stack 0
		.amdhsa_system_sgpr_private_segment_wavefront_offset 0
		.amdhsa_system_sgpr_workgroup_id_x 1
		.amdhsa_system_sgpr_workgroup_id_y 0
		.amdhsa_system_sgpr_workgroup_id_z 0
		.amdhsa_system_sgpr_workgroup_info 0
		.amdhsa_system_vgpr_workitem_id 0
		.amdhsa_next_free_vgpr 1
		.amdhsa_next_free_sgpr 1
		.amdhsa_reserve_vcc 0
		.amdhsa_reserve_flat_scratch 0
		.amdhsa_float_round_mode_32 0
		.amdhsa_float_round_mode_16_64 0
		.amdhsa_float_denorm_mode_32 3
		.amdhsa_float_denorm_mode_16_64 3
		.amdhsa_dx10_clamp 1
		.amdhsa_ieee_mode 1
		.amdhsa_fp16_overflow 0
		.amdhsa_workgroup_processor_mode 1
		.amdhsa_memory_ordered 1
		.amdhsa_forward_progress 1
		.amdhsa_shared_vgpr_count 0
		.amdhsa_exception_fp_ieee_invalid_op 0
		.amdhsa_exception_fp_denorm_src 0
		.amdhsa_exception_fp_ieee_div_zero 0
		.amdhsa_exception_fp_ieee_overflow 0
		.amdhsa_exception_fp_ieee_underflow 0
		.amdhsa_exception_fp_ieee_inexact 0
		.amdhsa_exception_int_div_zero 0
	.end_amdhsa_kernel
	.section	.text._ZN7rocprim17ROCPRIM_400000_NS6detail17trampoline_kernelINS0_14default_configENS1_27scan_by_key_config_selectorIidEEZZNS1_16scan_by_key_implILNS1_25lookback_scan_determinismE0ELb1ES3_N6thrust23THRUST_200600_302600_NS6detail15normal_iteratorINS9_10device_ptrIiEEEENSB_INSC_IdEEEESG_dNS9_4plusIvEENS9_8equal_toIvEEdEE10hipError_tPvRmT2_T3_T4_T5_mT6_T7_P12ihipStream_tbENKUlT_T0_E_clISt17integral_constantIbLb1EES10_IbLb0EEEEDaSW_SX_EUlSW_E_NS1_11comp_targetILNS1_3genE2ELNS1_11target_archE906ELNS1_3gpuE6ELNS1_3repE0EEENS1_30default_config_static_selectorELNS0_4arch9wavefront6targetE0EEEvT1_,"axG",@progbits,_ZN7rocprim17ROCPRIM_400000_NS6detail17trampoline_kernelINS0_14default_configENS1_27scan_by_key_config_selectorIidEEZZNS1_16scan_by_key_implILNS1_25lookback_scan_determinismE0ELb1ES3_N6thrust23THRUST_200600_302600_NS6detail15normal_iteratorINS9_10device_ptrIiEEEENSB_INSC_IdEEEESG_dNS9_4plusIvEENS9_8equal_toIvEEdEE10hipError_tPvRmT2_T3_T4_T5_mT6_T7_P12ihipStream_tbENKUlT_T0_E_clISt17integral_constantIbLb1EES10_IbLb0EEEEDaSW_SX_EUlSW_E_NS1_11comp_targetILNS1_3genE2ELNS1_11target_archE906ELNS1_3gpuE6ELNS1_3repE0EEENS1_30default_config_static_selectorELNS0_4arch9wavefront6targetE0EEEvT1_,comdat
.Lfunc_end1414:
	.size	_ZN7rocprim17ROCPRIM_400000_NS6detail17trampoline_kernelINS0_14default_configENS1_27scan_by_key_config_selectorIidEEZZNS1_16scan_by_key_implILNS1_25lookback_scan_determinismE0ELb1ES3_N6thrust23THRUST_200600_302600_NS6detail15normal_iteratorINS9_10device_ptrIiEEEENSB_INSC_IdEEEESG_dNS9_4plusIvEENS9_8equal_toIvEEdEE10hipError_tPvRmT2_T3_T4_T5_mT6_T7_P12ihipStream_tbENKUlT_T0_E_clISt17integral_constantIbLb1EES10_IbLb0EEEEDaSW_SX_EUlSW_E_NS1_11comp_targetILNS1_3genE2ELNS1_11target_archE906ELNS1_3gpuE6ELNS1_3repE0EEENS1_30default_config_static_selectorELNS0_4arch9wavefront6targetE0EEEvT1_, .Lfunc_end1414-_ZN7rocprim17ROCPRIM_400000_NS6detail17trampoline_kernelINS0_14default_configENS1_27scan_by_key_config_selectorIidEEZZNS1_16scan_by_key_implILNS1_25lookback_scan_determinismE0ELb1ES3_N6thrust23THRUST_200600_302600_NS6detail15normal_iteratorINS9_10device_ptrIiEEEENSB_INSC_IdEEEESG_dNS9_4plusIvEENS9_8equal_toIvEEdEE10hipError_tPvRmT2_T3_T4_T5_mT6_T7_P12ihipStream_tbENKUlT_T0_E_clISt17integral_constantIbLb1EES10_IbLb0EEEEDaSW_SX_EUlSW_E_NS1_11comp_targetILNS1_3genE2ELNS1_11target_archE906ELNS1_3gpuE6ELNS1_3repE0EEENS1_30default_config_static_selectorELNS0_4arch9wavefront6targetE0EEEvT1_
                                        ; -- End function
	.set _ZN7rocprim17ROCPRIM_400000_NS6detail17trampoline_kernelINS0_14default_configENS1_27scan_by_key_config_selectorIidEEZZNS1_16scan_by_key_implILNS1_25lookback_scan_determinismE0ELb1ES3_N6thrust23THRUST_200600_302600_NS6detail15normal_iteratorINS9_10device_ptrIiEEEENSB_INSC_IdEEEESG_dNS9_4plusIvEENS9_8equal_toIvEEdEE10hipError_tPvRmT2_T3_T4_T5_mT6_T7_P12ihipStream_tbENKUlT_T0_E_clISt17integral_constantIbLb1EES10_IbLb0EEEEDaSW_SX_EUlSW_E_NS1_11comp_targetILNS1_3genE2ELNS1_11target_archE906ELNS1_3gpuE6ELNS1_3repE0EEENS1_30default_config_static_selectorELNS0_4arch9wavefront6targetE0EEEvT1_.num_vgpr, 0
	.set _ZN7rocprim17ROCPRIM_400000_NS6detail17trampoline_kernelINS0_14default_configENS1_27scan_by_key_config_selectorIidEEZZNS1_16scan_by_key_implILNS1_25lookback_scan_determinismE0ELb1ES3_N6thrust23THRUST_200600_302600_NS6detail15normal_iteratorINS9_10device_ptrIiEEEENSB_INSC_IdEEEESG_dNS9_4plusIvEENS9_8equal_toIvEEdEE10hipError_tPvRmT2_T3_T4_T5_mT6_T7_P12ihipStream_tbENKUlT_T0_E_clISt17integral_constantIbLb1EES10_IbLb0EEEEDaSW_SX_EUlSW_E_NS1_11comp_targetILNS1_3genE2ELNS1_11target_archE906ELNS1_3gpuE6ELNS1_3repE0EEENS1_30default_config_static_selectorELNS0_4arch9wavefront6targetE0EEEvT1_.num_agpr, 0
	.set _ZN7rocprim17ROCPRIM_400000_NS6detail17trampoline_kernelINS0_14default_configENS1_27scan_by_key_config_selectorIidEEZZNS1_16scan_by_key_implILNS1_25lookback_scan_determinismE0ELb1ES3_N6thrust23THRUST_200600_302600_NS6detail15normal_iteratorINS9_10device_ptrIiEEEENSB_INSC_IdEEEESG_dNS9_4plusIvEENS9_8equal_toIvEEdEE10hipError_tPvRmT2_T3_T4_T5_mT6_T7_P12ihipStream_tbENKUlT_T0_E_clISt17integral_constantIbLb1EES10_IbLb0EEEEDaSW_SX_EUlSW_E_NS1_11comp_targetILNS1_3genE2ELNS1_11target_archE906ELNS1_3gpuE6ELNS1_3repE0EEENS1_30default_config_static_selectorELNS0_4arch9wavefront6targetE0EEEvT1_.numbered_sgpr, 0
	.set _ZN7rocprim17ROCPRIM_400000_NS6detail17trampoline_kernelINS0_14default_configENS1_27scan_by_key_config_selectorIidEEZZNS1_16scan_by_key_implILNS1_25lookback_scan_determinismE0ELb1ES3_N6thrust23THRUST_200600_302600_NS6detail15normal_iteratorINS9_10device_ptrIiEEEENSB_INSC_IdEEEESG_dNS9_4plusIvEENS9_8equal_toIvEEdEE10hipError_tPvRmT2_T3_T4_T5_mT6_T7_P12ihipStream_tbENKUlT_T0_E_clISt17integral_constantIbLb1EES10_IbLb0EEEEDaSW_SX_EUlSW_E_NS1_11comp_targetILNS1_3genE2ELNS1_11target_archE906ELNS1_3gpuE6ELNS1_3repE0EEENS1_30default_config_static_selectorELNS0_4arch9wavefront6targetE0EEEvT1_.num_named_barrier, 0
	.set _ZN7rocprim17ROCPRIM_400000_NS6detail17trampoline_kernelINS0_14default_configENS1_27scan_by_key_config_selectorIidEEZZNS1_16scan_by_key_implILNS1_25lookback_scan_determinismE0ELb1ES3_N6thrust23THRUST_200600_302600_NS6detail15normal_iteratorINS9_10device_ptrIiEEEENSB_INSC_IdEEEESG_dNS9_4plusIvEENS9_8equal_toIvEEdEE10hipError_tPvRmT2_T3_T4_T5_mT6_T7_P12ihipStream_tbENKUlT_T0_E_clISt17integral_constantIbLb1EES10_IbLb0EEEEDaSW_SX_EUlSW_E_NS1_11comp_targetILNS1_3genE2ELNS1_11target_archE906ELNS1_3gpuE6ELNS1_3repE0EEENS1_30default_config_static_selectorELNS0_4arch9wavefront6targetE0EEEvT1_.private_seg_size, 0
	.set _ZN7rocprim17ROCPRIM_400000_NS6detail17trampoline_kernelINS0_14default_configENS1_27scan_by_key_config_selectorIidEEZZNS1_16scan_by_key_implILNS1_25lookback_scan_determinismE0ELb1ES3_N6thrust23THRUST_200600_302600_NS6detail15normal_iteratorINS9_10device_ptrIiEEEENSB_INSC_IdEEEESG_dNS9_4plusIvEENS9_8equal_toIvEEdEE10hipError_tPvRmT2_T3_T4_T5_mT6_T7_P12ihipStream_tbENKUlT_T0_E_clISt17integral_constantIbLb1EES10_IbLb0EEEEDaSW_SX_EUlSW_E_NS1_11comp_targetILNS1_3genE2ELNS1_11target_archE906ELNS1_3gpuE6ELNS1_3repE0EEENS1_30default_config_static_selectorELNS0_4arch9wavefront6targetE0EEEvT1_.uses_vcc, 0
	.set _ZN7rocprim17ROCPRIM_400000_NS6detail17trampoline_kernelINS0_14default_configENS1_27scan_by_key_config_selectorIidEEZZNS1_16scan_by_key_implILNS1_25lookback_scan_determinismE0ELb1ES3_N6thrust23THRUST_200600_302600_NS6detail15normal_iteratorINS9_10device_ptrIiEEEENSB_INSC_IdEEEESG_dNS9_4plusIvEENS9_8equal_toIvEEdEE10hipError_tPvRmT2_T3_T4_T5_mT6_T7_P12ihipStream_tbENKUlT_T0_E_clISt17integral_constantIbLb1EES10_IbLb0EEEEDaSW_SX_EUlSW_E_NS1_11comp_targetILNS1_3genE2ELNS1_11target_archE906ELNS1_3gpuE6ELNS1_3repE0EEENS1_30default_config_static_selectorELNS0_4arch9wavefront6targetE0EEEvT1_.uses_flat_scratch, 0
	.set _ZN7rocprim17ROCPRIM_400000_NS6detail17trampoline_kernelINS0_14default_configENS1_27scan_by_key_config_selectorIidEEZZNS1_16scan_by_key_implILNS1_25lookback_scan_determinismE0ELb1ES3_N6thrust23THRUST_200600_302600_NS6detail15normal_iteratorINS9_10device_ptrIiEEEENSB_INSC_IdEEEESG_dNS9_4plusIvEENS9_8equal_toIvEEdEE10hipError_tPvRmT2_T3_T4_T5_mT6_T7_P12ihipStream_tbENKUlT_T0_E_clISt17integral_constantIbLb1EES10_IbLb0EEEEDaSW_SX_EUlSW_E_NS1_11comp_targetILNS1_3genE2ELNS1_11target_archE906ELNS1_3gpuE6ELNS1_3repE0EEENS1_30default_config_static_selectorELNS0_4arch9wavefront6targetE0EEEvT1_.has_dyn_sized_stack, 0
	.set _ZN7rocprim17ROCPRIM_400000_NS6detail17trampoline_kernelINS0_14default_configENS1_27scan_by_key_config_selectorIidEEZZNS1_16scan_by_key_implILNS1_25lookback_scan_determinismE0ELb1ES3_N6thrust23THRUST_200600_302600_NS6detail15normal_iteratorINS9_10device_ptrIiEEEENSB_INSC_IdEEEESG_dNS9_4plusIvEENS9_8equal_toIvEEdEE10hipError_tPvRmT2_T3_T4_T5_mT6_T7_P12ihipStream_tbENKUlT_T0_E_clISt17integral_constantIbLb1EES10_IbLb0EEEEDaSW_SX_EUlSW_E_NS1_11comp_targetILNS1_3genE2ELNS1_11target_archE906ELNS1_3gpuE6ELNS1_3repE0EEENS1_30default_config_static_selectorELNS0_4arch9wavefront6targetE0EEEvT1_.has_recursion, 0
	.set _ZN7rocprim17ROCPRIM_400000_NS6detail17trampoline_kernelINS0_14default_configENS1_27scan_by_key_config_selectorIidEEZZNS1_16scan_by_key_implILNS1_25lookback_scan_determinismE0ELb1ES3_N6thrust23THRUST_200600_302600_NS6detail15normal_iteratorINS9_10device_ptrIiEEEENSB_INSC_IdEEEESG_dNS9_4plusIvEENS9_8equal_toIvEEdEE10hipError_tPvRmT2_T3_T4_T5_mT6_T7_P12ihipStream_tbENKUlT_T0_E_clISt17integral_constantIbLb1EES10_IbLb0EEEEDaSW_SX_EUlSW_E_NS1_11comp_targetILNS1_3genE2ELNS1_11target_archE906ELNS1_3gpuE6ELNS1_3repE0EEENS1_30default_config_static_selectorELNS0_4arch9wavefront6targetE0EEEvT1_.has_indirect_call, 0
	.section	.AMDGPU.csdata,"",@progbits
; Kernel info:
; codeLenInByte = 0
; TotalNumSgprs: 0
; NumVgprs: 0
; ScratchSize: 0
; MemoryBound: 0
; FloatMode: 240
; IeeeMode: 1
; LDSByteSize: 0 bytes/workgroup (compile time only)
; SGPRBlocks: 0
; VGPRBlocks: 0
; NumSGPRsForWavesPerEU: 1
; NumVGPRsForWavesPerEU: 1
; Occupancy: 16
; WaveLimiterHint : 0
; COMPUTE_PGM_RSRC2:SCRATCH_EN: 0
; COMPUTE_PGM_RSRC2:USER_SGPR: 6
; COMPUTE_PGM_RSRC2:TRAP_HANDLER: 0
; COMPUTE_PGM_RSRC2:TGID_X_EN: 1
; COMPUTE_PGM_RSRC2:TGID_Y_EN: 0
; COMPUTE_PGM_RSRC2:TGID_Z_EN: 0
; COMPUTE_PGM_RSRC2:TIDIG_COMP_CNT: 0
	.section	.text._ZN7rocprim17ROCPRIM_400000_NS6detail17trampoline_kernelINS0_14default_configENS1_27scan_by_key_config_selectorIidEEZZNS1_16scan_by_key_implILNS1_25lookback_scan_determinismE0ELb1ES3_N6thrust23THRUST_200600_302600_NS6detail15normal_iteratorINS9_10device_ptrIiEEEENSB_INSC_IdEEEESG_dNS9_4plusIvEENS9_8equal_toIvEEdEE10hipError_tPvRmT2_T3_T4_T5_mT6_T7_P12ihipStream_tbENKUlT_T0_E_clISt17integral_constantIbLb1EES10_IbLb0EEEEDaSW_SX_EUlSW_E_NS1_11comp_targetILNS1_3genE10ELNS1_11target_archE1200ELNS1_3gpuE4ELNS1_3repE0EEENS1_30default_config_static_selectorELNS0_4arch9wavefront6targetE0EEEvT1_,"axG",@progbits,_ZN7rocprim17ROCPRIM_400000_NS6detail17trampoline_kernelINS0_14default_configENS1_27scan_by_key_config_selectorIidEEZZNS1_16scan_by_key_implILNS1_25lookback_scan_determinismE0ELb1ES3_N6thrust23THRUST_200600_302600_NS6detail15normal_iteratorINS9_10device_ptrIiEEEENSB_INSC_IdEEEESG_dNS9_4plusIvEENS9_8equal_toIvEEdEE10hipError_tPvRmT2_T3_T4_T5_mT6_T7_P12ihipStream_tbENKUlT_T0_E_clISt17integral_constantIbLb1EES10_IbLb0EEEEDaSW_SX_EUlSW_E_NS1_11comp_targetILNS1_3genE10ELNS1_11target_archE1200ELNS1_3gpuE4ELNS1_3repE0EEENS1_30default_config_static_selectorELNS0_4arch9wavefront6targetE0EEEvT1_,comdat
	.protected	_ZN7rocprim17ROCPRIM_400000_NS6detail17trampoline_kernelINS0_14default_configENS1_27scan_by_key_config_selectorIidEEZZNS1_16scan_by_key_implILNS1_25lookback_scan_determinismE0ELb1ES3_N6thrust23THRUST_200600_302600_NS6detail15normal_iteratorINS9_10device_ptrIiEEEENSB_INSC_IdEEEESG_dNS9_4plusIvEENS9_8equal_toIvEEdEE10hipError_tPvRmT2_T3_T4_T5_mT6_T7_P12ihipStream_tbENKUlT_T0_E_clISt17integral_constantIbLb1EES10_IbLb0EEEEDaSW_SX_EUlSW_E_NS1_11comp_targetILNS1_3genE10ELNS1_11target_archE1200ELNS1_3gpuE4ELNS1_3repE0EEENS1_30default_config_static_selectorELNS0_4arch9wavefront6targetE0EEEvT1_ ; -- Begin function _ZN7rocprim17ROCPRIM_400000_NS6detail17trampoline_kernelINS0_14default_configENS1_27scan_by_key_config_selectorIidEEZZNS1_16scan_by_key_implILNS1_25lookback_scan_determinismE0ELb1ES3_N6thrust23THRUST_200600_302600_NS6detail15normal_iteratorINS9_10device_ptrIiEEEENSB_INSC_IdEEEESG_dNS9_4plusIvEENS9_8equal_toIvEEdEE10hipError_tPvRmT2_T3_T4_T5_mT6_T7_P12ihipStream_tbENKUlT_T0_E_clISt17integral_constantIbLb1EES10_IbLb0EEEEDaSW_SX_EUlSW_E_NS1_11comp_targetILNS1_3genE10ELNS1_11target_archE1200ELNS1_3gpuE4ELNS1_3repE0EEENS1_30default_config_static_selectorELNS0_4arch9wavefront6targetE0EEEvT1_
	.globl	_ZN7rocprim17ROCPRIM_400000_NS6detail17trampoline_kernelINS0_14default_configENS1_27scan_by_key_config_selectorIidEEZZNS1_16scan_by_key_implILNS1_25lookback_scan_determinismE0ELb1ES3_N6thrust23THRUST_200600_302600_NS6detail15normal_iteratorINS9_10device_ptrIiEEEENSB_INSC_IdEEEESG_dNS9_4plusIvEENS9_8equal_toIvEEdEE10hipError_tPvRmT2_T3_T4_T5_mT6_T7_P12ihipStream_tbENKUlT_T0_E_clISt17integral_constantIbLb1EES10_IbLb0EEEEDaSW_SX_EUlSW_E_NS1_11comp_targetILNS1_3genE10ELNS1_11target_archE1200ELNS1_3gpuE4ELNS1_3repE0EEENS1_30default_config_static_selectorELNS0_4arch9wavefront6targetE0EEEvT1_
	.p2align	8
	.type	_ZN7rocprim17ROCPRIM_400000_NS6detail17trampoline_kernelINS0_14default_configENS1_27scan_by_key_config_selectorIidEEZZNS1_16scan_by_key_implILNS1_25lookback_scan_determinismE0ELb1ES3_N6thrust23THRUST_200600_302600_NS6detail15normal_iteratorINS9_10device_ptrIiEEEENSB_INSC_IdEEEESG_dNS9_4plusIvEENS9_8equal_toIvEEdEE10hipError_tPvRmT2_T3_T4_T5_mT6_T7_P12ihipStream_tbENKUlT_T0_E_clISt17integral_constantIbLb1EES10_IbLb0EEEEDaSW_SX_EUlSW_E_NS1_11comp_targetILNS1_3genE10ELNS1_11target_archE1200ELNS1_3gpuE4ELNS1_3repE0EEENS1_30default_config_static_selectorELNS0_4arch9wavefront6targetE0EEEvT1_,@function
_ZN7rocprim17ROCPRIM_400000_NS6detail17trampoline_kernelINS0_14default_configENS1_27scan_by_key_config_selectorIidEEZZNS1_16scan_by_key_implILNS1_25lookback_scan_determinismE0ELb1ES3_N6thrust23THRUST_200600_302600_NS6detail15normal_iteratorINS9_10device_ptrIiEEEENSB_INSC_IdEEEESG_dNS9_4plusIvEENS9_8equal_toIvEEdEE10hipError_tPvRmT2_T3_T4_T5_mT6_T7_P12ihipStream_tbENKUlT_T0_E_clISt17integral_constantIbLb1EES10_IbLb0EEEEDaSW_SX_EUlSW_E_NS1_11comp_targetILNS1_3genE10ELNS1_11target_archE1200ELNS1_3gpuE4ELNS1_3repE0EEENS1_30default_config_static_selectorELNS0_4arch9wavefront6targetE0EEEvT1_: ; @_ZN7rocprim17ROCPRIM_400000_NS6detail17trampoline_kernelINS0_14default_configENS1_27scan_by_key_config_selectorIidEEZZNS1_16scan_by_key_implILNS1_25lookback_scan_determinismE0ELb1ES3_N6thrust23THRUST_200600_302600_NS6detail15normal_iteratorINS9_10device_ptrIiEEEENSB_INSC_IdEEEESG_dNS9_4plusIvEENS9_8equal_toIvEEdEE10hipError_tPvRmT2_T3_T4_T5_mT6_T7_P12ihipStream_tbENKUlT_T0_E_clISt17integral_constantIbLb1EES10_IbLb0EEEEDaSW_SX_EUlSW_E_NS1_11comp_targetILNS1_3genE10ELNS1_11target_archE1200ELNS1_3gpuE4ELNS1_3repE0EEENS1_30default_config_static_selectorELNS0_4arch9wavefront6targetE0EEEvT1_
; %bb.0:
	.section	.rodata,"a",@progbits
	.p2align	6, 0x0
	.amdhsa_kernel _ZN7rocprim17ROCPRIM_400000_NS6detail17trampoline_kernelINS0_14default_configENS1_27scan_by_key_config_selectorIidEEZZNS1_16scan_by_key_implILNS1_25lookback_scan_determinismE0ELb1ES3_N6thrust23THRUST_200600_302600_NS6detail15normal_iteratorINS9_10device_ptrIiEEEENSB_INSC_IdEEEESG_dNS9_4plusIvEENS9_8equal_toIvEEdEE10hipError_tPvRmT2_T3_T4_T5_mT6_T7_P12ihipStream_tbENKUlT_T0_E_clISt17integral_constantIbLb1EES10_IbLb0EEEEDaSW_SX_EUlSW_E_NS1_11comp_targetILNS1_3genE10ELNS1_11target_archE1200ELNS1_3gpuE4ELNS1_3repE0EEENS1_30default_config_static_selectorELNS0_4arch9wavefront6targetE0EEEvT1_
		.amdhsa_group_segment_fixed_size 0
		.amdhsa_private_segment_fixed_size 0
		.amdhsa_kernarg_size 136
		.amdhsa_user_sgpr_count 6
		.amdhsa_user_sgpr_private_segment_buffer 1
		.amdhsa_user_sgpr_dispatch_ptr 0
		.amdhsa_user_sgpr_queue_ptr 0
		.amdhsa_user_sgpr_kernarg_segment_ptr 1
		.amdhsa_user_sgpr_dispatch_id 0
		.amdhsa_user_sgpr_flat_scratch_init 0
		.amdhsa_user_sgpr_private_segment_size 0
		.amdhsa_wavefront_size32 1
		.amdhsa_uses_dynamic_stack 0
		.amdhsa_system_sgpr_private_segment_wavefront_offset 0
		.amdhsa_system_sgpr_workgroup_id_x 1
		.amdhsa_system_sgpr_workgroup_id_y 0
		.amdhsa_system_sgpr_workgroup_id_z 0
		.amdhsa_system_sgpr_workgroup_info 0
		.amdhsa_system_vgpr_workitem_id 0
		.amdhsa_next_free_vgpr 1
		.amdhsa_next_free_sgpr 1
		.amdhsa_reserve_vcc 0
		.amdhsa_reserve_flat_scratch 0
		.amdhsa_float_round_mode_32 0
		.amdhsa_float_round_mode_16_64 0
		.amdhsa_float_denorm_mode_32 3
		.amdhsa_float_denorm_mode_16_64 3
		.amdhsa_dx10_clamp 1
		.amdhsa_ieee_mode 1
		.amdhsa_fp16_overflow 0
		.amdhsa_workgroup_processor_mode 1
		.amdhsa_memory_ordered 1
		.amdhsa_forward_progress 1
		.amdhsa_shared_vgpr_count 0
		.amdhsa_exception_fp_ieee_invalid_op 0
		.amdhsa_exception_fp_denorm_src 0
		.amdhsa_exception_fp_ieee_div_zero 0
		.amdhsa_exception_fp_ieee_overflow 0
		.amdhsa_exception_fp_ieee_underflow 0
		.amdhsa_exception_fp_ieee_inexact 0
		.amdhsa_exception_int_div_zero 0
	.end_amdhsa_kernel
	.section	.text._ZN7rocprim17ROCPRIM_400000_NS6detail17trampoline_kernelINS0_14default_configENS1_27scan_by_key_config_selectorIidEEZZNS1_16scan_by_key_implILNS1_25lookback_scan_determinismE0ELb1ES3_N6thrust23THRUST_200600_302600_NS6detail15normal_iteratorINS9_10device_ptrIiEEEENSB_INSC_IdEEEESG_dNS9_4plusIvEENS9_8equal_toIvEEdEE10hipError_tPvRmT2_T3_T4_T5_mT6_T7_P12ihipStream_tbENKUlT_T0_E_clISt17integral_constantIbLb1EES10_IbLb0EEEEDaSW_SX_EUlSW_E_NS1_11comp_targetILNS1_3genE10ELNS1_11target_archE1200ELNS1_3gpuE4ELNS1_3repE0EEENS1_30default_config_static_selectorELNS0_4arch9wavefront6targetE0EEEvT1_,"axG",@progbits,_ZN7rocprim17ROCPRIM_400000_NS6detail17trampoline_kernelINS0_14default_configENS1_27scan_by_key_config_selectorIidEEZZNS1_16scan_by_key_implILNS1_25lookback_scan_determinismE0ELb1ES3_N6thrust23THRUST_200600_302600_NS6detail15normal_iteratorINS9_10device_ptrIiEEEENSB_INSC_IdEEEESG_dNS9_4plusIvEENS9_8equal_toIvEEdEE10hipError_tPvRmT2_T3_T4_T5_mT6_T7_P12ihipStream_tbENKUlT_T0_E_clISt17integral_constantIbLb1EES10_IbLb0EEEEDaSW_SX_EUlSW_E_NS1_11comp_targetILNS1_3genE10ELNS1_11target_archE1200ELNS1_3gpuE4ELNS1_3repE0EEENS1_30default_config_static_selectorELNS0_4arch9wavefront6targetE0EEEvT1_,comdat
.Lfunc_end1415:
	.size	_ZN7rocprim17ROCPRIM_400000_NS6detail17trampoline_kernelINS0_14default_configENS1_27scan_by_key_config_selectorIidEEZZNS1_16scan_by_key_implILNS1_25lookback_scan_determinismE0ELb1ES3_N6thrust23THRUST_200600_302600_NS6detail15normal_iteratorINS9_10device_ptrIiEEEENSB_INSC_IdEEEESG_dNS9_4plusIvEENS9_8equal_toIvEEdEE10hipError_tPvRmT2_T3_T4_T5_mT6_T7_P12ihipStream_tbENKUlT_T0_E_clISt17integral_constantIbLb1EES10_IbLb0EEEEDaSW_SX_EUlSW_E_NS1_11comp_targetILNS1_3genE10ELNS1_11target_archE1200ELNS1_3gpuE4ELNS1_3repE0EEENS1_30default_config_static_selectorELNS0_4arch9wavefront6targetE0EEEvT1_, .Lfunc_end1415-_ZN7rocprim17ROCPRIM_400000_NS6detail17trampoline_kernelINS0_14default_configENS1_27scan_by_key_config_selectorIidEEZZNS1_16scan_by_key_implILNS1_25lookback_scan_determinismE0ELb1ES3_N6thrust23THRUST_200600_302600_NS6detail15normal_iteratorINS9_10device_ptrIiEEEENSB_INSC_IdEEEESG_dNS9_4plusIvEENS9_8equal_toIvEEdEE10hipError_tPvRmT2_T3_T4_T5_mT6_T7_P12ihipStream_tbENKUlT_T0_E_clISt17integral_constantIbLb1EES10_IbLb0EEEEDaSW_SX_EUlSW_E_NS1_11comp_targetILNS1_3genE10ELNS1_11target_archE1200ELNS1_3gpuE4ELNS1_3repE0EEENS1_30default_config_static_selectorELNS0_4arch9wavefront6targetE0EEEvT1_
                                        ; -- End function
	.set _ZN7rocprim17ROCPRIM_400000_NS6detail17trampoline_kernelINS0_14default_configENS1_27scan_by_key_config_selectorIidEEZZNS1_16scan_by_key_implILNS1_25lookback_scan_determinismE0ELb1ES3_N6thrust23THRUST_200600_302600_NS6detail15normal_iteratorINS9_10device_ptrIiEEEENSB_INSC_IdEEEESG_dNS9_4plusIvEENS9_8equal_toIvEEdEE10hipError_tPvRmT2_T3_T4_T5_mT6_T7_P12ihipStream_tbENKUlT_T0_E_clISt17integral_constantIbLb1EES10_IbLb0EEEEDaSW_SX_EUlSW_E_NS1_11comp_targetILNS1_3genE10ELNS1_11target_archE1200ELNS1_3gpuE4ELNS1_3repE0EEENS1_30default_config_static_selectorELNS0_4arch9wavefront6targetE0EEEvT1_.num_vgpr, 0
	.set _ZN7rocprim17ROCPRIM_400000_NS6detail17trampoline_kernelINS0_14default_configENS1_27scan_by_key_config_selectorIidEEZZNS1_16scan_by_key_implILNS1_25lookback_scan_determinismE0ELb1ES3_N6thrust23THRUST_200600_302600_NS6detail15normal_iteratorINS9_10device_ptrIiEEEENSB_INSC_IdEEEESG_dNS9_4plusIvEENS9_8equal_toIvEEdEE10hipError_tPvRmT2_T3_T4_T5_mT6_T7_P12ihipStream_tbENKUlT_T0_E_clISt17integral_constantIbLb1EES10_IbLb0EEEEDaSW_SX_EUlSW_E_NS1_11comp_targetILNS1_3genE10ELNS1_11target_archE1200ELNS1_3gpuE4ELNS1_3repE0EEENS1_30default_config_static_selectorELNS0_4arch9wavefront6targetE0EEEvT1_.num_agpr, 0
	.set _ZN7rocprim17ROCPRIM_400000_NS6detail17trampoline_kernelINS0_14default_configENS1_27scan_by_key_config_selectorIidEEZZNS1_16scan_by_key_implILNS1_25lookback_scan_determinismE0ELb1ES3_N6thrust23THRUST_200600_302600_NS6detail15normal_iteratorINS9_10device_ptrIiEEEENSB_INSC_IdEEEESG_dNS9_4plusIvEENS9_8equal_toIvEEdEE10hipError_tPvRmT2_T3_T4_T5_mT6_T7_P12ihipStream_tbENKUlT_T0_E_clISt17integral_constantIbLb1EES10_IbLb0EEEEDaSW_SX_EUlSW_E_NS1_11comp_targetILNS1_3genE10ELNS1_11target_archE1200ELNS1_3gpuE4ELNS1_3repE0EEENS1_30default_config_static_selectorELNS0_4arch9wavefront6targetE0EEEvT1_.numbered_sgpr, 0
	.set _ZN7rocprim17ROCPRIM_400000_NS6detail17trampoline_kernelINS0_14default_configENS1_27scan_by_key_config_selectorIidEEZZNS1_16scan_by_key_implILNS1_25lookback_scan_determinismE0ELb1ES3_N6thrust23THRUST_200600_302600_NS6detail15normal_iteratorINS9_10device_ptrIiEEEENSB_INSC_IdEEEESG_dNS9_4plusIvEENS9_8equal_toIvEEdEE10hipError_tPvRmT2_T3_T4_T5_mT6_T7_P12ihipStream_tbENKUlT_T0_E_clISt17integral_constantIbLb1EES10_IbLb0EEEEDaSW_SX_EUlSW_E_NS1_11comp_targetILNS1_3genE10ELNS1_11target_archE1200ELNS1_3gpuE4ELNS1_3repE0EEENS1_30default_config_static_selectorELNS0_4arch9wavefront6targetE0EEEvT1_.num_named_barrier, 0
	.set _ZN7rocprim17ROCPRIM_400000_NS6detail17trampoline_kernelINS0_14default_configENS1_27scan_by_key_config_selectorIidEEZZNS1_16scan_by_key_implILNS1_25lookback_scan_determinismE0ELb1ES3_N6thrust23THRUST_200600_302600_NS6detail15normal_iteratorINS9_10device_ptrIiEEEENSB_INSC_IdEEEESG_dNS9_4plusIvEENS9_8equal_toIvEEdEE10hipError_tPvRmT2_T3_T4_T5_mT6_T7_P12ihipStream_tbENKUlT_T0_E_clISt17integral_constantIbLb1EES10_IbLb0EEEEDaSW_SX_EUlSW_E_NS1_11comp_targetILNS1_3genE10ELNS1_11target_archE1200ELNS1_3gpuE4ELNS1_3repE0EEENS1_30default_config_static_selectorELNS0_4arch9wavefront6targetE0EEEvT1_.private_seg_size, 0
	.set _ZN7rocprim17ROCPRIM_400000_NS6detail17trampoline_kernelINS0_14default_configENS1_27scan_by_key_config_selectorIidEEZZNS1_16scan_by_key_implILNS1_25lookback_scan_determinismE0ELb1ES3_N6thrust23THRUST_200600_302600_NS6detail15normal_iteratorINS9_10device_ptrIiEEEENSB_INSC_IdEEEESG_dNS9_4plusIvEENS9_8equal_toIvEEdEE10hipError_tPvRmT2_T3_T4_T5_mT6_T7_P12ihipStream_tbENKUlT_T0_E_clISt17integral_constantIbLb1EES10_IbLb0EEEEDaSW_SX_EUlSW_E_NS1_11comp_targetILNS1_3genE10ELNS1_11target_archE1200ELNS1_3gpuE4ELNS1_3repE0EEENS1_30default_config_static_selectorELNS0_4arch9wavefront6targetE0EEEvT1_.uses_vcc, 0
	.set _ZN7rocprim17ROCPRIM_400000_NS6detail17trampoline_kernelINS0_14default_configENS1_27scan_by_key_config_selectorIidEEZZNS1_16scan_by_key_implILNS1_25lookback_scan_determinismE0ELb1ES3_N6thrust23THRUST_200600_302600_NS6detail15normal_iteratorINS9_10device_ptrIiEEEENSB_INSC_IdEEEESG_dNS9_4plusIvEENS9_8equal_toIvEEdEE10hipError_tPvRmT2_T3_T4_T5_mT6_T7_P12ihipStream_tbENKUlT_T0_E_clISt17integral_constantIbLb1EES10_IbLb0EEEEDaSW_SX_EUlSW_E_NS1_11comp_targetILNS1_3genE10ELNS1_11target_archE1200ELNS1_3gpuE4ELNS1_3repE0EEENS1_30default_config_static_selectorELNS0_4arch9wavefront6targetE0EEEvT1_.uses_flat_scratch, 0
	.set _ZN7rocprim17ROCPRIM_400000_NS6detail17trampoline_kernelINS0_14default_configENS1_27scan_by_key_config_selectorIidEEZZNS1_16scan_by_key_implILNS1_25lookback_scan_determinismE0ELb1ES3_N6thrust23THRUST_200600_302600_NS6detail15normal_iteratorINS9_10device_ptrIiEEEENSB_INSC_IdEEEESG_dNS9_4plusIvEENS9_8equal_toIvEEdEE10hipError_tPvRmT2_T3_T4_T5_mT6_T7_P12ihipStream_tbENKUlT_T0_E_clISt17integral_constantIbLb1EES10_IbLb0EEEEDaSW_SX_EUlSW_E_NS1_11comp_targetILNS1_3genE10ELNS1_11target_archE1200ELNS1_3gpuE4ELNS1_3repE0EEENS1_30default_config_static_selectorELNS0_4arch9wavefront6targetE0EEEvT1_.has_dyn_sized_stack, 0
	.set _ZN7rocprim17ROCPRIM_400000_NS6detail17trampoline_kernelINS0_14default_configENS1_27scan_by_key_config_selectorIidEEZZNS1_16scan_by_key_implILNS1_25lookback_scan_determinismE0ELb1ES3_N6thrust23THRUST_200600_302600_NS6detail15normal_iteratorINS9_10device_ptrIiEEEENSB_INSC_IdEEEESG_dNS9_4plusIvEENS9_8equal_toIvEEdEE10hipError_tPvRmT2_T3_T4_T5_mT6_T7_P12ihipStream_tbENKUlT_T0_E_clISt17integral_constantIbLb1EES10_IbLb0EEEEDaSW_SX_EUlSW_E_NS1_11comp_targetILNS1_3genE10ELNS1_11target_archE1200ELNS1_3gpuE4ELNS1_3repE0EEENS1_30default_config_static_selectorELNS0_4arch9wavefront6targetE0EEEvT1_.has_recursion, 0
	.set _ZN7rocprim17ROCPRIM_400000_NS6detail17trampoline_kernelINS0_14default_configENS1_27scan_by_key_config_selectorIidEEZZNS1_16scan_by_key_implILNS1_25lookback_scan_determinismE0ELb1ES3_N6thrust23THRUST_200600_302600_NS6detail15normal_iteratorINS9_10device_ptrIiEEEENSB_INSC_IdEEEESG_dNS9_4plusIvEENS9_8equal_toIvEEdEE10hipError_tPvRmT2_T3_T4_T5_mT6_T7_P12ihipStream_tbENKUlT_T0_E_clISt17integral_constantIbLb1EES10_IbLb0EEEEDaSW_SX_EUlSW_E_NS1_11comp_targetILNS1_3genE10ELNS1_11target_archE1200ELNS1_3gpuE4ELNS1_3repE0EEENS1_30default_config_static_selectorELNS0_4arch9wavefront6targetE0EEEvT1_.has_indirect_call, 0
	.section	.AMDGPU.csdata,"",@progbits
; Kernel info:
; codeLenInByte = 0
; TotalNumSgprs: 0
; NumVgprs: 0
; ScratchSize: 0
; MemoryBound: 0
; FloatMode: 240
; IeeeMode: 1
; LDSByteSize: 0 bytes/workgroup (compile time only)
; SGPRBlocks: 0
; VGPRBlocks: 0
; NumSGPRsForWavesPerEU: 1
; NumVGPRsForWavesPerEU: 1
; Occupancy: 16
; WaveLimiterHint : 0
; COMPUTE_PGM_RSRC2:SCRATCH_EN: 0
; COMPUTE_PGM_RSRC2:USER_SGPR: 6
; COMPUTE_PGM_RSRC2:TRAP_HANDLER: 0
; COMPUTE_PGM_RSRC2:TGID_X_EN: 1
; COMPUTE_PGM_RSRC2:TGID_Y_EN: 0
; COMPUTE_PGM_RSRC2:TGID_Z_EN: 0
; COMPUTE_PGM_RSRC2:TIDIG_COMP_CNT: 0
	.section	.text._ZN7rocprim17ROCPRIM_400000_NS6detail17trampoline_kernelINS0_14default_configENS1_27scan_by_key_config_selectorIidEEZZNS1_16scan_by_key_implILNS1_25lookback_scan_determinismE0ELb1ES3_N6thrust23THRUST_200600_302600_NS6detail15normal_iteratorINS9_10device_ptrIiEEEENSB_INSC_IdEEEESG_dNS9_4plusIvEENS9_8equal_toIvEEdEE10hipError_tPvRmT2_T3_T4_T5_mT6_T7_P12ihipStream_tbENKUlT_T0_E_clISt17integral_constantIbLb1EES10_IbLb0EEEEDaSW_SX_EUlSW_E_NS1_11comp_targetILNS1_3genE9ELNS1_11target_archE1100ELNS1_3gpuE3ELNS1_3repE0EEENS1_30default_config_static_selectorELNS0_4arch9wavefront6targetE0EEEvT1_,"axG",@progbits,_ZN7rocprim17ROCPRIM_400000_NS6detail17trampoline_kernelINS0_14default_configENS1_27scan_by_key_config_selectorIidEEZZNS1_16scan_by_key_implILNS1_25lookback_scan_determinismE0ELb1ES3_N6thrust23THRUST_200600_302600_NS6detail15normal_iteratorINS9_10device_ptrIiEEEENSB_INSC_IdEEEESG_dNS9_4plusIvEENS9_8equal_toIvEEdEE10hipError_tPvRmT2_T3_T4_T5_mT6_T7_P12ihipStream_tbENKUlT_T0_E_clISt17integral_constantIbLb1EES10_IbLb0EEEEDaSW_SX_EUlSW_E_NS1_11comp_targetILNS1_3genE9ELNS1_11target_archE1100ELNS1_3gpuE3ELNS1_3repE0EEENS1_30default_config_static_selectorELNS0_4arch9wavefront6targetE0EEEvT1_,comdat
	.protected	_ZN7rocprim17ROCPRIM_400000_NS6detail17trampoline_kernelINS0_14default_configENS1_27scan_by_key_config_selectorIidEEZZNS1_16scan_by_key_implILNS1_25lookback_scan_determinismE0ELb1ES3_N6thrust23THRUST_200600_302600_NS6detail15normal_iteratorINS9_10device_ptrIiEEEENSB_INSC_IdEEEESG_dNS9_4plusIvEENS9_8equal_toIvEEdEE10hipError_tPvRmT2_T3_T4_T5_mT6_T7_P12ihipStream_tbENKUlT_T0_E_clISt17integral_constantIbLb1EES10_IbLb0EEEEDaSW_SX_EUlSW_E_NS1_11comp_targetILNS1_3genE9ELNS1_11target_archE1100ELNS1_3gpuE3ELNS1_3repE0EEENS1_30default_config_static_selectorELNS0_4arch9wavefront6targetE0EEEvT1_ ; -- Begin function _ZN7rocprim17ROCPRIM_400000_NS6detail17trampoline_kernelINS0_14default_configENS1_27scan_by_key_config_selectorIidEEZZNS1_16scan_by_key_implILNS1_25lookback_scan_determinismE0ELb1ES3_N6thrust23THRUST_200600_302600_NS6detail15normal_iteratorINS9_10device_ptrIiEEEENSB_INSC_IdEEEESG_dNS9_4plusIvEENS9_8equal_toIvEEdEE10hipError_tPvRmT2_T3_T4_T5_mT6_T7_P12ihipStream_tbENKUlT_T0_E_clISt17integral_constantIbLb1EES10_IbLb0EEEEDaSW_SX_EUlSW_E_NS1_11comp_targetILNS1_3genE9ELNS1_11target_archE1100ELNS1_3gpuE3ELNS1_3repE0EEENS1_30default_config_static_selectorELNS0_4arch9wavefront6targetE0EEEvT1_
	.globl	_ZN7rocprim17ROCPRIM_400000_NS6detail17trampoline_kernelINS0_14default_configENS1_27scan_by_key_config_selectorIidEEZZNS1_16scan_by_key_implILNS1_25lookback_scan_determinismE0ELb1ES3_N6thrust23THRUST_200600_302600_NS6detail15normal_iteratorINS9_10device_ptrIiEEEENSB_INSC_IdEEEESG_dNS9_4plusIvEENS9_8equal_toIvEEdEE10hipError_tPvRmT2_T3_T4_T5_mT6_T7_P12ihipStream_tbENKUlT_T0_E_clISt17integral_constantIbLb1EES10_IbLb0EEEEDaSW_SX_EUlSW_E_NS1_11comp_targetILNS1_3genE9ELNS1_11target_archE1100ELNS1_3gpuE3ELNS1_3repE0EEENS1_30default_config_static_selectorELNS0_4arch9wavefront6targetE0EEEvT1_
	.p2align	8
	.type	_ZN7rocprim17ROCPRIM_400000_NS6detail17trampoline_kernelINS0_14default_configENS1_27scan_by_key_config_selectorIidEEZZNS1_16scan_by_key_implILNS1_25lookback_scan_determinismE0ELb1ES3_N6thrust23THRUST_200600_302600_NS6detail15normal_iteratorINS9_10device_ptrIiEEEENSB_INSC_IdEEEESG_dNS9_4plusIvEENS9_8equal_toIvEEdEE10hipError_tPvRmT2_T3_T4_T5_mT6_T7_P12ihipStream_tbENKUlT_T0_E_clISt17integral_constantIbLb1EES10_IbLb0EEEEDaSW_SX_EUlSW_E_NS1_11comp_targetILNS1_3genE9ELNS1_11target_archE1100ELNS1_3gpuE3ELNS1_3repE0EEENS1_30default_config_static_selectorELNS0_4arch9wavefront6targetE0EEEvT1_,@function
_ZN7rocprim17ROCPRIM_400000_NS6detail17trampoline_kernelINS0_14default_configENS1_27scan_by_key_config_selectorIidEEZZNS1_16scan_by_key_implILNS1_25lookback_scan_determinismE0ELb1ES3_N6thrust23THRUST_200600_302600_NS6detail15normal_iteratorINS9_10device_ptrIiEEEENSB_INSC_IdEEEESG_dNS9_4plusIvEENS9_8equal_toIvEEdEE10hipError_tPvRmT2_T3_T4_T5_mT6_T7_P12ihipStream_tbENKUlT_T0_E_clISt17integral_constantIbLb1EES10_IbLb0EEEEDaSW_SX_EUlSW_E_NS1_11comp_targetILNS1_3genE9ELNS1_11target_archE1100ELNS1_3gpuE3ELNS1_3repE0EEENS1_30default_config_static_selectorELNS0_4arch9wavefront6targetE0EEEvT1_: ; @_ZN7rocprim17ROCPRIM_400000_NS6detail17trampoline_kernelINS0_14default_configENS1_27scan_by_key_config_selectorIidEEZZNS1_16scan_by_key_implILNS1_25lookback_scan_determinismE0ELb1ES3_N6thrust23THRUST_200600_302600_NS6detail15normal_iteratorINS9_10device_ptrIiEEEENSB_INSC_IdEEEESG_dNS9_4plusIvEENS9_8equal_toIvEEdEE10hipError_tPvRmT2_T3_T4_T5_mT6_T7_P12ihipStream_tbENKUlT_T0_E_clISt17integral_constantIbLb1EES10_IbLb0EEEEDaSW_SX_EUlSW_E_NS1_11comp_targetILNS1_3genE9ELNS1_11target_archE1100ELNS1_3gpuE3ELNS1_3repE0EEENS1_30default_config_static_selectorELNS0_4arch9wavefront6targetE0EEEvT1_
; %bb.0:
	.section	.rodata,"a",@progbits
	.p2align	6, 0x0
	.amdhsa_kernel _ZN7rocprim17ROCPRIM_400000_NS6detail17trampoline_kernelINS0_14default_configENS1_27scan_by_key_config_selectorIidEEZZNS1_16scan_by_key_implILNS1_25lookback_scan_determinismE0ELb1ES3_N6thrust23THRUST_200600_302600_NS6detail15normal_iteratorINS9_10device_ptrIiEEEENSB_INSC_IdEEEESG_dNS9_4plusIvEENS9_8equal_toIvEEdEE10hipError_tPvRmT2_T3_T4_T5_mT6_T7_P12ihipStream_tbENKUlT_T0_E_clISt17integral_constantIbLb1EES10_IbLb0EEEEDaSW_SX_EUlSW_E_NS1_11comp_targetILNS1_3genE9ELNS1_11target_archE1100ELNS1_3gpuE3ELNS1_3repE0EEENS1_30default_config_static_selectorELNS0_4arch9wavefront6targetE0EEEvT1_
		.amdhsa_group_segment_fixed_size 0
		.amdhsa_private_segment_fixed_size 0
		.amdhsa_kernarg_size 136
		.amdhsa_user_sgpr_count 6
		.amdhsa_user_sgpr_private_segment_buffer 1
		.amdhsa_user_sgpr_dispatch_ptr 0
		.amdhsa_user_sgpr_queue_ptr 0
		.amdhsa_user_sgpr_kernarg_segment_ptr 1
		.amdhsa_user_sgpr_dispatch_id 0
		.amdhsa_user_sgpr_flat_scratch_init 0
		.amdhsa_user_sgpr_private_segment_size 0
		.amdhsa_wavefront_size32 1
		.amdhsa_uses_dynamic_stack 0
		.amdhsa_system_sgpr_private_segment_wavefront_offset 0
		.amdhsa_system_sgpr_workgroup_id_x 1
		.amdhsa_system_sgpr_workgroup_id_y 0
		.amdhsa_system_sgpr_workgroup_id_z 0
		.amdhsa_system_sgpr_workgroup_info 0
		.amdhsa_system_vgpr_workitem_id 0
		.amdhsa_next_free_vgpr 1
		.amdhsa_next_free_sgpr 1
		.amdhsa_reserve_vcc 0
		.amdhsa_reserve_flat_scratch 0
		.amdhsa_float_round_mode_32 0
		.amdhsa_float_round_mode_16_64 0
		.amdhsa_float_denorm_mode_32 3
		.amdhsa_float_denorm_mode_16_64 3
		.amdhsa_dx10_clamp 1
		.amdhsa_ieee_mode 1
		.amdhsa_fp16_overflow 0
		.amdhsa_workgroup_processor_mode 1
		.amdhsa_memory_ordered 1
		.amdhsa_forward_progress 1
		.amdhsa_shared_vgpr_count 0
		.amdhsa_exception_fp_ieee_invalid_op 0
		.amdhsa_exception_fp_denorm_src 0
		.amdhsa_exception_fp_ieee_div_zero 0
		.amdhsa_exception_fp_ieee_overflow 0
		.amdhsa_exception_fp_ieee_underflow 0
		.amdhsa_exception_fp_ieee_inexact 0
		.amdhsa_exception_int_div_zero 0
	.end_amdhsa_kernel
	.section	.text._ZN7rocprim17ROCPRIM_400000_NS6detail17trampoline_kernelINS0_14default_configENS1_27scan_by_key_config_selectorIidEEZZNS1_16scan_by_key_implILNS1_25lookback_scan_determinismE0ELb1ES3_N6thrust23THRUST_200600_302600_NS6detail15normal_iteratorINS9_10device_ptrIiEEEENSB_INSC_IdEEEESG_dNS9_4plusIvEENS9_8equal_toIvEEdEE10hipError_tPvRmT2_T3_T4_T5_mT6_T7_P12ihipStream_tbENKUlT_T0_E_clISt17integral_constantIbLb1EES10_IbLb0EEEEDaSW_SX_EUlSW_E_NS1_11comp_targetILNS1_3genE9ELNS1_11target_archE1100ELNS1_3gpuE3ELNS1_3repE0EEENS1_30default_config_static_selectorELNS0_4arch9wavefront6targetE0EEEvT1_,"axG",@progbits,_ZN7rocprim17ROCPRIM_400000_NS6detail17trampoline_kernelINS0_14default_configENS1_27scan_by_key_config_selectorIidEEZZNS1_16scan_by_key_implILNS1_25lookback_scan_determinismE0ELb1ES3_N6thrust23THRUST_200600_302600_NS6detail15normal_iteratorINS9_10device_ptrIiEEEENSB_INSC_IdEEEESG_dNS9_4plusIvEENS9_8equal_toIvEEdEE10hipError_tPvRmT2_T3_T4_T5_mT6_T7_P12ihipStream_tbENKUlT_T0_E_clISt17integral_constantIbLb1EES10_IbLb0EEEEDaSW_SX_EUlSW_E_NS1_11comp_targetILNS1_3genE9ELNS1_11target_archE1100ELNS1_3gpuE3ELNS1_3repE0EEENS1_30default_config_static_selectorELNS0_4arch9wavefront6targetE0EEEvT1_,comdat
.Lfunc_end1416:
	.size	_ZN7rocprim17ROCPRIM_400000_NS6detail17trampoline_kernelINS0_14default_configENS1_27scan_by_key_config_selectorIidEEZZNS1_16scan_by_key_implILNS1_25lookback_scan_determinismE0ELb1ES3_N6thrust23THRUST_200600_302600_NS6detail15normal_iteratorINS9_10device_ptrIiEEEENSB_INSC_IdEEEESG_dNS9_4plusIvEENS9_8equal_toIvEEdEE10hipError_tPvRmT2_T3_T4_T5_mT6_T7_P12ihipStream_tbENKUlT_T0_E_clISt17integral_constantIbLb1EES10_IbLb0EEEEDaSW_SX_EUlSW_E_NS1_11comp_targetILNS1_3genE9ELNS1_11target_archE1100ELNS1_3gpuE3ELNS1_3repE0EEENS1_30default_config_static_selectorELNS0_4arch9wavefront6targetE0EEEvT1_, .Lfunc_end1416-_ZN7rocprim17ROCPRIM_400000_NS6detail17trampoline_kernelINS0_14default_configENS1_27scan_by_key_config_selectorIidEEZZNS1_16scan_by_key_implILNS1_25lookback_scan_determinismE0ELb1ES3_N6thrust23THRUST_200600_302600_NS6detail15normal_iteratorINS9_10device_ptrIiEEEENSB_INSC_IdEEEESG_dNS9_4plusIvEENS9_8equal_toIvEEdEE10hipError_tPvRmT2_T3_T4_T5_mT6_T7_P12ihipStream_tbENKUlT_T0_E_clISt17integral_constantIbLb1EES10_IbLb0EEEEDaSW_SX_EUlSW_E_NS1_11comp_targetILNS1_3genE9ELNS1_11target_archE1100ELNS1_3gpuE3ELNS1_3repE0EEENS1_30default_config_static_selectorELNS0_4arch9wavefront6targetE0EEEvT1_
                                        ; -- End function
	.set _ZN7rocprim17ROCPRIM_400000_NS6detail17trampoline_kernelINS0_14default_configENS1_27scan_by_key_config_selectorIidEEZZNS1_16scan_by_key_implILNS1_25lookback_scan_determinismE0ELb1ES3_N6thrust23THRUST_200600_302600_NS6detail15normal_iteratorINS9_10device_ptrIiEEEENSB_INSC_IdEEEESG_dNS9_4plusIvEENS9_8equal_toIvEEdEE10hipError_tPvRmT2_T3_T4_T5_mT6_T7_P12ihipStream_tbENKUlT_T0_E_clISt17integral_constantIbLb1EES10_IbLb0EEEEDaSW_SX_EUlSW_E_NS1_11comp_targetILNS1_3genE9ELNS1_11target_archE1100ELNS1_3gpuE3ELNS1_3repE0EEENS1_30default_config_static_selectorELNS0_4arch9wavefront6targetE0EEEvT1_.num_vgpr, 0
	.set _ZN7rocprim17ROCPRIM_400000_NS6detail17trampoline_kernelINS0_14default_configENS1_27scan_by_key_config_selectorIidEEZZNS1_16scan_by_key_implILNS1_25lookback_scan_determinismE0ELb1ES3_N6thrust23THRUST_200600_302600_NS6detail15normal_iteratorINS9_10device_ptrIiEEEENSB_INSC_IdEEEESG_dNS9_4plusIvEENS9_8equal_toIvEEdEE10hipError_tPvRmT2_T3_T4_T5_mT6_T7_P12ihipStream_tbENKUlT_T0_E_clISt17integral_constantIbLb1EES10_IbLb0EEEEDaSW_SX_EUlSW_E_NS1_11comp_targetILNS1_3genE9ELNS1_11target_archE1100ELNS1_3gpuE3ELNS1_3repE0EEENS1_30default_config_static_selectorELNS0_4arch9wavefront6targetE0EEEvT1_.num_agpr, 0
	.set _ZN7rocprim17ROCPRIM_400000_NS6detail17trampoline_kernelINS0_14default_configENS1_27scan_by_key_config_selectorIidEEZZNS1_16scan_by_key_implILNS1_25lookback_scan_determinismE0ELb1ES3_N6thrust23THRUST_200600_302600_NS6detail15normal_iteratorINS9_10device_ptrIiEEEENSB_INSC_IdEEEESG_dNS9_4plusIvEENS9_8equal_toIvEEdEE10hipError_tPvRmT2_T3_T4_T5_mT6_T7_P12ihipStream_tbENKUlT_T0_E_clISt17integral_constantIbLb1EES10_IbLb0EEEEDaSW_SX_EUlSW_E_NS1_11comp_targetILNS1_3genE9ELNS1_11target_archE1100ELNS1_3gpuE3ELNS1_3repE0EEENS1_30default_config_static_selectorELNS0_4arch9wavefront6targetE0EEEvT1_.numbered_sgpr, 0
	.set _ZN7rocprim17ROCPRIM_400000_NS6detail17trampoline_kernelINS0_14default_configENS1_27scan_by_key_config_selectorIidEEZZNS1_16scan_by_key_implILNS1_25lookback_scan_determinismE0ELb1ES3_N6thrust23THRUST_200600_302600_NS6detail15normal_iteratorINS9_10device_ptrIiEEEENSB_INSC_IdEEEESG_dNS9_4plusIvEENS9_8equal_toIvEEdEE10hipError_tPvRmT2_T3_T4_T5_mT6_T7_P12ihipStream_tbENKUlT_T0_E_clISt17integral_constantIbLb1EES10_IbLb0EEEEDaSW_SX_EUlSW_E_NS1_11comp_targetILNS1_3genE9ELNS1_11target_archE1100ELNS1_3gpuE3ELNS1_3repE0EEENS1_30default_config_static_selectorELNS0_4arch9wavefront6targetE0EEEvT1_.num_named_barrier, 0
	.set _ZN7rocprim17ROCPRIM_400000_NS6detail17trampoline_kernelINS0_14default_configENS1_27scan_by_key_config_selectorIidEEZZNS1_16scan_by_key_implILNS1_25lookback_scan_determinismE0ELb1ES3_N6thrust23THRUST_200600_302600_NS6detail15normal_iteratorINS9_10device_ptrIiEEEENSB_INSC_IdEEEESG_dNS9_4plusIvEENS9_8equal_toIvEEdEE10hipError_tPvRmT2_T3_T4_T5_mT6_T7_P12ihipStream_tbENKUlT_T0_E_clISt17integral_constantIbLb1EES10_IbLb0EEEEDaSW_SX_EUlSW_E_NS1_11comp_targetILNS1_3genE9ELNS1_11target_archE1100ELNS1_3gpuE3ELNS1_3repE0EEENS1_30default_config_static_selectorELNS0_4arch9wavefront6targetE0EEEvT1_.private_seg_size, 0
	.set _ZN7rocprim17ROCPRIM_400000_NS6detail17trampoline_kernelINS0_14default_configENS1_27scan_by_key_config_selectorIidEEZZNS1_16scan_by_key_implILNS1_25lookback_scan_determinismE0ELb1ES3_N6thrust23THRUST_200600_302600_NS6detail15normal_iteratorINS9_10device_ptrIiEEEENSB_INSC_IdEEEESG_dNS9_4plusIvEENS9_8equal_toIvEEdEE10hipError_tPvRmT2_T3_T4_T5_mT6_T7_P12ihipStream_tbENKUlT_T0_E_clISt17integral_constantIbLb1EES10_IbLb0EEEEDaSW_SX_EUlSW_E_NS1_11comp_targetILNS1_3genE9ELNS1_11target_archE1100ELNS1_3gpuE3ELNS1_3repE0EEENS1_30default_config_static_selectorELNS0_4arch9wavefront6targetE0EEEvT1_.uses_vcc, 0
	.set _ZN7rocprim17ROCPRIM_400000_NS6detail17trampoline_kernelINS0_14default_configENS1_27scan_by_key_config_selectorIidEEZZNS1_16scan_by_key_implILNS1_25lookback_scan_determinismE0ELb1ES3_N6thrust23THRUST_200600_302600_NS6detail15normal_iteratorINS9_10device_ptrIiEEEENSB_INSC_IdEEEESG_dNS9_4plusIvEENS9_8equal_toIvEEdEE10hipError_tPvRmT2_T3_T4_T5_mT6_T7_P12ihipStream_tbENKUlT_T0_E_clISt17integral_constantIbLb1EES10_IbLb0EEEEDaSW_SX_EUlSW_E_NS1_11comp_targetILNS1_3genE9ELNS1_11target_archE1100ELNS1_3gpuE3ELNS1_3repE0EEENS1_30default_config_static_selectorELNS0_4arch9wavefront6targetE0EEEvT1_.uses_flat_scratch, 0
	.set _ZN7rocprim17ROCPRIM_400000_NS6detail17trampoline_kernelINS0_14default_configENS1_27scan_by_key_config_selectorIidEEZZNS1_16scan_by_key_implILNS1_25lookback_scan_determinismE0ELb1ES3_N6thrust23THRUST_200600_302600_NS6detail15normal_iteratorINS9_10device_ptrIiEEEENSB_INSC_IdEEEESG_dNS9_4plusIvEENS9_8equal_toIvEEdEE10hipError_tPvRmT2_T3_T4_T5_mT6_T7_P12ihipStream_tbENKUlT_T0_E_clISt17integral_constantIbLb1EES10_IbLb0EEEEDaSW_SX_EUlSW_E_NS1_11comp_targetILNS1_3genE9ELNS1_11target_archE1100ELNS1_3gpuE3ELNS1_3repE0EEENS1_30default_config_static_selectorELNS0_4arch9wavefront6targetE0EEEvT1_.has_dyn_sized_stack, 0
	.set _ZN7rocprim17ROCPRIM_400000_NS6detail17trampoline_kernelINS0_14default_configENS1_27scan_by_key_config_selectorIidEEZZNS1_16scan_by_key_implILNS1_25lookback_scan_determinismE0ELb1ES3_N6thrust23THRUST_200600_302600_NS6detail15normal_iteratorINS9_10device_ptrIiEEEENSB_INSC_IdEEEESG_dNS9_4plusIvEENS9_8equal_toIvEEdEE10hipError_tPvRmT2_T3_T4_T5_mT6_T7_P12ihipStream_tbENKUlT_T0_E_clISt17integral_constantIbLb1EES10_IbLb0EEEEDaSW_SX_EUlSW_E_NS1_11comp_targetILNS1_3genE9ELNS1_11target_archE1100ELNS1_3gpuE3ELNS1_3repE0EEENS1_30default_config_static_selectorELNS0_4arch9wavefront6targetE0EEEvT1_.has_recursion, 0
	.set _ZN7rocprim17ROCPRIM_400000_NS6detail17trampoline_kernelINS0_14default_configENS1_27scan_by_key_config_selectorIidEEZZNS1_16scan_by_key_implILNS1_25lookback_scan_determinismE0ELb1ES3_N6thrust23THRUST_200600_302600_NS6detail15normal_iteratorINS9_10device_ptrIiEEEENSB_INSC_IdEEEESG_dNS9_4plusIvEENS9_8equal_toIvEEdEE10hipError_tPvRmT2_T3_T4_T5_mT6_T7_P12ihipStream_tbENKUlT_T0_E_clISt17integral_constantIbLb1EES10_IbLb0EEEEDaSW_SX_EUlSW_E_NS1_11comp_targetILNS1_3genE9ELNS1_11target_archE1100ELNS1_3gpuE3ELNS1_3repE0EEENS1_30default_config_static_selectorELNS0_4arch9wavefront6targetE0EEEvT1_.has_indirect_call, 0
	.section	.AMDGPU.csdata,"",@progbits
; Kernel info:
; codeLenInByte = 0
; TotalNumSgprs: 0
; NumVgprs: 0
; ScratchSize: 0
; MemoryBound: 0
; FloatMode: 240
; IeeeMode: 1
; LDSByteSize: 0 bytes/workgroup (compile time only)
; SGPRBlocks: 0
; VGPRBlocks: 0
; NumSGPRsForWavesPerEU: 1
; NumVGPRsForWavesPerEU: 1
; Occupancy: 16
; WaveLimiterHint : 0
; COMPUTE_PGM_RSRC2:SCRATCH_EN: 0
; COMPUTE_PGM_RSRC2:USER_SGPR: 6
; COMPUTE_PGM_RSRC2:TRAP_HANDLER: 0
; COMPUTE_PGM_RSRC2:TGID_X_EN: 1
; COMPUTE_PGM_RSRC2:TGID_Y_EN: 0
; COMPUTE_PGM_RSRC2:TGID_Z_EN: 0
; COMPUTE_PGM_RSRC2:TIDIG_COMP_CNT: 0
	.section	.text._ZN7rocprim17ROCPRIM_400000_NS6detail17trampoline_kernelINS0_14default_configENS1_27scan_by_key_config_selectorIidEEZZNS1_16scan_by_key_implILNS1_25lookback_scan_determinismE0ELb1ES3_N6thrust23THRUST_200600_302600_NS6detail15normal_iteratorINS9_10device_ptrIiEEEENSB_INSC_IdEEEESG_dNS9_4plusIvEENS9_8equal_toIvEEdEE10hipError_tPvRmT2_T3_T4_T5_mT6_T7_P12ihipStream_tbENKUlT_T0_E_clISt17integral_constantIbLb1EES10_IbLb0EEEEDaSW_SX_EUlSW_E_NS1_11comp_targetILNS1_3genE8ELNS1_11target_archE1030ELNS1_3gpuE2ELNS1_3repE0EEENS1_30default_config_static_selectorELNS0_4arch9wavefront6targetE0EEEvT1_,"axG",@progbits,_ZN7rocprim17ROCPRIM_400000_NS6detail17trampoline_kernelINS0_14default_configENS1_27scan_by_key_config_selectorIidEEZZNS1_16scan_by_key_implILNS1_25lookback_scan_determinismE0ELb1ES3_N6thrust23THRUST_200600_302600_NS6detail15normal_iteratorINS9_10device_ptrIiEEEENSB_INSC_IdEEEESG_dNS9_4plusIvEENS9_8equal_toIvEEdEE10hipError_tPvRmT2_T3_T4_T5_mT6_T7_P12ihipStream_tbENKUlT_T0_E_clISt17integral_constantIbLb1EES10_IbLb0EEEEDaSW_SX_EUlSW_E_NS1_11comp_targetILNS1_3genE8ELNS1_11target_archE1030ELNS1_3gpuE2ELNS1_3repE0EEENS1_30default_config_static_selectorELNS0_4arch9wavefront6targetE0EEEvT1_,comdat
	.protected	_ZN7rocprim17ROCPRIM_400000_NS6detail17trampoline_kernelINS0_14default_configENS1_27scan_by_key_config_selectorIidEEZZNS1_16scan_by_key_implILNS1_25lookback_scan_determinismE0ELb1ES3_N6thrust23THRUST_200600_302600_NS6detail15normal_iteratorINS9_10device_ptrIiEEEENSB_INSC_IdEEEESG_dNS9_4plusIvEENS9_8equal_toIvEEdEE10hipError_tPvRmT2_T3_T4_T5_mT6_T7_P12ihipStream_tbENKUlT_T0_E_clISt17integral_constantIbLb1EES10_IbLb0EEEEDaSW_SX_EUlSW_E_NS1_11comp_targetILNS1_3genE8ELNS1_11target_archE1030ELNS1_3gpuE2ELNS1_3repE0EEENS1_30default_config_static_selectorELNS0_4arch9wavefront6targetE0EEEvT1_ ; -- Begin function _ZN7rocprim17ROCPRIM_400000_NS6detail17trampoline_kernelINS0_14default_configENS1_27scan_by_key_config_selectorIidEEZZNS1_16scan_by_key_implILNS1_25lookback_scan_determinismE0ELb1ES3_N6thrust23THRUST_200600_302600_NS6detail15normal_iteratorINS9_10device_ptrIiEEEENSB_INSC_IdEEEESG_dNS9_4plusIvEENS9_8equal_toIvEEdEE10hipError_tPvRmT2_T3_T4_T5_mT6_T7_P12ihipStream_tbENKUlT_T0_E_clISt17integral_constantIbLb1EES10_IbLb0EEEEDaSW_SX_EUlSW_E_NS1_11comp_targetILNS1_3genE8ELNS1_11target_archE1030ELNS1_3gpuE2ELNS1_3repE0EEENS1_30default_config_static_selectorELNS0_4arch9wavefront6targetE0EEEvT1_
	.globl	_ZN7rocprim17ROCPRIM_400000_NS6detail17trampoline_kernelINS0_14default_configENS1_27scan_by_key_config_selectorIidEEZZNS1_16scan_by_key_implILNS1_25lookback_scan_determinismE0ELb1ES3_N6thrust23THRUST_200600_302600_NS6detail15normal_iteratorINS9_10device_ptrIiEEEENSB_INSC_IdEEEESG_dNS9_4plusIvEENS9_8equal_toIvEEdEE10hipError_tPvRmT2_T3_T4_T5_mT6_T7_P12ihipStream_tbENKUlT_T0_E_clISt17integral_constantIbLb1EES10_IbLb0EEEEDaSW_SX_EUlSW_E_NS1_11comp_targetILNS1_3genE8ELNS1_11target_archE1030ELNS1_3gpuE2ELNS1_3repE0EEENS1_30default_config_static_selectorELNS0_4arch9wavefront6targetE0EEEvT1_
	.p2align	8
	.type	_ZN7rocprim17ROCPRIM_400000_NS6detail17trampoline_kernelINS0_14default_configENS1_27scan_by_key_config_selectorIidEEZZNS1_16scan_by_key_implILNS1_25lookback_scan_determinismE0ELb1ES3_N6thrust23THRUST_200600_302600_NS6detail15normal_iteratorINS9_10device_ptrIiEEEENSB_INSC_IdEEEESG_dNS9_4plusIvEENS9_8equal_toIvEEdEE10hipError_tPvRmT2_T3_T4_T5_mT6_T7_P12ihipStream_tbENKUlT_T0_E_clISt17integral_constantIbLb1EES10_IbLb0EEEEDaSW_SX_EUlSW_E_NS1_11comp_targetILNS1_3genE8ELNS1_11target_archE1030ELNS1_3gpuE2ELNS1_3repE0EEENS1_30default_config_static_selectorELNS0_4arch9wavefront6targetE0EEEvT1_,@function
_ZN7rocprim17ROCPRIM_400000_NS6detail17trampoline_kernelINS0_14default_configENS1_27scan_by_key_config_selectorIidEEZZNS1_16scan_by_key_implILNS1_25lookback_scan_determinismE0ELb1ES3_N6thrust23THRUST_200600_302600_NS6detail15normal_iteratorINS9_10device_ptrIiEEEENSB_INSC_IdEEEESG_dNS9_4plusIvEENS9_8equal_toIvEEdEE10hipError_tPvRmT2_T3_T4_T5_mT6_T7_P12ihipStream_tbENKUlT_T0_E_clISt17integral_constantIbLb1EES10_IbLb0EEEEDaSW_SX_EUlSW_E_NS1_11comp_targetILNS1_3genE8ELNS1_11target_archE1030ELNS1_3gpuE2ELNS1_3repE0EEENS1_30default_config_static_selectorELNS0_4arch9wavefront6targetE0EEEvT1_: ; @_ZN7rocprim17ROCPRIM_400000_NS6detail17trampoline_kernelINS0_14default_configENS1_27scan_by_key_config_selectorIidEEZZNS1_16scan_by_key_implILNS1_25lookback_scan_determinismE0ELb1ES3_N6thrust23THRUST_200600_302600_NS6detail15normal_iteratorINS9_10device_ptrIiEEEENSB_INSC_IdEEEESG_dNS9_4plusIvEENS9_8equal_toIvEEdEE10hipError_tPvRmT2_T3_T4_T5_mT6_T7_P12ihipStream_tbENKUlT_T0_E_clISt17integral_constantIbLb1EES10_IbLb0EEEEDaSW_SX_EUlSW_E_NS1_11comp_targetILNS1_3genE8ELNS1_11target_archE1030ELNS1_3gpuE2ELNS1_3repE0EEENS1_30default_config_static_selectorELNS0_4arch9wavefront6targetE0EEEvT1_
; %bb.0:
	s_endpgm
	.section	.rodata,"a",@progbits
	.p2align	6, 0x0
	.amdhsa_kernel _ZN7rocprim17ROCPRIM_400000_NS6detail17trampoline_kernelINS0_14default_configENS1_27scan_by_key_config_selectorIidEEZZNS1_16scan_by_key_implILNS1_25lookback_scan_determinismE0ELb1ES3_N6thrust23THRUST_200600_302600_NS6detail15normal_iteratorINS9_10device_ptrIiEEEENSB_INSC_IdEEEESG_dNS9_4plusIvEENS9_8equal_toIvEEdEE10hipError_tPvRmT2_T3_T4_T5_mT6_T7_P12ihipStream_tbENKUlT_T0_E_clISt17integral_constantIbLb1EES10_IbLb0EEEEDaSW_SX_EUlSW_E_NS1_11comp_targetILNS1_3genE8ELNS1_11target_archE1030ELNS1_3gpuE2ELNS1_3repE0EEENS1_30default_config_static_selectorELNS0_4arch9wavefront6targetE0EEEvT1_
		.amdhsa_group_segment_fixed_size 0
		.amdhsa_private_segment_fixed_size 0
		.amdhsa_kernarg_size 136
		.amdhsa_user_sgpr_count 6
		.amdhsa_user_sgpr_private_segment_buffer 1
		.amdhsa_user_sgpr_dispatch_ptr 0
		.amdhsa_user_sgpr_queue_ptr 0
		.amdhsa_user_sgpr_kernarg_segment_ptr 1
		.amdhsa_user_sgpr_dispatch_id 0
		.amdhsa_user_sgpr_flat_scratch_init 0
		.amdhsa_user_sgpr_private_segment_size 0
		.amdhsa_wavefront_size32 1
		.amdhsa_uses_dynamic_stack 0
		.amdhsa_system_sgpr_private_segment_wavefront_offset 0
		.amdhsa_system_sgpr_workgroup_id_x 1
		.amdhsa_system_sgpr_workgroup_id_y 0
		.amdhsa_system_sgpr_workgroup_id_z 0
		.amdhsa_system_sgpr_workgroup_info 0
		.amdhsa_system_vgpr_workitem_id 0
		.amdhsa_next_free_vgpr 1
		.amdhsa_next_free_sgpr 1
		.amdhsa_reserve_vcc 0
		.amdhsa_reserve_flat_scratch 0
		.amdhsa_float_round_mode_32 0
		.amdhsa_float_round_mode_16_64 0
		.amdhsa_float_denorm_mode_32 3
		.amdhsa_float_denorm_mode_16_64 3
		.amdhsa_dx10_clamp 1
		.amdhsa_ieee_mode 1
		.amdhsa_fp16_overflow 0
		.amdhsa_workgroup_processor_mode 1
		.amdhsa_memory_ordered 1
		.amdhsa_forward_progress 1
		.amdhsa_shared_vgpr_count 0
		.amdhsa_exception_fp_ieee_invalid_op 0
		.amdhsa_exception_fp_denorm_src 0
		.amdhsa_exception_fp_ieee_div_zero 0
		.amdhsa_exception_fp_ieee_overflow 0
		.amdhsa_exception_fp_ieee_underflow 0
		.amdhsa_exception_fp_ieee_inexact 0
		.amdhsa_exception_int_div_zero 0
	.end_amdhsa_kernel
	.section	.text._ZN7rocprim17ROCPRIM_400000_NS6detail17trampoline_kernelINS0_14default_configENS1_27scan_by_key_config_selectorIidEEZZNS1_16scan_by_key_implILNS1_25lookback_scan_determinismE0ELb1ES3_N6thrust23THRUST_200600_302600_NS6detail15normal_iteratorINS9_10device_ptrIiEEEENSB_INSC_IdEEEESG_dNS9_4plusIvEENS9_8equal_toIvEEdEE10hipError_tPvRmT2_T3_T4_T5_mT6_T7_P12ihipStream_tbENKUlT_T0_E_clISt17integral_constantIbLb1EES10_IbLb0EEEEDaSW_SX_EUlSW_E_NS1_11comp_targetILNS1_3genE8ELNS1_11target_archE1030ELNS1_3gpuE2ELNS1_3repE0EEENS1_30default_config_static_selectorELNS0_4arch9wavefront6targetE0EEEvT1_,"axG",@progbits,_ZN7rocprim17ROCPRIM_400000_NS6detail17trampoline_kernelINS0_14default_configENS1_27scan_by_key_config_selectorIidEEZZNS1_16scan_by_key_implILNS1_25lookback_scan_determinismE0ELb1ES3_N6thrust23THRUST_200600_302600_NS6detail15normal_iteratorINS9_10device_ptrIiEEEENSB_INSC_IdEEEESG_dNS9_4plusIvEENS9_8equal_toIvEEdEE10hipError_tPvRmT2_T3_T4_T5_mT6_T7_P12ihipStream_tbENKUlT_T0_E_clISt17integral_constantIbLb1EES10_IbLb0EEEEDaSW_SX_EUlSW_E_NS1_11comp_targetILNS1_3genE8ELNS1_11target_archE1030ELNS1_3gpuE2ELNS1_3repE0EEENS1_30default_config_static_selectorELNS0_4arch9wavefront6targetE0EEEvT1_,comdat
.Lfunc_end1417:
	.size	_ZN7rocprim17ROCPRIM_400000_NS6detail17trampoline_kernelINS0_14default_configENS1_27scan_by_key_config_selectorIidEEZZNS1_16scan_by_key_implILNS1_25lookback_scan_determinismE0ELb1ES3_N6thrust23THRUST_200600_302600_NS6detail15normal_iteratorINS9_10device_ptrIiEEEENSB_INSC_IdEEEESG_dNS9_4plusIvEENS9_8equal_toIvEEdEE10hipError_tPvRmT2_T3_T4_T5_mT6_T7_P12ihipStream_tbENKUlT_T0_E_clISt17integral_constantIbLb1EES10_IbLb0EEEEDaSW_SX_EUlSW_E_NS1_11comp_targetILNS1_3genE8ELNS1_11target_archE1030ELNS1_3gpuE2ELNS1_3repE0EEENS1_30default_config_static_selectorELNS0_4arch9wavefront6targetE0EEEvT1_, .Lfunc_end1417-_ZN7rocprim17ROCPRIM_400000_NS6detail17trampoline_kernelINS0_14default_configENS1_27scan_by_key_config_selectorIidEEZZNS1_16scan_by_key_implILNS1_25lookback_scan_determinismE0ELb1ES3_N6thrust23THRUST_200600_302600_NS6detail15normal_iteratorINS9_10device_ptrIiEEEENSB_INSC_IdEEEESG_dNS9_4plusIvEENS9_8equal_toIvEEdEE10hipError_tPvRmT2_T3_T4_T5_mT6_T7_P12ihipStream_tbENKUlT_T0_E_clISt17integral_constantIbLb1EES10_IbLb0EEEEDaSW_SX_EUlSW_E_NS1_11comp_targetILNS1_3genE8ELNS1_11target_archE1030ELNS1_3gpuE2ELNS1_3repE0EEENS1_30default_config_static_selectorELNS0_4arch9wavefront6targetE0EEEvT1_
                                        ; -- End function
	.set _ZN7rocprim17ROCPRIM_400000_NS6detail17trampoline_kernelINS0_14default_configENS1_27scan_by_key_config_selectorIidEEZZNS1_16scan_by_key_implILNS1_25lookback_scan_determinismE0ELb1ES3_N6thrust23THRUST_200600_302600_NS6detail15normal_iteratorINS9_10device_ptrIiEEEENSB_INSC_IdEEEESG_dNS9_4plusIvEENS9_8equal_toIvEEdEE10hipError_tPvRmT2_T3_T4_T5_mT6_T7_P12ihipStream_tbENKUlT_T0_E_clISt17integral_constantIbLb1EES10_IbLb0EEEEDaSW_SX_EUlSW_E_NS1_11comp_targetILNS1_3genE8ELNS1_11target_archE1030ELNS1_3gpuE2ELNS1_3repE0EEENS1_30default_config_static_selectorELNS0_4arch9wavefront6targetE0EEEvT1_.num_vgpr, 0
	.set _ZN7rocprim17ROCPRIM_400000_NS6detail17trampoline_kernelINS0_14default_configENS1_27scan_by_key_config_selectorIidEEZZNS1_16scan_by_key_implILNS1_25lookback_scan_determinismE0ELb1ES3_N6thrust23THRUST_200600_302600_NS6detail15normal_iteratorINS9_10device_ptrIiEEEENSB_INSC_IdEEEESG_dNS9_4plusIvEENS9_8equal_toIvEEdEE10hipError_tPvRmT2_T3_T4_T5_mT6_T7_P12ihipStream_tbENKUlT_T0_E_clISt17integral_constantIbLb1EES10_IbLb0EEEEDaSW_SX_EUlSW_E_NS1_11comp_targetILNS1_3genE8ELNS1_11target_archE1030ELNS1_3gpuE2ELNS1_3repE0EEENS1_30default_config_static_selectorELNS0_4arch9wavefront6targetE0EEEvT1_.num_agpr, 0
	.set _ZN7rocprim17ROCPRIM_400000_NS6detail17trampoline_kernelINS0_14default_configENS1_27scan_by_key_config_selectorIidEEZZNS1_16scan_by_key_implILNS1_25lookback_scan_determinismE0ELb1ES3_N6thrust23THRUST_200600_302600_NS6detail15normal_iteratorINS9_10device_ptrIiEEEENSB_INSC_IdEEEESG_dNS9_4plusIvEENS9_8equal_toIvEEdEE10hipError_tPvRmT2_T3_T4_T5_mT6_T7_P12ihipStream_tbENKUlT_T0_E_clISt17integral_constantIbLb1EES10_IbLb0EEEEDaSW_SX_EUlSW_E_NS1_11comp_targetILNS1_3genE8ELNS1_11target_archE1030ELNS1_3gpuE2ELNS1_3repE0EEENS1_30default_config_static_selectorELNS0_4arch9wavefront6targetE0EEEvT1_.numbered_sgpr, 0
	.set _ZN7rocprim17ROCPRIM_400000_NS6detail17trampoline_kernelINS0_14default_configENS1_27scan_by_key_config_selectorIidEEZZNS1_16scan_by_key_implILNS1_25lookback_scan_determinismE0ELb1ES3_N6thrust23THRUST_200600_302600_NS6detail15normal_iteratorINS9_10device_ptrIiEEEENSB_INSC_IdEEEESG_dNS9_4plusIvEENS9_8equal_toIvEEdEE10hipError_tPvRmT2_T3_T4_T5_mT6_T7_P12ihipStream_tbENKUlT_T0_E_clISt17integral_constantIbLb1EES10_IbLb0EEEEDaSW_SX_EUlSW_E_NS1_11comp_targetILNS1_3genE8ELNS1_11target_archE1030ELNS1_3gpuE2ELNS1_3repE0EEENS1_30default_config_static_selectorELNS0_4arch9wavefront6targetE0EEEvT1_.num_named_barrier, 0
	.set _ZN7rocprim17ROCPRIM_400000_NS6detail17trampoline_kernelINS0_14default_configENS1_27scan_by_key_config_selectorIidEEZZNS1_16scan_by_key_implILNS1_25lookback_scan_determinismE0ELb1ES3_N6thrust23THRUST_200600_302600_NS6detail15normal_iteratorINS9_10device_ptrIiEEEENSB_INSC_IdEEEESG_dNS9_4plusIvEENS9_8equal_toIvEEdEE10hipError_tPvRmT2_T3_T4_T5_mT6_T7_P12ihipStream_tbENKUlT_T0_E_clISt17integral_constantIbLb1EES10_IbLb0EEEEDaSW_SX_EUlSW_E_NS1_11comp_targetILNS1_3genE8ELNS1_11target_archE1030ELNS1_3gpuE2ELNS1_3repE0EEENS1_30default_config_static_selectorELNS0_4arch9wavefront6targetE0EEEvT1_.private_seg_size, 0
	.set _ZN7rocprim17ROCPRIM_400000_NS6detail17trampoline_kernelINS0_14default_configENS1_27scan_by_key_config_selectorIidEEZZNS1_16scan_by_key_implILNS1_25lookback_scan_determinismE0ELb1ES3_N6thrust23THRUST_200600_302600_NS6detail15normal_iteratorINS9_10device_ptrIiEEEENSB_INSC_IdEEEESG_dNS9_4plusIvEENS9_8equal_toIvEEdEE10hipError_tPvRmT2_T3_T4_T5_mT6_T7_P12ihipStream_tbENKUlT_T0_E_clISt17integral_constantIbLb1EES10_IbLb0EEEEDaSW_SX_EUlSW_E_NS1_11comp_targetILNS1_3genE8ELNS1_11target_archE1030ELNS1_3gpuE2ELNS1_3repE0EEENS1_30default_config_static_selectorELNS0_4arch9wavefront6targetE0EEEvT1_.uses_vcc, 0
	.set _ZN7rocprim17ROCPRIM_400000_NS6detail17trampoline_kernelINS0_14default_configENS1_27scan_by_key_config_selectorIidEEZZNS1_16scan_by_key_implILNS1_25lookback_scan_determinismE0ELb1ES3_N6thrust23THRUST_200600_302600_NS6detail15normal_iteratorINS9_10device_ptrIiEEEENSB_INSC_IdEEEESG_dNS9_4plusIvEENS9_8equal_toIvEEdEE10hipError_tPvRmT2_T3_T4_T5_mT6_T7_P12ihipStream_tbENKUlT_T0_E_clISt17integral_constantIbLb1EES10_IbLb0EEEEDaSW_SX_EUlSW_E_NS1_11comp_targetILNS1_3genE8ELNS1_11target_archE1030ELNS1_3gpuE2ELNS1_3repE0EEENS1_30default_config_static_selectorELNS0_4arch9wavefront6targetE0EEEvT1_.uses_flat_scratch, 0
	.set _ZN7rocprim17ROCPRIM_400000_NS6detail17trampoline_kernelINS0_14default_configENS1_27scan_by_key_config_selectorIidEEZZNS1_16scan_by_key_implILNS1_25lookback_scan_determinismE0ELb1ES3_N6thrust23THRUST_200600_302600_NS6detail15normal_iteratorINS9_10device_ptrIiEEEENSB_INSC_IdEEEESG_dNS9_4plusIvEENS9_8equal_toIvEEdEE10hipError_tPvRmT2_T3_T4_T5_mT6_T7_P12ihipStream_tbENKUlT_T0_E_clISt17integral_constantIbLb1EES10_IbLb0EEEEDaSW_SX_EUlSW_E_NS1_11comp_targetILNS1_3genE8ELNS1_11target_archE1030ELNS1_3gpuE2ELNS1_3repE0EEENS1_30default_config_static_selectorELNS0_4arch9wavefront6targetE0EEEvT1_.has_dyn_sized_stack, 0
	.set _ZN7rocprim17ROCPRIM_400000_NS6detail17trampoline_kernelINS0_14default_configENS1_27scan_by_key_config_selectorIidEEZZNS1_16scan_by_key_implILNS1_25lookback_scan_determinismE0ELb1ES3_N6thrust23THRUST_200600_302600_NS6detail15normal_iteratorINS9_10device_ptrIiEEEENSB_INSC_IdEEEESG_dNS9_4plusIvEENS9_8equal_toIvEEdEE10hipError_tPvRmT2_T3_T4_T5_mT6_T7_P12ihipStream_tbENKUlT_T0_E_clISt17integral_constantIbLb1EES10_IbLb0EEEEDaSW_SX_EUlSW_E_NS1_11comp_targetILNS1_3genE8ELNS1_11target_archE1030ELNS1_3gpuE2ELNS1_3repE0EEENS1_30default_config_static_selectorELNS0_4arch9wavefront6targetE0EEEvT1_.has_recursion, 0
	.set _ZN7rocprim17ROCPRIM_400000_NS6detail17trampoline_kernelINS0_14default_configENS1_27scan_by_key_config_selectorIidEEZZNS1_16scan_by_key_implILNS1_25lookback_scan_determinismE0ELb1ES3_N6thrust23THRUST_200600_302600_NS6detail15normal_iteratorINS9_10device_ptrIiEEEENSB_INSC_IdEEEESG_dNS9_4plusIvEENS9_8equal_toIvEEdEE10hipError_tPvRmT2_T3_T4_T5_mT6_T7_P12ihipStream_tbENKUlT_T0_E_clISt17integral_constantIbLb1EES10_IbLb0EEEEDaSW_SX_EUlSW_E_NS1_11comp_targetILNS1_3genE8ELNS1_11target_archE1030ELNS1_3gpuE2ELNS1_3repE0EEENS1_30default_config_static_selectorELNS0_4arch9wavefront6targetE0EEEvT1_.has_indirect_call, 0
	.section	.AMDGPU.csdata,"",@progbits
; Kernel info:
; codeLenInByte = 4
; TotalNumSgprs: 0
; NumVgprs: 0
; ScratchSize: 0
; MemoryBound: 0
; FloatMode: 240
; IeeeMode: 1
; LDSByteSize: 0 bytes/workgroup (compile time only)
; SGPRBlocks: 0
; VGPRBlocks: 0
; NumSGPRsForWavesPerEU: 1
; NumVGPRsForWavesPerEU: 1
; Occupancy: 16
; WaveLimiterHint : 0
; COMPUTE_PGM_RSRC2:SCRATCH_EN: 0
; COMPUTE_PGM_RSRC2:USER_SGPR: 6
; COMPUTE_PGM_RSRC2:TRAP_HANDLER: 0
; COMPUTE_PGM_RSRC2:TGID_X_EN: 1
; COMPUTE_PGM_RSRC2:TGID_Y_EN: 0
; COMPUTE_PGM_RSRC2:TGID_Z_EN: 0
; COMPUTE_PGM_RSRC2:TIDIG_COMP_CNT: 0
	.section	.text._ZN7rocprim17ROCPRIM_400000_NS6detail17trampoline_kernelINS0_14default_configENS1_27scan_by_key_config_selectorIidEEZZNS1_16scan_by_key_implILNS1_25lookback_scan_determinismE0ELb1ES3_N6thrust23THRUST_200600_302600_NS6detail15normal_iteratorINS9_10device_ptrIiEEEENSB_INSC_IdEEEESG_dNS9_4plusIvEENS9_8equal_toIvEEdEE10hipError_tPvRmT2_T3_T4_T5_mT6_T7_P12ihipStream_tbENKUlT_T0_E_clISt17integral_constantIbLb0EES10_IbLb1EEEEDaSW_SX_EUlSW_E_NS1_11comp_targetILNS1_3genE0ELNS1_11target_archE4294967295ELNS1_3gpuE0ELNS1_3repE0EEENS1_30default_config_static_selectorELNS0_4arch9wavefront6targetE0EEEvT1_,"axG",@progbits,_ZN7rocprim17ROCPRIM_400000_NS6detail17trampoline_kernelINS0_14default_configENS1_27scan_by_key_config_selectorIidEEZZNS1_16scan_by_key_implILNS1_25lookback_scan_determinismE0ELb1ES3_N6thrust23THRUST_200600_302600_NS6detail15normal_iteratorINS9_10device_ptrIiEEEENSB_INSC_IdEEEESG_dNS9_4plusIvEENS9_8equal_toIvEEdEE10hipError_tPvRmT2_T3_T4_T5_mT6_T7_P12ihipStream_tbENKUlT_T0_E_clISt17integral_constantIbLb0EES10_IbLb1EEEEDaSW_SX_EUlSW_E_NS1_11comp_targetILNS1_3genE0ELNS1_11target_archE4294967295ELNS1_3gpuE0ELNS1_3repE0EEENS1_30default_config_static_selectorELNS0_4arch9wavefront6targetE0EEEvT1_,comdat
	.protected	_ZN7rocprim17ROCPRIM_400000_NS6detail17trampoline_kernelINS0_14default_configENS1_27scan_by_key_config_selectorIidEEZZNS1_16scan_by_key_implILNS1_25lookback_scan_determinismE0ELb1ES3_N6thrust23THRUST_200600_302600_NS6detail15normal_iteratorINS9_10device_ptrIiEEEENSB_INSC_IdEEEESG_dNS9_4plusIvEENS9_8equal_toIvEEdEE10hipError_tPvRmT2_T3_T4_T5_mT6_T7_P12ihipStream_tbENKUlT_T0_E_clISt17integral_constantIbLb0EES10_IbLb1EEEEDaSW_SX_EUlSW_E_NS1_11comp_targetILNS1_3genE0ELNS1_11target_archE4294967295ELNS1_3gpuE0ELNS1_3repE0EEENS1_30default_config_static_selectorELNS0_4arch9wavefront6targetE0EEEvT1_ ; -- Begin function _ZN7rocprim17ROCPRIM_400000_NS6detail17trampoline_kernelINS0_14default_configENS1_27scan_by_key_config_selectorIidEEZZNS1_16scan_by_key_implILNS1_25lookback_scan_determinismE0ELb1ES3_N6thrust23THRUST_200600_302600_NS6detail15normal_iteratorINS9_10device_ptrIiEEEENSB_INSC_IdEEEESG_dNS9_4plusIvEENS9_8equal_toIvEEdEE10hipError_tPvRmT2_T3_T4_T5_mT6_T7_P12ihipStream_tbENKUlT_T0_E_clISt17integral_constantIbLb0EES10_IbLb1EEEEDaSW_SX_EUlSW_E_NS1_11comp_targetILNS1_3genE0ELNS1_11target_archE4294967295ELNS1_3gpuE0ELNS1_3repE0EEENS1_30default_config_static_selectorELNS0_4arch9wavefront6targetE0EEEvT1_
	.globl	_ZN7rocprim17ROCPRIM_400000_NS6detail17trampoline_kernelINS0_14default_configENS1_27scan_by_key_config_selectorIidEEZZNS1_16scan_by_key_implILNS1_25lookback_scan_determinismE0ELb1ES3_N6thrust23THRUST_200600_302600_NS6detail15normal_iteratorINS9_10device_ptrIiEEEENSB_INSC_IdEEEESG_dNS9_4plusIvEENS9_8equal_toIvEEdEE10hipError_tPvRmT2_T3_T4_T5_mT6_T7_P12ihipStream_tbENKUlT_T0_E_clISt17integral_constantIbLb0EES10_IbLb1EEEEDaSW_SX_EUlSW_E_NS1_11comp_targetILNS1_3genE0ELNS1_11target_archE4294967295ELNS1_3gpuE0ELNS1_3repE0EEENS1_30default_config_static_selectorELNS0_4arch9wavefront6targetE0EEEvT1_
	.p2align	8
	.type	_ZN7rocprim17ROCPRIM_400000_NS6detail17trampoline_kernelINS0_14default_configENS1_27scan_by_key_config_selectorIidEEZZNS1_16scan_by_key_implILNS1_25lookback_scan_determinismE0ELb1ES3_N6thrust23THRUST_200600_302600_NS6detail15normal_iteratorINS9_10device_ptrIiEEEENSB_INSC_IdEEEESG_dNS9_4plusIvEENS9_8equal_toIvEEdEE10hipError_tPvRmT2_T3_T4_T5_mT6_T7_P12ihipStream_tbENKUlT_T0_E_clISt17integral_constantIbLb0EES10_IbLb1EEEEDaSW_SX_EUlSW_E_NS1_11comp_targetILNS1_3genE0ELNS1_11target_archE4294967295ELNS1_3gpuE0ELNS1_3repE0EEENS1_30default_config_static_selectorELNS0_4arch9wavefront6targetE0EEEvT1_,@function
_ZN7rocprim17ROCPRIM_400000_NS6detail17trampoline_kernelINS0_14default_configENS1_27scan_by_key_config_selectorIidEEZZNS1_16scan_by_key_implILNS1_25lookback_scan_determinismE0ELb1ES3_N6thrust23THRUST_200600_302600_NS6detail15normal_iteratorINS9_10device_ptrIiEEEENSB_INSC_IdEEEESG_dNS9_4plusIvEENS9_8equal_toIvEEdEE10hipError_tPvRmT2_T3_T4_T5_mT6_T7_P12ihipStream_tbENKUlT_T0_E_clISt17integral_constantIbLb0EES10_IbLb1EEEEDaSW_SX_EUlSW_E_NS1_11comp_targetILNS1_3genE0ELNS1_11target_archE4294967295ELNS1_3gpuE0ELNS1_3repE0EEENS1_30default_config_static_selectorELNS0_4arch9wavefront6targetE0EEEvT1_: ; @_ZN7rocprim17ROCPRIM_400000_NS6detail17trampoline_kernelINS0_14default_configENS1_27scan_by_key_config_selectorIidEEZZNS1_16scan_by_key_implILNS1_25lookback_scan_determinismE0ELb1ES3_N6thrust23THRUST_200600_302600_NS6detail15normal_iteratorINS9_10device_ptrIiEEEENSB_INSC_IdEEEESG_dNS9_4plusIvEENS9_8equal_toIvEEdEE10hipError_tPvRmT2_T3_T4_T5_mT6_T7_P12ihipStream_tbENKUlT_T0_E_clISt17integral_constantIbLb0EES10_IbLb1EEEEDaSW_SX_EUlSW_E_NS1_11comp_targetILNS1_3genE0ELNS1_11target_archE4294967295ELNS1_3gpuE0ELNS1_3repE0EEENS1_30default_config_static_selectorELNS0_4arch9wavefront6targetE0EEEvT1_
; %bb.0:
	.section	.rodata,"a",@progbits
	.p2align	6, 0x0
	.amdhsa_kernel _ZN7rocprim17ROCPRIM_400000_NS6detail17trampoline_kernelINS0_14default_configENS1_27scan_by_key_config_selectorIidEEZZNS1_16scan_by_key_implILNS1_25lookback_scan_determinismE0ELb1ES3_N6thrust23THRUST_200600_302600_NS6detail15normal_iteratorINS9_10device_ptrIiEEEENSB_INSC_IdEEEESG_dNS9_4plusIvEENS9_8equal_toIvEEdEE10hipError_tPvRmT2_T3_T4_T5_mT6_T7_P12ihipStream_tbENKUlT_T0_E_clISt17integral_constantIbLb0EES10_IbLb1EEEEDaSW_SX_EUlSW_E_NS1_11comp_targetILNS1_3genE0ELNS1_11target_archE4294967295ELNS1_3gpuE0ELNS1_3repE0EEENS1_30default_config_static_selectorELNS0_4arch9wavefront6targetE0EEEvT1_
		.amdhsa_group_segment_fixed_size 0
		.amdhsa_private_segment_fixed_size 0
		.amdhsa_kernarg_size 136
		.amdhsa_user_sgpr_count 6
		.amdhsa_user_sgpr_private_segment_buffer 1
		.amdhsa_user_sgpr_dispatch_ptr 0
		.amdhsa_user_sgpr_queue_ptr 0
		.amdhsa_user_sgpr_kernarg_segment_ptr 1
		.amdhsa_user_sgpr_dispatch_id 0
		.amdhsa_user_sgpr_flat_scratch_init 0
		.amdhsa_user_sgpr_private_segment_size 0
		.amdhsa_wavefront_size32 1
		.amdhsa_uses_dynamic_stack 0
		.amdhsa_system_sgpr_private_segment_wavefront_offset 0
		.amdhsa_system_sgpr_workgroup_id_x 1
		.amdhsa_system_sgpr_workgroup_id_y 0
		.amdhsa_system_sgpr_workgroup_id_z 0
		.amdhsa_system_sgpr_workgroup_info 0
		.amdhsa_system_vgpr_workitem_id 0
		.amdhsa_next_free_vgpr 1
		.amdhsa_next_free_sgpr 1
		.amdhsa_reserve_vcc 0
		.amdhsa_reserve_flat_scratch 0
		.amdhsa_float_round_mode_32 0
		.amdhsa_float_round_mode_16_64 0
		.amdhsa_float_denorm_mode_32 3
		.amdhsa_float_denorm_mode_16_64 3
		.amdhsa_dx10_clamp 1
		.amdhsa_ieee_mode 1
		.amdhsa_fp16_overflow 0
		.amdhsa_workgroup_processor_mode 1
		.amdhsa_memory_ordered 1
		.amdhsa_forward_progress 1
		.amdhsa_shared_vgpr_count 0
		.amdhsa_exception_fp_ieee_invalid_op 0
		.amdhsa_exception_fp_denorm_src 0
		.amdhsa_exception_fp_ieee_div_zero 0
		.amdhsa_exception_fp_ieee_overflow 0
		.amdhsa_exception_fp_ieee_underflow 0
		.amdhsa_exception_fp_ieee_inexact 0
		.amdhsa_exception_int_div_zero 0
	.end_amdhsa_kernel
	.section	.text._ZN7rocprim17ROCPRIM_400000_NS6detail17trampoline_kernelINS0_14default_configENS1_27scan_by_key_config_selectorIidEEZZNS1_16scan_by_key_implILNS1_25lookback_scan_determinismE0ELb1ES3_N6thrust23THRUST_200600_302600_NS6detail15normal_iteratorINS9_10device_ptrIiEEEENSB_INSC_IdEEEESG_dNS9_4plusIvEENS9_8equal_toIvEEdEE10hipError_tPvRmT2_T3_T4_T5_mT6_T7_P12ihipStream_tbENKUlT_T0_E_clISt17integral_constantIbLb0EES10_IbLb1EEEEDaSW_SX_EUlSW_E_NS1_11comp_targetILNS1_3genE0ELNS1_11target_archE4294967295ELNS1_3gpuE0ELNS1_3repE0EEENS1_30default_config_static_selectorELNS0_4arch9wavefront6targetE0EEEvT1_,"axG",@progbits,_ZN7rocprim17ROCPRIM_400000_NS6detail17trampoline_kernelINS0_14default_configENS1_27scan_by_key_config_selectorIidEEZZNS1_16scan_by_key_implILNS1_25lookback_scan_determinismE0ELb1ES3_N6thrust23THRUST_200600_302600_NS6detail15normal_iteratorINS9_10device_ptrIiEEEENSB_INSC_IdEEEESG_dNS9_4plusIvEENS9_8equal_toIvEEdEE10hipError_tPvRmT2_T3_T4_T5_mT6_T7_P12ihipStream_tbENKUlT_T0_E_clISt17integral_constantIbLb0EES10_IbLb1EEEEDaSW_SX_EUlSW_E_NS1_11comp_targetILNS1_3genE0ELNS1_11target_archE4294967295ELNS1_3gpuE0ELNS1_3repE0EEENS1_30default_config_static_selectorELNS0_4arch9wavefront6targetE0EEEvT1_,comdat
.Lfunc_end1418:
	.size	_ZN7rocprim17ROCPRIM_400000_NS6detail17trampoline_kernelINS0_14default_configENS1_27scan_by_key_config_selectorIidEEZZNS1_16scan_by_key_implILNS1_25lookback_scan_determinismE0ELb1ES3_N6thrust23THRUST_200600_302600_NS6detail15normal_iteratorINS9_10device_ptrIiEEEENSB_INSC_IdEEEESG_dNS9_4plusIvEENS9_8equal_toIvEEdEE10hipError_tPvRmT2_T3_T4_T5_mT6_T7_P12ihipStream_tbENKUlT_T0_E_clISt17integral_constantIbLb0EES10_IbLb1EEEEDaSW_SX_EUlSW_E_NS1_11comp_targetILNS1_3genE0ELNS1_11target_archE4294967295ELNS1_3gpuE0ELNS1_3repE0EEENS1_30default_config_static_selectorELNS0_4arch9wavefront6targetE0EEEvT1_, .Lfunc_end1418-_ZN7rocprim17ROCPRIM_400000_NS6detail17trampoline_kernelINS0_14default_configENS1_27scan_by_key_config_selectorIidEEZZNS1_16scan_by_key_implILNS1_25lookback_scan_determinismE0ELb1ES3_N6thrust23THRUST_200600_302600_NS6detail15normal_iteratorINS9_10device_ptrIiEEEENSB_INSC_IdEEEESG_dNS9_4plusIvEENS9_8equal_toIvEEdEE10hipError_tPvRmT2_T3_T4_T5_mT6_T7_P12ihipStream_tbENKUlT_T0_E_clISt17integral_constantIbLb0EES10_IbLb1EEEEDaSW_SX_EUlSW_E_NS1_11comp_targetILNS1_3genE0ELNS1_11target_archE4294967295ELNS1_3gpuE0ELNS1_3repE0EEENS1_30default_config_static_selectorELNS0_4arch9wavefront6targetE0EEEvT1_
                                        ; -- End function
	.set _ZN7rocprim17ROCPRIM_400000_NS6detail17trampoline_kernelINS0_14default_configENS1_27scan_by_key_config_selectorIidEEZZNS1_16scan_by_key_implILNS1_25lookback_scan_determinismE0ELb1ES3_N6thrust23THRUST_200600_302600_NS6detail15normal_iteratorINS9_10device_ptrIiEEEENSB_INSC_IdEEEESG_dNS9_4plusIvEENS9_8equal_toIvEEdEE10hipError_tPvRmT2_T3_T4_T5_mT6_T7_P12ihipStream_tbENKUlT_T0_E_clISt17integral_constantIbLb0EES10_IbLb1EEEEDaSW_SX_EUlSW_E_NS1_11comp_targetILNS1_3genE0ELNS1_11target_archE4294967295ELNS1_3gpuE0ELNS1_3repE0EEENS1_30default_config_static_selectorELNS0_4arch9wavefront6targetE0EEEvT1_.num_vgpr, 0
	.set _ZN7rocprim17ROCPRIM_400000_NS6detail17trampoline_kernelINS0_14default_configENS1_27scan_by_key_config_selectorIidEEZZNS1_16scan_by_key_implILNS1_25lookback_scan_determinismE0ELb1ES3_N6thrust23THRUST_200600_302600_NS6detail15normal_iteratorINS9_10device_ptrIiEEEENSB_INSC_IdEEEESG_dNS9_4plusIvEENS9_8equal_toIvEEdEE10hipError_tPvRmT2_T3_T4_T5_mT6_T7_P12ihipStream_tbENKUlT_T0_E_clISt17integral_constantIbLb0EES10_IbLb1EEEEDaSW_SX_EUlSW_E_NS1_11comp_targetILNS1_3genE0ELNS1_11target_archE4294967295ELNS1_3gpuE0ELNS1_3repE0EEENS1_30default_config_static_selectorELNS0_4arch9wavefront6targetE0EEEvT1_.num_agpr, 0
	.set _ZN7rocprim17ROCPRIM_400000_NS6detail17trampoline_kernelINS0_14default_configENS1_27scan_by_key_config_selectorIidEEZZNS1_16scan_by_key_implILNS1_25lookback_scan_determinismE0ELb1ES3_N6thrust23THRUST_200600_302600_NS6detail15normal_iteratorINS9_10device_ptrIiEEEENSB_INSC_IdEEEESG_dNS9_4plusIvEENS9_8equal_toIvEEdEE10hipError_tPvRmT2_T3_T4_T5_mT6_T7_P12ihipStream_tbENKUlT_T0_E_clISt17integral_constantIbLb0EES10_IbLb1EEEEDaSW_SX_EUlSW_E_NS1_11comp_targetILNS1_3genE0ELNS1_11target_archE4294967295ELNS1_3gpuE0ELNS1_3repE0EEENS1_30default_config_static_selectorELNS0_4arch9wavefront6targetE0EEEvT1_.numbered_sgpr, 0
	.set _ZN7rocprim17ROCPRIM_400000_NS6detail17trampoline_kernelINS0_14default_configENS1_27scan_by_key_config_selectorIidEEZZNS1_16scan_by_key_implILNS1_25lookback_scan_determinismE0ELb1ES3_N6thrust23THRUST_200600_302600_NS6detail15normal_iteratorINS9_10device_ptrIiEEEENSB_INSC_IdEEEESG_dNS9_4plusIvEENS9_8equal_toIvEEdEE10hipError_tPvRmT2_T3_T4_T5_mT6_T7_P12ihipStream_tbENKUlT_T0_E_clISt17integral_constantIbLb0EES10_IbLb1EEEEDaSW_SX_EUlSW_E_NS1_11comp_targetILNS1_3genE0ELNS1_11target_archE4294967295ELNS1_3gpuE0ELNS1_3repE0EEENS1_30default_config_static_selectorELNS0_4arch9wavefront6targetE0EEEvT1_.num_named_barrier, 0
	.set _ZN7rocprim17ROCPRIM_400000_NS6detail17trampoline_kernelINS0_14default_configENS1_27scan_by_key_config_selectorIidEEZZNS1_16scan_by_key_implILNS1_25lookback_scan_determinismE0ELb1ES3_N6thrust23THRUST_200600_302600_NS6detail15normal_iteratorINS9_10device_ptrIiEEEENSB_INSC_IdEEEESG_dNS9_4plusIvEENS9_8equal_toIvEEdEE10hipError_tPvRmT2_T3_T4_T5_mT6_T7_P12ihipStream_tbENKUlT_T0_E_clISt17integral_constantIbLb0EES10_IbLb1EEEEDaSW_SX_EUlSW_E_NS1_11comp_targetILNS1_3genE0ELNS1_11target_archE4294967295ELNS1_3gpuE0ELNS1_3repE0EEENS1_30default_config_static_selectorELNS0_4arch9wavefront6targetE0EEEvT1_.private_seg_size, 0
	.set _ZN7rocprim17ROCPRIM_400000_NS6detail17trampoline_kernelINS0_14default_configENS1_27scan_by_key_config_selectorIidEEZZNS1_16scan_by_key_implILNS1_25lookback_scan_determinismE0ELb1ES3_N6thrust23THRUST_200600_302600_NS6detail15normal_iteratorINS9_10device_ptrIiEEEENSB_INSC_IdEEEESG_dNS9_4plusIvEENS9_8equal_toIvEEdEE10hipError_tPvRmT2_T3_T4_T5_mT6_T7_P12ihipStream_tbENKUlT_T0_E_clISt17integral_constantIbLb0EES10_IbLb1EEEEDaSW_SX_EUlSW_E_NS1_11comp_targetILNS1_3genE0ELNS1_11target_archE4294967295ELNS1_3gpuE0ELNS1_3repE0EEENS1_30default_config_static_selectorELNS0_4arch9wavefront6targetE0EEEvT1_.uses_vcc, 0
	.set _ZN7rocprim17ROCPRIM_400000_NS6detail17trampoline_kernelINS0_14default_configENS1_27scan_by_key_config_selectorIidEEZZNS1_16scan_by_key_implILNS1_25lookback_scan_determinismE0ELb1ES3_N6thrust23THRUST_200600_302600_NS6detail15normal_iteratorINS9_10device_ptrIiEEEENSB_INSC_IdEEEESG_dNS9_4plusIvEENS9_8equal_toIvEEdEE10hipError_tPvRmT2_T3_T4_T5_mT6_T7_P12ihipStream_tbENKUlT_T0_E_clISt17integral_constantIbLb0EES10_IbLb1EEEEDaSW_SX_EUlSW_E_NS1_11comp_targetILNS1_3genE0ELNS1_11target_archE4294967295ELNS1_3gpuE0ELNS1_3repE0EEENS1_30default_config_static_selectorELNS0_4arch9wavefront6targetE0EEEvT1_.uses_flat_scratch, 0
	.set _ZN7rocprim17ROCPRIM_400000_NS6detail17trampoline_kernelINS0_14default_configENS1_27scan_by_key_config_selectorIidEEZZNS1_16scan_by_key_implILNS1_25lookback_scan_determinismE0ELb1ES3_N6thrust23THRUST_200600_302600_NS6detail15normal_iteratorINS9_10device_ptrIiEEEENSB_INSC_IdEEEESG_dNS9_4plusIvEENS9_8equal_toIvEEdEE10hipError_tPvRmT2_T3_T4_T5_mT6_T7_P12ihipStream_tbENKUlT_T0_E_clISt17integral_constantIbLb0EES10_IbLb1EEEEDaSW_SX_EUlSW_E_NS1_11comp_targetILNS1_3genE0ELNS1_11target_archE4294967295ELNS1_3gpuE0ELNS1_3repE0EEENS1_30default_config_static_selectorELNS0_4arch9wavefront6targetE0EEEvT1_.has_dyn_sized_stack, 0
	.set _ZN7rocprim17ROCPRIM_400000_NS6detail17trampoline_kernelINS0_14default_configENS1_27scan_by_key_config_selectorIidEEZZNS1_16scan_by_key_implILNS1_25lookback_scan_determinismE0ELb1ES3_N6thrust23THRUST_200600_302600_NS6detail15normal_iteratorINS9_10device_ptrIiEEEENSB_INSC_IdEEEESG_dNS9_4plusIvEENS9_8equal_toIvEEdEE10hipError_tPvRmT2_T3_T4_T5_mT6_T7_P12ihipStream_tbENKUlT_T0_E_clISt17integral_constantIbLb0EES10_IbLb1EEEEDaSW_SX_EUlSW_E_NS1_11comp_targetILNS1_3genE0ELNS1_11target_archE4294967295ELNS1_3gpuE0ELNS1_3repE0EEENS1_30default_config_static_selectorELNS0_4arch9wavefront6targetE0EEEvT1_.has_recursion, 0
	.set _ZN7rocprim17ROCPRIM_400000_NS6detail17trampoline_kernelINS0_14default_configENS1_27scan_by_key_config_selectorIidEEZZNS1_16scan_by_key_implILNS1_25lookback_scan_determinismE0ELb1ES3_N6thrust23THRUST_200600_302600_NS6detail15normal_iteratorINS9_10device_ptrIiEEEENSB_INSC_IdEEEESG_dNS9_4plusIvEENS9_8equal_toIvEEdEE10hipError_tPvRmT2_T3_T4_T5_mT6_T7_P12ihipStream_tbENKUlT_T0_E_clISt17integral_constantIbLb0EES10_IbLb1EEEEDaSW_SX_EUlSW_E_NS1_11comp_targetILNS1_3genE0ELNS1_11target_archE4294967295ELNS1_3gpuE0ELNS1_3repE0EEENS1_30default_config_static_selectorELNS0_4arch9wavefront6targetE0EEEvT1_.has_indirect_call, 0
	.section	.AMDGPU.csdata,"",@progbits
; Kernel info:
; codeLenInByte = 0
; TotalNumSgprs: 0
; NumVgprs: 0
; ScratchSize: 0
; MemoryBound: 0
; FloatMode: 240
; IeeeMode: 1
; LDSByteSize: 0 bytes/workgroup (compile time only)
; SGPRBlocks: 0
; VGPRBlocks: 0
; NumSGPRsForWavesPerEU: 1
; NumVGPRsForWavesPerEU: 1
; Occupancy: 16
; WaveLimiterHint : 0
; COMPUTE_PGM_RSRC2:SCRATCH_EN: 0
; COMPUTE_PGM_RSRC2:USER_SGPR: 6
; COMPUTE_PGM_RSRC2:TRAP_HANDLER: 0
; COMPUTE_PGM_RSRC2:TGID_X_EN: 1
; COMPUTE_PGM_RSRC2:TGID_Y_EN: 0
; COMPUTE_PGM_RSRC2:TGID_Z_EN: 0
; COMPUTE_PGM_RSRC2:TIDIG_COMP_CNT: 0
	.section	.text._ZN7rocprim17ROCPRIM_400000_NS6detail17trampoline_kernelINS0_14default_configENS1_27scan_by_key_config_selectorIidEEZZNS1_16scan_by_key_implILNS1_25lookback_scan_determinismE0ELb1ES3_N6thrust23THRUST_200600_302600_NS6detail15normal_iteratorINS9_10device_ptrIiEEEENSB_INSC_IdEEEESG_dNS9_4plusIvEENS9_8equal_toIvEEdEE10hipError_tPvRmT2_T3_T4_T5_mT6_T7_P12ihipStream_tbENKUlT_T0_E_clISt17integral_constantIbLb0EES10_IbLb1EEEEDaSW_SX_EUlSW_E_NS1_11comp_targetILNS1_3genE10ELNS1_11target_archE1201ELNS1_3gpuE5ELNS1_3repE0EEENS1_30default_config_static_selectorELNS0_4arch9wavefront6targetE0EEEvT1_,"axG",@progbits,_ZN7rocprim17ROCPRIM_400000_NS6detail17trampoline_kernelINS0_14default_configENS1_27scan_by_key_config_selectorIidEEZZNS1_16scan_by_key_implILNS1_25lookback_scan_determinismE0ELb1ES3_N6thrust23THRUST_200600_302600_NS6detail15normal_iteratorINS9_10device_ptrIiEEEENSB_INSC_IdEEEESG_dNS9_4plusIvEENS9_8equal_toIvEEdEE10hipError_tPvRmT2_T3_T4_T5_mT6_T7_P12ihipStream_tbENKUlT_T0_E_clISt17integral_constantIbLb0EES10_IbLb1EEEEDaSW_SX_EUlSW_E_NS1_11comp_targetILNS1_3genE10ELNS1_11target_archE1201ELNS1_3gpuE5ELNS1_3repE0EEENS1_30default_config_static_selectorELNS0_4arch9wavefront6targetE0EEEvT1_,comdat
	.protected	_ZN7rocprim17ROCPRIM_400000_NS6detail17trampoline_kernelINS0_14default_configENS1_27scan_by_key_config_selectorIidEEZZNS1_16scan_by_key_implILNS1_25lookback_scan_determinismE0ELb1ES3_N6thrust23THRUST_200600_302600_NS6detail15normal_iteratorINS9_10device_ptrIiEEEENSB_INSC_IdEEEESG_dNS9_4plusIvEENS9_8equal_toIvEEdEE10hipError_tPvRmT2_T3_T4_T5_mT6_T7_P12ihipStream_tbENKUlT_T0_E_clISt17integral_constantIbLb0EES10_IbLb1EEEEDaSW_SX_EUlSW_E_NS1_11comp_targetILNS1_3genE10ELNS1_11target_archE1201ELNS1_3gpuE5ELNS1_3repE0EEENS1_30default_config_static_selectorELNS0_4arch9wavefront6targetE0EEEvT1_ ; -- Begin function _ZN7rocprim17ROCPRIM_400000_NS6detail17trampoline_kernelINS0_14default_configENS1_27scan_by_key_config_selectorIidEEZZNS1_16scan_by_key_implILNS1_25lookback_scan_determinismE0ELb1ES3_N6thrust23THRUST_200600_302600_NS6detail15normal_iteratorINS9_10device_ptrIiEEEENSB_INSC_IdEEEESG_dNS9_4plusIvEENS9_8equal_toIvEEdEE10hipError_tPvRmT2_T3_T4_T5_mT6_T7_P12ihipStream_tbENKUlT_T0_E_clISt17integral_constantIbLb0EES10_IbLb1EEEEDaSW_SX_EUlSW_E_NS1_11comp_targetILNS1_3genE10ELNS1_11target_archE1201ELNS1_3gpuE5ELNS1_3repE0EEENS1_30default_config_static_selectorELNS0_4arch9wavefront6targetE0EEEvT1_
	.globl	_ZN7rocprim17ROCPRIM_400000_NS6detail17trampoline_kernelINS0_14default_configENS1_27scan_by_key_config_selectorIidEEZZNS1_16scan_by_key_implILNS1_25lookback_scan_determinismE0ELb1ES3_N6thrust23THRUST_200600_302600_NS6detail15normal_iteratorINS9_10device_ptrIiEEEENSB_INSC_IdEEEESG_dNS9_4plusIvEENS9_8equal_toIvEEdEE10hipError_tPvRmT2_T3_T4_T5_mT6_T7_P12ihipStream_tbENKUlT_T0_E_clISt17integral_constantIbLb0EES10_IbLb1EEEEDaSW_SX_EUlSW_E_NS1_11comp_targetILNS1_3genE10ELNS1_11target_archE1201ELNS1_3gpuE5ELNS1_3repE0EEENS1_30default_config_static_selectorELNS0_4arch9wavefront6targetE0EEEvT1_
	.p2align	8
	.type	_ZN7rocprim17ROCPRIM_400000_NS6detail17trampoline_kernelINS0_14default_configENS1_27scan_by_key_config_selectorIidEEZZNS1_16scan_by_key_implILNS1_25lookback_scan_determinismE0ELb1ES3_N6thrust23THRUST_200600_302600_NS6detail15normal_iteratorINS9_10device_ptrIiEEEENSB_INSC_IdEEEESG_dNS9_4plusIvEENS9_8equal_toIvEEdEE10hipError_tPvRmT2_T3_T4_T5_mT6_T7_P12ihipStream_tbENKUlT_T0_E_clISt17integral_constantIbLb0EES10_IbLb1EEEEDaSW_SX_EUlSW_E_NS1_11comp_targetILNS1_3genE10ELNS1_11target_archE1201ELNS1_3gpuE5ELNS1_3repE0EEENS1_30default_config_static_selectorELNS0_4arch9wavefront6targetE0EEEvT1_,@function
_ZN7rocprim17ROCPRIM_400000_NS6detail17trampoline_kernelINS0_14default_configENS1_27scan_by_key_config_selectorIidEEZZNS1_16scan_by_key_implILNS1_25lookback_scan_determinismE0ELb1ES3_N6thrust23THRUST_200600_302600_NS6detail15normal_iteratorINS9_10device_ptrIiEEEENSB_INSC_IdEEEESG_dNS9_4plusIvEENS9_8equal_toIvEEdEE10hipError_tPvRmT2_T3_T4_T5_mT6_T7_P12ihipStream_tbENKUlT_T0_E_clISt17integral_constantIbLb0EES10_IbLb1EEEEDaSW_SX_EUlSW_E_NS1_11comp_targetILNS1_3genE10ELNS1_11target_archE1201ELNS1_3gpuE5ELNS1_3repE0EEENS1_30default_config_static_selectorELNS0_4arch9wavefront6targetE0EEEvT1_: ; @_ZN7rocprim17ROCPRIM_400000_NS6detail17trampoline_kernelINS0_14default_configENS1_27scan_by_key_config_selectorIidEEZZNS1_16scan_by_key_implILNS1_25lookback_scan_determinismE0ELb1ES3_N6thrust23THRUST_200600_302600_NS6detail15normal_iteratorINS9_10device_ptrIiEEEENSB_INSC_IdEEEESG_dNS9_4plusIvEENS9_8equal_toIvEEdEE10hipError_tPvRmT2_T3_T4_T5_mT6_T7_P12ihipStream_tbENKUlT_T0_E_clISt17integral_constantIbLb0EES10_IbLb1EEEEDaSW_SX_EUlSW_E_NS1_11comp_targetILNS1_3genE10ELNS1_11target_archE1201ELNS1_3gpuE5ELNS1_3repE0EEENS1_30default_config_static_selectorELNS0_4arch9wavefront6targetE0EEEvT1_
; %bb.0:
	.section	.rodata,"a",@progbits
	.p2align	6, 0x0
	.amdhsa_kernel _ZN7rocprim17ROCPRIM_400000_NS6detail17trampoline_kernelINS0_14default_configENS1_27scan_by_key_config_selectorIidEEZZNS1_16scan_by_key_implILNS1_25lookback_scan_determinismE0ELb1ES3_N6thrust23THRUST_200600_302600_NS6detail15normal_iteratorINS9_10device_ptrIiEEEENSB_INSC_IdEEEESG_dNS9_4plusIvEENS9_8equal_toIvEEdEE10hipError_tPvRmT2_T3_T4_T5_mT6_T7_P12ihipStream_tbENKUlT_T0_E_clISt17integral_constantIbLb0EES10_IbLb1EEEEDaSW_SX_EUlSW_E_NS1_11comp_targetILNS1_3genE10ELNS1_11target_archE1201ELNS1_3gpuE5ELNS1_3repE0EEENS1_30default_config_static_selectorELNS0_4arch9wavefront6targetE0EEEvT1_
		.amdhsa_group_segment_fixed_size 0
		.amdhsa_private_segment_fixed_size 0
		.amdhsa_kernarg_size 136
		.amdhsa_user_sgpr_count 6
		.amdhsa_user_sgpr_private_segment_buffer 1
		.amdhsa_user_sgpr_dispatch_ptr 0
		.amdhsa_user_sgpr_queue_ptr 0
		.amdhsa_user_sgpr_kernarg_segment_ptr 1
		.amdhsa_user_sgpr_dispatch_id 0
		.amdhsa_user_sgpr_flat_scratch_init 0
		.amdhsa_user_sgpr_private_segment_size 0
		.amdhsa_wavefront_size32 1
		.amdhsa_uses_dynamic_stack 0
		.amdhsa_system_sgpr_private_segment_wavefront_offset 0
		.amdhsa_system_sgpr_workgroup_id_x 1
		.amdhsa_system_sgpr_workgroup_id_y 0
		.amdhsa_system_sgpr_workgroup_id_z 0
		.amdhsa_system_sgpr_workgroup_info 0
		.amdhsa_system_vgpr_workitem_id 0
		.amdhsa_next_free_vgpr 1
		.amdhsa_next_free_sgpr 1
		.amdhsa_reserve_vcc 0
		.amdhsa_reserve_flat_scratch 0
		.amdhsa_float_round_mode_32 0
		.amdhsa_float_round_mode_16_64 0
		.amdhsa_float_denorm_mode_32 3
		.amdhsa_float_denorm_mode_16_64 3
		.amdhsa_dx10_clamp 1
		.amdhsa_ieee_mode 1
		.amdhsa_fp16_overflow 0
		.amdhsa_workgroup_processor_mode 1
		.amdhsa_memory_ordered 1
		.amdhsa_forward_progress 1
		.amdhsa_shared_vgpr_count 0
		.amdhsa_exception_fp_ieee_invalid_op 0
		.amdhsa_exception_fp_denorm_src 0
		.amdhsa_exception_fp_ieee_div_zero 0
		.amdhsa_exception_fp_ieee_overflow 0
		.amdhsa_exception_fp_ieee_underflow 0
		.amdhsa_exception_fp_ieee_inexact 0
		.amdhsa_exception_int_div_zero 0
	.end_amdhsa_kernel
	.section	.text._ZN7rocprim17ROCPRIM_400000_NS6detail17trampoline_kernelINS0_14default_configENS1_27scan_by_key_config_selectorIidEEZZNS1_16scan_by_key_implILNS1_25lookback_scan_determinismE0ELb1ES3_N6thrust23THRUST_200600_302600_NS6detail15normal_iteratorINS9_10device_ptrIiEEEENSB_INSC_IdEEEESG_dNS9_4plusIvEENS9_8equal_toIvEEdEE10hipError_tPvRmT2_T3_T4_T5_mT6_T7_P12ihipStream_tbENKUlT_T0_E_clISt17integral_constantIbLb0EES10_IbLb1EEEEDaSW_SX_EUlSW_E_NS1_11comp_targetILNS1_3genE10ELNS1_11target_archE1201ELNS1_3gpuE5ELNS1_3repE0EEENS1_30default_config_static_selectorELNS0_4arch9wavefront6targetE0EEEvT1_,"axG",@progbits,_ZN7rocprim17ROCPRIM_400000_NS6detail17trampoline_kernelINS0_14default_configENS1_27scan_by_key_config_selectorIidEEZZNS1_16scan_by_key_implILNS1_25lookback_scan_determinismE0ELb1ES3_N6thrust23THRUST_200600_302600_NS6detail15normal_iteratorINS9_10device_ptrIiEEEENSB_INSC_IdEEEESG_dNS9_4plusIvEENS9_8equal_toIvEEdEE10hipError_tPvRmT2_T3_T4_T5_mT6_T7_P12ihipStream_tbENKUlT_T0_E_clISt17integral_constantIbLb0EES10_IbLb1EEEEDaSW_SX_EUlSW_E_NS1_11comp_targetILNS1_3genE10ELNS1_11target_archE1201ELNS1_3gpuE5ELNS1_3repE0EEENS1_30default_config_static_selectorELNS0_4arch9wavefront6targetE0EEEvT1_,comdat
.Lfunc_end1419:
	.size	_ZN7rocprim17ROCPRIM_400000_NS6detail17trampoline_kernelINS0_14default_configENS1_27scan_by_key_config_selectorIidEEZZNS1_16scan_by_key_implILNS1_25lookback_scan_determinismE0ELb1ES3_N6thrust23THRUST_200600_302600_NS6detail15normal_iteratorINS9_10device_ptrIiEEEENSB_INSC_IdEEEESG_dNS9_4plusIvEENS9_8equal_toIvEEdEE10hipError_tPvRmT2_T3_T4_T5_mT6_T7_P12ihipStream_tbENKUlT_T0_E_clISt17integral_constantIbLb0EES10_IbLb1EEEEDaSW_SX_EUlSW_E_NS1_11comp_targetILNS1_3genE10ELNS1_11target_archE1201ELNS1_3gpuE5ELNS1_3repE0EEENS1_30default_config_static_selectorELNS0_4arch9wavefront6targetE0EEEvT1_, .Lfunc_end1419-_ZN7rocprim17ROCPRIM_400000_NS6detail17trampoline_kernelINS0_14default_configENS1_27scan_by_key_config_selectorIidEEZZNS1_16scan_by_key_implILNS1_25lookback_scan_determinismE0ELb1ES3_N6thrust23THRUST_200600_302600_NS6detail15normal_iteratorINS9_10device_ptrIiEEEENSB_INSC_IdEEEESG_dNS9_4plusIvEENS9_8equal_toIvEEdEE10hipError_tPvRmT2_T3_T4_T5_mT6_T7_P12ihipStream_tbENKUlT_T0_E_clISt17integral_constantIbLb0EES10_IbLb1EEEEDaSW_SX_EUlSW_E_NS1_11comp_targetILNS1_3genE10ELNS1_11target_archE1201ELNS1_3gpuE5ELNS1_3repE0EEENS1_30default_config_static_selectorELNS0_4arch9wavefront6targetE0EEEvT1_
                                        ; -- End function
	.set _ZN7rocprim17ROCPRIM_400000_NS6detail17trampoline_kernelINS0_14default_configENS1_27scan_by_key_config_selectorIidEEZZNS1_16scan_by_key_implILNS1_25lookback_scan_determinismE0ELb1ES3_N6thrust23THRUST_200600_302600_NS6detail15normal_iteratorINS9_10device_ptrIiEEEENSB_INSC_IdEEEESG_dNS9_4plusIvEENS9_8equal_toIvEEdEE10hipError_tPvRmT2_T3_T4_T5_mT6_T7_P12ihipStream_tbENKUlT_T0_E_clISt17integral_constantIbLb0EES10_IbLb1EEEEDaSW_SX_EUlSW_E_NS1_11comp_targetILNS1_3genE10ELNS1_11target_archE1201ELNS1_3gpuE5ELNS1_3repE0EEENS1_30default_config_static_selectorELNS0_4arch9wavefront6targetE0EEEvT1_.num_vgpr, 0
	.set _ZN7rocprim17ROCPRIM_400000_NS6detail17trampoline_kernelINS0_14default_configENS1_27scan_by_key_config_selectorIidEEZZNS1_16scan_by_key_implILNS1_25lookback_scan_determinismE0ELb1ES3_N6thrust23THRUST_200600_302600_NS6detail15normal_iteratorINS9_10device_ptrIiEEEENSB_INSC_IdEEEESG_dNS9_4plusIvEENS9_8equal_toIvEEdEE10hipError_tPvRmT2_T3_T4_T5_mT6_T7_P12ihipStream_tbENKUlT_T0_E_clISt17integral_constantIbLb0EES10_IbLb1EEEEDaSW_SX_EUlSW_E_NS1_11comp_targetILNS1_3genE10ELNS1_11target_archE1201ELNS1_3gpuE5ELNS1_3repE0EEENS1_30default_config_static_selectorELNS0_4arch9wavefront6targetE0EEEvT1_.num_agpr, 0
	.set _ZN7rocprim17ROCPRIM_400000_NS6detail17trampoline_kernelINS0_14default_configENS1_27scan_by_key_config_selectorIidEEZZNS1_16scan_by_key_implILNS1_25lookback_scan_determinismE0ELb1ES3_N6thrust23THRUST_200600_302600_NS6detail15normal_iteratorINS9_10device_ptrIiEEEENSB_INSC_IdEEEESG_dNS9_4plusIvEENS9_8equal_toIvEEdEE10hipError_tPvRmT2_T3_T4_T5_mT6_T7_P12ihipStream_tbENKUlT_T0_E_clISt17integral_constantIbLb0EES10_IbLb1EEEEDaSW_SX_EUlSW_E_NS1_11comp_targetILNS1_3genE10ELNS1_11target_archE1201ELNS1_3gpuE5ELNS1_3repE0EEENS1_30default_config_static_selectorELNS0_4arch9wavefront6targetE0EEEvT1_.numbered_sgpr, 0
	.set _ZN7rocprim17ROCPRIM_400000_NS6detail17trampoline_kernelINS0_14default_configENS1_27scan_by_key_config_selectorIidEEZZNS1_16scan_by_key_implILNS1_25lookback_scan_determinismE0ELb1ES3_N6thrust23THRUST_200600_302600_NS6detail15normal_iteratorINS9_10device_ptrIiEEEENSB_INSC_IdEEEESG_dNS9_4plusIvEENS9_8equal_toIvEEdEE10hipError_tPvRmT2_T3_T4_T5_mT6_T7_P12ihipStream_tbENKUlT_T0_E_clISt17integral_constantIbLb0EES10_IbLb1EEEEDaSW_SX_EUlSW_E_NS1_11comp_targetILNS1_3genE10ELNS1_11target_archE1201ELNS1_3gpuE5ELNS1_3repE0EEENS1_30default_config_static_selectorELNS0_4arch9wavefront6targetE0EEEvT1_.num_named_barrier, 0
	.set _ZN7rocprim17ROCPRIM_400000_NS6detail17trampoline_kernelINS0_14default_configENS1_27scan_by_key_config_selectorIidEEZZNS1_16scan_by_key_implILNS1_25lookback_scan_determinismE0ELb1ES3_N6thrust23THRUST_200600_302600_NS6detail15normal_iteratorINS9_10device_ptrIiEEEENSB_INSC_IdEEEESG_dNS9_4plusIvEENS9_8equal_toIvEEdEE10hipError_tPvRmT2_T3_T4_T5_mT6_T7_P12ihipStream_tbENKUlT_T0_E_clISt17integral_constantIbLb0EES10_IbLb1EEEEDaSW_SX_EUlSW_E_NS1_11comp_targetILNS1_3genE10ELNS1_11target_archE1201ELNS1_3gpuE5ELNS1_3repE0EEENS1_30default_config_static_selectorELNS0_4arch9wavefront6targetE0EEEvT1_.private_seg_size, 0
	.set _ZN7rocprim17ROCPRIM_400000_NS6detail17trampoline_kernelINS0_14default_configENS1_27scan_by_key_config_selectorIidEEZZNS1_16scan_by_key_implILNS1_25lookback_scan_determinismE0ELb1ES3_N6thrust23THRUST_200600_302600_NS6detail15normal_iteratorINS9_10device_ptrIiEEEENSB_INSC_IdEEEESG_dNS9_4plusIvEENS9_8equal_toIvEEdEE10hipError_tPvRmT2_T3_T4_T5_mT6_T7_P12ihipStream_tbENKUlT_T0_E_clISt17integral_constantIbLb0EES10_IbLb1EEEEDaSW_SX_EUlSW_E_NS1_11comp_targetILNS1_3genE10ELNS1_11target_archE1201ELNS1_3gpuE5ELNS1_3repE0EEENS1_30default_config_static_selectorELNS0_4arch9wavefront6targetE0EEEvT1_.uses_vcc, 0
	.set _ZN7rocprim17ROCPRIM_400000_NS6detail17trampoline_kernelINS0_14default_configENS1_27scan_by_key_config_selectorIidEEZZNS1_16scan_by_key_implILNS1_25lookback_scan_determinismE0ELb1ES3_N6thrust23THRUST_200600_302600_NS6detail15normal_iteratorINS9_10device_ptrIiEEEENSB_INSC_IdEEEESG_dNS9_4plusIvEENS9_8equal_toIvEEdEE10hipError_tPvRmT2_T3_T4_T5_mT6_T7_P12ihipStream_tbENKUlT_T0_E_clISt17integral_constantIbLb0EES10_IbLb1EEEEDaSW_SX_EUlSW_E_NS1_11comp_targetILNS1_3genE10ELNS1_11target_archE1201ELNS1_3gpuE5ELNS1_3repE0EEENS1_30default_config_static_selectorELNS0_4arch9wavefront6targetE0EEEvT1_.uses_flat_scratch, 0
	.set _ZN7rocprim17ROCPRIM_400000_NS6detail17trampoline_kernelINS0_14default_configENS1_27scan_by_key_config_selectorIidEEZZNS1_16scan_by_key_implILNS1_25lookback_scan_determinismE0ELb1ES3_N6thrust23THRUST_200600_302600_NS6detail15normal_iteratorINS9_10device_ptrIiEEEENSB_INSC_IdEEEESG_dNS9_4plusIvEENS9_8equal_toIvEEdEE10hipError_tPvRmT2_T3_T4_T5_mT6_T7_P12ihipStream_tbENKUlT_T0_E_clISt17integral_constantIbLb0EES10_IbLb1EEEEDaSW_SX_EUlSW_E_NS1_11comp_targetILNS1_3genE10ELNS1_11target_archE1201ELNS1_3gpuE5ELNS1_3repE0EEENS1_30default_config_static_selectorELNS0_4arch9wavefront6targetE0EEEvT1_.has_dyn_sized_stack, 0
	.set _ZN7rocprim17ROCPRIM_400000_NS6detail17trampoline_kernelINS0_14default_configENS1_27scan_by_key_config_selectorIidEEZZNS1_16scan_by_key_implILNS1_25lookback_scan_determinismE0ELb1ES3_N6thrust23THRUST_200600_302600_NS6detail15normal_iteratorINS9_10device_ptrIiEEEENSB_INSC_IdEEEESG_dNS9_4plusIvEENS9_8equal_toIvEEdEE10hipError_tPvRmT2_T3_T4_T5_mT6_T7_P12ihipStream_tbENKUlT_T0_E_clISt17integral_constantIbLb0EES10_IbLb1EEEEDaSW_SX_EUlSW_E_NS1_11comp_targetILNS1_3genE10ELNS1_11target_archE1201ELNS1_3gpuE5ELNS1_3repE0EEENS1_30default_config_static_selectorELNS0_4arch9wavefront6targetE0EEEvT1_.has_recursion, 0
	.set _ZN7rocprim17ROCPRIM_400000_NS6detail17trampoline_kernelINS0_14default_configENS1_27scan_by_key_config_selectorIidEEZZNS1_16scan_by_key_implILNS1_25lookback_scan_determinismE0ELb1ES3_N6thrust23THRUST_200600_302600_NS6detail15normal_iteratorINS9_10device_ptrIiEEEENSB_INSC_IdEEEESG_dNS9_4plusIvEENS9_8equal_toIvEEdEE10hipError_tPvRmT2_T3_T4_T5_mT6_T7_P12ihipStream_tbENKUlT_T0_E_clISt17integral_constantIbLb0EES10_IbLb1EEEEDaSW_SX_EUlSW_E_NS1_11comp_targetILNS1_3genE10ELNS1_11target_archE1201ELNS1_3gpuE5ELNS1_3repE0EEENS1_30default_config_static_selectorELNS0_4arch9wavefront6targetE0EEEvT1_.has_indirect_call, 0
	.section	.AMDGPU.csdata,"",@progbits
; Kernel info:
; codeLenInByte = 0
; TotalNumSgprs: 0
; NumVgprs: 0
; ScratchSize: 0
; MemoryBound: 0
; FloatMode: 240
; IeeeMode: 1
; LDSByteSize: 0 bytes/workgroup (compile time only)
; SGPRBlocks: 0
; VGPRBlocks: 0
; NumSGPRsForWavesPerEU: 1
; NumVGPRsForWavesPerEU: 1
; Occupancy: 16
; WaveLimiterHint : 0
; COMPUTE_PGM_RSRC2:SCRATCH_EN: 0
; COMPUTE_PGM_RSRC2:USER_SGPR: 6
; COMPUTE_PGM_RSRC2:TRAP_HANDLER: 0
; COMPUTE_PGM_RSRC2:TGID_X_EN: 1
; COMPUTE_PGM_RSRC2:TGID_Y_EN: 0
; COMPUTE_PGM_RSRC2:TGID_Z_EN: 0
; COMPUTE_PGM_RSRC2:TIDIG_COMP_CNT: 0
	.section	.text._ZN7rocprim17ROCPRIM_400000_NS6detail17trampoline_kernelINS0_14default_configENS1_27scan_by_key_config_selectorIidEEZZNS1_16scan_by_key_implILNS1_25lookback_scan_determinismE0ELb1ES3_N6thrust23THRUST_200600_302600_NS6detail15normal_iteratorINS9_10device_ptrIiEEEENSB_INSC_IdEEEESG_dNS9_4plusIvEENS9_8equal_toIvEEdEE10hipError_tPvRmT2_T3_T4_T5_mT6_T7_P12ihipStream_tbENKUlT_T0_E_clISt17integral_constantIbLb0EES10_IbLb1EEEEDaSW_SX_EUlSW_E_NS1_11comp_targetILNS1_3genE5ELNS1_11target_archE942ELNS1_3gpuE9ELNS1_3repE0EEENS1_30default_config_static_selectorELNS0_4arch9wavefront6targetE0EEEvT1_,"axG",@progbits,_ZN7rocprim17ROCPRIM_400000_NS6detail17trampoline_kernelINS0_14default_configENS1_27scan_by_key_config_selectorIidEEZZNS1_16scan_by_key_implILNS1_25lookback_scan_determinismE0ELb1ES3_N6thrust23THRUST_200600_302600_NS6detail15normal_iteratorINS9_10device_ptrIiEEEENSB_INSC_IdEEEESG_dNS9_4plusIvEENS9_8equal_toIvEEdEE10hipError_tPvRmT2_T3_T4_T5_mT6_T7_P12ihipStream_tbENKUlT_T0_E_clISt17integral_constantIbLb0EES10_IbLb1EEEEDaSW_SX_EUlSW_E_NS1_11comp_targetILNS1_3genE5ELNS1_11target_archE942ELNS1_3gpuE9ELNS1_3repE0EEENS1_30default_config_static_selectorELNS0_4arch9wavefront6targetE0EEEvT1_,comdat
	.protected	_ZN7rocprim17ROCPRIM_400000_NS6detail17trampoline_kernelINS0_14default_configENS1_27scan_by_key_config_selectorIidEEZZNS1_16scan_by_key_implILNS1_25lookback_scan_determinismE0ELb1ES3_N6thrust23THRUST_200600_302600_NS6detail15normal_iteratorINS9_10device_ptrIiEEEENSB_INSC_IdEEEESG_dNS9_4plusIvEENS9_8equal_toIvEEdEE10hipError_tPvRmT2_T3_T4_T5_mT6_T7_P12ihipStream_tbENKUlT_T0_E_clISt17integral_constantIbLb0EES10_IbLb1EEEEDaSW_SX_EUlSW_E_NS1_11comp_targetILNS1_3genE5ELNS1_11target_archE942ELNS1_3gpuE9ELNS1_3repE0EEENS1_30default_config_static_selectorELNS0_4arch9wavefront6targetE0EEEvT1_ ; -- Begin function _ZN7rocprim17ROCPRIM_400000_NS6detail17trampoline_kernelINS0_14default_configENS1_27scan_by_key_config_selectorIidEEZZNS1_16scan_by_key_implILNS1_25lookback_scan_determinismE0ELb1ES3_N6thrust23THRUST_200600_302600_NS6detail15normal_iteratorINS9_10device_ptrIiEEEENSB_INSC_IdEEEESG_dNS9_4plusIvEENS9_8equal_toIvEEdEE10hipError_tPvRmT2_T3_T4_T5_mT6_T7_P12ihipStream_tbENKUlT_T0_E_clISt17integral_constantIbLb0EES10_IbLb1EEEEDaSW_SX_EUlSW_E_NS1_11comp_targetILNS1_3genE5ELNS1_11target_archE942ELNS1_3gpuE9ELNS1_3repE0EEENS1_30default_config_static_selectorELNS0_4arch9wavefront6targetE0EEEvT1_
	.globl	_ZN7rocprim17ROCPRIM_400000_NS6detail17trampoline_kernelINS0_14default_configENS1_27scan_by_key_config_selectorIidEEZZNS1_16scan_by_key_implILNS1_25lookback_scan_determinismE0ELb1ES3_N6thrust23THRUST_200600_302600_NS6detail15normal_iteratorINS9_10device_ptrIiEEEENSB_INSC_IdEEEESG_dNS9_4plusIvEENS9_8equal_toIvEEdEE10hipError_tPvRmT2_T3_T4_T5_mT6_T7_P12ihipStream_tbENKUlT_T0_E_clISt17integral_constantIbLb0EES10_IbLb1EEEEDaSW_SX_EUlSW_E_NS1_11comp_targetILNS1_3genE5ELNS1_11target_archE942ELNS1_3gpuE9ELNS1_3repE0EEENS1_30default_config_static_selectorELNS0_4arch9wavefront6targetE0EEEvT1_
	.p2align	8
	.type	_ZN7rocprim17ROCPRIM_400000_NS6detail17trampoline_kernelINS0_14default_configENS1_27scan_by_key_config_selectorIidEEZZNS1_16scan_by_key_implILNS1_25lookback_scan_determinismE0ELb1ES3_N6thrust23THRUST_200600_302600_NS6detail15normal_iteratorINS9_10device_ptrIiEEEENSB_INSC_IdEEEESG_dNS9_4plusIvEENS9_8equal_toIvEEdEE10hipError_tPvRmT2_T3_T4_T5_mT6_T7_P12ihipStream_tbENKUlT_T0_E_clISt17integral_constantIbLb0EES10_IbLb1EEEEDaSW_SX_EUlSW_E_NS1_11comp_targetILNS1_3genE5ELNS1_11target_archE942ELNS1_3gpuE9ELNS1_3repE0EEENS1_30default_config_static_selectorELNS0_4arch9wavefront6targetE0EEEvT1_,@function
_ZN7rocprim17ROCPRIM_400000_NS6detail17trampoline_kernelINS0_14default_configENS1_27scan_by_key_config_selectorIidEEZZNS1_16scan_by_key_implILNS1_25lookback_scan_determinismE0ELb1ES3_N6thrust23THRUST_200600_302600_NS6detail15normal_iteratorINS9_10device_ptrIiEEEENSB_INSC_IdEEEESG_dNS9_4plusIvEENS9_8equal_toIvEEdEE10hipError_tPvRmT2_T3_T4_T5_mT6_T7_P12ihipStream_tbENKUlT_T0_E_clISt17integral_constantIbLb0EES10_IbLb1EEEEDaSW_SX_EUlSW_E_NS1_11comp_targetILNS1_3genE5ELNS1_11target_archE942ELNS1_3gpuE9ELNS1_3repE0EEENS1_30default_config_static_selectorELNS0_4arch9wavefront6targetE0EEEvT1_: ; @_ZN7rocprim17ROCPRIM_400000_NS6detail17trampoline_kernelINS0_14default_configENS1_27scan_by_key_config_selectorIidEEZZNS1_16scan_by_key_implILNS1_25lookback_scan_determinismE0ELb1ES3_N6thrust23THRUST_200600_302600_NS6detail15normal_iteratorINS9_10device_ptrIiEEEENSB_INSC_IdEEEESG_dNS9_4plusIvEENS9_8equal_toIvEEdEE10hipError_tPvRmT2_T3_T4_T5_mT6_T7_P12ihipStream_tbENKUlT_T0_E_clISt17integral_constantIbLb0EES10_IbLb1EEEEDaSW_SX_EUlSW_E_NS1_11comp_targetILNS1_3genE5ELNS1_11target_archE942ELNS1_3gpuE9ELNS1_3repE0EEENS1_30default_config_static_selectorELNS0_4arch9wavefront6targetE0EEEvT1_
; %bb.0:
	.section	.rodata,"a",@progbits
	.p2align	6, 0x0
	.amdhsa_kernel _ZN7rocprim17ROCPRIM_400000_NS6detail17trampoline_kernelINS0_14default_configENS1_27scan_by_key_config_selectorIidEEZZNS1_16scan_by_key_implILNS1_25lookback_scan_determinismE0ELb1ES3_N6thrust23THRUST_200600_302600_NS6detail15normal_iteratorINS9_10device_ptrIiEEEENSB_INSC_IdEEEESG_dNS9_4plusIvEENS9_8equal_toIvEEdEE10hipError_tPvRmT2_T3_T4_T5_mT6_T7_P12ihipStream_tbENKUlT_T0_E_clISt17integral_constantIbLb0EES10_IbLb1EEEEDaSW_SX_EUlSW_E_NS1_11comp_targetILNS1_3genE5ELNS1_11target_archE942ELNS1_3gpuE9ELNS1_3repE0EEENS1_30default_config_static_selectorELNS0_4arch9wavefront6targetE0EEEvT1_
		.amdhsa_group_segment_fixed_size 0
		.amdhsa_private_segment_fixed_size 0
		.amdhsa_kernarg_size 136
		.amdhsa_user_sgpr_count 6
		.amdhsa_user_sgpr_private_segment_buffer 1
		.amdhsa_user_sgpr_dispatch_ptr 0
		.amdhsa_user_sgpr_queue_ptr 0
		.amdhsa_user_sgpr_kernarg_segment_ptr 1
		.amdhsa_user_sgpr_dispatch_id 0
		.amdhsa_user_sgpr_flat_scratch_init 0
		.amdhsa_user_sgpr_private_segment_size 0
		.amdhsa_wavefront_size32 1
		.amdhsa_uses_dynamic_stack 0
		.amdhsa_system_sgpr_private_segment_wavefront_offset 0
		.amdhsa_system_sgpr_workgroup_id_x 1
		.amdhsa_system_sgpr_workgroup_id_y 0
		.amdhsa_system_sgpr_workgroup_id_z 0
		.amdhsa_system_sgpr_workgroup_info 0
		.amdhsa_system_vgpr_workitem_id 0
		.amdhsa_next_free_vgpr 1
		.amdhsa_next_free_sgpr 1
		.amdhsa_reserve_vcc 0
		.amdhsa_reserve_flat_scratch 0
		.amdhsa_float_round_mode_32 0
		.amdhsa_float_round_mode_16_64 0
		.amdhsa_float_denorm_mode_32 3
		.amdhsa_float_denorm_mode_16_64 3
		.amdhsa_dx10_clamp 1
		.amdhsa_ieee_mode 1
		.amdhsa_fp16_overflow 0
		.amdhsa_workgroup_processor_mode 1
		.amdhsa_memory_ordered 1
		.amdhsa_forward_progress 1
		.amdhsa_shared_vgpr_count 0
		.amdhsa_exception_fp_ieee_invalid_op 0
		.amdhsa_exception_fp_denorm_src 0
		.amdhsa_exception_fp_ieee_div_zero 0
		.amdhsa_exception_fp_ieee_overflow 0
		.amdhsa_exception_fp_ieee_underflow 0
		.amdhsa_exception_fp_ieee_inexact 0
		.amdhsa_exception_int_div_zero 0
	.end_amdhsa_kernel
	.section	.text._ZN7rocprim17ROCPRIM_400000_NS6detail17trampoline_kernelINS0_14default_configENS1_27scan_by_key_config_selectorIidEEZZNS1_16scan_by_key_implILNS1_25lookback_scan_determinismE0ELb1ES3_N6thrust23THRUST_200600_302600_NS6detail15normal_iteratorINS9_10device_ptrIiEEEENSB_INSC_IdEEEESG_dNS9_4plusIvEENS9_8equal_toIvEEdEE10hipError_tPvRmT2_T3_T4_T5_mT6_T7_P12ihipStream_tbENKUlT_T0_E_clISt17integral_constantIbLb0EES10_IbLb1EEEEDaSW_SX_EUlSW_E_NS1_11comp_targetILNS1_3genE5ELNS1_11target_archE942ELNS1_3gpuE9ELNS1_3repE0EEENS1_30default_config_static_selectorELNS0_4arch9wavefront6targetE0EEEvT1_,"axG",@progbits,_ZN7rocprim17ROCPRIM_400000_NS6detail17trampoline_kernelINS0_14default_configENS1_27scan_by_key_config_selectorIidEEZZNS1_16scan_by_key_implILNS1_25lookback_scan_determinismE0ELb1ES3_N6thrust23THRUST_200600_302600_NS6detail15normal_iteratorINS9_10device_ptrIiEEEENSB_INSC_IdEEEESG_dNS9_4plusIvEENS9_8equal_toIvEEdEE10hipError_tPvRmT2_T3_T4_T5_mT6_T7_P12ihipStream_tbENKUlT_T0_E_clISt17integral_constantIbLb0EES10_IbLb1EEEEDaSW_SX_EUlSW_E_NS1_11comp_targetILNS1_3genE5ELNS1_11target_archE942ELNS1_3gpuE9ELNS1_3repE0EEENS1_30default_config_static_selectorELNS0_4arch9wavefront6targetE0EEEvT1_,comdat
.Lfunc_end1420:
	.size	_ZN7rocprim17ROCPRIM_400000_NS6detail17trampoline_kernelINS0_14default_configENS1_27scan_by_key_config_selectorIidEEZZNS1_16scan_by_key_implILNS1_25lookback_scan_determinismE0ELb1ES3_N6thrust23THRUST_200600_302600_NS6detail15normal_iteratorINS9_10device_ptrIiEEEENSB_INSC_IdEEEESG_dNS9_4plusIvEENS9_8equal_toIvEEdEE10hipError_tPvRmT2_T3_T4_T5_mT6_T7_P12ihipStream_tbENKUlT_T0_E_clISt17integral_constantIbLb0EES10_IbLb1EEEEDaSW_SX_EUlSW_E_NS1_11comp_targetILNS1_3genE5ELNS1_11target_archE942ELNS1_3gpuE9ELNS1_3repE0EEENS1_30default_config_static_selectorELNS0_4arch9wavefront6targetE0EEEvT1_, .Lfunc_end1420-_ZN7rocprim17ROCPRIM_400000_NS6detail17trampoline_kernelINS0_14default_configENS1_27scan_by_key_config_selectorIidEEZZNS1_16scan_by_key_implILNS1_25lookback_scan_determinismE0ELb1ES3_N6thrust23THRUST_200600_302600_NS6detail15normal_iteratorINS9_10device_ptrIiEEEENSB_INSC_IdEEEESG_dNS9_4plusIvEENS9_8equal_toIvEEdEE10hipError_tPvRmT2_T3_T4_T5_mT6_T7_P12ihipStream_tbENKUlT_T0_E_clISt17integral_constantIbLb0EES10_IbLb1EEEEDaSW_SX_EUlSW_E_NS1_11comp_targetILNS1_3genE5ELNS1_11target_archE942ELNS1_3gpuE9ELNS1_3repE0EEENS1_30default_config_static_selectorELNS0_4arch9wavefront6targetE0EEEvT1_
                                        ; -- End function
	.set _ZN7rocprim17ROCPRIM_400000_NS6detail17trampoline_kernelINS0_14default_configENS1_27scan_by_key_config_selectorIidEEZZNS1_16scan_by_key_implILNS1_25lookback_scan_determinismE0ELb1ES3_N6thrust23THRUST_200600_302600_NS6detail15normal_iteratorINS9_10device_ptrIiEEEENSB_INSC_IdEEEESG_dNS9_4plusIvEENS9_8equal_toIvEEdEE10hipError_tPvRmT2_T3_T4_T5_mT6_T7_P12ihipStream_tbENKUlT_T0_E_clISt17integral_constantIbLb0EES10_IbLb1EEEEDaSW_SX_EUlSW_E_NS1_11comp_targetILNS1_3genE5ELNS1_11target_archE942ELNS1_3gpuE9ELNS1_3repE0EEENS1_30default_config_static_selectorELNS0_4arch9wavefront6targetE0EEEvT1_.num_vgpr, 0
	.set _ZN7rocprim17ROCPRIM_400000_NS6detail17trampoline_kernelINS0_14default_configENS1_27scan_by_key_config_selectorIidEEZZNS1_16scan_by_key_implILNS1_25lookback_scan_determinismE0ELb1ES3_N6thrust23THRUST_200600_302600_NS6detail15normal_iteratorINS9_10device_ptrIiEEEENSB_INSC_IdEEEESG_dNS9_4plusIvEENS9_8equal_toIvEEdEE10hipError_tPvRmT2_T3_T4_T5_mT6_T7_P12ihipStream_tbENKUlT_T0_E_clISt17integral_constantIbLb0EES10_IbLb1EEEEDaSW_SX_EUlSW_E_NS1_11comp_targetILNS1_3genE5ELNS1_11target_archE942ELNS1_3gpuE9ELNS1_3repE0EEENS1_30default_config_static_selectorELNS0_4arch9wavefront6targetE0EEEvT1_.num_agpr, 0
	.set _ZN7rocprim17ROCPRIM_400000_NS6detail17trampoline_kernelINS0_14default_configENS1_27scan_by_key_config_selectorIidEEZZNS1_16scan_by_key_implILNS1_25lookback_scan_determinismE0ELb1ES3_N6thrust23THRUST_200600_302600_NS6detail15normal_iteratorINS9_10device_ptrIiEEEENSB_INSC_IdEEEESG_dNS9_4plusIvEENS9_8equal_toIvEEdEE10hipError_tPvRmT2_T3_T4_T5_mT6_T7_P12ihipStream_tbENKUlT_T0_E_clISt17integral_constantIbLb0EES10_IbLb1EEEEDaSW_SX_EUlSW_E_NS1_11comp_targetILNS1_3genE5ELNS1_11target_archE942ELNS1_3gpuE9ELNS1_3repE0EEENS1_30default_config_static_selectorELNS0_4arch9wavefront6targetE0EEEvT1_.numbered_sgpr, 0
	.set _ZN7rocprim17ROCPRIM_400000_NS6detail17trampoline_kernelINS0_14default_configENS1_27scan_by_key_config_selectorIidEEZZNS1_16scan_by_key_implILNS1_25lookback_scan_determinismE0ELb1ES3_N6thrust23THRUST_200600_302600_NS6detail15normal_iteratorINS9_10device_ptrIiEEEENSB_INSC_IdEEEESG_dNS9_4plusIvEENS9_8equal_toIvEEdEE10hipError_tPvRmT2_T3_T4_T5_mT6_T7_P12ihipStream_tbENKUlT_T0_E_clISt17integral_constantIbLb0EES10_IbLb1EEEEDaSW_SX_EUlSW_E_NS1_11comp_targetILNS1_3genE5ELNS1_11target_archE942ELNS1_3gpuE9ELNS1_3repE0EEENS1_30default_config_static_selectorELNS0_4arch9wavefront6targetE0EEEvT1_.num_named_barrier, 0
	.set _ZN7rocprim17ROCPRIM_400000_NS6detail17trampoline_kernelINS0_14default_configENS1_27scan_by_key_config_selectorIidEEZZNS1_16scan_by_key_implILNS1_25lookback_scan_determinismE0ELb1ES3_N6thrust23THRUST_200600_302600_NS6detail15normal_iteratorINS9_10device_ptrIiEEEENSB_INSC_IdEEEESG_dNS9_4plusIvEENS9_8equal_toIvEEdEE10hipError_tPvRmT2_T3_T4_T5_mT6_T7_P12ihipStream_tbENKUlT_T0_E_clISt17integral_constantIbLb0EES10_IbLb1EEEEDaSW_SX_EUlSW_E_NS1_11comp_targetILNS1_3genE5ELNS1_11target_archE942ELNS1_3gpuE9ELNS1_3repE0EEENS1_30default_config_static_selectorELNS0_4arch9wavefront6targetE0EEEvT1_.private_seg_size, 0
	.set _ZN7rocprim17ROCPRIM_400000_NS6detail17trampoline_kernelINS0_14default_configENS1_27scan_by_key_config_selectorIidEEZZNS1_16scan_by_key_implILNS1_25lookback_scan_determinismE0ELb1ES3_N6thrust23THRUST_200600_302600_NS6detail15normal_iteratorINS9_10device_ptrIiEEEENSB_INSC_IdEEEESG_dNS9_4plusIvEENS9_8equal_toIvEEdEE10hipError_tPvRmT2_T3_T4_T5_mT6_T7_P12ihipStream_tbENKUlT_T0_E_clISt17integral_constantIbLb0EES10_IbLb1EEEEDaSW_SX_EUlSW_E_NS1_11comp_targetILNS1_3genE5ELNS1_11target_archE942ELNS1_3gpuE9ELNS1_3repE0EEENS1_30default_config_static_selectorELNS0_4arch9wavefront6targetE0EEEvT1_.uses_vcc, 0
	.set _ZN7rocprim17ROCPRIM_400000_NS6detail17trampoline_kernelINS0_14default_configENS1_27scan_by_key_config_selectorIidEEZZNS1_16scan_by_key_implILNS1_25lookback_scan_determinismE0ELb1ES3_N6thrust23THRUST_200600_302600_NS6detail15normal_iteratorINS9_10device_ptrIiEEEENSB_INSC_IdEEEESG_dNS9_4plusIvEENS9_8equal_toIvEEdEE10hipError_tPvRmT2_T3_T4_T5_mT6_T7_P12ihipStream_tbENKUlT_T0_E_clISt17integral_constantIbLb0EES10_IbLb1EEEEDaSW_SX_EUlSW_E_NS1_11comp_targetILNS1_3genE5ELNS1_11target_archE942ELNS1_3gpuE9ELNS1_3repE0EEENS1_30default_config_static_selectorELNS0_4arch9wavefront6targetE0EEEvT1_.uses_flat_scratch, 0
	.set _ZN7rocprim17ROCPRIM_400000_NS6detail17trampoline_kernelINS0_14default_configENS1_27scan_by_key_config_selectorIidEEZZNS1_16scan_by_key_implILNS1_25lookback_scan_determinismE0ELb1ES3_N6thrust23THRUST_200600_302600_NS6detail15normal_iteratorINS9_10device_ptrIiEEEENSB_INSC_IdEEEESG_dNS9_4plusIvEENS9_8equal_toIvEEdEE10hipError_tPvRmT2_T3_T4_T5_mT6_T7_P12ihipStream_tbENKUlT_T0_E_clISt17integral_constantIbLb0EES10_IbLb1EEEEDaSW_SX_EUlSW_E_NS1_11comp_targetILNS1_3genE5ELNS1_11target_archE942ELNS1_3gpuE9ELNS1_3repE0EEENS1_30default_config_static_selectorELNS0_4arch9wavefront6targetE0EEEvT1_.has_dyn_sized_stack, 0
	.set _ZN7rocprim17ROCPRIM_400000_NS6detail17trampoline_kernelINS0_14default_configENS1_27scan_by_key_config_selectorIidEEZZNS1_16scan_by_key_implILNS1_25lookback_scan_determinismE0ELb1ES3_N6thrust23THRUST_200600_302600_NS6detail15normal_iteratorINS9_10device_ptrIiEEEENSB_INSC_IdEEEESG_dNS9_4plusIvEENS9_8equal_toIvEEdEE10hipError_tPvRmT2_T3_T4_T5_mT6_T7_P12ihipStream_tbENKUlT_T0_E_clISt17integral_constantIbLb0EES10_IbLb1EEEEDaSW_SX_EUlSW_E_NS1_11comp_targetILNS1_3genE5ELNS1_11target_archE942ELNS1_3gpuE9ELNS1_3repE0EEENS1_30default_config_static_selectorELNS0_4arch9wavefront6targetE0EEEvT1_.has_recursion, 0
	.set _ZN7rocprim17ROCPRIM_400000_NS6detail17trampoline_kernelINS0_14default_configENS1_27scan_by_key_config_selectorIidEEZZNS1_16scan_by_key_implILNS1_25lookback_scan_determinismE0ELb1ES3_N6thrust23THRUST_200600_302600_NS6detail15normal_iteratorINS9_10device_ptrIiEEEENSB_INSC_IdEEEESG_dNS9_4plusIvEENS9_8equal_toIvEEdEE10hipError_tPvRmT2_T3_T4_T5_mT6_T7_P12ihipStream_tbENKUlT_T0_E_clISt17integral_constantIbLb0EES10_IbLb1EEEEDaSW_SX_EUlSW_E_NS1_11comp_targetILNS1_3genE5ELNS1_11target_archE942ELNS1_3gpuE9ELNS1_3repE0EEENS1_30default_config_static_selectorELNS0_4arch9wavefront6targetE0EEEvT1_.has_indirect_call, 0
	.section	.AMDGPU.csdata,"",@progbits
; Kernel info:
; codeLenInByte = 0
; TotalNumSgprs: 0
; NumVgprs: 0
; ScratchSize: 0
; MemoryBound: 0
; FloatMode: 240
; IeeeMode: 1
; LDSByteSize: 0 bytes/workgroup (compile time only)
; SGPRBlocks: 0
; VGPRBlocks: 0
; NumSGPRsForWavesPerEU: 1
; NumVGPRsForWavesPerEU: 1
; Occupancy: 16
; WaveLimiterHint : 0
; COMPUTE_PGM_RSRC2:SCRATCH_EN: 0
; COMPUTE_PGM_RSRC2:USER_SGPR: 6
; COMPUTE_PGM_RSRC2:TRAP_HANDLER: 0
; COMPUTE_PGM_RSRC2:TGID_X_EN: 1
; COMPUTE_PGM_RSRC2:TGID_Y_EN: 0
; COMPUTE_PGM_RSRC2:TGID_Z_EN: 0
; COMPUTE_PGM_RSRC2:TIDIG_COMP_CNT: 0
	.section	.text._ZN7rocprim17ROCPRIM_400000_NS6detail17trampoline_kernelINS0_14default_configENS1_27scan_by_key_config_selectorIidEEZZNS1_16scan_by_key_implILNS1_25lookback_scan_determinismE0ELb1ES3_N6thrust23THRUST_200600_302600_NS6detail15normal_iteratorINS9_10device_ptrIiEEEENSB_INSC_IdEEEESG_dNS9_4plusIvEENS9_8equal_toIvEEdEE10hipError_tPvRmT2_T3_T4_T5_mT6_T7_P12ihipStream_tbENKUlT_T0_E_clISt17integral_constantIbLb0EES10_IbLb1EEEEDaSW_SX_EUlSW_E_NS1_11comp_targetILNS1_3genE4ELNS1_11target_archE910ELNS1_3gpuE8ELNS1_3repE0EEENS1_30default_config_static_selectorELNS0_4arch9wavefront6targetE0EEEvT1_,"axG",@progbits,_ZN7rocprim17ROCPRIM_400000_NS6detail17trampoline_kernelINS0_14default_configENS1_27scan_by_key_config_selectorIidEEZZNS1_16scan_by_key_implILNS1_25lookback_scan_determinismE0ELb1ES3_N6thrust23THRUST_200600_302600_NS6detail15normal_iteratorINS9_10device_ptrIiEEEENSB_INSC_IdEEEESG_dNS9_4plusIvEENS9_8equal_toIvEEdEE10hipError_tPvRmT2_T3_T4_T5_mT6_T7_P12ihipStream_tbENKUlT_T0_E_clISt17integral_constantIbLb0EES10_IbLb1EEEEDaSW_SX_EUlSW_E_NS1_11comp_targetILNS1_3genE4ELNS1_11target_archE910ELNS1_3gpuE8ELNS1_3repE0EEENS1_30default_config_static_selectorELNS0_4arch9wavefront6targetE0EEEvT1_,comdat
	.protected	_ZN7rocprim17ROCPRIM_400000_NS6detail17trampoline_kernelINS0_14default_configENS1_27scan_by_key_config_selectorIidEEZZNS1_16scan_by_key_implILNS1_25lookback_scan_determinismE0ELb1ES3_N6thrust23THRUST_200600_302600_NS6detail15normal_iteratorINS9_10device_ptrIiEEEENSB_INSC_IdEEEESG_dNS9_4plusIvEENS9_8equal_toIvEEdEE10hipError_tPvRmT2_T3_T4_T5_mT6_T7_P12ihipStream_tbENKUlT_T0_E_clISt17integral_constantIbLb0EES10_IbLb1EEEEDaSW_SX_EUlSW_E_NS1_11comp_targetILNS1_3genE4ELNS1_11target_archE910ELNS1_3gpuE8ELNS1_3repE0EEENS1_30default_config_static_selectorELNS0_4arch9wavefront6targetE0EEEvT1_ ; -- Begin function _ZN7rocprim17ROCPRIM_400000_NS6detail17trampoline_kernelINS0_14default_configENS1_27scan_by_key_config_selectorIidEEZZNS1_16scan_by_key_implILNS1_25lookback_scan_determinismE0ELb1ES3_N6thrust23THRUST_200600_302600_NS6detail15normal_iteratorINS9_10device_ptrIiEEEENSB_INSC_IdEEEESG_dNS9_4plusIvEENS9_8equal_toIvEEdEE10hipError_tPvRmT2_T3_T4_T5_mT6_T7_P12ihipStream_tbENKUlT_T0_E_clISt17integral_constantIbLb0EES10_IbLb1EEEEDaSW_SX_EUlSW_E_NS1_11comp_targetILNS1_3genE4ELNS1_11target_archE910ELNS1_3gpuE8ELNS1_3repE0EEENS1_30default_config_static_selectorELNS0_4arch9wavefront6targetE0EEEvT1_
	.globl	_ZN7rocprim17ROCPRIM_400000_NS6detail17trampoline_kernelINS0_14default_configENS1_27scan_by_key_config_selectorIidEEZZNS1_16scan_by_key_implILNS1_25lookback_scan_determinismE0ELb1ES3_N6thrust23THRUST_200600_302600_NS6detail15normal_iteratorINS9_10device_ptrIiEEEENSB_INSC_IdEEEESG_dNS9_4plusIvEENS9_8equal_toIvEEdEE10hipError_tPvRmT2_T3_T4_T5_mT6_T7_P12ihipStream_tbENKUlT_T0_E_clISt17integral_constantIbLb0EES10_IbLb1EEEEDaSW_SX_EUlSW_E_NS1_11comp_targetILNS1_3genE4ELNS1_11target_archE910ELNS1_3gpuE8ELNS1_3repE0EEENS1_30default_config_static_selectorELNS0_4arch9wavefront6targetE0EEEvT1_
	.p2align	8
	.type	_ZN7rocprim17ROCPRIM_400000_NS6detail17trampoline_kernelINS0_14default_configENS1_27scan_by_key_config_selectorIidEEZZNS1_16scan_by_key_implILNS1_25lookback_scan_determinismE0ELb1ES3_N6thrust23THRUST_200600_302600_NS6detail15normal_iteratorINS9_10device_ptrIiEEEENSB_INSC_IdEEEESG_dNS9_4plusIvEENS9_8equal_toIvEEdEE10hipError_tPvRmT2_T3_T4_T5_mT6_T7_P12ihipStream_tbENKUlT_T0_E_clISt17integral_constantIbLb0EES10_IbLb1EEEEDaSW_SX_EUlSW_E_NS1_11comp_targetILNS1_3genE4ELNS1_11target_archE910ELNS1_3gpuE8ELNS1_3repE0EEENS1_30default_config_static_selectorELNS0_4arch9wavefront6targetE0EEEvT1_,@function
_ZN7rocprim17ROCPRIM_400000_NS6detail17trampoline_kernelINS0_14default_configENS1_27scan_by_key_config_selectorIidEEZZNS1_16scan_by_key_implILNS1_25lookback_scan_determinismE0ELb1ES3_N6thrust23THRUST_200600_302600_NS6detail15normal_iteratorINS9_10device_ptrIiEEEENSB_INSC_IdEEEESG_dNS9_4plusIvEENS9_8equal_toIvEEdEE10hipError_tPvRmT2_T3_T4_T5_mT6_T7_P12ihipStream_tbENKUlT_T0_E_clISt17integral_constantIbLb0EES10_IbLb1EEEEDaSW_SX_EUlSW_E_NS1_11comp_targetILNS1_3genE4ELNS1_11target_archE910ELNS1_3gpuE8ELNS1_3repE0EEENS1_30default_config_static_selectorELNS0_4arch9wavefront6targetE0EEEvT1_: ; @_ZN7rocprim17ROCPRIM_400000_NS6detail17trampoline_kernelINS0_14default_configENS1_27scan_by_key_config_selectorIidEEZZNS1_16scan_by_key_implILNS1_25lookback_scan_determinismE0ELb1ES3_N6thrust23THRUST_200600_302600_NS6detail15normal_iteratorINS9_10device_ptrIiEEEENSB_INSC_IdEEEESG_dNS9_4plusIvEENS9_8equal_toIvEEdEE10hipError_tPvRmT2_T3_T4_T5_mT6_T7_P12ihipStream_tbENKUlT_T0_E_clISt17integral_constantIbLb0EES10_IbLb1EEEEDaSW_SX_EUlSW_E_NS1_11comp_targetILNS1_3genE4ELNS1_11target_archE910ELNS1_3gpuE8ELNS1_3repE0EEENS1_30default_config_static_selectorELNS0_4arch9wavefront6targetE0EEEvT1_
; %bb.0:
	.section	.rodata,"a",@progbits
	.p2align	6, 0x0
	.amdhsa_kernel _ZN7rocprim17ROCPRIM_400000_NS6detail17trampoline_kernelINS0_14default_configENS1_27scan_by_key_config_selectorIidEEZZNS1_16scan_by_key_implILNS1_25lookback_scan_determinismE0ELb1ES3_N6thrust23THRUST_200600_302600_NS6detail15normal_iteratorINS9_10device_ptrIiEEEENSB_INSC_IdEEEESG_dNS9_4plusIvEENS9_8equal_toIvEEdEE10hipError_tPvRmT2_T3_T4_T5_mT6_T7_P12ihipStream_tbENKUlT_T0_E_clISt17integral_constantIbLb0EES10_IbLb1EEEEDaSW_SX_EUlSW_E_NS1_11comp_targetILNS1_3genE4ELNS1_11target_archE910ELNS1_3gpuE8ELNS1_3repE0EEENS1_30default_config_static_selectorELNS0_4arch9wavefront6targetE0EEEvT1_
		.amdhsa_group_segment_fixed_size 0
		.amdhsa_private_segment_fixed_size 0
		.amdhsa_kernarg_size 136
		.amdhsa_user_sgpr_count 6
		.amdhsa_user_sgpr_private_segment_buffer 1
		.amdhsa_user_sgpr_dispatch_ptr 0
		.amdhsa_user_sgpr_queue_ptr 0
		.amdhsa_user_sgpr_kernarg_segment_ptr 1
		.amdhsa_user_sgpr_dispatch_id 0
		.amdhsa_user_sgpr_flat_scratch_init 0
		.amdhsa_user_sgpr_private_segment_size 0
		.amdhsa_wavefront_size32 1
		.amdhsa_uses_dynamic_stack 0
		.amdhsa_system_sgpr_private_segment_wavefront_offset 0
		.amdhsa_system_sgpr_workgroup_id_x 1
		.amdhsa_system_sgpr_workgroup_id_y 0
		.amdhsa_system_sgpr_workgroup_id_z 0
		.amdhsa_system_sgpr_workgroup_info 0
		.amdhsa_system_vgpr_workitem_id 0
		.amdhsa_next_free_vgpr 1
		.amdhsa_next_free_sgpr 1
		.amdhsa_reserve_vcc 0
		.amdhsa_reserve_flat_scratch 0
		.amdhsa_float_round_mode_32 0
		.amdhsa_float_round_mode_16_64 0
		.amdhsa_float_denorm_mode_32 3
		.amdhsa_float_denorm_mode_16_64 3
		.amdhsa_dx10_clamp 1
		.amdhsa_ieee_mode 1
		.amdhsa_fp16_overflow 0
		.amdhsa_workgroup_processor_mode 1
		.amdhsa_memory_ordered 1
		.amdhsa_forward_progress 1
		.amdhsa_shared_vgpr_count 0
		.amdhsa_exception_fp_ieee_invalid_op 0
		.amdhsa_exception_fp_denorm_src 0
		.amdhsa_exception_fp_ieee_div_zero 0
		.amdhsa_exception_fp_ieee_overflow 0
		.amdhsa_exception_fp_ieee_underflow 0
		.amdhsa_exception_fp_ieee_inexact 0
		.amdhsa_exception_int_div_zero 0
	.end_amdhsa_kernel
	.section	.text._ZN7rocprim17ROCPRIM_400000_NS6detail17trampoline_kernelINS0_14default_configENS1_27scan_by_key_config_selectorIidEEZZNS1_16scan_by_key_implILNS1_25lookback_scan_determinismE0ELb1ES3_N6thrust23THRUST_200600_302600_NS6detail15normal_iteratorINS9_10device_ptrIiEEEENSB_INSC_IdEEEESG_dNS9_4plusIvEENS9_8equal_toIvEEdEE10hipError_tPvRmT2_T3_T4_T5_mT6_T7_P12ihipStream_tbENKUlT_T0_E_clISt17integral_constantIbLb0EES10_IbLb1EEEEDaSW_SX_EUlSW_E_NS1_11comp_targetILNS1_3genE4ELNS1_11target_archE910ELNS1_3gpuE8ELNS1_3repE0EEENS1_30default_config_static_selectorELNS0_4arch9wavefront6targetE0EEEvT1_,"axG",@progbits,_ZN7rocprim17ROCPRIM_400000_NS6detail17trampoline_kernelINS0_14default_configENS1_27scan_by_key_config_selectorIidEEZZNS1_16scan_by_key_implILNS1_25lookback_scan_determinismE0ELb1ES3_N6thrust23THRUST_200600_302600_NS6detail15normal_iteratorINS9_10device_ptrIiEEEENSB_INSC_IdEEEESG_dNS9_4plusIvEENS9_8equal_toIvEEdEE10hipError_tPvRmT2_T3_T4_T5_mT6_T7_P12ihipStream_tbENKUlT_T0_E_clISt17integral_constantIbLb0EES10_IbLb1EEEEDaSW_SX_EUlSW_E_NS1_11comp_targetILNS1_3genE4ELNS1_11target_archE910ELNS1_3gpuE8ELNS1_3repE0EEENS1_30default_config_static_selectorELNS0_4arch9wavefront6targetE0EEEvT1_,comdat
.Lfunc_end1421:
	.size	_ZN7rocprim17ROCPRIM_400000_NS6detail17trampoline_kernelINS0_14default_configENS1_27scan_by_key_config_selectorIidEEZZNS1_16scan_by_key_implILNS1_25lookback_scan_determinismE0ELb1ES3_N6thrust23THRUST_200600_302600_NS6detail15normal_iteratorINS9_10device_ptrIiEEEENSB_INSC_IdEEEESG_dNS9_4plusIvEENS9_8equal_toIvEEdEE10hipError_tPvRmT2_T3_T4_T5_mT6_T7_P12ihipStream_tbENKUlT_T0_E_clISt17integral_constantIbLb0EES10_IbLb1EEEEDaSW_SX_EUlSW_E_NS1_11comp_targetILNS1_3genE4ELNS1_11target_archE910ELNS1_3gpuE8ELNS1_3repE0EEENS1_30default_config_static_selectorELNS0_4arch9wavefront6targetE0EEEvT1_, .Lfunc_end1421-_ZN7rocprim17ROCPRIM_400000_NS6detail17trampoline_kernelINS0_14default_configENS1_27scan_by_key_config_selectorIidEEZZNS1_16scan_by_key_implILNS1_25lookback_scan_determinismE0ELb1ES3_N6thrust23THRUST_200600_302600_NS6detail15normal_iteratorINS9_10device_ptrIiEEEENSB_INSC_IdEEEESG_dNS9_4plusIvEENS9_8equal_toIvEEdEE10hipError_tPvRmT2_T3_T4_T5_mT6_T7_P12ihipStream_tbENKUlT_T0_E_clISt17integral_constantIbLb0EES10_IbLb1EEEEDaSW_SX_EUlSW_E_NS1_11comp_targetILNS1_3genE4ELNS1_11target_archE910ELNS1_3gpuE8ELNS1_3repE0EEENS1_30default_config_static_selectorELNS0_4arch9wavefront6targetE0EEEvT1_
                                        ; -- End function
	.set _ZN7rocprim17ROCPRIM_400000_NS6detail17trampoline_kernelINS0_14default_configENS1_27scan_by_key_config_selectorIidEEZZNS1_16scan_by_key_implILNS1_25lookback_scan_determinismE0ELb1ES3_N6thrust23THRUST_200600_302600_NS6detail15normal_iteratorINS9_10device_ptrIiEEEENSB_INSC_IdEEEESG_dNS9_4plusIvEENS9_8equal_toIvEEdEE10hipError_tPvRmT2_T3_T4_T5_mT6_T7_P12ihipStream_tbENKUlT_T0_E_clISt17integral_constantIbLb0EES10_IbLb1EEEEDaSW_SX_EUlSW_E_NS1_11comp_targetILNS1_3genE4ELNS1_11target_archE910ELNS1_3gpuE8ELNS1_3repE0EEENS1_30default_config_static_selectorELNS0_4arch9wavefront6targetE0EEEvT1_.num_vgpr, 0
	.set _ZN7rocprim17ROCPRIM_400000_NS6detail17trampoline_kernelINS0_14default_configENS1_27scan_by_key_config_selectorIidEEZZNS1_16scan_by_key_implILNS1_25lookback_scan_determinismE0ELb1ES3_N6thrust23THRUST_200600_302600_NS6detail15normal_iteratorINS9_10device_ptrIiEEEENSB_INSC_IdEEEESG_dNS9_4plusIvEENS9_8equal_toIvEEdEE10hipError_tPvRmT2_T3_T4_T5_mT6_T7_P12ihipStream_tbENKUlT_T0_E_clISt17integral_constantIbLb0EES10_IbLb1EEEEDaSW_SX_EUlSW_E_NS1_11comp_targetILNS1_3genE4ELNS1_11target_archE910ELNS1_3gpuE8ELNS1_3repE0EEENS1_30default_config_static_selectorELNS0_4arch9wavefront6targetE0EEEvT1_.num_agpr, 0
	.set _ZN7rocprim17ROCPRIM_400000_NS6detail17trampoline_kernelINS0_14default_configENS1_27scan_by_key_config_selectorIidEEZZNS1_16scan_by_key_implILNS1_25lookback_scan_determinismE0ELb1ES3_N6thrust23THRUST_200600_302600_NS6detail15normal_iteratorINS9_10device_ptrIiEEEENSB_INSC_IdEEEESG_dNS9_4plusIvEENS9_8equal_toIvEEdEE10hipError_tPvRmT2_T3_T4_T5_mT6_T7_P12ihipStream_tbENKUlT_T0_E_clISt17integral_constantIbLb0EES10_IbLb1EEEEDaSW_SX_EUlSW_E_NS1_11comp_targetILNS1_3genE4ELNS1_11target_archE910ELNS1_3gpuE8ELNS1_3repE0EEENS1_30default_config_static_selectorELNS0_4arch9wavefront6targetE0EEEvT1_.numbered_sgpr, 0
	.set _ZN7rocprim17ROCPRIM_400000_NS6detail17trampoline_kernelINS0_14default_configENS1_27scan_by_key_config_selectorIidEEZZNS1_16scan_by_key_implILNS1_25lookback_scan_determinismE0ELb1ES3_N6thrust23THRUST_200600_302600_NS6detail15normal_iteratorINS9_10device_ptrIiEEEENSB_INSC_IdEEEESG_dNS9_4plusIvEENS9_8equal_toIvEEdEE10hipError_tPvRmT2_T3_T4_T5_mT6_T7_P12ihipStream_tbENKUlT_T0_E_clISt17integral_constantIbLb0EES10_IbLb1EEEEDaSW_SX_EUlSW_E_NS1_11comp_targetILNS1_3genE4ELNS1_11target_archE910ELNS1_3gpuE8ELNS1_3repE0EEENS1_30default_config_static_selectorELNS0_4arch9wavefront6targetE0EEEvT1_.num_named_barrier, 0
	.set _ZN7rocprim17ROCPRIM_400000_NS6detail17trampoline_kernelINS0_14default_configENS1_27scan_by_key_config_selectorIidEEZZNS1_16scan_by_key_implILNS1_25lookback_scan_determinismE0ELb1ES3_N6thrust23THRUST_200600_302600_NS6detail15normal_iteratorINS9_10device_ptrIiEEEENSB_INSC_IdEEEESG_dNS9_4plusIvEENS9_8equal_toIvEEdEE10hipError_tPvRmT2_T3_T4_T5_mT6_T7_P12ihipStream_tbENKUlT_T0_E_clISt17integral_constantIbLb0EES10_IbLb1EEEEDaSW_SX_EUlSW_E_NS1_11comp_targetILNS1_3genE4ELNS1_11target_archE910ELNS1_3gpuE8ELNS1_3repE0EEENS1_30default_config_static_selectorELNS0_4arch9wavefront6targetE0EEEvT1_.private_seg_size, 0
	.set _ZN7rocprim17ROCPRIM_400000_NS6detail17trampoline_kernelINS0_14default_configENS1_27scan_by_key_config_selectorIidEEZZNS1_16scan_by_key_implILNS1_25lookback_scan_determinismE0ELb1ES3_N6thrust23THRUST_200600_302600_NS6detail15normal_iteratorINS9_10device_ptrIiEEEENSB_INSC_IdEEEESG_dNS9_4plusIvEENS9_8equal_toIvEEdEE10hipError_tPvRmT2_T3_T4_T5_mT6_T7_P12ihipStream_tbENKUlT_T0_E_clISt17integral_constantIbLb0EES10_IbLb1EEEEDaSW_SX_EUlSW_E_NS1_11comp_targetILNS1_3genE4ELNS1_11target_archE910ELNS1_3gpuE8ELNS1_3repE0EEENS1_30default_config_static_selectorELNS0_4arch9wavefront6targetE0EEEvT1_.uses_vcc, 0
	.set _ZN7rocprim17ROCPRIM_400000_NS6detail17trampoline_kernelINS0_14default_configENS1_27scan_by_key_config_selectorIidEEZZNS1_16scan_by_key_implILNS1_25lookback_scan_determinismE0ELb1ES3_N6thrust23THRUST_200600_302600_NS6detail15normal_iteratorINS9_10device_ptrIiEEEENSB_INSC_IdEEEESG_dNS9_4plusIvEENS9_8equal_toIvEEdEE10hipError_tPvRmT2_T3_T4_T5_mT6_T7_P12ihipStream_tbENKUlT_T0_E_clISt17integral_constantIbLb0EES10_IbLb1EEEEDaSW_SX_EUlSW_E_NS1_11comp_targetILNS1_3genE4ELNS1_11target_archE910ELNS1_3gpuE8ELNS1_3repE0EEENS1_30default_config_static_selectorELNS0_4arch9wavefront6targetE0EEEvT1_.uses_flat_scratch, 0
	.set _ZN7rocprim17ROCPRIM_400000_NS6detail17trampoline_kernelINS0_14default_configENS1_27scan_by_key_config_selectorIidEEZZNS1_16scan_by_key_implILNS1_25lookback_scan_determinismE0ELb1ES3_N6thrust23THRUST_200600_302600_NS6detail15normal_iteratorINS9_10device_ptrIiEEEENSB_INSC_IdEEEESG_dNS9_4plusIvEENS9_8equal_toIvEEdEE10hipError_tPvRmT2_T3_T4_T5_mT6_T7_P12ihipStream_tbENKUlT_T0_E_clISt17integral_constantIbLb0EES10_IbLb1EEEEDaSW_SX_EUlSW_E_NS1_11comp_targetILNS1_3genE4ELNS1_11target_archE910ELNS1_3gpuE8ELNS1_3repE0EEENS1_30default_config_static_selectorELNS0_4arch9wavefront6targetE0EEEvT1_.has_dyn_sized_stack, 0
	.set _ZN7rocprim17ROCPRIM_400000_NS6detail17trampoline_kernelINS0_14default_configENS1_27scan_by_key_config_selectorIidEEZZNS1_16scan_by_key_implILNS1_25lookback_scan_determinismE0ELb1ES3_N6thrust23THRUST_200600_302600_NS6detail15normal_iteratorINS9_10device_ptrIiEEEENSB_INSC_IdEEEESG_dNS9_4plusIvEENS9_8equal_toIvEEdEE10hipError_tPvRmT2_T3_T4_T5_mT6_T7_P12ihipStream_tbENKUlT_T0_E_clISt17integral_constantIbLb0EES10_IbLb1EEEEDaSW_SX_EUlSW_E_NS1_11comp_targetILNS1_3genE4ELNS1_11target_archE910ELNS1_3gpuE8ELNS1_3repE0EEENS1_30default_config_static_selectorELNS0_4arch9wavefront6targetE0EEEvT1_.has_recursion, 0
	.set _ZN7rocprim17ROCPRIM_400000_NS6detail17trampoline_kernelINS0_14default_configENS1_27scan_by_key_config_selectorIidEEZZNS1_16scan_by_key_implILNS1_25lookback_scan_determinismE0ELb1ES3_N6thrust23THRUST_200600_302600_NS6detail15normal_iteratorINS9_10device_ptrIiEEEENSB_INSC_IdEEEESG_dNS9_4plusIvEENS9_8equal_toIvEEdEE10hipError_tPvRmT2_T3_T4_T5_mT6_T7_P12ihipStream_tbENKUlT_T0_E_clISt17integral_constantIbLb0EES10_IbLb1EEEEDaSW_SX_EUlSW_E_NS1_11comp_targetILNS1_3genE4ELNS1_11target_archE910ELNS1_3gpuE8ELNS1_3repE0EEENS1_30default_config_static_selectorELNS0_4arch9wavefront6targetE0EEEvT1_.has_indirect_call, 0
	.section	.AMDGPU.csdata,"",@progbits
; Kernel info:
; codeLenInByte = 0
; TotalNumSgprs: 0
; NumVgprs: 0
; ScratchSize: 0
; MemoryBound: 0
; FloatMode: 240
; IeeeMode: 1
; LDSByteSize: 0 bytes/workgroup (compile time only)
; SGPRBlocks: 0
; VGPRBlocks: 0
; NumSGPRsForWavesPerEU: 1
; NumVGPRsForWavesPerEU: 1
; Occupancy: 16
; WaveLimiterHint : 0
; COMPUTE_PGM_RSRC2:SCRATCH_EN: 0
; COMPUTE_PGM_RSRC2:USER_SGPR: 6
; COMPUTE_PGM_RSRC2:TRAP_HANDLER: 0
; COMPUTE_PGM_RSRC2:TGID_X_EN: 1
; COMPUTE_PGM_RSRC2:TGID_Y_EN: 0
; COMPUTE_PGM_RSRC2:TGID_Z_EN: 0
; COMPUTE_PGM_RSRC2:TIDIG_COMP_CNT: 0
	.section	.text._ZN7rocprim17ROCPRIM_400000_NS6detail17trampoline_kernelINS0_14default_configENS1_27scan_by_key_config_selectorIidEEZZNS1_16scan_by_key_implILNS1_25lookback_scan_determinismE0ELb1ES3_N6thrust23THRUST_200600_302600_NS6detail15normal_iteratorINS9_10device_ptrIiEEEENSB_INSC_IdEEEESG_dNS9_4plusIvEENS9_8equal_toIvEEdEE10hipError_tPvRmT2_T3_T4_T5_mT6_T7_P12ihipStream_tbENKUlT_T0_E_clISt17integral_constantIbLb0EES10_IbLb1EEEEDaSW_SX_EUlSW_E_NS1_11comp_targetILNS1_3genE3ELNS1_11target_archE908ELNS1_3gpuE7ELNS1_3repE0EEENS1_30default_config_static_selectorELNS0_4arch9wavefront6targetE0EEEvT1_,"axG",@progbits,_ZN7rocprim17ROCPRIM_400000_NS6detail17trampoline_kernelINS0_14default_configENS1_27scan_by_key_config_selectorIidEEZZNS1_16scan_by_key_implILNS1_25lookback_scan_determinismE0ELb1ES3_N6thrust23THRUST_200600_302600_NS6detail15normal_iteratorINS9_10device_ptrIiEEEENSB_INSC_IdEEEESG_dNS9_4plusIvEENS9_8equal_toIvEEdEE10hipError_tPvRmT2_T3_T4_T5_mT6_T7_P12ihipStream_tbENKUlT_T0_E_clISt17integral_constantIbLb0EES10_IbLb1EEEEDaSW_SX_EUlSW_E_NS1_11comp_targetILNS1_3genE3ELNS1_11target_archE908ELNS1_3gpuE7ELNS1_3repE0EEENS1_30default_config_static_selectorELNS0_4arch9wavefront6targetE0EEEvT1_,comdat
	.protected	_ZN7rocprim17ROCPRIM_400000_NS6detail17trampoline_kernelINS0_14default_configENS1_27scan_by_key_config_selectorIidEEZZNS1_16scan_by_key_implILNS1_25lookback_scan_determinismE0ELb1ES3_N6thrust23THRUST_200600_302600_NS6detail15normal_iteratorINS9_10device_ptrIiEEEENSB_INSC_IdEEEESG_dNS9_4plusIvEENS9_8equal_toIvEEdEE10hipError_tPvRmT2_T3_T4_T5_mT6_T7_P12ihipStream_tbENKUlT_T0_E_clISt17integral_constantIbLb0EES10_IbLb1EEEEDaSW_SX_EUlSW_E_NS1_11comp_targetILNS1_3genE3ELNS1_11target_archE908ELNS1_3gpuE7ELNS1_3repE0EEENS1_30default_config_static_selectorELNS0_4arch9wavefront6targetE0EEEvT1_ ; -- Begin function _ZN7rocprim17ROCPRIM_400000_NS6detail17trampoline_kernelINS0_14default_configENS1_27scan_by_key_config_selectorIidEEZZNS1_16scan_by_key_implILNS1_25lookback_scan_determinismE0ELb1ES3_N6thrust23THRUST_200600_302600_NS6detail15normal_iteratorINS9_10device_ptrIiEEEENSB_INSC_IdEEEESG_dNS9_4plusIvEENS9_8equal_toIvEEdEE10hipError_tPvRmT2_T3_T4_T5_mT6_T7_P12ihipStream_tbENKUlT_T0_E_clISt17integral_constantIbLb0EES10_IbLb1EEEEDaSW_SX_EUlSW_E_NS1_11comp_targetILNS1_3genE3ELNS1_11target_archE908ELNS1_3gpuE7ELNS1_3repE0EEENS1_30default_config_static_selectorELNS0_4arch9wavefront6targetE0EEEvT1_
	.globl	_ZN7rocprim17ROCPRIM_400000_NS6detail17trampoline_kernelINS0_14default_configENS1_27scan_by_key_config_selectorIidEEZZNS1_16scan_by_key_implILNS1_25lookback_scan_determinismE0ELb1ES3_N6thrust23THRUST_200600_302600_NS6detail15normal_iteratorINS9_10device_ptrIiEEEENSB_INSC_IdEEEESG_dNS9_4plusIvEENS9_8equal_toIvEEdEE10hipError_tPvRmT2_T3_T4_T5_mT6_T7_P12ihipStream_tbENKUlT_T0_E_clISt17integral_constantIbLb0EES10_IbLb1EEEEDaSW_SX_EUlSW_E_NS1_11comp_targetILNS1_3genE3ELNS1_11target_archE908ELNS1_3gpuE7ELNS1_3repE0EEENS1_30default_config_static_selectorELNS0_4arch9wavefront6targetE0EEEvT1_
	.p2align	8
	.type	_ZN7rocprim17ROCPRIM_400000_NS6detail17trampoline_kernelINS0_14default_configENS1_27scan_by_key_config_selectorIidEEZZNS1_16scan_by_key_implILNS1_25lookback_scan_determinismE0ELb1ES3_N6thrust23THRUST_200600_302600_NS6detail15normal_iteratorINS9_10device_ptrIiEEEENSB_INSC_IdEEEESG_dNS9_4plusIvEENS9_8equal_toIvEEdEE10hipError_tPvRmT2_T3_T4_T5_mT6_T7_P12ihipStream_tbENKUlT_T0_E_clISt17integral_constantIbLb0EES10_IbLb1EEEEDaSW_SX_EUlSW_E_NS1_11comp_targetILNS1_3genE3ELNS1_11target_archE908ELNS1_3gpuE7ELNS1_3repE0EEENS1_30default_config_static_selectorELNS0_4arch9wavefront6targetE0EEEvT1_,@function
_ZN7rocprim17ROCPRIM_400000_NS6detail17trampoline_kernelINS0_14default_configENS1_27scan_by_key_config_selectorIidEEZZNS1_16scan_by_key_implILNS1_25lookback_scan_determinismE0ELb1ES3_N6thrust23THRUST_200600_302600_NS6detail15normal_iteratorINS9_10device_ptrIiEEEENSB_INSC_IdEEEESG_dNS9_4plusIvEENS9_8equal_toIvEEdEE10hipError_tPvRmT2_T3_T4_T5_mT6_T7_P12ihipStream_tbENKUlT_T0_E_clISt17integral_constantIbLb0EES10_IbLb1EEEEDaSW_SX_EUlSW_E_NS1_11comp_targetILNS1_3genE3ELNS1_11target_archE908ELNS1_3gpuE7ELNS1_3repE0EEENS1_30default_config_static_selectorELNS0_4arch9wavefront6targetE0EEEvT1_: ; @_ZN7rocprim17ROCPRIM_400000_NS6detail17trampoline_kernelINS0_14default_configENS1_27scan_by_key_config_selectorIidEEZZNS1_16scan_by_key_implILNS1_25lookback_scan_determinismE0ELb1ES3_N6thrust23THRUST_200600_302600_NS6detail15normal_iteratorINS9_10device_ptrIiEEEENSB_INSC_IdEEEESG_dNS9_4plusIvEENS9_8equal_toIvEEdEE10hipError_tPvRmT2_T3_T4_T5_mT6_T7_P12ihipStream_tbENKUlT_T0_E_clISt17integral_constantIbLb0EES10_IbLb1EEEEDaSW_SX_EUlSW_E_NS1_11comp_targetILNS1_3genE3ELNS1_11target_archE908ELNS1_3gpuE7ELNS1_3repE0EEENS1_30default_config_static_selectorELNS0_4arch9wavefront6targetE0EEEvT1_
; %bb.0:
	.section	.rodata,"a",@progbits
	.p2align	6, 0x0
	.amdhsa_kernel _ZN7rocprim17ROCPRIM_400000_NS6detail17trampoline_kernelINS0_14default_configENS1_27scan_by_key_config_selectorIidEEZZNS1_16scan_by_key_implILNS1_25lookback_scan_determinismE0ELb1ES3_N6thrust23THRUST_200600_302600_NS6detail15normal_iteratorINS9_10device_ptrIiEEEENSB_INSC_IdEEEESG_dNS9_4plusIvEENS9_8equal_toIvEEdEE10hipError_tPvRmT2_T3_T4_T5_mT6_T7_P12ihipStream_tbENKUlT_T0_E_clISt17integral_constantIbLb0EES10_IbLb1EEEEDaSW_SX_EUlSW_E_NS1_11comp_targetILNS1_3genE3ELNS1_11target_archE908ELNS1_3gpuE7ELNS1_3repE0EEENS1_30default_config_static_selectorELNS0_4arch9wavefront6targetE0EEEvT1_
		.amdhsa_group_segment_fixed_size 0
		.amdhsa_private_segment_fixed_size 0
		.amdhsa_kernarg_size 136
		.amdhsa_user_sgpr_count 6
		.amdhsa_user_sgpr_private_segment_buffer 1
		.amdhsa_user_sgpr_dispatch_ptr 0
		.amdhsa_user_sgpr_queue_ptr 0
		.amdhsa_user_sgpr_kernarg_segment_ptr 1
		.amdhsa_user_sgpr_dispatch_id 0
		.amdhsa_user_sgpr_flat_scratch_init 0
		.amdhsa_user_sgpr_private_segment_size 0
		.amdhsa_wavefront_size32 1
		.amdhsa_uses_dynamic_stack 0
		.amdhsa_system_sgpr_private_segment_wavefront_offset 0
		.amdhsa_system_sgpr_workgroup_id_x 1
		.amdhsa_system_sgpr_workgroup_id_y 0
		.amdhsa_system_sgpr_workgroup_id_z 0
		.amdhsa_system_sgpr_workgroup_info 0
		.amdhsa_system_vgpr_workitem_id 0
		.amdhsa_next_free_vgpr 1
		.amdhsa_next_free_sgpr 1
		.amdhsa_reserve_vcc 0
		.amdhsa_reserve_flat_scratch 0
		.amdhsa_float_round_mode_32 0
		.amdhsa_float_round_mode_16_64 0
		.amdhsa_float_denorm_mode_32 3
		.amdhsa_float_denorm_mode_16_64 3
		.amdhsa_dx10_clamp 1
		.amdhsa_ieee_mode 1
		.amdhsa_fp16_overflow 0
		.amdhsa_workgroup_processor_mode 1
		.amdhsa_memory_ordered 1
		.amdhsa_forward_progress 1
		.amdhsa_shared_vgpr_count 0
		.amdhsa_exception_fp_ieee_invalid_op 0
		.amdhsa_exception_fp_denorm_src 0
		.amdhsa_exception_fp_ieee_div_zero 0
		.amdhsa_exception_fp_ieee_overflow 0
		.amdhsa_exception_fp_ieee_underflow 0
		.amdhsa_exception_fp_ieee_inexact 0
		.amdhsa_exception_int_div_zero 0
	.end_amdhsa_kernel
	.section	.text._ZN7rocprim17ROCPRIM_400000_NS6detail17trampoline_kernelINS0_14default_configENS1_27scan_by_key_config_selectorIidEEZZNS1_16scan_by_key_implILNS1_25lookback_scan_determinismE0ELb1ES3_N6thrust23THRUST_200600_302600_NS6detail15normal_iteratorINS9_10device_ptrIiEEEENSB_INSC_IdEEEESG_dNS9_4plusIvEENS9_8equal_toIvEEdEE10hipError_tPvRmT2_T3_T4_T5_mT6_T7_P12ihipStream_tbENKUlT_T0_E_clISt17integral_constantIbLb0EES10_IbLb1EEEEDaSW_SX_EUlSW_E_NS1_11comp_targetILNS1_3genE3ELNS1_11target_archE908ELNS1_3gpuE7ELNS1_3repE0EEENS1_30default_config_static_selectorELNS0_4arch9wavefront6targetE0EEEvT1_,"axG",@progbits,_ZN7rocprim17ROCPRIM_400000_NS6detail17trampoline_kernelINS0_14default_configENS1_27scan_by_key_config_selectorIidEEZZNS1_16scan_by_key_implILNS1_25lookback_scan_determinismE0ELb1ES3_N6thrust23THRUST_200600_302600_NS6detail15normal_iteratorINS9_10device_ptrIiEEEENSB_INSC_IdEEEESG_dNS9_4plusIvEENS9_8equal_toIvEEdEE10hipError_tPvRmT2_T3_T4_T5_mT6_T7_P12ihipStream_tbENKUlT_T0_E_clISt17integral_constantIbLb0EES10_IbLb1EEEEDaSW_SX_EUlSW_E_NS1_11comp_targetILNS1_3genE3ELNS1_11target_archE908ELNS1_3gpuE7ELNS1_3repE0EEENS1_30default_config_static_selectorELNS0_4arch9wavefront6targetE0EEEvT1_,comdat
.Lfunc_end1422:
	.size	_ZN7rocprim17ROCPRIM_400000_NS6detail17trampoline_kernelINS0_14default_configENS1_27scan_by_key_config_selectorIidEEZZNS1_16scan_by_key_implILNS1_25lookback_scan_determinismE0ELb1ES3_N6thrust23THRUST_200600_302600_NS6detail15normal_iteratorINS9_10device_ptrIiEEEENSB_INSC_IdEEEESG_dNS9_4plusIvEENS9_8equal_toIvEEdEE10hipError_tPvRmT2_T3_T4_T5_mT6_T7_P12ihipStream_tbENKUlT_T0_E_clISt17integral_constantIbLb0EES10_IbLb1EEEEDaSW_SX_EUlSW_E_NS1_11comp_targetILNS1_3genE3ELNS1_11target_archE908ELNS1_3gpuE7ELNS1_3repE0EEENS1_30default_config_static_selectorELNS0_4arch9wavefront6targetE0EEEvT1_, .Lfunc_end1422-_ZN7rocprim17ROCPRIM_400000_NS6detail17trampoline_kernelINS0_14default_configENS1_27scan_by_key_config_selectorIidEEZZNS1_16scan_by_key_implILNS1_25lookback_scan_determinismE0ELb1ES3_N6thrust23THRUST_200600_302600_NS6detail15normal_iteratorINS9_10device_ptrIiEEEENSB_INSC_IdEEEESG_dNS9_4plusIvEENS9_8equal_toIvEEdEE10hipError_tPvRmT2_T3_T4_T5_mT6_T7_P12ihipStream_tbENKUlT_T0_E_clISt17integral_constantIbLb0EES10_IbLb1EEEEDaSW_SX_EUlSW_E_NS1_11comp_targetILNS1_3genE3ELNS1_11target_archE908ELNS1_3gpuE7ELNS1_3repE0EEENS1_30default_config_static_selectorELNS0_4arch9wavefront6targetE0EEEvT1_
                                        ; -- End function
	.set _ZN7rocprim17ROCPRIM_400000_NS6detail17trampoline_kernelINS0_14default_configENS1_27scan_by_key_config_selectorIidEEZZNS1_16scan_by_key_implILNS1_25lookback_scan_determinismE0ELb1ES3_N6thrust23THRUST_200600_302600_NS6detail15normal_iteratorINS9_10device_ptrIiEEEENSB_INSC_IdEEEESG_dNS9_4plusIvEENS9_8equal_toIvEEdEE10hipError_tPvRmT2_T3_T4_T5_mT6_T7_P12ihipStream_tbENKUlT_T0_E_clISt17integral_constantIbLb0EES10_IbLb1EEEEDaSW_SX_EUlSW_E_NS1_11comp_targetILNS1_3genE3ELNS1_11target_archE908ELNS1_3gpuE7ELNS1_3repE0EEENS1_30default_config_static_selectorELNS0_4arch9wavefront6targetE0EEEvT1_.num_vgpr, 0
	.set _ZN7rocprim17ROCPRIM_400000_NS6detail17trampoline_kernelINS0_14default_configENS1_27scan_by_key_config_selectorIidEEZZNS1_16scan_by_key_implILNS1_25lookback_scan_determinismE0ELb1ES3_N6thrust23THRUST_200600_302600_NS6detail15normal_iteratorINS9_10device_ptrIiEEEENSB_INSC_IdEEEESG_dNS9_4plusIvEENS9_8equal_toIvEEdEE10hipError_tPvRmT2_T3_T4_T5_mT6_T7_P12ihipStream_tbENKUlT_T0_E_clISt17integral_constantIbLb0EES10_IbLb1EEEEDaSW_SX_EUlSW_E_NS1_11comp_targetILNS1_3genE3ELNS1_11target_archE908ELNS1_3gpuE7ELNS1_3repE0EEENS1_30default_config_static_selectorELNS0_4arch9wavefront6targetE0EEEvT1_.num_agpr, 0
	.set _ZN7rocprim17ROCPRIM_400000_NS6detail17trampoline_kernelINS0_14default_configENS1_27scan_by_key_config_selectorIidEEZZNS1_16scan_by_key_implILNS1_25lookback_scan_determinismE0ELb1ES3_N6thrust23THRUST_200600_302600_NS6detail15normal_iteratorINS9_10device_ptrIiEEEENSB_INSC_IdEEEESG_dNS9_4plusIvEENS9_8equal_toIvEEdEE10hipError_tPvRmT2_T3_T4_T5_mT6_T7_P12ihipStream_tbENKUlT_T0_E_clISt17integral_constantIbLb0EES10_IbLb1EEEEDaSW_SX_EUlSW_E_NS1_11comp_targetILNS1_3genE3ELNS1_11target_archE908ELNS1_3gpuE7ELNS1_3repE0EEENS1_30default_config_static_selectorELNS0_4arch9wavefront6targetE0EEEvT1_.numbered_sgpr, 0
	.set _ZN7rocprim17ROCPRIM_400000_NS6detail17trampoline_kernelINS0_14default_configENS1_27scan_by_key_config_selectorIidEEZZNS1_16scan_by_key_implILNS1_25lookback_scan_determinismE0ELb1ES3_N6thrust23THRUST_200600_302600_NS6detail15normal_iteratorINS9_10device_ptrIiEEEENSB_INSC_IdEEEESG_dNS9_4plusIvEENS9_8equal_toIvEEdEE10hipError_tPvRmT2_T3_T4_T5_mT6_T7_P12ihipStream_tbENKUlT_T0_E_clISt17integral_constantIbLb0EES10_IbLb1EEEEDaSW_SX_EUlSW_E_NS1_11comp_targetILNS1_3genE3ELNS1_11target_archE908ELNS1_3gpuE7ELNS1_3repE0EEENS1_30default_config_static_selectorELNS0_4arch9wavefront6targetE0EEEvT1_.num_named_barrier, 0
	.set _ZN7rocprim17ROCPRIM_400000_NS6detail17trampoline_kernelINS0_14default_configENS1_27scan_by_key_config_selectorIidEEZZNS1_16scan_by_key_implILNS1_25lookback_scan_determinismE0ELb1ES3_N6thrust23THRUST_200600_302600_NS6detail15normal_iteratorINS9_10device_ptrIiEEEENSB_INSC_IdEEEESG_dNS9_4plusIvEENS9_8equal_toIvEEdEE10hipError_tPvRmT2_T3_T4_T5_mT6_T7_P12ihipStream_tbENKUlT_T0_E_clISt17integral_constantIbLb0EES10_IbLb1EEEEDaSW_SX_EUlSW_E_NS1_11comp_targetILNS1_3genE3ELNS1_11target_archE908ELNS1_3gpuE7ELNS1_3repE0EEENS1_30default_config_static_selectorELNS0_4arch9wavefront6targetE0EEEvT1_.private_seg_size, 0
	.set _ZN7rocprim17ROCPRIM_400000_NS6detail17trampoline_kernelINS0_14default_configENS1_27scan_by_key_config_selectorIidEEZZNS1_16scan_by_key_implILNS1_25lookback_scan_determinismE0ELb1ES3_N6thrust23THRUST_200600_302600_NS6detail15normal_iteratorINS9_10device_ptrIiEEEENSB_INSC_IdEEEESG_dNS9_4plusIvEENS9_8equal_toIvEEdEE10hipError_tPvRmT2_T3_T4_T5_mT6_T7_P12ihipStream_tbENKUlT_T0_E_clISt17integral_constantIbLb0EES10_IbLb1EEEEDaSW_SX_EUlSW_E_NS1_11comp_targetILNS1_3genE3ELNS1_11target_archE908ELNS1_3gpuE7ELNS1_3repE0EEENS1_30default_config_static_selectorELNS0_4arch9wavefront6targetE0EEEvT1_.uses_vcc, 0
	.set _ZN7rocprim17ROCPRIM_400000_NS6detail17trampoline_kernelINS0_14default_configENS1_27scan_by_key_config_selectorIidEEZZNS1_16scan_by_key_implILNS1_25lookback_scan_determinismE0ELb1ES3_N6thrust23THRUST_200600_302600_NS6detail15normal_iteratorINS9_10device_ptrIiEEEENSB_INSC_IdEEEESG_dNS9_4plusIvEENS9_8equal_toIvEEdEE10hipError_tPvRmT2_T3_T4_T5_mT6_T7_P12ihipStream_tbENKUlT_T0_E_clISt17integral_constantIbLb0EES10_IbLb1EEEEDaSW_SX_EUlSW_E_NS1_11comp_targetILNS1_3genE3ELNS1_11target_archE908ELNS1_3gpuE7ELNS1_3repE0EEENS1_30default_config_static_selectorELNS0_4arch9wavefront6targetE0EEEvT1_.uses_flat_scratch, 0
	.set _ZN7rocprim17ROCPRIM_400000_NS6detail17trampoline_kernelINS0_14default_configENS1_27scan_by_key_config_selectorIidEEZZNS1_16scan_by_key_implILNS1_25lookback_scan_determinismE0ELb1ES3_N6thrust23THRUST_200600_302600_NS6detail15normal_iteratorINS9_10device_ptrIiEEEENSB_INSC_IdEEEESG_dNS9_4plusIvEENS9_8equal_toIvEEdEE10hipError_tPvRmT2_T3_T4_T5_mT6_T7_P12ihipStream_tbENKUlT_T0_E_clISt17integral_constantIbLb0EES10_IbLb1EEEEDaSW_SX_EUlSW_E_NS1_11comp_targetILNS1_3genE3ELNS1_11target_archE908ELNS1_3gpuE7ELNS1_3repE0EEENS1_30default_config_static_selectorELNS0_4arch9wavefront6targetE0EEEvT1_.has_dyn_sized_stack, 0
	.set _ZN7rocprim17ROCPRIM_400000_NS6detail17trampoline_kernelINS0_14default_configENS1_27scan_by_key_config_selectorIidEEZZNS1_16scan_by_key_implILNS1_25lookback_scan_determinismE0ELb1ES3_N6thrust23THRUST_200600_302600_NS6detail15normal_iteratorINS9_10device_ptrIiEEEENSB_INSC_IdEEEESG_dNS9_4plusIvEENS9_8equal_toIvEEdEE10hipError_tPvRmT2_T3_T4_T5_mT6_T7_P12ihipStream_tbENKUlT_T0_E_clISt17integral_constantIbLb0EES10_IbLb1EEEEDaSW_SX_EUlSW_E_NS1_11comp_targetILNS1_3genE3ELNS1_11target_archE908ELNS1_3gpuE7ELNS1_3repE0EEENS1_30default_config_static_selectorELNS0_4arch9wavefront6targetE0EEEvT1_.has_recursion, 0
	.set _ZN7rocprim17ROCPRIM_400000_NS6detail17trampoline_kernelINS0_14default_configENS1_27scan_by_key_config_selectorIidEEZZNS1_16scan_by_key_implILNS1_25lookback_scan_determinismE0ELb1ES3_N6thrust23THRUST_200600_302600_NS6detail15normal_iteratorINS9_10device_ptrIiEEEENSB_INSC_IdEEEESG_dNS9_4plusIvEENS9_8equal_toIvEEdEE10hipError_tPvRmT2_T3_T4_T5_mT6_T7_P12ihipStream_tbENKUlT_T0_E_clISt17integral_constantIbLb0EES10_IbLb1EEEEDaSW_SX_EUlSW_E_NS1_11comp_targetILNS1_3genE3ELNS1_11target_archE908ELNS1_3gpuE7ELNS1_3repE0EEENS1_30default_config_static_selectorELNS0_4arch9wavefront6targetE0EEEvT1_.has_indirect_call, 0
	.section	.AMDGPU.csdata,"",@progbits
; Kernel info:
; codeLenInByte = 0
; TotalNumSgprs: 0
; NumVgprs: 0
; ScratchSize: 0
; MemoryBound: 0
; FloatMode: 240
; IeeeMode: 1
; LDSByteSize: 0 bytes/workgroup (compile time only)
; SGPRBlocks: 0
; VGPRBlocks: 0
; NumSGPRsForWavesPerEU: 1
; NumVGPRsForWavesPerEU: 1
; Occupancy: 16
; WaveLimiterHint : 0
; COMPUTE_PGM_RSRC2:SCRATCH_EN: 0
; COMPUTE_PGM_RSRC2:USER_SGPR: 6
; COMPUTE_PGM_RSRC2:TRAP_HANDLER: 0
; COMPUTE_PGM_RSRC2:TGID_X_EN: 1
; COMPUTE_PGM_RSRC2:TGID_Y_EN: 0
; COMPUTE_PGM_RSRC2:TGID_Z_EN: 0
; COMPUTE_PGM_RSRC2:TIDIG_COMP_CNT: 0
	.section	.text._ZN7rocprim17ROCPRIM_400000_NS6detail17trampoline_kernelINS0_14default_configENS1_27scan_by_key_config_selectorIidEEZZNS1_16scan_by_key_implILNS1_25lookback_scan_determinismE0ELb1ES3_N6thrust23THRUST_200600_302600_NS6detail15normal_iteratorINS9_10device_ptrIiEEEENSB_INSC_IdEEEESG_dNS9_4plusIvEENS9_8equal_toIvEEdEE10hipError_tPvRmT2_T3_T4_T5_mT6_T7_P12ihipStream_tbENKUlT_T0_E_clISt17integral_constantIbLb0EES10_IbLb1EEEEDaSW_SX_EUlSW_E_NS1_11comp_targetILNS1_3genE2ELNS1_11target_archE906ELNS1_3gpuE6ELNS1_3repE0EEENS1_30default_config_static_selectorELNS0_4arch9wavefront6targetE0EEEvT1_,"axG",@progbits,_ZN7rocprim17ROCPRIM_400000_NS6detail17trampoline_kernelINS0_14default_configENS1_27scan_by_key_config_selectorIidEEZZNS1_16scan_by_key_implILNS1_25lookback_scan_determinismE0ELb1ES3_N6thrust23THRUST_200600_302600_NS6detail15normal_iteratorINS9_10device_ptrIiEEEENSB_INSC_IdEEEESG_dNS9_4plusIvEENS9_8equal_toIvEEdEE10hipError_tPvRmT2_T3_T4_T5_mT6_T7_P12ihipStream_tbENKUlT_T0_E_clISt17integral_constantIbLb0EES10_IbLb1EEEEDaSW_SX_EUlSW_E_NS1_11comp_targetILNS1_3genE2ELNS1_11target_archE906ELNS1_3gpuE6ELNS1_3repE0EEENS1_30default_config_static_selectorELNS0_4arch9wavefront6targetE0EEEvT1_,comdat
	.protected	_ZN7rocprim17ROCPRIM_400000_NS6detail17trampoline_kernelINS0_14default_configENS1_27scan_by_key_config_selectorIidEEZZNS1_16scan_by_key_implILNS1_25lookback_scan_determinismE0ELb1ES3_N6thrust23THRUST_200600_302600_NS6detail15normal_iteratorINS9_10device_ptrIiEEEENSB_INSC_IdEEEESG_dNS9_4plusIvEENS9_8equal_toIvEEdEE10hipError_tPvRmT2_T3_T4_T5_mT6_T7_P12ihipStream_tbENKUlT_T0_E_clISt17integral_constantIbLb0EES10_IbLb1EEEEDaSW_SX_EUlSW_E_NS1_11comp_targetILNS1_3genE2ELNS1_11target_archE906ELNS1_3gpuE6ELNS1_3repE0EEENS1_30default_config_static_selectorELNS0_4arch9wavefront6targetE0EEEvT1_ ; -- Begin function _ZN7rocprim17ROCPRIM_400000_NS6detail17trampoline_kernelINS0_14default_configENS1_27scan_by_key_config_selectorIidEEZZNS1_16scan_by_key_implILNS1_25lookback_scan_determinismE0ELb1ES3_N6thrust23THRUST_200600_302600_NS6detail15normal_iteratorINS9_10device_ptrIiEEEENSB_INSC_IdEEEESG_dNS9_4plusIvEENS9_8equal_toIvEEdEE10hipError_tPvRmT2_T3_T4_T5_mT6_T7_P12ihipStream_tbENKUlT_T0_E_clISt17integral_constantIbLb0EES10_IbLb1EEEEDaSW_SX_EUlSW_E_NS1_11comp_targetILNS1_3genE2ELNS1_11target_archE906ELNS1_3gpuE6ELNS1_3repE0EEENS1_30default_config_static_selectorELNS0_4arch9wavefront6targetE0EEEvT1_
	.globl	_ZN7rocprim17ROCPRIM_400000_NS6detail17trampoline_kernelINS0_14default_configENS1_27scan_by_key_config_selectorIidEEZZNS1_16scan_by_key_implILNS1_25lookback_scan_determinismE0ELb1ES3_N6thrust23THRUST_200600_302600_NS6detail15normal_iteratorINS9_10device_ptrIiEEEENSB_INSC_IdEEEESG_dNS9_4plusIvEENS9_8equal_toIvEEdEE10hipError_tPvRmT2_T3_T4_T5_mT6_T7_P12ihipStream_tbENKUlT_T0_E_clISt17integral_constantIbLb0EES10_IbLb1EEEEDaSW_SX_EUlSW_E_NS1_11comp_targetILNS1_3genE2ELNS1_11target_archE906ELNS1_3gpuE6ELNS1_3repE0EEENS1_30default_config_static_selectorELNS0_4arch9wavefront6targetE0EEEvT1_
	.p2align	8
	.type	_ZN7rocprim17ROCPRIM_400000_NS6detail17trampoline_kernelINS0_14default_configENS1_27scan_by_key_config_selectorIidEEZZNS1_16scan_by_key_implILNS1_25lookback_scan_determinismE0ELb1ES3_N6thrust23THRUST_200600_302600_NS6detail15normal_iteratorINS9_10device_ptrIiEEEENSB_INSC_IdEEEESG_dNS9_4plusIvEENS9_8equal_toIvEEdEE10hipError_tPvRmT2_T3_T4_T5_mT6_T7_P12ihipStream_tbENKUlT_T0_E_clISt17integral_constantIbLb0EES10_IbLb1EEEEDaSW_SX_EUlSW_E_NS1_11comp_targetILNS1_3genE2ELNS1_11target_archE906ELNS1_3gpuE6ELNS1_3repE0EEENS1_30default_config_static_selectorELNS0_4arch9wavefront6targetE0EEEvT1_,@function
_ZN7rocprim17ROCPRIM_400000_NS6detail17trampoline_kernelINS0_14default_configENS1_27scan_by_key_config_selectorIidEEZZNS1_16scan_by_key_implILNS1_25lookback_scan_determinismE0ELb1ES3_N6thrust23THRUST_200600_302600_NS6detail15normal_iteratorINS9_10device_ptrIiEEEENSB_INSC_IdEEEESG_dNS9_4plusIvEENS9_8equal_toIvEEdEE10hipError_tPvRmT2_T3_T4_T5_mT6_T7_P12ihipStream_tbENKUlT_T0_E_clISt17integral_constantIbLb0EES10_IbLb1EEEEDaSW_SX_EUlSW_E_NS1_11comp_targetILNS1_3genE2ELNS1_11target_archE906ELNS1_3gpuE6ELNS1_3repE0EEENS1_30default_config_static_selectorELNS0_4arch9wavefront6targetE0EEEvT1_: ; @_ZN7rocprim17ROCPRIM_400000_NS6detail17trampoline_kernelINS0_14default_configENS1_27scan_by_key_config_selectorIidEEZZNS1_16scan_by_key_implILNS1_25lookback_scan_determinismE0ELb1ES3_N6thrust23THRUST_200600_302600_NS6detail15normal_iteratorINS9_10device_ptrIiEEEENSB_INSC_IdEEEESG_dNS9_4plusIvEENS9_8equal_toIvEEdEE10hipError_tPvRmT2_T3_T4_T5_mT6_T7_P12ihipStream_tbENKUlT_T0_E_clISt17integral_constantIbLb0EES10_IbLb1EEEEDaSW_SX_EUlSW_E_NS1_11comp_targetILNS1_3genE2ELNS1_11target_archE906ELNS1_3gpuE6ELNS1_3repE0EEENS1_30default_config_static_selectorELNS0_4arch9wavefront6targetE0EEEvT1_
; %bb.0:
	.section	.rodata,"a",@progbits
	.p2align	6, 0x0
	.amdhsa_kernel _ZN7rocprim17ROCPRIM_400000_NS6detail17trampoline_kernelINS0_14default_configENS1_27scan_by_key_config_selectorIidEEZZNS1_16scan_by_key_implILNS1_25lookback_scan_determinismE0ELb1ES3_N6thrust23THRUST_200600_302600_NS6detail15normal_iteratorINS9_10device_ptrIiEEEENSB_INSC_IdEEEESG_dNS9_4plusIvEENS9_8equal_toIvEEdEE10hipError_tPvRmT2_T3_T4_T5_mT6_T7_P12ihipStream_tbENKUlT_T0_E_clISt17integral_constantIbLb0EES10_IbLb1EEEEDaSW_SX_EUlSW_E_NS1_11comp_targetILNS1_3genE2ELNS1_11target_archE906ELNS1_3gpuE6ELNS1_3repE0EEENS1_30default_config_static_selectorELNS0_4arch9wavefront6targetE0EEEvT1_
		.amdhsa_group_segment_fixed_size 0
		.amdhsa_private_segment_fixed_size 0
		.amdhsa_kernarg_size 136
		.amdhsa_user_sgpr_count 6
		.amdhsa_user_sgpr_private_segment_buffer 1
		.amdhsa_user_sgpr_dispatch_ptr 0
		.amdhsa_user_sgpr_queue_ptr 0
		.amdhsa_user_sgpr_kernarg_segment_ptr 1
		.amdhsa_user_sgpr_dispatch_id 0
		.amdhsa_user_sgpr_flat_scratch_init 0
		.amdhsa_user_sgpr_private_segment_size 0
		.amdhsa_wavefront_size32 1
		.amdhsa_uses_dynamic_stack 0
		.amdhsa_system_sgpr_private_segment_wavefront_offset 0
		.amdhsa_system_sgpr_workgroup_id_x 1
		.amdhsa_system_sgpr_workgroup_id_y 0
		.amdhsa_system_sgpr_workgroup_id_z 0
		.amdhsa_system_sgpr_workgroup_info 0
		.amdhsa_system_vgpr_workitem_id 0
		.amdhsa_next_free_vgpr 1
		.amdhsa_next_free_sgpr 1
		.amdhsa_reserve_vcc 0
		.amdhsa_reserve_flat_scratch 0
		.amdhsa_float_round_mode_32 0
		.amdhsa_float_round_mode_16_64 0
		.amdhsa_float_denorm_mode_32 3
		.amdhsa_float_denorm_mode_16_64 3
		.amdhsa_dx10_clamp 1
		.amdhsa_ieee_mode 1
		.amdhsa_fp16_overflow 0
		.amdhsa_workgroup_processor_mode 1
		.amdhsa_memory_ordered 1
		.amdhsa_forward_progress 1
		.amdhsa_shared_vgpr_count 0
		.amdhsa_exception_fp_ieee_invalid_op 0
		.amdhsa_exception_fp_denorm_src 0
		.amdhsa_exception_fp_ieee_div_zero 0
		.amdhsa_exception_fp_ieee_overflow 0
		.amdhsa_exception_fp_ieee_underflow 0
		.amdhsa_exception_fp_ieee_inexact 0
		.amdhsa_exception_int_div_zero 0
	.end_amdhsa_kernel
	.section	.text._ZN7rocprim17ROCPRIM_400000_NS6detail17trampoline_kernelINS0_14default_configENS1_27scan_by_key_config_selectorIidEEZZNS1_16scan_by_key_implILNS1_25lookback_scan_determinismE0ELb1ES3_N6thrust23THRUST_200600_302600_NS6detail15normal_iteratorINS9_10device_ptrIiEEEENSB_INSC_IdEEEESG_dNS9_4plusIvEENS9_8equal_toIvEEdEE10hipError_tPvRmT2_T3_T4_T5_mT6_T7_P12ihipStream_tbENKUlT_T0_E_clISt17integral_constantIbLb0EES10_IbLb1EEEEDaSW_SX_EUlSW_E_NS1_11comp_targetILNS1_3genE2ELNS1_11target_archE906ELNS1_3gpuE6ELNS1_3repE0EEENS1_30default_config_static_selectorELNS0_4arch9wavefront6targetE0EEEvT1_,"axG",@progbits,_ZN7rocprim17ROCPRIM_400000_NS6detail17trampoline_kernelINS0_14default_configENS1_27scan_by_key_config_selectorIidEEZZNS1_16scan_by_key_implILNS1_25lookback_scan_determinismE0ELb1ES3_N6thrust23THRUST_200600_302600_NS6detail15normal_iteratorINS9_10device_ptrIiEEEENSB_INSC_IdEEEESG_dNS9_4plusIvEENS9_8equal_toIvEEdEE10hipError_tPvRmT2_T3_T4_T5_mT6_T7_P12ihipStream_tbENKUlT_T0_E_clISt17integral_constantIbLb0EES10_IbLb1EEEEDaSW_SX_EUlSW_E_NS1_11comp_targetILNS1_3genE2ELNS1_11target_archE906ELNS1_3gpuE6ELNS1_3repE0EEENS1_30default_config_static_selectorELNS0_4arch9wavefront6targetE0EEEvT1_,comdat
.Lfunc_end1423:
	.size	_ZN7rocprim17ROCPRIM_400000_NS6detail17trampoline_kernelINS0_14default_configENS1_27scan_by_key_config_selectorIidEEZZNS1_16scan_by_key_implILNS1_25lookback_scan_determinismE0ELb1ES3_N6thrust23THRUST_200600_302600_NS6detail15normal_iteratorINS9_10device_ptrIiEEEENSB_INSC_IdEEEESG_dNS9_4plusIvEENS9_8equal_toIvEEdEE10hipError_tPvRmT2_T3_T4_T5_mT6_T7_P12ihipStream_tbENKUlT_T0_E_clISt17integral_constantIbLb0EES10_IbLb1EEEEDaSW_SX_EUlSW_E_NS1_11comp_targetILNS1_3genE2ELNS1_11target_archE906ELNS1_3gpuE6ELNS1_3repE0EEENS1_30default_config_static_selectorELNS0_4arch9wavefront6targetE0EEEvT1_, .Lfunc_end1423-_ZN7rocprim17ROCPRIM_400000_NS6detail17trampoline_kernelINS0_14default_configENS1_27scan_by_key_config_selectorIidEEZZNS1_16scan_by_key_implILNS1_25lookback_scan_determinismE0ELb1ES3_N6thrust23THRUST_200600_302600_NS6detail15normal_iteratorINS9_10device_ptrIiEEEENSB_INSC_IdEEEESG_dNS9_4plusIvEENS9_8equal_toIvEEdEE10hipError_tPvRmT2_T3_T4_T5_mT6_T7_P12ihipStream_tbENKUlT_T0_E_clISt17integral_constantIbLb0EES10_IbLb1EEEEDaSW_SX_EUlSW_E_NS1_11comp_targetILNS1_3genE2ELNS1_11target_archE906ELNS1_3gpuE6ELNS1_3repE0EEENS1_30default_config_static_selectorELNS0_4arch9wavefront6targetE0EEEvT1_
                                        ; -- End function
	.set _ZN7rocprim17ROCPRIM_400000_NS6detail17trampoline_kernelINS0_14default_configENS1_27scan_by_key_config_selectorIidEEZZNS1_16scan_by_key_implILNS1_25lookback_scan_determinismE0ELb1ES3_N6thrust23THRUST_200600_302600_NS6detail15normal_iteratorINS9_10device_ptrIiEEEENSB_INSC_IdEEEESG_dNS9_4plusIvEENS9_8equal_toIvEEdEE10hipError_tPvRmT2_T3_T4_T5_mT6_T7_P12ihipStream_tbENKUlT_T0_E_clISt17integral_constantIbLb0EES10_IbLb1EEEEDaSW_SX_EUlSW_E_NS1_11comp_targetILNS1_3genE2ELNS1_11target_archE906ELNS1_3gpuE6ELNS1_3repE0EEENS1_30default_config_static_selectorELNS0_4arch9wavefront6targetE0EEEvT1_.num_vgpr, 0
	.set _ZN7rocprim17ROCPRIM_400000_NS6detail17trampoline_kernelINS0_14default_configENS1_27scan_by_key_config_selectorIidEEZZNS1_16scan_by_key_implILNS1_25lookback_scan_determinismE0ELb1ES3_N6thrust23THRUST_200600_302600_NS6detail15normal_iteratorINS9_10device_ptrIiEEEENSB_INSC_IdEEEESG_dNS9_4plusIvEENS9_8equal_toIvEEdEE10hipError_tPvRmT2_T3_T4_T5_mT6_T7_P12ihipStream_tbENKUlT_T0_E_clISt17integral_constantIbLb0EES10_IbLb1EEEEDaSW_SX_EUlSW_E_NS1_11comp_targetILNS1_3genE2ELNS1_11target_archE906ELNS1_3gpuE6ELNS1_3repE0EEENS1_30default_config_static_selectorELNS0_4arch9wavefront6targetE0EEEvT1_.num_agpr, 0
	.set _ZN7rocprim17ROCPRIM_400000_NS6detail17trampoline_kernelINS0_14default_configENS1_27scan_by_key_config_selectorIidEEZZNS1_16scan_by_key_implILNS1_25lookback_scan_determinismE0ELb1ES3_N6thrust23THRUST_200600_302600_NS6detail15normal_iteratorINS9_10device_ptrIiEEEENSB_INSC_IdEEEESG_dNS9_4plusIvEENS9_8equal_toIvEEdEE10hipError_tPvRmT2_T3_T4_T5_mT6_T7_P12ihipStream_tbENKUlT_T0_E_clISt17integral_constantIbLb0EES10_IbLb1EEEEDaSW_SX_EUlSW_E_NS1_11comp_targetILNS1_3genE2ELNS1_11target_archE906ELNS1_3gpuE6ELNS1_3repE0EEENS1_30default_config_static_selectorELNS0_4arch9wavefront6targetE0EEEvT1_.numbered_sgpr, 0
	.set _ZN7rocprim17ROCPRIM_400000_NS6detail17trampoline_kernelINS0_14default_configENS1_27scan_by_key_config_selectorIidEEZZNS1_16scan_by_key_implILNS1_25lookback_scan_determinismE0ELb1ES3_N6thrust23THRUST_200600_302600_NS6detail15normal_iteratorINS9_10device_ptrIiEEEENSB_INSC_IdEEEESG_dNS9_4plusIvEENS9_8equal_toIvEEdEE10hipError_tPvRmT2_T3_T4_T5_mT6_T7_P12ihipStream_tbENKUlT_T0_E_clISt17integral_constantIbLb0EES10_IbLb1EEEEDaSW_SX_EUlSW_E_NS1_11comp_targetILNS1_3genE2ELNS1_11target_archE906ELNS1_3gpuE6ELNS1_3repE0EEENS1_30default_config_static_selectorELNS0_4arch9wavefront6targetE0EEEvT1_.num_named_barrier, 0
	.set _ZN7rocprim17ROCPRIM_400000_NS6detail17trampoline_kernelINS0_14default_configENS1_27scan_by_key_config_selectorIidEEZZNS1_16scan_by_key_implILNS1_25lookback_scan_determinismE0ELb1ES3_N6thrust23THRUST_200600_302600_NS6detail15normal_iteratorINS9_10device_ptrIiEEEENSB_INSC_IdEEEESG_dNS9_4plusIvEENS9_8equal_toIvEEdEE10hipError_tPvRmT2_T3_T4_T5_mT6_T7_P12ihipStream_tbENKUlT_T0_E_clISt17integral_constantIbLb0EES10_IbLb1EEEEDaSW_SX_EUlSW_E_NS1_11comp_targetILNS1_3genE2ELNS1_11target_archE906ELNS1_3gpuE6ELNS1_3repE0EEENS1_30default_config_static_selectorELNS0_4arch9wavefront6targetE0EEEvT1_.private_seg_size, 0
	.set _ZN7rocprim17ROCPRIM_400000_NS6detail17trampoline_kernelINS0_14default_configENS1_27scan_by_key_config_selectorIidEEZZNS1_16scan_by_key_implILNS1_25lookback_scan_determinismE0ELb1ES3_N6thrust23THRUST_200600_302600_NS6detail15normal_iteratorINS9_10device_ptrIiEEEENSB_INSC_IdEEEESG_dNS9_4plusIvEENS9_8equal_toIvEEdEE10hipError_tPvRmT2_T3_T4_T5_mT6_T7_P12ihipStream_tbENKUlT_T0_E_clISt17integral_constantIbLb0EES10_IbLb1EEEEDaSW_SX_EUlSW_E_NS1_11comp_targetILNS1_3genE2ELNS1_11target_archE906ELNS1_3gpuE6ELNS1_3repE0EEENS1_30default_config_static_selectorELNS0_4arch9wavefront6targetE0EEEvT1_.uses_vcc, 0
	.set _ZN7rocprim17ROCPRIM_400000_NS6detail17trampoline_kernelINS0_14default_configENS1_27scan_by_key_config_selectorIidEEZZNS1_16scan_by_key_implILNS1_25lookback_scan_determinismE0ELb1ES3_N6thrust23THRUST_200600_302600_NS6detail15normal_iteratorINS9_10device_ptrIiEEEENSB_INSC_IdEEEESG_dNS9_4plusIvEENS9_8equal_toIvEEdEE10hipError_tPvRmT2_T3_T4_T5_mT6_T7_P12ihipStream_tbENKUlT_T0_E_clISt17integral_constantIbLb0EES10_IbLb1EEEEDaSW_SX_EUlSW_E_NS1_11comp_targetILNS1_3genE2ELNS1_11target_archE906ELNS1_3gpuE6ELNS1_3repE0EEENS1_30default_config_static_selectorELNS0_4arch9wavefront6targetE0EEEvT1_.uses_flat_scratch, 0
	.set _ZN7rocprim17ROCPRIM_400000_NS6detail17trampoline_kernelINS0_14default_configENS1_27scan_by_key_config_selectorIidEEZZNS1_16scan_by_key_implILNS1_25lookback_scan_determinismE0ELb1ES3_N6thrust23THRUST_200600_302600_NS6detail15normal_iteratorINS9_10device_ptrIiEEEENSB_INSC_IdEEEESG_dNS9_4plusIvEENS9_8equal_toIvEEdEE10hipError_tPvRmT2_T3_T4_T5_mT6_T7_P12ihipStream_tbENKUlT_T0_E_clISt17integral_constantIbLb0EES10_IbLb1EEEEDaSW_SX_EUlSW_E_NS1_11comp_targetILNS1_3genE2ELNS1_11target_archE906ELNS1_3gpuE6ELNS1_3repE0EEENS1_30default_config_static_selectorELNS0_4arch9wavefront6targetE0EEEvT1_.has_dyn_sized_stack, 0
	.set _ZN7rocprim17ROCPRIM_400000_NS6detail17trampoline_kernelINS0_14default_configENS1_27scan_by_key_config_selectorIidEEZZNS1_16scan_by_key_implILNS1_25lookback_scan_determinismE0ELb1ES3_N6thrust23THRUST_200600_302600_NS6detail15normal_iteratorINS9_10device_ptrIiEEEENSB_INSC_IdEEEESG_dNS9_4plusIvEENS9_8equal_toIvEEdEE10hipError_tPvRmT2_T3_T4_T5_mT6_T7_P12ihipStream_tbENKUlT_T0_E_clISt17integral_constantIbLb0EES10_IbLb1EEEEDaSW_SX_EUlSW_E_NS1_11comp_targetILNS1_3genE2ELNS1_11target_archE906ELNS1_3gpuE6ELNS1_3repE0EEENS1_30default_config_static_selectorELNS0_4arch9wavefront6targetE0EEEvT1_.has_recursion, 0
	.set _ZN7rocprim17ROCPRIM_400000_NS6detail17trampoline_kernelINS0_14default_configENS1_27scan_by_key_config_selectorIidEEZZNS1_16scan_by_key_implILNS1_25lookback_scan_determinismE0ELb1ES3_N6thrust23THRUST_200600_302600_NS6detail15normal_iteratorINS9_10device_ptrIiEEEENSB_INSC_IdEEEESG_dNS9_4plusIvEENS9_8equal_toIvEEdEE10hipError_tPvRmT2_T3_T4_T5_mT6_T7_P12ihipStream_tbENKUlT_T0_E_clISt17integral_constantIbLb0EES10_IbLb1EEEEDaSW_SX_EUlSW_E_NS1_11comp_targetILNS1_3genE2ELNS1_11target_archE906ELNS1_3gpuE6ELNS1_3repE0EEENS1_30default_config_static_selectorELNS0_4arch9wavefront6targetE0EEEvT1_.has_indirect_call, 0
	.section	.AMDGPU.csdata,"",@progbits
; Kernel info:
; codeLenInByte = 0
; TotalNumSgprs: 0
; NumVgprs: 0
; ScratchSize: 0
; MemoryBound: 0
; FloatMode: 240
; IeeeMode: 1
; LDSByteSize: 0 bytes/workgroup (compile time only)
; SGPRBlocks: 0
; VGPRBlocks: 0
; NumSGPRsForWavesPerEU: 1
; NumVGPRsForWavesPerEU: 1
; Occupancy: 16
; WaveLimiterHint : 0
; COMPUTE_PGM_RSRC2:SCRATCH_EN: 0
; COMPUTE_PGM_RSRC2:USER_SGPR: 6
; COMPUTE_PGM_RSRC2:TRAP_HANDLER: 0
; COMPUTE_PGM_RSRC2:TGID_X_EN: 1
; COMPUTE_PGM_RSRC2:TGID_Y_EN: 0
; COMPUTE_PGM_RSRC2:TGID_Z_EN: 0
; COMPUTE_PGM_RSRC2:TIDIG_COMP_CNT: 0
	.section	.text._ZN7rocprim17ROCPRIM_400000_NS6detail17trampoline_kernelINS0_14default_configENS1_27scan_by_key_config_selectorIidEEZZNS1_16scan_by_key_implILNS1_25lookback_scan_determinismE0ELb1ES3_N6thrust23THRUST_200600_302600_NS6detail15normal_iteratorINS9_10device_ptrIiEEEENSB_INSC_IdEEEESG_dNS9_4plusIvEENS9_8equal_toIvEEdEE10hipError_tPvRmT2_T3_T4_T5_mT6_T7_P12ihipStream_tbENKUlT_T0_E_clISt17integral_constantIbLb0EES10_IbLb1EEEEDaSW_SX_EUlSW_E_NS1_11comp_targetILNS1_3genE10ELNS1_11target_archE1200ELNS1_3gpuE4ELNS1_3repE0EEENS1_30default_config_static_selectorELNS0_4arch9wavefront6targetE0EEEvT1_,"axG",@progbits,_ZN7rocprim17ROCPRIM_400000_NS6detail17trampoline_kernelINS0_14default_configENS1_27scan_by_key_config_selectorIidEEZZNS1_16scan_by_key_implILNS1_25lookback_scan_determinismE0ELb1ES3_N6thrust23THRUST_200600_302600_NS6detail15normal_iteratorINS9_10device_ptrIiEEEENSB_INSC_IdEEEESG_dNS9_4plusIvEENS9_8equal_toIvEEdEE10hipError_tPvRmT2_T3_T4_T5_mT6_T7_P12ihipStream_tbENKUlT_T0_E_clISt17integral_constantIbLb0EES10_IbLb1EEEEDaSW_SX_EUlSW_E_NS1_11comp_targetILNS1_3genE10ELNS1_11target_archE1200ELNS1_3gpuE4ELNS1_3repE0EEENS1_30default_config_static_selectorELNS0_4arch9wavefront6targetE0EEEvT1_,comdat
	.protected	_ZN7rocprim17ROCPRIM_400000_NS6detail17trampoline_kernelINS0_14default_configENS1_27scan_by_key_config_selectorIidEEZZNS1_16scan_by_key_implILNS1_25lookback_scan_determinismE0ELb1ES3_N6thrust23THRUST_200600_302600_NS6detail15normal_iteratorINS9_10device_ptrIiEEEENSB_INSC_IdEEEESG_dNS9_4plusIvEENS9_8equal_toIvEEdEE10hipError_tPvRmT2_T3_T4_T5_mT6_T7_P12ihipStream_tbENKUlT_T0_E_clISt17integral_constantIbLb0EES10_IbLb1EEEEDaSW_SX_EUlSW_E_NS1_11comp_targetILNS1_3genE10ELNS1_11target_archE1200ELNS1_3gpuE4ELNS1_3repE0EEENS1_30default_config_static_selectorELNS0_4arch9wavefront6targetE0EEEvT1_ ; -- Begin function _ZN7rocprim17ROCPRIM_400000_NS6detail17trampoline_kernelINS0_14default_configENS1_27scan_by_key_config_selectorIidEEZZNS1_16scan_by_key_implILNS1_25lookback_scan_determinismE0ELb1ES3_N6thrust23THRUST_200600_302600_NS6detail15normal_iteratorINS9_10device_ptrIiEEEENSB_INSC_IdEEEESG_dNS9_4plusIvEENS9_8equal_toIvEEdEE10hipError_tPvRmT2_T3_T4_T5_mT6_T7_P12ihipStream_tbENKUlT_T0_E_clISt17integral_constantIbLb0EES10_IbLb1EEEEDaSW_SX_EUlSW_E_NS1_11comp_targetILNS1_3genE10ELNS1_11target_archE1200ELNS1_3gpuE4ELNS1_3repE0EEENS1_30default_config_static_selectorELNS0_4arch9wavefront6targetE0EEEvT1_
	.globl	_ZN7rocprim17ROCPRIM_400000_NS6detail17trampoline_kernelINS0_14default_configENS1_27scan_by_key_config_selectorIidEEZZNS1_16scan_by_key_implILNS1_25lookback_scan_determinismE0ELb1ES3_N6thrust23THRUST_200600_302600_NS6detail15normal_iteratorINS9_10device_ptrIiEEEENSB_INSC_IdEEEESG_dNS9_4plusIvEENS9_8equal_toIvEEdEE10hipError_tPvRmT2_T3_T4_T5_mT6_T7_P12ihipStream_tbENKUlT_T0_E_clISt17integral_constantIbLb0EES10_IbLb1EEEEDaSW_SX_EUlSW_E_NS1_11comp_targetILNS1_3genE10ELNS1_11target_archE1200ELNS1_3gpuE4ELNS1_3repE0EEENS1_30default_config_static_selectorELNS0_4arch9wavefront6targetE0EEEvT1_
	.p2align	8
	.type	_ZN7rocprim17ROCPRIM_400000_NS6detail17trampoline_kernelINS0_14default_configENS1_27scan_by_key_config_selectorIidEEZZNS1_16scan_by_key_implILNS1_25lookback_scan_determinismE0ELb1ES3_N6thrust23THRUST_200600_302600_NS6detail15normal_iteratorINS9_10device_ptrIiEEEENSB_INSC_IdEEEESG_dNS9_4plusIvEENS9_8equal_toIvEEdEE10hipError_tPvRmT2_T3_T4_T5_mT6_T7_P12ihipStream_tbENKUlT_T0_E_clISt17integral_constantIbLb0EES10_IbLb1EEEEDaSW_SX_EUlSW_E_NS1_11comp_targetILNS1_3genE10ELNS1_11target_archE1200ELNS1_3gpuE4ELNS1_3repE0EEENS1_30default_config_static_selectorELNS0_4arch9wavefront6targetE0EEEvT1_,@function
_ZN7rocprim17ROCPRIM_400000_NS6detail17trampoline_kernelINS0_14default_configENS1_27scan_by_key_config_selectorIidEEZZNS1_16scan_by_key_implILNS1_25lookback_scan_determinismE0ELb1ES3_N6thrust23THRUST_200600_302600_NS6detail15normal_iteratorINS9_10device_ptrIiEEEENSB_INSC_IdEEEESG_dNS9_4plusIvEENS9_8equal_toIvEEdEE10hipError_tPvRmT2_T3_T4_T5_mT6_T7_P12ihipStream_tbENKUlT_T0_E_clISt17integral_constantIbLb0EES10_IbLb1EEEEDaSW_SX_EUlSW_E_NS1_11comp_targetILNS1_3genE10ELNS1_11target_archE1200ELNS1_3gpuE4ELNS1_3repE0EEENS1_30default_config_static_selectorELNS0_4arch9wavefront6targetE0EEEvT1_: ; @_ZN7rocprim17ROCPRIM_400000_NS6detail17trampoline_kernelINS0_14default_configENS1_27scan_by_key_config_selectorIidEEZZNS1_16scan_by_key_implILNS1_25lookback_scan_determinismE0ELb1ES3_N6thrust23THRUST_200600_302600_NS6detail15normal_iteratorINS9_10device_ptrIiEEEENSB_INSC_IdEEEESG_dNS9_4plusIvEENS9_8equal_toIvEEdEE10hipError_tPvRmT2_T3_T4_T5_mT6_T7_P12ihipStream_tbENKUlT_T0_E_clISt17integral_constantIbLb0EES10_IbLb1EEEEDaSW_SX_EUlSW_E_NS1_11comp_targetILNS1_3genE10ELNS1_11target_archE1200ELNS1_3gpuE4ELNS1_3repE0EEENS1_30default_config_static_selectorELNS0_4arch9wavefront6targetE0EEEvT1_
; %bb.0:
	.section	.rodata,"a",@progbits
	.p2align	6, 0x0
	.amdhsa_kernel _ZN7rocprim17ROCPRIM_400000_NS6detail17trampoline_kernelINS0_14default_configENS1_27scan_by_key_config_selectorIidEEZZNS1_16scan_by_key_implILNS1_25lookback_scan_determinismE0ELb1ES3_N6thrust23THRUST_200600_302600_NS6detail15normal_iteratorINS9_10device_ptrIiEEEENSB_INSC_IdEEEESG_dNS9_4plusIvEENS9_8equal_toIvEEdEE10hipError_tPvRmT2_T3_T4_T5_mT6_T7_P12ihipStream_tbENKUlT_T0_E_clISt17integral_constantIbLb0EES10_IbLb1EEEEDaSW_SX_EUlSW_E_NS1_11comp_targetILNS1_3genE10ELNS1_11target_archE1200ELNS1_3gpuE4ELNS1_3repE0EEENS1_30default_config_static_selectorELNS0_4arch9wavefront6targetE0EEEvT1_
		.amdhsa_group_segment_fixed_size 0
		.amdhsa_private_segment_fixed_size 0
		.amdhsa_kernarg_size 136
		.amdhsa_user_sgpr_count 6
		.amdhsa_user_sgpr_private_segment_buffer 1
		.amdhsa_user_sgpr_dispatch_ptr 0
		.amdhsa_user_sgpr_queue_ptr 0
		.amdhsa_user_sgpr_kernarg_segment_ptr 1
		.amdhsa_user_sgpr_dispatch_id 0
		.amdhsa_user_sgpr_flat_scratch_init 0
		.amdhsa_user_sgpr_private_segment_size 0
		.amdhsa_wavefront_size32 1
		.amdhsa_uses_dynamic_stack 0
		.amdhsa_system_sgpr_private_segment_wavefront_offset 0
		.amdhsa_system_sgpr_workgroup_id_x 1
		.amdhsa_system_sgpr_workgroup_id_y 0
		.amdhsa_system_sgpr_workgroup_id_z 0
		.amdhsa_system_sgpr_workgroup_info 0
		.amdhsa_system_vgpr_workitem_id 0
		.amdhsa_next_free_vgpr 1
		.amdhsa_next_free_sgpr 1
		.amdhsa_reserve_vcc 0
		.amdhsa_reserve_flat_scratch 0
		.amdhsa_float_round_mode_32 0
		.amdhsa_float_round_mode_16_64 0
		.amdhsa_float_denorm_mode_32 3
		.amdhsa_float_denorm_mode_16_64 3
		.amdhsa_dx10_clamp 1
		.amdhsa_ieee_mode 1
		.amdhsa_fp16_overflow 0
		.amdhsa_workgroup_processor_mode 1
		.amdhsa_memory_ordered 1
		.amdhsa_forward_progress 1
		.amdhsa_shared_vgpr_count 0
		.amdhsa_exception_fp_ieee_invalid_op 0
		.amdhsa_exception_fp_denorm_src 0
		.amdhsa_exception_fp_ieee_div_zero 0
		.amdhsa_exception_fp_ieee_overflow 0
		.amdhsa_exception_fp_ieee_underflow 0
		.amdhsa_exception_fp_ieee_inexact 0
		.amdhsa_exception_int_div_zero 0
	.end_amdhsa_kernel
	.section	.text._ZN7rocprim17ROCPRIM_400000_NS6detail17trampoline_kernelINS0_14default_configENS1_27scan_by_key_config_selectorIidEEZZNS1_16scan_by_key_implILNS1_25lookback_scan_determinismE0ELb1ES3_N6thrust23THRUST_200600_302600_NS6detail15normal_iteratorINS9_10device_ptrIiEEEENSB_INSC_IdEEEESG_dNS9_4plusIvEENS9_8equal_toIvEEdEE10hipError_tPvRmT2_T3_T4_T5_mT6_T7_P12ihipStream_tbENKUlT_T0_E_clISt17integral_constantIbLb0EES10_IbLb1EEEEDaSW_SX_EUlSW_E_NS1_11comp_targetILNS1_3genE10ELNS1_11target_archE1200ELNS1_3gpuE4ELNS1_3repE0EEENS1_30default_config_static_selectorELNS0_4arch9wavefront6targetE0EEEvT1_,"axG",@progbits,_ZN7rocprim17ROCPRIM_400000_NS6detail17trampoline_kernelINS0_14default_configENS1_27scan_by_key_config_selectorIidEEZZNS1_16scan_by_key_implILNS1_25lookback_scan_determinismE0ELb1ES3_N6thrust23THRUST_200600_302600_NS6detail15normal_iteratorINS9_10device_ptrIiEEEENSB_INSC_IdEEEESG_dNS9_4plusIvEENS9_8equal_toIvEEdEE10hipError_tPvRmT2_T3_T4_T5_mT6_T7_P12ihipStream_tbENKUlT_T0_E_clISt17integral_constantIbLb0EES10_IbLb1EEEEDaSW_SX_EUlSW_E_NS1_11comp_targetILNS1_3genE10ELNS1_11target_archE1200ELNS1_3gpuE4ELNS1_3repE0EEENS1_30default_config_static_selectorELNS0_4arch9wavefront6targetE0EEEvT1_,comdat
.Lfunc_end1424:
	.size	_ZN7rocprim17ROCPRIM_400000_NS6detail17trampoline_kernelINS0_14default_configENS1_27scan_by_key_config_selectorIidEEZZNS1_16scan_by_key_implILNS1_25lookback_scan_determinismE0ELb1ES3_N6thrust23THRUST_200600_302600_NS6detail15normal_iteratorINS9_10device_ptrIiEEEENSB_INSC_IdEEEESG_dNS9_4plusIvEENS9_8equal_toIvEEdEE10hipError_tPvRmT2_T3_T4_T5_mT6_T7_P12ihipStream_tbENKUlT_T0_E_clISt17integral_constantIbLb0EES10_IbLb1EEEEDaSW_SX_EUlSW_E_NS1_11comp_targetILNS1_3genE10ELNS1_11target_archE1200ELNS1_3gpuE4ELNS1_3repE0EEENS1_30default_config_static_selectorELNS0_4arch9wavefront6targetE0EEEvT1_, .Lfunc_end1424-_ZN7rocprim17ROCPRIM_400000_NS6detail17trampoline_kernelINS0_14default_configENS1_27scan_by_key_config_selectorIidEEZZNS1_16scan_by_key_implILNS1_25lookback_scan_determinismE0ELb1ES3_N6thrust23THRUST_200600_302600_NS6detail15normal_iteratorINS9_10device_ptrIiEEEENSB_INSC_IdEEEESG_dNS9_4plusIvEENS9_8equal_toIvEEdEE10hipError_tPvRmT2_T3_T4_T5_mT6_T7_P12ihipStream_tbENKUlT_T0_E_clISt17integral_constantIbLb0EES10_IbLb1EEEEDaSW_SX_EUlSW_E_NS1_11comp_targetILNS1_3genE10ELNS1_11target_archE1200ELNS1_3gpuE4ELNS1_3repE0EEENS1_30default_config_static_selectorELNS0_4arch9wavefront6targetE0EEEvT1_
                                        ; -- End function
	.set _ZN7rocprim17ROCPRIM_400000_NS6detail17trampoline_kernelINS0_14default_configENS1_27scan_by_key_config_selectorIidEEZZNS1_16scan_by_key_implILNS1_25lookback_scan_determinismE0ELb1ES3_N6thrust23THRUST_200600_302600_NS6detail15normal_iteratorINS9_10device_ptrIiEEEENSB_INSC_IdEEEESG_dNS9_4plusIvEENS9_8equal_toIvEEdEE10hipError_tPvRmT2_T3_T4_T5_mT6_T7_P12ihipStream_tbENKUlT_T0_E_clISt17integral_constantIbLb0EES10_IbLb1EEEEDaSW_SX_EUlSW_E_NS1_11comp_targetILNS1_3genE10ELNS1_11target_archE1200ELNS1_3gpuE4ELNS1_3repE0EEENS1_30default_config_static_selectorELNS0_4arch9wavefront6targetE0EEEvT1_.num_vgpr, 0
	.set _ZN7rocprim17ROCPRIM_400000_NS6detail17trampoline_kernelINS0_14default_configENS1_27scan_by_key_config_selectorIidEEZZNS1_16scan_by_key_implILNS1_25lookback_scan_determinismE0ELb1ES3_N6thrust23THRUST_200600_302600_NS6detail15normal_iteratorINS9_10device_ptrIiEEEENSB_INSC_IdEEEESG_dNS9_4plusIvEENS9_8equal_toIvEEdEE10hipError_tPvRmT2_T3_T4_T5_mT6_T7_P12ihipStream_tbENKUlT_T0_E_clISt17integral_constantIbLb0EES10_IbLb1EEEEDaSW_SX_EUlSW_E_NS1_11comp_targetILNS1_3genE10ELNS1_11target_archE1200ELNS1_3gpuE4ELNS1_3repE0EEENS1_30default_config_static_selectorELNS0_4arch9wavefront6targetE0EEEvT1_.num_agpr, 0
	.set _ZN7rocprim17ROCPRIM_400000_NS6detail17trampoline_kernelINS0_14default_configENS1_27scan_by_key_config_selectorIidEEZZNS1_16scan_by_key_implILNS1_25lookback_scan_determinismE0ELb1ES3_N6thrust23THRUST_200600_302600_NS6detail15normal_iteratorINS9_10device_ptrIiEEEENSB_INSC_IdEEEESG_dNS9_4plusIvEENS9_8equal_toIvEEdEE10hipError_tPvRmT2_T3_T4_T5_mT6_T7_P12ihipStream_tbENKUlT_T0_E_clISt17integral_constantIbLb0EES10_IbLb1EEEEDaSW_SX_EUlSW_E_NS1_11comp_targetILNS1_3genE10ELNS1_11target_archE1200ELNS1_3gpuE4ELNS1_3repE0EEENS1_30default_config_static_selectorELNS0_4arch9wavefront6targetE0EEEvT1_.numbered_sgpr, 0
	.set _ZN7rocprim17ROCPRIM_400000_NS6detail17trampoline_kernelINS0_14default_configENS1_27scan_by_key_config_selectorIidEEZZNS1_16scan_by_key_implILNS1_25lookback_scan_determinismE0ELb1ES3_N6thrust23THRUST_200600_302600_NS6detail15normal_iteratorINS9_10device_ptrIiEEEENSB_INSC_IdEEEESG_dNS9_4plusIvEENS9_8equal_toIvEEdEE10hipError_tPvRmT2_T3_T4_T5_mT6_T7_P12ihipStream_tbENKUlT_T0_E_clISt17integral_constantIbLb0EES10_IbLb1EEEEDaSW_SX_EUlSW_E_NS1_11comp_targetILNS1_3genE10ELNS1_11target_archE1200ELNS1_3gpuE4ELNS1_3repE0EEENS1_30default_config_static_selectorELNS0_4arch9wavefront6targetE0EEEvT1_.num_named_barrier, 0
	.set _ZN7rocprim17ROCPRIM_400000_NS6detail17trampoline_kernelINS0_14default_configENS1_27scan_by_key_config_selectorIidEEZZNS1_16scan_by_key_implILNS1_25lookback_scan_determinismE0ELb1ES3_N6thrust23THRUST_200600_302600_NS6detail15normal_iteratorINS9_10device_ptrIiEEEENSB_INSC_IdEEEESG_dNS9_4plusIvEENS9_8equal_toIvEEdEE10hipError_tPvRmT2_T3_T4_T5_mT6_T7_P12ihipStream_tbENKUlT_T0_E_clISt17integral_constantIbLb0EES10_IbLb1EEEEDaSW_SX_EUlSW_E_NS1_11comp_targetILNS1_3genE10ELNS1_11target_archE1200ELNS1_3gpuE4ELNS1_3repE0EEENS1_30default_config_static_selectorELNS0_4arch9wavefront6targetE0EEEvT1_.private_seg_size, 0
	.set _ZN7rocprim17ROCPRIM_400000_NS6detail17trampoline_kernelINS0_14default_configENS1_27scan_by_key_config_selectorIidEEZZNS1_16scan_by_key_implILNS1_25lookback_scan_determinismE0ELb1ES3_N6thrust23THRUST_200600_302600_NS6detail15normal_iteratorINS9_10device_ptrIiEEEENSB_INSC_IdEEEESG_dNS9_4plusIvEENS9_8equal_toIvEEdEE10hipError_tPvRmT2_T3_T4_T5_mT6_T7_P12ihipStream_tbENKUlT_T0_E_clISt17integral_constantIbLb0EES10_IbLb1EEEEDaSW_SX_EUlSW_E_NS1_11comp_targetILNS1_3genE10ELNS1_11target_archE1200ELNS1_3gpuE4ELNS1_3repE0EEENS1_30default_config_static_selectorELNS0_4arch9wavefront6targetE0EEEvT1_.uses_vcc, 0
	.set _ZN7rocprim17ROCPRIM_400000_NS6detail17trampoline_kernelINS0_14default_configENS1_27scan_by_key_config_selectorIidEEZZNS1_16scan_by_key_implILNS1_25lookback_scan_determinismE0ELb1ES3_N6thrust23THRUST_200600_302600_NS6detail15normal_iteratorINS9_10device_ptrIiEEEENSB_INSC_IdEEEESG_dNS9_4plusIvEENS9_8equal_toIvEEdEE10hipError_tPvRmT2_T3_T4_T5_mT6_T7_P12ihipStream_tbENKUlT_T0_E_clISt17integral_constantIbLb0EES10_IbLb1EEEEDaSW_SX_EUlSW_E_NS1_11comp_targetILNS1_3genE10ELNS1_11target_archE1200ELNS1_3gpuE4ELNS1_3repE0EEENS1_30default_config_static_selectorELNS0_4arch9wavefront6targetE0EEEvT1_.uses_flat_scratch, 0
	.set _ZN7rocprim17ROCPRIM_400000_NS6detail17trampoline_kernelINS0_14default_configENS1_27scan_by_key_config_selectorIidEEZZNS1_16scan_by_key_implILNS1_25lookback_scan_determinismE0ELb1ES3_N6thrust23THRUST_200600_302600_NS6detail15normal_iteratorINS9_10device_ptrIiEEEENSB_INSC_IdEEEESG_dNS9_4plusIvEENS9_8equal_toIvEEdEE10hipError_tPvRmT2_T3_T4_T5_mT6_T7_P12ihipStream_tbENKUlT_T0_E_clISt17integral_constantIbLb0EES10_IbLb1EEEEDaSW_SX_EUlSW_E_NS1_11comp_targetILNS1_3genE10ELNS1_11target_archE1200ELNS1_3gpuE4ELNS1_3repE0EEENS1_30default_config_static_selectorELNS0_4arch9wavefront6targetE0EEEvT1_.has_dyn_sized_stack, 0
	.set _ZN7rocprim17ROCPRIM_400000_NS6detail17trampoline_kernelINS0_14default_configENS1_27scan_by_key_config_selectorIidEEZZNS1_16scan_by_key_implILNS1_25lookback_scan_determinismE0ELb1ES3_N6thrust23THRUST_200600_302600_NS6detail15normal_iteratorINS9_10device_ptrIiEEEENSB_INSC_IdEEEESG_dNS9_4plusIvEENS9_8equal_toIvEEdEE10hipError_tPvRmT2_T3_T4_T5_mT6_T7_P12ihipStream_tbENKUlT_T0_E_clISt17integral_constantIbLb0EES10_IbLb1EEEEDaSW_SX_EUlSW_E_NS1_11comp_targetILNS1_3genE10ELNS1_11target_archE1200ELNS1_3gpuE4ELNS1_3repE0EEENS1_30default_config_static_selectorELNS0_4arch9wavefront6targetE0EEEvT1_.has_recursion, 0
	.set _ZN7rocprim17ROCPRIM_400000_NS6detail17trampoline_kernelINS0_14default_configENS1_27scan_by_key_config_selectorIidEEZZNS1_16scan_by_key_implILNS1_25lookback_scan_determinismE0ELb1ES3_N6thrust23THRUST_200600_302600_NS6detail15normal_iteratorINS9_10device_ptrIiEEEENSB_INSC_IdEEEESG_dNS9_4plusIvEENS9_8equal_toIvEEdEE10hipError_tPvRmT2_T3_T4_T5_mT6_T7_P12ihipStream_tbENKUlT_T0_E_clISt17integral_constantIbLb0EES10_IbLb1EEEEDaSW_SX_EUlSW_E_NS1_11comp_targetILNS1_3genE10ELNS1_11target_archE1200ELNS1_3gpuE4ELNS1_3repE0EEENS1_30default_config_static_selectorELNS0_4arch9wavefront6targetE0EEEvT1_.has_indirect_call, 0
	.section	.AMDGPU.csdata,"",@progbits
; Kernel info:
; codeLenInByte = 0
; TotalNumSgprs: 0
; NumVgprs: 0
; ScratchSize: 0
; MemoryBound: 0
; FloatMode: 240
; IeeeMode: 1
; LDSByteSize: 0 bytes/workgroup (compile time only)
; SGPRBlocks: 0
; VGPRBlocks: 0
; NumSGPRsForWavesPerEU: 1
; NumVGPRsForWavesPerEU: 1
; Occupancy: 16
; WaveLimiterHint : 0
; COMPUTE_PGM_RSRC2:SCRATCH_EN: 0
; COMPUTE_PGM_RSRC2:USER_SGPR: 6
; COMPUTE_PGM_RSRC2:TRAP_HANDLER: 0
; COMPUTE_PGM_RSRC2:TGID_X_EN: 1
; COMPUTE_PGM_RSRC2:TGID_Y_EN: 0
; COMPUTE_PGM_RSRC2:TGID_Z_EN: 0
; COMPUTE_PGM_RSRC2:TIDIG_COMP_CNT: 0
	.section	.text._ZN7rocprim17ROCPRIM_400000_NS6detail17trampoline_kernelINS0_14default_configENS1_27scan_by_key_config_selectorIidEEZZNS1_16scan_by_key_implILNS1_25lookback_scan_determinismE0ELb1ES3_N6thrust23THRUST_200600_302600_NS6detail15normal_iteratorINS9_10device_ptrIiEEEENSB_INSC_IdEEEESG_dNS9_4plusIvEENS9_8equal_toIvEEdEE10hipError_tPvRmT2_T3_T4_T5_mT6_T7_P12ihipStream_tbENKUlT_T0_E_clISt17integral_constantIbLb0EES10_IbLb1EEEEDaSW_SX_EUlSW_E_NS1_11comp_targetILNS1_3genE9ELNS1_11target_archE1100ELNS1_3gpuE3ELNS1_3repE0EEENS1_30default_config_static_selectorELNS0_4arch9wavefront6targetE0EEEvT1_,"axG",@progbits,_ZN7rocprim17ROCPRIM_400000_NS6detail17trampoline_kernelINS0_14default_configENS1_27scan_by_key_config_selectorIidEEZZNS1_16scan_by_key_implILNS1_25lookback_scan_determinismE0ELb1ES3_N6thrust23THRUST_200600_302600_NS6detail15normal_iteratorINS9_10device_ptrIiEEEENSB_INSC_IdEEEESG_dNS9_4plusIvEENS9_8equal_toIvEEdEE10hipError_tPvRmT2_T3_T4_T5_mT6_T7_P12ihipStream_tbENKUlT_T0_E_clISt17integral_constantIbLb0EES10_IbLb1EEEEDaSW_SX_EUlSW_E_NS1_11comp_targetILNS1_3genE9ELNS1_11target_archE1100ELNS1_3gpuE3ELNS1_3repE0EEENS1_30default_config_static_selectorELNS0_4arch9wavefront6targetE0EEEvT1_,comdat
	.protected	_ZN7rocprim17ROCPRIM_400000_NS6detail17trampoline_kernelINS0_14default_configENS1_27scan_by_key_config_selectorIidEEZZNS1_16scan_by_key_implILNS1_25lookback_scan_determinismE0ELb1ES3_N6thrust23THRUST_200600_302600_NS6detail15normal_iteratorINS9_10device_ptrIiEEEENSB_INSC_IdEEEESG_dNS9_4plusIvEENS9_8equal_toIvEEdEE10hipError_tPvRmT2_T3_T4_T5_mT6_T7_P12ihipStream_tbENKUlT_T0_E_clISt17integral_constantIbLb0EES10_IbLb1EEEEDaSW_SX_EUlSW_E_NS1_11comp_targetILNS1_3genE9ELNS1_11target_archE1100ELNS1_3gpuE3ELNS1_3repE0EEENS1_30default_config_static_selectorELNS0_4arch9wavefront6targetE0EEEvT1_ ; -- Begin function _ZN7rocprim17ROCPRIM_400000_NS6detail17trampoline_kernelINS0_14default_configENS1_27scan_by_key_config_selectorIidEEZZNS1_16scan_by_key_implILNS1_25lookback_scan_determinismE0ELb1ES3_N6thrust23THRUST_200600_302600_NS6detail15normal_iteratorINS9_10device_ptrIiEEEENSB_INSC_IdEEEESG_dNS9_4plusIvEENS9_8equal_toIvEEdEE10hipError_tPvRmT2_T3_T4_T5_mT6_T7_P12ihipStream_tbENKUlT_T0_E_clISt17integral_constantIbLb0EES10_IbLb1EEEEDaSW_SX_EUlSW_E_NS1_11comp_targetILNS1_3genE9ELNS1_11target_archE1100ELNS1_3gpuE3ELNS1_3repE0EEENS1_30default_config_static_selectorELNS0_4arch9wavefront6targetE0EEEvT1_
	.globl	_ZN7rocprim17ROCPRIM_400000_NS6detail17trampoline_kernelINS0_14default_configENS1_27scan_by_key_config_selectorIidEEZZNS1_16scan_by_key_implILNS1_25lookback_scan_determinismE0ELb1ES3_N6thrust23THRUST_200600_302600_NS6detail15normal_iteratorINS9_10device_ptrIiEEEENSB_INSC_IdEEEESG_dNS9_4plusIvEENS9_8equal_toIvEEdEE10hipError_tPvRmT2_T3_T4_T5_mT6_T7_P12ihipStream_tbENKUlT_T0_E_clISt17integral_constantIbLb0EES10_IbLb1EEEEDaSW_SX_EUlSW_E_NS1_11comp_targetILNS1_3genE9ELNS1_11target_archE1100ELNS1_3gpuE3ELNS1_3repE0EEENS1_30default_config_static_selectorELNS0_4arch9wavefront6targetE0EEEvT1_
	.p2align	8
	.type	_ZN7rocprim17ROCPRIM_400000_NS6detail17trampoline_kernelINS0_14default_configENS1_27scan_by_key_config_selectorIidEEZZNS1_16scan_by_key_implILNS1_25lookback_scan_determinismE0ELb1ES3_N6thrust23THRUST_200600_302600_NS6detail15normal_iteratorINS9_10device_ptrIiEEEENSB_INSC_IdEEEESG_dNS9_4plusIvEENS9_8equal_toIvEEdEE10hipError_tPvRmT2_T3_T4_T5_mT6_T7_P12ihipStream_tbENKUlT_T0_E_clISt17integral_constantIbLb0EES10_IbLb1EEEEDaSW_SX_EUlSW_E_NS1_11comp_targetILNS1_3genE9ELNS1_11target_archE1100ELNS1_3gpuE3ELNS1_3repE0EEENS1_30default_config_static_selectorELNS0_4arch9wavefront6targetE0EEEvT1_,@function
_ZN7rocprim17ROCPRIM_400000_NS6detail17trampoline_kernelINS0_14default_configENS1_27scan_by_key_config_selectorIidEEZZNS1_16scan_by_key_implILNS1_25lookback_scan_determinismE0ELb1ES3_N6thrust23THRUST_200600_302600_NS6detail15normal_iteratorINS9_10device_ptrIiEEEENSB_INSC_IdEEEESG_dNS9_4plusIvEENS9_8equal_toIvEEdEE10hipError_tPvRmT2_T3_T4_T5_mT6_T7_P12ihipStream_tbENKUlT_T0_E_clISt17integral_constantIbLb0EES10_IbLb1EEEEDaSW_SX_EUlSW_E_NS1_11comp_targetILNS1_3genE9ELNS1_11target_archE1100ELNS1_3gpuE3ELNS1_3repE0EEENS1_30default_config_static_selectorELNS0_4arch9wavefront6targetE0EEEvT1_: ; @_ZN7rocprim17ROCPRIM_400000_NS6detail17trampoline_kernelINS0_14default_configENS1_27scan_by_key_config_selectorIidEEZZNS1_16scan_by_key_implILNS1_25lookback_scan_determinismE0ELb1ES3_N6thrust23THRUST_200600_302600_NS6detail15normal_iteratorINS9_10device_ptrIiEEEENSB_INSC_IdEEEESG_dNS9_4plusIvEENS9_8equal_toIvEEdEE10hipError_tPvRmT2_T3_T4_T5_mT6_T7_P12ihipStream_tbENKUlT_T0_E_clISt17integral_constantIbLb0EES10_IbLb1EEEEDaSW_SX_EUlSW_E_NS1_11comp_targetILNS1_3genE9ELNS1_11target_archE1100ELNS1_3gpuE3ELNS1_3repE0EEENS1_30default_config_static_selectorELNS0_4arch9wavefront6targetE0EEEvT1_
; %bb.0:
	.section	.rodata,"a",@progbits
	.p2align	6, 0x0
	.amdhsa_kernel _ZN7rocprim17ROCPRIM_400000_NS6detail17trampoline_kernelINS0_14default_configENS1_27scan_by_key_config_selectorIidEEZZNS1_16scan_by_key_implILNS1_25lookback_scan_determinismE0ELb1ES3_N6thrust23THRUST_200600_302600_NS6detail15normal_iteratorINS9_10device_ptrIiEEEENSB_INSC_IdEEEESG_dNS9_4plusIvEENS9_8equal_toIvEEdEE10hipError_tPvRmT2_T3_T4_T5_mT6_T7_P12ihipStream_tbENKUlT_T0_E_clISt17integral_constantIbLb0EES10_IbLb1EEEEDaSW_SX_EUlSW_E_NS1_11comp_targetILNS1_3genE9ELNS1_11target_archE1100ELNS1_3gpuE3ELNS1_3repE0EEENS1_30default_config_static_selectorELNS0_4arch9wavefront6targetE0EEEvT1_
		.amdhsa_group_segment_fixed_size 0
		.amdhsa_private_segment_fixed_size 0
		.amdhsa_kernarg_size 136
		.amdhsa_user_sgpr_count 6
		.amdhsa_user_sgpr_private_segment_buffer 1
		.amdhsa_user_sgpr_dispatch_ptr 0
		.amdhsa_user_sgpr_queue_ptr 0
		.amdhsa_user_sgpr_kernarg_segment_ptr 1
		.amdhsa_user_sgpr_dispatch_id 0
		.amdhsa_user_sgpr_flat_scratch_init 0
		.amdhsa_user_sgpr_private_segment_size 0
		.amdhsa_wavefront_size32 1
		.amdhsa_uses_dynamic_stack 0
		.amdhsa_system_sgpr_private_segment_wavefront_offset 0
		.amdhsa_system_sgpr_workgroup_id_x 1
		.amdhsa_system_sgpr_workgroup_id_y 0
		.amdhsa_system_sgpr_workgroup_id_z 0
		.amdhsa_system_sgpr_workgroup_info 0
		.amdhsa_system_vgpr_workitem_id 0
		.amdhsa_next_free_vgpr 1
		.amdhsa_next_free_sgpr 1
		.amdhsa_reserve_vcc 0
		.amdhsa_reserve_flat_scratch 0
		.amdhsa_float_round_mode_32 0
		.amdhsa_float_round_mode_16_64 0
		.amdhsa_float_denorm_mode_32 3
		.amdhsa_float_denorm_mode_16_64 3
		.amdhsa_dx10_clamp 1
		.amdhsa_ieee_mode 1
		.amdhsa_fp16_overflow 0
		.amdhsa_workgroup_processor_mode 1
		.amdhsa_memory_ordered 1
		.amdhsa_forward_progress 1
		.amdhsa_shared_vgpr_count 0
		.amdhsa_exception_fp_ieee_invalid_op 0
		.amdhsa_exception_fp_denorm_src 0
		.amdhsa_exception_fp_ieee_div_zero 0
		.amdhsa_exception_fp_ieee_overflow 0
		.amdhsa_exception_fp_ieee_underflow 0
		.amdhsa_exception_fp_ieee_inexact 0
		.amdhsa_exception_int_div_zero 0
	.end_amdhsa_kernel
	.section	.text._ZN7rocprim17ROCPRIM_400000_NS6detail17trampoline_kernelINS0_14default_configENS1_27scan_by_key_config_selectorIidEEZZNS1_16scan_by_key_implILNS1_25lookback_scan_determinismE0ELb1ES3_N6thrust23THRUST_200600_302600_NS6detail15normal_iteratorINS9_10device_ptrIiEEEENSB_INSC_IdEEEESG_dNS9_4plusIvEENS9_8equal_toIvEEdEE10hipError_tPvRmT2_T3_T4_T5_mT6_T7_P12ihipStream_tbENKUlT_T0_E_clISt17integral_constantIbLb0EES10_IbLb1EEEEDaSW_SX_EUlSW_E_NS1_11comp_targetILNS1_3genE9ELNS1_11target_archE1100ELNS1_3gpuE3ELNS1_3repE0EEENS1_30default_config_static_selectorELNS0_4arch9wavefront6targetE0EEEvT1_,"axG",@progbits,_ZN7rocprim17ROCPRIM_400000_NS6detail17trampoline_kernelINS0_14default_configENS1_27scan_by_key_config_selectorIidEEZZNS1_16scan_by_key_implILNS1_25lookback_scan_determinismE0ELb1ES3_N6thrust23THRUST_200600_302600_NS6detail15normal_iteratorINS9_10device_ptrIiEEEENSB_INSC_IdEEEESG_dNS9_4plusIvEENS9_8equal_toIvEEdEE10hipError_tPvRmT2_T3_T4_T5_mT6_T7_P12ihipStream_tbENKUlT_T0_E_clISt17integral_constantIbLb0EES10_IbLb1EEEEDaSW_SX_EUlSW_E_NS1_11comp_targetILNS1_3genE9ELNS1_11target_archE1100ELNS1_3gpuE3ELNS1_3repE0EEENS1_30default_config_static_selectorELNS0_4arch9wavefront6targetE0EEEvT1_,comdat
.Lfunc_end1425:
	.size	_ZN7rocprim17ROCPRIM_400000_NS6detail17trampoline_kernelINS0_14default_configENS1_27scan_by_key_config_selectorIidEEZZNS1_16scan_by_key_implILNS1_25lookback_scan_determinismE0ELb1ES3_N6thrust23THRUST_200600_302600_NS6detail15normal_iteratorINS9_10device_ptrIiEEEENSB_INSC_IdEEEESG_dNS9_4plusIvEENS9_8equal_toIvEEdEE10hipError_tPvRmT2_T3_T4_T5_mT6_T7_P12ihipStream_tbENKUlT_T0_E_clISt17integral_constantIbLb0EES10_IbLb1EEEEDaSW_SX_EUlSW_E_NS1_11comp_targetILNS1_3genE9ELNS1_11target_archE1100ELNS1_3gpuE3ELNS1_3repE0EEENS1_30default_config_static_selectorELNS0_4arch9wavefront6targetE0EEEvT1_, .Lfunc_end1425-_ZN7rocprim17ROCPRIM_400000_NS6detail17trampoline_kernelINS0_14default_configENS1_27scan_by_key_config_selectorIidEEZZNS1_16scan_by_key_implILNS1_25lookback_scan_determinismE0ELb1ES3_N6thrust23THRUST_200600_302600_NS6detail15normal_iteratorINS9_10device_ptrIiEEEENSB_INSC_IdEEEESG_dNS9_4plusIvEENS9_8equal_toIvEEdEE10hipError_tPvRmT2_T3_T4_T5_mT6_T7_P12ihipStream_tbENKUlT_T0_E_clISt17integral_constantIbLb0EES10_IbLb1EEEEDaSW_SX_EUlSW_E_NS1_11comp_targetILNS1_3genE9ELNS1_11target_archE1100ELNS1_3gpuE3ELNS1_3repE0EEENS1_30default_config_static_selectorELNS0_4arch9wavefront6targetE0EEEvT1_
                                        ; -- End function
	.set _ZN7rocprim17ROCPRIM_400000_NS6detail17trampoline_kernelINS0_14default_configENS1_27scan_by_key_config_selectorIidEEZZNS1_16scan_by_key_implILNS1_25lookback_scan_determinismE0ELb1ES3_N6thrust23THRUST_200600_302600_NS6detail15normal_iteratorINS9_10device_ptrIiEEEENSB_INSC_IdEEEESG_dNS9_4plusIvEENS9_8equal_toIvEEdEE10hipError_tPvRmT2_T3_T4_T5_mT6_T7_P12ihipStream_tbENKUlT_T0_E_clISt17integral_constantIbLb0EES10_IbLb1EEEEDaSW_SX_EUlSW_E_NS1_11comp_targetILNS1_3genE9ELNS1_11target_archE1100ELNS1_3gpuE3ELNS1_3repE0EEENS1_30default_config_static_selectorELNS0_4arch9wavefront6targetE0EEEvT1_.num_vgpr, 0
	.set _ZN7rocprim17ROCPRIM_400000_NS6detail17trampoline_kernelINS0_14default_configENS1_27scan_by_key_config_selectorIidEEZZNS1_16scan_by_key_implILNS1_25lookback_scan_determinismE0ELb1ES3_N6thrust23THRUST_200600_302600_NS6detail15normal_iteratorINS9_10device_ptrIiEEEENSB_INSC_IdEEEESG_dNS9_4plusIvEENS9_8equal_toIvEEdEE10hipError_tPvRmT2_T3_T4_T5_mT6_T7_P12ihipStream_tbENKUlT_T0_E_clISt17integral_constantIbLb0EES10_IbLb1EEEEDaSW_SX_EUlSW_E_NS1_11comp_targetILNS1_3genE9ELNS1_11target_archE1100ELNS1_3gpuE3ELNS1_3repE0EEENS1_30default_config_static_selectorELNS0_4arch9wavefront6targetE0EEEvT1_.num_agpr, 0
	.set _ZN7rocprim17ROCPRIM_400000_NS6detail17trampoline_kernelINS0_14default_configENS1_27scan_by_key_config_selectorIidEEZZNS1_16scan_by_key_implILNS1_25lookback_scan_determinismE0ELb1ES3_N6thrust23THRUST_200600_302600_NS6detail15normal_iteratorINS9_10device_ptrIiEEEENSB_INSC_IdEEEESG_dNS9_4plusIvEENS9_8equal_toIvEEdEE10hipError_tPvRmT2_T3_T4_T5_mT6_T7_P12ihipStream_tbENKUlT_T0_E_clISt17integral_constantIbLb0EES10_IbLb1EEEEDaSW_SX_EUlSW_E_NS1_11comp_targetILNS1_3genE9ELNS1_11target_archE1100ELNS1_3gpuE3ELNS1_3repE0EEENS1_30default_config_static_selectorELNS0_4arch9wavefront6targetE0EEEvT1_.numbered_sgpr, 0
	.set _ZN7rocprim17ROCPRIM_400000_NS6detail17trampoline_kernelINS0_14default_configENS1_27scan_by_key_config_selectorIidEEZZNS1_16scan_by_key_implILNS1_25lookback_scan_determinismE0ELb1ES3_N6thrust23THRUST_200600_302600_NS6detail15normal_iteratorINS9_10device_ptrIiEEEENSB_INSC_IdEEEESG_dNS9_4plusIvEENS9_8equal_toIvEEdEE10hipError_tPvRmT2_T3_T4_T5_mT6_T7_P12ihipStream_tbENKUlT_T0_E_clISt17integral_constantIbLb0EES10_IbLb1EEEEDaSW_SX_EUlSW_E_NS1_11comp_targetILNS1_3genE9ELNS1_11target_archE1100ELNS1_3gpuE3ELNS1_3repE0EEENS1_30default_config_static_selectorELNS0_4arch9wavefront6targetE0EEEvT1_.num_named_barrier, 0
	.set _ZN7rocprim17ROCPRIM_400000_NS6detail17trampoline_kernelINS0_14default_configENS1_27scan_by_key_config_selectorIidEEZZNS1_16scan_by_key_implILNS1_25lookback_scan_determinismE0ELb1ES3_N6thrust23THRUST_200600_302600_NS6detail15normal_iteratorINS9_10device_ptrIiEEEENSB_INSC_IdEEEESG_dNS9_4plusIvEENS9_8equal_toIvEEdEE10hipError_tPvRmT2_T3_T4_T5_mT6_T7_P12ihipStream_tbENKUlT_T0_E_clISt17integral_constantIbLb0EES10_IbLb1EEEEDaSW_SX_EUlSW_E_NS1_11comp_targetILNS1_3genE9ELNS1_11target_archE1100ELNS1_3gpuE3ELNS1_3repE0EEENS1_30default_config_static_selectorELNS0_4arch9wavefront6targetE0EEEvT1_.private_seg_size, 0
	.set _ZN7rocprim17ROCPRIM_400000_NS6detail17trampoline_kernelINS0_14default_configENS1_27scan_by_key_config_selectorIidEEZZNS1_16scan_by_key_implILNS1_25lookback_scan_determinismE0ELb1ES3_N6thrust23THRUST_200600_302600_NS6detail15normal_iteratorINS9_10device_ptrIiEEEENSB_INSC_IdEEEESG_dNS9_4plusIvEENS9_8equal_toIvEEdEE10hipError_tPvRmT2_T3_T4_T5_mT6_T7_P12ihipStream_tbENKUlT_T0_E_clISt17integral_constantIbLb0EES10_IbLb1EEEEDaSW_SX_EUlSW_E_NS1_11comp_targetILNS1_3genE9ELNS1_11target_archE1100ELNS1_3gpuE3ELNS1_3repE0EEENS1_30default_config_static_selectorELNS0_4arch9wavefront6targetE0EEEvT1_.uses_vcc, 0
	.set _ZN7rocprim17ROCPRIM_400000_NS6detail17trampoline_kernelINS0_14default_configENS1_27scan_by_key_config_selectorIidEEZZNS1_16scan_by_key_implILNS1_25lookback_scan_determinismE0ELb1ES3_N6thrust23THRUST_200600_302600_NS6detail15normal_iteratorINS9_10device_ptrIiEEEENSB_INSC_IdEEEESG_dNS9_4plusIvEENS9_8equal_toIvEEdEE10hipError_tPvRmT2_T3_T4_T5_mT6_T7_P12ihipStream_tbENKUlT_T0_E_clISt17integral_constantIbLb0EES10_IbLb1EEEEDaSW_SX_EUlSW_E_NS1_11comp_targetILNS1_3genE9ELNS1_11target_archE1100ELNS1_3gpuE3ELNS1_3repE0EEENS1_30default_config_static_selectorELNS0_4arch9wavefront6targetE0EEEvT1_.uses_flat_scratch, 0
	.set _ZN7rocprim17ROCPRIM_400000_NS6detail17trampoline_kernelINS0_14default_configENS1_27scan_by_key_config_selectorIidEEZZNS1_16scan_by_key_implILNS1_25lookback_scan_determinismE0ELb1ES3_N6thrust23THRUST_200600_302600_NS6detail15normal_iteratorINS9_10device_ptrIiEEEENSB_INSC_IdEEEESG_dNS9_4plusIvEENS9_8equal_toIvEEdEE10hipError_tPvRmT2_T3_T4_T5_mT6_T7_P12ihipStream_tbENKUlT_T0_E_clISt17integral_constantIbLb0EES10_IbLb1EEEEDaSW_SX_EUlSW_E_NS1_11comp_targetILNS1_3genE9ELNS1_11target_archE1100ELNS1_3gpuE3ELNS1_3repE0EEENS1_30default_config_static_selectorELNS0_4arch9wavefront6targetE0EEEvT1_.has_dyn_sized_stack, 0
	.set _ZN7rocprim17ROCPRIM_400000_NS6detail17trampoline_kernelINS0_14default_configENS1_27scan_by_key_config_selectorIidEEZZNS1_16scan_by_key_implILNS1_25lookback_scan_determinismE0ELb1ES3_N6thrust23THRUST_200600_302600_NS6detail15normal_iteratorINS9_10device_ptrIiEEEENSB_INSC_IdEEEESG_dNS9_4plusIvEENS9_8equal_toIvEEdEE10hipError_tPvRmT2_T3_T4_T5_mT6_T7_P12ihipStream_tbENKUlT_T0_E_clISt17integral_constantIbLb0EES10_IbLb1EEEEDaSW_SX_EUlSW_E_NS1_11comp_targetILNS1_3genE9ELNS1_11target_archE1100ELNS1_3gpuE3ELNS1_3repE0EEENS1_30default_config_static_selectorELNS0_4arch9wavefront6targetE0EEEvT1_.has_recursion, 0
	.set _ZN7rocprim17ROCPRIM_400000_NS6detail17trampoline_kernelINS0_14default_configENS1_27scan_by_key_config_selectorIidEEZZNS1_16scan_by_key_implILNS1_25lookback_scan_determinismE0ELb1ES3_N6thrust23THRUST_200600_302600_NS6detail15normal_iteratorINS9_10device_ptrIiEEEENSB_INSC_IdEEEESG_dNS9_4plusIvEENS9_8equal_toIvEEdEE10hipError_tPvRmT2_T3_T4_T5_mT6_T7_P12ihipStream_tbENKUlT_T0_E_clISt17integral_constantIbLb0EES10_IbLb1EEEEDaSW_SX_EUlSW_E_NS1_11comp_targetILNS1_3genE9ELNS1_11target_archE1100ELNS1_3gpuE3ELNS1_3repE0EEENS1_30default_config_static_selectorELNS0_4arch9wavefront6targetE0EEEvT1_.has_indirect_call, 0
	.section	.AMDGPU.csdata,"",@progbits
; Kernel info:
; codeLenInByte = 0
; TotalNumSgprs: 0
; NumVgprs: 0
; ScratchSize: 0
; MemoryBound: 0
; FloatMode: 240
; IeeeMode: 1
; LDSByteSize: 0 bytes/workgroup (compile time only)
; SGPRBlocks: 0
; VGPRBlocks: 0
; NumSGPRsForWavesPerEU: 1
; NumVGPRsForWavesPerEU: 1
; Occupancy: 16
; WaveLimiterHint : 0
; COMPUTE_PGM_RSRC2:SCRATCH_EN: 0
; COMPUTE_PGM_RSRC2:USER_SGPR: 6
; COMPUTE_PGM_RSRC2:TRAP_HANDLER: 0
; COMPUTE_PGM_RSRC2:TGID_X_EN: 1
; COMPUTE_PGM_RSRC2:TGID_Y_EN: 0
; COMPUTE_PGM_RSRC2:TGID_Z_EN: 0
; COMPUTE_PGM_RSRC2:TIDIG_COMP_CNT: 0
	.section	.text._ZN7rocprim17ROCPRIM_400000_NS6detail17trampoline_kernelINS0_14default_configENS1_27scan_by_key_config_selectorIidEEZZNS1_16scan_by_key_implILNS1_25lookback_scan_determinismE0ELb1ES3_N6thrust23THRUST_200600_302600_NS6detail15normal_iteratorINS9_10device_ptrIiEEEENSB_INSC_IdEEEESG_dNS9_4plusIvEENS9_8equal_toIvEEdEE10hipError_tPvRmT2_T3_T4_T5_mT6_T7_P12ihipStream_tbENKUlT_T0_E_clISt17integral_constantIbLb0EES10_IbLb1EEEEDaSW_SX_EUlSW_E_NS1_11comp_targetILNS1_3genE8ELNS1_11target_archE1030ELNS1_3gpuE2ELNS1_3repE0EEENS1_30default_config_static_selectorELNS0_4arch9wavefront6targetE0EEEvT1_,"axG",@progbits,_ZN7rocprim17ROCPRIM_400000_NS6detail17trampoline_kernelINS0_14default_configENS1_27scan_by_key_config_selectorIidEEZZNS1_16scan_by_key_implILNS1_25lookback_scan_determinismE0ELb1ES3_N6thrust23THRUST_200600_302600_NS6detail15normal_iteratorINS9_10device_ptrIiEEEENSB_INSC_IdEEEESG_dNS9_4plusIvEENS9_8equal_toIvEEdEE10hipError_tPvRmT2_T3_T4_T5_mT6_T7_P12ihipStream_tbENKUlT_T0_E_clISt17integral_constantIbLb0EES10_IbLb1EEEEDaSW_SX_EUlSW_E_NS1_11comp_targetILNS1_3genE8ELNS1_11target_archE1030ELNS1_3gpuE2ELNS1_3repE0EEENS1_30default_config_static_selectorELNS0_4arch9wavefront6targetE0EEEvT1_,comdat
	.protected	_ZN7rocprim17ROCPRIM_400000_NS6detail17trampoline_kernelINS0_14default_configENS1_27scan_by_key_config_selectorIidEEZZNS1_16scan_by_key_implILNS1_25lookback_scan_determinismE0ELb1ES3_N6thrust23THRUST_200600_302600_NS6detail15normal_iteratorINS9_10device_ptrIiEEEENSB_INSC_IdEEEESG_dNS9_4plusIvEENS9_8equal_toIvEEdEE10hipError_tPvRmT2_T3_T4_T5_mT6_T7_P12ihipStream_tbENKUlT_T0_E_clISt17integral_constantIbLb0EES10_IbLb1EEEEDaSW_SX_EUlSW_E_NS1_11comp_targetILNS1_3genE8ELNS1_11target_archE1030ELNS1_3gpuE2ELNS1_3repE0EEENS1_30default_config_static_selectorELNS0_4arch9wavefront6targetE0EEEvT1_ ; -- Begin function _ZN7rocprim17ROCPRIM_400000_NS6detail17trampoline_kernelINS0_14default_configENS1_27scan_by_key_config_selectorIidEEZZNS1_16scan_by_key_implILNS1_25lookback_scan_determinismE0ELb1ES3_N6thrust23THRUST_200600_302600_NS6detail15normal_iteratorINS9_10device_ptrIiEEEENSB_INSC_IdEEEESG_dNS9_4plusIvEENS9_8equal_toIvEEdEE10hipError_tPvRmT2_T3_T4_T5_mT6_T7_P12ihipStream_tbENKUlT_T0_E_clISt17integral_constantIbLb0EES10_IbLb1EEEEDaSW_SX_EUlSW_E_NS1_11comp_targetILNS1_3genE8ELNS1_11target_archE1030ELNS1_3gpuE2ELNS1_3repE0EEENS1_30default_config_static_selectorELNS0_4arch9wavefront6targetE0EEEvT1_
	.globl	_ZN7rocprim17ROCPRIM_400000_NS6detail17trampoline_kernelINS0_14default_configENS1_27scan_by_key_config_selectorIidEEZZNS1_16scan_by_key_implILNS1_25lookback_scan_determinismE0ELb1ES3_N6thrust23THRUST_200600_302600_NS6detail15normal_iteratorINS9_10device_ptrIiEEEENSB_INSC_IdEEEESG_dNS9_4plusIvEENS9_8equal_toIvEEdEE10hipError_tPvRmT2_T3_T4_T5_mT6_T7_P12ihipStream_tbENKUlT_T0_E_clISt17integral_constantIbLb0EES10_IbLb1EEEEDaSW_SX_EUlSW_E_NS1_11comp_targetILNS1_3genE8ELNS1_11target_archE1030ELNS1_3gpuE2ELNS1_3repE0EEENS1_30default_config_static_selectorELNS0_4arch9wavefront6targetE0EEEvT1_
	.p2align	8
	.type	_ZN7rocprim17ROCPRIM_400000_NS6detail17trampoline_kernelINS0_14default_configENS1_27scan_by_key_config_selectorIidEEZZNS1_16scan_by_key_implILNS1_25lookback_scan_determinismE0ELb1ES3_N6thrust23THRUST_200600_302600_NS6detail15normal_iteratorINS9_10device_ptrIiEEEENSB_INSC_IdEEEESG_dNS9_4plusIvEENS9_8equal_toIvEEdEE10hipError_tPvRmT2_T3_T4_T5_mT6_T7_P12ihipStream_tbENKUlT_T0_E_clISt17integral_constantIbLb0EES10_IbLb1EEEEDaSW_SX_EUlSW_E_NS1_11comp_targetILNS1_3genE8ELNS1_11target_archE1030ELNS1_3gpuE2ELNS1_3repE0EEENS1_30default_config_static_selectorELNS0_4arch9wavefront6targetE0EEEvT1_,@function
_ZN7rocprim17ROCPRIM_400000_NS6detail17trampoline_kernelINS0_14default_configENS1_27scan_by_key_config_selectorIidEEZZNS1_16scan_by_key_implILNS1_25lookback_scan_determinismE0ELb1ES3_N6thrust23THRUST_200600_302600_NS6detail15normal_iteratorINS9_10device_ptrIiEEEENSB_INSC_IdEEEESG_dNS9_4plusIvEENS9_8equal_toIvEEdEE10hipError_tPvRmT2_T3_T4_T5_mT6_T7_P12ihipStream_tbENKUlT_T0_E_clISt17integral_constantIbLb0EES10_IbLb1EEEEDaSW_SX_EUlSW_E_NS1_11comp_targetILNS1_3genE8ELNS1_11target_archE1030ELNS1_3gpuE2ELNS1_3repE0EEENS1_30default_config_static_selectorELNS0_4arch9wavefront6targetE0EEEvT1_: ; @_ZN7rocprim17ROCPRIM_400000_NS6detail17trampoline_kernelINS0_14default_configENS1_27scan_by_key_config_selectorIidEEZZNS1_16scan_by_key_implILNS1_25lookback_scan_determinismE0ELb1ES3_N6thrust23THRUST_200600_302600_NS6detail15normal_iteratorINS9_10device_ptrIiEEEENSB_INSC_IdEEEESG_dNS9_4plusIvEENS9_8equal_toIvEEdEE10hipError_tPvRmT2_T3_T4_T5_mT6_T7_P12ihipStream_tbENKUlT_T0_E_clISt17integral_constantIbLb0EES10_IbLb1EEEEDaSW_SX_EUlSW_E_NS1_11comp_targetILNS1_3genE8ELNS1_11target_archE1030ELNS1_3gpuE2ELNS1_3repE0EEENS1_30default_config_static_selectorELNS0_4arch9wavefront6targetE0EEEvT1_
; %bb.0:
	s_clause 0x3
	s_load_dwordx8 s[16:23], s[4:5], 0x0
	s_load_dwordx2 s[24:25], s[4:5], 0x20
	s_load_dwordx8 s[8:15], s[4:5], 0x30
	s_load_dwordx2 s[26:27], s[4:5], 0x50
	v_cmp_eq_u32_e64 s0, 0, v0
	s_and_saveexec_b32 s1, s0
	s_cbranch_execz .LBB1426_4
; %bb.1:
	s_mov_b32 s3, exec_lo
	s_mov_b32 s2, exec_lo
	v_mbcnt_lo_u32_b32 v1, s3, 0
                                        ; implicit-def: $vgpr2
	v_cmpx_eq_u32_e32 0, v1
	s_cbranch_execz .LBB1426_3
; %bb.2:
	s_load_dwordx2 s[6:7], s[4:5], 0x80
	s_bcnt1_i32_b32 s3, s3
	v_mov_b32_e32 v2, 0
	v_mov_b32_e32 v3, s3
	s_waitcnt lgkmcnt(0)
	global_atomic_add v2, v2, v3, s[6:7] glc
.LBB1426_3:
	s_or_b32 exec_lo, exec_lo, s2
	s_waitcnt vmcnt(0)
	v_readfirstlane_b32 s2, v2
	v_mov_b32_e32 v2, 0
	v_add_nc_u32_e32 v1, s2, v1
	ds_write_b32 v2, v1
.LBB1426_4:
	s_or_b32 exec_lo, exec_lo, s1
	v_mov_b32_e32 v1, 0
	s_clause 0x1
	s_load_dword s1, s[4:5], 0x58
	s_load_dwordx4 s[4:7], s[4:5], 0x60
	s_waitcnt lgkmcnt(0)
	s_barrier
	buffer_gl0_inv
	ds_read_b32 v1, v1
	s_lshl_b64 s[2:3], s[18:19], 2
	s_waitcnt lgkmcnt(0)
	s_add_u32 s30, s16, s2
	s_addc_u32 s31, s17, s3
	s_lshl_b64 s[16:17], s[18:19], 3
	s_mov_b32 s3, 0
	s_add_u32 s33, s20, s16
	s_addc_u32 s34, s21, s17
	s_barrier
	buffer_gl0_inv
	s_barrier
	buffer_gl0_inv
	s_mul_i32 s15, s27, s1
	s_mul_hi_u32 s29, s26, s1
	s_mul_i32 s1, s26, s1
	s_add_i32 s15, s29, s15
	v_readfirstlane_b32 s28, v1
	v_add_co_u32 v1, s1, s1, v1
	v_add_co_ci_u32_e64 v2, null, s15, 0, s1
	s_mul_i32 s2, s28, 0x300
	s_lshl_b64 s[18:19], s[2:3], 2
	s_add_u32 s20, s30, s18
	s_addc_u32 s21, s31, s19
	s_lshl_b64 s[18:19], s[2:3], 3
	s_add_u32 s29, s33, s18
	s_addc_u32 s30, s34, s19
	s_add_u32 s4, s4, -1
	s_addc_u32 s5, s5, -1
	s_mul_i32 s15, s4, 0xfffffd00
	v_cmp_le_u64_e64 s1, s[4:5], v[1:2]
	s_and_b32 vcc_lo, exec_lo, s1
	s_cbranch_vccz .LBB1426_24
; %bb.5:
	v_mov_b32_e32 v1, s20
	v_mov_b32_e32 v2, s21
	s_add_i32 s5, s15, s14
	v_cmp_gt_u32_e64 s3, s5, v0
	flat_load_dword v1, v[1:2]
	s_waitcnt vmcnt(0) lgkmcnt(0)
	v_mov_b32_e32 v2, v1
	s_and_saveexec_b32 s2, s3
	s_cbranch_execz .LBB1426_7
; %bb.6:
	v_lshlrev_b32_e32 v2, 2, v0
	v_add_co_u32 v2, s4, s20, v2
	v_add_co_ci_u32_e64 v3, null, s21, 0, s4
	flat_load_dword v2, v[2:3]
.LBB1426_7:
	s_or_b32 exec_lo, exec_lo, s2
	v_or_b32_e32 v8, 0x100, v0
	v_mov_b32_e32 v3, v1
	v_cmp_gt_u32_e64 s2, s5, v8
	s_and_saveexec_b32 s4, s2
	s_cbranch_execz .LBB1426_9
; %bb.8:
	v_lshlrev_b32_e32 v3, 2, v0
	v_add_co_u32 v3, s31, s20, v3
	v_add_co_ci_u32_e64 v4, null, s21, 0, s31
	flat_load_dword v3, v[3:4] offset:1024
.LBB1426_9:
	s_or_b32 exec_lo, exec_lo, s4
	v_or_b32_e32 v7, 0x200, v0
	v_cmp_gt_u32_e32 vcc_lo, s5, v7
	s_and_saveexec_b32 s4, vcc_lo
	s_cbranch_execz .LBB1426_11
; %bb.10:
	v_lshlrev_b32_e32 v1, 2, v7
	v_add_co_u32 v4, s31, s20, v1
	v_add_co_ci_u32_e64 v5, null, s21, 0, s31
	flat_load_dword v1, v[4:5]
.LBB1426_11:
	s_or_b32 exec_lo, exec_lo, s4
	v_mov_b32_e32 v4, s20
	v_lshlrev_b32_e32 v9, 2, v0
	v_mov_b32_e32 v5, s21
	s_mov_b32 s31, exec_lo
	s_waitcnt vmcnt(0) lgkmcnt(0)
	ds_write2st64_b32 v9, v2, v3 offset1:4
	ds_write_b32 v9, v1 offset:2048
	s_waitcnt lgkmcnt(0)
	s_barrier
	buffer_gl0_inv
	flat_load_dword v14, v[4:5]
	v_lshl_add_u32 v1, v0, 3, v9
	ds_read_b32 v15, v1
	ds_read2_b32 v[11:12], v1 offset0:1 offset1:2
	s_waitcnt lgkmcnt(1)
	ds_write_b32 v9, v15 offset:4096
	s_waitcnt vmcnt(0) lgkmcnt(0)
	s_barrier
	buffer_gl0_inv
	v_cmpx_ne_u32_e32 0xff, v0
; %bb.12:
	ds_read_b32 v14, v9 offset:4100
; %bb.13:
	s_or_b32 exec_lo, exec_lo, s31
	v_mov_b32_e32 v1, 0
	s_waitcnt lgkmcnt(0)
	s_barrier
	buffer_gl0_inv
	v_mov_b32_e32 v2, v1
	v_mov_b32_e32 v3, v1
	;; [unrolled: 1-line block ×5, first 2 shown]
	s_and_saveexec_b32 s4, s3
	s_cbranch_execnz .LBB1426_138
; %bb.14:
	s_or_b32 exec_lo, exec_lo, s4
	s_and_saveexec_b32 s3, s2
	s_cbranch_execnz .LBB1426_139
.LBB1426_15:
	s_or_b32 exec_lo, exec_lo, s3
	v_mul_u32_u24_e32 v16, 3, v0
	s_and_saveexec_b32 s2, vcc_lo
	s_cbranch_execz .LBB1426_17
.LBB1426_16:
	v_lshlrev_b32_e32 v5, 3, v7
	v_add_co_u32 v5, s3, s29, v5
	v_add_co_ci_u32_e64 v6, null, s30, 0, s3
	flat_load_dwordx2 v[5:6], v[5:6]
.LBB1426_17:
	s_or_b32 exec_lo, exec_lo, s2
	v_lshl_add_u32 v17, v0, 2, v9
	v_mov_b32_e32 v9, 0
	v_mov_b32_e32 v7, 0
	;; [unrolled: 1-line block ×4, first 2 shown]
	s_waitcnt vmcnt(0) lgkmcnt(0)
	ds_write2st64_b64 v17, v[1:2], v[3:4] offset1:4
	ds_write_b64 v17, v[5:6] offset:4096
	v_mov_b32_e32 v5, 0
	v_mov_b32_e32 v1, 0
	v_mov_b32_e32 v6, 0
	v_mov_b32_e32 v3, 0
	v_mov_b32_e32 v8, 0
	v_mov_b32_e32 v23, 0
	v_mov_b32_e32 v2, 0
	v_mov_b32_e32 v21, 0
	s_mov_b32 s31, 0
	s_mov_b32 s3, 0
	s_mov_b32 s33, exec_lo
	s_waitcnt lgkmcnt(0)
	s_barrier
	buffer_gl0_inv
                                        ; implicit-def: $sgpr4
	v_cmpx_gt_u32_e64 s5, v16
	s_cbranch_execz .LBB1426_23
; %bb.18:
	v_lshlrev_b32_e32 v1, 4, v0
	v_cmp_ne_u32_e32 vcc_lo, v15, v11
	v_mov_b32_e32 v9, 0
	v_mov_b32_e32 v7, 0
	v_add_nc_u32_e32 v4, 1, v16
	v_add_nc_u32_e32 v1, v17, v1
	v_mov_b32_e32 v10, 0
	v_mov_b32_e32 v8, 0
	;; [unrolled: 1-line block ×3, first 2 shown]
	s_mov_b32 s34, exec_lo
	ds_read_b64 v[2:3], v1
                                        ; implicit-def: $sgpr4
	s_waitcnt lgkmcnt(0)
	v_cndmask_b32_e64 v6, v3, s25, vcc_lo
	v_cndmask_b32_e64 v5, v2, s24, vcc_lo
	v_cmpx_gt_u32_e64 s5, v4
	s_cbranch_execz .LBB1426_22
; %bb.19:
	ds_read2_b64 v[1:4], v1 offset0:1 offset1:2
	v_cmp_ne_u32_e64 s2, v11, v12
	v_add_nc_u32_e32 v11, 2, v16
	v_mov_b32_e32 v7, 0
	v_mov_b32_e32 v8, 0
                                        ; implicit-def: $sgpr4
	v_cmp_gt_u32_e64 s3, s5, v11
	s_mov_b32 s5, 0
	s_waitcnt lgkmcnt(0)
	v_cndmask_b32_e64 v10, v2, s25, s2
	v_cndmask_b32_e64 v9, v1, s24, s2
	s_and_saveexec_b32 s35, s3
	s_xor_b32 s3, exec_lo, s35
; %bb.20:
	v_cmp_ne_u32_e64 s4, v12, v14
	s_mov_b32 s5, exec_lo
	v_cndmask_b32_e64 v8, v4, s25, s4
	v_cndmask_b32_e64 v7, v3, s24, s4
; %bb.21:
	s_or_b32 exec_lo, exec_lo, s3
	v_cndmask_b32_e64 v13, 0, 1, s2
	s_and_b32 s3, s5, exec_lo
.LBB1426_22:
	s_or_b32 exec_lo, exec_lo, s34
	v_cndmask_b32_e64 v3, 0, 1, vcc_lo
	v_mov_b32_e32 v1, v9
	v_mov_b32_e32 v23, v13
	;; [unrolled: 1-line block ×3, first 2 shown]
	s_and_b32 s3, s3, exec_lo
	v_mov_b32_e32 v21, v3
.LBB1426_23:
	s_or_b32 exec_lo, exec_lo, s33
	s_and_b32 vcc_lo, exec_lo, s31
	s_cbranch_vccnz .LBB1426_25
	s_branch .LBB1426_28
.LBB1426_24:
                                        ; implicit-def: $sgpr4
                                        ; implicit-def: $vgpr5_vgpr6
                                        ; implicit-def: $vgpr13
                                        ; implicit-def: $vgpr9_vgpr10
                                        ; implicit-def: $vgpr3
                                        ; implicit-def: $vgpr7_vgpr8
                                        ; implicit-def: $vgpr23
                                        ; implicit-def: $vgpr1_vgpr2
                                        ; implicit-def: $vgpr21
	s_cbranch_execz .LBB1426_28
.LBB1426_25:
	v_lshlrev_b32_e32 v3, 2, v0
	v_add_co_u32 v1, s2, s20, v3
	v_add_co_ci_u32_e64 v2, null, s21, 0, s2
	v_add_co_u32 v4, vcc_lo, 0x800, v1
	v_add_co_ci_u32_e64 v5, null, 0, v2, vcc_lo
	s_clause 0x2
	flat_load_dword v6, v[1:2]
	flat_load_dword v7, v[1:2] offset:1024
	flat_load_dword v4, v[4:5]
	v_add_co_u32 v1, s2, 0x800, s20
	v_add_co_ci_u32_e64 v2, null, 0, s21, s2
	s_mov_b32 s2, exec_lo
	s_waitcnt vmcnt(1) lgkmcnt(1)
	ds_write2st64_b32 v3, v6, v7 offset1:4
	s_waitcnt vmcnt(0) lgkmcnt(1)
	ds_write_b32 v3, v4 offset:2048
	s_waitcnt lgkmcnt(0)
	s_barrier
	buffer_gl0_inv
	flat_load_dword v4, v[1:2] offset:1024
	v_lshl_add_u32 v1, v0, 3, v3
	ds_read_b32 v5, v1
	ds_read2_b32 v[1:2], v1 offset0:1 offset1:2
	s_waitcnt lgkmcnt(1)
	ds_write_b32 v3, v5 offset:4096
	s_waitcnt vmcnt(0) lgkmcnt(0)
	s_barrier
	buffer_gl0_inv
	v_cmpx_ne_u32_e32 0xff, v0
; %bb.26:
	ds_read_b32 v4, v3 offset:4100
; %bb.27:
	s_or_b32 exec_lo, exec_lo, s2
	v_lshlrev_b32_e32 v6, 3, v0
	s_waitcnt lgkmcnt(0)
	s_barrier
	buffer_gl0_inv
	v_lshl_add_u32 v3, v0, 2, v3
	v_add_co_u32 v6, s2, s29, v6
	v_add_co_ci_u32_e64 v7, null, s30, 0, s2
	v_lshl_add_u32 v12, v0, 4, v3
	v_add_co_u32 v8, vcc_lo, 0x800, v6
	v_add_co_ci_u32_e64 v9, null, 0, v7, vcc_lo
	v_add_co_u32 v10, vcc_lo, 0x1000, v6
	v_add_co_ci_u32_e64 v11, null, 0, v7, vcc_lo
	s_clause 0x2
	flat_load_dwordx2 v[6:7], v[6:7]
	flat_load_dwordx2 v[8:9], v[8:9]
	flat_load_dwordx2 v[10:11], v[10:11]
	v_cmp_ne_u32_e32 vcc_lo, v1, v2
	v_cmp_ne_u32_e64 s2, v5, v1
	v_cmp_ne_u32_e64 s4, v2, v4
	s_mov_b32 s3, -1
	s_waitcnt vmcnt(1) lgkmcnt(1)
	ds_write2st64_b64 v3, v[6:7], v[8:9] offset1:4
	s_waitcnt vmcnt(0) lgkmcnt(1)
	ds_write_b64 v3, v[10:11] offset:4096
	s_waitcnt lgkmcnt(0)
	s_barrier
	buffer_gl0_inv
	ds_read2_b64 v[7:10], v12 offset1:1
	ds_read_b64 v[11:12], v12 offset:16
	v_cndmask_b32_e64 v13, 0, 1, vcc_lo
	v_cndmask_b32_e64 v3, 0, 1, s2
	v_mov_b32_e32 v23, v13
	v_mov_b32_e32 v21, v3
	s_waitcnt lgkmcnt(1)
	v_cndmask_b32_e64 v9, v9, s24, vcc_lo
	v_cndmask_b32_e64 v10, v10, s25, vcc_lo
	v_cndmask_b32_e64 v6, v8, s25, s2
	v_cndmask_b32_e64 v5, v7, s24, s2
	s_waitcnt lgkmcnt(0)
	v_cndmask_b32_e64 v8, v12, s25, s4
	v_mov_b32_e32 v1, v9
	v_cndmask_b32_e64 v7, v11, s24, s4
	v_mov_b32_e32 v2, v10
.LBB1426_28:
	v_mov_b32_e32 v24, 0
	s_and_saveexec_b32 s2, s3
; %bb.29:
	v_mov_b32_e32 v1, v9
	v_cndmask_b32_e64 v24, 0, 1, s4
	v_mov_b32_e32 v21, v3
	v_mov_b32_e32 v2, v10
	;; [unrolled: 1-line block ×3, first 2 shown]
; %bb.30:
	s_or_b32 exec_lo, exec_lo, s2
	v_add_f64 v[3:4], v[1:2], v[5:6]
	v_and_b32_e32 v26, 1, v21
	v_cmp_eq_u16_e64 s3, 0, v24
	v_or_b32_e32 v25, v24, v23
	v_mbcnt_lo_u32_b32 v22, -1, 0
	s_cmp_lg_u32 s28, 0
	v_cmp_eq_u32_e32 vcc_lo, 1, v26
	s_barrier
	buffer_gl0_inv
	s_cbranch_scc0 .LBB1426_88
; %bb.31:
	v_mov_b32_e32 v11, 0
	v_and_b32_e32 v13, 15, v22
	v_cmp_eq_u16_sdwa s2, v23, v11 src0_sel:BYTE_0 src1_sel:DWORD
	v_cmp_ne_u16_sdwa s4, v25, v11 src0_sel:BYTE_0 src1_sel:DWORD
	v_cndmask_b32_e64 v10, v2, v4, s2
	v_cndmask_b32_e64 v9, v1, v3, s2
	s_or_b32 vcc_lo, s4, vcc_lo
	s_mov_b32 s4, exec_lo
	v_cndmask_b32_e64 v14, 0, 1, vcc_lo
	v_cndmask_b32_e64 v15, 0, 1, vcc_lo
	v_add_f64 v[9:10], v[7:8], v[9:10]
	v_mov_b32_dpp v16, v14 row_shr:1 row_mask:0xf bank_mask:0xf
	v_cndmask_b32_e64 v11, v7, v9, s3
	v_cndmask_b32_e64 v12, v8, v10, s3
	v_mov_b32_dpp v9, v11 row_shr:1 row_mask:0xf bank_mask:0xf
	v_mov_b32_dpp v10, v12 row_shr:1 row_mask:0xf bank_mask:0xf
	v_cmpx_ne_u32_e32 0, v13
	s_cbranch_execz .LBB1426_33
; %bb.32:
	v_add_f64 v[9:10], v[11:12], v[9:10]
	v_and_b32_e32 v14, 1, v16
	v_or_b32_e32 v15, v14, v15
	v_and_b32_e32 v14, 0xffff, v15
	v_cndmask_b32_e32 v12, v10, v12, vcc_lo
	v_cndmask_b32_e32 v11, v9, v11, vcc_lo
.LBB1426_33:
	s_or_b32 exec_lo, exec_lo, s4
	v_mov_b32_dpp v9, v11 row_shr:2 row_mask:0xf bank_mask:0xf
	v_mov_b32_dpp v10, v12 row_shr:2 row_mask:0xf bank_mask:0xf
	v_mov_b32_dpp v16, v14 row_shr:2 row_mask:0xf bank_mask:0xf
	s_mov_b32 s5, exec_lo
	v_cmpx_lt_u32_e32 1, v13
	s_cbranch_execz .LBB1426_35
; %bb.34:
	v_add_f64 v[9:10], v[11:12], v[9:10]
	v_and_b32_e32 v14, 1, v15
	v_and_b32_e32 v16, 1, v16
	v_cmp_eq_u16_e64 s4, 0, v15
	v_cmp_eq_u32_e32 vcc_lo, 1, v14
	v_cmp_eq_u32_e64 s3, 1, v16
	s_or_b32 s3, vcc_lo, s3
	v_cndmask_b32_e64 v15, 0, 1, s3
	v_cndmask_b32_e64 v14, 0, 1, s3
	v_cndmask_b32_e64 v12, v12, v10, s4
	v_cndmask_b32_e64 v11, v11, v9, s4
.LBB1426_35:
	s_or_b32 exec_lo, exec_lo, s5
	v_mov_b32_dpp v9, v11 row_shr:4 row_mask:0xf bank_mask:0xf
	v_mov_b32_dpp v10, v12 row_shr:4 row_mask:0xf bank_mask:0xf
	v_mov_b32_dpp v16, v14 row_shr:4 row_mask:0xf bank_mask:0xf
	s_mov_b32 s5, exec_lo
	v_cmpx_lt_u32_e32 3, v13
	s_cbranch_execz .LBB1426_37
; %bb.36:
	v_add_f64 v[9:10], v[11:12], v[9:10]
	v_and_b32_e32 v14, 1, v15
	v_and_b32_e32 v16, 1, v16
	v_cmp_eq_u16_e64 s4, 0, v15
	v_cmp_eq_u32_e32 vcc_lo, 1, v14
	v_cmp_eq_u32_e64 s3, 1, v16
	s_or_b32 s3, vcc_lo, s3
	v_cndmask_b32_e64 v15, 0, 1, s3
	v_cndmask_b32_e64 v14, 0, 1, s3
	v_cndmask_b32_e64 v12, v12, v10, s4
	v_cndmask_b32_e64 v11, v11, v9, s4
.LBB1426_37:
	;; [unrolled: 20-line block ×3, first 2 shown]
	s_or_b32 exec_lo, exec_lo, s5
	ds_swizzle_b32 v9, v11 offset:swizzle(BROADCAST,32,15)
	ds_swizzle_b32 v10, v12 offset:swizzle(BROADCAST,32,15)
	;; [unrolled: 1-line block ×3, first 2 shown]
	v_and_b32_e32 v14, 16, v22
	s_mov_b32 s5, exec_lo
	v_cmpx_ne_u32_e32 0, v14
	s_cbranch_execz .LBB1426_41
; %bb.40:
	s_waitcnt lgkmcnt(1)
	v_add_f64 v[9:10], v[11:12], v[9:10]
	v_and_b32_e32 v14, 1, v15
	s_waitcnt lgkmcnt(0)
	v_and_b32_e32 v13, 1, v13
	v_cmp_eq_u16_e32 vcc_lo, 0, v15
	v_cmp_eq_u32_e64 s3, 1, v14
	v_cmp_eq_u32_e64 s4, 1, v13
	s_or_b32 s3, s3, s4
	v_cndmask_b32_e64 v15, 0, 1, s3
	v_cndmask_b32_e32 v12, v12, v10, vcc_lo
	v_cndmask_b32_e32 v11, v11, v9, vcc_lo
.LBB1426_41:
	s_or_b32 exec_lo, exec_lo, s5
	s_waitcnt lgkmcnt(1)
	v_lshrrev_b32_e32 v10, 5, v0
	v_or_b32_e32 v9, 31, v0
	s_mov_b32 s3, exec_lo
	v_lshlrev_b32_e32 v16, 4, v10
	v_cmpx_eq_u32_e64 v0, v9
	s_cbranch_execz .LBB1426_43
; %bb.42:
	ds_write_b64 v16, v[11:12]
	ds_write_b8 v16, v15 offset:8
.LBB1426_43:
	s_or_b32 exec_lo, exec_lo, s3
	s_mov_b32 s5, exec_lo
	s_waitcnt lgkmcnt(0)
	s_barrier
	buffer_gl0_inv
	v_cmpx_gt_u32_e32 8, v0
	s_cbranch_execz .LBB1426_51
; %bb.44:
	v_lshlrev_b32_e32 v17, 4, v0
	v_and_b32_e32 v18, 7, v22
	s_mov_b32 s3, exec_lo
	ds_read_b64 v[9:10], v17
	ds_read_b32 v20, v17 offset:8
	s_waitcnt lgkmcnt(1)
	v_mov_b32_dpp v13, v9 row_shr:1 row_mask:0xf bank_mask:0xf
	v_mov_b32_dpp v14, v10 row_shr:1 row_mask:0xf bank_mask:0xf
	s_waitcnt lgkmcnt(0)
	v_and_b32_e32 v27, 0xffffff00, v20
	v_mov_b32_dpp v29, v20 row_shr:1 row_mask:0xf bank_mask:0xf
	v_mov_b32_e32 v28, v20
	v_mov_b32_e32 v19, v20
	v_cmpx_ne_u32_e32 0, v18
	s_cbranch_execz .LBB1426_46
; %bb.45:
	v_add_f64 v[13:14], v[9:10], v[13:14]
	v_mov_b32_e32 v19, 0
	v_or_b32_e32 v28, v29, v20
	v_cmp_eq_u16_sdwa vcc_lo, v20, v19 src0_sel:BYTE_0 src1_sel:DWORD
	v_and_b32_e32 v19, 1, v28
	v_and_b32_e32 v28, 1, v28
	v_or_b32_e32 v20, v19, v27
	v_cndmask_b32_e32 v10, v10, v14, vcc_lo
	v_cndmask_b32_e32 v9, v9, v13, vcc_lo
.LBB1426_46:
	s_or_b32 exec_lo, exec_lo, s3
	v_mov_b32_dpp v13, v9 row_shr:2 row_mask:0xf bank_mask:0xf
	v_mov_b32_dpp v14, v10 row_shr:2 row_mask:0xf bank_mask:0xf
	;; [unrolled: 1-line block ×3, first 2 shown]
	s_mov_b32 s4, exec_lo
	v_cmpx_lt_u32_e32 1, v18
	s_cbranch_execz .LBB1426_48
; %bb.47:
	v_add_f64 v[13:14], v[9:10], v[13:14]
	v_and_b32_e32 v20, 1, v19
	v_and_b32_e32 v28, 1, v29
	v_cmp_eq_u32_e32 vcc_lo, 1, v20
	v_cmp_eq_u32_e64 s3, 1, v28
	v_mov_b32_e32 v20, 0
	s_or_b32 s3, vcc_lo, s3
	v_cmp_eq_u16_sdwa vcc_lo, v19, v20 src0_sel:BYTE_0 src1_sel:DWORD
	v_cndmask_b32_e64 v28, 0, 1, s3
	v_cndmask_b32_e64 v29, 0, 1, s3
	v_mov_b32_e32 v19, v28
	v_or_b32_e32 v20, v27, v29
	v_cndmask_b32_e32 v10, v10, v14, vcc_lo
	v_cndmask_b32_e32 v9, v9, v13, vcc_lo
.LBB1426_48:
	s_or_b32 exec_lo, exec_lo, s4
	v_mov_b32_dpp v13, v9 row_shr:4 row_mask:0xf bank_mask:0xf
	v_mov_b32_dpp v14, v10 row_shr:4 row_mask:0xf bank_mask:0xf
	;; [unrolled: 1-line block ×3, first 2 shown]
	s_mov_b32 s20, exec_lo
	v_cmpx_lt_u32_e32 3, v18
	s_cbranch_execz .LBB1426_50
; %bb.49:
	v_add_f64 v[13:14], v[9:10], v[13:14]
	v_and_b32_e32 v27, 1, v19
	v_and_b32_e32 v20, 1, v20
	v_mov_b32_e32 v18, 0
	v_cmp_eq_u32_e64 s3, 1, v27
	v_cmp_eq_u32_e64 s4, 1, v20
	v_cmp_eq_u16_sdwa vcc_lo, v19, v18 src0_sel:BYTE_0 src1_sel:DWORD
	s_or_b32 s3, s3, s4
	v_cndmask_b32_e64 v28, 0, 1, s3
	v_cndmask_b32_e32 v10, v10, v14, vcc_lo
	v_cndmask_b32_e32 v9, v9, v13, vcc_lo
.LBB1426_50:
	s_or_b32 exec_lo, exec_lo, s20
	ds_write_b64 v17, v[9:10]
	ds_write_b8 v17, v28 offset:8
.LBB1426_51:
	s_or_b32 exec_lo, exec_lo, s5
	v_mov_b32_e32 v9, 0
	v_mov_b32_e32 v10, 0
	;; [unrolled: 1-line block ×3, first 2 shown]
	s_mov_b32 s4, exec_lo
	v_cmp_gt_u32_e32 vcc_lo, 32, v0
	s_waitcnt lgkmcnt(0)
	s_barrier
	buffer_gl0_inv
	v_cmpx_lt_u32_e32 31, v0
	s_cbranch_execz .LBB1426_53
; %bb.52:
	v_add_nc_u32_e32 v9, -16, v16
	v_add_nc_u32_e32 v13, -8, v16
	v_cmp_eq_u16_e64 s3, 0, v15
	ds_read_b64 v[9:10], v9
	ds_read_u8 v27, v13
	s_waitcnt lgkmcnt(1)
	v_add_f64 v[13:14], v[11:12], v[9:10]
	s_waitcnt lgkmcnt(0)
	v_or_b32_e32 v15, v27, v15
	v_cndmask_b32_e64 v12, v12, v14, s3
	v_cndmask_b32_e64 v11, v11, v13, s3
.LBB1426_53:
	s_or_b32 exec_lo, exec_lo, s4
	v_sub_co_u32 v13, s3, v22, 1
	v_and_b32_e32 v14, 0xff, v15
	v_cmp_gt_i32_e64 s4, 0, v13
	v_cndmask_b32_e64 v13, v13, v22, s4
	v_lshlrev_b32_e32 v13, 2, v13
	ds_bpermute_b32 v29, v13, v11
	ds_bpermute_b32 v30, v13, v12
	;; [unrolled: 1-line block ×3, first 2 shown]
	s_and_saveexec_b32 s20, vcc_lo
	s_cbranch_execz .LBB1426_93
; %bb.54:
	v_mov_b32_e32 v15, 0
	ds_read_b64 v[11:12], v15 offset:112
	ds_read_u8 v31, v15 offset:120
	s_and_saveexec_b32 s4, s3
	s_cbranch_execz .LBB1426_56
; %bb.55:
	s_add_i32 s30, s28, 32
	s_mov_b32 s31, 0
	v_mov_b32_e32 v13, 1
	s_lshl_b64 s[34:35], s[30:31], 4
	v_mov_b32_e32 v14, s30
	s_add_u32 s34, s8, s34
	s_addc_u32 s35, s9, s35
	s_waitcnt lgkmcnt(1)
	global_store_dwordx2 v15, v[11:12], s[34:35]
	s_waitcnt lgkmcnt(0)
	global_store_byte v15, v31, s[34:35] offset:8
	s_waitcnt_vscnt null, 0x0
	buffer_gl1_inv
	buffer_gl0_inv
	global_store_byte v14, v13, s[12:13]
.LBB1426_56:
	s_or_b32 exec_lo, exec_lo, s4
	v_xad_u32 v13, v22, -1, s28
	s_mov_b32 s5, 0
	s_mov_b32 s4, exec_lo
	v_add_nc_u32_e32 v14, 32, v13
	global_load_ubyte v32, v14, s[12:13] glc dlc
	s_waitcnt vmcnt(0)
	v_cmpx_eq_u16_e32 0, v32
	s_cbranch_execz .LBB1426_60
; %bb.57:
	v_add_co_u32 v16, s21, s12, v14
	v_add_co_ci_u32_e64 v17, null, s13, 0, s21
.LBB1426_58:                            ; =>This Inner Loop Header: Depth=1
	global_load_ubyte v32, v[16:17], off glc dlc
	s_waitcnt vmcnt(0)
	v_cmp_ne_u16_e32 vcc_lo, 0, v32
	s_or_b32 s5, vcc_lo, s5
	s_andn2_b32 exec_lo, exec_lo, s5
	s_cbranch_execnz .LBB1426_58
; %bb.59:
	s_or_b32 exec_lo, exec_lo, s5
.LBB1426_60:
	s_or_b32 exec_lo, exec_lo, s4
	v_cmp_eq_u16_e32 vcc_lo, 1, v32
	v_mov_b32_e32 v17, s8
	v_mov_b32_e32 v16, s9
	v_lshlrev_b64 v[14:15], 4, v[14:15]
	s_waitcnt lgkmcnt(0)
	s_waitcnt_vscnt null, 0x0
	buffer_gl1_inv
	buffer_gl0_inv
	v_lshlrev_b32_e64 v34, v22, -1
	v_cndmask_b32_e32 v17, s10, v17, vcc_lo
	v_cndmask_b32_e32 v16, s11, v16, vcc_lo
	s_mov_b32 s4, exec_lo
	v_add_co_u32 v14, vcc_lo, v17, v14
	v_add_co_ci_u32_e64 v15, null, v16, v15, vcc_lo
	v_cmp_ne_u32_e32 vcc_lo, 31, v22
	s_clause 0x1
	global_load_ubyte v19, v[14:15], off offset:8
	global_load_dwordx2 v[17:18], v[14:15], off
	v_add_co_ci_u32_e64 v14, null, 0, v22, vcc_lo
	v_cmp_eq_u16_e32 vcc_lo, 2, v32
	v_lshlrev_b32_e32 v33, 2, v14
	v_and_or_b32 v16, vcc_lo, v34, 0x80000000
	v_ffbl_b32_e32 v16, v16
	s_waitcnt vmcnt(1)
	v_and_b32_e32 v20, 1, v19
	s_waitcnt vmcnt(0)
	ds_bpermute_b32 v14, v33, v17
	ds_bpermute_b32 v15, v33, v18
	;; [unrolled: 1-line block ×3, first 2 shown]
	v_cmpx_lt_u32_e64 v22, v16
	s_cbranch_execz .LBB1426_62
; %bb.61:
	s_waitcnt lgkmcnt(1)
	v_add_f64 v[14:15], v[17:18], v[14:15]
	v_mov_b32_e32 v20, 0
	s_waitcnt lgkmcnt(0)
	v_and_b32_e32 v35, 1, v35
	v_cmp_eq_u16_sdwa vcc_lo, v19, v20 src0_sel:BYTE_0 src1_sel:DWORD
	v_or_b32_e32 v19, v35, v19
	v_and_b32_e32 v20, 0xff, v19
	v_cndmask_b32_e32 v18, v18, v15, vcc_lo
	v_cndmask_b32_e32 v17, v17, v14, vcc_lo
.LBB1426_62:
	s_or_b32 exec_lo, exec_lo, s4
	v_cmp_gt_u32_e32 vcc_lo, 30, v22
	v_add_nc_u32_e32 v36, 2, v22
	s_mov_b32 s21, exec_lo
	s_waitcnt lgkmcnt(2)
	v_cndmask_b32_e64 v14, 0, 2, vcc_lo
	s_waitcnt lgkmcnt(0)
	v_add_lshl_u32 v35, v14, v22, 2
	ds_bpermute_b32 v14, v35, v17
	ds_bpermute_b32 v15, v35, v18
	ds_bpermute_b32 v37, v35, v20
	v_cmpx_le_u32_e64 v36, v16
	s_cbranch_execz .LBB1426_64
; %bb.63:
	s_waitcnt lgkmcnt(1)
	v_add_f64 v[14:15], v[17:18], v[14:15]
	v_and_b32_e32 v20, 1, v19
	s_waitcnt lgkmcnt(0)
	v_and_b32_e32 v37, 1, v37
	v_mov_b32_e32 v38, 0
	v_cmp_eq_u32_e32 vcc_lo, 1, v20
	v_cmp_eq_u32_e64 s4, 1, v37
	v_cmp_eq_u16_sdwa s5, v19, v38 src0_sel:BYTE_0 src1_sel:DWORD
	s_or_b32 s4, vcc_lo, s4
	v_cndmask_b32_e64 v19, 0, 1, s4
	v_cndmask_b32_e64 v20, 0, 1, s4
	v_cndmask_b32_e64 v18, v18, v15, s5
	v_cndmask_b32_e64 v17, v17, v14, s5
.LBB1426_64:
	s_or_b32 exec_lo, exec_lo, s21
	v_cmp_gt_u32_e32 vcc_lo, 28, v22
	v_add_nc_u32_e32 v38, 4, v22
	s_mov_b32 s21, exec_lo
	s_waitcnt lgkmcnt(2)
	v_cndmask_b32_e64 v14, 0, 4, vcc_lo
	s_waitcnt lgkmcnt(0)
	v_add_lshl_u32 v37, v14, v22, 2
	ds_bpermute_b32 v14, v37, v17
	ds_bpermute_b32 v15, v37, v18
	ds_bpermute_b32 v39, v37, v20
	v_cmpx_le_u32_e64 v38, v16
	s_cbranch_execz .LBB1426_66
; %bb.65:
	s_waitcnt lgkmcnt(1)
	v_add_f64 v[14:15], v[17:18], v[14:15]
	v_and_b32_e32 v20, 1, v19
	s_waitcnt lgkmcnt(0)
	v_and_b32_e32 v39, 1, v39
	v_mov_b32_e32 v40, 0
	v_cmp_eq_u32_e32 vcc_lo, 1, v20
	v_cmp_eq_u32_e64 s4, 1, v39
	v_cmp_eq_u16_sdwa s5, v19, v40 src0_sel:BYTE_0 src1_sel:DWORD
	s_or_b32 s4, vcc_lo, s4
	v_cndmask_b32_e64 v19, 0, 1, s4
	v_cndmask_b32_e64 v20, 0, 1, s4
	v_cndmask_b32_e64 v18, v18, v15, s5
	v_cndmask_b32_e64 v17, v17, v14, s5
.LBB1426_66:
	;; [unrolled: 29-line block ×3, first 2 shown]
	s_or_b32 exec_lo, exec_lo, s21
	v_lshl_or_b32 v42, v22, 2, 64
	v_add_nc_u32_e32 v43, 16, v22
	s_mov_b32 s21, exec_lo
	s_waitcnt lgkmcnt(2)
	ds_bpermute_b32 v14, v42, v17
	s_waitcnt lgkmcnt(2)
	ds_bpermute_b32 v15, v42, v18
	ds_bpermute_b32 v20, v42, v20
	v_cmpx_le_u32_e64 v43, v16
	s_cbranch_execz .LBB1426_70
; %bb.69:
	s_waitcnt lgkmcnt(1)
	v_add_f64 v[14:15], v[17:18], v[14:15]
	v_and_b32_e32 v41, 1, v19
	s_waitcnt lgkmcnt(0)
	v_and_b32_e32 v20, 1, v20
	v_mov_b32_e32 v16, 0
	v_cmp_eq_u32_e64 s4, 1, v41
	v_cmp_eq_u32_e64 s5, 1, v20
	v_cmp_eq_u16_sdwa vcc_lo, v19, v16 src0_sel:BYTE_0 src1_sel:DWORD
	s_or_b32 s4, s4, s5
	v_cndmask_b32_e64 v19, 0, 1, s4
	v_cndmask_b32_e32 v18, v18, v15, vcc_lo
	v_cndmask_b32_e32 v17, v17, v14, vcc_lo
.LBB1426_70:
	s_or_b32 exec_lo, exec_lo, s21
	s_waitcnt lgkmcnt(2)
	v_mov_b32_e32 v14, 0
	v_mov_b32_e32 v44, 2
	s_branch .LBB1426_73
.LBB1426_71:                            ;   in Loop: Header=BB1426_73 Depth=1
	s_or_b32 exec_lo, exec_lo, s29
	v_add_f64 v[17:18], v[15:16], v[17:18]
	s_waitcnt lgkmcnt(2)
	v_and_b32_e32 v19, 1, v41
	v_cmp_eq_u16_sdwa vcc_lo, v41, v14 src0_sel:BYTE_0 src1_sel:DWORD
	v_subrev_nc_u32_e32 v13, 32, v13
	v_cmp_eq_u32_e64 s4, 1, v19
	s_or_b32 s4, s4, s21
	v_cndmask_b32_e64 v19, 0, 1, s4
	s_mov_b32 s4, 0
	v_cndmask_b32_e32 v18, v16, v18, vcc_lo
	v_cndmask_b32_e32 v17, v15, v17, vcc_lo
.LBB1426_72:                            ;   in Loop: Header=BB1426_73 Depth=1
	s_and_b32 vcc_lo, exec_lo, s4
	s_cbranch_vccnz .LBB1426_89
.LBB1426_73:                            ; =>This Loop Header: Depth=1
                                        ;     Child Loop BB1426_76 Depth 2
	v_cmp_ne_u16_sdwa s4, v32, v44 src0_sel:BYTE_0 src1_sel:DWORD
	s_waitcnt lgkmcnt(1)
	v_mov_b32_e32 v15, v17
	v_mov_b32_e32 v41, v19
	;; [unrolled: 1-line block ×3, first 2 shown]
                                        ; implicit-def: $vgpr19
                                        ; implicit-def: $vgpr17_vgpr18
                                        ; implicit-def: $vgpr32
	s_cmp_lg_u32 s4, exec_lo
	s_mov_b32 s4, -1
	s_cbranch_scc1 .LBB1426_72
; %bb.74:                               ;   in Loop: Header=BB1426_73 Depth=1
	global_load_ubyte v32, v13, s[12:13] glc dlc
	s_mov_b32 s4, exec_lo
	s_waitcnt vmcnt(0)
	v_cmpx_eq_u16_e32 0, v32
	s_cbranch_execz .LBB1426_78
; %bb.75:                               ;   in Loop: Header=BB1426_73 Depth=1
	v_add_co_u32 v17, s5, s12, v13
	v_add_co_ci_u32_e64 v18, null, s13, 0, s5
	s_mov_b32 s5, 0
.LBB1426_76:                            ;   Parent Loop BB1426_73 Depth=1
                                        ; =>  This Inner Loop Header: Depth=2
	global_load_ubyte v32, v[17:18], off glc dlc
	s_waitcnt vmcnt(0)
	v_cmp_ne_u16_e32 vcc_lo, 0, v32
	s_or_b32 s5, vcc_lo, s5
	s_andn2_b32 exec_lo, exec_lo, s5
	s_cbranch_execnz .LBB1426_76
; %bb.77:                               ;   in Loop: Header=BB1426_73 Depth=1
	s_or_b32 exec_lo, exec_lo, s5
.LBB1426_78:                            ;   in Loop: Header=BB1426_73 Depth=1
	s_or_b32 exec_lo, exec_lo, s4
	v_cmp_eq_u16_e32 vcc_lo, 1, v32
	s_waitcnt lgkmcnt(0)
	v_mov_b32_e32 v20, s8
	v_mov_b32_e32 v19, s9
	v_lshlrev_b64 v[17:18], 4, v[13:14]
	buffer_gl1_inv
	buffer_gl0_inv
	s_mov_b32 s4, exec_lo
	v_cndmask_b32_e32 v20, s10, v20, vcc_lo
	v_cndmask_b32_e32 v19, s11, v19, vcc_lo
	v_add_co_u32 v17, vcc_lo, v20, v17
	v_add_co_ci_u32_e64 v18, null, v19, v18, vcc_lo
	v_cmp_eq_u16_e32 vcc_lo, 2, v32
	s_clause 0x1
	global_load_ubyte v45, v[17:18], off offset:8
	global_load_dwordx2 v[17:18], v[17:18], off
	v_and_or_b32 v46, vcc_lo, v34, 0x80000000
	v_ffbl_b32_e32 v46, v46
	s_waitcnt vmcnt(1)
	v_and_b32_e32 v47, 1, v45
	s_waitcnt vmcnt(0)
	ds_bpermute_b32 v19, v33, v17
	ds_bpermute_b32 v20, v33, v18
	;; [unrolled: 1-line block ×3, first 2 shown]
	v_cmpx_lt_u32_e64 v22, v46
	s_cbranch_execz .LBB1426_80
; %bb.79:                               ;   in Loop: Header=BB1426_73 Depth=1
	s_waitcnt lgkmcnt(1)
	v_add_f64 v[19:20], v[17:18], v[19:20]
	s_waitcnt lgkmcnt(0)
	v_and_b32_e32 v47, 1, v48
	v_cmp_eq_u16_sdwa vcc_lo, v45, v14 src0_sel:BYTE_0 src1_sel:DWORD
	v_or_b32_e32 v45, v47, v45
	v_and_b32_e32 v47, 0xff, v45
	v_cndmask_b32_e32 v18, v18, v20, vcc_lo
	v_cndmask_b32_e32 v17, v17, v19, vcc_lo
.LBB1426_80:                            ;   in Loop: Header=BB1426_73 Depth=1
	s_or_b32 exec_lo, exec_lo, s4
	s_waitcnt lgkmcnt(2)
	ds_bpermute_b32 v19, v35, v17
	s_waitcnt lgkmcnt(2)
	ds_bpermute_b32 v20, v35, v18
	s_waitcnt lgkmcnt(2)
	ds_bpermute_b32 v48, v35, v47
	v_and_b32_e32 v49, 1, v45
	s_mov_b32 s5, exec_lo
	v_cmp_eq_u32_e64 s21, 1, v49
	v_cmpx_le_u32_e64 v36, v46
	s_cbranch_execz .LBB1426_82
; %bb.81:                               ;   in Loop: Header=BB1426_73 Depth=1
	s_waitcnt lgkmcnt(1)
	v_add_f64 v[19:20], v[17:18], v[19:20]
	s_waitcnt lgkmcnt(0)
	v_and_b32_e32 v47, 1, v48
	v_cmp_eq_u16_sdwa s4, v45, v14 src0_sel:BYTE_0 src1_sel:DWORD
	v_cmp_eq_u32_e32 vcc_lo, 1, v47
	s_or_b32 s29, s21, vcc_lo
	v_cndmask_b32_e64 v45, 0, 1, s29
	v_cndmask_b32_e64 v47, 0, 1, s29
	;; [unrolled: 1-line block ×4, first 2 shown]
	s_andn2_b32 s4, s21, exec_lo
	s_and_b32 s21, s29, exec_lo
	s_or_b32 s21, s4, s21
.LBB1426_82:                            ;   in Loop: Header=BB1426_73 Depth=1
	s_or_b32 exec_lo, exec_lo, s5
	s_waitcnt lgkmcnt(2)
	ds_bpermute_b32 v19, v37, v17
	s_waitcnt lgkmcnt(2)
	ds_bpermute_b32 v20, v37, v18
	;; [unrolled: 2-line block ×3, first 2 shown]
	s_mov_b32 s29, exec_lo
	v_cmpx_le_u32_e64 v38, v46
	s_cbranch_execz .LBB1426_84
; %bb.83:                               ;   in Loop: Header=BB1426_73 Depth=1
	s_waitcnt lgkmcnt(1)
	v_add_f64 v[19:20], v[17:18], v[19:20]
	v_and_b32_e32 v47, 1, v45
	s_waitcnt lgkmcnt(0)
	v_and_b32_e32 v48, 1, v48
	v_cmp_eq_u16_sdwa s5, v45, v14 src0_sel:BYTE_0 src1_sel:DWORD
	v_cmp_eq_u32_e32 vcc_lo, 1, v47
	v_cmp_eq_u32_e64 s4, 1, v48
	s_or_b32 s4, vcc_lo, s4
	v_cndmask_b32_e64 v45, 0, 1, s4
	v_cndmask_b32_e64 v47, 0, 1, s4
	s_and_b32 s4, s4, exec_lo
	v_cndmask_b32_e64 v18, v18, v20, s5
	v_cndmask_b32_e64 v17, v17, v19, s5
	s_andn2_b32 s5, s21, exec_lo
	s_or_b32 s21, s5, s4
.LBB1426_84:                            ;   in Loop: Header=BB1426_73 Depth=1
	s_or_b32 exec_lo, exec_lo, s29
	s_waitcnt lgkmcnt(2)
	ds_bpermute_b32 v19, v39, v17
	s_waitcnt lgkmcnt(2)
	ds_bpermute_b32 v20, v39, v18
	;; [unrolled: 2-line block ×3, first 2 shown]
	s_mov_b32 s29, exec_lo
	v_cmpx_le_u32_e64 v40, v46
	s_cbranch_execz .LBB1426_86
; %bb.85:                               ;   in Loop: Header=BB1426_73 Depth=1
	s_waitcnt lgkmcnt(1)
	v_add_f64 v[19:20], v[17:18], v[19:20]
	v_and_b32_e32 v47, 1, v45
	s_waitcnt lgkmcnt(0)
	v_and_b32_e32 v48, 1, v48
	v_cmp_eq_u16_sdwa s5, v45, v14 src0_sel:BYTE_0 src1_sel:DWORD
	v_cmp_eq_u32_e32 vcc_lo, 1, v47
	v_cmp_eq_u32_e64 s4, 1, v48
	s_or_b32 s4, vcc_lo, s4
	v_cndmask_b32_e64 v45, 0, 1, s4
	v_cndmask_b32_e64 v47, 0, 1, s4
	s_and_b32 s4, s4, exec_lo
	v_cndmask_b32_e64 v18, v18, v20, s5
	v_cndmask_b32_e64 v17, v17, v19, s5
	s_andn2_b32 s5, s21, exec_lo
	s_or_b32 s21, s5, s4
.LBB1426_86:                            ;   in Loop: Header=BB1426_73 Depth=1
	s_or_b32 exec_lo, exec_lo, s29
	s_waitcnt lgkmcnt(2)
	ds_bpermute_b32 v19, v42, v17
	s_waitcnt lgkmcnt(2)
	ds_bpermute_b32 v20, v42, v18
	ds_bpermute_b32 v47, v42, v47
	s_mov_b32 s29, exec_lo
	v_cmpx_le_u32_e64 v43, v46
	s_cbranch_execz .LBB1426_71
; %bb.87:                               ;   in Loop: Header=BB1426_73 Depth=1
	s_waitcnt lgkmcnt(1)
	v_add_f64 v[19:20], v[17:18], v[19:20]
	v_and_b32_e32 v46, 1, v45
	s_waitcnt lgkmcnt(0)
	v_and_b32_e32 v47, 1, v47
	v_cmp_eq_u16_sdwa s5, v45, v14 src0_sel:BYTE_0 src1_sel:DWORD
	v_cmp_eq_u32_e32 vcc_lo, 1, v46
	v_cmp_eq_u32_e64 s4, 1, v47
	s_or_b32 s4, vcc_lo, s4
	s_and_b32 s4, s4, exec_lo
	v_cndmask_b32_e64 v18, v18, v20, s5
	v_cndmask_b32_e64 v17, v17, v19, s5
	s_andn2_b32 s5, s21, exec_lo
	s_or_b32 s21, s5, s4
	s_branch .LBB1426_71
.LBB1426_88:
                                        ; implicit-def: $vgpr11_vgpr12
                                        ; implicit-def: $vgpr15_vgpr16
                                        ; implicit-def: $vgpr13_vgpr14
	s_cbranch_execnz .LBB1426_94
	s_branch .LBB1426_121
.LBB1426_89:
	s_and_saveexec_b32 s4, s3
	s_cbranch_execz .LBB1426_91
; %bb.90:
	v_add_f64 v[13:14], v[11:12], v[15:16]
	v_mov_b32_e32 v17, 0
	v_or_b32_e32 v18, v31, v41
	s_mov_b32 s9, 0
	s_add_i32 s8, s28, 32
	v_mov_b32_e32 v19, 2
	v_cmp_eq_u32_sdwa vcc_lo, v31, v17 src0_sel:BYTE_0 src1_sel:DWORD
	s_lshl_b64 s[28:29], s[8:9], 4
	s_waitcnt lgkmcnt(0)
	v_mov_b32_e32 v20, s8
	v_and_b32_e32 v18, 1, v18
	s_add_u32 s8, s10, s28
	s_addc_u32 s9, s11, s29
	v_cndmask_b32_e32 v12, v12, v14, vcc_lo
	v_cndmask_b32_e32 v11, v11, v13, vcc_lo
	global_store_byte v17, v18, s[8:9] offset:8
	global_store_dwordx2 v17, v[11:12], s[8:9]
	s_waitcnt_vscnt null, 0x0
	buffer_gl1_inv
	buffer_gl0_inv
	global_store_byte v20, v19, s[12:13]
.LBB1426_91:
	s_or_b32 exec_lo, exec_lo, s4
	s_and_b32 exec_lo, exec_lo, s0
	s_cbranch_execz .LBB1426_93
; %bb.92:
	v_mov_b32_e32 v11, 0
	ds_write_b64 v11, v[15:16] offset:112
	ds_write_b8 v11, v41 offset:120
.LBB1426_93:
	s_or_b32 exec_lo, exec_lo, s20
	v_mov_b32_e32 v15, 0
	s_waitcnt lgkmcnt(0)
	s_waitcnt_vscnt null, 0x0
	s_barrier
	buffer_gl0_inv
	v_cndmask_b32_e64 v10, v30, v10, s3
	ds_read_b64 v[11:12], v15 offset:112
	v_cndmask_b32_e64 v9, v29, v9, s3
	v_cndmask_b32_e64 v16, v28, v27, s3
	v_cmp_eq_u16_sdwa vcc_lo, v16, v15 src0_sel:BYTE_0 src1_sel:DWORD
	s_waitcnt lgkmcnt(0)
	v_add_f64 v[13:14], v[9:10], v[11:12]
	v_cndmask_b32_e32 v9, v9, v13, vcc_lo
	v_cndmask_b32_e32 v10, v10, v14, vcc_lo
	v_cmp_eq_u16_sdwa vcc_lo, v21, v15 src0_sel:BYTE_0 src1_sel:DWORD
	v_cndmask_b32_e64 v11, v9, v11, s0
	v_cndmask_b32_e64 v12, v10, v12, s0
	v_add_f64 v[9:10], v[5:6], v[11:12]
	v_cndmask_b32_e32 v14, v6, v10, vcc_lo
	v_cndmask_b32_e32 v13, v5, v9, vcc_lo
	v_add_f64 v[9:10], v[1:2], v[13:14]
	v_cndmask_b32_e64 v16, v2, v10, s2
	v_cndmask_b32_e64 v15, v1, v9, s2
	s_branch .LBB1426_121
.LBB1426_94:
	s_cmp_eq_u64 s[26:27], 0
	v_mov_b32_e32 v9, s24
	s_cselect_b32 s2, -1, 0
	s_cmp_eq_u64 s[6:7], 0
	v_mov_b32_e32 v10, s25
	s_cselect_b32 s3, -1, 0
	s_or_b32 s2, s2, s3
	s_and_b32 vcc_lo, exec_lo, s2
	s_cbranch_vccnz .LBB1426_96
; %bb.95:
	v_mov_b32_e32 v9, 0
	global_load_dwordx2 v[9:10], v9, s[6:7]
.LBB1426_96:
	v_mov_b32_e32 v11, 0
	v_cmp_eq_u32_e64 s2, 1, v26
	v_cmp_eq_u16_e64 s3, 0, v24
	v_cmp_eq_u16_sdwa vcc_lo, v23, v11 src0_sel:BYTE_0 src1_sel:DWORD
	v_cmp_ne_u16_sdwa s4, v25, v11 src0_sel:BYTE_0 src1_sel:DWORD
	v_and_b32_e32 v11, 15, v22
	v_cndmask_b32_e32 v4, v2, v4, vcc_lo
	v_cndmask_b32_e32 v3, v1, v3, vcc_lo
	s_or_b32 s2, s4, s2
	s_mov_b32 s4, exec_lo
	v_cndmask_b32_e64 v12, 0, 1, s2
	v_cndmask_b32_e64 v13, 0, 1, s2
	v_add_f64 v[3:4], v[7:8], v[3:4]
	v_mov_b32_dpp v14, v12 row_shr:1 row_mask:0xf bank_mask:0xf
	v_cndmask_b32_e64 v4, v8, v4, s3
	v_cndmask_b32_e64 v3, v7, v3, s3
	v_mov_b32_dpp v8, v4 row_shr:1 row_mask:0xf bank_mask:0xf
	v_mov_b32_dpp v7, v3 row_shr:1 row_mask:0xf bank_mask:0xf
	v_cmpx_ne_u32_e32 0, v11
	s_cbranch_execz .LBB1426_98
; %bb.97:
	v_add_f64 v[7:8], v[3:4], v[7:8]
	v_and_b32_e32 v12, 1, v14
	v_or_b32_e32 v13, v12, v13
	v_and_b32_e32 v12, 0xffff, v13
	v_cndmask_b32_e64 v4, v8, v4, s2
	v_cndmask_b32_e64 v3, v7, v3, s2
.LBB1426_98:
	s_or_b32 exec_lo, exec_lo, s4
	v_mov_b32_dpp v7, v3 row_shr:2 row_mask:0xf bank_mask:0xf
	v_mov_b32_dpp v8, v4 row_shr:2 row_mask:0xf bank_mask:0xf
	v_mov_b32_dpp v14, v12 row_shr:2 row_mask:0xf bank_mask:0xf
	s_mov_b32 s5, exec_lo
	v_cmpx_lt_u32_e32 1, v11
	s_cbranch_execz .LBB1426_100
; %bb.99:
	v_add_f64 v[7:8], v[3:4], v[7:8]
	v_and_b32_e32 v12, 1, v13
	v_and_b32_e32 v14, 1, v14
	v_cmp_eq_u16_e64 s4, 0, v13
	v_cmp_eq_u32_e64 s2, 1, v12
	v_cmp_eq_u32_e64 s3, 1, v14
	s_or_b32 s2, s2, s3
	v_cndmask_b32_e64 v13, 0, 1, s2
	v_cndmask_b32_e64 v12, 0, 1, s2
	v_cndmask_b32_e64 v4, v4, v8, s4
	v_cndmask_b32_e64 v3, v3, v7, s4
.LBB1426_100:
	s_or_b32 exec_lo, exec_lo, s5
	v_mov_b32_dpp v7, v3 row_shr:4 row_mask:0xf bank_mask:0xf
	v_mov_b32_dpp v8, v4 row_shr:4 row_mask:0xf bank_mask:0xf
	v_mov_b32_dpp v14, v12 row_shr:4 row_mask:0xf bank_mask:0xf
	s_mov_b32 s5, exec_lo
	v_cmpx_lt_u32_e32 3, v11
	s_cbranch_execz .LBB1426_102
; %bb.101:
	v_add_f64 v[7:8], v[3:4], v[7:8]
	v_and_b32_e32 v12, 1, v13
	v_and_b32_e32 v14, 1, v14
	v_cmp_eq_u16_e64 s4, 0, v13
	v_cmp_eq_u32_e64 s2, 1, v12
	v_cmp_eq_u32_e64 s3, 1, v14
	s_or_b32 s2, s2, s3
	v_cndmask_b32_e64 v13, 0, 1, s2
	v_cndmask_b32_e64 v12, 0, 1, s2
	v_cndmask_b32_e64 v4, v4, v8, s4
	v_cndmask_b32_e64 v3, v3, v7, s4
.LBB1426_102:
	;; [unrolled: 20-line block ×3, first 2 shown]
	s_or_b32 exec_lo, exec_lo, s5
	ds_swizzle_b32 v7, v3 offset:swizzle(BROADCAST,32,15)
	ds_swizzle_b32 v8, v4 offset:swizzle(BROADCAST,32,15)
	;; [unrolled: 1-line block ×3, first 2 shown]
	v_and_b32_e32 v12, 16, v22
	s_mov_b32 s5, exec_lo
	v_cmpx_ne_u32_e32 0, v12
	s_cbranch_execz .LBB1426_106
; %bb.105:
	s_waitcnt lgkmcnt(1)
	v_add_f64 v[7:8], v[3:4], v[7:8]
	v_and_b32_e32 v12, 1, v13
	s_waitcnt lgkmcnt(0)
	v_and_b32_e32 v11, 1, v11
	v_cmp_eq_u16_e64 s2, 0, v13
	v_cmp_eq_u32_e64 s3, 1, v12
	v_cmp_eq_u32_e64 s4, 1, v11
	v_cndmask_b32_e64 v4, v4, v8, s2
	v_cndmask_b32_e64 v3, v3, v7, s2
	s_or_b32 s2, s3, s4
	v_cndmask_b32_e64 v13, 0, 1, s2
.LBB1426_106:
	s_or_b32 exec_lo, exec_lo, s5
	s_waitcnt lgkmcnt(1)
	v_lshrrev_b32_e32 v8, 5, v0
	v_or_b32_e32 v7, 31, v0
	s_mov_b32 s3, exec_lo
	v_lshlrev_b32_e32 v14, 4, v8
	v_cmpx_eq_u32_e64 v0, v7
	s_cbranch_execz .LBB1426_108
; %bb.107:
	ds_write_b64 v14, v[3:4]
	ds_write_b8 v14, v13 offset:8
.LBB1426_108:
	s_or_b32 exec_lo, exec_lo, s3
	s_mov_b32 s5, exec_lo
	s_waitcnt vmcnt(0) lgkmcnt(0)
	s_barrier
	buffer_gl0_inv
	v_cmpx_gt_u32_e32 8, v0
	s_cbranch_execz .LBB1426_116
; %bb.109:
	v_lshlrev_b32_e32 v15, 4, v0
	v_and_b32_e32 v16, 7, v22
	s_mov_b32 s3, exec_lo
	ds_read_b64 v[7:8], v15
	ds_read_b32 v18, v15 offset:8
	s_waitcnt lgkmcnt(1)
	v_mov_b32_dpp v11, v7 row_shr:1 row_mask:0xf bank_mask:0xf
	v_mov_b32_dpp v12, v8 row_shr:1 row_mask:0xf bank_mask:0xf
	s_waitcnt lgkmcnt(0)
	v_and_b32_e32 v19, 0xffffff00, v18
	v_mov_b32_dpp v23, v18 row_shr:1 row_mask:0xf bank_mask:0xf
	v_mov_b32_e32 v20, v18
	v_mov_b32_e32 v17, v18
	v_cmpx_ne_u32_e32 0, v16
	s_cbranch_execz .LBB1426_111
; %bb.110:
	v_add_f64 v[11:12], v[7:8], v[11:12]
	v_mov_b32_e32 v17, 0
	v_or_b32_e32 v20, v23, v18
	v_cmp_eq_u16_sdwa s2, v18, v17 src0_sel:BYTE_0 src1_sel:DWORD
	v_and_b32_e32 v17, 1, v20
	v_and_b32_e32 v20, 1, v20
	v_or_b32_e32 v18, v17, v19
	v_cndmask_b32_e64 v8, v8, v12, s2
	v_cndmask_b32_e64 v7, v7, v11, s2
.LBB1426_111:
	s_or_b32 exec_lo, exec_lo, s3
	v_mov_b32_dpp v11, v7 row_shr:2 row_mask:0xf bank_mask:0xf
	v_mov_b32_dpp v12, v8 row_shr:2 row_mask:0xf bank_mask:0xf
	;; [unrolled: 1-line block ×3, first 2 shown]
	s_mov_b32 s4, exec_lo
	v_cmpx_lt_u32_e32 1, v16
	s_cbranch_execz .LBB1426_113
; %bb.112:
	v_add_f64 v[11:12], v[7:8], v[11:12]
	v_and_b32_e32 v18, 1, v17
	v_and_b32_e32 v20, 1, v23
	v_cmp_eq_u32_e64 s2, 1, v18
	v_cmp_eq_u32_e64 s3, 1, v20
	v_mov_b32_e32 v18, 0
	s_or_b32 s2, s2, s3
	v_cndmask_b32_e64 v20, 0, 1, s2
	v_cndmask_b32_e64 v23, 0, 1, s2
	v_cmp_eq_u16_sdwa s2, v17, v18 src0_sel:BYTE_0 src1_sel:DWORD
	v_mov_b32_e32 v17, v20
	v_or_b32_e32 v18, v19, v23
	v_cndmask_b32_e64 v8, v8, v12, s2
	v_cndmask_b32_e64 v7, v7, v11, s2
.LBB1426_113:
	s_or_b32 exec_lo, exec_lo, s4
	v_mov_b32_dpp v11, v7 row_shr:4 row_mask:0xf bank_mask:0xf
	v_mov_b32_dpp v12, v8 row_shr:4 row_mask:0xf bank_mask:0xf
	;; [unrolled: 1-line block ×3, first 2 shown]
	s_mov_b32 s6, exec_lo
	v_cmpx_lt_u32_e32 3, v16
	s_cbranch_execz .LBB1426_115
; %bb.114:
	v_add_f64 v[11:12], v[7:8], v[11:12]
	v_mov_b32_e32 v16, 0
	v_and_b32_e32 v19, 1, v17
	v_and_b32_e32 v18, 1, v18
	v_cmp_eq_u16_sdwa s2, v17, v16 src0_sel:BYTE_0 src1_sel:DWORD
	v_cmp_eq_u32_e64 s3, 1, v19
	v_cmp_eq_u32_e64 s4, 1, v18
	v_cndmask_b32_e64 v8, v8, v12, s2
	v_cndmask_b32_e64 v7, v7, v11, s2
	s_or_b32 s2, s3, s4
	v_cndmask_b32_e64 v20, 0, 1, s2
.LBB1426_115:
	s_or_b32 exec_lo, exec_lo, s6
	ds_write_b64 v15, v[7:8]
	ds_write_b8 v15, v20 offset:8
.LBB1426_116:
	s_or_b32 exec_lo, exec_lo, s5
	v_mov_b32_e32 v7, v9
	v_mov_b32_e32 v8, v10
	s_mov_b32 s3, exec_lo
	s_waitcnt lgkmcnt(0)
	s_barrier
	buffer_gl0_inv
	v_cmpx_lt_u32_e32 31, v0
	s_cbranch_execz .LBB1426_118
; %bb.117:
	v_add_nc_u32_e32 v7, -16, v14
	v_add_nc_u32_e32 v11, -8, v14
	ds_read_b64 v[7:8], v7
	ds_read_u8 v14, v11
	s_waitcnt lgkmcnt(1)
	v_add_f64 v[11:12], v[9:10], v[7:8]
	s_waitcnt lgkmcnt(0)
	v_cmp_eq_u16_e64 s2, 0, v14
	v_cndmask_b32_e64 v8, v8, v12, s2
	v_cndmask_b32_e64 v7, v7, v11, s2
.LBB1426_118:
	s_or_b32 exec_lo, exec_lo, s3
	v_add_f64 v[11:12], v[3:4], v[7:8]
	v_sub_co_u32 v14, s2, v22, 1
	v_cmp_gt_i32_e64 s3, 0, v14
	v_cndmask_b32_e64 v14, v14, v22, s3
	v_cmp_eq_u16_e64 s3, 0, v13
	v_lshlrev_b32_e32 v13, 2, v14
	v_cndmask_b32_e64 v4, v4, v12, s3
	v_cndmask_b32_e64 v3, v3, v11, s3
	ds_bpermute_b32 v4, v13, v4
	ds_bpermute_b32 v3, v13, v3
	s_waitcnt lgkmcnt(1)
	v_cndmask_b32_e64 v12, v4, v8, s2
	s_waitcnt lgkmcnt(0)
	v_cndmask_b32_e64 v11, v3, v7, s2
	v_cndmask_b32_e64 v4, v12, v10, s0
	;; [unrolled: 1-line block ×3, first 2 shown]
	v_add_f64 v[7:8], v[5:6], v[3:4]
	v_mov_b32_e32 v3, 0
	v_cmp_eq_u16_sdwa s2, v21, v3 src0_sel:BYTE_0 src1_sel:DWORD
	v_cndmask_b32_e64 v14, v6, v8, s2
	v_cndmask_b32_e64 v13, v5, v7, s2
	v_add_f64 v[4:5], v[1:2], v[13:14]
	v_cndmask_b32_e32 v16, v2, v5, vcc_lo
	v_cndmask_b32_e32 v15, v1, v4, vcc_lo
	s_and_saveexec_b32 s2, s0
	s_cbranch_execz .LBB1426_120
; %bb.119:
	ds_read_b64 v[1:2], v3 offset:112
	ds_read_u8 v6, v3 offset:120
	v_mov_b32_e32 v12, v10
	v_mov_b32_e32 v11, v9
	s_waitcnt lgkmcnt(1)
	v_add_f64 v[4:5], v[9:10], v[1:2]
	s_waitcnt lgkmcnt(0)
	v_cmp_eq_u32_sdwa vcc_lo, v6, v3 src0_sel:WORD_0 src1_sel:DWORD
	v_cndmask_b32_e32 v1, v1, v4, vcc_lo
	v_mov_b32_e32 v4, 2
	v_cndmask_b32_e32 v2, v2, v5, vcc_lo
	global_store_byte v3, v6, s[10:11] offset:520
	global_store_dwordx2 v3, v[1:2], s[10:11] offset:512
	s_waitcnt_vscnt null, 0x0
	buffer_gl1_inv
	buffer_gl0_inv
	global_store_byte v3, v4, s[12:13] offset:32
.LBB1426_120:
	s_or_b32 exec_lo, exec_lo, s2
.LBB1426_121:
	s_add_u32 s0, s22, s16
	s_addc_u32 s2, s23, s17
	s_add_u32 s0, s0, s18
	s_addc_u32 s2, s2, s19
	s_and_b32 vcc_lo, exec_lo, s1
	s_cbranch_vccz .LBB1426_133
; %bb.122:
	v_mov_b32_e32 v5, 0
	v_mov_b32_e32 v6, 0
	;; [unrolled: 1-line block ×4, first 2 shown]
	v_mul_u32_u24_e32 v7, 3, v0
	s_add_i32 s15, s15, s14
	v_mov_b32_e32 v4, v6
	v_mov_b32_e32 v2, v6
	s_mov_b32 s1, exec_lo
	v_cmpx_gt_u32_e64 s15, v7
	s_cbranch_execz .LBB1426_128
; %bb.123:
	v_mov_b32_e32 v1, 0
	v_mov_b32_e32 v3, 0
	v_add_nc_u32_e32 v5, 1, v7
	v_mov_b32_e32 v2, 0
	v_mov_b32_e32 v4, 0
	s_mov_b32 s3, exec_lo
	v_cmpx_gt_u32_e64 s15, v5
	s_cbranch_execz .LBB1426_127
; %bb.124:
	v_mov_b32_e32 v1, 0
	v_add_nc_u32_e32 v3, 2, v7
	v_mov_b32_e32 v2, 0
	s_mov_b32 s4, exec_lo
	v_cmpx_gt_u32_e64 s15, v3
; %bb.125:
	v_mov_b32_e32 v1, v15
	v_mov_b32_e32 v2, v16
; %bb.126:
	s_or_b32 exec_lo, exec_lo, s4
	v_mov_b32_e32 v3, v13
	v_mov_b32_e32 v4, v14
.LBB1426_127:
	s_or_b32 exec_lo, exec_lo, s3
	v_mov_b32_e32 v5, v11
	v_mov_b32_e32 v6, v12
.LBB1426_128:
	s_or_b32 exec_lo, exec_lo, s1
	v_lshlrev_b32_e32 v7, 3, v7
	v_lshlrev_b32_e32 v8, 4, v0
	s_waitcnt_vscnt null, 0x0
	s_barrier
	buffer_gl0_inv
	ds_write2_b64 v7, v[5:6], v[3:4] offset1:1
	v_sub_nc_u32_e32 v3, v7, v8
	ds_write_b64 v7, v[1:2] offset:16
	s_waitcnt lgkmcnt(0)
	s_barrier
	buffer_gl0_inv
	ds_read2st64_b64 v[1:4], v3 offset0:4 offset1:8
	v_lshlrev_b32_e32 v5, 3, v0
	v_add_co_u32 v5, s1, s0, v5
	v_add_co_ci_u32_e64 v6, null, s2, 0, s1
	s_mov_b32 s1, exec_lo
	v_cmpx_gt_u32_e64 s15, v0
	s_cbranch_execz .LBB1426_130
; %bb.129:
	v_sub_nc_u32_e32 v8, 0, v8
	v_add_nc_u32_e32 v7, v7, v8
	ds_read_b64 v[7:8], v7
	s_waitcnt lgkmcnt(0)
	flat_store_dwordx2 v[5:6], v[7:8]
.LBB1426_130:
	s_or_b32 exec_lo, exec_lo, s1
	v_or_b32_e32 v7, 0x100, v0
	s_mov_b32 s1, exec_lo
	v_cmpx_gt_u32_e64 s15, v7
	s_cbranch_execz .LBB1426_132
; %bb.131:
	v_add_co_u32 v5, vcc_lo, 0x800, v5
	v_add_co_ci_u32_e64 v6, null, 0, v6, vcc_lo
	s_waitcnt lgkmcnt(0)
	flat_store_dwordx2 v[5:6], v[1:2]
.LBB1426_132:
	s_or_b32 exec_lo, exec_lo, s1
	s_waitcnt lgkmcnt(0)
	v_or_b32_e32 v1, 0x200, v0
	v_cmp_gt_u32_e64 s1, s15, v1
	s_branch .LBB1426_135
.LBB1426_133:
	s_mov_b32 s1, 0
                                        ; implicit-def: $vgpr3_vgpr4
	s_cbranch_execz .LBB1426_135
; %bb.134:
	v_mul_u32_u24_e32 v1, 24, v0
	v_lshlrev_b32_e32 v2, 4, v0
	s_waitcnt_vscnt null, 0x0
	s_barrier
	buffer_gl0_inv
	ds_write2_b64 v1, v[11:12], v[13:14] offset1:1
	v_sub_nc_u32_e32 v2, v1, v2
	ds_write_b64 v1, v[15:16] offset:16
	s_waitcnt lgkmcnt(0)
	s_barrier
	buffer_gl0_inv
	ds_read2st64_b64 v[5:8], v2 offset1:4
	ds_read_b64 v[3:4], v2 offset:4096
	v_lshlrev_b32_e32 v1, 3, v0
	s_or_b32 s1, s1, exec_lo
	v_add_co_u32 v1, s3, s0, v1
	v_add_co_ci_u32_e64 v2, null, s2, 0, s3
	v_add_co_u32 v9, vcc_lo, 0x800, v1
	v_add_co_ci_u32_e64 v10, null, 0, v2, vcc_lo
	s_waitcnt lgkmcnt(1)
	flat_store_dwordx2 v[1:2], v[5:6]
	flat_store_dwordx2 v[9:10], v[7:8]
.LBB1426_135:
	s_and_saveexec_b32 s3, s1
	s_cbranch_execnz .LBB1426_137
; %bb.136:
	s_endpgm
.LBB1426_137:
	v_lshlrev_b32_e32 v0, 3, v0
	v_add_co_u32 v0, s0, s0, v0
	v_add_co_ci_u32_e64 v1, null, s2, 0, s0
	v_add_co_u32 v0, vcc_lo, 0x1000, v0
	v_add_co_ci_u32_e64 v1, null, 0, v1, vcc_lo
	s_waitcnt lgkmcnt(2)
	flat_store_dwordx2 v[0:1], v[3:4]
	s_endpgm
.LBB1426_138:
	v_lshlrev_b32_e32 v2, 3, v0
	v_mov_b32_e32 v18, v1
	v_mov_b32_e32 v19, v1
	;; [unrolled: 1-line block ×4, first 2 shown]
	v_add_co_u32 v2, s3, s29, v2
	v_add_co_ci_u32_e64 v3, null, s30, 0, s3
	flat_load_dwordx2 v[16:17], v[2:3]
	s_waitcnt vmcnt(0) lgkmcnt(0)
	v_mov_b32_e32 v1, v16
	v_mov_b32_e32 v2, v17
	;; [unrolled: 1-line block ×6, first 2 shown]
	s_or_b32 exec_lo, exec_lo, s4
	s_and_saveexec_b32 s3, s2
	s_cbranch_execz .LBB1426_15
.LBB1426_139:
	v_lshlrev_b32_e32 v3, 3, v8
	v_add_co_u32 v3, s2, s29, v3
	v_add_co_ci_u32_e64 v4, null, s30, 0, s2
	flat_load_dwordx2 v[3:4], v[3:4]
	s_or_b32 exec_lo, exec_lo, s3
	v_mul_u32_u24_e32 v16, 3, v0
	s_and_saveexec_b32 s2, vcc_lo
	s_cbranch_execnz .LBB1426_16
	s_branch .LBB1426_17
	.section	.rodata,"a",@progbits
	.p2align	6, 0x0
	.amdhsa_kernel _ZN7rocprim17ROCPRIM_400000_NS6detail17trampoline_kernelINS0_14default_configENS1_27scan_by_key_config_selectorIidEEZZNS1_16scan_by_key_implILNS1_25lookback_scan_determinismE0ELb1ES3_N6thrust23THRUST_200600_302600_NS6detail15normal_iteratorINS9_10device_ptrIiEEEENSB_INSC_IdEEEESG_dNS9_4plusIvEENS9_8equal_toIvEEdEE10hipError_tPvRmT2_T3_T4_T5_mT6_T7_P12ihipStream_tbENKUlT_T0_E_clISt17integral_constantIbLb0EES10_IbLb1EEEEDaSW_SX_EUlSW_E_NS1_11comp_targetILNS1_3genE8ELNS1_11target_archE1030ELNS1_3gpuE2ELNS1_3repE0EEENS1_30default_config_static_selectorELNS0_4arch9wavefront6targetE0EEEvT1_
		.amdhsa_group_segment_fixed_size 6144
		.amdhsa_private_segment_fixed_size 0
		.amdhsa_kernarg_size 136
		.amdhsa_user_sgpr_count 6
		.amdhsa_user_sgpr_private_segment_buffer 1
		.amdhsa_user_sgpr_dispatch_ptr 0
		.amdhsa_user_sgpr_queue_ptr 0
		.amdhsa_user_sgpr_kernarg_segment_ptr 1
		.amdhsa_user_sgpr_dispatch_id 0
		.amdhsa_user_sgpr_flat_scratch_init 0
		.amdhsa_user_sgpr_private_segment_size 0
		.amdhsa_wavefront_size32 1
		.amdhsa_uses_dynamic_stack 0
		.amdhsa_system_sgpr_private_segment_wavefront_offset 0
		.amdhsa_system_sgpr_workgroup_id_x 1
		.amdhsa_system_sgpr_workgroup_id_y 0
		.amdhsa_system_sgpr_workgroup_id_z 0
		.amdhsa_system_sgpr_workgroup_info 0
		.amdhsa_system_vgpr_workitem_id 0
		.amdhsa_next_free_vgpr 50
		.amdhsa_next_free_sgpr 36
		.amdhsa_reserve_vcc 1
		.amdhsa_reserve_flat_scratch 1
		.amdhsa_float_round_mode_32 0
		.amdhsa_float_round_mode_16_64 0
		.amdhsa_float_denorm_mode_32 3
		.amdhsa_float_denorm_mode_16_64 3
		.amdhsa_dx10_clamp 1
		.amdhsa_ieee_mode 1
		.amdhsa_fp16_overflow 0
		.amdhsa_workgroup_processor_mode 1
		.amdhsa_memory_ordered 1
		.amdhsa_forward_progress 1
		.amdhsa_shared_vgpr_count 0
		.amdhsa_exception_fp_ieee_invalid_op 0
		.amdhsa_exception_fp_denorm_src 0
		.amdhsa_exception_fp_ieee_div_zero 0
		.amdhsa_exception_fp_ieee_overflow 0
		.amdhsa_exception_fp_ieee_underflow 0
		.amdhsa_exception_fp_ieee_inexact 0
		.amdhsa_exception_int_div_zero 0
	.end_amdhsa_kernel
	.section	.text._ZN7rocprim17ROCPRIM_400000_NS6detail17trampoline_kernelINS0_14default_configENS1_27scan_by_key_config_selectorIidEEZZNS1_16scan_by_key_implILNS1_25lookback_scan_determinismE0ELb1ES3_N6thrust23THRUST_200600_302600_NS6detail15normal_iteratorINS9_10device_ptrIiEEEENSB_INSC_IdEEEESG_dNS9_4plusIvEENS9_8equal_toIvEEdEE10hipError_tPvRmT2_T3_T4_T5_mT6_T7_P12ihipStream_tbENKUlT_T0_E_clISt17integral_constantIbLb0EES10_IbLb1EEEEDaSW_SX_EUlSW_E_NS1_11comp_targetILNS1_3genE8ELNS1_11target_archE1030ELNS1_3gpuE2ELNS1_3repE0EEENS1_30default_config_static_selectorELNS0_4arch9wavefront6targetE0EEEvT1_,"axG",@progbits,_ZN7rocprim17ROCPRIM_400000_NS6detail17trampoline_kernelINS0_14default_configENS1_27scan_by_key_config_selectorIidEEZZNS1_16scan_by_key_implILNS1_25lookback_scan_determinismE0ELb1ES3_N6thrust23THRUST_200600_302600_NS6detail15normal_iteratorINS9_10device_ptrIiEEEENSB_INSC_IdEEEESG_dNS9_4plusIvEENS9_8equal_toIvEEdEE10hipError_tPvRmT2_T3_T4_T5_mT6_T7_P12ihipStream_tbENKUlT_T0_E_clISt17integral_constantIbLb0EES10_IbLb1EEEEDaSW_SX_EUlSW_E_NS1_11comp_targetILNS1_3genE8ELNS1_11target_archE1030ELNS1_3gpuE2ELNS1_3repE0EEENS1_30default_config_static_selectorELNS0_4arch9wavefront6targetE0EEEvT1_,comdat
.Lfunc_end1426:
	.size	_ZN7rocprim17ROCPRIM_400000_NS6detail17trampoline_kernelINS0_14default_configENS1_27scan_by_key_config_selectorIidEEZZNS1_16scan_by_key_implILNS1_25lookback_scan_determinismE0ELb1ES3_N6thrust23THRUST_200600_302600_NS6detail15normal_iteratorINS9_10device_ptrIiEEEENSB_INSC_IdEEEESG_dNS9_4plusIvEENS9_8equal_toIvEEdEE10hipError_tPvRmT2_T3_T4_T5_mT6_T7_P12ihipStream_tbENKUlT_T0_E_clISt17integral_constantIbLb0EES10_IbLb1EEEEDaSW_SX_EUlSW_E_NS1_11comp_targetILNS1_3genE8ELNS1_11target_archE1030ELNS1_3gpuE2ELNS1_3repE0EEENS1_30default_config_static_selectorELNS0_4arch9wavefront6targetE0EEEvT1_, .Lfunc_end1426-_ZN7rocprim17ROCPRIM_400000_NS6detail17trampoline_kernelINS0_14default_configENS1_27scan_by_key_config_selectorIidEEZZNS1_16scan_by_key_implILNS1_25lookback_scan_determinismE0ELb1ES3_N6thrust23THRUST_200600_302600_NS6detail15normal_iteratorINS9_10device_ptrIiEEEENSB_INSC_IdEEEESG_dNS9_4plusIvEENS9_8equal_toIvEEdEE10hipError_tPvRmT2_T3_T4_T5_mT6_T7_P12ihipStream_tbENKUlT_T0_E_clISt17integral_constantIbLb0EES10_IbLb1EEEEDaSW_SX_EUlSW_E_NS1_11comp_targetILNS1_3genE8ELNS1_11target_archE1030ELNS1_3gpuE2ELNS1_3repE0EEENS1_30default_config_static_selectorELNS0_4arch9wavefront6targetE0EEEvT1_
                                        ; -- End function
	.set _ZN7rocprim17ROCPRIM_400000_NS6detail17trampoline_kernelINS0_14default_configENS1_27scan_by_key_config_selectorIidEEZZNS1_16scan_by_key_implILNS1_25lookback_scan_determinismE0ELb1ES3_N6thrust23THRUST_200600_302600_NS6detail15normal_iteratorINS9_10device_ptrIiEEEENSB_INSC_IdEEEESG_dNS9_4plusIvEENS9_8equal_toIvEEdEE10hipError_tPvRmT2_T3_T4_T5_mT6_T7_P12ihipStream_tbENKUlT_T0_E_clISt17integral_constantIbLb0EES10_IbLb1EEEEDaSW_SX_EUlSW_E_NS1_11comp_targetILNS1_3genE8ELNS1_11target_archE1030ELNS1_3gpuE2ELNS1_3repE0EEENS1_30default_config_static_selectorELNS0_4arch9wavefront6targetE0EEEvT1_.num_vgpr, 50
	.set _ZN7rocprim17ROCPRIM_400000_NS6detail17trampoline_kernelINS0_14default_configENS1_27scan_by_key_config_selectorIidEEZZNS1_16scan_by_key_implILNS1_25lookback_scan_determinismE0ELb1ES3_N6thrust23THRUST_200600_302600_NS6detail15normal_iteratorINS9_10device_ptrIiEEEENSB_INSC_IdEEEESG_dNS9_4plusIvEENS9_8equal_toIvEEdEE10hipError_tPvRmT2_T3_T4_T5_mT6_T7_P12ihipStream_tbENKUlT_T0_E_clISt17integral_constantIbLb0EES10_IbLb1EEEEDaSW_SX_EUlSW_E_NS1_11comp_targetILNS1_3genE8ELNS1_11target_archE1030ELNS1_3gpuE2ELNS1_3repE0EEENS1_30default_config_static_selectorELNS0_4arch9wavefront6targetE0EEEvT1_.num_agpr, 0
	.set _ZN7rocprim17ROCPRIM_400000_NS6detail17trampoline_kernelINS0_14default_configENS1_27scan_by_key_config_selectorIidEEZZNS1_16scan_by_key_implILNS1_25lookback_scan_determinismE0ELb1ES3_N6thrust23THRUST_200600_302600_NS6detail15normal_iteratorINS9_10device_ptrIiEEEENSB_INSC_IdEEEESG_dNS9_4plusIvEENS9_8equal_toIvEEdEE10hipError_tPvRmT2_T3_T4_T5_mT6_T7_P12ihipStream_tbENKUlT_T0_E_clISt17integral_constantIbLb0EES10_IbLb1EEEEDaSW_SX_EUlSW_E_NS1_11comp_targetILNS1_3genE8ELNS1_11target_archE1030ELNS1_3gpuE2ELNS1_3repE0EEENS1_30default_config_static_selectorELNS0_4arch9wavefront6targetE0EEEvT1_.numbered_sgpr, 36
	.set _ZN7rocprim17ROCPRIM_400000_NS6detail17trampoline_kernelINS0_14default_configENS1_27scan_by_key_config_selectorIidEEZZNS1_16scan_by_key_implILNS1_25lookback_scan_determinismE0ELb1ES3_N6thrust23THRUST_200600_302600_NS6detail15normal_iteratorINS9_10device_ptrIiEEEENSB_INSC_IdEEEESG_dNS9_4plusIvEENS9_8equal_toIvEEdEE10hipError_tPvRmT2_T3_T4_T5_mT6_T7_P12ihipStream_tbENKUlT_T0_E_clISt17integral_constantIbLb0EES10_IbLb1EEEEDaSW_SX_EUlSW_E_NS1_11comp_targetILNS1_3genE8ELNS1_11target_archE1030ELNS1_3gpuE2ELNS1_3repE0EEENS1_30default_config_static_selectorELNS0_4arch9wavefront6targetE0EEEvT1_.num_named_barrier, 0
	.set _ZN7rocprim17ROCPRIM_400000_NS6detail17trampoline_kernelINS0_14default_configENS1_27scan_by_key_config_selectorIidEEZZNS1_16scan_by_key_implILNS1_25lookback_scan_determinismE0ELb1ES3_N6thrust23THRUST_200600_302600_NS6detail15normal_iteratorINS9_10device_ptrIiEEEENSB_INSC_IdEEEESG_dNS9_4plusIvEENS9_8equal_toIvEEdEE10hipError_tPvRmT2_T3_T4_T5_mT6_T7_P12ihipStream_tbENKUlT_T0_E_clISt17integral_constantIbLb0EES10_IbLb1EEEEDaSW_SX_EUlSW_E_NS1_11comp_targetILNS1_3genE8ELNS1_11target_archE1030ELNS1_3gpuE2ELNS1_3repE0EEENS1_30default_config_static_selectorELNS0_4arch9wavefront6targetE0EEEvT1_.private_seg_size, 0
	.set _ZN7rocprim17ROCPRIM_400000_NS6detail17trampoline_kernelINS0_14default_configENS1_27scan_by_key_config_selectorIidEEZZNS1_16scan_by_key_implILNS1_25lookback_scan_determinismE0ELb1ES3_N6thrust23THRUST_200600_302600_NS6detail15normal_iteratorINS9_10device_ptrIiEEEENSB_INSC_IdEEEESG_dNS9_4plusIvEENS9_8equal_toIvEEdEE10hipError_tPvRmT2_T3_T4_T5_mT6_T7_P12ihipStream_tbENKUlT_T0_E_clISt17integral_constantIbLb0EES10_IbLb1EEEEDaSW_SX_EUlSW_E_NS1_11comp_targetILNS1_3genE8ELNS1_11target_archE1030ELNS1_3gpuE2ELNS1_3repE0EEENS1_30default_config_static_selectorELNS0_4arch9wavefront6targetE0EEEvT1_.uses_vcc, 1
	.set _ZN7rocprim17ROCPRIM_400000_NS6detail17trampoline_kernelINS0_14default_configENS1_27scan_by_key_config_selectorIidEEZZNS1_16scan_by_key_implILNS1_25lookback_scan_determinismE0ELb1ES3_N6thrust23THRUST_200600_302600_NS6detail15normal_iteratorINS9_10device_ptrIiEEEENSB_INSC_IdEEEESG_dNS9_4plusIvEENS9_8equal_toIvEEdEE10hipError_tPvRmT2_T3_T4_T5_mT6_T7_P12ihipStream_tbENKUlT_T0_E_clISt17integral_constantIbLb0EES10_IbLb1EEEEDaSW_SX_EUlSW_E_NS1_11comp_targetILNS1_3genE8ELNS1_11target_archE1030ELNS1_3gpuE2ELNS1_3repE0EEENS1_30default_config_static_selectorELNS0_4arch9wavefront6targetE0EEEvT1_.uses_flat_scratch, 1
	.set _ZN7rocprim17ROCPRIM_400000_NS6detail17trampoline_kernelINS0_14default_configENS1_27scan_by_key_config_selectorIidEEZZNS1_16scan_by_key_implILNS1_25lookback_scan_determinismE0ELb1ES3_N6thrust23THRUST_200600_302600_NS6detail15normal_iteratorINS9_10device_ptrIiEEEENSB_INSC_IdEEEESG_dNS9_4plusIvEENS9_8equal_toIvEEdEE10hipError_tPvRmT2_T3_T4_T5_mT6_T7_P12ihipStream_tbENKUlT_T0_E_clISt17integral_constantIbLb0EES10_IbLb1EEEEDaSW_SX_EUlSW_E_NS1_11comp_targetILNS1_3genE8ELNS1_11target_archE1030ELNS1_3gpuE2ELNS1_3repE0EEENS1_30default_config_static_selectorELNS0_4arch9wavefront6targetE0EEEvT1_.has_dyn_sized_stack, 0
	.set _ZN7rocprim17ROCPRIM_400000_NS6detail17trampoline_kernelINS0_14default_configENS1_27scan_by_key_config_selectorIidEEZZNS1_16scan_by_key_implILNS1_25lookback_scan_determinismE0ELb1ES3_N6thrust23THRUST_200600_302600_NS6detail15normal_iteratorINS9_10device_ptrIiEEEENSB_INSC_IdEEEESG_dNS9_4plusIvEENS9_8equal_toIvEEdEE10hipError_tPvRmT2_T3_T4_T5_mT6_T7_P12ihipStream_tbENKUlT_T0_E_clISt17integral_constantIbLb0EES10_IbLb1EEEEDaSW_SX_EUlSW_E_NS1_11comp_targetILNS1_3genE8ELNS1_11target_archE1030ELNS1_3gpuE2ELNS1_3repE0EEENS1_30default_config_static_selectorELNS0_4arch9wavefront6targetE0EEEvT1_.has_recursion, 0
	.set _ZN7rocprim17ROCPRIM_400000_NS6detail17trampoline_kernelINS0_14default_configENS1_27scan_by_key_config_selectorIidEEZZNS1_16scan_by_key_implILNS1_25lookback_scan_determinismE0ELb1ES3_N6thrust23THRUST_200600_302600_NS6detail15normal_iteratorINS9_10device_ptrIiEEEENSB_INSC_IdEEEESG_dNS9_4plusIvEENS9_8equal_toIvEEdEE10hipError_tPvRmT2_T3_T4_T5_mT6_T7_P12ihipStream_tbENKUlT_T0_E_clISt17integral_constantIbLb0EES10_IbLb1EEEEDaSW_SX_EUlSW_E_NS1_11comp_targetILNS1_3genE8ELNS1_11target_archE1030ELNS1_3gpuE2ELNS1_3repE0EEENS1_30default_config_static_selectorELNS0_4arch9wavefront6targetE0EEEvT1_.has_indirect_call, 0
	.section	.AMDGPU.csdata,"",@progbits
; Kernel info:
; codeLenInByte = 7612
; TotalNumSgprs: 38
; NumVgprs: 50
; ScratchSize: 0
; MemoryBound: 0
; FloatMode: 240
; IeeeMode: 1
; LDSByteSize: 6144 bytes/workgroup (compile time only)
; SGPRBlocks: 0
; VGPRBlocks: 6
; NumSGPRsForWavesPerEU: 38
; NumVGPRsForWavesPerEU: 50
; Occupancy: 16
; WaveLimiterHint : 1
; COMPUTE_PGM_RSRC2:SCRATCH_EN: 0
; COMPUTE_PGM_RSRC2:USER_SGPR: 6
; COMPUTE_PGM_RSRC2:TRAP_HANDLER: 0
; COMPUTE_PGM_RSRC2:TGID_X_EN: 1
; COMPUTE_PGM_RSRC2:TGID_Y_EN: 0
; COMPUTE_PGM_RSRC2:TGID_Z_EN: 0
; COMPUTE_PGM_RSRC2:TIDIG_COMP_CNT: 0
	.section	.text._ZN7rocprim17ROCPRIM_400000_NS6detail17trampoline_kernelINS0_14default_configENS1_27scan_by_key_config_selectorIifEEZZNS1_16scan_by_key_implILNS1_25lookback_scan_determinismE0ELb1ES3_N6thrust23THRUST_200600_302600_NS6detail15normal_iteratorINS9_10device_ptrIiEEEENSB_INSC_IfEEEESG_fNS9_4plusIvEENS9_8equal_toIvEEfEE10hipError_tPvRmT2_T3_T4_T5_mT6_T7_P12ihipStream_tbENKUlT_T0_E_clISt17integral_constantIbLb0EES11_EEDaSW_SX_EUlSW_E_NS1_11comp_targetILNS1_3genE0ELNS1_11target_archE4294967295ELNS1_3gpuE0ELNS1_3repE0EEENS1_30default_config_static_selectorELNS0_4arch9wavefront6targetE0EEEvT1_,"axG",@progbits,_ZN7rocprim17ROCPRIM_400000_NS6detail17trampoline_kernelINS0_14default_configENS1_27scan_by_key_config_selectorIifEEZZNS1_16scan_by_key_implILNS1_25lookback_scan_determinismE0ELb1ES3_N6thrust23THRUST_200600_302600_NS6detail15normal_iteratorINS9_10device_ptrIiEEEENSB_INSC_IfEEEESG_fNS9_4plusIvEENS9_8equal_toIvEEfEE10hipError_tPvRmT2_T3_T4_T5_mT6_T7_P12ihipStream_tbENKUlT_T0_E_clISt17integral_constantIbLb0EES11_EEDaSW_SX_EUlSW_E_NS1_11comp_targetILNS1_3genE0ELNS1_11target_archE4294967295ELNS1_3gpuE0ELNS1_3repE0EEENS1_30default_config_static_selectorELNS0_4arch9wavefront6targetE0EEEvT1_,comdat
	.protected	_ZN7rocprim17ROCPRIM_400000_NS6detail17trampoline_kernelINS0_14default_configENS1_27scan_by_key_config_selectorIifEEZZNS1_16scan_by_key_implILNS1_25lookback_scan_determinismE0ELb1ES3_N6thrust23THRUST_200600_302600_NS6detail15normal_iteratorINS9_10device_ptrIiEEEENSB_INSC_IfEEEESG_fNS9_4plusIvEENS9_8equal_toIvEEfEE10hipError_tPvRmT2_T3_T4_T5_mT6_T7_P12ihipStream_tbENKUlT_T0_E_clISt17integral_constantIbLb0EES11_EEDaSW_SX_EUlSW_E_NS1_11comp_targetILNS1_3genE0ELNS1_11target_archE4294967295ELNS1_3gpuE0ELNS1_3repE0EEENS1_30default_config_static_selectorELNS0_4arch9wavefront6targetE0EEEvT1_ ; -- Begin function _ZN7rocprim17ROCPRIM_400000_NS6detail17trampoline_kernelINS0_14default_configENS1_27scan_by_key_config_selectorIifEEZZNS1_16scan_by_key_implILNS1_25lookback_scan_determinismE0ELb1ES3_N6thrust23THRUST_200600_302600_NS6detail15normal_iteratorINS9_10device_ptrIiEEEENSB_INSC_IfEEEESG_fNS9_4plusIvEENS9_8equal_toIvEEfEE10hipError_tPvRmT2_T3_T4_T5_mT6_T7_P12ihipStream_tbENKUlT_T0_E_clISt17integral_constantIbLb0EES11_EEDaSW_SX_EUlSW_E_NS1_11comp_targetILNS1_3genE0ELNS1_11target_archE4294967295ELNS1_3gpuE0ELNS1_3repE0EEENS1_30default_config_static_selectorELNS0_4arch9wavefront6targetE0EEEvT1_
	.globl	_ZN7rocprim17ROCPRIM_400000_NS6detail17trampoline_kernelINS0_14default_configENS1_27scan_by_key_config_selectorIifEEZZNS1_16scan_by_key_implILNS1_25lookback_scan_determinismE0ELb1ES3_N6thrust23THRUST_200600_302600_NS6detail15normal_iteratorINS9_10device_ptrIiEEEENSB_INSC_IfEEEESG_fNS9_4plusIvEENS9_8equal_toIvEEfEE10hipError_tPvRmT2_T3_T4_T5_mT6_T7_P12ihipStream_tbENKUlT_T0_E_clISt17integral_constantIbLb0EES11_EEDaSW_SX_EUlSW_E_NS1_11comp_targetILNS1_3genE0ELNS1_11target_archE4294967295ELNS1_3gpuE0ELNS1_3repE0EEENS1_30default_config_static_selectorELNS0_4arch9wavefront6targetE0EEEvT1_
	.p2align	8
	.type	_ZN7rocprim17ROCPRIM_400000_NS6detail17trampoline_kernelINS0_14default_configENS1_27scan_by_key_config_selectorIifEEZZNS1_16scan_by_key_implILNS1_25lookback_scan_determinismE0ELb1ES3_N6thrust23THRUST_200600_302600_NS6detail15normal_iteratorINS9_10device_ptrIiEEEENSB_INSC_IfEEEESG_fNS9_4plusIvEENS9_8equal_toIvEEfEE10hipError_tPvRmT2_T3_T4_T5_mT6_T7_P12ihipStream_tbENKUlT_T0_E_clISt17integral_constantIbLb0EES11_EEDaSW_SX_EUlSW_E_NS1_11comp_targetILNS1_3genE0ELNS1_11target_archE4294967295ELNS1_3gpuE0ELNS1_3repE0EEENS1_30default_config_static_selectorELNS0_4arch9wavefront6targetE0EEEvT1_,@function
_ZN7rocprim17ROCPRIM_400000_NS6detail17trampoline_kernelINS0_14default_configENS1_27scan_by_key_config_selectorIifEEZZNS1_16scan_by_key_implILNS1_25lookback_scan_determinismE0ELb1ES3_N6thrust23THRUST_200600_302600_NS6detail15normal_iteratorINS9_10device_ptrIiEEEENSB_INSC_IfEEEESG_fNS9_4plusIvEENS9_8equal_toIvEEfEE10hipError_tPvRmT2_T3_T4_T5_mT6_T7_P12ihipStream_tbENKUlT_T0_E_clISt17integral_constantIbLb0EES11_EEDaSW_SX_EUlSW_E_NS1_11comp_targetILNS1_3genE0ELNS1_11target_archE4294967295ELNS1_3gpuE0ELNS1_3repE0EEENS1_30default_config_static_selectorELNS0_4arch9wavefront6targetE0EEEvT1_: ; @_ZN7rocprim17ROCPRIM_400000_NS6detail17trampoline_kernelINS0_14default_configENS1_27scan_by_key_config_selectorIifEEZZNS1_16scan_by_key_implILNS1_25lookback_scan_determinismE0ELb1ES3_N6thrust23THRUST_200600_302600_NS6detail15normal_iteratorINS9_10device_ptrIiEEEENSB_INSC_IfEEEESG_fNS9_4plusIvEENS9_8equal_toIvEEfEE10hipError_tPvRmT2_T3_T4_T5_mT6_T7_P12ihipStream_tbENKUlT_T0_E_clISt17integral_constantIbLb0EES11_EEDaSW_SX_EUlSW_E_NS1_11comp_targetILNS1_3genE0ELNS1_11target_archE4294967295ELNS1_3gpuE0ELNS1_3repE0EEENS1_30default_config_static_selectorELNS0_4arch9wavefront6targetE0EEEvT1_
; %bb.0:
	.section	.rodata,"a",@progbits
	.p2align	6, 0x0
	.amdhsa_kernel _ZN7rocprim17ROCPRIM_400000_NS6detail17trampoline_kernelINS0_14default_configENS1_27scan_by_key_config_selectorIifEEZZNS1_16scan_by_key_implILNS1_25lookback_scan_determinismE0ELb1ES3_N6thrust23THRUST_200600_302600_NS6detail15normal_iteratorINS9_10device_ptrIiEEEENSB_INSC_IfEEEESG_fNS9_4plusIvEENS9_8equal_toIvEEfEE10hipError_tPvRmT2_T3_T4_T5_mT6_T7_P12ihipStream_tbENKUlT_T0_E_clISt17integral_constantIbLb0EES11_EEDaSW_SX_EUlSW_E_NS1_11comp_targetILNS1_3genE0ELNS1_11target_archE4294967295ELNS1_3gpuE0ELNS1_3repE0EEENS1_30default_config_static_selectorELNS0_4arch9wavefront6targetE0EEEvT1_
		.amdhsa_group_segment_fixed_size 0
		.amdhsa_private_segment_fixed_size 0
		.amdhsa_kernarg_size 112
		.amdhsa_user_sgpr_count 6
		.amdhsa_user_sgpr_private_segment_buffer 1
		.amdhsa_user_sgpr_dispatch_ptr 0
		.amdhsa_user_sgpr_queue_ptr 0
		.amdhsa_user_sgpr_kernarg_segment_ptr 1
		.amdhsa_user_sgpr_dispatch_id 0
		.amdhsa_user_sgpr_flat_scratch_init 0
		.amdhsa_user_sgpr_private_segment_size 0
		.amdhsa_wavefront_size32 1
		.amdhsa_uses_dynamic_stack 0
		.amdhsa_system_sgpr_private_segment_wavefront_offset 0
		.amdhsa_system_sgpr_workgroup_id_x 1
		.amdhsa_system_sgpr_workgroup_id_y 0
		.amdhsa_system_sgpr_workgroup_id_z 0
		.amdhsa_system_sgpr_workgroup_info 0
		.amdhsa_system_vgpr_workitem_id 0
		.amdhsa_next_free_vgpr 1
		.amdhsa_next_free_sgpr 1
		.amdhsa_reserve_vcc 0
		.amdhsa_reserve_flat_scratch 0
		.amdhsa_float_round_mode_32 0
		.amdhsa_float_round_mode_16_64 0
		.amdhsa_float_denorm_mode_32 3
		.amdhsa_float_denorm_mode_16_64 3
		.amdhsa_dx10_clamp 1
		.amdhsa_ieee_mode 1
		.amdhsa_fp16_overflow 0
		.amdhsa_workgroup_processor_mode 1
		.amdhsa_memory_ordered 1
		.amdhsa_forward_progress 1
		.amdhsa_shared_vgpr_count 0
		.amdhsa_exception_fp_ieee_invalid_op 0
		.amdhsa_exception_fp_denorm_src 0
		.amdhsa_exception_fp_ieee_div_zero 0
		.amdhsa_exception_fp_ieee_overflow 0
		.amdhsa_exception_fp_ieee_underflow 0
		.amdhsa_exception_fp_ieee_inexact 0
		.amdhsa_exception_int_div_zero 0
	.end_amdhsa_kernel
	.section	.text._ZN7rocprim17ROCPRIM_400000_NS6detail17trampoline_kernelINS0_14default_configENS1_27scan_by_key_config_selectorIifEEZZNS1_16scan_by_key_implILNS1_25lookback_scan_determinismE0ELb1ES3_N6thrust23THRUST_200600_302600_NS6detail15normal_iteratorINS9_10device_ptrIiEEEENSB_INSC_IfEEEESG_fNS9_4plusIvEENS9_8equal_toIvEEfEE10hipError_tPvRmT2_T3_T4_T5_mT6_T7_P12ihipStream_tbENKUlT_T0_E_clISt17integral_constantIbLb0EES11_EEDaSW_SX_EUlSW_E_NS1_11comp_targetILNS1_3genE0ELNS1_11target_archE4294967295ELNS1_3gpuE0ELNS1_3repE0EEENS1_30default_config_static_selectorELNS0_4arch9wavefront6targetE0EEEvT1_,"axG",@progbits,_ZN7rocprim17ROCPRIM_400000_NS6detail17trampoline_kernelINS0_14default_configENS1_27scan_by_key_config_selectorIifEEZZNS1_16scan_by_key_implILNS1_25lookback_scan_determinismE0ELb1ES3_N6thrust23THRUST_200600_302600_NS6detail15normal_iteratorINS9_10device_ptrIiEEEENSB_INSC_IfEEEESG_fNS9_4plusIvEENS9_8equal_toIvEEfEE10hipError_tPvRmT2_T3_T4_T5_mT6_T7_P12ihipStream_tbENKUlT_T0_E_clISt17integral_constantIbLb0EES11_EEDaSW_SX_EUlSW_E_NS1_11comp_targetILNS1_3genE0ELNS1_11target_archE4294967295ELNS1_3gpuE0ELNS1_3repE0EEENS1_30default_config_static_selectorELNS0_4arch9wavefront6targetE0EEEvT1_,comdat
.Lfunc_end1427:
	.size	_ZN7rocprim17ROCPRIM_400000_NS6detail17trampoline_kernelINS0_14default_configENS1_27scan_by_key_config_selectorIifEEZZNS1_16scan_by_key_implILNS1_25lookback_scan_determinismE0ELb1ES3_N6thrust23THRUST_200600_302600_NS6detail15normal_iteratorINS9_10device_ptrIiEEEENSB_INSC_IfEEEESG_fNS9_4plusIvEENS9_8equal_toIvEEfEE10hipError_tPvRmT2_T3_T4_T5_mT6_T7_P12ihipStream_tbENKUlT_T0_E_clISt17integral_constantIbLb0EES11_EEDaSW_SX_EUlSW_E_NS1_11comp_targetILNS1_3genE0ELNS1_11target_archE4294967295ELNS1_3gpuE0ELNS1_3repE0EEENS1_30default_config_static_selectorELNS0_4arch9wavefront6targetE0EEEvT1_, .Lfunc_end1427-_ZN7rocprim17ROCPRIM_400000_NS6detail17trampoline_kernelINS0_14default_configENS1_27scan_by_key_config_selectorIifEEZZNS1_16scan_by_key_implILNS1_25lookback_scan_determinismE0ELb1ES3_N6thrust23THRUST_200600_302600_NS6detail15normal_iteratorINS9_10device_ptrIiEEEENSB_INSC_IfEEEESG_fNS9_4plusIvEENS9_8equal_toIvEEfEE10hipError_tPvRmT2_T3_T4_T5_mT6_T7_P12ihipStream_tbENKUlT_T0_E_clISt17integral_constantIbLb0EES11_EEDaSW_SX_EUlSW_E_NS1_11comp_targetILNS1_3genE0ELNS1_11target_archE4294967295ELNS1_3gpuE0ELNS1_3repE0EEENS1_30default_config_static_selectorELNS0_4arch9wavefront6targetE0EEEvT1_
                                        ; -- End function
	.set _ZN7rocprim17ROCPRIM_400000_NS6detail17trampoline_kernelINS0_14default_configENS1_27scan_by_key_config_selectorIifEEZZNS1_16scan_by_key_implILNS1_25lookback_scan_determinismE0ELb1ES3_N6thrust23THRUST_200600_302600_NS6detail15normal_iteratorINS9_10device_ptrIiEEEENSB_INSC_IfEEEESG_fNS9_4plusIvEENS9_8equal_toIvEEfEE10hipError_tPvRmT2_T3_T4_T5_mT6_T7_P12ihipStream_tbENKUlT_T0_E_clISt17integral_constantIbLb0EES11_EEDaSW_SX_EUlSW_E_NS1_11comp_targetILNS1_3genE0ELNS1_11target_archE4294967295ELNS1_3gpuE0ELNS1_3repE0EEENS1_30default_config_static_selectorELNS0_4arch9wavefront6targetE0EEEvT1_.num_vgpr, 0
	.set _ZN7rocprim17ROCPRIM_400000_NS6detail17trampoline_kernelINS0_14default_configENS1_27scan_by_key_config_selectorIifEEZZNS1_16scan_by_key_implILNS1_25lookback_scan_determinismE0ELb1ES3_N6thrust23THRUST_200600_302600_NS6detail15normal_iteratorINS9_10device_ptrIiEEEENSB_INSC_IfEEEESG_fNS9_4plusIvEENS9_8equal_toIvEEfEE10hipError_tPvRmT2_T3_T4_T5_mT6_T7_P12ihipStream_tbENKUlT_T0_E_clISt17integral_constantIbLb0EES11_EEDaSW_SX_EUlSW_E_NS1_11comp_targetILNS1_3genE0ELNS1_11target_archE4294967295ELNS1_3gpuE0ELNS1_3repE0EEENS1_30default_config_static_selectorELNS0_4arch9wavefront6targetE0EEEvT1_.num_agpr, 0
	.set _ZN7rocprim17ROCPRIM_400000_NS6detail17trampoline_kernelINS0_14default_configENS1_27scan_by_key_config_selectorIifEEZZNS1_16scan_by_key_implILNS1_25lookback_scan_determinismE0ELb1ES3_N6thrust23THRUST_200600_302600_NS6detail15normal_iteratorINS9_10device_ptrIiEEEENSB_INSC_IfEEEESG_fNS9_4plusIvEENS9_8equal_toIvEEfEE10hipError_tPvRmT2_T3_T4_T5_mT6_T7_P12ihipStream_tbENKUlT_T0_E_clISt17integral_constantIbLb0EES11_EEDaSW_SX_EUlSW_E_NS1_11comp_targetILNS1_3genE0ELNS1_11target_archE4294967295ELNS1_3gpuE0ELNS1_3repE0EEENS1_30default_config_static_selectorELNS0_4arch9wavefront6targetE0EEEvT1_.numbered_sgpr, 0
	.set _ZN7rocprim17ROCPRIM_400000_NS6detail17trampoline_kernelINS0_14default_configENS1_27scan_by_key_config_selectorIifEEZZNS1_16scan_by_key_implILNS1_25lookback_scan_determinismE0ELb1ES3_N6thrust23THRUST_200600_302600_NS6detail15normal_iteratorINS9_10device_ptrIiEEEENSB_INSC_IfEEEESG_fNS9_4plusIvEENS9_8equal_toIvEEfEE10hipError_tPvRmT2_T3_T4_T5_mT6_T7_P12ihipStream_tbENKUlT_T0_E_clISt17integral_constantIbLb0EES11_EEDaSW_SX_EUlSW_E_NS1_11comp_targetILNS1_3genE0ELNS1_11target_archE4294967295ELNS1_3gpuE0ELNS1_3repE0EEENS1_30default_config_static_selectorELNS0_4arch9wavefront6targetE0EEEvT1_.num_named_barrier, 0
	.set _ZN7rocprim17ROCPRIM_400000_NS6detail17trampoline_kernelINS0_14default_configENS1_27scan_by_key_config_selectorIifEEZZNS1_16scan_by_key_implILNS1_25lookback_scan_determinismE0ELb1ES3_N6thrust23THRUST_200600_302600_NS6detail15normal_iteratorINS9_10device_ptrIiEEEENSB_INSC_IfEEEESG_fNS9_4plusIvEENS9_8equal_toIvEEfEE10hipError_tPvRmT2_T3_T4_T5_mT6_T7_P12ihipStream_tbENKUlT_T0_E_clISt17integral_constantIbLb0EES11_EEDaSW_SX_EUlSW_E_NS1_11comp_targetILNS1_3genE0ELNS1_11target_archE4294967295ELNS1_3gpuE0ELNS1_3repE0EEENS1_30default_config_static_selectorELNS0_4arch9wavefront6targetE0EEEvT1_.private_seg_size, 0
	.set _ZN7rocprim17ROCPRIM_400000_NS6detail17trampoline_kernelINS0_14default_configENS1_27scan_by_key_config_selectorIifEEZZNS1_16scan_by_key_implILNS1_25lookback_scan_determinismE0ELb1ES3_N6thrust23THRUST_200600_302600_NS6detail15normal_iteratorINS9_10device_ptrIiEEEENSB_INSC_IfEEEESG_fNS9_4plusIvEENS9_8equal_toIvEEfEE10hipError_tPvRmT2_T3_T4_T5_mT6_T7_P12ihipStream_tbENKUlT_T0_E_clISt17integral_constantIbLb0EES11_EEDaSW_SX_EUlSW_E_NS1_11comp_targetILNS1_3genE0ELNS1_11target_archE4294967295ELNS1_3gpuE0ELNS1_3repE0EEENS1_30default_config_static_selectorELNS0_4arch9wavefront6targetE0EEEvT1_.uses_vcc, 0
	.set _ZN7rocprim17ROCPRIM_400000_NS6detail17trampoline_kernelINS0_14default_configENS1_27scan_by_key_config_selectorIifEEZZNS1_16scan_by_key_implILNS1_25lookback_scan_determinismE0ELb1ES3_N6thrust23THRUST_200600_302600_NS6detail15normal_iteratorINS9_10device_ptrIiEEEENSB_INSC_IfEEEESG_fNS9_4plusIvEENS9_8equal_toIvEEfEE10hipError_tPvRmT2_T3_T4_T5_mT6_T7_P12ihipStream_tbENKUlT_T0_E_clISt17integral_constantIbLb0EES11_EEDaSW_SX_EUlSW_E_NS1_11comp_targetILNS1_3genE0ELNS1_11target_archE4294967295ELNS1_3gpuE0ELNS1_3repE0EEENS1_30default_config_static_selectorELNS0_4arch9wavefront6targetE0EEEvT1_.uses_flat_scratch, 0
	.set _ZN7rocprim17ROCPRIM_400000_NS6detail17trampoline_kernelINS0_14default_configENS1_27scan_by_key_config_selectorIifEEZZNS1_16scan_by_key_implILNS1_25lookback_scan_determinismE0ELb1ES3_N6thrust23THRUST_200600_302600_NS6detail15normal_iteratorINS9_10device_ptrIiEEEENSB_INSC_IfEEEESG_fNS9_4plusIvEENS9_8equal_toIvEEfEE10hipError_tPvRmT2_T3_T4_T5_mT6_T7_P12ihipStream_tbENKUlT_T0_E_clISt17integral_constantIbLb0EES11_EEDaSW_SX_EUlSW_E_NS1_11comp_targetILNS1_3genE0ELNS1_11target_archE4294967295ELNS1_3gpuE0ELNS1_3repE0EEENS1_30default_config_static_selectorELNS0_4arch9wavefront6targetE0EEEvT1_.has_dyn_sized_stack, 0
	.set _ZN7rocprim17ROCPRIM_400000_NS6detail17trampoline_kernelINS0_14default_configENS1_27scan_by_key_config_selectorIifEEZZNS1_16scan_by_key_implILNS1_25lookback_scan_determinismE0ELb1ES3_N6thrust23THRUST_200600_302600_NS6detail15normal_iteratorINS9_10device_ptrIiEEEENSB_INSC_IfEEEESG_fNS9_4plusIvEENS9_8equal_toIvEEfEE10hipError_tPvRmT2_T3_T4_T5_mT6_T7_P12ihipStream_tbENKUlT_T0_E_clISt17integral_constantIbLb0EES11_EEDaSW_SX_EUlSW_E_NS1_11comp_targetILNS1_3genE0ELNS1_11target_archE4294967295ELNS1_3gpuE0ELNS1_3repE0EEENS1_30default_config_static_selectorELNS0_4arch9wavefront6targetE0EEEvT1_.has_recursion, 0
	.set _ZN7rocprim17ROCPRIM_400000_NS6detail17trampoline_kernelINS0_14default_configENS1_27scan_by_key_config_selectorIifEEZZNS1_16scan_by_key_implILNS1_25lookback_scan_determinismE0ELb1ES3_N6thrust23THRUST_200600_302600_NS6detail15normal_iteratorINS9_10device_ptrIiEEEENSB_INSC_IfEEEESG_fNS9_4plusIvEENS9_8equal_toIvEEfEE10hipError_tPvRmT2_T3_T4_T5_mT6_T7_P12ihipStream_tbENKUlT_T0_E_clISt17integral_constantIbLb0EES11_EEDaSW_SX_EUlSW_E_NS1_11comp_targetILNS1_3genE0ELNS1_11target_archE4294967295ELNS1_3gpuE0ELNS1_3repE0EEENS1_30default_config_static_selectorELNS0_4arch9wavefront6targetE0EEEvT1_.has_indirect_call, 0
	.section	.AMDGPU.csdata,"",@progbits
; Kernel info:
; codeLenInByte = 0
; TotalNumSgprs: 0
; NumVgprs: 0
; ScratchSize: 0
; MemoryBound: 0
; FloatMode: 240
; IeeeMode: 1
; LDSByteSize: 0 bytes/workgroup (compile time only)
; SGPRBlocks: 0
; VGPRBlocks: 0
; NumSGPRsForWavesPerEU: 1
; NumVGPRsForWavesPerEU: 1
; Occupancy: 16
; WaveLimiterHint : 0
; COMPUTE_PGM_RSRC2:SCRATCH_EN: 0
; COMPUTE_PGM_RSRC2:USER_SGPR: 6
; COMPUTE_PGM_RSRC2:TRAP_HANDLER: 0
; COMPUTE_PGM_RSRC2:TGID_X_EN: 1
; COMPUTE_PGM_RSRC2:TGID_Y_EN: 0
; COMPUTE_PGM_RSRC2:TGID_Z_EN: 0
; COMPUTE_PGM_RSRC2:TIDIG_COMP_CNT: 0
	.section	.text._ZN7rocprim17ROCPRIM_400000_NS6detail17trampoline_kernelINS0_14default_configENS1_27scan_by_key_config_selectorIifEEZZNS1_16scan_by_key_implILNS1_25lookback_scan_determinismE0ELb1ES3_N6thrust23THRUST_200600_302600_NS6detail15normal_iteratorINS9_10device_ptrIiEEEENSB_INSC_IfEEEESG_fNS9_4plusIvEENS9_8equal_toIvEEfEE10hipError_tPvRmT2_T3_T4_T5_mT6_T7_P12ihipStream_tbENKUlT_T0_E_clISt17integral_constantIbLb0EES11_EEDaSW_SX_EUlSW_E_NS1_11comp_targetILNS1_3genE10ELNS1_11target_archE1201ELNS1_3gpuE5ELNS1_3repE0EEENS1_30default_config_static_selectorELNS0_4arch9wavefront6targetE0EEEvT1_,"axG",@progbits,_ZN7rocprim17ROCPRIM_400000_NS6detail17trampoline_kernelINS0_14default_configENS1_27scan_by_key_config_selectorIifEEZZNS1_16scan_by_key_implILNS1_25lookback_scan_determinismE0ELb1ES3_N6thrust23THRUST_200600_302600_NS6detail15normal_iteratorINS9_10device_ptrIiEEEENSB_INSC_IfEEEESG_fNS9_4plusIvEENS9_8equal_toIvEEfEE10hipError_tPvRmT2_T3_T4_T5_mT6_T7_P12ihipStream_tbENKUlT_T0_E_clISt17integral_constantIbLb0EES11_EEDaSW_SX_EUlSW_E_NS1_11comp_targetILNS1_3genE10ELNS1_11target_archE1201ELNS1_3gpuE5ELNS1_3repE0EEENS1_30default_config_static_selectorELNS0_4arch9wavefront6targetE0EEEvT1_,comdat
	.protected	_ZN7rocprim17ROCPRIM_400000_NS6detail17trampoline_kernelINS0_14default_configENS1_27scan_by_key_config_selectorIifEEZZNS1_16scan_by_key_implILNS1_25lookback_scan_determinismE0ELb1ES3_N6thrust23THRUST_200600_302600_NS6detail15normal_iteratorINS9_10device_ptrIiEEEENSB_INSC_IfEEEESG_fNS9_4plusIvEENS9_8equal_toIvEEfEE10hipError_tPvRmT2_T3_T4_T5_mT6_T7_P12ihipStream_tbENKUlT_T0_E_clISt17integral_constantIbLb0EES11_EEDaSW_SX_EUlSW_E_NS1_11comp_targetILNS1_3genE10ELNS1_11target_archE1201ELNS1_3gpuE5ELNS1_3repE0EEENS1_30default_config_static_selectorELNS0_4arch9wavefront6targetE0EEEvT1_ ; -- Begin function _ZN7rocprim17ROCPRIM_400000_NS6detail17trampoline_kernelINS0_14default_configENS1_27scan_by_key_config_selectorIifEEZZNS1_16scan_by_key_implILNS1_25lookback_scan_determinismE0ELb1ES3_N6thrust23THRUST_200600_302600_NS6detail15normal_iteratorINS9_10device_ptrIiEEEENSB_INSC_IfEEEESG_fNS9_4plusIvEENS9_8equal_toIvEEfEE10hipError_tPvRmT2_T3_T4_T5_mT6_T7_P12ihipStream_tbENKUlT_T0_E_clISt17integral_constantIbLb0EES11_EEDaSW_SX_EUlSW_E_NS1_11comp_targetILNS1_3genE10ELNS1_11target_archE1201ELNS1_3gpuE5ELNS1_3repE0EEENS1_30default_config_static_selectorELNS0_4arch9wavefront6targetE0EEEvT1_
	.globl	_ZN7rocprim17ROCPRIM_400000_NS6detail17trampoline_kernelINS0_14default_configENS1_27scan_by_key_config_selectorIifEEZZNS1_16scan_by_key_implILNS1_25lookback_scan_determinismE0ELb1ES3_N6thrust23THRUST_200600_302600_NS6detail15normal_iteratorINS9_10device_ptrIiEEEENSB_INSC_IfEEEESG_fNS9_4plusIvEENS9_8equal_toIvEEfEE10hipError_tPvRmT2_T3_T4_T5_mT6_T7_P12ihipStream_tbENKUlT_T0_E_clISt17integral_constantIbLb0EES11_EEDaSW_SX_EUlSW_E_NS1_11comp_targetILNS1_3genE10ELNS1_11target_archE1201ELNS1_3gpuE5ELNS1_3repE0EEENS1_30default_config_static_selectorELNS0_4arch9wavefront6targetE0EEEvT1_
	.p2align	8
	.type	_ZN7rocprim17ROCPRIM_400000_NS6detail17trampoline_kernelINS0_14default_configENS1_27scan_by_key_config_selectorIifEEZZNS1_16scan_by_key_implILNS1_25lookback_scan_determinismE0ELb1ES3_N6thrust23THRUST_200600_302600_NS6detail15normal_iteratorINS9_10device_ptrIiEEEENSB_INSC_IfEEEESG_fNS9_4plusIvEENS9_8equal_toIvEEfEE10hipError_tPvRmT2_T3_T4_T5_mT6_T7_P12ihipStream_tbENKUlT_T0_E_clISt17integral_constantIbLb0EES11_EEDaSW_SX_EUlSW_E_NS1_11comp_targetILNS1_3genE10ELNS1_11target_archE1201ELNS1_3gpuE5ELNS1_3repE0EEENS1_30default_config_static_selectorELNS0_4arch9wavefront6targetE0EEEvT1_,@function
_ZN7rocprim17ROCPRIM_400000_NS6detail17trampoline_kernelINS0_14default_configENS1_27scan_by_key_config_selectorIifEEZZNS1_16scan_by_key_implILNS1_25lookback_scan_determinismE0ELb1ES3_N6thrust23THRUST_200600_302600_NS6detail15normal_iteratorINS9_10device_ptrIiEEEENSB_INSC_IfEEEESG_fNS9_4plusIvEENS9_8equal_toIvEEfEE10hipError_tPvRmT2_T3_T4_T5_mT6_T7_P12ihipStream_tbENKUlT_T0_E_clISt17integral_constantIbLb0EES11_EEDaSW_SX_EUlSW_E_NS1_11comp_targetILNS1_3genE10ELNS1_11target_archE1201ELNS1_3gpuE5ELNS1_3repE0EEENS1_30default_config_static_selectorELNS0_4arch9wavefront6targetE0EEEvT1_: ; @_ZN7rocprim17ROCPRIM_400000_NS6detail17trampoline_kernelINS0_14default_configENS1_27scan_by_key_config_selectorIifEEZZNS1_16scan_by_key_implILNS1_25lookback_scan_determinismE0ELb1ES3_N6thrust23THRUST_200600_302600_NS6detail15normal_iteratorINS9_10device_ptrIiEEEENSB_INSC_IfEEEESG_fNS9_4plusIvEENS9_8equal_toIvEEfEE10hipError_tPvRmT2_T3_T4_T5_mT6_T7_P12ihipStream_tbENKUlT_T0_E_clISt17integral_constantIbLb0EES11_EEDaSW_SX_EUlSW_E_NS1_11comp_targetILNS1_3genE10ELNS1_11target_archE1201ELNS1_3gpuE5ELNS1_3repE0EEENS1_30default_config_static_selectorELNS0_4arch9wavefront6targetE0EEEvT1_
; %bb.0:
	.section	.rodata,"a",@progbits
	.p2align	6, 0x0
	.amdhsa_kernel _ZN7rocprim17ROCPRIM_400000_NS6detail17trampoline_kernelINS0_14default_configENS1_27scan_by_key_config_selectorIifEEZZNS1_16scan_by_key_implILNS1_25lookback_scan_determinismE0ELb1ES3_N6thrust23THRUST_200600_302600_NS6detail15normal_iteratorINS9_10device_ptrIiEEEENSB_INSC_IfEEEESG_fNS9_4plusIvEENS9_8equal_toIvEEfEE10hipError_tPvRmT2_T3_T4_T5_mT6_T7_P12ihipStream_tbENKUlT_T0_E_clISt17integral_constantIbLb0EES11_EEDaSW_SX_EUlSW_E_NS1_11comp_targetILNS1_3genE10ELNS1_11target_archE1201ELNS1_3gpuE5ELNS1_3repE0EEENS1_30default_config_static_selectorELNS0_4arch9wavefront6targetE0EEEvT1_
		.amdhsa_group_segment_fixed_size 0
		.amdhsa_private_segment_fixed_size 0
		.amdhsa_kernarg_size 112
		.amdhsa_user_sgpr_count 6
		.amdhsa_user_sgpr_private_segment_buffer 1
		.amdhsa_user_sgpr_dispatch_ptr 0
		.amdhsa_user_sgpr_queue_ptr 0
		.amdhsa_user_sgpr_kernarg_segment_ptr 1
		.amdhsa_user_sgpr_dispatch_id 0
		.amdhsa_user_sgpr_flat_scratch_init 0
		.amdhsa_user_sgpr_private_segment_size 0
		.amdhsa_wavefront_size32 1
		.amdhsa_uses_dynamic_stack 0
		.amdhsa_system_sgpr_private_segment_wavefront_offset 0
		.amdhsa_system_sgpr_workgroup_id_x 1
		.amdhsa_system_sgpr_workgroup_id_y 0
		.amdhsa_system_sgpr_workgroup_id_z 0
		.amdhsa_system_sgpr_workgroup_info 0
		.amdhsa_system_vgpr_workitem_id 0
		.amdhsa_next_free_vgpr 1
		.amdhsa_next_free_sgpr 1
		.amdhsa_reserve_vcc 0
		.amdhsa_reserve_flat_scratch 0
		.amdhsa_float_round_mode_32 0
		.amdhsa_float_round_mode_16_64 0
		.amdhsa_float_denorm_mode_32 3
		.amdhsa_float_denorm_mode_16_64 3
		.amdhsa_dx10_clamp 1
		.amdhsa_ieee_mode 1
		.amdhsa_fp16_overflow 0
		.amdhsa_workgroup_processor_mode 1
		.amdhsa_memory_ordered 1
		.amdhsa_forward_progress 1
		.amdhsa_shared_vgpr_count 0
		.amdhsa_exception_fp_ieee_invalid_op 0
		.amdhsa_exception_fp_denorm_src 0
		.amdhsa_exception_fp_ieee_div_zero 0
		.amdhsa_exception_fp_ieee_overflow 0
		.amdhsa_exception_fp_ieee_underflow 0
		.amdhsa_exception_fp_ieee_inexact 0
		.amdhsa_exception_int_div_zero 0
	.end_amdhsa_kernel
	.section	.text._ZN7rocprim17ROCPRIM_400000_NS6detail17trampoline_kernelINS0_14default_configENS1_27scan_by_key_config_selectorIifEEZZNS1_16scan_by_key_implILNS1_25lookback_scan_determinismE0ELb1ES3_N6thrust23THRUST_200600_302600_NS6detail15normal_iteratorINS9_10device_ptrIiEEEENSB_INSC_IfEEEESG_fNS9_4plusIvEENS9_8equal_toIvEEfEE10hipError_tPvRmT2_T3_T4_T5_mT6_T7_P12ihipStream_tbENKUlT_T0_E_clISt17integral_constantIbLb0EES11_EEDaSW_SX_EUlSW_E_NS1_11comp_targetILNS1_3genE10ELNS1_11target_archE1201ELNS1_3gpuE5ELNS1_3repE0EEENS1_30default_config_static_selectorELNS0_4arch9wavefront6targetE0EEEvT1_,"axG",@progbits,_ZN7rocprim17ROCPRIM_400000_NS6detail17trampoline_kernelINS0_14default_configENS1_27scan_by_key_config_selectorIifEEZZNS1_16scan_by_key_implILNS1_25lookback_scan_determinismE0ELb1ES3_N6thrust23THRUST_200600_302600_NS6detail15normal_iteratorINS9_10device_ptrIiEEEENSB_INSC_IfEEEESG_fNS9_4plusIvEENS9_8equal_toIvEEfEE10hipError_tPvRmT2_T3_T4_T5_mT6_T7_P12ihipStream_tbENKUlT_T0_E_clISt17integral_constantIbLb0EES11_EEDaSW_SX_EUlSW_E_NS1_11comp_targetILNS1_3genE10ELNS1_11target_archE1201ELNS1_3gpuE5ELNS1_3repE0EEENS1_30default_config_static_selectorELNS0_4arch9wavefront6targetE0EEEvT1_,comdat
.Lfunc_end1428:
	.size	_ZN7rocprim17ROCPRIM_400000_NS6detail17trampoline_kernelINS0_14default_configENS1_27scan_by_key_config_selectorIifEEZZNS1_16scan_by_key_implILNS1_25lookback_scan_determinismE0ELb1ES3_N6thrust23THRUST_200600_302600_NS6detail15normal_iteratorINS9_10device_ptrIiEEEENSB_INSC_IfEEEESG_fNS9_4plusIvEENS9_8equal_toIvEEfEE10hipError_tPvRmT2_T3_T4_T5_mT6_T7_P12ihipStream_tbENKUlT_T0_E_clISt17integral_constantIbLb0EES11_EEDaSW_SX_EUlSW_E_NS1_11comp_targetILNS1_3genE10ELNS1_11target_archE1201ELNS1_3gpuE5ELNS1_3repE0EEENS1_30default_config_static_selectorELNS0_4arch9wavefront6targetE0EEEvT1_, .Lfunc_end1428-_ZN7rocprim17ROCPRIM_400000_NS6detail17trampoline_kernelINS0_14default_configENS1_27scan_by_key_config_selectorIifEEZZNS1_16scan_by_key_implILNS1_25lookback_scan_determinismE0ELb1ES3_N6thrust23THRUST_200600_302600_NS6detail15normal_iteratorINS9_10device_ptrIiEEEENSB_INSC_IfEEEESG_fNS9_4plusIvEENS9_8equal_toIvEEfEE10hipError_tPvRmT2_T3_T4_T5_mT6_T7_P12ihipStream_tbENKUlT_T0_E_clISt17integral_constantIbLb0EES11_EEDaSW_SX_EUlSW_E_NS1_11comp_targetILNS1_3genE10ELNS1_11target_archE1201ELNS1_3gpuE5ELNS1_3repE0EEENS1_30default_config_static_selectorELNS0_4arch9wavefront6targetE0EEEvT1_
                                        ; -- End function
	.set _ZN7rocprim17ROCPRIM_400000_NS6detail17trampoline_kernelINS0_14default_configENS1_27scan_by_key_config_selectorIifEEZZNS1_16scan_by_key_implILNS1_25lookback_scan_determinismE0ELb1ES3_N6thrust23THRUST_200600_302600_NS6detail15normal_iteratorINS9_10device_ptrIiEEEENSB_INSC_IfEEEESG_fNS9_4plusIvEENS9_8equal_toIvEEfEE10hipError_tPvRmT2_T3_T4_T5_mT6_T7_P12ihipStream_tbENKUlT_T0_E_clISt17integral_constantIbLb0EES11_EEDaSW_SX_EUlSW_E_NS1_11comp_targetILNS1_3genE10ELNS1_11target_archE1201ELNS1_3gpuE5ELNS1_3repE0EEENS1_30default_config_static_selectorELNS0_4arch9wavefront6targetE0EEEvT1_.num_vgpr, 0
	.set _ZN7rocprim17ROCPRIM_400000_NS6detail17trampoline_kernelINS0_14default_configENS1_27scan_by_key_config_selectorIifEEZZNS1_16scan_by_key_implILNS1_25lookback_scan_determinismE0ELb1ES3_N6thrust23THRUST_200600_302600_NS6detail15normal_iteratorINS9_10device_ptrIiEEEENSB_INSC_IfEEEESG_fNS9_4plusIvEENS9_8equal_toIvEEfEE10hipError_tPvRmT2_T3_T4_T5_mT6_T7_P12ihipStream_tbENKUlT_T0_E_clISt17integral_constantIbLb0EES11_EEDaSW_SX_EUlSW_E_NS1_11comp_targetILNS1_3genE10ELNS1_11target_archE1201ELNS1_3gpuE5ELNS1_3repE0EEENS1_30default_config_static_selectorELNS0_4arch9wavefront6targetE0EEEvT1_.num_agpr, 0
	.set _ZN7rocprim17ROCPRIM_400000_NS6detail17trampoline_kernelINS0_14default_configENS1_27scan_by_key_config_selectorIifEEZZNS1_16scan_by_key_implILNS1_25lookback_scan_determinismE0ELb1ES3_N6thrust23THRUST_200600_302600_NS6detail15normal_iteratorINS9_10device_ptrIiEEEENSB_INSC_IfEEEESG_fNS9_4plusIvEENS9_8equal_toIvEEfEE10hipError_tPvRmT2_T3_T4_T5_mT6_T7_P12ihipStream_tbENKUlT_T0_E_clISt17integral_constantIbLb0EES11_EEDaSW_SX_EUlSW_E_NS1_11comp_targetILNS1_3genE10ELNS1_11target_archE1201ELNS1_3gpuE5ELNS1_3repE0EEENS1_30default_config_static_selectorELNS0_4arch9wavefront6targetE0EEEvT1_.numbered_sgpr, 0
	.set _ZN7rocprim17ROCPRIM_400000_NS6detail17trampoline_kernelINS0_14default_configENS1_27scan_by_key_config_selectorIifEEZZNS1_16scan_by_key_implILNS1_25lookback_scan_determinismE0ELb1ES3_N6thrust23THRUST_200600_302600_NS6detail15normal_iteratorINS9_10device_ptrIiEEEENSB_INSC_IfEEEESG_fNS9_4plusIvEENS9_8equal_toIvEEfEE10hipError_tPvRmT2_T3_T4_T5_mT6_T7_P12ihipStream_tbENKUlT_T0_E_clISt17integral_constantIbLb0EES11_EEDaSW_SX_EUlSW_E_NS1_11comp_targetILNS1_3genE10ELNS1_11target_archE1201ELNS1_3gpuE5ELNS1_3repE0EEENS1_30default_config_static_selectorELNS0_4arch9wavefront6targetE0EEEvT1_.num_named_barrier, 0
	.set _ZN7rocprim17ROCPRIM_400000_NS6detail17trampoline_kernelINS0_14default_configENS1_27scan_by_key_config_selectorIifEEZZNS1_16scan_by_key_implILNS1_25lookback_scan_determinismE0ELb1ES3_N6thrust23THRUST_200600_302600_NS6detail15normal_iteratorINS9_10device_ptrIiEEEENSB_INSC_IfEEEESG_fNS9_4plusIvEENS9_8equal_toIvEEfEE10hipError_tPvRmT2_T3_T4_T5_mT6_T7_P12ihipStream_tbENKUlT_T0_E_clISt17integral_constantIbLb0EES11_EEDaSW_SX_EUlSW_E_NS1_11comp_targetILNS1_3genE10ELNS1_11target_archE1201ELNS1_3gpuE5ELNS1_3repE0EEENS1_30default_config_static_selectorELNS0_4arch9wavefront6targetE0EEEvT1_.private_seg_size, 0
	.set _ZN7rocprim17ROCPRIM_400000_NS6detail17trampoline_kernelINS0_14default_configENS1_27scan_by_key_config_selectorIifEEZZNS1_16scan_by_key_implILNS1_25lookback_scan_determinismE0ELb1ES3_N6thrust23THRUST_200600_302600_NS6detail15normal_iteratorINS9_10device_ptrIiEEEENSB_INSC_IfEEEESG_fNS9_4plusIvEENS9_8equal_toIvEEfEE10hipError_tPvRmT2_T3_T4_T5_mT6_T7_P12ihipStream_tbENKUlT_T0_E_clISt17integral_constantIbLb0EES11_EEDaSW_SX_EUlSW_E_NS1_11comp_targetILNS1_3genE10ELNS1_11target_archE1201ELNS1_3gpuE5ELNS1_3repE0EEENS1_30default_config_static_selectorELNS0_4arch9wavefront6targetE0EEEvT1_.uses_vcc, 0
	.set _ZN7rocprim17ROCPRIM_400000_NS6detail17trampoline_kernelINS0_14default_configENS1_27scan_by_key_config_selectorIifEEZZNS1_16scan_by_key_implILNS1_25lookback_scan_determinismE0ELb1ES3_N6thrust23THRUST_200600_302600_NS6detail15normal_iteratorINS9_10device_ptrIiEEEENSB_INSC_IfEEEESG_fNS9_4plusIvEENS9_8equal_toIvEEfEE10hipError_tPvRmT2_T3_T4_T5_mT6_T7_P12ihipStream_tbENKUlT_T0_E_clISt17integral_constantIbLb0EES11_EEDaSW_SX_EUlSW_E_NS1_11comp_targetILNS1_3genE10ELNS1_11target_archE1201ELNS1_3gpuE5ELNS1_3repE0EEENS1_30default_config_static_selectorELNS0_4arch9wavefront6targetE0EEEvT1_.uses_flat_scratch, 0
	.set _ZN7rocprim17ROCPRIM_400000_NS6detail17trampoline_kernelINS0_14default_configENS1_27scan_by_key_config_selectorIifEEZZNS1_16scan_by_key_implILNS1_25lookback_scan_determinismE0ELb1ES3_N6thrust23THRUST_200600_302600_NS6detail15normal_iteratorINS9_10device_ptrIiEEEENSB_INSC_IfEEEESG_fNS9_4plusIvEENS9_8equal_toIvEEfEE10hipError_tPvRmT2_T3_T4_T5_mT6_T7_P12ihipStream_tbENKUlT_T0_E_clISt17integral_constantIbLb0EES11_EEDaSW_SX_EUlSW_E_NS1_11comp_targetILNS1_3genE10ELNS1_11target_archE1201ELNS1_3gpuE5ELNS1_3repE0EEENS1_30default_config_static_selectorELNS0_4arch9wavefront6targetE0EEEvT1_.has_dyn_sized_stack, 0
	.set _ZN7rocprim17ROCPRIM_400000_NS6detail17trampoline_kernelINS0_14default_configENS1_27scan_by_key_config_selectorIifEEZZNS1_16scan_by_key_implILNS1_25lookback_scan_determinismE0ELb1ES3_N6thrust23THRUST_200600_302600_NS6detail15normal_iteratorINS9_10device_ptrIiEEEENSB_INSC_IfEEEESG_fNS9_4plusIvEENS9_8equal_toIvEEfEE10hipError_tPvRmT2_T3_T4_T5_mT6_T7_P12ihipStream_tbENKUlT_T0_E_clISt17integral_constantIbLb0EES11_EEDaSW_SX_EUlSW_E_NS1_11comp_targetILNS1_3genE10ELNS1_11target_archE1201ELNS1_3gpuE5ELNS1_3repE0EEENS1_30default_config_static_selectorELNS0_4arch9wavefront6targetE0EEEvT1_.has_recursion, 0
	.set _ZN7rocprim17ROCPRIM_400000_NS6detail17trampoline_kernelINS0_14default_configENS1_27scan_by_key_config_selectorIifEEZZNS1_16scan_by_key_implILNS1_25lookback_scan_determinismE0ELb1ES3_N6thrust23THRUST_200600_302600_NS6detail15normal_iteratorINS9_10device_ptrIiEEEENSB_INSC_IfEEEESG_fNS9_4plusIvEENS9_8equal_toIvEEfEE10hipError_tPvRmT2_T3_T4_T5_mT6_T7_P12ihipStream_tbENKUlT_T0_E_clISt17integral_constantIbLb0EES11_EEDaSW_SX_EUlSW_E_NS1_11comp_targetILNS1_3genE10ELNS1_11target_archE1201ELNS1_3gpuE5ELNS1_3repE0EEENS1_30default_config_static_selectorELNS0_4arch9wavefront6targetE0EEEvT1_.has_indirect_call, 0
	.section	.AMDGPU.csdata,"",@progbits
; Kernel info:
; codeLenInByte = 0
; TotalNumSgprs: 0
; NumVgprs: 0
; ScratchSize: 0
; MemoryBound: 0
; FloatMode: 240
; IeeeMode: 1
; LDSByteSize: 0 bytes/workgroup (compile time only)
; SGPRBlocks: 0
; VGPRBlocks: 0
; NumSGPRsForWavesPerEU: 1
; NumVGPRsForWavesPerEU: 1
; Occupancy: 16
; WaveLimiterHint : 0
; COMPUTE_PGM_RSRC2:SCRATCH_EN: 0
; COMPUTE_PGM_RSRC2:USER_SGPR: 6
; COMPUTE_PGM_RSRC2:TRAP_HANDLER: 0
; COMPUTE_PGM_RSRC2:TGID_X_EN: 1
; COMPUTE_PGM_RSRC2:TGID_Y_EN: 0
; COMPUTE_PGM_RSRC2:TGID_Z_EN: 0
; COMPUTE_PGM_RSRC2:TIDIG_COMP_CNT: 0
	.section	.text._ZN7rocprim17ROCPRIM_400000_NS6detail17trampoline_kernelINS0_14default_configENS1_27scan_by_key_config_selectorIifEEZZNS1_16scan_by_key_implILNS1_25lookback_scan_determinismE0ELb1ES3_N6thrust23THRUST_200600_302600_NS6detail15normal_iteratorINS9_10device_ptrIiEEEENSB_INSC_IfEEEESG_fNS9_4plusIvEENS9_8equal_toIvEEfEE10hipError_tPvRmT2_T3_T4_T5_mT6_T7_P12ihipStream_tbENKUlT_T0_E_clISt17integral_constantIbLb0EES11_EEDaSW_SX_EUlSW_E_NS1_11comp_targetILNS1_3genE5ELNS1_11target_archE942ELNS1_3gpuE9ELNS1_3repE0EEENS1_30default_config_static_selectorELNS0_4arch9wavefront6targetE0EEEvT1_,"axG",@progbits,_ZN7rocprim17ROCPRIM_400000_NS6detail17trampoline_kernelINS0_14default_configENS1_27scan_by_key_config_selectorIifEEZZNS1_16scan_by_key_implILNS1_25lookback_scan_determinismE0ELb1ES3_N6thrust23THRUST_200600_302600_NS6detail15normal_iteratorINS9_10device_ptrIiEEEENSB_INSC_IfEEEESG_fNS9_4plusIvEENS9_8equal_toIvEEfEE10hipError_tPvRmT2_T3_T4_T5_mT6_T7_P12ihipStream_tbENKUlT_T0_E_clISt17integral_constantIbLb0EES11_EEDaSW_SX_EUlSW_E_NS1_11comp_targetILNS1_3genE5ELNS1_11target_archE942ELNS1_3gpuE9ELNS1_3repE0EEENS1_30default_config_static_selectorELNS0_4arch9wavefront6targetE0EEEvT1_,comdat
	.protected	_ZN7rocprim17ROCPRIM_400000_NS6detail17trampoline_kernelINS0_14default_configENS1_27scan_by_key_config_selectorIifEEZZNS1_16scan_by_key_implILNS1_25lookback_scan_determinismE0ELb1ES3_N6thrust23THRUST_200600_302600_NS6detail15normal_iteratorINS9_10device_ptrIiEEEENSB_INSC_IfEEEESG_fNS9_4plusIvEENS9_8equal_toIvEEfEE10hipError_tPvRmT2_T3_T4_T5_mT6_T7_P12ihipStream_tbENKUlT_T0_E_clISt17integral_constantIbLb0EES11_EEDaSW_SX_EUlSW_E_NS1_11comp_targetILNS1_3genE5ELNS1_11target_archE942ELNS1_3gpuE9ELNS1_3repE0EEENS1_30default_config_static_selectorELNS0_4arch9wavefront6targetE0EEEvT1_ ; -- Begin function _ZN7rocprim17ROCPRIM_400000_NS6detail17trampoline_kernelINS0_14default_configENS1_27scan_by_key_config_selectorIifEEZZNS1_16scan_by_key_implILNS1_25lookback_scan_determinismE0ELb1ES3_N6thrust23THRUST_200600_302600_NS6detail15normal_iteratorINS9_10device_ptrIiEEEENSB_INSC_IfEEEESG_fNS9_4plusIvEENS9_8equal_toIvEEfEE10hipError_tPvRmT2_T3_T4_T5_mT6_T7_P12ihipStream_tbENKUlT_T0_E_clISt17integral_constantIbLb0EES11_EEDaSW_SX_EUlSW_E_NS1_11comp_targetILNS1_3genE5ELNS1_11target_archE942ELNS1_3gpuE9ELNS1_3repE0EEENS1_30default_config_static_selectorELNS0_4arch9wavefront6targetE0EEEvT1_
	.globl	_ZN7rocprim17ROCPRIM_400000_NS6detail17trampoline_kernelINS0_14default_configENS1_27scan_by_key_config_selectorIifEEZZNS1_16scan_by_key_implILNS1_25lookback_scan_determinismE0ELb1ES3_N6thrust23THRUST_200600_302600_NS6detail15normal_iteratorINS9_10device_ptrIiEEEENSB_INSC_IfEEEESG_fNS9_4plusIvEENS9_8equal_toIvEEfEE10hipError_tPvRmT2_T3_T4_T5_mT6_T7_P12ihipStream_tbENKUlT_T0_E_clISt17integral_constantIbLb0EES11_EEDaSW_SX_EUlSW_E_NS1_11comp_targetILNS1_3genE5ELNS1_11target_archE942ELNS1_3gpuE9ELNS1_3repE0EEENS1_30default_config_static_selectorELNS0_4arch9wavefront6targetE0EEEvT1_
	.p2align	8
	.type	_ZN7rocprim17ROCPRIM_400000_NS6detail17trampoline_kernelINS0_14default_configENS1_27scan_by_key_config_selectorIifEEZZNS1_16scan_by_key_implILNS1_25lookback_scan_determinismE0ELb1ES3_N6thrust23THRUST_200600_302600_NS6detail15normal_iteratorINS9_10device_ptrIiEEEENSB_INSC_IfEEEESG_fNS9_4plusIvEENS9_8equal_toIvEEfEE10hipError_tPvRmT2_T3_T4_T5_mT6_T7_P12ihipStream_tbENKUlT_T0_E_clISt17integral_constantIbLb0EES11_EEDaSW_SX_EUlSW_E_NS1_11comp_targetILNS1_3genE5ELNS1_11target_archE942ELNS1_3gpuE9ELNS1_3repE0EEENS1_30default_config_static_selectorELNS0_4arch9wavefront6targetE0EEEvT1_,@function
_ZN7rocprim17ROCPRIM_400000_NS6detail17trampoline_kernelINS0_14default_configENS1_27scan_by_key_config_selectorIifEEZZNS1_16scan_by_key_implILNS1_25lookback_scan_determinismE0ELb1ES3_N6thrust23THRUST_200600_302600_NS6detail15normal_iteratorINS9_10device_ptrIiEEEENSB_INSC_IfEEEESG_fNS9_4plusIvEENS9_8equal_toIvEEfEE10hipError_tPvRmT2_T3_T4_T5_mT6_T7_P12ihipStream_tbENKUlT_T0_E_clISt17integral_constantIbLb0EES11_EEDaSW_SX_EUlSW_E_NS1_11comp_targetILNS1_3genE5ELNS1_11target_archE942ELNS1_3gpuE9ELNS1_3repE0EEENS1_30default_config_static_selectorELNS0_4arch9wavefront6targetE0EEEvT1_: ; @_ZN7rocprim17ROCPRIM_400000_NS6detail17trampoline_kernelINS0_14default_configENS1_27scan_by_key_config_selectorIifEEZZNS1_16scan_by_key_implILNS1_25lookback_scan_determinismE0ELb1ES3_N6thrust23THRUST_200600_302600_NS6detail15normal_iteratorINS9_10device_ptrIiEEEENSB_INSC_IfEEEESG_fNS9_4plusIvEENS9_8equal_toIvEEfEE10hipError_tPvRmT2_T3_T4_T5_mT6_T7_P12ihipStream_tbENKUlT_T0_E_clISt17integral_constantIbLb0EES11_EEDaSW_SX_EUlSW_E_NS1_11comp_targetILNS1_3genE5ELNS1_11target_archE942ELNS1_3gpuE9ELNS1_3repE0EEENS1_30default_config_static_selectorELNS0_4arch9wavefront6targetE0EEEvT1_
; %bb.0:
	.section	.rodata,"a",@progbits
	.p2align	6, 0x0
	.amdhsa_kernel _ZN7rocprim17ROCPRIM_400000_NS6detail17trampoline_kernelINS0_14default_configENS1_27scan_by_key_config_selectorIifEEZZNS1_16scan_by_key_implILNS1_25lookback_scan_determinismE0ELb1ES3_N6thrust23THRUST_200600_302600_NS6detail15normal_iteratorINS9_10device_ptrIiEEEENSB_INSC_IfEEEESG_fNS9_4plusIvEENS9_8equal_toIvEEfEE10hipError_tPvRmT2_T3_T4_T5_mT6_T7_P12ihipStream_tbENKUlT_T0_E_clISt17integral_constantIbLb0EES11_EEDaSW_SX_EUlSW_E_NS1_11comp_targetILNS1_3genE5ELNS1_11target_archE942ELNS1_3gpuE9ELNS1_3repE0EEENS1_30default_config_static_selectorELNS0_4arch9wavefront6targetE0EEEvT1_
		.amdhsa_group_segment_fixed_size 0
		.amdhsa_private_segment_fixed_size 0
		.amdhsa_kernarg_size 112
		.amdhsa_user_sgpr_count 6
		.amdhsa_user_sgpr_private_segment_buffer 1
		.amdhsa_user_sgpr_dispatch_ptr 0
		.amdhsa_user_sgpr_queue_ptr 0
		.amdhsa_user_sgpr_kernarg_segment_ptr 1
		.amdhsa_user_sgpr_dispatch_id 0
		.amdhsa_user_sgpr_flat_scratch_init 0
		.amdhsa_user_sgpr_private_segment_size 0
		.amdhsa_wavefront_size32 1
		.amdhsa_uses_dynamic_stack 0
		.amdhsa_system_sgpr_private_segment_wavefront_offset 0
		.amdhsa_system_sgpr_workgroup_id_x 1
		.amdhsa_system_sgpr_workgroup_id_y 0
		.amdhsa_system_sgpr_workgroup_id_z 0
		.amdhsa_system_sgpr_workgroup_info 0
		.amdhsa_system_vgpr_workitem_id 0
		.amdhsa_next_free_vgpr 1
		.amdhsa_next_free_sgpr 1
		.amdhsa_reserve_vcc 0
		.amdhsa_reserve_flat_scratch 0
		.amdhsa_float_round_mode_32 0
		.amdhsa_float_round_mode_16_64 0
		.amdhsa_float_denorm_mode_32 3
		.amdhsa_float_denorm_mode_16_64 3
		.amdhsa_dx10_clamp 1
		.amdhsa_ieee_mode 1
		.amdhsa_fp16_overflow 0
		.amdhsa_workgroup_processor_mode 1
		.amdhsa_memory_ordered 1
		.amdhsa_forward_progress 1
		.amdhsa_shared_vgpr_count 0
		.amdhsa_exception_fp_ieee_invalid_op 0
		.amdhsa_exception_fp_denorm_src 0
		.amdhsa_exception_fp_ieee_div_zero 0
		.amdhsa_exception_fp_ieee_overflow 0
		.amdhsa_exception_fp_ieee_underflow 0
		.amdhsa_exception_fp_ieee_inexact 0
		.amdhsa_exception_int_div_zero 0
	.end_amdhsa_kernel
	.section	.text._ZN7rocprim17ROCPRIM_400000_NS6detail17trampoline_kernelINS0_14default_configENS1_27scan_by_key_config_selectorIifEEZZNS1_16scan_by_key_implILNS1_25lookback_scan_determinismE0ELb1ES3_N6thrust23THRUST_200600_302600_NS6detail15normal_iteratorINS9_10device_ptrIiEEEENSB_INSC_IfEEEESG_fNS9_4plusIvEENS9_8equal_toIvEEfEE10hipError_tPvRmT2_T3_T4_T5_mT6_T7_P12ihipStream_tbENKUlT_T0_E_clISt17integral_constantIbLb0EES11_EEDaSW_SX_EUlSW_E_NS1_11comp_targetILNS1_3genE5ELNS1_11target_archE942ELNS1_3gpuE9ELNS1_3repE0EEENS1_30default_config_static_selectorELNS0_4arch9wavefront6targetE0EEEvT1_,"axG",@progbits,_ZN7rocprim17ROCPRIM_400000_NS6detail17trampoline_kernelINS0_14default_configENS1_27scan_by_key_config_selectorIifEEZZNS1_16scan_by_key_implILNS1_25lookback_scan_determinismE0ELb1ES3_N6thrust23THRUST_200600_302600_NS6detail15normal_iteratorINS9_10device_ptrIiEEEENSB_INSC_IfEEEESG_fNS9_4plusIvEENS9_8equal_toIvEEfEE10hipError_tPvRmT2_T3_T4_T5_mT6_T7_P12ihipStream_tbENKUlT_T0_E_clISt17integral_constantIbLb0EES11_EEDaSW_SX_EUlSW_E_NS1_11comp_targetILNS1_3genE5ELNS1_11target_archE942ELNS1_3gpuE9ELNS1_3repE0EEENS1_30default_config_static_selectorELNS0_4arch9wavefront6targetE0EEEvT1_,comdat
.Lfunc_end1429:
	.size	_ZN7rocprim17ROCPRIM_400000_NS6detail17trampoline_kernelINS0_14default_configENS1_27scan_by_key_config_selectorIifEEZZNS1_16scan_by_key_implILNS1_25lookback_scan_determinismE0ELb1ES3_N6thrust23THRUST_200600_302600_NS6detail15normal_iteratorINS9_10device_ptrIiEEEENSB_INSC_IfEEEESG_fNS9_4plusIvEENS9_8equal_toIvEEfEE10hipError_tPvRmT2_T3_T4_T5_mT6_T7_P12ihipStream_tbENKUlT_T0_E_clISt17integral_constantIbLb0EES11_EEDaSW_SX_EUlSW_E_NS1_11comp_targetILNS1_3genE5ELNS1_11target_archE942ELNS1_3gpuE9ELNS1_3repE0EEENS1_30default_config_static_selectorELNS0_4arch9wavefront6targetE0EEEvT1_, .Lfunc_end1429-_ZN7rocprim17ROCPRIM_400000_NS6detail17trampoline_kernelINS0_14default_configENS1_27scan_by_key_config_selectorIifEEZZNS1_16scan_by_key_implILNS1_25lookback_scan_determinismE0ELb1ES3_N6thrust23THRUST_200600_302600_NS6detail15normal_iteratorINS9_10device_ptrIiEEEENSB_INSC_IfEEEESG_fNS9_4plusIvEENS9_8equal_toIvEEfEE10hipError_tPvRmT2_T3_T4_T5_mT6_T7_P12ihipStream_tbENKUlT_T0_E_clISt17integral_constantIbLb0EES11_EEDaSW_SX_EUlSW_E_NS1_11comp_targetILNS1_3genE5ELNS1_11target_archE942ELNS1_3gpuE9ELNS1_3repE0EEENS1_30default_config_static_selectorELNS0_4arch9wavefront6targetE0EEEvT1_
                                        ; -- End function
	.set _ZN7rocprim17ROCPRIM_400000_NS6detail17trampoline_kernelINS0_14default_configENS1_27scan_by_key_config_selectorIifEEZZNS1_16scan_by_key_implILNS1_25lookback_scan_determinismE0ELb1ES3_N6thrust23THRUST_200600_302600_NS6detail15normal_iteratorINS9_10device_ptrIiEEEENSB_INSC_IfEEEESG_fNS9_4plusIvEENS9_8equal_toIvEEfEE10hipError_tPvRmT2_T3_T4_T5_mT6_T7_P12ihipStream_tbENKUlT_T0_E_clISt17integral_constantIbLb0EES11_EEDaSW_SX_EUlSW_E_NS1_11comp_targetILNS1_3genE5ELNS1_11target_archE942ELNS1_3gpuE9ELNS1_3repE0EEENS1_30default_config_static_selectorELNS0_4arch9wavefront6targetE0EEEvT1_.num_vgpr, 0
	.set _ZN7rocprim17ROCPRIM_400000_NS6detail17trampoline_kernelINS0_14default_configENS1_27scan_by_key_config_selectorIifEEZZNS1_16scan_by_key_implILNS1_25lookback_scan_determinismE0ELb1ES3_N6thrust23THRUST_200600_302600_NS6detail15normal_iteratorINS9_10device_ptrIiEEEENSB_INSC_IfEEEESG_fNS9_4plusIvEENS9_8equal_toIvEEfEE10hipError_tPvRmT2_T3_T4_T5_mT6_T7_P12ihipStream_tbENKUlT_T0_E_clISt17integral_constantIbLb0EES11_EEDaSW_SX_EUlSW_E_NS1_11comp_targetILNS1_3genE5ELNS1_11target_archE942ELNS1_3gpuE9ELNS1_3repE0EEENS1_30default_config_static_selectorELNS0_4arch9wavefront6targetE0EEEvT1_.num_agpr, 0
	.set _ZN7rocprim17ROCPRIM_400000_NS6detail17trampoline_kernelINS0_14default_configENS1_27scan_by_key_config_selectorIifEEZZNS1_16scan_by_key_implILNS1_25lookback_scan_determinismE0ELb1ES3_N6thrust23THRUST_200600_302600_NS6detail15normal_iteratorINS9_10device_ptrIiEEEENSB_INSC_IfEEEESG_fNS9_4plusIvEENS9_8equal_toIvEEfEE10hipError_tPvRmT2_T3_T4_T5_mT6_T7_P12ihipStream_tbENKUlT_T0_E_clISt17integral_constantIbLb0EES11_EEDaSW_SX_EUlSW_E_NS1_11comp_targetILNS1_3genE5ELNS1_11target_archE942ELNS1_3gpuE9ELNS1_3repE0EEENS1_30default_config_static_selectorELNS0_4arch9wavefront6targetE0EEEvT1_.numbered_sgpr, 0
	.set _ZN7rocprim17ROCPRIM_400000_NS6detail17trampoline_kernelINS0_14default_configENS1_27scan_by_key_config_selectorIifEEZZNS1_16scan_by_key_implILNS1_25lookback_scan_determinismE0ELb1ES3_N6thrust23THRUST_200600_302600_NS6detail15normal_iteratorINS9_10device_ptrIiEEEENSB_INSC_IfEEEESG_fNS9_4plusIvEENS9_8equal_toIvEEfEE10hipError_tPvRmT2_T3_T4_T5_mT6_T7_P12ihipStream_tbENKUlT_T0_E_clISt17integral_constantIbLb0EES11_EEDaSW_SX_EUlSW_E_NS1_11comp_targetILNS1_3genE5ELNS1_11target_archE942ELNS1_3gpuE9ELNS1_3repE0EEENS1_30default_config_static_selectorELNS0_4arch9wavefront6targetE0EEEvT1_.num_named_barrier, 0
	.set _ZN7rocprim17ROCPRIM_400000_NS6detail17trampoline_kernelINS0_14default_configENS1_27scan_by_key_config_selectorIifEEZZNS1_16scan_by_key_implILNS1_25lookback_scan_determinismE0ELb1ES3_N6thrust23THRUST_200600_302600_NS6detail15normal_iteratorINS9_10device_ptrIiEEEENSB_INSC_IfEEEESG_fNS9_4plusIvEENS9_8equal_toIvEEfEE10hipError_tPvRmT2_T3_T4_T5_mT6_T7_P12ihipStream_tbENKUlT_T0_E_clISt17integral_constantIbLb0EES11_EEDaSW_SX_EUlSW_E_NS1_11comp_targetILNS1_3genE5ELNS1_11target_archE942ELNS1_3gpuE9ELNS1_3repE0EEENS1_30default_config_static_selectorELNS0_4arch9wavefront6targetE0EEEvT1_.private_seg_size, 0
	.set _ZN7rocprim17ROCPRIM_400000_NS6detail17trampoline_kernelINS0_14default_configENS1_27scan_by_key_config_selectorIifEEZZNS1_16scan_by_key_implILNS1_25lookback_scan_determinismE0ELb1ES3_N6thrust23THRUST_200600_302600_NS6detail15normal_iteratorINS9_10device_ptrIiEEEENSB_INSC_IfEEEESG_fNS9_4plusIvEENS9_8equal_toIvEEfEE10hipError_tPvRmT2_T3_T4_T5_mT6_T7_P12ihipStream_tbENKUlT_T0_E_clISt17integral_constantIbLb0EES11_EEDaSW_SX_EUlSW_E_NS1_11comp_targetILNS1_3genE5ELNS1_11target_archE942ELNS1_3gpuE9ELNS1_3repE0EEENS1_30default_config_static_selectorELNS0_4arch9wavefront6targetE0EEEvT1_.uses_vcc, 0
	.set _ZN7rocprim17ROCPRIM_400000_NS6detail17trampoline_kernelINS0_14default_configENS1_27scan_by_key_config_selectorIifEEZZNS1_16scan_by_key_implILNS1_25lookback_scan_determinismE0ELb1ES3_N6thrust23THRUST_200600_302600_NS6detail15normal_iteratorINS9_10device_ptrIiEEEENSB_INSC_IfEEEESG_fNS9_4plusIvEENS9_8equal_toIvEEfEE10hipError_tPvRmT2_T3_T4_T5_mT6_T7_P12ihipStream_tbENKUlT_T0_E_clISt17integral_constantIbLb0EES11_EEDaSW_SX_EUlSW_E_NS1_11comp_targetILNS1_3genE5ELNS1_11target_archE942ELNS1_3gpuE9ELNS1_3repE0EEENS1_30default_config_static_selectorELNS0_4arch9wavefront6targetE0EEEvT1_.uses_flat_scratch, 0
	.set _ZN7rocprim17ROCPRIM_400000_NS6detail17trampoline_kernelINS0_14default_configENS1_27scan_by_key_config_selectorIifEEZZNS1_16scan_by_key_implILNS1_25lookback_scan_determinismE0ELb1ES3_N6thrust23THRUST_200600_302600_NS6detail15normal_iteratorINS9_10device_ptrIiEEEENSB_INSC_IfEEEESG_fNS9_4plusIvEENS9_8equal_toIvEEfEE10hipError_tPvRmT2_T3_T4_T5_mT6_T7_P12ihipStream_tbENKUlT_T0_E_clISt17integral_constantIbLb0EES11_EEDaSW_SX_EUlSW_E_NS1_11comp_targetILNS1_3genE5ELNS1_11target_archE942ELNS1_3gpuE9ELNS1_3repE0EEENS1_30default_config_static_selectorELNS0_4arch9wavefront6targetE0EEEvT1_.has_dyn_sized_stack, 0
	.set _ZN7rocprim17ROCPRIM_400000_NS6detail17trampoline_kernelINS0_14default_configENS1_27scan_by_key_config_selectorIifEEZZNS1_16scan_by_key_implILNS1_25lookback_scan_determinismE0ELb1ES3_N6thrust23THRUST_200600_302600_NS6detail15normal_iteratorINS9_10device_ptrIiEEEENSB_INSC_IfEEEESG_fNS9_4plusIvEENS9_8equal_toIvEEfEE10hipError_tPvRmT2_T3_T4_T5_mT6_T7_P12ihipStream_tbENKUlT_T0_E_clISt17integral_constantIbLb0EES11_EEDaSW_SX_EUlSW_E_NS1_11comp_targetILNS1_3genE5ELNS1_11target_archE942ELNS1_3gpuE9ELNS1_3repE0EEENS1_30default_config_static_selectorELNS0_4arch9wavefront6targetE0EEEvT1_.has_recursion, 0
	.set _ZN7rocprim17ROCPRIM_400000_NS6detail17trampoline_kernelINS0_14default_configENS1_27scan_by_key_config_selectorIifEEZZNS1_16scan_by_key_implILNS1_25lookback_scan_determinismE0ELb1ES3_N6thrust23THRUST_200600_302600_NS6detail15normal_iteratorINS9_10device_ptrIiEEEENSB_INSC_IfEEEESG_fNS9_4plusIvEENS9_8equal_toIvEEfEE10hipError_tPvRmT2_T3_T4_T5_mT6_T7_P12ihipStream_tbENKUlT_T0_E_clISt17integral_constantIbLb0EES11_EEDaSW_SX_EUlSW_E_NS1_11comp_targetILNS1_3genE5ELNS1_11target_archE942ELNS1_3gpuE9ELNS1_3repE0EEENS1_30default_config_static_selectorELNS0_4arch9wavefront6targetE0EEEvT1_.has_indirect_call, 0
	.section	.AMDGPU.csdata,"",@progbits
; Kernel info:
; codeLenInByte = 0
; TotalNumSgprs: 0
; NumVgprs: 0
; ScratchSize: 0
; MemoryBound: 0
; FloatMode: 240
; IeeeMode: 1
; LDSByteSize: 0 bytes/workgroup (compile time only)
; SGPRBlocks: 0
; VGPRBlocks: 0
; NumSGPRsForWavesPerEU: 1
; NumVGPRsForWavesPerEU: 1
; Occupancy: 16
; WaveLimiterHint : 0
; COMPUTE_PGM_RSRC2:SCRATCH_EN: 0
; COMPUTE_PGM_RSRC2:USER_SGPR: 6
; COMPUTE_PGM_RSRC2:TRAP_HANDLER: 0
; COMPUTE_PGM_RSRC2:TGID_X_EN: 1
; COMPUTE_PGM_RSRC2:TGID_Y_EN: 0
; COMPUTE_PGM_RSRC2:TGID_Z_EN: 0
; COMPUTE_PGM_RSRC2:TIDIG_COMP_CNT: 0
	.section	.text._ZN7rocprim17ROCPRIM_400000_NS6detail17trampoline_kernelINS0_14default_configENS1_27scan_by_key_config_selectorIifEEZZNS1_16scan_by_key_implILNS1_25lookback_scan_determinismE0ELb1ES3_N6thrust23THRUST_200600_302600_NS6detail15normal_iteratorINS9_10device_ptrIiEEEENSB_INSC_IfEEEESG_fNS9_4plusIvEENS9_8equal_toIvEEfEE10hipError_tPvRmT2_T3_T4_T5_mT6_T7_P12ihipStream_tbENKUlT_T0_E_clISt17integral_constantIbLb0EES11_EEDaSW_SX_EUlSW_E_NS1_11comp_targetILNS1_3genE4ELNS1_11target_archE910ELNS1_3gpuE8ELNS1_3repE0EEENS1_30default_config_static_selectorELNS0_4arch9wavefront6targetE0EEEvT1_,"axG",@progbits,_ZN7rocprim17ROCPRIM_400000_NS6detail17trampoline_kernelINS0_14default_configENS1_27scan_by_key_config_selectorIifEEZZNS1_16scan_by_key_implILNS1_25lookback_scan_determinismE0ELb1ES3_N6thrust23THRUST_200600_302600_NS6detail15normal_iteratorINS9_10device_ptrIiEEEENSB_INSC_IfEEEESG_fNS9_4plusIvEENS9_8equal_toIvEEfEE10hipError_tPvRmT2_T3_T4_T5_mT6_T7_P12ihipStream_tbENKUlT_T0_E_clISt17integral_constantIbLb0EES11_EEDaSW_SX_EUlSW_E_NS1_11comp_targetILNS1_3genE4ELNS1_11target_archE910ELNS1_3gpuE8ELNS1_3repE0EEENS1_30default_config_static_selectorELNS0_4arch9wavefront6targetE0EEEvT1_,comdat
	.protected	_ZN7rocprim17ROCPRIM_400000_NS6detail17trampoline_kernelINS0_14default_configENS1_27scan_by_key_config_selectorIifEEZZNS1_16scan_by_key_implILNS1_25lookback_scan_determinismE0ELb1ES3_N6thrust23THRUST_200600_302600_NS6detail15normal_iteratorINS9_10device_ptrIiEEEENSB_INSC_IfEEEESG_fNS9_4plusIvEENS9_8equal_toIvEEfEE10hipError_tPvRmT2_T3_T4_T5_mT6_T7_P12ihipStream_tbENKUlT_T0_E_clISt17integral_constantIbLb0EES11_EEDaSW_SX_EUlSW_E_NS1_11comp_targetILNS1_3genE4ELNS1_11target_archE910ELNS1_3gpuE8ELNS1_3repE0EEENS1_30default_config_static_selectorELNS0_4arch9wavefront6targetE0EEEvT1_ ; -- Begin function _ZN7rocprim17ROCPRIM_400000_NS6detail17trampoline_kernelINS0_14default_configENS1_27scan_by_key_config_selectorIifEEZZNS1_16scan_by_key_implILNS1_25lookback_scan_determinismE0ELb1ES3_N6thrust23THRUST_200600_302600_NS6detail15normal_iteratorINS9_10device_ptrIiEEEENSB_INSC_IfEEEESG_fNS9_4plusIvEENS9_8equal_toIvEEfEE10hipError_tPvRmT2_T3_T4_T5_mT6_T7_P12ihipStream_tbENKUlT_T0_E_clISt17integral_constantIbLb0EES11_EEDaSW_SX_EUlSW_E_NS1_11comp_targetILNS1_3genE4ELNS1_11target_archE910ELNS1_3gpuE8ELNS1_3repE0EEENS1_30default_config_static_selectorELNS0_4arch9wavefront6targetE0EEEvT1_
	.globl	_ZN7rocprim17ROCPRIM_400000_NS6detail17trampoline_kernelINS0_14default_configENS1_27scan_by_key_config_selectorIifEEZZNS1_16scan_by_key_implILNS1_25lookback_scan_determinismE0ELb1ES3_N6thrust23THRUST_200600_302600_NS6detail15normal_iteratorINS9_10device_ptrIiEEEENSB_INSC_IfEEEESG_fNS9_4plusIvEENS9_8equal_toIvEEfEE10hipError_tPvRmT2_T3_T4_T5_mT6_T7_P12ihipStream_tbENKUlT_T0_E_clISt17integral_constantIbLb0EES11_EEDaSW_SX_EUlSW_E_NS1_11comp_targetILNS1_3genE4ELNS1_11target_archE910ELNS1_3gpuE8ELNS1_3repE0EEENS1_30default_config_static_selectorELNS0_4arch9wavefront6targetE0EEEvT1_
	.p2align	8
	.type	_ZN7rocprim17ROCPRIM_400000_NS6detail17trampoline_kernelINS0_14default_configENS1_27scan_by_key_config_selectorIifEEZZNS1_16scan_by_key_implILNS1_25lookback_scan_determinismE0ELb1ES3_N6thrust23THRUST_200600_302600_NS6detail15normal_iteratorINS9_10device_ptrIiEEEENSB_INSC_IfEEEESG_fNS9_4plusIvEENS9_8equal_toIvEEfEE10hipError_tPvRmT2_T3_T4_T5_mT6_T7_P12ihipStream_tbENKUlT_T0_E_clISt17integral_constantIbLb0EES11_EEDaSW_SX_EUlSW_E_NS1_11comp_targetILNS1_3genE4ELNS1_11target_archE910ELNS1_3gpuE8ELNS1_3repE0EEENS1_30default_config_static_selectorELNS0_4arch9wavefront6targetE0EEEvT1_,@function
_ZN7rocprim17ROCPRIM_400000_NS6detail17trampoline_kernelINS0_14default_configENS1_27scan_by_key_config_selectorIifEEZZNS1_16scan_by_key_implILNS1_25lookback_scan_determinismE0ELb1ES3_N6thrust23THRUST_200600_302600_NS6detail15normal_iteratorINS9_10device_ptrIiEEEENSB_INSC_IfEEEESG_fNS9_4plusIvEENS9_8equal_toIvEEfEE10hipError_tPvRmT2_T3_T4_T5_mT6_T7_P12ihipStream_tbENKUlT_T0_E_clISt17integral_constantIbLb0EES11_EEDaSW_SX_EUlSW_E_NS1_11comp_targetILNS1_3genE4ELNS1_11target_archE910ELNS1_3gpuE8ELNS1_3repE0EEENS1_30default_config_static_selectorELNS0_4arch9wavefront6targetE0EEEvT1_: ; @_ZN7rocprim17ROCPRIM_400000_NS6detail17trampoline_kernelINS0_14default_configENS1_27scan_by_key_config_selectorIifEEZZNS1_16scan_by_key_implILNS1_25lookback_scan_determinismE0ELb1ES3_N6thrust23THRUST_200600_302600_NS6detail15normal_iteratorINS9_10device_ptrIiEEEENSB_INSC_IfEEEESG_fNS9_4plusIvEENS9_8equal_toIvEEfEE10hipError_tPvRmT2_T3_T4_T5_mT6_T7_P12ihipStream_tbENKUlT_T0_E_clISt17integral_constantIbLb0EES11_EEDaSW_SX_EUlSW_E_NS1_11comp_targetILNS1_3genE4ELNS1_11target_archE910ELNS1_3gpuE8ELNS1_3repE0EEENS1_30default_config_static_selectorELNS0_4arch9wavefront6targetE0EEEvT1_
; %bb.0:
	.section	.rodata,"a",@progbits
	.p2align	6, 0x0
	.amdhsa_kernel _ZN7rocprim17ROCPRIM_400000_NS6detail17trampoline_kernelINS0_14default_configENS1_27scan_by_key_config_selectorIifEEZZNS1_16scan_by_key_implILNS1_25lookback_scan_determinismE0ELb1ES3_N6thrust23THRUST_200600_302600_NS6detail15normal_iteratorINS9_10device_ptrIiEEEENSB_INSC_IfEEEESG_fNS9_4plusIvEENS9_8equal_toIvEEfEE10hipError_tPvRmT2_T3_T4_T5_mT6_T7_P12ihipStream_tbENKUlT_T0_E_clISt17integral_constantIbLb0EES11_EEDaSW_SX_EUlSW_E_NS1_11comp_targetILNS1_3genE4ELNS1_11target_archE910ELNS1_3gpuE8ELNS1_3repE0EEENS1_30default_config_static_selectorELNS0_4arch9wavefront6targetE0EEEvT1_
		.amdhsa_group_segment_fixed_size 0
		.amdhsa_private_segment_fixed_size 0
		.amdhsa_kernarg_size 112
		.amdhsa_user_sgpr_count 6
		.amdhsa_user_sgpr_private_segment_buffer 1
		.amdhsa_user_sgpr_dispatch_ptr 0
		.amdhsa_user_sgpr_queue_ptr 0
		.amdhsa_user_sgpr_kernarg_segment_ptr 1
		.amdhsa_user_sgpr_dispatch_id 0
		.amdhsa_user_sgpr_flat_scratch_init 0
		.amdhsa_user_sgpr_private_segment_size 0
		.amdhsa_wavefront_size32 1
		.amdhsa_uses_dynamic_stack 0
		.amdhsa_system_sgpr_private_segment_wavefront_offset 0
		.amdhsa_system_sgpr_workgroup_id_x 1
		.amdhsa_system_sgpr_workgroup_id_y 0
		.amdhsa_system_sgpr_workgroup_id_z 0
		.amdhsa_system_sgpr_workgroup_info 0
		.amdhsa_system_vgpr_workitem_id 0
		.amdhsa_next_free_vgpr 1
		.amdhsa_next_free_sgpr 1
		.amdhsa_reserve_vcc 0
		.amdhsa_reserve_flat_scratch 0
		.amdhsa_float_round_mode_32 0
		.amdhsa_float_round_mode_16_64 0
		.amdhsa_float_denorm_mode_32 3
		.amdhsa_float_denorm_mode_16_64 3
		.amdhsa_dx10_clamp 1
		.amdhsa_ieee_mode 1
		.amdhsa_fp16_overflow 0
		.amdhsa_workgroup_processor_mode 1
		.amdhsa_memory_ordered 1
		.amdhsa_forward_progress 1
		.amdhsa_shared_vgpr_count 0
		.amdhsa_exception_fp_ieee_invalid_op 0
		.amdhsa_exception_fp_denorm_src 0
		.amdhsa_exception_fp_ieee_div_zero 0
		.amdhsa_exception_fp_ieee_overflow 0
		.amdhsa_exception_fp_ieee_underflow 0
		.amdhsa_exception_fp_ieee_inexact 0
		.amdhsa_exception_int_div_zero 0
	.end_amdhsa_kernel
	.section	.text._ZN7rocprim17ROCPRIM_400000_NS6detail17trampoline_kernelINS0_14default_configENS1_27scan_by_key_config_selectorIifEEZZNS1_16scan_by_key_implILNS1_25lookback_scan_determinismE0ELb1ES3_N6thrust23THRUST_200600_302600_NS6detail15normal_iteratorINS9_10device_ptrIiEEEENSB_INSC_IfEEEESG_fNS9_4plusIvEENS9_8equal_toIvEEfEE10hipError_tPvRmT2_T3_T4_T5_mT6_T7_P12ihipStream_tbENKUlT_T0_E_clISt17integral_constantIbLb0EES11_EEDaSW_SX_EUlSW_E_NS1_11comp_targetILNS1_3genE4ELNS1_11target_archE910ELNS1_3gpuE8ELNS1_3repE0EEENS1_30default_config_static_selectorELNS0_4arch9wavefront6targetE0EEEvT1_,"axG",@progbits,_ZN7rocprim17ROCPRIM_400000_NS6detail17trampoline_kernelINS0_14default_configENS1_27scan_by_key_config_selectorIifEEZZNS1_16scan_by_key_implILNS1_25lookback_scan_determinismE0ELb1ES3_N6thrust23THRUST_200600_302600_NS6detail15normal_iteratorINS9_10device_ptrIiEEEENSB_INSC_IfEEEESG_fNS9_4plusIvEENS9_8equal_toIvEEfEE10hipError_tPvRmT2_T3_T4_T5_mT6_T7_P12ihipStream_tbENKUlT_T0_E_clISt17integral_constantIbLb0EES11_EEDaSW_SX_EUlSW_E_NS1_11comp_targetILNS1_3genE4ELNS1_11target_archE910ELNS1_3gpuE8ELNS1_3repE0EEENS1_30default_config_static_selectorELNS0_4arch9wavefront6targetE0EEEvT1_,comdat
.Lfunc_end1430:
	.size	_ZN7rocprim17ROCPRIM_400000_NS6detail17trampoline_kernelINS0_14default_configENS1_27scan_by_key_config_selectorIifEEZZNS1_16scan_by_key_implILNS1_25lookback_scan_determinismE0ELb1ES3_N6thrust23THRUST_200600_302600_NS6detail15normal_iteratorINS9_10device_ptrIiEEEENSB_INSC_IfEEEESG_fNS9_4plusIvEENS9_8equal_toIvEEfEE10hipError_tPvRmT2_T3_T4_T5_mT6_T7_P12ihipStream_tbENKUlT_T0_E_clISt17integral_constantIbLb0EES11_EEDaSW_SX_EUlSW_E_NS1_11comp_targetILNS1_3genE4ELNS1_11target_archE910ELNS1_3gpuE8ELNS1_3repE0EEENS1_30default_config_static_selectorELNS0_4arch9wavefront6targetE0EEEvT1_, .Lfunc_end1430-_ZN7rocprim17ROCPRIM_400000_NS6detail17trampoline_kernelINS0_14default_configENS1_27scan_by_key_config_selectorIifEEZZNS1_16scan_by_key_implILNS1_25lookback_scan_determinismE0ELb1ES3_N6thrust23THRUST_200600_302600_NS6detail15normal_iteratorINS9_10device_ptrIiEEEENSB_INSC_IfEEEESG_fNS9_4plusIvEENS9_8equal_toIvEEfEE10hipError_tPvRmT2_T3_T4_T5_mT6_T7_P12ihipStream_tbENKUlT_T0_E_clISt17integral_constantIbLb0EES11_EEDaSW_SX_EUlSW_E_NS1_11comp_targetILNS1_3genE4ELNS1_11target_archE910ELNS1_3gpuE8ELNS1_3repE0EEENS1_30default_config_static_selectorELNS0_4arch9wavefront6targetE0EEEvT1_
                                        ; -- End function
	.set _ZN7rocprim17ROCPRIM_400000_NS6detail17trampoline_kernelINS0_14default_configENS1_27scan_by_key_config_selectorIifEEZZNS1_16scan_by_key_implILNS1_25lookback_scan_determinismE0ELb1ES3_N6thrust23THRUST_200600_302600_NS6detail15normal_iteratorINS9_10device_ptrIiEEEENSB_INSC_IfEEEESG_fNS9_4plusIvEENS9_8equal_toIvEEfEE10hipError_tPvRmT2_T3_T4_T5_mT6_T7_P12ihipStream_tbENKUlT_T0_E_clISt17integral_constantIbLb0EES11_EEDaSW_SX_EUlSW_E_NS1_11comp_targetILNS1_3genE4ELNS1_11target_archE910ELNS1_3gpuE8ELNS1_3repE0EEENS1_30default_config_static_selectorELNS0_4arch9wavefront6targetE0EEEvT1_.num_vgpr, 0
	.set _ZN7rocprim17ROCPRIM_400000_NS6detail17trampoline_kernelINS0_14default_configENS1_27scan_by_key_config_selectorIifEEZZNS1_16scan_by_key_implILNS1_25lookback_scan_determinismE0ELb1ES3_N6thrust23THRUST_200600_302600_NS6detail15normal_iteratorINS9_10device_ptrIiEEEENSB_INSC_IfEEEESG_fNS9_4plusIvEENS9_8equal_toIvEEfEE10hipError_tPvRmT2_T3_T4_T5_mT6_T7_P12ihipStream_tbENKUlT_T0_E_clISt17integral_constantIbLb0EES11_EEDaSW_SX_EUlSW_E_NS1_11comp_targetILNS1_3genE4ELNS1_11target_archE910ELNS1_3gpuE8ELNS1_3repE0EEENS1_30default_config_static_selectorELNS0_4arch9wavefront6targetE0EEEvT1_.num_agpr, 0
	.set _ZN7rocprim17ROCPRIM_400000_NS6detail17trampoline_kernelINS0_14default_configENS1_27scan_by_key_config_selectorIifEEZZNS1_16scan_by_key_implILNS1_25lookback_scan_determinismE0ELb1ES3_N6thrust23THRUST_200600_302600_NS6detail15normal_iteratorINS9_10device_ptrIiEEEENSB_INSC_IfEEEESG_fNS9_4plusIvEENS9_8equal_toIvEEfEE10hipError_tPvRmT2_T3_T4_T5_mT6_T7_P12ihipStream_tbENKUlT_T0_E_clISt17integral_constantIbLb0EES11_EEDaSW_SX_EUlSW_E_NS1_11comp_targetILNS1_3genE4ELNS1_11target_archE910ELNS1_3gpuE8ELNS1_3repE0EEENS1_30default_config_static_selectorELNS0_4arch9wavefront6targetE0EEEvT1_.numbered_sgpr, 0
	.set _ZN7rocprim17ROCPRIM_400000_NS6detail17trampoline_kernelINS0_14default_configENS1_27scan_by_key_config_selectorIifEEZZNS1_16scan_by_key_implILNS1_25lookback_scan_determinismE0ELb1ES3_N6thrust23THRUST_200600_302600_NS6detail15normal_iteratorINS9_10device_ptrIiEEEENSB_INSC_IfEEEESG_fNS9_4plusIvEENS9_8equal_toIvEEfEE10hipError_tPvRmT2_T3_T4_T5_mT6_T7_P12ihipStream_tbENKUlT_T0_E_clISt17integral_constantIbLb0EES11_EEDaSW_SX_EUlSW_E_NS1_11comp_targetILNS1_3genE4ELNS1_11target_archE910ELNS1_3gpuE8ELNS1_3repE0EEENS1_30default_config_static_selectorELNS0_4arch9wavefront6targetE0EEEvT1_.num_named_barrier, 0
	.set _ZN7rocprim17ROCPRIM_400000_NS6detail17trampoline_kernelINS0_14default_configENS1_27scan_by_key_config_selectorIifEEZZNS1_16scan_by_key_implILNS1_25lookback_scan_determinismE0ELb1ES3_N6thrust23THRUST_200600_302600_NS6detail15normal_iteratorINS9_10device_ptrIiEEEENSB_INSC_IfEEEESG_fNS9_4plusIvEENS9_8equal_toIvEEfEE10hipError_tPvRmT2_T3_T4_T5_mT6_T7_P12ihipStream_tbENKUlT_T0_E_clISt17integral_constantIbLb0EES11_EEDaSW_SX_EUlSW_E_NS1_11comp_targetILNS1_3genE4ELNS1_11target_archE910ELNS1_3gpuE8ELNS1_3repE0EEENS1_30default_config_static_selectorELNS0_4arch9wavefront6targetE0EEEvT1_.private_seg_size, 0
	.set _ZN7rocprim17ROCPRIM_400000_NS6detail17trampoline_kernelINS0_14default_configENS1_27scan_by_key_config_selectorIifEEZZNS1_16scan_by_key_implILNS1_25lookback_scan_determinismE0ELb1ES3_N6thrust23THRUST_200600_302600_NS6detail15normal_iteratorINS9_10device_ptrIiEEEENSB_INSC_IfEEEESG_fNS9_4plusIvEENS9_8equal_toIvEEfEE10hipError_tPvRmT2_T3_T4_T5_mT6_T7_P12ihipStream_tbENKUlT_T0_E_clISt17integral_constantIbLb0EES11_EEDaSW_SX_EUlSW_E_NS1_11comp_targetILNS1_3genE4ELNS1_11target_archE910ELNS1_3gpuE8ELNS1_3repE0EEENS1_30default_config_static_selectorELNS0_4arch9wavefront6targetE0EEEvT1_.uses_vcc, 0
	.set _ZN7rocprim17ROCPRIM_400000_NS6detail17trampoline_kernelINS0_14default_configENS1_27scan_by_key_config_selectorIifEEZZNS1_16scan_by_key_implILNS1_25lookback_scan_determinismE0ELb1ES3_N6thrust23THRUST_200600_302600_NS6detail15normal_iteratorINS9_10device_ptrIiEEEENSB_INSC_IfEEEESG_fNS9_4plusIvEENS9_8equal_toIvEEfEE10hipError_tPvRmT2_T3_T4_T5_mT6_T7_P12ihipStream_tbENKUlT_T0_E_clISt17integral_constantIbLb0EES11_EEDaSW_SX_EUlSW_E_NS1_11comp_targetILNS1_3genE4ELNS1_11target_archE910ELNS1_3gpuE8ELNS1_3repE0EEENS1_30default_config_static_selectorELNS0_4arch9wavefront6targetE0EEEvT1_.uses_flat_scratch, 0
	.set _ZN7rocprim17ROCPRIM_400000_NS6detail17trampoline_kernelINS0_14default_configENS1_27scan_by_key_config_selectorIifEEZZNS1_16scan_by_key_implILNS1_25lookback_scan_determinismE0ELb1ES3_N6thrust23THRUST_200600_302600_NS6detail15normal_iteratorINS9_10device_ptrIiEEEENSB_INSC_IfEEEESG_fNS9_4plusIvEENS9_8equal_toIvEEfEE10hipError_tPvRmT2_T3_T4_T5_mT6_T7_P12ihipStream_tbENKUlT_T0_E_clISt17integral_constantIbLb0EES11_EEDaSW_SX_EUlSW_E_NS1_11comp_targetILNS1_3genE4ELNS1_11target_archE910ELNS1_3gpuE8ELNS1_3repE0EEENS1_30default_config_static_selectorELNS0_4arch9wavefront6targetE0EEEvT1_.has_dyn_sized_stack, 0
	.set _ZN7rocprim17ROCPRIM_400000_NS6detail17trampoline_kernelINS0_14default_configENS1_27scan_by_key_config_selectorIifEEZZNS1_16scan_by_key_implILNS1_25lookback_scan_determinismE0ELb1ES3_N6thrust23THRUST_200600_302600_NS6detail15normal_iteratorINS9_10device_ptrIiEEEENSB_INSC_IfEEEESG_fNS9_4plusIvEENS9_8equal_toIvEEfEE10hipError_tPvRmT2_T3_T4_T5_mT6_T7_P12ihipStream_tbENKUlT_T0_E_clISt17integral_constantIbLb0EES11_EEDaSW_SX_EUlSW_E_NS1_11comp_targetILNS1_3genE4ELNS1_11target_archE910ELNS1_3gpuE8ELNS1_3repE0EEENS1_30default_config_static_selectorELNS0_4arch9wavefront6targetE0EEEvT1_.has_recursion, 0
	.set _ZN7rocprim17ROCPRIM_400000_NS6detail17trampoline_kernelINS0_14default_configENS1_27scan_by_key_config_selectorIifEEZZNS1_16scan_by_key_implILNS1_25lookback_scan_determinismE0ELb1ES3_N6thrust23THRUST_200600_302600_NS6detail15normal_iteratorINS9_10device_ptrIiEEEENSB_INSC_IfEEEESG_fNS9_4plusIvEENS9_8equal_toIvEEfEE10hipError_tPvRmT2_T3_T4_T5_mT6_T7_P12ihipStream_tbENKUlT_T0_E_clISt17integral_constantIbLb0EES11_EEDaSW_SX_EUlSW_E_NS1_11comp_targetILNS1_3genE4ELNS1_11target_archE910ELNS1_3gpuE8ELNS1_3repE0EEENS1_30default_config_static_selectorELNS0_4arch9wavefront6targetE0EEEvT1_.has_indirect_call, 0
	.section	.AMDGPU.csdata,"",@progbits
; Kernel info:
; codeLenInByte = 0
; TotalNumSgprs: 0
; NumVgprs: 0
; ScratchSize: 0
; MemoryBound: 0
; FloatMode: 240
; IeeeMode: 1
; LDSByteSize: 0 bytes/workgroup (compile time only)
; SGPRBlocks: 0
; VGPRBlocks: 0
; NumSGPRsForWavesPerEU: 1
; NumVGPRsForWavesPerEU: 1
; Occupancy: 16
; WaveLimiterHint : 0
; COMPUTE_PGM_RSRC2:SCRATCH_EN: 0
; COMPUTE_PGM_RSRC2:USER_SGPR: 6
; COMPUTE_PGM_RSRC2:TRAP_HANDLER: 0
; COMPUTE_PGM_RSRC2:TGID_X_EN: 1
; COMPUTE_PGM_RSRC2:TGID_Y_EN: 0
; COMPUTE_PGM_RSRC2:TGID_Z_EN: 0
; COMPUTE_PGM_RSRC2:TIDIG_COMP_CNT: 0
	.section	.text._ZN7rocprim17ROCPRIM_400000_NS6detail17trampoline_kernelINS0_14default_configENS1_27scan_by_key_config_selectorIifEEZZNS1_16scan_by_key_implILNS1_25lookback_scan_determinismE0ELb1ES3_N6thrust23THRUST_200600_302600_NS6detail15normal_iteratorINS9_10device_ptrIiEEEENSB_INSC_IfEEEESG_fNS9_4plusIvEENS9_8equal_toIvEEfEE10hipError_tPvRmT2_T3_T4_T5_mT6_T7_P12ihipStream_tbENKUlT_T0_E_clISt17integral_constantIbLb0EES11_EEDaSW_SX_EUlSW_E_NS1_11comp_targetILNS1_3genE3ELNS1_11target_archE908ELNS1_3gpuE7ELNS1_3repE0EEENS1_30default_config_static_selectorELNS0_4arch9wavefront6targetE0EEEvT1_,"axG",@progbits,_ZN7rocprim17ROCPRIM_400000_NS6detail17trampoline_kernelINS0_14default_configENS1_27scan_by_key_config_selectorIifEEZZNS1_16scan_by_key_implILNS1_25lookback_scan_determinismE0ELb1ES3_N6thrust23THRUST_200600_302600_NS6detail15normal_iteratorINS9_10device_ptrIiEEEENSB_INSC_IfEEEESG_fNS9_4plusIvEENS9_8equal_toIvEEfEE10hipError_tPvRmT2_T3_T4_T5_mT6_T7_P12ihipStream_tbENKUlT_T0_E_clISt17integral_constantIbLb0EES11_EEDaSW_SX_EUlSW_E_NS1_11comp_targetILNS1_3genE3ELNS1_11target_archE908ELNS1_3gpuE7ELNS1_3repE0EEENS1_30default_config_static_selectorELNS0_4arch9wavefront6targetE0EEEvT1_,comdat
	.protected	_ZN7rocprim17ROCPRIM_400000_NS6detail17trampoline_kernelINS0_14default_configENS1_27scan_by_key_config_selectorIifEEZZNS1_16scan_by_key_implILNS1_25lookback_scan_determinismE0ELb1ES3_N6thrust23THRUST_200600_302600_NS6detail15normal_iteratorINS9_10device_ptrIiEEEENSB_INSC_IfEEEESG_fNS9_4plusIvEENS9_8equal_toIvEEfEE10hipError_tPvRmT2_T3_T4_T5_mT6_T7_P12ihipStream_tbENKUlT_T0_E_clISt17integral_constantIbLb0EES11_EEDaSW_SX_EUlSW_E_NS1_11comp_targetILNS1_3genE3ELNS1_11target_archE908ELNS1_3gpuE7ELNS1_3repE0EEENS1_30default_config_static_selectorELNS0_4arch9wavefront6targetE0EEEvT1_ ; -- Begin function _ZN7rocprim17ROCPRIM_400000_NS6detail17trampoline_kernelINS0_14default_configENS1_27scan_by_key_config_selectorIifEEZZNS1_16scan_by_key_implILNS1_25lookback_scan_determinismE0ELb1ES3_N6thrust23THRUST_200600_302600_NS6detail15normal_iteratorINS9_10device_ptrIiEEEENSB_INSC_IfEEEESG_fNS9_4plusIvEENS9_8equal_toIvEEfEE10hipError_tPvRmT2_T3_T4_T5_mT6_T7_P12ihipStream_tbENKUlT_T0_E_clISt17integral_constantIbLb0EES11_EEDaSW_SX_EUlSW_E_NS1_11comp_targetILNS1_3genE3ELNS1_11target_archE908ELNS1_3gpuE7ELNS1_3repE0EEENS1_30default_config_static_selectorELNS0_4arch9wavefront6targetE0EEEvT1_
	.globl	_ZN7rocprim17ROCPRIM_400000_NS6detail17trampoline_kernelINS0_14default_configENS1_27scan_by_key_config_selectorIifEEZZNS1_16scan_by_key_implILNS1_25lookback_scan_determinismE0ELb1ES3_N6thrust23THRUST_200600_302600_NS6detail15normal_iteratorINS9_10device_ptrIiEEEENSB_INSC_IfEEEESG_fNS9_4plusIvEENS9_8equal_toIvEEfEE10hipError_tPvRmT2_T3_T4_T5_mT6_T7_P12ihipStream_tbENKUlT_T0_E_clISt17integral_constantIbLb0EES11_EEDaSW_SX_EUlSW_E_NS1_11comp_targetILNS1_3genE3ELNS1_11target_archE908ELNS1_3gpuE7ELNS1_3repE0EEENS1_30default_config_static_selectorELNS0_4arch9wavefront6targetE0EEEvT1_
	.p2align	8
	.type	_ZN7rocprim17ROCPRIM_400000_NS6detail17trampoline_kernelINS0_14default_configENS1_27scan_by_key_config_selectorIifEEZZNS1_16scan_by_key_implILNS1_25lookback_scan_determinismE0ELb1ES3_N6thrust23THRUST_200600_302600_NS6detail15normal_iteratorINS9_10device_ptrIiEEEENSB_INSC_IfEEEESG_fNS9_4plusIvEENS9_8equal_toIvEEfEE10hipError_tPvRmT2_T3_T4_T5_mT6_T7_P12ihipStream_tbENKUlT_T0_E_clISt17integral_constantIbLb0EES11_EEDaSW_SX_EUlSW_E_NS1_11comp_targetILNS1_3genE3ELNS1_11target_archE908ELNS1_3gpuE7ELNS1_3repE0EEENS1_30default_config_static_selectorELNS0_4arch9wavefront6targetE0EEEvT1_,@function
_ZN7rocprim17ROCPRIM_400000_NS6detail17trampoline_kernelINS0_14default_configENS1_27scan_by_key_config_selectorIifEEZZNS1_16scan_by_key_implILNS1_25lookback_scan_determinismE0ELb1ES3_N6thrust23THRUST_200600_302600_NS6detail15normal_iteratorINS9_10device_ptrIiEEEENSB_INSC_IfEEEESG_fNS9_4plusIvEENS9_8equal_toIvEEfEE10hipError_tPvRmT2_T3_T4_T5_mT6_T7_P12ihipStream_tbENKUlT_T0_E_clISt17integral_constantIbLb0EES11_EEDaSW_SX_EUlSW_E_NS1_11comp_targetILNS1_3genE3ELNS1_11target_archE908ELNS1_3gpuE7ELNS1_3repE0EEENS1_30default_config_static_selectorELNS0_4arch9wavefront6targetE0EEEvT1_: ; @_ZN7rocprim17ROCPRIM_400000_NS6detail17trampoline_kernelINS0_14default_configENS1_27scan_by_key_config_selectorIifEEZZNS1_16scan_by_key_implILNS1_25lookback_scan_determinismE0ELb1ES3_N6thrust23THRUST_200600_302600_NS6detail15normal_iteratorINS9_10device_ptrIiEEEENSB_INSC_IfEEEESG_fNS9_4plusIvEENS9_8equal_toIvEEfEE10hipError_tPvRmT2_T3_T4_T5_mT6_T7_P12ihipStream_tbENKUlT_T0_E_clISt17integral_constantIbLb0EES11_EEDaSW_SX_EUlSW_E_NS1_11comp_targetILNS1_3genE3ELNS1_11target_archE908ELNS1_3gpuE7ELNS1_3repE0EEENS1_30default_config_static_selectorELNS0_4arch9wavefront6targetE0EEEvT1_
; %bb.0:
	.section	.rodata,"a",@progbits
	.p2align	6, 0x0
	.amdhsa_kernel _ZN7rocprim17ROCPRIM_400000_NS6detail17trampoline_kernelINS0_14default_configENS1_27scan_by_key_config_selectorIifEEZZNS1_16scan_by_key_implILNS1_25lookback_scan_determinismE0ELb1ES3_N6thrust23THRUST_200600_302600_NS6detail15normal_iteratorINS9_10device_ptrIiEEEENSB_INSC_IfEEEESG_fNS9_4plusIvEENS9_8equal_toIvEEfEE10hipError_tPvRmT2_T3_T4_T5_mT6_T7_P12ihipStream_tbENKUlT_T0_E_clISt17integral_constantIbLb0EES11_EEDaSW_SX_EUlSW_E_NS1_11comp_targetILNS1_3genE3ELNS1_11target_archE908ELNS1_3gpuE7ELNS1_3repE0EEENS1_30default_config_static_selectorELNS0_4arch9wavefront6targetE0EEEvT1_
		.amdhsa_group_segment_fixed_size 0
		.amdhsa_private_segment_fixed_size 0
		.amdhsa_kernarg_size 112
		.amdhsa_user_sgpr_count 6
		.amdhsa_user_sgpr_private_segment_buffer 1
		.amdhsa_user_sgpr_dispatch_ptr 0
		.amdhsa_user_sgpr_queue_ptr 0
		.amdhsa_user_sgpr_kernarg_segment_ptr 1
		.amdhsa_user_sgpr_dispatch_id 0
		.amdhsa_user_sgpr_flat_scratch_init 0
		.amdhsa_user_sgpr_private_segment_size 0
		.amdhsa_wavefront_size32 1
		.amdhsa_uses_dynamic_stack 0
		.amdhsa_system_sgpr_private_segment_wavefront_offset 0
		.amdhsa_system_sgpr_workgroup_id_x 1
		.amdhsa_system_sgpr_workgroup_id_y 0
		.amdhsa_system_sgpr_workgroup_id_z 0
		.amdhsa_system_sgpr_workgroup_info 0
		.amdhsa_system_vgpr_workitem_id 0
		.amdhsa_next_free_vgpr 1
		.amdhsa_next_free_sgpr 1
		.amdhsa_reserve_vcc 0
		.amdhsa_reserve_flat_scratch 0
		.amdhsa_float_round_mode_32 0
		.amdhsa_float_round_mode_16_64 0
		.amdhsa_float_denorm_mode_32 3
		.amdhsa_float_denorm_mode_16_64 3
		.amdhsa_dx10_clamp 1
		.amdhsa_ieee_mode 1
		.amdhsa_fp16_overflow 0
		.amdhsa_workgroup_processor_mode 1
		.amdhsa_memory_ordered 1
		.amdhsa_forward_progress 1
		.amdhsa_shared_vgpr_count 0
		.amdhsa_exception_fp_ieee_invalid_op 0
		.amdhsa_exception_fp_denorm_src 0
		.amdhsa_exception_fp_ieee_div_zero 0
		.amdhsa_exception_fp_ieee_overflow 0
		.amdhsa_exception_fp_ieee_underflow 0
		.amdhsa_exception_fp_ieee_inexact 0
		.amdhsa_exception_int_div_zero 0
	.end_amdhsa_kernel
	.section	.text._ZN7rocprim17ROCPRIM_400000_NS6detail17trampoline_kernelINS0_14default_configENS1_27scan_by_key_config_selectorIifEEZZNS1_16scan_by_key_implILNS1_25lookback_scan_determinismE0ELb1ES3_N6thrust23THRUST_200600_302600_NS6detail15normal_iteratorINS9_10device_ptrIiEEEENSB_INSC_IfEEEESG_fNS9_4plusIvEENS9_8equal_toIvEEfEE10hipError_tPvRmT2_T3_T4_T5_mT6_T7_P12ihipStream_tbENKUlT_T0_E_clISt17integral_constantIbLb0EES11_EEDaSW_SX_EUlSW_E_NS1_11comp_targetILNS1_3genE3ELNS1_11target_archE908ELNS1_3gpuE7ELNS1_3repE0EEENS1_30default_config_static_selectorELNS0_4arch9wavefront6targetE0EEEvT1_,"axG",@progbits,_ZN7rocprim17ROCPRIM_400000_NS6detail17trampoline_kernelINS0_14default_configENS1_27scan_by_key_config_selectorIifEEZZNS1_16scan_by_key_implILNS1_25lookback_scan_determinismE0ELb1ES3_N6thrust23THRUST_200600_302600_NS6detail15normal_iteratorINS9_10device_ptrIiEEEENSB_INSC_IfEEEESG_fNS9_4plusIvEENS9_8equal_toIvEEfEE10hipError_tPvRmT2_T3_T4_T5_mT6_T7_P12ihipStream_tbENKUlT_T0_E_clISt17integral_constantIbLb0EES11_EEDaSW_SX_EUlSW_E_NS1_11comp_targetILNS1_3genE3ELNS1_11target_archE908ELNS1_3gpuE7ELNS1_3repE0EEENS1_30default_config_static_selectorELNS0_4arch9wavefront6targetE0EEEvT1_,comdat
.Lfunc_end1431:
	.size	_ZN7rocprim17ROCPRIM_400000_NS6detail17trampoline_kernelINS0_14default_configENS1_27scan_by_key_config_selectorIifEEZZNS1_16scan_by_key_implILNS1_25lookback_scan_determinismE0ELb1ES3_N6thrust23THRUST_200600_302600_NS6detail15normal_iteratorINS9_10device_ptrIiEEEENSB_INSC_IfEEEESG_fNS9_4plusIvEENS9_8equal_toIvEEfEE10hipError_tPvRmT2_T3_T4_T5_mT6_T7_P12ihipStream_tbENKUlT_T0_E_clISt17integral_constantIbLb0EES11_EEDaSW_SX_EUlSW_E_NS1_11comp_targetILNS1_3genE3ELNS1_11target_archE908ELNS1_3gpuE7ELNS1_3repE0EEENS1_30default_config_static_selectorELNS0_4arch9wavefront6targetE0EEEvT1_, .Lfunc_end1431-_ZN7rocprim17ROCPRIM_400000_NS6detail17trampoline_kernelINS0_14default_configENS1_27scan_by_key_config_selectorIifEEZZNS1_16scan_by_key_implILNS1_25lookback_scan_determinismE0ELb1ES3_N6thrust23THRUST_200600_302600_NS6detail15normal_iteratorINS9_10device_ptrIiEEEENSB_INSC_IfEEEESG_fNS9_4plusIvEENS9_8equal_toIvEEfEE10hipError_tPvRmT2_T3_T4_T5_mT6_T7_P12ihipStream_tbENKUlT_T0_E_clISt17integral_constantIbLb0EES11_EEDaSW_SX_EUlSW_E_NS1_11comp_targetILNS1_3genE3ELNS1_11target_archE908ELNS1_3gpuE7ELNS1_3repE0EEENS1_30default_config_static_selectorELNS0_4arch9wavefront6targetE0EEEvT1_
                                        ; -- End function
	.set _ZN7rocprim17ROCPRIM_400000_NS6detail17trampoline_kernelINS0_14default_configENS1_27scan_by_key_config_selectorIifEEZZNS1_16scan_by_key_implILNS1_25lookback_scan_determinismE0ELb1ES3_N6thrust23THRUST_200600_302600_NS6detail15normal_iteratorINS9_10device_ptrIiEEEENSB_INSC_IfEEEESG_fNS9_4plusIvEENS9_8equal_toIvEEfEE10hipError_tPvRmT2_T3_T4_T5_mT6_T7_P12ihipStream_tbENKUlT_T0_E_clISt17integral_constantIbLb0EES11_EEDaSW_SX_EUlSW_E_NS1_11comp_targetILNS1_3genE3ELNS1_11target_archE908ELNS1_3gpuE7ELNS1_3repE0EEENS1_30default_config_static_selectorELNS0_4arch9wavefront6targetE0EEEvT1_.num_vgpr, 0
	.set _ZN7rocprim17ROCPRIM_400000_NS6detail17trampoline_kernelINS0_14default_configENS1_27scan_by_key_config_selectorIifEEZZNS1_16scan_by_key_implILNS1_25lookback_scan_determinismE0ELb1ES3_N6thrust23THRUST_200600_302600_NS6detail15normal_iteratorINS9_10device_ptrIiEEEENSB_INSC_IfEEEESG_fNS9_4plusIvEENS9_8equal_toIvEEfEE10hipError_tPvRmT2_T3_T4_T5_mT6_T7_P12ihipStream_tbENKUlT_T0_E_clISt17integral_constantIbLb0EES11_EEDaSW_SX_EUlSW_E_NS1_11comp_targetILNS1_3genE3ELNS1_11target_archE908ELNS1_3gpuE7ELNS1_3repE0EEENS1_30default_config_static_selectorELNS0_4arch9wavefront6targetE0EEEvT1_.num_agpr, 0
	.set _ZN7rocprim17ROCPRIM_400000_NS6detail17trampoline_kernelINS0_14default_configENS1_27scan_by_key_config_selectorIifEEZZNS1_16scan_by_key_implILNS1_25lookback_scan_determinismE0ELb1ES3_N6thrust23THRUST_200600_302600_NS6detail15normal_iteratorINS9_10device_ptrIiEEEENSB_INSC_IfEEEESG_fNS9_4plusIvEENS9_8equal_toIvEEfEE10hipError_tPvRmT2_T3_T4_T5_mT6_T7_P12ihipStream_tbENKUlT_T0_E_clISt17integral_constantIbLb0EES11_EEDaSW_SX_EUlSW_E_NS1_11comp_targetILNS1_3genE3ELNS1_11target_archE908ELNS1_3gpuE7ELNS1_3repE0EEENS1_30default_config_static_selectorELNS0_4arch9wavefront6targetE0EEEvT1_.numbered_sgpr, 0
	.set _ZN7rocprim17ROCPRIM_400000_NS6detail17trampoline_kernelINS0_14default_configENS1_27scan_by_key_config_selectorIifEEZZNS1_16scan_by_key_implILNS1_25lookback_scan_determinismE0ELb1ES3_N6thrust23THRUST_200600_302600_NS6detail15normal_iteratorINS9_10device_ptrIiEEEENSB_INSC_IfEEEESG_fNS9_4plusIvEENS9_8equal_toIvEEfEE10hipError_tPvRmT2_T3_T4_T5_mT6_T7_P12ihipStream_tbENKUlT_T0_E_clISt17integral_constantIbLb0EES11_EEDaSW_SX_EUlSW_E_NS1_11comp_targetILNS1_3genE3ELNS1_11target_archE908ELNS1_3gpuE7ELNS1_3repE0EEENS1_30default_config_static_selectorELNS0_4arch9wavefront6targetE0EEEvT1_.num_named_barrier, 0
	.set _ZN7rocprim17ROCPRIM_400000_NS6detail17trampoline_kernelINS0_14default_configENS1_27scan_by_key_config_selectorIifEEZZNS1_16scan_by_key_implILNS1_25lookback_scan_determinismE0ELb1ES3_N6thrust23THRUST_200600_302600_NS6detail15normal_iteratorINS9_10device_ptrIiEEEENSB_INSC_IfEEEESG_fNS9_4plusIvEENS9_8equal_toIvEEfEE10hipError_tPvRmT2_T3_T4_T5_mT6_T7_P12ihipStream_tbENKUlT_T0_E_clISt17integral_constantIbLb0EES11_EEDaSW_SX_EUlSW_E_NS1_11comp_targetILNS1_3genE3ELNS1_11target_archE908ELNS1_3gpuE7ELNS1_3repE0EEENS1_30default_config_static_selectorELNS0_4arch9wavefront6targetE0EEEvT1_.private_seg_size, 0
	.set _ZN7rocprim17ROCPRIM_400000_NS6detail17trampoline_kernelINS0_14default_configENS1_27scan_by_key_config_selectorIifEEZZNS1_16scan_by_key_implILNS1_25lookback_scan_determinismE0ELb1ES3_N6thrust23THRUST_200600_302600_NS6detail15normal_iteratorINS9_10device_ptrIiEEEENSB_INSC_IfEEEESG_fNS9_4plusIvEENS9_8equal_toIvEEfEE10hipError_tPvRmT2_T3_T4_T5_mT6_T7_P12ihipStream_tbENKUlT_T0_E_clISt17integral_constantIbLb0EES11_EEDaSW_SX_EUlSW_E_NS1_11comp_targetILNS1_3genE3ELNS1_11target_archE908ELNS1_3gpuE7ELNS1_3repE0EEENS1_30default_config_static_selectorELNS0_4arch9wavefront6targetE0EEEvT1_.uses_vcc, 0
	.set _ZN7rocprim17ROCPRIM_400000_NS6detail17trampoline_kernelINS0_14default_configENS1_27scan_by_key_config_selectorIifEEZZNS1_16scan_by_key_implILNS1_25lookback_scan_determinismE0ELb1ES3_N6thrust23THRUST_200600_302600_NS6detail15normal_iteratorINS9_10device_ptrIiEEEENSB_INSC_IfEEEESG_fNS9_4plusIvEENS9_8equal_toIvEEfEE10hipError_tPvRmT2_T3_T4_T5_mT6_T7_P12ihipStream_tbENKUlT_T0_E_clISt17integral_constantIbLb0EES11_EEDaSW_SX_EUlSW_E_NS1_11comp_targetILNS1_3genE3ELNS1_11target_archE908ELNS1_3gpuE7ELNS1_3repE0EEENS1_30default_config_static_selectorELNS0_4arch9wavefront6targetE0EEEvT1_.uses_flat_scratch, 0
	.set _ZN7rocprim17ROCPRIM_400000_NS6detail17trampoline_kernelINS0_14default_configENS1_27scan_by_key_config_selectorIifEEZZNS1_16scan_by_key_implILNS1_25lookback_scan_determinismE0ELb1ES3_N6thrust23THRUST_200600_302600_NS6detail15normal_iteratorINS9_10device_ptrIiEEEENSB_INSC_IfEEEESG_fNS9_4plusIvEENS9_8equal_toIvEEfEE10hipError_tPvRmT2_T3_T4_T5_mT6_T7_P12ihipStream_tbENKUlT_T0_E_clISt17integral_constantIbLb0EES11_EEDaSW_SX_EUlSW_E_NS1_11comp_targetILNS1_3genE3ELNS1_11target_archE908ELNS1_3gpuE7ELNS1_3repE0EEENS1_30default_config_static_selectorELNS0_4arch9wavefront6targetE0EEEvT1_.has_dyn_sized_stack, 0
	.set _ZN7rocprim17ROCPRIM_400000_NS6detail17trampoline_kernelINS0_14default_configENS1_27scan_by_key_config_selectorIifEEZZNS1_16scan_by_key_implILNS1_25lookback_scan_determinismE0ELb1ES3_N6thrust23THRUST_200600_302600_NS6detail15normal_iteratorINS9_10device_ptrIiEEEENSB_INSC_IfEEEESG_fNS9_4plusIvEENS9_8equal_toIvEEfEE10hipError_tPvRmT2_T3_T4_T5_mT6_T7_P12ihipStream_tbENKUlT_T0_E_clISt17integral_constantIbLb0EES11_EEDaSW_SX_EUlSW_E_NS1_11comp_targetILNS1_3genE3ELNS1_11target_archE908ELNS1_3gpuE7ELNS1_3repE0EEENS1_30default_config_static_selectorELNS0_4arch9wavefront6targetE0EEEvT1_.has_recursion, 0
	.set _ZN7rocprim17ROCPRIM_400000_NS6detail17trampoline_kernelINS0_14default_configENS1_27scan_by_key_config_selectorIifEEZZNS1_16scan_by_key_implILNS1_25lookback_scan_determinismE0ELb1ES3_N6thrust23THRUST_200600_302600_NS6detail15normal_iteratorINS9_10device_ptrIiEEEENSB_INSC_IfEEEESG_fNS9_4plusIvEENS9_8equal_toIvEEfEE10hipError_tPvRmT2_T3_T4_T5_mT6_T7_P12ihipStream_tbENKUlT_T0_E_clISt17integral_constantIbLb0EES11_EEDaSW_SX_EUlSW_E_NS1_11comp_targetILNS1_3genE3ELNS1_11target_archE908ELNS1_3gpuE7ELNS1_3repE0EEENS1_30default_config_static_selectorELNS0_4arch9wavefront6targetE0EEEvT1_.has_indirect_call, 0
	.section	.AMDGPU.csdata,"",@progbits
; Kernel info:
; codeLenInByte = 0
; TotalNumSgprs: 0
; NumVgprs: 0
; ScratchSize: 0
; MemoryBound: 0
; FloatMode: 240
; IeeeMode: 1
; LDSByteSize: 0 bytes/workgroup (compile time only)
; SGPRBlocks: 0
; VGPRBlocks: 0
; NumSGPRsForWavesPerEU: 1
; NumVGPRsForWavesPerEU: 1
; Occupancy: 16
; WaveLimiterHint : 0
; COMPUTE_PGM_RSRC2:SCRATCH_EN: 0
; COMPUTE_PGM_RSRC2:USER_SGPR: 6
; COMPUTE_PGM_RSRC2:TRAP_HANDLER: 0
; COMPUTE_PGM_RSRC2:TGID_X_EN: 1
; COMPUTE_PGM_RSRC2:TGID_Y_EN: 0
; COMPUTE_PGM_RSRC2:TGID_Z_EN: 0
; COMPUTE_PGM_RSRC2:TIDIG_COMP_CNT: 0
	.section	.text._ZN7rocprim17ROCPRIM_400000_NS6detail17trampoline_kernelINS0_14default_configENS1_27scan_by_key_config_selectorIifEEZZNS1_16scan_by_key_implILNS1_25lookback_scan_determinismE0ELb1ES3_N6thrust23THRUST_200600_302600_NS6detail15normal_iteratorINS9_10device_ptrIiEEEENSB_INSC_IfEEEESG_fNS9_4plusIvEENS9_8equal_toIvEEfEE10hipError_tPvRmT2_T3_T4_T5_mT6_T7_P12ihipStream_tbENKUlT_T0_E_clISt17integral_constantIbLb0EES11_EEDaSW_SX_EUlSW_E_NS1_11comp_targetILNS1_3genE2ELNS1_11target_archE906ELNS1_3gpuE6ELNS1_3repE0EEENS1_30default_config_static_selectorELNS0_4arch9wavefront6targetE0EEEvT1_,"axG",@progbits,_ZN7rocprim17ROCPRIM_400000_NS6detail17trampoline_kernelINS0_14default_configENS1_27scan_by_key_config_selectorIifEEZZNS1_16scan_by_key_implILNS1_25lookback_scan_determinismE0ELb1ES3_N6thrust23THRUST_200600_302600_NS6detail15normal_iteratorINS9_10device_ptrIiEEEENSB_INSC_IfEEEESG_fNS9_4plusIvEENS9_8equal_toIvEEfEE10hipError_tPvRmT2_T3_T4_T5_mT6_T7_P12ihipStream_tbENKUlT_T0_E_clISt17integral_constantIbLb0EES11_EEDaSW_SX_EUlSW_E_NS1_11comp_targetILNS1_3genE2ELNS1_11target_archE906ELNS1_3gpuE6ELNS1_3repE0EEENS1_30default_config_static_selectorELNS0_4arch9wavefront6targetE0EEEvT1_,comdat
	.protected	_ZN7rocprim17ROCPRIM_400000_NS6detail17trampoline_kernelINS0_14default_configENS1_27scan_by_key_config_selectorIifEEZZNS1_16scan_by_key_implILNS1_25lookback_scan_determinismE0ELb1ES3_N6thrust23THRUST_200600_302600_NS6detail15normal_iteratorINS9_10device_ptrIiEEEENSB_INSC_IfEEEESG_fNS9_4plusIvEENS9_8equal_toIvEEfEE10hipError_tPvRmT2_T3_T4_T5_mT6_T7_P12ihipStream_tbENKUlT_T0_E_clISt17integral_constantIbLb0EES11_EEDaSW_SX_EUlSW_E_NS1_11comp_targetILNS1_3genE2ELNS1_11target_archE906ELNS1_3gpuE6ELNS1_3repE0EEENS1_30default_config_static_selectorELNS0_4arch9wavefront6targetE0EEEvT1_ ; -- Begin function _ZN7rocprim17ROCPRIM_400000_NS6detail17trampoline_kernelINS0_14default_configENS1_27scan_by_key_config_selectorIifEEZZNS1_16scan_by_key_implILNS1_25lookback_scan_determinismE0ELb1ES3_N6thrust23THRUST_200600_302600_NS6detail15normal_iteratorINS9_10device_ptrIiEEEENSB_INSC_IfEEEESG_fNS9_4plusIvEENS9_8equal_toIvEEfEE10hipError_tPvRmT2_T3_T4_T5_mT6_T7_P12ihipStream_tbENKUlT_T0_E_clISt17integral_constantIbLb0EES11_EEDaSW_SX_EUlSW_E_NS1_11comp_targetILNS1_3genE2ELNS1_11target_archE906ELNS1_3gpuE6ELNS1_3repE0EEENS1_30default_config_static_selectorELNS0_4arch9wavefront6targetE0EEEvT1_
	.globl	_ZN7rocprim17ROCPRIM_400000_NS6detail17trampoline_kernelINS0_14default_configENS1_27scan_by_key_config_selectorIifEEZZNS1_16scan_by_key_implILNS1_25lookback_scan_determinismE0ELb1ES3_N6thrust23THRUST_200600_302600_NS6detail15normal_iteratorINS9_10device_ptrIiEEEENSB_INSC_IfEEEESG_fNS9_4plusIvEENS9_8equal_toIvEEfEE10hipError_tPvRmT2_T3_T4_T5_mT6_T7_P12ihipStream_tbENKUlT_T0_E_clISt17integral_constantIbLb0EES11_EEDaSW_SX_EUlSW_E_NS1_11comp_targetILNS1_3genE2ELNS1_11target_archE906ELNS1_3gpuE6ELNS1_3repE0EEENS1_30default_config_static_selectorELNS0_4arch9wavefront6targetE0EEEvT1_
	.p2align	8
	.type	_ZN7rocprim17ROCPRIM_400000_NS6detail17trampoline_kernelINS0_14default_configENS1_27scan_by_key_config_selectorIifEEZZNS1_16scan_by_key_implILNS1_25lookback_scan_determinismE0ELb1ES3_N6thrust23THRUST_200600_302600_NS6detail15normal_iteratorINS9_10device_ptrIiEEEENSB_INSC_IfEEEESG_fNS9_4plusIvEENS9_8equal_toIvEEfEE10hipError_tPvRmT2_T3_T4_T5_mT6_T7_P12ihipStream_tbENKUlT_T0_E_clISt17integral_constantIbLb0EES11_EEDaSW_SX_EUlSW_E_NS1_11comp_targetILNS1_3genE2ELNS1_11target_archE906ELNS1_3gpuE6ELNS1_3repE0EEENS1_30default_config_static_selectorELNS0_4arch9wavefront6targetE0EEEvT1_,@function
_ZN7rocprim17ROCPRIM_400000_NS6detail17trampoline_kernelINS0_14default_configENS1_27scan_by_key_config_selectorIifEEZZNS1_16scan_by_key_implILNS1_25lookback_scan_determinismE0ELb1ES3_N6thrust23THRUST_200600_302600_NS6detail15normal_iteratorINS9_10device_ptrIiEEEENSB_INSC_IfEEEESG_fNS9_4plusIvEENS9_8equal_toIvEEfEE10hipError_tPvRmT2_T3_T4_T5_mT6_T7_P12ihipStream_tbENKUlT_T0_E_clISt17integral_constantIbLb0EES11_EEDaSW_SX_EUlSW_E_NS1_11comp_targetILNS1_3genE2ELNS1_11target_archE906ELNS1_3gpuE6ELNS1_3repE0EEENS1_30default_config_static_selectorELNS0_4arch9wavefront6targetE0EEEvT1_: ; @_ZN7rocprim17ROCPRIM_400000_NS6detail17trampoline_kernelINS0_14default_configENS1_27scan_by_key_config_selectorIifEEZZNS1_16scan_by_key_implILNS1_25lookback_scan_determinismE0ELb1ES3_N6thrust23THRUST_200600_302600_NS6detail15normal_iteratorINS9_10device_ptrIiEEEENSB_INSC_IfEEEESG_fNS9_4plusIvEENS9_8equal_toIvEEfEE10hipError_tPvRmT2_T3_T4_T5_mT6_T7_P12ihipStream_tbENKUlT_T0_E_clISt17integral_constantIbLb0EES11_EEDaSW_SX_EUlSW_E_NS1_11comp_targetILNS1_3genE2ELNS1_11target_archE906ELNS1_3gpuE6ELNS1_3repE0EEENS1_30default_config_static_selectorELNS0_4arch9wavefront6targetE0EEEvT1_
; %bb.0:
	.section	.rodata,"a",@progbits
	.p2align	6, 0x0
	.amdhsa_kernel _ZN7rocprim17ROCPRIM_400000_NS6detail17trampoline_kernelINS0_14default_configENS1_27scan_by_key_config_selectorIifEEZZNS1_16scan_by_key_implILNS1_25lookback_scan_determinismE0ELb1ES3_N6thrust23THRUST_200600_302600_NS6detail15normal_iteratorINS9_10device_ptrIiEEEENSB_INSC_IfEEEESG_fNS9_4plusIvEENS9_8equal_toIvEEfEE10hipError_tPvRmT2_T3_T4_T5_mT6_T7_P12ihipStream_tbENKUlT_T0_E_clISt17integral_constantIbLb0EES11_EEDaSW_SX_EUlSW_E_NS1_11comp_targetILNS1_3genE2ELNS1_11target_archE906ELNS1_3gpuE6ELNS1_3repE0EEENS1_30default_config_static_selectorELNS0_4arch9wavefront6targetE0EEEvT1_
		.amdhsa_group_segment_fixed_size 0
		.amdhsa_private_segment_fixed_size 0
		.amdhsa_kernarg_size 112
		.amdhsa_user_sgpr_count 6
		.amdhsa_user_sgpr_private_segment_buffer 1
		.amdhsa_user_sgpr_dispatch_ptr 0
		.amdhsa_user_sgpr_queue_ptr 0
		.amdhsa_user_sgpr_kernarg_segment_ptr 1
		.amdhsa_user_sgpr_dispatch_id 0
		.amdhsa_user_sgpr_flat_scratch_init 0
		.amdhsa_user_sgpr_private_segment_size 0
		.amdhsa_wavefront_size32 1
		.amdhsa_uses_dynamic_stack 0
		.amdhsa_system_sgpr_private_segment_wavefront_offset 0
		.amdhsa_system_sgpr_workgroup_id_x 1
		.amdhsa_system_sgpr_workgroup_id_y 0
		.amdhsa_system_sgpr_workgroup_id_z 0
		.amdhsa_system_sgpr_workgroup_info 0
		.amdhsa_system_vgpr_workitem_id 0
		.amdhsa_next_free_vgpr 1
		.amdhsa_next_free_sgpr 1
		.amdhsa_reserve_vcc 0
		.amdhsa_reserve_flat_scratch 0
		.amdhsa_float_round_mode_32 0
		.amdhsa_float_round_mode_16_64 0
		.amdhsa_float_denorm_mode_32 3
		.amdhsa_float_denorm_mode_16_64 3
		.amdhsa_dx10_clamp 1
		.amdhsa_ieee_mode 1
		.amdhsa_fp16_overflow 0
		.amdhsa_workgroup_processor_mode 1
		.amdhsa_memory_ordered 1
		.amdhsa_forward_progress 1
		.amdhsa_shared_vgpr_count 0
		.amdhsa_exception_fp_ieee_invalid_op 0
		.amdhsa_exception_fp_denorm_src 0
		.amdhsa_exception_fp_ieee_div_zero 0
		.amdhsa_exception_fp_ieee_overflow 0
		.amdhsa_exception_fp_ieee_underflow 0
		.amdhsa_exception_fp_ieee_inexact 0
		.amdhsa_exception_int_div_zero 0
	.end_amdhsa_kernel
	.section	.text._ZN7rocprim17ROCPRIM_400000_NS6detail17trampoline_kernelINS0_14default_configENS1_27scan_by_key_config_selectorIifEEZZNS1_16scan_by_key_implILNS1_25lookback_scan_determinismE0ELb1ES3_N6thrust23THRUST_200600_302600_NS6detail15normal_iteratorINS9_10device_ptrIiEEEENSB_INSC_IfEEEESG_fNS9_4plusIvEENS9_8equal_toIvEEfEE10hipError_tPvRmT2_T3_T4_T5_mT6_T7_P12ihipStream_tbENKUlT_T0_E_clISt17integral_constantIbLb0EES11_EEDaSW_SX_EUlSW_E_NS1_11comp_targetILNS1_3genE2ELNS1_11target_archE906ELNS1_3gpuE6ELNS1_3repE0EEENS1_30default_config_static_selectorELNS0_4arch9wavefront6targetE0EEEvT1_,"axG",@progbits,_ZN7rocprim17ROCPRIM_400000_NS6detail17trampoline_kernelINS0_14default_configENS1_27scan_by_key_config_selectorIifEEZZNS1_16scan_by_key_implILNS1_25lookback_scan_determinismE0ELb1ES3_N6thrust23THRUST_200600_302600_NS6detail15normal_iteratorINS9_10device_ptrIiEEEENSB_INSC_IfEEEESG_fNS9_4plusIvEENS9_8equal_toIvEEfEE10hipError_tPvRmT2_T3_T4_T5_mT6_T7_P12ihipStream_tbENKUlT_T0_E_clISt17integral_constantIbLb0EES11_EEDaSW_SX_EUlSW_E_NS1_11comp_targetILNS1_3genE2ELNS1_11target_archE906ELNS1_3gpuE6ELNS1_3repE0EEENS1_30default_config_static_selectorELNS0_4arch9wavefront6targetE0EEEvT1_,comdat
.Lfunc_end1432:
	.size	_ZN7rocprim17ROCPRIM_400000_NS6detail17trampoline_kernelINS0_14default_configENS1_27scan_by_key_config_selectorIifEEZZNS1_16scan_by_key_implILNS1_25lookback_scan_determinismE0ELb1ES3_N6thrust23THRUST_200600_302600_NS6detail15normal_iteratorINS9_10device_ptrIiEEEENSB_INSC_IfEEEESG_fNS9_4plusIvEENS9_8equal_toIvEEfEE10hipError_tPvRmT2_T3_T4_T5_mT6_T7_P12ihipStream_tbENKUlT_T0_E_clISt17integral_constantIbLb0EES11_EEDaSW_SX_EUlSW_E_NS1_11comp_targetILNS1_3genE2ELNS1_11target_archE906ELNS1_3gpuE6ELNS1_3repE0EEENS1_30default_config_static_selectorELNS0_4arch9wavefront6targetE0EEEvT1_, .Lfunc_end1432-_ZN7rocprim17ROCPRIM_400000_NS6detail17trampoline_kernelINS0_14default_configENS1_27scan_by_key_config_selectorIifEEZZNS1_16scan_by_key_implILNS1_25lookback_scan_determinismE0ELb1ES3_N6thrust23THRUST_200600_302600_NS6detail15normal_iteratorINS9_10device_ptrIiEEEENSB_INSC_IfEEEESG_fNS9_4plusIvEENS9_8equal_toIvEEfEE10hipError_tPvRmT2_T3_T4_T5_mT6_T7_P12ihipStream_tbENKUlT_T0_E_clISt17integral_constantIbLb0EES11_EEDaSW_SX_EUlSW_E_NS1_11comp_targetILNS1_3genE2ELNS1_11target_archE906ELNS1_3gpuE6ELNS1_3repE0EEENS1_30default_config_static_selectorELNS0_4arch9wavefront6targetE0EEEvT1_
                                        ; -- End function
	.set _ZN7rocprim17ROCPRIM_400000_NS6detail17trampoline_kernelINS0_14default_configENS1_27scan_by_key_config_selectorIifEEZZNS1_16scan_by_key_implILNS1_25lookback_scan_determinismE0ELb1ES3_N6thrust23THRUST_200600_302600_NS6detail15normal_iteratorINS9_10device_ptrIiEEEENSB_INSC_IfEEEESG_fNS9_4plusIvEENS9_8equal_toIvEEfEE10hipError_tPvRmT2_T3_T4_T5_mT6_T7_P12ihipStream_tbENKUlT_T0_E_clISt17integral_constantIbLb0EES11_EEDaSW_SX_EUlSW_E_NS1_11comp_targetILNS1_3genE2ELNS1_11target_archE906ELNS1_3gpuE6ELNS1_3repE0EEENS1_30default_config_static_selectorELNS0_4arch9wavefront6targetE0EEEvT1_.num_vgpr, 0
	.set _ZN7rocprim17ROCPRIM_400000_NS6detail17trampoline_kernelINS0_14default_configENS1_27scan_by_key_config_selectorIifEEZZNS1_16scan_by_key_implILNS1_25lookback_scan_determinismE0ELb1ES3_N6thrust23THRUST_200600_302600_NS6detail15normal_iteratorINS9_10device_ptrIiEEEENSB_INSC_IfEEEESG_fNS9_4plusIvEENS9_8equal_toIvEEfEE10hipError_tPvRmT2_T3_T4_T5_mT6_T7_P12ihipStream_tbENKUlT_T0_E_clISt17integral_constantIbLb0EES11_EEDaSW_SX_EUlSW_E_NS1_11comp_targetILNS1_3genE2ELNS1_11target_archE906ELNS1_3gpuE6ELNS1_3repE0EEENS1_30default_config_static_selectorELNS0_4arch9wavefront6targetE0EEEvT1_.num_agpr, 0
	.set _ZN7rocprim17ROCPRIM_400000_NS6detail17trampoline_kernelINS0_14default_configENS1_27scan_by_key_config_selectorIifEEZZNS1_16scan_by_key_implILNS1_25lookback_scan_determinismE0ELb1ES3_N6thrust23THRUST_200600_302600_NS6detail15normal_iteratorINS9_10device_ptrIiEEEENSB_INSC_IfEEEESG_fNS9_4plusIvEENS9_8equal_toIvEEfEE10hipError_tPvRmT2_T3_T4_T5_mT6_T7_P12ihipStream_tbENKUlT_T0_E_clISt17integral_constantIbLb0EES11_EEDaSW_SX_EUlSW_E_NS1_11comp_targetILNS1_3genE2ELNS1_11target_archE906ELNS1_3gpuE6ELNS1_3repE0EEENS1_30default_config_static_selectorELNS0_4arch9wavefront6targetE0EEEvT1_.numbered_sgpr, 0
	.set _ZN7rocprim17ROCPRIM_400000_NS6detail17trampoline_kernelINS0_14default_configENS1_27scan_by_key_config_selectorIifEEZZNS1_16scan_by_key_implILNS1_25lookback_scan_determinismE0ELb1ES3_N6thrust23THRUST_200600_302600_NS6detail15normal_iteratorINS9_10device_ptrIiEEEENSB_INSC_IfEEEESG_fNS9_4plusIvEENS9_8equal_toIvEEfEE10hipError_tPvRmT2_T3_T4_T5_mT6_T7_P12ihipStream_tbENKUlT_T0_E_clISt17integral_constantIbLb0EES11_EEDaSW_SX_EUlSW_E_NS1_11comp_targetILNS1_3genE2ELNS1_11target_archE906ELNS1_3gpuE6ELNS1_3repE0EEENS1_30default_config_static_selectorELNS0_4arch9wavefront6targetE0EEEvT1_.num_named_barrier, 0
	.set _ZN7rocprim17ROCPRIM_400000_NS6detail17trampoline_kernelINS0_14default_configENS1_27scan_by_key_config_selectorIifEEZZNS1_16scan_by_key_implILNS1_25lookback_scan_determinismE0ELb1ES3_N6thrust23THRUST_200600_302600_NS6detail15normal_iteratorINS9_10device_ptrIiEEEENSB_INSC_IfEEEESG_fNS9_4plusIvEENS9_8equal_toIvEEfEE10hipError_tPvRmT2_T3_T4_T5_mT6_T7_P12ihipStream_tbENKUlT_T0_E_clISt17integral_constantIbLb0EES11_EEDaSW_SX_EUlSW_E_NS1_11comp_targetILNS1_3genE2ELNS1_11target_archE906ELNS1_3gpuE6ELNS1_3repE0EEENS1_30default_config_static_selectorELNS0_4arch9wavefront6targetE0EEEvT1_.private_seg_size, 0
	.set _ZN7rocprim17ROCPRIM_400000_NS6detail17trampoline_kernelINS0_14default_configENS1_27scan_by_key_config_selectorIifEEZZNS1_16scan_by_key_implILNS1_25lookback_scan_determinismE0ELb1ES3_N6thrust23THRUST_200600_302600_NS6detail15normal_iteratorINS9_10device_ptrIiEEEENSB_INSC_IfEEEESG_fNS9_4plusIvEENS9_8equal_toIvEEfEE10hipError_tPvRmT2_T3_T4_T5_mT6_T7_P12ihipStream_tbENKUlT_T0_E_clISt17integral_constantIbLb0EES11_EEDaSW_SX_EUlSW_E_NS1_11comp_targetILNS1_3genE2ELNS1_11target_archE906ELNS1_3gpuE6ELNS1_3repE0EEENS1_30default_config_static_selectorELNS0_4arch9wavefront6targetE0EEEvT1_.uses_vcc, 0
	.set _ZN7rocprim17ROCPRIM_400000_NS6detail17trampoline_kernelINS0_14default_configENS1_27scan_by_key_config_selectorIifEEZZNS1_16scan_by_key_implILNS1_25lookback_scan_determinismE0ELb1ES3_N6thrust23THRUST_200600_302600_NS6detail15normal_iteratorINS9_10device_ptrIiEEEENSB_INSC_IfEEEESG_fNS9_4plusIvEENS9_8equal_toIvEEfEE10hipError_tPvRmT2_T3_T4_T5_mT6_T7_P12ihipStream_tbENKUlT_T0_E_clISt17integral_constantIbLb0EES11_EEDaSW_SX_EUlSW_E_NS1_11comp_targetILNS1_3genE2ELNS1_11target_archE906ELNS1_3gpuE6ELNS1_3repE0EEENS1_30default_config_static_selectorELNS0_4arch9wavefront6targetE0EEEvT1_.uses_flat_scratch, 0
	.set _ZN7rocprim17ROCPRIM_400000_NS6detail17trampoline_kernelINS0_14default_configENS1_27scan_by_key_config_selectorIifEEZZNS1_16scan_by_key_implILNS1_25lookback_scan_determinismE0ELb1ES3_N6thrust23THRUST_200600_302600_NS6detail15normal_iteratorINS9_10device_ptrIiEEEENSB_INSC_IfEEEESG_fNS9_4plusIvEENS9_8equal_toIvEEfEE10hipError_tPvRmT2_T3_T4_T5_mT6_T7_P12ihipStream_tbENKUlT_T0_E_clISt17integral_constantIbLb0EES11_EEDaSW_SX_EUlSW_E_NS1_11comp_targetILNS1_3genE2ELNS1_11target_archE906ELNS1_3gpuE6ELNS1_3repE0EEENS1_30default_config_static_selectorELNS0_4arch9wavefront6targetE0EEEvT1_.has_dyn_sized_stack, 0
	.set _ZN7rocprim17ROCPRIM_400000_NS6detail17trampoline_kernelINS0_14default_configENS1_27scan_by_key_config_selectorIifEEZZNS1_16scan_by_key_implILNS1_25lookback_scan_determinismE0ELb1ES3_N6thrust23THRUST_200600_302600_NS6detail15normal_iteratorINS9_10device_ptrIiEEEENSB_INSC_IfEEEESG_fNS9_4plusIvEENS9_8equal_toIvEEfEE10hipError_tPvRmT2_T3_T4_T5_mT6_T7_P12ihipStream_tbENKUlT_T0_E_clISt17integral_constantIbLb0EES11_EEDaSW_SX_EUlSW_E_NS1_11comp_targetILNS1_3genE2ELNS1_11target_archE906ELNS1_3gpuE6ELNS1_3repE0EEENS1_30default_config_static_selectorELNS0_4arch9wavefront6targetE0EEEvT1_.has_recursion, 0
	.set _ZN7rocprim17ROCPRIM_400000_NS6detail17trampoline_kernelINS0_14default_configENS1_27scan_by_key_config_selectorIifEEZZNS1_16scan_by_key_implILNS1_25lookback_scan_determinismE0ELb1ES3_N6thrust23THRUST_200600_302600_NS6detail15normal_iteratorINS9_10device_ptrIiEEEENSB_INSC_IfEEEESG_fNS9_4plusIvEENS9_8equal_toIvEEfEE10hipError_tPvRmT2_T3_T4_T5_mT6_T7_P12ihipStream_tbENKUlT_T0_E_clISt17integral_constantIbLb0EES11_EEDaSW_SX_EUlSW_E_NS1_11comp_targetILNS1_3genE2ELNS1_11target_archE906ELNS1_3gpuE6ELNS1_3repE0EEENS1_30default_config_static_selectorELNS0_4arch9wavefront6targetE0EEEvT1_.has_indirect_call, 0
	.section	.AMDGPU.csdata,"",@progbits
; Kernel info:
; codeLenInByte = 0
; TotalNumSgprs: 0
; NumVgprs: 0
; ScratchSize: 0
; MemoryBound: 0
; FloatMode: 240
; IeeeMode: 1
; LDSByteSize: 0 bytes/workgroup (compile time only)
; SGPRBlocks: 0
; VGPRBlocks: 0
; NumSGPRsForWavesPerEU: 1
; NumVGPRsForWavesPerEU: 1
; Occupancy: 16
; WaveLimiterHint : 0
; COMPUTE_PGM_RSRC2:SCRATCH_EN: 0
; COMPUTE_PGM_RSRC2:USER_SGPR: 6
; COMPUTE_PGM_RSRC2:TRAP_HANDLER: 0
; COMPUTE_PGM_RSRC2:TGID_X_EN: 1
; COMPUTE_PGM_RSRC2:TGID_Y_EN: 0
; COMPUTE_PGM_RSRC2:TGID_Z_EN: 0
; COMPUTE_PGM_RSRC2:TIDIG_COMP_CNT: 0
	.section	.text._ZN7rocprim17ROCPRIM_400000_NS6detail17trampoline_kernelINS0_14default_configENS1_27scan_by_key_config_selectorIifEEZZNS1_16scan_by_key_implILNS1_25lookback_scan_determinismE0ELb1ES3_N6thrust23THRUST_200600_302600_NS6detail15normal_iteratorINS9_10device_ptrIiEEEENSB_INSC_IfEEEESG_fNS9_4plusIvEENS9_8equal_toIvEEfEE10hipError_tPvRmT2_T3_T4_T5_mT6_T7_P12ihipStream_tbENKUlT_T0_E_clISt17integral_constantIbLb0EES11_EEDaSW_SX_EUlSW_E_NS1_11comp_targetILNS1_3genE10ELNS1_11target_archE1200ELNS1_3gpuE4ELNS1_3repE0EEENS1_30default_config_static_selectorELNS0_4arch9wavefront6targetE0EEEvT1_,"axG",@progbits,_ZN7rocprim17ROCPRIM_400000_NS6detail17trampoline_kernelINS0_14default_configENS1_27scan_by_key_config_selectorIifEEZZNS1_16scan_by_key_implILNS1_25lookback_scan_determinismE0ELb1ES3_N6thrust23THRUST_200600_302600_NS6detail15normal_iteratorINS9_10device_ptrIiEEEENSB_INSC_IfEEEESG_fNS9_4plusIvEENS9_8equal_toIvEEfEE10hipError_tPvRmT2_T3_T4_T5_mT6_T7_P12ihipStream_tbENKUlT_T0_E_clISt17integral_constantIbLb0EES11_EEDaSW_SX_EUlSW_E_NS1_11comp_targetILNS1_3genE10ELNS1_11target_archE1200ELNS1_3gpuE4ELNS1_3repE0EEENS1_30default_config_static_selectorELNS0_4arch9wavefront6targetE0EEEvT1_,comdat
	.protected	_ZN7rocprim17ROCPRIM_400000_NS6detail17trampoline_kernelINS0_14default_configENS1_27scan_by_key_config_selectorIifEEZZNS1_16scan_by_key_implILNS1_25lookback_scan_determinismE0ELb1ES3_N6thrust23THRUST_200600_302600_NS6detail15normal_iteratorINS9_10device_ptrIiEEEENSB_INSC_IfEEEESG_fNS9_4plusIvEENS9_8equal_toIvEEfEE10hipError_tPvRmT2_T3_T4_T5_mT6_T7_P12ihipStream_tbENKUlT_T0_E_clISt17integral_constantIbLb0EES11_EEDaSW_SX_EUlSW_E_NS1_11comp_targetILNS1_3genE10ELNS1_11target_archE1200ELNS1_3gpuE4ELNS1_3repE0EEENS1_30default_config_static_selectorELNS0_4arch9wavefront6targetE0EEEvT1_ ; -- Begin function _ZN7rocprim17ROCPRIM_400000_NS6detail17trampoline_kernelINS0_14default_configENS1_27scan_by_key_config_selectorIifEEZZNS1_16scan_by_key_implILNS1_25lookback_scan_determinismE0ELb1ES3_N6thrust23THRUST_200600_302600_NS6detail15normal_iteratorINS9_10device_ptrIiEEEENSB_INSC_IfEEEESG_fNS9_4plusIvEENS9_8equal_toIvEEfEE10hipError_tPvRmT2_T3_T4_T5_mT6_T7_P12ihipStream_tbENKUlT_T0_E_clISt17integral_constantIbLb0EES11_EEDaSW_SX_EUlSW_E_NS1_11comp_targetILNS1_3genE10ELNS1_11target_archE1200ELNS1_3gpuE4ELNS1_3repE0EEENS1_30default_config_static_selectorELNS0_4arch9wavefront6targetE0EEEvT1_
	.globl	_ZN7rocprim17ROCPRIM_400000_NS6detail17trampoline_kernelINS0_14default_configENS1_27scan_by_key_config_selectorIifEEZZNS1_16scan_by_key_implILNS1_25lookback_scan_determinismE0ELb1ES3_N6thrust23THRUST_200600_302600_NS6detail15normal_iteratorINS9_10device_ptrIiEEEENSB_INSC_IfEEEESG_fNS9_4plusIvEENS9_8equal_toIvEEfEE10hipError_tPvRmT2_T3_T4_T5_mT6_T7_P12ihipStream_tbENKUlT_T0_E_clISt17integral_constantIbLb0EES11_EEDaSW_SX_EUlSW_E_NS1_11comp_targetILNS1_3genE10ELNS1_11target_archE1200ELNS1_3gpuE4ELNS1_3repE0EEENS1_30default_config_static_selectorELNS0_4arch9wavefront6targetE0EEEvT1_
	.p2align	8
	.type	_ZN7rocprim17ROCPRIM_400000_NS6detail17trampoline_kernelINS0_14default_configENS1_27scan_by_key_config_selectorIifEEZZNS1_16scan_by_key_implILNS1_25lookback_scan_determinismE0ELb1ES3_N6thrust23THRUST_200600_302600_NS6detail15normal_iteratorINS9_10device_ptrIiEEEENSB_INSC_IfEEEESG_fNS9_4plusIvEENS9_8equal_toIvEEfEE10hipError_tPvRmT2_T3_T4_T5_mT6_T7_P12ihipStream_tbENKUlT_T0_E_clISt17integral_constantIbLb0EES11_EEDaSW_SX_EUlSW_E_NS1_11comp_targetILNS1_3genE10ELNS1_11target_archE1200ELNS1_3gpuE4ELNS1_3repE0EEENS1_30default_config_static_selectorELNS0_4arch9wavefront6targetE0EEEvT1_,@function
_ZN7rocprim17ROCPRIM_400000_NS6detail17trampoline_kernelINS0_14default_configENS1_27scan_by_key_config_selectorIifEEZZNS1_16scan_by_key_implILNS1_25lookback_scan_determinismE0ELb1ES3_N6thrust23THRUST_200600_302600_NS6detail15normal_iteratorINS9_10device_ptrIiEEEENSB_INSC_IfEEEESG_fNS9_4plusIvEENS9_8equal_toIvEEfEE10hipError_tPvRmT2_T3_T4_T5_mT6_T7_P12ihipStream_tbENKUlT_T0_E_clISt17integral_constantIbLb0EES11_EEDaSW_SX_EUlSW_E_NS1_11comp_targetILNS1_3genE10ELNS1_11target_archE1200ELNS1_3gpuE4ELNS1_3repE0EEENS1_30default_config_static_selectorELNS0_4arch9wavefront6targetE0EEEvT1_: ; @_ZN7rocprim17ROCPRIM_400000_NS6detail17trampoline_kernelINS0_14default_configENS1_27scan_by_key_config_selectorIifEEZZNS1_16scan_by_key_implILNS1_25lookback_scan_determinismE0ELb1ES3_N6thrust23THRUST_200600_302600_NS6detail15normal_iteratorINS9_10device_ptrIiEEEENSB_INSC_IfEEEESG_fNS9_4plusIvEENS9_8equal_toIvEEfEE10hipError_tPvRmT2_T3_T4_T5_mT6_T7_P12ihipStream_tbENKUlT_T0_E_clISt17integral_constantIbLb0EES11_EEDaSW_SX_EUlSW_E_NS1_11comp_targetILNS1_3genE10ELNS1_11target_archE1200ELNS1_3gpuE4ELNS1_3repE0EEENS1_30default_config_static_selectorELNS0_4arch9wavefront6targetE0EEEvT1_
; %bb.0:
	.section	.rodata,"a",@progbits
	.p2align	6, 0x0
	.amdhsa_kernel _ZN7rocprim17ROCPRIM_400000_NS6detail17trampoline_kernelINS0_14default_configENS1_27scan_by_key_config_selectorIifEEZZNS1_16scan_by_key_implILNS1_25lookback_scan_determinismE0ELb1ES3_N6thrust23THRUST_200600_302600_NS6detail15normal_iteratorINS9_10device_ptrIiEEEENSB_INSC_IfEEEESG_fNS9_4plusIvEENS9_8equal_toIvEEfEE10hipError_tPvRmT2_T3_T4_T5_mT6_T7_P12ihipStream_tbENKUlT_T0_E_clISt17integral_constantIbLb0EES11_EEDaSW_SX_EUlSW_E_NS1_11comp_targetILNS1_3genE10ELNS1_11target_archE1200ELNS1_3gpuE4ELNS1_3repE0EEENS1_30default_config_static_selectorELNS0_4arch9wavefront6targetE0EEEvT1_
		.amdhsa_group_segment_fixed_size 0
		.amdhsa_private_segment_fixed_size 0
		.amdhsa_kernarg_size 112
		.amdhsa_user_sgpr_count 6
		.amdhsa_user_sgpr_private_segment_buffer 1
		.amdhsa_user_sgpr_dispatch_ptr 0
		.amdhsa_user_sgpr_queue_ptr 0
		.amdhsa_user_sgpr_kernarg_segment_ptr 1
		.amdhsa_user_sgpr_dispatch_id 0
		.amdhsa_user_sgpr_flat_scratch_init 0
		.amdhsa_user_sgpr_private_segment_size 0
		.amdhsa_wavefront_size32 1
		.amdhsa_uses_dynamic_stack 0
		.amdhsa_system_sgpr_private_segment_wavefront_offset 0
		.amdhsa_system_sgpr_workgroup_id_x 1
		.amdhsa_system_sgpr_workgroup_id_y 0
		.amdhsa_system_sgpr_workgroup_id_z 0
		.amdhsa_system_sgpr_workgroup_info 0
		.amdhsa_system_vgpr_workitem_id 0
		.amdhsa_next_free_vgpr 1
		.amdhsa_next_free_sgpr 1
		.amdhsa_reserve_vcc 0
		.amdhsa_reserve_flat_scratch 0
		.amdhsa_float_round_mode_32 0
		.amdhsa_float_round_mode_16_64 0
		.amdhsa_float_denorm_mode_32 3
		.amdhsa_float_denorm_mode_16_64 3
		.amdhsa_dx10_clamp 1
		.amdhsa_ieee_mode 1
		.amdhsa_fp16_overflow 0
		.amdhsa_workgroup_processor_mode 1
		.amdhsa_memory_ordered 1
		.amdhsa_forward_progress 1
		.amdhsa_shared_vgpr_count 0
		.amdhsa_exception_fp_ieee_invalid_op 0
		.amdhsa_exception_fp_denorm_src 0
		.amdhsa_exception_fp_ieee_div_zero 0
		.amdhsa_exception_fp_ieee_overflow 0
		.amdhsa_exception_fp_ieee_underflow 0
		.amdhsa_exception_fp_ieee_inexact 0
		.amdhsa_exception_int_div_zero 0
	.end_amdhsa_kernel
	.section	.text._ZN7rocprim17ROCPRIM_400000_NS6detail17trampoline_kernelINS0_14default_configENS1_27scan_by_key_config_selectorIifEEZZNS1_16scan_by_key_implILNS1_25lookback_scan_determinismE0ELb1ES3_N6thrust23THRUST_200600_302600_NS6detail15normal_iteratorINS9_10device_ptrIiEEEENSB_INSC_IfEEEESG_fNS9_4plusIvEENS9_8equal_toIvEEfEE10hipError_tPvRmT2_T3_T4_T5_mT6_T7_P12ihipStream_tbENKUlT_T0_E_clISt17integral_constantIbLb0EES11_EEDaSW_SX_EUlSW_E_NS1_11comp_targetILNS1_3genE10ELNS1_11target_archE1200ELNS1_3gpuE4ELNS1_3repE0EEENS1_30default_config_static_selectorELNS0_4arch9wavefront6targetE0EEEvT1_,"axG",@progbits,_ZN7rocprim17ROCPRIM_400000_NS6detail17trampoline_kernelINS0_14default_configENS1_27scan_by_key_config_selectorIifEEZZNS1_16scan_by_key_implILNS1_25lookback_scan_determinismE0ELb1ES3_N6thrust23THRUST_200600_302600_NS6detail15normal_iteratorINS9_10device_ptrIiEEEENSB_INSC_IfEEEESG_fNS9_4plusIvEENS9_8equal_toIvEEfEE10hipError_tPvRmT2_T3_T4_T5_mT6_T7_P12ihipStream_tbENKUlT_T0_E_clISt17integral_constantIbLb0EES11_EEDaSW_SX_EUlSW_E_NS1_11comp_targetILNS1_3genE10ELNS1_11target_archE1200ELNS1_3gpuE4ELNS1_3repE0EEENS1_30default_config_static_selectorELNS0_4arch9wavefront6targetE0EEEvT1_,comdat
.Lfunc_end1433:
	.size	_ZN7rocprim17ROCPRIM_400000_NS6detail17trampoline_kernelINS0_14default_configENS1_27scan_by_key_config_selectorIifEEZZNS1_16scan_by_key_implILNS1_25lookback_scan_determinismE0ELb1ES3_N6thrust23THRUST_200600_302600_NS6detail15normal_iteratorINS9_10device_ptrIiEEEENSB_INSC_IfEEEESG_fNS9_4plusIvEENS9_8equal_toIvEEfEE10hipError_tPvRmT2_T3_T4_T5_mT6_T7_P12ihipStream_tbENKUlT_T0_E_clISt17integral_constantIbLb0EES11_EEDaSW_SX_EUlSW_E_NS1_11comp_targetILNS1_3genE10ELNS1_11target_archE1200ELNS1_3gpuE4ELNS1_3repE0EEENS1_30default_config_static_selectorELNS0_4arch9wavefront6targetE0EEEvT1_, .Lfunc_end1433-_ZN7rocprim17ROCPRIM_400000_NS6detail17trampoline_kernelINS0_14default_configENS1_27scan_by_key_config_selectorIifEEZZNS1_16scan_by_key_implILNS1_25lookback_scan_determinismE0ELb1ES3_N6thrust23THRUST_200600_302600_NS6detail15normal_iteratorINS9_10device_ptrIiEEEENSB_INSC_IfEEEESG_fNS9_4plusIvEENS9_8equal_toIvEEfEE10hipError_tPvRmT2_T3_T4_T5_mT6_T7_P12ihipStream_tbENKUlT_T0_E_clISt17integral_constantIbLb0EES11_EEDaSW_SX_EUlSW_E_NS1_11comp_targetILNS1_3genE10ELNS1_11target_archE1200ELNS1_3gpuE4ELNS1_3repE0EEENS1_30default_config_static_selectorELNS0_4arch9wavefront6targetE0EEEvT1_
                                        ; -- End function
	.set _ZN7rocprim17ROCPRIM_400000_NS6detail17trampoline_kernelINS0_14default_configENS1_27scan_by_key_config_selectorIifEEZZNS1_16scan_by_key_implILNS1_25lookback_scan_determinismE0ELb1ES3_N6thrust23THRUST_200600_302600_NS6detail15normal_iteratorINS9_10device_ptrIiEEEENSB_INSC_IfEEEESG_fNS9_4plusIvEENS9_8equal_toIvEEfEE10hipError_tPvRmT2_T3_T4_T5_mT6_T7_P12ihipStream_tbENKUlT_T0_E_clISt17integral_constantIbLb0EES11_EEDaSW_SX_EUlSW_E_NS1_11comp_targetILNS1_3genE10ELNS1_11target_archE1200ELNS1_3gpuE4ELNS1_3repE0EEENS1_30default_config_static_selectorELNS0_4arch9wavefront6targetE0EEEvT1_.num_vgpr, 0
	.set _ZN7rocprim17ROCPRIM_400000_NS6detail17trampoline_kernelINS0_14default_configENS1_27scan_by_key_config_selectorIifEEZZNS1_16scan_by_key_implILNS1_25lookback_scan_determinismE0ELb1ES3_N6thrust23THRUST_200600_302600_NS6detail15normal_iteratorINS9_10device_ptrIiEEEENSB_INSC_IfEEEESG_fNS9_4plusIvEENS9_8equal_toIvEEfEE10hipError_tPvRmT2_T3_T4_T5_mT6_T7_P12ihipStream_tbENKUlT_T0_E_clISt17integral_constantIbLb0EES11_EEDaSW_SX_EUlSW_E_NS1_11comp_targetILNS1_3genE10ELNS1_11target_archE1200ELNS1_3gpuE4ELNS1_3repE0EEENS1_30default_config_static_selectorELNS0_4arch9wavefront6targetE0EEEvT1_.num_agpr, 0
	.set _ZN7rocprim17ROCPRIM_400000_NS6detail17trampoline_kernelINS0_14default_configENS1_27scan_by_key_config_selectorIifEEZZNS1_16scan_by_key_implILNS1_25lookback_scan_determinismE0ELb1ES3_N6thrust23THRUST_200600_302600_NS6detail15normal_iteratorINS9_10device_ptrIiEEEENSB_INSC_IfEEEESG_fNS9_4plusIvEENS9_8equal_toIvEEfEE10hipError_tPvRmT2_T3_T4_T5_mT6_T7_P12ihipStream_tbENKUlT_T0_E_clISt17integral_constantIbLb0EES11_EEDaSW_SX_EUlSW_E_NS1_11comp_targetILNS1_3genE10ELNS1_11target_archE1200ELNS1_3gpuE4ELNS1_3repE0EEENS1_30default_config_static_selectorELNS0_4arch9wavefront6targetE0EEEvT1_.numbered_sgpr, 0
	.set _ZN7rocprim17ROCPRIM_400000_NS6detail17trampoline_kernelINS0_14default_configENS1_27scan_by_key_config_selectorIifEEZZNS1_16scan_by_key_implILNS1_25lookback_scan_determinismE0ELb1ES3_N6thrust23THRUST_200600_302600_NS6detail15normal_iteratorINS9_10device_ptrIiEEEENSB_INSC_IfEEEESG_fNS9_4plusIvEENS9_8equal_toIvEEfEE10hipError_tPvRmT2_T3_T4_T5_mT6_T7_P12ihipStream_tbENKUlT_T0_E_clISt17integral_constantIbLb0EES11_EEDaSW_SX_EUlSW_E_NS1_11comp_targetILNS1_3genE10ELNS1_11target_archE1200ELNS1_3gpuE4ELNS1_3repE0EEENS1_30default_config_static_selectorELNS0_4arch9wavefront6targetE0EEEvT1_.num_named_barrier, 0
	.set _ZN7rocprim17ROCPRIM_400000_NS6detail17trampoline_kernelINS0_14default_configENS1_27scan_by_key_config_selectorIifEEZZNS1_16scan_by_key_implILNS1_25lookback_scan_determinismE0ELb1ES3_N6thrust23THRUST_200600_302600_NS6detail15normal_iteratorINS9_10device_ptrIiEEEENSB_INSC_IfEEEESG_fNS9_4plusIvEENS9_8equal_toIvEEfEE10hipError_tPvRmT2_T3_T4_T5_mT6_T7_P12ihipStream_tbENKUlT_T0_E_clISt17integral_constantIbLb0EES11_EEDaSW_SX_EUlSW_E_NS1_11comp_targetILNS1_3genE10ELNS1_11target_archE1200ELNS1_3gpuE4ELNS1_3repE0EEENS1_30default_config_static_selectorELNS0_4arch9wavefront6targetE0EEEvT1_.private_seg_size, 0
	.set _ZN7rocprim17ROCPRIM_400000_NS6detail17trampoline_kernelINS0_14default_configENS1_27scan_by_key_config_selectorIifEEZZNS1_16scan_by_key_implILNS1_25lookback_scan_determinismE0ELb1ES3_N6thrust23THRUST_200600_302600_NS6detail15normal_iteratorINS9_10device_ptrIiEEEENSB_INSC_IfEEEESG_fNS9_4plusIvEENS9_8equal_toIvEEfEE10hipError_tPvRmT2_T3_T4_T5_mT6_T7_P12ihipStream_tbENKUlT_T0_E_clISt17integral_constantIbLb0EES11_EEDaSW_SX_EUlSW_E_NS1_11comp_targetILNS1_3genE10ELNS1_11target_archE1200ELNS1_3gpuE4ELNS1_3repE0EEENS1_30default_config_static_selectorELNS0_4arch9wavefront6targetE0EEEvT1_.uses_vcc, 0
	.set _ZN7rocprim17ROCPRIM_400000_NS6detail17trampoline_kernelINS0_14default_configENS1_27scan_by_key_config_selectorIifEEZZNS1_16scan_by_key_implILNS1_25lookback_scan_determinismE0ELb1ES3_N6thrust23THRUST_200600_302600_NS6detail15normal_iteratorINS9_10device_ptrIiEEEENSB_INSC_IfEEEESG_fNS9_4plusIvEENS9_8equal_toIvEEfEE10hipError_tPvRmT2_T3_T4_T5_mT6_T7_P12ihipStream_tbENKUlT_T0_E_clISt17integral_constantIbLb0EES11_EEDaSW_SX_EUlSW_E_NS1_11comp_targetILNS1_3genE10ELNS1_11target_archE1200ELNS1_3gpuE4ELNS1_3repE0EEENS1_30default_config_static_selectorELNS0_4arch9wavefront6targetE0EEEvT1_.uses_flat_scratch, 0
	.set _ZN7rocprim17ROCPRIM_400000_NS6detail17trampoline_kernelINS0_14default_configENS1_27scan_by_key_config_selectorIifEEZZNS1_16scan_by_key_implILNS1_25lookback_scan_determinismE0ELb1ES3_N6thrust23THRUST_200600_302600_NS6detail15normal_iteratorINS9_10device_ptrIiEEEENSB_INSC_IfEEEESG_fNS9_4plusIvEENS9_8equal_toIvEEfEE10hipError_tPvRmT2_T3_T4_T5_mT6_T7_P12ihipStream_tbENKUlT_T0_E_clISt17integral_constantIbLb0EES11_EEDaSW_SX_EUlSW_E_NS1_11comp_targetILNS1_3genE10ELNS1_11target_archE1200ELNS1_3gpuE4ELNS1_3repE0EEENS1_30default_config_static_selectorELNS0_4arch9wavefront6targetE0EEEvT1_.has_dyn_sized_stack, 0
	.set _ZN7rocprim17ROCPRIM_400000_NS6detail17trampoline_kernelINS0_14default_configENS1_27scan_by_key_config_selectorIifEEZZNS1_16scan_by_key_implILNS1_25lookback_scan_determinismE0ELb1ES3_N6thrust23THRUST_200600_302600_NS6detail15normal_iteratorINS9_10device_ptrIiEEEENSB_INSC_IfEEEESG_fNS9_4plusIvEENS9_8equal_toIvEEfEE10hipError_tPvRmT2_T3_T4_T5_mT6_T7_P12ihipStream_tbENKUlT_T0_E_clISt17integral_constantIbLb0EES11_EEDaSW_SX_EUlSW_E_NS1_11comp_targetILNS1_3genE10ELNS1_11target_archE1200ELNS1_3gpuE4ELNS1_3repE0EEENS1_30default_config_static_selectorELNS0_4arch9wavefront6targetE0EEEvT1_.has_recursion, 0
	.set _ZN7rocprim17ROCPRIM_400000_NS6detail17trampoline_kernelINS0_14default_configENS1_27scan_by_key_config_selectorIifEEZZNS1_16scan_by_key_implILNS1_25lookback_scan_determinismE0ELb1ES3_N6thrust23THRUST_200600_302600_NS6detail15normal_iteratorINS9_10device_ptrIiEEEENSB_INSC_IfEEEESG_fNS9_4plusIvEENS9_8equal_toIvEEfEE10hipError_tPvRmT2_T3_T4_T5_mT6_T7_P12ihipStream_tbENKUlT_T0_E_clISt17integral_constantIbLb0EES11_EEDaSW_SX_EUlSW_E_NS1_11comp_targetILNS1_3genE10ELNS1_11target_archE1200ELNS1_3gpuE4ELNS1_3repE0EEENS1_30default_config_static_selectorELNS0_4arch9wavefront6targetE0EEEvT1_.has_indirect_call, 0
	.section	.AMDGPU.csdata,"",@progbits
; Kernel info:
; codeLenInByte = 0
; TotalNumSgprs: 0
; NumVgprs: 0
; ScratchSize: 0
; MemoryBound: 0
; FloatMode: 240
; IeeeMode: 1
; LDSByteSize: 0 bytes/workgroup (compile time only)
; SGPRBlocks: 0
; VGPRBlocks: 0
; NumSGPRsForWavesPerEU: 1
; NumVGPRsForWavesPerEU: 1
; Occupancy: 16
; WaveLimiterHint : 0
; COMPUTE_PGM_RSRC2:SCRATCH_EN: 0
; COMPUTE_PGM_RSRC2:USER_SGPR: 6
; COMPUTE_PGM_RSRC2:TRAP_HANDLER: 0
; COMPUTE_PGM_RSRC2:TGID_X_EN: 1
; COMPUTE_PGM_RSRC2:TGID_Y_EN: 0
; COMPUTE_PGM_RSRC2:TGID_Z_EN: 0
; COMPUTE_PGM_RSRC2:TIDIG_COMP_CNT: 0
	.section	.text._ZN7rocprim17ROCPRIM_400000_NS6detail17trampoline_kernelINS0_14default_configENS1_27scan_by_key_config_selectorIifEEZZNS1_16scan_by_key_implILNS1_25lookback_scan_determinismE0ELb1ES3_N6thrust23THRUST_200600_302600_NS6detail15normal_iteratorINS9_10device_ptrIiEEEENSB_INSC_IfEEEESG_fNS9_4plusIvEENS9_8equal_toIvEEfEE10hipError_tPvRmT2_T3_T4_T5_mT6_T7_P12ihipStream_tbENKUlT_T0_E_clISt17integral_constantIbLb0EES11_EEDaSW_SX_EUlSW_E_NS1_11comp_targetILNS1_3genE9ELNS1_11target_archE1100ELNS1_3gpuE3ELNS1_3repE0EEENS1_30default_config_static_selectorELNS0_4arch9wavefront6targetE0EEEvT1_,"axG",@progbits,_ZN7rocprim17ROCPRIM_400000_NS6detail17trampoline_kernelINS0_14default_configENS1_27scan_by_key_config_selectorIifEEZZNS1_16scan_by_key_implILNS1_25lookback_scan_determinismE0ELb1ES3_N6thrust23THRUST_200600_302600_NS6detail15normal_iteratorINS9_10device_ptrIiEEEENSB_INSC_IfEEEESG_fNS9_4plusIvEENS9_8equal_toIvEEfEE10hipError_tPvRmT2_T3_T4_T5_mT6_T7_P12ihipStream_tbENKUlT_T0_E_clISt17integral_constantIbLb0EES11_EEDaSW_SX_EUlSW_E_NS1_11comp_targetILNS1_3genE9ELNS1_11target_archE1100ELNS1_3gpuE3ELNS1_3repE0EEENS1_30default_config_static_selectorELNS0_4arch9wavefront6targetE0EEEvT1_,comdat
	.protected	_ZN7rocprim17ROCPRIM_400000_NS6detail17trampoline_kernelINS0_14default_configENS1_27scan_by_key_config_selectorIifEEZZNS1_16scan_by_key_implILNS1_25lookback_scan_determinismE0ELb1ES3_N6thrust23THRUST_200600_302600_NS6detail15normal_iteratorINS9_10device_ptrIiEEEENSB_INSC_IfEEEESG_fNS9_4plusIvEENS9_8equal_toIvEEfEE10hipError_tPvRmT2_T3_T4_T5_mT6_T7_P12ihipStream_tbENKUlT_T0_E_clISt17integral_constantIbLb0EES11_EEDaSW_SX_EUlSW_E_NS1_11comp_targetILNS1_3genE9ELNS1_11target_archE1100ELNS1_3gpuE3ELNS1_3repE0EEENS1_30default_config_static_selectorELNS0_4arch9wavefront6targetE0EEEvT1_ ; -- Begin function _ZN7rocprim17ROCPRIM_400000_NS6detail17trampoline_kernelINS0_14default_configENS1_27scan_by_key_config_selectorIifEEZZNS1_16scan_by_key_implILNS1_25lookback_scan_determinismE0ELb1ES3_N6thrust23THRUST_200600_302600_NS6detail15normal_iteratorINS9_10device_ptrIiEEEENSB_INSC_IfEEEESG_fNS9_4plusIvEENS9_8equal_toIvEEfEE10hipError_tPvRmT2_T3_T4_T5_mT6_T7_P12ihipStream_tbENKUlT_T0_E_clISt17integral_constantIbLb0EES11_EEDaSW_SX_EUlSW_E_NS1_11comp_targetILNS1_3genE9ELNS1_11target_archE1100ELNS1_3gpuE3ELNS1_3repE0EEENS1_30default_config_static_selectorELNS0_4arch9wavefront6targetE0EEEvT1_
	.globl	_ZN7rocprim17ROCPRIM_400000_NS6detail17trampoline_kernelINS0_14default_configENS1_27scan_by_key_config_selectorIifEEZZNS1_16scan_by_key_implILNS1_25lookback_scan_determinismE0ELb1ES3_N6thrust23THRUST_200600_302600_NS6detail15normal_iteratorINS9_10device_ptrIiEEEENSB_INSC_IfEEEESG_fNS9_4plusIvEENS9_8equal_toIvEEfEE10hipError_tPvRmT2_T3_T4_T5_mT6_T7_P12ihipStream_tbENKUlT_T0_E_clISt17integral_constantIbLb0EES11_EEDaSW_SX_EUlSW_E_NS1_11comp_targetILNS1_3genE9ELNS1_11target_archE1100ELNS1_3gpuE3ELNS1_3repE0EEENS1_30default_config_static_selectorELNS0_4arch9wavefront6targetE0EEEvT1_
	.p2align	8
	.type	_ZN7rocprim17ROCPRIM_400000_NS6detail17trampoline_kernelINS0_14default_configENS1_27scan_by_key_config_selectorIifEEZZNS1_16scan_by_key_implILNS1_25lookback_scan_determinismE0ELb1ES3_N6thrust23THRUST_200600_302600_NS6detail15normal_iteratorINS9_10device_ptrIiEEEENSB_INSC_IfEEEESG_fNS9_4plusIvEENS9_8equal_toIvEEfEE10hipError_tPvRmT2_T3_T4_T5_mT6_T7_P12ihipStream_tbENKUlT_T0_E_clISt17integral_constantIbLb0EES11_EEDaSW_SX_EUlSW_E_NS1_11comp_targetILNS1_3genE9ELNS1_11target_archE1100ELNS1_3gpuE3ELNS1_3repE0EEENS1_30default_config_static_selectorELNS0_4arch9wavefront6targetE0EEEvT1_,@function
_ZN7rocprim17ROCPRIM_400000_NS6detail17trampoline_kernelINS0_14default_configENS1_27scan_by_key_config_selectorIifEEZZNS1_16scan_by_key_implILNS1_25lookback_scan_determinismE0ELb1ES3_N6thrust23THRUST_200600_302600_NS6detail15normal_iteratorINS9_10device_ptrIiEEEENSB_INSC_IfEEEESG_fNS9_4plusIvEENS9_8equal_toIvEEfEE10hipError_tPvRmT2_T3_T4_T5_mT6_T7_P12ihipStream_tbENKUlT_T0_E_clISt17integral_constantIbLb0EES11_EEDaSW_SX_EUlSW_E_NS1_11comp_targetILNS1_3genE9ELNS1_11target_archE1100ELNS1_3gpuE3ELNS1_3repE0EEENS1_30default_config_static_selectorELNS0_4arch9wavefront6targetE0EEEvT1_: ; @_ZN7rocprim17ROCPRIM_400000_NS6detail17trampoline_kernelINS0_14default_configENS1_27scan_by_key_config_selectorIifEEZZNS1_16scan_by_key_implILNS1_25lookback_scan_determinismE0ELb1ES3_N6thrust23THRUST_200600_302600_NS6detail15normal_iteratorINS9_10device_ptrIiEEEENSB_INSC_IfEEEESG_fNS9_4plusIvEENS9_8equal_toIvEEfEE10hipError_tPvRmT2_T3_T4_T5_mT6_T7_P12ihipStream_tbENKUlT_T0_E_clISt17integral_constantIbLb0EES11_EEDaSW_SX_EUlSW_E_NS1_11comp_targetILNS1_3genE9ELNS1_11target_archE1100ELNS1_3gpuE3ELNS1_3repE0EEENS1_30default_config_static_selectorELNS0_4arch9wavefront6targetE0EEEvT1_
; %bb.0:
	.section	.rodata,"a",@progbits
	.p2align	6, 0x0
	.amdhsa_kernel _ZN7rocprim17ROCPRIM_400000_NS6detail17trampoline_kernelINS0_14default_configENS1_27scan_by_key_config_selectorIifEEZZNS1_16scan_by_key_implILNS1_25lookback_scan_determinismE0ELb1ES3_N6thrust23THRUST_200600_302600_NS6detail15normal_iteratorINS9_10device_ptrIiEEEENSB_INSC_IfEEEESG_fNS9_4plusIvEENS9_8equal_toIvEEfEE10hipError_tPvRmT2_T3_T4_T5_mT6_T7_P12ihipStream_tbENKUlT_T0_E_clISt17integral_constantIbLb0EES11_EEDaSW_SX_EUlSW_E_NS1_11comp_targetILNS1_3genE9ELNS1_11target_archE1100ELNS1_3gpuE3ELNS1_3repE0EEENS1_30default_config_static_selectorELNS0_4arch9wavefront6targetE0EEEvT1_
		.amdhsa_group_segment_fixed_size 0
		.amdhsa_private_segment_fixed_size 0
		.amdhsa_kernarg_size 112
		.amdhsa_user_sgpr_count 6
		.amdhsa_user_sgpr_private_segment_buffer 1
		.amdhsa_user_sgpr_dispatch_ptr 0
		.amdhsa_user_sgpr_queue_ptr 0
		.amdhsa_user_sgpr_kernarg_segment_ptr 1
		.amdhsa_user_sgpr_dispatch_id 0
		.amdhsa_user_sgpr_flat_scratch_init 0
		.amdhsa_user_sgpr_private_segment_size 0
		.amdhsa_wavefront_size32 1
		.amdhsa_uses_dynamic_stack 0
		.amdhsa_system_sgpr_private_segment_wavefront_offset 0
		.amdhsa_system_sgpr_workgroup_id_x 1
		.amdhsa_system_sgpr_workgroup_id_y 0
		.amdhsa_system_sgpr_workgroup_id_z 0
		.amdhsa_system_sgpr_workgroup_info 0
		.amdhsa_system_vgpr_workitem_id 0
		.amdhsa_next_free_vgpr 1
		.amdhsa_next_free_sgpr 1
		.amdhsa_reserve_vcc 0
		.amdhsa_reserve_flat_scratch 0
		.amdhsa_float_round_mode_32 0
		.amdhsa_float_round_mode_16_64 0
		.amdhsa_float_denorm_mode_32 3
		.amdhsa_float_denorm_mode_16_64 3
		.amdhsa_dx10_clamp 1
		.amdhsa_ieee_mode 1
		.amdhsa_fp16_overflow 0
		.amdhsa_workgroup_processor_mode 1
		.amdhsa_memory_ordered 1
		.amdhsa_forward_progress 1
		.amdhsa_shared_vgpr_count 0
		.amdhsa_exception_fp_ieee_invalid_op 0
		.amdhsa_exception_fp_denorm_src 0
		.amdhsa_exception_fp_ieee_div_zero 0
		.amdhsa_exception_fp_ieee_overflow 0
		.amdhsa_exception_fp_ieee_underflow 0
		.amdhsa_exception_fp_ieee_inexact 0
		.amdhsa_exception_int_div_zero 0
	.end_amdhsa_kernel
	.section	.text._ZN7rocprim17ROCPRIM_400000_NS6detail17trampoline_kernelINS0_14default_configENS1_27scan_by_key_config_selectorIifEEZZNS1_16scan_by_key_implILNS1_25lookback_scan_determinismE0ELb1ES3_N6thrust23THRUST_200600_302600_NS6detail15normal_iteratorINS9_10device_ptrIiEEEENSB_INSC_IfEEEESG_fNS9_4plusIvEENS9_8equal_toIvEEfEE10hipError_tPvRmT2_T3_T4_T5_mT6_T7_P12ihipStream_tbENKUlT_T0_E_clISt17integral_constantIbLb0EES11_EEDaSW_SX_EUlSW_E_NS1_11comp_targetILNS1_3genE9ELNS1_11target_archE1100ELNS1_3gpuE3ELNS1_3repE0EEENS1_30default_config_static_selectorELNS0_4arch9wavefront6targetE0EEEvT1_,"axG",@progbits,_ZN7rocprim17ROCPRIM_400000_NS6detail17trampoline_kernelINS0_14default_configENS1_27scan_by_key_config_selectorIifEEZZNS1_16scan_by_key_implILNS1_25lookback_scan_determinismE0ELb1ES3_N6thrust23THRUST_200600_302600_NS6detail15normal_iteratorINS9_10device_ptrIiEEEENSB_INSC_IfEEEESG_fNS9_4plusIvEENS9_8equal_toIvEEfEE10hipError_tPvRmT2_T3_T4_T5_mT6_T7_P12ihipStream_tbENKUlT_T0_E_clISt17integral_constantIbLb0EES11_EEDaSW_SX_EUlSW_E_NS1_11comp_targetILNS1_3genE9ELNS1_11target_archE1100ELNS1_3gpuE3ELNS1_3repE0EEENS1_30default_config_static_selectorELNS0_4arch9wavefront6targetE0EEEvT1_,comdat
.Lfunc_end1434:
	.size	_ZN7rocprim17ROCPRIM_400000_NS6detail17trampoline_kernelINS0_14default_configENS1_27scan_by_key_config_selectorIifEEZZNS1_16scan_by_key_implILNS1_25lookback_scan_determinismE0ELb1ES3_N6thrust23THRUST_200600_302600_NS6detail15normal_iteratorINS9_10device_ptrIiEEEENSB_INSC_IfEEEESG_fNS9_4plusIvEENS9_8equal_toIvEEfEE10hipError_tPvRmT2_T3_T4_T5_mT6_T7_P12ihipStream_tbENKUlT_T0_E_clISt17integral_constantIbLb0EES11_EEDaSW_SX_EUlSW_E_NS1_11comp_targetILNS1_3genE9ELNS1_11target_archE1100ELNS1_3gpuE3ELNS1_3repE0EEENS1_30default_config_static_selectorELNS0_4arch9wavefront6targetE0EEEvT1_, .Lfunc_end1434-_ZN7rocprim17ROCPRIM_400000_NS6detail17trampoline_kernelINS0_14default_configENS1_27scan_by_key_config_selectorIifEEZZNS1_16scan_by_key_implILNS1_25lookback_scan_determinismE0ELb1ES3_N6thrust23THRUST_200600_302600_NS6detail15normal_iteratorINS9_10device_ptrIiEEEENSB_INSC_IfEEEESG_fNS9_4plusIvEENS9_8equal_toIvEEfEE10hipError_tPvRmT2_T3_T4_T5_mT6_T7_P12ihipStream_tbENKUlT_T0_E_clISt17integral_constantIbLb0EES11_EEDaSW_SX_EUlSW_E_NS1_11comp_targetILNS1_3genE9ELNS1_11target_archE1100ELNS1_3gpuE3ELNS1_3repE0EEENS1_30default_config_static_selectorELNS0_4arch9wavefront6targetE0EEEvT1_
                                        ; -- End function
	.set _ZN7rocprim17ROCPRIM_400000_NS6detail17trampoline_kernelINS0_14default_configENS1_27scan_by_key_config_selectorIifEEZZNS1_16scan_by_key_implILNS1_25lookback_scan_determinismE0ELb1ES3_N6thrust23THRUST_200600_302600_NS6detail15normal_iteratorINS9_10device_ptrIiEEEENSB_INSC_IfEEEESG_fNS9_4plusIvEENS9_8equal_toIvEEfEE10hipError_tPvRmT2_T3_T4_T5_mT6_T7_P12ihipStream_tbENKUlT_T0_E_clISt17integral_constantIbLb0EES11_EEDaSW_SX_EUlSW_E_NS1_11comp_targetILNS1_3genE9ELNS1_11target_archE1100ELNS1_3gpuE3ELNS1_3repE0EEENS1_30default_config_static_selectorELNS0_4arch9wavefront6targetE0EEEvT1_.num_vgpr, 0
	.set _ZN7rocprim17ROCPRIM_400000_NS6detail17trampoline_kernelINS0_14default_configENS1_27scan_by_key_config_selectorIifEEZZNS1_16scan_by_key_implILNS1_25lookback_scan_determinismE0ELb1ES3_N6thrust23THRUST_200600_302600_NS6detail15normal_iteratorINS9_10device_ptrIiEEEENSB_INSC_IfEEEESG_fNS9_4plusIvEENS9_8equal_toIvEEfEE10hipError_tPvRmT2_T3_T4_T5_mT6_T7_P12ihipStream_tbENKUlT_T0_E_clISt17integral_constantIbLb0EES11_EEDaSW_SX_EUlSW_E_NS1_11comp_targetILNS1_3genE9ELNS1_11target_archE1100ELNS1_3gpuE3ELNS1_3repE0EEENS1_30default_config_static_selectorELNS0_4arch9wavefront6targetE0EEEvT1_.num_agpr, 0
	.set _ZN7rocprim17ROCPRIM_400000_NS6detail17trampoline_kernelINS0_14default_configENS1_27scan_by_key_config_selectorIifEEZZNS1_16scan_by_key_implILNS1_25lookback_scan_determinismE0ELb1ES3_N6thrust23THRUST_200600_302600_NS6detail15normal_iteratorINS9_10device_ptrIiEEEENSB_INSC_IfEEEESG_fNS9_4plusIvEENS9_8equal_toIvEEfEE10hipError_tPvRmT2_T3_T4_T5_mT6_T7_P12ihipStream_tbENKUlT_T0_E_clISt17integral_constantIbLb0EES11_EEDaSW_SX_EUlSW_E_NS1_11comp_targetILNS1_3genE9ELNS1_11target_archE1100ELNS1_3gpuE3ELNS1_3repE0EEENS1_30default_config_static_selectorELNS0_4arch9wavefront6targetE0EEEvT1_.numbered_sgpr, 0
	.set _ZN7rocprim17ROCPRIM_400000_NS6detail17trampoline_kernelINS0_14default_configENS1_27scan_by_key_config_selectorIifEEZZNS1_16scan_by_key_implILNS1_25lookback_scan_determinismE0ELb1ES3_N6thrust23THRUST_200600_302600_NS6detail15normal_iteratorINS9_10device_ptrIiEEEENSB_INSC_IfEEEESG_fNS9_4plusIvEENS9_8equal_toIvEEfEE10hipError_tPvRmT2_T3_T4_T5_mT6_T7_P12ihipStream_tbENKUlT_T0_E_clISt17integral_constantIbLb0EES11_EEDaSW_SX_EUlSW_E_NS1_11comp_targetILNS1_3genE9ELNS1_11target_archE1100ELNS1_3gpuE3ELNS1_3repE0EEENS1_30default_config_static_selectorELNS0_4arch9wavefront6targetE0EEEvT1_.num_named_barrier, 0
	.set _ZN7rocprim17ROCPRIM_400000_NS6detail17trampoline_kernelINS0_14default_configENS1_27scan_by_key_config_selectorIifEEZZNS1_16scan_by_key_implILNS1_25lookback_scan_determinismE0ELb1ES3_N6thrust23THRUST_200600_302600_NS6detail15normal_iteratorINS9_10device_ptrIiEEEENSB_INSC_IfEEEESG_fNS9_4plusIvEENS9_8equal_toIvEEfEE10hipError_tPvRmT2_T3_T4_T5_mT6_T7_P12ihipStream_tbENKUlT_T0_E_clISt17integral_constantIbLb0EES11_EEDaSW_SX_EUlSW_E_NS1_11comp_targetILNS1_3genE9ELNS1_11target_archE1100ELNS1_3gpuE3ELNS1_3repE0EEENS1_30default_config_static_selectorELNS0_4arch9wavefront6targetE0EEEvT1_.private_seg_size, 0
	.set _ZN7rocprim17ROCPRIM_400000_NS6detail17trampoline_kernelINS0_14default_configENS1_27scan_by_key_config_selectorIifEEZZNS1_16scan_by_key_implILNS1_25lookback_scan_determinismE0ELb1ES3_N6thrust23THRUST_200600_302600_NS6detail15normal_iteratorINS9_10device_ptrIiEEEENSB_INSC_IfEEEESG_fNS9_4plusIvEENS9_8equal_toIvEEfEE10hipError_tPvRmT2_T3_T4_T5_mT6_T7_P12ihipStream_tbENKUlT_T0_E_clISt17integral_constantIbLb0EES11_EEDaSW_SX_EUlSW_E_NS1_11comp_targetILNS1_3genE9ELNS1_11target_archE1100ELNS1_3gpuE3ELNS1_3repE0EEENS1_30default_config_static_selectorELNS0_4arch9wavefront6targetE0EEEvT1_.uses_vcc, 0
	.set _ZN7rocprim17ROCPRIM_400000_NS6detail17trampoline_kernelINS0_14default_configENS1_27scan_by_key_config_selectorIifEEZZNS1_16scan_by_key_implILNS1_25lookback_scan_determinismE0ELb1ES3_N6thrust23THRUST_200600_302600_NS6detail15normal_iteratorINS9_10device_ptrIiEEEENSB_INSC_IfEEEESG_fNS9_4plusIvEENS9_8equal_toIvEEfEE10hipError_tPvRmT2_T3_T4_T5_mT6_T7_P12ihipStream_tbENKUlT_T0_E_clISt17integral_constantIbLb0EES11_EEDaSW_SX_EUlSW_E_NS1_11comp_targetILNS1_3genE9ELNS1_11target_archE1100ELNS1_3gpuE3ELNS1_3repE0EEENS1_30default_config_static_selectorELNS0_4arch9wavefront6targetE0EEEvT1_.uses_flat_scratch, 0
	.set _ZN7rocprim17ROCPRIM_400000_NS6detail17trampoline_kernelINS0_14default_configENS1_27scan_by_key_config_selectorIifEEZZNS1_16scan_by_key_implILNS1_25lookback_scan_determinismE0ELb1ES3_N6thrust23THRUST_200600_302600_NS6detail15normal_iteratorINS9_10device_ptrIiEEEENSB_INSC_IfEEEESG_fNS9_4plusIvEENS9_8equal_toIvEEfEE10hipError_tPvRmT2_T3_T4_T5_mT6_T7_P12ihipStream_tbENKUlT_T0_E_clISt17integral_constantIbLb0EES11_EEDaSW_SX_EUlSW_E_NS1_11comp_targetILNS1_3genE9ELNS1_11target_archE1100ELNS1_3gpuE3ELNS1_3repE0EEENS1_30default_config_static_selectorELNS0_4arch9wavefront6targetE0EEEvT1_.has_dyn_sized_stack, 0
	.set _ZN7rocprim17ROCPRIM_400000_NS6detail17trampoline_kernelINS0_14default_configENS1_27scan_by_key_config_selectorIifEEZZNS1_16scan_by_key_implILNS1_25lookback_scan_determinismE0ELb1ES3_N6thrust23THRUST_200600_302600_NS6detail15normal_iteratorINS9_10device_ptrIiEEEENSB_INSC_IfEEEESG_fNS9_4plusIvEENS9_8equal_toIvEEfEE10hipError_tPvRmT2_T3_T4_T5_mT6_T7_P12ihipStream_tbENKUlT_T0_E_clISt17integral_constantIbLb0EES11_EEDaSW_SX_EUlSW_E_NS1_11comp_targetILNS1_3genE9ELNS1_11target_archE1100ELNS1_3gpuE3ELNS1_3repE0EEENS1_30default_config_static_selectorELNS0_4arch9wavefront6targetE0EEEvT1_.has_recursion, 0
	.set _ZN7rocprim17ROCPRIM_400000_NS6detail17trampoline_kernelINS0_14default_configENS1_27scan_by_key_config_selectorIifEEZZNS1_16scan_by_key_implILNS1_25lookback_scan_determinismE0ELb1ES3_N6thrust23THRUST_200600_302600_NS6detail15normal_iteratorINS9_10device_ptrIiEEEENSB_INSC_IfEEEESG_fNS9_4plusIvEENS9_8equal_toIvEEfEE10hipError_tPvRmT2_T3_T4_T5_mT6_T7_P12ihipStream_tbENKUlT_T0_E_clISt17integral_constantIbLb0EES11_EEDaSW_SX_EUlSW_E_NS1_11comp_targetILNS1_3genE9ELNS1_11target_archE1100ELNS1_3gpuE3ELNS1_3repE0EEENS1_30default_config_static_selectorELNS0_4arch9wavefront6targetE0EEEvT1_.has_indirect_call, 0
	.section	.AMDGPU.csdata,"",@progbits
; Kernel info:
; codeLenInByte = 0
; TotalNumSgprs: 0
; NumVgprs: 0
; ScratchSize: 0
; MemoryBound: 0
; FloatMode: 240
; IeeeMode: 1
; LDSByteSize: 0 bytes/workgroup (compile time only)
; SGPRBlocks: 0
; VGPRBlocks: 0
; NumSGPRsForWavesPerEU: 1
; NumVGPRsForWavesPerEU: 1
; Occupancy: 16
; WaveLimiterHint : 0
; COMPUTE_PGM_RSRC2:SCRATCH_EN: 0
; COMPUTE_PGM_RSRC2:USER_SGPR: 6
; COMPUTE_PGM_RSRC2:TRAP_HANDLER: 0
; COMPUTE_PGM_RSRC2:TGID_X_EN: 1
; COMPUTE_PGM_RSRC2:TGID_Y_EN: 0
; COMPUTE_PGM_RSRC2:TGID_Z_EN: 0
; COMPUTE_PGM_RSRC2:TIDIG_COMP_CNT: 0
	.section	.text._ZN7rocprim17ROCPRIM_400000_NS6detail17trampoline_kernelINS0_14default_configENS1_27scan_by_key_config_selectorIifEEZZNS1_16scan_by_key_implILNS1_25lookback_scan_determinismE0ELb1ES3_N6thrust23THRUST_200600_302600_NS6detail15normal_iteratorINS9_10device_ptrIiEEEENSB_INSC_IfEEEESG_fNS9_4plusIvEENS9_8equal_toIvEEfEE10hipError_tPvRmT2_T3_T4_T5_mT6_T7_P12ihipStream_tbENKUlT_T0_E_clISt17integral_constantIbLb0EES11_EEDaSW_SX_EUlSW_E_NS1_11comp_targetILNS1_3genE8ELNS1_11target_archE1030ELNS1_3gpuE2ELNS1_3repE0EEENS1_30default_config_static_selectorELNS0_4arch9wavefront6targetE0EEEvT1_,"axG",@progbits,_ZN7rocprim17ROCPRIM_400000_NS6detail17trampoline_kernelINS0_14default_configENS1_27scan_by_key_config_selectorIifEEZZNS1_16scan_by_key_implILNS1_25lookback_scan_determinismE0ELb1ES3_N6thrust23THRUST_200600_302600_NS6detail15normal_iteratorINS9_10device_ptrIiEEEENSB_INSC_IfEEEESG_fNS9_4plusIvEENS9_8equal_toIvEEfEE10hipError_tPvRmT2_T3_T4_T5_mT6_T7_P12ihipStream_tbENKUlT_T0_E_clISt17integral_constantIbLb0EES11_EEDaSW_SX_EUlSW_E_NS1_11comp_targetILNS1_3genE8ELNS1_11target_archE1030ELNS1_3gpuE2ELNS1_3repE0EEENS1_30default_config_static_selectorELNS0_4arch9wavefront6targetE0EEEvT1_,comdat
	.protected	_ZN7rocprim17ROCPRIM_400000_NS6detail17trampoline_kernelINS0_14default_configENS1_27scan_by_key_config_selectorIifEEZZNS1_16scan_by_key_implILNS1_25lookback_scan_determinismE0ELb1ES3_N6thrust23THRUST_200600_302600_NS6detail15normal_iteratorINS9_10device_ptrIiEEEENSB_INSC_IfEEEESG_fNS9_4plusIvEENS9_8equal_toIvEEfEE10hipError_tPvRmT2_T3_T4_T5_mT6_T7_P12ihipStream_tbENKUlT_T0_E_clISt17integral_constantIbLb0EES11_EEDaSW_SX_EUlSW_E_NS1_11comp_targetILNS1_3genE8ELNS1_11target_archE1030ELNS1_3gpuE2ELNS1_3repE0EEENS1_30default_config_static_selectorELNS0_4arch9wavefront6targetE0EEEvT1_ ; -- Begin function _ZN7rocprim17ROCPRIM_400000_NS6detail17trampoline_kernelINS0_14default_configENS1_27scan_by_key_config_selectorIifEEZZNS1_16scan_by_key_implILNS1_25lookback_scan_determinismE0ELb1ES3_N6thrust23THRUST_200600_302600_NS6detail15normal_iteratorINS9_10device_ptrIiEEEENSB_INSC_IfEEEESG_fNS9_4plusIvEENS9_8equal_toIvEEfEE10hipError_tPvRmT2_T3_T4_T5_mT6_T7_P12ihipStream_tbENKUlT_T0_E_clISt17integral_constantIbLb0EES11_EEDaSW_SX_EUlSW_E_NS1_11comp_targetILNS1_3genE8ELNS1_11target_archE1030ELNS1_3gpuE2ELNS1_3repE0EEENS1_30default_config_static_selectorELNS0_4arch9wavefront6targetE0EEEvT1_
	.globl	_ZN7rocprim17ROCPRIM_400000_NS6detail17trampoline_kernelINS0_14default_configENS1_27scan_by_key_config_selectorIifEEZZNS1_16scan_by_key_implILNS1_25lookback_scan_determinismE0ELb1ES3_N6thrust23THRUST_200600_302600_NS6detail15normal_iteratorINS9_10device_ptrIiEEEENSB_INSC_IfEEEESG_fNS9_4plusIvEENS9_8equal_toIvEEfEE10hipError_tPvRmT2_T3_T4_T5_mT6_T7_P12ihipStream_tbENKUlT_T0_E_clISt17integral_constantIbLb0EES11_EEDaSW_SX_EUlSW_E_NS1_11comp_targetILNS1_3genE8ELNS1_11target_archE1030ELNS1_3gpuE2ELNS1_3repE0EEENS1_30default_config_static_selectorELNS0_4arch9wavefront6targetE0EEEvT1_
	.p2align	8
	.type	_ZN7rocprim17ROCPRIM_400000_NS6detail17trampoline_kernelINS0_14default_configENS1_27scan_by_key_config_selectorIifEEZZNS1_16scan_by_key_implILNS1_25lookback_scan_determinismE0ELb1ES3_N6thrust23THRUST_200600_302600_NS6detail15normal_iteratorINS9_10device_ptrIiEEEENSB_INSC_IfEEEESG_fNS9_4plusIvEENS9_8equal_toIvEEfEE10hipError_tPvRmT2_T3_T4_T5_mT6_T7_P12ihipStream_tbENKUlT_T0_E_clISt17integral_constantIbLb0EES11_EEDaSW_SX_EUlSW_E_NS1_11comp_targetILNS1_3genE8ELNS1_11target_archE1030ELNS1_3gpuE2ELNS1_3repE0EEENS1_30default_config_static_selectorELNS0_4arch9wavefront6targetE0EEEvT1_,@function
_ZN7rocprim17ROCPRIM_400000_NS6detail17trampoline_kernelINS0_14default_configENS1_27scan_by_key_config_selectorIifEEZZNS1_16scan_by_key_implILNS1_25lookback_scan_determinismE0ELb1ES3_N6thrust23THRUST_200600_302600_NS6detail15normal_iteratorINS9_10device_ptrIiEEEENSB_INSC_IfEEEESG_fNS9_4plusIvEENS9_8equal_toIvEEfEE10hipError_tPvRmT2_T3_T4_T5_mT6_T7_P12ihipStream_tbENKUlT_T0_E_clISt17integral_constantIbLb0EES11_EEDaSW_SX_EUlSW_E_NS1_11comp_targetILNS1_3genE8ELNS1_11target_archE1030ELNS1_3gpuE2ELNS1_3repE0EEENS1_30default_config_static_selectorELNS0_4arch9wavefront6targetE0EEEvT1_: ; @_ZN7rocprim17ROCPRIM_400000_NS6detail17trampoline_kernelINS0_14default_configENS1_27scan_by_key_config_selectorIifEEZZNS1_16scan_by_key_implILNS1_25lookback_scan_determinismE0ELb1ES3_N6thrust23THRUST_200600_302600_NS6detail15normal_iteratorINS9_10device_ptrIiEEEENSB_INSC_IfEEEESG_fNS9_4plusIvEENS9_8equal_toIvEEfEE10hipError_tPvRmT2_T3_T4_T5_mT6_T7_P12ihipStream_tbENKUlT_T0_E_clISt17integral_constantIbLb0EES11_EEDaSW_SX_EUlSW_E_NS1_11comp_targetILNS1_3genE8ELNS1_11target_archE1030ELNS1_3gpuE2ELNS1_3repE0EEENS1_30default_config_static_selectorELNS0_4arch9wavefront6targetE0EEEvT1_
; %bb.0:
	s_clause 0x5
	s_load_dwordx8 s[8:15], s[4:5], 0x0
	s_load_dwordx2 s[24:25], s[4:5], 0x38
	s_load_dword s2, s[4:5], 0x40
	s_load_dwordx4 s[20:23], s[4:5], 0x48
	s_load_dword s26, s[4:5], 0x20
	s_load_dwordx4 s[16:19], s[4:5], 0x28
	s_mov_b32 s1, 0
	s_mul_i32 s0, s6, 0x300
	s_waitcnt lgkmcnt(0)
	s_barrier
	buffer_gl0_inv
	s_lshl_b64 s[4:5], s[10:11], 2
	s_add_u32 s10, s8, s4
	s_addc_u32 s11, s9, s5
	s_mul_i32 s3, s25, s2
	s_mul_hi_u32 s7, s24, s2
	s_add_u32 s12, s12, s4
	s_addc_u32 s13, s13, s5
	s_lshl_b64 s[8:9], s[0:1], 2
	s_add_i32 s7, s7, s3
	s_add_u32 s10, s10, s8
	s_addc_u32 s11, s11, s9
	s_mul_i32 s0, s24, s2
	s_add_u32 s12, s12, s8
	s_addc_u32 s13, s13, s9
	s_add_u32 s2, s0, s6
	s_addc_u32 s3, s7, 0
	s_add_u32 s20, s20, -1
	s_addc_u32 s21, s21, -1
	s_mul_i32 s7, s20, 0xfffffd00
	v_cmp_ge_u64_e64 s3, s[2:3], s[20:21]
	s_and_b32 vcc_lo, exec_lo, s3
	s_cbranch_vccz .LBB1435_20
; %bb.1:
	v_mov_b32_e32 v1, s10
	v_mov_b32_e32 v2, s11
	s_add_i32 s19, s7, s18
	v_cmp_gt_u32_e32 vcc_lo, s19, v0
	flat_load_dword v1, v[1:2]
	s_waitcnt vmcnt(0) lgkmcnt(0)
	v_mov_b32_e32 v2, v1
	s_and_saveexec_b32 s0, vcc_lo
	s_cbranch_execz .LBB1435_3
; %bb.2:
	v_lshlrev_b32_e32 v2, 2, v0
	v_add_co_u32 v2, s1, s10, v2
	v_add_co_ci_u32_e64 v3, null, s11, 0, s1
	flat_load_dword v2, v[2:3]
.LBB1435_3:
	s_or_b32 exec_lo, exec_lo, s0
	v_or_b32_e32 v3, 0x100, v0
	v_cmp_gt_u32_e64 s0, s19, v3
	v_mov_b32_e32 v3, v1
	s_and_saveexec_b32 s1, s0
	s_cbranch_execz .LBB1435_5
; %bb.4:
	v_lshlrev_b32_e32 v3, 2, v0
	v_add_co_u32 v3, s2, s10, v3
	v_add_co_ci_u32_e64 v4, null, s11, 0, s2
	flat_load_dword v3, v[3:4] offset:1024
.LBB1435_5:
	s_or_b32 exec_lo, exec_lo, s1
	v_or_b32_e32 v4, 0x200, v0
	v_cmp_gt_u32_e64 s1, s19, v4
	v_lshlrev_b32_e32 v8, 2, v4
	s_and_saveexec_b32 s2, s1
	s_cbranch_execz .LBB1435_7
; %bb.6:
	v_add_co_u32 v4, s20, s10, v8
	v_add_co_ci_u32_e64 v5, null, s11, 0, s20
	flat_load_dword v1, v[4:5]
.LBB1435_7:
	s_or_b32 exec_lo, exec_lo, s2
	v_mov_b32_e32 v4, s10
	v_lshlrev_b32_e32 v10, 2, v0
	v_mov_b32_e32 v5, s11
	s_mov_b32 s20, exec_lo
	s_waitcnt vmcnt(0) lgkmcnt(0)
	ds_write2st64_b32 v10, v2, v3 offset1:4
	ds_write_b32 v10, v1 offset:2048
	s_waitcnt lgkmcnt(0)
	s_barrier
	buffer_gl0_inv
	flat_load_dword v6, v[4:5]
	v_lshlrev_b32_e32 v1, 3, v0
	v_add_nc_u32_e32 v7, v10, v1
	ds_read_b32 v9, v7
	ds_read2_b32 v[4:5], v7 offset0:1 offset1:2
	s_waitcnt lgkmcnt(1)
	ds_write_b32 v10, v9 offset:4096
	s_waitcnt vmcnt(0) lgkmcnt(0)
	s_barrier
	buffer_gl0_inv
	v_cmpx_ne_u32_e32 0xff, v0
; %bb.8:
	v_sub_nc_u32_e32 v1, 0, v1
	v_add_nc_u32_e32 v1, v7, v1
	ds_read_b32 v6, v1 offset:4100
; %bb.9:
	s_or_b32 exec_lo, exec_lo, s20
	v_mov_b32_e32 v1, 0
	s_waitcnt lgkmcnt(0)
	s_barrier
	buffer_gl0_inv
	v_mov_b32_e32 v2, v1
	v_mov_b32_e32 v3, v1
	s_and_saveexec_b32 s2, vcc_lo
	s_cbranch_execnz .LBB1435_128
; %bb.10:
	s_or_b32 exec_lo, exec_lo, s2
	s_and_saveexec_b32 s2, s0
	s_cbranch_execnz .LBB1435_129
.LBB1435_11:
	s_or_b32 exec_lo, exec_lo, s2
	v_mul_u32_u24_e32 v11, 3, v0
	s_and_saveexec_b32 s0, s1
	s_cbranch_execz .LBB1435_13
.LBB1435_12:
	v_add_co_u32 v12, s1, s12, v8
	v_add_co_ci_u32_e64 v13, null, s13, 0, s1
	flat_load_dword v3, v[12:13]
.LBB1435_13:
	s_or_b32 exec_lo, exec_lo, s0
	s_waitcnt vmcnt(0) lgkmcnt(0)
	ds_write2st64_b32 v10, v1, v2 offset1:4
	ds_write_b32 v10, v3 offset:2048
	v_mov_b32_e32 v1, 0
	v_mov_b32_e32 v14, 0
	;; [unrolled: 1-line block ×8, first 2 shown]
	s_mov_b32 s20, 0
	s_mov_b32 s1, 0
	s_mov_b32 s21, exec_lo
	s_waitcnt lgkmcnt(0)
	s_barrier
	buffer_gl0_inv
                                        ; implicit-def: $sgpr2
	v_cmpx_gt_u32_e64 s19, v11
	s_cbranch_execz .LBB1435_19
; %bb.14:
	ds_read_b32 v8, v7
	v_add_nc_u32_e32 v1, 1, v11
	v_mov_b32_e32 v3, 0
	v_mov_b32_e32 v18, 0
	v_cmp_ne_u32_e32 vcc_lo, v9, v4
                                        ; implicit-def: $sgpr2
	v_cmp_gt_u32_e64 s0, s19, v1
	v_mov_b32_e32 v1, 0
	s_and_saveexec_b32 s27, s0
	s_cbranch_execz .LBB1435_18
; %bb.15:
	ds_read2_b32 v[1:2], v7 offset0:1 offset1:2
	v_add_nc_u32_e32 v3, 2, v11
	v_cmp_ne_u32_e64 s0, v4, v5
	v_mov_b32_e32 v18, 0
                                        ; implicit-def: $sgpr2
	v_cmp_gt_u32_e64 s1, s19, v3
	s_mov_b32 s19, 0
	s_and_saveexec_b32 s28, s1
	s_xor_b32 s1, exec_lo, s28
	s_cbranch_execz .LBB1435_17
; %bb.16:
	v_cmp_ne_u32_e64 s2, v5, v6
	s_mov_b32 s19, exec_lo
	s_waitcnt lgkmcnt(0)
	v_cndmask_b32_e64 v18, v2, s26, s2
.LBB1435_17:
	s_or_b32 exec_lo, exec_lo, s1
	v_cndmask_b32_e64 v3, 0, 1, s0
	s_waitcnt lgkmcnt(0)
	v_cndmask_b32_e64 v1, v1, s26, s0
	s_and_b32 s1, s19, exec_lo
.LBB1435_18:
	s_or_b32 exec_lo, exec_lo, s27
	s_waitcnt lgkmcnt(0)
	v_cndmask_b32_e64 v8, v8, s26, vcc_lo
	v_cndmask_b32_e64 v14, 0, 1, vcc_lo
	v_mov_b32_e32 v15, v1
	v_mov_b32_e32 v19, v3
	s_and_b32 s1, s1, exec_lo
	v_mov_b32_e32 v16, v8
.LBB1435_19:
	s_or_b32 exec_lo, exec_lo, s21
	v_lshlrev_b32_e32 v12, 2, v0
	v_lshlrev_b32_e32 v13, 3, v0
	s_and_b32 vcc_lo, exec_lo, s20
	s_cbranch_vccnz .LBB1435_21
	s_branch .LBB1435_24
.LBB1435_20:
                                        ; implicit-def: $sgpr2
                                        ; implicit-def: $vgpr14
                                        ; implicit-def: $vgpr1
                                        ; implicit-def: $vgpr3
                                        ; implicit-def: $vgpr8
                                        ; implicit-def: $vgpr18
                                        ; implicit-def: $vgpr15
                                        ; implicit-def: $vgpr19
                                        ; implicit-def: $vgpr16
	v_lshlrev_b32_e32 v12, 2, v0
	v_lshlrev_b32_e32 v13, 3, v0
	s_cbranch_execz .LBB1435_24
.LBB1435_21:
	v_add_co_u32 v1, s0, s10, v12
	v_add_co_ci_u32_e64 v2, null, s11, 0, s0
	v_add_co_u32 v3, vcc_lo, 0x800, v1
	v_add_co_ci_u32_e64 v4, null, 0, v2, vcc_lo
	s_clause 0x2
	flat_load_dword v5, v[1:2]
	flat_load_dword v6, v[1:2] offset:1024
	flat_load_dword v3, v[3:4]
	v_add_co_u32 v1, s0, 0x800, s10
	v_add_co_ci_u32_e64 v2, null, 0, s11, s0
	s_mov_b32 s0, exec_lo
	s_waitcnt vmcnt(1) lgkmcnt(1)
	ds_write2st64_b32 v12, v5, v6 offset1:4
	s_waitcnt vmcnt(0) lgkmcnt(1)
	ds_write_b32 v12, v3 offset:2048
	s_waitcnt lgkmcnt(0)
	s_barrier
	buffer_gl0_inv
	flat_load_dword v4, v[1:2] offset:1024
	v_add_nc_u32_e32 v5, v12, v13
	ds_read_b32 v3, v5
	ds_read2_b32 v[1:2], v5 offset0:1 offset1:2
	s_waitcnt lgkmcnt(1)
	ds_write_b32 v12, v3 offset:4096
	s_waitcnt vmcnt(0) lgkmcnt(0)
	s_barrier
	buffer_gl0_inv
	v_cmpx_ne_u32_e32 0xff, v0
; %bb.22:
	v_sub_nc_u32_e32 v4, 0, v13
	v_add_nc_u32_e32 v4, v5, v4
	ds_read_b32 v4, v4 offset:4100
; %bb.23:
	s_or_b32 exec_lo, exec_lo, s0
	v_add_co_u32 v6, s0, s12, v12
	v_add_co_ci_u32_e64 v7, null, s13, 0, s0
	s_waitcnt lgkmcnt(0)
	v_add_co_u32 v8, vcc_lo, 0x800, v6
	v_add_co_ci_u32_e64 v9, null, 0, v7, vcc_lo
	s_barrier
	buffer_gl0_inv
	s_clause 0x2
	flat_load_dword v10, v[6:7]
	flat_load_dword v6, v[6:7] offset:1024
	flat_load_dword v7, v[8:9]
	v_cmp_ne_u32_e32 vcc_lo, v1, v2
	v_cmp_ne_u32_e64 s0, v3, v1
	v_cmp_ne_u32_e64 s2, v2, v4
	s_mov_b32 s1, -1
	s_waitcnt vmcnt(1) lgkmcnt(1)
	ds_write2st64_b32 v12, v10, v6 offset1:4
	s_waitcnt vmcnt(0) lgkmcnt(1)
	ds_write_b32 v12, v7 offset:2048
	s_waitcnt lgkmcnt(0)
	s_barrier
	buffer_gl0_inv
	ds_read2_b32 v[6:7], v5 offset1:1
	ds_read_b32 v5, v5 offset:8
	v_cndmask_b32_e64 v3, 0, 1, vcc_lo
	v_cndmask_b32_e64 v14, 0, 1, s0
	v_mov_b32_e32 v19, v3
	s_waitcnt lgkmcnt(1)
	v_cndmask_b32_e64 v1, v7, s26, vcc_lo
	v_cndmask_b32_e64 v8, v6, s26, s0
	s_waitcnt lgkmcnt(0)
	v_cndmask_b32_e64 v18, v5, s26, s2
	v_mov_b32_e32 v15, v1
	v_mov_b32_e32 v16, v8
.LBB1435_24:
	v_mov_b32_e32 v20, 0
	s_and_saveexec_b32 s0, s1
; %bb.25:
	v_cndmask_b32_e64 v20, 0, 1, s2
	v_mov_b32_e32 v16, v8
	v_mov_b32_e32 v19, v3
	;; [unrolled: 1-line block ×3, first 2 shown]
; %bb.26:
	s_or_b32 exec_lo, exec_lo, s0
	v_add_f32_e32 v22, v16, v15
	v_or_b32_e32 v21, v20, v19
	v_mbcnt_lo_u32_b32 v17, -1, 0
	s_cmp_lg_u32 s6, 0
	v_cmp_eq_u16_e32 vcc_lo, 0, v20
	s_barrier
	buffer_gl0_inv
	s_cbranch_scc0 .LBB1435_80
; %bb.27:
	v_mov_b32_e32 v2, 0
	v_cmp_eq_u16_sdwa s0, v19, v2 src0_sel:BYTE_0 src1_sel:DWORD
	v_cmp_eq_u16_sdwa s1, v21, v2 src0_sel:BYTE_0 src1_sel:DWORD
	v_cndmask_b32_e64 v1, v15, v22, s0
	v_cndmask_b32_e64 v5, 1, v14, s1
	s_mov_b32 s1, exec_lo
	v_add_f32_e32 v1, v1, v18
	v_and_b32_e32 v4, 0xff, v5
	v_cndmask_b32_e32 v3, v18, v1, vcc_lo
	v_and_b32_e32 v1, 15, v17
	v_mov_b32_dpp v6, v4 row_shr:1 row_mask:0xf bank_mask:0xf
	v_mov_b32_dpp v7, v3 row_shr:1 row_mask:0xf bank_mask:0xf
	v_cmpx_ne_u32_e32 0, v1
	s_cbranch_execz .LBB1435_29
; %bb.28:
	v_add_f32_e32 v4, v3, v7
	v_and_b32_e32 v7, 1, v5
	v_cmp_eq_u16_sdwa vcc_lo, v5, v2 src0_sel:BYTE_0 src1_sel:DWORD
	v_and_b32_e32 v6, 1, v6
	v_cndmask_b32_e32 v3, v3, v4, vcc_lo
	v_cmp_eq_u32_e32 vcc_lo, 1, v7
	v_cndmask_b32_e64 v4, v6, 1, vcc_lo
.LBB1435_29:
	s_or_b32 exec_lo, exec_lo, s1
	v_mov_b32_dpp v5, v3 row_shr:2 row_mask:0xf bank_mask:0xf
	v_mov_b32_dpp v2, v4 row_shr:2 row_mask:0xf bank_mask:0xf
	s_mov_b32 s1, exec_lo
	v_cmpx_lt_u32_e32 1, v1
	s_cbranch_execz .LBB1435_31
; %bb.30:
	v_add_f32_e32 v5, v3, v5
	v_and_b32_e32 v6, 1, v4
	v_cmp_eq_u32_e32 vcc_lo, 0, v4
	v_and_b32_e32 v2, 1, v2
	v_cndmask_b32_e32 v3, v3, v5, vcc_lo
	v_cmp_eq_u32_e32 vcc_lo, 1, v6
	v_cndmask_b32_e64 v4, v2, 1, vcc_lo
.LBB1435_31:
	s_or_b32 exec_lo, exec_lo, s1
	v_mov_b32_dpp v5, v3 row_shr:4 row_mask:0xf bank_mask:0xf
	v_mov_b32_dpp v2, v4 row_shr:4 row_mask:0xf bank_mask:0xf
	s_mov_b32 s1, exec_lo
	v_cmpx_lt_u32_e32 3, v1
	s_cbranch_execz .LBB1435_33
; %bb.32:
	v_add_f32_e32 v5, v3, v5
	v_and_b32_e32 v6, 1, v4
	v_cmp_eq_u32_e32 vcc_lo, 0, v4
	v_and_b32_e32 v2, 1, v2
	v_cndmask_b32_e32 v3, v3, v5, vcc_lo
	v_cmp_eq_u32_e32 vcc_lo, 1, v6
	v_cndmask_b32_e64 v4, v2, 1, vcc_lo
.LBB1435_33:
	s_or_b32 exec_lo, exec_lo, s1
	v_mov_b32_dpp v5, v3 row_shr:8 row_mask:0xf bank_mask:0xf
	v_mov_b32_dpp v2, v4 row_shr:8 row_mask:0xf bank_mask:0xf
	s_mov_b32 s1, exec_lo
	v_cmpx_lt_u32_e32 7, v1
	s_cbranch_execz .LBB1435_35
; %bb.34:
	v_add_f32_e32 v1, v3, v5
	v_and_b32_e32 v5, 1, v4
	v_cmp_eq_u32_e32 vcc_lo, 0, v4
	v_and_b32_e32 v2, 1, v2
	v_cndmask_b32_e32 v3, v3, v1, vcc_lo
	v_cmp_eq_u32_e32 vcc_lo, 1, v5
	v_cndmask_b32_e64 v4, v2, 1, vcc_lo
.LBB1435_35:
	s_or_b32 exec_lo, exec_lo, s1
	ds_swizzle_b32 v2, v3 offset:swizzle(BROADCAST,32,15)
	ds_swizzle_b32 v1, v4 offset:swizzle(BROADCAST,32,15)
	v_and_b32_e32 v5, 16, v17
	s_mov_b32 s1, exec_lo
	v_cmpx_ne_u32_e32 0, v5
	s_cbranch_execz .LBB1435_37
; %bb.36:
	s_waitcnt lgkmcnt(1)
	v_add_f32_e32 v2, v3, v2
	v_and_b32_e32 v5, 1, v4
	v_cmp_eq_u32_e32 vcc_lo, 0, v4
	s_waitcnt lgkmcnt(0)
	v_and_b32_e32 v1, 1, v1
	v_cndmask_b32_e32 v3, v3, v2, vcc_lo
	v_cmp_eq_u32_e32 vcc_lo, 1, v5
	v_cndmask_b32_e64 v4, v1, 1, vcc_lo
.LBB1435_37:
	s_or_b32 exec_lo, exec_lo, s1
	s_waitcnt lgkmcnt(1)
	v_lshrrev_b32_e32 v2, 5, v0
	s_waitcnt lgkmcnt(0)
	v_or_b32_e32 v1, 31, v0
	s_mov_b32 s1, exec_lo
	v_lshlrev_b32_e32 v5, 3, v2
	v_cmpx_eq_u32_e64 v0, v1
	s_cbranch_execz .LBB1435_39
; %bb.38:
	ds_write_b32 v5, v3
	ds_write_b8 v5, v4 offset:4
.LBB1435_39:
	s_or_b32 exec_lo, exec_lo, s1
	s_mov_b32 s2, exec_lo
	s_waitcnt lgkmcnt(0)
	s_barrier
	buffer_gl0_inv
	v_cmpx_gt_u32_e32 8, v0
	s_cbranch_execz .LBB1435_45
; %bb.40:
	ds_read_b64 v[1:2], v13
	v_and_b32_e32 v6, 7, v17
	s_mov_b32 s1, exec_lo
	s_waitcnt lgkmcnt(0)
	v_mov_b32_dpp v8, v1 row_shr:1 row_mask:0xf bank_mask:0xf
	v_mov_b32_dpp v9, v2 row_shr:1 row_mask:0xf bank_mask:0xf
	v_mov_b32_e32 v7, v2
	v_cmpx_ne_u32_e32 0, v6
	s_cbranch_execz .LBB1435_42
; %bb.41:
	v_and_b32_e32 v7, 1, v2
	v_and_b32_e32 v9, 1, v9
	v_mov_b32_e32 v10, 0
	v_add_f32_e32 v8, v1, v8
	v_cmp_eq_u32_e32 vcc_lo, 1, v7
	v_cndmask_b32_e64 v7, v9, 1, vcc_lo
	v_cmp_eq_u16_sdwa vcc_lo, v2, v10 src0_sel:BYTE_0 src1_sel:DWORD
	v_and_or_b32 v2, 0xffffff00, v2, v7
	v_cndmask_b32_e32 v1, v1, v8, vcc_lo
.LBB1435_42:
	s_or_b32 exec_lo, exec_lo, s1
	v_mov_b32_dpp v8, v1 row_shr:2 row_mask:0xf bank_mask:0xf
	v_mov_b32_dpp v9, v2 row_shr:2 row_mask:0xf bank_mask:0xf
	s_mov_b32 s10, exec_lo
	v_cmpx_lt_u32_e32 1, v6
	s_cbranch_execz .LBB1435_44
; %bb.43:
	v_and_b32_e32 v11, 1, v7
	v_mov_b32_e32 v10, 0
	v_and_b32_e32 v9, 1, v9
	v_add_f32_e32 v8, v1, v8
	v_cmp_eq_u32_e64 s1, 1, v11
	v_cmp_eq_u16_sdwa vcc_lo, v7, v10 src0_sel:BYTE_0 src1_sel:DWORD
	v_cndmask_b32_e64 v7, v9, 1, s1
	v_cndmask_b32_e32 v1, v1, v8, vcc_lo
	v_and_or_b32 v2, 0xffffff00, v2, v7
.LBB1435_44:
	s_or_b32 exec_lo, exec_lo, s10
	v_mov_b32_dpp v8, v2 row_shr:4 row_mask:0xf bank_mask:0xf
	v_and_b32_e32 v10, 1, v7
	v_mov_b32_e32 v9, 0
	v_mov_b32_dpp v11, v1 row_shr:4 row_mask:0xf bank_mask:0xf
	v_and_b32_e32 v8, 1, v8
	v_cmp_eq_u32_e32 vcc_lo, 1, v10
	v_cmp_eq_u16_sdwa s1, v7, v9 src0_sel:BYTE_0 src1_sel:DWORD
	v_cndmask_b32_e64 v7, v8, 1, vcc_lo
	v_cmp_lt_u32_e32 vcc_lo, 3, v6
	v_add_f32_e32 v6, v1, v11
	v_cndmask_b32_e32 v2, v2, v7, vcc_lo
	s_and_b32 vcc_lo, vcc_lo, s1
	v_cndmask_b32_e32 v1, v1, v6, vcc_lo
	ds_write_b32 v13, v1
	ds_write_b8 v13, v2 offset:4
.LBB1435_45:
	s_or_b32 exec_lo, exec_lo, s2
	v_mov_b32_e32 v24, 0
	v_mov_b32_e32 v23, 0
	s_mov_b32 s2, exec_lo
	v_cmp_gt_u32_e32 vcc_lo, 32, v0
	s_waitcnt lgkmcnt(0)
	s_barrier
	buffer_gl0_inv
	v_cmpx_lt_u32_e32 31, v0
	s_cbranch_execz .LBB1435_47
; %bb.46:
	v_add_nc_u32_e32 v1, -8, v5
	v_and_b32_e32 v2, 1, v4
	v_cmp_eq_u32_e64 s1, 0, v4
	ds_read_b32 v23, v1
	v_add_nc_u32_e32 v1, -4, v5
	ds_read_u8 v24, v1
	s_waitcnt lgkmcnt(1)
	v_add_f32_e32 v1, v3, v23
	v_cndmask_b32_e64 v3, v3, v1, s1
	v_cmp_eq_u32_e64 s1, 1, v2
	s_waitcnt lgkmcnt(0)
	v_cndmask_b32_e64 v4, v24, 1, s1
.LBB1435_47:
	s_or_b32 exec_lo, exec_lo, s2
	v_sub_co_u32 v1, s1, v17, 1
	v_cmp_gt_i32_e64 s2, 0, v1
	v_cndmask_b32_e64 v1, v1, v17, s2
	v_lshlrev_b32_e32 v1, 2, v1
	ds_bpermute_b32 v25, v1, v3
	ds_bpermute_b32 v26, v1, v4
	s_and_saveexec_b32 s10, vcc_lo
	s_cbranch_execz .LBB1435_85
; %bb.48:
	v_mov_b32_e32 v4, 0
	ds_read_b64 v[1:2], v4 offset:56
	s_and_saveexec_b32 s2, s1
	s_cbranch_execz .LBB1435_50
; %bb.49:
	s_add_i32 s12, s6, 32
	s_mov_b32 s13, 0
	v_mov_b32_e32 v3, 1
	s_lshl_b64 s[12:13], s[12:13], 4
	s_add_u32 s12, s16, s12
	s_addc_u32 s13, s17, s13
	v_mov_b32_e32 v5, s12
	v_mov_b32_e32 v6, s13
	s_waitcnt lgkmcnt(0)
	;;#ASMSTART
	global_store_dwordx4 v[5:6], v[1:4] off	
s_waitcnt vmcnt(0)
	;;#ASMEND
.LBB1435_50:
	s_or_b32 exec_lo, exec_lo, s2
	v_xad_u32 v9, v17, -1, s6
	s_mov_b32 s11, 0
	v_add_nc_u32_e32 v3, 32, v9
	v_lshlrev_b64 v[5:6], 4, v[3:4]
	v_add_co_u32 v10, vcc_lo, s16, v5
	v_add_co_ci_u32_e64 v11, null, s17, v6, vcc_lo
	;;#ASMSTART
	global_load_dwordx4 v[5:8], v[10:11] off glc dlc	
s_waitcnt vmcnt(0)
	;;#ASMEND
	v_cmp_eq_u16_sdwa s12, v7, v4 src0_sel:BYTE_0 src1_sel:DWORD
	s_and_saveexec_b32 s2, s12
	s_cbranch_execz .LBB1435_54
; %bb.51:
	v_mov_b32_e32 v3, 0
.LBB1435_52:                            ; =>This Inner Loop Header: Depth=1
	;;#ASMSTART
	global_load_dwordx4 v[5:8], v[10:11] off glc dlc	
s_waitcnt vmcnt(0)
	;;#ASMEND
	v_cmp_ne_u16_sdwa s12, v7, v3 src0_sel:BYTE_0 src1_sel:DWORD
	s_or_b32 s11, s12, s11
	s_andn2_b32 exec_lo, exec_lo, s11
	s_cbranch_execnz .LBB1435_52
; %bb.53:
	s_or_b32 exec_lo, exec_lo, s11
.LBB1435_54:
	s_or_b32 exec_lo, exec_lo, s2
	v_cmp_ne_u32_e32 vcc_lo, 31, v17
	v_mov_b32_e32 v8, 2
	v_and_b32_e32 v4, 0xff, v6
	v_lshlrev_b32_e64 v27, v17, -1
	s_mov_b32 s11, exec_lo
	v_add_co_ci_u32_e64 v3, null, 0, v17, vcc_lo
	v_cmp_eq_u16_sdwa s2, v7, v8 src0_sel:BYTE_0 src1_sel:DWORD
	v_lshlrev_b32_e32 v11, 2, v3
	v_and_or_b32 v3, s2, v27, 0x80000000
	ds_bpermute_b32 v8, v11, v5
	ds_bpermute_b32 v10, v11, v4
	v_ffbl_b32_e32 v3, v3
	v_cmpx_lt_u32_e64 v17, v3
	s_cbranch_execz .LBB1435_56
; %bb.55:
	v_and_b32_e32 v28, 1, v6
	v_mov_b32_e32 v4, 0
	s_waitcnt lgkmcnt(0)
	v_and_b32_e32 v10, 1, v10
	v_add_f32_e32 v8, v5, v8
	v_cmp_eq_u32_e64 s2, 1, v28
	v_cmp_eq_u16_sdwa vcc_lo, v6, v4 src0_sel:BYTE_0 src1_sel:DWORD
	v_cndmask_b32_e64 v6, v10, 1, s2
	v_cndmask_b32_e32 v5, v5, v8, vcc_lo
	v_and_b32_e32 v4, 0xffff, v6
.LBB1435_56:
	s_or_b32 exec_lo, exec_lo, s11
	v_cmp_gt_u32_e32 vcc_lo, 30, v17
	v_add_nc_u32_e32 v29, 2, v17
	s_mov_b32 s11, exec_lo
	s_waitcnt lgkmcnt(1)
	v_cndmask_b32_e64 v8, 0, 2, vcc_lo
	v_add_lshl_u32 v28, v8, v17, 2
	ds_bpermute_b32 v8, v28, v5
	s_waitcnt lgkmcnt(1)
	ds_bpermute_b32 v10, v28, v4
	v_cmpx_le_u32_e64 v29, v3
	s_cbranch_execz .LBB1435_58
; %bb.57:
	v_and_b32_e32 v30, 1, v6
	v_mov_b32_e32 v4, 0
	s_waitcnt lgkmcnt(0)
	v_and_b32_e32 v10, 1, v10
	v_add_f32_e32 v8, v5, v8
	v_cmp_eq_u32_e64 s2, 1, v30
	v_cmp_eq_u16_sdwa vcc_lo, v6, v4 src0_sel:BYTE_0 src1_sel:DWORD
	v_cndmask_b32_e64 v6, v10, 1, s2
	v_cndmask_b32_e32 v5, v5, v8, vcc_lo
	v_and_b32_e32 v4, 0xffff, v6
.LBB1435_58:
	s_or_b32 exec_lo, exec_lo, s11
	v_cmp_gt_u32_e32 vcc_lo, 28, v17
	v_add_nc_u32_e32 v31, 4, v17
	s_mov_b32 s11, exec_lo
	s_waitcnt lgkmcnt(1)
	v_cndmask_b32_e64 v8, 0, 4, vcc_lo
	v_add_lshl_u32 v30, v8, v17, 2
	ds_bpermute_b32 v8, v30, v5
	s_waitcnt lgkmcnt(1)
	ds_bpermute_b32 v10, v30, v4
	v_cmpx_le_u32_e64 v31, v3
	;; [unrolled: 24-line block ×3, first 2 shown]
	s_cbranch_execz .LBB1435_62
; %bb.61:
	v_and_b32_e32 v34, 1, v6
	v_mov_b32_e32 v4, 0
	s_waitcnt lgkmcnt(0)
	v_and_b32_e32 v10, 1, v10
	v_add_f32_e32 v8, v5, v8
	v_cmp_eq_u32_e64 s2, 1, v34
	v_cmp_eq_u16_sdwa vcc_lo, v6, v4 src0_sel:BYTE_0 src1_sel:DWORD
	v_cndmask_b32_e64 v6, v10, 1, s2
	v_cndmask_b32_e32 v5, v5, v8, vcc_lo
	v_and_b32_e32 v4, 0xffff, v6
.LBB1435_62:
	s_or_b32 exec_lo, exec_lo, s11
	v_lshl_or_b32 v36, v17, 2, 64
	v_add_nc_u32_e32 v37, 16, v17
	s_mov_b32 s2, exec_lo
	s_waitcnt lgkmcnt(1)
	ds_bpermute_b32 v8, v36, v5
	ds_bpermute_b32 v4, v36, v4
	v_cmpx_le_u32_e64 v37, v3
	s_cbranch_execz .LBB1435_64
; %bb.63:
	v_mov_b32_e32 v3, 0
	s_waitcnt lgkmcnt(1)
	v_add_f32_e32 v8, v5, v8
	v_and_b32_e32 v10, 1, v6
	s_waitcnt lgkmcnt(0)
	v_and_b32_e32 v4, 1, v4
	v_cmp_eq_u16_sdwa vcc_lo, v6, v3 src0_sel:BYTE_0 src1_sel:DWORD
	v_cndmask_b32_e32 v5, v5, v8, vcc_lo
	v_cmp_eq_u32_e32 vcc_lo, 1, v10
	v_cndmask_b32_e64 v6, v4, 1, vcc_lo
.LBB1435_64:
	s_or_b32 exec_lo, exec_lo, s2
	s_waitcnt lgkmcnt(2)
	v_mov_b32_e32 v10, 0
	v_mov_b32_e32 v38, 2
	s_branch .LBB1435_67
.LBB1435_65:                            ;   in Loop: Header=BB1435_67 Depth=1
	s_or_b32 exec_lo, exec_lo, s11
	s_waitcnt lgkmcnt(1)
	ds_bpermute_b32 v8, v36, v5
	ds_bpermute_b32 v4, v36, v4
	s_waitcnt lgkmcnt(2)
	v_and_b32_e32 v39, 1, v6
	v_subrev_nc_u32_e32 v9, 32, v9
	s_mov_b32 s2, 0
	v_cmp_eq_u32_e32 vcc_lo, 1, v39
	s_waitcnt lgkmcnt(1)
	v_add_f32_e32 v8, v5, v8
	s_waitcnt lgkmcnt(0)
	v_cndmask_b32_e64 v4, v4, 1, vcc_lo
	v_cmp_eq_u16_sdwa vcc_lo, v6, v10 src0_sel:BYTE_0 src1_sel:DWORD
	v_cndmask_b32_e32 v8, v5, v8, vcc_lo
	v_cmp_gt_u32_e32 vcc_lo, v37, v3
	v_cndmask_b32_e32 v3, v4, v6, vcc_lo
	v_cndmask_b32_e32 v4, v8, v5, vcc_lo
	v_and_b32_e32 v6, 1, v34
	v_cmp_eq_u16_sdwa vcc_lo, v34, v10 src0_sel:BYTE_0 src1_sel:DWORD
	v_and_b32_e32 v3, 1, v3
	v_add_f32_e32 v4, v35, v4
	v_cndmask_b32_e32 v5, v35, v4, vcc_lo
	v_cmp_eq_u32_e32 vcc_lo, 1, v6
	v_cndmask_b32_e64 v6, v3, 1, vcc_lo
.LBB1435_66:                            ;   in Loop: Header=BB1435_67 Depth=1
	s_and_b32 vcc_lo, exec_lo, s2
	s_cbranch_vccnz .LBB1435_81
.LBB1435_67:                            ; =>This Loop Header: Depth=1
                                        ;     Child Loop BB1435_70 Depth 2
	v_cmp_ne_u16_sdwa s2, v7, v38 src0_sel:BYTE_0 src1_sel:DWORD
	v_mov_b32_e32 v34, v6
	v_mov_b32_e32 v35, v5
                                        ; implicit-def: $vgpr6
	s_cmp_lg_u32 s2, exec_lo
	s_mov_b32 s2, -1
	s_cbranch_scc1 .LBB1435_66
; %bb.68:                               ;   in Loop: Header=BB1435_67 Depth=1
	s_waitcnt lgkmcnt(0)
	v_lshlrev_b64 v[3:4], 4, v[9:10]
	v_add_co_u32 v3, vcc_lo, s16, v3
	v_add_co_ci_u32_e64 v4, null, s17, v4, vcc_lo
	;;#ASMSTART
	global_load_dwordx4 v[5:8], v[3:4] off glc dlc	
s_waitcnt vmcnt(0)
	;;#ASMEND
	v_cmp_eq_u16_sdwa s11, v7, v10 src0_sel:BYTE_0 src1_sel:DWORD
	s_and_saveexec_b32 s2, s11
	s_cbranch_execz .LBB1435_72
; %bb.69:                               ;   in Loop: Header=BB1435_67 Depth=1
	s_mov_b32 s11, 0
.LBB1435_70:                            ;   Parent Loop BB1435_67 Depth=1
                                        ; =>  This Inner Loop Header: Depth=2
	;;#ASMSTART
	global_load_dwordx4 v[5:8], v[3:4] off glc dlc	
s_waitcnt vmcnt(0)
	;;#ASMEND
	v_cmp_ne_u16_sdwa s12, v7, v10 src0_sel:BYTE_0 src1_sel:DWORD
	s_or_b32 s11, s12, s11
	s_andn2_b32 exec_lo, exec_lo, s11
	s_cbranch_execnz .LBB1435_70
; %bb.71:                               ;   in Loop: Header=BB1435_67 Depth=1
	s_or_b32 exec_lo, exec_lo, s11
.LBB1435_72:                            ;   in Loop: Header=BB1435_67 Depth=1
	s_or_b32 exec_lo, exec_lo, s2
	v_and_b32_e32 v4, 0xff, v6
	ds_bpermute_b32 v8, v11, v5
	v_cmp_eq_u16_sdwa s2, v7, v38 src0_sel:BYTE_0 src1_sel:DWORD
	s_mov_b32 s11, exec_lo
	ds_bpermute_b32 v39, v11, v4
	v_and_or_b32 v3, s2, v27, 0x80000000
	v_ffbl_b32_e32 v3, v3
	v_cmpx_lt_u32_e64 v17, v3
	s_cbranch_execz .LBB1435_74
; %bb.73:                               ;   in Loop: Header=BB1435_67 Depth=1
	v_and_b32_e32 v4, 1, v6
	s_waitcnt lgkmcnt(0)
	v_and_b32_e32 v39, 1, v39
	v_add_f32_e32 v8, v5, v8
	v_cmp_eq_u16_sdwa vcc_lo, v6, v10 src0_sel:BYTE_0 src1_sel:DWORD
	v_cmp_eq_u32_e64 s2, 1, v4
	v_cndmask_b32_e32 v5, v5, v8, vcc_lo
	v_cndmask_b32_e64 v6, v39, 1, s2
	v_and_b32_e32 v4, 0xffff, v6
.LBB1435_74:                            ;   in Loop: Header=BB1435_67 Depth=1
	s_or_b32 exec_lo, exec_lo, s11
	s_waitcnt lgkmcnt(1)
	ds_bpermute_b32 v8, v28, v5
	s_waitcnt lgkmcnt(1)
	ds_bpermute_b32 v39, v28, v4
	s_mov_b32 s11, exec_lo
	v_cmpx_le_u32_e64 v29, v3
	s_cbranch_execz .LBB1435_76
; %bb.75:                               ;   in Loop: Header=BB1435_67 Depth=1
	v_and_b32_e32 v4, 1, v6
	s_waitcnt lgkmcnt(0)
	v_and_b32_e32 v39, 1, v39
	v_add_f32_e32 v8, v5, v8
	v_cmp_eq_u16_sdwa vcc_lo, v6, v10 src0_sel:BYTE_0 src1_sel:DWORD
	v_cmp_eq_u32_e64 s2, 1, v4
	v_cndmask_b32_e32 v5, v5, v8, vcc_lo
	v_cndmask_b32_e64 v6, v39, 1, s2
	v_and_b32_e32 v4, 0xffff, v6
.LBB1435_76:                            ;   in Loop: Header=BB1435_67 Depth=1
	s_or_b32 exec_lo, exec_lo, s11
	s_waitcnt lgkmcnt(1)
	ds_bpermute_b32 v8, v30, v5
	s_waitcnt lgkmcnt(1)
	ds_bpermute_b32 v39, v30, v4
	s_mov_b32 s11, exec_lo
	v_cmpx_le_u32_e64 v31, v3
	s_cbranch_execz .LBB1435_78
; %bb.77:                               ;   in Loop: Header=BB1435_67 Depth=1
	v_and_b32_e32 v4, 1, v6
	s_waitcnt lgkmcnt(0)
	v_and_b32_e32 v39, 1, v39
	v_add_f32_e32 v8, v5, v8
	v_cmp_eq_u16_sdwa vcc_lo, v6, v10 src0_sel:BYTE_0 src1_sel:DWORD
	v_cmp_eq_u32_e64 s2, 1, v4
	v_cndmask_b32_e32 v5, v5, v8, vcc_lo
	v_cndmask_b32_e64 v6, v39, 1, s2
	v_and_b32_e32 v4, 0xffff, v6
.LBB1435_78:                            ;   in Loop: Header=BB1435_67 Depth=1
	s_or_b32 exec_lo, exec_lo, s11
	s_waitcnt lgkmcnt(1)
	ds_bpermute_b32 v8, v32, v5
	s_waitcnt lgkmcnt(1)
	ds_bpermute_b32 v39, v32, v4
	s_mov_b32 s11, exec_lo
	v_cmpx_le_u32_e64 v33, v3
	s_cbranch_execz .LBB1435_65
; %bb.79:                               ;   in Loop: Header=BB1435_67 Depth=1
	v_and_b32_e32 v4, 1, v6
	s_waitcnt lgkmcnt(0)
	v_and_b32_e32 v39, 1, v39
	v_add_f32_e32 v8, v5, v8
	v_cmp_eq_u16_sdwa vcc_lo, v6, v10 src0_sel:BYTE_0 src1_sel:DWORD
	v_cmp_eq_u32_e64 s2, 1, v4
	v_cndmask_b32_e32 v5, v5, v8, vcc_lo
	v_cndmask_b32_e64 v6, v39, 1, s2
	v_and_b32_e32 v4, 0xffff, v6
	s_branch .LBB1435_65
.LBB1435_80:
                                        ; implicit-def: $vgpr7
                                        ; implicit-def: $vgpr5
                                        ; implicit-def: $vgpr6
	s_cbranch_execnz .LBB1435_86
	s_branch .LBB1435_111
.LBB1435_81:
	s_and_saveexec_b32 s2, s1
	s_cbranch_execz .LBB1435_83
; %bb.82:
	s_waitcnt lgkmcnt(0)
	v_mov_b32_e32 v4, 0
	v_add_f32_e32 v3, v35, v1
	v_and_b32_e32 v5, 1, v2
	s_mov_b32 s13, 0
	s_add_i32 s12, s6, 32
	v_cmp_eq_u32_sdwa vcc_lo, v2, v4 src0_sel:BYTE_0 src1_sel:DWORD
	v_and_b32_e32 v6, 1, v34
	s_lshl_b64 s[12:13], s[12:13], 4
	s_add_u32 s12, s16, s12
	v_cndmask_b32_e32 v1, v1, v3, vcc_lo
	v_cmp_eq_u32_e32 vcc_lo, 1, v5
	s_addc_u32 s13, s17, s13
	v_mov_b32_e32 v3, 2
	v_cndmask_b32_e64 v2, v6, 1, vcc_lo
	v_mov_b32_e32 v5, s12
	v_mov_b32_e32 v6, s13
	;;#ASMSTART
	global_store_dwordx4 v[5:6], v[1:4] off	
s_waitcnt vmcnt(0)
	;;#ASMEND
.LBB1435_83:
	s_or_b32 exec_lo, exec_lo, s2
	v_cmp_eq_u32_e32 vcc_lo, 0, v0
	s_and_b32 exec_lo, exec_lo, vcc_lo
	s_cbranch_execz .LBB1435_85
; %bb.84:
	v_mov_b32_e32 v1, 0
	ds_write_b32 v1, v35 offset:56
	ds_write_b8 v1, v34 offset:60
.LBB1435_85:
	s_or_b32 exec_lo, exec_lo, s10
	v_mov_b32_e32 v1, 0
	s_waitcnt lgkmcnt(0)
	s_barrier
	buffer_gl0_inv
	v_cndmask_b32_e64 v3, v25, v23, s1
	ds_read_b32 v2, v1 offset:56
	v_cndmask_b32_e64 v4, v26, v24, s1
	v_cmp_eq_u32_sdwa vcc_lo, v4, v1 src0_sel:BYTE_0 src1_sel:DWORD
	s_waitcnt lgkmcnt(0)
	v_add_f32_e32 v5, v3, v2
	v_cndmask_b32_e32 v3, v3, v5, vcc_lo
	v_cmp_eq_u32_e32 vcc_lo, 0, v0
	v_cndmask_b32_e32 v6, v3, v2, vcc_lo
	v_cmp_eq_u16_sdwa vcc_lo, v14, v1 src0_sel:BYTE_0 src1_sel:DWORD
	v_add_f32_e32 v2, v16, v6
	v_cndmask_b32_e32 v5, v16, v2, vcc_lo
	v_add_f32_e32 v1, v15, v5
	v_cndmask_b32_e64 v7, v15, v1, s0
	s_branch .LBB1435_111
.LBB1435_86:
	s_cmp_eq_u64 s[24:25], 0
	v_mov_b32_e32 v3, s26
	s_cselect_b32 s0, -1, 0
	s_cmp_eq_u64 s[22:23], 0
	s_cselect_b32 s1, -1, 0
	s_or_b32 s0, s0, s1
	s_and_b32 vcc_lo, exec_lo, s0
	s_cbranch_vccnz .LBB1435_88
; %bb.87:
	v_mov_b32_e32 v1, 0
	global_load_dword v3, v1, s[22:23]
.LBB1435_88:
	v_mov_b32_e32 v2, 0
	s_mov_b32 s1, exec_lo
	v_cmp_eq_u16_sdwa vcc_lo, v19, v2 src0_sel:BYTE_0 src1_sel:DWORD
	v_cmp_eq_u16_sdwa s0, v21, v2 src0_sel:BYTE_0 src1_sel:DWORD
	v_cndmask_b32_e32 v1, v15, v22, vcc_lo
	v_cndmask_b32_e64 v6, 1, v14, s0
	v_cmp_eq_u16_e64 s0, 0, v20
	v_add_f32_e32 v1, v1, v18
	v_and_b32_e32 v5, 0xff, v6
	v_cndmask_b32_e64 v4, v18, v1, s0
	v_and_b32_e32 v1, 15, v17
	v_mov_b32_dpp v7, v5 row_shr:1 row_mask:0xf bank_mask:0xf
	v_mov_b32_dpp v8, v4 row_shr:1 row_mask:0xf bank_mask:0xf
	v_cmpx_ne_u32_e32 0, v1
	s_cbranch_execz .LBB1435_90
; %bb.89:
	v_add_f32_e32 v5, v4, v8
	v_and_b32_e32 v8, 1, v6
	v_cmp_eq_u16_sdwa s0, v6, v2 src0_sel:BYTE_0 src1_sel:DWORD
	v_and_b32_e32 v7, 1, v7
	v_cndmask_b32_e64 v4, v4, v5, s0
	v_cmp_eq_u32_e64 s0, 1, v8
	v_cndmask_b32_e64 v5, v7, 1, s0
.LBB1435_90:
	s_or_b32 exec_lo, exec_lo, s1
	v_mov_b32_dpp v6, v4 row_shr:2 row_mask:0xf bank_mask:0xf
	v_mov_b32_dpp v2, v5 row_shr:2 row_mask:0xf bank_mask:0xf
	s_mov_b32 s1, exec_lo
	v_cmpx_lt_u32_e32 1, v1
	s_cbranch_execz .LBB1435_92
; %bb.91:
	v_add_f32_e32 v6, v4, v6
	v_and_b32_e32 v7, 1, v5
	v_cmp_eq_u32_e64 s0, 0, v5
	v_and_b32_e32 v2, 1, v2
	v_cndmask_b32_e64 v4, v4, v6, s0
	v_cmp_eq_u32_e64 s0, 1, v7
	v_cndmask_b32_e64 v5, v2, 1, s0
.LBB1435_92:
	s_or_b32 exec_lo, exec_lo, s1
	v_mov_b32_dpp v6, v4 row_shr:4 row_mask:0xf bank_mask:0xf
	v_mov_b32_dpp v2, v5 row_shr:4 row_mask:0xf bank_mask:0xf
	s_mov_b32 s1, exec_lo
	v_cmpx_lt_u32_e32 3, v1
	s_cbranch_execz .LBB1435_94
; %bb.93:
	v_add_f32_e32 v6, v4, v6
	v_and_b32_e32 v7, 1, v5
	v_cmp_eq_u32_e64 s0, 0, v5
	v_and_b32_e32 v2, 1, v2
	v_cndmask_b32_e64 v4, v4, v6, s0
	v_cmp_eq_u32_e64 s0, 1, v7
	v_cndmask_b32_e64 v5, v2, 1, s0
.LBB1435_94:
	;; [unrolled: 15-line block ×3, first 2 shown]
	s_or_b32 exec_lo, exec_lo, s1
	ds_swizzle_b32 v2, v4 offset:swizzle(BROADCAST,32,15)
	ds_swizzle_b32 v1, v5 offset:swizzle(BROADCAST,32,15)
	v_and_b32_e32 v6, 16, v17
	s_mov_b32 s1, exec_lo
	v_cmpx_ne_u32_e32 0, v6
	s_cbranch_execz .LBB1435_98
; %bb.97:
	s_waitcnt lgkmcnt(1)
	v_add_f32_e32 v2, v4, v2
	v_and_b32_e32 v6, 1, v5
	v_cmp_eq_u32_e64 s0, 0, v5
	s_waitcnt lgkmcnt(0)
	v_and_b32_e32 v1, 1, v1
	v_cndmask_b32_e64 v4, v4, v2, s0
	v_cmp_eq_u32_e64 s0, 1, v6
	v_cndmask_b32_e64 v5, v1, 1, s0
.LBB1435_98:
	s_or_b32 exec_lo, exec_lo, s1
	s_waitcnt lgkmcnt(1)
	v_lshrrev_b32_e32 v2, 5, v0
	s_waitcnt lgkmcnt(0)
	v_or_b32_e32 v1, 31, v0
	s_mov_b32 s1, exec_lo
	v_lshlrev_b32_e32 v6, 3, v2
	v_cmpx_eq_u32_e64 v0, v1
	s_cbranch_execz .LBB1435_100
; %bb.99:
	ds_write_b32 v6, v4
	ds_write_b8 v6, v5 offset:4
.LBB1435_100:
	s_or_b32 exec_lo, exec_lo, s1
	s_mov_b32 s2, exec_lo
	s_waitcnt vmcnt(0) lgkmcnt(0)
	s_barrier
	buffer_gl0_inv
	v_cmpx_gt_u32_e32 8, v0
	s_cbranch_execz .LBB1435_106
; %bb.101:
	ds_read_b64 v[1:2], v13
	v_and_b32_e32 v7, 7, v17
	s_mov_b32 s1, exec_lo
	s_waitcnt lgkmcnt(0)
	v_mov_b32_dpp v9, v1 row_shr:1 row_mask:0xf bank_mask:0xf
	v_mov_b32_dpp v10, v2 row_shr:1 row_mask:0xf bank_mask:0xf
	v_mov_b32_e32 v8, v2
	v_cmpx_ne_u32_e32 0, v7
	s_cbranch_execz .LBB1435_103
; %bb.102:
	v_and_b32_e32 v8, 1, v2
	v_and_b32_e32 v10, 1, v10
	v_mov_b32_e32 v11, 0
	v_add_f32_e32 v9, v1, v9
	v_cmp_eq_u32_e64 s0, 1, v8
	v_cndmask_b32_e64 v8, v10, 1, s0
	v_cmp_eq_u16_sdwa s0, v2, v11 src0_sel:BYTE_0 src1_sel:DWORD
	v_and_or_b32 v2, 0xffffff00, v2, v8
	v_cndmask_b32_e64 v1, v1, v9, s0
.LBB1435_103:
	s_or_b32 exec_lo, exec_lo, s1
	v_mov_b32_dpp v9, v1 row_shr:2 row_mask:0xf bank_mask:0xf
	v_mov_b32_dpp v10, v2 row_shr:2 row_mask:0xf bank_mask:0xf
	s_mov_b32 s6, exec_lo
	v_cmpx_lt_u32_e32 1, v7
	s_cbranch_execz .LBB1435_105
; %bb.104:
	v_and_b32_e32 v18, 1, v8
	v_mov_b32_e32 v11, 0
	v_and_b32_e32 v10, 1, v10
	v_add_f32_e32 v9, v1, v9
	v_cmp_eq_u32_e64 s1, 1, v18
	v_cmp_eq_u16_sdwa s0, v8, v11 src0_sel:BYTE_0 src1_sel:DWORD
	v_cndmask_b32_e64 v8, v10, 1, s1
	v_cndmask_b32_e64 v1, v1, v9, s0
	v_and_or_b32 v2, 0xffffff00, v2, v8
.LBB1435_105:
	s_or_b32 exec_lo, exec_lo, s6
	v_mov_b32_dpp v9, v2 row_shr:4 row_mask:0xf bank_mask:0xf
	v_and_b32_e32 v11, 1, v8
	v_mov_b32_e32 v10, 0
	v_mov_b32_dpp v18, v1 row_shr:4 row_mask:0xf bank_mask:0xf
	v_and_b32_e32 v9, 1, v9
	v_cmp_eq_u32_e64 s0, 1, v11
	v_cmp_eq_u16_sdwa s1, v8, v10 src0_sel:BYTE_0 src1_sel:DWORD
	v_cndmask_b32_e64 v8, v9, 1, s0
	v_cmp_lt_u32_e64 s0, 3, v7
	v_add_f32_e32 v7, v1, v18
	v_cndmask_b32_e64 v2, v2, v8, s0
	s_and_b32 s0, s0, s1
	v_cndmask_b32_e64 v1, v1, v7, s0
	ds_write_b32 v13, v1
	ds_write_b8 v13, v2 offset:4
.LBB1435_106:
	s_or_b32 exec_lo, exec_lo, s2
	v_mov_b32_e32 v1, v3
	s_mov_b32 s1, exec_lo
	s_waitcnt lgkmcnt(0)
	s_barrier
	buffer_gl0_inv
	v_cmpx_lt_u32_e32 31, v0
	s_cbranch_execz .LBB1435_108
; %bb.107:
	v_add_nc_u32_e32 v1, -8, v6
	v_add_nc_u32_e32 v2, -4, v6
	ds_read_b32 v1, v1
	ds_read_u8 v2, v2
	s_waitcnt lgkmcnt(1)
	v_add_f32_e32 v6, v3, v1
	s_waitcnt lgkmcnt(0)
	v_cmp_eq_u16_e64 s0, 0, v2
	v_cndmask_b32_e64 v1, v1, v6, s0
.LBB1435_108:
	s_or_b32 exec_lo, exec_lo, s1
	v_sub_co_u32 v2, s0, v17, 1
	v_add_f32_e32 v6, v4, v1
	v_cmp_gt_i32_e64 s1, 0, v2
	v_cndmask_b32_e64 v2, v2, v17, s1
	v_cmp_eq_u32_e64 s1, 0, v5
	v_lshlrev_b32_e32 v2, 2, v2
	v_cndmask_b32_e64 v4, v4, v6, s1
	ds_bpermute_b32 v2, v2, v4
	s_waitcnt lgkmcnt(0)
	v_cndmask_b32_e64 v6, v2, v1, s0
	v_cmp_eq_u32_e64 s0, 0, v0
	v_mov_b32_e32 v2, 0
	v_cndmask_b32_e64 v1, v6, v3, s0
	v_cmp_eq_u16_sdwa s1, v14, v2 src0_sel:BYTE_0 src1_sel:DWORD
	v_add_f32_e32 v1, v16, v1
	v_cndmask_b32_e64 v5, v16, v1, s1
	v_add_f32_e32 v4, v15, v5
	s_and_saveexec_b32 s1, s0
	s_cbranch_execz .LBB1435_110
; %bb.109:
	ds_read_u8 v1, v2 offset:60
	ds_read_b32 v6, v2 offset:56
	s_add_u32 s10, s16, 0x200
	s_addc_u32 s11, s17, 0
	v_mov_b32_e32 v10, v2
	v_mov_b32_e32 v9, 2
	s_waitcnt lgkmcnt(1)
	v_and_b32_e32 v1, 0xffff, v1
	s_waitcnt lgkmcnt(0)
	v_add_f32_e32 v7, v3, v6
	v_cmp_eq_u64_e64 s0, 0, v[1:2]
	v_mov_b32_e32 v8, v1
	v_mov_b32_e32 v1, s10
	v_mov_b32_e32 v2, s11
	v_cndmask_b32_e64 v7, v6, v7, s0
	v_mov_b32_e32 v6, v3
	;;#ASMSTART
	global_store_dwordx4 v[1:2], v[7:10] off	
s_waitcnt vmcnt(0)
	;;#ASMEND
.LBB1435_110:
	s_or_b32 exec_lo, exec_lo, s1
	v_cndmask_b32_e32 v7, v15, v4, vcc_lo
.LBB1435_111:
	s_add_u32 s0, s14, s4
	v_mov_b32_e32 v3, 0
	s_addc_u32 s1, s15, s5
	s_add_u32 s0, s0, s8
	s_addc_u32 s1, s1, s9
	s_and_b32 vcc_lo, exec_lo, s3
	s_cbranch_vccz .LBB1435_123
; %bb.112:
	v_mul_u32_u24_e32 v1, 3, v0
	v_mov_b32_e32 v4, 0
	v_mov_b32_e32 v2, 0
	s_add_i32 s7, s7, s18
	s_mov_b32 s2, exec_lo
	v_cmpx_gt_u32_e64 s7, v1
	s_cbranch_execz .LBB1435_118
; %bb.113:
	v_add_nc_u32_e32 v3, 1, v1
	v_mov_b32_e32 v2, 0
	v_mov_b32_e32 v4, 0
	s_mov_b32 s3, exec_lo
	v_cmpx_gt_u32_e64 s7, v3
	s_cbranch_execz .LBB1435_117
; %bb.114:
	v_add_nc_u32_e32 v2, 2, v1
	v_cmp_gt_u32_e32 vcc_lo, s7, v2
	v_mov_b32_e32 v2, 0
	s_and_saveexec_b32 s4, vcc_lo
; %bb.115:
	v_mov_b32_e32 v2, v7
; %bb.116:
	s_or_b32 exec_lo, exec_lo, s4
	v_mov_b32_e32 v4, v5
.LBB1435_117:
	s_or_b32 exec_lo, exec_lo, s3
	v_mov_b32_e32 v3, v6
.LBB1435_118:
	s_or_b32 exec_lo, exec_lo, s2
	v_lshlrev_b32_e32 v8, 2, v1
	s_barrier
	buffer_gl0_inv
	v_sub_nc_u32_e32 v1, v8, v13
	ds_write2_b32 v8, v3, v4 offset1:1
	ds_write_b32 v8, v2 offset:8
	s_waitcnt lgkmcnt(0)
	s_barrier
	buffer_gl0_inv
	ds_read2st64_b32 v[1:2], v1 offset0:4 offset1:8
	v_add_co_u32 v3, s2, s0, v12
	v_add_co_ci_u32_e64 v4, null, s1, 0, s2
	s_mov_b32 s2, exec_lo
	v_cmpx_gt_u32_e64 s7, v0
	s_cbranch_execz .LBB1435_120
; %bb.119:
	v_sub_nc_u32_e32 v9, 0, v13
	v_add_nc_u32_e32 v8, v8, v9
	ds_read_b32 v8, v8
	s_waitcnt lgkmcnt(0)
	flat_store_dword v[3:4], v8
.LBB1435_120:
	s_or_b32 exec_lo, exec_lo, s2
	v_or_b32_e32 v8, 0x100, v0
	s_mov_b32 s2, exec_lo
	v_cmpx_gt_u32_e64 s7, v8
	s_cbranch_execz .LBB1435_122
; %bb.121:
	s_waitcnt lgkmcnt(0)
	flat_store_dword v[3:4], v1 offset:1024
.LBB1435_122:
	s_or_b32 exec_lo, exec_lo, s2
	s_waitcnt lgkmcnt(0)
	v_or_b32_e32 v1, 0x200, v0
	v_cmp_gt_u32_e64 s2, s7, v1
	s_branch .LBB1435_125
.LBB1435_123:
	s_mov_b32 s2, 0
                                        ; implicit-def: $vgpr2
	s_cbranch_execz .LBB1435_125
; %bb.124:
	v_mul_u32_u24_e32 v1, 12, v0
	s_waitcnt_vscnt null, 0x0
	s_barrier
	buffer_gl0_inv
	s_or_b32 s2, s2, exec_lo
	v_sub_nc_u32_e32 v2, v1, v13
	ds_write2_b32 v1, v6, v5 offset1:1
	ds_write_b32 v1, v7 offset:8
	s_waitcnt lgkmcnt(0)
	s_barrier
	buffer_gl0_inv
	ds_read2st64_b32 v[3:4], v2 offset1:4
	ds_read_b32 v2, v2 offset:2048
	v_add_co_u32 v5, s3, s0, v12
	v_add_co_ci_u32_e64 v6, null, s1, 0, s3
	s_waitcnt lgkmcnt(1)
	flat_store_dword v[5:6], v3
	flat_store_dword v[5:6], v4 offset:1024
.LBB1435_125:
	s_and_saveexec_b32 s3, s2
	s_cbranch_execnz .LBB1435_127
; %bb.126:
	s_endpgm
.LBB1435_127:
	v_lshlrev_b32_e32 v0, 2, v0
	v_add_co_u32 v0, s0, s0, v0
	v_add_co_ci_u32_e64 v1, null, s1, 0, s0
	v_add_co_u32 v0, vcc_lo, 0x800, v0
	v_add_co_ci_u32_e64 v1, null, 0, v1, vcc_lo
	s_waitcnt lgkmcnt(2)
	flat_store_dword v[0:1], v2
	s_endpgm
.LBB1435_128:
	v_add_co_u32 v2, s20, s12, v10
	v_add_co_ci_u32_e64 v3, null, s13, 0, s20
	v_mov_b32_e32 v12, v1
	v_mov_b32_e32 v13, v1
	flat_load_dword v11, v[2:3]
	s_waitcnt vmcnt(0) lgkmcnt(0)
	v_mov_b32_e32 v1, v11
	v_mov_b32_e32 v2, v12
	;; [unrolled: 1-line block ×3, first 2 shown]
	s_or_b32 exec_lo, exec_lo, s2
	s_and_saveexec_b32 s2, s0
	s_cbranch_execz .LBB1435_11
.LBB1435_129:
	v_add_co_u32 v11, s0, s12, v10
	v_add_co_ci_u32_e64 v12, null, s13, 0, s0
	flat_load_dword v2, v[11:12] offset:1024
	s_or_b32 exec_lo, exec_lo, s2
	v_mul_u32_u24_e32 v11, 3, v0
	s_and_saveexec_b32 s0, s1
	s_cbranch_execnz .LBB1435_12
	s_branch .LBB1435_13
	.section	.rodata,"a",@progbits
	.p2align	6, 0x0
	.amdhsa_kernel _ZN7rocprim17ROCPRIM_400000_NS6detail17trampoline_kernelINS0_14default_configENS1_27scan_by_key_config_selectorIifEEZZNS1_16scan_by_key_implILNS1_25lookback_scan_determinismE0ELb1ES3_N6thrust23THRUST_200600_302600_NS6detail15normal_iteratorINS9_10device_ptrIiEEEENSB_INSC_IfEEEESG_fNS9_4plusIvEENS9_8equal_toIvEEfEE10hipError_tPvRmT2_T3_T4_T5_mT6_T7_P12ihipStream_tbENKUlT_T0_E_clISt17integral_constantIbLb0EES11_EEDaSW_SX_EUlSW_E_NS1_11comp_targetILNS1_3genE8ELNS1_11target_archE1030ELNS1_3gpuE2ELNS1_3repE0EEENS1_30default_config_static_selectorELNS0_4arch9wavefront6targetE0EEEvT1_
		.amdhsa_group_segment_fixed_size 5120
		.amdhsa_private_segment_fixed_size 0
		.amdhsa_kernarg_size 112
		.amdhsa_user_sgpr_count 6
		.amdhsa_user_sgpr_private_segment_buffer 1
		.amdhsa_user_sgpr_dispatch_ptr 0
		.amdhsa_user_sgpr_queue_ptr 0
		.amdhsa_user_sgpr_kernarg_segment_ptr 1
		.amdhsa_user_sgpr_dispatch_id 0
		.amdhsa_user_sgpr_flat_scratch_init 0
		.amdhsa_user_sgpr_private_segment_size 0
		.amdhsa_wavefront_size32 1
		.amdhsa_uses_dynamic_stack 0
		.amdhsa_system_sgpr_private_segment_wavefront_offset 0
		.amdhsa_system_sgpr_workgroup_id_x 1
		.amdhsa_system_sgpr_workgroup_id_y 0
		.amdhsa_system_sgpr_workgroup_id_z 0
		.amdhsa_system_sgpr_workgroup_info 0
		.amdhsa_system_vgpr_workitem_id 0
		.amdhsa_next_free_vgpr 40
		.amdhsa_next_free_sgpr 29
		.amdhsa_reserve_vcc 1
		.amdhsa_reserve_flat_scratch 1
		.amdhsa_float_round_mode_32 0
		.amdhsa_float_round_mode_16_64 0
		.amdhsa_float_denorm_mode_32 3
		.amdhsa_float_denorm_mode_16_64 3
		.amdhsa_dx10_clamp 1
		.amdhsa_ieee_mode 1
		.amdhsa_fp16_overflow 0
		.amdhsa_workgroup_processor_mode 1
		.amdhsa_memory_ordered 1
		.amdhsa_forward_progress 1
		.amdhsa_shared_vgpr_count 0
		.amdhsa_exception_fp_ieee_invalid_op 0
		.amdhsa_exception_fp_denorm_src 0
		.amdhsa_exception_fp_ieee_div_zero 0
		.amdhsa_exception_fp_ieee_overflow 0
		.amdhsa_exception_fp_ieee_underflow 0
		.amdhsa_exception_fp_ieee_inexact 0
		.amdhsa_exception_int_div_zero 0
	.end_amdhsa_kernel
	.section	.text._ZN7rocprim17ROCPRIM_400000_NS6detail17trampoline_kernelINS0_14default_configENS1_27scan_by_key_config_selectorIifEEZZNS1_16scan_by_key_implILNS1_25lookback_scan_determinismE0ELb1ES3_N6thrust23THRUST_200600_302600_NS6detail15normal_iteratorINS9_10device_ptrIiEEEENSB_INSC_IfEEEESG_fNS9_4plusIvEENS9_8equal_toIvEEfEE10hipError_tPvRmT2_T3_T4_T5_mT6_T7_P12ihipStream_tbENKUlT_T0_E_clISt17integral_constantIbLb0EES11_EEDaSW_SX_EUlSW_E_NS1_11comp_targetILNS1_3genE8ELNS1_11target_archE1030ELNS1_3gpuE2ELNS1_3repE0EEENS1_30default_config_static_selectorELNS0_4arch9wavefront6targetE0EEEvT1_,"axG",@progbits,_ZN7rocprim17ROCPRIM_400000_NS6detail17trampoline_kernelINS0_14default_configENS1_27scan_by_key_config_selectorIifEEZZNS1_16scan_by_key_implILNS1_25lookback_scan_determinismE0ELb1ES3_N6thrust23THRUST_200600_302600_NS6detail15normal_iteratorINS9_10device_ptrIiEEEENSB_INSC_IfEEEESG_fNS9_4plusIvEENS9_8equal_toIvEEfEE10hipError_tPvRmT2_T3_T4_T5_mT6_T7_P12ihipStream_tbENKUlT_T0_E_clISt17integral_constantIbLb0EES11_EEDaSW_SX_EUlSW_E_NS1_11comp_targetILNS1_3genE8ELNS1_11target_archE1030ELNS1_3gpuE2ELNS1_3repE0EEENS1_30default_config_static_selectorELNS0_4arch9wavefront6targetE0EEEvT1_,comdat
.Lfunc_end1435:
	.size	_ZN7rocprim17ROCPRIM_400000_NS6detail17trampoline_kernelINS0_14default_configENS1_27scan_by_key_config_selectorIifEEZZNS1_16scan_by_key_implILNS1_25lookback_scan_determinismE0ELb1ES3_N6thrust23THRUST_200600_302600_NS6detail15normal_iteratorINS9_10device_ptrIiEEEENSB_INSC_IfEEEESG_fNS9_4plusIvEENS9_8equal_toIvEEfEE10hipError_tPvRmT2_T3_T4_T5_mT6_T7_P12ihipStream_tbENKUlT_T0_E_clISt17integral_constantIbLb0EES11_EEDaSW_SX_EUlSW_E_NS1_11comp_targetILNS1_3genE8ELNS1_11target_archE1030ELNS1_3gpuE2ELNS1_3repE0EEENS1_30default_config_static_selectorELNS0_4arch9wavefront6targetE0EEEvT1_, .Lfunc_end1435-_ZN7rocprim17ROCPRIM_400000_NS6detail17trampoline_kernelINS0_14default_configENS1_27scan_by_key_config_selectorIifEEZZNS1_16scan_by_key_implILNS1_25lookback_scan_determinismE0ELb1ES3_N6thrust23THRUST_200600_302600_NS6detail15normal_iteratorINS9_10device_ptrIiEEEENSB_INSC_IfEEEESG_fNS9_4plusIvEENS9_8equal_toIvEEfEE10hipError_tPvRmT2_T3_T4_T5_mT6_T7_P12ihipStream_tbENKUlT_T0_E_clISt17integral_constantIbLb0EES11_EEDaSW_SX_EUlSW_E_NS1_11comp_targetILNS1_3genE8ELNS1_11target_archE1030ELNS1_3gpuE2ELNS1_3repE0EEENS1_30default_config_static_selectorELNS0_4arch9wavefront6targetE0EEEvT1_
                                        ; -- End function
	.set _ZN7rocprim17ROCPRIM_400000_NS6detail17trampoline_kernelINS0_14default_configENS1_27scan_by_key_config_selectorIifEEZZNS1_16scan_by_key_implILNS1_25lookback_scan_determinismE0ELb1ES3_N6thrust23THRUST_200600_302600_NS6detail15normal_iteratorINS9_10device_ptrIiEEEENSB_INSC_IfEEEESG_fNS9_4plusIvEENS9_8equal_toIvEEfEE10hipError_tPvRmT2_T3_T4_T5_mT6_T7_P12ihipStream_tbENKUlT_T0_E_clISt17integral_constantIbLb0EES11_EEDaSW_SX_EUlSW_E_NS1_11comp_targetILNS1_3genE8ELNS1_11target_archE1030ELNS1_3gpuE2ELNS1_3repE0EEENS1_30default_config_static_selectorELNS0_4arch9wavefront6targetE0EEEvT1_.num_vgpr, 40
	.set _ZN7rocprim17ROCPRIM_400000_NS6detail17trampoline_kernelINS0_14default_configENS1_27scan_by_key_config_selectorIifEEZZNS1_16scan_by_key_implILNS1_25lookback_scan_determinismE0ELb1ES3_N6thrust23THRUST_200600_302600_NS6detail15normal_iteratorINS9_10device_ptrIiEEEENSB_INSC_IfEEEESG_fNS9_4plusIvEENS9_8equal_toIvEEfEE10hipError_tPvRmT2_T3_T4_T5_mT6_T7_P12ihipStream_tbENKUlT_T0_E_clISt17integral_constantIbLb0EES11_EEDaSW_SX_EUlSW_E_NS1_11comp_targetILNS1_3genE8ELNS1_11target_archE1030ELNS1_3gpuE2ELNS1_3repE0EEENS1_30default_config_static_selectorELNS0_4arch9wavefront6targetE0EEEvT1_.num_agpr, 0
	.set _ZN7rocprim17ROCPRIM_400000_NS6detail17trampoline_kernelINS0_14default_configENS1_27scan_by_key_config_selectorIifEEZZNS1_16scan_by_key_implILNS1_25lookback_scan_determinismE0ELb1ES3_N6thrust23THRUST_200600_302600_NS6detail15normal_iteratorINS9_10device_ptrIiEEEENSB_INSC_IfEEEESG_fNS9_4plusIvEENS9_8equal_toIvEEfEE10hipError_tPvRmT2_T3_T4_T5_mT6_T7_P12ihipStream_tbENKUlT_T0_E_clISt17integral_constantIbLb0EES11_EEDaSW_SX_EUlSW_E_NS1_11comp_targetILNS1_3genE8ELNS1_11target_archE1030ELNS1_3gpuE2ELNS1_3repE0EEENS1_30default_config_static_selectorELNS0_4arch9wavefront6targetE0EEEvT1_.numbered_sgpr, 29
	.set _ZN7rocprim17ROCPRIM_400000_NS6detail17trampoline_kernelINS0_14default_configENS1_27scan_by_key_config_selectorIifEEZZNS1_16scan_by_key_implILNS1_25lookback_scan_determinismE0ELb1ES3_N6thrust23THRUST_200600_302600_NS6detail15normal_iteratorINS9_10device_ptrIiEEEENSB_INSC_IfEEEESG_fNS9_4plusIvEENS9_8equal_toIvEEfEE10hipError_tPvRmT2_T3_T4_T5_mT6_T7_P12ihipStream_tbENKUlT_T0_E_clISt17integral_constantIbLb0EES11_EEDaSW_SX_EUlSW_E_NS1_11comp_targetILNS1_3genE8ELNS1_11target_archE1030ELNS1_3gpuE2ELNS1_3repE0EEENS1_30default_config_static_selectorELNS0_4arch9wavefront6targetE0EEEvT1_.num_named_barrier, 0
	.set _ZN7rocprim17ROCPRIM_400000_NS6detail17trampoline_kernelINS0_14default_configENS1_27scan_by_key_config_selectorIifEEZZNS1_16scan_by_key_implILNS1_25lookback_scan_determinismE0ELb1ES3_N6thrust23THRUST_200600_302600_NS6detail15normal_iteratorINS9_10device_ptrIiEEEENSB_INSC_IfEEEESG_fNS9_4plusIvEENS9_8equal_toIvEEfEE10hipError_tPvRmT2_T3_T4_T5_mT6_T7_P12ihipStream_tbENKUlT_T0_E_clISt17integral_constantIbLb0EES11_EEDaSW_SX_EUlSW_E_NS1_11comp_targetILNS1_3genE8ELNS1_11target_archE1030ELNS1_3gpuE2ELNS1_3repE0EEENS1_30default_config_static_selectorELNS0_4arch9wavefront6targetE0EEEvT1_.private_seg_size, 0
	.set _ZN7rocprim17ROCPRIM_400000_NS6detail17trampoline_kernelINS0_14default_configENS1_27scan_by_key_config_selectorIifEEZZNS1_16scan_by_key_implILNS1_25lookback_scan_determinismE0ELb1ES3_N6thrust23THRUST_200600_302600_NS6detail15normal_iteratorINS9_10device_ptrIiEEEENSB_INSC_IfEEEESG_fNS9_4plusIvEENS9_8equal_toIvEEfEE10hipError_tPvRmT2_T3_T4_T5_mT6_T7_P12ihipStream_tbENKUlT_T0_E_clISt17integral_constantIbLb0EES11_EEDaSW_SX_EUlSW_E_NS1_11comp_targetILNS1_3genE8ELNS1_11target_archE1030ELNS1_3gpuE2ELNS1_3repE0EEENS1_30default_config_static_selectorELNS0_4arch9wavefront6targetE0EEEvT1_.uses_vcc, 1
	.set _ZN7rocprim17ROCPRIM_400000_NS6detail17trampoline_kernelINS0_14default_configENS1_27scan_by_key_config_selectorIifEEZZNS1_16scan_by_key_implILNS1_25lookback_scan_determinismE0ELb1ES3_N6thrust23THRUST_200600_302600_NS6detail15normal_iteratorINS9_10device_ptrIiEEEENSB_INSC_IfEEEESG_fNS9_4plusIvEENS9_8equal_toIvEEfEE10hipError_tPvRmT2_T3_T4_T5_mT6_T7_P12ihipStream_tbENKUlT_T0_E_clISt17integral_constantIbLb0EES11_EEDaSW_SX_EUlSW_E_NS1_11comp_targetILNS1_3genE8ELNS1_11target_archE1030ELNS1_3gpuE2ELNS1_3repE0EEENS1_30default_config_static_selectorELNS0_4arch9wavefront6targetE0EEEvT1_.uses_flat_scratch, 1
	.set _ZN7rocprim17ROCPRIM_400000_NS6detail17trampoline_kernelINS0_14default_configENS1_27scan_by_key_config_selectorIifEEZZNS1_16scan_by_key_implILNS1_25lookback_scan_determinismE0ELb1ES3_N6thrust23THRUST_200600_302600_NS6detail15normal_iteratorINS9_10device_ptrIiEEEENSB_INSC_IfEEEESG_fNS9_4plusIvEENS9_8equal_toIvEEfEE10hipError_tPvRmT2_T3_T4_T5_mT6_T7_P12ihipStream_tbENKUlT_T0_E_clISt17integral_constantIbLb0EES11_EEDaSW_SX_EUlSW_E_NS1_11comp_targetILNS1_3genE8ELNS1_11target_archE1030ELNS1_3gpuE2ELNS1_3repE0EEENS1_30default_config_static_selectorELNS0_4arch9wavefront6targetE0EEEvT1_.has_dyn_sized_stack, 0
	.set _ZN7rocprim17ROCPRIM_400000_NS6detail17trampoline_kernelINS0_14default_configENS1_27scan_by_key_config_selectorIifEEZZNS1_16scan_by_key_implILNS1_25lookback_scan_determinismE0ELb1ES3_N6thrust23THRUST_200600_302600_NS6detail15normal_iteratorINS9_10device_ptrIiEEEENSB_INSC_IfEEEESG_fNS9_4plusIvEENS9_8equal_toIvEEfEE10hipError_tPvRmT2_T3_T4_T5_mT6_T7_P12ihipStream_tbENKUlT_T0_E_clISt17integral_constantIbLb0EES11_EEDaSW_SX_EUlSW_E_NS1_11comp_targetILNS1_3genE8ELNS1_11target_archE1030ELNS1_3gpuE2ELNS1_3repE0EEENS1_30default_config_static_selectorELNS0_4arch9wavefront6targetE0EEEvT1_.has_recursion, 0
	.set _ZN7rocprim17ROCPRIM_400000_NS6detail17trampoline_kernelINS0_14default_configENS1_27scan_by_key_config_selectorIifEEZZNS1_16scan_by_key_implILNS1_25lookback_scan_determinismE0ELb1ES3_N6thrust23THRUST_200600_302600_NS6detail15normal_iteratorINS9_10device_ptrIiEEEENSB_INSC_IfEEEESG_fNS9_4plusIvEENS9_8equal_toIvEEfEE10hipError_tPvRmT2_T3_T4_T5_mT6_T7_P12ihipStream_tbENKUlT_T0_E_clISt17integral_constantIbLb0EES11_EEDaSW_SX_EUlSW_E_NS1_11comp_targetILNS1_3genE8ELNS1_11target_archE1030ELNS1_3gpuE2ELNS1_3repE0EEENS1_30default_config_static_selectorELNS0_4arch9wavefront6targetE0EEEvT1_.has_indirect_call, 0
	.section	.AMDGPU.csdata,"",@progbits
; Kernel info:
; codeLenInByte = 6088
; TotalNumSgprs: 31
; NumVgprs: 40
; ScratchSize: 0
; MemoryBound: 0
; FloatMode: 240
; IeeeMode: 1
; LDSByteSize: 5120 bytes/workgroup (compile time only)
; SGPRBlocks: 0
; VGPRBlocks: 4
; NumSGPRsForWavesPerEU: 31
; NumVGPRsForWavesPerEU: 40
; Occupancy: 16
; WaveLimiterHint : 1
; COMPUTE_PGM_RSRC2:SCRATCH_EN: 0
; COMPUTE_PGM_RSRC2:USER_SGPR: 6
; COMPUTE_PGM_RSRC2:TRAP_HANDLER: 0
; COMPUTE_PGM_RSRC2:TGID_X_EN: 1
; COMPUTE_PGM_RSRC2:TGID_Y_EN: 0
; COMPUTE_PGM_RSRC2:TGID_Z_EN: 0
; COMPUTE_PGM_RSRC2:TIDIG_COMP_CNT: 0
	.section	.text._ZN7rocprim17ROCPRIM_400000_NS6detail17trampoline_kernelINS0_14default_configENS1_27scan_by_key_config_selectorIifEEZZNS1_16scan_by_key_implILNS1_25lookback_scan_determinismE0ELb1ES3_N6thrust23THRUST_200600_302600_NS6detail15normal_iteratorINS9_10device_ptrIiEEEENSB_INSC_IfEEEESG_fNS9_4plusIvEENS9_8equal_toIvEEfEE10hipError_tPvRmT2_T3_T4_T5_mT6_T7_P12ihipStream_tbENKUlT_T0_E_clISt17integral_constantIbLb1EES11_EEDaSW_SX_EUlSW_E_NS1_11comp_targetILNS1_3genE0ELNS1_11target_archE4294967295ELNS1_3gpuE0ELNS1_3repE0EEENS1_30default_config_static_selectorELNS0_4arch9wavefront6targetE0EEEvT1_,"axG",@progbits,_ZN7rocprim17ROCPRIM_400000_NS6detail17trampoline_kernelINS0_14default_configENS1_27scan_by_key_config_selectorIifEEZZNS1_16scan_by_key_implILNS1_25lookback_scan_determinismE0ELb1ES3_N6thrust23THRUST_200600_302600_NS6detail15normal_iteratorINS9_10device_ptrIiEEEENSB_INSC_IfEEEESG_fNS9_4plusIvEENS9_8equal_toIvEEfEE10hipError_tPvRmT2_T3_T4_T5_mT6_T7_P12ihipStream_tbENKUlT_T0_E_clISt17integral_constantIbLb1EES11_EEDaSW_SX_EUlSW_E_NS1_11comp_targetILNS1_3genE0ELNS1_11target_archE4294967295ELNS1_3gpuE0ELNS1_3repE0EEENS1_30default_config_static_selectorELNS0_4arch9wavefront6targetE0EEEvT1_,comdat
	.protected	_ZN7rocprim17ROCPRIM_400000_NS6detail17trampoline_kernelINS0_14default_configENS1_27scan_by_key_config_selectorIifEEZZNS1_16scan_by_key_implILNS1_25lookback_scan_determinismE0ELb1ES3_N6thrust23THRUST_200600_302600_NS6detail15normal_iteratorINS9_10device_ptrIiEEEENSB_INSC_IfEEEESG_fNS9_4plusIvEENS9_8equal_toIvEEfEE10hipError_tPvRmT2_T3_T4_T5_mT6_T7_P12ihipStream_tbENKUlT_T0_E_clISt17integral_constantIbLb1EES11_EEDaSW_SX_EUlSW_E_NS1_11comp_targetILNS1_3genE0ELNS1_11target_archE4294967295ELNS1_3gpuE0ELNS1_3repE0EEENS1_30default_config_static_selectorELNS0_4arch9wavefront6targetE0EEEvT1_ ; -- Begin function _ZN7rocprim17ROCPRIM_400000_NS6detail17trampoline_kernelINS0_14default_configENS1_27scan_by_key_config_selectorIifEEZZNS1_16scan_by_key_implILNS1_25lookback_scan_determinismE0ELb1ES3_N6thrust23THRUST_200600_302600_NS6detail15normal_iteratorINS9_10device_ptrIiEEEENSB_INSC_IfEEEESG_fNS9_4plusIvEENS9_8equal_toIvEEfEE10hipError_tPvRmT2_T3_T4_T5_mT6_T7_P12ihipStream_tbENKUlT_T0_E_clISt17integral_constantIbLb1EES11_EEDaSW_SX_EUlSW_E_NS1_11comp_targetILNS1_3genE0ELNS1_11target_archE4294967295ELNS1_3gpuE0ELNS1_3repE0EEENS1_30default_config_static_selectorELNS0_4arch9wavefront6targetE0EEEvT1_
	.globl	_ZN7rocprim17ROCPRIM_400000_NS6detail17trampoline_kernelINS0_14default_configENS1_27scan_by_key_config_selectorIifEEZZNS1_16scan_by_key_implILNS1_25lookback_scan_determinismE0ELb1ES3_N6thrust23THRUST_200600_302600_NS6detail15normal_iteratorINS9_10device_ptrIiEEEENSB_INSC_IfEEEESG_fNS9_4plusIvEENS9_8equal_toIvEEfEE10hipError_tPvRmT2_T3_T4_T5_mT6_T7_P12ihipStream_tbENKUlT_T0_E_clISt17integral_constantIbLb1EES11_EEDaSW_SX_EUlSW_E_NS1_11comp_targetILNS1_3genE0ELNS1_11target_archE4294967295ELNS1_3gpuE0ELNS1_3repE0EEENS1_30default_config_static_selectorELNS0_4arch9wavefront6targetE0EEEvT1_
	.p2align	8
	.type	_ZN7rocprim17ROCPRIM_400000_NS6detail17trampoline_kernelINS0_14default_configENS1_27scan_by_key_config_selectorIifEEZZNS1_16scan_by_key_implILNS1_25lookback_scan_determinismE0ELb1ES3_N6thrust23THRUST_200600_302600_NS6detail15normal_iteratorINS9_10device_ptrIiEEEENSB_INSC_IfEEEESG_fNS9_4plusIvEENS9_8equal_toIvEEfEE10hipError_tPvRmT2_T3_T4_T5_mT6_T7_P12ihipStream_tbENKUlT_T0_E_clISt17integral_constantIbLb1EES11_EEDaSW_SX_EUlSW_E_NS1_11comp_targetILNS1_3genE0ELNS1_11target_archE4294967295ELNS1_3gpuE0ELNS1_3repE0EEENS1_30default_config_static_selectorELNS0_4arch9wavefront6targetE0EEEvT1_,@function
_ZN7rocprim17ROCPRIM_400000_NS6detail17trampoline_kernelINS0_14default_configENS1_27scan_by_key_config_selectorIifEEZZNS1_16scan_by_key_implILNS1_25lookback_scan_determinismE0ELb1ES3_N6thrust23THRUST_200600_302600_NS6detail15normal_iteratorINS9_10device_ptrIiEEEENSB_INSC_IfEEEESG_fNS9_4plusIvEENS9_8equal_toIvEEfEE10hipError_tPvRmT2_T3_T4_T5_mT6_T7_P12ihipStream_tbENKUlT_T0_E_clISt17integral_constantIbLb1EES11_EEDaSW_SX_EUlSW_E_NS1_11comp_targetILNS1_3genE0ELNS1_11target_archE4294967295ELNS1_3gpuE0ELNS1_3repE0EEENS1_30default_config_static_selectorELNS0_4arch9wavefront6targetE0EEEvT1_: ; @_ZN7rocprim17ROCPRIM_400000_NS6detail17trampoline_kernelINS0_14default_configENS1_27scan_by_key_config_selectorIifEEZZNS1_16scan_by_key_implILNS1_25lookback_scan_determinismE0ELb1ES3_N6thrust23THRUST_200600_302600_NS6detail15normal_iteratorINS9_10device_ptrIiEEEENSB_INSC_IfEEEESG_fNS9_4plusIvEENS9_8equal_toIvEEfEE10hipError_tPvRmT2_T3_T4_T5_mT6_T7_P12ihipStream_tbENKUlT_T0_E_clISt17integral_constantIbLb1EES11_EEDaSW_SX_EUlSW_E_NS1_11comp_targetILNS1_3genE0ELNS1_11target_archE4294967295ELNS1_3gpuE0ELNS1_3repE0EEENS1_30default_config_static_selectorELNS0_4arch9wavefront6targetE0EEEvT1_
; %bb.0:
	.section	.rodata,"a",@progbits
	.p2align	6, 0x0
	.amdhsa_kernel _ZN7rocprim17ROCPRIM_400000_NS6detail17trampoline_kernelINS0_14default_configENS1_27scan_by_key_config_selectorIifEEZZNS1_16scan_by_key_implILNS1_25lookback_scan_determinismE0ELb1ES3_N6thrust23THRUST_200600_302600_NS6detail15normal_iteratorINS9_10device_ptrIiEEEENSB_INSC_IfEEEESG_fNS9_4plusIvEENS9_8equal_toIvEEfEE10hipError_tPvRmT2_T3_T4_T5_mT6_T7_P12ihipStream_tbENKUlT_T0_E_clISt17integral_constantIbLb1EES11_EEDaSW_SX_EUlSW_E_NS1_11comp_targetILNS1_3genE0ELNS1_11target_archE4294967295ELNS1_3gpuE0ELNS1_3repE0EEENS1_30default_config_static_selectorELNS0_4arch9wavefront6targetE0EEEvT1_
		.amdhsa_group_segment_fixed_size 0
		.amdhsa_private_segment_fixed_size 0
		.amdhsa_kernarg_size 112
		.amdhsa_user_sgpr_count 6
		.amdhsa_user_sgpr_private_segment_buffer 1
		.amdhsa_user_sgpr_dispatch_ptr 0
		.amdhsa_user_sgpr_queue_ptr 0
		.amdhsa_user_sgpr_kernarg_segment_ptr 1
		.amdhsa_user_sgpr_dispatch_id 0
		.amdhsa_user_sgpr_flat_scratch_init 0
		.amdhsa_user_sgpr_private_segment_size 0
		.amdhsa_wavefront_size32 1
		.amdhsa_uses_dynamic_stack 0
		.amdhsa_system_sgpr_private_segment_wavefront_offset 0
		.amdhsa_system_sgpr_workgroup_id_x 1
		.amdhsa_system_sgpr_workgroup_id_y 0
		.amdhsa_system_sgpr_workgroup_id_z 0
		.amdhsa_system_sgpr_workgroup_info 0
		.amdhsa_system_vgpr_workitem_id 0
		.amdhsa_next_free_vgpr 1
		.amdhsa_next_free_sgpr 1
		.amdhsa_reserve_vcc 0
		.amdhsa_reserve_flat_scratch 0
		.amdhsa_float_round_mode_32 0
		.amdhsa_float_round_mode_16_64 0
		.amdhsa_float_denorm_mode_32 3
		.amdhsa_float_denorm_mode_16_64 3
		.amdhsa_dx10_clamp 1
		.amdhsa_ieee_mode 1
		.amdhsa_fp16_overflow 0
		.amdhsa_workgroup_processor_mode 1
		.amdhsa_memory_ordered 1
		.amdhsa_forward_progress 1
		.amdhsa_shared_vgpr_count 0
		.amdhsa_exception_fp_ieee_invalid_op 0
		.amdhsa_exception_fp_denorm_src 0
		.amdhsa_exception_fp_ieee_div_zero 0
		.amdhsa_exception_fp_ieee_overflow 0
		.amdhsa_exception_fp_ieee_underflow 0
		.amdhsa_exception_fp_ieee_inexact 0
		.amdhsa_exception_int_div_zero 0
	.end_amdhsa_kernel
	.section	.text._ZN7rocprim17ROCPRIM_400000_NS6detail17trampoline_kernelINS0_14default_configENS1_27scan_by_key_config_selectorIifEEZZNS1_16scan_by_key_implILNS1_25lookback_scan_determinismE0ELb1ES3_N6thrust23THRUST_200600_302600_NS6detail15normal_iteratorINS9_10device_ptrIiEEEENSB_INSC_IfEEEESG_fNS9_4plusIvEENS9_8equal_toIvEEfEE10hipError_tPvRmT2_T3_T4_T5_mT6_T7_P12ihipStream_tbENKUlT_T0_E_clISt17integral_constantIbLb1EES11_EEDaSW_SX_EUlSW_E_NS1_11comp_targetILNS1_3genE0ELNS1_11target_archE4294967295ELNS1_3gpuE0ELNS1_3repE0EEENS1_30default_config_static_selectorELNS0_4arch9wavefront6targetE0EEEvT1_,"axG",@progbits,_ZN7rocprim17ROCPRIM_400000_NS6detail17trampoline_kernelINS0_14default_configENS1_27scan_by_key_config_selectorIifEEZZNS1_16scan_by_key_implILNS1_25lookback_scan_determinismE0ELb1ES3_N6thrust23THRUST_200600_302600_NS6detail15normal_iteratorINS9_10device_ptrIiEEEENSB_INSC_IfEEEESG_fNS9_4plusIvEENS9_8equal_toIvEEfEE10hipError_tPvRmT2_T3_T4_T5_mT6_T7_P12ihipStream_tbENKUlT_T0_E_clISt17integral_constantIbLb1EES11_EEDaSW_SX_EUlSW_E_NS1_11comp_targetILNS1_3genE0ELNS1_11target_archE4294967295ELNS1_3gpuE0ELNS1_3repE0EEENS1_30default_config_static_selectorELNS0_4arch9wavefront6targetE0EEEvT1_,comdat
.Lfunc_end1436:
	.size	_ZN7rocprim17ROCPRIM_400000_NS6detail17trampoline_kernelINS0_14default_configENS1_27scan_by_key_config_selectorIifEEZZNS1_16scan_by_key_implILNS1_25lookback_scan_determinismE0ELb1ES3_N6thrust23THRUST_200600_302600_NS6detail15normal_iteratorINS9_10device_ptrIiEEEENSB_INSC_IfEEEESG_fNS9_4plusIvEENS9_8equal_toIvEEfEE10hipError_tPvRmT2_T3_T4_T5_mT6_T7_P12ihipStream_tbENKUlT_T0_E_clISt17integral_constantIbLb1EES11_EEDaSW_SX_EUlSW_E_NS1_11comp_targetILNS1_3genE0ELNS1_11target_archE4294967295ELNS1_3gpuE0ELNS1_3repE0EEENS1_30default_config_static_selectorELNS0_4arch9wavefront6targetE0EEEvT1_, .Lfunc_end1436-_ZN7rocprim17ROCPRIM_400000_NS6detail17trampoline_kernelINS0_14default_configENS1_27scan_by_key_config_selectorIifEEZZNS1_16scan_by_key_implILNS1_25lookback_scan_determinismE0ELb1ES3_N6thrust23THRUST_200600_302600_NS6detail15normal_iteratorINS9_10device_ptrIiEEEENSB_INSC_IfEEEESG_fNS9_4plusIvEENS9_8equal_toIvEEfEE10hipError_tPvRmT2_T3_T4_T5_mT6_T7_P12ihipStream_tbENKUlT_T0_E_clISt17integral_constantIbLb1EES11_EEDaSW_SX_EUlSW_E_NS1_11comp_targetILNS1_3genE0ELNS1_11target_archE4294967295ELNS1_3gpuE0ELNS1_3repE0EEENS1_30default_config_static_selectorELNS0_4arch9wavefront6targetE0EEEvT1_
                                        ; -- End function
	.set _ZN7rocprim17ROCPRIM_400000_NS6detail17trampoline_kernelINS0_14default_configENS1_27scan_by_key_config_selectorIifEEZZNS1_16scan_by_key_implILNS1_25lookback_scan_determinismE0ELb1ES3_N6thrust23THRUST_200600_302600_NS6detail15normal_iteratorINS9_10device_ptrIiEEEENSB_INSC_IfEEEESG_fNS9_4plusIvEENS9_8equal_toIvEEfEE10hipError_tPvRmT2_T3_T4_T5_mT6_T7_P12ihipStream_tbENKUlT_T0_E_clISt17integral_constantIbLb1EES11_EEDaSW_SX_EUlSW_E_NS1_11comp_targetILNS1_3genE0ELNS1_11target_archE4294967295ELNS1_3gpuE0ELNS1_3repE0EEENS1_30default_config_static_selectorELNS0_4arch9wavefront6targetE0EEEvT1_.num_vgpr, 0
	.set _ZN7rocprim17ROCPRIM_400000_NS6detail17trampoline_kernelINS0_14default_configENS1_27scan_by_key_config_selectorIifEEZZNS1_16scan_by_key_implILNS1_25lookback_scan_determinismE0ELb1ES3_N6thrust23THRUST_200600_302600_NS6detail15normal_iteratorINS9_10device_ptrIiEEEENSB_INSC_IfEEEESG_fNS9_4plusIvEENS9_8equal_toIvEEfEE10hipError_tPvRmT2_T3_T4_T5_mT6_T7_P12ihipStream_tbENKUlT_T0_E_clISt17integral_constantIbLb1EES11_EEDaSW_SX_EUlSW_E_NS1_11comp_targetILNS1_3genE0ELNS1_11target_archE4294967295ELNS1_3gpuE0ELNS1_3repE0EEENS1_30default_config_static_selectorELNS0_4arch9wavefront6targetE0EEEvT1_.num_agpr, 0
	.set _ZN7rocprim17ROCPRIM_400000_NS6detail17trampoline_kernelINS0_14default_configENS1_27scan_by_key_config_selectorIifEEZZNS1_16scan_by_key_implILNS1_25lookback_scan_determinismE0ELb1ES3_N6thrust23THRUST_200600_302600_NS6detail15normal_iteratorINS9_10device_ptrIiEEEENSB_INSC_IfEEEESG_fNS9_4plusIvEENS9_8equal_toIvEEfEE10hipError_tPvRmT2_T3_T4_T5_mT6_T7_P12ihipStream_tbENKUlT_T0_E_clISt17integral_constantIbLb1EES11_EEDaSW_SX_EUlSW_E_NS1_11comp_targetILNS1_3genE0ELNS1_11target_archE4294967295ELNS1_3gpuE0ELNS1_3repE0EEENS1_30default_config_static_selectorELNS0_4arch9wavefront6targetE0EEEvT1_.numbered_sgpr, 0
	.set _ZN7rocprim17ROCPRIM_400000_NS6detail17trampoline_kernelINS0_14default_configENS1_27scan_by_key_config_selectorIifEEZZNS1_16scan_by_key_implILNS1_25lookback_scan_determinismE0ELb1ES3_N6thrust23THRUST_200600_302600_NS6detail15normal_iteratorINS9_10device_ptrIiEEEENSB_INSC_IfEEEESG_fNS9_4plusIvEENS9_8equal_toIvEEfEE10hipError_tPvRmT2_T3_T4_T5_mT6_T7_P12ihipStream_tbENKUlT_T0_E_clISt17integral_constantIbLb1EES11_EEDaSW_SX_EUlSW_E_NS1_11comp_targetILNS1_3genE0ELNS1_11target_archE4294967295ELNS1_3gpuE0ELNS1_3repE0EEENS1_30default_config_static_selectorELNS0_4arch9wavefront6targetE0EEEvT1_.num_named_barrier, 0
	.set _ZN7rocprim17ROCPRIM_400000_NS6detail17trampoline_kernelINS0_14default_configENS1_27scan_by_key_config_selectorIifEEZZNS1_16scan_by_key_implILNS1_25lookback_scan_determinismE0ELb1ES3_N6thrust23THRUST_200600_302600_NS6detail15normal_iteratorINS9_10device_ptrIiEEEENSB_INSC_IfEEEESG_fNS9_4plusIvEENS9_8equal_toIvEEfEE10hipError_tPvRmT2_T3_T4_T5_mT6_T7_P12ihipStream_tbENKUlT_T0_E_clISt17integral_constantIbLb1EES11_EEDaSW_SX_EUlSW_E_NS1_11comp_targetILNS1_3genE0ELNS1_11target_archE4294967295ELNS1_3gpuE0ELNS1_3repE0EEENS1_30default_config_static_selectorELNS0_4arch9wavefront6targetE0EEEvT1_.private_seg_size, 0
	.set _ZN7rocprim17ROCPRIM_400000_NS6detail17trampoline_kernelINS0_14default_configENS1_27scan_by_key_config_selectorIifEEZZNS1_16scan_by_key_implILNS1_25lookback_scan_determinismE0ELb1ES3_N6thrust23THRUST_200600_302600_NS6detail15normal_iteratorINS9_10device_ptrIiEEEENSB_INSC_IfEEEESG_fNS9_4plusIvEENS9_8equal_toIvEEfEE10hipError_tPvRmT2_T3_T4_T5_mT6_T7_P12ihipStream_tbENKUlT_T0_E_clISt17integral_constantIbLb1EES11_EEDaSW_SX_EUlSW_E_NS1_11comp_targetILNS1_3genE0ELNS1_11target_archE4294967295ELNS1_3gpuE0ELNS1_3repE0EEENS1_30default_config_static_selectorELNS0_4arch9wavefront6targetE0EEEvT1_.uses_vcc, 0
	.set _ZN7rocprim17ROCPRIM_400000_NS6detail17trampoline_kernelINS0_14default_configENS1_27scan_by_key_config_selectorIifEEZZNS1_16scan_by_key_implILNS1_25lookback_scan_determinismE0ELb1ES3_N6thrust23THRUST_200600_302600_NS6detail15normal_iteratorINS9_10device_ptrIiEEEENSB_INSC_IfEEEESG_fNS9_4plusIvEENS9_8equal_toIvEEfEE10hipError_tPvRmT2_T3_T4_T5_mT6_T7_P12ihipStream_tbENKUlT_T0_E_clISt17integral_constantIbLb1EES11_EEDaSW_SX_EUlSW_E_NS1_11comp_targetILNS1_3genE0ELNS1_11target_archE4294967295ELNS1_3gpuE0ELNS1_3repE0EEENS1_30default_config_static_selectorELNS0_4arch9wavefront6targetE0EEEvT1_.uses_flat_scratch, 0
	.set _ZN7rocprim17ROCPRIM_400000_NS6detail17trampoline_kernelINS0_14default_configENS1_27scan_by_key_config_selectorIifEEZZNS1_16scan_by_key_implILNS1_25lookback_scan_determinismE0ELb1ES3_N6thrust23THRUST_200600_302600_NS6detail15normal_iteratorINS9_10device_ptrIiEEEENSB_INSC_IfEEEESG_fNS9_4plusIvEENS9_8equal_toIvEEfEE10hipError_tPvRmT2_T3_T4_T5_mT6_T7_P12ihipStream_tbENKUlT_T0_E_clISt17integral_constantIbLb1EES11_EEDaSW_SX_EUlSW_E_NS1_11comp_targetILNS1_3genE0ELNS1_11target_archE4294967295ELNS1_3gpuE0ELNS1_3repE0EEENS1_30default_config_static_selectorELNS0_4arch9wavefront6targetE0EEEvT1_.has_dyn_sized_stack, 0
	.set _ZN7rocprim17ROCPRIM_400000_NS6detail17trampoline_kernelINS0_14default_configENS1_27scan_by_key_config_selectorIifEEZZNS1_16scan_by_key_implILNS1_25lookback_scan_determinismE0ELb1ES3_N6thrust23THRUST_200600_302600_NS6detail15normal_iteratorINS9_10device_ptrIiEEEENSB_INSC_IfEEEESG_fNS9_4plusIvEENS9_8equal_toIvEEfEE10hipError_tPvRmT2_T3_T4_T5_mT6_T7_P12ihipStream_tbENKUlT_T0_E_clISt17integral_constantIbLb1EES11_EEDaSW_SX_EUlSW_E_NS1_11comp_targetILNS1_3genE0ELNS1_11target_archE4294967295ELNS1_3gpuE0ELNS1_3repE0EEENS1_30default_config_static_selectorELNS0_4arch9wavefront6targetE0EEEvT1_.has_recursion, 0
	.set _ZN7rocprim17ROCPRIM_400000_NS6detail17trampoline_kernelINS0_14default_configENS1_27scan_by_key_config_selectorIifEEZZNS1_16scan_by_key_implILNS1_25lookback_scan_determinismE0ELb1ES3_N6thrust23THRUST_200600_302600_NS6detail15normal_iteratorINS9_10device_ptrIiEEEENSB_INSC_IfEEEESG_fNS9_4plusIvEENS9_8equal_toIvEEfEE10hipError_tPvRmT2_T3_T4_T5_mT6_T7_P12ihipStream_tbENKUlT_T0_E_clISt17integral_constantIbLb1EES11_EEDaSW_SX_EUlSW_E_NS1_11comp_targetILNS1_3genE0ELNS1_11target_archE4294967295ELNS1_3gpuE0ELNS1_3repE0EEENS1_30default_config_static_selectorELNS0_4arch9wavefront6targetE0EEEvT1_.has_indirect_call, 0
	.section	.AMDGPU.csdata,"",@progbits
; Kernel info:
; codeLenInByte = 0
; TotalNumSgprs: 0
; NumVgprs: 0
; ScratchSize: 0
; MemoryBound: 0
; FloatMode: 240
; IeeeMode: 1
; LDSByteSize: 0 bytes/workgroup (compile time only)
; SGPRBlocks: 0
; VGPRBlocks: 0
; NumSGPRsForWavesPerEU: 1
; NumVGPRsForWavesPerEU: 1
; Occupancy: 16
; WaveLimiterHint : 0
; COMPUTE_PGM_RSRC2:SCRATCH_EN: 0
; COMPUTE_PGM_RSRC2:USER_SGPR: 6
; COMPUTE_PGM_RSRC2:TRAP_HANDLER: 0
; COMPUTE_PGM_RSRC2:TGID_X_EN: 1
; COMPUTE_PGM_RSRC2:TGID_Y_EN: 0
; COMPUTE_PGM_RSRC2:TGID_Z_EN: 0
; COMPUTE_PGM_RSRC2:TIDIG_COMP_CNT: 0
	.section	.text._ZN7rocprim17ROCPRIM_400000_NS6detail17trampoline_kernelINS0_14default_configENS1_27scan_by_key_config_selectorIifEEZZNS1_16scan_by_key_implILNS1_25lookback_scan_determinismE0ELb1ES3_N6thrust23THRUST_200600_302600_NS6detail15normal_iteratorINS9_10device_ptrIiEEEENSB_INSC_IfEEEESG_fNS9_4plusIvEENS9_8equal_toIvEEfEE10hipError_tPvRmT2_T3_T4_T5_mT6_T7_P12ihipStream_tbENKUlT_T0_E_clISt17integral_constantIbLb1EES11_EEDaSW_SX_EUlSW_E_NS1_11comp_targetILNS1_3genE10ELNS1_11target_archE1201ELNS1_3gpuE5ELNS1_3repE0EEENS1_30default_config_static_selectorELNS0_4arch9wavefront6targetE0EEEvT1_,"axG",@progbits,_ZN7rocprim17ROCPRIM_400000_NS6detail17trampoline_kernelINS0_14default_configENS1_27scan_by_key_config_selectorIifEEZZNS1_16scan_by_key_implILNS1_25lookback_scan_determinismE0ELb1ES3_N6thrust23THRUST_200600_302600_NS6detail15normal_iteratorINS9_10device_ptrIiEEEENSB_INSC_IfEEEESG_fNS9_4plusIvEENS9_8equal_toIvEEfEE10hipError_tPvRmT2_T3_T4_T5_mT6_T7_P12ihipStream_tbENKUlT_T0_E_clISt17integral_constantIbLb1EES11_EEDaSW_SX_EUlSW_E_NS1_11comp_targetILNS1_3genE10ELNS1_11target_archE1201ELNS1_3gpuE5ELNS1_3repE0EEENS1_30default_config_static_selectorELNS0_4arch9wavefront6targetE0EEEvT1_,comdat
	.protected	_ZN7rocprim17ROCPRIM_400000_NS6detail17trampoline_kernelINS0_14default_configENS1_27scan_by_key_config_selectorIifEEZZNS1_16scan_by_key_implILNS1_25lookback_scan_determinismE0ELb1ES3_N6thrust23THRUST_200600_302600_NS6detail15normal_iteratorINS9_10device_ptrIiEEEENSB_INSC_IfEEEESG_fNS9_4plusIvEENS9_8equal_toIvEEfEE10hipError_tPvRmT2_T3_T4_T5_mT6_T7_P12ihipStream_tbENKUlT_T0_E_clISt17integral_constantIbLb1EES11_EEDaSW_SX_EUlSW_E_NS1_11comp_targetILNS1_3genE10ELNS1_11target_archE1201ELNS1_3gpuE5ELNS1_3repE0EEENS1_30default_config_static_selectorELNS0_4arch9wavefront6targetE0EEEvT1_ ; -- Begin function _ZN7rocprim17ROCPRIM_400000_NS6detail17trampoline_kernelINS0_14default_configENS1_27scan_by_key_config_selectorIifEEZZNS1_16scan_by_key_implILNS1_25lookback_scan_determinismE0ELb1ES3_N6thrust23THRUST_200600_302600_NS6detail15normal_iteratorINS9_10device_ptrIiEEEENSB_INSC_IfEEEESG_fNS9_4plusIvEENS9_8equal_toIvEEfEE10hipError_tPvRmT2_T3_T4_T5_mT6_T7_P12ihipStream_tbENKUlT_T0_E_clISt17integral_constantIbLb1EES11_EEDaSW_SX_EUlSW_E_NS1_11comp_targetILNS1_3genE10ELNS1_11target_archE1201ELNS1_3gpuE5ELNS1_3repE0EEENS1_30default_config_static_selectorELNS0_4arch9wavefront6targetE0EEEvT1_
	.globl	_ZN7rocprim17ROCPRIM_400000_NS6detail17trampoline_kernelINS0_14default_configENS1_27scan_by_key_config_selectorIifEEZZNS1_16scan_by_key_implILNS1_25lookback_scan_determinismE0ELb1ES3_N6thrust23THRUST_200600_302600_NS6detail15normal_iteratorINS9_10device_ptrIiEEEENSB_INSC_IfEEEESG_fNS9_4plusIvEENS9_8equal_toIvEEfEE10hipError_tPvRmT2_T3_T4_T5_mT6_T7_P12ihipStream_tbENKUlT_T0_E_clISt17integral_constantIbLb1EES11_EEDaSW_SX_EUlSW_E_NS1_11comp_targetILNS1_3genE10ELNS1_11target_archE1201ELNS1_3gpuE5ELNS1_3repE0EEENS1_30default_config_static_selectorELNS0_4arch9wavefront6targetE0EEEvT1_
	.p2align	8
	.type	_ZN7rocprim17ROCPRIM_400000_NS6detail17trampoline_kernelINS0_14default_configENS1_27scan_by_key_config_selectorIifEEZZNS1_16scan_by_key_implILNS1_25lookback_scan_determinismE0ELb1ES3_N6thrust23THRUST_200600_302600_NS6detail15normal_iteratorINS9_10device_ptrIiEEEENSB_INSC_IfEEEESG_fNS9_4plusIvEENS9_8equal_toIvEEfEE10hipError_tPvRmT2_T3_T4_T5_mT6_T7_P12ihipStream_tbENKUlT_T0_E_clISt17integral_constantIbLb1EES11_EEDaSW_SX_EUlSW_E_NS1_11comp_targetILNS1_3genE10ELNS1_11target_archE1201ELNS1_3gpuE5ELNS1_3repE0EEENS1_30default_config_static_selectorELNS0_4arch9wavefront6targetE0EEEvT1_,@function
_ZN7rocprim17ROCPRIM_400000_NS6detail17trampoline_kernelINS0_14default_configENS1_27scan_by_key_config_selectorIifEEZZNS1_16scan_by_key_implILNS1_25lookback_scan_determinismE0ELb1ES3_N6thrust23THRUST_200600_302600_NS6detail15normal_iteratorINS9_10device_ptrIiEEEENSB_INSC_IfEEEESG_fNS9_4plusIvEENS9_8equal_toIvEEfEE10hipError_tPvRmT2_T3_T4_T5_mT6_T7_P12ihipStream_tbENKUlT_T0_E_clISt17integral_constantIbLb1EES11_EEDaSW_SX_EUlSW_E_NS1_11comp_targetILNS1_3genE10ELNS1_11target_archE1201ELNS1_3gpuE5ELNS1_3repE0EEENS1_30default_config_static_selectorELNS0_4arch9wavefront6targetE0EEEvT1_: ; @_ZN7rocprim17ROCPRIM_400000_NS6detail17trampoline_kernelINS0_14default_configENS1_27scan_by_key_config_selectorIifEEZZNS1_16scan_by_key_implILNS1_25lookback_scan_determinismE0ELb1ES3_N6thrust23THRUST_200600_302600_NS6detail15normal_iteratorINS9_10device_ptrIiEEEENSB_INSC_IfEEEESG_fNS9_4plusIvEENS9_8equal_toIvEEfEE10hipError_tPvRmT2_T3_T4_T5_mT6_T7_P12ihipStream_tbENKUlT_T0_E_clISt17integral_constantIbLb1EES11_EEDaSW_SX_EUlSW_E_NS1_11comp_targetILNS1_3genE10ELNS1_11target_archE1201ELNS1_3gpuE5ELNS1_3repE0EEENS1_30default_config_static_selectorELNS0_4arch9wavefront6targetE0EEEvT1_
; %bb.0:
	.section	.rodata,"a",@progbits
	.p2align	6, 0x0
	.amdhsa_kernel _ZN7rocprim17ROCPRIM_400000_NS6detail17trampoline_kernelINS0_14default_configENS1_27scan_by_key_config_selectorIifEEZZNS1_16scan_by_key_implILNS1_25lookback_scan_determinismE0ELb1ES3_N6thrust23THRUST_200600_302600_NS6detail15normal_iteratorINS9_10device_ptrIiEEEENSB_INSC_IfEEEESG_fNS9_4plusIvEENS9_8equal_toIvEEfEE10hipError_tPvRmT2_T3_T4_T5_mT6_T7_P12ihipStream_tbENKUlT_T0_E_clISt17integral_constantIbLb1EES11_EEDaSW_SX_EUlSW_E_NS1_11comp_targetILNS1_3genE10ELNS1_11target_archE1201ELNS1_3gpuE5ELNS1_3repE0EEENS1_30default_config_static_selectorELNS0_4arch9wavefront6targetE0EEEvT1_
		.amdhsa_group_segment_fixed_size 0
		.amdhsa_private_segment_fixed_size 0
		.amdhsa_kernarg_size 112
		.amdhsa_user_sgpr_count 6
		.amdhsa_user_sgpr_private_segment_buffer 1
		.amdhsa_user_sgpr_dispatch_ptr 0
		.amdhsa_user_sgpr_queue_ptr 0
		.amdhsa_user_sgpr_kernarg_segment_ptr 1
		.amdhsa_user_sgpr_dispatch_id 0
		.amdhsa_user_sgpr_flat_scratch_init 0
		.amdhsa_user_sgpr_private_segment_size 0
		.amdhsa_wavefront_size32 1
		.amdhsa_uses_dynamic_stack 0
		.amdhsa_system_sgpr_private_segment_wavefront_offset 0
		.amdhsa_system_sgpr_workgroup_id_x 1
		.amdhsa_system_sgpr_workgroup_id_y 0
		.amdhsa_system_sgpr_workgroup_id_z 0
		.amdhsa_system_sgpr_workgroup_info 0
		.amdhsa_system_vgpr_workitem_id 0
		.amdhsa_next_free_vgpr 1
		.amdhsa_next_free_sgpr 1
		.amdhsa_reserve_vcc 0
		.amdhsa_reserve_flat_scratch 0
		.amdhsa_float_round_mode_32 0
		.amdhsa_float_round_mode_16_64 0
		.amdhsa_float_denorm_mode_32 3
		.amdhsa_float_denorm_mode_16_64 3
		.amdhsa_dx10_clamp 1
		.amdhsa_ieee_mode 1
		.amdhsa_fp16_overflow 0
		.amdhsa_workgroup_processor_mode 1
		.amdhsa_memory_ordered 1
		.amdhsa_forward_progress 1
		.amdhsa_shared_vgpr_count 0
		.amdhsa_exception_fp_ieee_invalid_op 0
		.amdhsa_exception_fp_denorm_src 0
		.amdhsa_exception_fp_ieee_div_zero 0
		.amdhsa_exception_fp_ieee_overflow 0
		.amdhsa_exception_fp_ieee_underflow 0
		.amdhsa_exception_fp_ieee_inexact 0
		.amdhsa_exception_int_div_zero 0
	.end_amdhsa_kernel
	.section	.text._ZN7rocprim17ROCPRIM_400000_NS6detail17trampoline_kernelINS0_14default_configENS1_27scan_by_key_config_selectorIifEEZZNS1_16scan_by_key_implILNS1_25lookback_scan_determinismE0ELb1ES3_N6thrust23THRUST_200600_302600_NS6detail15normal_iteratorINS9_10device_ptrIiEEEENSB_INSC_IfEEEESG_fNS9_4plusIvEENS9_8equal_toIvEEfEE10hipError_tPvRmT2_T3_T4_T5_mT6_T7_P12ihipStream_tbENKUlT_T0_E_clISt17integral_constantIbLb1EES11_EEDaSW_SX_EUlSW_E_NS1_11comp_targetILNS1_3genE10ELNS1_11target_archE1201ELNS1_3gpuE5ELNS1_3repE0EEENS1_30default_config_static_selectorELNS0_4arch9wavefront6targetE0EEEvT1_,"axG",@progbits,_ZN7rocprim17ROCPRIM_400000_NS6detail17trampoline_kernelINS0_14default_configENS1_27scan_by_key_config_selectorIifEEZZNS1_16scan_by_key_implILNS1_25lookback_scan_determinismE0ELb1ES3_N6thrust23THRUST_200600_302600_NS6detail15normal_iteratorINS9_10device_ptrIiEEEENSB_INSC_IfEEEESG_fNS9_4plusIvEENS9_8equal_toIvEEfEE10hipError_tPvRmT2_T3_T4_T5_mT6_T7_P12ihipStream_tbENKUlT_T0_E_clISt17integral_constantIbLb1EES11_EEDaSW_SX_EUlSW_E_NS1_11comp_targetILNS1_3genE10ELNS1_11target_archE1201ELNS1_3gpuE5ELNS1_3repE0EEENS1_30default_config_static_selectorELNS0_4arch9wavefront6targetE0EEEvT1_,comdat
.Lfunc_end1437:
	.size	_ZN7rocprim17ROCPRIM_400000_NS6detail17trampoline_kernelINS0_14default_configENS1_27scan_by_key_config_selectorIifEEZZNS1_16scan_by_key_implILNS1_25lookback_scan_determinismE0ELb1ES3_N6thrust23THRUST_200600_302600_NS6detail15normal_iteratorINS9_10device_ptrIiEEEENSB_INSC_IfEEEESG_fNS9_4plusIvEENS9_8equal_toIvEEfEE10hipError_tPvRmT2_T3_T4_T5_mT6_T7_P12ihipStream_tbENKUlT_T0_E_clISt17integral_constantIbLb1EES11_EEDaSW_SX_EUlSW_E_NS1_11comp_targetILNS1_3genE10ELNS1_11target_archE1201ELNS1_3gpuE5ELNS1_3repE0EEENS1_30default_config_static_selectorELNS0_4arch9wavefront6targetE0EEEvT1_, .Lfunc_end1437-_ZN7rocprim17ROCPRIM_400000_NS6detail17trampoline_kernelINS0_14default_configENS1_27scan_by_key_config_selectorIifEEZZNS1_16scan_by_key_implILNS1_25lookback_scan_determinismE0ELb1ES3_N6thrust23THRUST_200600_302600_NS6detail15normal_iteratorINS9_10device_ptrIiEEEENSB_INSC_IfEEEESG_fNS9_4plusIvEENS9_8equal_toIvEEfEE10hipError_tPvRmT2_T3_T4_T5_mT6_T7_P12ihipStream_tbENKUlT_T0_E_clISt17integral_constantIbLb1EES11_EEDaSW_SX_EUlSW_E_NS1_11comp_targetILNS1_3genE10ELNS1_11target_archE1201ELNS1_3gpuE5ELNS1_3repE0EEENS1_30default_config_static_selectorELNS0_4arch9wavefront6targetE0EEEvT1_
                                        ; -- End function
	.set _ZN7rocprim17ROCPRIM_400000_NS6detail17trampoline_kernelINS0_14default_configENS1_27scan_by_key_config_selectorIifEEZZNS1_16scan_by_key_implILNS1_25lookback_scan_determinismE0ELb1ES3_N6thrust23THRUST_200600_302600_NS6detail15normal_iteratorINS9_10device_ptrIiEEEENSB_INSC_IfEEEESG_fNS9_4plusIvEENS9_8equal_toIvEEfEE10hipError_tPvRmT2_T3_T4_T5_mT6_T7_P12ihipStream_tbENKUlT_T0_E_clISt17integral_constantIbLb1EES11_EEDaSW_SX_EUlSW_E_NS1_11comp_targetILNS1_3genE10ELNS1_11target_archE1201ELNS1_3gpuE5ELNS1_3repE0EEENS1_30default_config_static_selectorELNS0_4arch9wavefront6targetE0EEEvT1_.num_vgpr, 0
	.set _ZN7rocprim17ROCPRIM_400000_NS6detail17trampoline_kernelINS0_14default_configENS1_27scan_by_key_config_selectorIifEEZZNS1_16scan_by_key_implILNS1_25lookback_scan_determinismE0ELb1ES3_N6thrust23THRUST_200600_302600_NS6detail15normal_iteratorINS9_10device_ptrIiEEEENSB_INSC_IfEEEESG_fNS9_4plusIvEENS9_8equal_toIvEEfEE10hipError_tPvRmT2_T3_T4_T5_mT6_T7_P12ihipStream_tbENKUlT_T0_E_clISt17integral_constantIbLb1EES11_EEDaSW_SX_EUlSW_E_NS1_11comp_targetILNS1_3genE10ELNS1_11target_archE1201ELNS1_3gpuE5ELNS1_3repE0EEENS1_30default_config_static_selectorELNS0_4arch9wavefront6targetE0EEEvT1_.num_agpr, 0
	.set _ZN7rocprim17ROCPRIM_400000_NS6detail17trampoline_kernelINS0_14default_configENS1_27scan_by_key_config_selectorIifEEZZNS1_16scan_by_key_implILNS1_25lookback_scan_determinismE0ELb1ES3_N6thrust23THRUST_200600_302600_NS6detail15normal_iteratorINS9_10device_ptrIiEEEENSB_INSC_IfEEEESG_fNS9_4plusIvEENS9_8equal_toIvEEfEE10hipError_tPvRmT2_T3_T4_T5_mT6_T7_P12ihipStream_tbENKUlT_T0_E_clISt17integral_constantIbLb1EES11_EEDaSW_SX_EUlSW_E_NS1_11comp_targetILNS1_3genE10ELNS1_11target_archE1201ELNS1_3gpuE5ELNS1_3repE0EEENS1_30default_config_static_selectorELNS0_4arch9wavefront6targetE0EEEvT1_.numbered_sgpr, 0
	.set _ZN7rocprim17ROCPRIM_400000_NS6detail17trampoline_kernelINS0_14default_configENS1_27scan_by_key_config_selectorIifEEZZNS1_16scan_by_key_implILNS1_25lookback_scan_determinismE0ELb1ES3_N6thrust23THRUST_200600_302600_NS6detail15normal_iteratorINS9_10device_ptrIiEEEENSB_INSC_IfEEEESG_fNS9_4plusIvEENS9_8equal_toIvEEfEE10hipError_tPvRmT2_T3_T4_T5_mT6_T7_P12ihipStream_tbENKUlT_T0_E_clISt17integral_constantIbLb1EES11_EEDaSW_SX_EUlSW_E_NS1_11comp_targetILNS1_3genE10ELNS1_11target_archE1201ELNS1_3gpuE5ELNS1_3repE0EEENS1_30default_config_static_selectorELNS0_4arch9wavefront6targetE0EEEvT1_.num_named_barrier, 0
	.set _ZN7rocprim17ROCPRIM_400000_NS6detail17trampoline_kernelINS0_14default_configENS1_27scan_by_key_config_selectorIifEEZZNS1_16scan_by_key_implILNS1_25lookback_scan_determinismE0ELb1ES3_N6thrust23THRUST_200600_302600_NS6detail15normal_iteratorINS9_10device_ptrIiEEEENSB_INSC_IfEEEESG_fNS9_4plusIvEENS9_8equal_toIvEEfEE10hipError_tPvRmT2_T3_T4_T5_mT6_T7_P12ihipStream_tbENKUlT_T0_E_clISt17integral_constantIbLb1EES11_EEDaSW_SX_EUlSW_E_NS1_11comp_targetILNS1_3genE10ELNS1_11target_archE1201ELNS1_3gpuE5ELNS1_3repE0EEENS1_30default_config_static_selectorELNS0_4arch9wavefront6targetE0EEEvT1_.private_seg_size, 0
	.set _ZN7rocprim17ROCPRIM_400000_NS6detail17trampoline_kernelINS0_14default_configENS1_27scan_by_key_config_selectorIifEEZZNS1_16scan_by_key_implILNS1_25lookback_scan_determinismE0ELb1ES3_N6thrust23THRUST_200600_302600_NS6detail15normal_iteratorINS9_10device_ptrIiEEEENSB_INSC_IfEEEESG_fNS9_4plusIvEENS9_8equal_toIvEEfEE10hipError_tPvRmT2_T3_T4_T5_mT6_T7_P12ihipStream_tbENKUlT_T0_E_clISt17integral_constantIbLb1EES11_EEDaSW_SX_EUlSW_E_NS1_11comp_targetILNS1_3genE10ELNS1_11target_archE1201ELNS1_3gpuE5ELNS1_3repE0EEENS1_30default_config_static_selectorELNS0_4arch9wavefront6targetE0EEEvT1_.uses_vcc, 0
	.set _ZN7rocprim17ROCPRIM_400000_NS6detail17trampoline_kernelINS0_14default_configENS1_27scan_by_key_config_selectorIifEEZZNS1_16scan_by_key_implILNS1_25lookback_scan_determinismE0ELb1ES3_N6thrust23THRUST_200600_302600_NS6detail15normal_iteratorINS9_10device_ptrIiEEEENSB_INSC_IfEEEESG_fNS9_4plusIvEENS9_8equal_toIvEEfEE10hipError_tPvRmT2_T3_T4_T5_mT6_T7_P12ihipStream_tbENKUlT_T0_E_clISt17integral_constantIbLb1EES11_EEDaSW_SX_EUlSW_E_NS1_11comp_targetILNS1_3genE10ELNS1_11target_archE1201ELNS1_3gpuE5ELNS1_3repE0EEENS1_30default_config_static_selectorELNS0_4arch9wavefront6targetE0EEEvT1_.uses_flat_scratch, 0
	.set _ZN7rocprim17ROCPRIM_400000_NS6detail17trampoline_kernelINS0_14default_configENS1_27scan_by_key_config_selectorIifEEZZNS1_16scan_by_key_implILNS1_25lookback_scan_determinismE0ELb1ES3_N6thrust23THRUST_200600_302600_NS6detail15normal_iteratorINS9_10device_ptrIiEEEENSB_INSC_IfEEEESG_fNS9_4plusIvEENS9_8equal_toIvEEfEE10hipError_tPvRmT2_T3_T4_T5_mT6_T7_P12ihipStream_tbENKUlT_T0_E_clISt17integral_constantIbLb1EES11_EEDaSW_SX_EUlSW_E_NS1_11comp_targetILNS1_3genE10ELNS1_11target_archE1201ELNS1_3gpuE5ELNS1_3repE0EEENS1_30default_config_static_selectorELNS0_4arch9wavefront6targetE0EEEvT1_.has_dyn_sized_stack, 0
	.set _ZN7rocprim17ROCPRIM_400000_NS6detail17trampoline_kernelINS0_14default_configENS1_27scan_by_key_config_selectorIifEEZZNS1_16scan_by_key_implILNS1_25lookback_scan_determinismE0ELb1ES3_N6thrust23THRUST_200600_302600_NS6detail15normal_iteratorINS9_10device_ptrIiEEEENSB_INSC_IfEEEESG_fNS9_4plusIvEENS9_8equal_toIvEEfEE10hipError_tPvRmT2_T3_T4_T5_mT6_T7_P12ihipStream_tbENKUlT_T0_E_clISt17integral_constantIbLb1EES11_EEDaSW_SX_EUlSW_E_NS1_11comp_targetILNS1_3genE10ELNS1_11target_archE1201ELNS1_3gpuE5ELNS1_3repE0EEENS1_30default_config_static_selectorELNS0_4arch9wavefront6targetE0EEEvT1_.has_recursion, 0
	.set _ZN7rocprim17ROCPRIM_400000_NS6detail17trampoline_kernelINS0_14default_configENS1_27scan_by_key_config_selectorIifEEZZNS1_16scan_by_key_implILNS1_25lookback_scan_determinismE0ELb1ES3_N6thrust23THRUST_200600_302600_NS6detail15normal_iteratorINS9_10device_ptrIiEEEENSB_INSC_IfEEEESG_fNS9_4plusIvEENS9_8equal_toIvEEfEE10hipError_tPvRmT2_T3_T4_T5_mT6_T7_P12ihipStream_tbENKUlT_T0_E_clISt17integral_constantIbLb1EES11_EEDaSW_SX_EUlSW_E_NS1_11comp_targetILNS1_3genE10ELNS1_11target_archE1201ELNS1_3gpuE5ELNS1_3repE0EEENS1_30default_config_static_selectorELNS0_4arch9wavefront6targetE0EEEvT1_.has_indirect_call, 0
	.section	.AMDGPU.csdata,"",@progbits
; Kernel info:
; codeLenInByte = 0
; TotalNumSgprs: 0
; NumVgprs: 0
; ScratchSize: 0
; MemoryBound: 0
; FloatMode: 240
; IeeeMode: 1
; LDSByteSize: 0 bytes/workgroup (compile time only)
; SGPRBlocks: 0
; VGPRBlocks: 0
; NumSGPRsForWavesPerEU: 1
; NumVGPRsForWavesPerEU: 1
; Occupancy: 16
; WaveLimiterHint : 0
; COMPUTE_PGM_RSRC2:SCRATCH_EN: 0
; COMPUTE_PGM_RSRC2:USER_SGPR: 6
; COMPUTE_PGM_RSRC2:TRAP_HANDLER: 0
; COMPUTE_PGM_RSRC2:TGID_X_EN: 1
; COMPUTE_PGM_RSRC2:TGID_Y_EN: 0
; COMPUTE_PGM_RSRC2:TGID_Z_EN: 0
; COMPUTE_PGM_RSRC2:TIDIG_COMP_CNT: 0
	.section	.text._ZN7rocprim17ROCPRIM_400000_NS6detail17trampoline_kernelINS0_14default_configENS1_27scan_by_key_config_selectorIifEEZZNS1_16scan_by_key_implILNS1_25lookback_scan_determinismE0ELb1ES3_N6thrust23THRUST_200600_302600_NS6detail15normal_iteratorINS9_10device_ptrIiEEEENSB_INSC_IfEEEESG_fNS9_4plusIvEENS9_8equal_toIvEEfEE10hipError_tPvRmT2_T3_T4_T5_mT6_T7_P12ihipStream_tbENKUlT_T0_E_clISt17integral_constantIbLb1EES11_EEDaSW_SX_EUlSW_E_NS1_11comp_targetILNS1_3genE5ELNS1_11target_archE942ELNS1_3gpuE9ELNS1_3repE0EEENS1_30default_config_static_selectorELNS0_4arch9wavefront6targetE0EEEvT1_,"axG",@progbits,_ZN7rocprim17ROCPRIM_400000_NS6detail17trampoline_kernelINS0_14default_configENS1_27scan_by_key_config_selectorIifEEZZNS1_16scan_by_key_implILNS1_25lookback_scan_determinismE0ELb1ES3_N6thrust23THRUST_200600_302600_NS6detail15normal_iteratorINS9_10device_ptrIiEEEENSB_INSC_IfEEEESG_fNS9_4plusIvEENS9_8equal_toIvEEfEE10hipError_tPvRmT2_T3_T4_T5_mT6_T7_P12ihipStream_tbENKUlT_T0_E_clISt17integral_constantIbLb1EES11_EEDaSW_SX_EUlSW_E_NS1_11comp_targetILNS1_3genE5ELNS1_11target_archE942ELNS1_3gpuE9ELNS1_3repE0EEENS1_30default_config_static_selectorELNS0_4arch9wavefront6targetE0EEEvT1_,comdat
	.protected	_ZN7rocprim17ROCPRIM_400000_NS6detail17trampoline_kernelINS0_14default_configENS1_27scan_by_key_config_selectorIifEEZZNS1_16scan_by_key_implILNS1_25lookback_scan_determinismE0ELb1ES3_N6thrust23THRUST_200600_302600_NS6detail15normal_iteratorINS9_10device_ptrIiEEEENSB_INSC_IfEEEESG_fNS9_4plusIvEENS9_8equal_toIvEEfEE10hipError_tPvRmT2_T3_T4_T5_mT6_T7_P12ihipStream_tbENKUlT_T0_E_clISt17integral_constantIbLb1EES11_EEDaSW_SX_EUlSW_E_NS1_11comp_targetILNS1_3genE5ELNS1_11target_archE942ELNS1_3gpuE9ELNS1_3repE0EEENS1_30default_config_static_selectorELNS0_4arch9wavefront6targetE0EEEvT1_ ; -- Begin function _ZN7rocprim17ROCPRIM_400000_NS6detail17trampoline_kernelINS0_14default_configENS1_27scan_by_key_config_selectorIifEEZZNS1_16scan_by_key_implILNS1_25lookback_scan_determinismE0ELb1ES3_N6thrust23THRUST_200600_302600_NS6detail15normal_iteratorINS9_10device_ptrIiEEEENSB_INSC_IfEEEESG_fNS9_4plusIvEENS9_8equal_toIvEEfEE10hipError_tPvRmT2_T3_T4_T5_mT6_T7_P12ihipStream_tbENKUlT_T0_E_clISt17integral_constantIbLb1EES11_EEDaSW_SX_EUlSW_E_NS1_11comp_targetILNS1_3genE5ELNS1_11target_archE942ELNS1_3gpuE9ELNS1_3repE0EEENS1_30default_config_static_selectorELNS0_4arch9wavefront6targetE0EEEvT1_
	.globl	_ZN7rocprim17ROCPRIM_400000_NS6detail17trampoline_kernelINS0_14default_configENS1_27scan_by_key_config_selectorIifEEZZNS1_16scan_by_key_implILNS1_25lookback_scan_determinismE0ELb1ES3_N6thrust23THRUST_200600_302600_NS6detail15normal_iteratorINS9_10device_ptrIiEEEENSB_INSC_IfEEEESG_fNS9_4plusIvEENS9_8equal_toIvEEfEE10hipError_tPvRmT2_T3_T4_T5_mT6_T7_P12ihipStream_tbENKUlT_T0_E_clISt17integral_constantIbLb1EES11_EEDaSW_SX_EUlSW_E_NS1_11comp_targetILNS1_3genE5ELNS1_11target_archE942ELNS1_3gpuE9ELNS1_3repE0EEENS1_30default_config_static_selectorELNS0_4arch9wavefront6targetE0EEEvT1_
	.p2align	8
	.type	_ZN7rocprim17ROCPRIM_400000_NS6detail17trampoline_kernelINS0_14default_configENS1_27scan_by_key_config_selectorIifEEZZNS1_16scan_by_key_implILNS1_25lookback_scan_determinismE0ELb1ES3_N6thrust23THRUST_200600_302600_NS6detail15normal_iteratorINS9_10device_ptrIiEEEENSB_INSC_IfEEEESG_fNS9_4plusIvEENS9_8equal_toIvEEfEE10hipError_tPvRmT2_T3_T4_T5_mT6_T7_P12ihipStream_tbENKUlT_T0_E_clISt17integral_constantIbLb1EES11_EEDaSW_SX_EUlSW_E_NS1_11comp_targetILNS1_3genE5ELNS1_11target_archE942ELNS1_3gpuE9ELNS1_3repE0EEENS1_30default_config_static_selectorELNS0_4arch9wavefront6targetE0EEEvT1_,@function
_ZN7rocprim17ROCPRIM_400000_NS6detail17trampoline_kernelINS0_14default_configENS1_27scan_by_key_config_selectorIifEEZZNS1_16scan_by_key_implILNS1_25lookback_scan_determinismE0ELb1ES3_N6thrust23THRUST_200600_302600_NS6detail15normal_iteratorINS9_10device_ptrIiEEEENSB_INSC_IfEEEESG_fNS9_4plusIvEENS9_8equal_toIvEEfEE10hipError_tPvRmT2_T3_T4_T5_mT6_T7_P12ihipStream_tbENKUlT_T0_E_clISt17integral_constantIbLb1EES11_EEDaSW_SX_EUlSW_E_NS1_11comp_targetILNS1_3genE5ELNS1_11target_archE942ELNS1_3gpuE9ELNS1_3repE0EEENS1_30default_config_static_selectorELNS0_4arch9wavefront6targetE0EEEvT1_: ; @_ZN7rocprim17ROCPRIM_400000_NS6detail17trampoline_kernelINS0_14default_configENS1_27scan_by_key_config_selectorIifEEZZNS1_16scan_by_key_implILNS1_25lookback_scan_determinismE0ELb1ES3_N6thrust23THRUST_200600_302600_NS6detail15normal_iteratorINS9_10device_ptrIiEEEENSB_INSC_IfEEEESG_fNS9_4plusIvEENS9_8equal_toIvEEfEE10hipError_tPvRmT2_T3_T4_T5_mT6_T7_P12ihipStream_tbENKUlT_T0_E_clISt17integral_constantIbLb1EES11_EEDaSW_SX_EUlSW_E_NS1_11comp_targetILNS1_3genE5ELNS1_11target_archE942ELNS1_3gpuE9ELNS1_3repE0EEENS1_30default_config_static_selectorELNS0_4arch9wavefront6targetE0EEEvT1_
; %bb.0:
	.section	.rodata,"a",@progbits
	.p2align	6, 0x0
	.amdhsa_kernel _ZN7rocprim17ROCPRIM_400000_NS6detail17trampoline_kernelINS0_14default_configENS1_27scan_by_key_config_selectorIifEEZZNS1_16scan_by_key_implILNS1_25lookback_scan_determinismE0ELb1ES3_N6thrust23THRUST_200600_302600_NS6detail15normal_iteratorINS9_10device_ptrIiEEEENSB_INSC_IfEEEESG_fNS9_4plusIvEENS9_8equal_toIvEEfEE10hipError_tPvRmT2_T3_T4_T5_mT6_T7_P12ihipStream_tbENKUlT_T0_E_clISt17integral_constantIbLb1EES11_EEDaSW_SX_EUlSW_E_NS1_11comp_targetILNS1_3genE5ELNS1_11target_archE942ELNS1_3gpuE9ELNS1_3repE0EEENS1_30default_config_static_selectorELNS0_4arch9wavefront6targetE0EEEvT1_
		.amdhsa_group_segment_fixed_size 0
		.amdhsa_private_segment_fixed_size 0
		.amdhsa_kernarg_size 112
		.amdhsa_user_sgpr_count 6
		.amdhsa_user_sgpr_private_segment_buffer 1
		.amdhsa_user_sgpr_dispatch_ptr 0
		.amdhsa_user_sgpr_queue_ptr 0
		.amdhsa_user_sgpr_kernarg_segment_ptr 1
		.amdhsa_user_sgpr_dispatch_id 0
		.amdhsa_user_sgpr_flat_scratch_init 0
		.amdhsa_user_sgpr_private_segment_size 0
		.amdhsa_wavefront_size32 1
		.amdhsa_uses_dynamic_stack 0
		.amdhsa_system_sgpr_private_segment_wavefront_offset 0
		.amdhsa_system_sgpr_workgroup_id_x 1
		.amdhsa_system_sgpr_workgroup_id_y 0
		.amdhsa_system_sgpr_workgroup_id_z 0
		.amdhsa_system_sgpr_workgroup_info 0
		.amdhsa_system_vgpr_workitem_id 0
		.amdhsa_next_free_vgpr 1
		.amdhsa_next_free_sgpr 1
		.amdhsa_reserve_vcc 0
		.amdhsa_reserve_flat_scratch 0
		.amdhsa_float_round_mode_32 0
		.amdhsa_float_round_mode_16_64 0
		.amdhsa_float_denorm_mode_32 3
		.amdhsa_float_denorm_mode_16_64 3
		.amdhsa_dx10_clamp 1
		.amdhsa_ieee_mode 1
		.amdhsa_fp16_overflow 0
		.amdhsa_workgroup_processor_mode 1
		.amdhsa_memory_ordered 1
		.amdhsa_forward_progress 1
		.amdhsa_shared_vgpr_count 0
		.amdhsa_exception_fp_ieee_invalid_op 0
		.amdhsa_exception_fp_denorm_src 0
		.amdhsa_exception_fp_ieee_div_zero 0
		.amdhsa_exception_fp_ieee_overflow 0
		.amdhsa_exception_fp_ieee_underflow 0
		.amdhsa_exception_fp_ieee_inexact 0
		.amdhsa_exception_int_div_zero 0
	.end_amdhsa_kernel
	.section	.text._ZN7rocprim17ROCPRIM_400000_NS6detail17trampoline_kernelINS0_14default_configENS1_27scan_by_key_config_selectorIifEEZZNS1_16scan_by_key_implILNS1_25lookback_scan_determinismE0ELb1ES3_N6thrust23THRUST_200600_302600_NS6detail15normal_iteratorINS9_10device_ptrIiEEEENSB_INSC_IfEEEESG_fNS9_4plusIvEENS9_8equal_toIvEEfEE10hipError_tPvRmT2_T3_T4_T5_mT6_T7_P12ihipStream_tbENKUlT_T0_E_clISt17integral_constantIbLb1EES11_EEDaSW_SX_EUlSW_E_NS1_11comp_targetILNS1_3genE5ELNS1_11target_archE942ELNS1_3gpuE9ELNS1_3repE0EEENS1_30default_config_static_selectorELNS0_4arch9wavefront6targetE0EEEvT1_,"axG",@progbits,_ZN7rocprim17ROCPRIM_400000_NS6detail17trampoline_kernelINS0_14default_configENS1_27scan_by_key_config_selectorIifEEZZNS1_16scan_by_key_implILNS1_25lookback_scan_determinismE0ELb1ES3_N6thrust23THRUST_200600_302600_NS6detail15normal_iteratorINS9_10device_ptrIiEEEENSB_INSC_IfEEEESG_fNS9_4plusIvEENS9_8equal_toIvEEfEE10hipError_tPvRmT2_T3_T4_T5_mT6_T7_P12ihipStream_tbENKUlT_T0_E_clISt17integral_constantIbLb1EES11_EEDaSW_SX_EUlSW_E_NS1_11comp_targetILNS1_3genE5ELNS1_11target_archE942ELNS1_3gpuE9ELNS1_3repE0EEENS1_30default_config_static_selectorELNS0_4arch9wavefront6targetE0EEEvT1_,comdat
.Lfunc_end1438:
	.size	_ZN7rocprim17ROCPRIM_400000_NS6detail17trampoline_kernelINS0_14default_configENS1_27scan_by_key_config_selectorIifEEZZNS1_16scan_by_key_implILNS1_25lookback_scan_determinismE0ELb1ES3_N6thrust23THRUST_200600_302600_NS6detail15normal_iteratorINS9_10device_ptrIiEEEENSB_INSC_IfEEEESG_fNS9_4plusIvEENS9_8equal_toIvEEfEE10hipError_tPvRmT2_T3_T4_T5_mT6_T7_P12ihipStream_tbENKUlT_T0_E_clISt17integral_constantIbLb1EES11_EEDaSW_SX_EUlSW_E_NS1_11comp_targetILNS1_3genE5ELNS1_11target_archE942ELNS1_3gpuE9ELNS1_3repE0EEENS1_30default_config_static_selectorELNS0_4arch9wavefront6targetE0EEEvT1_, .Lfunc_end1438-_ZN7rocprim17ROCPRIM_400000_NS6detail17trampoline_kernelINS0_14default_configENS1_27scan_by_key_config_selectorIifEEZZNS1_16scan_by_key_implILNS1_25lookback_scan_determinismE0ELb1ES3_N6thrust23THRUST_200600_302600_NS6detail15normal_iteratorINS9_10device_ptrIiEEEENSB_INSC_IfEEEESG_fNS9_4plusIvEENS9_8equal_toIvEEfEE10hipError_tPvRmT2_T3_T4_T5_mT6_T7_P12ihipStream_tbENKUlT_T0_E_clISt17integral_constantIbLb1EES11_EEDaSW_SX_EUlSW_E_NS1_11comp_targetILNS1_3genE5ELNS1_11target_archE942ELNS1_3gpuE9ELNS1_3repE0EEENS1_30default_config_static_selectorELNS0_4arch9wavefront6targetE0EEEvT1_
                                        ; -- End function
	.set _ZN7rocprim17ROCPRIM_400000_NS6detail17trampoline_kernelINS0_14default_configENS1_27scan_by_key_config_selectorIifEEZZNS1_16scan_by_key_implILNS1_25lookback_scan_determinismE0ELb1ES3_N6thrust23THRUST_200600_302600_NS6detail15normal_iteratorINS9_10device_ptrIiEEEENSB_INSC_IfEEEESG_fNS9_4plusIvEENS9_8equal_toIvEEfEE10hipError_tPvRmT2_T3_T4_T5_mT6_T7_P12ihipStream_tbENKUlT_T0_E_clISt17integral_constantIbLb1EES11_EEDaSW_SX_EUlSW_E_NS1_11comp_targetILNS1_3genE5ELNS1_11target_archE942ELNS1_3gpuE9ELNS1_3repE0EEENS1_30default_config_static_selectorELNS0_4arch9wavefront6targetE0EEEvT1_.num_vgpr, 0
	.set _ZN7rocprim17ROCPRIM_400000_NS6detail17trampoline_kernelINS0_14default_configENS1_27scan_by_key_config_selectorIifEEZZNS1_16scan_by_key_implILNS1_25lookback_scan_determinismE0ELb1ES3_N6thrust23THRUST_200600_302600_NS6detail15normal_iteratorINS9_10device_ptrIiEEEENSB_INSC_IfEEEESG_fNS9_4plusIvEENS9_8equal_toIvEEfEE10hipError_tPvRmT2_T3_T4_T5_mT6_T7_P12ihipStream_tbENKUlT_T0_E_clISt17integral_constantIbLb1EES11_EEDaSW_SX_EUlSW_E_NS1_11comp_targetILNS1_3genE5ELNS1_11target_archE942ELNS1_3gpuE9ELNS1_3repE0EEENS1_30default_config_static_selectorELNS0_4arch9wavefront6targetE0EEEvT1_.num_agpr, 0
	.set _ZN7rocprim17ROCPRIM_400000_NS6detail17trampoline_kernelINS0_14default_configENS1_27scan_by_key_config_selectorIifEEZZNS1_16scan_by_key_implILNS1_25lookback_scan_determinismE0ELb1ES3_N6thrust23THRUST_200600_302600_NS6detail15normal_iteratorINS9_10device_ptrIiEEEENSB_INSC_IfEEEESG_fNS9_4plusIvEENS9_8equal_toIvEEfEE10hipError_tPvRmT2_T3_T4_T5_mT6_T7_P12ihipStream_tbENKUlT_T0_E_clISt17integral_constantIbLb1EES11_EEDaSW_SX_EUlSW_E_NS1_11comp_targetILNS1_3genE5ELNS1_11target_archE942ELNS1_3gpuE9ELNS1_3repE0EEENS1_30default_config_static_selectorELNS0_4arch9wavefront6targetE0EEEvT1_.numbered_sgpr, 0
	.set _ZN7rocprim17ROCPRIM_400000_NS6detail17trampoline_kernelINS0_14default_configENS1_27scan_by_key_config_selectorIifEEZZNS1_16scan_by_key_implILNS1_25lookback_scan_determinismE0ELb1ES3_N6thrust23THRUST_200600_302600_NS6detail15normal_iteratorINS9_10device_ptrIiEEEENSB_INSC_IfEEEESG_fNS9_4plusIvEENS9_8equal_toIvEEfEE10hipError_tPvRmT2_T3_T4_T5_mT6_T7_P12ihipStream_tbENKUlT_T0_E_clISt17integral_constantIbLb1EES11_EEDaSW_SX_EUlSW_E_NS1_11comp_targetILNS1_3genE5ELNS1_11target_archE942ELNS1_3gpuE9ELNS1_3repE0EEENS1_30default_config_static_selectorELNS0_4arch9wavefront6targetE0EEEvT1_.num_named_barrier, 0
	.set _ZN7rocprim17ROCPRIM_400000_NS6detail17trampoline_kernelINS0_14default_configENS1_27scan_by_key_config_selectorIifEEZZNS1_16scan_by_key_implILNS1_25lookback_scan_determinismE0ELb1ES3_N6thrust23THRUST_200600_302600_NS6detail15normal_iteratorINS9_10device_ptrIiEEEENSB_INSC_IfEEEESG_fNS9_4plusIvEENS9_8equal_toIvEEfEE10hipError_tPvRmT2_T3_T4_T5_mT6_T7_P12ihipStream_tbENKUlT_T0_E_clISt17integral_constantIbLb1EES11_EEDaSW_SX_EUlSW_E_NS1_11comp_targetILNS1_3genE5ELNS1_11target_archE942ELNS1_3gpuE9ELNS1_3repE0EEENS1_30default_config_static_selectorELNS0_4arch9wavefront6targetE0EEEvT1_.private_seg_size, 0
	.set _ZN7rocprim17ROCPRIM_400000_NS6detail17trampoline_kernelINS0_14default_configENS1_27scan_by_key_config_selectorIifEEZZNS1_16scan_by_key_implILNS1_25lookback_scan_determinismE0ELb1ES3_N6thrust23THRUST_200600_302600_NS6detail15normal_iteratorINS9_10device_ptrIiEEEENSB_INSC_IfEEEESG_fNS9_4plusIvEENS9_8equal_toIvEEfEE10hipError_tPvRmT2_T3_T4_T5_mT6_T7_P12ihipStream_tbENKUlT_T0_E_clISt17integral_constantIbLb1EES11_EEDaSW_SX_EUlSW_E_NS1_11comp_targetILNS1_3genE5ELNS1_11target_archE942ELNS1_3gpuE9ELNS1_3repE0EEENS1_30default_config_static_selectorELNS0_4arch9wavefront6targetE0EEEvT1_.uses_vcc, 0
	.set _ZN7rocprim17ROCPRIM_400000_NS6detail17trampoline_kernelINS0_14default_configENS1_27scan_by_key_config_selectorIifEEZZNS1_16scan_by_key_implILNS1_25lookback_scan_determinismE0ELb1ES3_N6thrust23THRUST_200600_302600_NS6detail15normal_iteratorINS9_10device_ptrIiEEEENSB_INSC_IfEEEESG_fNS9_4plusIvEENS9_8equal_toIvEEfEE10hipError_tPvRmT2_T3_T4_T5_mT6_T7_P12ihipStream_tbENKUlT_T0_E_clISt17integral_constantIbLb1EES11_EEDaSW_SX_EUlSW_E_NS1_11comp_targetILNS1_3genE5ELNS1_11target_archE942ELNS1_3gpuE9ELNS1_3repE0EEENS1_30default_config_static_selectorELNS0_4arch9wavefront6targetE0EEEvT1_.uses_flat_scratch, 0
	.set _ZN7rocprim17ROCPRIM_400000_NS6detail17trampoline_kernelINS0_14default_configENS1_27scan_by_key_config_selectorIifEEZZNS1_16scan_by_key_implILNS1_25lookback_scan_determinismE0ELb1ES3_N6thrust23THRUST_200600_302600_NS6detail15normal_iteratorINS9_10device_ptrIiEEEENSB_INSC_IfEEEESG_fNS9_4plusIvEENS9_8equal_toIvEEfEE10hipError_tPvRmT2_T3_T4_T5_mT6_T7_P12ihipStream_tbENKUlT_T0_E_clISt17integral_constantIbLb1EES11_EEDaSW_SX_EUlSW_E_NS1_11comp_targetILNS1_3genE5ELNS1_11target_archE942ELNS1_3gpuE9ELNS1_3repE0EEENS1_30default_config_static_selectorELNS0_4arch9wavefront6targetE0EEEvT1_.has_dyn_sized_stack, 0
	.set _ZN7rocprim17ROCPRIM_400000_NS6detail17trampoline_kernelINS0_14default_configENS1_27scan_by_key_config_selectorIifEEZZNS1_16scan_by_key_implILNS1_25lookback_scan_determinismE0ELb1ES3_N6thrust23THRUST_200600_302600_NS6detail15normal_iteratorINS9_10device_ptrIiEEEENSB_INSC_IfEEEESG_fNS9_4plusIvEENS9_8equal_toIvEEfEE10hipError_tPvRmT2_T3_T4_T5_mT6_T7_P12ihipStream_tbENKUlT_T0_E_clISt17integral_constantIbLb1EES11_EEDaSW_SX_EUlSW_E_NS1_11comp_targetILNS1_3genE5ELNS1_11target_archE942ELNS1_3gpuE9ELNS1_3repE0EEENS1_30default_config_static_selectorELNS0_4arch9wavefront6targetE0EEEvT1_.has_recursion, 0
	.set _ZN7rocprim17ROCPRIM_400000_NS6detail17trampoline_kernelINS0_14default_configENS1_27scan_by_key_config_selectorIifEEZZNS1_16scan_by_key_implILNS1_25lookback_scan_determinismE0ELb1ES3_N6thrust23THRUST_200600_302600_NS6detail15normal_iteratorINS9_10device_ptrIiEEEENSB_INSC_IfEEEESG_fNS9_4plusIvEENS9_8equal_toIvEEfEE10hipError_tPvRmT2_T3_T4_T5_mT6_T7_P12ihipStream_tbENKUlT_T0_E_clISt17integral_constantIbLb1EES11_EEDaSW_SX_EUlSW_E_NS1_11comp_targetILNS1_3genE5ELNS1_11target_archE942ELNS1_3gpuE9ELNS1_3repE0EEENS1_30default_config_static_selectorELNS0_4arch9wavefront6targetE0EEEvT1_.has_indirect_call, 0
	.section	.AMDGPU.csdata,"",@progbits
; Kernel info:
; codeLenInByte = 0
; TotalNumSgprs: 0
; NumVgprs: 0
; ScratchSize: 0
; MemoryBound: 0
; FloatMode: 240
; IeeeMode: 1
; LDSByteSize: 0 bytes/workgroup (compile time only)
; SGPRBlocks: 0
; VGPRBlocks: 0
; NumSGPRsForWavesPerEU: 1
; NumVGPRsForWavesPerEU: 1
; Occupancy: 16
; WaveLimiterHint : 0
; COMPUTE_PGM_RSRC2:SCRATCH_EN: 0
; COMPUTE_PGM_RSRC2:USER_SGPR: 6
; COMPUTE_PGM_RSRC2:TRAP_HANDLER: 0
; COMPUTE_PGM_RSRC2:TGID_X_EN: 1
; COMPUTE_PGM_RSRC2:TGID_Y_EN: 0
; COMPUTE_PGM_RSRC2:TGID_Z_EN: 0
; COMPUTE_PGM_RSRC2:TIDIG_COMP_CNT: 0
	.section	.text._ZN7rocprim17ROCPRIM_400000_NS6detail17trampoline_kernelINS0_14default_configENS1_27scan_by_key_config_selectorIifEEZZNS1_16scan_by_key_implILNS1_25lookback_scan_determinismE0ELb1ES3_N6thrust23THRUST_200600_302600_NS6detail15normal_iteratorINS9_10device_ptrIiEEEENSB_INSC_IfEEEESG_fNS9_4plusIvEENS9_8equal_toIvEEfEE10hipError_tPvRmT2_T3_T4_T5_mT6_T7_P12ihipStream_tbENKUlT_T0_E_clISt17integral_constantIbLb1EES11_EEDaSW_SX_EUlSW_E_NS1_11comp_targetILNS1_3genE4ELNS1_11target_archE910ELNS1_3gpuE8ELNS1_3repE0EEENS1_30default_config_static_selectorELNS0_4arch9wavefront6targetE0EEEvT1_,"axG",@progbits,_ZN7rocprim17ROCPRIM_400000_NS6detail17trampoline_kernelINS0_14default_configENS1_27scan_by_key_config_selectorIifEEZZNS1_16scan_by_key_implILNS1_25lookback_scan_determinismE0ELb1ES3_N6thrust23THRUST_200600_302600_NS6detail15normal_iteratorINS9_10device_ptrIiEEEENSB_INSC_IfEEEESG_fNS9_4plusIvEENS9_8equal_toIvEEfEE10hipError_tPvRmT2_T3_T4_T5_mT6_T7_P12ihipStream_tbENKUlT_T0_E_clISt17integral_constantIbLb1EES11_EEDaSW_SX_EUlSW_E_NS1_11comp_targetILNS1_3genE4ELNS1_11target_archE910ELNS1_3gpuE8ELNS1_3repE0EEENS1_30default_config_static_selectorELNS0_4arch9wavefront6targetE0EEEvT1_,comdat
	.protected	_ZN7rocprim17ROCPRIM_400000_NS6detail17trampoline_kernelINS0_14default_configENS1_27scan_by_key_config_selectorIifEEZZNS1_16scan_by_key_implILNS1_25lookback_scan_determinismE0ELb1ES3_N6thrust23THRUST_200600_302600_NS6detail15normal_iteratorINS9_10device_ptrIiEEEENSB_INSC_IfEEEESG_fNS9_4plusIvEENS9_8equal_toIvEEfEE10hipError_tPvRmT2_T3_T4_T5_mT6_T7_P12ihipStream_tbENKUlT_T0_E_clISt17integral_constantIbLb1EES11_EEDaSW_SX_EUlSW_E_NS1_11comp_targetILNS1_3genE4ELNS1_11target_archE910ELNS1_3gpuE8ELNS1_3repE0EEENS1_30default_config_static_selectorELNS0_4arch9wavefront6targetE0EEEvT1_ ; -- Begin function _ZN7rocprim17ROCPRIM_400000_NS6detail17trampoline_kernelINS0_14default_configENS1_27scan_by_key_config_selectorIifEEZZNS1_16scan_by_key_implILNS1_25lookback_scan_determinismE0ELb1ES3_N6thrust23THRUST_200600_302600_NS6detail15normal_iteratorINS9_10device_ptrIiEEEENSB_INSC_IfEEEESG_fNS9_4plusIvEENS9_8equal_toIvEEfEE10hipError_tPvRmT2_T3_T4_T5_mT6_T7_P12ihipStream_tbENKUlT_T0_E_clISt17integral_constantIbLb1EES11_EEDaSW_SX_EUlSW_E_NS1_11comp_targetILNS1_3genE4ELNS1_11target_archE910ELNS1_3gpuE8ELNS1_3repE0EEENS1_30default_config_static_selectorELNS0_4arch9wavefront6targetE0EEEvT1_
	.globl	_ZN7rocprim17ROCPRIM_400000_NS6detail17trampoline_kernelINS0_14default_configENS1_27scan_by_key_config_selectorIifEEZZNS1_16scan_by_key_implILNS1_25lookback_scan_determinismE0ELb1ES3_N6thrust23THRUST_200600_302600_NS6detail15normal_iteratorINS9_10device_ptrIiEEEENSB_INSC_IfEEEESG_fNS9_4plusIvEENS9_8equal_toIvEEfEE10hipError_tPvRmT2_T3_T4_T5_mT6_T7_P12ihipStream_tbENKUlT_T0_E_clISt17integral_constantIbLb1EES11_EEDaSW_SX_EUlSW_E_NS1_11comp_targetILNS1_3genE4ELNS1_11target_archE910ELNS1_3gpuE8ELNS1_3repE0EEENS1_30default_config_static_selectorELNS0_4arch9wavefront6targetE0EEEvT1_
	.p2align	8
	.type	_ZN7rocprim17ROCPRIM_400000_NS6detail17trampoline_kernelINS0_14default_configENS1_27scan_by_key_config_selectorIifEEZZNS1_16scan_by_key_implILNS1_25lookback_scan_determinismE0ELb1ES3_N6thrust23THRUST_200600_302600_NS6detail15normal_iteratorINS9_10device_ptrIiEEEENSB_INSC_IfEEEESG_fNS9_4plusIvEENS9_8equal_toIvEEfEE10hipError_tPvRmT2_T3_T4_T5_mT6_T7_P12ihipStream_tbENKUlT_T0_E_clISt17integral_constantIbLb1EES11_EEDaSW_SX_EUlSW_E_NS1_11comp_targetILNS1_3genE4ELNS1_11target_archE910ELNS1_3gpuE8ELNS1_3repE0EEENS1_30default_config_static_selectorELNS0_4arch9wavefront6targetE0EEEvT1_,@function
_ZN7rocprim17ROCPRIM_400000_NS6detail17trampoline_kernelINS0_14default_configENS1_27scan_by_key_config_selectorIifEEZZNS1_16scan_by_key_implILNS1_25lookback_scan_determinismE0ELb1ES3_N6thrust23THRUST_200600_302600_NS6detail15normal_iteratorINS9_10device_ptrIiEEEENSB_INSC_IfEEEESG_fNS9_4plusIvEENS9_8equal_toIvEEfEE10hipError_tPvRmT2_T3_T4_T5_mT6_T7_P12ihipStream_tbENKUlT_T0_E_clISt17integral_constantIbLb1EES11_EEDaSW_SX_EUlSW_E_NS1_11comp_targetILNS1_3genE4ELNS1_11target_archE910ELNS1_3gpuE8ELNS1_3repE0EEENS1_30default_config_static_selectorELNS0_4arch9wavefront6targetE0EEEvT1_: ; @_ZN7rocprim17ROCPRIM_400000_NS6detail17trampoline_kernelINS0_14default_configENS1_27scan_by_key_config_selectorIifEEZZNS1_16scan_by_key_implILNS1_25lookback_scan_determinismE0ELb1ES3_N6thrust23THRUST_200600_302600_NS6detail15normal_iteratorINS9_10device_ptrIiEEEENSB_INSC_IfEEEESG_fNS9_4plusIvEENS9_8equal_toIvEEfEE10hipError_tPvRmT2_T3_T4_T5_mT6_T7_P12ihipStream_tbENKUlT_T0_E_clISt17integral_constantIbLb1EES11_EEDaSW_SX_EUlSW_E_NS1_11comp_targetILNS1_3genE4ELNS1_11target_archE910ELNS1_3gpuE8ELNS1_3repE0EEENS1_30default_config_static_selectorELNS0_4arch9wavefront6targetE0EEEvT1_
; %bb.0:
	.section	.rodata,"a",@progbits
	.p2align	6, 0x0
	.amdhsa_kernel _ZN7rocprim17ROCPRIM_400000_NS6detail17trampoline_kernelINS0_14default_configENS1_27scan_by_key_config_selectorIifEEZZNS1_16scan_by_key_implILNS1_25lookback_scan_determinismE0ELb1ES3_N6thrust23THRUST_200600_302600_NS6detail15normal_iteratorINS9_10device_ptrIiEEEENSB_INSC_IfEEEESG_fNS9_4plusIvEENS9_8equal_toIvEEfEE10hipError_tPvRmT2_T3_T4_T5_mT6_T7_P12ihipStream_tbENKUlT_T0_E_clISt17integral_constantIbLb1EES11_EEDaSW_SX_EUlSW_E_NS1_11comp_targetILNS1_3genE4ELNS1_11target_archE910ELNS1_3gpuE8ELNS1_3repE0EEENS1_30default_config_static_selectorELNS0_4arch9wavefront6targetE0EEEvT1_
		.amdhsa_group_segment_fixed_size 0
		.amdhsa_private_segment_fixed_size 0
		.amdhsa_kernarg_size 112
		.amdhsa_user_sgpr_count 6
		.amdhsa_user_sgpr_private_segment_buffer 1
		.amdhsa_user_sgpr_dispatch_ptr 0
		.amdhsa_user_sgpr_queue_ptr 0
		.amdhsa_user_sgpr_kernarg_segment_ptr 1
		.amdhsa_user_sgpr_dispatch_id 0
		.amdhsa_user_sgpr_flat_scratch_init 0
		.amdhsa_user_sgpr_private_segment_size 0
		.amdhsa_wavefront_size32 1
		.amdhsa_uses_dynamic_stack 0
		.amdhsa_system_sgpr_private_segment_wavefront_offset 0
		.amdhsa_system_sgpr_workgroup_id_x 1
		.amdhsa_system_sgpr_workgroup_id_y 0
		.amdhsa_system_sgpr_workgroup_id_z 0
		.amdhsa_system_sgpr_workgroup_info 0
		.amdhsa_system_vgpr_workitem_id 0
		.amdhsa_next_free_vgpr 1
		.amdhsa_next_free_sgpr 1
		.amdhsa_reserve_vcc 0
		.amdhsa_reserve_flat_scratch 0
		.amdhsa_float_round_mode_32 0
		.amdhsa_float_round_mode_16_64 0
		.amdhsa_float_denorm_mode_32 3
		.amdhsa_float_denorm_mode_16_64 3
		.amdhsa_dx10_clamp 1
		.amdhsa_ieee_mode 1
		.amdhsa_fp16_overflow 0
		.amdhsa_workgroup_processor_mode 1
		.amdhsa_memory_ordered 1
		.amdhsa_forward_progress 1
		.amdhsa_shared_vgpr_count 0
		.amdhsa_exception_fp_ieee_invalid_op 0
		.amdhsa_exception_fp_denorm_src 0
		.amdhsa_exception_fp_ieee_div_zero 0
		.amdhsa_exception_fp_ieee_overflow 0
		.amdhsa_exception_fp_ieee_underflow 0
		.amdhsa_exception_fp_ieee_inexact 0
		.amdhsa_exception_int_div_zero 0
	.end_amdhsa_kernel
	.section	.text._ZN7rocprim17ROCPRIM_400000_NS6detail17trampoline_kernelINS0_14default_configENS1_27scan_by_key_config_selectorIifEEZZNS1_16scan_by_key_implILNS1_25lookback_scan_determinismE0ELb1ES3_N6thrust23THRUST_200600_302600_NS6detail15normal_iteratorINS9_10device_ptrIiEEEENSB_INSC_IfEEEESG_fNS9_4plusIvEENS9_8equal_toIvEEfEE10hipError_tPvRmT2_T3_T4_T5_mT6_T7_P12ihipStream_tbENKUlT_T0_E_clISt17integral_constantIbLb1EES11_EEDaSW_SX_EUlSW_E_NS1_11comp_targetILNS1_3genE4ELNS1_11target_archE910ELNS1_3gpuE8ELNS1_3repE0EEENS1_30default_config_static_selectorELNS0_4arch9wavefront6targetE0EEEvT1_,"axG",@progbits,_ZN7rocprim17ROCPRIM_400000_NS6detail17trampoline_kernelINS0_14default_configENS1_27scan_by_key_config_selectorIifEEZZNS1_16scan_by_key_implILNS1_25lookback_scan_determinismE0ELb1ES3_N6thrust23THRUST_200600_302600_NS6detail15normal_iteratorINS9_10device_ptrIiEEEENSB_INSC_IfEEEESG_fNS9_4plusIvEENS9_8equal_toIvEEfEE10hipError_tPvRmT2_T3_T4_T5_mT6_T7_P12ihipStream_tbENKUlT_T0_E_clISt17integral_constantIbLb1EES11_EEDaSW_SX_EUlSW_E_NS1_11comp_targetILNS1_3genE4ELNS1_11target_archE910ELNS1_3gpuE8ELNS1_3repE0EEENS1_30default_config_static_selectorELNS0_4arch9wavefront6targetE0EEEvT1_,comdat
.Lfunc_end1439:
	.size	_ZN7rocprim17ROCPRIM_400000_NS6detail17trampoline_kernelINS0_14default_configENS1_27scan_by_key_config_selectorIifEEZZNS1_16scan_by_key_implILNS1_25lookback_scan_determinismE0ELb1ES3_N6thrust23THRUST_200600_302600_NS6detail15normal_iteratorINS9_10device_ptrIiEEEENSB_INSC_IfEEEESG_fNS9_4plusIvEENS9_8equal_toIvEEfEE10hipError_tPvRmT2_T3_T4_T5_mT6_T7_P12ihipStream_tbENKUlT_T0_E_clISt17integral_constantIbLb1EES11_EEDaSW_SX_EUlSW_E_NS1_11comp_targetILNS1_3genE4ELNS1_11target_archE910ELNS1_3gpuE8ELNS1_3repE0EEENS1_30default_config_static_selectorELNS0_4arch9wavefront6targetE0EEEvT1_, .Lfunc_end1439-_ZN7rocprim17ROCPRIM_400000_NS6detail17trampoline_kernelINS0_14default_configENS1_27scan_by_key_config_selectorIifEEZZNS1_16scan_by_key_implILNS1_25lookback_scan_determinismE0ELb1ES3_N6thrust23THRUST_200600_302600_NS6detail15normal_iteratorINS9_10device_ptrIiEEEENSB_INSC_IfEEEESG_fNS9_4plusIvEENS9_8equal_toIvEEfEE10hipError_tPvRmT2_T3_T4_T5_mT6_T7_P12ihipStream_tbENKUlT_T0_E_clISt17integral_constantIbLb1EES11_EEDaSW_SX_EUlSW_E_NS1_11comp_targetILNS1_3genE4ELNS1_11target_archE910ELNS1_3gpuE8ELNS1_3repE0EEENS1_30default_config_static_selectorELNS0_4arch9wavefront6targetE0EEEvT1_
                                        ; -- End function
	.set _ZN7rocprim17ROCPRIM_400000_NS6detail17trampoline_kernelINS0_14default_configENS1_27scan_by_key_config_selectorIifEEZZNS1_16scan_by_key_implILNS1_25lookback_scan_determinismE0ELb1ES3_N6thrust23THRUST_200600_302600_NS6detail15normal_iteratorINS9_10device_ptrIiEEEENSB_INSC_IfEEEESG_fNS9_4plusIvEENS9_8equal_toIvEEfEE10hipError_tPvRmT2_T3_T4_T5_mT6_T7_P12ihipStream_tbENKUlT_T0_E_clISt17integral_constantIbLb1EES11_EEDaSW_SX_EUlSW_E_NS1_11comp_targetILNS1_3genE4ELNS1_11target_archE910ELNS1_3gpuE8ELNS1_3repE0EEENS1_30default_config_static_selectorELNS0_4arch9wavefront6targetE0EEEvT1_.num_vgpr, 0
	.set _ZN7rocprim17ROCPRIM_400000_NS6detail17trampoline_kernelINS0_14default_configENS1_27scan_by_key_config_selectorIifEEZZNS1_16scan_by_key_implILNS1_25lookback_scan_determinismE0ELb1ES3_N6thrust23THRUST_200600_302600_NS6detail15normal_iteratorINS9_10device_ptrIiEEEENSB_INSC_IfEEEESG_fNS9_4plusIvEENS9_8equal_toIvEEfEE10hipError_tPvRmT2_T3_T4_T5_mT6_T7_P12ihipStream_tbENKUlT_T0_E_clISt17integral_constantIbLb1EES11_EEDaSW_SX_EUlSW_E_NS1_11comp_targetILNS1_3genE4ELNS1_11target_archE910ELNS1_3gpuE8ELNS1_3repE0EEENS1_30default_config_static_selectorELNS0_4arch9wavefront6targetE0EEEvT1_.num_agpr, 0
	.set _ZN7rocprim17ROCPRIM_400000_NS6detail17trampoline_kernelINS0_14default_configENS1_27scan_by_key_config_selectorIifEEZZNS1_16scan_by_key_implILNS1_25lookback_scan_determinismE0ELb1ES3_N6thrust23THRUST_200600_302600_NS6detail15normal_iteratorINS9_10device_ptrIiEEEENSB_INSC_IfEEEESG_fNS9_4plusIvEENS9_8equal_toIvEEfEE10hipError_tPvRmT2_T3_T4_T5_mT6_T7_P12ihipStream_tbENKUlT_T0_E_clISt17integral_constantIbLb1EES11_EEDaSW_SX_EUlSW_E_NS1_11comp_targetILNS1_3genE4ELNS1_11target_archE910ELNS1_3gpuE8ELNS1_3repE0EEENS1_30default_config_static_selectorELNS0_4arch9wavefront6targetE0EEEvT1_.numbered_sgpr, 0
	.set _ZN7rocprim17ROCPRIM_400000_NS6detail17trampoline_kernelINS0_14default_configENS1_27scan_by_key_config_selectorIifEEZZNS1_16scan_by_key_implILNS1_25lookback_scan_determinismE0ELb1ES3_N6thrust23THRUST_200600_302600_NS6detail15normal_iteratorINS9_10device_ptrIiEEEENSB_INSC_IfEEEESG_fNS9_4plusIvEENS9_8equal_toIvEEfEE10hipError_tPvRmT2_T3_T4_T5_mT6_T7_P12ihipStream_tbENKUlT_T0_E_clISt17integral_constantIbLb1EES11_EEDaSW_SX_EUlSW_E_NS1_11comp_targetILNS1_3genE4ELNS1_11target_archE910ELNS1_3gpuE8ELNS1_3repE0EEENS1_30default_config_static_selectorELNS0_4arch9wavefront6targetE0EEEvT1_.num_named_barrier, 0
	.set _ZN7rocprim17ROCPRIM_400000_NS6detail17trampoline_kernelINS0_14default_configENS1_27scan_by_key_config_selectorIifEEZZNS1_16scan_by_key_implILNS1_25lookback_scan_determinismE0ELb1ES3_N6thrust23THRUST_200600_302600_NS6detail15normal_iteratorINS9_10device_ptrIiEEEENSB_INSC_IfEEEESG_fNS9_4plusIvEENS9_8equal_toIvEEfEE10hipError_tPvRmT2_T3_T4_T5_mT6_T7_P12ihipStream_tbENKUlT_T0_E_clISt17integral_constantIbLb1EES11_EEDaSW_SX_EUlSW_E_NS1_11comp_targetILNS1_3genE4ELNS1_11target_archE910ELNS1_3gpuE8ELNS1_3repE0EEENS1_30default_config_static_selectorELNS0_4arch9wavefront6targetE0EEEvT1_.private_seg_size, 0
	.set _ZN7rocprim17ROCPRIM_400000_NS6detail17trampoline_kernelINS0_14default_configENS1_27scan_by_key_config_selectorIifEEZZNS1_16scan_by_key_implILNS1_25lookback_scan_determinismE0ELb1ES3_N6thrust23THRUST_200600_302600_NS6detail15normal_iteratorINS9_10device_ptrIiEEEENSB_INSC_IfEEEESG_fNS9_4plusIvEENS9_8equal_toIvEEfEE10hipError_tPvRmT2_T3_T4_T5_mT6_T7_P12ihipStream_tbENKUlT_T0_E_clISt17integral_constantIbLb1EES11_EEDaSW_SX_EUlSW_E_NS1_11comp_targetILNS1_3genE4ELNS1_11target_archE910ELNS1_3gpuE8ELNS1_3repE0EEENS1_30default_config_static_selectorELNS0_4arch9wavefront6targetE0EEEvT1_.uses_vcc, 0
	.set _ZN7rocprim17ROCPRIM_400000_NS6detail17trampoline_kernelINS0_14default_configENS1_27scan_by_key_config_selectorIifEEZZNS1_16scan_by_key_implILNS1_25lookback_scan_determinismE0ELb1ES3_N6thrust23THRUST_200600_302600_NS6detail15normal_iteratorINS9_10device_ptrIiEEEENSB_INSC_IfEEEESG_fNS9_4plusIvEENS9_8equal_toIvEEfEE10hipError_tPvRmT2_T3_T4_T5_mT6_T7_P12ihipStream_tbENKUlT_T0_E_clISt17integral_constantIbLb1EES11_EEDaSW_SX_EUlSW_E_NS1_11comp_targetILNS1_3genE4ELNS1_11target_archE910ELNS1_3gpuE8ELNS1_3repE0EEENS1_30default_config_static_selectorELNS0_4arch9wavefront6targetE0EEEvT1_.uses_flat_scratch, 0
	.set _ZN7rocprim17ROCPRIM_400000_NS6detail17trampoline_kernelINS0_14default_configENS1_27scan_by_key_config_selectorIifEEZZNS1_16scan_by_key_implILNS1_25lookback_scan_determinismE0ELb1ES3_N6thrust23THRUST_200600_302600_NS6detail15normal_iteratorINS9_10device_ptrIiEEEENSB_INSC_IfEEEESG_fNS9_4plusIvEENS9_8equal_toIvEEfEE10hipError_tPvRmT2_T3_T4_T5_mT6_T7_P12ihipStream_tbENKUlT_T0_E_clISt17integral_constantIbLb1EES11_EEDaSW_SX_EUlSW_E_NS1_11comp_targetILNS1_3genE4ELNS1_11target_archE910ELNS1_3gpuE8ELNS1_3repE0EEENS1_30default_config_static_selectorELNS0_4arch9wavefront6targetE0EEEvT1_.has_dyn_sized_stack, 0
	.set _ZN7rocprim17ROCPRIM_400000_NS6detail17trampoline_kernelINS0_14default_configENS1_27scan_by_key_config_selectorIifEEZZNS1_16scan_by_key_implILNS1_25lookback_scan_determinismE0ELb1ES3_N6thrust23THRUST_200600_302600_NS6detail15normal_iteratorINS9_10device_ptrIiEEEENSB_INSC_IfEEEESG_fNS9_4plusIvEENS9_8equal_toIvEEfEE10hipError_tPvRmT2_T3_T4_T5_mT6_T7_P12ihipStream_tbENKUlT_T0_E_clISt17integral_constantIbLb1EES11_EEDaSW_SX_EUlSW_E_NS1_11comp_targetILNS1_3genE4ELNS1_11target_archE910ELNS1_3gpuE8ELNS1_3repE0EEENS1_30default_config_static_selectorELNS0_4arch9wavefront6targetE0EEEvT1_.has_recursion, 0
	.set _ZN7rocprim17ROCPRIM_400000_NS6detail17trampoline_kernelINS0_14default_configENS1_27scan_by_key_config_selectorIifEEZZNS1_16scan_by_key_implILNS1_25lookback_scan_determinismE0ELb1ES3_N6thrust23THRUST_200600_302600_NS6detail15normal_iteratorINS9_10device_ptrIiEEEENSB_INSC_IfEEEESG_fNS9_4plusIvEENS9_8equal_toIvEEfEE10hipError_tPvRmT2_T3_T4_T5_mT6_T7_P12ihipStream_tbENKUlT_T0_E_clISt17integral_constantIbLb1EES11_EEDaSW_SX_EUlSW_E_NS1_11comp_targetILNS1_3genE4ELNS1_11target_archE910ELNS1_3gpuE8ELNS1_3repE0EEENS1_30default_config_static_selectorELNS0_4arch9wavefront6targetE0EEEvT1_.has_indirect_call, 0
	.section	.AMDGPU.csdata,"",@progbits
; Kernel info:
; codeLenInByte = 0
; TotalNumSgprs: 0
; NumVgprs: 0
; ScratchSize: 0
; MemoryBound: 0
; FloatMode: 240
; IeeeMode: 1
; LDSByteSize: 0 bytes/workgroup (compile time only)
; SGPRBlocks: 0
; VGPRBlocks: 0
; NumSGPRsForWavesPerEU: 1
; NumVGPRsForWavesPerEU: 1
; Occupancy: 16
; WaveLimiterHint : 0
; COMPUTE_PGM_RSRC2:SCRATCH_EN: 0
; COMPUTE_PGM_RSRC2:USER_SGPR: 6
; COMPUTE_PGM_RSRC2:TRAP_HANDLER: 0
; COMPUTE_PGM_RSRC2:TGID_X_EN: 1
; COMPUTE_PGM_RSRC2:TGID_Y_EN: 0
; COMPUTE_PGM_RSRC2:TGID_Z_EN: 0
; COMPUTE_PGM_RSRC2:TIDIG_COMP_CNT: 0
	.section	.text._ZN7rocprim17ROCPRIM_400000_NS6detail17trampoline_kernelINS0_14default_configENS1_27scan_by_key_config_selectorIifEEZZNS1_16scan_by_key_implILNS1_25lookback_scan_determinismE0ELb1ES3_N6thrust23THRUST_200600_302600_NS6detail15normal_iteratorINS9_10device_ptrIiEEEENSB_INSC_IfEEEESG_fNS9_4plusIvEENS9_8equal_toIvEEfEE10hipError_tPvRmT2_T3_T4_T5_mT6_T7_P12ihipStream_tbENKUlT_T0_E_clISt17integral_constantIbLb1EES11_EEDaSW_SX_EUlSW_E_NS1_11comp_targetILNS1_3genE3ELNS1_11target_archE908ELNS1_3gpuE7ELNS1_3repE0EEENS1_30default_config_static_selectorELNS0_4arch9wavefront6targetE0EEEvT1_,"axG",@progbits,_ZN7rocprim17ROCPRIM_400000_NS6detail17trampoline_kernelINS0_14default_configENS1_27scan_by_key_config_selectorIifEEZZNS1_16scan_by_key_implILNS1_25lookback_scan_determinismE0ELb1ES3_N6thrust23THRUST_200600_302600_NS6detail15normal_iteratorINS9_10device_ptrIiEEEENSB_INSC_IfEEEESG_fNS9_4plusIvEENS9_8equal_toIvEEfEE10hipError_tPvRmT2_T3_T4_T5_mT6_T7_P12ihipStream_tbENKUlT_T0_E_clISt17integral_constantIbLb1EES11_EEDaSW_SX_EUlSW_E_NS1_11comp_targetILNS1_3genE3ELNS1_11target_archE908ELNS1_3gpuE7ELNS1_3repE0EEENS1_30default_config_static_selectorELNS0_4arch9wavefront6targetE0EEEvT1_,comdat
	.protected	_ZN7rocprim17ROCPRIM_400000_NS6detail17trampoline_kernelINS0_14default_configENS1_27scan_by_key_config_selectorIifEEZZNS1_16scan_by_key_implILNS1_25lookback_scan_determinismE0ELb1ES3_N6thrust23THRUST_200600_302600_NS6detail15normal_iteratorINS9_10device_ptrIiEEEENSB_INSC_IfEEEESG_fNS9_4plusIvEENS9_8equal_toIvEEfEE10hipError_tPvRmT2_T3_T4_T5_mT6_T7_P12ihipStream_tbENKUlT_T0_E_clISt17integral_constantIbLb1EES11_EEDaSW_SX_EUlSW_E_NS1_11comp_targetILNS1_3genE3ELNS1_11target_archE908ELNS1_3gpuE7ELNS1_3repE0EEENS1_30default_config_static_selectorELNS0_4arch9wavefront6targetE0EEEvT1_ ; -- Begin function _ZN7rocprim17ROCPRIM_400000_NS6detail17trampoline_kernelINS0_14default_configENS1_27scan_by_key_config_selectorIifEEZZNS1_16scan_by_key_implILNS1_25lookback_scan_determinismE0ELb1ES3_N6thrust23THRUST_200600_302600_NS6detail15normal_iteratorINS9_10device_ptrIiEEEENSB_INSC_IfEEEESG_fNS9_4plusIvEENS9_8equal_toIvEEfEE10hipError_tPvRmT2_T3_T4_T5_mT6_T7_P12ihipStream_tbENKUlT_T0_E_clISt17integral_constantIbLb1EES11_EEDaSW_SX_EUlSW_E_NS1_11comp_targetILNS1_3genE3ELNS1_11target_archE908ELNS1_3gpuE7ELNS1_3repE0EEENS1_30default_config_static_selectorELNS0_4arch9wavefront6targetE0EEEvT1_
	.globl	_ZN7rocprim17ROCPRIM_400000_NS6detail17trampoline_kernelINS0_14default_configENS1_27scan_by_key_config_selectorIifEEZZNS1_16scan_by_key_implILNS1_25lookback_scan_determinismE0ELb1ES3_N6thrust23THRUST_200600_302600_NS6detail15normal_iteratorINS9_10device_ptrIiEEEENSB_INSC_IfEEEESG_fNS9_4plusIvEENS9_8equal_toIvEEfEE10hipError_tPvRmT2_T3_T4_T5_mT6_T7_P12ihipStream_tbENKUlT_T0_E_clISt17integral_constantIbLb1EES11_EEDaSW_SX_EUlSW_E_NS1_11comp_targetILNS1_3genE3ELNS1_11target_archE908ELNS1_3gpuE7ELNS1_3repE0EEENS1_30default_config_static_selectorELNS0_4arch9wavefront6targetE0EEEvT1_
	.p2align	8
	.type	_ZN7rocprim17ROCPRIM_400000_NS6detail17trampoline_kernelINS0_14default_configENS1_27scan_by_key_config_selectorIifEEZZNS1_16scan_by_key_implILNS1_25lookback_scan_determinismE0ELb1ES3_N6thrust23THRUST_200600_302600_NS6detail15normal_iteratorINS9_10device_ptrIiEEEENSB_INSC_IfEEEESG_fNS9_4plusIvEENS9_8equal_toIvEEfEE10hipError_tPvRmT2_T3_T4_T5_mT6_T7_P12ihipStream_tbENKUlT_T0_E_clISt17integral_constantIbLb1EES11_EEDaSW_SX_EUlSW_E_NS1_11comp_targetILNS1_3genE3ELNS1_11target_archE908ELNS1_3gpuE7ELNS1_3repE0EEENS1_30default_config_static_selectorELNS0_4arch9wavefront6targetE0EEEvT1_,@function
_ZN7rocprim17ROCPRIM_400000_NS6detail17trampoline_kernelINS0_14default_configENS1_27scan_by_key_config_selectorIifEEZZNS1_16scan_by_key_implILNS1_25lookback_scan_determinismE0ELb1ES3_N6thrust23THRUST_200600_302600_NS6detail15normal_iteratorINS9_10device_ptrIiEEEENSB_INSC_IfEEEESG_fNS9_4plusIvEENS9_8equal_toIvEEfEE10hipError_tPvRmT2_T3_T4_T5_mT6_T7_P12ihipStream_tbENKUlT_T0_E_clISt17integral_constantIbLb1EES11_EEDaSW_SX_EUlSW_E_NS1_11comp_targetILNS1_3genE3ELNS1_11target_archE908ELNS1_3gpuE7ELNS1_3repE0EEENS1_30default_config_static_selectorELNS0_4arch9wavefront6targetE0EEEvT1_: ; @_ZN7rocprim17ROCPRIM_400000_NS6detail17trampoline_kernelINS0_14default_configENS1_27scan_by_key_config_selectorIifEEZZNS1_16scan_by_key_implILNS1_25lookback_scan_determinismE0ELb1ES3_N6thrust23THRUST_200600_302600_NS6detail15normal_iteratorINS9_10device_ptrIiEEEENSB_INSC_IfEEEESG_fNS9_4plusIvEENS9_8equal_toIvEEfEE10hipError_tPvRmT2_T3_T4_T5_mT6_T7_P12ihipStream_tbENKUlT_T0_E_clISt17integral_constantIbLb1EES11_EEDaSW_SX_EUlSW_E_NS1_11comp_targetILNS1_3genE3ELNS1_11target_archE908ELNS1_3gpuE7ELNS1_3repE0EEENS1_30default_config_static_selectorELNS0_4arch9wavefront6targetE0EEEvT1_
; %bb.0:
	.section	.rodata,"a",@progbits
	.p2align	6, 0x0
	.amdhsa_kernel _ZN7rocprim17ROCPRIM_400000_NS6detail17trampoline_kernelINS0_14default_configENS1_27scan_by_key_config_selectorIifEEZZNS1_16scan_by_key_implILNS1_25lookback_scan_determinismE0ELb1ES3_N6thrust23THRUST_200600_302600_NS6detail15normal_iteratorINS9_10device_ptrIiEEEENSB_INSC_IfEEEESG_fNS9_4plusIvEENS9_8equal_toIvEEfEE10hipError_tPvRmT2_T3_T4_T5_mT6_T7_P12ihipStream_tbENKUlT_T0_E_clISt17integral_constantIbLb1EES11_EEDaSW_SX_EUlSW_E_NS1_11comp_targetILNS1_3genE3ELNS1_11target_archE908ELNS1_3gpuE7ELNS1_3repE0EEENS1_30default_config_static_selectorELNS0_4arch9wavefront6targetE0EEEvT1_
		.amdhsa_group_segment_fixed_size 0
		.amdhsa_private_segment_fixed_size 0
		.amdhsa_kernarg_size 112
		.amdhsa_user_sgpr_count 6
		.amdhsa_user_sgpr_private_segment_buffer 1
		.amdhsa_user_sgpr_dispatch_ptr 0
		.amdhsa_user_sgpr_queue_ptr 0
		.amdhsa_user_sgpr_kernarg_segment_ptr 1
		.amdhsa_user_sgpr_dispatch_id 0
		.amdhsa_user_sgpr_flat_scratch_init 0
		.amdhsa_user_sgpr_private_segment_size 0
		.amdhsa_wavefront_size32 1
		.amdhsa_uses_dynamic_stack 0
		.amdhsa_system_sgpr_private_segment_wavefront_offset 0
		.amdhsa_system_sgpr_workgroup_id_x 1
		.amdhsa_system_sgpr_workgroup_id_y 0
		.amdhsa_system_sgpr_workgroup_id_z 0
		.amdhsa_system_sgpr_workgroup_info 0
		.amdhsa_system_vgpr_workitem_id 0
		.amdhsa_next_free_vgpr 1
		.amdhsa_next_free_sgpr 1
		.amdhsa_reserve_vcc 0
		.amdhsa_reserve_flat_scratch 0
		.amdhsa_float_round_mode_32 0
		.amdhsa_float_round_mode_16_64 0
		.amdhsa_float_denorm_mode_32 3
		.amdhsa_float_denorm_mode_16_64 3
		.amdhsa_dx10_clamp 1
		.amdhsa_ieee_mode 1
		.amdhsa_fp16_overflow 0
		.amdhsa_workgroup_processor_mode 1
		.amdhsa_memory_ordered 1
		.amdhsa_forward_progress 1
		.amdhsa_shared_vgpr_count 0
		.amdhsa_exception_fp_ieee_invalid_op 0
		.amdhsa_exception_fp_denorm_src 0
		.amdhsa_exception_fp_ieee_div_zero 0
		.amdhsa_exception_fp_ieee_overflow 0
		.amdhsa_exception_fp_ieee_underflow 0
		.amdhsa_exception_fp_ieee_inexact 0
		.amdhsa_exception_int_div_zero 0
	.end_amdhsa_kernel
	.section	.text._ZN7rocprim17ROCPRIM_400000_NS6detail17trampoline_kernelINS0_14default_configENS1_27scan_by_key_config_selectorIifEEZZNS1_16scan_by_key_implILNS1_25lookback_scan_determinismE0ELb1ES3_N6thrust23THRUST_200600_302600_NS6detail15normal_iteratorINS9_10device_ptrIiEEEENSB_INSC_IfEEEESG_fNS9_4plusIvEENS9_8equal_toIvEEfEE10hipError_tPvRmT2_T3_T4_T5_mT6_T7_P12ihipStream_tbENKUlT_T0_E_clISt17integral_constantIbLb1EES11_EEDaSW_SX_EUlSW_E_NS1_11comp_targetILNS1_3genE3ELNS1_11target_archE908ELNS1_3gpuE7ELNS1_3repE0EEENS1_30default_config_static_selectorELNS0_4arch9wavefront6targetE0EEEvT1_,"axG",@progbits,_ZN7rocprim17ROCPRIM_400000_NS6detail17trampoline_kernelINS0_14default_configENS1_27scan_by_key_config_selectorIifEEZZNS1_16scan_by_key_implILNS1_25lookback_scan_determinismE0ELb1ES3_N6thrust23THRUST_200600_302600_NS6detail15normal_iteratorINS9_10device_ptrIiEEEENSB_INSC_IfEEEESG_fNS9_4plusIvEENS9_8equal_toIvEEfEE10hipError_tPvRmT2_T3_T4_T5_mT6_T7_P12ihipStream_tbENKUlT_T0_E_clISt17integral_constantIbLb1EES11_EEDaSW_SX_EUlSW_E_NS1_11comp_targetILNS1_3genE3ELNS1_11target_archE908ELNS1_3gpuE7ELNS1_3repE0EEENS1_30default_config_static_selectorELNS0_4arch9wavefront6targetE0EEEvT1_,comdat
.Lfunc_end1440:
	.size	_ZN7rocprim17ROCPRIM_400000_NS6detail17trampoline_kernelINS0_14default_configENS1_27scan_by_key_config_selectorIifEEZZNS1_16scan_by_key_implILNS1_25lookback_scan_determinismE0ELb1ES3_N6thrust23THRUST_200600_302600_NS6detail15normal_iteratorINS9_10device_ptrIiEEEENSB_INSC_IfEEEESG_fNS9_4plusIvEENS9_8equal_toIvEEfEE10hipError_tPvRmT2_T3_T4_T5_mT6_T7_P12ihipStream_tbENKUlT_T0_E_clISt17integral_constantIbLb1EES11_EEDaSW_SX_EUlSW_E_NS1_11comp_targetILNS1_3genE3ELNS1_11target_archE908ELNS1_3gpuE7ELNS1_3repE0EEENS1_30default_config_static_selectorELNS0_4arch9wavefront6targetE0EEEvT1_, .Lfunc_end1440-_ZN7rocprim17ROCPRIM_400000_NS6detail17trampoline_kernelINS0_14default_configENS1_27scan_by_key_config_selectorIifEEZZNS1_16scan_by_key_implILNS1_25lookback_scan_determinismE0ELb1ES3_N6thrust23THRUST_200600_302600_NS6detail15normal_iteratorINS9_10device_ptrIiEEEENSB_INSC_IfEEEESG_fNS9_4plusIvEENS9_8equal_toIvEEfEE10hipError_tPvRmT2_T3_T4_T5_mT6_T7_P12ihipStream_tbENKUlT_T0_E_clISt17integral_constantIbLb1EES11_EEDaSW_SX_EUlSW_E_NS1_11comp_targetILNS1_3genE3ELNS1_11target_archE908ELNS1_3gpuE7ELNS1_3repE0EEENS1_30default_config_static_selectorELNS0_4arch9wavefront6targetE0EEEvT1_
                                        ; -- End function
	.set _ZN7rocprim17ROCPRIM_400000_NS6detail17trampoline_kernelINS0_14default_configENS1_27scan_by_key_config_selectorIifEEZZNS1_16scan_by_key_implILNS1_25lookback_scan_determinismE0ELb1ES3_N6thrust23THRUST_200600_302600_NS6detail15normal_iteratorINS9_10device_ptrIiEEEENSB_INSC_IfEEEESG_fNS9_4plusIvEENS9_8equal_toIvEEfEE10hipError_tPvRmT2_T3_T4_T5_mT6_T7_P12ihipStream_tbENKUlT_T0_E_clISt17integral_constantIbLb1EES11_EEDaSW_SX_EUlSW_E_NS1_11comp_targetILNS1_3genE3ELNS1_11target_archE908ELNS1_3gpuE7ELNS1_3repE0EEENS1_30default_config_static_selectorELNS0_4arch9wavefront6targetE0EEEvT1_.num_vgpr, 0
	.set _ZN7rocprim17ROCPRIM_400000_NS6detail17trampoline_kernelINS0_14default_configENS1_27scan_by_key_config_selectorIifEEZZNS1_16scan_by_key_implILNS1_25lookback_scan_determinismE0ELb1ES3_N6thrust23THRUST_200600_302600_NS6detail15normal_iteratorINS9_10device_ptrIiEEEENSB_INSC_IfEEEESG_fNS9_4plusIvEENS9_8equal_toIvEEfEE10hipError_tPvRmT2_T3_T4_T5_mT6_T7_P12ihipStream_tbENKUlT_T0_E_clISt17integral_constantIbLb1EES11_EEDaSW_SX_EUlSW_E_NS1_11comp_targetILNS1_3genE3ELNS1_11target_archE908ELNS1_3gpuE7ELNS1_3repE0EEENS1_30default_config_static_selectorELNS0_4arch9wavefront6targetE0EEEvT1_.num_agpr, 0
	.set _ZN7rocprim17ROCPRIM_400000_NS6detail17trampoline_kernelINS0_14default_configENS1_27scan_by_key_config_selectorIifEEZZNS1_16scan_by_key_implILNS1_25lookback_scan_determinismE0ELb1ES3_N6thrust23THRUST_200600_302600_NS6detail15normal_iteratorINS9_10device_ptrIiEEEENSB_INSC_IfEEEESG_fNS9_4plusIvEENS9_8equal_toIvEEfEE10hipError_tPvRmT2_T3_T4_T5_mT6_T7_P12ihipStream_tbENKUlT_T0_E_clISt17integral_constantIbLb1EES11_EEDaSW_SX_EUlSW_E_NS1_11comp_targetILNS1_3genE3ELNS1_11target_archE908ELNS1_3gpuE7ELNS1_3repE0EEENS1_30default_config_static_selectorELNS0_4arch9wavefront6targetE0EEEvT1_.numbered_sgpr, 0
	.set _ZN7rocprim17ROCPRIM_400000_NS6detail17trampoline_kernelINS0_14default_configENS1_27scan_by_key_config_selectorIifEEZZNS1_16scan_by_key_implILNS1_25lookback_scan_determinismE0ELb1ES3_N6thrust23THRUST_200600_302600_NS6detail15normal_iteratorINS9_10device_ptrIiEEEENSB_INSC_IfEEEESG_fNS9_4plusIvEENS9_8equal_toIvEEfEE10hipError_tPvRmT2_T3_T4_T5_mT6_T7_P12ihipStream_tbENKUlT_T0_E_clISt17integral_constantIbLb1EES11_EEDaSW_SX_EUlSW_E_NS1_11comp_targetILNS1_3genE3ELNS1_11target_archE908ELNS1_3gpuE7ELNS1_3repE0EEENS1_30default_config_static_selectorELNS0_4arch9wavefront6targetE0EEEvT1_.num_named_barrier, 0
	.set _ZN7rocprim17ROCPRIM_400000_NS6detail17trampoline_kernelINS0_14default_configENS1_27scan_by_key_config_selectorIifEEZZNS1_16scan_by_key_implILNS1_25lookback_scan_determinismE0ELb1ES3_N6thrust23THRUST_200600_302600_NS6detail15normal_iteratorINS9_10device_ptrIiEEEENSB_INSC_IfEEEESG_fNS9_4plusIvEENS9_8equal_toIvEEfEE10hipError_tPvRmT2_T3_T4_T5_mT6_T7_P12ihipStream_tbENKUlT_T0_E_clISt17integral_constantIbLb1EES11_EEDaSW_SX_EUlSW_E_NS1_11comp_targetILNS1_3genE3ELNS1_11target_archE908ELNS1_3gpuE7ELNS1_3repE0EEENS1_30default_config_static_selectorELNS0_4arch9wavefront6targetE0EEEvT1_.private_seg_size, 0
	.set _ZN7rocprim17ROCPRIM_400000_NS6detail17trampoline_kernelINS0_14default_configENS1_27scan_by_key_config_selectorIifEEZZNS1_16scan_by_key_implILNS1_25lookback_scan_determinismE0ELb1ES3_N6thrust23THRUST_200600_302600_NS6detail15normal_iteratorINS9_10device_ptrIiEEEENSB_INSC_IfEEEESG_fNS9_4plusIvEENS9_8equal_toIvEEfEE10hipError_tPvRmT2_T3_T4_T5_mT6_T7_P12ihipStream_tbENKUlT_T0_E_clISt17integral_constantIbLb1EES11_EEDaSW_SX_EUlSW_E_NS1_11comp_targetILNS1_3genE3ELNS1_11target_archE908ELNS1_3gpuE7ELNS1_3repE0EEENS1_30default_config_static_selectorELNS0_4arch9wavefront6targetE0EEEvT1_.uses_vcc, 0
	.set _ZN7rocprim17ROCPRIM_400000_NS6detail17trampoline_kernelINS0_14default_configENS1_27scan_by_key_config_selectorIifEEZZNS1_16scan_by_key_implILNS1_25lookback_scan_determinismE0ELb1ES3_N6thrust23THRUST_200600_302600_NS6detail15normal_iteratorINS9_10device_ptrIiEEEENSB_INSC_IfEEEESG_fNS9_4plusIvEENS9_8equal_toIvEEfEE10hipError_tPvRmT2_T3_T4_T5_mT6_T7_P12ihipStream_tbENKUlT_T0_E_clISt17integral_constantIbLb1EES11_EEDaSW_SX_EUlSW_E_NS1_11comp_targetILNS1_3genE3ELNS1_11target_archE908ELNS1_3gpuE7ELNS1_3repE0EEENS1_30default_config_static_selectorELNS0_4arch9wavefront6targetE0EEEvT1_.uses_flat_scratch, 0
	.set _ZN7rocprim17ROCPRIM_400000_NS6detail17trampoline_kernelINS0_14default_configENS1_27scan_by_key_config_selectorIifEEZZNS1_16scan_by_key_implILNS1_25lookback_scan_determinismE0ELb1ES3_N6thrust23THRUST_200600_302600_NS6detail15normal_iteratorINS9_10device_ptrIiEEEENSB_INSC_IfEEEESG_fNS9_4plusIvEENS9_8equal_toIvEEfEE10hipError_tPvRmT2_T3_T4_T5_mT6_T7_P12ihipStream_tbENKUlT_T0_E_clISt17integral_constantIbLb1EES11_EEDaSW_SX_EUlSW_E_NS1_11comp_targetILNS1_3genE3ELNS1_11target_archE908ELNS1_3gpuE7ELNS1_3repE0EEENS1_30default_config_static_selectorELNS0_4arch9wavefront6targetE0EEEvT1_.has_dyn_sized_stack, 0
	.set _ZN7rocprim17ROCPRIM_400000_NS6detail17trampoline_kernelINS0_14default_configENS1_27scan_by_key_config_selectorIifEEZZNS1_16scan_by_key_implILNS1_25lookback_scan_determinismE0ELb1ES3_N6thrust23THRUST_200600_302600_NS6detail15normal_iteratorINS9_10device_ptrIiEEEENSB_INSC_IfEEEESG_fNS9_4plusIvEENS9_8equal_toIvEEfEE10hipError_tPvRmT2_T3_T4_T5_mT6_T7_P12ihipStream_tbENKUlT_T0_E_clISt17integral_constantIbLb1EES11_EEDaSW_SX_EUlSW_E_NS1_11comp_targetILNS1_3genE3ELNS1_11target_archE908ELNS1_3gpuE7ELNS1_3repE0EEENS1_30default_config_static_selectorELNS0_4arch9wavefront6targetE0EEEvT1_.has_recursion, 0
	.set _ZN7rocprim17ROCPRIM_400000_NS6detail17trampoline_kernelINS0_14default_configENS1_27scan_by_key_config_selectorIifEEZZNS1_16scan_by_key_implILNS1_25lookback_scan_determinismE0ELb1ES3_N6thrust23THRUST_200600_302600_NS6detail15normal_iteratorINS9_10device_ptrIiEEEENSB_INSC_IfEEEESG_fNS9_4plusIvEENS9_8equal_toIvEEfEE10hipError_tPvRmT2_T3_T4_T5_mT6_T7_P12ihipStream_tbENKUlT_T0_E_clISt17integral_constantIbLb1EES11_EEDaSW_SX_EUlSW_E_NS1_11comp_targetILNS1_3genE3ELNS1_11target_archE908ELNS1_3gpuE7ELNS1_3repE0EEENS1_30default_config_static_selectorELNS0_4arch9wavefront6targetE0EEEvT1_.has_indirect_call, 0
	.section	.AMDGPU.csdata,"",@progbits
; Kernel info:
; codeLenInByte = 0
; TotalNumSgprs: 0
; NumVgprs: 0
; ScratchSize: 0
; MemoryBound: 0
; FloatMode: 240
; IeeeMode: 1
; LDSByteSize: 0 bytes/workgroup (compile time only)
; SGPRBlocks: 0
; VGPRBlocks: 0
; NumSGPRsForWavesPerEU: 1
; NumVGPRsForWavesPerEU: 1
; Occupancy: 16
; WaveLimiterHint : 0
; COMPUTE_PGM_RSRC2:SCRATCH_EN: 0
; COMPUTE_PGM_RSRC2:USER_SGPR: 6
; COMPUTE_PGM_RSRC2:TRAP_HANDLER: 0
; COMPUTE_PGM_RSRC2:TGID_X_EN: 1
; COMPUTE_PGM_RSRC2:TGID_Y_EN: 0
; COMPUTE_PGM_RSRC2:TGID_Z_EN: 0
; COMPUTE_PGM_RSRC2:TIDIG_COMP_CNT: 0
	.section	.text._ZN7rocprim17ROCPRIM_400000_NS6detail17trampoline_kernelINS0_14default_configENS1_27scan_by_key_config_selectorIifEEZZNS1_16scan_by_key_implILNS1_25lookback_scan_determinismE0ELb1ES3_N6thrust23THRUST_200600_302600_NS6detail15normal_iteratorINS9_10device_ptrIiEEEENSB_INSC_IfEEEESG_fNS9_4plusIvEENS9_8equal_toIvEEfEE10hipError_tPvRmT2_T3_T4_T5_mT6_T7_P12ihipStream_tbENKUlT_T0_E_clISt17integral_constantIbLb1EES11_EEDaSW_SX_EUlSW_E_NS1_11comp_targetILNS1_3genE2ELNS1_11target_archE906ELNS1_3gpuE6ELNS1_3repE0EEENS1_30default_config_static_selectorELNS0_4arch9wavefront6targetE0EEEvT1_,"axG",@progbits,_ZN7rocprim17ROCPRIM_400000_NS6detail17trampoline_kernelINS0_14default_configENS1_27scan_by_key_config_selectorIifEEZZNS1_16scan_by_key_implILNS1_25lookback_scan_determinismE0ELb1ES3_N6thrust23THRUST_200600_302600_NS6detail15normal_iteratorINS9_10device_ptrIiEEEENSB_INSC_IfEEEESG_fNS9_4plusIvEENS9_8equal_toIvEEfEE10hipError_tPvRmT2_T3_T4_T5_mT6_T7_P12ihipStream_tbENKUlT_T0_E_clISt17integral_constantIbLb1EES11_EEDaSW_SX_EUlSW_E_NS1_11comp_targetILNS1_3genE2ELNS1_11target_archE906ELNS1_3gpuE6ELNS1_3repE0EEENS1_30default_config_static_selectorELNS0_4arch9wavefront6targetE0EEEvT1_,comdat
	.protected	_ZN7rocprim17ROCPRIM_400000_NS6detail17trampoline_kernelINS0_14default_configENS1_27scan_by_key_config_selectorIifEEZZNS1_16scan_by_key_implILNS1_25lookback_scan_determinismE0ELb1ES3_N6thrust23THRUST_200600_302600_NS6detail15normal_iteratorINS9_10device_ptrIiEEEENSB_INSC_IfEEEESG_fNS9_4plusIvEENS9_8equal_toIvEEfEE10hipError_tPvRmT2_T3_T4_T5_mT6_T7_P12ihipStream_tbENKUlT_T0_E_clISt17integral_constantIbLb1EES11_EEDaSW_SX_EUlSW_E_NS1_11comp_targetILNS1_3genE2ELNS1_11target_archE906ELNS1_3gpuE6ELNS1_3repE0EEENS1_30default_config_static_selectorELNS0_4arch9wavefront6targetE0EEEvT1_ ; -- Begin function _ZN7rocprim17ROCPRIM_400000_NS6detail17trampoline_kernelINS0_14default_configENS1_27scan_by_key_config_selectorIifEEZZNS1_16scan_by_key_implILNS1_25lookback_scan_determinismE0ELb1ES3_N6thrust23THRUST_200600_302600_NS6detail15normal_iteratorINS9_10device_ptrIiEEEENSB_INSC_IfEEEESG_fNS9_4plusIvEENS9_8equal_toIvEEfEE10hipError_tPvRmT2_T3_T4_T5_mT6_T7_P12ihipStream_tbENKUlT_T0_E_clISt17integral_constantIbLb1EES11_EEDaSW_SX_EUlSW_E_NS1_11comp_targetILNS1_3genE2ELNS1_11target_archE906ELNS1_3gpuE6ELNS1_3repE0EEENS1_30default_config_static_selectorELNS0_4arch9wavefront6targetE0EEEvT1_
	.globl	_ZN7rocprim17ROCPRIM_400000_NS6detail17trampoline_kernelINS0_14default_configENS1_27scan_by_key_config_selectorIifEEZZNS1_16scan_by_key_implILNS1_25lookback_scan_determinismE0ELb1ES3_N6thrust23THRUST_200600_302600_NS6detail15normal_iteratorINS9_10device_ptrIiEEEENSB_INSC_IfEEEESG_fNS9_4plusIvEENS9_8equal_toIvEEfEE10hipError_tPvRmT2_T3_T4_T5_mT6_T7_P12ihipStream_tbENKUlT_T0_E_clISt17integral_constantIbLb1EES11_EEDaSW_SX_EUlSW_E_NS1_11comp_targetILNS1_3genE2ELNS1_11target_archE906ELNS1_3gpuE6ELNS1_3repE0EEENS1_30default_config_static_selectorELNS0_4arch9wavefront6targetE0EEEvT1_
	.p2align	8
	.type	_ZN7rocprim17ROCPRIM_400000_NS6detail17trampoline_kernelINS0_14default_configENS1_27scan_by_key_config_selectorIifEEZZNS1_16scan_by_key_implILNS1_25lookback_scan_determinismE0ELb1ES3_N6thrust23THRUST_200600_302600_NS6detail15normal_iteratorINS9_10device_ptrIiEEEENSB_INSC_IfEEEESG_fNS9_4plusIvEENS9_8equal_toIvEEfEE10hipError_tPvRmT2_T3_T4_T5_mT6_T7_P12ihipStream_tbENKUlT_T0_E_clISt17integral_constantIbLb1EES11_EEDaSW_SX_EUlSW_E_NS1_11comp_targetILNS1_3genE2ELNS1_11target_archE906ELNS1_3gpuE6ELNS1_3repE0EEENS1_30default_config_static_selectorELNS0_4arch9wavefront6targetE0EEEvT1_,@function
_ZN7rocprim17ROCPRIM_400000_NS6detail17trampoline_kernelINS0_14default_configENS1_27scan_by_key_config_selectorIifEEZZNS1_16scan_by_key_implILNS1_25lookback_scan_determinismE0ELb1ES3_N6thrust23THRUST_200600_302600_NS6detail15normal_iteratorINS9_10device_ptrIiEEEENSB_INSC_IfEEEESG_fNS9_4plusIvEENS9_8equal_toIvEEfEE10hipError_tPvRmT2_T3_T4_T5_mT6_T7_P12ihipStream_tbENKUlT_T0_E_clISt17integral_constantIbLb1EES11_EEDaSW_SX_EUlSW_E_NS1_11comp_targetILNS1_3genE2ELNS1_11target_archE906ELNS1_3gpuE6ELNS1_3repE0EEENS1_30default_config_static_selectorELNS0_4arch9wavefront6targetE0EEEvT1_: ; @_ZN7rocprim17ROCPRIM_400000_NS6detail17trampoline_kernelINS0_14default_configENS1_27scan_by_key_config_selectorIifEEZZNS1_16scan_by_key_implILNS1_25lookback_scan_determinismE0ELb1ES3_N6thrust23THRUST_200600_302600_NS6detail15normal_iteratorINS9_10device_ptrIiEEEENSB_INSC_IfEEEESG_fNS9_4plusIvEENS9_8equal_toIvEEfEE10hipError_tPvRmT2_T3_T4_T5_mT6_T7_P12ihipStream_tbENKUlT_T0_E_clISt17integral_constantIbLb1EES11_EEDaSW_SX_EUlSW_E_NS1_11comp_targetILNS1_3genE2ELNS1_11target_archE906ELNS1_3gpuE6ELNS1_3repE0EEENS1_30default_config_static_selectorELNS0_4arch9wavefront6targetE0EEEvT1_
; %bb.0:
	.section	.rodata,"a",@progbits
	.p2align	6, 0x0
	.amdhsa_kernel _ZN7rocprim17ROCPRIM_400000_NS6detail17trampoline_kernelINS0_14default_configENS1_27scan_by_key_config_selectorIifEEZZNS1_16scan_by_key_implILNS1_25lookback_scan_determinismE0ELb1ES3_N6thrust23THRUST_200600_302600_NS6detail15normal_iteratorINS9_10device_ptrIiEEEENSB_INSC_IfEEEESG_fNS9_4plusIvEENS9_8equal_toIvEEfEE10hipError_tPvRmT2_T3_T4_T5_mT6_T7_P12ihipStream_tbENKUlT_T0_E_clISt17integral_constantIbLb1EES11_EEDaSW_SX_EUlSW_E_NS1_11comp_targetILNS1_3genE2ELNS1_11target_archE906ELNS1_3gpuE6ELNS1_3repE0EEENS1_30default_config_static_selectorELNS0_4arch9wavefront6targetE0EEEvT1_
		.amdhsa_group_segment_fixed_size 0
		.amdhsa_private_segment_fixed_size 0
		.amdhsa_kernarg_size 112
		.amdhsa_user_sgpr_count 6
		.amdhsa_user_sgpr_private_segment_buffer 1
		.amdhsa_user_sgpr_dispatch_ptr 0
		.amdhsa_user_sgpr_queue_ptr 0
		.amdhsa_user_sgpr_kernarg_segment_ptr 1
		.amdhsa_user_sgpr_dispatch_id 0
		.amdhsa_user_sgpr_flat_scratch_init 0
		.amdhsa_user_sgpr_private_segment_size 0
		.amdhsa_wavefront_size32 1
		.amdhsa_uses_dynamic_stack 0
		.amdhsa_system_sgpr_private_segment_wavefront_offset 0
		.amdhsa_system_sgpr_workgroup_id_x 1
		.amdhsa_system_sgpr_workgroup_id_y 0
		.amdhsa_system_sgpr_workgroup_id_z 0
		.amdhsa_system_sgpr_workgroup_info 0
		.amdhsa_system_vgpr_workitem_id 0
		.amdhsa_next_free_vgpr 1
		.amdhsa_next_free_sgpr 1
		.amdhsa_reserve_vcc 0
		.amdhsa_reserve_flat_scratch 0
		.amdhsa_float_round_mode_32 0
		.amdhsa_float_round_mode_16_64 0
		.amdhsa_float_denorm_mode_32 3
		.amdhsa_float_denorm_mode_16_64 3
		.amdhsa_dx10_clamp 1
		.amdhsa_ieee_mode 1
		.amdhsa_fp16_overflow 0
		.amdhsa_workgroup_processor_mode 1
		.amdhsa_memory_ordered 1
		.amdhsa_forward_progress 1
		.amdhsa_shared_vgpr_count 0
		.amdhsa_exception_fp_ieee_invalid_op 0
		.amdhsa_exception_fp_denorm_src 0
		.amdhsa_exception_fp_ieee_div_zero 0
		.amdhsa_exception_fp_ieee_overflow 0
		.amdhsa_exception_fp_ieee_underflow 0
		.amdhsa_exception_fp_ieee_inexact 0
		.amdhsa_exception_int_div_zero 0
	.end_amdhsa_kernel
	.section	.text._ZN7rocprim17ROCPRIM_400000_NS6detail17trampoline_kernelINS0_14default_configENS1_27scan_by_key_config_selectorIifEEZZNS1_16scan_by_key_implILNS1_25lookback_scan_determinismE0ELb1ES3_N6thrust23THRUST_200600_302600_NS6detail15normal_iteratorINS9_10device_ptrIiEEEENSB_INSC_IfEEEESG_fNS9_4plusIvEENS9_8equal_toIvEEfEE10hipError_tPvRmT2_T3_T4_T5_mT6_T7_P12ihipStream_tbENKUlT_T0_E_clISt17integral_constantIbLb1EES11_EEDaSW_SX_EUlSW_E_NS1_11comp_targetILNS1_3genE2ELNS1_11target_archE906ELNS1_3gpuE6ELNS1_3repE0EEENS1_30default_config_static_selectorELNS0_4arch9wavefront6targetE0EEEvT1_,"axG",@progbits,_ZN7rocprim17ROCPRIM_400000_NS6detail17trampoline_kernelINS0_14default_configENS1_27scan_by_key_config_selectorIifEEZZNS1_16scan_by_key_implILNS1_25lookback_scan_determinismE0ELb1ES3_N6thrust23THRUST_200600_302600_NS6detail15normal_iteratorINS9_10device_ptrIiEEEENSB_INSC_IfEEEESG_fNS9_4plusIvEENS9_8equal_toIvEEfEE10hipError_tPvRmT2_T3_T4_T5_mT6_T7_P12ihipStream_tbENKUlT_T0_E_clISt17integral_constantIbLb1EES11_EEDaSW_SX_EUlSW_E_NS1_11comp_targetILNS1_3genE2ELNS1_11target_archE906ELNS1_3gpuE6ELNS1_3repE0EEENS1_30default_config_static_selectorELNS0_4arch9wavefront6targetE0EEEvT1_,comdat
.Lfunc_end1441:
	.size	_ZN7rocprim17ROCPRIM_400000_NS6detail17trampoline_kernelINS0_14default_configENS1_27scan_by_key_config_selectorIifEEZZNS1_16scan_by_key_implILNS1_25lookback_scan_determinismE0ELb1ES3_N6thrust23THRUST_200600_302600_NS6detail15normal_iteratorINS9_10device_ptrIiEEEENSB_INSC_IfEEEESG_fNS9_4plusIvEENS9_8equal_toIvEEfEE10hipError_tPvRmT2_T3_T4_T5_mT6_T7_P12ihipStream_tbENKUlT_T0_E_clISt17integral_constantIbLb1EES11_EEDaSW_SX_EUlSW_E_NS1_11comp_targetILNS1_3genE2ELNS1_11target_archE906ELNS1_3gpuE6ELNS1_3repE0EEENS1_30default_config_static_selectorELNS0_4arch9wavefront6targetE0EEEvT1_, .Lfunc_end1441-_ZN7rocprim17ROCPRIM_400000_NS6detail17trampoline_kernelINS0_14default_configENS1_27scan_by_key_config_selectorIifEEZZNS1_16scan_by_key_implILNS1_25lookback_scan_determinismE0ELb1ES3_N6thrust23THRUST_200600_302600_NS6detail15normal_iteratorINS9_10device_ptrIiEEEENSB_INSC_IfEEEESG_fNS9_4plusIvEENS9_8equal_toIvEEfEE10hipError_tPvRmT2_T3_T4_T5_mT6_T7_P12ihipStream_tbENKUlT_T0_E_clISt17integral_constantIbLb1EES11_EEDaSW_SX_EUlSW_E_NS1_11comp_targetILNS1_3genE2ELNS1_11target_archE906ELNS1_3gpuE6ELNS1_3repE0EEENS1_30default_config_static_selectorELNS0_4arch9wavefront6targetE0EEEvT1_
                                        ; -- End function
	.set _ZN7rocprim17ROCPRIM_400000_NS6detail17trampoline_kernelINS0_14default_configENS1_27scan_by_key_config_selectorIifEEZZNS1_16scan_by_key_implILNS1_25lookback_scan_determinismE0ELb1ES3_N6thrust23THRUST_200600_302600_NS6detail15normal_iteratorINS9_10device_ptrIiEEEENSB_INSC_IfEEEESG_fNS9_4plusIvEENS9_8equal_toIvEEfEE10hipError_tPvRmT2_T3_T4_T5_mT6_T7_P12ihipStream_tbENKUlT_T0_E_clISt17integral_constantIbLb1EES11_EEDaSW_SX_EUlSW_E_NS1_11comp_targetILNS1_3genE2ELNS1_11target_archE906ELNS1_3gpuE6ELNS1_3repE0EEENS1_30default_config_static_selectorELNS0_4arch9wavefront6targetE0EEEvT1_.num_vgpr, 0
	.set _ZN7rocprim17ROCPRIM_400000_NS6detail17trampoline_kernelINS0_14default_configENS1_27scan_by_key_config_selectorIifEEZZNS1_16scan_by_key_implILNS1_25lookback_scan_determinismE0ELb1ES3_N6thrust23THRUST_200600_302600_NS6detail15normal_iteratorINS9_10device_ptrIiEEEENSB_INSC_IfEEEESG_fNS9_4plusIvEENS9_8equal_toIvEEfEE10hipError_tPvRmT2_T3_T4_T5_mT6_T7_P12ihipStream_tbENKUlT_T0_E_clISt17integral_constantIbLb1EES11_EEDaSW_SX_EUlSW_E_NS1_11comp_targetILNS1_3genE2ELNS1_11target_archE906ELNS1_3gpuE6ELNS1_3repE0EEENS1_30default_config_static_selectorELNS0_4arch9wavefront6targetE0EEEvT1_.num_agpr, 0
	.set _ZN7rocprim17ROCPRIM_400000_NS6detail17trampoline_kernelINS0_14default_configENS1_27scan_by_key_config_selectorIifEEZZNS1_16scan_by_key_implILNS1_25lookback_scan_determinismE0ELb1ES3_N6thrust23THRUST_200600_302600_NS6detail15normal_iteratorINS9_10device_ptrIiEEEENSB_INSC_IfEEEESG_fNS9_4plusIvEENS9_8equal_toIvEEfEE10hipError_tPvRmT2_T3_T4_T5_mT6_T7_P12ihipStream_tbENKUlT_T0_E_clISt17integral_constantIbLb1EES11_EEDaSW_SX_EUlSW_E_NS1_11comp_targetILNS1_3genE2ELNS1_11target_archE906ELNS1_3gpuE6ELNS1_3repE0EEENS1_30default_config_static_selectorELNS0_4arch9wavefront6targetE0EEEvT1_.numbered_sgpr, 0
	.set _ZN7rocprim17ROCPRIM_400000_NS6detail17trampoline_kernelINS0_14default_configENS1_27scan_by_key_config_selectorIifEEZZNS1_16scan_by_key_implILNS1_25lookback_scan_determinismE0ELb1ES3_N6thrust23THRUST_200600_302600_NS6detail15normal_iteratorINS9_10device_ptrIiEEEENSB_INSC_IfEEEESG_fNS9_4plusIvEENS9_8equal_toIvEEfEE10hipError_tPvRmT2_T3_T4_T5_mT6_T7_P12ihipStream_tbENKUlT_T0_E_clISt17integral_constantIbLb1EES11_EEDaSW_SX_EUlSW_E_NS1_11comp_targetILNS1_3genE2ELNS1_11target_archE906ELNS1_3gpuE6ELNS1_3repE0EEENS1_30default_config_static_selectorELNS0_4arch9wavefront6targetE0EEEvT1_.num_named_barrier, 0
	.set _ZN7rocprim17ROCPRIM_400000_NS6detail17trampoline_kernelINS0_14default_configENS1_27scan_by_key_config_selectorIifEEZZNS1_16scan_by_key_implILNS1_25lookback_scan_determinismE0ELb1ES3_N6thrust23THRUST_200600_302600_NS6detail15normal_iteratorINS9_10device_ptrIiEEEENSB_INSC_IfEEEESG_fNS9_4plusIvEENS9_8equal_toIvEEfEE10hipError_tPvRmT2_T3_T4_T5_mT6_T7_P12ihipStream_tbENKUlT_T0_E_clISt17integral_constantIbLb1EES11_EEDaSW_SX_EUlSW_E_NS1_11comp_targetILNS1_3genE2ELNS1_11target_archE906ELNS1_3gpuE6ELNS1_3repE0EEENS1_30default_config_static_selectorELNS0_4arch9wavefront6targetE0EEEvT1_.private_seg_size, 0
	.set _ZN7rocprim17ROCPRIM_400000_NS6detail17trampoline_kernelINS0_14default_configENS1_27scan_by_key_config_selectorIifEEZZNS1_16scan_by_key_implILNS1_25lookback_scan_determinismE0ELb1ES3_N6thrust23THRUST_200600_302600_NS6detail15normal_iteratorINS9_10device_ptrIiEEEENSB_INSC_IfEEEESG_fNS9_4plusIvEENS9_8equal_toIvEEfEE10hipError_tPvRmT2_T3_T4_T5_mT6_T7_P12ihipStream_tbENKUlT_T0_E_clISt17integral_constantIbLb1EES11_EEDaSW_SX_EUlSW_E_NS1_11comp_targetILNS1_3genE2ELNS1_11target_archE906ELNS1_3gpuE6ELNS1_3repE0EEENS1_30default_config_static_selectorELNS0_4arch9wavefront6targetE0EEEvT1_.uses_vcc, 0
	.set _ZN7rocprim17ROCPRIM_400000_NS6detail17trampoline_kernelINS0_14default_configENS1_27scan_by_key_config_selectorIifEEZZNS1_16scan_by_key_implILNS1_25lookback_scan_determinismE0ELb1ES3_N6thrust23THRUST_200600_302600_NS6detail15normal_iteratorINS9_10device_ptrIiEEEENSB_INSC_IfEEEESG_fNS9_4plusIvEENS9_8equal_toIvEEfEE10hipError_tPvRmT2_T3_T4_T5_mT6_T7_P12ihipStream_tbENKUlT_T0_E_clISt17integral_constantIbLb1EES11_EEDaSW_SX_EUlSW_E_NS1_11comp_targetILNS1_3genE2ELNS1_11target_archE906ELNS1_3gpuE6ELNS1_3repE0EEENS1_30default_config_static_selectorELNS0_4arch9wavefront6targetE0EEEvT1_.uses_flat_scratch, 0
	.set _ZN7rocprim17ROCPRIM_400000_NS6detail17trampoline_kernelINS0_14default_configENS1_27scan_by_key_config_selectorIifEEZZNS1_16scan_by_key_implILNS1_25lookback_scan_determinismE0ELb1ES3_N6thrust23THRUST_200600_302600_NS6detail15normal_iteratorINS9_10device_ptrIiEEEENSB_INSC_IfEEEESG_fNS9_4plusIvEENS9_8equal_toIvEEfEE10hipError_tPvRmT2_T3_T4_T5_mT6_T7_P12ihipStream_tbENKUlT_T0_E_clISt17integral_constantIbLb1EES11_EEDaSW_SX_EUlSW_E_NS1_11comp_targetILNS1_3genE2ELNS1_11target_archE906ELNS1_3gpuE6ELNS1_3repE0EEENS1_30default_config_static_selectorELNS0_4arch9wavefront6targetE0EEEvT1_.has_dyn_sized_stack, 0
	.set _ZN7rocprim17ROCPRIM_400000_NS6detail17trampoline_kernelINS0_14default_configENS1_27scan_by_key_config_selectorIifEEZZNS1_16scan_by_key_implILNS1_25lookback_scan_determinismE0ELb1ES3_N6thrust23THRUST_200600_302600_NS6detail15normal_iteratorINS9_10device_ptrIiEEEENSB_INSC_IfEEEESG_fNS9_4plusIvEENS9_8equal_toIvEEfEE10hipError_tPvRmT2_T3_T4_T5_mT6_T7_P12ihipStream_tbENKUlT_T0_E_clISt17integral_constantIbLb1EES11_EEDaSW_SX_EUlSW_E_NS1_11comp_targetILNS1_3genE2ELNS1_11target_archE906ELNS1_3gpuE6ELNS1_3repE0EEENS1_30default_config_static_selectorELNS0_4arch9wavefront6targetE0EEEvT1_.has_recursion, 0
	.set _ZN7rocprim17ROCPRIM_400000_NS6detail17trampoline_kernelINS0_14default_configENS1_27scan_by_key_config_selectorIifEEZZNS1_16scan_by_key_implILNS1_25lookback_scan_determinismE0ELb1ES3_N6thrust23THRUST_200600_302600_NS6detail15normal_iteratorINS9_10device_ptrIiEEEENSB_INSC_IfEEEESG_fNS9_4plusIvEENS9_8equal_toIvEEfEE10hipError_tPvRmT2_T3_T4_T5_mT6_T7_P12ihipStream_tbENKUlT_T0_E_clISt17integral_constantIbLb1EES11_EEDaSW_SX_EUlSW_E_NS1_11comp_targetILNS1_3genE2ELNS1_11target_archE906ELNS1_3gpuE6ELNS1_3repE0EEENS1_30default_config_static_selectorELNS0_4arch9wavefront6targetE0EEEvT1_.has_indirect_call, 0
	.section	.AMDGPU.csdata,"",@progbits
; Kernel info:
; codeLenInByte = 0
; TotalNumSgprs: 0
; NumVgprs: 0
; ScratchSize: 0
; MemoryBound: 0
; FloatMode: 240
; IeeeMode: 1
; LDSByteSize: 0 bytes/workgroup (compile time only)
; SGPRBlocks: 0
; VGPRBlocks: 0
; NumSGPRsForWavesPerEU: 1
; NumVGPRsForWavesPerEU: 1
; Occupancy: 16
; WaveLimiterHint : 0
; COMPUTE_PGM_RSRC2:SCRATCH_EN: 0
; COMPUTE_PGM_RSRC2:USER_SGPR: 6
; COMPUTE_PGM_RSRC2:TRAP_HANDLER: 0
; COMPUTE_PGM_RSRC2:TGID_X_EN: 1
; COMPUTE_PGM_RSRC2:TGID_Y_EN: 0
; COMPUTE_PGM_RSRC2:TGID_Z_EN: 0
; COMPUTE_PGM_RSRC2:TIDIG_COMP_CNT: 0
	.section	.text._ZN7rocprim17ROCPRIM_400000_NS6detail17trampoline_kernelINS0_14default_configENS1_27scan_by_key_config_selectorIifEEZZNS1_16scan_by_key_implILNS1_25lookback_scan_determinismE0ELb1ES3_N6thrust23THRUST_200600_302600_NS6detail15normal_iteratorINS9_10device_ptrIiEEEENSB_INSC_IfEEEESG_fNS9_4plusIvEENS9_8equal_toIvEEfEE10hipError_tPvRmT2_T3_T4_T5_mT6_T7_P12ihipStream_tbENKUlT_T0_E_clISt17integral_constantIbLb1EES11_EEDaSW_SX_EUlSW_E_NS1_11comp_targetILNS1_3genE10ELNS1_11target_archE1200ELNS1_3gpuE4ELNS1_3repE0EEENS1_30default_config_static_selectorELNS0_4arch9wavefront6targetE0EEEvT1_,"axG",@progbits,_ZN7rocprim17ROCPRIM_400000_NS6detail17trampoline_kernelINS0_14default_configENS1_27scan_by_key_config_selectorIifEEZZNS1_16scan_by_key_implILNS1_25lookback_scan_determinismE0ELb1ES3_N6thrust23THRUST_200600_302600_NS6detail15normal_iteratorINS9_10device_ptrIiEEEENSB_INSC_IfEEEESG_fNS9_4plusIvEENS9_8equal_toIvEEfEE10hipError_tPvRmT2_T3_T4_T5_mT6_T7_P12ihipStream_tbENKUlT_T0_E_clISt17integral_constantIbLb1EES11_EEDaSW_SX_EUlSW_E_NS1_11comp_targetILNS1_3genE10ELNS1_11target_archE1200ELNS1_3gpuE4ELNS1_3repE0EEENS1_30default_config_static_selectorELNS0_4arch9wavefront6targetE0EEEvT1_,comdat
	.protected	_ZN7rocprim17ROCPRIM_400000_NS6detail17trampoline_kernelINS0_14default_configENS1_27scan_by_key_config_selectorIifEEZZNS1_16scan_by_key_implILNS1_25lookback_scan_determinismE0ELb1ES3_N6thrust23THRUST_200600_302600_NS6detail15normal_iteratorINS9_10device_ptrIiEEEENSB_INSC_IfEEEESG_fNS9_4plusIvEENS9_8equal_toIvEEfEE10hipError_tPvRmT2_T3_T4_T5_mT6_T7_P12ihipStream_tbENKUlT_T0_E_clISt17integral_constantIbLb1EES11_EEDaSW_SX_EUlSW_E_NS1_11comp_targetILNS1_3genE10ELNS1_11target_archE1200ELNS1_3gpuE4ELNS1_3repE0EEENS1_30default_config_static_selectorELNS0_4arch9wavefront6targetE0EEEvT1_ ; -- Begin function _ZN7rocprim17ROCPRIM_400000_NS6detail17trampoline_kernelINS0_14default_configENS1_27scan_by_key_config_selectorIifEEZZNS1_16scan_by_key_implILNS1_25lookback_scan_determinismE0ELb1ES3_N6thrust23THRUST_200600_302600_NS6detail15normal_iteratorINS9_10device_ptrIiEEEENSB_INSC_IfEEEESG_fNS9_4plusIvEENS9_8equal_toIvEEfEE10hipError_tPvRmT2_T3_T4_T5_mT6_T7_P12ihipStream_tbENKUlT_T0_E_clISt17integral_constantIbLb1EES11_EEDaSW_SX_EUlSW_E_NS1_11comp_targetILNS1_3genE10ELNS1_11target_archE1200ELNS1_3gpuE4ELNS1_3repE0EEENS1_30default_config_static_selectorELNS0_4arch9wavefront6targetE0EEEvT1_
	.globl	_ZN7rocprim17ROCPRIM_400000_NS6detail17trampoline_kernelINS0_14default_configENS1_27scan_by_key_config_selectorIifEEZZNS1_16scan_by_key_implILNS1_25lookback_scan_determinismE0ELb1ES3_N6thrust23THRUST_200600_302600_NS6detail15normal_iteratorINS9_10device_ptrIiEEEENSB_INSC_IfEEEESG_fNS9_4plusIvEENS9_8equal_toIvEEfEE10hipError_tPvRmT2_T3_T4_T5_mT6_T7_P12ihipStream_tbENKUlT_T0_E_clISt17integral_constantIbLb1EES11_EEDaSW_SX_EUlSW_E_NS1_11comp_targetILNS1_3genE10ELNS1_11target_archE1200ELNS1_3gpuE4ELNS1_3repE0EEENS1_30default_config_static_selectorELNS0_4arch9wavefront6targetE0EEEvT1_
	.p2align	8
	.type	_ZN7rocprim17ROCPRIM_400000_NS6detail17trampoline_kernelINS0_14default_configENS1_27scan_by_key_config_selectorIifEEZZNS1_16scan_by_key_implILNS1_25lookback_scan_determinismE0ELb1ES3_N6thrust23THRUST_200600_302600_NS6detail15normal_iteratorINS9_10device_ptrIiEEEENSB_INSC_IfEEEESG_fNS9_4plusIvEENS9_8equal_toIvEEfEE10hipError_tPvRmT2_T3_T4_T5_mT6_T7_P12ihipStream_tbENKUlT_T0_E_clISt17integral_constantIbLb1EES11_EEDaSW_SX_EUlSW_E_NS1_11comp_targetILNS1_3genE10ELNS1_11target_archE1200ELNS1_3gpuE4ELNS1_3repE0EEENS1_30default_config_static_selectorELNS0_4arch9wavefront6targetE0EEEvT1_,@function
_ZN7rocprim17ROCPRIM_400000_NS6detail17trampoline_kernelINS0_14default_configENS1_27scan_by_key_config_selectorIifEEZZNS1_16scan_by_key_implILNS1_25lookback_scan_determinismE0ELb1ES3_N6thrust23THRUST_200600_302600_NS6detail15normal_iteratorINS9_10device_ptrIiEEEENSB_INSC_IfEEEESG_fNS9_4plusIvEENS9_8equal_toIvEEfEE10hipError_tPvRmT2_T3_T4_T5_mT6_T7_P12ihipStream_tbENKUlT_T0_E_clISt17integral_constantIbLb1EES11_EEDaSW_SX_EUlSW_E_NS1_11comp_targetILNS1_3genE10ELNS1_11target_archE1200ELNS1_3gpuE4ELNS1_3repE0EEENS1_30default_config_static_selectorELNS0_4arch9wavefront6targetE0EEEvT1_: ; @_ZN7rocprim17ROCPRIM_400000_NS6detail17trampoline_kernelINS0_14default_configENS1_27scan_by_key_config_selectorIifEEZZNS1_16scan_by_key_implILNS1_25lookback_scan_determinismE0ELb1ES3_N6thrust23THRUST_200600_302600_NS6detail15normal_iteratorINS9_10device_ptrIiEEEENSB_INSC_IfEEEESG_fNS9_4plusIvEENS9_8equal_toIvEEfEE10hipError_tPvRmT2_T3_T4_T5_mT6_T7_P12ihipStream_tbENKUlT_T0_E_clISt17integral_constantIbLb1EES11_EEDaSW_SX_EUlSW_E_NS1_11comp_targetILNS1_3genE10ELNS1_11target_archE1200ELNS1_3gpuE4ELNS1_3repE0EEENS1_30default_config_static_selectorELNS0_4arch9wavefront6targetE0EEEvT1_
; %bb.0:
	.section	.rodata,"a",@progbits
	.p2align	6, 0x0
	.amdhsa_kernel _ZN7rocprim17ROCPRIM_400000_NS6detail17trampoline_kernelINS0_14default_configENS1_27scan_by_key_config_selectorIifEEZZNS1_16scan_by_key_implILNS1_25lookback_scan_determinismE0ELb1ES3_N6thrust23THRUST_200600_302600_NS6detail15normal_iteratorINS9_10device_ptrIiEEEENSB_INSC_IfEEEESG_fNS9_4plusIvEENS9_8equal_toIvEEfEE10hipError_tPvRmT2_T3_T4_T5_mT6_T7_P12ihipStream_tbENKUlT_T0_E_clISt17integral_constantIbLb1EES11_EEDaSW_SX_EUlSW_E_NS1_11comp_targetILNS1_3genE10ELNS1_11target_archE1200ELNS1_3gpuE4ELNS1_3repE0EEENS1_30default_config_static_selectorELNS0_4arch9wavefront6targetE0EEEvT1_
		.amdhsa_group_segment_fixed_size 0
		.amdhsa_private_segment_fixed_size 0
		.amdhsa_kernarg_size 112
		.amdhsa_user_sgpr_count 6
		.amdhsa_user_sgpr_private_segment_buffer 1
		.amdhsa_user_sgpr_dispatch_ptr 0
		.amdhsa_user_sgpr_queue_ptr 0
		.amdhsa_user_sgpr_kernarg_segment_ptr 1
		.amdhsa_user_sgpr_dispatch_id 0
		.amdhsa_user_sgpr_flat_scratch_init 0
		.amdhsa_user_sgpr_private_segment_size 0
		.amdhsa_wavefront_size32 1
		.amdhsa_uses_dynamic_stack 0
		.amdhsa_system_sgpr_private_segment_wavefront_offset 0
		.amdhsa_system_sgpr_workgroup_id_x 1
		.amdhsa_system_sgpr_workgroup_id_y 0
		.amdhsa_system_sgpr_workgroup_id_z 0
		.amdhsa_system_sgpr_workgroup_info 0
		.amdhsa_system_vgpr_workitem_id 0
		.amdhsa_next_free_vgpr 1
		.amdhsa_next_free_sgpr 1
		.amdhsa_reserve_vcc 0
		.amdhsa_reserve_flat_scratch 0
		.amdhsa_float_round_mode_32 0
		.amdhsa_float_round_mode_16_64 0
		.amdhsa_float_denorm_mode_32 3
		.amdhsa_float_denorm_mode_16_64 3
		.amdhsa_dx10_clamp 1
		.amdhsa_ieee_mode 1
		.amdhsa_fp16_overflow 0
		.amdhsa_workgroup_processor_mode 1
		.amdhsa_memory_ordered 1
		.amdhsa_forward_progress 1
		.amdhsa_shared_vgpr_count 0
		.amdhsa_exception_fp_ieee_invalid_op 0
		.amdhsa_exception_fp_denorm_src 0
		.amdhsa_exception_fp_ieee_div_zero 0
		.amdhsa_exception_fp_ieee_overflow 0
		.amdhsa_exception_fp_ieee_underflow 0
		.amdhsa_exception_fp_ieee_inexact 0
		.amdhsa_exception_int_div_zero 0
	.end_amdhsa_kernel
	.section	.text._ZN7rocprim17ROCPRIM_400000_NS6detail17trampoline_kernelINS0_14default_configENS1_27scan_by_key_config_selectorIifEEZZNS1_16scan_by_key_implILNS1_25lookback_scan_determinismE0ELb1ES3_N6thrust23THRUST_200600_302600_NS6detail15normal_iteratorINS9_10device_ptrIiEEEENSB_INSC_IfEEEESG_fNS9_4plusIvEENS9_8equal_toIvEEfEE10hipError_tPvRmT2_T3_T4_T5_mT6_T7_P12ihipStream_tbENKUlT_T0_E_clISt17integral_constantIbLb1EES11_EEDaSW_SX_EUlSW_E_NS1_11comp_targetILNS1_3genE10ELNS1_11target_archE1200ELNS1_3gpuE4ELNS1_3repE0EEENS1_30default_config_static_selectorELNS0_4arch9wavefront6targetE0EEEvT1_,"axG",@progbits,_ZN7rocprim17ROCPRIM_400000_NS6detail17trampoline_kernelINS0_14default_configENS1_27scan_by_key_config_selectorIifEEZZNS1_16scan_by_key_implILNS1_25lookback_scan_determinismE0ELb1ES3_N6thrust23THRUST_200600_302600_NS6detail15normal_iteratorINS9_10device_ptrIiEEEENSB_INSC_IfEEEESG_fNS9_4plusIvEENS9_8equal_toIvEEfEE10hipError_tPvRmT2_T3_T4_T5_mT6_T7_P12ihipStream_tbENKUlT_T0_E_clISt17integral_constantIbLb1EES11_EEDaSW_SX_EUlSW_E_NS1_11comp_targetILNS1_3genE10ELNS1_11target_archE1200ELNS1_3gpuE4ELNS1_3repE0EEENS1_30default_config_static_selectorELNS0_4arch9wavefront6targetE0EEEvT1_,comdat
.Lfunc_end1442:
	.size	_ZN7rocprim17ROCPRIM_400000_NS6detail17trampoline_kernelINS0_14default_configENS1_27scan_by_key_config_selectorIifEEZZNS1_16scan_by_key_implILNS1_25lookback_scan_determinismE0ELb1ES3_N6thrust23THRUST_200600_302600_NS6detail15normal_iteratorINS9_10device_ptrIiEEEENSB_INSC_IfEEEESG_fNS9_4plusIvEENS9_8equal_toIvEEfEE10hipError_tPvRmT2_T3_T4_T5_mT6_T7_P12ihipStream_tbENKUlT_T0_E_clISt17integral_constantIbLb1EES11_EEDaSW_SX_EUlSW_E_NS1_11comp_targetILNS1_3genE10ELNS1_11target_archE1200ELNS1_3gpuE4ELNS1_3repE0EEENS1_30default_config_static_selectorELNS0_4arch9wavefront6targetE0EEEvT1_, .Lfunc_end1442-_ZN7rocprim17ROCPRIM_400000_NS6detail17trampoline_kernelINS0_14default_configENS1_27scan_by_key_config_selectorIifEEZZNS1_16scan_by_key_implILNS1_25lookback_scan_determinismE0ELb1ES3_N6thrust23THRUST_200600_302600_NS6detail15normal_iteratorINS9_10device_ptrIiEEEENSB_INSC_IfEEEESG_fNS9_4plusIvEENS9_8equal_toIvEEfEE10hipError_tPvRmT2_T3_T4_T5_mT6_T7_P12ihipStream_tbENKUlT_T0_E_clISt17integral_constantIbLb1EES11_EEDaSW_SX_EUlSW_E_NS1_11comp_targetILNS1_3genE10ELNS1_11target_archE1200ELNS1_3gpuE4ELNS1_3repE0EEENS1_30default_config_static_selectorELNS0_4arch9wavefront6targetE0EEEvT1_
                                        ; -- End function
	.set _ZN7rocprim17ROCPRIM_400000_NS6detail17trampoline_kernelINS0_14default_configENS1_27scan_by_key_config_selectorIifEEZZNS1_16scan_by_key_implILNS1_25lookback_scan_determinismE0ELb1ES3_N6thrust23THRUST_200600_302600_NS6detail15normal_iteratorINS9_10device_ptrIiEEEENSB_INSC_IfEEEESG_fNS9_4plusIvEENS9_8equal_toIvEEfEE10hipError_tPvRmT2_T3_T4_T5_mT6_T7_P12ihipStream_tbENKUlT_T0_E_clISt17integral_constantIbLb1EES11_EEDaSW_SX_EUlSW_E_NS1_11comp_targetILNS1_3genE10ELNS1_11target_archE1200ELNS1_3gpuE4ELNS1_3repE0EEENS1_30default_config_static_selectorELNS0_4arch9wavefront6targetE0EEEvT1_.num_vgpr, 0
	.set _ZN7rocprim17ROCPRIM_400000_NS6detail17trampoline_kernelINS0_14default_configENS1_27scan_by_key_config_selectorIifEEZZNS1_16scan_by_key_implILNS1_25lookback_scan_determinismE0ELb1ES3_N6thrust23THRUST_200600_302600_NS6detail15normal_iteratorINS9_10device_ptrIiEEEENSB_INSC_IfEEEESG_fNS9_4plusIvEENS9_8equal_toIvEEfEE10hipError_tPvRmT2_T3_T4_T5_mT6_T7_P12ihipStream_tbENKUlT_T0_E_clISt17integral_constantIbLb1EES11_EEDaSW_SX_EUlSW_E_NS1_11comp_targetILNS1_3genE10ELNS1_11target_archE1200ELNS1_3gpuE4ELNS1_3repE0EEENS1_30default_config_static_selectorELNS0_4arch9wavefront6targetE0EEEvT1_.num_agpr, 0
	.set _ZN7rocprim17ROCPRIM_400000_NS6detail17trampoline_kernelINS0_14default_configENS1_27scan_by_key_config_selectorIifEEZZNS1_16scan_by_key_implILNS1_25lookback_scan_determinismE0ELb1ES3_N6thrust23THRUST_200600_302600_NS6detail15normal_iteratorINS9_10device_ptrIiEEEENSB_INSC_IfEEEESG_fNS9_4plusIvEENS9_8equal_toIvEEfEE10hipError_tPvRmT2_T3_T4_T5_mT6_T7_P12ihipStream_tbENKUlT_T0_E_clISt17integral_constantIbLb1EES11_EEDaSW_SX_EUlSW_E_NS1_11comp_targetILNS1_3genE10ELNS1_11target_archE1200ELNS1_3gpuE4ELNS1_3repE0EEENS1_30default_config_static_selectorELNS0_4arch9wavefront6targetE0EEEvT1_.numbered_sgpr, 0
	.set _ZN7rocprim17ROCPRIM_400000_NS6detail17trampoline_kernelINS0_14default_configENS1_27scan_by_key_config_selectorIifEEZZNS1_16scan_by_key_implILNS1_25lookback_scan_determinismE0ELb1ES3_N6thrust23THRUST_200600_302600_NS6detail15normal_iteratorINS9_10device_ptrIiEEEENSB_INSC_IfEEEESG_fNS9_4plusIvEENS9_8equal_toIvEEfEE10hipError_tPvRmT2_T3_T4_T5_mT6_T7_P12ihipStream_tbENKUlT_T0_E_clISt17integral_constantIbLb1EES11_EEDaSW_SX_EUlSW_E_NS1_11comp_targetILNS1_3genE10ELNS1_11target_archE1200ELNS1_3gpuE4ELNS1_3repE0EEENS1_30default_config_static_selectorELNS0_4arch9wavefront6targetE0EEEvT1_.num_named_barrier, 0
	.set _ZN7rocprim17ROCPRIM_400000_NS6detail17trampoline_kernelINS0_14default_configENS1_27scan_by_key_config_selectorIifEEZZNS1_16scan_by_key_implILNS1_25lookback_scan_determinismE0ELb1ES3_N6thrust23THRUST_200600_302600_NS6detail15normal_iteratorINS9_10device_ptrIiEEEENSB_INSC_IfEEEESG_fNS9_4plusIvEENS9_8equal_toIvEEfEE10hipError_tPvRmT2_T3_T4_T5_mT6_T7_P12ihipStream_tbENKUlT_T0_E_clISt17integral_constantIbLb1EES11_EEDaSW_SX_EUlSW_E_NS1_11comp_targetILNS1_3genE10ELNS1_11target_archE1200ELNS1_3gpuE4ELNS1_3repE0EEENS1_30default_config_static_selectorELNS0_4arch9wavefront6targetE0EEEvT1_.private_seg_size, 0
	.set _ZN7rocprim17ROCPRIM_400000_NS6detail17trampoline_kernelINS0_14default_configENS1_27scan_by_key_config_selectorIifEEZZNS1_16scan_by_key_implILNS1_25lookback_scan_determinismE0ELb1ES3_N6thrust23THRUST_200600_302600_NS6detail15normal_iteratorINS9_10device_ptrIiEEEENSB_INSC_IfEEEESG_fNS9_4plusIvEENS9_8equal_toIvEEfEE10hipError_tPvRmT2_T3_T4_T5_mT6_T7_P12ihipStream_tbENKUlT_T0_E_clISt17integral_constantIbLb1EES11_EEDaSW_SX_EUlSW_E_NS1_11comp_targetILNS1_3genE10ELNS1_11target_archE1200ELNS1_3gpuE4ELNS1_3repE0EEENS1_30default_config_static_selectorELNS0_4arch9wavefront6targetE0EEEvT1_.uses_vcc, 0
	.set _ZN7rocprim17ROCPRIM_400000_NS6detail17trampoline_kernelINS0_14default_configENS1_27scan_by_key_config_selectorIifEEZZNS1_16scan_by_key_implILNS1_25lookback_scan_determinismE0ELb1ES3_N6thrust23THRUST_200600_302600_NS6detail15normal_iteratorINS9_10device_ptrIiEEEENSB_INSC_IfEEEESG_fNS9_4plusIvEENS9_8equal_toIvEEfEE10hipError_tPvRmT2_T3_T4_T5_mT6_T7_P12ihipStream_tbENKUlT_T0_E_clISt17integral_constantIbLb1EES11_EEDaSW_SX_EUlSW_E_NS1_11comp_targetILNS1_3genE10ELNS1_11target_archE1200ELNS1_3gpuE4ELNS1_3repE0EEENS1_30default_config_static_selectorELNS0_4arch9wavefront6targetE0EEEvT1_.uses_flat_scratch, 0
	.set _ZN7rocprim17ROCPRIM_400000_NS6detail17trampoline_kernelINS0_14default_configENS1_27scan_by_key_config_selectorIifEEZZNS1_16scan_by_key_implILNS1_25lookback_scan_determinismE0ELb1ES3_N6thrust23THRUST_200600_302600_NS6detail15normal_iteratorINS9_10device_ptrIiEEEENSB_INSC_IfEEEESG_fNS9_4plusIvEENS9_8equal_toIvEEfEE10hipError_tPvRmT2_T3_T4_T5_mT6_T7_P12ihipStream_tbENKUlT_T0_E_clISt17integral_constantIbLb1EES11_EEDaSW_SX_EUlSW_E_NS1_11comp_targetILNS1_3genE10ELNS1_11target_archE1200ELNS1_3gpuE4ELNS1_3repE0EEENS1_30default_config_static_selectorELNS0_4arch9wavefront6targetE0EEEvT1_.has_dyn_sized_stack, 0
	.set _ZN7rocprim17ROCPRIM_400000_NS6detail17trampoline_kernelINS0_14default_configENS1_27scan_by_key_config_selectorIifEEZZNS1_16scan_by_key_implILNS1_25lookback_scan_determinismE0ELb1ES3_N6thrust23THRUST_200600_302600_NS6detail15normal_iteratorINS9_10device_ptrIiEEEENSB_INSC_IfEEEESG_fNS9_4plusIvEENS9_8equal_toIvEEfEE10hipError_tPvRmT2_T3_T4_T5_mT6_T7_P12ihipStream_tbENKUlT_T0_E_clISt17integral_constantIbLb1EES11_EEDaSW_SX_EUlSW_E_NS1_11comp_targetILNS1_3genE10ELNS1_11target_archE1200ELNS1_3gpuE4ELNS1_3repE0EEENS1_30default_config_static_selectorELNS0_4arch9wavefront6targetE0EEEvT1_.has_recursion, 0
	.set _ZN7rocprim17ROCPRIM_400000_NS6detail17trampoline_kernelINS0_14default_configENS1_27scan_by_key_config_selectorIifEEZZNS1_16scan_by_key_implILNS1_25lookback_scan_determinismE0ELb1ES3_N6thrust23THRUST_200600_302600_NS6detail15normal_iteratorINS9_10device_ptrIiEEEENSB_INSC_IfEEEESG_fNS9_4plusIvEENS9_8equal_toIvEEfEE10hipError_tPvRmT2_T3_T4_T5_mT6_T7_P12ihipStream_tbENKUlT_T0_E_clISt17integral_constantIbLb1EES11_EEDaSW_SX_EUlSW_E_NS1_11comp_targetILNS1_3genE10ELNS1_11target_archE1200ELNS1_3gpuE4ELNS1_3repE0EEENS1_30default_config_static_selectorELNS0_4arch9wavefront6targetE0EEEvT1_.has_indirect_call, 0
	.section	.AMDGPU.csdata,"",@progbits
; Kernel info:
; codeLenInByte = 0
; TotalNumSgprs: 0
; NumVgprs: 0
; ScratchSize: 0
; MemoryBound: 0
; FloatMode: 240
; IeeeMode: 1
; LDSByteSize: 0 bytes/workgroup (compile time only)
; SGPRBlocks: 0
; VGPRBlocks: 0
; NumSGPRsForWavesPerEU: 1
; NumVGPRsForWavesPerEU: 1
; Occupancy: 16
; WaveLimiterHint : 0
; COMPUTE_PGM_RSRC2:SCRATCH_EN: 0
; COMPUTE_PGM_RSRC2:USER_SGPR: 6
; COMPUTE_PGM_RSRC2:TRAP_HANDLER: 0
; COMPUTE_PGM_RSRC2:TGID_X_EN: 1
; COMPUTE_PGM_RSRC2:TGID_Y_EN: 0
; COMPUTE_PGM_RSRC2:TGID_Z_EN: 0
; COMPUTE_PGM_RSRC2:TIDIG_COMP_CNT: 0
	.section	.text._ZN7rocprim17ROCPRIM_400000_NS6detail17trampoline_kernelINS0_14default_configENS1_27scan_by_key_config_selectorIifEEZZNS1_16scan_by_key_implILNS1_25lookback_scan_determinismE0ELb1ES3_N6thrust23THRUST_200600_302600_NS6detail15normal_iteratorINS9_10device_ptrIiEEEENSB_INSC_IfEEEESG_fNS9_4plusIvEENS9_8equal_toIvEEfEE10hipError_tPvRmT2_T3_T4_T5_mT6_T7_P12ihipStream_tbENKUlT_T0_E_clISt17integral_constantIbLb1EES11_EEDaSW_SX_EUlSW_E_NS1_11comp_targetILNS1_3genE9ELNS1_11target_archE1100ELNS1_3gpuE3ELNS1_3repE0EEENS1_30default_config_static_selectorELNS0_4arch9wavefront6targetE0EEEvT1_,"axG",@progbits,_ZN7rocprim17ROCPRIM_400000_NS6detail17trampoline_kernelINS0_14default_configENS1_27scan_by_key_config_selectorIifEEZZNS1_16scan_by_key_implILNS1_25lookback_scan_determinismE0ELb1ES3_N6thrust23THRUST_200600_302600_NS6detail15normal_iteratorINS9_10device_ptrIiEEEENSB_INSC_IfEEEESG_fNS9_4plusIvEENS9_8equal_toIvEEfEE10hipError_tPvRmT2_T3_T4_T5_mT6_T7_P12ihipStream_tbENKUlT_T0_E_clISt17integral_constantIbLb1EES11_EEDaSW_SX_EUlSW_E_NS1_11comp_targetILNS1_3genE9ELNS1_11target_archE1100ELNS1_3gpuE3ELNS1_3repE0EEENS1_30default_config_static_selectorELNS0_4arch9wavefront6targetE0EEEvT1_,comdat
	.protected	_ZN7rocprim17ROCPRIM_400000_NS6detail17trampoline_kernelINS0_14default_configENS1_27scan_by_key_config_selectorIifEEZZNS1_16scan_by_key_implILNS1_25lookback_scan_determinismE0ELb1ES3_N6thrust23THRUST_200600_302600_NS6detail15normal_iteratorINS9_10device_ptrIiEEEENSB_INSC_IfEEEESG_fNS9_4plusIvEENS9_8equal_toIvEEfEE10hipError_tPvRmT2_T3_T4_T5_mT6_T7_P12ihipStream_tbENKUlT_T0_E_clISt17integral_constantIbLb1EES11_EEDaSW_SX_EUlSW_E_NS1_11comp_targetILNS1_3genE9ELNS1_11target_archE1100ELNS1_3gpuE3ELNS1_3repE0EEENS1_30default_config_static_selectorELNS0_4arch9wavefront6targetE0EEEvT1_ ; -- Begin function _ZN7rocprim17ROCPRIM_400000_NS6detail17trampoline_kernelINS0_14default_configENS1_27scan_by_key_config_selectorIifEEZZNS1_16scan_by_key_implILNS1_25lookback_scan_determinismE0ELb1ES3_N6thrust23THRUST_200600_302600_NS6detail15normal_iteratorINS9_10device_ptrIiEEEENSB_INSC_IfEEEESG_fNS9_4plusIvEENS9_8equal_toIvEEfEE10hipError_tPvRmT2_T3_T4_T5_mT6_T7_P12ihipStream_tbENKUlT_T0_E_clISt17integral_constantIbLb1EES11_EEDaSW_SX_EUlSW_E_NS1_11comp_targetILNS1_3genE9ELNS1_11target_archE1100ELNS1_3gpuE3ELNS1_3repE0EEENS1_30default_config_static_selectorELNS0_4arch9wavefront6targetE0EEEvT1_
	.globl	_ZN7rocprim17ROCPRIM_400000_NS6detail17trampoline_kernelINS0_14default_configENS1_27scan_by_key_config_selectorIifEEZZNS1_16scan_by_key_implILNS1_25lookback_scan_determinismE0ELb1ES3_N6thrust23THRUST_200600_302600_NS6detail15normal_iteratorINS9_10device_ptrIiEEEENSB_INSC_IfEEEESG_fNS9_4plusIvEENS9_8equal_toIvEEfEE10hipError_tPvRmT2_T3_T4_T5_mT6_T7_P12ihipStream_tbENKUlT_T0_E_clISt17integral_constantIbLb1EES11_EEDaSW_SX_EUlSW_E_NS1_11comp_targetILNS1_3genE9ELNS1_11target_archE1100ELNS1_3gpuE3ELNS1_3repE0EEENS1_30default_config_static_selectorELNS0_4arch9wavefront6targetE0EEEvT1_
	.p2align	8
	.type	_ZN7rocprim17ROCPRIM_400000_NS6detail17trampoline_kernelINS0_14default_configENS1_27scan_by_key_config_selectorIifEEZZNS1_16scan_by_key_implILNS1_25lookback_scan_determinismE0ELb1ES3_N6thrust23THRUST_200600_302600_NS6detail15normal_iteratorINS9_10device_ptrIiEEEENSB_INSC_IfEEEESG_fNS9_4plusIvEENS9_8equal_toIvEEfEE10hipError_tPvRmT2_T3_T4_T5_mT6_T7_P12ihipStream_tbENKUlT_T0_E_clISt17integral_constantIbLb1EES11_EEDaSW_SX_EUlSW_E_NS1_11comp_targetILNS1_3genE9ELNS1_11target_archE1100ELNS1_3gpuE3ELNS1_3repE0EEENS1_30default_config_static_selectorELNS0_4arch9wavefront6targetE0EEEvT1_,@function
_ZN7rocprim17ROCPRIM_400000_NS6detail17trampoline_kernelINS0_14default_configENS1_27scan_by_key_config_selectorIifEEZZNS1_16scan_by_key_implILNS1_25lookback_scan_determinismE0ELb1ES3_N6thrust23THRUST_200600_302600_NS6detail15normal_iteratorINS9_10device_ptrIiEEEENSB_INSC_IfEEEESG_fNS9_4plusIvEENS9_8equal_toIvEEfEE10hipError_tPvRmT2_T3_T4_T5_mT6_T7_P12ihipStream_tbENKUlT_T0_E_clISt17integral_constantIbLb1EES11_EEDaSW_SX_EUlSW_E_NS1_11comp_targetILNS1_3genE9ELNS1_11target_archE1100ELNS1_3gpuE3ELNS1_3repE0EEENS1_30default_config_static_selectorELNS0_4arch9wavefront6targetE0EEEvT1_: ; @_ZN7rocprim17ROCPRIM_400000_NS6detail17trampoline_kernelINS0_14default_configENS1_27scan_by_key_config_selectorIifEEZZNS1_16scan_by_key_implILNS1_25lookback_scan_determinismE0ELb1ES3_N6thrust23THRUST_200600_302600_NS6detail15normal_iteratorINS9_10device_ptrIiEEEENSB_INSC_IfEEEESG_fNS9_4plusIvEENS9_8equal_toIvEEfEE10hipError_tPvRmT2_T3_T4_T5_mT6_T7_P12ihipStream_tbENKUlT_T0_E_clISt17integral_constantIbLb1EES11_EEDaSW_SX_EUlSW_E_NS1_11comp_targetILNS1_3genE9ELNS1_11target_archE1100ELNS1_3gpuE3ELNS1_3repE0EEENS1_30default_config_static_selectorELNS0_4arch9wavefront6targetE0EEEvT1_
; %bb.0:
	.section	.rodata,"a",@progbits
	.p2align	6, 0x0
	.amdhsa_kernel _ZN7rocprim17ROCPRIM_400000_NS6detail17trampoline_kernelINS0_14default_configENS1_27scan_by_key_config_selectorIifEEZZNS1_16scan_by_key_implILNS1_25lookback_scan_determinismE0ELb1ES3_N6thrust23THRUST_200600_302600_NS6detail15normal_iteratorINS9_10device_ptrIiEEEENSB_INSC_IfEEEESG_fNS9_4plusIvEENS9_8equal_toIvEEfEE10hipError_tPvRmT2_T3_T4_T5_mT6_T7_P12ihipStream_tbENKUlT_T0_E_clISt17integral_constantIbLb1EES11_EEDaSW_SX_EUlSW_E_NS1_11comp_targetILNS1_3genE9ELNS1_11target_archE1100ELNS1_3gpuE3ELNS1_3repE0EEENS1_30default_config_static_selectorELNS0_4arch9wavefront6targetE0EEEvT1_
		.amdhsa_group_segment_fixed_size 0
		.amdhsa_private_segment_fixed_size 0
		.amdhsa_kernarg_size 112
		.amdhsa_user_sgpr_count 6
		.amdhsa_user_sgpr_private_segment_buffer 1
		.amdhsa_user_sgpr_dispatch_ptr 0
		.amdhsa_user_sgpr_queue_ptr 0
		.amdhsa_user_sgpr_kernarg_segment_ptr 1
		.amdhsa_user_sgpr_dispatch_id 0
		.amdhsa_user_sgpr_flat_scratch_init 0
		.amdhsa_user_sgpr_private_segment_size 0
		.amdhsa_wavefront_size32 1
		.amdhsa_uses_dynamic_stack 0
		.amdhsa_system_sgpr_private_segment_wavefront_offset 0
		.amdhsa_system_sgpr_workgroup_id_x 1
		.amdhsa_system_sgpr_workgroup_id_y 0
		.amdhsa_system_sgpr_workgroup_id_z 0
		.amdhsa_system_sgpr_workgroup_info 0
		.amdhsa_system_vgpr_workitem_id 0
		.amdhsa_next_free_vgpr 1
		.amdhsa_next_free_sgpr 1
		.amdhsa_reserve_vcc 0
		.amdhsa_reserve_flat_scratch 0
		.amdhsa_float_round_mode_32 0
		.amdhsa_float_round_mode_16_64 0
		.amdhsa_float_denorm_mode_32 3
		.amdhsa_float_denorm_mode_16_64 3
		.amdhsa_dx10_clamp 1
		.amdhsa_ieee_mode 1
		.amdhsa_fp16_overflow 0
		.amdhsa_workgroup_processor_mode 1
		.amdhsa_memory_ordered 1
		.amdhsa_forward_progress 1
		.amdhsa_shared_vgpr_count 0
		.amdhsa_exception_fp_ieee_invalid_op 0
		.amdhsa_exception_fp_denorm_src 0
		.amdhsa_exception_fp_ieee_div_zero 0
		.amdhsa_exception_fp_ieee_overflow 0
		.amdhsa_exception_fp_ieee_underflow 0
		.amdhsa_exception_fp_ieee_inexact 0
		.amdhsa_exception_int_div_zero 0
	.end_amdhsa_kernel
	.section	.text._ZN7rocprim17ROCPRIM_400000_NS6detail17trampoline_kernelINS0_14default_configENS1_27scan_by_key_config_selectorIifEEZZNS1_16scan_by_key_implILNS1_25lookback_scan_determinismE0ELb1ES3_N6thrust23THRUST_200600_302600_NS6detail15normal_iteratorINS9_10device_ptrIiEEEENSB_INSC_IfEEEESG_fNS9_4plusIvEENS9_8equal_toIvEEfEE10hipError_tPvRmT2_T3_T4_T5_mT6_T7_P12ihipStream_tbENKUlT_T0_E_clISt17integral_constantIbLb1EES11_EEDaSW_SX_EUlSW_E_NS1_11comp_targetILNS1_3genE9ELNS1_11target_archE1100ELNS1_3gpuE3ELNS1_3repE0EEENS1_30default_config_static_selectorELNS0_4arch9wavefront6targetE0EEEvT1_,"axG",@progbits,_ZN7rocprim17ROCPRIM_400000_NS6detail17trampoline_kernelINS0_14default_configENS1_27scan_by_key_config_selectorIifEEZZNS1_16scan_by_key_implILNS1_25lookback_scan_determinismE0ELb1ES3_N6thrust23THRUST_200600_302600_NS6detail15normal_iteratorINS9_10device_ptrIiEEEENSB_INSC_IfEEEESG_fNS9_4plusIvEENS9_8equal_toIvEEfEE10hipError_tPvRmT2_T3_T4_T5_mT6_T7_P12ihipStream_tbENKUlT_T0_E_clISt17integral_constantIbLb1EES11_EEDaSW_SX_EUlSW_E_NS1_11comp_targetILNS1_3genE9ELNS1_11target_archE1100ELNS1_3gpuE3ELNS1_3repE0EEENS1_30default_config_static_selectorELNS0_4arch9wavefront6targetE0EEEvT1_,comdat
.Lfunc_end1443:
	.size	_ZN7rocprim17ROCPRIM_400000_NS6detail17trampoline_kernelINS0_14default_configENS1_27scan_by_key_config_selectorIifEEZZNS1_16scan_by_key_implILNS1_25lookback_scan_determinismE0ELb1ES3_N6thrust23THRUST_200600_302600_NS6detail15normal_iteratorINS9_10device_ptrIiEEEENSB_INSC_IfEEEESG_fNS9_4plusIvEENS9_8equal_toIvEEfEE10hipError_tPvRmT2_T3_T4_T5_mT6_T7_P12ihipStream_tbENKUlT_T0_E_clISt17integral_constantIbLb1EES11_EEDaSW_SX_EUlSW_E_NS1_11comp_targetILNS1_3genE9ELNS1_11target_archE1100ELNS1_3gpuE3ELNS1_3repE0EEENS1_30default_config_static_selectorELNS0_4arch9wavefront6targetE0EEEvT1_, .Lfunc_end1443-_ZN7rocprim17ROCPRIM_400000_NS6detail17trampoline_kernelINS0_14default_configENS1_27scan_by_key_config_selectorIifEEZZNS1_16scan_by_key_implILNS1_25lookback_scan_determinismE0ELb1ES3_N6thrust23THRUST_200600_302600_NS6detail15normal_iteratorINS9_10device_ptrIiEEEENSB_INSC_IfEEEESG_fNS9_4plusIvEENS9_8equal_toIvEEfEE10hipError_tPvRmT2_T3_T4_T5_mT6_T7_P12ihipStream_tbENKUlT_T0_E_clISt17integral_constantIbLb1EES11_EEDaSW_SX_EUlSW_E_NS1_11comp_targetILNS1_3genE9ELNS1_11target_archE1100ELNS1_3gpuE3ELNS1_3repE0EEENS1_30default_config_static_selectorELNS0_4arch9wavefront6targetE0EEEvT1_
                                        ; -- End function
	.set _ZN7rocprim17ROCPRIM_400000_NS6detail17trampoline_kernelINS0_14default_configENS1_27scan_by_key_config_selectorIifEEZZNS1_16scan_by_key_implILNS1_25lookback_scan_determinismE0ELb1ES3_N6thrust23THRUST_200600_302600_NS6detail15normal_iteratorINS9_10device_ptrIiEEEENSB_INSC_IfEEEESG_fNS9_4plusIvEENS9_8equal_toIvEEfEE10hipError_tPvRmT2_T3_T4_T5_mT6_T7_P12ihipStream_tbENKUlT_T0_E_clISt17integral_constantIbLb1EES11_EEDaSW_SX_EUlSW_E_NS1_11comp_targetILNS1_3genE9ELNS1_11target_archE1100ELNS1_3gpuE3ELNS1_3repE0EEENS1_30default_config_static_selectorELNS0_4arch9wavefront6targetE0EEEvT1_.num_vgpr, 0
	.set _ZN7rocprim17ROCPRIM_400000_NS6detail17trampoline_kernelINS0_14default_configENS1_27scan_by_key_config_selectorIifEEZZNS1_16scan_by_key_implILNS1_25lookback_scan_determinismE0ELb1ES3_N6thrust23THRUST_200600_302600_NS6detail15normal_iteratorINS9_10device_ptrIiEEEENSB_INSC_IfEEEESG_fNS9_4plusIvEENS9_8equal_toIvEEfEE10hipError_tPvRmT2_T3_T4_T5_mT6_T7_P12ihipStream_tbENKUlT_T0_E_clISt17integral_constantIbLb1EES11_EEDaSW_SX_EUlSW_E_NS1_11comp_targetILNS1_3genE9ELNS1_11target_archE1100ELNS1_3gpuE3ELNS1_3repE0EEENS1_30default_config_static_selectorELNS0_4arch9wavefront6targetE0EEEvT1_.num_agpr, 0
	.set _ZN7rocprim17ROCPRIM_400000_NS6detail17trampoline_kernelINS0_14default_configENS1_27scan_by_key_config_selectorIifEEZZNS1_16scan_by_key_implILNS1_25lookback_scan_determinismE0ELb1ES3_N6thrust23THRUST_200600_302600_NS6detail15normal_iteratorINS9_10device_ptrIiEEEENSB_INSC_IfEEEESG_fNS9_4plusIvEENS9_8equal_toIvEEfEE10hipError_tPvRmT2_T3_T4_T5_mT6_T7_P12ihipStream_tbENKUlT_T0_E_clISt17integral_constantIbLb1EES11_EEDaSW_SX_EUlSW_E_NS1_11comp_targetILNS1_3genE9ELNS1_11target_archE1100ELNS1_3gpuE3ELNS1_3repE0EEENS1_30default_config_static_selectorELNS0_4arch9wavefront6targetE0EEEvT1_.numbered_sgpr, 0
	.set _ZN7rocprim17ROCPRIM_400000_NS6detail17trampoline_kernelINS0_14default_configENS1_27scan_by_key_config_selectorIifEEZZNS1_16scan_by_key_implILNS1_25lookback_scan_determinismE0ELb1ES3_N6thrust23THRUST_200600_302600_NS6detail15normal_iteratorINS9_10device_ptrIiEEEENSB_INSC_IfEEEESG_fNS9_4plusIvEENS9_8equal_toIvEEfEE10hipError_tPvRmT2_T3_T4_T5_mT6_T7_P12ihipStream_tbENKUlT_T0_E_clISt17integral_constantIbLb1EES11_EEDaSW_SX_EUlSW_E_NS1_11comp_targetILNS1_3genE9ELNS1_11target_archE1100ELNS1_3gpuE3ELNS1_3repE0EEENS1_30default_config_static_selectorELNS0_4arch9wavefront6targetE0EEEvT1_.num_named_barrier, 0
	.set _ZN7rocprim17ROCPRIM_400000_NS6detail17trampoline_kernelINS0_14default_configENS1_27scan_by_key_config_selectorIifEEZZNS1_16scan_by_key_implILNS1_25lookback_scan_determinismE0ELb1ES3_N6thrust23THRUST_200600_302600_NS6detail15normal_iteratorINS9_10device_ptrIiEEEENSB_INSC_IfEEEESG_fNS9_4plusIvEENS9_8equal_toIvEEfEE10hipError_tPvRmT2_T3_T4_T5_mT6_T7_P12ihipStream_tbENKUlT_T0_E_clISt17integral_constantIbLb1EES11_EEDaSW_SX_EUlSW_E_NS1_11comp_targetILNS1_3genE9ELNS1_11target_archE1100ELNS1_3gpuE3ELNS1_3repE0EEENS1_30default_config_static_selectorELNS0_4arch9wavefront6targetE0EEEvT1_.private_seg_size, 0
	.set _ZN7rocprim17ROCPRIM_400000_NS6detail17trampoline_kernelINS0_14default_configENS1_27scan_by_key_config_selectorIifEEZZNS1_16scan_by_key_implILNS1_25lookback_scan_determinismE0ELb1ES3_N6thrust23THRUST_200600_302600_NS6detail15normal_iteratorINS9_10device_ptrIiEEEENSB_INSC_IfEEEESG_fNS9_4plusIvEENS9_8equal_toIvEEfEE10hipError_tPvRmT2_T3_T4_T5_mT6_T7_P12ihipStream_tbENKUlT_T0_E_clISt17integral_constantIbLb1EES11_EEDaSW_SX_EUlSW_E_NS1_11comp_targetILNS1_3genE9ELNS1_11target_archE1100ELNS1_3gpuE3ELNS1_3repE0EEENS1_30default_config_static_selectorELNS0_4arch9wavefront6targetE0EEEvT1_.uses_vcc, 0
	.set _ZN7rocprim17ROCPRIM_400000_NS6detail17trampoline_kernelINS0_14default_configENS1_27scan_by_key_config_selectorIifEEZZNS1_16scan_by_key_implILNS1_25lookback_scan_determinismE0ELb1ES3_N6thrust23THRUST_200600_302600_NS6detail15normal_iteratorINS9_10device_ptrIiEEEENSB_INSC_IfEEEESG_fNS9_4plusIvEENS9_8equal_toIvEEfEE10hipError_tPvRmT2_T3_T4_T5_mT6_T7_P12ihipStream_tbENKUlT_T0_E_clISt17integral_constantIbLb1EES11_EEDaSW_SX_EUlSW_E_NS1_11comp_targetILNS1_3genE9ELNS1_11target_archE1100ELNS1_3gpuE3ELNS1_3repE0EEENS1_30default_config_static_selectorELNS0_4arch9wavefront6targetE0EEEvT1_.uses_flat_scratch, 0
	.set _ZN7rocprim17ROCPRIM_400000_NS6detail17trampoline_kernelINS0_14default_configENS1_27scan_by_key_config_selectorIifEEZZNS1_16scan_by_key_implILNS1_25lookback_scan_determinismE0ELb1ES3_N6thrust23THRUST_200600_302600_NS6detail15normal_iteratorINS9_10device_ptrIiEEEENSB_INSC_IfEEEESG_fNS9_4plusIvEENS9_8equal_toIvEEfEE10hipError_tPvRmT2_T3_T4_T5_mT6_T7_P12ihipStream_tbENKUlT_T0_E_clISt17integral_constantIbLb1EES11_EEDaSW_SX_EUlSW_E_NS1_11comp_targetILNS1_3genE9ELNS1_11target_archE1100ELNS1_3gpuE3ELNS1_3repE0EEENS1_30default_config_static_selectorELNS0_4arch9wavefront6targetE0EEEvT1_.has_dyn_sized_stack, 0
	.set _ZN7rocprim17ROCPRIM_400000_NS6detail17trampoline_kernelINS0_14default_configENS1_27scan_by_key_config_selectorIifEEZZNS1_16scan_by_key_implILNS1_25lookback_scan_determinismE0ELb1ES3_N6thrust23THRUST_200600_302600_NS6detail15normal_iteratorINS9_10device_ptrIiEEEENSB_INSC_IfEEEESG_fNS9_4plusIvEENS9_8equal_toIvEEfEE10hipError_tPvRmT2_T3_T4_T5_mT6_T7_P12ihipStream_tbENKUlT_T0_E_clISt17integral_constantIbLb1EES11_EEDaSW_SX_EUlSW_E_NS1_11comp_targetILNS1_3genE9ELNS1_11target_archE1100ELNS1_3gpuE3ELNS1_3repE0EEENS1_30default_config_static_selectorELNS0_4arch9wavefront6targetE0EEEvT1_.has_recursion, 0
	.set _ZN7rocprim17ROCPRIM_400000_NS6detail17trampoline_kernelINS0_14default_configENS1_27scan_by_key_config_selectorIifEEZZNS1_16scan_by_key_implILNS1_25lookback_scan_determinismE0ELb1ES3_N6thrust23THRUST_200600_302600_NS6detail15normal_iteratorINS9_10device_ptrIiEEEENSB_INSC_IfEEEESG_fNS9_4plusIvEENS9_8equal_toIvEEfEE10hipError_tPvRmT2_T3_T4_T5_mT6_T7_P12ihipStream_tbENKUlT_T0_E_clISt17integral_constantIbLb1EES11_EEDaSW_SX_EUlSW_E_NS1_11comp_targetILNS1_3genE9ELNS1_11target_archE1100ELNS1_3gpuE3ELNS1_3repE0EEENS1_30default_config_static_selectorELNS0_4arch9wavefront6targetE0EEEvT1_.has_indirect_call, 0
	.section	.AMDGPU.csdata,"",@progbits
; Kernel info:
; codeLenInByte = 0
; TotalNumSgprs: 0
; NumVgprs: 0
; ScratchSize: 0
; MemoryBound: 0
; FloatMode: 240
; IeeeMode: 1
; LDSByteSize: 0 bytes/workgroup (compile time only)
; SGPRBlocks: 0
; VGPRBlocks: 0
; NumSGPRsForWavesPerEU: 1
; NumVGPRsForWavesPerEU: 1
; Occupancy: 16
; WaveLimiterHint : 0
; COMPUTE_PGM_RSRC2:SCRATCH_EN: 0
; COMPUTE_PGM_RSRC2:USER_SGPR: 6
; COMPUTE_PGM_RSRC2:TRAP_HANDLER: 0
; COMPUTE_PGM_RSRC2:TGID_X_EN: 1
; COMPUTE_PGM_RSRC2:TGID_Y_EN: 0
; COMPUTE_PGM_RSRC2:TGID_Z_EN: 0
; COMPUTE_PGM_RSRC2:TIDIG_COMP_CNT: 0
	.section	.text._ZN7rocprim17ROCPRIM_400000_NS6detail17trampoline_kernelINS0_14default_configENS1_27scan_by_key_config_selectorIifEEZZNS1_16scan_by_key_implILNS1_25lookback_scan_determinismE0ELb1ES3_N6thrust23THRUST_200600_302600_NS6detail15normal_iteratorINS9_10device_ptrIiEEEENSB_INSC_IfEEEESG_fNS9_4plusIvEENS9_8equal_toIvEEfEE10hipError_tPvRmT2_T3_T4_T5_mT6_T7_P12ihipStream_tbENKUlT_T0_E_clISt17integral_constantIbLb1EES11_EEDaSW_SX_EUlSW_E_NS1_11comp_targetILNS1_3genE8ELNS1_11target_archE1030ELNS1_3gpuE2ELNS1_3repE0EEENS1_30default_config_static_selectorELNS0_4arch9wavefront6targetE0EEEvT1_,"axG",@progbits,_ZN7rocprim17ROCPRIM_400000_NS6detail17trampoline_kernelINS0_14default_configENS1_27scan_by_key_config_selectorIifEEZZNS1_16scan_by_key_implILNS1_25lookback_scan_determinismE0ELb1ES3_N6thrust23THRUST_200600_302600_NS6detail15normal_iteratorINS9_10device_ptrIiEEEENSB_INSC_IfEEEESG_fNS9_4plusIvEENS9_8equal_toIvEEfEE10hipError_tPvRmT2_T3_T4_T5_mT6_T7_P12ihipStream_tbENKUlT_T0_E_clISt17integral_constantIbLb1EES11_EEDaSW_SX_EUlSW_E_NS1_11comp_targetILNS1_3genE8ELNS1_11target_archE1030ELNS1_3gpuE2ELNS1_3repE0EEENS1_30default_config_static_selectorELNS0_4arch9wavefront6targetE0EEEvT1_,comdat
	.protected	_ZN7rocprim17ROCPRIM_400000_NS6detail17trampoline_kernelINS0_14default_configENS1_27scan_by_key_config_selectorIifEEZZNS1_16scan_by_key_implILNS1_25lookback_scan_determinismE0ELb1ES3_N6thrust23THRUST_200600_302600_NS6detail15normal_iteratorINS9_10device_ptrIiEEEENSB_INSC_IfEEEESG_fNS9_4plusIvEENS9_8equal_toIvEEfEE10hipError_tPvRmT2_T3_T4_T5_mT6_T7_P12ihipStream_tbENKUlT_T0_E_clISt17integral_constantIbLb1EES11_EEDaSW_SX_EUlSW_E_NS1_11comp_targetILNS1_3genE8ELNS1_11target_archE1030ELNS1_3gpuE2ELNS1_3repE0EEENS1_30default_config_static_selectorELNS0_4arch9wavefront6targetE0EEEvT1_ ; -- Begin function _ZN7rocprim17ROCPRIM_400000_NS6detail17trampoline_kernelINS0_14default_configENS1_27scan_by_key_config_selectorIifEEZZNS1_16scan_by_key_implILNS1_25lookback_scan_determinismE0ELb1ES3_N6thrust23THRUST_200600_302600_NS6detail15normal_iteratorINS9_10device_ptrIiEEEENSB_INSC_IfEEEESG_fNS9_4plusIvEENS9_8equal_toIvEEfEE10hipError_tPvRmT2_T3_T4_T5_mT6_T7_P12ihipStream_tbENKUlT_T0_E_clISt17integral_constantIbLb1EES11_EEDaSW_SX_EUlSW_E_NS1_11comp_targetILNS1_3genE8ELNS1_11target_archE1030ELNS1_3gpuE2ELNS1_3repE0EEENS1_30default_config_static_selectorELNS0_4arch9wavefront6targetE0EEEvT1_
	.globl	_ZN7rocprim17ROCPRIM_400000_NS6detail17trampoline_kernelINS0_14default_configENS1_27scan_by_key_config_selectorIifEEZZNS1_16scan_by_key_implILNS1_25lookback_scan_determinismE0ELb1ES3_N6thrust23THRUST_200600_302600_NS6detail15normal_iteratorINS9_10device_ptrIiEEEENSB_INSC_IfEEEESG_fNS9_4plusIvEENS9_8equal_toIvEEfEE10hipError_tPvRmT2_T3_T4_T5_mT6_T7_P12ihipStream_tbENKUlT_T0_E_clISt17integral_constantIbLb1EES11_EEDaSW_SX_EUlSW_E_NS1_11comp_targetILNS1_3genE8ELNS1_11target_archE1030ELNS1_3gpuE2ELNS1_3repE0EEENS1_30default_config_static_selectorELNS0_4arch9wavefront6targetE0EEEvT1_
	.p2align	8
	.type	_ZN7rocprim17ROCPRIM_400000_NS6detail17trampoline_kernelINS0_14default_configENS1_27scan_by_key_config_selectorIifEEZZNS1_16scan_by_key_implILNS1_25lookback_scan_determinismE0ELb1ES3_N6thrust23THRUST_200600_302600_NS6detail15normal_iteratorINS9_10device_ptrIiEEEENSB_INSC_IfEEEESG_fNS9_4plusIvEENS9_8equal_toIvEEfEE10hipError_tPvRmT2_T3_T4_T5_mT6_T7_P12ihipStream_tbENKUlT_T0_E_clISt17integral_constantIbLb1EES11_EEDaSW_SX_EUlSW_E_NS1_11comp_targetILNS1_3genE8ELNS1_11target_archE1030ELNS1_3gpuE2ELNS1_3repE0EEENS1_30default_config_static_selectorELNS0_4arch9wavefront6targetE0EEEvT1_,@function
_ZN7rocprim17ROCPRIM_400000_NS6detail17trampoline_kernelINS0_14default_configENS1_27scan_by_key_config_selectorIifEEZZNS1_16scan_by_key_implILNS1_25lookback_scan_determinismE0ELb1ES3_N6thrust23THRUST_200600_302600_NS6detail15normal_iteratorINS9_10device_ptrIiEEEENSB_INSC_IfEEEESG_fNS9_4plusIvEENS9_8equal_toIvEEfEE10hipError_tPvRmT2_T3_T4_T5_mT6_T7_P12ihipStream_tbENKUlT_T0_E_clISt17integral_constantIbLb1EES11_EEDaSW_SX_EUlSW_E_NS1_11comp_targetILNS1_3genE8ELNS1_11target_archE1030ELNS1_3gpuE2ELNS1_3repE0EEENS1_30default_config_static_selectorELNS0_4arch9wavefront6targetE0EEEvT1_: ; @_ZN7rocprim17ROCPRIM_400000_NS6detail17trampoline_kernelINS0_14default_configENS1_27scan_by_key_config_selectorIifEEZZNS1_16scan_by_key_implILNS1_25lookback_scan_determinismE0ELb1ES3_N6thrust23THRUST_200600_302600_NS6detail15normal_iteratorINS9_10device_ptrIiEEEENSB_INSC_IfEEEESG_fNS9_4plusIvEENS9_8equal_toIvEEfEE10hipError_tPvRmT2_T3_T4_T5_mT6_T7_P12ihipStream_tbENKUlT_T0_E_clISt17integral_constantIbLb1EES11_EEDaSW_SX_EUlSW_E_NS1_11comp_targetILNS1_3genE8ELNS1_11target_archE1030ELNS1_3gpuE2ELNS1_3repE0EEENS1_30default_config_static_selectorELNS0_4arch9wavefront6targetE0EEEvT1_
; %bb.0:
	s_endpgm
	.section	.rodata,"a",@progbits
	.p2align	6, 0x0
	.amdhsa_kernel _ZN7rocprim17ROCPRIM_400000_NS6detail17trampoline_kernelINS0_14default_configENS1_27scan_by_key_config_selectorIifEEZZNS1_16scan_by_key_implILNS1_25lookback_scan_determinismE0ELb1ES3_N6thrust23THRUST_200600_302600_NS6detail15normal_iteratorINS9_10device_ptrIiEEEENSB_INSC_IfEEEESG_fNS9_4plusIvEENS9_8equal_toIvEEfEE10hipError_tPvRmT2_T3_T4_T5_mT6_T7_P12ihipStream_tbENKUlT_T0_E_clISt17integral_constantIbLb1EES11_EEDaSW_SX_EUlSW_E_NS1_11comp_targetILNS1_3genE8ELNS1_11target_archE1030ELNS1_3gpuE2ELNS1_3repE0EEENS1_30default_config_static_selectorELNS0_4arch9wavefront6targetE0EEEvT1_
		.amdhsa_group_segment_fixed_size 0
		.amdhsa_private_segment_fixed_size 0
		.amdhsa_kernarg_size 112
		.amdhsa_user_sgpr_count 6
		.amdhsa_user_sgpr_private_segment_buffer 1
		.amdhsa_user_sgpr_dispatch_ptr 0
		.amdhsa_user_sgpr_queue_ptr 0
		.amdhsa_user_sgpr_kernarg_segment_ptr 1
		.amdhsa_user_sgpr_dispatch_id 0
		.amdhsa_user_sgpr_flat_scratch_init 0
		.amdhsa_user_sgpr_private_segment_size 0
		.amdhsa_wavefront_size32 1
		.amdhsa_uses_dynamic_stack 0
		.amdhsa_system_sgpr_private_segment_wavefront_offset 0
		.amdhsa_system_sgpr_workgroup_id_x 1
		.amdhsa_system_sgpr_workgroup_id_y 0
		.amdhsa_system_sgpr_workgroup_id_z 0
		.amdhsa_system_sgpr_workgroup_info 0
		.amdhsa_system_vgpr_workitem_id 0
		.amdhsa_next_free_vgpr 1
		.amdhsa_next_free_sgpr 1
		.amdhsa_reserve_vcc 0
		.amdhsa_reserve_flat_scratch 0
		.amdhsa_float_round_mode_32 0
		.amdhsa_float_round_mode_16_64 0
		.amdhsa_float_denorm_mode_32 3
		.amdhsa_float_denorm_mode_16_64 3
		.amdhsa_dx10_clamp 1
		.amdhsa_ieee_mode 1
		.amdhsa_fp16_overflow 0
		.amdhsa_workgroup_processor_mode 1
		.amdhsa_memory_ordered 1
		.amdhsa_forward_progress 1
		.amdhsa_shared_vgpr_count 0
		.amdhsa_exception_fp_ieee_invalid_op 0
		.amdhsa_exception_fp_denorm_src 0
		.amdhsa_exception_fp_ieee_div_zero 0
		.amdhsa_exception_fp_ieee_overflow 0
		.amdhsa_exception_fp_ieee_underflow 0
		.amdhsa_exception_fp_ieee_inexact 0
		.amdhsa_exception_int_div_zero 0
	.end_amdhsa_kernel
	.section	.text._ZN7rocprim17ROCPRIM_400000_NS6detail17trampoline_kernelINS0_14default_configENS1_27scan_by_key_config_selectorIifEEZZNS1_16scan_by_key_implILNS1_25lookback_scan_determinismE0ELb1ES3_N6thrust23THRUST_200600_302600_NS6detail15normal_iteratorINS9_10device_ptrIiEEEENSB_INSC_IfEEEESG_fNS9_4plusIvEENS9_8equal_toIvEEfEE10hipError_tPvRmT2_T3_T4_T5_mT6_T7_P12ihipStream_tbENKUlT_T0_E_clISt17integral_constantIbLb1EES11_EEDaSW_SX_EUlSW_E_NS1_11comp_targetILNS1_3genE8ELNS1_11target_archE1030ELNS1_3gpuE2ELNS1_3repE0EEENS1_30default_config_static_selectorELNS0_4arch9wavefront6targetE0EEEvT1_,"axG",@progbits,_ZN7rocprim17ROCPRIM_400000_NS6detail17trampoline_kernelINS0_14default_configENS1_27scan_by_key_config_selectorIifEEZZNS1_16scan_by_key_implILNS1_25lookback_scan_determinismE0ELb1ES3_N6thrust23THRUST_200600_302600_NS6detail15normal_iteratorINS9_10device_ptrIiEEEENSB_INSC_IfEEEESG_fNS9_4plusIvEENS9_8equal_toIvEEfEE10hipError_tPvRmT2_T3_T4_T5_mT6_T7_P12ihipStream_tbENKUlT_T0_E_clISt17integral_constantIbLb1EES11_EEDaSW_SX_EUlSW_E_NS1_11comp_targetILNS1_3genE8ELNS1_11target_archE1030ELNS1_3gpuE2ELNS1_3repE0EEENS1_30default_config_static_selectorELNS0_4arch9wavefront6targetE0EEEvT1_,comdat
.Lfunc_end1444:
	.size	_ZN7rocprim17ROCPRIM_400000_NS6detail17trampoline_kernelINS0_14default_configENS1_27scan_by_key_config_selectorIifEEZZNS1_16scan_by_key_implILNS1_25lookback_scan_determinismE0ELb1ES3_N6thrust23THRUST_200600_302600_NS6detail15normal_iteratorINS9_10device_ptrIiEEEENSB_INSC_IfEEEESG_fNS9_4plusIvEENS9_8equal_toIvEEfEE10hipError_tPvRmT2_T3_T4_T5_mT6_T7_P12ihipStream_tbENKUlT_T0_E_clISt17integral_constantIbLb1EES11_EEDaSW_SX_EUlSW_E_NS1_11comp_targetILNS1_3genE8ELNS1_11target_archE1030ELNS1_3gpuE2ELNS1_3repE0EEENS1_30default_config_static_selectorELNS0_4arch9wavefront6targetE0EEEvT1_, .Lfunc_end1444-_ZN7rocprim17ROCPRIM_400000_NS6detail17trampoline_kernelINS0_14default_configENS1_27scan_by_key_config_selectorIifEEZZNS1_16scan_by_key_implILNS1_25lookback_scan_determinismE0ELb1ES3_N6thrust23THRUST_200600_302600_NS6detail15normal_iteratorINS9_10device_ptrIiEEEENSB_INSC_IfEEEESG_fNS9_4plusIvEENS9_8equal_toIvEEfEE10hipError_tPvRmT2_T3_T4_T5_mT6_T7_P12ihipStream_tbENKUlT_T0_E_clISt17integral_constantIbLb1EES11_EEDaSW_SX_EUlSW_E_NS1_11comp_targetILNS1_3genE8ELNS1_11target_archE1030ELNS1_3gpuE2ELNS1_3repE0EEENS1_30default_config_static_selectorELNS0_4arch9wavefront6targetE0EEEvT1_
                                        ; -- End function
	.set _ZN7rocprim17ROCPRIM_400000_NS6detail17trampoline_kernelINS0_14default_configENS1_27scan_by_key_config_selectorIifEEZZNS1_16scan_by_key_implILNS1_25lookback_scan_determinismE0ELb1ES3_N6thrust23THRUST_200600_302600_NS6detail15normal_iteratorINS9_10device_ptrIiEEEENSB_INSC_IfEEEESG_fNS9_4plusIvEENS9_8equal_toIvEEfEE10hipError_tPvRmT2_T3_T4_T5_mT6_T7_P12ihipStream_tbENKUlT_T0_E_clISt17integral_constantIbLb1EES11_EEDaSW_SX_EUlSW_E_NS1_11comp_targetILNS1_3genE8ELNS1_11target_archE1030ELNS1_3gpuE2ELNS1_3repE0EEENS1_30default_config_static_selectorELNS0_4arch9wavefront6targetE0EEEvT1_.num_vgpr, 0
	.set _ZN7rocprim17ROCPRIM_400000_NS6detail17trampoline_kernelINS0_14default_configENS1_27scan_by_key_config_selectorIifEEZZNS1_16scan_by_key_implILNS1_25lookback_scan_determinismE0ELb1ES3_N6thrust23THRUST_200600_302600_NS6detail15normal_iteratorINS9_10device_ptrIiEEEENSB_INSC_IfEEEESG_fNS9_4plusIvEENS9_8equal_toIvEEfEE10hipError_tPvRmT2_T3_T4_T5_mT6_T7_P12ihipStream_tbENKUlT_T0_E_clISt17integral_constantIbLb1EES11_EEDaSW_SX_EUlSW_E_NS1_11comp_targetILNS1_3genE8ELNS1_11target_archE1030ELNS1_3gpuE2ELNS1_3repE0EEENS1_30default_config_static_selectorELNS0_4arch9wavefront6targetE0EEEvT1_.num_agpr, 0
	.set _ZN7rocprim17ROCPRIM_400000_NS6detail17trampoline_kernelINS0_14default_configENS1_27scan_by_key_config_selectorIifEEZZNS1_16scan_by_key_implILNS1_25lookback_scan_determinismE0ELb1ES3_N6thrust23THRUST_200600_302600_NS6detail15normal_iteratorINS9_10device_ptrIiEEEENSB_INSC_IfEEEESG_fNS9_4plusIvEENS9_8equal_toIvEEfEE10hipError_tPvRmT2_T3_T4_T5_mT6_T7_P12ihipStream_tbENKUlT_T0_E_clISt17integral_constantIbLb1EES11_EEDaSW_SX_EUlSW_E_NS1_11comp_targetILNS1_3genE8ELNS1_11target_archE1030ELNS1_3gpuE2ELNS1_3repE0EEENS1_30default_config_static_selectorELNS0_4arch9wavefront6targetE0EEEvT1_.numbered_sgpr, 0
	.set _ZN7rocprim17ROCPRIM_400000_NS6detail17trampoline_kernelINS0_14default_configENS1_27scan_by_key_config_selectorIifEEZZNS1_16scan_by_key_implILNS1_25lookback_scan_determinismE0ELb1ES3_N6thrust23THRUST_200600_302600_NS6detail15normal_iteratorINS9_10device_ptrIiEEEENSB_INSC_IfEEEESG_fNS9_4plusIvEENS9_8equal_toIvEEfEE10hipError_tPvRmT2_T3_T4_T5_mT6_T7_P12ihipStream_tbENKUlT_T0_E_clISt17integral_constantIbLb1EES11_EEDaSW_SX_EUlSW_E_NS1_11comp_targetILNS1_3genE8ELNS1_11target_archE1030ELNS1_3gpuE2ELNS1_3repE0EEENS1_30default_config_static_selectorELNS0_4arch9wavefront6targetE0EEEvT1_.num_named_barrier, 0
	.set _ZN7rocprim17ROCPRIM_400000_NS6detail17trampoline_kernelINS0_14default_configENS1_27scan_by_key_config_selectorIifEEZZNS1_16scan_by_key_implILNS1_25lookback_scan_determinismE0ELb1ES3_N6thrust23THRUST_200600_302600_NS6detail15normal_iteratorINS9_10device_ptrIiEEEENSB_INSC_IfEEEESG_fNS9_4plusIvEENS9_8equal_toIvEEfEE10hipError_tPvRmT2_T3_T4_T5_mT6_T7_P12ihipStream_tbENKUlT_T0_E_clISt17integral_constantIbLb1EES11_EEDaSW_SX_EUlSW_E_NS1_11comp_targetILNS1_3genE8ELNS1_11target_archE1030ELNS1_3gpuE2ELNS1_3repE0EEENS1_30default_config_static_selectorELNS0_4arch9wavefront6targetE0EEEvT1_.private_seg_size, 0
	.set _ZN7rocprim17ROCPRIM_400000_NS6detail17trampoline_kernelINS0_14default_configENS1_27scan_by_key_config_selectorIifEEZZNS1_16scan_by_key_implILNS1_25lookback_scan_determinismE0ELb1ES3_N6thrust23THRUST_200600_302600_NS6detail15normal_iteratorINS9_10device_ptrIiEEEENSB_INSC_IfEEEESG_fNS9_4plusIvEENS9_8equal_toIvEEfEE10hipError_tPvRmT2_T3_T4_T5_mT6_T7_P12ihipStream_tbENKUlT_T0_E_clISt17integral_constantIbLb1EES11_EEDaSW_SX_EUlSW_E_NS1_11comp_targetILNS1_3genE8ELNS1_11target_archE1030ELNS1_3gpuE2ELNS1_3repE0EEENS1_30default_config_static_selectorELNS0_4arch9wavefront6targetE0EEEvT1_.uses_vcc, 0
	.set _ZN7rocprim17ROCPRIM_400000_NS6detail17trampoline_kernelINS0_14default_configENS1_27scan_by_key_config_selectorIifEEZZNS1_16scan_by_key_implILNS1_25lookback_scan_determinismE0ELb1ES3_N6thrust23THRUST_200600_302600_NS6detail15normal_iteratorINS9_10device_ptrIiEEEENSB_INSC_IfEEEESG_fNS9_4plusIvEENS9_8equal_toIvEEfEE10hipError_tPvRmT2_T3_T4_T5_mT6_T7_P12ihipStream_tbENKUlT_T0_E_clISt17integral_constantIbLb1EES11_EEDaSW_SX_EUlSW_E_NS1_11comp_targetILNS1_3genE8ELNS1_11target_archE1030ELNS1_3gpuE2ELNS1_3repE0EEENS1_30default_config_static_selectorELNS0_4arch9wavefront6targetE0EEEvT1_.uses_flat_scratch, 0
	.set _ZN7rocprim17ROCPRIM_400000_NS6detail17trampoline_kernelINS0_14default_configENS1_27scan_by_key_config_selectorIifEEZZNS1_16scan_by_key_implILNS1_25lookback_scan_determinismE0ELb1ES3_N6thrust23THRUST_200600_302600_NS6detail15normal_iteratorINS9_10device_ptrIiEEEENSB_INSC_IfEEEESG_fNS9_4plusIvEENS9_8equal_toIvEEfEE10hipError_tPvRmT2_T3_T4_T5_mT6_T7_P12ihipStream_tbENKUlT_T0_E_clISt17integral_constantIbLb1EES11_EEDaSW_SX_EUlSW_E_NS1_11comp_targetILNS1_3genE8ELNS1_11target_archE1030ELNS1_3gpuE2ELNS1_3repE0EEENS1_30default_config_static_selectorELNS0_4arch9wavefront6targetE0EEEvT1_.has_dyn_sized_stack, 0
	.set _ZN7rocprim17ROCPRIM_400000_NS6detail17trampoline_kernelINS0_14default_configENS1_27scan_by_key_config_selectorIifEEZZNS1_16scan_by_key_implILNS1_25lookback_scan_determinismE0ELb1ES3_N6thrust23THRUST_200600_302600_NS6detail15normal_iteratorINS9_10device_ptrIiEEEENSB_INSC_IfEEEESG_fNS9_4plusIvEENS9_8equal_toIvEEfEE10hipError_tPvRmT2_T3_T4_T5_mT6_T7_P12ihipStream_tbENKUlT_T0_E_clISt17integral_constantIbLb1EES11_EEDaSW_SX_EUlSW_E_NS1_11comp_targetILNS1_3genE8ELNS1_11target_archE1030ELNS1_3gpuE2ELNS1_3repE0EEENS1_30default_config_static_selectorELNS0_4arch9wavefront6targetE0EEEvT1_.has_recursion, 0
	.set _ZN7rocprim17ROCPRIM_400000_NS6detail17trampoline_kernelINS0_14default_configENS1_27scan_by_key_config_selectorIifEEZZNS1_16scan_by_key_implILNS1_25lookback_scan_determinismE0ELb1ES3_N6thrust23THRUST_200600_302600_NS6detail15normal_iteratorINS9_10device_ptrIiEEEENSB_INSC_IfEEEESG_fNS9_4plusIvEENS9_8equal_toIvEEfEE10hipError_tPvRmT2_T3_T4_T5_mT6_T7_P12ihipStream_tbENKUlT_T0_E_clISt17integral_constantIbLb1EES11_EEDaSW_SX_EUlSW_E_NS1_11comp_targetILNS1_3genE8ELNS1_11target_archE1030ELNS1_3gpuE2ELNS1_3repE0EEENS1_30default_config_static_selectorELNS0_4arch9wavefront6targetE0EEEvT1_.has_indirect_call, 0
	.section	.AMDGPU.csdata,"",@progbits
; Kernel info:
; codeLenInByte = 4
; TotalNumSgprs: 0
; NumVgprs: 0
; ScratchSize: 0
; MemoryBound: 0
; FloatMode: 240
; IeeeMode: 1
; LDSByteSize: 0 bytes/workgroup (compile time only)
; SGPRBlocks: 0
; VGPRBlocks: 0
; NumSGPRsForWavesPerEU: 1
; NumVGPRsForWavesPerEU: 1
; Occupancy: 16
; WaveLimiterHint : 0
; COMPUTE_PGM_RSRC2:SCRATCH_EN: 0
; COMPUTE_PGM_RSRC2:USER_SGPR: 6
; COMPUTE_PGM_RSRC2:TRAP_HANDLER: 0
; COMPUTE_PGM_RSRC2:TGID_X_EN: 1
; COMPUTE_PGM_RSRC2:TGID_Y_EN: 0
; COMPUTE_PGM_RSRC2:TGID_Z_EN: 0
; COMPUTE_PGM_RSRC2:TIDIG_COMP_CNT: 0
	.section	.text._ZN7rocprim17ROCPRIM_400000_NS6detail17trampoline_kernelINS0_14default_configENS1_27scan_by_key_config_selectorIifEEZZNS1_16scan_by_key_implILNS1_25lookback_scan_determinismE0ELb1ES3_N6thrust23THRUST_200600_302600_NS6detail15normal_iteratorINS9_10device_ptrIiEEEENSB_INSC_IfEEEESG_fNS9_4plusIvEENS9_8equal_toIvEEfEE10hipError_tPvRmT2_T3_T4_T5_mT6_T7_P12ihipStream_tbENKUlT_T0_E_clISt17integral_constantIbLb1EES10_IbLb0EEEEDaSW_SX_EUlSW_E_NS1_11comp_targetILNS1_3genE0ELNS1_11target_archE4294967295ELNS1_3gpuE0ELNS1_3repE0EEENS1_30default_config_static_selectorELNS0_4arch9wavefront6targetE0EEEvT1_,"axG",@progbits,_ZN7rocprim17ROCPRIM_400000_NS6detail17trampoline_kernelINS0_14default_configENS1_27scan_by_key_config_selectorIifEEZZNS1_16scan_by_key_implILNS1_25lookback_scan_determinismE0ELb1ES3_N6thrust23THRUST_200600_302600_NS6detail15normal_iteratorINS9_10device_ptrIiEEEENSB_INSC_IfEEEESG_fNS9_4plusIvEENS9_8equal_toIvEEfEE10hipError_tPvRmT2_T3_T4_T5_mT6_T7_P12ihipStream_tbENKUlT_T0_E_clISt17integral_constantIbLb1EES10_IbLb0EEEEDaSW_SX_EUlSW_E_NS1_11comp_targetILNS1_3genE0ELNS1_11target_archE4294967295ELNS1_3gpuE0ELNS1_3repE0EEENS1_30default_config_static_selectorELNS0_4arch9wavefront6targetE0EEEvT1_,comdat
	.protected	_ZN7rocprim17ROCPRIM_400000_NS6detail17trampoline_kernelINS0_14default_configENS1_27scan_by_key_config_selectorIifEEZZNS1_16scan_by_key_implILNS1_25lookback_scan_determinismE0ELb1ES3_N6thrust23THRUST_200600_302600_NS6detail15normal_iteratorINS9_10device_ptrIiEEEENSB_INSC_IfEEEESG_fNS9_4plusIvEENS9_8equal_toIvEEfEE10hipError_tPvRmT2_T3_T4_T5_mT6_T7_P12ihipStream_tbENKUlT_T0_E_clISt17integral_constantIbLb1EES10_IbLb0EEEEDaSW_SX_EUlSW_E_NS1_11comp_targetILNS1_3genE0ELNS1_11target_archE4294967295ELNS1_3gpuE0ELNS1_3repE0EEENS1_30default_config_static_selectorELNS0_4arch9wavefront6targetE0EEEvT1_ ; -- Begin function _ZN7rocprim17ROCPRIM_400000_NS6detail17trampoline_kernelINS0_14default_configENS1_27scan_by_key_config_selectorIifEEZZNS1_16scan_by_key_implILNS1_25lookback_scan_determinismE0ELb1ES3_N6thrust23THRUST_200600_302600_NS6detail15normal_iteratorINS9_10device_ptrIiEEEENSB_INSC_IfEEEESG_fNS9_4plusIvEENS9_8equal_toIvEEfEE10hipError_tPvRmT2_T3_T4_T5_mT6_T7_P12ihipStream_tbENKUlT_T0_E_clISt17integral_constantIbLb1EES10_IbLb0EEEEDaSW_SX_EUlSW_E_NS1_11comp_targetILNS1_3genE0ELNS1_11target_archE4294967295ELNS1_3gpuE0ELNS1_3repE0EEENS1_30default_config_static_selectorELNS0_4arch9wavefront6targetE0EEEvT1_
	.globl	_ZN7rocprim17ROCPRIM_400000_NS6detail17trampoline_kernelINS0_14default_configENS1_27scan_by_key_config_selectorIifEEZZNS1_16scan_by_key_implILNS1_25lookback_scan_determinismE0ELb1ES3_N6thrust23THRUST_200600_302600_NS6detail15normal_iteratorINS9_10device_ptrIiEEEENSB_INSC_IfEEEESG_fNS9_4plusIvEENS9_8equal_toIvEEfEE10hipError_tPvRmT2_T3_T4_T5_mT6_T7_P12ihipStream_tbENKUlT_T0_E_clISt17integral_constantIbLb1EES10_IbLb0EEEEDaSW_SX_EUlSW_E_NS1_11comp_targetILNS1_3genE0ELNS1_11target_archE4294967295ELNS1_3gpuE0ELNS1_3repE0EEENS1_30default_config_static_selectorELNS0_4arch9wavefront6targetE0EEEvT1_
	.p2align	8
	.type	_ZN7rocprim17ROCPRIM_400000_NS6detail17trampoline_kernelINS0_14default_configENS1_27scan_by_key_config_selectorIifEEZZNS1_16scan_by_key_implILNS1_25lookback_scan_determinismE0ELb1ES3_N6thrust23THRUST_200600_302600_NS6detail15normal_iteratorINS9_10device_ptrIiEEEENSB_INSC_IfEEEESG_fNS9_4plusIvEENS9_8equal_toIvEEfEE10hipError_tPvRmT2_T3_T4_T5_mT6_T7_P12ihipStream_tbENKUlT_T0_E_clISt17integral_constantIbLb1EES10_IbLb0EEEEDaSW_SX_EUlSW_E_NS1_11comp_targetILNS1_3genE0ELNS1_11target_archE4294967295ELNS1_3gpuE0ELNS1_3repE0EEENS1_30default_config_static_selectorELNS0_4arch9wavefront6targetE0EEEvT1_,@function
_ZN7rocprim17ROCPRIM_400000_NS6detail17trampoline_kernelINS0_14default_configENS1_27scan_by_key_config_selectorIifEEZZNS1_16scan_by_key_implILNS1_25lookback_scan_determinismE0ELb1ES3_N6thrust23THRUST_200600_302600_NS6detail15normal_iteratorINS9_10device_ptrIiEEEENSB_INSC_IfEEEESG_fNS9_4plusIvEENS9_8equal_toIvEEfEE10hipError_tPvRmT2_T3_T4_T5_mT6_T7_P12ihipStream_tbENKUlT_T0_E_clISt17integral_constantIbLb1EES10_IbLb0EEEEDaSW_SX_EUlSW_E_NS1_11comp_targetILNS1_3genE0ELNS1_11target_archE4294967295ELNS1_3gpuE0ELNS1_3repE0EEENS1_30default_config_static_selectorELNS0_4arch9wavefront6targetE0EEEvT1_: ; @_ZN7rocprim17ROCPRIM_400000_NS6detail17trampoline_kernelINS0_14default_configENS1_27scan_by_key_config_selectorIifEEZZNS1_16scan_by_key_implILNS1_25lookback_scan_determinismE0ELb1ES3_N6thrust23THRUST_200600_302600_NS6detail15normal_iteratorINS9_10device_ptrIiEEEENSB_INSC_IfEEEESG_fNS9_4plusIvEENS9_8equal_toIvEEfEE10hipError_tPvRmT2_T3_T4_T5_mT6_T7_P12ihipStream_tbENKUlT_T0_E_clISt17integral_constantIbLb1EES10_IbLb0EEEEDaSW_SX_EUlSW_E_NS1_11comp_targetILNS1_3genE0ELNS1_11target_archE4294967295ELNS1_3gpuE0ELNS1_3repE0EEENS1_30default_config_static_selectorELNS0_4arch9wavefront6targetE0EEEvT1_
; %bb.0:
	.section	.rodata,"a",@progbits
	.p2align	6, 0x0
	.amdhsa_kernel _ZN7rocprim17ROCPRIM_400000_NS6detail17trampoline_kernelINS0_14default_configENS1_27scan_by_key_config_selectorIifEEZZNS1_16scan_by_key_implILNS1_25lookback_scan_determinismE0ELb1ES3_N6thrust23THRUST_200600_302600_NS6detail15normal_iteratorINS9_10device_ptrIiEEEENSB_INSC_IfEEEESG_fNS9_4plusIvEENS9_8equal_toIvEEfEE10hipError_tPvRmT2_T3_T4_T5_mT6_T7_P12ihipStream_tbENKUlT_T0_E_clISt17integral_constantIbLb1EES10_IbLb0EEEEDaSW_SX_EUlSW_E_NS1_11comp_targetILNS1_3genE0ELNS1_11target_archE4294967295ELNS1_3gpuE0ELNS1_3repE0EEENS1_30default_config_static_selectorELNS0_4arch9wavefront6targetE0EEEvT1_
		.amdhsa_group_segment_fixed_size 0
		.amdhsa_private_segment_fixed_size 0
		.amdhsa_kernarg_size 112
		.amdhsa_user_sgpr_count 6
		.amdhsa_user_sgpr_private_segment_buffer 1
		.amdhsa_user_sgpr_dispatch_ptr 0
		.amdhsa_user_sgpr_queue_ptr 0
		.amdhsa_user_sgpr_kernarg_segment_ptr 1
		.amdhsa_user_sgpr_dispatch_id 0
		.amdhsa_user_sgpr_flat_scratch_init 0
		.amdhsa_user_sgpr_private_segment_size 0
		.amdhsa_wavefront_size32 1
		.amdhsa_uses_dynamic_stack 0
		.amdhsa_system_sgpr_private_segment_wavefront_offset 0
		.amdhsa_system_sgpr_workgroup_id_x 1
		.amdhsa_system_sgpr_workgroup_id_y 0
		.amdhsa_system_sgpr_workgroup_id_z 0
		.amdhsa_system_sgpr_workgroup_info 0
		.amdhsa_system_vgpr_workitem_id 0
		.amdhsa_next_free_vgpr 1
		.amdhsa_next_free_sgpr 1
		.amdhsa_reserve_vcc 0
		.amdhsa_reserve_flat_scratch 0
		.amdhsa_float_round_mode_32 0
		.amdhsa_float_round_mode_16_64 0
		.amdhsa_float_denorm_mode_32 3
		.amdhsa_float_denorm_mode_16_64 3
		.amdhsa_dx10_clamp 1
		.amdhsa_ieee_mode 1
		.amdhsa_fp16_overflow 0
		.amdhsa_workgroup_processor_mode 1
		.amdhsa_memory_ordered 1
		.amdhsa_forward_progress 1
		.amdhsa_shared_vgpr_count 0
		.amdhsa_exception_fp_ieee_invalid_op 0
		.amdhsa_exception_fp_denorm_src 0
		.amdhsa_exception_fp_ieee_div_zero 0
		.amdhsa_exception_fp_ieee_overflow 0
		.amdhsa_exception_fp_ieee_underflow 0
		.amdhsa_exception_fp_ieee_inexact 0
		.amdhsa_exception_int_div_zero 0
	.end_amdhsa_kernel
	.section	.text._ZN7rocprim17ROCPRIM_400000_NS6detail17trampoline_kernelINS0_14default_configENS1_27scan_by_key_config_selectorIifEEZZNS1_16scan_by_key_implILNS1_25lookback_scan_determinismE0ELb1ES3_N6thrust23THRUST_200600_302600_NS6detail15normal_iteratorINS9_10device_ptrIiEEEENSB_INSC_IfEEEESG_fNS9_4plusIvEENS9_8equal_toIvEEfEE10hipError_tPvRmT2_T3_T4_T5_mT6_T7_P12ihipStream_tbENKUlT_T0_E_clISt17integral_constantIbLb1EES10_IbLb0EEEEDaSW_SX_EUlSW_E_NS1_11comp_targetILNS1_3genE0ELNS1_11target_archE4294967295ELNS1_3gpuE0ELNS1_3repE0EEENS1_30default_config_static_selectorELNS0_4arch9wavefront6targetE0EEEvT1_,"axG",@progbits,_ZN7rocprim17ROCPRIM_400000_NS6detail17trampoline_kernelINS0_14default_configENS1_27scan_by_key_config_selectorIifEEZZNS1_16scan_by_key_implILNS1_25lookback_scan_determinismE0ELb1ES3_N6thrust23THRUST_200600_302600_NS6detail15normal_iteratorINS9_10device_ptrIiEEEENSB_INSC_IfEEEESG_fNS9_4plusIvEENS9_8equal_toIvEEfEE10hipError_tPvRmT2_T3_T4_T5_mT6_T7_P12ihipStream_tbENKUlT_T0_E_clISt17integral_constantIbLb1EES10_IbLb0EEEEDaSW_SX_EUlSW_E_NS1_11comp_targetILNS1_3genE0ELNS1_11target_archE4294967295ELNS1_3gpuE0ELNS1_3repE0EEENS1_30default_config_static_selectorELNS0_4arch9wavefront6targetE0EEEvT1_,comdat
.Lfunc_end1445:
	.size	_ZN7rocprim17ROCPRIM_400000_NS6detail17trampoline_kernelINS0_14default_configENS1_27scan_by_key_config_selectorIifEEZZNS1_16scan_by_key_implILNS1_25lookback_scan_determinismE0ELb1ES3_N6thrust23THRUST_200600_302600_NS6detail15normal_iteratorINS9_10device_ptrIiEEEENSB_INSC_IfEEEESG_fNS9_4plusIvEENS9_8equal_toIvEEfEE10hipError_tPvRmT2_T3_T4_T5_mT6_T7_P12ihipStream_tbENKUlT_T0_E_clISt17integral_constantIbLb1EES10_IbLb0EEEEDaSW_SX_EUlSW_E_NS1_11comp_targetILNS1_3genE0ELNS1_11target_archE4294967295ELNS1_3gpuE0ELNS1_3repE0EEENS1_30default_config_static_selectorELNS0_4arch9wavefront6targetE0EEEvT1_, .Lfunc_end1445-_ZN7rocprim17ROCPRIM_400000_NS6detail17trampoline_kernelINS0_14default_configENS1_27scan_by_key_config_selectorIifEEZZNS1_16scan_by_key_implILNS1_25lookback_scan_determinismE0ELb1ES3_N6thrust23THRUST_200600_302600_NS6detail15normal_iteratorINS9_10device_ptrIiEEEENSB_INSC_IfEEEESG_fNS9_4plusIvEENS9_8equal_toIvEEfEE10hipError_tPvRmT2_T3_T4_T5_mT6_T7_P12ihipStream_tbENKUlT_T0_E_clISt17integral_constantIbLb1EES10_IbLb0EEEEDaSW_SX_EUlSW_E_NS1_11comp_targetILNS1_3genE0ELNS1_11target_archE4294967295ELNS1_3gpuE0ELNS1_3repE0EEENS1_30default_config_static_selectorELNS0_4arch9wavefront6targetE0EEEvT1_
                                        ; -- End function
	.set _ZN7rocprim17ROCPRIM_400000_NS6detail17trampoline_kernelINS0_14default_configENS1_27scan_by_key_config_selectorIifEEZZNS1_16scan_by_key_implILNS1_25lookback_scan_determinismE0ELb1ES3_N6thrust23THRUST_200600_302600_NS6detail15normal_iteratorINS9_10device_ptrIiEEEENSB_INSC_IfEEEESG_fNS9_4plusIvEENS9_8equal_toIvEEfEE10hipError_tPvRmT2_T3_T4_T5_mT6_T7_P12ihipStream_tbENKUlT_T0_E_clISt17integral_constantIbLb1EES10_IbLb0EEEEDaSW_SX_EUlSW_E_NS1_11comp_targetILNS1_3genE0ELNS1_11target_archE4294967295ELNS1_3gpuE0ELNS1_3repE0EEENS1_30default_config_static_selectorELNS0_4arch9wavefront6targetE0EEEvT1_.num_vgpr, 0
	.set _ZN7rocprim17ROCPRIM_400000_NS6detail17trampoline_kernelINS0_14default_configENS1_27scan_by_key_config_selectorIifEEZZNS1_16scan_by_key_implILNS1_25lookback_scan_determinismE0ELb1ES3_N6thrust23THRUST_200600_302600_NS6detail15normal_iteratorINS9_10device_ptrIiEEEENSB_INSC_IfEEEESG_fNS9_4plusIvEENS9_8equal_toIvEEfEE10hipError_tPvRmT2_T3_T4_T5_mT6_T7_P12ihipStream_tbENKUlT_T0_E_clISt17integral_constantIbLb1EES10_IbLb0EEEEDaSW_SX_EUlSW_E_NS1_11comp_targetILNS1_3genE0ELNS1_11target_archE4294967295ELNS1_3gpuE0ELNS1_3repE0EEENS1_30default_config_static_selectorELNS0_4arch9wavefront6targetE0EEEvT1_.num_agpr, 0
	.set _ZN7rocprim17ROCPRIM_400000_NS6detail17trampoline_kernelINS0_14default_configENS1_27scan_by_key_config_selectorIifEEZZNS1_16scan_by_key_implILNS1_25lookback_scan_determinismE0ELb1ES3_N6thrust23THRUST_200600_302600_NS6detail15normal_iteratorINS9_10device_ptrIiEEEENSB_INSC_IfEEEESG_fNS9_4plusIvEENS9_8equal_toIvEEfEE10hipError_tPvRmT2_T3_T4_T5_mT6_T7_P12ihipStream_tbENKUlT_T0_E_clISt17integral_constantIbLb1EES10_IbLb0EEEEDaSW_SX_EUlSW_E_NS1_11comp_targetILNS1_3genE0ELNS1_11target_archE4294967295ELNS1_3gpuE0ELNS1_3repE0EEENS1_30default_config_static_selectorELNS0_4arch9wavefront6targetE0EEEvT1_.numbered_sgpr, 0
	.set _ZN7rocprim17ROCPRIM_400000_NS6detail17trampoline_kernelINS0_14default_configENS1_27scan_by_key_config_selectorIifEEZZNS1_16scan_by_key_implILNS1_25lookback_scan_determinismE0ELb1ES3_N6thrust23THRUST_200600_302600_NS6detail15normal_iteratorINS9_10device_ptrIiEEEENSB_INSC_IfEEEESG_fNS9_4plusIvEENS9_8equal_toIvEEfEE10hipError_tPvRmT2_T3_T4_T5_mT6_T7_P12ihipStream_tbENKUlT_T0_E_clISt17integral_constantIbLb1EES10_IbLb0EEEEDaSW_SX_EUlSW_E_NS1_11comp_targetILNS1_3genE0ELNS1_11target_archE4294967295ELNS1_3gpuE0ELNS1_3repE0EEENS1_30default_config_static_selectorELNS0_4arch9wavefront6targetE0EEEvT1_.num_named_barrier, 0
	.set _ZN7rocprim17ROCPRIM_400000_NS6detail17trampoline_kernelINS0_14default_configENS1_27scan_by_key_config_selectorIifEEZZNS1_16scan_by_key_implILNS1_25lookback_scan_determinismE0ELb1ES3_N6thrust23THRUST_200600_302600_NS6detail15normal_iteratorINS9_10device_ptrIiEEEENSB_INSC_IfEEEESG_fNS9_4plusIvEENS9_8equal_toIvEEfEE10hipError_tPvRmT2_T3_T4_T5_mT6_T7_P12ihipStream_tbENKUlT_T0_E_clISt17integral_constantIbLb1EES10_IbLb0EEEEDaSW_SX_EUlSW_E_NS1_11comp_targetILNS1_3genE0ELNS1_11target_archE4294967295ELNS1_3gpuE0ELNS1_3repE0EEENS1_30default_config_static_selectorELNS0_4arch9wavefront6targetE0EEEvT1_.private_seg_size, 0
	.set _ZN7rocprim17ROCPRIM_400000_NS6detail17trampoline_kernelINS0_14default_configENS1_27scan_by_key_config_selectorIifEEZZNS1_16scan_by_key_implILNS1_25lookback_scan_determinismE0ELb1ES3_N6thrust23THRUST_200600_302600_NS6detail15normal_iteratorINS9_10device_ptrIiEEEENSB_INSC_IfEEEESG_fNS9_4plusIvEENS9_8equal_toIvEEfEE10hipError_tPvRmT2_T3_T4_T5_mT6_T7_P12ihipStream_tbENKUlT_T0_E_clISt17integral_constantIbLb1EES10_IbLb0EEEEDaSW_SX_EUlSW_E_NS1_11comp_targetILNS1_3genE0ELNS1_11target_archE4294967295ELNS1_3gpuE0ELNS1_3repE0EEENS1_30default_config_static_selectorELNS0_4arch9wavefront6targetE0EEEvT1_.uses_vcc, 0
	.set _ZN7rocprim17ROCPRIM_400000_NS6detail17trampoline_kernelINS0_14default_configENS1_27scan_by_key_config_selectorIifEEZZNS1_16scan_by_key_implILNS1_25lookback_scan_determinismE0ELb1ES3_N6thrust23THRUST_200600_302600_NS6detail15normal_iteratorINS9_10device_ptrIiEEEENSB_INSC_IfEEEESG_fNS9_4plusIvEENS9_8equal_toIvEEfEE10hipError_tPvRmT2_T3_T4_T5_mT6_T7_P12ihipStream_tbENKUlT_T0_E_clISt17integral_constantIbLb1EES10_IbLb0EEEEDaSW_SX_EUlSW_E_NS1_11comp_targetILNS1_3genE0ELNS1_11target_archE4294967295ELNS1_3gpuE0ELNS1_3repE0EEENS1_30default_config_static_selectorELNS0_4arch9wavefront6targetE0EEEvT1_.uses_flat_scratch, 0
	.set _ZN7rocprim17ROCPRIM_400000_NS6detail17trampoline_kernelINS0_14default_configENS1_27scan_by_key_config_selectorIifEEZZNS1_16scan_by_key_implILNS1_25lookback_scan_determinismE0ELb1ES3_N6thrust23THRUST_200600_302600_NS6detail15normal_iteratorINS9_10device_ptrIiEEEENSB_INSC_IfEEEESG_fNS9_4plusIvEENS9_8equal_toIvEEfEE10hipError_tPvRmT2_T3_T4_T5_mT6_T7_P12ihipStream_tbENKUlT_T0_E_clISt17integral_constantIbLb1EES10_IbLb0EEEEDaSW_SX_EUlSW_E_NS1_11comp_targetILNS1_3genE0ELNS1_11target_archE4294967295ELNS1_3gpuE0ELNS1_3repE0EEENS1_30default_config_static_selectorELNS0_4arch9wavefront6targetE0EEEvT1_.has_dyn_sized_stack, 0
	.set _ZN7rocprim17ROCPRIM_400000_NS6detail17trampoline_kernelINS0_14default_configENS1_27scan_by_key_config_selectorIifEEZZNS1_16scan_by_key_implILNS1_25lookback_scan_determinismE0ELb1ES3_N6thrust23THRUST_200600_302600_NS6detail15normal_iteratorINS9_10device_ptrIiEEEENSB_INSC_IfEEEESG_fNS9_4plusIvEENS9_8equal_toIvEEfEE10hipError_tPvRmT2_T3_T4_T5_mT6_T7_P12ihipStream_tbENKUlT_T0_E_clISt17integral_constantIbLb1EES10_IbLb0EEEEDaSW_SX_EUlSW_E_NS1_11comp_targetILNS1_3genE0ELNS1_11target_archE4294967295ELNS1_3gpuE0ELNS1_3repE0EEENS1_30default_config_static_selectorELNS0_4arch9wavefront6targetE0EEEvT1_.has_recursion, 0
	.set _ZN7rocprim17ROCPRIM_400000_NS6detail17trampoline_kernelINS0_14default_configENS1_27scan_by_key_config_selectorIifEEZZNS1_16scan_by_key_implILNS1_25lookback_scan_determinismE0ELb1ES3_N6thrust23THRUST_200600_302600_NS6detail15normal_iteratorINS9_10device_ptrIiEEEENSB_INSC_IfEEEESG_fNS9_4plusIvEENS9_8equal_toIvEEfEE10hipError_tPvRmT2_T3_T4_T5_mT6_T7_P12ihipStream_tbENKUlT_T0_E_clISt17integral_constantIbLb1EES10_IbLb0EEEEDaSW_SX_EUlSW_E_NS1_11comp_targetILNS1_3genE0ELNS1_11target_archE4294967295ELNS1_3gpuE0ELNS1_3repE0EEENS1_30default_config_static_selectorELNS0_4arch9wavefront6targetE0EEEvT1_.has_indirect_call, 0
	.section	.AMDGPU.csdata,"",@progbits
; Kernel info:
; codeLenInByte = 0
; TotalNumSgprs: 0
; NumVgprs: 0
; ScratchSize: 0
; MemoryBound: 0
; FloatMode: 240
; IeeeMode: 1
; LDSByteSize: 0 bytes/workgroup (compile time only)
; SGPRBlocks: 0
; VGPRBlocks: 0
; NumSGPRsForWavesPerEU: 1
; NumVGPRsForWavesPerEU: 1
; Occupancy: 16
; WaveLimiterHint : 0
; COMPUTE_PGM_RSRC2:SCRATCH_EN: 0
; COMPUTE_PGM_RSRC2:USER_SGPR: 6
; COMPUTE_PGM_RSRC2:TRAP_HANDLER: 0
; COMPUTE_PGM_RSRC2:TGID_X_EN: 1
; COMPUTE_PGM_RSRC2:TGID_Y_EN: 0
; COMPUTE_PGM_RSRC2:TGID_Z_EN: 0
; COMPUTE_PGM_RSRC2:TIDIG_COMP_CNT: 0
	.section	.text._ZN7rocprim17ROCPRIM_400000_NS6detail17trampoline_kernelINS0_14default_configENS1_27scan_by_key_config_selectorIifEEZZNS1_16scan_by_key_implILNS1_25lookback_scan_determinismE0ELb1ES3_N6thrust23THRUST_200600_302600_NS6detail15normal_iteratorINS9_10device_ptrIiEEEENSB_INSC_IfEEEESG_fNS9_4plusIvEENS9_8equal_toIvEEfEE10hipError_tPvRmT2_T3_T4_T5_mT6_T7_P12ihipStream_tbENKUlT_T0_E_clISt17integral_constantIbLb1EES10_IbLb0EEEEDaSW_SX_EUlSW_E_NS1_11comp_targetILNS1_3genE10ELNS1_11target_archE1201ELNS1_3gpuE5ELNS1_3repE0EEENS1_30default_config_static_selectorELNS0_4arch9wavefront6targetE0EEEvT1_,"axG",@progbits,_ZN7rocprim17ROCPRIM_400000_NS6detail17trampoline_kernelINS0_14default_configENS1_27scan_by_key_config_selectorIifEEZZNS1_16scan_by_key_implILNS1_25lookback_scan_determinismE0ELb1ES3_N6thrust23THRUST_200600_302600_NS6detail15normal_iteratorINS9_10device_ptrIiEEEENSB_INSC_IfEEEESG_fNS9_4plusIvEENS9_8equal_toIvEEfEE10hipError_tPvRmT2_T3_T4_T5_mT6_T7_P12ihipStream_tbENKUlT_T0_E_clISt17integral_constantIbLb1EES10_IbLb0EEEEDaSW_SX_EUlSW_E_NS1_11comp_targetILNS1_3genE10ELNS1_11target_archE1201ELNS1_3gpuE5ELNS1_3repE0EEENS1_30default_config_static_selectorELNS0_4arch9wavefront6targetE0EEEvT1_,comdat
	.protected	_ZN7rocprim17ROCPRIM_400000_NS6detail17trampoline_kernelINS0_14default_configENS1_27scan_by_key_config_selectorIifEEZZNS1_16scan_by_key_implILNS1_25lookback_scan_determinismE0ELb1ES3_N6thrust23THRUST_200600_302600_NS6detail15normal_iteratorINS9_10device_ptrIiEEEENSB_INSC_IfEEEESG_fNS9_4plusIvEENS9_8equal_toIvEEfEE10hipError_tPvRmT2_T3_T4_T5_mT6_T7_P12ihipStream_tbENKUlT_T0_E_clISt17integral_constantIbLb1EES10_IbLb0EEEEDaSW_SX_EUlSW_E_NS1_11comp_targetILNS1_3genE10ELNS1_11target_archE1201ELNS1_3gpuE5ELNS1_3repE0EEENS1_30default_config_static_selectorELNS0_4arch9wavefront6targetE0EEEvT1_ ; -- Begin function _ZN7rocprim17ROCPRIM_400000_NS6detail17trampoline_kernelINS0_14default_configENS1_27scan_by_key_config_selectorIifEEZZNS1_16scan_by_key_implILNS1_25lookback_scan_determinismE0ELb1ES3_N6thrust23THRUST_200600_302600_NS6detail15normal_iteratorINS9_10device_ptrIiEEEENSB_INSC_IfEEEESG_fNS9_4plusIvEENS9_8equal_toIvEEfEE10hipError_tPvRmT2_T3_T4_T5_mT6_T7_P12ihipStream_tbENKUlT_T0_E_clISt17integral_constantIbLb1EES10_IbLb0EEEEDaSW_SX_EUlSW_E_NS1_11comp_targetILNS1_3genE10ELNS1_11target_archE1201ELNS1_3gpuE5ELNS1_3repE0EEENS1_30default_config_static_selectorELNS0_4arch9wavefront6targetE0EEEvT1_
	.globl	_ZN7rocprim17ROCPRIM_400000_NS6detail17trampoline_kernelINS0_14default_configENS1_27scan_by_key_config_selectorIifEEZZNS1_16scan_by_key_implILNS1_25lookback_scan_determinismE0ELb1ES3_N6thrust23THRUST_200600_302600_NS6detail15normal_iteratorINS9_10device_ptrIiEEEENSB_INSC_IfEEEESG_fNS9_4plusIvEENS9_8equal_toIvEEfEE10hipError_tPvRmT2_T3_T4_T5_mT6_T7_P12ihipStream_tbENKUlT_T0_E_clISt17integral_constantIbLb1EES10_IbLb0EEEEDaSW_SX_EUlSW_E_NS1_11comp_targetILNS1_3genE10ELNS1_11target_archE1201ELNS1_3gpuE5ELNS1_3repE0EEENS1_30default_config_static_selectorELNS0_4arch9wavefront6targetE0EEEvT1_
	.p2align	8
	.type	_ZN7rocprim17ROCPRIM_400000_NS6detail17trampoline_kernelINS0_14default_configENS1_27scan_by_key_config_selectorIifEEZZNS1_16scan_by_key_implILNS1_25lookback_scan_determinismE0ELb1ES3_N6thrust23THRUST_200600_302600_NS6detail15normal_iteratorINS9_10device_ptrIiEEEENSB_INSC_IfEEEESG_fNS9_4plusIvEENS9_8equal_toIvEEfEE10hipError_tPvRmT2_T3_T4_T5_mT6_T7_P12ihipStream_tbENKUlT_T0_E_clISt17integral_constantIbLb1EES10_IbLb0EEEEDaSW_SX_EUlSW_E_NS1_11comp_targetILNS1_3genE10ELNS1_11target_archE1201ELNS1_3gpuE5ELNS1_3repE0EEENS1_30default_config_static_selectorELNS0_4arch9wavefront6targetE0EEEvT1_,@function
_ZN7rocprim17ROCPRIM_400000_NS6detail17trampoline_kernelINS0_14default_configENS1_27scan_by_key_config_selectorIifEEZZNS1_16scan_by_key_implILNS1_25lookback_scan_determinismE0ELb1ES3_N6thrust23THRUST_200600_302600_NS6detail15normal_iteratorINS9_10device_ptrIiEEEENSB_INSC_IfEEEESG_fNS9_4plusIvEENS9_8equal_toIvEEfEE10hipError_tPvRmT2_T3_T4_T5_mT6_T7_P12ihipStream_tbENKUlT_T0_E_clISt17integral_constantIbLb1EES10_IbLb0EEEEDaSW_SX_EUlSW_E_NS1_11comp_targetILNS1_3genE10ELNS1_11target_archE1201ELNS1_3gpuE5ELNS1_3repE0EEENS1_30default_config_static_selectorELNS0_4arch9wavefront6targetE0EEEvT1_: ; @_ZN7rocprim17ROCPRIM_400000_NS6detail17trampoline_kernelINS0_14default_configENS1_27scan_by_key_config_selectorIifEEZZNS1_16scan_by_key_implILNS1_25lookback_scan_determinismE0ELb1ES3_N6thrust23THRUST_200600_302600_NS6detail15normal_iteratorINS9_10device_ptrIiEEEENSB_INSC_IfEEEESG_fNS9_4plusIvEENS9_8equal_toIvEEfEE10hipError_tPvRmT2_T3_T4_T5_mT6_T7_P12ihipStream_tbENKUlT_T0_E_clISt17integral_constantIbLb1EES10_IbLb0EEEEDaSW_SX_EUlSW_E_NS1_11comp_targetILNS1_3genE10ELNS1_11target_archE1201ELNS1_3gpuE5ELNS1_3repE0EEENS1_30default_config_static_selectorELNS0_4arch9wavefront6targetE0EEEvT1_
; %bb.0:
	.section	.rodata,"a",@progbits
	.p2align	6, 0x0
	.amdhsa_kernel _ZN7rocprim17ROCPRIM_400000_NS6detail17trampoline_kernelINS0_14default_configENS1_27scan_by_key_config_selectorIifEEZZNS1_16scan_by_key_implILNS1_25lookback_scan_determinismE0ELb1ES3_N6thrust23THRUST_200600_302600_NS6detail15normal_iteratorINS9_10device_ptrIiEEEENSB_INSC_IfEEEESG_fNS9_4plusIvEENS9_8equal_toIvEEfEE10hipError_tPvRmT2_T3_T4_T5_mT6_T7_P12ihipStream_tbENKUlT_T0_E_clISt17integral_constantIbLb1EES10_IbLb0EEEEDaSW_SX_EUlSW_E_NS1_11comp_targetILNS1_3genE10ELNS1_11target_archE1201ELNS1_3gpuE5ELNS1_3repE0EEENS1_30default_config_static_selectorELNS0_4arch9wavefront6targetE0EEEvT1_
		.amdhsa_group_segment_fixed_size 0
		.amdhsa_private_segment_fixed_size 0
		.amdhsa_kernarg_size 112
		.amdhsa_user_sgpr_count 6
		.amdhsa_user_sgpr_private_segment_buffer 1
		.amdhsa_user_sgpr_dispatch_ptr 0
		.amdhsa_user_sgpr_queue_ptr 0
		.amdhsa_user_sgpr_kernarg_segment_ptr 1
		.amdhsa_user_sgpr_dispatch_id 0
		.amdhsa_user_sgpr_flat_scratch_init 0
		.amdhsa_user_sgpr_private_segment_size 0
		.amdhsa_wavefront_size32 1
		.amdhsa_uses_dynamic_stack 0
		.amdhsa_system_sgpr_private_segment_wavefront_offset 0
		.amdhsa_system_sgpr_workgroup_id_x 1
		.amdhsa_system_sgpr_workgroup_id_y 0
		.amdhsa_system_sgpr_workgroup_id_z 0
		.amdhsa_system_sgpr_workgroup_info 0
		.amdhsa_system_vgpr_workitem_id 0
		.amdhsa_next_free_vgpr 1
		.amdhsa_next_free_sgpr 1
		.amdhsa_reserve_vcc 0
		.amdhsa_reserve_flat_scratch 0
		.amdhsa_float_round_mode_32 0
		.amdhsa_float_round_mode_16_64 0
		.amdhsa_float_denorm_mode_32 3
		.amdhsa_float_denorm_mode_16_64 3
		.amdhsa_dx10_clamp 1
		.amdhsa_ieee_mode 1
		.amdhsa_fp16_overflow 0
		.amdhsa_workgroup_processor_mode 1
		.amdhsa_memory_ordered 1
		.amdhsa_forward_progress 1
		.amdhsa_shared_vgpr_count 0
		.amdhsa_exception_fp_ieee_invalid_op 0
		.amdhsa_exception_fp_denorm_src 0
		.amdhsa_exception_fp_ieee_div_zero 0
		.amdhsa_exception_fp_ieee_overflow 0
		.amdhsa_exception_fp_ieee_underflow 0
		.amdhsa_exception_fp_ieee_inexact 0
		.amdhsa_exception_int_div_zero 0
	.end_amdhsa_kernel
	.section	.text._ZN7rocprim17ROCPRIM_400000_NS6detail17trampoline_kernelINS0_14default_configENS1_27scan_by_key_config_selectorIifEEZZNS1_16scan_by_key_implILNS1_25lookback_scan_determinismE0ELb1ES3_N6thrust23THRUST_200600_302600_NS6detail15normal_iteratorINS9_10device_ptrIiEEEENSB_INSC_IfEEEESG_fNS9_4plusIvEENS9_8equal_toIvEEfEE10hipError_tPvRmT2_T3_T4_T5_mT6_T7_P12ihipStream_tbENKUlT_T0_E_clISt17integral_constantIbLb1EES10_IbLb0EEEEDaSW_SX_EUlSW_E_NS1_11comp_targetILNS1_3genE10ELNS1_11target_archE1201ELNS1_3gpuE5ELNS1_3repE0EEENS1_30default_config_static_selectorELNS0_4arch9wavefront6targetE0EEEvT1_,"axG",@progbits,_ZN7rocprim17ROCPRIM_400000_NS6detail17trampoline_kernelINS0_14default_configENS1_27scan_by_key_config_selectorIifEEZZNS1_16scan_by_key_implILNS1_25lookback_scan_determinismE0ELb1ES3_N6thrust23THRUST_200600_302600_NS6detail15normal_iteratorINS9_10device_ptrIiEEEENSB_INSC_IfEEEESG_fNS9_4plusIvEENS9_8equal_toIvEEfEE10hipError_tPvRmT2_T3_T4_T5_mT6_T7_P12ihipStream_tbENKUlT_T0_E_clISt17integral_constantIbLb1EES10_IbLb0EEEEDaSW_SX_EUlSW_E_NS1_11comp_targetILNS1_3genE10ELNS1_11target_archE1201ELNS1_3gpuE5ELNS1_3repE0EEENS1_30default_config_static_selectorELNS0_4arch9wavefront6targetE0EEEvT1_,comdat
.Lfunc_end1446:
	.size	_ZN7rocprim17ROCPRIM_400000_NS6detail17trampoline_kernelINS0_14default_configENS1_27scan_by_key_config_selectorIifEEZZNS1_16scan_by_key_implILNS1_25lookback_scan_determinismE0ELb1ES3_N6thrust23THRUST_200600_302600_NS6detail15normal_iteratorINS9_10device_ptrIiEEEENSB_INSC_IfEEEESG_fNS9_4plusIvEENS9_8equal_toIvEEfEE10hipError_tPvRmT2_T3_T4_T5_mT6_T7_P12ihipStream_tbENKUlT_T0_E_clISt17integral_constantIbLb1EES10_IbLb0EEEEDaSW_SX_EUlSW_E_NS1_11comp_targetILNS1_3genE10ELNS1_11target_archE1201ELNS1_3gpuE5ELNS1_3repE0EEENS1_30default_config_static_selectorELNS0_4arch9wavefront6targetE0EEEvT1_, .Lfunc_end1446-_ZN7rocprim17ROCPRIM_400000_NS6detail17trampoline_kernelINS0_14default_configENS1_27scan_by_key_config_selectorIifEEZZNS1_16scan_by_key_implILNS1_25lookback_scan_determinismE0ELb1ES3_N6thrust23THRUST_200600_302600_NS6detail15normal_iteratorINS9_10device_ptrIiEEEENSB_INSC_IfEEEESG_fNS9_4plusIvEENS9_8equal_toIvEEfEE10hipError_tPvRmT2_T3_T4_T5_mT6_T7_P12ihipStream_tbENKUlT_T0_E_clISt17integral_constantIbLb1EES10_IbLb0EEEEDaSW_SX_EUlSW_E_NS1_11comp_targetILNS1_3genE10ELNS1_11target_archE1201ELNS1_3gpuE5ELNS1_3repE0EEENS1_30default_config_static_selectorELNS0_4arch9wavefront6targetE0EEEvT1_
                                        ; -- End function
	.set _ZN7rocprim17ROCPRIM_400000_NS6detail17trampoline_kernelINS0_14default_configENS1_27scan_by_key_config_selectorIifEEZZNS1_16scan_by_key_implILNS1_25lookback_scan_determinismE0ELb1ES3_N6thrust23THRUST_200600_302600_NS6detail15normal_iteratorINS9_10device_ptrIiEEEENSB_INSC_IfEEEESG_fNS9_4plusIvEENS9_8equal_toIvEEfEE10hipError_tPvRmT2_T3_T4_T5_mT6_T7_P12ihipStream_tbENKUlT_T0_E_clISt17integral_constantIbLb1EES10_IbLb0EEEEDaSW_SX_EUlSW_E_NS1_11comp_targetILNS1_3genE10ELNS1_11target_archE1201ELNS1_3gpuE5ELNS1_3repE0EEENS1_30default_config_static_selectorELNS0_4arch9wavefront6targetE0EEEvT1_.num_vgpr, 0
	.set _ZN7rocprim17ROCPRIM_400000_NS6detail17trampoline_kernelINS0_14default_configENS1_27scan_by_key_config_selectorIifEEZZNS1_16scan_by_key_implILNS1_25lookback_scan_determinismE0ELb1ES3_N6thrust23THRUST_200600_302600_NS6detail15normal_iteratorINS9_10device_ptrIiEEEENSB_INSC_IfEEEESG_fNS9_4plusIvEENS9_8equal_toIvEEfEE10hipError_tPvRmT2_T3_T4_T5_mT6_T7_P12ihipStream_tbENKUlT_T0_E_clISt17integral_constantIbLb1EES10_IbLb0EEEEDaSW_SX_EUlSW_E_NS1_11comp_targetILNS1_3genE10ELNS1_11target_archE1201ELNS1_3gpuE5ELNS1_3repE0EEENS1_30default_config_static_selectorELNS0_4arch9wavefront6targetE0EEEvT1_.num_agpr, 0
	.set _ZN7rocprim17ROCPRIM_400000_NS6detail17trampoline_kernelINS0_14default_configENS1_27scan_by_key_config_selectorIifEEZZNS1_16scan_by_key_implILNS1_25lookback_scan_determinismE0ELb1ES3_N6thrust23THRUST_200600_302600_NS6detail15normal_iteratorINS9_10device_ptrIiEEEENSB_INSC_IfEEEESG_fNS9_4plusIvEENS9_8equal_toIvEEfEE10hipError_tPvRmT2_T3_T4_T5_mT6_T7_P12ihipStream_tbENKUlT_T0_E_clISt17integral_constantIbLb1EES10_IbLb0EEEEDaSW_SX_EUlSW_E_NS1_11comp_targetILNS1_3genE10ELNS1_11target_archE1201ELNS1_3gpuE5ELNS1_3repE0EEENS1_30default_config_static_selectorELNS0_4arch9wavefront6targetE0EEEvT1_.numbered_sgpr, 0
	.set _ZN7rocprim17ROCPRIM_400000_NS6detail17trampoline_kernelINS0_14default_configENS1_27scan_by_key_config_selectorIifEEZZNS1_16scan_by_key_implILNS1_25lookback_scan_determinismE0ELb1ES3_N6thrust23THRUST_200600_302600_NS6detail15normal_iteratorINS9_10device_ptrIiEEEENSB_INSC_IfEEEESG_fNS9_4plusIvEENS9_8equal_toIvEEfEE10hipError_tPvRmT2_T3_T4_T5_mT6_T7_P12ihipStream_tbENKUlT_T0_E_clISt17integral_constantIbLb1EES10_IbLb0EEEEDaSW_SX_EUlSW_E_NS1_11comp_targetILNS1_3genE10ELNS1_11target_archE1201ELNS1_3gpuE5ELNS1_3repE0EEENS1_30default_config_static_selectorELNS0_4arch9wavefront6targetE0EEEvT1_.num_named_barrier, 0
	.set _ZN7rocprim17ROCPRIM_400000_NS6detail17trampoline_kernelINS0_14default_configENS1_27scan_by_key_config_selectorIifEEZZNS1_16scan_by_key_implILNS1_25lookback_scan_determinismE0ELb1ES3_N6thrust23THRUST_200600_302600_NS6detail15normal_iteratorINS9_10device_ptrIiEEEENSB_INSC_IfEEEESG_fNS9_4plusIvEENS9_8equal_toIvEEfEE10hipError_tPvRmT2_T3_T4_T5_mT6_T7_P12ihipStream_tbENKUlT_T0_E_clISt17integral_constantIbLb1EES10_IbLb0EEEEDaSW_SX_EUlSW_E_NS1_11comp_targetILNS1_3genE10ELNS1_11target_archE1201ELNS1_3gpuE5ELNS1_3repE0EEENS1_30default_config_static_selectorELNS0_4arch9wavefront6targetE0EEEvT1_.private_seg_size, 0
	.set _ZN7rocprim17ROCPRIM_400000_NS6detail17trampoline_kernelINS0_14default_configENS1_27scan_by_key_config_selectorIifEEZZNS1_16scan_by_key_implILNS1_25lookback_scan_determinismE0ELb1ES3_N6thrust23THRUST_200600_302600_NS6detail15normal_iteratorINS9_10device_ptrIiEEEENSB_INSC_IfEEEESG_fNS9_4plusIvEENS9_8equal_toIvEEfEE10hipError_tPvRmT2_T3_T4_T5_mT6_T7_P12ihipStream_tbENKUlT_T0_E_clISt17integral_constantIbLb1EES10_IbLb0EEEEDaSW_SX_EUlSW_E_NS1_11comp_targetILNS1_3genE10ELNS1_11target_archE1201ELNS1_3gpuE5ELNS1_3repE0EEENS1_30default_config_static_selectorELNS0_4arch9wavefront6targetE0EEEvT1_.uses_vcc, 0
	.set _ZN7rocprim17ROCPRIM_400000_NS6detail17trampoline_kernelINS0_14default_configENS1_27scan_by_key_config_selectorIifEEZZNS1_16scan_by_key_implILNS1_25lookback_scan_determinismE0ELb1ES3_N6thrust23THRUST_200600_302600_NS6detail15normal_iteratorINS9_10device_ptrIiEEEENSB_INSC_IfEEEESG_fNS9_4plusIvEENS9_8equal_toIvEEfEE10hipError_tPvRmT2_T3_T4_T5_mT6_T7_P12ihipStream_tbENKUlT_T0_E_clISt17integral_constantIbLb1EES10_IbLb0EEEEDaSW_SX_EUlSW_E_NS1_11comp_targetILNS1_3genE10ELNS1_11target_archE1201ELNS1_3gpuE5ELNS1_3repE0EEENS1_30default_config_static_selectorELNS0_4arch9wavefront6targetE0EEEvT1_.uses_flat_scratch, 0
	.set _ZN7rocprim17ROCPRIM_400000_NS6detail17trampoline_kernelINS0_14default_configENS1_27scan_by_key_config_selectorIifEEZZNS1_16scan_by_key_implILNS1_25lookback_scan_determinismE0ELb1ES3_N6thrust23THRUST_200600_302600_NS6detail15normal_iteratorINS9_10device_ptrIiEEEENSB_INSC_IfEEEESG_fNS9_4plusIvEENS9_8equal_toIvEEfEE10hipError_tPvRmT2_T3_T4_T5_mT6_T7_P12ihipStream_tbENKUlT_T0_E_clISt17integral_constantIbLb1EES10_IbLb0EEEEDaSW_SX_EUlSW_E_NS1_11comp_targetILNS1_3genE10ELNS1_11target_archE1201ELNS1_3gpuE5ELNS1_3repE0EEENS1_30default_config_static_selectorELNS0_4arch9wavefront6targetE0EEEvT1_.has_dyn_sized_stack, 0
	.set _ZN7rocprim17ROCPRIM_400000_NS6detail17trampoline_kernelINS0_14default_configENS1_27scan_by_key_config_selectorIifEEZZNS1_16scan_by_key_implILNS1_25lookback_scan_determinismE0ELb1ES3_N6thrust23THRUST_200600_302600_NS6detail15normal_iteratorINS9_10device_ptrIiEEEENSB_INSC_IfEEEESG_fNS9_4plusIvEENS9_8equal_toIvEEfEE10hipError_tPvRmT2_T3_T4_T5_mT6_T7_P12ihipStream_tbENKUlT_T0_E_clISt17integral_constantIbLb1EES10_IbLb0EEEEDaSW_SX_EUlSW_E_NS1_11comp_targetILNS1_3genE10ELNS1_11target_archE1201ELNS1_3gpuE5ELNS1_3repE0EEENS1_30default_config_static_selectorELNS0_4arch9wavefront6targetE0EEEvT1_.has_recursion, 0
	.set _ZN7rocprim17ROCPRIM_400000_NS6detail17trampoline_kernelINS0_14default_configENS1_27scan_by_key_config_selectorIifEEZZNS1_16scan_by_key_implILNS1_25lookback_scan_determinismE0ELb1ES3_N6thrust23THRUST_200600_302600_NS6detail15normal_iteratorINS9_10device_ptrIiEEEENSB_INSC_IfEEEESG_fNS9_4plusIvEENS9_8equal_toIvEEfEE10hipError_tPvRmT2_T3_T4_T5_mT6_T7_P12ihipStream_tbENKUlT_T0_E_clISt17integral_constantIbLb1EES10_IbLb0EEEEDaSW_SX_EUlSW_E_NS1_11comp_targetILNS1_3genE10ELNS1_11target_archE1201ELNS1_3gpuE5ELNS1_3repE0EEENS1_30default_config_static_selectorELNS0_4arch9wavefront6targetE0EEEvT1_.has_indirect_call, 0
	.section	.AMDGPU.csdata,"",@progbits
; Kernel info:
; codeLenInByte = 0
; TotalNumSgprs: 0
; NumVgprs: 0
; ScratchSize: 0
; MemoryBound: 0
; FloatMode: 240
; IeeeMode: 1
; LDSByteSize: 0 bytes/workgroup (compile time only)
; SGPRBlocks: 0
; VGPRBlocks: 0
; NumSGPRsForWavesPerEU: 1
; NumVGPRsForWavesPerEU: 1
; Occupancy: 16
; WaveLimiterHint : 0
; COMPUTE_PGM_RSRC2:SCRATCH_EN: 0
; COMPUTE_PGM_RSRC2:USER_SGPR: 6
; COMPUTE_PGM_RSRC2:TRAP_HANDLER: 0
; COMPUTE_PGM_RSRC2:TGID_X_EN: 1
; COMPUTE_PGM_RSRC2:TGID_Y_EN: 0
; COMPUTE_PGM_RSRC2:TGID_Z_EN: 0
; COMPUTE_PGM_RSRC2:TIDIG_COMP_CNT: 0
	.section	.text._ZN7rocprim17ROCPRIM_400000_NS6detail17trampoline_kernelINS0_14default_configENS1_27scan_by_key_config_selectorIifEEZZNS1_16scan_by_key_implILNS1_25lookback_scan_determinismE0ELb1ES3_N6thrust23THRUST_200600_302600_NS6detail15normal_iteratorINS9_10device_ptrIiEEEENSB_INSC_IfEEEESG_fNS9_4plusIvEENS9_8equal_toIvEEfEE10hipError_tPvRmT2_T3_T4_T5_mT6_T7_P12ihipStream_tbENKUlT_T0_E_clISt17integral_constantIbLb1EES10_IbLb0EEEEDaSW_SX_EUlSW_E_NS1_11comp_targetILNS1_3genE5ELNS1_11target_archE942ELNS1_3gpuE9ELNS1_3repE0EEENS1_30default_config_static_selectorELNS0_4arch9wavefront6targetE0EEEvT1_,"axG",@progbits,_ZN7rocprim17ROCPRIM_400000_NS6detail17trampoline_kernelINS0_14default_configENS1_27scan_by_key_config_selectorIifEEZZNS1_16scan_by_key_implILNS1_25lookback_scan_determinismE0ELb1ES3_N6thrust23THRUST_200600_302600_NS6detail15normal_iteratorINS9_10device_ptrIiEEEENSB_INSC_IfEEEESG_fNS9_4plusIvEENS9_8equal_toIvEEfEE10hipError_tPvRmT2_T3_T4_T5_mT6_T7_P12ihipStream_tbENKUlT_T0_E_clISt17integral_constantIbLb1EES10_IbLb0EEEEDaSW_SX_EUlSW_E_NS1_11comp_targetILNS1_3genE5ELNS1_11target_archE942ELNS1_3gpuE9ELNS1_3repE0EEENS1_30default_config_static_selectorELNS0_4arch9wavefront6targetE0EEEvT1_,comdat
	.protected	_ZN7rocprim17ROCPRIM_400000_NS6detail17trampoline_kernelINS0_14default_configENS1_27scan_by_key_config_selectorIifEEZZNS1_16scan_by_key_implILNS1_25lookback_scan_determinismE0ELb1ES3_N6thrust23THRUST_200600_302600_NS6detail15normal_iteratorINS9_10device_ptrIiEEEENSB_INSC_IfEEEESG_fNS9_4plusIvEENS9_8equal_toIvEEfEE10hipError_tPvRmT2_T3_T4_T5_mT6_T7_P12ihipStream_tbENKUlT_T0_E_clISt17integral_constantIbLb1EES10_IbLb0EEEEDaSW_SX_EUlSW_E_NS1_11comp_targetILNS1_3genE5ELNS1_11target_archE942ELNS1_3gpuE9ELNS1_3repE0EEENS1_30default_config_static_selectorELNS0_4arch9wavefront6targetE0EEEvT1_ ; -- Begin function _ZN7rocprim17ROCPRIM_400000_NS6detail17trampoline_kernelINS0_14default_configENS1_27scan_by_key_config_selectorIifEEZZNS1_16scan_by_key_implILNS1_25lookback_scan_determinismE0ELb1ES3_N6thrust23THRUST_200600_302600_NS6detail15normal_iteratorINS9_10device_ptrIiEEEENSB_INSC_IfEEEESG_fNS9_4plusIvEENS9_8equal_toIvEEfEE10hipError_tPvRmT2_T3_T4_T5_mT6_T7_P12ihipStream_tbENKUlT_T0_E_clISt17integral_constantIbLb1EES10_IbLb0EEEEDaSW_SX_EUlSW_E_NS1_11comp_targetILNS1_3genE5ELNS1_11target_archE942ELNS1_3gpuE9ELNS1_3repE0EEENS1_30default_config_static_selectorELNS0_4arch9wavefront6targetE0EEEvT1_
	.globl	_ZN7rocprim17ROCPRIM_400000_NS6detail17trampoline_kernelINS0_14default_configENS1_27scan_by_key_config_selectorIifEEZZNS1_16scan_by_key_implILNS1_25lookback_scan_determinismE0ELb1ES3_N6thrust23THRUST_200600_302600_NS6detail15normal_iteratorINS9_10device_ptrIiEEEENSB_INSC_IfEEEESG_fNS9_4plusIvEENS9_8equal_toIvEEfEE10hipError_tPvRmT2_T3_T4_T5_mT6_T7_P12ihipStream_tbENKUlT_T0_E_clISt17integral_constantIbLb1EES10_IbLb0EEEEDaSW_SX_EUlSW_E_NS1_11comp_targetILNS1_3genE5ELNS1_11target_archE942ELNS1_3gpuE9ELNS1_3repE0EEENS1_30default_config_static_selectorELNS0_4arch9wavefront6targetE0EEEvT1_
	.p2align	8
	.type	_ZN7rocprim17ROCPRIM_400000_NS6detail17trampoline_kernelINS0_14default_configENS1_27scan_by_key_config_selectorIifEEZZNS1_16scan_by_key_implILNS1_25lookback_scan_determinismE0ELb1ES3_N6thrust23THRUST_200600_302600_NS6detail15normal_iteratorINS9_10device_ptrIiEEEENSB_INSC_IfEEEESG_fNS9_4plusIvEENS9_8equal_toIvEEfEE10hipError_tPvRmT2_T3_T4_T5_mT6_T7_P12ihipStream_tbENKUlT_T0_E_clISt17integral_constantIbLb1EES10_IbLb0EEEEDaSW_SX_EUlSW_E_NS1_11comp_targetILNS1_3genE5ELNS1_11target_archE942ELNS1_3gpuE9ELNS1_3repE0EEENS1_30default_config_static_selectorELNS0_4arch9wavefront6targetE0EEEvT1_,@function
_ZN7rocprim17ROCPRIM_400000_NS6detail17trampoline_kernelINS0_14default_configENS1_27scan_by_key_config_selectorIifEEZZNS1_16scan_by_key_implILNS1_25lookback_scan_determinismE0ELb1ES3_N6thrust23THRUST_200600_302600_NS6detail15normal_iteratorINS9_10device_ptrIiEEEENSB_INSC_IfEEEESG_fNS9_4plusIvEENS9_8equal_toIvEEfEE10hipError_tPvRmT2_T3_T4_T5_mT6_T7_P12ihipStream_tbENKUlT_T0_E_clISt17integral_constantIbLb1EES10_IbLb0EEEEDaSW_SX_EUlSW_E_NS1_11comp_targetILNS1_3genE5ELNS1_11target_archE942ELNS1_3gpuE9ELNS1_3repE0EEENS1_30default_config_static_selectorELNS0_4arch9wavefront6targetE0EEEvT1_: ; @_ZN7rocprim17ROCPRIM_400000_NS6detail17trampoline_kernelINS0_14default_configENS1_27scan_by_key_config_selectorIifEEZZNS1_16scan_by_key_implILNS1_25lookback_scan_determinismE0ELb1ES3_N6thrust23THRUST_200600_302600_NS6detail15normal_iteratorINS9_10device_ptrIiEEEENSB_INSC_IfEEEESG_fNS9_4plusIvEENS9_8equal_toIvEEfEE10hipError_tPvRmT2_T3_T4_T5_mT6_T7_P12ihipStream_tbENKUlT_T0_E_clISt17integral_constantIbLb1EES10_IbLb0EEEEDaSW_SX_EUlSW_E_NS1_11comp_targetILNS1_3genE5ELNS1_11target_archE942ELNS1_3gpuE9ELNS1_3repE0EEENS1_30default_config_static_selectorELNS0_4arch9wavefront6targetE0EEEvT1_
; %bb.0:
	.section	.rodata,"a",@progbits
	.p2align	6, 0x0
	.amdhsa_kernel _ZN7rocprim17ROCPRIM_400000_NS6detail17trampoline_kernelINS0_14default_configENS1_27scan_by_key_config_selectorIifEEZZNS1_16scan_by_key_implILNS1_25lookback_scan_determinismE0ELb1ES3_N6thrust23THRUST_200600_302600_NS6detail15normal_iteratorINS9_10device_ptrIiEEEENSB_INSC_IfEEEESG_fNS9_4plusIvEENS9_8equal_toIvEEfEE10hipError_tPvRmT2_T3_T4_T5_mT6_T7_P12ihipStream_tbENKUlT_T0_E_clISt17integral_constantIbLb1EES10_IbLb0EEEEDaSW_SX_EUlSW_E_NS1_11comp_targetILNS1_3genE5ELNS1_11target_archE942ELNS1_3gpuE9ELNS1_3repE0EEENS1_30default_config_static_selectorELNS0_4arch9wavefront6targetE0EEEvT1_
		.amdhsa_group_segment_fixed_size 0
		.amdhsa_private_segment_fixed_size 0
		.amdhsa_kernarg_size 112
		.amdhsa_user_sgpr_count 6
		.amdhsa_user_sgpr_private_segment_buffer 1
		.amdhsa_user_sgpr_dispatch_ptr 0
		.amdhsa_user_sgpr_queue_ptr 0
		.amdhsa_user_sgpr_kernarg_segment_ptr 1
		.amdhsa_user_sgpr_dispatch_id 0
		.amdhsa_user_sgpr_flat_scratch_init 0
		.amdhsa_user_sgpr_private_segment_size 0
		.amdhsa_wavefront_size32 1
		.amdhsa_uses_dynamic_stack 0
		.amdhsa_system_sgpr_private_segment_wavefront_offset 0
		.amdhsa_system_sgpr_workgroup_id_x 1
		.amdhsa_system_sgpr_workgroup_id_y 0
		.amdhsa_system_sgpr_workgroup_id_z 0
		.amdhsa_system_sgpr_workgroup_info 0
		.amdhsa_system_vgpr_workitem_id 0
		.amdhsa_next_free_vgpr 1
		.amdhsa_next_free_sgpr 1
		.amdhsa_reserve_vcc 0
		.amdhsa_reserve_flat_scratch 0
		.amdhsa_float_round_mode_32 0
		.amdhsa_float_round_mode_16_64 0
		.amdhsa_float_denorm_mode_32 3
		.amdhsa_float_denorm_mode_16_64 3
		.amdhsa_dx10_clamp 1
		.amdhsa_ieee_mode 1
		.amdhsa_fp16_overflow 0
		.amdhsa_workgroup_processor_mode 1
		.amdhsa_memory_ordered 1
		.amdhsa_forward_progress 1
		.amdhsa_shared_vgpr_count 0
		.amdhsa_exception_fp_ieee_invalid_op 0
		.amdhsa_exception_fp_denorm_src 0
		.amdhsa_exception_fp_ieee_div_zero 0
		.amdhsa_exception_fp_ieee_overflow 0
		.amdhsa_exception_fp_ieee_underflow 0
		.amdhsa_exception_fp_ieee_inexact 0
		.amdhsa_exception_int_div_zero 0
	.end_amdhsa_kernel
	.section	.text._ZN7rocprim17ROCPRIM_400000_NS6detail17trampoline_kernelINS0_14default_configENS1_27scan_by_key_config_selectorIifEEZZNS1_16scan_by_key_implILNS1_25lookback_scan_determinismE0ELb1ES3_N6thrust23THRUST_200600_302600_NS6detail15normal_iteratorINS9_10device_ptrIiEEEENSB_INSC_IfEEEESG_fNS9_4plusIvEENS9_8equal_toIvEEfEE10hipError_tPvRmT2_T3_T4_T5_mT6_T7_P12ihipStream_tbENKUlT_T0_E_clISt17integral_constantIbLb1EES10_IbLb0EEEEDaSW_SX_EUlSW_E_NS1_11comp_targetILNS1_3genE5ELNS1_11target_archE942ELNS1_3gpuE9ELNS1_3repE0EEENS1_30default_config_static_selectorELNS0_4arch9wavefront6targetE0EEEvT1_,"axG",@progbits,_ZN7rocprim17ROCPRIM_400000_NS6detail17trampoline_kernelINS0_14default_configENS1_27scan_by_key_config_selectorIifEEZZNS1_16scan_by_key_implILNS1_25lookback_scan_determinismE0ELb1ES3_N6thrust23THRUST_200600_302600_NS6detail15normal_iteratorINS9_10device_ptrIiEEEENSB_INSC_IfEEEESG_fNS9_4plusIvEENS9_8equal_toIvEEfEE10hipError_tPvRmT2_T3_T4_T5_mT6_T7_P12ihipStream_tbENKUlT_T0_E_clISt17integral_constantIbLb1EES10_IbLb0EEEEDaSW_SX_EUlSW_E_NS1_11comp_targetILNS1_3genE5ELNS1_11target_archE942ELNS1_3gpuE9ELNS1_3repE0EEENS1_30default_config_static_selectorELNS0_4arch9wavefront6targetE0EEEvT1_,comdat
.Lfunc_end1447:
	.size	_ZN7rocprim17ROCPRIM_400000_NS6detail17trampoline_kernelINS0_14default_configENS1_27scan_by_key_config_selectorIifEEZZNS1_16scan_by_key_implILNS1_25lookback_scan_determinismE0ELb1ES3_N6thrust23THRUST_200600_302600_NS6detail15normal_iteratorINS9_10device_ptrIiEEEENSB_INSC_IfEEEESG_fNS9_4plusIvEENS9_8equal_toIvEEfEE10hipError_tPvRmT2_T3_T4_T5_mT6_T7_P12ihipStream_tbENKUlT_T0_E_clISt17integral_constantIbLb1EES10_IbLb0EEEEDaSW_SX_EUlSW_E_NS1_11comp_targetILNS1_3genE5ELNS1_11target_archE942ELNS1_3gpuE9ELNS1_3repE0EEENS1_30default_config_static_selectorELNS0_4arch9wavefront6targetE0EEEvT1_, .Lfunc_end1447-_ZN7rocprim17ROCPRIM_400000_NS6detail17trampoline_kernelINS0_14default_configENS1_27scan_by_key_config_selectorIifEEZZNS1_16scan_by_key_implILNS1_25lookback_scan_determinismE0ELb1ES3_N6thrust23THRUST_200600_302600_NS6detail15normal_iteratorINS9_10device_ptrIiEEEENSB_INSC_IfEEEESG_fNS9_4plusIvEENS9_8equal_toIvEEfEE10hipError_tPvRmT2_T3_T4_T5_mT6_T7_P12ihipStream_tbENKUlT_T0_E_clISt17integral_constantIbLb1EES10_IbLb0EEEEDaSW_SX_EUlSW_E_NS1_11comp_targetILNS1_3genE5ELNS1_11target_archE942ELNS1_3gpuE9ELNS1_3repE0EEENS1_30default_config_static_selectorELNS0_4arch9wavefront6targetE0EEEvT1_
                                        ; -- End function
	.set _ZN7rocprim17ROCPRIM_400000_NS6detail17trampoline_kernelINS0_14default_configENS1_27scan_by_key_config_selectorIifEEZZNS1_16scan_by_key_implILNS1_25lookback_scan_determinismE0ELb1ES3_N6thrust23THRUST_200600_302600_NS6detail15normal_iteratorINS9_10device_ptrIiEEEENSB_INSC_IfEEEESG_fNS9_4plusIvEENS9_8equal_toIvEEfEE10hipError_tPvRmT2_T3_T4_T5_mT6_T7_P12ihipStream_tbENKUlT_T0_E_clISt17integral_constantIbLb1EES10_IbLb0EEEEDaSW_SX_EUlSW_E_NS1_11comp_targetILNS1_3genE5ELNS1_11target_archE942ELNS1_3gpuE9ELNS1_3repE0EEENS1_30default_config_static_selectorELNS0_4arch9wavefront6targetE0EEEvT1_.num_vgpr, 0
	.set _ZN7rocprim17ROCPRIM_400000_NS6detail17trampoline_kernelINS0_14default_configENS1_27scan_by_key_config_selectorIifEEZZNS1_16scan_by_key_implILNS1_25lookback_scan_determinismE0ELb1ES3_N6thrust23THRUST_200600_302600_NS6detail15normal_iteratorINS9_10device_ptrIiEEEENSB_INSC_IfEEEESG_fNS9_4plusIvEENS9_8equal_toIvEEfEE10hipError_tPvRmT2_T3_T4_T5_mT6_T7_P12ihipStream_tbENKUlT_T0_E_clISt17integral_constantIbLb1EES10_IbLb0EEEEDaSW_SX_EUlSW_E_NS1_11comp_targetILNS1_3genE5ELNS1_11target_archE942ELNS1_3gpuE9ELNS1_3repE0EEENS1_30default_config_static_selectorELNS0_4arch9wavefront6targetE0EEEvT1_.num_agpr, 0
	.set _ZN7rocprim17ROCPRIM_400000_NS6detail17trampoline_kernelINS0_14default_configENS1_27scan_by_key_config_selectorIifEEZZNS1_16scan_by_key_implILNS1_25lookback_scan_determinismE0ELb1ES3_N6thrust23THRUST_200600_302600_NS6detail15normal_iteratorINS9_10device_ptrIiEEEENSB_INSC_IfEEEESG_fNS9_4plusIvEENS9_8equal_toIvEEfEE10hipError_tPvRmT2_T3_T4_T5_mT6_T7_P12ihipStream_tbENKUlT_T0_E_clISt17integral_constantIbLb1EES10_IbLb0EEEEDaSW_SX_EUlSW_E_NS1_11comp_targetILNS1_3genE5ELNS1_11target_archE942ELNS1_3gpuE9ELNS1_3repE0EEENS1_30default_config_static_selectorELNS0_4arch9wavefront6targetE0EEEvT1_.numbered_sgpr, 0
	.set _ZN7rocprim17ROCPRIM_400000_NS6detail17trampoline_kernelINS0_14default_configENS1_27scan_by_key_config_selectorIifEEZZNS1_16scan_by_key_implILNS1_25lookback_scan_determinismE0ELb1ES3_N6thrust23THRUST_200600_302600_NS6detail15normal_iteratorINS9_10device_ptrIiEEEENSB_INSC_IfEEEESG_fNS9_4plusIvEENS9_8equal_toIvEEfEE10hipError_tPvRmT2_T3_T4_T5_mT6_T7_P12ihipStream_tbENKUlT_T0_E_clISt17integral_constantIbLb1EES10_IbLb0EEEEDaSW_SX_EUlSW_E_NS1_11comp_targetILNS1_3genE5ELNS1_11target_archE942ELNS1_3gpuE9ELNS1_3repE0EEENS1_30default_config_static_selectorELNS0_4arch9wavefront6targetE0EEEvT1_.num_named_barrier, 0
	.set _ZN7rocprim17ROCPRIM_400000_NS6detail17trampoline_kernelINS0_14default_configENS1_27scan_by_key_config_selectorIifEEZZNS1_16scan_by_key_implILNS1_25lookback_scan_determinismE0ELb1ES3_N6thrust23THRUST_200600_302600_NS6detail15normal_iteratorINS9_10device_ptrIiEEEENSB_INSC_IfEEEESG_fNS9_4plusIvEENS9_8equal_toIvEEfEE10hipError_tPvRmT2_T3_T4_T5_mT6_T7_P12ihipStream_tbENKUlT_T0_E_clISt17integral_constantIbLb1EES10_IbLb0EEEEDaSW_SX_EUlSW_E_NS1_11comp_targetILNS1_3genE5ELNS1_11target_archE942ELNS1_3gpuE9ELNS1_3repE0EEENS1_30default_config_static_selectorELNS0_4arch9wavefront6targetE0EEEvT1_.private_seg_size, 0
	.set _ZN7rocprim17ROCPRIM_400000_NS6detail17trampoline_kernelINS0_14default_configENS1_27scan_by_key_config_selectorIifEEZZNS1_16scan_by_key_implILNS1_25lookback_scan_determinismE0ELb1ES3_N6thrust23THRUST_200600_302600_NS6detail15normal_iteratorINS9_10device_ptrIiEEEENSB_INSC_IfEEEESG_fNS9_4plusIvEENS9_8equal_toIvEEfEE10hipError_tPvRmT2_T3_T4_T5_mT6_T7_P12ihipStream_tbENKUlT_T0_E_clISt17integral_constantIbLb1EES10_IbLb0EEEEDaSW_SX_EUlSW_E_NS1_11comp_targetILNS1_3genE5ELNS1_11target_archE942ELNS1_3gpuE9ELNS1_3repE0EEENS1_30default_config_static_selectorELNS0_4arch9wavefront6targetE0EEEvT1_.uses_vcc, 0
	.set _ZN7rocprim17ROCPRIM_400000_NS6detail17trampoline_kernelINS0_14default_configENS1_27scan_by_key_config_selectorIifEEZZNS1_16scan_by_key_implILNS1_25lookback_scan_determinismE0ELb1ES3_N6thrust23THRUST_200600_302600_NS6detail15normal_iteratorINS9_10device_ptrIiEEEENSB_INSC_IfEEEESG_fNS9_4plusIvEENS9_8equal_toIvEEfEE10hipError_tPvRmT2_T3_T4_T5_mT6_T7_P12ihipStream_tbENKUlT_T0_E_clISt17integral_constantIbLb1EES10_IbLb0EEEEDaSW_SX_EUlSW_E_NS1_11comp_targetILNS1_3genE5ELNS1_11target_archE942ELNS1_3gpuE9ELNS1_3repE0EEENS1_30default_config_static_selectorELNS0_4arch9wavefront6targetE0EEEvT1_.uses_flat_scratch, 0
	.set _ZN7rocprim17ROCPRIM_400000_NS6detail17trampoline_kernelINS0_14default_configENS1_27scan_by_key_config_selectorIifEEZZNS1_16scan_by_key_implILNS1_25lookback_scan_determinismE0ELb1ES3_N6thrust23THRUST_200600_302600_NS6detail15normal_iteratorINS9_10device_ptrIiEEEENSB_INSC_IfEEEESG_fNS9_4plusIvEENS9_8equal_toIvEEfEE10hipError_tPvRmT2_T3_T4_T5_mT6_T7_P12ihipStream_tbENKUlT_T0_E_clISt17integral_constantIbLb1EES10_IbLb0EEEEDaSW_SX_EUlSW_E_NS1_11comp_targetILNS1_3genE5ELNS1_11target_archE942ELNS1_3gpuE9ELNS1_3repE0EEENS1_30default_config_static_selectorELNS0_4arch9wavefront6targetE0EEEvT1_.has_dyn_sized_stack, 0
	.set _ZN7rocprim17ROCPRIM_400000_NS6detail17trampoline_kernelINS0_14default_configENS1_27scan_by_key_config_selectorIifEEZZNS1_16scan_by_key_implILNS1_25lookback_scan_determinismE0ELb1ES3_N6thrust23THRUST_200600_302600_NS6detail15normal_iteratorINS9_10device_ptrIiEEEENSB_INSC_IfEEEESG_fNS9_4plusIvEENS9_8equal_toIvEEfEE10hipError_tPvRmT2_T3_T4_T5_mT6_T7_P12ihipStream_tbENKUlT_T0_E_clISt17integral_constantIbLb1EES10_IbLb0EEEEDaSW_SX_EUlSW_E_NS1_11comp_targetILNS1_3genE5ELNS1_11target_archE942ELNS1_3gpuE9ELNS1_3repE0EEENS1_30default_config_static_selectorELNS0_4arch9wavefront6targetE0EEEvT1_.has_recursion, 0
	.set _ZN7rocprim17ROCPRIM_400000_NS6detail17trampoline_kernelINS0_14default_configENS1_27scan_by_key_config_selectorIifEEZZNS1_16scan_by_key_implILNS1_25lookback_scan_determinismE0ELb1ES3_N6thrust23THRUST_200600_302600_NS6detail15normal_iteratorINS9_10device_ptrIiEEEENSB_INSC_IfEEEESG_fNS9_4plusIvEENS9_8equal_toIvEEfEE10hipError_tPvRmT2_T3_T4_T5_mT6_T7_P12ihipStream_tbENKUlT_T0_E_clISt17integral_constantIbLb1EES10_IbLb0EEEEDaSW_SX_EUlSW_E_NS1_11comp_targetILNS1_3genE5ELNS1_11target_archE942ELNS1_3gpuE9ELNS1_3repE0EEENS1_30default_config_static_selectorELNS0_4arch9wavefront6targetE0EEEvT1_.has_indirect_call, 0
	.section	.AMDGPU.csdata,"",@progbits
; Kernel info:
; codeLenInByte = 0
; TotalNumSgprs: 0
; NumVgprs: 0
; ScratchSize: 0
; MemoryBound: 0
; FloatMode: 240
; IeeeMode: 1
; LDSByteSize: 0 bytes/workgroup (compile time only)
; SGPRBlocks: 0
; VGPRBlocks: 0
; NumSGPRsForWavesPerEU: 1
; NumVGPRsForWavesPerEU: 1
; Occupancy: 16
; WaveLimiterHint : 0
; COMPUTE_PGM_RSRC2:SCRATCH_EN: 0
; COMPUTE_PGM_RSRC2:USER_SGPR: 6
; COMPUTE_PGM_RSRC2:TRAP_HANDLER: 0
; COMPUTE_PGM_RSRC2:TGID_X_EN: 1
; COMPUTE_PGM_RSRC2:TGID_Y_EN: 0
; COMPUTE_PGM_RSRC2:TGID_Z_EN: 0
; COMPUTE_PGM_RSRC2:TIDIG_COMP_CNT: 0
	.section	.text._ZN7rocprim17ROCPRIM_400000_NS6detail17trampoline_kernelINS0_14default_configENS1_27scan_by_key_config_selectorIifEEZZNS1_16scan_by_key_implILNS1_25lookback_scan_determinismE0ELb1ES3_N6thrust23THRUST_200600_302600_NS6detail15normal_iteratorINS9_10device_ptrIiEEEENSB_INSC_IfEEEESG_fNS9_4plusIvEENS9_8equal_toIvEEfEE10hipError_tPvRmT2_T3_T4_T5_mT6_T7_P12ihipStream_tbENKUlT_T0_E_clISt17integral_constantIbLb1EES10_IbLb0EEEEDaSW_SX_EUlSW_E_NS1_11comp_targetILNS1_3genE4ELNS1_11target_archE910ELNS1_3gpuE8ELNS1_3repE0EEENS1_30default_config_static_selectorELNS0_4arch9wavefront6targetE0EEEvT1_,"axG",@progbits,_ZN7rocprim17ROCPRIM_400000_NS6detail17trampoline_kernelINS0_14default_configENS1_27scan_by_key_config_selectorIifEEZZNS1_16scan_by_key_implILNS1_25lookback_scan_determinismE0ELb1ES3_N6thrust23THRUST_200600_302600_NS6detail15normal_iteratorINS9_10device_ptrIiEEEENSB_INSC_IfEEEESG_fNS9_4plusIvEENS9_8equal_toIvEEfEE10hipError_tPvRmT2_T3_T4_T5_mT6_T7_P12ihipStream_tbENKUlT_T0_E_clISt17integral_constantIbLb1EES10_IbLb0EEEEDaSW_SX_EUlSW_E_NS1_11comp_targetILNS1_3genE4ELNS1_11target_archE910ELNS1_3gpuE8ELNS1_3repE0EEENS1_30default_config_static_selectorELNS0_4arch9wavefront6targetE0EEEvT1_,comdat
	.protected	_ZN7rocprim17ROCPRIM_400000_NS6detail17trampoline_kernelINS0_14default_configENS1_27scan_by_key_config_selectorIifEEZZNS1_16scan_by_key_implILNS1_25lookback_scan_determinismE0ELb1ES3_N6thrust23THRUST_200600_302600_NS6detail15normal_iteratorINS9_10device_ptrIiEEEENSB_INSC_IfEEEESG_fNS9_4plusIvEENS9_8equal_toIvEEfEE10hipError_tPvRmT2_T3_T4_T5_mT6_T7_P12ihipStream_tbENKUlT_T0_E_clISt17integral_constantIbLb1EES10_IbLb0EEEEDaSW_SX_EUlSW_E_NS1_11comp_targetILNS1_3genE4ELNS1_11target_archE910ELNS1_3gpuE8ELNS1_3repE0EEENS1_30default_config_static_selectorELNS0_4arch9wavefront6targetE0EEEvT1_ ; -- Begin function _ZN7rocprim17ROCPRIM_400000_NS6detail17trampoline_kernelINS0_14default_configENS1_27scan_by_key_config_selectorIifEEZZNS1_16scan_by_key_implILNS1_25lookback_scan_determinismE0ELb1ES3_N6thrust23THRUST_200600_302600_NS6detail15normal_iteratorINS9_10device_ptrIiEEEENSB_INSC_IfEEEESG_fNS9_4plusIvEENS9_8equal_toIvEEfEE10hipError_tPvRmT2_T3_T4_T5_mT6_T7_P12ihipStream_tbENKUlT_T0_E_clISt17integral_constantIbLb1EES10_IbLb0EEEEDaSW_SX_EUlSW_E_NS1_11comp_targetILNS1_3genE4ELNS1_11target_archE910ELNS1_3gpuE8ELNS1_3repE0EEENS1_30default_config_static_selectorELNS0_4arch9wavefront6targetE0EEEvT1_
	.globl	_ZN7rocprim17ROCPRIM_400000_NS6detail17trampoline_kernelINS0_14default_configENS1_27scan_by_key_config_selectorIifEEZZNS1_16scan_by_key_implILNS1_25lookback_scan_determinismE0ELb1ES3_N6thrust23THRUST_200600_302600_NS6detail15normal_iteratorINS9_10device_ptrIiEEEENSB_INSC_IfEEEESG_fNS9_4plusIvEENS9_8equal_toIvEEfEE10hipError_tPvRmT2_T3_T4_T5_mT6_T7_P12ihipStream_tbENKUlT_T0_E_clISt17integral_constantIbLb1EES10_IbLb0EEEEDaSW_SX_EUlSW_E_NS1_11comp_targetILNS1_3genE4ELNS1_11target_archE910ELNS1_3gpuE8ELNS1_3repE0EEENS1_30default_config_static_selectorELNS0_4arch9wavefront6targetE0EEEvT1_
	.p2align	8
	.type	_ZN7rocprim17ROCPRIM_400000_NS6detail17trampoline_kernelINS0_14default_configENS1_27scan_by_key_config_selectorIifEEZZNS1_16scan_by_key_implILNS1_25lookback_scan_determinismE0ELb1ES3_N6thrust23THRUST_200600_302600_NS6detail15normal_iteratorINS9_10device_ptrIiEEEENSB_INSC_IfEEEESG_fNS9_4plusIvEENS9_8equal_toIvEEfEE10hipError_tPvRmT2_T3_T4_T5_mT6_T7_P12ihipStream_tbENKUlT_T0_E_clISt17integral_constantIbLb1EES10_IbLb0EEEEDaSW_SX_EUlSW_E_NS1_11comp_targetILNS1_3genE4ELNS1_11target_archE910ELNS1_3gpuE8ELNS1_3repE0EEENS1_30default_config_static_selectorELNS0_4arch9wavefront6targetE0EEEvT1_,@function
_ZN7rocprim17ROCPRIM_400000_NS6detail17trampoline_kernelINS0_14default_configENS1_27scan_by_key_config_selectorIifEEZZNS1_16scan_by_key_implILNS1_25lookback_scan_determinismE0ELb1ES3_N6thrust23THRUST_200600_302600_NS6detail15normal_iteratorINS9_10device_ptrIiEEEENSB_INSC_IfEEEESG_fNS9_4plusIvEENS9_8equal_toIvEEfEE10hipError_tPvRmT2_T3_T4_T5_mT6_T7_P12ihipStream_tbENKUlT_T0_E_clISt17integral_constantIbLb1EES10_IbLb0EEEEDaSW_SX_EUlSW_E_NS1_11comp_targetILNS1_3genE4ELNS1_11target_archE910ELNS1_3gpuE8ELNS1_3repE0EEENS1_30default_config_static_selectorELNS0_4arch9wavefront6targetE0EEEvT1_: ; @_ZN7rocprim17ROCPRIM_400000_NS6detail17trampoline_kernelINS0_14default_configENS1_27scan_by_key_config_selectorIifEEZZNS1_16scan_by_key_implILNS1_25lookback_scan_determinismE0ELb1ES3_N6thrust23THRUST_200600_302600_NS6detail15normal_iteratorINS9_10device_ptrIiEEEENSB_INSC_IfEEEESG_fNS9_4plusIvEENS9_8equal_toIvEEfEE10hipError_tPvRmT2_T3_T4_T5_mT6_T7_P12ihipStream_tbENKUlT_T0_E_clISt17integral_constantIbLb1EES10_IbLb0EEEEDaSW_SX_EUlSW_E_NS1_11comp_targetILNS1_3genE4ELNS1_11target_archE910ELNS1_3gpuE8ELNS1_3repE0EEENS1_30default_config_static_selectorELNS0_4arch9wavefront6targetE0EEEvT1_
; %bb.0:
	.section	.rodata,"a",@progbits
	.p2align	6, 0x0
	.amdhsa_kernel _ZN7rocprim17ROCPRIM_400000_NS6detail17trampoline_kernelINS0_14default_configENS1_27scan_by_key_config_selectorIifEEZZNS1_16scan_by_key_implILNS1_25lookback_scan_determinismE0ELb1ES3_N6thrust23THRUST_200600_302600_NS6detail15normal_iteratorINS9_10device_ptrIiEEEENSB_INSC_IfEEEESG_fNS9_4plusIvEENS9_8equal_toIvEEfEE10hipError_tPvRmT2_T3_T4_T5_mT6_T7_P12ihipStream_tbENKUlT_T0_E_clISt17integral_constantIbLb1EES10_IbLb0EEEEDaSW_SX_EUlSW_E_NS1_11comp_targetILNS1_3genE4ELNS1_11target_archE910ELNS1_3gpuE8ELNS1_3repE0EEENS1_30default_config_static_selectorELNS0_4arch9wavefront6targetE0EEEvT1_
		.amdhsa_group_segment_fixed_size 0
		.amdhsa_private_segment_fixed_size 0
		.amdhsa_kernarg_size 112
		.amdhsa_user_sgpr_count 6
		.amdhsa_user_sgpr_private_segment_buffer 1
		.amdhsa_user_sgpr_dispatch_ptr 0
		.amdhsa_user_sgpr_queue_ptr 0
		.amdhsa_user_sgpr_kernarg_segment_ptr 1
		.amdhsa_user_sgpr_dispatch_id 0
		.amdhsa_user_sgpr_flat_scratch_init 0
		.amdhsa_user_sgpr_private_segment_size 0
		.amdhsa_wavefront_size32 1
		.amdhsa_uses_dynamic_stack 0
		.amdhsa_system_sgpr_private_segment_wavefront_offset 0
		.amdhsa_system_sgpr_workgroup_id_x 1
		.amdhsa_system_sgpr_workgroup_id_y 0
		.amdhsa_system_sgpr_workgroup_id_z 0
		.amdhsa_system_sgpr_workgroup_info 0
		.amdhsa_system_vgpr_workitem_id 0
		.amdhsa_next_free_vgpr 1
		.amdhsa_next_free_sgpr 1
		.amdhsa_reserve_vcc 0
		.amdhsa_reserve_flat_scratch 0
		.amdhsa_float_round_mode_32 0
		.amdhsa_float_round_mode_16_64 0
		.amdhsa_float_denorm_mode_32 3
		.amdhsa_float_denorm_mode_16_64 3
		.amdhsa_dx10_clamp 1
		.amdhsa_ieee_mode 1
		.amdhsa_fp16_overflow 0
		.amdhsa_workgroup_processor_mode 1
		.amdhsa_memory_ordered 1
		.amdhsa_forward_progress 1
		.amdhsa_shared_vgpr_count 0
		.amdhsa_exception_fp_ieee_invalid_op 0
		.amdhsa_exception_fp_denorm_src 0
		.amdhsa_exception_fp_ieee_div_zero 0
		.amdhsa_exception_fp_ieee_overflow 0
		.amdhsa_exception_fp_ieee_underflow 0
		.amdhsa_exception_fp_ieee_inexact 0
		.amdhsa_exception_int_div_zero 0
	.end_amdhsa_kernel
	.section	.text._ZN7rocprim17ROCPRIM_400000_NS6detail17trampoline_kernelINS0_14default_configENS1_27scan_by_key_config_selectorIifEEZZNS1_16scan_by_key_implILNS1_25lookback_scan_determinismE0ELb1ES3_N6thrust23THRUST_200600_302600_NS6detail15normal_iteratorINS9_10device_ptrIiEEEENSB_INSC_IfEEEESG_fNS9_4plusIvEENS9_8equal_toIvEEfEE10hipError_tPvRmT2_T3_T4_T5_mT6_T7_P12ihipStream_tbENKUlT_T0_E_clISt17integral_constantIbLb1EES10_IbLb0EEEEDaSW_SX_EUlSW_E_NS1_11comp_targetILNS1_3genE4ELNS1_11target_archE910ELNS1_3gpuE8ELNS1_3repE0EEENS1_30default_config_static_selectorELNS0_4arch9wavefront6targetE0EEEvT1_,"axG",@progbits,_ZN7rocprim17ROCPRIM_400000_NS6detail17trampoline_kernelINS0_14default_configENS1_27scan_by_key_config_selectorIifEEZZNS1_16scan_by_key_implILNS1_25lookback_scan_determinismE0ELb1ES3_N6thrust23THRUST_200600_302600_NS6detail15normal_iteratorINS9_10device_ptrIiEEEENSB_INSC_IfEEEESG_fNS9_4plusIvEENS9_8equal_toIvEEfEE10hipError_tPvRmT2_T3_T4_T5_mT6_T7_P12ihipStream_tbENKUlT_T0_E_clISt17integral_constantIbLb1EES10_IbLb0EEEEDaSW_SX_EUlSW_E_NS1_11comp_targetILNS1_3genE4ELNS1_11target_archE910ELNS1_3gpuE8ELNS1_3repE0EEENS1_30default_config_static_selectorELNS0_4arch9wavefront6targetE0EEEvT1_,comdat
.Lfunc_end1448:
	.size	_ZN7rocprim17ROCPRIM_400000_NS6detail17trampoline_kernelINS0_14default_configENS1_27scan_by_key_config_selectorIifEEZZNS1_16scan_by_key_implILNS1_25lookback_scan_determinismE0ELb1ES3_N6thrust23THRUST_200600_302600_NS6detail15normal_iteratorINS9_10device_ptrIiEEEENSB_INSC_IfEEEESG_fNS9_4plusIvEENS9_8equal_toIvEEfEE10hipError_tPvRmT2_T3_T4_T5_mT6_T7_P12ihipStream_tbENKUlT_T0_E_clISt17integral_constantIbLb1EES10_IbLb0EEEEDaSW_SX_EUlSW_E_NS1_11comp_targetILNS1_3genE4ELNS1_11target_archE910ELNS1_3gpuE8ELNS1_3repE0EEENS1_30default_config_static_selectorELNS0_4arch9wavefront6targetE0EEEvT1_, .Lfunc_end1448-_ZN7rocprim17ROCPRIM_400000_NS6detail17trampoline_kernelINS0_14default_configENS1_27scan_by_key_config_selectorIifEEZZNS1_16scan_by_key_implILNS1_25lookback_scan_determinismE0ELb1ES3_N6thrust23THRUST_200600_302600_NS6detail15normal_iteratorINS9_10device_ptrIiEEEENSB_INSC_IfEEEESG_fNS9_4plusIvEENS9_8equal_toIvEEfEE10hipError_tPvRmT2_T3_T4_T5_mT6_T7_P12ihipStream_tbENKUlT_T0_E_clISt17integral_constantIbLb1EES10_IbLb0EEEEDaSW_SX_EUlSW_E_NS1_11comp_targetILNS1_3genE4ELNS1_11target_archE910ELNS1_3gpuE8ELNS1_3repE0EEENS1_30default_config_static_selectorELNS0_4arch9wavefront6targetE0EEEvT1_
                                        ; -- End function
	.set _ZN7rocprim17ROCPRIM_400000_NS6detail17trampoline_kernelINS0_14default_configENS1_27scan_by_key_config_selectorIifEEZZNS1_16scan_by_key_implILNS1_25lookback_scan_determinismE0ELb1ES3_N6thrust23THRUST_200600_302600_NS6detail15normal_iteratorINS9_10device_ptrIiEEEENSB_INSC_IfEEEESG_fNS9_4plusIvEENS9_8equal_toIvEEfEE10hipError_tPvRmT2_T3_T4_T5_mT6_T7_P12ihipStream_tbENKUlT_T0_E_clISt17integral_constantIbLb1EES10_IbLb0EEEEDaSW_SX_EUlSW_E_NS1_11comp_targetILNS1_3genE4ELNS1_11target_archE910ELNS1_3gpuE8ELNS1_3repE0EEENS1_30default_config_static_selectorELNS0_4arch9wavefront6targetE0EEEvT1_.num_vgpr, 0
	.set _ZN7rocprim17ROCPRIM_400000_NS6detail17trampoline_kernelINS0_14default_configENS1_27scan_by_key_config_selectorIifEEZZNS1_16scan_by_key_implILNS1_25lookback_scan_determinismE0ELb1ES3_N6thrust23THRUST_200600_302600_NS6detail15normal_iteratorINS9_10device_ptrIiEEEENSB_INSC_IfEEEESG_fNS9_4plusIvEENS9_8equal_toIvEEfEE10hipError_tPvRmT2_T3_T4_T5_mT6_T7_P12ihipStream_tbENKUlT_T0_E_clISt17integral_constantIbLb1EES10_IbLb0EEEEDaSW_SX_EUlSW_E_NS1_11comp_targetILNS1_3genE4ELNS1_11target_archE910ELNS1_3gpuE8ELNS1_3repE0EEENS1_30default_config_static_selectorELNS0_4arch9wavefront6targetE0EEEvT1_.num_agpr, 0
	.set _ZN7rocprim17ROCPRIM_400000_NS6detail17trampoline_kernelINS0_14default_configENS1_27scan_by_key_config_selectorIifEEZZNS1_16scan_by_key_implILNS1_25lookback_scan_determinismE0ELb1ES3_N6thrust23THRUST_200600_302600_NS6detail15normal_iteratorINS9_10device_ptrIiEEEENSB_INSC_IfEEEESG_fNS9_4plusIvEENS9_8equal_toIvEEfEE10hipError_tPvRmT2_T3_T4_T5_mT6_T7_P12ihipStream_tbENKUlT_T0_E_clISt17integral_constantIbLb1EES10_IbLb0EEEEDaSW_SX_EUlSW_E_NS1_11comp_targetILNS1_3genE4ELNS1_11target_archE910ELNS1_3gpuE8ELNS1_3repE0EEENS1_30default_config_static_selectorELNS0_4arch9wavefront6targetE0EEEvT1_.numbered_sgpr, 0
	.set _ZN7rocprim17ROCPRIM_400000_NS6detail17trampoline_kernelINS0_14default_configENS1_27scan_by_key_config_selectorIifEEZZNS1_16scan_by_key_implILNS1_25lookback_scan_determinismE0ELb1ES3_N6thrust23THRUST_200600_302600_NS6detail15normal_iteratorINS9_10device_ptrIiEEEENSB_INSC_IfEEEESG_fNS9_4plusIvEENS9_8equal_toIvEEfEE10hipError_tPvRmT2_T3_T4_T5_mT6_T7_P12ihipStream_tbENKUlT_T0_E_clISt17integral_constantIbLb1EES10_IbLb0EEEEDaSW_SX_EUlSW_E_NS1_11comp_targetILNS1_3genE4ELNS1_11target_archE910ELNS1_3gpuE8ELNS1_3repE0EEENS1_30default_config_static_selectorELNS0_4arch9wavefront6targetE0EEEvT1_.num_named_barrier, 0
	.set _ZN7rocprim17ROCPRIM_400000_NS6detail17trampoline_kernelINS0_14default_configENS1_27scan_by_key_config_selectorIifEEZZNS1_16scan_by_key_implILNS1_25lookback_scan_determinismE0ELb1ES3_N6thrust23THRUST_200600_302600_NS6detail15normal_iteratorINS9_10device_ptrIiEEEENSB_INSC_IfEEEESG_fNS9_4plusIvEENS9_8equal_toIvEEfEE10hipError_tPvRmT2_T3_T4_T5_mT6_T7_P12ihipStream_tbENKUlT_T0_E_clISt17integral_constantIbLb1EES10_IbLb0EEEEDaSW_SX_EUlSW_E_NS1_11comp_targetILNS1_3genE4ELNS1_11target_archE910ELNS1_3gpuE8ELNS1_3repE0EEENS1_30default_config_static_selectorELNS0_4arch9wavefront6targetE0EEEvT1_.private_seg_size, 0
	.set _ZN7rocprim17ROCPRIM_400000_NS6detail17trampoline_kernelINS0_14default_configENS1_27scan_by_key_config_selectorIifEEZZNS1_16scan_by_key_implILNS1_25lookback_scan_determinismE0ELb1ES3_N6thrust23THRUST_200600_302600_NS6detail15normal_iteratorINS9_10device_ptrIiEEEENSB_INSC_IfEEEESG_fNS9_4plusIvEENS9_8equal_toIvEEfEE10hipError_tPvRmT2_T3_T4_T5_mT6_T7_P12ihipStream_tbENKUlT_T0_E_clISt17integral_constantIbLb1EES10_IbLb0EEEEDaSW_SX_EUlSW_E_NS1_11comp_targetILNS1_3genE4ELNS1_11target_archE910ELNS1_3gpuE8ELNS1_3repE0EEENS1_30default_config_static_selectorELNS0_4arch9wavefront6targetE0EEEvT1_.uses_vcc, 0
	.set _ZN7rocprim17ROCPRIM_400000_NS6detail17trampoline_kernelINS0_14default_configENS1_27scan_by_key_config_selectorIifEEZZNS1_16scan_by_key_implILNS1_25lookback_scan_determinismE0ELb1ES3_N6thrust23THRUST_200600_302600_NS6detail15normal_iteratorINS9_10device_ptrIiEEEENSB_INSC_IfEEEESG_fNS9_4plusIvEENS9_8equal_toIvEEfEE10hipError_tPvRmT2_T3_T4_T5_mT6_T7_P12ihipStream_tbENKUlT_T0_E_clISt17integral_constantIbLb1EES10_IbLb0EEEEDaSW_SX_EUlSW_E_NS1_11comp_targetILNS1_3genE4ELNS1_11target_archE910ELNS1_3gpuE8ELNS1_3repE0EEENS1_30default_config_static_selectorELNS0_4arch9wavefront6targetE0EEEvT1_.uses_flat_scratch, 0
	.set _ZN7rocprim17ROCPRIM_400000_NS6detail17trampoline_kernelINS0_14default_configENS1_27scan_by_key_config_selectorIifEEZZNS1_16scan_by_key_implILNS1_25lookback_scan_determinismE0ELb1ES3_N6thrust23THRUST_200600_302600_NS6detail15normal_iteratorINS9_10device_ptrIiEEEENSB_INSC_IfEEEESG_fNS9_4plusIvEENS9_8equal_toIvEEfEE10hipError_tPvRmT2_T3_T4_T5_mT6_T7_P12ihipStream_tbENKUlT_T0_E_clISt17integral_constantIbLb1EES10_IbLb0EEEEDaSW_SX_EUlSW_E_NS1_11comp_targetILNS1_3genE4ELNS1_11target_archE910ELNS1_3gpuE8ELNS1_3repE0EEENS1_30default_config_static_selectorELNS0_4arch9wavefront6targetE0EEEvT1_.has_dyn_sized_stack, 0
	.set _ZN7rocprim17ROCPRIM_400000_NS6detail17trampoline_kernelINS0_14default_configENS1_27scan_by_key_config_selectorIifEEZZNS1_16scan_by_key_implILNS1_25lookback_scan_determinismE0ELb1ES3_N6thrust23THRUST_200600_302600_NS6detail15normal_iteratorINS9_10device_ptrIiEEEENSB_INSC_IfEEEESG_fNS9_4plusIvEENS9_8equal_toIvEEfEE10hipError_tPvRmT2_T3_T4_T5_mT6_T7_P12ihipStream_tbENKUlT_T0_E_clISt17integral_constantIbLb1EES10_IbLb0EEEEDaSW_SX_EUlSW_E_NS1_11comp_targetILNS1_3genE4ELNS1_11target_archE910ELNS1_3gpuE8ELNS1_3repE0EEENS1_30default_config_static_selectorELNS0_4arch9wavefront6targetE0EEEvT1_.has_recursion, 0
	.set _ZN7rocprim17ROCPRIM_400000_NS6detail17trampoline_kernelINS0_14default_configENS1_27scan_by_key_config_selectorIifEEZZNS1_16scan_by_key_implILNS1_25lookback_scan_determinismE0ELb1ES3_N6thrust23THRUST_200600_302600_NS6detail15normal_iteratorINS9_10device_ptrIiEEEENSB_INSC_IfEEEESG_fNS9_4plusIvEENS9_8equal_toIvEEfEE10hipError_tPvRmT2_T3_T4_T5_mT6_T7_P12ihipStream_tbENKUlT_T0_E_clISt17integral_constantIbLb1EES10_IbLb0EEEEDaSW_SX_EUlSW_E_NS1_11comp_targetILNS1_3genE4ELNS1_11target_archE910ELNS1_3gpuE8ELNS1_3repE0EEENS1_30default_config_static_selectorELNS0_4arch9wavefront6targetE0EEEvT1_.has_indirect_call, 0
	.section	.AMDGPU.csdata,"",@progbits
; Kernel info:
; codeLenInByte = 0
; TotalNumSgprs: 0
; NumVgprs: 0
; ScratchSize: 0
; MemoryBound: 0
; FloatMode: 240
; IeeeMode: 1
; LDSByteSize: 0 bytes/workgroup (compile time only)
; SGPRBlocks: 0
; VGPRBlocks: 0
; NumSGPRsForWavesPerEU: 1
; NumVGPRsForWavesPerEU: 1
; Occupancy: 16
; WaveLimiterHint : 0
; COMPUTE_PGM_RSRC2:SCRATCH_EN: 0
; COMPUTE_PGM_RSRC2:USER_SGPR: 6
; COMPUTE_PGM_RSRC2:TRAP_HANDLER: 0
; COMPUTE_PGM_RSRC2:TGID_X_EN: 1
; COMPUTE_PGM_RSRC2:TGID_Y_EN: 0
; COMPUTE_PGM_RSRC2:TGID_Z_EN: 0
; COMPUTE_PGM_RSRC2:TIDIG_COMP_CNT: 0
	.section	.text._ZN7rocprim17ROCPRIM_400000_NS6detail17trampoline_kernelINS0_14default_configENS1_27scan_by_key_config_selectorIifEEZZNS1_16scan_by_key_implILNS1_25lookback_scan_determinismE0ELb1ES3_N6thrust23THRUST_200600_302600_NS6detail15normal_iteratorINS9_10device_ptrIiEEEENSB_INSC_IfEEEESG_fNS9_4plusIvEENS9_8equal_toIvEEfEE10hipError_tPvRmT2_T3_T4_T5_mT6_T7_P12ihipStream_tbENKUlT_T0_E_clISt17integral_constantIbLb1EES10_IbLb0EEEEDaSW_SX_EUlSW_E_NS1_11comp_targetILNS1_3genE3ELNS1_11target_archE908ELNS1_3gpuE7ELNS1_3repE0EEENS1_30default_config_static_selectorELNS0_4arch9wavefront6targetE0EEEvT1_,"axG",@progbits,_ZN7rocprim17ROCPRIM_400000_NS6detail17trampoline_kernelINS0_14default_configENS1_27scan_by_key_config_selectorIifEEZZNS1_16scan_by_key_implILNS1_25lookback_scan_determinismE0ELb1ES3_N6thrust23THRUST_200600_302600_NS6detail15normal_iteratorINS9_10device_ptrIiEEEENSB_INSC_IfEEEESG_fNS9_4plusIvEENS9_8equal_toIvEEfEE10hipError_tPvRmT2_T3_T4_T5_mT6_T7_P12ihipStream_tbENKUlT_T0_E_clISt17integral_constantIbLb1EES10_IbLb0EEEEDaSW_SX_EUlSW_E_NS1_11comp_targetILNS1_3genE3ELNS1_11target_archE908ELNS1_3gpuE7ELNS1_3repE0EEENS1_30default_config_static_selectorELNS0_4arch9wavefront6targetE0EEEvT1_,comdat
	.protected	_ZN7rocprim17ROCPRIM_400000_NS6detail17trampoline_kernelINS0_14default_configENS1_27scan_by_key_config_selectorIifEEZZNS1_16scan_by_key_implILNS1_25lookback_scan_determinismE0ELb1ES3_N6thrust23THRUST_200600_302600_NS6detail15normal_iteratorINS9_10device_ptrIiEEEENSB_INSC_IfEEEESG_fNS9_4plusIvEENS9_8equal_toIvEEfEE10hipError_tPvRmT2_T3_T4_T5_mT6_T7_P12ihipStream_tbENKUlT_T0_E_clISt17integral_constantIbLb1EES10_IbLb0EEEEDaSW_SX_EUlSW_E_NS1_11comp_targetILNS1_3genE3ELNS1_11target_archE908ELNS1_3gpuE7ELNS1_3repE0EEENS1_30default_config_static_selectorELNS0_4arch9wavefront6targetE0EEEvT1_ ; -- Begin function _ZN7rocprim17ROCPRIM_400000_NS6detail17trampoline_kernelINS0_14default_configENS1_27scan_by_key_config_selectorIifEEZZNS1_16scan_by_key_implILNS1_25lookback_scan_determinismE0ELb1ES3_N6thrust23THRUST_200600_302600_NS6detail15normal_iteratorINS9_10device_ptrIiEEEENSB_INSC_IfEEEESG_fNS9_4plusIvEENS9_8equal_toIvEEfEE10hipError_tPvRmT2_T3_T4_T5_mT6_T7_P12ihipStream_tbENKUlT_T0_E_clISt17integral_constantIbLb1EES10_IbLb0EEEEDaSW_SX_EUlSW_E_NS1_11comp_targetILNS1_3genE3ELNS1_11target_archE908ELNS1_3gpuE7ELNS1_3repE0EEENS1_30default_config_static_selectorELNS0_4arch9wavefront6targetE0EEEvT1_
	.globl	_ZN7rocprim17ROCPRIM_400000_NS6detail17trampoline_kernelINS0_14default_configENS1_27scan_by_key_config_selectorIifEEZZNS1_16scan_by_key_implILNS1_25lookback_scan_determinismE0ELb1ES3_N6thrust23THRUST_200600_302600_NS6detail15normal_iteratorINS9_10device_ptrIiEEEENSB_INSC_IfEEEESG_fNS9_4plusIvEENS9_8equal_toIvEEfEE10hipError_tPvRmT2_T3_T4_T5_mT6_T7_P12ihipStream_tbENKUlT_T0_E_clISt17integral_constantIbLb1EES10_IbLb0EEEEDaSW_SX_EUlSW_E_NS1_11comp_targetILNS1_3genE3ELNS1_11target_archE908ELNS1_3gpuE7ELNS1_3repE0EEENS1_30default_config_static_selectorELNS0_4arch9wavefront6targetE0EEEvT1_
	.p2align	8
	.type	_ZN7rocprim17ROCPRIM_400000_NS6detail17trampoline_kernelINS0_14default_configENS1_27scan_by_key_config_selectorIifEEZZNS1_16scan_by_key_implILNS1_25lookback_scan_determinismE0ELb1ES3_N6thrust23THRUST_200600_302600_NS6detail15normal_iteratorINS9_10device_ptrIiEEEENSB_INSC_IfEEEESG_fNS9_4plusIvEENS9_8equal_toIvEEfEE10hipError_tPvRmT2_T3_T4_T5_mT6_T7_P12ihipStream_tbENKUlT_T0_E_clISt17integral_constantIbLb1EES10_IbLb0EEEEDaSW_SX_EUlSW_E_NS1_11comp_targetILNS1_3genE3ELNS1_11target_archE908ELNS1_3gpuE7ELNS1_3repE0EEENS1_30default_config_static_selectorELNS0_4arch9wavefront6targetE0EEEvT1_,@function
_ZN7rocprim17ROCPRIM_400000_NS6detail17trampoline_kernelINS0_14default_configENS1_27scan_by_key_config_selectorIifEEZZNS1_16scan_by_key_implILNS1_25lookback_scan_determinismE0ELb1ES3_N6thrust23THRUST_200600_302600_NS6detail15normal_iteratorINS9_10device_ptrIiEEEENSB_INSC_IfEEEESG_fNS9_4plusIvEENS9_8equal_toIvEEfEE10hipError_tPvRmT2_T3_T4_T5_mT6_T7_P12ihipStream_tbENKUlT_T0_E_clISt17integral_constantIbLb1EES10_IbLb0EEEEDaSW_SX_EUlSW_E_NS1_11comp_targetILNS1_3genE3ELNS1_11target_archE908ELNS1_3gpuE7ELNS1_3repE0EEENS1_30default_config_static_selectorELNS0_4arch9wavefront6targetE0EEEvT1_: ; @_ZN7rocprim17ROCPRIM_400000_NS6detail17trampoline_kernelINS0_14default_configENS1_27scan_by_key_config_selectorIifEEZZNS1_16scan_by_key_implILNS1_25lookback_scan_determinismE0ELb1ES3_N6thrust23THRUST_200600_302600_NS6detail15normal_iteratorINS9_10device_ptrIiEEEENSB_INSC_IfEEEESG_fNS9_4plusIvEENS9_8equal_toIvEEfEE10hipError_tPvRmT2_T3_T4_T5_mT6_T7_P12ihipStream_tbENKUlT_T0_E_clISt17integral_constantIbLb1EES10_IbLb0EEEEDaSW_SX_EUlSW_E_NS1_11comp_targetILNS1_3genE3ELNS1_11target_archE908ELNS1_3gpuE7ELNS1_3repE0EEENS1_30default_config_static_selectorELNS0_4arch9wavefront6targetE0EEEvT1_
; %bb.0:
	.section	.rodata,"a",@progbits
	.p2align	6, 0x0
	.amdhsa_kernel _ZN7rocprim17ROCPRIM_400000_NS6detail17trampoline_kernelINS0_14default_configENS1_27scan_by_key_config_selectorIifEEZZNS1_16scan_by_key_implILNS1_25lookback_scan_determinismE0ELb1ES3_N6thrust23THRUST_200600_302600_NS6detail15normal_iteratorINS9_10device_ptrIiEEEENSB_INSC_IfEEEESG_fNS9_4plusIvEENS9_8equal_toIvEEfEE10hipError_tPvRmT2_T3_T4_T5_mT6_T7_P12ihipStream_tbENKUlT_T0_E_clISt17integral_constantIbLb1EES10_IbLb0EEEEDaSW_SX_EUlSW_E_NS1_11comp_targetILNS1_3genE3ELNS1_11target_archE908ELNS1_3gpuE7ELNS1_3repE0EEENS1_30default_config_static_selectorELNS0_4arch9wavefront6targetE0EEEvT1_
		.amdhsa_group_segment_fixed_size 0
		.amdhsa_private_segment_fixed_size 0
		.amdhsa_kernarg_size 112
		.amdhsa_user_sgpr_count 6
		.amdhsa_user_sgpr_private_segment_buffer 1
		.amdhsa_user_sgpr_dispatch_ptr 0
		.amdhsa_user_sgpr_queue_ptr 0
		.amdhsa_user_sgpr_kernarg_segment_ptr 1
		.amdhsa_user_sgpr_dispatch_id 0
		.amdhsa_user_sgpr_flat_scratch_init 0
		.amdhsa_user_sgpr_private_segment_size 0
		.amdhsa_wavefront_size32 1
		.amdhsa_uses_dynamic_stack 0
		.amdhsa_system_sgpr_private_segment_wavefront_offset 0
		.amdhsa_system_sgpr_workgroup_id_x 1
		.amdhsa_system_sgpr_workgroup_id_y 0
		.amdhsa_system_sgpr_workgroup_id_z 0
		.amdhsa_system_sgpr_workgroup_info 0
		.amdhsa_system_vgpr_workitem_id 0
		.amdhsa_next_free_vgpr 1
		.amdhsa_next_free_sgpr 1
		.amdhsa_reserve_vcc 0
		.amdhsa_reserve_flat_scratch 0
		.amdhsa_float_round_mode_32 0
		.amdhsa_float_round_mode_16_64 0
		.amdhsa_float_denorm_mode_32 3
		.amdhsa_float_denorm_mode_16_64 3
		.amdhsa_dx10_clamp 1
		.amdhsa_ieee_mode 1
		.amdhsa_fp16_overflow 0
		.amdhsa_workgroup_processor_mode 1
		.amdhsa_memory_ordered 1
		.amdhsa_forward_progress 1
		.amdhsa_shared_vgpr_count 0
		.amdhsa_exception_fp_ieee_invalid_op 0
		.amdhsa_exception_fp_denorm_src 0
		.amdhsa_exception_fp_ieee_div_zero 0
		.amdhsa_exception_fp_ieee_overflow 0
		.amdhsa_exception_fp_ieee_underflow 0
		.amdhsa_exception_fp_ieee_inexact 0
		.amdhsa_exception_int_div_zero 0
	.end_amdhsa_kernel
	.section	.text._ZN7rocprim17ROCPRIM_400000_NS6detail17trampoline_kernelINS0_14default_configENS1_27scan_by_key_config_selectorIifEEZZNS1_16scan_by_key_implILNS1_25lookback_scan_determinismE0ELb1ES3_N6thrust23THRUST_200600_302600_NS6detail15normal_iteratorINS9_10device_ptrIiEEEENSB_INSC_IfEEEESG_fNS9_4plusIvEENS9_8equal_toIvEEfEE10hipError_tPvRmT2_T3_T4_T5_mT6_T7_P12ihipStream_tbENKUlT_T0_E_clISt17integral_constantIbLb1EES10_IbLb0EEEEDaSW_SX_EUlSW_E_NS1_11comp_targetILNS1_3genE3ELNS1_11target_archE908ELNS1_3gpuE7ELNS1_3repE0EEENS1_30default_config_static_selectorELNS0_4arch9wavefront6targetE0EEEvT1_,"axG",@progbits,_ZN7rocprim17ROCPRIM_400000_NS6detail17trampoline_kernelINS0_14default_configENS1_27scan_by_key_config_selectorIifEEZZNS1_16scan_by_key_implILNS1_25lookback_scan_determinismE0ELb1ES3_N6thrust23THRUST_200600_302600_NS6detail15normal_iteratorINS9_10device_ptrIiEEEENSB_INSC_IfEEEESG_fNS9_4plusIvEENS9_8equal_toIvEEfEE10hipError_tPvRmT2_T3_T4_T5_mT6_T7_P12ihipStream_tbENKUlT_T0_E_clISt17integral_constantIbLb1EES10_IbLb0EEEEDaSW_SX_EUlSW_E_NS1_11comp_targetILNS1_3genE3ELNS1_11target_archE908ELNS1_3gpuE7ELNS1_3repE0EEENS1_30default_config_static_selectorELNS0_4arch9wavefront6targetE0EEEvT1_,comdat
.Lfunc_end1449:
	.size	_ZN7rocprim17ROCPRIM_400000_NS6detail17trampoline_kernelINS0_14default_configENS1_27scan_by_key_config_selectorIifEEZZNS1_16scan_by_key_implILNS1_25lookback_scan_determinismE0ELb1ES3_N6thrust23THRUST_200600_302600_NS6detail15normal_iteratorINS9_10device_ptrIiEEEENSB_INSC_IfEEEESG_fNS9_4plusIvEENS9_8equal_toIvEEfEE10hipError_tPvRmT2_T3_T4_T5_mT6_T7_P12ihipStream_tbENKUlT_T0_E_clISt17integral_constantIbLb1EES10_IbLb0EEEEDaSW_SX_EUlSW_E_NS1_11comp_targetILNS1_3genE3ELNS1_11target_archE908ELNS1_3gpuE7ELNS1_3repE0EEENS1_30default_config_static_selectorELNS0_4arch9wavefront6targetE0EEEvT1_, .Lfunc_end1449-_ZN7rocprim17ROCPRIM_400000_NS6detail17trampoline_kernelINS0_14default_configENS1_27scan_by_key_config_selectorIifEEZZNS1_16scan_by_key_implILNS1_25lookback_scan_determinismE0ELb1ES3_N6thrust23THRUST_200600_302600_NS6detail15normal_iteratorINS9_10device_ptrIiEEEENSB_INSC_IfEEEESG_fNS9_4plusIvEENS9_8equal_toIvEEfEE10hipError_tPvRmT2_T3_T4_T5_mT6_T7_P12ihipStream_tbENKUlT_T0_E_clISt17integral_constantIbLb1EES10_IbLb0EEEEDaSW_SX_EUlSW_E_NS1_11comp_targetILNS1_3genE3ELNS1_11target_archE908ELNS1_3gpuE7ELNS1_3repE0EEENS1_30default_config_static_selectorELNS0_4arch9wavefront6targetE0EEEvT1_
                                        ; -- End function
	.set _ZN7rocprim17ROCPRIM_400000_NS6detail17trampoline_kernelINS0_14default_configENS1_27scan_by_key_config_selectorIifEEZZNS1_16scan_by_key_implILNS1_25lookback_scan_determinismE0ELb1ES3_N6thrust23THRUST_200600_302600_NS6detail15normal_iteratorINS9_10device_ptrIiEEEENSB_INSC_IfEEEESG_fNS9_4plusIvEENS9_8equal_toIvEEfEE10hipError_tPvRmT2_T3_T4_T5_mT6_T7_P12ihipStream_tbENKUlT_T0_E_clISt17integral_constantIbLb1EES10_IbLb0EEEEDaSW_SX_EUlSW_E_NS1_11comp_targetILNS1_3genE3ELNS1_11target_archE908ELNS1_3gpuE7ELNS1_3repE0EEENS1_30default_config_static_selectorELNS0_4arch9wavefront6targetE0EEEvT1_.num_vgpr, 0
	.set _ZN7rocprim17ROCPRIM_400000_NS6detail17trampoline_kernelINS0_14default_configENS1_27scan_by_key_config_selectorIifEEZZNS1_16scan_by_key_implILNS1_25lookback_scan_determinismE0ELb1ES3_N6thrust23THRUST_200600_302600_NS6detail15normal_iteratorINS9_10device_ptrIiEEEENSB_INSC_IfEEEESG_fNS9_4plusIvEENS9_8equal_toIvEEfEE10hipError_tPvRmT2_T3_T4_T5_mT6_T7_P12ihipStream_tbENKUlT_T0_E_clISt17integral_constantIbLb1EES10_IbLb0EEEEDaSW_SX_EUlSW_E_NS1_11comp_targetILNS1_3genE3ELNS1_11target_archE908ELNS1_3gpuE7ELNS1_3repE0EEENS1_30default_config_static_selectorELNS0_4arch9wavefront6targetE0EEEvT1_.num_agpr, 0
	.set _ZN7rocprim17ROCPRIM_400000_NS6detail17trampoline_kernelINS0_14default_configENS1_27scan_by_key_config_selectorIifEEZZNS1_16scan_by_key_implILNS1_25lookback_scan_determinismE0ELb1ES3_N6thrust23THRUST_200600_302600_NS6detail15normal_iteratorINS9_10device_ptrIiEEEENSB_INSC_IfEEEESG_fNS9_4plusIvEENS9_8equal_toIvEEfEE10hipError_tPvRmT2_T3_T4_T5_mT6_T7_P12ihipStream_tbENKUlT_T0_E_clISt17integral_constantIbLb1EES10_IbLb0EEEEDaSW_SX_EUlSW_E_NS1_11comp_targetILNS1_3genE3ELNS1_11target_archE908ELNS1_3gpuE7ELNS1_3repE0EEENS1_30default_config_static_selectorELNS0_4arch9wavefront6targetE0EEEvT1_.numbered_sgpr, 0
	.set _ZN7rocprim17ROCPRIM_400000_NS6detail17trampoline_kernelINS0_14default_configENS1_27scan_by_key_config_selectorIifEEZZNS1_16scan_by_key_implILNS1_25lookback_scan_determinismE0ELb1ES3_N6thrust23THRUST_200600_302600_NS6detail15normal_iteratorINS9_10device_ptrIiEEEENSB_INSC_IfEEEESG_fNS9_4plusIvEENS9_8equal_toIvEEfEE10hipError_tPvRmT2_T3_T4_T5_mT6_T7_P12ihipStream_tbENKUlT_T0_E_clISt17integral_constantIbLb1EES10_IbLb0EEEEDaSW_SX_EUlSW_E_NS1_11comp_targetILNS1_3genE3ELNS1_11target_archE908ELNS1_3gpuE7ELNS1_3repE0EEENS1_30default_config_static_selectorELNS0_4arch9wavefront6targetE0EEEvT1_.num_named_barrier, 0
	.set _ZN7rocprim17ROCPRIM_400000_NS6detail17trampoline_kernelINS0_14default_configENS1_27scan_by_key_config_selectorIifEEZZNS1_16scan_by_key_implILNS1_25lookback_scan_determinismE0ELb1ES3_N6thrust23THRUST_200600_302600_NS6detail15normal_iteratorINS9_10device_ptrIiEEEENSB_INSC_IfEEEESG_fNS9_4plusIvEENS9_8equal_toIvEEfEE10hipError_tPvRmT2_T3_T4_T5_mT6_T7_P12ihipStream_tbENKUlT_T0_E_clISt17integral_constantIbLb1EES10_IbLb0EEEEDaSW_SX_EUlSW_E_NS1_11comp_targetILNS1_3genE3ELNS1_11target_archE908ELNS1_3gpuE7ELNS1_3repE0EEENS1_30default_config_static_selectorELNS0_4arch9wavefront6targetE0EEEvT1_.private_seg_size, 0
	.set _ZN7rocprim17ROCPRIM_400000_NS6detail17trampoline_kernelINS0_14default_configENS1_27scan_by_key_config_selectorIifEEZZNS1_16scan_by_key_implILNS1_25lookback_scan_determinismE0ELb1ES3_N6thrust23THRUST_200600_302600_NS6detail15normal_iteratorINS9_10device_ptrIiEEEENSB_INSC_IfEEEESG_fNS9_4plusIvEENS9_8equal_toIvEEfEE10hipError_tPvRmT2_T3_T4_T5_mT6_T7_P12ihipStream_tbENKUlT_T0_E_clISt17integral_constantIbLb1EES10_IbLb0EEEEDaSW_SX_EUlSW_E_NS1_11comp_targetILNS1_3genE3ELNS1_11target_archE908ELNS1_3gpuE7ELNS1_3repE0EEENS1_30default_config_static_selectorELNS0_4arch9wavefront6targetE0EEEvT1_.uses_vcc, 0
	.set _ZN7rocprim17ROCPRIM_400000_NS6detail17trampoline_kernelINS0_14default_configENS1_27scan_by_key_config_selectorIifEEZZNS1_16scan_by_key_implILNS1_25lookback_scan_determinismE0ELb1ES3_N6thrust23THRUST_200600_302600_NS6detail15normal_iteratorINS9_10device_ptrIiEEEENSB_INSC_IfEEEESG_fNS9_4plusIvEENS9_8equal_toIvEEfEE10hipError_tPvRmT2_T3_T4_T5_mT6_T7_P12ihipStream_tbENKUlT_T0_E_clISt17integral_constantIbLb1EES10_IbLb0EEEEDaSW_SX_EUlSW_E_NS1_11comp_targetILNS1_3genE3ELNS1_11target_archE908ELNS1_3gpuE7ELNS1_3repE0EEENS1_30default_config_static_selectorELNS0_4arch9wavefront6targetE0EEEvT1_.uses_flat_scratch, 0
	.set _ZN7rocprim17ROCPRIM_400000_NS6detail17trampoline_kernelINS0_14default_configENS1_27scan_by_key_config_selectorIifEEZZNS1_16scan_by_key_implILNS1_25lookback_scan_determinismE0ELb1ES3_N6thrust23THRUST_200600_302600_NS6detail15normal_iteratorINS9_10device_ptrIiEEEENSB_INSC_IfEEEESG_fNS9_4plusIvEENS9_8equal_toIvEEfEE10hipError_tPvRmT2_T3_T4_T5_mT6_T7_P12ihipStream_tbENKUlT_T0_E_clISt17integral_constantIbLb1EES10_IbLb0EEEEDaSW_SX_EUlSW_E_NS1_11comp_targetILNS1_3genE3ELNS1_11target_archE908ELNS1_3gpuE7ELNS1_3repE0EEENS1_30default_config_static_selectorELNS0_4arch9wavefront6targetE0EEEvT1_.has_dyn_sized_stack, 0
	.set _ZN7rocprim17ROCPRIM_400000_NS6detail17trampoline_kernelINS0_14default_configENS1_27scan_by_key_config_selectorIifEEZZNS1_16scan_by_key_implILNS1_25lookback_scan_determinismE0ELb1ES3_N6thrust23THRUST_200600_302600_NS6detail15normal_iteratorINS9_10device_ptrIiEEEENSB_INSC_IfEEEESG_fNS9_4plusIvEENS9_8equal_toIvEEfEE10hipError_tPvRmT2_T3_T4_T5_mT6_T7_P12ihipStream_tbENKUlT_T0_E_clISt17integral_constantIbLb1EES10_IbLb0EEEEDaSW_SX_EUlSW_E_NS1_11comp_targetILNS1_3genE3ELNS1_11target_archE908ELNS1_3gpuE7ELNS1_3repE0EEENS1_30default_config_static_selectorELNS0_4arch9wavefront6targetE0EEEvT1_.has_recursion, 0
	.set _ZN7rocprim17ROCPRIM_400000_NS6detail17trampoline_kernelINS0_14default_configENS1_27scan_by_key_config_selectorIifEEZZNS1_16scan_by_key_implILNS1_25lookback_scan_determinismE0ELb1ES3_N6thrust23THRUST_200600_302600_NS6detail15normal_iteratorINS9_10device_ptrIiEEEENSB_INSC_IfEEEESG_fNS9_4plusIvEENS9_8equal_toIvEEfEE10hipError_tPvRmT2_T3_T4_T5_mT6_T7_P12ihipStream_tbENKUlT_T0_E_clISt17integral_constantIbLb1EES10_IbLb0EEEEDaSW_SX_EUlSW_E_NS1_11comp_targetILNS1_3genE3ELNS1_11target_archE908ELNS1_3gpuE7ELNS1_3repE0EEENS1_30default_config_static_selectorELNS0_4arch9wavefront6targetE0EEEvT1_.has_indirect_call, 0
	.section	.AMDGPU.csdata,"",@progbits
; Kernel info:
; codeLenInByte = 0
; TotalNumSgprs: 0
; NumVgprs: 0
; ScratchSize: 0
; MemoryBound: 0
; FloatMode: 240
; IeeeMode: 1
; LDSByteSize: 0 bytes/workgroup (compile time only)
; SGPRBlocks: 0
; VGPRBlocks: 0
; NumSGPRsForWavesPerEU: 1
; NumVGPRsForWavesPerEU: 1
; Occupancy: 16
; WaveLimiterHint : 0
; COMPUTE_PGM_RSRC2:SCRATCH_EN: 0
; COMPUTE_PGM_RSRC2:USER_SGPR: 6
; COMPUTE_PGM_RSRC2:TRAP_HANDLER: 0
; COMPUTE_PGM_RSRC2:TGID_X_EN: 1
; COMPUTE_PGM_RSRC2:TGID_Y_EN: 0
; COMPUTE_PGM_RSRC2:TGID_Z_EN: 0
; COMPUTE_PGM_RSRC2:TIDIG_COMP_CNT: 0
	.section	.text._ZN7rocprim17ROCPRIM_400000_NS6detail17trampoline_kernelINS0_14default_configENS1_27scan_by_key_config_selectorIifEEZZNS1_16scan_by_key_implILNS1_25lookback_scan_determinismE0ELb1ES3_N6thrust23THRUST_200600_302600_NS6detail15normal_iteratorINS9_10device_ptrIiEEEENSB_INSC_IfEEEESG_fNS9_4plusIvEENS9_8equal_toIvEEfEE10hipError_tPvRmT2_T3_T4_T5_mT6_T7_P12ihipStream_tbENKUlT_T0_E_clISt17integral_constantIbLb1EES10_IbLb0EEEEDaSW_SX_EUlSW_E_NS1_11comp_targetILNS1_3genE2ELNS1_11target_archE906ELNS1_3gpuE6ELNS1_3repE0EEENS1_30default_config_static_selectorELNS0_4arch9wavefront6targetE0EEEvT1_,"axG",@progbits,_ZN7rocprim17ROCPRIM_400000_NS6detail17trampoline_kernelINS0_14default_configENS1_27scan_by_key_config_selectorIifEEZZNS1_16scan_by_key_implILNS1_25lookback_scan_determinismE0ELb1ES3_N6thrust23THRUST_200600_302600_NS6detail15normal_iteratorINS9_10device_ptrIiEEEENSB_INSC_IfEEEESG_fNS9_4plusIvEENS9_8equal_toIvEEfEE10hipError_tPvRmT2_T3_T4_T5_mT6_T7_P12ihipStream_tbENKUlT_T0_E_clISt17integral_constantIbLb1EES10_IbLb0EEEEDaSW_SX_EUlSW_E_NS1_11comp_targetILNS1_3genE2ELNS1_11target_archE906ELNS1_3gpuE6ELNS1_3repE0EEENS1_30default_config_static_selectorELNS0_4arch9wavefront6targetE0EEEvT1_,comdat
	.protected	_ZN7rocprim17ROCPRIM_400000_NS6detail17trampoline_kernelINS0_14default_configENS1_27scan_by_key_config_selectorIifEEZZNS1_16scan_by_key_implILNS1_25lookback_scan_determinismE0ELb1ES3_N6thrust23THRUST_200600_302600_NS6detail15normal_iteratorINS9_10device_ptrIiEEEENSB_INSC_IfEEEESG_fNS9_4plusIvEENS9_8equal_toIvEEfEE10hipError_tPvRmT2_T3_T4_T5_mT6_T7_P12ihipStream_tbENKUlT_T0_E_clISt17integral_constantIbLb1EES10_IbLb0EEEEDaSW_SX_EUlSW_E_NS1_11comp_targetILNS1_3genE2ELNS1_11target_archE906ELNS1_3gpuE6ELNS1_3repE0EEENS1_30default_config_static_selectorELNS0_4arch9wavefront6targetE0EEEvT1_ ; -- Begin function _ZN7rocprim17ROCPRIM_400000_NS6detail17trampoline_kernelINS0_14default_configENS1_27scan_by_key_config_selectorIifEEZZNS1_16scan_by_key_implILNS1_25lookback_scan_determinismE0ELb1ES3_N6thrust23THRUST_200600_302600_NS6detail15normal_iteratorINS9_10device_ptrIiEEEENSB_INSC_IfEEEESG_fNS9_4plusIvEENS9_8equal_toIvEEfEE10hipError_tPvRmT2_T3_T4_T5_mT6_T7_P12ihipStream_tbENKUlT_T0_E_clISt17integral_constantIbLb1EES10_IbLb0EEEEDaSW_SX_EUlSW_E_NS1_11comp_targetILNS1_3genE2ELNS1_11target_archE906ELNS1_3gpuE6ELNS1_3repE0EEENS1_30default_config_static_selectorELNS0_4arch9wavefront6targetE0EEEvT1_
	.globl	_ZN7rocprim17ROCPRIM_400000_NS6detail17trampoline_kernelINS0_14default_configENS1_27scan_by_key_config_selectorIifEEZZNS1_16scan_by_key_implILNS1_25lookback_scan_determinismE0ELb1ES3_N6thrust23THRUST_200600_302600_NS6detail15normal_iteratorINS9_10device_ptrIiEEEENSB_INSC_IfEEEESG_fNS9_4plusIvEENS9_8equal_toIvEEfEE10hipError_tPvRmT2_T3_T4_T5_mT6_T7_P12ihipStream_tbENKUlT_T0_E_clISt17integral_constantIbLb1EES10_IbLb0EEEEDaSW_SX_EUlSW_E_NS1_11comp_targetILNS1_3genE2ELNS1_11target_archE906ELNS1_3gpuE6ELNS1_3repE0EEENS1_30default_config_static_selectorELNS0_4arch9wavefront6targetE0EEEvT1_
	.p2align	8
	.type	_ZN7rocprim17ROCPRIM_400000_NS6detail17trampoline_kernelINS0_14default_configENS1_27scan_by_key_config_selectorIifEEZZNS1_16scan_by_key_implILNS1_25lookback_scan_determinismE0ELb1ES3_N6thrust23THRUST_200600_302600_NS6detail15normal_iteratorINS9_10device_ptrIiEEEENSB_INSC_IfEEEESG_fNS9_4plusIvEENS9_8equal_toIvEEfEE10hipError_tPvRmT2_T3_T4_T5_mT6_T7_P12ihipStream_tbENKUlT_T0_E_clISt17integral_constantIbLb1EES10_IbLb0EEEEDaSW_SX_EUlSW_E_NS1_11comp_targetILNS1_3genE2ELNS1_11target_archE906ELNS1_3gpuE6ELNS1_3repE0EEENS1_30default_config_static_selectorELNS0_4arch9wavefront6targetE0EEEvT1_,@function
_ZN7rocprim17ROCPRIM_400000_NS6detail17trampoline_kernelINS0_14default_configENS1_27scan_by_key_config_selectorIifEEZZNS1_16scan_by_key_implILNS1_25lookback_scan_determinismE0ELb1ES3_N6thrust23THRUST_200600_302600_NS6detail15normal_iteratorINS9_10device_ptrIiEEEENSB_INSC_IfEEEESG_fNS9_4plusIvEENS9_8equal_toIvEEfEE10hipError_tPvRmT2_T3_T4_T5_mT6_T7_P12ihipStream_tbENKUlT_T0_E_clISt17integral_constantIbLb1EES10_IbLb0EEEEDaSW_SX_EUlSW_E_NS1_11comp_targetILNS1_3genE2ELNS1_11target_archE906ELNS1_3gpuE6ELNS1_3repE0EEENS1_30default_config_static_selectorELNS0_4arch9wavefront6targetE0EEEvT1_: ; @_ZN7rocprim17ROCPRIM_400000_NS6detail17trampoline_kernelINS0_14default_configENS1_27scan_by_key_config_selectorIifEEZZNS1_16scan_by_key_implILNS1_25lookback_scan_determinismE0ELb1ES3_N6thrust23THRUST_200600_302600_NS6detail15normal_iteratorINS9_10device_ptrIiEEEENSB_INSC_IfEEEESG_fNS9_4plusIvEENS9_8equal_toIvEEfEE10hipError_tPvRmT2_T3_T4_T5_mT6_T7_P12ihipStream_tbENKUlT_T0_E_clISt17integral_constantIbLb1EES10_IbLb0EEEEDaSW_SX_EUlSW_E_NS1_11comp_targetILNS1_3genE2ELNS1_11target_archE906ELNS1_3gpuE6ELNS1_3repE0EEENS1_30default_config_static_selectorELNS0_4arch9wavefront6targetE0EEEvT1_
; %bb.0:
	.section	.rodata,"a",@progbits
	.p2align	6, 0x0
	.amdhsa_kernel _ZN7rocprim17ROCPRIM_400000_NS6detail17trampoline_kernelINS0_14default_configENS1_27scan_by_key_config_selectorIifEEZZNS1_16scan_by_key_implILNS1_25lookback_scan_determinismE0ELb1ES3_N6thrust23THRUST_200600_302600_NS6detail15normal_iteratorINS9_10device_ptrIiEEEENSB_INSC_IfEEEESG_fNS9_4plusIvEENS9_8equal_toIvEEfEE10hipError_tPvRmT2_T3_T4_T5_mT6_T7_P12ihipStream_tbENKUlT_T0_E_clISt17integral_constantIbLb1EES10_IbLb0EEEEDaSW_SX_EUlSW_E_NS1_11comp_targetILNS1_3genE2ELNS1_11target_archE906ELNS1_3gpuE6ELNS1_3repE0EEENS1_30default_config_static_selectorELNS0_4arch9wavefront6targetE0EEEvT1_
		.amdhsa_group_segment_fixed_size 0
		.amdhsa_private_segment_fixed_size 0
		.amdhsa_kernarg_size 112
		.amdhsa_user_sgpr_count 6
		.amdhsa_user_sgpr_private_segment_buffer 1
		.amdhsa_user_sgpr_dispatch_ptr 0
		.amdhsa_user_sgpr_queue_ptr 0
		.amdhsa_user_sgpr_kernarg_segment_ptr 1
		.amdhsa_user_sgpr_dispatch_id 0
		.amdhsa_user_sgpr_flat_scratch_init 0
		.amdhsa_user_sgpr_private_segment_size 0
		.amdhsa_wavefront_size32 1
		.amdhsa_uses_dynamic_stack 0
		.amdhsa_system_sgpr_private_segment_wavefront_offset 0
		.amdhsa_system_sgpr_workgroup_id_x 1
		.amdhsa_system_sgpr_workgroup_id_y 0
		.amdhsa_system_sgpr_workgroup_id_z 0
		.amdhsa_system_sgpr_workgroup_info 0
		.amdhsa_system_vgpr_workitem_id 0
		.amdhsa_next_free_vgpr 1
		.amdhsa_next_free_sgpr 1
		.amdhsa_reserve_vcc 0
		.amdhsa_reserve_flat_scratch 0
		.amdhsa_float_round_mode_32 0
		.amdhsa_float_round_mode_16_64 0
		.amdhsa_float_denorm_mode_32 3
		.amdhsa_float_denorm_mode_16_64 3
		.amdhsa_dx10_clamp 1
		.amdhsa_ieee_mode 1
		.amdhsa_fp16_overflow 0
		.amdhsa_workgroup_processor_mode 1
		.amdhsa_memory_ordered 1
		.amdhsa_forward_progress 1
		.amdhsa_shared_vgpr_count 0
		.amdhsa_exception_fp_ieee_invalid_op 0
		.amdhsa_exception_fp_denorm_src 0
		.amdhsa_exception_fp_ieee_div_zero 0
		.amdhsa_exception_fp_ieee_overflow 0
		.amdhsa_exception_fp_ieee_underflow 0
		.amdhsa_exception_fp_ieee_inexact 0
		.amdhsa_exception_int_div_zero 0
	.end_amdhsa_kernel
	.section	.text._ZN7rocprim17ROCPRIM_400000_NS6detail17trampoline_kernelINS0_14default_configENS1_27scan_by_key_config_selectorIifEEZZNS1_16scan_by_key_implILNS1_25lookback_scan_determinismE0ELb1ES3_N6thrust23THRUST_200600_302600_NS6detail15normal_iteratorINS9_10device_ptrIiEEEENSB_INSC_IfEEEESG_fNS9_4plusIvEENS9_8equal_toIvEEfEE10hipError_tPvRmT2_T3_T4_T5_mT6_T7_P12ihipStream_tbENKUlT_T0_E_clISt17integral_constantIbLb1EES10_IbLb0EEEEDaSW_SX_EUlSW_E_NS1_11comp_targetILNS1_3genE2ELNS1_11target_archE906ELNS1_3gpuE6ELNS1_3repE0EEENS1_30default_config_static_selectorELNS0_4arch9wavefront6targetE0EEEvT1_,"axG",@progbits,_ZN7rocprim17ROCPRIM_400000_NS6detail17trampoline_kernelINS0_14default_configENS1_27scan_by_key_config_selectorIifEEZZNS1_16scan_by_key_implILNS1_25lookback_scan_determinismE0ELb1ES3_N6thrust23THRUST_200600_302600_NS6detail15normal_iteratorINS9_10device_ptrIiEEEENSB_INSC_IfEEEESG_fNS9_4plusIvEENS9_8equal_toIvEEfEE10hipError_tPvRmT2_T3_T4_T5_mT6_T7_P12ihipStream_tbENKUlT_T0_E_clISt17integral_constantIbLb1EES10_IbLb0EEEEDaSW_SX_EUlSW_E_NS1_11comp_targetILNS1_3genE2ELNS1_11target_archE906ELNS1_3gpuE6ELNS1_3repE0EEENS1_30default_config_static_selectorELNS0_4arch9wavefront6targetE0EEEvT1_,comdat
.Lfunc_end1450:
	.size	_ZN7rocprim17ROCPRIM_400000_NS6detail17trampoline_kernelINS0_14default_configENS1_27scan_by_key_config_selectorIifEEZZNS1_16scan_by_key_implILNS1_25lookback_scan_determinismE0ELb1ES3_N6thrust23THRUST_200600_302600_NS6detail15normal_iteratorINS9_10device_ptrIiEEEENSB_INSC_IfEEEESG_fNS9_4plusIvEENS9_8equal_toIvEEfEE10hipError_tPvRmT2_T3_T4_T5_mT6_T7_P12ihipStream_tbENKUlT_T0_E_clISt17integral_constantIbLb1EES10_IbLb0EEEEDaSW_SX_EUlSW_E_NS1_11comp_targetILNS1_3genE2ELNS1_11target_archE906ELNS1_3gpuE6ELNS1_3repE0EEENS1_30default_config_static_selectorELNS0_4arch9wavefront6targetE0EEEvT1_, .Lfunc_end1450-_ZN7rocprim17ROCPRIM_400000_NS6detail17trampoline_kernelINS0_14default_configENS1_27scan_by_key_config_selectorIifEEZZNS1_16scan_by_key_implILNS1_25lookback_scan_determinismE0ELb1ES3_N6thrust23THRUST_200600_302600_NS6detail15normal_iteratorINS9_10device_ptrIiEEEENSB_INSC_IfEEEESG_fNS9_4plusIvEENS9_8equal_toIvEEfEE10hipError_tPvRmT2_T3_T4_T5_mT6_T7_P12ihipStream_tbENKUlT_T0_E_clISt17integral_constantIbLb1EES10_IbLb0EEEEDaSW_SX_EUlSW_E_NS1_11comp_targetILNS1_3genE2ELNS1_11target_archE906ELNS1_3gpuE6ELNS1_3repE0EEENS1_30default_config_static_selectorELNS0_4arch9wavefront6targetE0EEEvT1_
                                        ; -- End function
	.set _ZN7rocprim17ROCPRIM_400000_NS6detail17trampoline_kernelINS0_14default_configENS1_27scan_by_key_config_selectorIifEEZZNS1_16scan_by_key_implILNS1_25lookback_scan_determinismE0ELb1ES3_N6thrust23THRUST_200600_302600_NS6detail15normal_iteratorINS9_10device_ptrIiEEEENSB_INSC_IfEEEESG_fNS9_4plusIvEENS9_8equal_toIvEEfEE10hipError_tPvRmT2_T3_T4_T5_mT6_T7_P12ihipStream_tbENKUlT_T0_E_clISt17integral_constantIbLb1EES10_IbLb0EEEEDaSW_SX_EUlSW_E_NS1_11comp_targetILNS1_3genE2ELNS1_11target_archE906ELNS1_3gpuE6ELNS1_3repE0EEENS1_30default_config_static_selectorELNS0_4arch9wavefront6targetE0EEEvT1_.num_vgpr, 0
	.set _ZN7rocprim17ROCPRIM_400000_NS6detail17trampoline_kernelINS0_14default_configENS1_27scan_by_key_config_selectorIifEEZZNS1_16scan_by_key_implILNS1_25lookback_scan_determinismE0ELb1ES3_N6thrust23THRUST_200600_302600_NS6detail15normal_iteratorINS9_10device_ptrIiEEEENSB_INSC_IfEEEESG_fNS9_4plusIvEENS9_8equal_toIvEEfEE10hipError_tPvRmT2_T3_T4_T5_mT6_T7_P12ihipStream_tbENKUlT_T0_E_clISt17integral_constantIbLb1EES10_IbLb0EEEEDaSW_SX_EUlSW_E_NS1_11comp_targetILNS1_3genE2ELNS1_11target_archE906ELNS1_3gpuE6ELNS1_3repE0EEENS1_30default_config_static_selectorELNS0_4arch9wavefront6targetE0EEEvT1_.num_agpr, 0
	.set _ZN7rocprim17ROCPRIM_400000_NS6detail17trampoline_kernelINS0_14default_configENS1_27scan_by_key_config_selectorIifEEZZNS1_16scan_by_key_implILNS1_25lookback_scan_determinismE0ELb1ES3_N6thrust23THRUST_200600_302600_NS6detail15normal_iteratorINS9_10device_ptrIiEEEENSB_INSC_IfEEEESG_fNS9_4plusIvEENS9_8equal_toIvEEfEE10hipError_tPvRmT2_T3_T4_T5_mT6_T7_P12ihipStream_tbENKUlT_T0_E_clISt17integral_constantIbLb1EES10_IbLb0EEEEDaSW_SX_EUlSW_E_NS1_11comp_targetILNS1_3genE2ELNS1_11target_archE906ELNS1_3gpuE6ELNS1_3repE0EEENS1_30default_config_static_selectorELNS0_4arch9wavefront6targetE0EEEvT1_.numbered_sgpr, 0
	.set _ZN7rocprim17ROCPRIM_400000_NS6detail17trampoline_kernelINS0_14default_configENS1_27scan_by_key_config_selectorIifEEZZNS1_16scan_by_key_implILNS1_25lookback_scan_determinismE0ELb1ES3_N6thrust23THRUST_200600_302600_NS6detail15normal_iteratorINS9_10device_ptrIiEEEENSB_INSC_IfEEEESG_fNS9_4plusIvEENS9_8equal_toIvEEfEE10hipError_tPvRmT2_T3_T4_T5_mT6_T7_P12ihipStream_tbENKUlT_T0_E_clISt17integral_constantIbLb1EES10_IbLb0EEEEDaSW_SX_EUlSW_E_NS1_11comp_targetILNS1_3genE2ELNS1_11target_archE906ELNS1_3gpuE6ELNS1_3repE0EEENS1_30default_config_static_selectorELNS0_4arch9wavefront6targetE0EEEvT1_.num_named_barrier, 0
	.set _ZN7rocprim17ROCPRIM_400000_NS6detail17trampoline_kernelINS0_14default_configENS1_27scan_by_key_config_selectorIifEEZZNS1_16scan_by_key_implILNS1_25lookback_scan_determinismE0ELb1ES3_N6thrust23THRUST_200600_302600_NS6detail15normal_iteratorINS9_10device_ptrIiEEEENSB_INSC_IfEEEESG_fNS9_4plusIvEENS9_8equal_toIvEEfEE10hipError_tPvRmT2_T3_T4_T5_mT6_T7_P12ihipStream_tbENKUlT_T0_E_clISt17integral_constantIbLb1EES10_IbLb0EEEEDaSW_SX_EUlSW_E_NS1_11comp_targetILNS1_3genE2ELNS1_11target_archE906ELNS1_3gpuE6ELNS1_3repE0EEENS1_30default_config_static_selectorELNS0_4arch9wavefront6targetE0EEEvT1_.private_seg_size, 0
	.set _ZN7rocprim17ROCPRIM_400000_NS6detail17trampoline_kernelINS0_14default_configENS1_27scan_by_key_config_selectorIifEEZZNS1_16scan_by_key_implILNS1_25lookback_scan_determinismE0ELb1ES3_N6thrust23THRUST_200600_302600_NS6detail15normal_iteratorINS9_10device_ptrIiEEEENSB_INSC_IfEEEESG_fNS9_4plusIvEENS9_8equal_toIvEEfEE10hipError_tPvRmT2_T3_T4_T5_mT6_T7_P12ihipStream_tbENKUlT_T0_E_clISt17integral_constantIbLb1EES10_IbLb0EEEEDaSW_SX_EUlSW_E_NS1_11comp_targetILNS1_3genE2ELNS1_11target_archE906ELNS1_3gpuE6ELNS1_3repE0EEENS1_30default_config_static_selectorELNS0_4arch9wavefront6targetE0EEEvT1_.uses_vcc, 0
	.set _ZN7rocprim17ROCPRIM_400000_NS6detail17trampoline_kernelINS0_14default_configENS1_27scan_by_key_config_selectorIifEEZZNS1_16scan_by_key_implILNS1_25lookback_scan_determinismE0ELb1ES3_N6thrust23THRUST_200600_302600_NS6detail15normal_iteratorINS9_10device_ptrIiEEEENSB_INSC_IfEEEESG_fNS9_4plusIvEENS9_8equal_toIvEEfEE10hipError_tPvRmT2_T3_T4_T5_mT6_T7_P12ihipStream_tbENKUlT_T0_E_clISt17integral_constantIbLb1EES10_IbLb0EEEEDaSW_SX_EUlSW_E_NS1_11comp_targetILNS1_3genE2ELNS1_11target_archE906ELNS1_3gpuE6ELNS1_3repE0EEENS1_30default_config_static_selectorELNS0_4arch9wavefront6targetE0EEEvT1_.uses_flat_scratch, 0
	.set _ZN7rocprim17ROCPRIM_400000_NS6detail17trampoline_kernelINS0_14default_configENS1_27scan_by_key_config_selectorIifEEZZNS1_16scan_by_key_implILNS1_25lookback_scan_determinismE0ELb1ES3_N6thrust23THRUST_200600_302600_NS6detail15normal_iteratorINS9_10device_ptrIiEEEENSB_INSC_IfEEEESG_fNS9_4plusIvEENS9_8equal_toIvEEfEE10hipError_tPvRmT2_T3_T4_T5_mT6_T7_P12ihipStream_tbENKUlT_T0_E_clISt17integral_constantIbLb1EES10_IbLb0EEEEDaSW_SX_EUlSW_E_NS1_11comp_targetILNS1_3genE2ELNS1_11target_archE906ELNS1_3gpuE6ELNS1_3repE0EEENS1_30default_config_static_selectorELNS0_4arch9wavefront6targetE0EEEvT1_.has_dyn_sized_stack, 0
	.set _ZN7rocprim17ROCPRIM_400000_NS6detail17trampoline_kernelINS0_14default_configENS1_27scan_by_key_config_selectorIifEEZZNS1_16scan_by_key_implILNS1_25lookback_scan_determinismE0ELb1ES3_N6thrust23THRUST_200600_302600_NS6detail15normal_iteratorINS9_10device_ptrIiEEEENSB_INSC_IfEEEESG_fNS9_4plusIvEENS9_8equal_toIvEEfEE10hipError_tPvRmT2_T3_T4_T5_mT6_T7_P12ihipStream_tbENKUlT_T0_E_clISt17integral_constantIbLb1EES10_IbLb0EEEEDaSW_SX_EUlSW_E_NS1_11comp_targetILNS1_3genE2ELNS1_11target_archE906ELNS1_3gpuE6ELNS1_3repE0EEENS1_30default_config_static_selectorELNS0_4arch9wavefront6targetE0EEEvT1_.has_recursion, 0
	.set _ZN7rocprim17ROCPRIM_400000_NS6detail17trampoline_kernelINS0_14default_configENS1_27scan_by_key_config_selectorIifEEZZNS1_16scan_by_key_implILNS1_25lookback_scan_determinismE0ELb1ES3_N6thrust23THRUST_200600_302600_NS6detail15normal_iteratorINS9_10device_ptrIiEEEENSB_INSC_IfEEEESG_fNS9_4plusIvEENS9_8equal_toIvEEfEE10hipError_tPvRmT2_T3_T4_T5_mT6_T7_P12ihipStream_tbENKUlT_T0_E_clISt17integral_constantIbLb1EES10_IbLb0EEEEDaSW_SX_EUlSW_E_NS1_11comp_targetILNS1_3genE2ELNS1_11target_archE906ELNS1_3gpuE6ELNS1_3repE0EEENS1_30default_config_static_selectorELNS0_4arch9wavefront6targetE0EEEvT1_.has_indirect_call, 0
	.section	.AMDGPU.csdata,"",@progbits
; Kernel info:
; codeLenInByte = 0
; TotalNumSgprs: 0
; NumVgprs: 0
; ScratchSize: 0
; MemoryBound: 0
; FloatMode: 240
; IeeeMode: 1
; LDSByteSize: 0 bytes/workgroup (compile time only)
; SGPRBlocks: 0
; VGPRBlocks: 0
; NumSGPRsForWavesPerEU: 1
; NumVGPRsForWavesPerEU: 1
; Occupancy: 16
; WaveLimiterHint : 0
; COMPUTE_PGM_RSRC2:SCRATCH_EN: 0
; COMPUTE_PGM_RSRC2:USER_SGPR: 6
; COMPUTE_PGM_RSRC2:TRAP_HANDLER: 0
; COMPUTE_PGM_RSRC2:TGID_X_EN: 1
; COMPUTE_PGM_RSRC2:TGID_Y_EN: 0
; COMPUTE_PGM_RSRC2:TGID_Z_EN: 0
; COMPUTE_PGM_RSRC2:TIDIG_COMP_CNT: 0
	.section	.text._ZN7rocprim17ROCPRIM_400000_NS6detail17trampoline_kernelINS0_14default_configENS1_27scan_by_key_config_selectorIifEEZZNS1_16scan_by_key_implILNS1_25lookback_scan_determinismE0ELb1ES3_N6thrust23THRUST_200600_302600_NS6detail15normal_iteratorINS9_10device_ptrIiEEEENSB_INSC_IfEEEESG_fNS9_4plusIvEENS9_8equal_toIvEEfEE10hipError_tPvRmT2_T3_T4_T5_mT6_T7_P12ihipStream_tbENKUlT_T0_E_clISt17integral_constantIbLb1EES10_IbLb0EEEEDaSW_SX_EUlSW_E_NS1_11comp_targetILNS1_3genE10ELNS1_11target_archE1200ELNS1_3gpuE4ELNS1_3repE0EEENS1_30default_config_static_selectorELNS0_4arch9wavefront6targetE0EEEvT1_,"axG",@progbits,_ZN7rocprim17ROCPRIM_400000_NS6detail17trampoline_kernelINS0_14default_configENS1_27scan_by_key_config_selectorIifEEZZNS1_16scan_by_key_implILNS1_25lookback_scan_determinismE0ELb1ES3_N6thrust23THRUST_200600_302600_NS6detail15normal_iteratorINS9_10device_ptrIiEEEENSB_INSC_IfEEEESG_fNS9_4plusIvEENS9_8equal_toIvEEfEE10hipError_tPvRmT2_T3_T4_T5_mT6_T7_P12ihipStream_tbENKUlT_T0_E_clISt17integral_constantIbLb1EES10_IbLb0EEEEDaSW_SX_EUlSW_E_NS1_11comp_targetILNS1_3genE10ELNS1_11target_archE1200ELNS1_3gpuE4ELNS1_3repE0EEENS1_30default_config_static_selectorELNS0_4arch9wavefront6targetE0EEEvT1_,comdat
	.protected	_ZN7rocprim17ROCPRIM_400000_NS6detail17trampoline_kernelINS0_14default_configENS1_27scan_by_key_config_selectorIifEEZZNS1_16scan_by_key_implILNS1_25lookback_scan_determinismE0ELb1ES3_N6thrust23THRUST_200600_302600_NS6detail15normal_iteratorINS9_10device_ptrIiEEEENSB_INSC_IfEEEESG_fNS9_4plusIvEENS9_8equal_toIvEEfEE10hipError_tPvRmT2_T3_T4_T5_mT6_T7_P12ihipStream_tbENKUlT_T0_E_clISt17integral_constantIbLb1EES10_IbLb0EEEEDaSW_SX_EUlSW_E_NS1_11comp_targetILNS1_3genE10ELNS1_11target_archE1200ELNS1_3gpuE4ELNS1_3repE0EEENS1_30default_config_static_selectorELNS0_4arch9wavefront6targetE0EEEvT1_ ; -- Begin function _ZN7rocprim17ROCPRIM_400000_NS6detail17trampoline_kernelINS0_14default_configENS1_27scan_by_key_config_selectorIifEEZZNS1_16scan_by_key_implILNS1_25lookback_scan_determinismE0ELb1ES3_N6thrust23THRUST_200600_302600_NS6detail15normal_iteratorINS9_10device_ptrIiEEEENSB_INSC_IfEEEESG_fNS9_4plusIvEENS9_8equal_toIvEEfEE10hipError_tPvRmT2_T3_T4_T5_mT6_T7_P12ihipStream_tbENKUlT_T0_E_clISt17integral_constantIbLb1EES10_IbLb0EEEEDaSW_SX_EUlSW_E_NS1_11comp_targetILNS1_3genE10ELNS1_11target_archE1200ELNS1_3gpuE4ELNS1_3repE0EEENS1_30default_config_static_selectorELNS0_4arch9wavefront6targetE0EEEvT1_
	.globl	_ZN7rocprim17ROCPRIM_400000_NS6detail17trampoline_kernelINS0_14default_configENS1_27scan_by_key_config_selectorIifEEZZNS1_16scan_by_key_implILNS1_25lookback_scan_determinismE0ELb1ES3_N6thrust23THRUST_200600_302600_NS6detail15normal_iteratorINS9_10device_ptrIiEEEENSB_INSC_IfEEEESG_fNS9_4plusIvEENS9_8equal_toIvEEfEE10hipError_tPvRmT2_T3_T4_T5_mT6_T7_P12ihipStream_tbENKUlT_T0_E_clISt17integral_constantIbLb1EES10_IbLb0EEEEDaSW_SX_EUlSW_E_NS1_11comp_targetILNS1_3genE10ELNS1_11target_archE1200ELNS1_3gpuE4ELNS1_3repE0EEENS1_30default_config_static_selectorELNS0_4arch9wavefront6targetE0EEEvT1_
	.p2align	8
	.type	_ZN7rocprim17ROCPRIM_400000_NS6detail17trampoline_kernelINS0_14default_configENS1_27scan_by_key_config_selectorIifEEZZNS1_16scan_by_key_implILNS1_25lookback_scan_determinismE0ELb1ES3_N6thrust23THRUST_200600_302600_NS6detail15normal_iteratorINS9_10device_ptrIiEEEENSB_INSC_IfEEEESG_fNS9_4plusIvEENS9_8equal_toIvEEfEE10hipError_tPvRmT2_T3_T4_T5_mT6_T7_P12ihipStream_tbENKUlT_T0_E_clISt17integral_constantIbLb1EES10_IbLb0EEEEDaSW_SX_EUlSW_E_NS1_11comp_targetILNS1_3genE10ELNS1_11target_archE1200ELNS1_3gpuE4ELNS1_3repE0EEENS1_30default_config_static_selectorELNS0_4arch9wavefront6targetE0EEEvT1_,@function
_ZN7rocprim17ROCPRIM_400000_NS6detail17trampoline_kernelINS0_14default_configENS1_27scan_by_key_config_selectorIifEEZZNS1_16scan_by_key_implILNS1_25lookback_scan_determinismE0ELb1ES3_N6thrust23THRUST_200600_302600_NS6detail15normal_iteratorINS9_10device_ptrIiEEEENSB_INSC_IfEEEESG_fNS9_4plusIvEENS9_8equal_toIvEEfEE10hipError_tPvRmT2_T3_T4_T5_mT6_T7_P12ihipStream_tbENKUlT_T0_E_clISt17integral_constantIbLb1EES10_IbLb0EEEEDaSW_SX_EUlSW_E_NS1_11comp_targetILNS1_3genE10ELNS1_11target_archE1200ELNS1_3gpuE4ELNS1_3repE0EEENS1_30default_config_static_selectorELNS0_4arch9wavefront6targetE0EEEvT1_: ; @_ZN7rocprim17ROCPRIM_400000_NS6detail17trampoline_kernelINS0_14default_configENS1_27scan_by_key_config_selectorIifEEZZNS1_16scan_by_key_implILNS1_25lookback_scan_determinismE0ELb1ES3_N6thrust23THRUST_200600_302600_NS6detail15normal_iteratorINS9_10device_ptrIiEEEENSB_INSC_IfEEEESG_fNS9_4plusIvEENS9_8equal_toIvEEfEE10hipError_tPvRmT2_T3_T4_T5_mT6_T7_P12ihipStream_tbENKUlT_T0_E_clISt17integral_constantIbLb1EES10_IbLb0EEEEDaSW_SX_EUlSW_E_NS1_11comp_targetILNS1_3genE10ELNS1_11target_archE1200ELNS1_3gpuE4ELNS1_3repE0EEENS1_30default_config_static_selectorELNS0_4arch9wavefront6targetE0EEEvT1_
; %bb.0:
	.section	.rodata,"a",@progbits
	.p2align	6, 0x0
	.amdhsa_kernel _ZN7rocprim17ROCPRIM_400000_NS6detail17trampoline_kernelINS0_14default_configENS1_27scan_by_key_config_selectorIifEEZZNS1_16scan_by_key_implILNS1_25lookback_scan_determinismE0ELb1ES3_N6thrust23THRUST_200600_302600_NS6detail15normal_iteratorINS9_10device_ptrIiEEEENSB_INSC_IfEEEESG_fNS9_4plusIvEENS9_8equal_toIvEEfEE10hipError_tPvRmT2_T3_T4_T5_mT6_T7_P12ihipStream_tbENKUlT_T0_E_clISt17integral_constantIbLb1EES10_IbLb0EEEEDaSW_SX_EUlSW_E_NS1_11comp_targetILNS1_3genE10ELNS1_11target_archE1200ELNS1_3gpuE4ELNS1_3repE0EEENS1_30default_config_static_selectorELNS0_4arch9wavefront6targetE0EEEvT1_
		.amdhsa_group_segment_fixed_size 0
		.amdhsa_private_segment_fixed_size 0
		.amdhsa_kernarg_size 112
		.amdhsa_user_sgpr_count 6
		.amdhsa_user_sgpr_private_segment_buffer 1
		.amdhsa_user_sgpr_dispatch_ptr 0
		.amdhsa_user_sgpr_queue_ptr 0
		.amdhsa_user_sgpr_kernarg_segment_ptr 1
		.amdhsa_user_sgpr_dispatch_id 0
		.amdhsa_user_sgpr_flat_scratch_init 0
		.amdhsa_user_sgpr_private_segment_size 0
		.amdhsa_wavefront_size32 1
		.amdhsa_uses_dynamic_stack 0
		.amdhsa_system_sgpr_private_segment_wavefront_offset 0
		.amdhsa_system_sgpr_workgroup_id_x 1
		.amdhsa_system_sgpr_workgroup_id_y 0
		.amdhsa_system_sgpr_workgroup_id_z 0
		.amdhsa_system_sgpr_workgroup_info 0
		.amdhsa_system_vgpr_workitem_id 0
		.amdhsa_next_free_vgpr 1
		.amdhsa_next_free_sgpr 1
		.amdhsa_reserve_vcc 0
		.amdhsa_reserve_flat_scratch 0
		.amdhsa_float_round_mode_32 0
		.amdhsa_float_round_mode_16_64 0
		.amdhsa_float_denorm_mode_32 3
		.amdhsa_float_denorm_mode_16_64 3
		.amdhsa_dx10_clamp 1
		.amdhsa_ieee_mode 1
		.amdhsa_fp16_overflow 0
		.amdhsa_workgroup_processor_mode 1
		.amdhsa_memory_ordered 1
		.amdhsa_forward_progress 1
		.amdhsa_shared_vgpr_count 0
		.amdhsa_exception_fp_ieee_invalid_op 0
		.amdhsa_exception_fp_denorm_src 0
		.amdhsa_exception_fp_ieee_div_zero 0
		.amdhsa_exception_fp_ieee_overflow 0
		.amdhsa_exception_fp_ieee_underflow 0
		.amdhsa_exception_fp_ieee_inexact 0
		.amdhsa_exception_int_div_zero 0
	.end_amdhsa_kernel
	.section	.text._ZN7rocprim17ROCPRIM_400000_NS6detail17trampoline_kernelINS0_14default_configENS1_27scan_by_key_config_selectorIifEEZZNS1_16scan_by_key_implILNS1_25lookback_scan_determinismE0ELb1ES3_N6thrust23THRUST_200600_302600_NS6detail15normal_iteratorINS9_10device_ptrIiEEEENSB_INSC_IfEEEESG_fNS9_4plusIvEENS9_8equal_toIvEEfEE10hipError_tPvRmT2_T3_T4_T5_mT6_T7_P12ihipStream_tbENKUlT_T0_E_clISt17integral_constantIbLb1EES10_IbLb0EEEEDaSW_SX_EUlSW_E_NS1_11comp_targetILNS1_3genE10ELNS1_11target_archE1200ELNS1_3gpuE4ELNS1_3repE0EEENS1_30default_config_static_selectorELNS0_4arch9wavefront6targetE0EEEvT1_,"axG",@progbits,_ZN7rocprim17ROCPRIM_400000_NS6detail17trampoline_kernelINS0_14default_configENS1_27scan_by_key_config_selectorIifEEZZNS1_16scan_by_key_implILNS1_25lookback_scan_determinismE0ELb1ES3_N6thrust23THRUST_200600_302600_NS6detail15normal_iteratorINS9_10device_ptrIiEEEENSB_INSC_IfEEEESG_fNS9_4plusIvEENS9_8equal_toIvEEfEE10hipError_tPvRmT2_T3_T4_T5_mT6_T7_P12ihipStream_tbENKUlT_T0_E_clISt17integral_constantIbLb1EES10_IbLb0EEEEDaSW_SX_EUlSW_E_NS1_11comp_targetILNS1_3genE10ELNS1_11target_archE1200ELNS1_3gpuE4ELNS1_3repE0EEENS1_30default_config_static_selectorELNS0_4arch9wavefront6targetE0EEEvT1_,comdat
.Lfunc_end1451:
	.size	_ZN7rocprim17ROCPRIM_400000_NS6detail17trampoline_kernelINS0_14default_configENS1_27scan_by_key_config_selectorIifEEZZNS1_16scan_by_key_implILNS1_25lookback_scan_determinismE0ELb1ES3_N6thrust23THRUST_200600_302600_NS6detail15normal_iteratorINS9_10device_ptrIiEEEENSB_INSC_IfEEEESG_fNS9_4plusIvEENS9_8equal_toIvEEfEE10hipError_tPvRmT2_T3_T4_T5_mT6_T7_P12ihipStream_tbENKUlT_T0_E_clISt17integral_constantIbLb1EES10_IbLb0EEEEDaSW_SX_EUlSW_E_NS1_11comp_targetILNS1_3genE10ELNS1_11target_archE1200ELNS1_3gpuE4ELNS1_3repE0EEENS1_30default_config_static_selectorELNS0_4arch9wavefront6targetE0EEEvT1_, .Lfunc_end1451-_ZN7rocprim17ROCPRIM_400000_NS6detail17trampoline_kernelINS0_14default_configENS1_27scan_by_key_config_selectorIifEEZZNS1_16scan_by_key_implILNS1_25lookback_scan_determinismE0ELb1ES3_N6thrust23THRUST_200600_302600_NS6detail15normal_iteratorINS9_10device_ptrIiEEEENSB_INSC_IfEEEESG_fNS9_4plusIvEENS9_8equal_toIvEEfEE10hipError_tPvRmT2_T3_T4_T5_mT6_T7_P12ihipStream_tbENKUlT_T0_E_clISt17integral_constantIbLb1EES10_IbLb0EEEEDaSW_SX_EUlSW_E_NS1_11comp_targetILNS1_3genE10ELNS1_11target_archE1200ELNS1_3gpuE4ELNS1_3repE0EEENS1_30default_config_static_selectorELNS0_4arch9wavefront6targetE0EEEvT1_
                                        ; -- End function
	.set _ZN7rocprim17ROCPRIM_400000_NS6detail17trampoline_kernelINS0_14default_configENS1_27scan_by_key_config_selectorIifEEZZNS1_16scan_by_key_implILNS1_25lookback_scan_determinismE0ELb1ES3_N6thrust23THRUST_200600_302600_NS6detail15normal_iteratorINS9_10device_ptrIiEEEENSB_INSC_IfEEEESG_fNS9_4plusIvEENS9_8equal_toIvEEfEE10hipError_tPvRmT2_T3_T4_T5_mT6_T7_P12ihipStream_tbENKUlT_T0_E_clISt17integral_constantIbLb1EES10_IbLb0EEEEDaSW_SX_EUlSW_E_NS1_11comp_targetILNS1_3genE10ELNS1_11target_archE1200ELNS1_3gpuE4ELNS1_3repE0EEENS1_30default_config_static_selectorELNS0_4arch9wavefront6targetE0EEEvT1_.num_vgpr, 0
	.set _ZN7rocprim17ROCPRIM_400000_NS6detail17trampoline_kernelINS0_14default_configENS1_27scan_by_key_config_selectorIifEEZZNS1_16scan_by_key_implILNS1_25lookback_scan_determinismE0ELb1ES3_N6thrust23THRUST_200600_302600_NS6detail15normal_iteratorINS9_10device_ptrIiEEEENSB_INSC_IfEEEESG_fNS9_4plusIvEENS9_8equal_toIvEEfEE10hipError_tPvRmT2_T3_T4_T5_mT6_T7_P12ihipStream_tbENKUlT_T0_E_clISt17integral_constantIbLb1EES10_IbLb0EEEEDaSW_SX_EUlSW_E_NS1_11comp_targetILNS1_3genE10ELNS1_11target_archE1200ELNS1_3gpuE4ELNS1_3repE0EEENS1_30default_config_static_selectorELNS0_4arch9wavefront6targetE0EEEvT1_.num_agpr, 0
	.set _ZN7rocprim17ROCPRIM_400000_NS6detail17trampoline_kernelINS0_14default_configENS1_27scan_by_key_config_selectorIifEEZZNS1_16scan_by_key_implILNS1_25lookback_scan_determinismE0ELb1ES3_N6thrust23THRUST_200600_302600_NS6detail15normal_iteratorINS9_10device_ptrIiEEEENSB_INSC_IfEEEESG_fNS9_4plusIvEENS9_8equal_toIvEEfEE10hipError_tPvRmT2_T3_T4_T5_mT6_T7_P12ihipStream_tbENKUlT_T0_E_clISt17integral_constantIbLb1EES10_IbLb0EEEEDaSW_SX_EUlSW_E_NS1_11comp_targetILNS1_3genE10ELNS1_11target_archE1200ELNS1_3gpuE4ELNS1_3repE0EEENS1_30default_config_static_selectorELNS0_4arch9wavefront6targetE0EEEvT1_.numbered_sgpr, 0
	.set _ZN7rocprim17ROCPRIM_400000_NS6detail17trampoline_kernelINS0_14default_configENS1_27scan_by_key_config_selectorIifEEZZNS1_16scan_by_key_implILNS1_25lookback_scan_determinismE0ELb1ES3_N6thrust23THRUST_200600_302600_NS6detail15normal_iteratorINS9_10device_ptrIiEEEENSB_INSC_IfEEEESG_fNS9_4plusIvEENS9_8equal_toIvEEfEE10hipError_tPvRmT2_T3_T4_T5_mT6_T7_P12ihipStream_tbENKUlT_T0_E_clISt17integral_constantIbLb1EES10_IbLb0EEEEDaSW_SX_EUlSW_E_NS1_11comp_targetILNS1_3genE10ELNS1_11target_archE1200ELNS1_3gpuE4ELNS1_3repE0EEENS1_30default_config_static_selectorELNS0_4arch9wavefront6targetE0EEEvT1_.num_named_barrier, 0
	.set _ZN7rocprim17ROCPRIM_400000_NS6detail17trampoline_kernelINS0_14default_configENS1_27scan_by_key_config_selectorIifEEZZNS1_16scan_by_key_implILNS1_25lookback_scan_determinismE0ELb1ES3_N6thrust23THRUST_200600_302600_NS6detail15normal_iteratorINS9_10device_ptrIiEEEENSB_INSC_IfEEEESG_fNS9_4plusIvEENS9_8equal_toIvEEfEE10hipError_tPvRmT2_T3_T4_T5_mT6_T7_P12ihipStream_tbENKUlT_T0_E_clISt17integral_constantIbLb1EES10_IbLb0EEEEDaSW_SX_EUlSW_E_NS1_11comp_targetILNS1_3genE10ELNS1_11target_archE1200ELNS1_3gpuE4ELNS1_3repE0EEENS1_30default_config_static_selectorELNS0_4arch9wavefront6targetE0EEEvT1_.private_seg_size, 0
	.set _ZN7rocprim17ROCPRIM_400000_NS6detail17trampoline_kernelINS0_14default_configENS1_27scan_by_key_config_selectorIifEEZZNS1_16scan_by_key_implILNS1_25lookback_scan_determinismE0ELb1ES3_N6thrust23THRUST_200600_302600_NS6detail15normal_iteratorINS9_10device_ptrIiEEEENSB_INSC_IfEEEESG_fNS9_4plusIvEENS9_8equal_toIvEEfEE10hipError_tPvRmT2_T3_T4_T5_mT6_T7_P12ihipStream_tbENKUlT_T0_E_clISt17integral_constantIbLb1EES10_IbLb0EEEEDaSW_SX_EUlSW_E_NS1_11comp_targetILNS1_3genE10ELNS1_11target_archE1200ELNS1_3gpuE4ELNS1_3repE0EEENS1_30default_config_static_selectorELNS0_4arch9wavefront6targetE0EEEvT1_.uses_vcc, 0
	.set _ZN7rocprim17ROCPRIM_400000_NS6detail17trampoline_kernelINS0_14default_configENS1_27scan_by_key_config_selectorIifEEZZNS1_16scan_by_key_implILNS1_25lookback_scan_determinismE0ELb1ES3_N6thrust23THRUST_200600_302600_NS6detail15normal_iteratorINS9_10device_ptrIiEEEENSB_INSC_IfEEEESG_fNS9_4plusIvEENS9_8equal_toIvEEfEE10hipError_tPvRmT2_T3_T4_T5_mT6_T7_P12ihipStream_tbENKUlT_T0_E_clISt17integral_constantIbLb1EES10_IbLb0EEEEDaSW_SX_EUlSW_E_NS1_11comp_targetILNS1_3genE10ELNS1_11target_archE1200ELNS1_3gpuE4ELNS1_3repE0EEENS1_30default_config_static_selectorELNS0_4arch9wavefront6targetE0EEEvT1_.uses_flat_scratch, 0
	.set _ZN7rocprim17ROCPRIM_400000_NS6detail17trampoline_kernelINS0_14default_configENS1_27scan_by_key_config_selectorIifEEZZNS1_16scan_by_key_implILNS1_25lookback_scan_determinismE0ELb1ES3_N6thrust23THRUST_200600_302600_NS6detail15normal_iteratorINS9_10device_ptrIiEEEENSB_INSC_IfEEEESG_fNS9_4plusIvEENS9_8equal_toIvEEfEE10hipError_tPvRmT2_T3_T4_T5_mT6_T7_P12ihipStream_tbENKUlT_T0_E_clISt17integral_constantIbLb1EES10_IbLb0EEEEDaSW_SX_EUlSW_E_NS1_11comp_targetILNS1_3genE10ELNS1_11target_archE1200ELNS1_3gpuE4ELNS1_3repE0EEENS1_30default_config_static_selectorELNS0_4arch9wavefront6targetE0EEEvT1_.has_dyn_sized_stack, 0
	.set _ZN7rocprim17ROCPRIM_400000_NS6detail17trampoline_kernelINS0_14default_configENS1_27scan_by_key_config_selectorIifEEZZNS1_16scan_by_key_implILNS1_25lookback_scan_determinismE0ELb1ES3_N6thrust23THRUST_200600_302600_NS6detail15normal_iteratorINS9_10device_ptrIiEEEENSB_INSC_IfEEEESG_fNS9_4plusIvEENS9_8equal_toIvEEfEE10hipError_tPvRmT2_T3_T4_T5_mT6_T7_P12ihipStream_tbENKUlT_T0_E_clISt17integral_constantIbLb1EES10_IbLb0EEEEDaSW_SX_EUlSW_E_NS1_11comp_targetILNS1_3genE10ELNS1_11target_archE1200ELNS1_3gpuE4ELNS1_3repE0EEENS1_30default_config_static_selectorELNS0_4arch9wavefront6targetE0EEEvT1_.has_recursion, 0
	.set _ZN7rocprim17ROCPRIM_400000_NS6detail17trampoline_kernelINS0_14default_configENS1_27scan_by_key_config_selectorIifEEZZNS1_16scan_by_key_implILNS1_25lookback_scan_determinismE0ELb1ES3_N6thrust23THRUST_200600_302600_NS6detail15normal_iteratorINS9_10device_ptrIiEEEENSB_INSC_IfEEEESG_fNS9_4plusIvEENS9_8equal_toIvEEfEE10hipError_tPvRmT2_T3_T4_T5_mT6_T7_P12ihipStream_tbENKUlT_T0_E_clISt17integral_constantIbLb1EES10_IbLb0EEEEDaSW_SX_EUlSW_E_NS1_11comp_targetILNS1_3genE10ELNS1_11target_archE1200ELNS1_3gpuE4ELNS1_3repE0EEENS1_30default_config_static_selectorELNS0_4arch9wavefront6targetE0EEEvT1_.has_indirect_call, 0
	.section	.AMDGPU.csdata,"",@progbits
; Kernel info:
; codeLenInByte = 0
; TotalNumSgprs: 0
; NumVgprs: 0
; ScratchSize: 0
; MemoryBound: 0
; FloatMode: 240
; IeeeMode: 1
; LDSByteSize: 0 bytes/workgroup (compile time only)
; SGPRBlocks: 0
; VGPRBlocks: 0
; NumSGPRsForWavesPerEU: 1
; NumVGPRsForWavesPerEU: 1
; Occupancy: 16
; WaveLimiterHint : 0
; COMPUTE_PGM_RSRC2:SCRATCH_EN: 0
; COMPUTE_PGM_RSRC2:USER_SGPR: 6
; COMPUTE_PGM_RSRC2:TRAP_HANDLER: 0
; COMPUTE_PGM_RSRC2:TGID_X_EN: 1
; COMPUTE_PGM_RSRC2:TGID_Y_EN: 0
; COMPUTE_PGM_RSRC2:TGID_Z_EN: 0
; COMPUTE_PGM_RSRC2:TIDIG_COMP_CNT: 0
	.section	.text._ZN7rocprim17ROCPRIM_400000_NS6detail17trampoline_kernelINS0_14default_configENS1_27scan_by_key_config_selectorIifEEZZNS1_16scan_by_key_implILNS1_25lookback_scan_determinismE0ELb1ES3_N6thrust23THRUST_200600_302600_NS6detail15normal_iteratorINS9_10device_ptrIiEEEENSB_INSC_IfEEEESG_fNS9_4plusIvEENS9_8equal_toIvEEfEE10hipError_tPvRmT2_T3_T4_T5_mT6_T7_P12ihipStream_tbENKUlT_T0_E_clISt17integral_constantIbLb1EES10_IbLb0EEEEDaSW_SX_EUlSW_E_NS1_11comp_targetILNS1_3genE9ELNS1_11target_archE1100ELNS1_3gpuE3ELNS1_3repE0EEENS1_30default_config_static_selectorELNS0_4arch9wavefront6targetE0EEEvT1_,"axG",@progbits,_ZN7rocprim17ROCPRIM_400000_NS6detail17trampoline_kernelINS0_14default_configENS1_27scan_by_key_config_selectorIifEEZZNS1_16scan_by_key_implILNS1_25lookback_scan_determinismE0ELb1ES3_N6thrust23THRUST_200600_302600_NS6detail15normal_iteratorINS9_10device_ptrIiEEEENSB_INSC_IfEEEESG_fNS9_4plusIvEENS9_8equal_toIvEEfEE10hipError_tPvRmT2_T3_T4_T5_mT6_T7_P12ihipStream_tbENKUlT_T0_E_clISt17integral_constantIbLb1EES10_IbLb0EEEEDaSW_SX_EUlSW_E_NS1_11comp_targetILNS1_3genE9ELNS1_11target_archE1100ELNS1_3gpuE3ELNS1_3repE0EEENS1_30default_config_static_selectorELNS0_4arch9wavefront6targetE0EEEvT1_,comdat
	.protected	_ZN7rocprim17ROCPRIM_400000_NS6detail17trampoline_kernelINS0_14default_configENS1_27scan_by_key_config_selectorIifEEZZNS1_16scan_by_key_implILNS1_25lookback_scan_determinismE0ELb1ES3_N6thrust23THRUST_200600_302600_NS6detail15normal_iteratorINS9_10device_ptrIiEEEENSB_INSC_IfEEEESG_fNS9_4plusIvEENS9_8equal_toIvEEfEE10hipError_tPvRmT2_T3_T4_T5_mT6_T7_P12ihipStream_tbENKUlT_T0_E_clISt17integral_constantIbLb1EES10_IbLb0EEEEDaSW_SX_EUlSW_E_NS1_11comp_targetILNS1_3genE9ELNS1_11target_archE1100ELNS1_3gpuE3ELNS1_3repE0EEENS1_30default_config_static_selectorELNS0_4arch9wavefront6targetE0EEEvT1_ ; -- Begin function _ZN7rocprim17ROCPRIM_400000_NS6detail17trampoline_kernelINS0_14default_configENS1_27scan_by_key_config_selectorIifEEZZNS1_16scan_by_key_implILNS1_25lookback_scan_determinismE0ELb1ES3_N6thrust23THRUST_200600_302600_NS6detail15normal_iteratorINS9_10device_ptrIiEEEENSB_INSC_IfEEEESG_fNS9_4plusIvEENS9_8equal_toIvEEfEE10hipError_tPvRmT2_T3_T4_T5_mT6_T7_P12ihipStream_tbENKUlT_T0_E_clISt17integral_constantIbLb1EES10_IbLb0EEEEDaSW_SX_EUlSW_E_NS1_11comp_targetILNS1_3genE9ELNS1_11target_archE1100ELNS1_3gpuE3ELNS1_3repE0EEENS1_30default_config_static_selectorELNS0_4arch9wavefront6targetE0EEEvT1_
	.globl	_ZN7rocprim17ROCPRIM_400000_NS6detail17trampoline_kernelINS0_14default_configENS1_27scan_by_key_config_selectorIifEEZZNS1_16scan_by_key_implILNS1_25lookback_scan_determinismE0ELb1ES3_N6thrust23THRUST_200600_302600_NS6detail15normal_iteratorINS9_10device_ptrIiEEEENSB_INSC_IfEEEESG_fNS9_4plusIvEENS9_8equal_toIvEEfEE10hipError_tPvRmT2_T3_T4_T5_mT6_T7_P12ihipStream_tbENKUlT_T0_E_clISt17integral_constantIbLb1EES10_IbLb0EEEEDaSW_SX_EUlSW_E_NS1_11comp_targetILNS1_3genE9ELNS1_11target_archE1100ELNS1_3gpuE3ELNS1_3repE0EEENS1_30default_config_static_selectorELNS0_4arch9wavefront6targetE0EEEvT1_
	.p2align	8
	.type	_ZN7rocprim17ROCPRIM_400000_NS6detail17trampoline_kernelINS0_14default_configENS1_27scan_by_key_config_selectorIifEEZZNS1_16scan_by_key_implILNS1_25lookback_scan_determinismE0ELb1ES3_N6thrust23THRUST_200600_302600_NS6detail15normal_iteratorINS9_10device_ptrIiEEEENSB_INSC_IfEEEESG_fNS9_4plusIvEENS9_8equal_toIvEEfEE10hipError_tPvRmT2_T3_T4_T5_mT6_T7_P12ihipStream_tbENKUlT_T0_E_clISt17integral_constantIbLb1EES10_IbLb0EEEEDaSW_SX_EUlSW_E_NS1_11comp_targetILNS1_3genE9ELNS1_11target_archE1100ELNS1_3gpuE3ELNS1_3repE0EEENS1_30default_config_static_selectorELNS0_4arch9wavefront6targetE0EEEvT1_,@function
_ZN7rocprim17ROCPRIM_400000_NS6detail17trampoline_kernelINS0_14default_configENS1_27scan_by_key_config_selectorIifEEZZNS1_16scan_by_key_implILNS1_25lookback_scan_determinismE0ELb1ES3_N6thrust23THRUST_200600_302600_NS6detail15normal_iteratorINS9_10device_ptrIiEEEENSB_INSC_IfEEEESG_fNS9_4plusIvEENS9_8equal_toIvEEfEE10hipError_tPvRmT2_T3_T4_T5_mT6_T7_P12ihipStream_tbENKUlT_T0_E_clISt17integral_constantIbLb1EES10_IbLb0EEEEDaSW_SX_EUlSW_E_NS1_11comp_targetILNS1_3genE9ELNS1_11target_archE1100ELNS1_3gpuE3ELNS1_3repE0EEENS1_30default_config_static_selectorELNS0_4arch9wavefront6targetE0EEEvT1_: ; @_ZN7rocprim17ROCPRIM_400000_NS6detail17trampoline_kernelINS0_14default_configENS1_27scan_by_key_config_selectorIifEEZZNS1_16scan_by_key_implILNS1_25lookback_scan_determinismE0ELb1ES3_N6thrust23THRUST_200600_302600_NS6detail15normal_iteratorINS9_10device_ptrIiEEEENSB_INSC_IfEEEESG_fNS9_4plusIvEENS9_8equal_toIvEEfEE10hipError_tPvRmT2_T3_T4_T5_mT6_T7_P12ihipStream_tbENKUlT_T0_E_clISt17integral_constantIbLb1EES10_IbLb0EEEEDaSW_SX_EUlSW_E_NS1_11comp_targetILNS1_3genE9ELNS1_11target_archE1100ELNS1_3gpuE3ELNS1_3repE0EEENS1_30default_config_static_selectorELNS0_4arch9wavefront6targetE0EEEvT1_
; %bb.0:
	.section	.rodata,"a",@progbits
	.p2align	6, 0x0
	.amdhsa_kernel _ZN7rocprim17ROCPRIM_400000_NS6detail17trampoline_kernelINS0_14default_configENS1_27scan_by_key_config_selectorIifEEZZNS1_16scan_by_key_implILNS1_25lookback_scan_determinismE0ELb1ES3_N6thrust23THRUST_200600_302600_NS6detail15normal_iteratorINS9_10device_ptrIiEEEENSB_INSC_IfEEEESG_fNS9_4plusIvEENS9_8equal_toIvEEfEE10hipError_tPvRmT2_T3_T4_T5_mT6_T7_P12ihipStream_tbENKUlT_T0_E_clISt17integral_constantIbLb1EES10_IbLb0EEEEDaSW_SX_EUlSW_E_NS1_11comp_targetILNS1_3genE9ELNS1_11target_archE1100ELNS1_3gpuE3ELNS1_3repE0EEENS1_30default_config_static_selectorELNS0_4arch9wavefront6targetE0EEEvT1_
		.amdhsa_group_segment_fixed_size 0
		.amdhsa_private_segment_fixed_size 0
		.amdhsa_kernarg_size 112
		.amdhsa_user_sgpr_count 6
		.amdhsa_user_sgpr_private_segment_buffer 1
		.amdhsa_user_sgpr_dispatch_ptr 0
		.amdhsa_user_sgpr_queue_ptr 0
		.amdhsa_user_sgpr_kernarg_segment_ptr 1
		.amdhsa_user_sgpr_dispatch_id 0
		.amdhsa_user_sgpr_flat_scratch_init 0
		.amdhsa_user_sgpr_private_segment_size 0
		.amdhsa_wavefront_size32 1
		.amdhsa_uses_dynamic_stack 0
		.amdhsa_system_sgpr_private_segment_wavefront_offset 0
		.amdhsa_system_sgpr_workgroup_id_x 1
		.amdhsa_system_sgpr_workgroup_id_y 0
		.amdhsa_system_sgpr_workgroup_id_z 0
		.amdhsa_system_sgpr_workgroup_info 0
		.amdhsa_system_vgpr_workitem_id 0
		.amdhsa_next_free_vgpr 1
		.amdhsa_next_free_sgpr 1
		.amdhsa_reserve_vcc 0
		.amdhsa_reserve_flat_scratch 0
		.amdhsa_float_round_mode_32 0
		.amdhsa_float_round_mode_16_64 0
		.amdhsa_float_denorm_mode_32 3
		.amdhsa_float_denorm_mode_16_64 3
		.amdhsa_dx10_clamp 1
		.amdhsa_ieee_mode 1
		.amdhsa_fp16_overflow 0
		.amdhsa_workgroup_processor_mode 1
		.amdhsa_memory_ordered 1
		.amdhsa_forward_progress 1
		.amdhsa_shared_vgpr_count 0
		.amdhsa_exception_fp_ieee_invalid_op 0
		.amdhsa_exception_fp_denorm_src 0
		.amdhsa_exception_fp_ieee_div_zero 0
		.amdhsa_exception_fp_ieee_overflow 0
		.amdhsa_exception_fp_ieee_underflow 0
		.amdhsa_exception_fp_ieee_inexact 0
		.amdhsa_exception_int_div_zero 0
	.end_amdhsa_kernel
	.section	.text._ZN7rocprim17ROCPRIM_400000_NS6detail17trampoline_kernelINS0_14default_configENS1_27scan_by_key_config_selectorIifEEZZNS1_16scan_by_key_implILNS1_25lookback_scan_determinismE0ELb1ES3_N6thrust23THRUST_200600_302600_NS6detail15normal_iteratorINS9_10device_ptrIiEEEENSB_INSC_IfEEEESG_fNS9_4plusIvEENS9_8equal_toIvEEfEE10hipError_tPvRmT2_T3_T4_T5_mT6_T7_P12ihipStream_tbENKUlT_T0_E_clISt17integral_constantIbLb1EES10_IbLb0EEEEDaSW_SX_EUlSW_E_NS1_11comp_targetILNS1_3genE9ELNS1_11target_archE1100ELNS1_3gpuE3ELNS1_3repE0EEENS1_30default_config_static_selectorELNS0_4arch9wavefront6targetE0EEEvT1_,"axG",@progbits,_ZN7rocprim17ROCPRIM_400000_NS6detail17trampoline_kernelINS0_14default_configENS1_27scan_by_key_config_selectorIifEEZZNS1_16scan_by_key_implILNS1_25lookback_scan_determinismE0ELb1ES3_N6thrust23THRUST_200600_302600_NS6detail15normal_iteratorINS9_10device_ptrIiEEEENSB_INSC_IfEEEESG_fNS9_4plusIvEENS9_8equal_toIvEEfEE10hipError_tPvRmT2_T3_T4_T5_mT6_T7_P12ihipStream_tbENKUlT_T0_E_clISt17integral_constantIbLb1EES10_IbLb0EEEEDaSW_SX_EUlSW_E_NS1_11comp_targetILNS1_3genE9ELNS1_11target_archE1100ELNS1_3gpuE3ELNS1_3repE0EEENS1_30default_config_static_selectorELNS0_4arch9wavefront6targetE0EEEvT1_,comdat
.Lfunc_end1452:
	.size	_ZN7rocprim17ROCPRIM_400000_NS6detail17trampoline_kernelINS0_14default_configENS1_27scan_by_key_config_selectorIifEEZZNS1_16scan_by_key_implILNS1_25lookback_scan_determinismE0ELb1ES3_N6thrust23THRUST_200600_302600_NS6detail15normal_iteratorINS9_10device_ptrIiEEEENSB_INSC_IfEEEESG_fNS9_4plusIvEENS9_8equal_toIvEEfEE10hipError_tPvRmT2_T3_T4_T5_mT6_T7_P12ihipStream_tbENKUlT_T0_E_clISt17integral_constantIbLb1EES10_IbLb0EEEEDaSW_SX_EUlSW_E_NS1_11comp_targetILNS1_3genE9ELNS1_11target_archE1100ELNS1_3gpuE3ELNS1_3repE0EEENS1_30default_config_static_selectorELNS0_4arch9wavefront6targetE0EEEvT1_, .Lfunc_end1452-_ZN7rocprim17ROCPRIM_400000_NS6detail17trampoline_kernelINS0_14default_configENS1_27scan_by_key_config_selectorIifEEZZNS1_16scan_by_key_implILNS1_25lookback_scan_determinismE0ELb1ES3_N6thrust23THRUST_200600_302600_NS6detail15normal_iteratorINS9_10device_ptrIiEEEENSB_INSC_IfEEEESG_fNS9_4plusIvEENS9_8equal_toIvEEfEE10hipError_tPvRmT2_T3_T4_T5_mT6_T7_P12ihipStream_tbENKUlT_T0_E_clISt17integral_constantIbLb1EES10_IbLb0EEEEDaSW_SX_EUlSW_E_NS1_11comp_targetILNS1_3genE9ELNS1_11target_archE1100ELNS1_3gpuE3ELNS1_3repE0EEENS1_30default_config_static_selectorELNS0_4arch9wavefront6targetE0EEEvT1_
                                        ; -- End function
	.set _ZN7rocprim17ROCPRIM_400000_NS6detail17trampoline_kernelINS0_14default_configENS1_27scan_by_key_config_selectorIifEEZZNS1_16scan_by_key_implILNS1_25lookback_scan_determinismE0ELb1ES3_N6thrust23THRUST_200600_302600_NS6detail15normal_iteratorINS9_10device_ptrIiEEEENSB_INSC_IfEEEESG_fNS9_4plusIvEENS9_8equal_toIvEEfEE10hipError_tPvRmT2_T3_T4_T5_mT6_T7_P12ihipStream_tbENKUlT_T0_E_clISt17integral_constantIbLb1EES10_IbLb0EEEEDaSW_SX_EUlSW_E_NS1_11comp_targetILNS1_3genE9ELNS1_11target_archE1100ELNS1_3gpuE3ELNS1_3repE0EEENS1_30default_config_static_selectorELNS0_4arch9wavefront6targetE0EEEvT1_.num_vgpr, 0
	.set _ZN7rocprim17ROCPRIM_400000_NS6detail17trampoline_kernelINS0_14default_configENS1_27scan_by_key_config_selectorIifEEZZNS1_16scan_by_key_implILNS1_25lookback_scan_determinismE0ELb1ES3_N6thrust23THRUST_200600_302600_NS6detail15normal_iteratorINS9_10device_ptrIiEEEENSB_INSC_IfEEEESG_fNS9_4plusIvEENS9_8equal_toIvEEfEE10hipError_tPvRmT2_T3_T4_T5_mT6_T7_P12ihipStream_tbENKUlT_T0_E_clISt17integral_constantIbLb1EES10_IbLb0EEEEDaSW_SX_EUlSW_E_NS1_11comp_targetILNS1_3genE9ELNS1_11target_archE1100ELNS1_3gpuE3ELNS1_3repE0EEENS1_30default_config_static_selectorELNS0_4arch9wavefront6targetE0EEEvT1_.num_agpr, 0
	.set _ZN7rocprim17ROCPRIM_400000_NS6detail17trampoline_kernelINS0_14default_configENS1_27scan_by_key_config_selectorIifEEZZNS1_16scan_by_key_implILNS1_25lookback_scan_determinismE0ELb1ES3_N6thrust23THRUST_200600_302600_NS6detail15normal_iteratorINS9_10device_ptrIiEEEENSB_INSC_IfEEEESG_fNS9_4plusIvEENS9_8equal_toIvEEfEE10hipError_tPvRmT2_T3_T4_T5_mT6_T7_P12ihipStream_tbENKUlT_T0_E_clISt17integral_constantIbLb1EES10_IbLb0EEEEDaSW_SX_EUlSW_E_NS1_11comp_targetILNS1_3genE9ELNS1_11target_archE1100ELNS1_3gpuE3ELNS1_3repE0EEENS1_30default_config_static_selectorELNS0_4arch9wavefront6targetE0EEEvT1_.numbered_sgpr, 0
	.set _ZN7rocprim17ROCPRIM_400000_NS6detail17trampoline_kernelINS0_14default_configENS1_27scan_by_key_config_selectorIifEEZZNS1_16scan_by_key_implILNS1_25lookback_scan_determinismE0ELb1ES3_N6thrust23THRUST_200600_302600_NS6detail15normal_iteratorINS9_10device_ptrIiEEEENSB_INSC_IfEEEESG_fNS9_4plusIvEENS9_8equal_toIvEEfEE10hipError_tPvRmT2_T3_T4_T5_mT6_T7_P12ihipStream_tbENKUlT_T0_E_clISt17integral_constantIbLb1EES10_IbLb0EEEEDaSW_SX_EUlSW_E_NS1_11comp_targetILNS1_3genE9ELNS1_11target_archE1100ELNS1_3gpuE3ELNS1_3repE0EEENS1_30default_config_static_selectorELNS0_4arch9wavefront6targetE0EEEvT1_.num_named_barrier, 0
	.set _ZN7rocprim17ROCPRIM_400000_NS6detail17trampoline_kernelINS0_14default_configENS1_27scan_by_key_config_selectorIifEEZZNS1_16scan_by_key_implILNS1_25lookback_scan_determinismE0ELb1ES3_N6thrust23THRUST_200600_302600_NS6detail15normal_iteratorINS9_10device_ptrIiEEEENSB_INSC_IfEEEESG_fNS9_4plusIvEENS9_8equal_toIvEEfEE10hipError_tPvRmT2_T3_T4_T5_mT6_T7_P12ihipStream_tbENKUlT_T0_E_clISt17integral_constantIbLb1EES10_IbLb0EEEEDaSW_SX_EUlSW_E_NS1_11comp_targetILNS1_3genE9ELNS1_11target_archE1100ELNS1_3gpuE3ELNS1_3repE0EEENS1_30default_config_static_selectorELNS0_4arch9wavefront6targetE0EEEvT1_.private_seg_size, 0
	.set _ZN7rocprim17ROCPRIM_400000_NS6detail17trampoline_kernelINS0_14default_configENS1_27scan_by_key_config_selectorIifEEZZNS1_16scan_by_key_implILNS1_25lookback_scan_determinismE0ELb1ES3_N6thrust23THRUST_200600_302600_NS6detail15normal_iteratorINS9_10device_ptrIiEEEENSB_INSC_IfEEEESG_fNS9_4plusIvEENS9_8equal_toIvEEfEE10hipError_tPvRmT2_T3_T4_T5_mT6_T7_P12ihipStream_tbENKUlT_T0_E_clISt17integral_constantIbLb1EES10_IbLb0EEEEDaSW_SX_EUlSW_E_NS1_11comp_targetILNS1_3genE9ELNS1_11target_archE1100ELNS1_3gpuE3ELNS1_3repE0EEENS1_30default_config_static_selectorELNS0_4arch9wavefront6targetE0EEEvT1_.uses_vcc, 0
	.set _ZN7rocprim17ROCPRIM_400000_NS6detail17trampoline_kernelINS0_14default_configENS1_27scan_by_key_config_selectorIifEEZZNS1_16scan_by_key_implILNS1_25lookback_scan_determinismE0ELb1ES3_N6thrust23THRUST_200600_302600_NS6detail15normal_iteratorINS9_10device_ptrIiEEEENSB_INSC_IfEEEESG_fNS9_4plusIvEENS9_8equal_toIvEEfEE10hipError_tPvRmT2_T3_T4_T5_mT6_T7_P12ihipStream_tbENKUlT_T0_E_clISt17integral_constantIbLb1EES10_IbLb0EEEEDaSW_SX_EUlSW_E_NS1_11comp_targetILNS1_3genE9ELNS1_11target_archE1100ELNS1_3gpuE3ELNS1_3repE0EEENS1_30default_config_static_selectorELNS0_4arch9wavefront6targetE0EEEvT1_.uses_flat_scratch, 0
	.set _ZN7rocprim17ROCPRIM_400000_NS6detail17trampoline_kernelINS0_14default_configENS1_27scan_by_key_config_selectorIifEEZZNS1_16scan_by_key_implILNS1_25lookback_scan_determinismE0ELb1ES3_N6thrust23THRUST_200600_302600_NS6detail15normal_iteratorINS9_10device_ptrIiEEEENSB_INSC_IfEEEESG_fNS9_4plusIvEENS9_8equal_toIvEEfEE10hipError_tPvRmT2_T3_T4_T5_mT6_T7_P12ihipStream_tbENKUlT_T0_E_clISt17integral_constantIbLb1EES10_IbLb0EEEEDaSW_SX_EUlSW_E_NS1_11comp_targetILNS1_3genE9ELNS1_11target_archE1100ELNS1_3gpuE3ELNS1_3repE0EEENS1_30default_config_static_selectorELNS0_4arch9wavefront6targetE0EEEvT1_.has_dyn_sized_stack, 0
	.set _ZN7rocprim17ROCPRIM_400000_NS6detail17trampoline_kernelINS0_14default_configENS1_27scan_by_key_config_selectorIifEEZZNS1_16scan_by_key_implILNS1_25lookback_scan_determinismE0ELb1ES3_N6thrust23THRUST_200600_302600_NS6detail15normal_iteratorINS9_10device_ptrIiEEEENSB_INSC_IfEEEESG_fNS9_4plusIvEENS9_8equal_toIvEEfEE10hipError_tPvRmT2_T3_T4_T5_mT6_T7_P12ihipStream_tbENKUlT_T0_E_clISt17integral_constantIbLb1EES10_IbLb0EEEEDaSW_SX_EUlSW_E_NS1_11comp_targetILNS1_3genE9ELNS1_11target_archE1100ELNS1_3gpuE3ELNS1_3repE0EEENS1_30default_config_static_selectorELNS0_4arch9wavefront6targetE0EEEvT1_.has_recursion, 0
	.set _ZN7rocprim17ROCPRIM_400000_NS6detail17trampoline_kernelINS0_14default_configENS1_27scan_by_key_config_selectorIifEEZZNS1_16scan_by_key_implILNS1_25lookback_scan_determinismE0ELb1ES3_N6thrust23THRUST_200600_302600_NS6detail15normal_iteratorINS9_10device_ptrIiEEEENSB_INSC_IfEEEESG_fNS9_4plusIvEENS9_8equal_toIvEEfEE10hipError_tPvRmT2_T3_T4_T5_mT6_T7_P12ihipStream_tbENKUlT_T0_E_clISt17integral_constantIbLb1EES10_IbLb0EEEEDaSW_SX_EUlSW_E_NS1_11comp_targetILNS1_3genE9ELNS1_11target_archE1100ELNS1_3gpuE3ELNS1_3repE0EEENS1_30default_config_static_selectorELNS0_4arch9wavefront6targetE0EEEvT1_.has_indirect_call, 0
	.section	.AMDGPU.csdata,"",@progbits
; Kernel info:
; codeLenInByte = 0
; TotalNumSgprs: 0
; NumVgprs: 0
; ScratchSize: 0
; MemoryBound: 0
; FloatMode: 240
; IeeeMode: 1
; LDSByteSize: 0 bytes/workgroup (compile time only)
; SGPRBlocks: 0
; VGPRBlocks: 0
; NumSGPRsForWavesPerEU: 1
; NumVGPRsForWavesPerEU: 1
; Occupancy: 16
; WaveLimiterHint : 0
; COMPUTE_PGM_RSRC2:SCRATCH_EN: 0
; COMPUTE_PGM_RSRC2:USER_SGPR: 6
; COMPUTE_PGM_RSRC2:TRAP_HANDLER: 0
; COMPUTE_PGM_RSRC2:TGID_X_EN: 1
; COMPUTE_PGM_RSRC2:TGID_Y_EN: 0
; COMPUTE_PGM_RSRC2:TGID_Z_EN: 0
; COMPUTE_PGM_RSRC2:TIDIG_COMP_CNT: 0
	.section	.text._ZN7rocprim17ROCPRIM_400000_NS6detail17trampoline_kernelINS0_14default_configENS1_27scan_by_key_config_selectorIifEEZZNS1_16scan_by_key_implILNS1_25lookback_scan_determinismE0ELb1ES3_N6thrust23THRUST_200600_302600_NS6detail15normal_iteratorINS9_10device_ptrIiEEEENSB_INSC_IfEEEESG_fNS9_4plusIvEENS9_8equal_toIvEEfEE10hipError_tPvRmT2_T3_T4_T5_mT6_T7_P12ihipStream_tbENKUlT_T0_E_clISt17integral_constantIbLb1EES10_IbLb0EEEEDaSW_SX_EUlSW_E_NS1_11comp_targetILNS1_3genE8ELNS1_11target_archE1030ELNS1_3gpuE2ELNS1_3repE0EEENS1_30default_config_static_selectorELNS0_4arch9wavefront6targetE0EEEvT1_,"axG",@progbits,_ZN7rocprim17ROCPRIM_400000_NS6detail17trampoline_kernelINS0_14default_configENS1_27scan_by_key_config_selectorIifEEZZNS1_16scan_by_key_implILNS1_25lookback_scan_determinismE0ELb1ES3_N6thrust23THRUST_200600_302600_NS6detail15normal_iteratorINS9_10device_ptrIiEEEENSB_INSC_IfEEEESG_fNS9_4plusIvEENS9_8equal_toIvEEfEE10hipError_tPvRmT2_T3_T4_T5_mT6_T7_P12ihipStream_tbENKUlT_T0_E_clISt17integral_constantIbLb1EES10_IbLb0EEEEDaSW_SX_EUlSW_E_NS1_11comp_targetILNS1_3genE8ELNS1_11target_archE1030ELNS1_3gpuE2ELNS1_3repE0EEENS1_30default_config_static_selectorELNS0_4arch9wavefront6targetE0EEEvT1_,comdat
	.protected	_ZN7rocprim17ROCPRIM_400000_NS6detail17trampoline_kernelINS0_14default_configENS1_27scan_by_key_config_selectorIifEEZZNS1_16scan_by_key_implILNS1_25lookback_scan_determinismE0ELb1ES3_N6thrust23THRUST_200600_302600_NS6detail15normal_iteratorINS9_10device_ptrIiEEEENSB_INSC_IfEEEESG_fNS9_4plusIvEENS9_8equal_toIvEEfEE10hipError_tPvRmT2_T3_T4_T5_mT6_T7_P12ihipStream_tbENKUlT_T0_E_clISt17integral_constantIbLb1EES10_IbLb0EEEEDaSW_SX_EUlSW_E_NS1_11comp_targetILNS1_3genE8ELNS1_11target_archE1030ELNS1_3gpuE2ELNS1_3repE0EEENS1_30default_config_static_selectorELNS0_4arch9wavefront6targetE0EEEvT1_ ; -- Begin function _ZN7rocprim17ROCPRIM_400000_NS6detail17trampoline_kernelINS0_14default_configENS1_27scan_by_key_config_selectorIifEEZZNS1_16scan_by_key_implILNS1_25lookback_scan_determinismE0ELb1ES3_N6thrust23THRUST_200600_302600_NS6detail15normal_iteratorINS9_10device_ptrIiEEEENSB_INSC_IfEEEESG_fNS9_4plusIvEENS9_8equal_toIvEEfEE10hipError_tPvRmT2_T3_T4_T5_mT6_T7_P12ihipStream_tbENKUlT_T0_E_clISt17integral_constantIbLb1EES10_IbLb0EEEEDaSW_SX_EUlSW_E_NS1_11comp_targetILNS1_3genE8ELNS1_11target_archE1030ELNS1_3gpuE2ELNS1_3repE0EEENS1_30default_config_static_selectorELNS0_4arch9wavefront6targetE0EEEvT1_
	.globl	_ZN7rocprim17ROCPRIM_400000_NS6detail17trampoline_kernelINS0_14default_configENS1_27scan_by_key_config_selectorIifEEZZNS1_16scan_by_key_implILNS1_25lookback_scan_determinismE0ELb1ES3_N6thrust23THRUST_200600_302600_NS6detail15normal_iteratorINS9_10device_ptrIiEEEENSB_INSC_IfEEEESG_fNS9_4plusIvEENS9_8equal_toIvEEfEE10hipError_tPvRmT2_T3_T4_T5_mT6_T7_P12ihipStream_tbENKUlT_T0_E_clISt17integral_constantIbLb1EES10_IbLb0EEEEDaSW_SX_EUlSW_E_NS1_11comp_targetILNS1_3genE8ELNS1_11target_archE1030ELNS1_3gpuE2ELNS1_3repE0EEENS1_30default_config_static_selectorELNS0_4arch9wavefront6targetE0EEEvT1_
	.p2align	8
	.type	_ZN7rocprim17ROCPRIM_400000_NS6detail17trampoline_kernelINS0_14default_configENS1_27scan_by_key_config_selectorIifEEZZNS1_16scan_by_key_implILNS1_25lookback_scan_determinismE0ELb1ES3_N6thrust23THRUST_200600_302600_NS6detail15normal_iteratorINS9_10device_ptrIiEEEENSB_INSC_IfEEEESG_fNS9_4plusIvEENS9_8equal_toIvEEfEE10hipError_tPvRmT2_T3_T4_T5_mT6_T7_P12ihipStream_tbENKUlT_T0_E_clISt17integral_constantIbLb1EES10_IbLb0EEEEDaSW_SX_EUlSW_E_NS1_11comp_targetILNS1_3genE8ELNS1_11target_archE1030ELNS1_3gpuE2ELNS1_3repE0EEENS1_30default_config_static_selectorELNS0_4arch9wavefront6targetE0EEEvT1_,@function
_ZN7rocprim17ROCPRIM_400000_NS6detail17trampoline_kernelINS0_14default_configENS1_27scan_by_key_config_selectorIifEEZZNS1_16scan_by_key_implILNS1_25lookback_scan_determinismE0ELb1ES3_N6thrust23THRUST_200600_302600_NS6detail15normal_iteratorINS9_10device_ptrIiEEEENSB_INSC_IfEEEESG_fNS9_4plusIvEENS9_8equal_toIvEEfEE10hipError_tPvRmT2_T3_T4_T5_mT6_T7_P12ihipStream_tbENKUlT_T0_E_clISt17integral_constantIbLb1EES10_IbLb0EEEEDaSW_SX_EUlSW_E_NS1_11comp_targetILNS1_3genE8ELNS1_11target_archE1030ELNS1_3gpuE2ELNS1_3repE0EEENS1_30default_config_static_selectorELNS0_4arch9wavefront6targetE0EEEvT1_: ; @_ZN7rocprim17ROCPRIM_400000_NS6detail17trampoline_kernelINS0_14default_configENS1_27scan_by_key_config_selectorIifEEZZNS1_16scan_by_key_implILNS1_25lookback_scan_determinismE0ELb1ES3_N6thrust23THRUST_200600_302600_NS6detail15normal_iteratorINS9_10device_ptrIiEEEENSB_INSC_IfEEEESG_fNS9_4plusIvEENS9_8equal_toIvEEfEE10hipError_tPvRmT2_T3_T4_T5_mT6_T7_P12ihipStream_tbENKUlT_T0_E_clISt17integral_constantIbLb1EES10_IbLb0EEEEDaSW_SX_EUlSW_E_NS1_11comp_targetILNS1_3genE8ELNS1_11target_archE1030ELNS1_3gpuE2ELNS1_3repE0EEENS1_30default_config_static_selectorELNS0_4arch9wavefront6targetE0EEEvT1_
; %bb.0:
	s_endpgm
	.section	.rodata,"a",@progbits
	.p2align	6, 0x0
	.amdhsa_kernel _ZN7rocprim17ROCPRIM_400000_NS6detail17trampoline_kernelINS0_14default_configENS1_27scan_by_key_config_selectorIifEEZZNS1_16scan_by_key_implILNS1_25lookback_scan_determinismE0ELb1ES3_N6thrust23THRUST_200600_302600_NS6detail15normal_iteratorINS9_10device_ptrIiEEEENSB_INSC_IfEEEESG_fNS9_4plusIvEENS9_8equal_toIvEEfEE10hipError_tPvRmT2_T3_T4_T5_mT6_T7_P12ihipStream_tbENKUlT_T0_E_clISt17integral_constantIbLb1EES10_IbLb0EEEEDaSW_SX_EUlSW_E_NS1_11comp_targetILNS1_3genE8ELNS1_11target_archE1030ELNS1_3gpuE2ELNS1_3repE0EEENS1_30default_config_static_selectorELNS0_4arch9wavefront6targetE0EEEvT1_
		.amdhsa_group_segment_fixed_size 0
		.amdhsa_private_segment_fixed_size 0
		.amdhsa_kernarg_size 112
		.amdhsa_user_sgpr_count 6
		.amdhsa_user_sgpr_private_segment_buffer 1
		.amdhsa_user_sgpr_dispatch_ptr 0
		.amdhsa_user_sgpr_queue_ptr 0
		.amdhsa_user_sgpr_kernarg_segment_ptr 1
		.amdhsa_user_sgpr_dispatch_id 0
		.amdhsa_user_sgpr_flat_scratch_init 0
		.amdhsa_user_sgpr_private_segment_size 0
		.amdhsa_wavefront_size32 1
		.amdhsa_uses_dynamic_stack 0
		.amdhsa_system_sgpr_private_segment_wavefront_offset 0
		.amdhsa_system_sgpr_workgroup_id_x 1
		.amdhsa_system_sgpr_workgroup_id_y 0
		.amdhsa_system_sgpr_workgroup_id_z 0
		.amdhsa_system_sgpr_workgroup_info 0
		.amdhsa_system_vgpr_workitem_id 0
		.amdhsa_next_free_vgpr 1
		.amdhsa_next_free_sgpr 1
		.amdhsa_reserve_vcc 0
		.amdhsa_reserve_flat_scratch 0
		.amdhsa_float_round_mode_32 0
		.amdhsa_float_round_mode_16_64 0
		.amdhsa_float_denorm_mode_32 3
		.amdhsa_float_denorm_mode_16_64 3
		.amdhsa_dx10_clamp 1
		.amdhsa_ieee_mode 1
		.amdhsa_fp16_overflow 0
		.amdhsa_workgroup_processor_mode 1
		.amdhsa_memory_ordered 1
		.amdhsa_forward_progress 1
		.amdhsa_shared_vgpr_count 0
		.amdhsa_exception_fp_ieee_invalid_op 0
		.amdhsa_exception_fp_denorm_src 0
		.amdhsa_exception_fp_ieee_div_zero 0
		.amdhsa_exception_fp_ieee_overflow 0
		.amdhsa_exception_fp_ieee_underflow 0
		.amdhsa_exception_fp_ieee_inexact 0
		.amdhsa_exception_int_div_zero 0
	.end_amdhsa_kernel
	.section	.text._ZN7rocprim17ROCPRIM_400000_NS6detail17trampoline_kernelINS0_14default_configENS1_27scan_by_key_config_selectorIifEEZZNS1_16scan_by_key_implILNS1_25lookback_scan_determinismE0ELb1ES3_N6thrust23THRUST_200600_302600_NS6detail15normal_iteratorINS9_10device_ptrIiEEEENSB_INSC_IfEEEESG_fNS9_4plusIvEENS9_8equal_toIvEEfEE10hipError_tPvRmT2_T3_T4_T5_mT6_T7_P12ihipStream_tbENKUlT_T0_E_clISt17integral_constantIbLb1EES10_IbLb0EEEEDaSW_SX_EUlSW_E_NS1_11comp_targetILNS1_3genE8ELNS1_11target_archE1030ELNS1_3gpuE2ELNS1_3repE0EEENS1_30default_config_static_selectorELNS0_4arch9wavefront6targetE0EEEvT1_,"axG",@progbits,_ZN7rocprim17ROCPRIM_400000_NS6detail17trampoline_kernelINS0_14default_configENS1_27scan_by_key_config_selectorIifEEZZNS1_16scan_by_key_implILNS1_25lookback_scan_determinismE0ELb1ES3_N6thrust23THRUST_200600_302600_NS6detail15normal_iteratorINS9_10device_ptrIiEEEENSB_INSC_IfEEEESG_fNS9_4plusIvEENS9_8equal_toIvEEfEE10hipError_tPvRmT2_T3_T4_T5_mT6_T7_P12ihipStream_tbENKUlT_T0_E_clISt17integral_constantIbLb1EES10_IbLb0EEEEDaSW_SX_EUlSW_E_NS1_11comp_targetILNS1_3genE8ELNS1_11target_archE1030ELNS1_3gpuE2ELNS1_3repE0EEENS1_30default_config_static_selectorELNS0_4arch9wavefront6targetE0EEEvT1_,comdat
.Lfunc_end1453:
	.size	_ZN7rocprim17ROCPRIM_400000_NS6detail17trampoline_kernelINS0_14default_configENS1_27scan_by_key_config_selectorIifEEZZNS1_16scan_by_key_implILNS1_25lookback_scan_determinismE0ELb1ES3_N6thrust23THRUST_200600_302600_NS6detail15normal_iteratorINS9_10device_ptrIiEEEENSB_INSC_IfEEEESG_fNS9_4plusIvEENS9_8equal_toIvEEfEE10hipError_tPvRmT2_T3_T4_T5_mT6_T7_P12ihipStream_tbENKUlT_T0_E_clISt17integral_constantIbLb1EES10_IbLb0EEEEDaSW_SX_EUlSW_E_NS1_11comp_targetILNS1_3genE8ELNS1_11target_archE1030ELNS1_3gpuE2ELNS1_3repE0EEENS1_30default_config_static_selectorELNS0_4arch9wavefront6targetE0EEEvT1_, .Lfunc_end1453-_ZN7rocprim17ROCPRIM_400000_NS6detail17trampoline_kernelINS0_14default_configENS1_27scan_by_key_config_selectorIifEEZZNS1_16scan_by_key_implILNS1_25lookback_scan_determinismE0ELb1ES3_N6thrust23THRUST_200600_302600_NS6detail15normal_iteratorINS9_10device_ptrIiEEEENSB_INSC_IfEEEESG_fNS9_4plusIvEENS9_8equal_toIvEEfEE10hipError_tPvRmT2_T3_T4_T5_mT6_T7_P12ihipStream_tbENKUlT_T0_E_clISt17integral_constantIbLb1EES10_IbLb0EEEEDaSW_SX_EUlSW_E_NS1_11comp_targetILNS1_3genE8ELNS1_11target_archE1030ELNS1_3gpuE2ELNS1_3repE0EEENS1_30default_config_static_selectorELNS0_4arch9wavefront6targetE0EEEvT1_
                                        ; -- End function
	.set _ZN7rocprim17ROCPRIM_400000_NS6detail17trampoline_kernelINS0_14default_configENS1_27scan_by_key_config_selectorIifEEZZNS1_16scan_by_key_implILNS1_25lookback_scan_determinismE0ELb1ES3_N6thrust23THRUST_200600_302600_NS6detail15normal_iteratorINS9_10device_ptrIiEEEENSB_INSC_IfEEEESG_fNS9_4plusIvEENS9_8equal_toIvEEfEE10hipError_tPvRmT2_T3_T4_T5_mT6_T7_P12ihipStream_tbENKUlT_T0_E_clISt17integral_constantIbLb1EES10_IbLb0EEEEDaSW_SX_EUlSW_E_NS1_11comp_targetILNS1_3genE8ELNS1_11target_archE1030ELNS1_3gpuE2ELNS1_3repE0EEENS1_30default_config_static_selectorELNS0_4arch9wavefront6targetE0EEEvT1_.num_vgpr, 0
	.set _ZN7rocprim17ROCPRIM_400000_NS6detail17trampoline_kernelINS0_14default_configENS1_27scan_by_key_config_selectorIifEEZZNS1_16scan_by_key_implILNS1_25lookback_scan_determinismE0ELb1ES3_N6thrust23THRUST_200600_302600_NS6detail15normal_iteratorINS9_10device_ptrIiEEEENSB_INSC_IfEEEESG_fNS9_4plusIvEENS9_8equal_toIvEEfEE10hipError_tPvRmT2_T3_T4_T5_mT6_T7_P12ihipStream_tbENKUlT_T0_E_clISt17integral_constantIbLb1EES10_IbLb0EEEEDaSW_SX_EUlSW_E_NS1_11comp_targetILNS1_3genE8ELNS1_11target_archE1030ELNS1_3gpuE2ELNS1_3repE0EEENS1_30default_config_static_selectorELNS0_4arch9wavefront6targetE0EEEvT1_.num_agpr, 0
	.set _ZN7rocprim17ROCPRIM_400000_NS6detail17trampoline_kernelINS0_14default_configENS1_27scan_by_key_config_selectorIifEEZZNS1_16scan_by_key_implILNS1_25lookback_scan_determinismE0ELb1ES3_N6thrust23THRUST_200600_302600_NS6detail15normal_iteratorINS9_10device_ptrIiEEEENSB_INSC_IfEEEESG_fNS9_4plusIvEENS9_8equal_toIvEEfEE10hipError_tPvRmT2_T3_T4_T5_mT6_T7_P12ihipStream_tbENKUlT_T0_E_clISt17integral_constantIbLb1EES10_IbLb0EEEEDaSW_SX_EUlSW_E_NS1_11comp_targetILNS1_3genE8ELNS1_11target_archE1030ELNS1_3gpuE2ELNS1_3repE0EEENS1_30default_config_static_selectorELNS0_4arch9wavefront6targetE0EEEvT1_.numbered_sgpr, 0
	.set _ZN7rocprim17ROCPRIM_400000_NS6detail17trampoline_kernelINS0_14default_configENS1_27scan_by_key_config_selectorIifEEZZNS1_16scan_by_key_implILNS1_25lookback_scan_determinismE0ELb1ES3_N6thrust23THRUST_200600_302600_NS6detail15normal_iteratorINS9_10device_ptrIiEEEENSB_INSC_IfEEEESG_fNS9_4plusIvEENS9_8equal_toIvEEfEE10hipError_tPvRmT2_T3_T4_T5_mT6_T7_P12ihipStream_tbENKUlT_T0_E_clISt17integral_constantIbLb1EES10_IbLb0EEEEDaSW_SX_EUlSW_E_NS1_11comp_targetILNS1_3genE8ELNS1_11target_archE1030ELNS1_3gpuE2ELNS1_3repE0EEENS1_30default_config_static_selectorELNS0_4arch9wavefront6targetE0EEEvT1_.num_named_barrier, 0
	.set _ZN7rocprim17ROCPRIM_400000_NS6detail17trampoline_kernelINS0_14default_configENS1_27scan_by_key_config_selectorIifEEZZNS1_16scan_by_key_implILNS1_25lookback_scan_determinismE0ELb1ES3_N6thrust23THRUST_200600_302600_NS6detail15normal_iteratorINS9_10device_ptrIiEEEENSB_INSC_IfEEEESG_fNS9_4plusIvEENS9_8equal_toIvEEfEE10hipError_tPvRmT2_T3_T4_T5_mT6_T7_P12ihipStream_tbENKUlT_T0_E_clISt17integral_constantIbLb1EES10_IbLb0EEEEDaSW_SX_EUlSW_E_NS1_11comp_targetILNS1_3genE8ELNS1_11target_archE1030ELNS1_3gpuE2ELNS1_3repE0EEENS1_30default_config_static_selectorELNS0_4arch9wavefront6targetE0EEEvT1_.private_seg_size, 0
	.set _ZN7rocprim17ROCPRIM_400000_NS6detail17trampoline_kernelINS0_14default_configENS1_27scan_by_key_config_selectorIifEEZZNS1_16scan_by_key_implILNS1_25lookback_scan_determinismE0ELb1ES3_N6thrust23THRUST_200600_302600_NS6detail15normal_iteratorINS9_10device_ptrIiEEEENSB_INSC_IfEEEESG_fNS9_4plusIvEENS9_8equal_toIvEEfEE10hipError_tPvRmT2_T3_T4_T5_mT6_T7_P12ihipStream_tbENKUlT_T0_E_clISt17integral_constantIbLb1EES10_IbLb0EEEEDaSW_SX_EUlSW_E_NS1_11comp_targetILNS1_3genE8ELNS1_11target_archE1030ELNS1_3gpuE2ELNS1_3repE0EEENS1_30default_config_static_selectorELNS0_4arch9wavefront6targetE0EEEvT1_.uses_vcc, 0
	.set _ZN7rocprim17ROCPRIM_400000_NS6detail17trampoline_kernelINS0_14default_configENS1_27scan_by_key_config_selectorIifEEZZNS1_16scan_by_key_implILNS1_25lookback_scan_determinismE0ELb1ES3_N6thrust23THRUST_200600_302600_NS6detail15normal_iteratorINS9_10device_ptrIiEEEENSB_INSC_IfEEEESG_fNS9_4plusIvEENS9_8equal_toIvEEfEE10hipError_tPvRmT2_T3_T4_T5_mT6_T7_P12ihipStream_tbENKUlT_T0_E_clISt17integral_constantIbLb1EES10_IbLb0EEEEDaSW_SX_EUlSW_E_NS1_11comp_targetILNS1_3genE8ELNS1_11target_archE1030ELNS1_3gpuE2ELNS1_3repE0EEENS1_30default_config_static_selectorELNS0_4arch9wavefront6targetE0EEEvT1_.uses_flat_scratch, 0
	.set _ZN7rocprim17ROCPRIM_400000_NS6detail17trampoline_kernelINS0_14default_configENS1_27scan_by_key_config_selectorIifEEZZNS1_16scan_by_key_implILNS1_25lookback_scan_determinismE0ELb1ES3_N6thrust23THRUST_200600_302600_NS6detail15normal_iteratorINS9_10device_ptrIiEEEENSB_INSC_IfEEEESG_fNS9_4plusIvEENS9_8equal_toIvEEfEE10hipError_tPvRmT2_T3_T4_T5_mT6_T7_P12ihipStream_tbENKUlT_T0_E_clISt17integral_constantIbLb1EES10_IbLb0EEEEDaSW_SX_EUlSW_E_NS1_11comp_targetILNS1_3genE8ELNS1_11target_archE1030ELNS1_3gpuE2ELNS1_3repE0EEENS1_30default_config_static_selectorELNS0_4arch9wavefront6targetE0EEEvT1_.has_dyn_sized_stack, 0
	.set _ZN7rocprim17ROCPRIM_400000_NS6detail17trampoline_kernelINS0_14default_configENS1_27scan_by_key_config_selectorIifEEZZNS1_16scan_by_key_implILNS1_25lookback_scan_determinismE0ELb1ES3_N6thrust23THRUST_200600_302600_NS6detail15normal_iteratorINS9_10device_ptrIiEEEENSB_INSC_IfEEEESG_fNS9_4plusIvEENS9_8equal_toIvEEfEE10hipError_tPvRmT2_T3_T4_T5_mT6_T7_P12ihipStream_tbENKUlT_T0_E_clISt17integral_constantIbLb1EES10_IbLb0EEEEDaSW_SX_EUlSW_E_NS1_11comp_targetILNS1_3genE8ELNS1_11target_archE1030ELNS1_3gpuE2ELNS1_3repE0EEENS1_30default_config_static_selectorELNS0_4arch9wavefront6targetE0EEEvT1_.has_recursion, 0
	.set _ZN7rocprim17ROCPRIM_400000_NS6detail17trampoline_kernelINS0_14default_configENS1_27scan_by_key_config_selectorIifEEZZNS1_16scan_by_key_implILNS1_25lookback_scan_determinismE0ELb1ES3_N6thrust23THRUST_200600_302600_NS6detail15normal_iteratorINS9_10device_ptrIiEEEENSB_INSC_IfEEEESG_fNS9_4plusIvEENS9_8equal_toIvEEfEE10hipError_tPvRmT2_T3_T4_T5_mT6_T7_P12ihipStream_tbENKUlT_T0_E_clISt17integral_constantIbLb1EES10_IbLb0EEEEDaSW_SX_EUlSW_E_NS1_11comp_targetILNS1_3genE8ELNS1_11target_archE1030ELNS1_3gpuE2ELNS1_3repE0EEENS1_30default_config_static_selectorELNS0_4arch9wavefront6targetE0EEEvT1_.has_indirect_call, 0
	.section	.AMDGPU.csdata,"",@progbits
; Kernel info:
; codeLenInByte = 4
; TotalNumSgprs: 0
; NumVgprs: 0
; ScratchSize: 0
; MemoryBound: 0
; FloatMode: 240
; IeeeMode: 1
; LDSByteSize: 0 bytes/workgroup (compile time only)
; SGPRBlocks: 0
; VGPRBlocks: 0
; NumSGPRsForWavesPerEU: 1
; NumVGPRsForWavesPerEU: 1
; Occupancy: 16
; WaveLimiterHint : 0
; COMPUTE_PGM_RSRC2:SCRATCH_EN: 0
; COMPUTE_PGM_RSRC2:USER_SGPR: 6
; COMPUTE_PGM_RSRC2:TRAP_HANDLER: 0
; COMPUTE_PGM_RSRC2:TGID_X_EN: 1
; COMPUTE_PGM_RSRC2:TGID_Y_EN: 0
; COMPUTE_PGM_RSRC2:TGID_Z_EN: 0
; COMPUTE_PGM_RSRC2:TIDIG_COMP_CNT: 0
	.section	.text._ZN7rocprim17ROCPRIM_400000_NS6detail17trampoline_kernelINS0_14default_configENS1_27scan_by_key_config_selectorIifEEZZNS1_16scan_by_key_implILNS1_25lookback_scan_determinismE0ELb1ES3_N6thrust23THRUST_200600_302600_NS6detail15normal_iteratorINS9_10device_ptrIiEEEENSB_INSC_IfEEEESG_fNS9_4plusIvEENS9_8equal_toIvEEfEE10hipError_tPvRmT2_T3_T4_T5_mT6_T7_P12ihipStream_tbENKUlT_T0_E_clISt17integral_constantIbLb0EES10_IbLb1EEEEDaSW_SX_EUlSW_E_NS1_11comp_targetILNS1_3genE0ELNS1_11target_archE4294967295ELNS1_3gpuE0ELNS1_3repE0EEENS1_30default_config_static_selectorELNS0_4arch9wavefront6targetE0EEEvT1_,"axG",@progbits,_ZN7rocprim17ROCPRIM_400000_NS6detail17trampoline_kernelINS0_14default_configENS1_27scan_by_key_config_selectorIifEEZZNS1_16scan_by_key_implILNS1_25lookback_scan_determinismE0ELb1ES3_N6thrust23THRUST_200600_302600_NS6detail15normal_iteratorINS9_10device_ptrIiEEEENSB_INSC_IfEEEESG_fNS9_4plusIvEENS9_8equal_toIvEEfEE10hipError_tPvRmT2_T3_T4_T5_mT6_T7_P12ihipStream_tbENKUlT_T0_E_clISt17integral_constantIbLb0EES10_IbLb1EEEEDaSW_SX_EUlSW_E_NS1_11comp_targetILNS1_3genE0ELNS1_11target_archE4294967295ELNS1_3gpuE0ELNS1_3repE0EEENS1_30default_config_static_selectorELNS0_4arch9wavefront6targetE0EEEvT1_,comdat
	.protected	_ZN7rocprim17ROCPRIM_400000_NS6detail17trampoline_kernelINS0_14default_configENS1_27scan_by_key_config_selectorIifEEZZNS1_16scan_by_key_implILNS1_25lookback_scan_determinismE0ELb1ES3_N6thrust23THRUST_200600_302600_NS6detail15normal_iteratorINS9_10device_ptrIiEEEENSB_INSC_IfEEEESG_fNS9_4plusIvEENS9_8equal_toIvEEfEE10hipError_tPvRmT2_T3_T4_T5_mT6_T7_P12ihipStream_tbENKUlT_T0_E_clISt17integral_constantIbLb0EES10_IbLb1EEEEDaSW_SX_EUlSW_E_NS1_11comp_targetILNS1_3genE0ELNS1_11target_archE4294967295ELNS1_3gpuE0ELNS1_3repE0EEENS1_30default_config_static_selectorELNS0_4arch9wavefront6targetE0EEEvT1_ ; -- Begin function _ZN7rocprim17ROCPRIM_400000_NS6detail17trampoline_kernelINS0_14default_configENS1_27scan_by_key_config_selectorIifEEZZNS1_16scan_by_key_implILNS1_25lookback_scan_determinismE0ELb1ES3_N6thrust23THRUST_200600_302600_NS6detail15normal_iteratorINS9_10device_ptrIiEEEENSB_INSC_IfEEEESG_fNS9_4plusIvEENS9_8equal_toIvEEfEE10hipError_tPvRmT2_T3_T4_T5_mT6_T7_P12ihipStream_tbENKUlT_T0_E_clISt17integral_constantIbLb0EES10_IbLb1EEEEDaSW_SX_EUlSW_E_NS1_11comp_targetILNS1_3genE0ELNS1_11target_archE4294967295ELNS1_3gpuE0ELNS1_3repE0EEENS1_30default_config_static_selectorELNS0_4arch9wavefront6targetE0EEEvT1_
	.globl	_ZN7rocprim17ROCPRIM_400000_NS6detail17trampoline_kernelINS0_14default_configENS1_27scan_by_key_config_selectorIifEEZZNS1_16scan_by_key_implILNS1_25lookback_scan_determinismE0ELb1ES3_N6thrust23THRUST_200600_302600_NS6detail15normal_iteratorINS9_10device_ptrIiEEEENSB_INSC_IfEEEESG_fNS9_4plusIvEENS9_8equal_toIvEEfEE10hipError_tPvRmT2_T3_T4_T5_mT6_T7_P12ihipStream_tbENKUlT_T0_E_clISt17integral_constantIbLb0EES10_IbLb1EEEEDaSW_SX_EUlSW_E_NS1_11comp_targetILNS1_3genE0ELNS1_11target_archE4294967295ELNS1_3gpuE0ELNS1_3repE0EEENS1_30default_config_static_selectorELNS0_4arch9wavefront6targetE0EEEvT1_
	.p2align	8
	.type	_ZN7rocprim17ROCPRIM_400000_NS6detail17trampoline_kernelINS0_14default_configENS1_27scan_by_key_config_selectorIifEEZZNS1_16scan_by_key_implILNS1_25lookback_scan_determinismE0ELb1ES3_N6thrust23THRUST_200600_302600_NS6detail15normal_iteratorINS9_10device_ptrIiEEEENSB_INSC_IfEEEESG_fNS9_4plusIvEENS9_8equal_toIvEEfEE10hipError_tPvRmT2_T3_T4_T5_mT6_T7_P12ihipStream_tbENKUlT_T0_E_clISt17integral_constantIbLb0EES10_IbLb1EEEEDaSW_SX_EUlSW_E_NS1_11comp_targetILNS1_3genE0ELNS1_11target_archE4294967295ELNS1_3gpuE0ELNS1_3repE0EEENS1_30default_config_static_selectorELNS0_4arch9wavefront6targetE0EEEvT1_,@function
_ZN7rocprim17ROCPRIM_400000_NS6detail17trampoline_kernelINS0_14default_configENS1_27scan_by_key_config_selectorIifEEZZNS1_16scan_by_key_implILNS1_25lookback_scan_determinismE0ELb1ES3_N6thrust23THRUST_200600_302600_NS6detail15normal_iteratorINS9_10device_ptrIiEEEENSB_INSC_IfEEEESG_fNS9_4plusIvEENS9_8equal_toIvEEfEE10hipError_tPvRmT2_T3_T4_T5_mT6_T7_P12ihipStream_tbENKUlT_T0_E_clISt17integral_constantIbLb0EES10_IbLb1EEEEDaSW_SX_EUlSW_E_NS1_11comp_targetILNS1_3genE0ELNS1_11target_archE4294967295ELNS1_3gpuE0ELNS1_3repE0EEENS1_30default_config_static_selectorELNS0_4arch9wavefront6targetE0EEEvT1_: ; @_ZN7rocprim17ROCPRIM_400000_NS6detail17trampoline_kernelINS0_14default_configENS1_27scan_by_key_config_selectorIifEEZZNS1_16scan_by_key_implILNS1_25lookback_scan_determinismE0ELb1ES3_N6thrust23THRUST_200600_302600_NS6detail15normal_iteratorINS9_10device_ptrIiEEEENSB_INSC_IfEEEESG_fNS9_4plusIvEENS9_8equal_toIvEEfEE10hipError_tPvRmT2_T3_T4_T5_mT6_T7_P12ihipStream_tbENKUlT_T0_E_clISt17integral_constantIbLb0EES10_IbLb1EEEEDaSW_SX_EUlSW_E_NS1_11comp_targetILNS1_3genE0ELNS1_11target_archE4294967295ELNS1_3gpuE0ELNS1_3repE0EEENS1_30default_config_static_selectorELNS0_4arch9wavefront6targetE0EEEvT1_
; %bb.0:
	.section	.rodata,"a",@progbits
	.p2align	6, 0x0
	.amdhsa_kernel _ZN7rocprim17ROCPRIM_400000_NS6detail17trampoline_kernelINS0_14default_configENS1_27scan_by_key_config_selectorIifEEZZNS1_16scan_by_key_implILNS1_25lookback_scan_determinismE0ELb1ES3_N6thrust23THRUST_200600_302600_NS6detail15normal_iteratorINS9_10device_ptrIiEEEENSB_INSC_IfEEEESG_fNS9_4plusIvEENS9_8equal_toIvEEfEE10hipError_tPvRmT2_T3_T4_T5_mT6_T7_P12ihipStream_tbENKUlT_T0_E_clISt17integral_constantIbLb0EES10_IbLb1EEEEDaSW_SX_EUlSW_E_NS1_11comp_targetILNS1_3genE0ELNS1_11target_archE4294967295ELNS1_3gpuE0ELNS1_3repE0EEENS1_30default_config_static_selectorELNS0_4arch9wavefront6targetE0EEEvT1_
		.amdhsa_group_segment_fixed_size 0
		.amdhsa_private_segment_fixed_size 0
		.amdhsa_kernarg_size 112
		.amdhsa_user_sgpr_count 6
		.amdhsa_user_sgpr_private_segment_buffer 1
		.amdhsa_user_sgpr_dispatch_ptr 0
		.amdhsa_user_sgpr_queue_ptr 0
		.amdhsa_user_sgpr_kernarg_segment_ptr 1
		.amdhsa_user_sgpr_dispatch_id 0
		.amdhsa_user_sgpr_flat_scratch_init 0
		.amdhsa_user_sgpr_private_segment_size 0
		.amdhsa_wavefront_size32 1
		.amdhsa_uses_dynamic_stack 0
		.amdhsa_system_sgpr_private_segment_wavefront_offset 0
		.amdhsa_system_sgpr_workgroup_id_x 1
		.amdhsa_system_sgpr_workgroup_id_y 0
		.amdhsa_system_sgpr_workgroup_id_z 0
		.amdhsa_system_sgpr_workgroup_info 0
		.amdhsa_system_vgpr_workitem_id 0
		.amdhsa_next_free_vgpr 1
		.amdhsa_next_free_sgpr 1
		.amdhsa_reserve_vcc 0
		.amdhsa_reserve_flat_scratch 0
		.amdhsa_float_round_mode_32 0
		.amdhsa_float_round_mode_16_64 0
		.amdhsa_float_denorm_mode_32 3
		.amdhsa_float_denorm_mode_16_64 3
		.amdhsa_dx10_clamp 1
		.amdhsa_ieee_mode 1
		.amdhsa_fp16_overflow 0
		.amdhsa_workgroup_processor_mode 1
		.amdhsa_memory_ordered 1
		.amdhsa_forward_progress 1
		.amdhsa_shared_vgpr_count 0
		.amdhsa_exception_fp_ieee_invalid_op 0
		.amdhsa_exception_fp_denorm_src 0
		.amdhsa_exception_fp_ieee_div_zero 0
		.amdhsa_exception_fp_ieee_overflow 0
		.amdhsa_exception_fp_ieee_underflow 0
		.amdhsa_exception_fp_ieee_inexact 0
		.amdhsa_exception_int_div_zero 0
	.end_amdhsa_kernel
	.section	.text._ZN7rocprim17ROCPRIM_400000_NS6detail17trampoline_kernelINS0_14default_configENS1_27scan_by_key_config_selectorIifEEZZNS1_16scan_by_key_implILNS1_25lookback_scan_determinismE0ELb1ES3_N6thrust23THRUST_200600_302600_NS6detail15normal_iteratorINS9_10device_ptrIiEEEENSB_INSC_IfEEEESG_fNS9_4plusIvEENS9_8equal_toIvEEfEE10hipError_tPvRmT2_T3_T4_T5_mT6_T7_P12ihipStream_tbENKUlT_T0_E_clISt17integral_constantIbLb0EES10_IbLb1EEEEDaSW_SX_EUlSW_E_NS1_11comp_targetILNS1_3genE0ELNS1_11target_archE4294967295ELNS1_3gpuE0ELNS1_3repE0EEENS1_30default_config_static_selectorELNS0_4arch9wavefront6targetE0EEEvT1_,"axG",@progbits,_ZN7rocprim17ROCPRIM_400000_NS6detail17trampoline_kernelINS0_14default_configENS1_27scan_by_key_config_selectorIifEEZZNS1_16scan_by_key_implILNS1_25lookback_scan_determinismE0ELb1ES3_N6thrust23THRUST_200600_302600_NS6detail15normal_iteratorINS9_10device_ptrIiEEEENSB_INSC_IfEEEESG_fNS9_4plusIvEENS9_8equal_toIvEEfEE10hipError_tPvRmT2_T3_T4_T5_mT6_T7_P12ihipStream_tbENKUlT_T0_E_clISt17integral_constantIbLb0EES10_IbLb1EEEEDaSW_SX_EUlSW_E_NS1_11comp_targetILNS1_3genE0ELNS1_11target_archE4294967295ELNS1_3gpuE0ELNS1_3repE0EEENS1_30default_config_static_selectorELNS0_4arch9wavefront6targetE0EEEvT1_,comdat
.Lfunc_end1454:
	.size	_ZN7rocprim17ROCPRIM_400000_NS6detail17trampoline_kernelINS0_14default_configENS1_27scan_by_key_config_selectorIifEEZZNS1_16scan_by_key_implILNS1_25lookback_scan_determinismE0ELb1ES3_N6thrust23THRUST_200600_302600_NS6detail15normal_iteratorINS9_10device_ptrIiEEEENSB_INSC_IfEEEESG_fNS9_4plusIvEENS9_8equal_toIvEEfEE10hipError_tPvRmT2_T3_T4_T5_mT6_T7_P12ihipStream_tbENKUlT_T0_E_clISt17integral_constantIbLb0EES10_IbLb1EEEEDaSW_SX_EUlSW_E_NS1_11comp_targetILNS1_3genE0ELNS1_11target_archE4294967295ELNS1_3gpuE0ELNS1_3repE0EEENS1_30default_config_static_selectorELNS0_4arch9wavefront6targetE0EEEvT1_, .Lfunc_end1454-_ZN7rocprim17ROCPRIM_400000_NS6detail17trampoline_kernelINS0_14default_configENS1_27scan_by_key_config_selectorIifEEZZNS1_16scan_by_key_implILNS1_25lookback_scan_determinismE0ELb1ES3_N6thrust23THRUST_200600_302600_NS6detail15normal_iteratorINS9_10device_ptrIiEEEENSB_INSC_IfEEEESG_fNS9_4plusIvEENS9_8equal_toIvEEfEE10hipError_tPvRmT2_T3_T4_T5_mT6_T7_P12ihipStream_tbENKUlT_T0_E_clISt17integral_constantIbLb0EES10_IbLb1EEEEDaSW_SX_EUlSW_E_NS1_11comp_targetILNS1_3genE0ELNS1_11target_archE4294967295ELNS1_3gpuE0ELNS1_3repE0EEENS1_30default_config_static_selectorELNS0_4arch9wavefront6targetE0EEEvT1_
                                        ; -- End function
	.set _ZN7rocprim17ROCPRIM_400000_NS6detail17trampoline_kernelINS0_14default_configENS1_27scan_by_key_config_selectorIifEEZZNS1_16scan_by_key_implILNS1_25lookback_scan_determinismE0ELb1ES3_N6thrust23THRUST_200600_302600_NS6detail15normal_iteratorINS9_10device_ptrIiEEEENSB_INSC_IfEEEESG_fNS9_4plusIvEENS9_8equal_toIvEEfEE10hipError_tPvRmT2_T3_T4_T5_mT6_T7_P12ihipStream_tbENKUlT_T0_E_clISt17integral_constantIbLb0EES10_IbLb1EEEEDaSW_SX_EUlSW_E_NS1_11comp_targetILNS1_3genE0ELNS1_11target_archE4294967295ELNS1_3gpuE0ELNS1_3repE0EEENS1_30default_config_static_selectorELNS0_4arch9wavefront6targetE0EEEvT1_.num_vgpr, 0
	.set _ZN7rocprim17ROCPRIM_400000_NS6detail17trampoline_kernelINS0_14default_configENS1_27scan_by_key_config_selectorIifEEZZNS1_16scan_by_key_implILNS1_25lookback_scan_determinismE0ELb1ES3_N6thrust23THRUST_200600_302600_NS6detail15normal_iteratorINS9_10device_ptrIiEEEENSB_INSC_IfEEEESG_fNS9_4plusIvEENS9_8equal_toIvEEfEE10hipError_tPvRmT2_T3_T4_T5_mT6_T7_P12ihipStream_tbENKUlT_T0_E_clISt17integral_constantIbLb0EES10_IbLb1EEEEDaSW_SX_EUlSW_E_NS1_11comp_targetILNS1_3genE0ELNS1_11target_archE4294967295ELNS1_3gpuE0ELNS1_3repE0EEENS1_30default_config_static_selectorELNS0_4arch9wavefront6targetE0EEEvT1_.num_agpr, 0
	.set _ZN7rocprim17ROCPRIM_400000_NS6detail17trampoline_kernelINS0_14default_configENS1_27scan_by_key_config_selectorIifEEZZNS1_16scan_by_key_implILNS1_25lookback_scan_determinismE0ELb1ES3_N6thrust23THRUST_200600_302600_NS6detail15normal_iteratorINS9_10device_ptrIiEEEENSB_INSC_IfEEEESG_fNS9_4plusIvEENS9_8equal_toIvEEfEE10hipError_tPvRmT2_T3_T4_T5_mT6_T7_P12ihipStream_tbENKUlT_T0_E_clISt17integral_constantIbLb0EES10_IbLb1EEEEDaSW_SX_EUlSW_E_NS1_11comp_targetILNS1_3genE0ELNS1_11target_archE4294967295ELNS1_3gpuE0ELNS1_3repE0EEENS1_30default_config_static_selectorELNS0_4arch9wavefront6targetE0EEEvT1_.numbered_sgpr, 0
	.set _ZN7rocprim17ROCPRIM_400000_NS6detail17trampoline_kernelINS0_14default_configENS1_27scan_by_key_config_selectorIifEEZZNS1_16scan_by_key_implILNS1_25lookback_scan_determinismE0ELb1ES3_N6thrust23THRUST_200600_302600_NS6detail15normal_iteratorINS9_10device_ptrIiEEEENSB_INSC_IfEEEESG_fNS9_4plusIvEENS9_8equal_toIvEEfEE10hipError_tPvRmT2_T3_T4_T5_mT6_T7_P12ihipStream_tbENKUlT_T0_E_clISt17integral_constantIbLb0EES10_IbLb1EEEEDaSW_SX_EUlSW_E_NS1_11comp_targetILNS1_3genE0ELNS1_11target_archE4294967295ELNS1_3gpuE0ELNS1_3repE0EEENS1_30default_config_static_selectorELNS0_4arch9wavefront6targetE0EEEvT1_.num_named_barrier, 0
	.set _ZN7rocprim17ROCPRIM_400000_NS6detail17trampoline_kernelINS0_14default_configENS1_27scan_by_key_config_selectorIifEEZZNS1_16scan_by_key_implILNS1_25lookback_scan_determinismE0ELb1ES3_N6thrust23THRUST_200600_302600_NS6detail15normal_iteratorINS9_10device_ptrIiEEEENSB_INSC_IfEEEESG_fNS9_4plusIvEENS9_8equal_toIvEEfEE10hipError_tPvRmT2_T3_T4_T5_mT6_T7_P12ihipStream_tbENKUlT_T0_E_clISt17integral_constantIbLb0EES10_IbLb1EEEEDaSW_SX_EUlSW_E_NS1_11comp_targetILNS1_3genE0ELNS1_11target_archE4294967295ELNS1_3gpuE0ELNS1_3repE0EEENS1_30default_config_static_selectorELNS0_4arch9wavefront6targetE0EEEvT1_.private_seg_size, 0
	.set _ZN7rocprim17ROCPRIM_400000_NS6detail17trampoline_kernelINS0_14default_configENS1_27scan_by_key_config_selectorIifEEZZNS1_16scan_by_key_implILNS1_25lookback_scan_determinismE0ELb1ES3_N6thrust23THRUST_200600_302600_NS6detail15normal_iteratorINS9_10device_ptrIiEEEENSB_INSC_IfEEEESG_fNS9_4plusIvEENS9_8equal_toIvEEfEE10hipError_tPvRmT2_T3_T4_T5_mT6_T7_P12ihipStream_tbENKUlT_T0_E_clISt17integral_constantIbLb0EES10_IbLb1EEEEDaSW_SX_EUlSW_E_NS1_11comp_targetILNS1_3genE0ELNS1_11target_archE4294967295ELNS1_3gpuE0ELNS1_3repE0EEENS1_30default_config_static_selectorELNS0_4arch9wavefront6targetE0EEEvT1_.uses_vcc, 0
	.set _ZN7rocprim17ROCPRIM_400000_NS6detail17trampoline_kernelINS0_14default_configENS1_27scan_by_key_config_selectorIifEEZZNS1_16scan_by_key_implILNS1_25lookback_scan_determinismE0ELb1ES3_N6thrust23THRUST_200600_302600_NS6detail15normal_iteratorINS9_10device_ptrIiEEEENSB_INSC_IfEEEESG_fNS9_4plusIvEENS9_8equal_toIvEEfEE10hipError_tPvRmT2_T3_T4_T5_mT6_T7_P12ihipStream_tbENKUlT_T0_E_clISt17integral_constantIbLb0EES10_IbLb1EEEEDaSW_SX_EUlSW_E_NS1_11comp_targetILNS1_3genE0ELNS1_11target_archE4294967295ELNS1_3gpuE0ELNS1_3repE0EEENS1_30default_config_static_selectorELNS0_4arch9wavefront6targetE0EEEvT1_.uses_flat_scratch, 0
	.set _ZN7rocprim17ROCPRIM_400000_NS6detail17trampoline_kernelINS0_14default_configENS1_27scan_by_key_config_selectorIifEEZZNS1_16scan_by_key_implILNS1_25lookback_scan_determinismE0ELb1ES3_N6thrust23THRUST_200600_302600_NS6detail15normal_iteratorINS9_10device_ptrIiEEEENSB_INSC_IfEEEESG_fNS9_4plusIvEENS9_8equal_toIvEEfEE10hipError_tPvRmT2_T3_T4_T5_mT6_T7_P12ihipStream_tbENKUlT_T0_E_clISt17integral_constantIbLb0EES10_IbLb1EEEEDaSW_SX_EUlSW_E_NS1_11comp_targetILNS1_3genE0ELNS1_11target_archE4294967295ELNS1_3gpuE0ELNS1_3repE0EEENS1_30default_config_static_selectorELNS0_4arch9wavefront6targetE0EEEvT1_.has_dyn_sized_stack, 0
	.set _ZN7rocprim17ROCPRIM_400000_NS6detail17trampoline_kernelINS0_14default_configENS1_27scan_by_key_config_selectorIifEEZZNS1_16scan_by_key_implILNS1_25lookback_scan_determinismE0ELb1ES3_N6thrust23THRUST_200600_302600_NS6detail15normal_iteratorINS9_10device_ptrIiEEEENSB_INSC_IfEEEESG_fNS9_4plusIvEENS9_8equal_toIvEEfEE10hipError_tPvRmT2_T3_T4_T5_mT6_T7_P12ihipStream_tbENKUlT_T0_E_clISt17integral_constantIbLb0EES10_IbLb1EEEEDaSW_SX_EUlSW_E_NS1_11comp_targetILNS1_3genE0ELNS1_11target_archE4294967295ELNS1_3gpuE0ELNS1_3repE0EEENS1_30default_config_static_selectorELNS0_4arch9wavefront6targetE0EEEvT1_.has_recursion, 0
	.set _ZN7rocprim17ROCPRIM_400000_NS6detail17trampoline_kernelINS0_14default_configENS1_27scan_by_key_config_selectorIifEEZZNS1_16scan_by_key_implILNS1_25lookback_scan_determinismE0ELb1ES3_N6thrust23THRUST_200600_302600_NS6detail15normal_iteratorINS9_10device_ptrIiEEEENSB_INSC_IfEEEESG_fNS9_4plusIvEENS9_8equal_toIvEEfEE10hipError_tPvRmT2_T3_T4_T5_mT6_T7_P12ihipStream_tbENKUlT_T0_E_clISt17integral_constantIbLb0EES10_IbLb1EEEEDaSW_SX_EUlSW_E_NS1_11comp_targetILNS1_3genE0ELNS1_11target_archE4294967295ELNS1_3gpuE0ELNS1_3repE0EEENS1_30default_config_static_selectorELNS0_4arch9wavefront6targetE0EEEvT1_.has_indirect_call, 0
	.section	.AMDGPU.csdata,"",@progbits
; Kernel info:
; codeLenInByte = 0
; TotalNumSgprs: 0
; NumVgprs: 0
; ScratchSize: 0
; MemoryBound: 0
; FloatMode: 240
; IeeeMode: 1
; LDSByteSize: 0 bytes/workgroup (compile time only)
; SGPRBlocks: 0
; VGPRBlocks: 0
; NumSGPRsForWavesPerEU: 1
; NumVGPRsForWavesPerEU: 1
; Occupancy: 16
; WaveLimiterHint : 0
; COMPUTE_PGM_RSRC2:SCRATCH_EN: 0
; COMPUTE_PGM_RSRC2:USER_SGPR: 6
; COMPUTE_PGM_RSRC2:TRAP_HANDLER: 0
; COMPUTE_PGM_RSRC2:TGID_X_EN: 1
; COMPUTE_PGM_RSRC2:TGID_Y_EN: 0
; COMPUTE_PGM_RSRC2:TGID_Z_EN: 0
; COMPUTE_PGM_RSRC2:TIDIG_COMP_CNT: 0
	.section	.text._ZN7rocprim17ROCPRIM_400000_NS6detail17trampoline_kernelINS0_14default_configENS1_27scan_by_key_config_selectorIifEEZZNS1_16scan_by_key_implILNS1_25lookback_scan_determinismE0ELb1ES3_N6thrust23THRUST_200600_302600_NS6detail15normal_iteratorINS9_10device_ptrIiEEEENSB_INSC_IfEEEESG_fNS9_4plusIvEENS9_8equal_toIvEEfEE10hipError_tPvRmT2_T3_T4_T5_mT6_T7_P12ihipStream_tbENKUlT_T0_E_clISt17integral_constantIbLb0EES10_IbLb1EEEEDaSW_SX_EUlSW_E_NS1_11comp_targetILNS1_3genE10ELNS1_11target_archE1201ELNS1_3gpuE5ELNS1_3repE0EEENS1_30default_config_static_selectorELNS0_4arch9wavefront6targetE0EEEvT1_,"axG",@progbits,_ZN7rocprim17ROCPRIM_400000_NS6detail17trampoline_kernelINS0_14default_configENS1_27scan_by_key_config_selectorIifEEZZNS1_16scan_by_key_implILNS1_25lookback_scan_determinismE0ELb1ES3_N6thrust23THRUST_200600_302600_NS6detail15normal_iteratorINS9_10device_ptrIiEEEENSB_INSC_IfEEEESG_fNS9_4plusIvEENS9_8equal_toIvEEfEE10hipError_tPvRmT2_T3_T4_T5_mT6_T7_P12ihipStream_tbENKUlT_T0_E_clISt17integral_constantIbLb0EES10_IbLb1EEEEDaSW_SX_EUlSW_E_NS1_11comp_targetILNS1_3genE10ELNS1_11target_archE1201ELNS1_3gpuE5ELNS1_3repE0EEENS1_30default_config_static_selectorELNS0_4arch9wavefront6targetE0EEEvT1_,comdat
	.protected	_ZN7rocprim17ROCPRIM_400000_NS6detail17trampoline_kernelINS0_14default_configENS1_27scan_by_key_config_selectorIifEEZZNS1_16scan_by_key_implILNS1_25lookback_scan_determinismE0ELb1ES3_N6thrust23THRUST_200600_302600_NS6detail15normal_iteratorINS9_10device_ptrIiEEEENSB_INSC_IfEEEESG_fNS9_4plusIvEENS9_8equal_toIvEEfEE10hipError_tPvRmT2_T3_T4_T5_mT6_T7_P12ihipStream_tbENKUlT_T0_E_clISt17integral_constantIbLb0EES10_IbLb1EEEEDaSW_SX_EUlSW_E_NS1_11comp_targetILNS1_3genE10ELNS1_11target_archE1201ELNS1_3gpuE5ELNS1_3repE0EEENS1_30default_config_static_selectorELNS0_4arch9wavefront6targetE0EEEvT1_ ; -- Begin function _ZN7rocprim17ROCPRIM_400000_NS6detail17trampoline_kernelINS0_14default_configENS1_27scan_by_key_config_selectorIifEEZZNS1_16scan_by_key_implILNS1_25lookback_scan_determinismE0ELb1ES3_N6thrust23THRUST_200600_302600_NS6detail15normal_iteratorINS9_10device_ptrIiEEEENSB_INSC_IfEEEESG_fNS9_4plusIvEENS9_8equal_toIvEEfEE10hipError_tPvRmT2_T3_T4_T5_mT6_T7_P12ihipStream_tbENKUlT_T0_E_clISt17integral_constantIbLb0EES10_IbLb1EEEEDaSW_SX_EUlSW_E_NS1_11comp_targetILNS1_3genE10ELNS1_11target_archE1201ELNS1_3gpuE5ELNS1_3repE0EEENS1_30default_config_static_selectorELNS0_4arch9wavefront6targetE0EEEvT1_
	.globl	_ZN7rocprim17ROCPRIM_400000_NS6detail17trampoline_kernelINS0_14default_configENS1_27scan_by_key_config_selectorIifEEZZNS1_16scan_by_key_implILNS1_25lookback_scan_determinismE0ELb1ES3_N6thrust23THRUST_200600_302600_NS6detail15normal_iteratorINS9_10device_ptrIiEEEENSB_INSC_IfEEEESG_fNS9_4plusIvEENS9_8equal_toIvEEfEE10hipError_tPvRmT2_T3_T4_T5_mT6_T7_P12ihipStream_tbENKUlT_T0_E_clISt17integral_constantIbLb0EES10_IbLb1EEEEDaSW_SX_EUlSW_E_NS1_11comp_targetILNS1_3genE10ELNS1_11target_archE1201ELNS1_3gpuE5ELNS1_3repE0EEENS1_30default_config_static_selectorELNS0_4arch9wavefront6targetE0EEEvT1_
	.p2align	8
	.type	_ZN7rocprim17ROCPRIM_400000_NS6detail17trampoline_kernelINS0_14default_configENS1_27scan_by_key_config_selectorIifEEZZNS1_16scan_by_key_implILNS1_25lookback_scan_determinismE0ELb1ES3_N6thrust23THRUST_200600_302600_NS6detail15normal_iteratorINS9_10device_ptrIiEEEENSB_INSC_IfEEEESG_fNS9_4plusIvEENS9_8equal_toIvEEfEE10hipError_tPvRmT2_T3_T4_T5_mT6_T7_P12ihipStream_tbENKUlT_T0_E_clISt17integral_constantIbLb0EES10_IbLb1EEEEDaSW_SX_EUlSW_E_NS1_11comp_targetILNS1_3genE10ELNS1_11target_archE1201ELNS1_3gpuE5ELNS1_3repE0EEENS1_30default_config_static_selectorELNS0_4arch9wavefront6targetE0EEEvT1_,@function
_ZN7rocprim17ROCPRIM_400000_NS6detail17trampoline_kernelINS0_14default_configENS1_27scan_by_key_config_selectorIifEEZZNS1_16scan_by_key_implILNS1_25lookback_scan_determinismE0ELb1ES3_N6thrust23THRUST_200600_302600_NS6detail15normal_iteratorINS9_10device_ptrIiEEEENSB_INSC_IfEEEESG_fNS9_4plusIvEENS9_8equal_toIvEEfEE10hipError_tPvRmT2_T3_T4_T5_mT6_T7_P12ihipStream_tbENKUlT_T0_E_clISt17integral_constantIbLb0EES10_IbLb1EEEEDaSW_SX_EUlSW_E_NS1_11comp_targetILNS1_3genE10ELNS1_11target_archE1201ELNS1_3gpuE5ELNS1_3repE0EEENS1_30default_config_static_selectorELNS0_4arch9wavefront6targetE0EEEvT1_: ; @_ZN7rocprim17ROCPRIM_400000_NS6detail17trampoline_kernelINS0_14default_configENS1_27scan_by_key_config_selectorIifEEZZNS1_16scan_by_key_implILNS1_25lookback_scan_determinismE0ELb1ES3_N6thrust23THRUST_200600_302600_NS6detail15normal_iteratorINS9_10device_ptrIiEEEENSB_INSC_IfEEEESG_fNS9_4plusIvEENS9_8equal_toIvEEfEE10hipError_tPvRmT2_T3_T4_T5_mT6_T7_P12ihipStream_tbENKUlT_T0_E_clISt17integral_constantIbLb0EES10_IbLb1EEEEDaSW_SX_EUlSW_E_NS1_11comp_targetILNS1_3genE10ELNS1_11target_archE1201ELNS1_3gpuE5ELNS1_3repE0EEENS1_30default_config_static_selectorELNS0_4arch9wavefront6targetE0EEEvT1_
; %bb.0:
	.section	.rodata,"a",@progbits
	.p2align	6, 0x0
	.amdhsa_kernel _ZN7rocprim17ROCPRIM_400000_NS6detail17trampoline_kernelINS0_14default_configENS1_27scan_by_key_config_selectorIifEEZZNS1_16scan_by_key_implILNS1_25lookback_scan_determinismE0ELb1ES3_N6thrust23THRUST_200600_302600_NS6detail15normal_iteratorINS9_10device_ptrIiEEEENSB_INSC_IfEEEESG_fNS9_4plusIvEENS9_8equal_toIvEEfEE10hipError_tPvRmT2_T3_T4_T5_mT6_T7_P12ihipStream_tbENKUlT_T0_E_clISt17integral_constantIbLb0EES10_IbLb1EEEEDaSW_SX_EUlSW_E_NS1_11comp_targetILNS1_3genE10ELNS1_11target_archE1201ELNS1_3gpuE5ELNS1_3repE0EEENS1_30default_config_static_selectorELNS0_4arch9wavefront6targetE0EEEvT1_
		.amdhsa_group_segment_fixed_size 0
		.amdhsa_private_segment_fixed_size 0
		.amdhsa_kernarg_size 112
		.amdhsa_user_sgpr_count 6
		.amdhsa_user_sgpr_private_segment_buffer 1
		.amdhsa_user_sgpr_dispatch_ptr 0
		.amdhsa_user_sgpr_queue_ptr 0
		.amdhsa_user_sgpr_kernarg_segment_ptr 1
		.amdhsa_user_sgpr_dispatch_id 0
		.amdhsa_user_sgpr_flat_scratch_init 0
		.amdhsa_user_sgpr_private_segment_size 0
		.amdhsa_wavefront_size32 1
		.amdhsa_uses_dynamic_stack 0
		.amdhsa_system_sgpr_private_segment_wavefront_offset 0
		.amdhsa_system_sgpr_workgroup_id_x 1
		.amdhsa_system_sgpr_workgroup_id_y 0
		.amdhsa_system_sgpr_workgroup_id_z 0
		.amdhsa_system_sgpr_workgroup_info 0
		.amdhsa_system_vgpr_workitem_id 0
		.amdhsa_next_free_vgpr 1
		.amdhsa_next_free_sgpr 1
		.amdhsa_reserve_vcc 0
		.amdhsa_reserve_flat_scratch 0
		.amdhsa_float_round_mode_32 0
		.amdhsa_float_round_mode_16_64 0
		.amdhsa_float_denorm_mode_32 3
		.amdhsa_float_denorm_mode_16_64 3
		.amdhsa_dx10_clamp 1
		.amdhsa_ieee_mode 1
		.amdhsa_fp16_overflow 0
		.amdhsa_workgroup_processor_mode 1
		.amdhsa_memory_ordered 1
		.amdhsa_forward_progress 1
		.amdhsa_shared_vgpr_count 0
		.amdhsa_exception_fp_ieee_invalid_op 0
		.amdhsa_exception_fp_denorm_src 0
		.amdhsa_exception_fp_ieee_div_zero 0
		.amdhsa_exception_fp_ieee_overflow 0
		.amdhsa_exception_fp_ieee_underflow 0
		.amdhsa_exception_fp_ieee_inexact 0
		.amdhsa_exception_int_div_zero 0
	.end_amdhsa_kernel
	.section	.text._ZN7rocprim17ROCPRIM_400000_NS6detail17trampoline_kernelINS0_14default_configENS1_27scan_by_key_config_selectorIifEEZZNS1_16scan_by_key_implILNS1_25lookback_scan_determinismE0ELb1ES3_N6thrust23THRUST_200600_302600_NS6detail15normal_iteratorINS9_10device_ptrIiEEEENSB_INSC_IfEEEESG_fNS9_4plusIvEENS9_8equal_toIvEEfEE10hipError_tPvRmT2_T3_T4_T5_mT6_T7_P12ihipStream_tbENKUlT_T0_E_clISt17integral_constantIbLb0EES10_IbLb1EEEEDaSW_SX_EUlSW_E_NS1_11comp_targetILNS1_3genE10ELNS1_11target_archE1201ELNS1_3gpuE5ELNS1_3repE0EEENS1_30default_config_static_selectorELNS0_4arch9wavefront6targetE0EEEvT1_,"axG",@progbits,_ZN7rocprim17ROCPRIM_400000_NS6detail17trampoline_kernelINS0_14default_configENS1_27scan_by_key_config_selectorIifEEZZNS1_16scan_by_key_implILNS1_25lookback_scan_determinismE0ELb1ES3_N6thrust23THRUST_200600_302600_NS6detail15normal_iteratorINS9_10device_ptrIiEEEENSB_INSC_IfEEEESG_fNS9_4plusIvEENS9_8equal_toIvEEfEE10hipError_tPvRmT2_T3_T4_T5_mT6_T7_P12ihipStream_tbENKUlT_T0_E_clISt17integral_constantIbLb0EES10_IbLb1EEEEDaSW_SX_EUlSW_E_NS1_11comp_targetILNS1_3genE10ELNS1_11target_archE1201ELNS1_3gpuE5ELNS1_3repE0EEENS1_30default_config_static_selectorELNS0_4arch9wavefront6targetE0EEEvT1_,comdat
.Lfunc_end1455:
	.size	_ZN7rocprim17ROCPRIM_400000_NS6detail17trampoline_kernelINS0_14default_configENS1_27scan_by_key_config_selectorIifEEZZNS1_16scan_by_key_implILNS1_25lookback_scan_determinismE0ELb1ES3_N6thrust23THRUST_200600_302600_NS6detail15normal_iteratorINS9_10device_ptrIiEEEENSB_INSC_IfEEEESG_fNS9_4plusIvEENS9_8equal_toIvEEfEE10hipError_tPvRmT2_T3_T4_T5_mT6_T7_P12ihipStream_tbENKUlT_T0_E_clISt17integral_constantIbLb0EES10_IbLb1EEEEDaSW_SX_EUlSW_E_NS1_11comp_targetILNS1_3genE10ELNS1_11target_archE1201ELNS1_3gpuE5ELNS1_3repE0EEENS1_30default_config_static_selectorELNS0_4arch9wavefront6targetE0EEEvT1_, .Lfunc_end1455-_ZN7rocprim17ROCPRIM_400000_NS6detail17trampoline_kernelINS0_14default_configENS1_27scan_by_key_config_selectorIifEEZZNS1_16scan_by_key_implILNS1_25lookback_scan_determinismE0ELb1ES3_N6thrust23THRUST_200600_302600_NS6detail15normal_iteratorINS9_10device_ptrIiEEEENSB_INSC_IfEEEESG_fNS9_4plusIvEENS9_8equal_toIvEEfEE10hipError_tPvRmT2_T3_T4_T5_mT6_T7_P12ihipStream_tbENKUlT_T0_E_clISt17integral_constantIbLb0EES10_IbLb1EEEEDaSW_SX_EUlSW_E_NS1_11comp_targetILNS1_3genE10ELNS1_11target_archE1201ELNS1_3gpuE5ELNS1_3repE0EEENS1_30default_config_static_selectorELNS0_4arch9wavefront6targetE0EEEvT1_
                                        ; -- End function
	.set _ZN7rocprim17ROCPRIM_400000_NS6detail17trampoline_kernelINS0_14default_configENS1_27scan_by_key_config_selectorIifEEZZNS1_16scan_by_key_implILNS1_25lookback_scan_determinismE0ELb1ES3_N6thrust23THRUST_200600_302600_NS6detail15normal_iteratorINS9_10device_ptrIiEEEENSB_INSC_IfEEEESG_fNS9_4plusIvEENS9_8equal_toIvEEfEE10hipError_tPvRmT2_T3_T4_T5_mT6_T7_P12ihipStream_tbENKUlT_T0_E_clISt17integral_constantIbLb0EES10_IbLb1EEEEDaSW_SX_EUlSW_E_NS1_11comp_targetILNS1_3genE10ELNS1_11target_archE1201ELNS1_3gpuE5ELNS1_3repE0EEENS1_30default_config_static_selectorELNS0_4arch9wavefront6targetE0EEEvT1_.num_vgpr, 0
	.set _ZN7rocprim17ROCPRIM_400000_NS6detail17trampoline_kernelINS0_14default_configENS1_27scan_by_key_config_selectorIifEEZZNS1_16scan_by_key_implILNS1_25lookback_scan_determinismE0ELb1ES3_N6thrust23THRUST_200600_302600_NS6detail15normal_iteratorINS9_10device_ptrIiEEEENSB_INSC_IfEEEESG_fNS9_4plusIvEENS9_8equal_toIvEEfEE10hipError_tPvRmT2_T3_T4_T5_mT6_T7_P12ihipStream_tbENKUlT_T0_E_clISt17integral_constantIbLb0EES10_IbLb1EEEEDaSW_SX_EUlSW_E_NS1_11comp_targetILNS1_3genE10ELNS1_11target_archE1201ELNS1_3gpuE5ELNS1_3repE0EEENS1_30default_config_static_selectorELNS0_4arch9wavefront6targetE0EEEvT1_.num_agpr, 0
	.set _ZN7rocprim17ROCPRIM_400000_NS6detail17trampoline_kernelINS0_14default_configENS1_27scan_by_key_config_selectorIifEEZZNS1_16scan_by_key_implILNS1_25lookback_scan_determinismE0ELb1ES3_N6thrust23THRUST_200600_302600_NS6detail15normal_iteratorINS9_10device_ptrIiEEEENSB_INSC_IfEEEESG_fNS9_4plusIvEENS9_8equal_toIvEEfEE10hipError_tPvRmT2_T3_T4_T5_mT6_T7_P12ihipStream_tbENKUlT_T0_E_clISt17integral_constantIbLb0EES10_IbLb1EEEEDaSW_SX_EUlSW_E_NS1_11comp_targetILNS1_3genE10ELNS1_11target_archE1201ELNS1_3gpuE5ELNS1_3repE0EEENS1_30default_config_static_selectorELNS0_4arch9wavefront6targetE0EEEvT1_.numbered_sgpr, 0
	.set _ZN7rocprim17ROCPRIM_400000_NS6detail17trampoline_kernelINS0_14default_configENS1_27scan_by_key_config_selectorIifEEZZNS1_16scan_by_key_implILNS1_25lookback_scan_determinismE0ELb1ES3_N6thrust23THRUST_200600_302600_NS6detail15normal_iteratorINS9_10device_ptrIiEEEENSB_INSC_IfEEEESG_fNS9_4plusIvEENS9_8equal_toIvEEfEE10hipError_tPvRmT2_T3_T4_T5_mT6_T7_P12ihipStream_tbENKUlT_T0_E_clISt17integral_constantIbLb0EES10_IbLb1EEEEDaSW_SX_EUlSW_E_NS1_11comp_targetILNS1_3genE10ELNS1_11target_archE1201ELNS1_3gpuE5ELNS1_3repE0EEENS1_30default_config_static_selectorELNS0_4arch9wavefront6targetE0EEEvT1_.num_named_barrier, 0
	.set _ZN7rocprim17ROCPRIM_400000_NS6detail17trampoline_kernelINS0_14default_configENS1_27scan_by_key_config_selectorIifEEZZNS1_16scan_by_key_implILNS1_25lookback_scan_determinismE0ELb1ES3_N6thrust23THRUST_200600_302600_NS6detail15normal_iteratorINS9_10device_ptrIiEEEENSB_INSC_IfEEEESG_fNS9_4plusIvEENS9_8equal_toIvEEfEE10hipError_tPvRmT2_T3_T4_T5_mT6_T7_P12ihipStream_tbENKUlT_T0_E_clISt17integral_constantIbLb0EES10_IbLb1EEEEDaSW_SX_EUlSW_E_NS1_11comp_targetILNS1_3genE10ELNS1_11target_archE1201ELNS1_3gpuE5ELNS1_3repE0EEENS1_30default_config_static_selectorELNS0_4arch9wavefront6targetE0EEEvT1_.private_seg_size, 0
	.set _ZN7rocprim17ROCPRIM_400000_NS6detail17trampoline_kernelINS0_14default_configENS1_27scan_by_key_config_selectorIifEEZZNS1_16scan_by_key_implILNS1_25lookback_scan_determinismE0ELb1ES3_N6thrust23THRUST_200600_302600_NS6detail15normal_iteratorINS9_10device_ptrIiEEEENSB_INSC_IfEEEESG_fNS9_4plusIvEENS9_8equal_toIvEEfEE10hipError_tPvRmT2_T3_T4_T5_mT6_T7_P12ihipStream_tbENKUlT_T0_E_clISt17integral_constantIbLb0EES10_IbLb1EEEEDaSW_SX_EUlSW_E_NS1_11comp_targetILNS1_3genE10ELNS1_11target_archE1201ELNS1_3gpuE5ELNS1_3repE0EEENS1_30default_config_static_selectorELNS0_4arch9wavefront6targetE0EEEvT1_.uses_vcc, 0
	.set _ZN7rocprim17ROCPRIM_400000_NS6detail17trampoline_kernelINS0_14default_configENS1_27scan_by_key_config_selectorIifEEZZNS1_16scan_by_key_implILNS1_25lookback_scan_determinismE0ELb1ES3_N6thrust23THRUST_200600_302600_NS6detail15normal_iteratorINS9_10device_ptrIiEEEENSB_INSC_IfEEEESG_fNS9_4plusIvEENS9_8equal_toIvEEfEE10hipError_tPvRmT2_T3_T4_T5_mT6_T7_P12ihipStream_tbENKUlT_T0_E_clISt17integral_constantIbLb0EES10_IbLb1EEEEDaSW_SX_EUlSW_E_NS1_11comp_targetILNS1_3genE10ELNS1_11target_archE1201ELNS1_3gpuE5ELNS1_3repE0EEENS1_30default_config_static_selectorELNS0_4arch9wavefront6targetE0EEEvT1_.uses_flat_scratch, 0
	.set _ZN7rocprim17ROCPRIM_400000_NS6detail17trampoline_kernelINS0_14default_configENS1_27scan_by_key_config_selectorIifEEZZNS1_16scan_by_key_implILNS1_25lookback_scan_determinismE0ELb1ES3_N6thrust23THRUST_200600_302600_NS6detail15normal_iteratorINS9_10device_ptrIiEEEENSB_INSC_IfEEEESG_fNS9_4plusIvEENS9_8equal_toIvEEfEE10hipError_tPvRmT2_T3_T4_T5_mT6_T7_P12ihipStream_tbENKUlT_T0_E_clISt17integral_constantIbLb0EES10_IbLb1EEEEDaSW_SX_EUlSW_E_NS1_11comp_targetILNS1_3genE10ELNS1_11target_archE1201ELNS1_3gpuE5ELNS1_3repE0EEENS1_30default_config_static_selectorELNS0_4arch9wavefront6targetE0EEEvT1_.has_dyn_sized_stack, 0
	.set _ZN7rocprim17ROCPRIM_400000_NS6detail17trampoline_kernelINS0_14default_configENS1_27scan_by_key_config_selectorIifEEZZNS1_16scan_by_key_implILNS1_25lookback_scan_determinismE0ELb1ES3_N6thrust23THRUST_200600_302600_NS6detail15normal_iteratorINS9_10device_ptrIiEEEENSB_INSC_IfEEEESG_fNS9_4plusIvEENS9_8equal_toIvEEfEE10hipError_tPvRmT2_T3_T4_T5_mT6_T7_P12ihipStream_tbENKUlT_T0_E_clISt17integral_constantIbLb0EES10_IbLb1EEEEDaSW_SX_EUlSW_E_NS1_11comp_targetILNS1_3genE10ELNS1_11target_archE1201ELNS1_3gpuE5ELNS1_3repE0EEENS1_30default_config_static_selectorELNS0_4arch9wavefront6targetE0EEEvT1_.has_recursion, 0
	.set _ZN7rocprim17ROCPRIM_400000_NS6detail17trampoline_kernelINS0_14default_configENS1_27scan_by_key_config_selectorIifEEZZNS1_16scan_by_key_implILNS1_25lookback_scan_determinismE0ELb1ES3_N6thrust23THRUST_200600_302600_NS6detail15normal_iteratorINS9_10device_ptrIiEEEENSB_INSC_IfEEEESG_fNS9_4plusIvEENS9_8equal_toIvEEfEE10hipError_tPvRmT2_T3_T4_T5_mT6_T7_P12ihipStream_tbENKUlT_T0_E_clISt17integral_constantIbLb0EES10_IbLb1EEEEDaSW_SX_EUlSW_E_NS1_11comp_targetILNS1_3genE10ELNS1_11target_archE1201ELNS1_3gpuE5ELNS1_3repE0EEENS1_30default_config_static_selectorELNS0_4arch9wavefront6targetE0EEEvT1_.has_indirect_call, 0
	.section	.AMDGPU.csdata,"",@progbits
; Kernel info:
; codeLenInByte = 0
; TotalNumSgprs: 0
; NumVgprs: 0
; ScratchSize: 0
; MemoryBound: 0
; FloatMode: 240
; IeeeMode: 1
; LDSByteSize: 0 bytes/workgroup (compile time only)
; SGPRBlocks: 0
; VGPRBlocks: 0
; NumSGPRsForWavesPerEU: 1
; NumVGPRsForWavesPerEU: 1
; Occupancy: 16
; WaveLimiterHint : 0
; COMPUTE_PGM_RSRC2:SCRATCH_EN: 0
; COMPUTE_PGM_RSRC2:USER_SGPR: 6
; COMPUTE_PGM_RSRC2:TRAP_HANDLER: 0
; COMPUTE_PGM_RSRC2:TGID_X_EN: 1
; COMPUTE_PGM_RSRC2:TGID_Y_EN: 0
; COMPUTE_PGM_RSRC2:TGID_Z_EN: 0
; COMPUTE_PGM_RSRC2:TIDIG_COMP_CNT: 0
	.section	.text._ZN7rocprim17ROCPRIM_400000_NS6detail17trampoline_kernelINS0_14default_configENS1_27scan_by_key_config_selectorIifEEZZNS1_16scan_by_key_implILNS1_25lookback_scan_determinismE0ELb1ES3_N6thrust23THRUST_200600_302600_NS6detail15normal_iteratorINS9_10device_ptrIiEEEENSB_INSC_IfEEEESG_fNS9_4plusIvEENS9_8equal_toIvEEfEE10hipError_tPvRmT2_T3_T4_T5_mT6_T7_P12ihipStream_tbENKUlT_T0_E_clISt17integral_constantIbLb0EES10_IbLb1EEEEDaSW_SX_EUlSW_E_NS1_11comp_targetILNS1_3genE5ELNS1_11target_archE942ELNS1_3gpuE9ELNS1_3repE0EEENS1_30default_config_static_selectorELNS0_4arch9wavefront6targetE0EEEvT1_,"axG",@progbits,_ZN7rocprim17ROCPRIM_400000_NS6detail17trampoline_kernelINS0_14default_configENS1_27scan_by_key_config_selectorIifEEZZNS1_16scan_by_key_implILNS1_25lookback_scan_determinismE0ELb1ES3_N6thrust23THRUST_200600_302600_NS6detail15normal_iteratorINS9_10device_ptrIiEEEENSB_INSC_IfEEEESG_fNS9_4plusIvEENS9_8equal_toIvEEfEE10hipError_tPvRmT2_T3_T4_T5_mT6_T7_P12ihipStream_tbENKUlT_T0_E_clISt17integral_constantIbLb0EES10_IbLb1EEEEDaSW_SX_EUlSW_E_NS1_11comp_targetILNS1_3genE5ELNS1_11target_archE942ELNS1_3gpuE9ELNS1_3repE0EEENS1_30default_config_static_selectorELNS0_4arch9wavefront6targetE0EEEvT1_,comdat
	.protected	_ZN7rocprim17ROCPRIM_400000_NS6detail17trampoline_kernelINS0_14default_configENS1_27scan_by_key_config_selectorIifEEZZNS1_16scan_by_key_implILNS1_25lookback_scan_determinismE0ELb1ES3_N6thrust23THRUST_200600_302600_NS6detail15normal_iteratorINS9_10device_ptrIiEEEENSB_INSC_IfEEEESG_fNS9_4plusIvEENS9_8equal_toIvEEfEE10hipError_tPvRmT2_T3_T4_T5_mT6_T7_P12ihipStream_tbENKUlT_T0_E_clISt17integral_constantIbLb0EES10_IbLb1EEEEDaSW_SX_EUlSW_E_NS1_11comp_targetILNS1_3genE5ELNS1_11target_archE942ELNS1_3gpuE9ELNS1_3repE0EEENS1_30default_config_static_selectorELNS0_4arch9wavefront6targetE0EEEvT1_ ; -- Begin function _ZN7rocprim17ROCPRIM_400000_NS6detail17trampoline_kernelINS0_14default_configENS1_27scan_by_key_config_selectorIifEEZZNS1_16scan_by_key_implILNS1_25lookback_scan_determinismE0ELb1ES3_N6thrust23THRUST_200600_302600_NS6detail15normal_iteratorINS9_10device_ptrIiEEEENSB_INSC_IfEEEESG_fNS9_4plusIvEENS9_8equal_toIvEEfEE10hipError_tPvRmT2_T3_T4_T5_mT6_T7_P12ihipStream_tbENKUlT_T0_E_clISt17integral_constantIbLb0EES10_IbLb1EEEEDaSW_SX_EUlSW_E_NS1_11comp_targetILNS1_3genE5ELNS1_11target_archE942ELNS1_3gpuE9ELNS1_3repE0EEENS1_30default_config_static_selectorELNS0_4arch9wavefront6targetE0EEEvT1_
	.globl	_ZN7rocprim17ROCPRIM_400000_NS6detail17trampoline_kernelINS0_14default_configENS1_27scan_by_key_config_selectorIifEEZZNS1_16scan_by_key_implILNS1_25lookback_scan_determinismE0ELb1ES3_N6thrust23THRUST_200600_302600_NS6detail15normal_iteratorINS9_10device_ptrIiEEEENSB_INSC_IfEEEESG_fNS9_4plusIvEENS9_8equal_toIvEEfEE10hipError_tPvRmT2_T3_T4_T5_mT6_T7_P12ihipStream_tbENKUlT_T0_E_clISt17integral_constantIbLb0EES10_IbLb1EEEEDaSW_SX_EUlSW_E_NS1_11comp_targetILNS1_3genE5ELNS1_11target_archE942ELNS1_3gpuE9ELNS1_3repE0EEENS1_30default_config_static_selectorELNS0_4arch9wavefront6targetE0EEEvT1_
	.p2align	8
	.type	_ZN7rocprim17ROCPRIM_400000_NS6detail17trampoline_kernelINS0_14default_configENS1_27scan_by_key_config_selectorIifEEZZNS1_16scan_by_key_implILNS1_25lookback_scan_determinismE0ELb1ES3_N6thrust23THRUST_200600_302600_NS6detail15normal_iteratorINS9_10device_ptrIiEEEENSB_INSC_IfEEEESG_fNS9_4plusIvEENS9_8equal_toIvEEfEE10hipError_tPvRmT2_T3_T4_T5_mT6_T7_P12ihipStream_tbENKUlT_T0_E_clISt17integral_constantIbLb0EES10_IbLb1EEEEDaSW_SX_EUlSW_E_NS1_11comp_targetILNS1_3genE5ELNS1_11target_archE942ELNS1_3gpuE9ELNS1_3repE0EEENS1_30default_config_static_selectorELNS0_4arch9wavefront6targetE0EEEvT1_,@function
_ZN7rocprim17ROCPRIM_400000_NS6detail17trampoline_kernelINS0_14default_configENS1_27scan_by_key_config_selectorIifEEZZNS1_16scan_by_key_implILNS1_25lookback_scan_determinismE0ELb1ES3_N6thrust23THRUST_200600_302600_NS6detail15normal_iteratorINS9_10device_ptrIiEEEENSB_INSC_IfEEEESG_fNS9_4plusIvEENS9_8equal_toIvEEfEE10hipError_tPvRmT2_T3_T4_T5_mT6_T7_P12ihipStream_tbENKUlT_T0_E_clISt17integral_constantIbLb0EES10_IbLb1EEEEDaSW_SX_EUlSW_E_NS1_11comp_targetILNS1_3genE5ELNS1_11target_archE942ELNS1_3gpuE9ELNS1_3repE0EEENS1_30default_config_static_selectorELNS0_4arch9wavefront6targetE0EEEvT1_: ; @_ZN7rocprim17ROCPRIM_400000_NS6detail17trampoline_kernelINS0_14default_configENS1_27scan_by_key_config_selectorIifEEZZNS1_16scan_by_key_implILNS1_25lookback_scan_determinismE0ELb1ES3_N6thrust23THRUST_200600_302600_NS6detail15normal_iteratorINS9_10device_ptrIiEEEENSB_INSC_IfEEEESG_fNS9_4plusIvEENS9_8equal_toIvEEfEE10hipError_tPvRmT2_T3_T4_T5_mT6_T7_P12ihipStream_tbENKUlT_T0_E_clISt17integral_constantIbLb0EES10_IbLb1EEEEDaSW_SX_EUlSW_E_NS1_11comp_targetILNS1_3genE5ELNS1_11target_archE942ELNS1_3gpuE9ELNS1_3repE0EEENS1_30default_config_static_selectorELNS0_4arch9wavefront6targetE0EEEvT1_
; %bb.0:
	.section	.rodata,"a",@progbits
	.p2align	6, 0x0
	.amdhsa_kernel _ZN7rocprim17ROCPRIM_400000_NS6detail17trampoline_kernelINS0_14default_configENS1_27scan_by_key_config_selectorIifEEZZNS1_16scan_by_key_implILNS1_25lookback_scan_determinismE0ELb1ES3_N6thrust23THRUST_200600_302600_NS6detail15normal_iteratorINS9_10device_ptrIiEEEENSB_INSC_IfEEEESG_fNS9_4plusIvEENS9_8equal_toIvEEfEE10hipError_tPvRmT2_T3_T4_T5_mT6_T7_P12ihipStream_tbENKUlT_T0_E_clISt17integral_constantIbLb0EES10_IbLb1EEEEDaSW_SX_EUlSW_E_NS1_11comp_targetILNS1_3genE5ELNS1_11target_archE942ELNS1_3gpuE9ELNS1_3repE0EEENS1_30default_config_static_selectorELNS0_4arch9wavefront6targetE0EEEvT1_
		.amdhsa_group_segment_fixed_size 0
		.amdhsa_private_segment_fixed_size 0
		.amdhsa_kernarg_size 112
		.amdhsa_user_sgpr_count 6
		.amdhsa_user_sgpr_private_segment_buffer 1
		.amdhsa_user_sgpr_dispatch_ptr 0
		.amdhsa_user_sgpr_queue_ptr 0
		.amdhsa_user_sgpr_kernarg_segment_ptr 1
		.amdhsa_user_sgpr_dispatch_id 0
		.amdhsa_user_sgpr_flat_scratch_init 0
		.amdhsa_user_sgpr_private_segment_size 0
		.amdhsa_wavefront_size32 1
		.amdhsa_uses_dynamic_stack 0
		.amdhsa_system_sgpr_private_segment_wavefront_offset 0
		.amdhsa_system_sgpr_workgroup_id_x 1
		.amdhsa_system_sgpr_workgroup_id_y 0
		.amdhsa_system_sgpr_workgroup_id_z 0
		.amdhsa_system_sgpr_workgroup_info 0
		.amdhsa_system_vgpr_workitem_id 0
		.amdhsa_next_free_vgpr 1
		.amdhsa_next_free_sgpr 1
		.amdhsa_reserve_vcc 0
		.amdhsa_reserve_flat_scratch 0
		.amdhsa_float_round_mode_32 0
		.amdhsa_float_round_mode_16_64 0
		.amdhsa_float_denorm_mode_32 3
		.amdhsa_float_denorm_mode_16_64 3
		.amdhsa_dx10_clamp 1
		.amdhsa_ieee_mode 1
		.amdhsa_fp16_overflow 0
		.amdhsa_workgroup_processor_mode 1
		.amdhsa_memory_ordered 1
		.amdhsa_forward_progress 1
		.amdhsa_shared_vgpr_count 0
		.amdhsa_exception_fp_ieee_invalid_op 0
		.amdhsa_exception_fp_denorm_src 0
		.amdhsa_exception_fp_ieee_div_zero 0
		.amdhsa_exception_fp_ieee_overflow 0
		.amdhsa_exception_fp_ieee_underflow 0
		.amdhsa_exception_fp_ieee_inexact 0
		.amdhsa_exception_int_div_zero 0
	.end_amdhsa_kernel
	.section	.text._ZN7rocprim17ROCPRIM_400000_NS6detail17trampoline_kernelINS0_14default_configENS1_27scan_by_key_config_selectorIifEEZZNS1_16scan_by_key_implILNS1_25lookback_scan_determinismE0ELb1ES3_N6thrust23THRUST_200600_302600_NS6detail15normal_iteratorINS9_10device_ptrIiEEEENSB_INSC_IfEEEESG_fNS9_4plusIvEENS9_8equal_toIvEEfEE10hipError_tPvRmT2_T3_T4_T5_mT6_T7_P12ihipStream_tbENKUlT_T0_E_clISt17integral_constantIbLb0EES10_IbLb1EEEEDaSW_SX_EUlSW_E_NS1_11comp_targetILNS1_3genE5ELNS1_11target_archE942ELNS1_3gpuE9ELNS1_3repE0EEENS1_30default_config_static_selectorELNS0_4arch9wavefront6targetE0EEEvT1_,"axG",@progbits,_ZN7rocprim17ROCPRIM_400000_NS6detail17trampoline_kernelINS0_14default_configENS1_27scan_by_key_config_selectorIifEEZZNS1_16scan_by_key_implILNS1_25lookback_scan_determinismE0ELb1ES3_N6thrust23THRUST_200600_302600_NS6detail15normal_iteratorINS9_10device_ptrIiEEEENSB_INSC_IfEEEESG_fNS9_4plusIvEENS9_8equal_toIvEEfEE10hipError_tPvRmT2_T3_T4_T5_mT6_T7_P12ihipStream_tbENKUlT_T0_E_clISt17integral_constantIbLb0EES10_IbLb1EEEEDaSW_SX_EUlSW_E_NS1_11comp_targetILNS1_3genE5ELNS1_11target_archE942ELNS1_3gpuE9ELNS1_3repE0EEENS1_30default_config_static_selectorELNS0_4arch9wavefront6targetE0EEEvT1_,comdat
.Lfunc_end1456:
	.size	_ZN7rocprim17ROCPRIM_400000_NS6detail17trampoline_kernelINS0_14default_configENS1_27scan_by_key_config_selectorIifEEZZNS1_16scan_by_key_implILNS1_25lookback_scan_determinismE0ELb1ES3_N6thrust23THRUST_200600_302600_NS6detail15normal_iteratorINS9_10device_ptrIiEEEENSB_INSC_IfEEEESG_fNS9_4plusIvEENS9_8equal_toIvEEfEE10hipError_tPvRmT2_T3_T4_T5_mT6_T7_P12ihipStream_tbENKUlT_T0_E_clISt17integral_constantIbLb0EES10_IbLb1EEEEDaSW_SX_EUlSW_E_NS1_11comp_targetILNS1_3genE5ELNS1_11target_archE942ELNS1_3gpuE9ELNS1_3repE0EEENS1_30default_config_static_selectorELNS0_4arch9wavefront6targetE0EEEvT1_, .Lfunc_end1456-_ZN7rocprim17ROCPRIM_400000_NS6detail17trampoline_kernelINS0_14default_configENS1_27scan_by_key_config_selectorIifEEZZNS1_16scan_by_key_implILNS1_25lookback_scan_determinismE0ELb1ES3_N6thrust23THRUST_200600_302600_NS6detail15normal_iteratorINS9_10device_ptrIiEEEENSB_INSC_IfEEEESG_fNS9_4plusIvEENS9_8equal_toIvEEfEE10hipError_tPvRmT2_T3_T4_T5_mT6_T7_P12ihipStream_tbENKUlT_T0_E_clISt17integral_constantIbLb0EES10_IbLb1EEEEDaSW_SX_EUlSW_E_NS1_11comp_targetILNS1_3genE5ELNS1_11target_archE942ELNS1_3gpuE9ELNS1_3repE0EEENS1_30default_config_static_selectorELNS0_4arch9wavefront6targetE0EEEvT1_
                                        ; -- End function
	.set _ZN7rocprim17ROCPRIM_400000_NS6detail17trampoline_kernelINS0_14default_configENS1_27scan_by_key_config_selectorIifEEZZNS1_16scan_by_key_implILNS1_25lookback_scan_determinismE0ELb1ES3_N6thrust23THRUST_200600_302600_NS6detail15normal_iteratorINS9_10device_ptrIiEEEENSB_INSC_IfEEEESG_fNS9_4plusIvEENS9_8equal_toIvEEfEE10hipError_tPvRmT2_T3_T4_T5_mT6_T7_P12ihipStream_tbENKUlT_T0_E_clISt17integral_constantIbLb0EES10_IbLb1EEEEDaSW_SX_EUlSW_E_NS1_11comp_targetILNS1_3genE5ELNS1_11target_archE942ELNS1_3gpuE9ELNS1_3repE0EEENS1_30default_config_static_selectorELNS0_4arch9wavefront6targetE0EEEvT1_.num_vgpr, 0
	.set _ZN7rocprim17ROCPRIM_400000_NS6detail17trampoline_kernelINS0_14default_configENS1_27scan_by_key_config_selectorIifEEZZNS1_16scan_by_key_implILNS1_25lookback_scan_determinismE0ELb1ES3_N6thrust23THRUST_200600_302600_NS6detail15normal_iteratorINS9_10device_ptrIiEEEENSB_INSC_IfEEEESG_fNS9_4plusIvEENS9_8equal_toIvEEfEE10hipError_tPvRmT2_T3_T4_T5_mT6_T7_P12ihipStream_tbENKUlT_T0_E_clISt17integral_constantIbLb0EES10_IbLb1EEEEDaSW_SX_EUlSW_E_NS1_11comp_targetILNS1_3genE5ELNS1_11target_archE942ELNS1_3gpuE9ELNS1_3repE0EEENS1_30default_config_static_selectorELNS0_4arch9wavefront6targetE0EEEvT1_.num_agpr, 0
	.set _ZN7rocprim17ROCPRIM_400000_NS6detail17trampoline_kernelINS0_14default_configENS1_27scan_by_key_config_selectorIifEEZZNS1_16scan_by_key_implILNS1_25lookback_scan_determinismE0ELb1ES3_N6thrust23THRUST_200600_302600_NS6detail15normal_iteratorINS9_10device_ptrIiEEEENSB_INSC_IfEEEESG_fNS9_4plusIvEENS9_8equal_toIvEEfEE10hipError_tPvRmT2_T3_T4_T5_mT6_T7_P12ihipStream_tbENKUlT_T0_E_clISt17integral_constantIbLb0EES10_IbLb1EEEEDaSW_SX_EUlSW_E_NS1_11comp_targetILNS1_3genE5ELNS1_11target_archE942ELNS1_3gpuE9ELNS1_3repE0EEENS1_30default_config_static_selectorELNS0_4arch9wavefront6targetE0EEEvT1_.numbered_sgpr, 0
	.set _ZN7rocprim17ROCPRIM_400000_NS6detail17trampoline_kernelINS0_14default_configENS1_27scan_by_key_config_selectorIifEEZZNS1_16scan_by_key_implILNS1_25lookback_scan_determinismE0ELb1ES3_N6thrust23THRUST_200600_302600_NS6detail15normal_iteratorINS9_10device_ptrIiEEEENSB_INSC_IfEEEESG_fNS9_4plusIvEENS9_8equal_toIvEEfEE10hipError_tPvRmT2_T3_T4_T5_mT6_T7_P12ihipStream_tbENKUlT_T0_E_clISt17integral_constantIbLb0EES10_IbLb1EEEEDaSW_SX_EUlSW_E_NS1_11comp_targetILNS1_3genE5ELNS1_11target_archE942ELNS1_3gpuE9ELNS1_3repE0EEENS1_30default_config_static_selectorELNS0_4arch9wavefront6targetE0EEEvT1_.num_named_barrier, 0
	.set _ZN7rocprim17ROCPRIM_400000_NS6detail17trampoline_kernelINS0_14default_configENS1_27scan_by_key_config_selectorIifEEZZNS1_16scan_by_key_implILNS1_25lookback_scan_determinismE0ELb1ES3_N6thrust23THRUST_200600_302600_NS6detail15normal_iteratorINS9_10device_ptrIiEEEENSB_INSC_IfEEEESG_fNS9_4plusIvEENS9_8equal_toIvEEfEE10hipError_tPvRmT2_T3_T4_T5_mT6_T7_P12ihipStream_tbENKUlT_T0_E_clISt17integral_constantIbLb0EES10_IbLb1EEEEDaSW_SX_EUlSW_E_NS1_11comp_targetILNS1_3genE5ELNS1_11target_archE942ELNS1_3gpuE9ELNS1_3repE0EEENS1_30default_config_static_selectorELNS0_4arch9wavefront6targetE0EEEvT1_.private_seg_size, 0
	.set _ZN7rocprim17ROCPRIM_400000_NS6detail17trampoline_kernelINS0_14default_configENS1_27scan_by_key_config_selectorIifEEZZNS1_16scan_by_key_implILNS1_25lookback_scan_determinismE0ELb1ES3_N6thrust23THRUST_200600_302600_NS6detail15normal_iteratorINS9_10device_ptrIiEEEENSB_INSC_IfEEEESG_fNS9_4plusIvEENS9_8equal_toIvEEfEE10hipError_tPvRmT2_T3_T4_T5_mT6_T7_P12ihipStream_tbENKUlT_T0_E_clISt17integral_constantIbLb0EES10_IbLb1EEEEDaSW_SX_EUlSW_E_NS1_11comp_targetILNS1_3genE5ELNS1_11target_archE942ELNS1_3gpuE9ELNS1_3repE0EEENS1_30default_config_static_selectorELNS0_4arch9wavefront6targetE0EEEvT1_.uses_vcc, 0
	.set _ZN7rocprim17ROCPRIM_400000_NS6detail17trampoline_kernelINS0_14default_configENS1_27scan_by_key_config_selectorIifEEZZNS1_16scan_by_key_implILNS1_25lookback_scan_determinismE0ELb1ES3_N6thrust23THRUST_200600_302600_NS6detail15normal_iteratorINS9_10device_ptrIiEEEENSB_INSC_IfEEEESG_fNS9_4plusIvEENS9_8equal_toIvEEfEE10hipError_tPvRmT2_T3_T4_T5_mT6_T7_P12ihipStream_tbENKUlT_T0_E_clISt17integral_constantIbLb0EES10_IbLb1EEEEDaSW_SX_EUlSW_E_NS1_11comp_targetILNS1_3genE5ELNS1_11target_archE942ELNS1_3gpuE9ELNS1_3repE0EEENS1_30default_config_static_selectorELNS0_4arch9wavefront6targetE0EEEvT1_.uses_flat_scratch, 0
	.set _ZN7rocprim17ROCPRIM_400000_NS6detail17trampoline_kernelINS0_14default_configENS1_27scan_by_key_config_selectorIifEEZZNS1_16scan_by_key_implILNS1_25lookback_scan_determinismE0ELb1ES3_N6thrust23THRUST_200600_302600_NS6detail15normal_iteratorINS9_10device_ptrIiEEEENSB_INSC_IfEEEESG_fNS9_4plusIvEENS9_8equal_toIvEEfEE10hipError_tPvRmT2_T3_T4_T5_mT6_T7_P12ihipStream_tbENKUlT_T0_E_clISt17integral_constantIbLb0EES10_IbLb1EEEEDaSW_SX_EUlSW_E_NS1_11comp_targetILNS1_3genE5ELNS1_11target_archE942ELNS1_3gpuE9ELNS1_3repE0EEENS1_30default_config_static_selectorELNS0_4arch9wavefront6targetE0EEEvT1_.has_dyn_sized_stack, 0
	.set _ZN7rocprim17ROCPRIM_400000_NS6detail17trampoline_kernelINS0_14default_configENS1_27scan_by_key_config_selectorIifEEZZNS1_16scan_by_key_implILNS1_25lookback_scan_determinismE0ELb1ES3_N6thrust23THRUST_200600_302600_NS6detail15normal_iteratorINS9_10device_ptrIiEEEENSB_INSC_IfEEEESG_fNS9_4plusIvEENS9_8equal_toIvEEfEE10hipError_tPvRmT2_T3_T4_T5_mT6_T7_P12ihipStream_tbENKUlT_T0_E_clISt17integral_constantIbLb0EES10_IbLb1EEEEDaSW_SX_EUlSW_E_NS1_11comp_targetILNS1_3genE5ELNS1_11target_archE942ELNS1_3gpuE9ELNS1_3repE0EEENS1_30default_config_static_selectorELNS0_4arch9wavefront6targetE0EEEvT1_.has_recursion, 0
	.set _ZN7rocprim17ROCPRIM_400000_NS6detail17trampoline_kernelINS0_14default_configENS1_27scan_by_key_config_selectorIifEEZZNS1_16scan_by_key_implILNS1_25lookback_scan_determinismE0ELb1ES3_N6thrust23THRUST_200600_302600_NS6detail15normal_iteratorINS9_10device_ptrIiEEEENSB_INSC_IfEEEESG_fNS9_4plusIvEENS9_8equal_toIvEEfEE10hipError_tPvRmT2_T3_T4_T5_mT6_T7_P12ihipStream_tbENKUlT_T0_E_clISt17integral_constantIbLb0EES10_IbLb1EEEEDaSW_SX_EUlSW_E_NS1_11comp_targetILNS1_3genE5ELNS1_11target_archE942ELNS1_3gpuE9ELNS1_3repE0EEENS1_30default_config_static_selectorELNS0_4arch9wavefront6targetE0EEEvT1_.has_indirect_call, 0
	.section	.AMDGPU.csdata,"",@progbits
; Kernel info:
; codeLenInByte = 0
; TotalNumSgprs: 0
; NumVgprs: 0
; ScratchSize: 0
; MemoryBound: 0
; FloatMode: 240
; IeeeMode: 1
; LDSByteSize: 0 bytes/workgroup (compile time only)
; SGPRBlocks: 0
; VGPRBlocks: 0
; NumSGPRsForWavesPerEU: 1
; NumVGPRsForWavesPerEU: 1
; Occupancy: 16
; WaveLimiterHint : 0
; COMPUTE_PGM_RSRC2:SCRATCH_EN: 0
; COMPUTE_PGM_RSRC2:USER_SGPR: 6
; COMPUTE_PGM_RSRC2:TRAP_HANDLER: 0
; COMPUTE_PGM_RSRC2:TGID_X_EN: 1
; COMPUTE_PGM_RSRC2:TGID_Y_EN: 0
; COMPUTE_PGM_RSRC2:TGID_Z_EN: 0
; COMPUTE_PGM_RSRC2:TIDIG_COMP_CNT: 0
	.section	.text._ZN7rocprim17ROCPRIM_400000_NS6detail17trampoline_kernelINS0_14default_configENS1_27scan_by_key_config_selectorIifEEZZNS1_16scan_by_key_implILNS1_25lookback_scan_determinismE0ELb1ES3_N6thrust23THRUST_200600_302600_NS6detail15normal_iteratorINS9_10device_ptrIiEEEENSB_INSC_IfEEEESG_fNS9_4plusIvEENS9_8equal_toIvEEfEE10hipError_tPvRmT2_T3_T4_T5_mT6_T7_P12ihipStream_tbENKUlT_T0_E_clISt17integral_constantIbLb0EES10_IbLb1EEEEDaSW_SX_EUlSW_E_NS1_11comp_targetILNS1_3genE4ELNS1_11target_archE910ELNS1_3gpuE8ELNS1_3repE0EEENS1_30default_config_static_selectorELNS0_4arch9wavefront6targetE0EEEvT1_,"axG",@progbits,_ZN7rocprim17ROCPRIM_400000_NS6detail17trampoline_kernelINS0_14default_configENS1_27scan_by_key_config_selectorIifEEZZNS1_16scan_by_key_implILNS1_25lookback_scan_determinismE0ELb1ES3_N6thrust23THRUST_200600_302600_NS6detail15normal_iteratorINS9_10device_ptrIiEEEENSB_INSC_IfEEEESG_fNS9_4plusIvEENS9_8equal_toIvEEfEE10hipError_tPvRmT2_T3_T4_T5_mT6_T7_P12ihipStream_tbENKUlT_T0_E_clISt17integral_constantIbLb0EES10_IbLb1EEEEDaSW_SX_EUlSW_E_NS1_11comp_targetILNS1_3genE4ELNS1_11target_archE910ELNS1_3gpuE8ELNS1_3repE0EEENS1_30default_config_static_selectorELNS0_4arch9wavefront6targetE0EEEvT1_,comdat
	.protected	_ZN7rocprim17ROCPRIM_400000_NS6detail17trampoline_kernelINS0_14default_configENS1_27scan_by_key_config_selectorIifEEZZNS1_16scan_by_key_implILNS1_25lookback_scan_determinismE0ELb1ES3_N6thrust23THRUST_200600_302600_NS6detail15normal_iteratorINS9_10device_ptrIiEEEENSB_INSC_IfEEEESG_fNS9_4plusIvEENS9_8equal_toIvEEfEE10hipError_tPvRmT2_T3_T4_T5_mT6_T7_P12ihipStream_tbENKUlT_T0_E_clISt17integral_constantIbLb0EES10_IbLb1EEEEDaSW_SX_EUlSW_E_NS1_11comp_targetILNS1_3genE4ELNS1_11target_archE910ELNS1_3gpuE8ELNS1_3repE0EEENS1_30default_config_static_selectorELNS0_4arch9wavefront6targetE0EEEvT1_ ; -- Begin function _ZN7rocprim17ROCPRIM_400000_NS6detail17trampoline_kernelINS0_14default_configENS1_27scan_by_key_config_selectorIifEEZZNS1_16scan_by_key_implILNS1_25lookback_scan_determinismE0ELb1ES3_N6thrust23THRUST_200600_302600_NS6detail15normal_iteratorINS9_10device_ptrIiEEEENSB_INSC_IfEEEESG_fNS9_4plusIvEENS9_8equal_toIvEEfEE10hipError_tPvRmT2_T3_T4_T5_mT6_T7_P12ihipStream_tbENKUlT_T0_E_clISt17integral_constantIbLb0EES10_IbLb1EEEEDaSW_SX_EUlSW_E_NS1_11comp_targetILNS1_3genE4ELNS1_11target_archE910ELNS1_3gpuE8ELNS1_3repE0EEENS1_30default_config_static_selectorELNS0_4arch9wavefront6targetE0EEEvT1_
	.globl	_ZN7rocprim17ROCPRIM_400000_NS6detail17trampoline_kernelINS0_14default_configENS1_27scan_by_key_config_selectorIifEEZZNS1_16scan_by_key_implILNS1_25lookback_scan_determinismE0ELb1ES3_N6thrust23THRUST_200600_302600_NS6detail15normal_iteratorINS9_10device_ptrIiEEEENSB_INSC_IfEEEESG_fNS9_4plusIvEENS9_8equal_toIvEEfEE10hipError_tPvRmT2_T3_T4_T5_mT6_T7_P12ihipStream_tbENKUlT_T0_E_clISt17integral_constantIbLb0EES10_IbLb1EEEEDaSW_SX_EUlSW_E_NS1_11comp_targetILNS1_3genE4ELNS1_11target_archE910ELNS1_3gpuE8ELNS1_3repE0EEENS1_30default_config_static_selectorELNS0_4arch9wavefront6targetE0EEEvT1_
	.p2align	8
	.type	_ZN7rocprim17ROCPRIM_400000_NS6detail17trampoline_kernelINS0_14default_configENS1_27scan_by_key_config_selectorIifEEZZNS1_16scan_by_key_implILNS1_25lookback_scan_determinismE0ELb1ES3_N6thrust23THRUST_200600_302600_NS6detail15normal_iteratorINS9_10device_ptrIiEEEENSB_INSC_IfEEEESG_fNS9_4plusIvEENS9_8equal_toIvEEfEE10hipError_tPvRmT2_T3_T4_T5_mT6_T7_P12ihipStream_tbENKUlT_T0_E_clISt17integral_constantIbLb0EES10_IbLb1EEEEDaSW_SX_EUlSW_E_NS1_11comp_targetILNS1_3genE4ELNS1_11target_archE910ELNS1_3gpuE8ELNS1_3repE0EEENS1_30default_config_static_selectorELNS0_4arch9wavefront6targetE0EEEvT1_,@function
_ZN7rocprim17ROCPRIM_400000_NS6detail17trampoline_kernelINS0_14default_configENS1_27scan_by_key_config_selectorIifEEZZNS1_16scan_by_key_implILNS1_25lookback_scan_determinismE0ELb1ES3_N6thrust23THRUST_200600_302600_NS6detail15normal_iteratorINS9_10device_ptrIiEEEENSB_INSC_IfEEEESG_fNS9_4plusIvEENS9_8equal_toIvEEfEE10hipError_tPvRmT2_T3_T4_T5_mT6_T7_P12ihipStream_tbENKUlT_T0_E_clISt17integral_constantIbLb0EES10_IbLb1EEEEDaSW_SX_EUlSW_E_NS1_11comp_targetILNS1_3genE4ELNS1_11target_archE910ELNS1_3gpuE8ELNS1_3repE0EEENS1_30default_config_static_selectorELNS0_4arch9wavefront6targetE0EEEvT1_: ; @_ZN7rocprim17ROCPRIM_400000_NS6detail17trampoline_kernelINS0_14default_configENS1_27scan_by_key_config_selectorIifEEZZNS1_16scan_by_key_implILNS1_25lookback_scan_determinismE0ELb1ES3_N6thrust23THRUST_200600_302600_NS6detail15normal_iteratorINS9_10device_ptrIiEEEENSB_INSC_IfEEEESG_fNS9_4plusIvEENS9_8equal_toIvEEfEE10hipError_tPvRmT2_T3_T4_T5_mT6_T7_P12ihipStream_tbENKUlT_T0_E_clISt17integral_constantIbLb0EES10_IbLb1EEEEDaSW_SX_EUlSW_E_NS1_11comp_targetILNS1_3genE4ELNS1_11target_archE910ELNS1_3gpuE8ELNS1_3repE0EEENS1_30default_config_static_selectorELNS0_4arch9wavefront6targetE0EEEvT1_
; %bb.0:
	.section	.rodata,"a",@progbits
	.p2align	6, 0x0
	.amdhsa_kernel _ZN7rocprim17ROCPRIM_400000_NS6detail17trampoline_kernelINS0_14default_configENS1_27scan_by_key_config_selectorIifEEZZNS1_16scan_by_key_implILNS1_25lookback_scan_determinismE0ELb1ES3_N6thrust23THRUST_200600_302600_NS6detail15normal_iteratorINS9_10device_ptrIiEEEENSB_INSC_IfEEEESG_fNS9_4plusIvEENS9_8equal_toIvEEfEE10hipError_tPvRmT2_T3_T4_T5_mT6_T7_P12ihipStream_tbENKUlT_T0_E_clISt17integral_constantIbLb0EES10_IbLb1EEEEDaSW_SX_EUlSW_E_NS1_11comp_targetILNS1_3genE4ELNS1_11target_archE910ELNS1_3gpuE8ELNS1_3repE0EEENS1_30default_config_static_selectorELNS0_4arch9wavefront6targetE0EEEvT1_
		.amdhsa_group_segment_fixed_size 0
		.amdhsa_private_segment_fixed_size 0
		.amdhsa_kernarg_size 112
		.amdhsa_user_sgpr_count 6
		.amdhsa_user_sgpr_private_segment_buffer 1
		.amdhsa_user_sgpr_dispatch_ptr 0
		.amdhsa_user_sgpr_queue_ptr 0
		.amdhsa_user_sgpr_kernarg_segment_ptr 1
		.amdhsa_user_sgpr_dispatch_id 0
		.amdhsa_user_sgpr_flat_scratch_init 0
		.amdhsa_user_sgpr_private_segment_size 0
		.amdhsa_wavefront_size32 1
		.amdhsa_uses_dynamic_stack 0
		.amdhsa_system_sgpr_private_segment_wavefront_offset 0
		.amdhsa_system_sgpr_workgroup_id_x 1
		.amdhsa_system_sgpr_workgroup_id_y 0
		.amdhsa_system_sgpr_workgroup_id_z 0
		.amdhsa_system_sgpr_workgroup_info 0
		.amdhsa_system_vgpr_workitem_id 0
		.amdhsa_next_free_vgpr 1
		.amdhsa_next_free_sgpr 1
		.amdhsa_reserve_vcc 0
		.amdhsa_reserve_flat_scratch 0
		.amdhsa_float_round_mode_32 0
		.amdhsa_float_round_mode_16_64 0
		.amdhsa_float_denorm_mode_32 3
		.amdhsa_float_denorm_mode_16_64 3
		.amdhsa_dx10_clamp 1
		.amdhsa_ieee_mode 1
		.amdhsa_fp16_overflow 0
		.amdhsa_workgroup_processor_mode 1
		.amdhsa_memory_ordered 1
		.amdhsa_forward_progress 1
		.amdhsa_shared_vgpr_count 0
		.amdhsa_exception_fp_ieee_invalid_op 0
		.amdhsa_exception_fp_denorm_src 0
		.amdhsa_exception_fp_ieee_div_zero 0
		.amdhsa_exception_fp_ieee_overflow 0
		.amdhsa_exception_fp_ieee_underflow 0
		.amdhsa_exception_fp_ieee_inexact 0
		.amdhsa_exception_int_div_zero 0
	.end_amdhsa_kernel
	.section	.text._ZN7rocprim17ROCPRIM_400000_NS6detail17trampoline_kernelINS0_14default_configENS1_27scan_by_key_config_selectorIifEEZZNS1_16scan_by_key_implILNS1_25lookback_scan_determinismE0ELb1ES3_N6thrust23THRUST_200600_302600_NS6detail15normal_iteratorINS9_10device_ptrIiEEEENSB_INSC_IfEEEESG_fNS9_4plusIvEENS9_8equal_toIvEEfEE10hipError_tPvRmT2_T3_T4_T5_mT6_T7_P12ihipStream_tbENKUlT_T0_E_clISt17integral_constantIbLb0EES10_IbLb1EEEEDaSW_SX_EUlSW_E_NS1_11comp_targetILNS1_3genE4ELNS1_11target_archE910ELNS1_3gpuE8ELNS1_3repE0EEENS1_30default_config_static_selectorELNS0_4arch9wavefront6targetE0EEEvT1_,"axG",@progbits,_ZN7rocprim17ROCPRIM_400000_NS6detail17trampoline_kernelINS0_14default_configENS1_27scan_by_key_config_selectorIifEEZZNS1_16scan_by_key_implILNS1_25lookback_scan_determinismE0ELb1ES3_N6thrust23THRUST_200600_302600_NS6detail15normal_iteratorINS9_10device_ptrIiEEEENSB_INSC_IfEEEESG_fNS9_4plusIvEENS9_8equal_toIvEEfEE10hipError_tPvRmT2_T3_T4_T5_mT6_T7_P12ihipStream_tbENKUlT_T0_E_clISt17integral_constantIbLb0EES10_IbLb1EEEEDaSW_SX_EUlSW_E_NS1_11comp_targetILNS1_3genE4ELNS1_11target_archE910ELNS1_3gpuE8ELNS1_3repE0EEENS1_30default_config_static_selectorELNS0_4arch9wavefront6targetE0EEEvT1_,comdat
.Lfunc_end1457:
	.size	_ZN7rocprim17ROCPRIM_400000_NS6detail17trampoline_kernelINS0_14default_configENS1_27scan_by_key_config_selectorIifEEZZNS1_16scan_by_key_implILNS1_25lookback_scan_determinismE0ELb1ES3_N6thrust23THRUST_200600_302600_NS6detail15normal_iteratorINS9_10device_ptrIiEEEENSB_INSC_IfEEEESG_fNS9_4plusIvEENS9_8equal_toIvEEfEE10hipError_tPvRmT2_T3_T4_T5_mT6_T7_P12ihipStream_tbENKUlT_T0_E_clISt17integral_constantIbLb0EES10_IbLb1EEEEDaSW_SX_EUlSW_E_NS1_11comp_targetILNS1_3genE4ELNS1_11target_archE910ELNS1_3gpuE8ELNS1_3repE0EEENS1_30default_config_static_selectorELNS0_4arch9wavefront6targetE0EEEvT1_, .Lfunc_end1457-_ZN7rocprim17ROCPRIM_400000_NS6detail17trampoline_kernelINS0_14default_configENS1_27scan_by_key_config_selectorIifEEZZNS1_16scan_by_key_implILNS1_25lookback_scan_determinismE0ELb1ES3_N6thrust23THRUST_200600_302600_NS6detail15normal_iteratorINS9_10device_ptrIiEEEENSB_INSC_IfEEEESG_fNS9_4plusIvEENS9_8equal_toIvEEfEE10hipError_tPvRmT2_T3_T4_T5_mT6_T7_P12ihipStream_tbENKUlT_T0_E_clISt17integral_constantIbLb0EES10_IbLb1EEEEDaSW_SX_EUlSW_E_NS1_11comp_targetILNS1_3genE4ELNS1_11target_archE910ELNS1_3gpuE8ELNS1_3repE0EEENS1_30default_config_static_selectorELNS0_4arch9wavefront6targetE0EEEvT1_
                                        ; -- End function
	.set _ZN7rocprim17ROCPRIM_400000_NS6detail17trampoline_kernelINS0_14default_configENS1_27scan_by_key_config_selectorIifEEZZNS1_16scan_by_key_implILNS1_25lookback_scan_determinismE0ELb1ES3_N6thrust23THRUST_200600_302600_NS6detail15normal_iteratorINS9_10device_ptrIiEEEENSB_INSC_IfEEEESG_fNS9_4plusIvEENS9_8equal_toIvEEfEE10hipError_tPvRmT2_T3_T4_T5_mT6_T7_P12ihipStream_tbENKUlT_T0_E_clISt17integral_constantIbLb0EES10_IbLb1EEEEDaSW_SX_EUlSW_E_NS1_11comp_targetILNS1_3genE4ELNS1_11target_archE910ELNS1_3gpuE8ELNS1_3repE0EEENS1_30default_config_static_selectorELNS0_4arch9wavefront6targetE0EEEvT1_.num_vgpr, 0
	.set _ZN7rocprim17ROCPRIM_400000_NS6detail17trampoline_kernelINS0_14default_configENS1_27scan_by_key_config_selectorIifEEZZNS1_16scan_by_key_implILNS1_25lookback_scan_determinismE0ELb1ES3_N6thrust23THRUST_200600_302600_NS6detail15normal_iteratorINS9_10device_ptrIiEEEENSB_INSC_IfEEEESG_fNS9_4plusIvEENS9_8equal_toIvEEfEE10hipError_tPvRmT2_T3_T4_T5_mT6_T7_P12ihipStream_tbENKUlT_T0_E_clISt17integral_constantIbLb0EES10_IbLb1EEEEDaSW_SX_EUlSW_E_NS1_11comp_targetILNS1_3genE4ELNS1_11target_archE910ELNS1_3gpuE8ELNS1_3repE0EEENS1_30default_config_static_selectorELNS0_4arch9wavefront6targetE0EEEvT1_.num_agpr, 0
	.set _ZN7rocprim17ROCPRIM_400000_NS6detail17trampoline_kernelINS0_14default_configENS1_27scan_by_key_config_selectorIifEEZZNS1_16scan_by_key_implILNS1_25lookback_scan_determinismE0ELb1ES3_N6thrust23THRUST_200600_302600_NS6detail15normal_iteratorINS9_10device_ptrIiEEEENSB_INSC_IfEEEESG_fNS9_4plusIvEENS9_8equal_toIvEEfEE10hipError_tPvRmT2_T3_T4_T5_mT6_T7_P12ihipStream_tbENKUlT_T0_E_clISt17integral_constantIbLb0EES10_IbLb1EEEEDaSW_SX_EUlSW_E_NS1_11comp_targetILNS1_3genE4ELNS1_11target_archE910ELNS1_3gpuE8ELNS1_3repE0EEENS1_30default_config_static_selectorELNS0_4arch9wavefront6targetE0EEEvT1_.numbered_sgpr, 0
	.set _ZN7rocprim17ROCPRIM_400000_NS6detail17trampoline_kernelINS0_14default_configENS1_27scan_by_key_config_selectorIifEEZZNS1_16scan_by_key_implILNS1_25lookback_scan_determinismE0ELb1ES3_N6thrust23THRUST_200600_302600_NS6detail15normal_iteratorINS9_10device_ptrIiEEEENSB_INSC_IfEEEESG_fNS9_4plusIvEENS9_8equal_toIvEEfEE10hipError_tPvRmT2_T3_T4_T5_mT6_T7_P12ihipStream_tbENKUlT_T0_E_clISt17integral_constantIbLb0EES10_IbLb1EEEEDaSW_SX_EUlSW_E_NS1_11comp_targetILNS1_3genE4ELNS1_11target_archE910ELNS1_3gpuE8ELNS1_3repE0EEENS1_30default_config_static_selectorELNS0_4arch9wavefront6targetE0EEEvT1_.num_named_barrier, 0
	.set _ZN7rocprim17ROCPRIM_400000_NS6detail17trampoline_kernelINS0_14default_configENS1_27scan_by_key_config_selectorIifEEZZNS1_16scan_by_key_implILNS1_25lookback_scan_determinismE0ELb1ES3_N6thrust23THRUST_200600_302600_NS6detail15normal_iteratorINS9_10device_ptrIiEEEENSB_INSC_IfEEEESG_fNS9_4plusIvEENS9_8equal_toIvEEfEE10hipError_tPvRmT2_T3_T4_T5_mT6_T7_P12ihipStream_tbENKUlT_T0_E_clISt17integral_constantIbLb0EES10_IbLb1EEEEDaSW_SX_EUlSW_E_NS1_11comp_targetILNS1_3genE4ELNS1_11target_archE910ELNS1_3gpuE8ELNS1_3repE0EEENS1_30default_config_static_selectorELNS0_4arch9wavefront6targetE0EEEvT1_.private_seg_size, 0
	.set _ZN7rocprim17ROCPRIM_400000_NS6detail17trampoline_kernelINS0_14default_configENS1_27scan_by_key_config_selectorIifEEZZNS1_16scan_by_key_implILNS1_25lookback_scan_determinismE0ELb1ES3_N6thrust23THRUST_200600_302600_NS6detail15normal_iteratorINS9_10device_ptrIiEEEENSB_INSC_IfEEEESG_fNS9_4plusIvEENS9_8equal_toIvEEfEE10hipError_tPvRmT2_T3_T4_T5_mT6_T7_P12ihipStream_tbENKUlT_T0_E_clISt17integral_constantIbLb0EES10_IbLb1EEEEDaSW_SX_EUlSW_E_NS1_11comp_targetILNS1_3genE4ELNS1_11target_archE910ELNS1_3gpuE8ELNS1_3repE0EEENS1_30default_config_static_selectorELNS0_4arch9wavefront6targetE0EEEvT1_.uses_vcc, 0
	.set _ZN7rocprim17ROCPRIM_400000_NS6detail17trampoline_kernelINS0_14default_configENS1_27scan_by_key_config_selectorIifEEZZNS1_16scan_by_key_implILNS1_25lookback_scan_determinismE0ELb1ES3_N6thrust23THRUST_200600_302600_NS6detail15normal_iteratorINS9_10device_ptrIiEEEENSB_INSC_IfEEEESG_fNS9_4plusIvEENS9_8equal_toIvEEfEE10hipError_tPvRmT2_T3_T4_T5_mT6_T7_P12ihipStream_tbENKUlT_T0_E_clISt17integral_constantIbLb0EES10_IbLb1EEEEDaSW_SX_EUlSW_E_NS1_11comp_targetILNS1_3genE4ELNS1_11target_archE910ELNS1_3gpuE8ELNS1_3repE0EEENS1_30default_config_static_selectorELNS0_4arch9wavefront6targetE0EEEvT1_.uses_flat_scratch, 0
	.set _ZN7rocprim17ROCPRIM_400000_NS6detail17trampoline_kernelINS0_14default_configENS1_27scan_by_key_config_selectorIifEEZZNS1_16scan_by_key_implILNS1_25lookback_scan_determinismE0ELb1ES3_N6thrust23THRUST_200600_302600_NS6detail15normal_iteratorINS9_10device_ptrIiEEEENSB_INSC_IfEEEESG_fNS9_4plusIvEENS9_8equal_toIvEEfEE10hipError_tPvRmT2_T3_T4_T5_mT6_T7_P12ihipStream_tbENKUlT_T0_E_clISt17integral_constantIbLb0EES10_IbLb1EEEEDaSW_SX_EUlSW_E_NS1_11comp_targetILNS1_3genE4ELNS1_11target_archE910ELNS1_3gpuE8ELNS1_3repE0EEENS1_30default_config_static_selectorELNS0_4arch9wavefront6targetE0EEEvT1_.has_dyn_sized_stack, 0
	.set _ZN7rocprim17ROCPRIM_400000_NS6detail17trampoline_kernelINS0_14default_configENS1_27scan_by_key_config_selectorIifEEZZNS1_16scan_by_key_implILNS1_25lookback_scan_determinismE0ELb1ES3_N6thrust23THRUST_200600_302600_NS6detail15normal_iteratorINS9_10device_ptrIiEEEENSB_INSC_IfEEEESG_fNS9_4plusIvEENS9_8equal_toIvEEfEE10hipError_tPvRmT2_T3_T4_T5_mT6_T7_P12ihipStream_tbENKUlT_T0_E_clISt17integral_constantIbLb0EES10_IbLb1EEEEDaSW_SX_EUlSW_E_NS1_11comp_targetILNS1_3genE4ELNS1_11target_archE910ELNS1_3gpuE8ELNS1_3repE0EEENS1_30default_config_static_selectorELNS0_4arch9wavefront6targetE0EEEvT1_.has_recursion, 0
	.set _ZN7rocprim17ROCPRIM_400000_NS6detail17trampoline_kernelINS0_14default_configENS1_27scan_by_key_config_selectorIifEEZZNS1_16scan_by_key_implILNS1_25lookback_scan_determinismE0ELb1ES3_N6thrust23THRUST_200600_302600_NS6detail15normal_iteratorINS9_10device_ptrIiEEEENSB_INSC_IfEEEESG_fNS9_4plusIvEENS9_8equal_toIvEEfEE10hipError_tPvRmT2_T3_T4_T5_mT6_T7_P12ihipStream_tbENKUlT_T0_E_clISt17integral_constantIbLb0EES10_IbLb1EEEEDaSW_SX_EUlSW_E_NS1_11comp_targetILNS1_3genE4ELNS1_11target_archE910ELNS1_3gpuE8ELNS1_3repE0EEENS1_30default_config_static_selectorELNS0_4arch9wavefront6targetE0EEEvT1_.has_indirect_call, 0
	.section	.AMDGPU.csdata,"",@progbits
; Kernel info:
; codeLenInByte = 0
; TotalNumSgprs: 0
; NumVgprs: 0
; ScratchSize: 0
; MemoryBound: 0
; FloatMode: 240
; IeeeMode: 1
; LDSByteSize: 0 bytes/workgroup (compile time only)
; SGPRBlocks: 0
; VGPRBlocks: 0
; NumSGPRsForWavesPerEU: 1
; NumVGPRsForWavesPerEU: 1
; Occupancy: 16
; WaveLimiterHint : 0
; COMPUTE_PGM_RSRC2:SCRATCH_EN: 0
; COMPUTE_PGM_RSRC2:USER_SGPR: 6
; COMPUTE_PGM_RSRC2:TRAP_HANDLER: 0
; COMPUTE_PGM_RSRC2:TGID_X_EN: 1
; COMPUTE_PGM_RSRC2:TGID_Y_EN: 0
; COMPUTE_PGM_RSRC2:TGID_Z_EN: 0
; COMPUTE_PGM_RSRC2:TIDIG_COMP_CNT: 0
	.section	.text._ZN7rocprim17ROCPRIM_400000_NS6detail17trampoline_kernelINS0_14default_configENS1_27scan_by_key_config_selectorIifEEZZNS1_16scan_by_key_implILNS1_25lookback_scan_determinismE0ELb1ES3_N6thrust23THRUST_200600_302600_NS6detail15normal_iteratorINS9_10device_ptrIiEEEENSB_INSC_IfEEEESG_fNS9_4plusIvEENS9_8equal_toIvEEfEE10hipError_tPvRmT2_T3_T4_T5_mT6_T7_P12ihipStream_tbENKUlT_T0_E_clISt17integral_constantIbLb0EES10_IbLb1EEEEDaSW_SX_EUlSW_E_NS1_11comp_targetILNS1_3genE3ELNS1_11target_archE908ELNS1_3gpuE7ELNS1_3repE0EEENS1_30default_config_static_selectorELNS0_4arch9wavefront6targetE0EEEvT1_,"axG",@progbits,_ZN7rocprim17ROCPRIM_400000_NS6detail17trampoline_kernelINS0_14default_configENS1_27scan_by_key_config_selectorIifEEZZNS1_16scan_by_key_implILNS1_25lookback_scan_determinismE0ELb1ES3_N6thrust23THRUST_200600_302600_NS6detail15normal_iteratorINS9_10device_ptrIiEEEENSB_INSC_IfEEEESG_fNS9_4plusIvEENS9_8equal_toIvEEfEE10hipError_tPvRmT2_T3_T4_T5_mT6_T7_P12ihipStream_tbENKUlT_T0_E_clISt17integral_constantIbLb0EES10_IbLb1EEEEDaSW_SX_EUlSW_E_NS1_11comp_targetILNS1_3genE3ELNS1_11target_archE908ELNS1_3gpuE7ELNS1_3repE0EEENS1_30default_config_static_selectorELNS0_4arch9wavefront6targetE0EEEvT1_,comdat
	.protected	_ZN7rocprim17ROCPRIM_400000_NS6detail17trampoline_kernelINS0_14default_configENS1_27scan_by_key_config_selectorIifEEZZNS1_16scan_by_key_implILNS1_25lookback_scan_determinismE0ELb1ES3_N6thrust23THRUST_200600_302600_NS6detail15normal_iteratorINS9_10device_ptrIiEEEENSB_INSC_IfEEEESG_fNS9_4plusIvEENS9_8equal_toIvEEfEE10hipError_tPvRmT2_T3_T4_T5_mT6_T7_P12ihipStream_tbENKUlT_T0_E_clISt17integral_constantIbLb0EES10_IbLb1EEEEDaSW_SX_EUlSW_E_NS1_11comp_targetILNS1_3genE3ELNS1_11target_archE908ELNS1_3gpuE7ELNS1_3repE0EEENS1_30default_config_static_selectorELNS0_4arch9wavefront6targetE0EEEvT1_ ; -- Begin function _ZN7rocprim17ROCPRIM_400000_NS6detail17trampoline_kernelINS0_14default_configENS1_27scan_by_key_config_selectorIifEEZZNS1_16scan_by_key_implILNS1_25lookback_scan_determinismE0ELb1ES3_N6thrust23THRUST_200600_302600_NS6detail15normal_iteratorINS9_10device_ptrIiEEEENSB_INSC_IfEEEESG_fNS9_4plusIvEENS9_8equal_toIvEEfEE10hipError_tPvRmT2_T3_T4_T5_mT6_T7_P12ihipStream_tbENKUlT_T0_E_clISt17integral_constantIbLb0EES10_IbLb1EEEEDaSW_SX_EUlSW_E_NS1_11comp_targetILNS1_3genE3ELNS1_11target_archE908ELNS1_3gpuE7ELNS1_3repE0EEENS1_30default_config_static_selectorELNS0_4arch9wavefront6targetE0EEEvT1_
	.globl	_ZN7rocprim17ROCPRIM_400000_NS6detail17trampoline_kernelINS0_14default_configENS1_27scan_by_key_config_selectorIifEEZZNS1_16scan_by_key_implILNS1_25lookback_scan_determinismE0ELb1ES3_N6thrust23THRUST_200600_302600_NS6detail15normal_iteratorINS9_10device_ptrIiEEEENSB_INSC_IfEEEESG_fNS9_4plusIvEENS9_8equal_toIvEEfEE10hipError_tPvRmT2_T3_T4_T5_mT6_T7_P12ihipStream_tbENKUlT_T0_E_clISt17integral_constantIbLb0EES10_IbLb1EEEEDaSW_SX_EUlSW_E_NS1_11comp_targetILNS1_3genE3ELNS1_11target_archE908ELNS1_3gpuE7ELNS1_3repE0EEENS1_30default_config_static_selectorELNS0_4arch9wavefront6targetE0EEEvT1_
	.p2align	8
	.type	_ZN7rocprim17ROCPRIM_400000_NS6detail17trampoline_kernelINS0_14default_configENS1_27scan_by_key_config_selectorIifEEZZNS1_16scan_by_key_implILNS1_25lookback_scan_determinismE0ELb1ES3_N6thrust23THRUST_200600_302600_NS6detail15normal_iteratorINS9_10device_ptrIiEEEENSB_INSC_IfEEEESG_fNS9_4plusIvEENS9_8equal_toIvEEfEE10hipError_tPvRmT2_T3_T4_T5_mT6_T7_P12ihipStream_tbENKUlT_T0_E_clISt17integral_constantIbLb0EES10_IbLb1EEEEDaSW_SX_EUlSW_E_NS1_11comp_targetILNS1_3genE3ELNS1_11target_archE908ELNS1_3gpuE7ELNS1_3repE0EEENS1_30default_config_static_selectorELNS0_4arch9wavefront6targetE0EEEvT1_,@function
_ZN7rocprim17ROCPRIM_400000_NS6detail17trampoline_kernelINS0_14default_configENS1_27scan_by_key_config_selectorIifEEZZNS1_16scan_by_key_implILNS1_25lookback_scan_determinismE0ELb1ES3_N6thrust23THRUST_200600_302600_NS6detail15normal_iteratorINS9_10device_ptrIiEEEENSB_INSC_IfEEEESG_fNS9_4plusIvEENS9_8equal_toIvEEfEE10hipError_tPvRmT2_T3_T4_T5_mT6_T7_P12ihipStream_tbENKUlT_T0_E_clISt17integral_constantIbLb0EES10_IbLb1EEEEDaSW_SX_EUlSW_E_NS1_11comp_targetILNS1_3genE3ELNS1_11target_archE908ELNS1_3gpuE7ELNS1_3repE0EEENS1_30default_config_static_selectorELNS0_4arch9wavefront6targetE0EEEvT1_: ; @_ZN7rocprim17ROCPRIM_400000_NS6detail17trampoline_kernelINS0_14default_configENS1_27scan_by_key_config_selectorIifEEZZNS1_16scan_by_key_implILNS1_25lookback_scan_determinismE0ELb1ES3_N6thrust23THRUST_200600_302600_NS6detail15normal_iteratorINS9_10device_ptrIiEEEENSB_INSC_IfEEEESG_fNS9_4plusIvEENS9_8equal_toIvEEfEE10hipError_tPvRmT2_T3_T4_T5_mT6_T7_P12ihipStream_tbENKUlT_T0_E_clISt17integral_constantIbLb0EES10_IbLb1EEEEDaSW_SX_EUlSW_E_NS1_11comp_targetILNS1_3genE3ELNS1_11target_archE908ELNS1_3gpuE7ELNS1_3repE0EEENS1_30default_config_static_selectorELNS0_4arch9wavefront6targetE0EEEvT1_
; %bb.0:
	.section	.rodata,"a",@progbits
	.p2align	6, 0x0
	.amdhsa_kernel _ZN7rocprim17ROCPRIM_400000_NS6detail17trampoline_kernelINS0_14default_configENS1_27scan_by_key_config_selectorIifEEZZNS1_16scan_by_key_implILNS1_25lookback_scan_determinismE0ELb1ES3_N6thrust23THRUST_200600_302600_NS6detail15normal_iteratorINS9_10device_ptrIiEEEENSB_INSC_IfEEEESG_fNS9_4plusIvEENS9_8equal_toIvEEfEE10hipError_tPvRmT2_T3_T4_T5_mT6_T7_P12ihipStream_tbENKUlT_T0_E_clISt17integral_constantIbLb0EES10_IbLb1EEEEDaSW_SX_EUlSW_E_NS1_11comp_targetILNS1_3genE3ELNS1_11target_archE908ELNS1_3gpuE7ELNS1_3repE0EEENS1_30default_config_static_selectorELNS0_4arch9wavefront6targetE0EEEvT1_
		.amdhsa_group_segment_fixed_size 0
		.amdhsa_private_segment_fixed_size 0
		.amdhsa_kernarg_size 112
		.amdhsa_user_sgpr_count 6
		.amdhsa_user_sgpr_private_segment_buffer 1
		.amdhsa_user_sgpr_dispatch_ptr 0
		.amdhsa_user_sgpr_queue_ptr 0
		.amdhsa_user_sgpr_kernarg_segment_ptr 1
		.amdhsa_user_sgpr_dispatch_id 0
		.amdhsa_user_sgpr_flat_scratch_init 0
		.amdhsa_user_sgpr_private_segment_size 0
		.amdhsa_wavefront_size32 1
		.amdhsa_uses_dynamic_stack 0
		.amdhsa_system_sgpr_private_segment_wavefront_offset 0
		.amdhsa_system_sgpr_workgroup_id_x 1
		.amdhsa_system_sgpr_workgroup_id_y 0
		.amdhsa_system_sgpr_workgroup_id_z 0
		.amdhsa_system_sgpr_workgroup_info 0
		.amdhsa_system_vgpr_workitem_id 0
		.amdhsa_next_free_vgpr 1
		.amdhsa_next_free_sgpr 1
		.amdhsa_reserve_vcc 0
		.amdhsa_reserve_flat_scratch 0
		.amdhsa_float_round_mode_32 0
		.amdhsa_float_round_mode_16_64 0
		.amdhsa_float_denorm_mode_32 3
		.amdhsa_float_denorm_mode_16_64 3
		.amdhsa_dx10_clamp 1
		.amdhsa_ieee_mode 1
		.amdhsa_fp16_overflow 0
		.amdhsa_workgroup_processor_mode 1
		.amdhsa_memory_ordered 1
		.amdhsa_forward_progress 1
		.amdhsa_shared_vgpr_count 0
		.amdhsa_exception_fp_ieee_invalid_op 0
		.amdhsa_exception_fp_denorm_src 0
		.amdhsa_exception_fp_ieee_div_zero 0
		.amdhsa_exception_fp_ieee_overflow 0
		.amdhsa_exception_fp_ieee_underflow 0
		.amdhsa_exception_fp_ieee_inexact 0
		.amdhsa_exception_int_div_zero 0
	.end_amdhsa_kernel
	.section	.text._ZN7rocprim17ROCPRIM_400000_NS6detail17trampoline_kernelINS0_14default_configENS1_27scan_by_key_config_selectorIifEEZZNS1_16scan_by_key_implILNS1_25lookback_scan_determinismE0ELb1ES3_N6thrust23THRUST_200600_302600_NS6detail15normal_iteratorINS9_10device_ptrIiEEEENSB_INSC_IfEEEESG_fNS9_4plusIvEENS9_8equal_toIvEEfEE10hipError_tPvRmT2_T3_T4_T5_mT6_T7_P12ihipStream_tbENKUlT_T0_E_clISt17integral_constantIbLb0EES10_IbLb1EEEEDaSW_SX_EUlSW_E_NS1_11comp_targetILNS1_3genE3ELNS1_11target_archE908ELNS1_3gpuE7ELNS1_3repE0EEENS1_30default_config_static_selectorELNS0_4arch9wavefront6targetE0EEEvT1_,"axG",@progbits,_ZN7rocprim17ROCPRIM_400000_NS6detail17trampoline_kernelINS0_14default_configENS1_27scan_by_key_config_selectorIifEEZZNS1_16scan_by_key_implILNS1_25lookback_scan_determinismE0ELb1ES3_N6thrust23THRUST_200600_302600_NS6detail15normal_iteratorINS9_10device_ptrIiEEEENSB_INSC_IfEEEESG_fNS9_4plusIvEENS9_8equal_toIvEEfEE10hipError_tPvRmT2_T3_T4_T5_mT6_T7_P12ihipStream_tbENKUlT_T0_E_clISt17integral_constantIbLb0EES10_IbLb1EEEEDaSW_SX_EUlSW_E_NS1_11comp_targetILNS1_3genE3ELNS1_11target_archE908ELNS1_3gpuE7ELNS1_3repE0EEENS1_30default_config_static_selectorELNS0_4arch9wavefront6targetE0EEEvT1_,comdat
.Lfunc_end1458:
	.size	_ZN7rocprim17ROCPRIM_400000_NS6detail17trampoline_kernelINS0_14default_configENS1_27scan_by_key_config_selectorIifEEZZNS1_16scan_by_key_implILNS1_25lookback_scan_determinismE0ELb1ES3_N6thrust23THRUST_200600_302600_NS6detail15normal_iteratorINS9_10device_ptrIiEEEENSB_INSC_IfEEEESG_fNS9_4plusIvEENS9_8equal_toIvEEfEE10hipError_tPvRmT2_T3_T4_T5_mT6_T7_P12ihipStream_tbENKUlT_T0_E_clISt17integral_constantIbLb0EES10_IbLb1EEEEDaSW_SX_EUlSW_E_NS1_11comp_targetILNS1_3genE3ELNS1_11target_archE908ELNS1_3gpuE7ELNS1_3repE0EEENS1_30default_config_static_selectorELNS0_4arch9wavefront6targetE0EEEvT1_, .Lfunc_end1458-_ZN7rocprim17ROCPRIM_400000_NS6detail17trampoline_kernelINS0_14default_configENS1_27scan_by_key_config_selectorIifEEZZNS1_16scan_by_key_implILNS1_25lookback_scan_determinismE0ELb1ES3_N6thrust23THRUST_200600_302600_NS6detail15normal_iteratorINS9_10device_ptrIiEEEENSB_INSC_IfEEEESG_fNS9_4plusIvEENS9_8equal_toIvEEfEE10hipError_tPvRmT2_T3_T4_T5_mT6_T7_P12ihipStream_tbENKUlT_T0_E_clISt17integral_constantIbLb0EES10_IbLb1EEEEDaSW_SX_EUlSW_E_NS1_11comp_targetILNS1_3genE3ELNS1_11target_archE908ELNS1_3gpuE7ELNS1_3repE0EEENS1_30default_config_static_selectorELNS0_4arch9wavefront6targetE0EEEvT1_
                                        ; -- End function
	.set _ZN7rocprim17ROCPRIM_400000_NS6detail17trampoline_kernelINS0_14default_configENS1_27scan_by_key_config_selectorIifEEZZNS1_16scan_by_key_implILNS1_25lookback_scan_determinismE0ELb1ES3_N6thrust23THRUST_200600_302600_NS6detail15normal_iteratorINS9_10device_ptrIiEEEENSB_INSC_IfEEEESG_fNS9_4plusIvEENS9_8equal_toIvEEfEE10hipError_tPvRmT2_T3_T4_T5_mT6_T7_P12ihipStream_tbENKUlT_T0_E_clISt17integral_constantIbLb0EES10_IbLb1EEEEDaSW_SX_EUlSW_E_NS1_11comp_targetILNS1_3genE3ELNS1_11target_archE908ELNS1_3gpuE7ELNS1_3repE0EEENS1_30default_config_static_selectorELNS0_4arch9wavefront6targetE0EEEvT1_.num_vgpr, 0
	.set _ZN7rocprim17ROCPRIM_400000_NS6detail17trampoline_kernelINS0_14default_configENS1_27scan_by_key_config_selectorIifEEZZNS1_16scan_by_key_implILNS1_25lookback_scan_determinismE0ELb1ES3_N6thrust23THRUST_200600_302600_NS6detail15normal_iteratorINS9_10device_ptrIiEEEENSB_INSC_IfEEEESG_fNS9_4plusIvEENS9_8equal_toIvEEfEE10hipError_tPvRmT2_T3_T4_T5_mT6_T7_P12ihipStream_tbENKUlT_T0_E_clISt17integral_constantIbLb0EES10_IbLb1EEEEDaSW_SX_EUlSW_E_NS1_11comp_targetILNS1_3genE3ELNS1_11target_archE908ELNS1_3gpuE7ELNS1_3repE0EEENS1_30default_config_static_selectorELNS0_4arch9wavefront6targetE0EEEvT1_.num_agpr, 0
	.set _ZN7rocprim17ROCPRIM_400000_NS6detail17trampoline_kernelINS0_14default_configENS1_27scan_by_key_config_selectorIifEEZZNS1_16scan_by_key_implILNS1_25lookback_scan_determinismE0ELb1ES3_N6thrust23THRUST_200600_302600_NS6detail15normal_iteratorINS9_10device_ptrIiEEEENSB_INSC_IfEEEESG_fNS9_4plusIvEENS9_8equal_toIvEEfEE10hipError_tPvRmT2_T3_T4_T5_mT6_T7_P12ihipStream_tbENKUlT_T0_E_clISt17integral_constantIbLb0EES10_IbLb1EEEEDaSW_SX_EUlSW_E_NS1_11comp_targetILNS1_3genE3ELNS1_11target_archE908ELNS1_3gpuE7ELNS1_3repE0EEENS1_30default_config_static_selectorELNS0_4arch9wavefront6targetE0EEEvT1_.numbered_sgpr, 0
	.set _ZN7rocprim17ROCPRIM_400000_NS6detail17trampoline_kernelINS0_14default_configENS1_27scan_by_key_config_selectorIifEEZZNS1_16scan_by_key_implILNS1_25lookback_scan_determinismE0ELb1ES3_N6thrust23THRUST_200600_302600_NS6detail15normal_iteratorINS9_10device_ptrIiEEEENSB_INSC_IfEEEESG_fNS9_4plusIvEENS9_8equal_toIvEEfEE10hipError_tPvRmT2_T3_T4_T5_mT6_T7_P12ihipStream_tbENKUlT_T0_E_clISt17integral_constantIbLb0EES10_IbLb1EEEEDaSW_SX_EUlSW_E_NS1_11comp_targetILNS1_3genE3ELNS1_11target_archE908ELNS1_3gpuE7ELNS1_3repE0EEENS1_30default_config_static_selectorELNS0_4arch9wavefront6targetE0EEEvT1_.num_named_barrier, 0
	.set _ZN7rocprim17ROCPRIM_400000_NS6detail17trampoline_kernelINS0_14default_configENS1_27scan_by_key_config_selectorIifEEZZNS1_16scan_by_key_implILNS1_25lookback_scan_determinismE0ELb1ES3_N6thrust23THRUST_200600_302600_NS6detail15normal_iteratorINS9_10device_ptrIiEEEENSB_INSC_IfEEEESG_fNS9_4plusIvEENS9_8equal_toIvEEfEE10hipError_tPvRmT2_T3_T4_T5_mT6_T7_P12ihipStream_tbENKUlT_T0_E_clISt17integral_constantIbLb0EES10_IbLb1EEEEDaSW_SX_EUlSW_E_NS1_11comp_targetILNS1_3genE3ELNS1_11target_archE908ELNS1_3gpuE7ELNS1_3repE0EEENS1_30default_config_static_selectorELNS0_4arch9wavefront6targetE0EEEvT1_.private_seg_size, 0
	.set _ZN7rocprim17ROCPRIM_400000_NS6detail17trampoline_kernelINS0_14default_configENS1_27scan_by_key_config_selectorIifEEZZNS1_16scan_by_key_implILNS1_25lookback_scan_determinismE0ELb1ES3_N6thrust23THRUST_200600_302600_NS6detail15normal_iteratorINS9_10device_ptrIiEEEENSB_INSC_IfEEEESG_fNS9_4plusIvEENS9_8equal_toIvEEfEE10hipError_tPvRmT2_T3_T4_T5_mT6_T7_P12ihipStream_tbENKUlT_T0_E_clISt17integral_constantIbLb0EES10_IbLb1EEEEDaSW_SX_EUlSW_E_NS1_11comp_targetILNS1_3genE3ELNS1_11target_archE908ELNS1_3gpuE7ELNS1_3repE0EEENS1_30default_config_static_selectorELNS0_4arch9wavefront6targetE0EEEvT1_.uses_vcc, 0
	.set _ZN7rocprim17ROCPRIM_400000_NS6detail17trampoline_kernelINS0_14default_configENS1_27scan_by_key_config_selectorIifEEZZNS1_16scan_by_key_implILNS1_25lookback_scan_determinismE0ELb1ES3_N6thrust23THRUST_200600_302600_NS6detail15normal_iteratorINS9_10device_ptrIiEEEENSB_INSC_IfEEEESG_fNS9_4plusIvEENS9_8equal_toIvEEfEE10hipError_tPvRmT2_T3_T4_T5_mT6_T7_P12ihipStream_tbENKUlT_T0_E_clISt17integral_constantIbLb0EES10_IbLb1EEEEDaSW_SX_EUlSW_E_NS1_11comp_targetILNS1_3genE3ELNS1_11target_archE908ELNS1_3gpuE7ELNS1_3repE0EEENS1_30default_config_static_selectorELNS0_4arch9wavefront6targetE0EEEvT1_.uses_flat_scratch, 0
	.set _ZN7rocprim17ROCPRIM_400000_NS6detail17trampoline_kernelINS0_14default_configENS1_27scan_by_key_config_selectorIifEEZZNS1_16scan_by_key_implILNS1_25lookback_scan_determinismE0ELb1ES3_N6thrust23THRUST_200600_302600_NS6detail15normal_iteratorINS9_10device_ptrIiEEEENSB_INSC_IfEEEESG_fNS9_4plusIvEENS9_8equal_toIvEEfEE10hipError_tPvRmT2_T3_T4_T5_mT6_T7_P12ihipStream_tbENKUlT_T0_E_clISt17integral_constantIbLb0EES10_IbLb1EEEEDaSW_SX_EUlSW_E_NS1_11comp_targetILNS1_3genE3ELNS1_11target_archE908ELNS1_3gpuE7ELNS1_3repE0EEENS1_30default_config_static_selectorELNS0_4arch9wavefront6targetE0EEEvT1_.has_dyn_sized_stack, 0
	.set _ZN7rocprim17ROCPRIM_400000_NS6detail17trampoline_kernelINS0_14default_configENS1_27scan_by_key_config_selectorIifEEZZNS1_16scan_by_key_implILNS1_25lookback_scan_determinismE0ELb1ES3_N6thrust23THRUST_200600_302600_NS6detail15normal_iteratorINS9_10device_ptrIiEEEENSB_INSC_IfEEEESG_fNS9_4plusIvEENS9_8equal_toIvEEfEE10hipError_tPvRmT2_T3_T4_T5_mT6_T7_P12ihipStream_tbENKUlT_T0_E_clISt17integral_constantIbLb0EES10_IbLb1EEEEDaSW_SX_EUlSW_E_NS1_11comp_targetILNS1_3genE3ELNS1_11target_archE908ELNS1_3gpuE7ELNS1_3repE0EEENS1_30default_config_static_selectorELNS0_4arch9wavefront6targetE0EEEvT1_.has_recursion, 0
	.set _ZN7rocprim17ROCPRIM_400000_NS6detail17trampoline_kernelINS0_14default_configENS1_27scan_by_key_config_selectorIifEEZZNS1_16scan_by_key_implILNS1_25lookback_scan_determinismE0ELb1ES3_N6thrust23THRUST_200600_302600_NS6detail15normal_iteratorINS9_10device_ptrIiEEEENSB_INSC_IfEEEESG_fNS9_4plusIvEENS9_8equal_toIvEEfEE10hipError_tPvRmT2_T3_T4_T5_mT6_T7_P12ihipStream_tbENKUlT_T0_E_clISt17integral_constantIbLb0EES10_IbLb1EEEEDaSW_SX_EUlSW_E_NS1_11comp_targetILNS1_3genE3ELNS1_11target_archE908ELNS1_3gpuE7ELNS1_3repE0EEENS1_30default_config_static_selectorELNS0_4arch9wavefront6targetE0EEEvT1_.has_indirect_call, 0
	.section	.AMDGPU.csdata,"",@progbits
; Kernel info:
; codeLenInByte = 0
; TotalNumSgprs: 0
; NumVgprs: 0
; ScratchSize: 0
; MemoryBound: 0
; FloatMode: 240
; IeeeMode: 1
; LDSByteSize: 0 bytes/workgroup (compile time only)
; SGPRBlocks: 0
; VGPRBlocks: 0
; NumSGPRsForWavesPerEU: 1
; NumVGPRsForWavesPerEU: 1
; Occupancy: 16
; WaveLimiterHint : 0
; COMPUTE_PGM_RSRC2:SCRATCH_EN: 0
; COMPUTE_PGM_RSRC2:USER_SGPR: 6
; COMPUTE_PGM_RSRC2:TRAP_HANDLER: 0
; COMPUTE_PGM_RSRC2:TGID_X_EN: 1
; COMPUTE_PGM_RSRC2:TGID_Y_EN: 0
; COMPUTE_PGM_RSRC2:TGID_Z_EN: 0
; COMPUTE_PGM_RSRC2:TIDIG_COMP_CNT: 0
	.section	.text._ZN7rocprim17ROCPRIM_400000_NS6detail17trampoline_kernelINS0_14default_configENS1_27scan_by_key_config_selectorIifEEZZNS1_16scan_by_key_implILNS1_25lookback_scan_determinismE0ELb1ES3_N6thrust23THRUST_200600_302600_NS6detail15normal_iteratorINS9_10device_ptrIiEEEENSB_INSC_IfEEEESG_fNS9_4plusIvEENS9_8equal_toIvEEfEE10hipError_tPvRmT2_T3_T4_T5_mT6_T7_P12ihipStream_tbENKUlT_T0_E_clISt17integral_constantIbLb0EES10_IbLb1EEEEDaSW_SX_EUlSW_E_NS1_11comp_targetILNS1_3genE2ELNS1_11target_archE906ELNS1_3gpuE6ELNS1_3repE0EEENS1_30default_config_static_selectorELNS0_4arch9wavefront6targetE0EEEvT1_,"axG",@progbits,_ZN7rocprim17ROCPRIM_400000_NS6detail17trampoline_kernelINS0_14default_configENS1_27scan_by_key_config_selectorIifEEZZNS1_16scan_by_key_implILNS1_25lookback_scan_determinismE0ELb1ES3_N6thrust23THRUST_200600_302600_NS6detail15normal_iteratorINS9_10device_ptrIiEEEENSB_INSC_IfEEEESG_fNS9_4plusIvEENS9_8equal_toIvEEfEE10hipError_tPvRmT2_T3_T4_T5_mT6_T7_P12ihipStream_tbENKUlT_T0_E_clISt17integral_constantIbLb0EES10_IbLb1EEEEDaSW_SX_EUlSW_E_NS1_11comp_targetILNS1_3genE2ELNS1_11target_archE906ELNS1_3gpuE6ELNS1_3repE0EEENS1_30default_config_static_selectorELNS0_4arch9wavefront6targetE0EEEvT1_,comdat
	.protected	_ZN7rocprim17ROCPRIM_400000_NS6detail17trampoline_kernelINS0_14default_configENS1_27scan_by_key_config_selectorIifEEZZNS1_16scan_by_key_implILNS1_25lookback_scan_determinismE0ELb1ES3_N6thrust23THRUST_200600_302600_NS6detail15normal_iteratorINS9_10device_ptrIiEEEENSB_INSC_IfEEEESG_fNS9_4plusIvEENS9_8equal_toIvEEfEE10hipError_tPvRmT2_T3_T4_T5_mT6_T7_P12ihipStream_tbENKUlT_T0_E_clISt17integral_constantIbLb0EES10_IbLb1EEEEDaSW_SX_EUlSW_E_NS1_11comp_targetILNS1_3genE2ELNS1_11target_archE906ELNS1_3gpuE6ELNS1_3repE0EEENS1_30default_config_static_selectorELNS0_4arch9wavefront6targetE0EEEvT1_ ; -- Begin function _ZN7rocprim17ROCPRIM_400000_NS6detail17trampoline_kernelINS0_14default_configENS1_27scan_by_key_config_selectorIifEEZZNS1_16scan_by_key_implILNS1_25lookback_scan_determinismE0ELb1ES3_N6thrust23THRUST_200600_302600_NS6detail15normal_iteratorINS9_10device_ptrIiEEEENSB_INSC_IfEEEESG_fNS9_4plusIvEENS9_8equal_toIvEEfEE10hipError_tPvRmT2_T3_T4_T5_mT6_T7_P12ihipStream_tbENKUlT_T0_E_clISt17integral_constantIbLb0EES10_IbLb1EEEEDaSW_SX_EUlSW_E_NS1_11comp_targetILNS1_3genE2ELNS1_11target_archE906ELNS1_3gpuE6ELNS1_3repE0EEENS1_30default_config_static_selectorELNS0_4arch9wavefront6targetE0EEEvT1_
	.globl	_ZN7rocprim17ROCPRIM_400000_NS6detail17trampoline_kernelINS0_14default_configENS1_27scan_by_key_config_selectorIifEEZZNS1_16scan_by_key_implILNS1_25lookback_scan_determinismE0ELb1ES3_N6thrust23THRUST_200600_302600_NS6detail15normal_iteratorINS9_10device_ptrIiEEEENSB_INSC_IfEEEESG_fNS9_4plusIvEENS9_8equal_toIvEEfEE10hipError_tPvRmT2_T3_T4_T5_mT6_T7_P12ihipStream_tbENKUlT_T0_E_clISt17integral_constantIbLb0EES10_IbLb1EEEEDaSW_SX_EUlSW_E_NS1_11comp_targetILNS1_3genE2ELNS1_11target_archE906ELNS1_3gpuE6ELNS1_3repE0EEENS1_30default_config_static_selectorELNS0_4arch9wavefront6targetE0EEEvT1_
	.p2align	8
	.type	_ZN7rocprim17ROCPRIM_400000_NS6detail17trampoline_kernelINS0_14default_configENS1_27scan_by_key_config_selectorIifEEZZNS1_16scan_by_key_implILNS1_25lookback_scan_determinismE0ELb1ES3_N6thrust23THRUST_200600_302600_NS6detail15normal_iteratorINS9_10device_ptrIiEEEENSB_INSC_IfEEEESG_fNS9_4plusIvEENS9_8equal_toIvEEfEE10hipError_tPvRmT2_T3_T4_T5_mT6_T7_P12ihipStream_tbENKUlT_T0_E_clISt17integral_constantIbLb0EES10_IbLb1EEEEDaSW_SX_EUlSW_E_NS1_11comp_targetILNS1_3genE2ELNS1_11target_archE906ELNS1_3gpuE6ELNS1_3repE0EEENS1_30default_config_static_selectorELNS0_4arch9wavefront6targetE0EEEvT1_,@function
_ZN7rocprim17ROCPRIM_400000_NS6detail17trampoline_kernelINS0_14default_configENS1_27scan_by_key_config_selectorIifEEZZNS1_16scan_by_key_implILNS1_25lookback_scan_determinismE0ELb1ES3_N6thrust23THRUST_200600_302600_NS6detail15normal_iteratorINS9_10device_ptrIiEEEENSB_INSC_IfEEEESG_fNS9_4plusIvEENS9_8equal_toIvEEfEE10hipError_tPvRmT2_T3_T4_T5_mT6_T7_P12ihipStream_tbENKUlT_T0_E_clISt17integral_constantIbLb0EES10_IbLb1EEEEDaSW_SX_EUlSW_E_NS1_11comp_targetILNS1_3genE2ELNS1_11target_archE906ELNS1_3gpuE6ELNS1_3repE0EEENS1_30default_config_static_selectorELNS0_4arch9wavefront6targetE0EEEvT1_: ; @_ZN7rocprim17ROCPRIM_400000_NS6detail17trampoline_kernelINS0_14default_configENS1_27scan_by_key_config_selectorIifEEZZNS1_16scan_by_key_implILNS1_25lookback_scan_determinismE0ELb1ES3_N6thrust23THRUST_200600_302600_NS6detail15normal_iteratorINS9_10device_ptrIiEEEENSB_INSC_IfEEEESG_fNS9_4plusIvEENS9_8equal_toIvEEfEE10hipError_tPvRmT2_T3_T4_T5_mT6_T7_P12ihipStream_tbENKUlT_T0_E_clISt17integral_constantIbLb0EES10_IbLb1EEEEDaSW_SX_EUlSW_E_NS1_11comp_targetILNS1_3genE2ELNS1_11target_archE906ELNS1_3gpuE6ELNS1_3repE0EEENS1_30default_config_static_selectorELNS0_4arch9wavefront6targetE0EEEvT1_
; %bb.0:
	.section	.rodata,"a",@progbits
	.p2align	6, 0x0
	.amdhsa_kernel _ZN7rocprim17ROCPRIM_400000_NS6detail17trampoline_kernelINS0_14default_configENS1_27scan_by_key_config_selectorIifEEZZNS1_16scan_by_key_implILNS1_25lookback_scan_determinismE0ELb1ES3_N6thrust23THRUST_200600_302600_NS6detail15normal_iteratorINS9_10device_ptrIiEEEENSB_INSC_IfEEEESG_fNS9_4plusIvEENS9_8equal_toIvEEfEE10hipError_tPvRmT2_T3_T4_T5_mT6_T7_P12ihipStream_tbENKUlT_T0_E_clISt17integral_constantIbLb0EES10_IbLb1EEEEDaSW_SX_EUlSW_E_NS1_11comp_targetILNS1_3genE2ELNS1_11target_archE906ELNS1_3gpuE6ELNS1_3repE0EEENS1_30default_config_static_selectorELNS0_4arch9wavefront6targetE0EEEvT1_
		.amdhsa_group_segment_fixed_size 0
		.amdhsa_private_segment_fixed_size 0
		.amdhsa_kernarg_size 112
		.amdhsa_user_sgpr_count 6
		.amdhsa_user_sgpr_private_segment_buffer 1
		.amdhsa_user_sgpr_dispatch_ptr 0
		.amdhsa_user_sgpr_queue_ptr 0
		.amdhsa_user_sgpr_kernarg_segment_ptr 1
		.amdhsa_user_sgpr_dispatch_id 0
		.amdhsa_user_sgpr_flat_scratch_init 0
		.amdhsa_user_sgpr_private_segment_size 0
		.amdhsa_wavefront_size32 1
		.amdhsa_uses_dynamic_stack 0
		.amdhsa_system_sgpr_private_segment_wavefront_offset 0
		.amdhsa_system_sgpr_workgroup_id_x 1
		.amdhsa_system_sgpr_workgroup_id_y 0
		.amdhsa_system_sgpr_workgroup_id_z 0
		.amdhsa_system_sgpr_workgroup_info 0
		.amdhsa_system_vgpr_workitem_id 0
		.amdhsa_next_free_vgpr 1
		.amdhsa_next_free_sgpr 1
		.amdhsa_reserve_vcc 0
		.amdhsa_reserve_flat_scratch 0
		.amdhsa_float_round_mode_32 0
		.amdhsa_float_round_mode_16_64 0
		.amdhsa_float_denorm_mode_32 3
		.amdhsa_float_denorm_mode_16_64 3
		.amdhsa_dx10_clamp 1
		.amdhsa_ieee_mode 1
		.amdhsa_fp16_overflow 0
		.amdhsa_workgroup_processor_mode 1
		.amdhsa_memory_ordered 1
		.amdhsa_forward_progress 1
		.amdhsa_shared_vgpr_count 0
		.amdhsa_exception_fp_ieee_invalid_op 0
		.amdhsa_exception_fp_denorm_src 0
		.amdhsa_exception_fp_ieee_div_zero 0
		.amdhsa_exception_fp_ieee_overflow 0
		.amdhsa_exception_fp_ieee_underflow 0
		.amdhsa_exception_fp_ieee_inexact 0
		.amdhsa_exception_int_div_zero 0
	.end_amdhsa_kernel
	.section	.text._ZN7rocprim17ROCPRIM_400000_NS6detail17trampoline_kernelINS0_14default_configENS1_27scan_by_key_config_selectorIifEEZZNS1_16scan_by_key_implILNS1_25lookback_scan_determinismE0ELb1ES3_N6thrust23THRUST_200600_302600_NS6detail15normal_iteratorINS9_10device_ptrIiEEEENSB_INSC_IfEEEESG_fNS9_4plusIvEENS9_8equal_toIvEEfEE10hipError_tPvRmT2_T3_T4_T5_mT6_T7_P12ihipStream_tbENKUlT_T0_E_clISt17integral_constantIbLb0EES10_IbLb1EEEEDaSW_SX_EUlSW_E_NS1_11comp_targetILNS1_3genE2ELNS1_11target_archE906ELNS1_3gpuE6ELNS1_3repE0EEENS1_30default_config_static_selectorELNS0_4arch9wavefront6targetE0EEEvT1_,"axG",@progbits,_ZN7rocprim17ROCPRIM_400000_NS6detail17trampoline_kernelINS0_14default_configENS1_27scan_by_key_config_selectorIifEEZZNS1_16scan_by_key_implILNS1_25lookback_scan_determinismE0ELb1ES3_N6thrust23THRUST_200600_302600_NS6detail15normal_iteratorINS9_10device_ptrIiEEEENSB_INSC_IfEEEESG_fNS9_4plusIvEENS9_8equal_toIvEEfEE10hipError_tPvRmT2_T3_T4_T5_mT6_T7_P12ihipStream_tbENKUlT_T0_E_clISt17integral_constantIbLb0EES10_IbLb1EEEEDaSW_SX_EUlSW_E_NS1_11comp_targetILNS1_3genE2ELNS1_11target_archE906ELNS1_3gpuE6ELNS1_3repE0EEENS1_30default_config_static_selectorELNS0_4arch9wavefront6targetE0EEEvT1_,comdat
.Lfunc_end1459:
	.size	_ZN7rocprim17ROCPRIM_400000_NS6detail17trampoline_kernelINS0_14default_configENS1_27scan_by_key_config_selectorIifEEZZNS1_16scan_by_key_implILNS1_25lookback_scan_determinismE0ELb1ES3_N6thrust23THRUST_200600_302600_NS6detail15normal_iteratorINS9_10device_ptrIiEEEENSB_INSC_IfEEEESG_fNS9_4plusIvEENS9_8equal_toIvEEfEE10hipError_tPvRmT2_T3_T4_T5_mT6_T7_P12ihipStream_tbENKUlT_T0_E_clISt17integral_constantIbLb0EES10_IbLb1EEEEDaSW_SX_EUlSW_E_NS1_11comp_targetILNS1_3genE2ELNS1_11target_archE906ELNS1_3gpuE6ELNS1_3repE0EEENS1_30default_config_static_selectorELNS0_4arch9wavefront6targetE0EEEvT1_, .Lfunc_end1459-_ZN7rocprim17ROCPRIM_400000_NS6detail17trampoline_kernelINS0_14default_configENS1_27scan_by_key_config_selectorIifEEZZNS1_16scan_by_key_implILNS1_25lookback_scan_determinismE0ELb1ES3_N6thrust23THRUST_200600_302600_NS6detail15normal_iteratorINS9_10device_ptrIiEEEENSB_INSC_IfEEEESG_fNS9_4plusIvEENS9_8equal_toIvEEfEE10hipError_tPvRmT2_T3_T4_T5_mT6_T7_P12ihipStream_tbENKUlT_T0_E_clISt17integral_constantIbLb0EES10_IbLb1EEEEDaSW_SX_EUlSW_E_NS1_11comp_targetILNS1_3genE2ELNS1_11target_archE906ELNS1_3gpuE6ELNS1_3repE0EEENS1_30default_config_static_selectorELNS0_4arch9wavefront6targetE0EEEvT1_
                                        ; -- End function
	.set _ZN7rocprim17ROCPRIM_400000_NS6detail17trampoline_kernelINS0_14default_configENS1_27scan_by_key_config_selectorIifEEZZNS1_16scan_by_key_implILNS1_25lookback_scan_determinismE0ELb1ES3_N6thrust23THRUST_200600_302600_NS6detail15normal_iteratorINS9_10device_ptrIiEEEENSB_INSC_IfEEEESG_fNS9_4plusIvEENS9_8equal_toIvEEfEE10hipError_tPvRmT2_T3_T4_T5_mT6_T7_P12ihipStream_tbENKUlT_T0_E_clISt17integral_constantIbLb0EES10_IbLb1EEEEDaSW_SX_EUlSW_E_NS1_11comp_targetILNS1_3genE2ELNS1_11target_archE906ELNS1_3gpuE6ELNS1_3repE0EEENS1_30default_config_static_selectorELNS0_4arch9wavefront6targetE0EEEvT1_.num_vgpr, 0
	.set _ZN7rocprim17ROCPRIM_400000_NS6detail17trampoline_kernelINS0_14default_configENS1_27scan_by_key_config_selectorIifEEZZNS1_16scan_by_key_implILNS1_25lookback_scan_determinismE0ELb1ES3_N6thrust23THRUST_200600_302600_NS6detail15normal_iteratorINS9_10device_ptrIiEEEENSB_INSC_IfEEEESG_fNS9_4plusIvEENS9_8equal_toIvEEfEE10hipError_tPvRmT2_T3_T4_T5_mT6_T7_P12ihipStream_tbENKUlT_T0_E_clISt17integral_constantIbLb0EES10_IbLb1EEEEDaSW_SX_EUlSW_E_NS1_11comp_targetILNS1_3genE2ELNS1_11target_archE906ELNS1_3gpuE6ELNS1_3repE0EEENS1_30default_config_static_selectorELNS0_4arch9wavefront6targetE0EEEvT1_.num_agpr, 0
	.set _ZN7rocprim17ROCPRIM_400000_NS6detail17trampoline_kernelINS0_14default_configENS1_27scan_by_key_config_selectorIifEEZZNS1_16scan_by_key_implILNS1_25lookback_scan_determinismE0ELb1ES3_N6thrust23THRUST_200600_302600_NS6detail15normal_iteratorINS9_10device_ptrIiEEEENSB_INSC_IfEEEESG_fNS9_4plusIvEENS9_8equal_toIvEEfEE10hipError_tPvRmT2_T3_T4_T5_mT6_T7_P12ihipStream_tbENKUlT_T0_E_clISt17integral_constantIbLb0EES10_IbLb1EEEEDaSW_SX_EUlSW_E_NS1_11comp_targetILNS1_3genE2ELNS1_11target_archE906ELNS1_3gpuE6ELNS1_3repE0EEENS1_30default_config_static_selectorELNS0_4arch9wavefront6targetE0EEEvT1_.numbered_sgpr, 0
	.set _ZN7rocprim17ROCPRIM_400000_NS6detail17trampoline_kernelINS0_14default_configENS1_27scan_by_key_config_selectorIifEEZZNS1_16scan_by_key_implILNS1_25lookback_scan_determinismE0ELb1ES3_N6thrust23THRUST_200600_302600_NS6detail15normal_iteratorINS9_10device_ptrIiEEEENSB_INSC_IfEEEESG_fNS9_4plusIvEENS9_8equal_toIvEEfEE10hipError_tPvRmT2_T3_T4_T5_mT6_T7_P12ihipStream_tbENKUlT_T0_E_clISt17integral_constantIbLb0EES10_IbLb1EEEEDaSW_SX_EUlSW_E_NS1_11comp_targetILNS1_3genE2ELNS1_11target_archE906ELNS1_3gpuE6ELNS1_3repE0EEENS1_30default_config_static_selectorELNS0_4arch9wavefront6targetE0EEEvT1_.num_named_barrier, 0
	.set _ZN7rocprim17ROCPRIM_400000_NS6detail17trampoline_kernelINS0_14default_configENS1_27scan_by_key_config_selectorIifEEZZNS1_16scan_by_key_implILNS1_25lookback_scan_determinismE0ELb1ES3_N6thrust23THRUST_200600_302600_NS6detail15normal_iteratorINS9_10device_ptrIiEEEENSB_INSC_IfEEEESG_fNS9_4plusIvEENS9_8equal_toIvEEfEE10hipError_tPvRmT2_T3_T4_T5_mT6_T7_P12ihipStream_tbENKUlT_T0_E_clISt17integral_constantIbLb0EES10_IbLb1EEEEDaSW_SX_EUlSW_E_NS1_11comp_targetILNS1_3genE2ELNS1_11target_archE906ELNS1_3gpuE6ELNS1_3repE0EEENS1_30default_config_static_selectorELNS0_4arch9wavefront6targetE0EEEvT1_.private_seg_size, 0
	.set _ZN7rocprim17ROCPRIM_400000_NS6detail17trampoline_kernelINS0_14default_configENS1_27scan_by_key_config_selectorIifEEZZNS1_16scan_by_key_implILNS1_25lookback_scan_determinismE0ELb1ES3_N6thrust23THRUST_200600_302600_NS6detail15normal_iteratorINS9_10device_ptrIiEEEENSB_INSC_IfEEEESG_fNS9_4plusIvEENS9_8equal_toIvEEfEE10hipError_tPvRmT2_T3_T4_T5_mT6_T7_P12ihipStream_tbENKUlT_T0_E_clISt17integral_constantIbLb0EES10_IbLb1EEEEDaSW_SX_EUlSW_E_NS1_11comp_targetILNS1_3genE2ELNS1_11target_archE906ELNS1_3gpuE6ELNS1_3repE0EEENS1_30default_config_static_selectorELNS0_4arch9wavefront6targetE0EEEvT1_.uses_vcc, 0
	.set _ZN7rocprim17ROCPRIM_400000_NS6detail17trampoline_kernelINS0_14default_configENS1_27scan_by_key_config_selectorIifEEZZNS1_16scan_by_key_implILNS1_25lookback_scan_determinismE0ELb1ES3_N6thrust23THRUST_200600_302600_NS6detail15normal_iteratorINS9_10device_ptrIiEEEENSB_INSC_IfEEEESG_fNS9_4plusIvEENS9_8equal_toIvEEfEE10hipError_tPvRmT2_T3_T4_T5_mT6_T7_P12ihipStream_tbENKUlT_T0_E_clISt17integral_constantIbLb0EES10_IbLb1EEEEDaSW_SX_EUlSW_E_NS1_11comp_targetILNS1_3genE2ELNS1_11target_archE906ELNS1_3gpuE6ELNS1_3repE0EEENS1_30default_config_static_selectorELNS0_4arch9wavefront6targetE0EEEvT1_.uses_flat_scratch, 0
	.set _ZN7rocprim17ROCPRIM_400000_NS6detail17trampoline_kernelINS0_14default_configENS1_27scan_by_key_config_selectorIifEEZZNS1_16scan_by_key_implILNS1_25lookback_scan_determinismE0ELb1ES3_N6thrust23THRUST_200600_302600_NS6detail15normal_iteratorINS9_10device_ptrIiEEEENSB_INSC_IfEEEESG_fNS9_4plusIvEENS9_8equal_toIvEEfEE10hipError_tPvRmT2_T3_T4_T5_mT6_T7_P12ihipStream_tbENKUlT_T0_E_clISt17integral_constantIbLb0EES10_IbLb1EEEEDaSW_SX_EUlSW_E_NS1_11comp_targetILNS1_3genE2ELNS1_11target_archE906ELNS1_3gpuE6ELNS1_3repE0EEENS1_30default_config_static_selectorELNS0_4arch9wavefront6targetE0EEEvT1_.has_dyn_sized_stack, 0
	.set _ZN7rocprim17ROCPRIM_400000_NS6detail17trampoline_kernelINS0_14default_configENS1_27scan_by_key_config_selectorIifEEZZNS1_16scan_by_key_implILNS1_25lookback_scan_determinismE0ELb1ES3_N6thrust23THRUST_200600_302600_NS6detail15normal_iteratorINS9_10device_ptrIiEEEENSB_INSC_IfEEEESG_fNS9_4plusIvEENS9_8equal_toIvEEfEE10hipError_tPvRmT2_T3_T4_T5_mT6_T7_P12ihipStream_tbENKUlT_T0_E_clISt17integral_constantIbLb0EES10_IbLb1EEEEDaSW_SX_EUlSW_E_NS1_11comp_targetILNS1_3genE2ELNS1_11target_archE906ELNS1_3gpuE6ELNS1_3repE0EEENS1_30default_config_static_selectorELNS0_4arch9wavefront6targetE0EEEvT1_.has_recursion, 0
	.set _ZN7rocprim17ROCPRIM_400000_NS6detail17trampoline_kernelINS0_14default_configENS1_27scan_by_key_config_selectorIifEEZZNS1_16scan_by_key_implILNS1_25lookback_scan_determinismE0ELb1ES3_N6thrust23THRUST_200600_302600_NS6detail15normal_iteratorINS9_10device_ptrIiEEEENSB_INSC_IfEEEESG_fNS9_4plusIvEENS9_8equal_toIvEEfEE10hipError_tPvRmT2_T3_T4_T5_mT6_T7_P12ihipStream_tbENKUlT_T0_E_clISt17integral_constantIbLb0EES10_IbLb1EEEEDaSW_SX_EUlSW_E_NS1_11comp_targetILNS1_3genE2ELNS1_11target_archE906ELNS1_3gpuE6ELNS1_3repE0EEENS1_30default_config_static_selectorELNS0_4arch9wavefront6targetE0EEEvT1_.has_indirect_call, 0
	.section	.AMDGPU.csdata,"",@progbits
; Kernel info:
; codeLenInByte = 0
; TotalNumSgprs: 0
; NumVgprs: 0
; ScratchSize: 0
; MemoryBound: 0
; FloatMode: 240
; IeeeMode: 1
; LDSByteSize: 0 bytes/workgroup (compile time only)
; SGPRBlocks: 0
; VGPRBlocks: 0
; NumSGPRsForWavesPerEU: 1
; NumVGPRsForWavesPerEU: 1
; Occupancy: 16
; WaveLimiterHint : 0
; COMPUTE_PGM_RSRC2:SCRATCH_EN: 0
; COMPUTE_PGM_RSRC2:USER_SGPR: 6
; COMPUTE_PGM_RSRC2:TRAP_HANDLER: 0
; COMPUTE_PGM_RSRC2:TGID_X_EN: 1
; COMPUTE_PGM_RSRC2:TGID_Y_EN: 0
; COMPUTE_PGM_RSRC2:TGID_Z_EN: 0
; COMPUTE_PGM_RSRC2:TIDIG_COMP_CNT: 0
	.section	.text._ZN7rocprim17ROCPRIM_400000_NS6detail17trampoline_kernelINS0_14default_configENS1_27scan_by_key_config_selectorIifEEZZNS1_16scan_by_key_implILNS1_25lookback_scan_determinismE0ELb1ES3_N6thrust23THRUST_200600_302600_NS6detail15normal_iteratorINS9_10device_ptrIiEEEENSB_INSC_IfEEEESG_fNS9_4plusIvEENS9_8equal_toIvEEfEE10hipError_tPvRmT2_T3_T4_T5_mT6_T7_P12ihipStream_tbENKUlT_T0_E_clISt17integral_constantIbLb0EES10_IbLb1EEEEDaSW_SX_EUlSW_E_NS1_11comp_targetILNS1_3genE10ELNS1_11target_archE1200ELNS1_3gpuE4ELNS1_3repE0EEENS1_30default_config_static_selectorELNS0_4arch9wavefront6targetE0EEEvT1_,"axG",@progbits,_ZN7rocprim17ROCPRIM_400000_NS6detail17trampoline_kernelINS0_14default_configENS1_27scan_by_key_config_selectorIifEEZZNS1_16scan_by_key_implILNS1_25lookback_scan_determinismE0ELb1ES3_N6thrust23THRUST_200600_302600_NS6detail15normal_iteratorINS9_10device_ptrIiEEEENSB_INSC_IfEEEESG_fNS9_4plusIvEENS9_8equal_toIvEEfEE10hipError_tPvRmT2_T3_T4_T5_mT6_T7_P12ihipStream_tbENKUlT_T0_E_clISt17integral_constantIbLb0EES10_IbLb1EEEEDaSW_SX_EUlSW_E_NS1_11comp_targetILNS1_3genE10ELNS1_11target_archE1200ELNS1_3gpuE4ELNS1_3repE0EEENS1_30default_config_static_selectorELNS0_4arch9wavefront6targetE0EEEvT1_,comdat
	.protected	_ZN7rocprim17ROCPRIM_400000_NS6detail17trampoline_kernelINS0_14default_configENS1_27scan_by_key_config_selectorIifEEZZNS1_16scan_by_key_implILNS1_25lookback_scan_determinismE0ELb1ES3_N6thrust23THRUST_200600_302600_NS6detail15normal_iteratorINS9_10device_ptrIiEEEENSB_INSC_IfEEEESG_fNS9_4plusIvEENS9_8equal_toIvEEfEE10hipError_tPvRmT2_T3_T4_T5_mT6_T7_P12ihipStream_tbENKUlT_T0_E_clISt17integral_constantIbLb0EES10_IbLb1EEEEDaSW_SX_EUlSW_E_NS1_11comp_targetILNS1_3genE10ELNS1_11target_archE1200ELNS1_3gpuE4ELNS1_3repE0EEENS1_30default_config_static_selectorELNS0_4arch9wavefront6targetE0EEEvT1_ ; -- Begin function _ZN7rocprim17ROCPRIM_400000_NS6detail17trampoline_kernelINS0_14default_configENS1_27scan_by_key_config_selectorIifEEZZNS1_16scan_by_key_implILNS1_25lookback_scan_determinismE0ELb1ES3_N6thrust23THRUST_200600_302600_NS6detail15normal_iteratorINS9_10device_ptrIiEEEENSB_INSC_IfEEEESG_fNS9_4plusIvEENS9_8equal_toIvEEfEE10hipError_tPvRmT2_T3_T4_T5_mT6_T7_P12ihipStream_tbENKUlT_T0_E_clISt17integral_constantIbLb0EES10_IbLb1EEEEDaSW_SX_EUlSW_E_NS1_11comp_targetILNS1_3genE10ELNS1_11target_archE1200ELNS1_3gpuE4ELNS1_3repE0EEENS1_30default_config_static_selectorELNS0_4arch9wavefront6targetE0EEEvT1_
	.globl	_ZN7rocprim17ROCPRIM_400000_NS6detail17trampoline_kernelINS0_14default_configENS1_27scan_by_key_config_selectorIifEEZZNS1_16scan_by_key_implILNS1_25lookback_scan_determinismE0ELb1ES3_N6thrust23THRUST_200600_302600_NS6detail15normal_iteratorINS9_10device_ptrIiEEEENSB_INSC_IfEEEESG_fNS9_4plusIvEENS9_8equal_toIvEEfEE10hipError_tPvRmT2_T3_T4_T5_mT6_T7_P12ihipStream_tbENKUlT_T0_E_clISt17integral_constantIbLb0EES10_IbLb1EEEEDaSW_SX_EUlSW_E_NS1_11comp_targetILNS1_3genE10ELNS1_11target_archE1200ELNS1_3gpuE4ELNS1_3repE0EEENS1_30default_config_static_selectorELNS0_4arch9wavefront6targetE0EEEvT1_
	.p2align	8
	.type	_ZN7rocprim17ROCPRIM_400000_NS6detail17trampoline_kernelINS0_14default_configENS1_27scan_by_key_config_selectorIifEEZZNS1_16scan_by_key_implILNS1_25lookback_scan_determinismE0ELb1ES3_N6thrust23THRUST_200600_302600_NS6detail15normal_iteratorINS9_10device_ptrIiEEEENSB_INSC_IfEEEESG_fNS9_4plusIvEENS9_8equal_toIvEEfEE10hipError_tPvRmT2_T3_T4_T5_mT6_T7_P12ihipStream_tbENKUlT_T0_E_clISt17integral_constantIbLb0EES10_IbLb1EEEEDaSW_SX_EUlSW_E_NS1_11comp_targetILNS1_3genE10ELNS1_11target_archE1200ELNS1_3gpuE4ELNS1_3repE0EEENS1_30default_config_static_selectorELNS0_4arch9wavefront6targetE0EEEvT1_,@function
_ZN7rocprim17ROCPRIM_400000_NS6detail17trampoline_kernelINS0_14default_configENS1_27scan_by_key_config_selectorIifEEZZNS1_16scan_by_key_implILNS1_25lookback_scan_determinismE0ELb1ES3_N6thrust23THRUST_200600_302600_NS6detail15normal_iteratorINS9_10device_ptrIiEEEENSB_INSC_IfEEEESG_fNS9_4plusIvEENS9_8equal_toIvEEfEE10hipError_tPvRmT2_T3_T4_T5_mT6_T7_P12ihipStream_tbENKUlT_T0_E_clISt17integral_constantIbLb0EES10_IbLb1EEEEDaSW_SX_EUlSW_E_NS1_11comp_targetILNS1_3genE10ELNS1_11target_archE1200ELNS1_3gpuE4ELNS1_3repE0EEENS1_30default_config_static_selectorELNS0_4arch9wavefront6targetE0EEEvT1_: ; @_ZN7rocprim17ROCPRIM_400000_NS6detail17trampoline_kernelINS0_14default_configENS1_27scan_by_key_config_selectorIifEEZZNS1_16scan_by_key_implILNS1_25lookback_scan_determinismE0ELb1ES3_N6thrust23THRUST_200600_302600_NS6detail15normal_iteratorINS9_10device_ptrIiEEEENSB_INSC_IfEEEESG_fNS9_4plusIvEENS9_8equal_toIvEEfEE10hipError_tPvRmT2_T3_T4_T5_mT6_T7_P12ihipStream_tbENKUlT_T0_E_clISt17integral_constantIbLb0EES10_IbLb1EEEEDaSW_SX_EUlSW_E_NS1_11comp_targetILNS1_3genE10ELNS1_11target_archE1200ELNS1_3gpuE4ELNS1_3repE0EEENS1_30default_config_static_selectorELNS0_4arch9wavefront6targetE0EEEvT1_
; %bb.0:
	.section	.rodata,"a",@progbits
	.p2align	6, 0x0
	.amdhsa_kernel _ZN7rocprim17ROCPRIM_400000_NS6detail17trampoline_kernelINS0_14default_configENS1_27scan_by_key_config_selectorIifEEZZNS1_16scan_by_key_implILNS1_25lookback_scan_determinismE0ELb1ES3_N6thrust23THRUST_200600_302600_NS6detail15normal_iteratorINS9_10device_ptrIiEEEENSB_INSC_IfEEEESG_fNS9_4plusIvEENS9_8equal_toIvEEfEE10hipError_tPvRmT2_T3_T4_T5_mT6_T7_P12ihipStream_tbENKUlT_T0_E_clISt17integral_constantIbLb0EES10_IbLb1EEEEDaSW_SX_EUlSW_E_NS1_11comp_targetILNS1_3genE10ELNS1_11target_archE1200ELNS1_3gpuE4ELNS1_3repE0EEENS1_30default_config_static_selectorELNS0_4arch9wavefront6targetE0EEEvT1_
		.amdhsa_group_segment_fixed_size 0
		.amdhsa_private_segment_fixed_size 0
		.amdhsa_kernarg_size 112
		.amdhsa_user_sgpr_count 6
		.amdhsa_user_sgpr_private_segment_buffer 1
		.amdhsa_user_sgpr_dispatch_ptr 0
		.amdhsa_user_sgpr_queue_ptr 0
		.amdhsa_user_sgpr_kernarg_segment_ptr 1
		.amdhsa_user_sgpr_dispatch_id 0
		.amdhsa_user_sgpr_flat_scratch_init 0
		.amdhsa_user_sgpr_private_segment_size 0
		.amdhsa_wavefront_size32 1
		.amdhsa_uses_dynamic_stack 0
		.amdhsa_system_sgpr_private_segment_wavefront_offset 0
		.amdhsa_system_sgpr_workgroup_id_x 1
		.amdhsa_system_sgpr_workgroup_id_y 0
		.amdhsa_system_sgpr_workgroup_id_z 0
		.amdhsa_system_sgpr_workgroup_info 0
		.amdhsa_system_vgpr_workitem_id 0
		.amdhsa_next_free_vgpr 1
		.amdhsa_next_free_sgpr 1
		.amdhsa_reserve_vcc 0
		.amdhsa_reserve_flat_scratch 0
		.amdhsa_float_round_mode_32 0
		.amdhsa_float_round_mode_16_64 0
		.amdhsa_float_denorm_mode_32 3
		.amdhsa_float_denorm_mode_16_64 3
		.amdhsa_dx10_clamp 1
		.amdhsa_ieee_mode 1
		.amdhsa_fp16_overflow 0
		.amdhsa_workgroup_processor_mode 1
		.amdhsa_memory_ordered 1
		.amdhsa_forward_progress 1
		.amdhsa_shared_vgpr_count 0
		.amdhsa_exception_fp_ieee_invalid_op 0
		.amdhsa_exception_fp_denorm_src 0
		.amdhsa_exception_fp_ieee_div_zero 0
		.amdhsa_exception_fp_ieee_overflow 0
		.amdhsa_exception_fp_ieee_underflow 0
		.amdhsa_exception_fp_ieee_inexact 0
		.amdhsa_exception_int_div_zero 0
	.end_amdhsa_kernel
	.section	.text._ZN7rocprim17ROCPRIM_400000_NS6detail17trampoline_kernelINS0_14default_configENS1_27scan_by_key_config_selectorIifEEZZNS1_16scan_by_key_implILNS1_25lookback_scan_determinismE0ELb1ES3_N6thrust23THRUST_200600_302600_NS6detail15normal_iteratorINS9_10device_ptrIiEEEENSB_INSC_IfEEEESG_fNS9_4plusIvEENS9_8equal_toIvEEfEE10hipError_tPvRmT2_T3_T4_T5_mT6_T7_P12ihipStream_tbENKUlT_T0_E_clISt17integral_constantIbLb0EES10_IbLb1EEEEDaSW_SX_EUlSW_E_NS1_11comp_targetILNS1_3genE10ELNS1_11target_archE1200ELNS1_3gpuE4ELNS1_3repE0EEENS1_30default_config_static_selectorELNS0_4arch9wavefront6targetE0EEEvT1_,"axG",@progbits,_ZN7rocprim17ROCPRIM_400000_NS6detail17trampoline_kernelINS0_14default_configENS1_27scan_by_key_config_selectorIifEEZZNS1_16scan_by_key_implILNS1_25lookback_scan_determinismE0ELb1ES3_N6thrust23THRUST_200600_302600_NS6detail15normal_iteratorINS9_10device_ptrIiEEEENSB_INSC_IfEEEESG_fNS9_4plusIvEENS9_8equal_toIvEEfEE10hipError_tPvRmT2_T3_T4_T5_mT6_T7_P12ihipStream_tbENKUlT_T0_E_clISt17integral_constantIbLb0EES10_IbLb1EEEEDaSW_SX_EUlSW_E_NS1_11comp_targetILNS1_3genE10ELNS1_11target_archE1200ELNS1_3gpuE4ELNS1_3repE0EEENS1_30default_config_static_selectorELNS0_4arch9wavefront6targetE0EEEvT1_,comdat
.Lfunc_end1460:
	.size	_ZN7rocprim17ROCPRIM_400000_NS6detail17trampoline_kernelINS0_14default_configENS1_27scan_by_key_config_selectorIifEEZZNS1_16scan_by_key_implILNS1_25lookback_scan_determinismE0ELb1ES3_N6thrust23THRUST_200600_302600_NS6detail15normal_iteratorINS9_10device_ptrIiEEEENSB_INSC_IfEEEESG_fNS9_4plusIvEENS9_8equal_toIvEEfEE10hipError_tPvRmT2_T3_T4_T5_mT6_T7_P12ihipStream_tbENKUlT_T0_E_clISt17integral_constantIbLb0EES10_IbLb1EEEEDaSW_SX_EUlSW_E_NS1_11comp_targetILNS1_3genE10ELNS1_11target_archE1200ELNS1_3gpuE4ELNS1_3repE0EEENS1_30default_config_static_selectorELNS0_4arch9wavefront6targetE0EEEvT1_, .Lfunc_end1460-_ZN7rocprim17ROCPRIM_400000_NS6detail17trampoline_kernelINS0_14default_configENS1_27scan_by_key_config_selectorIifEEZZNS1_16scan_by_key_implILNS1_25lookback_scan_determinismE0ELb1ES3_N6thrust23THRUST_200600_302600_NS6detail15normal_iteratorINS9_10device_ptrIiEEEENSB_INSC_IfEEEESG_fNS9_4plusIvEENS9_8equal_toIvEEfEE10hipError_tPvRmT2_T3_T4_T5_mT6_T7_P12ihipStream_tbENKUlT_T0_E_clISt17integral_constantIbLb0EES10_IbLb1EEEEDaSW_SX_EUlSW_E_NS1_11comp_targetILNS1_3genE10ELNS1_11target_archE1200ELNS1_3gpuE4ELNS1_3repE0EEENS1_30default_config_static_selectorELNS0_4arch9wavefront6targetE0EEEvT1_
                                        ; -- End function
	.set _ZN7rocprim17ROCPRIM_400000_NS6detail17trampoline_kernelINS0_14default_configENS1_27scan_by_key_config_selectorIifEEZZNS1_16scan_by_key_implILNS1_25lookback_scan_determinismE0ELb1ES3_N6thrust23THRUST_200600_302600_NS6detail15normal_iteratorINS9_10device_ptrIiEEEENSB_INSC_IfEEEESG_fNS9_4plusIvEENS9_8equal_toIvEEfEE10hipError_tPvRmT2_T3_T4_T5_mT6_T7_P12ihipStream_tbENKUlT_T0_E_clISt17integral_constantIbLb0EES10_IbLb1EEEEDaSW_SX_EUlSW_E_NS1_11comp_targetILNS1_3genE10ELNS1_11target_archE1200ELNS1_3gpuE4ELNS1_3repE0EEENS1_30default_config_static_selectorELNS0_4arch9wavefront6targetE0EEEvT1_.num_vgpr, 0
	.set _ZN7rocprim17ROCPRIM_400000_NS6detail17trampoline_kernelINS0_14default_configENS1_27scan_by_key_config_selectorIifEEZZNS1_16scan_by_key_implILNS1_25lookback_scan_determinismE0ELb1ES3_N6thrust23THRUST_200600_302600_NS6detail15normal_iteratorINS9_10device_ptrIiEEEENSB_INSC_IfEEEESG_fNS9_4plusIvEENS9_8equal_toIvEEfEE10hipError_tPvRmT2_T3_T4_T5_mT6_T7_P12ihipStream_tbENKUlT_T0_E_clISt17integral_constantIbLb0EES10_IbLb1EEEEDaSW_SX_EUlSW_E_NS1_11comp_targetILNS1_3genE10ELNS1_11target_archE1200ELNS1_3gpuE4ELNS1_3repE0EEENS1_30default_config_static_selectorELNS0_4arch9wavefront6targetE0EEEvT1_.num_agpr, 0
	.set _ZN7rocprim17ROCPRIM_400000_NS6detail17trampoline_kernelINS0_14default_configENS1_27scan_by_key_config_selectorIifEEZZNS1_16scan_by_key_implILNS1_25lookback_scan_determinismE0ELb1ES3_N6thrust23THRUST_200600_302600_NS6detail15normal_iteratorINS9_10device_ptrIiEEEENSB_INSC_IfEEEESG_fNS9_4plusIvEENS9_8equal_toIvEEfEE10hipError_tPvRmT2_T3_T4_T5_mT6_T7_P12ihipStream_tbENKUlT_T0_E_clISt17integral_constantIbLb0EES10_IbLb1EEEEDaSW_SX_EUlSW_E_NS1_11comp_targetILNS1_3genE10ELNS1_11target_archE1200ELNS1_3gpuE4ELNS1_3repE0EEENS1_30default_config_static_selectorELNS0_4arch9wavefront6targetE0EEEvT1_.numbered_sgpr, 0
	.set _ZN7rocprim17ROCPRIM_400000_NS6detail17trampoline_kernelINS0_14default_configENS1_27scan_by_key_config_selectorIifEEZZNS1_16scan_by_key_implILNS1_25lookback_scan_determinismE0ELb1ES3_N6thrust23THRUST_200600_302600_NS6detail15normal_iteratorINS9_10device_ptrIiEEEENSB_INSC_IfEEEESG_fNS9_4plusIvEENS9_8equal_toIvEEfEE10hipError_tPvRmT2_T3_T4_T5_mT6_T7_P12ihipStream_tbENKUlT_T0_E_clISt17integral_constantIbLb0EES10_IbLb1EEEEDaSW_SX_EUlSW_E_NS1_11comp_targetILNS1_3genE10ELNS1_11target_archE1200ELNS1_3gpuE4ELNS1_3repE0EEENS1_30default_config_static_selectorELNS0_4arch9wavefront6targetE0EEEvT1_.num_named_barrier, 0
	.set _ZN7rocprim17ROCPRIM_400000_NS6detail17trampoline_kernelINS0_14default_configENS1_27scan_by_key_config_selectorIifEEZZNS1_16scan_by_key_implILNS1_25lookback_scan_determinismE0ELb1ES3_N6thrust23THRUST_200600_302600_NS6detail15normal_iteratorINS9_10device_ptrIiEEEENSB_INSC_IfEEEESG_fNS9_4plusIvEENS9_8equal_toIvEEfEE10hipError_tPvRmT2_T3_T4_T5_mT6_T7_P12ihipStream_tbENKUlT_T0_E_clISt17integral_constantIbLb0EES10_IbLb1EEEEDaSW_SX_EUlSW_E_NS1_11comp_targetILNS1_3genE10ELNS1_11target_archE1200ELNS1_3gpuE4ELNS1_3repE0EEENS1_30default_config_static_selectorELNS0_4arch9wavefront6targetE0EEEvT1_.private_seg_size, 0
	.set _ZN7rocprim17ROCPRIM_400000_NS6detail17trampoline_kernelINS0_14default_configENS1_27scan_by_key_config_selectorIifEEZZNS1_16scan_by_key_implILNS1_25lookback_scan_determinismE0ELb1ES3_N6thrust23THRUST_200600_302600_NS6detail15normal_iteratorINS9_10device_ptrIiEEEENSB_INSC_IfEEEESG_fNS9_4plusIvEENS9_8equal_toIvEEfEE10hipError_tPvRmT2_T3_T4_T5_mT6_T7_P12ihipStream_tbENKUlT_T0_E_clISt17integral_constantIbLb0EES10_IbLb1EEEEDaSW_SX_EUlSW_E_NS1_11comp_targetILNS1_3genE10ELNS1_11target_archE1200ELNS1_3gpuE4ELNS1_3repE0EEENS1_30default_config_static_selectorELNS0_4arch9wavefront6targetE0EEEvT1_.uses_vcc, 0
	.set _ZN7rocprim17ROCPRIM_400000_NS6detail17trampoline_kernelINS0_14default_configENS1_27scan_by_key_config_selectorIifEEZZNS1_16scan_by_key_implILNS1_25lookback_scan_determinismE0ELb1ES3_N6thrust23THRUST_200600_302600_NS6detail15normal_iteratorINS9_10device_ptrIiEEEENSB_INSC_IfEEEESG_fNS9_4plusIvEENS9_8equal_toIvEEfEE10hipError_tPvRmT2_T3_T4_T5_mT6_T7_P12ihipStream_tbENKUlT_T0_E_clISt17integral_constantIbLb0EES10_IbLb1EEEEDaSW_SX_EUlSW_E_NS1_11comp_targetILNS1_3genE10ELNS1_11target_archE1200ELNS1_3gpuE4ELNS1_3repE0EEENS1_30default_config_static_selectorELNS0_4arch9wavefront6targetE0EEEvT1_.uses_flat_scratch, 0
	.set _ZN7rocprim17ROCPRIM_400000_NS6detail17trampoline_kernelINS0_14default_configENS1_27scan_by_key_config_selectorIifEEZZNS1_16scan_by_key_implILNS1_25lookback_scan_determinismE0ELb1ES3_N6thrust23THRUST_200600_302600_NS6detail15normal_iteratorINS9_10device_ptrIiEEEENSB_INSC_IfEEEESG_fNS9_4plusIvEENS9_8equal_toIvEEfEE10hipError_tPvRmT2_T3_T4_T5_mT6_T7_P12ihipStream_tbENKUlT_T0_E_clISt17integral_constantIbLb0EES10_IbLb1EEEEDaSW_SX_EUlSW_E_NS1_11comp_targetILNS1_3genE10ELNS1_11target_archE1200ELNS1_3gpuE4ELNS1_3repE0EEENS1_30default_config_static_selectorELNS0_4arch9wavefront6targetE0EEEvT1_.has_dyn_sized_stack, 0
	.set _ZN7rocprim17ROCPRIM_400000_NS6detail17trampoline_kernelINS0_14default_configENS1_27scan_by_key_config_selectorIifEEZZNS1_16scan_by_key_implILNS1_25lookback_scan_determinismE0ELb1ES3_N6thrust23THRUST_200600_302600_NS6detail15normal_iteratorINS9_10device_ptrIiEEEENSB_INSC_IfEEEESG_fNS9_4plusIvEENS9_8equal_toIvEEfEE10hipError_tPvRmT2_T3_T4_T5_mT6_T7_P12ihipStream_tbENKUlT_T0_E_clISt17integral_constantIbLb0EES10_IbLb1EEEEDaSW_SX_EUlSW_E_NS1_11comp_targetILNS1_3genE10ELNS1_11target_archE1200ELNS1_3gpuE4ELNS1_3repE0EEENS1_30default_config_static_selectorELNS0_4arch9wavefront6targetE0EEEvT1_.has_recursion, 0
	.set _ZN7rocprim17ROCPRIM_400000_NS6detail17trampoline_kernelINS0_14default_configENS1_27scan_by_key_config_selectorIifEEZZNS1_16scan_by_key_implILNS1_25lookback_scan_determinismE0ELb1ES3_N6thrust23THRUST_200600_302600_NS6detail15normal_iteratorINS9_10device_ptrIiEEEENSB_INSC_IfEEEESG_fNS9_4plusIvEENS9_8equal_toIvEEfEE10hipError_tPvRmT2_T3_T4_T5_mT6_T7_P12ihipStream_tbENKUlT_T0_E_clISt17integral_constantIbLb0EES10_IbLb1EEEEDaSW_SX_EUlSW_E_NS1_11comp_targetILNS1_3genE10ELNS1_11target_archE1200ELNS1_3gpuE4ELNS1_3repE0EEENS1_30default_config_static_selectorELNS0_4arch9wavefront6targetE0EEEvT1_.has_indirect_call, 0
	.section	.AMDGPU.csdata,"",@progbits
; Kernel info:
; codeLenInByte = 0
; TotalNumSgprs: 0
; NumVgprs: 0
; ScratchSize: 0
; MemoryBound: 0
; FloatMode: 240
; IeeeMode: 1
; LDSByteSize: 0 bytes/workgroup (compile time only)
; SGPRBlocks: 0
; VGPRBlocks: 0
; NumSGPRsForWavesPerEU: 1
; NumVGPRsForWavesPerEU: 1
; Occupancy: 16
; WaveLimiterHint : 0
; COMPUTE_PGM_RSRC2:SCRATCH_EN: 0
; COMPUTE_PGM_RSRC2:USER_SGPR: 6
; COMPUTE_PGM_RSRC2:TRAP_HANDLER: 0
; COMPUTE_PGM_RSRC2:TGID_X_EN: 1
; COMPUTE_PGM_RSRC2:TGID_Y_EN: 0
; COMPUTE_PGM_RSRC2:TGID_Z_EN: 0
; COMPUTE_PGM_RSRC2:TIDIG_COMP_CNT: 0
	.section	.text._ZN7rocprim17ROCPRIM_400000_NS6detail17trampoline_kernelINS0_14default_configENS1_27scan_by_key_config_selectorIifEEZZNS1_16scan_by_key_implILNS1_25lookback_scan_determinismE0ELb1ES3_N6thrust23THRUST_200600_302600_NS6detail15normal_iteratorINS9_10device_ptrIiEEEENSB_INSC_IfEEEESG_fNS9_4plusIvEENS9_8equal_toIvEEfEE10hipError_tPvRmT2_T3_T4_T5_mT6_T7_P12ihipStream_tbENKUlT_T0_E_clISt17integral_constantIbLb0EES10_IbLb1EEEEDaSW_SX_EUlSW_E_NS1_11comp_targetILNS1_3genE9ELNS1_11target_archE1100ELNS1_3gpuE3ELNS1_3repE0EEENS1_30default_config_static_selectorELNS0_4arch9wavefront6targetE0EEEvT1_,"axG",@progbits,_ZN7rocprim17ROCPRIM_400000_NS6detail17trampoline_kernelINS0_14default_configENS1_27scan_by_key_config_selectorIifEEZZNS1_16scan_by_key_implILNS1_25lookback_scan_determinismE0ELb1ES3_N6thrust23THRUST_200600_302600_NS6detail15normal_iteratorINS9_10device_ptrIiEEEENSB_INSC_IfEEEESG_fNS9_4plusIvEENS9_8equal_toIvEEfEE10hipError_tPvRmT2_T3_T4_T5_mT6_T7_P12ihipStream_tbENKUlT_T0_E_clISt17integral_constantIbLb0EES10_IbLb1EEEEDaSW_SX_EUlSW_E_NS1_11comp_targetILNS1_3genE9ELNS1_11target_archE1100ELNS1_3gpuE3ELNS1_3repE0EEENS1_30default_config_static_selectorELNS0_4arch9wavefront6targetE0EEEvT1_,comdat
	.protected	_ZN7rocprim17ROCPRIM_400000_NS6detail17trampoline_kernelINS0_14default_configENS1_27scan_by_key_config_selectorIifEEZZNS1_16scan_by_key_implILNS1_25lookback_scan_determinismE0ELb1ES3_N6thrust23THRUST_200600_302600_NS6detail15normal_iteratorINS9_10device_ptrIiEEEENSB_INSC_IfEEEESG_fNS9_4plusIvEENS9_8equal_toIvEEfEE10hipError_tPvRmT2_T3_T4_T5_mT6_T7_P12ihipStream_tbENKUlT_T0_E_clISt17integral_constantIbLb0EES10_IbLb1EEEEDaSW_SX_EUlSW_E_NS1_11comp_targetILNS1_3genE9ELNS1_11target_archE1100ELNS1_3gpuE3ELNS1_3repE0EEENS1_30default_config_static_selectorELNS0_4arch9wavefront6targetE0EEEvT1_ ; -- Begin function _ZN7rocprim17ROCPRIM_400000_NS6detail17trampoline_kernelINS0_14default_configENS1_27scan_by_key_config_selectorIifEEZZNS1_16scan_by_key_implILNS1_25lookback_scan_determinismE0ELb1ES3_N6thrust23THRUST_200600_302600_NS6detail15normal_iteratorINS9_10device_ptrIiEEEENSB_INSC_IfEEEESG_fNS9_4plusIvEENS9_8equal_toIvEEfEE10hipError_tPvRmT2_T3_T4_T5_mT6_T7_P12ihipStream_tbENKUlT_T0_E_clISt17integral_constantIbLb0EES10_IbLb1EEEEDaSW_SX_EUlSW_E_NS1_11comp_targetILNS1_3genE9ELNS1_11target_archE1100ELNS1_3gpuE3ELNS1_3repE0EEENS1_30default_config_static_selectorELNS0_4arch9wavefront6targetE0EEEvT1_
	.globl	_ZN7rocprim17ROCPRIM_400000_NS6detail17trampoline_kernelINS0_14default_configENS1_27scan_by_key_config_selectorIifEEZZNS1_16scan_by_key_implILNS1_25lookback_scan_determinismE0ELb1ES3_N6thrust23THRUST_200600_302600_NS6detail15normal_iteratorINS9_10device_ptrIiEEEENSB_INSC_IfEEEESG_fNS9_4plusIvEENS9_8equal_toIvEEfEE10hipError_tPvRmT2_T3_T4_T5_mT6_T7_P12ihipStream_tbENKUlT_T0_E_clISt17integral_constantIbLb0EES10_IbLb1EEEEDaSW_SX_EUlSW_E_NS1_11comp_targetILNS1_3genE9ELNS1_11target_archE1100ELNS1_3gpuE3ELNS1_3repE0EEENS1_30default_config_static_selectorELNS0_4arch9wavefront6targetE0EEEvT1_
	.p2align	8
	.type	_ZN7rocprim17ROCPRIM_400000_NS6detail17trampoline_kernelINS0_14default_configENS1_27scan_by_key_config_selectorIifEEZZNS1_16scan_by_key_implILNS1_25lookback_scan_determinismE0ELb1ES3_N6thrust23THRUST_200600_302600_NS6detail15normal_iteratorINS9_10device_ptrIiEEEENSB_INSC_IfEEEESG_fNS9_4plusIvEENS9_8equal_toIvEEfEE10hipError_tPvRmT2_T3_T4_T5_mT6_T7_P12ihipStream_tbENKUlT_T0_E_clISt17integral_constantIbLb0EES10_IbLb1EEEEDaSW_SX_EUlSW_E_NS1_11comp_targetILNS1_3genE9ELNS1_11target_archE1100ELNS1_3gpuE3ELNS1_3repE0EEENS1_30default_config_static_selectorELNS0_4arch9wavefront6targetE0EEEvT1_,@function
_ZN7rocprim17ROCPRIM_400000_NS6detail17trampoline_kernelINS0_14default_configENS1_27scan_by_key_config_selectorIifEEZZNS1_16scan_by_key_implILNS1_25lookback_scan_determinismE0ELb1ES3_N6thrust23THRUST_200600_302600_NS6detail15normal_iteratorINS9_10device_ptrIiEEEENSB_INSC_IfEEEESG_fNS9_4plusIvEENS9_8equal_toIvEEfEE10hipError_tPvRmT2_T3_T4_T5_mT6_T7_P12ihipStream_tbENKUlT_T0_E_clISt17integral_constantIbLb0EES10_IbLb1EEEEDaSW_SX_EUlSW_E_NS1_11comp_targetILNS1_3genE9ELNS1_11target_archE1100ELNS1_3gpuE3ELNS1_3repE0EEENS1_30default_config_static_selectorELNS0_4arch9wavefront6targetE0EEEvT1_: ; @_ZN7rocprim17ROCPRIM_400000_NS6detail17trampoline_kernelINS0_14default_configENS1_27scan_by_key_config_selectorIifEEZZNS1_16scan_by_key_implILNS1_25lookback_scan_determinismE0ELb1ES3_N6thrust23THRUST_200600_302600_NS6detail15normal_iteratorINS9_10device_ptrIiEEEENSB_INSC_IfEEEESG_fNS9_4plusIvEENS9_8equal_toIvEEfEE10hipError_tPvRmT2_T3_T4_T5_mT6_T7_P12ihipStream_tbENKUlT_T0_E_clISt17integral_constantIbLb0EES10_IbLb1EEEEDaSW_SX_EUlSW_E_NS1_11comp_targetILNS1_3genE9ELNS1_11target_archE1100ELNS1_3gpuE3ELNS1_3repE0EEENS1_30default_config_static_selectorELNS0_4arch9wavefront6targetE0EEEvT1_
; %bb.0:
	.section	.rodata,"a",@progbits
	.p2align	6, 0x0
	.amdhsa_kernel _ZN7rocprim17ROCPRIM_400000_NS6detail17trampoline_kernelINS0_14default_configENS1_27scan_by_key_config_selectorIifEEZZNS1_16scan_by_key_implILNS1_25lookback_scan_determinismE0ELb1ES3_N6thrust23THRUST_200600_302600_NS6detail15normal_iteratorINS9_10device_ptrIiEEEENSB_INSC_IfEEEESG_fNS9_4plusIvEENS9_8equal_toIvEEfEE10hipError_tPvRmT2_T3_T4_T5_mT6_T7_P12ihipStream_tbENKUlT_T0_E_clISt17integral_constantIbLb0EES10_IbLb1EEEEDaSW_SX_EUlSW_E_NS1_11comp_targetILNS1_3genE9ELNS1_11target_archE1100ELNS1_3gpuE3ELNS1_3repE0EEENS1_30default_config_static_selectorELNS0_4arch9wavefront6targetE0EEEvT1_
		.amdhsa_group_segment_fixed_size 0
		.amdhsa_private_segment_fixed_size 0
		.amdhsa_kernarg_size 112
		.amdhsa_user_sgpr_count 6
		.amdhsa_user_sgpr_private_segment_buffer 1
		.amdhsa_user_sgpr_dispatch_ptr 0
		.amdhsa_user_sgpr_queue_ptr 0
		.amdhsa_user_sgpr_kernarg_segment_ptr 1
		.amdhsa_user_sgpr_dispatch_id 0
		.amdhsa_user_sgpr_flat_scratch_init 0
		.amdhsa_user_sgpr_private_segment_size 0
		.amdhsa_wavefront_size32 1
		.amdhsa_uses_dynamic_stack 0
		.amdhsa_system_sgpr_private_segment_wavefront_offset 0
		.amdhsa_system_sgpr_workgroup_id_x 1
		.amdhsa_system_sgpr_workgroup_id_y 0
		.amdhsa_system_sgpr_workgroup_id_z 0
		.amdhsa_system_sgpr_workgroup_info 0
		.amdhsa_system_vgpr_workitem_id 0
		.amdhsa_next_free_vgpr 1
		.amdhsa_next_free_sgpr 1
		.amdhsa_reserve_vcc 0
		.amdhsa_reserve_flat_scratch 0
		.amdhsa_float_round_mode_32 0
		.amdhsa_float_round_mode_16_64 0
		.amdhsa_float_denorm_mode_32 3
		.amdhsa_float_denorm_mode_16_64 3
		.amdhsa_dx10_clamp 1
		.amdhsa_ieee_mode 1
		.amdhsa_fp16_overflow 0
		.amdhsa_workgroup_processor_mode 1
		.amdhsa_memory_ordered 1
		.amdhsa_forward_progress 1
		.amdhsa_shared_vgpr_count 0
		.amdhsa_exception_fp_ieee_invalid_op 0
		.amdhsa_exception_fp_denorm_src 0
		.amdhsa_exception_fp_ieee_div_zero 0
		.amdhsa_exception_fp_ieee_overflow 0
		.amdhsa_exception_fp_ieee_underflow 0
		.amdhsa_exception_fp_ieee_inexact 0
		.amdhsa_exception_int_div_zero 0
	.end_amdhsa_kernel
	.section	.text._ZN7rocprim17ROCPRIM_400000_NS6detail17trampoline_kernelINS0_14default_configENS1_27scan_by_key_config_selectorIifEEZZNS1_16scan_by_key_implILNS1_25lookback_scan_determinismE0ELb1ES3_N6thrust23THRUST_200600_302600_NS6detail15normal_iteratorINS9_10device_ptrIiEEEENSB_INSC_IfEEEESG_fNS9_4plusIvEENS9_8equal_toIvEEfEE10hipError_tPvRmT2_T3_T4_T5_mT6_T7_P12ihipStream_tbENKUlT_T0_E_clISt17integral_constantIbLb0EES10_IbLb1EEEEDaSW_SX_EUlSW_E_NS1_11comp_targetILNS1_3genE9ELNS1_11target_archE1100ELNS1_3gpuE3ELNS1_3repE0EEENS1_30default_config_static_selectorELNS0_4arch9wavefront6targetE0EEEvT1_,"axG",@progbits,_ZN7rocprim17ROCPRIM_400000_NS6detail17trampoline_kernelINS0_14default_configENS1_27scan_by_key_config_selectorIifEEZZNS1_16scan_by_key_implILNS1_25lookback_scan_determinismE0ELb1ES3_N6thrust23THRUST_200600_302600_NS6detail15normal_iteratorINS9_10device_ptrIiEEEENSB_INSC_IfEEEESG_fNS9_4plusIvEENS9_8equal_toIvEEfEE10hipError_tPvRmT2_T3_T4_T5_mT6_T7_P12ihipStream_tbENKUlT_T0_E_clISt17integral_constantIbLb0EES10_IbLb1EEEEDaSW_SX_EUlSW_E_NS1_11comp_targetILNS1_3genE9ELNS1_11target_archE1100ELNS1_3gpuE3ELNS1_3repE0EEENS1_30default_config_static_selectorELNS0_4arch9wavefront6targetE0EEEvT1_,comdat
.Lfunc_end1461:
	.size	_ZN7rocprim17ROCPRIM_400000_NS6detail17trampoline_kernelINS0_14default_configENS1_27scan_by_key_config_selectorIifEEZZNS1_16scan_by_key_implILNS1_25lookback_scan_determinismE0ELb1ES3_N6thrust23THRUST_200600_302600_NS6detail15normal_iteratorINS9_10device_ptrIiEEEENSB_INSC_IfEEEESG_fNS9_4plusIvEENS9_8equal_toIvEEfEE10hipError_tPvRmT2_T3_T4_T5_mT6_T7_P12ihipStream_tbENKUlT_T0_E_clISt17integral_constantIbLb0EES10_IbLb1EEEEDaSW_SX_EUlSW_E_NS1_11comp_targetILNS1_3genE9ELNS1_11target_archE1100ELNS1_3gpuE3ELNS1_3repE0EEENS1_30default_config_static_selectorELNS0_4arch9wavefront6targetE0EEEvT1_, .Lfunc_end1461-_ZN7rocprim17ROCPRIM_400000_NS6detail17trampoline_kernelINS0_14default_configENS1_27scan_by_key_config_selectorIifEEZZNS1_16scan_by_key_implILNS1_25lookback_scan_determinismE0ELb1ES3_N6thrust23THRUST_200600_302600_NS6detail15normal_iteratorINS9_10device_ptrIiEEEENSB_INSC_IfEEEESG_fNS9_4plusIvEENS9_8equal_toIvEEfEE10hipError_tPvRmT2_T3_T4_T5_mT6_T7_P12ihipStream_tbENKUlT_T0_E_clISt17integral_constantIbLb0EES10_IbLb1EEEEDaSW_SX_EUlSW_E_NS1_11comp_targetILNS1_3genE9ELNS1_11target_archE1100ELNS1_3gpuE3ELNS1_3repE0EEENS1_30default_config_static_selectorELNS0_4arch9wavefront6targetE0EEEvT1_
                                        ; -- End function
	.set _ZN7rocprim17ROCPRIM_400000_NS6detail17trampoline_kernelINS0_14default_configENS1_27scan_by_key_config_selectorIifEEZZNS1_16scan_by_key_implILNS1_25lookback_scan_determinismE0ELb1ES3_N6thrust23THRUST_200600_302600_NS6detail15normal_iteratorINS9_10device_ptrIiEEEENSB_INSC_IfEEEESG_fNS9_4plusIvEENS9_8equal_toIvEEfEE10hipError_tPvRmT2_T3_T4_T5_mT6_T7_P12ihipStream_tbENKUlT_T0_E_clISt17integral_constantIbLb0EES10_IbLb1EEEEDaSW_SX_EUlSW_E_NS1_11comp_targetILNS1_3genE9ELNS1_11target_archE1100ELNS1_3gpuE3ELNS1_3repE0EEENS1_30default_config_static_selectorELNS0_4arch9wavefront6targetE0EEEvT1_.num_vgpr, 0
	.set _ZN7rocprim17ROCPRIM_400000_NS6detail17trampoline_kernelINS0_14default_configENS1_27scan_by_key_config_selectorIifEEZZNS1_16scan_by_key_implILNS1_25lookback_scan_determinismE0ELb1ES3_N6thrust23THRUST_200600_302600_NS6detail15normal_iteratorINS9_10device_ptrIiEEEENSB_INSC_IfEEEESG_fNS9_4plusIvEENS9_8equal_toIvEEfEE10hipError_tPvRmT2_T3_T4_T5_mT6_T7_P12ihipStream_tbENKUlT_T0_E_clISt17integral_constantIbLb0EES10_IbLb1EEEEDaSW_SX_EUlSW_E_NS1_11comp_targetILNS1_3genE9ELNS1_11target_archE1100ELNS1_3gpuE3ELNS1_3repE0EEENS1_30default_config_static_selectorELNS0_4arch9wavefront6targetE0EEEvT1_.num_agpr, 0
	.set _ZN7rocprim17ROCPRIM_400000_NS6detail17trampoline_kernelINS0_14default_configENS1_27scan_by_key_config_selectorIifEEZZNS1_16scan_by_key_implILNS1_25lookback_scan_determinismE0ELb1ES3_N6thrust23THRUST_200600_302600_NS6detail15normal_iteratorINS9_10device_ptrIiEEEENSB_INSC_IfEEEESG_fNS9_4plusIvEENS9_8equal_toIvEEfEE10hipError_tPvRmT2_T3_T4_T5_mT6_T7_P12ihipStream_tbENKUlT_T0_E_clISt17integral_constantIbLb0EES10_IbLb1EEEEDaSW_SX_EUlSW_E_NS1_11comp_targetILNS1_3genE9ELNS1_11target_archE1100ELNS1_3gpuE3ELNS1_3repE0EEENS1_30default_config_static_selectorELNS0_4arch9wavefront6targetE0EEEvT1_.numbered_sgpr, 0
	.set _ZN7rocprim17ROCPRIM_400000_NS6detail17trampoline_kernelINS0_14default_configENS1_27scan_by_key_config_selectorIifEEZZNS1_16scan_by_key_implILNS1_25lookback_scan_determinismE0ELb1ES3_N6thrust23THRUST_200600_302600_NS6detail15normal_iteratorINS9_10device_ptrIiEEEENSB_INSC_IfEEEESG_fNS9_4plusIvEENS9_8equal_toIvEEfEE10hipError_tPvRmT2_T3_T4_T5_mT6_T7_P12ihipStream_tbENKUlT_T0_E_clISt17integral_constantIbLb0EES10_IbLb1EEEEDaSW_SX_EUlSW_E_NS1_11comp_targetILNS1_3genE9ELNS1_11target_archE1100ELNS1_3gpuE3ELNS1_3repE0EEENS1_30default_config_static_selectorELNS0_4arch9wavefront6targetE0EEEvT1_.num_named_barrier, 0
	.set _ZN7rocprim17ROCPRIM_400000_NS6detail17trampoline_kernelINS0_14default_configENS1_27scan_by_key_config_selectorIifEEZZNS1_16scan_by_key_implILNS1_25lookback_scan_determinismE0ELb1ES3_N6thrust23THRUST_200600_302600_NS6detail15normal_iteratorINS9_10device_ptrIiEEEENSB_INSC_IfEEEESG_fNS9_4plusIvEENS9_8equal_toIvEEfEE10hipError_tPvRmT2_T3_T4_T5_mT6_T7_P12ihipStream_tbENKUlT_T0_E_clISt17integral_constantIbLb0EES10_IbLb1EEEEDaSW_SX_EUlSW_E_NS1_11comp_targetILNS1_3genE9ELNS1_11target_archE1100ELNS1_3gpuE3ELNS1_3repE0EEENS1_30default_config_static_selectorELNS0_4arch9wavefront6targetE0EEEvT1_.private_seg_size, 0
	.set _ZN7rocprim17ROCPRIM_400000_NS6detail17trampoline_kernelINS0_14default_configENS1_27scan_by_key_config_selectorIifEEZZNS1_16scan_by_key_implILNS1_25lookback_scan_determinismE0ELb1ES3_N6thrust23THRUST_200600_302600_NS6detail15normal_iteratorINS9_10device_ptrIiEEEENSB_INSC_IfEEEESG_fNS9_4plusIvEENS9_8equal_toIvEEfEE10hipError_tPvRmT2_T3_T4_T5_mT6_T7_P12ihipStream_tbENKUlT_T0_E_clISt17integral_constantIbLb0EES10_IbLb1EEEEDaSW_SX_EUlSW_E_NS1_11comp_targetILNS1_3genE9ELNS1_11target_archE1100ELNS1_3gpuE3ELNS1_3repE0EEENS1_30default_config_static_selectorELNS0_4arch9wavefront6targetE0EEEvT1_.uses_vcc, 0
	.set _ZN7rocprim17ROCPRIM_400000_NS6detail17trampoline_kernelINS0_14default_configENS1_27scan_by_key_config_selectorIifEEZZNS1_16scan_by_key_implILNS1_25lookback_scan_determinismE0ELb1ES3_N6thrust23THRUST_200600_302600_NS6detail15normal_iteratorINS9_10device_ptrIiEEEENSB_INSC_IfEEEESG_fNS9_4plusIvEENS9_8equal_toIvEEfEE10hipError_tPvRmT2_T3_T4_T5_mT6_T7_P12ihipStream_tbENKUlT_T0_E_clISt17integral_constantIbLb0EES10_IbLb1EEEEDaSW_SX_EUlSW_E_NS1_11comp_targetILNS1_3genE9ELNS1_11target_archE1100ELNS1_3gpuE3ELNS1_3repE0EEENS1_30default_config_static_selectorELNS0_4arch9wavefront6targetE0EEEvT1_.uses_flat_scratch, 0
	.set _ZN7rocprim17ROCPRIM_400000_NS6detail17trampoline_kernelINS0_14default_configENS1_27scan_by_key_config_selectorIifEEZZNS1_16scan_by_key_implILNS1_25lookback_scan_determinismE0ELb1ES3_N6thrust23THRUST_200600_302600_NS6detail15normal_iteratorINS9_10device_ptrIiEEEENSB_INSC_IfEEEESG_fNS9_4plusIvEENS9_8equal_toIvEEfEE10hipError_tPvRmT2_T3_T4_T5_mT6_T7_P12ihipStream_tbENKUlT_T0_E_clISt17integral_constantIbLb0EES10_IbLb1EEEEDaSW_SX_EUlSW_E_NS1_11comp_targetILNS1_3genE9ELNS1_11target_archE1100ELNS1_3gpuE3ELNS1_3repE0EEENS1_30default_config_static_selectorELNS0_4arch9wavefront6targetE0EEEvT1_.has_dyn_sized_stack, 0
	.set _ZN7rocprim17ROCPRIM_400000_NS6detail17trampoline_kernelINS0_14default_configENS1_27scan_by_key_config_selectorIifEEZZNS1_16scan_by_key_implILNS1_25lookback_scan_determinismE0ELb1ES3_N6thrust23THRUST_200600_302600_NS6detail15normal_iteratorINS9_10device_ptrIiEEEENSB_INSC_IfEEEESG_fNS9_4plusIvEENS9_8equal_toIvEEfEE10hipError_tPvRmT2_T3_T4_T5_mT6_T7_P12ihipStream_tbENKUlT_T0_E_clISt17integral_constantIbLb0EES10_IbLb1EEEEDaSW_SX_EUlSW_E_NS1_11comp_targetILNS1_3genE9ELNS1_11target_archE1100ELNS1_3gpuE3ELNS1_3repE0EEENS1_30default_config_static_selectorELNS0_4arch9wavefront6targetE0EEEvT1_.has_recursion, 0
	.set _ZN7rocprim17ROCPRIM_400000_NS6detail17trampoline_kernelINS0_14default_configENS1_27scan_by_key_config_selectorIifEEZZNS1_16scan_by_key_implILNS1_25lookback_scan_determinismE0ELb1ES3_N6thrust23THRUST_200600_302600_NS6detail15normal_iteratorINS9_10device_ptrIiEEEENSB_INSC_IfEEEESG_fNS9_4plusIvEENS9_8equal_toIvEEfEE10hipError_tPvRmT2_T3_T4_T5_mT6_T7_P12ihipStream_tbENKUlT_T0_E_clISt17integral_constantIbLb0EES10_IbLb1EEEEDaSW_SX_EUlSW_E_NS1_11comp_targetILNS1_3genE9ELNS1_11target_archE1100ELNS1_3gpuE3ELNS1_3repE0EEENS1_30default_config_static_selectorELNS0_4arch9wavefront6targetE0EEEvT1_.has_indirect_call, 0
	.section	.AMDGPU.csdata,"",@progbits
; Kernel info:
; codeLenInByte = 0
; TotalNumSgprs: 0
; NumVgprs: 0
; ScratchSize: 0
; MemoryBound: 0
; FloatMode: 240
; IeeeMode: 1
; LDSByteSize: 0 bytes/workgroup (compile time only)
; SGPRBlocks: 0
; VGPRBlocks: 0
; NumSGPRsForWavesPerEU: 1
; NumVGPRsForWavesPerEU: 1
; Occupancy: 16
; WaveLimiterHint : 0
; COMPUTE_PGM_RSRC2:SCRATCH_EN: 0
; COMPUTE_PGM_RSRC2:USER_SGPR: 6
; COMPUTE_PGM_RSRC2:TRAP_HANDLER: 0
; COMPUTE_PGM_RSRC2:TGID_X_EN: 1
; COMPUTE_PGM_RSRC2:TGID_Y_EN: 0
; COMPUTE_PGM_RSRC2:TGID_Z_EN: 0
; COMPUTE_PGM_RSRC2:TIDIG_COMP_CNT: 0
	.section	.text._ZN7rocprim17ROCPRIM_400000_NS6detail17trampoline_kernelINS0_14default_configENS1_27scan_by_key_config_selectorIifEEZZNS1_16scan_by_key_implILNS1_25lookback_scan_determinismE0ELb1ES3_N6thrust23THRUST_200600_302600_NS6detail15normal_iteratorINS9_10device_ptrIiEEEENSB_INSC_IfEEEESG_fNS9_4plusIvEENS9_8equal_toIvEEfEE10hipError_tPvRmT2_T3_T4_T5_mT6_T7_P12ihipStream_tbENKUlT_T0_E_clISt17integral_constantIbLb0EES10_IbLb1EEEEDaSW_SX_EUlSW_E_NS1_11comp_targetILNS1_3genE8ELNS1_11target_archE1030ELNS1_3gpuE2ELNS1_3repE0EEENS1_30default_config_static_selectorELNS0_4arch9wavefront6targetE0EEEvT1_,"axG",@progbits,_ZN7rocprim17ROCPRIM_400000_NS6detail17trampoline_kernelINS0_14default_configENS1_27scan_by_key_config_selectorIifEEZZNS1_16scan_by_key_implILNS1_25lookback_scan_determinismE0ELb1ES3_N6thrust23THRUST_200600_302600_NS6detail15normal_iteratorINS9_10device_ptrIiEEEENSB_INSC_IfEEEESG_fNS9_4plusIvEENS9_8equal_toIvEEfEE10hipError_tPvRmT2_T3_T4_T5_mT6_T7_P12ihipStream_tbENKUlT_T0_E_clISt17integral_constantIbLb0EES10_IbLb1EEEEDaSW_SX_EUlSW_E_NS1_11comp_targetILNS1_3genE8ELNS1_11target_archE1030ELNS1_3gpuE2ELNS1_3repE0EEENS1_30default_config_static_selectorELNS0_4arch9wavefront6targetE0EEEvT1_,comdat
	.protected	_ZN7rocprim17ROCPRIM_400000_NS6detail17trampoline_kernelINS0_14default_configENS1_27scan_by_key_config_selectorIifEEZZNS1_16scan_by_key_implILNS1_25lookback_scan_determinismE0ELb1ES3_N6thrust23THRUST_200600_302600_NS6detail15normal_iteratorINS9_10device_ptrIiEEEENSB_INSC_IfEEEESG_fNS9_4plusIvEENS9_8equal_toIvEEfEE10hipError_tPvRmT2_T3_T4_T5_mT6_T7_P12ihipStream_tbENKUlT_T0_E_clISt17integral_constantIbLb0EES10_IbLb1EEEEDaSW_SX_EUlSW_E_NS1_11comp_targetILNS1_3genE8ELNS1_11target_archE1030ELNS1_3gpuE2ELNS1_3repE0EEENS1_30default_config_static_selectorELNS0_4arch9wavefront6targetE0EEEvT1_ ; -- Begin function _ZN7rocprim17ROCPRIM_400000_NS6detail17trampoline_kernelINS0_14default_configENS1_27scan_by_key_config_selectorIifEEZZNS1_16scan_by_key_implILNS1_25lookback_scan_determinismE0ELb1ES3_N6thrust23THRUST_200600_302600_NS6detail15normal_iteratorINS9_10device_ptrIiEEEENSB_INSC_IfEEEESG_fNS9_4plusIvEENS9_8equal_toIvEEfEE10hipError_tPvRmT2_T3_T4_T5_mT6_T7_P12ihipStream_tbENKUlT_T0_E_clISt17integral_constantIbLb0EES10_IbLb1EEEEDaSW_SX_EUlSW_E_NS1_11comp_targetILNS1_3genE8ELNS1_11target_archE1030ELNS1_3gpuE2ELNS1_3repE0EEENS1_30default_config_static_selectorELNS0_4arch9wavefront6targetE0EEEvT1_
	.globl	_ZN7rocprim17ROCPRIM_400000_NS6detail17trampoline_kernelINS0_14default_configENS1_27scan_by_key_config_selectorIifEEZZNS1_16scan_by_key_implILNS1_25lookback_scan_determinismE0ELb1ES3_N6thrust23THRUST_200600_302600_NS6detail15normal_iteratorINS9_10device_ptrIiEEEENSB_INSC_IfEEEESG_fNS9_4plusIvEENS9_8equal_toIvEEfEE10hipError_tPvRmT2_T3_T4_T5_mT6_T7_P12ihipStream_tbENKUlT_T0_E_clISt17integral_constantIbLb0EES10_IbLb1EEEEDaSW_SX_EUlSW_E_NS1_11comp_targetILNS1_3genE8ELNS1_11target_archE1030ELNS1_3gpuE2ELNS1_3repE0EEENS1_30default_config_static_selectorELNS0_4arch9wavefront6targetE0EEEvT1_
	.p2align	8
	.type	_ZN7rocprim17ROCPRIM_400000_NS6detail17trampoline_kernelINS0_14default_configENS1_27scan_by_key_config_selectorIifEEZZNS1_16scan_by_key_implILNS1_25lookback_scan_determinismE0ELb1ES3_N6thrust23THRUST_200600_302600_NS6detail15normal_iteratorINS9_10device_ptrIiEEEENSB_INSC_IfEEEESG_fNS9_4plusIvEENS9_8equal_toIvEEfEE10hipError_tPvRmT2_T3_T4_T5_mT6_T7_P12ihipStream_tbENKUlT_T0_E_clISt17integral_constantIbLb0EES10_IbLb1EEEEDaSW_SX_EUlSW_E_NS1_11comp_targetILNS1_3genE8ELNS1_11target_archE1030ELNS1_3gpuE2ELNS1_3repE0EEENS1_30default_config_static_selectorELNS0_4arch9wavefront6targetE0EEEvT1_,@function
_ZN7rocprim17ROCPRIM_400000_NS6detail17trampoline_kernelINS0_14default_configENS1_27scan_by_key_config_selectorIifEEZZNS1_16scan_by_key_implILNS1_25lookback_scan_determinismE0ELb1ES3_N6thrust23THRUST_200600_302600_NS6detail15normal_iteratorINS9_10device_ptrIiEEEENSB_INSC_IfEEEESG_fNS9_4plusIvEENS9_8equal_toIvEEfEE10hipError_tPvRmT2_T3_T4_T5_mT6_T7_P12ihipStream_tbENKUlT_T0_E_clISt17integral_constantIbLb0EES10_IbLb1EEEEDaSW_SX_EUlSW_E_NS1_11comp_targetILNS1_3genE8ELNS1_11target_archE1030ELNS1_3gpuE2ELNS1_3repE0EEENS1_30default_config_static_selectorELNS0_4arch9wavefront6targetE0EEEvT1_: ; @_ZN7rocprim17ROCPRIM_400000_NS6detail17trampoline_kernelINS0_14default_configENS1_27scan_by_key_config_selectorIifEEZZNS1_16scan_by_key_implILNS1_25lookback_scan_determinismE0ELb1ES3_N6thrust23THRUST_200600_302600_NS6detail15normal_iteratorINS9_10device_ptrIiEEEENSB_INSC_IfEEEESG_fNS9_4plusIvEENS9_8equal_toIvEEfEE10hipError_tPvRmT2_T3_T4_T5_mT6_T7_P12ihipStream_tbENKUlT_T0_E_clISt17integral_constantIbLb0EES10_IbLb1EEEEDaSW_SX_EUlSW_E_NS1_11comp_targetILNS1_3genE8ELNS1_11target_archE1030ELNS1_3gpuE2ELNS1_3repE0EEENS1_30default_config_static_selectorELNS0_4arch9wavefront6targetE0EEEvT1_
; %bb.0:
	s_clause 0x2
	s_load_dword s22, s[4:5], 0x20
	s_load_dwordx4 s[16:19], s[4:5], 0x28
	s_load_dwordx2 s[20:21], s[4:5], 0x38
	v_cmp_eq_u32_e64 s0, 0, v0
	s_and_saveexec_b32 s1, s0
	s_cbranch_execz .LBB1462_4
; %bb.1:
	s_mov_b32 s3, exec_lo
	s_mov_b32 s2, exec_lo
	v_mbcnt_lo_u32_b32 v1, s3, 0
                                        ; implicit-def: $vgpr2
	v_cmpx_eq_u32_e32 0, v1
	s_cbranch_execz .LBB1462_3
; %bb.2:
	s_load_dwordx2 s[6:7], s[4:5], 0x68
	s_bcnt1_i32_b32 s3, s3
	v_mov_b32_e32 v2, 0
	v_mov_b32_e32 v3, s3
	s_waitcnt lgkmcnt(0)
	global_atomic_add v2, v2, v3, s[6:7] glc
.LBB1462_3:
	s_or_b32 exec_lo, exec_lo, s2
	s_waitcnt vmcnt(0)
	v_readfirstlane_b32 s2, v2
	v_mov_b32_e32 v2, 0
	v_add_nc_u32_e32 v1, s2, v1
	ds_write_b32 v2, v1
.LBB1462_4:
	s_or_b32 exec_lo, exec_lo, s1
	v_mov_b32_e32 v2, 0
	s_clause 0x2
	s_load_dwordx8 s[8:15], s[4:5], 0x0
	s_load_dword s1, s[4:5], 0x40
	s_load_dwordx4 s[4:7], s[4:5], 0x48
	s_waitcnt lgkmcnt(0)
	s_barrier
	buffer_gl0_inv
	ds_read_b32 v5, v2
	s_waitcnt lgkmcnt(0)
	s_barrier
	buffer_gl0_inv
	s_barrier
	buffer_gl0_inv
	s_lshl_b64 s[10:11], s[10:11], 2
	s_mul_i32 s2, s21, s1
	s_add_u32 s19, s8, s10
	s_mul_hi_u32 s3, s20, s1
	s_mul_i32 s1, s20, s1
	s_addc_u32 s9, s9, s11
	v_mul_lo_u32 v1, 0x300, v5
	s_add_u32 s12, s12, s10
	s_addc_u32 s13, s13, s11
	s_add_i32 s3, s3, s2
	v_add_co_u32 v3, s1, s1, v5
	v_add_co_ci_u32_e64 v4, null, s3, 0, s1
	v_lshlrev_b64 v[9:10], 2, v[1:2]
	s_add_u32 s2, s4, -1
	s_addc_u32 s3, s5, -1
	v_readfirstlane_b32 s8, v5
	v_cmp_le_u64_e64 s1, s[2:3], v[3:4]
	s_mul_i32 s5, s2, 0xfffffd00
	v_add_co_u32 v4, vcc_lo, s19, v9
	v_add_co_ci_u32_e64 v5, null, s9, v10, vcc_lo
	v_add_co_u32 v8, vcc_lo, s12, v9
	v_add_co_ci_u32_e64 v11, null, s13, v10, vcc_lo
	s_and_b32 vcc_lo, exec_lo, s1
	s_cbranch_vccz .LBB1462_24
; %bb.5:
	flat_load_dword v1, v[4:5]
	s_add_i32 s9, s5, s18
	v_cmp_gt_u32_e32 vcc_lo, s9, v0
	s_waitcnt vmcnt(0) lgkmcnt(0)
	v_mov_b32_e32 v2, v1
	s_and_saveexec_b32 s3, vcc_lo
	s_cbranch_execz .LBB1462_7
; %bb.6:
	v_lshlrev_b32_e32 v2, 2, v0
	v_add_co_u32 v2, s2, v4, v2
	v_add_co_ci_u32_e64 v3, null, 0, v5, s2
	flat_load_dword v2, v[2:3]
.LBB1462_7:
	s_or_b32 exec_lo, exec_lo, s3
	v_or_b32_e32 v3, 0x100, v0
	v_cmp_gt_u32_e64 s2, s9, v3
	v_mov_b32_e32 v3, v1
	s_and_saveexec_b32 s4, s2
	s_cbranch_execz .LBB1462_9
; %bb.8:
	v_lshlrev_b32_e32 v3, 2, v0
	v_add_co_u32 v6, s3, v4, v3
	v_add_co_ci_u32_e64 v7, null, 0, v5, s3
	flat_load_dword v3, v[6:7] offset:1024
.LBB1462_9:
	s_or_b32 exec_lo, exec_lo, s4
	v_or_b32_e32 v6, 0x200, v0
	v_cmp_gt_u32_e64 s3, s9, v6
	v_lshlrev_b32_e32 v15, 2, v6
	s_and_saveexec_b32 s12, s3
	s_cbranch_execz .LBB1462_11
; %bb.10:
	v_add_co_u32 v6, s4, v4, v15
	v_add_co_ci_u32_e64 v7, null, 0, v5, s4
	flat_load_dword v1, v[6:7]
.LBB1462_11:
	s_or_b32 exec_lo, exec_lo, s12
	v_lshlrev_b32_e32 v16, 2, v0
	s_mov_b32 s12, exec_lo
	s_waitcnt vmcnt(0) lgkmcnt(0)
	ds_write2st64_b32 v16, v2, v3 offset1:4
	ds_write_b32 v16, v1 offset:2048
	s_waitcnt lgkmcnt(0)
	s_barrier
	buffer_gl0_inv
	flat_load_dword v12, v[4:5]
	v_lshlrev_b32_e32 v1, 3, v0
	v_add_nc_u32_e32 v13, v16, v1
	ds_read_b32 v14, v13
	ds_read2_b32 v[6:7], v13 offset0:1 offset1:2
	s_waitcnt lgkmcnt(1)
	ds_write_b32 v16, v14 offset:4096
	s_waitcnt vmcnt(0) lgkmcnt(0)
	s_barrier
	buffer_gl0_inv
	v_cmpx_ne_u32_e32 0xff, v0
; %bb.12:
	v_sub_nc_u32_e32 v1, 0, v1
	v_add_nc_u32_e32 v1, v13, v1
	ds_read_b32 v12, v1 offset:4100
; %bb.13:
	s_or_b32 exec_lo, exec_lo, s12
	v_mov_b32_e32 v1, 0
	s_waitcnt lgkmcnt(0)
	s_barrier
	buffer_gl0_inv
	v_mov_b32_e32 v2, v1
	v_mov_b32_e32 v3, v1
	s_and_saveexec_b32 s4, vcc_lo
	s_cbranch_execnz .LBB1462_132
; %bb.14:
	s_or_b32 exec_lo, exec_lo, s4
	s_and_saveexec_b32 s4, s2
	s_cbranch_execnz .LBB1462_133
.LBB1462_15:
	s_or_b32 exec_lo, exec_lo, s4
	v_mul_u32_u24_e32 v22, 3, v0
	s_and_saveexec_b32 s2, s3
	s_cbranch_execz .LBB1462_17
.LBB1462_16:
	v_add_co_u32 v17, vcc_lo, v8, v15
	v_add_co_ci_u32_e64 v18, null, 0, v11, vcc_lo
	flat_load_dword v3, v[17:18]
.LBB1462_17:
	s_or_b32 exec_lo, exec_lo, s2
	s_waitcnt vmcnt(0) lgkmcnt(0)
	ds_write2st64_b32 v16, v1, v2 offset1:4
	ds_write_b32 v16, v3 offset:2048
	v_mov_b32_e32 v1, 0
	v_mov_b32_e32 v16, 0
	;; [unrolled: 1-line block ×8, first 2 shown]
	s_mov_b32 s12, 0
	s_mov_b32 s2, 0
	s_mov_b32 s13, exec_lo
	s_waitcnt lgkmcnt(0)
	s_barrier
	buffer_gl0_inv
                                        ; implicit-def: $sgpr4
	v_cmpx_gt_u32_e64 s9, v22
	s_cbranch_execz .LBB1462_23
; %bb.18:
	ds_read_b32 v15, v13
	v_add_nc_u32_e32 v1, 1, v22
	v_mov_b32_e32 v3, 0
	v_mov_b32_e32 v20, 0
	s_mov_b32 s3, 0
	v_cmp_ne_u32_e32 vcc_lo, v14, v6
	v_cmp_gt_u32_e64 s2, s9, v1
	v_mov_b32_e32 v1, 0
                                        ; implicit-def: $sgpr4
	s_and_saveexec_b32 s19, s2
	s_cbranch_execz .LBB1462_22
; %bb.19:
	ds_read2_b32 v[1:2], v13 offset0:1 offset1:2
	v_add_nc_u32_e32 v3, 2, v22
	v_cmp_ne_u32_e64 s2, v6, v7
	v_mov_b32_e32 v20, 0
                                        ; implicit-def: $sgpr4
	v_cmp_gt_u32_e64 s3, s9, v3
	s_mov_b32 s9, 0
	s_and_saveexec_b32 s23, s3
	s_xor_b32 s3, exec_lo, s23
	s_cbranch_execz .LBB1462_21
; %bb.20:
	v_cmp_ne_u32_e64 s4, v7, v12
	s_mov_b32 s9, exec_lo
	s_waitcnt lgkmcnt(0)
	v_cndmask_b32_e64 v20, v2, s22, s4
.LBB1462_21:
	s_or_b32 exec_lo, exec_lo, s3
	v_cndmask_b32_e64 v3, 0, 1, s2
	s_waitcnt lgkmcnt(0)
	v_cndmask_b32_e64 v1, v1, s22, s2
	s_and_b32 s3, s9, exec_lo
.LBB1462_22:
	s_or_b32 exec_lo, exec_lo, s19
	s_waitcnt lgkmcnt(0)
	v_cndmask_b32_e64 v19, v15, s22, vcc_lo
	v_cndmask_b32_e64 v16, 0, 1, vcc_lo
	v_mov_b32_e32 v17, v1
	v_mov_b32_e32 v21, v3
	s_and_b32 s2, s3, exec_lo
	v_mov_b32_e32 v18, v19
.LBB1462_23:
	s_or_b32 exec_lo, exec_lo, s13
	v_lshlrev_b32_e32 v14, 2, v0
	v_lshlrev_b32_e32 v15, 3, v0
	s_and_b32 vcc_lo, exec_lo, s12
	s_cbranch_vccnz .LBB1462_25
	s_branch .LBB1462_28
.LBB1462_24:
	s_mov_b32 s2, 0
                                        ; implicit-def: $sgpr4
                                        ; implicit-def: $vgpr16
                                        ; implicit-def: $vgpr1
                                        ; implicit-def: $vgpr3
                                        ; implicit-def: $vgpr19
                                        ; implicit-def: $vgpr20
                                        ; implicit-def: $vgpr17
                                        ; implicit-def: $vgpr21
                                        ; implicit-def: $vgpr18
	v_lshlrev_b32_e32 v14, 2, v0
	v_lshlrev_b32_e32 v15, 3, v0
	s_cbranch_execz .LBB1462_28
.LBB1462_25:
	v_add_co_u32 v1, vcc_lo, v4, v14
	v_add_co_ci_u32_e64 v2, null, 0, v5, vcc_lo
	s_mov_b32 s2, exec_lo
	v_add_co_u32 v6, vcc_lo, 0x800, v1
	v_add_co_ci_u32_e64 v7, null, 0, v2, vcc_lo
	s_clause 0x2
	flat_load_dword v3, v[1:2]
	flat_load_dword v12, v[1:2] offset:1024
	flat_load_dword v6, v[6:7]
	v_add_co_u32 v1, vcc_lo, 0x800, v4
	v_add_co_ci_u32_e64 v2, null, 0, v5, vcc_lo
	v_add_nc_u32_e32 v5, v14, v15
	s_waitcnt vmcnt(1) lgkmcnt(1)
	ds_write2st64_b32 v14, v3, v12 offset1:4
	s_waitcnt vmcnt(0) lgkmcnt(1)
	ds_write_b32 v14, v6 offset:2048
	s_waitcnt lgkmcnt(0)
	s_barrier
	buffer_gl0_inv
	flat_load_dword v4, v[1:2] offset:1024
	ds_read_b32 v3, v5
	ds_read2_b32 v[1:2], v5 offset0:1 offset1:2
	s_waitcnt lgkmcnt(1)
	ds_write_b32 v14, v3 offset:4096
	s_waitcnt vmcnt(0) lgkmcnt(0)
	s_barrier
	buffer_gl0_inv
	v_cmpx_ne_u32_e32 0xff, v0
; %bb.26:
	v_sub_nc_u32_e32 v4, 0, v15
	v_add_nc_u32_e32 v4, v5, v4
	ds_read_b32 v4, v4 offset:4100
; %bb.27:
	s_or_b32 exec_lo, exec_lo, s2
	v_add_co_u32 v6, vcc_lo, v8, v14
	v_add_co_ci_u32_e64 v7, null, 0, v11, vcc_lo
	s_waitcnt lgkmcnt(0)
	v_add_co_u32 v11, vcc_lo, 0x800, v6
	v_add_co_ci_u32_e64 v12, null, 0, v7, vcc_lo
	s_barrier
	buffer_gl0_inv
	s_clause 0x2
	flat_load_dword v8, v[6:7]
	flat_load_dword v6, v[6:7] offset:1024
	flat_load_dword v7, v[11:12]
	v_cmp_ne_u32_e32 vcc_lo, v1, v2
	v_cmp_ne_u32_e64 s2, v3, v1
	v_cmp_ne_u32_e64 s4, v2, v4
	s_waitcnt vmcnt(1) lgkmcnt(1)
	ds_write2st64_b32 v14, v8, v6 offset1:4
	s_waitcnt vmcnt(0) lgkmcnt(1)
	ds_write_b32 v14, v7 offset:2048
	s_waitcnt lgkmcnt(0)
	s_barrier
	buffer_gl0_inv
	ds_read2_b32 v[6:7], v5 offset1:1
	ds_read_b32 v5, v5 offset:8
	v_cndmask_b32_e64 v3, 0, 1, vcc_lo
	v_cndmask_b32_e64 v16, 0, 1, s2
	v_mov_b32_e32 v21, v3
	s_waitcnt lgkmcnt(1)
	v_cndmask_b32_e64 v1, v7, s22, vcc_lo
	v_cndmask_b32_e64 v19, v6, s22, s2
	s_waitcnt lgkmcnt(0)
	v_cndmask_b32_e64 v20, v5, s22, s4
	s_mov_b32 s2, -1
	v_mov_b32_e32 v17, v1
	v_mov_b32_e32 v18, v19
.LBB1462_28:
	v_mov_b32_e32 v22, 0
	s_and_saveexec_b32 s3, s2
; %bb.29:
	v_cndmask_b32_e64 v22, 0, 1, s4
	v_mov_b32_e32 v18, v19
	v_mov_b32_e32 v21, v3
	;; [unrolled: 1-line block ×3, first 2 shown]
; %bb.30:
	s_or_b32 exec_lo, exec_lo, s3
	v_add_f32_e32 v24, v18, v17
	v_or_b32_e32 v23, v22, v21
	v_mbcnt_lo_u32_b32 v19, -1, 0
	s_cmp_lg_u32 s8, 0
	v_cmp_eq_u16_e32 vcc_lo, 0, v22
	s_barrier
	buffer_gl0_inv
	s_cbranch_scc0 .LBB1462_84
; %bb.31:
	v_mov_b32_e32 v2, 0
	v_cmp_eq_u16_sdwa s2, v21, v2 src0_sel:BYTE_0 src1_sel:DWORD
	v_cmp_eq_u16_sdwa s3, v23, v2 src0_sel:BYTE_0 src1_sel:DWORD
	v_cndmask_b32_e64 v1, v17, v24, s2
	v_cndmask_b32_e64 v5, 1, v16, s3
	s_mov_b32 s3, exec_lo
	v_add_f32_e32 v1, v1, v20
	v_and_b32_e32 v4, 0xff, v5
	v_cndmask_b32_e32 v3, v20, v1, vcc_lo
	v_and_b32_e32 v1, 15, v19
	v_mov_b32_dpp v6, v4 row_shr:1 row_mask:0xf bank_mask:0xf
	v_mov_b32_dpp v7, v3 row_shr:1 row_mask:0xf bank_mask:0xf
	v_cmpx_ne_u32_e32 0, v1
	s_cbranch_execz .LBB1462_33
; %bb.32:
	v_add_f32_e32 v4, v3, v7
	v_and_b32_e32 v7, 1, v5
	v_cmp_eq_u16_sdwa vcc_lo, v5, v2 src0_sel:BYTE_0 src1_sel:DWORD
	v_and_b32_e32 v6, 1, v6
	v_cndmask_b32_e32 v3, v3, v4, vcc_lo
	v_cmp_eq_u32_e32 vcc_lo, 1, v7
	v_cndmask_b32_e64 v4, v6, 1, vcc_lo
.LBB1462_33:
	s_or_b32 exec_lo, exec_lo, s3
	v_mov_b32_dpp v5, v3 row_shr:2 row_mask:0xf bank_mask:0xf
	v_mov_b32_dpp v2, v4 row_shr:2 row_mask:0xf bank_mask:0xf
	s_mov_b32 s3, exec_lo
	v_cmpx_lt_u32_e32 1, v1
	s_cbranch_execz .LBB1462_35
; %bb.34:
	v_add_f32_e32 v5, v3, v5
	v_and_b32_e32 v6, 1, v4
	v_cmp_eq_u32_e32 vcc_lo, 0, v4
	v_and_b32_e32 v2, 1, v2
	v_cndmask_b32_e32 v3, v3, v5, vcc_lo
	v_cmp_eq_u32_e32 vcc_lo, 1, v6
	v_cndmask_b32_e64 v4, v2, 1, vcc_lo
.LBB1462_35:
	s_or_b32 exec_lo, exec_lo, s3
	v_mov_b32_dpp v5, v3 row_shr:4 row_mask:0xf bank_mask:0xf
	v_mov_b32_dpp v2, v4 row_shr:4 row_mask:0xf bank_mask:0xf
	s_mov_b32 s3, exec_lo
	v_cmpx_lt_u32_e32 3, v1
	s_cbranch_execz .LBB1462_37
; %bb.36:
	v_add_f32_e32 v5, v3, v5
	v_and_b32_e32 v6, 1, v4
	v_cmp_eq_u32_e32 vcc_lo, 0, v4
	v_and_b32_e32 v2, 1, v2
	v_cndmask_b32_e32 v3, v3, v5, vcc_lo
	v_cmp_eq_u32_e32 vcc_lo, 1, v6
	v_cndmask_b32_e64 v4, v2, 1, vcc_lo
.LBB1462_37:
	;; [unrolled: 15-line block ×3, first 2 shown]
	s_or_b32 exec_lo, exec_lo, s3
	ds_swizzle_b32 v2, v3 offset:swizzle(BROADCAST,32,15)
	ds_swizzle_b32 v1, v4 offset:swizzle(BROADCAST,32,15)
	v_and_b32_e32 v5, 16, v19
	s_mov_b32 s3, exec_lo
	v_cmpx_ne_u32_e32 0, v5
	s_cbranch_execz .LBB1462_41
; %bb.40:
	s_waitcnt lgkmcnt(1)
	v_add_f32_e32 v2, v3, v2
	v_and_b32_e32 v5, 1, v4
	v_cmp_eq_u32_e32 vcc_lo, 0, v4
	s_waitcnt lgkmcnt(0)
	v_and_b32_e32 v1, 1, v1
	v_cndmask_b32_e32 v3, v3, v2, vcc_lo
	v_cmp_eq_u32_e32 vcc_lo, 1, v5
	v_cndmask_b32_e64 v4, v1, 1, vcc_lo
.LBB1462_41:
	s_or_b32 exec_lo, exec_lo, s3
	s_waitcnt lgkmcnt(1)
	v_lshrrev_b32_e32 v2, 5, v0
	s_waitcnt lgkmcnt(0)
	v_or_b32_e32 v1, 31, v0
	s_mov_b32 s3, exec_lo
	v_lshlrev_b32_e32 v5, 3, v2
	v_cmpx_eq_u32_e64 v0, v1
	s_cbranch_execz .LBB1462_43
; %bb.42:
	ds_write_b32 v5, v3
	ds_write_b8 v5, v4 offset:4
.LBB1462_43:
	s_or_b32 exec_lo, exec_lo, s3
	s_mov_b32 s4, exec_lo
	s_waitcnt lgkmcnt(0)
	s_barrier
	buffer_gl0_inv
	v_cmpx_gt_u32_e32 8, v0
	s_cbranch_execz .LBB1462_49
; %bb.44:
	ds_read_b64 v[1:2], v15
	v_and_b32_e32 v6, 7, v19
	s_mov_b32 s3, exec_lo
	s_waitcnt lgkmcnt(0)
	v_mov_b32_dpp v8, v1 row_shr:1 row_mask:0xf bank_mask:0xf
	v_mov_b32_dpp v11, v2 row_shr:1 row_mask:0xf bank_mask:0xf
	v_mov_b32_e32 v7, v2
	v_cmpx_ne_u32_e32 0, v6
	s_cbranch_execz .LBB1462_46
; %bb.45:
	v_and_b32_e32 v7, 1, v2
	v_and_b32_e32 v11, 1, v11
	v_mov_b32_e32 v12, 0
	v_add_f32_e32 v8, v1, v8
	v_cmp_eq_u32_e32 vcc_lo, 1, v7
	v_cndmask_b32_e64 v7, v11, 1, vcc_lo
	v_cmp_eq_u16_sdwa vcc_lo, v2, v12 src0_sel:BYTE_0 src1_sel:DWORD
	v_and_or_b32 v2, 0xffffff00, v2, v7
	v_cndmask_b32_e32 v1, v1, v8, vcc_lo
.LBB1462_46:
	s_or_b32 exec_lo, exec_lo, s3
	v_mov_b32_dpp v8, v1 row_shr:2 row_mask:0xf bank_mask:0xf
	v_mov_b32_dpp v11, v2 row_shr:2 row_mask:0xf bank_mask:0xf
	s_mov_b32 s9, exec_lo
	v_cmpx_lt_u32_e32 1, v6
	s_cbranch_execz .LBB1462_48
; %bb.47:
	v_and_b32_e32 v13, 1, v7
	v_mov_b32_e32 v12, 0
	v_and_b32_e32 v11, 1, v11
	v_add_f32_e32 v8, v1, v8
	v_cmp_eq_u32_e64 s3, 1, v13
	v_cmp_eq_u16_sdwa vcc_lo, v7, v12 src0_sel:BYTE_0 src1_sel:DWORD
	v_cndmask_b32_e64 v7, v11, 1, s3
	v_cndmask_b32_e32 v1, v1, v8, vcc_lo
	v_and_or_b32 v2, 0xffffff00, v2, v7
.LBB1462_48:
	s_or_b32 exec_lo, exec_lo, s9
	v_mov_b32_dpp v8, v2 row_shr:4 row_mask:0xf bank_mask:0xf
	v_and_b32_e32 v12, 1, v7
	v_mov_b32_e32 v11, 0
	v_mov_b32_dpp v13, v1 row_shr:4 row_mask:0xf bank_mask:0xf
	v_and_b32_e32 v8, 1, v8
	v_cmp_eq_u32_e32 vcc_lo, 1, v12
	v_cmp_eq_u16_sdwa s3, v7, v11 src0_sel:BYTE_0 src1_sel:DWORD
	v_cndmask_b32_e64 v7, v8, 1, vcc_lo
	v_cmp_lt_u32_e32 vcc_lo, 3, v6
	v_add_f32_e32 v6, v1, v13
	v_cndmask_b32_e32 v2, v2, v7, vcc_lo
	s_and_b32 vcc_lo, vcc_lo, s3
	v_cndmask_b32_e32 v1, v1, v6, vcc_lo
	ds_write_b32 v15, v1
	ds_write_b8 v15, v2 offset:4
.LBB1462_49:
	s_or_b32 exec_lo, exec_lo, s4
	v_mov_b32_e32 v26, 0
	v_mov_b32_e32 v25, 0
	s_mov_b32 s4, exec_lo
	v_cmp_gt_u32_e32 vcc_lo, 32, v0
	s_waitcnt lgkmcnt(0)
	s_barrier
	buffer_gl0_inv
	v_cmpx_lt_u32_e32 31, v0
	s_cbranch_execz .LBB1462_51
; %bb.50:
	v_add_nc_u32_e32 v1, -8, v5
	v_and_b32_e32 v2, 1, v4
	v_cmp_eq_u32_e64 s3, 0, v4
	ds_read_b32 v25, v1
	v_add_nc_u32_e32 v1, -4, v5
	ds_read_u8 v26, v1
	s_waitcnt lgkmcnt(1)
	v_add_f32_e32 v1, v3, v25
	v_cndmask_b32_e64 v3, v3, v1, s3
	v_cmp_eq_u32_e64 s3, 1, v2
	s_waitcnt lgkmcnt(0)
	v_cndmask_b32_e64 v4, v26, 1, s3
.LBB1462_51:
	s_or_b32 exec_lo, exec_lo, s4
	v_sub_co_u32 v1, s3, v19, 1
	v_cmp_gt_i32_e64 s4, 0, v1
	v_cndmask_b32_e64 v1, v1, v19, s4
	v_lshlrev_b32_e32 v1, 2, v1
	ds_bpermute_b32 v27, v1, v3
	ds_bpermute_b32 v28, v1, v4
	s_and_saveexec_b32 s9, vcc_lo
	s_cbranch_execz .LBB1462_89
; %bb.52:
	v_mov_b32_e32 v4, 0
	ds_read_b64 v[1:2], v4 offset:56
	s_and_saveexec_b32 s4, s3
	s_cbranch_execz .LBB1462_54
; %bb.53:
	s_add_i32 s12, s8, 32
	s_mov_b32 s13, 0
	v_mov_b32_e32 v3, 1
	s_lshl_b64 s[12:13], s[12:13], 4
	s_add_u32 s12, s16, s12
	s_addc_u32 s13, s17, s13
	v_mov_b32_e32 v5, s12
	v_mov_b32_e32 v6, s13
	s_waitcnt lgkmcnt(0)
	;;#ASMSTART
	global_store_dwordx4 v[5:6], v[1:4] off	
s_waitcnt vmcnt(0)
	;;#ASMEND
.LBB1462_54:
	s_or_b32 exec_lo, exec_lo, s4
	v_xad_u32 v11, v19, -1, s8
	s_mov_b32 s12, 0
	v_add_nc_u32_e32 v3, 32, v11
	v_lshlrev_b64 v[5:6], 4, v[3:4]
	v_add_co_u32 v12, vcc_lo, s16, v5
	v_add_co_ci_u32_e64 v13, null, s17, v6, vcc_lo
	;;#ASMSTART
	global_load_dwordx4 v[5:8], v[12:13] off glc dlc	
s_waitcnt vmcnt(0)
	;;#ASMEND
	v_cmp_eq_u16_sdwa s13, v7, v4 src0_sel:BYTE_0 src1_sel:DWORD
	s_and_saveexec_b32 s4, s13
	s_cbranch_execz .LBB1462_58
; %bb.55:
	v_mov_b32_e32 v3, 0
.LBB1462_56:                            ; =>This Inner Loop Header: Depth=1
	;;#ASMSTART
	global_load_dwordx4 v[5:8], v[12:13] off glc dlc	
s_waitcnt vmcnt(0)
	;;#ASMEND
	v_cmp_ne_u16_sdwa s13, v7, v3 src0_sel:BYTE_0 src1_sel:DWORD
	s_or_b32 s12, s13, s12
	s_andn2_b32 exec_lo, exec_lo, s12
	s_cbranch_execnz .LBB1462_56
; %bb.57:
	s_or_b32 exec_lo, exec_lo, s12
.LBB1462_58:
	s_or_b32 exec_lo, exec_lo, s4
	v_cmp_ne_u32_e32 vcc_lo, 31, v19
	v_mov_b32_e32 v8, 2
	v_and_b32_e32 v4, 0xff, v6
	v_lshlrev_b32_e64 v29, v19, -1
	s_mov_b32 s12, exec_lo
	v_add_co_ci_u32_e64 v3, null, 0, v19, vcc_lo
	v_cmp_eq_u16_sdwa s4, v7, v8 src0_sel:BYTE_0 src1_sel:DWORD
	v_lshlrev_b32_e32 v13, 2, v3
	v_and_or_b32 v3, s4, v29, 0x80000000
	ds_bpermute_b32 v8, v13, v5
	ds_bpermute_b32 v12, v13, v4
	v_ffbl_b32_e32 v3, v3
	v_cmpx_lt_u32_e64 v19, v3
	s_cbranch_execz .LBB1462_60
; %bb.59:
	v_and_b32_e32 v30, 1, v6
	v_mov_b32_e32 v4, 0
	s_waitcnt lgkmcnt(0)
	v_and_b32_e32 v12, 1, v12
	v_add_f32_e32 v8, v5, v8
	v_cmp_eq_u32_e64 s4, 1, v30
	v_cmp_eq_u16_sdwa vcc_lo, v6, v4 src0_sel:BYTE_0 src1_sel:DWORD
	v_cndmask_b32_e64 v6, v12, 1, s4
	v_cndmask_b32_e32 v5, v5, v8, vcc_lo
	v_and_b32_e32 v4, 0xffff, v6
.LBB1462_60:
	s_or_b32 exec_lo, exec_lo, s12
	v_cmp_gt_u32_e32 vcc_lo, 30, v19
	v_add_nc_u32_e32 v31, 2, v19
	s_mov_b32 s12, exec_lo
	s_waitcnt lgkmcnt(1)
	v_cndmask_b32_e64 v8, 0, 2, vcc_lo
	v_add_lshl_u32 v30, v8, v19, 2
	ds_bpermute_b32 v8, v30, v5
	s_waitcnt lgkmcnt(1)
	ds_bpermute_b32 v12, v30, v4
	v_cmpx_le_u32_e64 v31, v3
	s_cbranch_execz .LBB1462_62
; %bb.61:
	v_and_b32_e32 v32, 1, v6
	v_mov_b32_e32 v4, 0
	s_waitcnt lgkmcnt(0)
	v_and_b32_e32 v12, 1, v12
	v_add_f32_e32 v8, v5, v8
	v_cmp_eq_u32_e64 s4, 1, v32
	v_cmp_eq_u16_sdwa vcc_lo, v6, v4 src0_sel:BYTE_0 src1_sel:DWORD
	v_cndmask_b32_e64 v6, v12, 1, s4
	v_cndmask_b32_e32 v5, v5, v8, vcc_lo
	v_and_b32_e32 v4, 0xffff, v6
.LBB1462_62:
	s_or_b32 exec_lo, exec_lo, s12
	v_cmp_gt_u32_e32 vcc_lo, 28, v19
	v_add_nc_u32_e32 v33, 4, v19
	s_mov_b32 s12, exec_lo
	s_waitcnt lgkmcnt(1)
	v_cndmask_b32_e64 v8, 0, 4, vcc_lo
	v_add_lshl_u32 v32, v8, v19, 2
	ds_bpermute_b32 v8, v32, v5
	s_waitcnt lgkmcnt(1)
	ds_bpermute_b32 v12, v32, v4
	v_cmpx_le_u32_e64 v33, v3
	;; [unrolled: 24-line block ×3, first 2 shown]
	s_cbranch_execz .LBB1462_66
; %bb.65:
	v_and_b32_e32 v36, 1, v6
	v_mov_b32_e32 v4, 0
	s_waitcnt lgkmcnt(0)
	v_and_b32_e32 v12, 1, v12
	v_add_f32_e32 v8, v5, v8
	v_cmp_eq_u32_e64 s4, 1, v36
	v_cmp_eq_u16_sdwa vcc_lo, v6, v4 src0_sel:BYTE_0 src1_sel:DWORD
	v_cndmask_b32_e64 v6, v12, 1, s4
	v_cndmask_b32_e32 v5, v5, v8, vcc_lo
	v_and_b32_e32 v4, 0xffff, v6
.LBB1462_66:
	s_or_b32 exec_lo, exec_lo, s12
	v_lshl_or_b32 v38, v19, 2, 64
	v_add_nc_u32_e32 v39, 16, v19
	s_mov_b32 s4, exec_lo
	s_waitcnt lgkmcnt(1)
	ds_bpermute_b32 v8, v38, v5
	ds_bpermute_b32 v4, v38, v4
	v_cmpx_le_u32_e64 v39, v3
	s_cbranch_execz .LBB1462_68
; %bb.67:
	v_mov_b32_e32 v3, 0
	s_waitcnt lgkmcnt(1)
	v_add_f32_e32 v8, v5, v8
	v_and_b32_e32 v12, 1, v6
	s_waitcnt lgkmcnt(0)
	v_and_b32_e32 v4, 1, v4
	v_cmp_eq_u16_sdwa vcc_lo, v6, v3 src0_sel:BYTE_0 src1_sel:DWORD
	v_cndmask_b32_e32 v5, v5, v8, vcc_lo
	v_cmp_eq_u32_e32 vcc_lo, 1, v12
	v_cndmask_b32_e64 v6, v4, 1, vcc_lo
.LBB1462_68:
	s_or_b32 exec_lo, exec_lo, s4
	s_waitcnt lgkmcnt(2)
	v_mov_b32_e32 v12, 0
	v_mov_b32_e32 v40, 2
	s_branch .LBB1462_71
.LBB1462_69:                            ;   in Loop: Header=BB1462_71 Depth=1
	s_or_b32 exec_lo, exec_lo, s12
	s_waitcnt lgkmcnt(1)
	ds_bpermute_b32 v8, v38, v5
	ds_bpermute_b32 v4, v38, v4
	s_waitcnt lgkmcnt(2)
	v_and_b32_e32 v41, 1, v6
	v_subrev_nc_u32_e32 v11, 32, v11
	s_mov_b32 s4, 0
	v_cmp_eq_u32_e32 vcc_lo, 1, v41
	s_waitcnt lgkmcnt(1)
	v_add_f32_e32 v8, v5, v8
	s_waitcnt lgkmcnt(0)
	v_cndmask_b32_e64 v4, v4, 1, vcc_lo
	v_cmp_eq_u16_sdwa vcc_lo, v6, v12 src0_sel:BYTE_0 src1_sel:DWORD
	v_cndmask_b32_e32 v8, v5, v8, vcc_lo
	v_cmp_gt_u32_e32 vcc_lo, v39, v3
	v_cndmask_b32_e32 v3, v4, v6, vcc_lo
	v_cndmask_b32_e32 v4, v8, v5, vcc_lo
	v_and_b32_e32 v6, 1, v36
	v_cmp_eq_u16_sdwa vcc_lo, v36, v12 src0_sel:BYTE_0 src1_sel:DWORD
	v_and_b32_e32 v3, 1, v3
	v_add_f32_e32 v4, v37, v4
	v_cndmask_b32_e32 v5, v37, v4, vcc_lo
	v_cmp_eq_u32_e32 vcc_lo, 1, v6
	v_cndmask_b32_e64 v6, v3, 1, vcc_lo
.LBB1462_70:                            ;   in Loop: Header=BB1462_71 Depth=1
	s_and_b32 vcc_lo, exec_lo, s4
	s_cbranch_vccnz .LBB1462_85
.LBB1462_71:                            ; =>This Loop Header: Depth=1
                                        ;     Child Loop BB1462_74 Depth 2
	v_cmp_ne_u16_sdwa s4, v7, v40 src0_sel:BYTE_0 src1_sel:DWORD
	v_mov_b32_e32 v36, v6
	v_mov_b32_e32 v37, v5
                                        ; implicit-def: $vgpr6
	s_cmp_lg_u32 s4, exec_lo
	s_mov_b32 s4, -1
	s_cbranch_scc1 .LBB1462_70
; %bb.72:                               ;   in Loop: Header=BB1462_71 Depth=1
	s_waitcnt lgkmcnt(0)
	v_lshlrev_b64 v[3:4], 4, v[11:12]
	v_add_co_u32 v3, vcc_lo, s16, v3
	v_add_co_ci_u32_e64 v4, null, s17, v4, vcc_lo
	;;#ASMSTART
	global_load_dwordx4 v[5:8], v[3:4] off glc dlc	
s_waitcnt vmcnt(0)
	;;#ASMEND
	v_cmp_eq_u16_sdwa s12, v7, v12 src0_sel:BYTE_0 src1_sel:DWORD
	s_and_saveexec_b32 s4, s12
	s_cbranch_execz .LBB1462_76
; %bb.73:                               ;   in Loop: Header=BB1462_71 Depth=1
	s_mov_b32 s12, 0
.LBB1462_74:                            ;   Parent Loop BB1462_71 Depth=1
                                        ; =>  This Inner Loop Header: Depth=2
	;;#ASMSTART
	global_load_dwordx4 v[5:8], v[3:4] off glc dlc	
s_waitcnt vmcnt(0)
	;;#ASMEND
	v_cmp_ne_u16_sdwa s13, v7, v12 src0_sel:BYTE_0 src1_sel:DWORD
	s_or_b32 s12, s13, s12
	s_andn2_b32 exec_lo, exec_lo, s12
	s_cbranch_execnz .LBB1462_74
; %bb.75:                               ;   in Loop: Header=BB1462_71 Depth=1
	s_or_b32 exec_lo, exec_lo, s12
.LBB1462_76:                            ;   in Loop: Header=BB1462_71 Depth=1
	s_or_b32 exec_lo, exec_lo, s4
	v_and_b32_e32 v4, 0xff, v6
	ds_bpermute_b32 v8, v13, v5
	v_cmp_eq_u16_sdwa s4, v7, v40 src0_sel:BYTE_0 src1_sel:DWORD
	s_mov_b32 s12, exec_lo
	ds_bpermute_b32 v41, v13, v4
	v_and_or_b32 v3, s4, v29, 0x80000000
	v_ffbl_b32_e32 v3, v3
	v_cmpx_lt_u32_e64 v19, v3
	s_cbranch_execz .LBB1462_78
; %bb.77:                               ;   in Loop: Header=BB1462_71 Depth=1
	v_and_b32_e32 v4, 1, v6
	s_waitcnt lgkmcnt(0)
	v_and_b32_e32 v41, 1, v41
	v_add_f32_e32 v8, v5, v8
	v_cmp_eq_u16_sdwa vcc_lo, v6, v12 src0_sel:BYTE_0 src1_sel:DWORD
	v_cmp_eq_u32_e64 s4, 1, v4
	v_cndmask_b32_e32 v5, v5, v8, vcc_lo
	v_cndmask_b32_e64 v6, v41, 1, s4
	v_and_b32_e32 v4, 0xffff, v6
.LBB1462_78:                            ;   in Loop: Header=BB1462_71 Depth=1
	s_or_b32 exec_lo, exec_lo, s12
	s_waitcnt lgkmcnt(1)
	ds_bpermute_b32 v8, v30, v5
	s_waitcnt lgkmcnt(1)
	ds_bpermute_b32 v41, v30, v4
	s_mov_b32 s12, exec_lo
	v_cmpx_le_u32_e64 v31, v3
	s_cbranch_execz .LBB1462_80
; %bb.79:                               ;   in Loop: Header=BB1462_71 Depth=1
	v_and_b32_e32 v4, 1, v6
	s_waitcnt lgkmcnt(0)
	v_and_b32_e32 v41, 1, v41
	v_add_f32_e32 v8, v5, v8
	v_cmp_eq_u16_sdwa vcc_lo, v6, v12 src0_sel:BYTE_0 src1_sel:DWORD
	v_cmp_eq_u32_e64 s4, 1, v4
	v_cndmask_b32_e32 v5, v5, v8, vcc_lo
	v_cndmask_b32_e64 v6, v41, 1, s4
	v_and_b32_e32 v4, 0xffff, v6
.LBB1462_80:                            ;   in Loop: Header=BB1462_71 Depth=1
	s_or_b32 exec_lo, exec_lo, s12
	s_waitcnt lgkmcnt(1)
	ds_bpermute_b32 v8, v32, v5
	s_waitcnt lgkmcnt(1)
	ds_bpermute_b32 v41, v32, v4
	s_mov_b32 s12, exec_lo
	v_cmpx_le_u32_e64 v33, v3
	;; [unrolled: 19-line block ×3, first 2 shown]
	s_cbranch_execz .LBB1462_69
; %bb.83:                               ;   in Loop: Header=BB1462_71 Depth=1
	v_and_b32_e32 v4, 1, v6
	s_waitcnt lgkmcnt(0)
	v_and_b32_e32 v41, 1, v41
	v_add_f32_e32 v8, v5, v8
	v_cmp_eq_u16_sdwa vcc_lo, v6, v12 src0_sel:BYTE_0 src1_sel:DWORD
	v_cmp_eq_u32_e64 s4, 1, v4
	v_cndmask_b32_e32 v5, v5, v8, vcc_lo
	v_cndmask_b32_e64 v6, v41, 1, s4
	v_and_b32_e32 v4, 0xffff, v6
	s_branch .LBB1462_69
.LBB1462_84:
                                        ; implicit-def: $vgpr7
                                        ; implicit-def: $vgpr5
                                        ; implicit-def: $vgpr6
	s_cbranch_execnz .LBB1462_90
	s_branch .LBB1462_115
.LBB1462_85:
	s_and_saveexec_b32 s4, s3
	s_cbranch_execz .LBB1462_87
; %bb.86:
	s_waitcnt lgkmcnt(0)
	v_mov_b32_e32 v4, 0
	v_add_f32_e32 v3, v37, v1
	v_and_b32_e32 v5, 1, v2
	s_mov_b32 s13, 0
	s_add_i32 s12, s8, 32
	v_cmp_eq_u32_sdwa vcc_lo, v2, v4 src0_sel:BYTE_0 src1_sel:DWORD
	v_and_b32_e32 v6, 1, v36
	s_lshl_b64 s[12:13], s[12:13], 4
	s_add_u32 s12, s16, s12
	v_cndmask_b32_e32 v1, v1, v3, vcc_lo
	v_cmp_eq_u32_e32 vcc_lo, 1, v5
	s_addc_u32 s13, s17, s13
	v_mov_b32_e32 v3, 2
	v_cndmask_b32_e64 v2, v6, 1, vcc_lo
	v_mov_b32_e32 v5, s12
	v_mov_b32_e32 v6, s13
	;;#ASMSTART
	global_store_dwordx4 v[5:6], v[1:4] off	
s_waitcnt vmcnt(0)
	;;#ASMEND
.LBB1462_87:
	s_or_b32 exec_lo, exec_lo, s4
	s_and_b32 exec_lo, exec_lo, s0
	s_cbranch_execz .LBB1462_89
; %bb.88:
	v_mov_b32_e32 v1, 0
	ds_write_b32 v1, v37 offset:56
	ds_write_b8 v1, v36 offset:60
.LBB1462_89:
	s_or_b32 exec_lo, exec_lo, s9
	v_mov_b32_e32 v1, 0
	s_waitcnt lgkmcnt(0)
	s_barrier
	buffer_gl0_inv
	v_cndmask_b32_e64 v3, v27, v25, s3
	ds_read_b32 v2, v1 offset:56
	v_cndmask_b32_e64 v4, v28, v26, s3
	v_cmp_eq_u32_sdwa vcc_lo, v4, v1 src0_sel:BYTE_0 src1_sel:DWORD
	s_waitcnt lgkmcnt(0)
	v_add_f32_e32 v5, v3, v2
	v_cndmask_b32_e32 v3, v3, v5, vcc_lo
	v_cmp_eq_u16_sdwa vcc_lo, v16, v1 src0_sel:BYTE_0 src1_sel:DWORD
	v_cndmask_b32_e64 v6, v3, v2, s0
	v_add_f32_e32 v2, v18, v6
	v_cndmask_b32_e32 v5, v18, v2, vcc_lo
	v_add_f32_e32 v1, v17, v5
	v_cndmask_b32_e64 v7, v17, v1, s2
	s_branch .LBB1462_115
.LBB1462_90:
	s_cmp_eq_u64 s[20:21], 0
	v_mov_b32_e32 v3, s22
	s_cselect_b32 s2, -1, 0
	s_cmp_eq_u64 s[6:7], 0
	s_cselect_b32 s3, -1, 0
	s_or_b32 s2, s2, s3
	s_and_b32 vcc_lo, exec_lo, s2
	s_cbranch_vccnz .LBB1462_92
; %bb.91:
	v_mov_b32_e32 v1, 0
	global_load_dword v3, v1, s[6:7]
.LBB1462_92:
	v_mov_b32_e32 v2, 0
	s_mov_b32 s3, exec_lo
	v_cmp_eq_u16_sdwa vcc_lo, v21, v2 src0_sel:BYTE_0 src1_sel:DWORD
	v_cmp_eq_u16_sdwa s2, v23, v2 src0_sel:BYTE_0 src1_sel:DWORD
	v_cndmask_b32_e32 v1, v17, v24, vcc_lo
	v_cndmask_b32_e64 v6, 1, v16, s2
	v_cmp_eq_u16_e64 s2, 0, v22
	v_add_f32_e32 v1, v1, v20
	v_and_b32_e32 v5, 0xff, v6
	v_cndmask_b32_e64 v4, v20, v1, s2
	v_and_b32_e32 v1, 15, v19
	v_mov_b32_dpp v7, v5 row_shr:1 row_mask:0xf bank_mask:0xf
	v_mov_b32_dpp v8, v4 row_shr:1 row_mask:0xf bank_mask:0xf
	v_cmpx_ne_u32_e32 0, v1
	s_cbranch_execz .LBB1462_94
; %bb.93:
	v_add_f32_e32 v5, v4, v8
	v_and_b32_e32 v8, 1, v6
	v_cmp_eq_u16_sdwa s2, v6, v2 src0_sel:BYTE_0 src1_sel:DWORD
	v_and_b32_e32 v7, 1, v7
	v_cndmask_b32_e64 v4, v4, v5, s2
	v_cmp_eq_u32_e64 s2, 1, v8
	v_cndmask_b32_e64 v5, v7, 1, s2
.LBB1462_94:
	s_or_b32 exec_lo, exec_lo, s3
	v_mov_b32_dpp v6, v4 row_shr:2 row_mask:0xf bank_mask:0xf
	v_mov_b32_dpp v2, v5 row_shr:2 row_mask:0xf bank_mask:0xf
	s_mov_b32 s3, exec_lo
	v_cmpx_lt_u32_e32 1, v1
	s_cbranch_execz .LBB1462_96
; %bb.95:
	v_add_f32_e32 v6, v4, v6
	v_and_b32_e32 v7, 1, v5
	v_cmp_eq_u32_e64 s2, 0, v5
	v_and_b32_e32 v2, 1, v2
	v_cndmask_b32_e64 v4, v4, v6, s2
	v_cmp_eq_u32_e64 s2, 1, v7
	v_cndmask_b32_e64 v5, v2, 1, s2
.LBB1462_96:
	s_or_b32 exec_lo, exec_lo, s3
	v_mov_b32_dpp v6, v4 row_shr:4 row_mask:0xf bank_mask:0xf
	v_mov_b32_dpp v2, v5 row_shr:4 row_mask:0xf bank_mask:0xf
	s_mov_b32 s3, exec_lo
	v_cmpx_lt_u32_e32 3, v1
	s_cbranch_execz .LBB1462_98
; %bb.97:
	v_add_f32_e32 v6, v4, v6
	v_and_b32_e32 v7, 1, v5
	v_cmp_eq_u32_e64 s2, 0, v5
	v_and_b32_e32 v2, 1, v2
	v_cndmask_b32_e64 v4, v4, v6, s2
	v_cmp_eq_u32_e64 s2, 1, v7
	v_cndmask_b32_e64 v5, v2, 1, s2
.LBB1462_98:
	s_or_b32 exec_lo, exec_lo, s3
	v_mov_b32_dpp v6, v4 row_shr:8 row_mask:0xf bank_mask:0xf
	v_mov_b32_dpp v2, v5 row_shr:8 row_mask:0xf bank_mask:0xf
	s_mov_b32 s3, exec_lo
	v_cmpx_lt_u32_e32 7, v1
	s_cbranch_execz .LBB1462_100
; %bb.99:
	v_add_f32_e32 v1, v4, v6
	v_and_b32_e32 v6, 1, v5
	v_cmp_eq_u32_e64 s2, 0, v5
	v_and_b32_e32 v2, 1, v2
	v_cndmask_b32_e64 v4, v4, v1, s2
	v_cmp_eq_u32_e64 s2, 1, v6
	v_cndmask_b32_e64 v5, v2, 1, s2
.LBB1462_100:
	s_or_b32 exec_lo, exec_lo, s3
	ds_swizzle_b32 v2, v4 offset:swizzle(BROADCAST,32,15)
	ds_swizzle_b32 v1, v5 offset:swizzle(BROADCAST,32,15)
	v_and_b32_e32 v6, 16, v19
	s_mov_b32 s3, exec_lo
	v_cmpx_ne_u32_e32 0, v6
	s_cbranch_execz .LBB1462_102
; %bb.101:
	s_waitcnt lgkmcnt(1)
	v_add_f32_e32 v2, v4, v2
	v_and_b32_e32 v6, 1, v5
	v_cmp_eq_u32_e64 s2, 0, v5
	s_waitcnt lgkmcnt(0)
	v_and_b32_e32 v1, 1, v1
	v_cndmask_b32_e64 v4, v4, v2, s2
	v_cmp_eq_u32_e64 s2, 1, v6
	v_cndmask_b32_e64 v5, v1, 1, s2
.LBB1462_102:
	s_or_b32 exec_lo, exec_lo, s3
	s_waitcnt lgkmcnt(1)
	v_lshrrev_b32_e32 v2, 5, v0
	s_waitcnt lgkmcnt(0)
	v_or_b32_e32 v1, 31, v0
	s_mov_b32 s3, exec_lo
	v_lshlrev_b32_e32 v6, 3, v2
	v_cmpx_eq_u32_e64 v0, v1
	s_cbranch_execz .LBB1462_104
; %bb.103:
	ds_write_b32 v6, v4
	ds_write_b8 v6, v5 offset:4
.LBB1462_104:
	s_or_b32 exec_lo, exec_lo, s3
	s_mov_b32 s4, exec_lo
	s_waitcnt vmcnt(0) lgkmcnt(0)
	s_barrier
	buffer_gl0_inv
	v_cmpx_gt_u32_e32 8, v0
	s_cbranch_execz .LBB1462_110
; %bb.105:
	ds_read_b64 v[1:2], v15
	v_and_b32_e32 v7, 7, v19
	s_mov_b32 s3, exec_lo
	s_waitcnt lgkmcnt(0)
	v_mov_b32_dpp v11, v1 row_shr:1 row_mask:0xf bank_mask:0xf
	v_mov_b32_dpp v12, v2 row_shr:1 row_mask:0xf bank_mask:0xf
	v_mov_b32_e32 v8, v2
	v_cmpx_ne_u32_e32 0, v7
	s_cbranch_execz .LBB1462_107
; %bb.106:
	v_and_b32_e32 v8, 1, v2
	v_and_b32_e32 v12, 1, v12
	v_mov_b32_e32 v13, 0
	v_add_f32_e32 v11, v1, v11
	v_cmp_eq_u32_e64 s2, 1, v8
	v_cndmask_b32_e64 v8, v12, 1, s2
	v_cmp_eq_u16_sdwa s2, v2, v13 src0_sel:BYTE_0 src1_sel:DWORD
	v_and_or_b32 v2, 0xffffff00, v2, v8
	v_cndmask_b32_e64 v1, v1, v11, s2
.LBB1462_107:
	s_or_b32 exec_lo, exec_lo, s3
	v_mov_b32_dpp v11, v1 row_shr:2 row_mask:0xf bank_mask:0xf
	v_mov_b32_dpp v12, v2 row_shr:2 row_mask:0xf bank_mask:0xf
	s_mov_b32 s6, exec_lo
	v_cmpx_lt_u32_e32 1, v7
	s_cbranch_execz .LBB1462_109
; %bb.108:
	v_and_b32_e32 v20, 1, v8
	v_mov_b32_e32 v13, 0
	v_and_b32_e32 v12, 1, v12
	v_add_f32_e32 v11, v1, v11
	v_cmp_eq_u32_e64 s3, 1, v20
	v_cmp_eq_u16_sdwa s2, v8, v13 src0_sel:BYTE_0 src1_sel:DWORD
	v_cndmask_b32_e64 v8, v12, 1, s3
	v_cndmask_b32_e64 v1, v1, v11, s2
	v_and_or_b32 v2, 0xffffff00, v2, v8
.LBB1462_109:
	s_or_b32 exec_lo, exec_lo, s6
	v_mov_b32_dpp v11, v2 row_shr:4 row_mask:0xf bank_mask:0xf
	v_and_b32_e32 v13, 1, v8
	v_mov_b32_e32 v12, 0
	v_mov_b32_dpp v20, v1 row_shr:4 row_mask:0xf bank_mask:0xf
	v_and_b32_e32 v11, 1, v11
	v_cmp_eq_u32_e64 s2, 1, v13
	v_cmp_eq_u16_sdwa s3, v8, v12 src0_sel:BYTE_0 src1_sel:DWORD
	v_cndmask_b32_e64 v8, v11, 1, s2
	v_cmp_lt_u32_e64 s2, 3, v7
	v_add_f32_e32 v7, v1, v20
	v_cndmask_b32_e64 v2, v2, v8, s2
	s_and_b32 s2, s2, s3
	v_cndmask_b32_e64 v1, v1, v7, s2
	ds_write_b32 v15, v1
	ds_write_b8 v15, v2 offset:4
.LBB1462_110:
	s_or_b32 exec_lo, exec_lo, s4
	v_mov_b32_e32 v1, v3
	s_mov_b32 s3, exec_lo
	s_waitcnt lgkmcnt(0)
	s_barrier
	buffer_gl0_inv
	v_cmpx_lt_u32_e32 31, v0
	s_cbranch_execz .LBB1462_112
; %bb.111:
	v_add_nc_u32_e32 v1, -8, v6
	v_add_nc_u32_e32 v2, -4, v6
	ds_read_b32 v1, v1
	ds_read_u8 v2, v2
	s_waitcnt lgkmcnt(1)
	v_add_f32_e32 v6, v3, v1
	s_waitcnt lgkmcnt(0)
	v_cmp_eq_u16_e64 s2, 0, v2
	v_cndmask_b32_e64 v1, v1, v6, s2
.LBB1462_112:
	s_or_b32 exec_lo, exec_lo, s3
	v_sub_co_u32 v2, s2, v19, 1
	v_add_f32_e32 v6, v4, v1
	v_cmp_gt_i32_e64 s3, 0, v2
	v_cndmask_b32_e64 v2, v2, v19, s3
	v_cmp_eq_u32_e64 s3, 0, v5
	v_lshlrev_b32_e32 v2, 2, v2
	v_cndmask_b32_e64 v4, v4, v6, s3
	ds_bpermute_b32 v2, v2, v4
	s_waitcnt lgkmcnt(0)
	v_cndmask_b32_e64 v6, v2, v1, s2
	v_mov_b32_e32 v2, 0
	v_cndmask_b32_e64 v1, v6, v3, s0
	v_cmp_eq_u16_sdwa s2, v16, v2 src0_sel:BYTE_0 src1_sel:DWORD
	v_add_f32_e32 v1, v18, v1
	v_cndmask_b32_e64 v5, v18, v1, s2
	v_add_f32_e32 v4, v17, v5
	s_and_saveexec_b32 s2, s0
	s_cbranch_execz .LBB1462_114
; %bb.113:
	ds_read_u8 v1, v2 offset:60
	ds_read_b32 v6, v2 offset:56
	s_add_u32 s6, s16, 0x200
	s_addc_u32 s7, s17, 0
	v_mov_b32_e32 v21, v2
	v_mov_b32_e32 v20, 2
	s_waitcnt lgkmcnt(1)
	v_and_b32_e32 v1, 0xffff, v1
	s_waitcnt lgkmcnt(0)
	v_add_f32_e32 v7, v3, v6
	v_cmp_eq_u64_e64 s0, 0, v[1:2]
	v_mov_b32_e32 v19, v1
	v_mov_b32_e32 v1, s6
	;; [unrolled: 1-line block ×3, first 2 shown]
	v_cndmask_b32_e64 v18, v6, v7, s0
	v_mov_b32_e32 v6, v3
	;;#ASMSTART
	global_store_dwordx4 v[1:2], v[18:21] off	
s_waitcnt vmcnt(0)
	;;#ASMEND
.LBB1462_114:
	s_or_b32 exec_lo, exec_lo, s2
	v_cndmask_b32_e32 v7, v17, v4, vcc_lo
.LBB1462_115:
	s_add_u32 s0, s14, s10
	s_addc_u32 s2, s15, s11
	v_add_co_u32 v8, vcc_lo, s0, v9
	v_add_co_ci_u32_e64 v9, null, s2, v10, vcc_lo
	v_mov_b32_e32 v3, 0
	s_and_b32 vcc_lo, exec_lo, s1
	s_cbranch_vccz .LBB1462_127
; %bb.116:
	v_mul_u32_u24_e32 v1, 3, v0
	v_mov_b32_e32 v4, 0
	v_mov_b32_e32 v2, 0
	s_add_i32 s5, s5, s18
	s_mov_b32 s0, exec_lo
	v_cmpx_gt_u32_e64 s5, v1
	s_cbranch_execz .LBB1462_122
; %bb.117:
	v_add_nc_u32_e32 v3, 1, v1
	v_mov_b32_e32 v2, 0
	v_mov_b32_e32 v4, 0
	s_mov_b32 s1, exec_lo
	v_cmpx_gt_u32_e64 s5, v3
	s_cbranch_execz .LBB1462_121
; %bb.118:
	v_add_nc_u32_e32 v2, 2, v1
	v_cmp_gt_u32_e32 vcc_lo, s5, v2
	v_mov_b32_e32 v2, 0
	s_and_saveexec_b32 s2, vcc_lo
; %bb.119:
	v_mov_b32_e32 v2, v7
; %bb.120:
	s_or_b32 exec_lo, exec_lo, s2
	v_mov_b32_e32 v4, v5
.LBB1462_121:
	s_or_b32 exec_lo, exec_lo, s1
	v_mov_b32_e32 v3, v6
.LBB1462_122:
	s_or_b32 exec_lo, exec_lo, s0
	v_lshlrev_b32_e32 v10, 2, v1
	s_barrier
	buffer_gl0_inv
	s_mov_b32 s0, exec_lo
	v_sub_nc_u32_e32 v1, v10, v15
	ds_write2_b32 v10, v3, v4 offset1:1
	ds_write_b32 v10, v2 offset:8
	s_waitcnt lgkmcnt(0)
	s_barrier
	buffer_gl0_inv
	ds_read2st64_b32 v[1:2], v1 offset0:4 offset1:8
	v_add_co_u32 v3, vcc_lo, v8, v14
	v_add_co_ci_u32_e64 v4, null, 0, v9, vcc_lo
	v_cmpx_gt_u32_e64 s5, v0
	s_cbranch_execz .LBB1462_124
; %bb.123:
	v_sub_nc_u32_e32 v11, 0, v15
	v_add_nc_u32_e32 v10, v10, v11
	ds_read_b32 v10, v10
	s_waitcnt lgkmcnt(0)
	flat_store_dword v[3:4], v10
.LBB1462_124:
	s_or_b32 exec_lo, exec_lo, s0
	v_or_b32_e32 v10, 0x100, v0
	s_mov_b32 s0, exec_lo
	v_cmpx_gt_u32_e64 s5, v10
	s_cbranch_execz .LBB1462_126
; %bb.125:
	s_waitcnt lgkmcnt(0)
	flat_store_dword v[3:4], v1 offset:1024
.LBB1462_126:
	s_or_b32 exec_lo, exec_lo, s0
	s_waitcnt lgkmcnt(0)
	v_or_b32_e32 v1, 0x200, v0
	v_cmp_gt_u32_e64 s0, s5, v1
	s_branch .LBB1462_129
.LBB1462_127:
	s_mov_b32 s0, 0
                                        ; implicit-def: $vgpr2
	s_cbranch_execz .LBB1462_129
; %bb.128:
	v_mul_u32_u24_e32 v1, 12, v0
	s_waitcnt_vscnt null, 0x0
	s_barrier
	buffer_gl0_inv
	s_or_b32 s0, s0, exec_lo
	v_sub_nc_u32_e32 v2, v1, v15
	ds_write2_b32 v1, v6, v5 offset1:1
	ds_write_b32 v1, v7 offset:8
	s_waitcnt lgkmcnt(0)
	s_barrier
	buffer_gl0_inv
	ds_read2st64_b32 v[3:4], v2 offset1:4
	ds_read_b32 v2, v2 offset:2048
	v_add_co_u32 v5, vcc_lo, v8, v14
	v_add_co_ci_u32_e64 v6, null, 0, v9, vcc_lo
	s_waitcnt lgkmcnt(1)
	flat_store_dword v[5:6], v3
	flat_store_dword v[5:6], v4 offset:1024
.LBB1462_129:
	s_and_saveexec_b32 s1, s0
	s_cbranch_execnz .LBB1462_131
; %bb.130:
	s_endpgm
.LBB1462_131:
	v_lshlrev_b32_e32 v0, 2, v0
	v_add_co_u32 v0, vcc_lo, v8, v0
	v_add_co_ci_u32_e64 v1, null, 0, v9, vcc_lo
	v_add_co_u32 v0, vcc_lo, 0x800, v0
	v_add_co_ci_u32_e64 v1, null, 0, v1, vcc_lo
	s_waitcnt lgkmcnt(2)
	flat_store_dword v[0:1], v2
	s_endpgm
.LBB1462_132:
	v_add_co_u32 v2, vcc_lo, v8, v16
	v_add_co_ci_u32_e64 v3, null, 0, v11, vcc_lo
	v_mov_b32_e32 v18, v1
	v_mov_b32_e32 v19, v1
	flat_load_dword v17, v[2:3]
	s_waitcnt vmcnt(0) lgkmcnt(0)
	v_mov_b32_e32 v1, v17
	v_mov_b32_e32 v2, v18
	;; [unrolled: 1-line block ×3, first 2 shown]
	s_or_b32 exec_lo, exec_lo, s4
	s_and_saveexec_b32 s4, s2
	s_cbranch_execz .LBB1462_15
.LBB1462_133:
	v_add_co_u32 v17, vcc_lo, v8, v16
	v_add_co_ci_u32_e64 v18, null, 0, v11, vcc_lo
	flat_load_dword v2, v[17:18] offset:1024
	s_or_b32 exec_lo, exec_lo, s4
	v_mul_u32_u24_e32 v22, 3, v0
	s_and_saveexec_b32 s2, s3
	s_cbranch_execnz .LBB1462_16
	s_branch .LBB1462_17
	.section	.rodata,"a",@progbits
	.p2align	6, 0x0
	.amdhsa_kernel _ZN7rocprim17ROCPRIM_400000_NS6detail17trampoline_kernelINS0_14default_configENS1_27scan_by_key_config_selectorIifEEZZNS1_16scan_by_key_implILNS1_25lookback_scan_determinismE0ELb1ES3_N6thrust23THRUST_200600_302600_NS6detail15normal_iteratorINS9_10device_ptrIiEEEENSB_INSC_IfEEEESG_fNS9_4plusIvEENS9_8equal_toIvEEfEE10hipError_tPvRmT2_T3_T4_T5_mT6_T7_P12ihipStream_tbENKUlT_T0_E_clISt17integral_constantIbLb0EES10_IbLb1EEEEDaSW_SX_EUlSW_E_NS1_11comp_targetILNS1_3genE8ELNS1_11target_archE1030ELNS1_3gpuE2ELNS1_3repE0EEENS1_30default_config_static_selectorELNS0_4arch9wavefront6targetE0EEEvT1_
		.amdhsa_group_segment_fixed_size 5120
		.amdhsa_private_segment_fixed_size 0
		.amdhsa_kernarg_size 112
		.amdhsa_user_sgpr_count 6
		.amdhsa_user_sgpr_private_segment_buffer 1
		.amdhsa_user_sgpr_dispatch_ptr 0
		.amdhsa_user_sgpr_queue_ptr 0
		.amdhsa_user_sgpr_kernarg_segment_ptr 1
		.amdhsa_user_sgpr_dispatch_id 0
		.amdhsa_user_sgpr_flat_scratch_init 0
		.amdhsa_user_sgpr_private_segment_size 0
		.amdhsa_wavefront_size32 1
		.amdhsa_uses_dynamic_stack 0
		.amdhsa_system_sgpr_private_segment_wavefront_offset 0
		.amdhsa_system_sgpr_workgroup_id_x 1
		.amdhsa_system_sgpr_workgroup_id_y 0
		.amdhsa_system_sgpr_workgroup_id_z 0
		.amdhsa_system_sgpr_workgroup_info 0
		.amdhsa_system_vgpr_workitem_id 0
		.amdhsa_next_free_vgpr 42
		.amdhsa_next_free_sgpr 24
		.amdhsa_reserve_vcc 1
		.amdhsa_reserve_flat_scratch 1
		.amdhsa_float_round_mode_32 0
		.amdhsa_float_round_mode_16_64 0
		.amdhsa_float_denorm_mode_32 3
		.amdhsa_float_denorm_mode_16_64 3
		.amdhsa_dx10_clamp 1
		.amdhsa_ieee_mode 1
		.amdhsa_fp16_overflow 0
		.amdhsa_workgroup_processor_mode 1
		.amdhsa_memory_ordered 1
		.amdhsa_forward_progress 1
		.amdhsa_shared_vgpr_count 0
		.amdhsa_exception_fp_ieee_invalid_op 0
		.amdhsa_exception_fp_denorm_src 0
		.amdhsa_exception_fp_ieee_div_zero 0
		.amdhsa_exception_fp_ieee_overflow 0
		.amdhsa_exception_fp_ieee_underflow 0
		.amdhsa_exception_fp_ieee_inexact 0
		.amdhsa_exception_int_div_zero 0
	.end_amdhsa_kernel
	.section	.text._ZN7rocprim17ROCPRIM_400000_NS6detail17trampoline_kernelINS0_14default_configENS1_27scan_by_key_config_selectorIifEEZZNS1_16scan_by_key_implILNS1_25lookback_scan_determinismE0ELb1ES3_N6thrust23THRUST_200600_302600_NS6detail15normal_iteratorINS9_10device_ptrIiEEEENSB_INSC_IfEEEESG_fNS9_4plusIvEENS9_8equal_toIvEEfEE10hipError_tPvRmT2_T3_T4_T5_mT6_T7_P12ihipStream_tbENKUlT_T0_E_clISt17integral_constantIbLb0EES10_IbLb1EEEEDaSW_SX_EUlSW_E_NS1_11comp_targetILNS1_3genE8ELNS1_11target_archE1030ELNS1_3gpuE2ELNS1_3repE0EEENS1_30default_config_static_selectorELNS0_4arch9wavefront6targetE0EEEvT1_,"axG",@progbits,_ZN7rocprim17ROCPRIM_400000_NS6detail17trampoline_kernelINS0_14default_configENS1_27scan_by_key_config_selectorIifEEZZNS1_16scan_by_key_implILNS1_25lookback_scan_determinismE0ELb1ES3_N6thrust23THRUST_200600_302600_NS6detail15normal_iteratorINS9_10device_ptrIiEEEENSB_INSC_IfEEEESG_fNS9_4plusIvEENS9_8equal_toIvEEfEE10hipError_tPvRmT2_T3_T4_T5_mT6_T7_P12ihipStream_tbENKUlT_T0_E_clISt17integral_constantIbLb0EES10_IbLb1EEEEDaSW_SX_EUlSW_E_NS1_11comp_targetILNS1_3genE8ELNS1_11target_archE1030ELNS1_3gpuE2ELNS1_3repE0EEENS1_30default_config_static_selectorELNS0_4arch9wavefront6targetE0EEEvT1_,comdat
.Lfunc_end1462:
	.size	_ZN7rocprim17ROCPRIM_400000_NS6detail17trampoline_kernelINS0_14default_configENS1_27scan_by_key_config_selectorIifEEZZNS1_16scan_by_key_implILNS1_25lookback_scan_determinismE0ELb1ES3_N6thrust23THRUST_200600_302600_NS6detail15normal_iteratorINS9_10device_ptrIiEEEENSB_INSC_IfEEEESG_fNS9_4plusIvEENS9_8equal_toIvEEfEE10hipError_tPvRmT2_T3_T4_T5_mT6_T7_P12ihipStream_tbENKUlT_T0_E_clISt17integral_constantIbLb0EES10_IbLb1EEEEDaSW_SX_EUlSW_E_NS1_11comp_targetILNS1_3genE8ELNS1_11target_archE1030ELNS1_3gpuE2ELNS1_3repE0EEENS1_30default_config_static_selectorELNS0_4arch9wavefront6targetE0EEEvT1_, .Lfunc_end1462-_ZN7rocprim17ROCPRIM_400000_NS6detail17trampoline_kernelINS0_14default_configENS1_27scan_by_key_config_selectorIifEEZZNS1_16scan_by_key_implILNS1_25lookback_scan_determinismE0ELb1ES3_N6thrust23THRUST_200600_302600_NS6detail15normal_iteratorINS9_10device_ptrIiEEEENSB_INSC_IfEEEESG_fNS9_4plusIvEENS9_8equal_toIvEEfEE10hipError_tPvRmT2_T3_T4_T5_mT6_T7_P12ihipStream_tbENKUlT_T0_E_clISt17integral_constantIbLb0EES10_IbLb1EEEEDaSW_SX_EUlSW_E_NS1_11comp_targetILNS1_3genE8ELNS1_11target_archE1030ELNS1_3gpuE2ELNS1_3repE0EEENS1_30default_config_static_selectorELNS0_4arch9wavefront6targetE0EEEvT1_
                                        ; -- End function
	.set _ZN7rocprim17ROCPRIM_400000_NS6detail17trampoline_kernelINS0_14default_configENS1_27scan_by_key_config_selectorIifEEZZNS1_16scan_by_key_implILNS1_25lookback_scan_determinismE0ELb1ES3_N6thrust23THRUST_200600_302600_NS6detail15normal_iteratorINS9_10device_ptrIiEEEENSB_INSC_IfEEEESG_fNS9_4plusIvEENS9_8equal_toIvEEfEE10hipError_tPvRmT2_T3_T4_T5_mT6_T7_P12ihipStream_tbENKUlT_T0_E_clISt17integral_constantIbLb0EES10_IbLb1EEEEDaSW_SX_EUlSW_E_NS1_11comp_targetILNS1_3genE8ELNS1_11target_archE1030ELNS1_3gpuE2ELNS1_3repE0EEENS1_30default_config_static_selectorELNS0_4arch9wavefront6targetE0EEEvT1_.num_vgpr, 42
	.set _ZN7rocprim17ROCPRIM_400000_NS6detail17trampoline_kernelINS0_14default_configENS1_27scan_by_key_config_selectorIifEEZZNS1_16scan_by_key_implILNS1_25lookback_scan_determinismE0ELb1ES3_N6thrust23THRUST_200600_302600_NS6detail15normal_iteratorINS9_10device_ptrIiEEEENSB_INSC_IfEEEESG_fNS9_4plusIvEENS9_8equal_toIvEEfEE10hipError_tPvRmT2_T3_T4_T5_mT6_T7_P12ihipStream_tbENKUlT_T0_E_clISt17integral_constantIbLb0EES10_IbLb1EEEEDaSW_SX_EUlSW_E_NS1_11comp_targetILNS1_3genE8ELNS1_11target_archE1030ELNS1_3gpuE2ELNS1_3repE0EEENS1_30default_config_static_selectorELNS0_4arch9wavefront6targetE0EEEvT1_.num_agpr, 0
	.set _ZN7rocprim17ROCPRIM_400000_NS6detail17trampoline_kernelINS0_14default_configENS1_27scan_by_key_config_selectorIifEEZZNS1_16scan_by_key_implILNS1_25lookback_scan_determinismE0ELb1ES3_N6thrust23THRUST_200600_302600_NS6detail15normal_iteratorINS9_10device_ptrIiEEEENSB_INSC_IfEEEESG_fNS9_4plusIvEENS9_8equal_toIvEEfEE10hipError_tPvRmT2_T3_T4_T5_mT6_T7_P12ihipStream_tbENKUlT_T0_E_clISt17integral_constantIbLb0EES10_IbLb1EEEEDaSW_SX_EUlSW_E_NS1_11comp_targetILNS1_3genE8ELNS1_11target_archE1030ELNS1_3gpuE2ELNS1_3repE0EEENS1_30default_config_static_selectorELNS0_4arch9wavefront6targetE0EEEvT1_.numbered_sgpr, 24
	.set _ZN7rocprim17ROCPRIM_400000_NS6detail17trampoline_kernelINS0_14default_configENS1_27scan_by_key_config_selectorIifEEZZNS1_16scan_by_key_implILNS1_25lookback_scan_determinismE0ELb1ES3_N6thrust23THRUST_200600_302600_NS6detail15normal_iteratorINS9_10device_ptrIiEEEENSB_INSC_IfEEEESG_fNS9_4plusIvEENS9_8equal_toIvEEfEE10hipError_tPvRmT2_T3_T4_T5_mT6_T7_P12ihipStream_tbENKUlT_T0_E_clISt17integral_constantIbLb0EES10_IbLb1EEEEDaSW_SX_EUlSW_E_NS1_11comp_targetILNS1_3genE8ELNS1_11target_archE1030ELNS1_3gpuE2ELNS1_3repE0EEENS1_30default_config_static_selectorELNS0_4arch9wavefront6targetE0EEEvT1_.num_named_barrier, 0
	.set _ZN7rocprim17ROCPRIM_400000_NS6detail17trampoline_kernelINS0_14default_configENS1_27scan_by_key_config_selectorIifEEZZNS1_16scan_by_key_implILNS1_25lookback_scan_determinismE0ELb1ES3_N6thrust23THRUST_200600_302600_NS6detail15normal_iteratorINS9_10device_ptrIiEEEENSB_INSC_IfEEEESG_fNS9_4plusIvEENS9_8equal_toIvEEfEE10hipError_tPvRmT2_T3_T4_T5_mT6_T7_P12ihipStream_tbENKUlT_T0_E_clISt17integral_constantIbLb0EES10_IbLb1EEEEDaSW_SX_EUlSW_E_NS1_11comp_targetILNS1_3genE8ELNS1_11target_archE1030ELNS1_3gpuE2ELNS1_3repE0EEENS1_30default_config_static_selectorELNS0_4arch9wavefront6targetE0EEEvT1_.private_seg_size, 0
	.set _ZN7rocprim17ROCPRIM_400000_NS6detail17trampoline_kernelINS0_14default_configENS1_27scan_by_key_config_selectorIifEEZZNS1_16scan_by_key_implILNS1_25lookback_scan_determinismE0ELb1ES3_N6thrust23THRUST_200600_302600_NS6detail15normal_iteratorINS9_10device_ptrIiEEEENSB_INSC_IfEEEESG_fNS9_4plusIvEENS9_8equal_toIvEEfEE10hipError_tPvRmT2_T3_T4_T5_mT6_T7_P12ihipStream_tbENKUlT_T0_E_clISt17integral_constantIbLb0EES10_IbLb1EEEEDaSW_SX_EUlSW_E_NS1_11comp_targetILNS1_3genE8ELNS1_11target_archE1030ELNS1_3gpuE2ELNS1_3repE0EEENS1_30default_config_static_selectorELNS0_4arch9wavefront6targetE0EEEvT1_.uses_vcc, 1
	.set _ZN7rocprim17ROCPRIM_400000_NS6detail17trampoline_kernelINS0_14default_configENS1_27scan_by_key_config_selectorIifEEZZNS1_16scan_by_key_implILNS1_25lookback_scan_determinismE0ELb1ES3_N6thrust23THRUST_200600_302600_NS6detail15normal_iteratorINS9_10device_ptrIiEEEENSB_INSC_IfEEEESG_fNS9_4plusIvEENS9_8equal_toIvEEfEE10hipError_tPvRmT2_T3_T4_T5_mT6_T7_P12ihipStream_tbENKUlT_T0_E_clISt17integral_constantIbLb0EES10_IbLb1EEEEDaSW_SX_EUlSW_E_NS1_11comp_targetILNS1_3genE8ELNS1_11target_archE1030ELNS1_3gpuE2ELNS1_3repE0EEENS1_30default_config_static_selectorELNS0_4arch9wavefront6targetE0EEEvT1_.uses_flat_scratch, 1
	.set _ZN7rocprim17ROCPRIM_400000_NS6detail17trampoline_kernelINS0_14default_configENS1_27scan_by_key_config_selectorIifEEZZNS1_16scan_by_key_implILNS1_25lookback_scan_determinismE0ELb1ES3_N6thrust23THRUST_200600_302600_NS6detail15normal_iteratorINS9_10device_ptrIiEEEENSB_INSC_IfEEEESG_fNS9_4plusIvEENS9_8equal_toIvEEfEE10hipError_tPvRmT2_T3_T4_T5_mT6_T7_P12ihipStream_tbENKUlT_T0_E_clISt17integral_constantIbLb0EES10_IbLb1EEEEDaSW_SX_EUlSW_E_NS1_11comp_targetILNS1_3genE8ELNS1_11target_archE1030ELNS1_3gpuE2ELNS1_3repE0EEENS1_30default_config_static_selectorELNS0_4arch9wavefront6targetE0EEEvT1_.has_dyn_sized_stack, 0
	.set _ZN7rocprim17ROCPRIM_400000_NS6detail17trampoline_kernelINS0_14default_configENS1_27scan_by_key_config_selectorIifEEZZNS1_16scan_by_key_implILNS1_25lookback_scan_determinismE0ELb1ES3_N6thrust23THRUST_200600_302600_NS6detail15normal_iteratorINS9_10device_ptrIiEEEENSB_INSC_IfEEEESG_fNS9_4plusIvEENS9_8equal_toIvEEfEE10hipError_tPvRmT2_T3_T4_T5_mT6_T7_P12ihipStream_tbENKUlT_T0_E_clISt17integral_constantIbLb0EES10_IbLb1EEEEDaSW_SX_EUlSW_E_NS1_11comp_targetILNS1_3genE8ELNS1_11target_archE1030ELNS1_3gpuE2ELNS1_3repE0EEENS1_30default_config_static_selectorELNS0_4arch9wavefront6targetE0EEEvT1_.has_recursion, 0
	.set _ZN7rocprim17ROCPRIM_400000_NS6detail17trampoline_kernelINS0_14default_configENS1_27scan_by_key_config_selectorIifEEZZNS1_16scan_by_key_implILNS1_25lookback_scan_determinismE0ELb1ES3_N6thrust23THRUST_200600_302600_NS6detail15normal_iteratorINS9_10device_ptrIiEEEENSB_INSC_IfEEEESG_fNS9_4plusIvEENS9_8equal_toIvEEfEE10hipError_tPvRmT2_T3_T4_T5_mT6_T7_P12ihipStream_tbENKUlT_T0_E_clISt17integral_constantIbLb0EES10_IbLb1EEEEDaSW_SX_EUlSW_E_NS1_11comp_targetILNS1_3genE8ELNS1_11target_archE1030ELNS1_3gpuE2ELNS1_3repE0EEENS1_30default_config_static_selectorELNS0_4arch9wavefront6targetE0EEEvT1_.has_indirect_call, 0
	.section	.AMDGPU.csdata,"",@progbits
; Kernel info:
; codeLenInByte = 6256
; TotalNumSgprs: 26
; NumVgprs: 42
; ScratchSize: 0
; MemoryBound: 0
; FloatMode: 240
; IeeeMode: 1
; LDSByteSize: 5120 bytes/workgroup (compile time only)
; SGPRBlocks: 0
; VGPRBlocks: 5
; NumSGPRsForWavesPerEU: 26
; NumVGPRsForWavesPerEU: 42
; Occupancy: 16
; WaveLimiterHint : 1
; COMPUTE_PGM_RSRC2:SCRATCH_EN: 0
; COMPUTE_PGM_RSRC2:USER_SGPR: 6
; COMPUTE_PGM_RSRC2:TRAP_HANDLER: 0
; COMPUTE_PGM_RSRC2:TGID_X_EN: 1
; COMPUTE_PGM_RSRC2:TGID_Y_EN: 0
; COMPUTE_PGM_RSRC2:TGID_Z_EN: 0
; COMPUTE_PGM_RSRC2:TIDIG_COMP_CNT: 0
	.section	.text._ZN7rocprim17ROCPRIM_400000_NS6detail17trampoline_kernelINS0_14default_configENS1_27scan_by_key_config_selectorIiyEEZZNS1_16scan_by_key_implILNS1_25lookback_scan_determinismE0ELb1ES3_N6thrust23THRUST_200600_302600_NS6detail15normal_iteratorINS9_10device_ptrIiEEEENSB_INSC_IyEEEESG_yNS9_4plusIvEENS9_8equal_toIvEEyEE10hipError_tPvRmT2_T3_T4_T5_mT6_T7_P12ihipStream_tbENKUlT_T0_E_clISt17integral_constantIbLb0EES11_EEDaSW_SX_EUlSW_E_NS1_11comp_targetILNS1_3genE0ELNS1_11target_archE4294967295ELNS1_3gpuE0ELNS1_3repE0EEENS1_30default_config_static_selectorELNS0_4arch9wavefront6targetE0EEEvT1_,"axG",@progbits,_ZN7rocprim17ROCPRIM_400000_NS6detail17trampoline_kernelINS0_14default_configENS1_27scan_by_key_config_selectorIiyEEZZNS1_16scan_by_key_implILNS1_25lookback_scan_determinismE0ELb1ES3_N6thrust23THRUST_200600_302600_NS6detail15normal_iteratorINS9_10device_ptrIiEEEENSB_INSC_IyEEEESG_yNS9_4plusIvEENS9_8equal_toIvEEyEE10hipError_tPvRmT2_T3_T4_T5_mT6_T7_P12ihipStream_tbENKUlT_T0_E_clISt17integral_constantIbLb0EES11_EEDaSW_SX_EUlSW_E_NS1_11comp_targetILNS1_3genE0ELNS1_11target_archE4294967295ELNS1_3gpuE0ELNS1_3repE0EEENS1_30default_config_static_selectorELNS0_4arch9wavefront6targetE0EEEvT1_,comdat
	.protected	_ZN7rocprim17ROCPRIM_400000_NS6detail17trampoline_kernelINS0_14default_configENS1_27scan_by_key_config_selectorIiyEEZZNS1_16scan_by_key_implILNS1_25lookback_scan_determinismE0ELb1ES3_N6thrust23THRUST_200600_302600_NS6detail15normal_iteratorINS9_10device_ptrIiEEEENSB_INSC_IyEEEESG_yNS9_4plusIvEENS9_8equal_toIvEEyEE10hipError_tPvRmT2_T3_T4_T5_mT6_T7_P12ihipStream_tbENKUlT_T0_E_clISt17integral_constantIbLb0EES11_EEDaSW_SX_EUlSW_E_NS1_11comp_targetILNS1_3genE0ELNS1_11target_archE4294967295ELNS1_3gpuE0ELNS1_3repE0EEENS1_30default_config_static_selectorELNS0_4arch9wavefront6targetE0EEEvT1_ ; -- Begin function _ZN7rocprim17ROCPRIM_400000_NS6detail17trampoline_kernelINS0_14default_configENS1_27scan_by_key_config_selectorIiyEEZZNS1_16scan_by_key_implILNS1_25lookback_scan_determinismE0ELb1ES3_N6thrust23THRUST_200600_302600_NS6detail15normal_iteratorINS9_10device_ptrIiEEEENSB_INSC_IyEEEESG_yNS9_4plusIvEENS9_8equal_toIvEEyEE10hipError_tPvRmT2_T3_T4_T5_mT6_T7_P12ihipStream_tbENKUlT_T0_E_clISt17integral_constantIbLb0EES11_EEDaSW_SX_EUlSW_E_NS1_11comp_targetILNS1_3genE0ELNS1_11target_archE4294967295ELNS1_3gpuE0ELNS1_3repE0EEENS1_30default_config_static_selectorELNS0_4arch9wavefront6targetE0EEEvT1_
	.globl	_ZN7rocprim17ROCPRIM_400000_NS6detail17trampoline_kernelINS0_14default_configENS1_27scan_by_key_config_selectorIiyEEZZNS1_16scan_by_key_implILNS1_25lookback_scan_determinismE0ELb1ES3_N6thrust23THRUST_200600_302600_NS6detail15normal_iteratorINS9_10device_ptrIiEEEENSB_INSC_IyEEEESG_yNS9_4plusIvEENS9_8equal_toIvEEyEE10hipError_tPvRmT2_T3_T4_T5_mT6_T7_P12ihipStream_tbENKUlT_T0_E_clISt17integral_constantIbLb0EES11_EEDaSW_SX_EUlSW_E_NS1_11comp_targetILNS1_3genE0ELNS1_11target_archE4294967295ELNS1_3gpuE0ELNS1_3repE0EEENS1_30default_config_static_selectorELNS0_4arch9wavefront6targetE0EEEvT1_
	.p2align	8
	.type	_ZN7rocprim17ROCPRIM_400000_NS6detail17trampoline_kernelINS0_14default_configENS1_27scan_by_key_config_selectorIiyEEZZNS1_16scan_by_key_implILNS1_25lookback_scan_determinismE0ELb1ES3_N6thrust23THRUST_200600_302600_NS6detail15normal_iteratorINS9_10device_ptrIiEEEENSB_INSC_IyEEEESG_yNS9_4plusIvEENS9_8equal_toIvEEyEE10hipError_tPvRmT2_T3_T4_T5_mT6_T7_P12ihipStream_tbENKUlT_T0_E_clISt17integral_constantIbLb0EES11_EEDaSW_SX_EUlSW_E_NS1_11comp_targetILNS1_3genE0ELNS1_11target_archE4294967295ELNS1_3gpuE0ELNS1_3repE0EEENS1_30default_config_static_selectorELNS0_4arch9wavefront6targetE0EEEvT1_,@function
_ZN7rocprim17ROCPRIM_400000_NS6detail17trampoline_kernelINS0_14default_configENS1_27scan_by_key_config_selectorIiyEEZZNS1_16scan_by_key_implILNS1_25lookback_scan_determinismE0ELb1ES3_N6thrust23THRUST_200600_302600_NS6detail15normal_iteratorINS9_10device_ptrIiEEEENSB_INSC_IyEEEESG_yNS9_4plusIvEENS9_8equal_toIvEEyEE10hipError_tPvRmT2_T3_T4_T5_mT6_T7_P12ihipStream_tbENKUlT_T0_E_clISt17integral_constantIbLb0EES11_EEDaSW_SX_EUlSW_E_NS1_11comp_targetILNS1_3genE0ELNS1_11target_archE4294967295ELNS1_3gpuE0ELNS1_3repE0EEENS1_30default_config_static_selectorELNS0_4arch9wavefront6targetE0EEEvT1_: ; @_ZN7rocprim17ROCPRIM_400000_NS6detail17trampoline_kernelINS0_14default_configENS1_27scan_by_key_config_selectorIiyEEZZNS1_16scan_by_key_implILNS1_25lookback_scan_determinismE0ELb1ES3_N6thrust23THRUST_200600_302600_NS6detail15normal_iteratorINS9_10device_ptrIiEEEENSB_INSC_IyEEEESG_yNS9_4plusIvEENS9_8equal_toIvEEyEE10hipError_tPvRmT2_T3_T4_T5_mT6_T7_P12ihipStream_tbENKUlT_T0_E_clISt17integral_constantIbLb0EES11_EEDaSW_SX_EUlSW_E_NS1_11comp_targetILNS1_3genE0ELNS1_11target_archE4294967295ELNS1_3gpuE0ELNS1_3repE0EEENS1_30default_config_static_selectorELNS0_4arch9wavefront6targetE0EEEvT1_
; %bb.0:
	.section	.rodata,"a",@progbits
	.p2align	6, 0x0
	.amdhsa_kernel _ZN7rocprim17ROCPRIM_400000_NS6detail17trampoline_kernelINS0_14default_configENS1_27scan_by_key_config_selectorIiyEEZZNS1_16scan_by_key_implILNS1_25lookback_scan_determinismE0ELb1ES3_N6thrust23THRUST_200600_302600_NS6detail15normal_iteratorINS9_10device_ptrIiEEEENSB_INSC_IyEEEESG_yNS9_4plusIvEENS9_8equal_toIvEEyEE10hipError_tPvRmT2_T3_T4_T5_mT6_T7_P12ihipStream_tbENKUlT_T0_E_clISt17integral_constantIbLb0EES11_EEDaSW_SX_EUlSW_E_NS1_11comp_targetILNS1_3genE0ELNS1_11target_archE4294967295ELNS1_3gpuE0ELNS1_3repE0EEENS1_30default_config_static_selectorELNS0_4arch9wavefront6targetE0EEEvT1_
		.amdhsa_group_segment_fixed_size 0
		.amdhsa_private_segment_fixed_size 0
		.amdhsa_kernarg_size 136
		.amdhsa_user_sgpr_count 6
		.amdhsa_user_sgpr_private_segment_buffer 1
		.amdhsa_user_sgpr_dispatch_ptr 0
		.amdhsa_user_sgpr_queue_ptr 0
		.amdhsa_user_sgpr_kernarg_segment_ptr 1
		.amdhsa_user_sgpr_dispatch_id 0
		.amdhsa_user_sgpr_flat_scratch_init 0
		.amdhsa_user_sgpr_private_segment_size 0
		.amdhsa_wavefront_size32 1
		.amdhsa_uses_dynamic_stack 0
		.amdhsa_system_sgpr_private_segment_wavefront_offset 0
		.amdhsa_system_sgpr_workgroup_id_x 1
		.amdhsa_system_sgpr_workgroup_id_y 0
		.amdhsa_system_sgpr_workgroup_id_z 0
		.amdhsa_system_sgpr_workgroup_info 0
		.amdhsa_system_vgpr_workitem_id 0
		.amdhsa_next_free_vgpr 1
		.amdhsa_next_free_sgpr 1
		.amdhsa_reserve_vcc 0
		.amdhsa_reserve_flat_scratch 0
		.amdhsa_float_round_mode_32 0
		.amdhsa_float_round_mode_16_64 0
		.amdhsa_float_denorm_mode_32 3
		.amdhsa_float_denorm_mode_16_64 3
		.amdhsa_dx10_clamp 1
		.amdhsa_ieee_mode 1
		.amdhsa_fp16_overflow 0
		.amdhsa_workgroup_processor_mode 1
		.amdhsa_memory_ordered 1
		.amdhsa_forward_progress 1
		.amdhsa_shared_vgpr_count 0
		.amdhsa_exception_fp_ieee_invalid_op 0
		.amdhsa_exception_fp_denorm_src 0
		.amdhsa_exception_fp_ieee_div_zero 0
		.amdhsa_exception_fp_ieee_overflow 0
		.amdhsa_exception_fp_ieee_underflow 0
		.amdhsa_exception_fp_ieee_inexact 0
		.amdhsa_exception_int_div_zero 0
	.end_amdhsa_kernel
	.section	.text._ZN7rocprim17ROCPRIM_400000_NS6detail17trampoline_kernelINS0_14default_configENS1_27scan_by_key_config_selectorIiyEEZZNS1_16scan_by_key_implILNS1_25lookback_scan_determinismE0ELb1ES3_N6thrust23THRUST_200600_302600_NS6detail15normal_iteratorINS9_10device_ptrIiEEEENSB_INSC_IyEEEESG_yNS9_4plusIvEENS9_8equal_toIvEEyEE10hipError_tPvRmT2_T3_T4_T5_mT6_T7_P12ihipStream_tbENKUlT_T0_E_clISt17integral_constantIbLb0EES11_EEDaSW_SX_EUlSW_E_NS1_11comp_targetILNS1_3genE0ELNS1_11target_archE4294967295ELNS1_3gpuE0ELNS1_3repE0EEENS1_30default_config_static_selectorELNS0_4arch9wavefront6targetE0EEEvT1_,"axG",@progbits,_ZN7rocprim17ROCPRIM_400000_NS6detail17trampoline_kernelINS0_14default_configENS1_27scan_by_key_config_selectorIiyEEZZNS1_16scan_by_key_implILNS1_25lookback_scan_determinismE0ELb1ES3_N6thrust23THRUST_200600_302600_NS6detail15normal_iteratorINS9_10device_ptrIiEEEENSB_INSC_IyEEEESG_yNS9_4plusIvEENS9_8equal_toIvEEyEE10hipError_tPvRmT2_T3_T4_T5_mT6_T7_P12ihipStream_tbENKUlT_T0_E_clISt17integral_constantIbLb0EES11_EEDaSW_SX_EUlSW_E_NS1_11comp_targetILNS1_3genE0ELNS1_11target_archE4294967295ELNS1_3gpuE0ELNS1_3repE0EEENS1_30default_config_static_selectorELNS0_4arch9wavefront6targetE0EEEvT1_,comdat
.Lfunc_end1463:
	.size	_ZN7rocprim17ROCPRIM_400000_NS6detail17trampoline_kernelINS0_14default_configENS1_27scan_by_key_config_selectorIiyEEZZNS1_16scan_by_key_implILNS1_25lookback_scan_determinismE0ELb1ES3_N6thrust23THRUST_200600_302600_NS6detail15normal_iteratorINS9_10device_ptrIiEEEENSB_INSC_IyEEEESG_yNS9_4plusIvEENS9_8equal_toIvEEyEE10hipError_tPvRmT2_T3_T4_T5_mT6_T7_P12ihipStream_tbENKUlT_T0_E_clISt17integral_constantIbLb0EES11_EEDaSW_SX_EUlSW_E_NS1_11comp_targetILNS1_3genE0ELNS1_11target_archE4294967295ELNS1_3gpuE0ELNS1_3repE0EEENS1_30default_config_static_selectorELNS0_4arch9wavefront6targetE0EEEvT1_, .Lfunc_end1463-_ZN7rocprim17ROCPRIM_400000_NS6detail17trampoline_kernelINS0_14default_configENS1_27scan_by_key_config_selectorIiyEEZZNS1_16scan_by_key_implILNS1_25lookback_scan_determinismE0ELb1ES3_N6thrust23THRUST_200600_302600_NS6detail15normal_iteratorINS9_10device_ptrIiEEEENSB_INSC_IyEEEESG_yNS9_4plusIvEENS9_8equal_toIvEEyEE10hipError_tPvRmT2_T3_T4_T5_mT6_T7_P12ihipStream_tbENKUlT_T0_E_clISt17integral_constantIbLb0EES11_EEDaSW_SX_EUlSW_E_NS1_11comp_targetILNS1_3genE0ELNS1_11target_archE4294967295ELNS1_3gpuE0ELNS1_3repE0EEENS1_30default_config_static_selectorELNS0_4arch9wavefront6targetE0EEEvT1_
                                        ; -- End function
	.set _ZN7rocprim17ROCPRIM_400000_NS6detail17trampoline_kernelINS0_14default_configENS1_27scan_by_key_config_selectorIiyEEZZNS1_16scan_by_key_implILNS1_25lookback_scan_determinismE0ELb1ES3_N6thrust23THRUST_200600_302600_NS6detail15normal_iteratorINS9_10device_ptrIiEEEENSB_INSC_IyEEEESG_yNS9_4plusIvEENS9_8equal_toIvEEyEE10hipError_tPvRmT2_T3_T4_T5_mT6_T7_P12ihipStream_tbENKUlT_T0_E_clISt17integral_constantIbLb0EES11_EEDaSW_SX_EUlSW_E_NS1_11comp_targetILNS1_3genE0ELNS1_11target_archE4294967295ELNS1_3gpuE0ELNS1_3repE0EEENS1_30default_config_static_selectorELNS0_4arch9wavefront6targetE0EEEvT1_.num_vgpr, 0
	.set _ZN7rocprim17ROCPRIM_400000_NS6detail17trampoline_kernelINS0_14default_configENS1_27scan_by_key_config_selectorIiyEEZZNS1_16scan_by_key_implILNS1_25lookback_scan_determinismE0ELb1ES3_N6thrust23THRUST_200600_302600_NS6detail15normal_iteratorINS9_10device_ptrIiEEEENSB_INSC_IyEEEESG_yNS9_4plusIvEENS9_8equal_toIvEEyEE10hipError_tPvRmT2_T3_T4_T5_mT6_T7_P12ihipStream_tbENKUlT_T0_E_clISt17integral_constantIbLb0EES11_EEDaSW_SX_EUlSW_E_NS1_11comp_targetILNS1_3genE0ELNS1_11target_archE4294967295ELNS1_3gpuE0ELNS1_3repE0EEENS1_30default_config_static_selectorELNS0_4arch9wavefront6targetE0EEEvT1_.num_agpr, 0
	.set _ZN7rocprim17ROCPRIM_400000_NS6detail17trampoline_kernelINS0_14default_configENS1_27scan_by_key_config_selectorIiyEEZZNS1_16scan_by_key_implILNS1_25lookback_scan_determinismE0ELb1ES3_N6thrust23THRUST_200600_302600_NS6detail15normal_iteratorINS9_10device_ptrIiEEEENSB_INSC_IyEEEESG_yNS9_4plusIvEENS9_8equal_toIvEEyEE10hipError_tPvRmT2_T3_T4_T5_mT6_T7_P12ihipStream_tbENKUlT_T0_E_clISt17integral_constantIbLb0EES11_EEDaSW_SX_EUlSW_E_NS1_11comp_targetILNS1_3genE0ELNS1_11target_archE4294967295ELNS1_3gpuE0ELNS1_3repE0EEENS1_30default_config_static_selectorELNS0_4arch9wavefront6targetE0EEEvT1_.numbered_sgpr, 0
	.set _ZN7rocprim17ROCPRIM_400000_NS6detail17trampoline_kernelINS0_14default_configENS1_27scan_by_key_config_selectorIiyEEZZNS1_16scan_by_key_implILNS1_25lookback_scan_determinismE0ELb1ES3_N6thrust23THRUST_200600_302600_NS6detail15normal_iteratorINS9_10device_ptrIiEEEENSB_INSC_IyEEEESG_yNS9_4plusIvEENS9_8equal_toIvEEyEE10hipError_tPvRmT2_T3_T4_T5_mT6_T7_P12ihipStream_tbENKUlT_T0_E_clISt17integral_constantIbLb0EES11_EEDaSW_SX_EUlSW_E_NS1_11comp_targetILNS1_3genE0ELNS1_11target_archE4294967295ELNS1_3gpuE0ELNS1_3repE0EEENS1_30default_config_static_selectorELNS0_4arch9wavefront6targetE0EEEvT1_.num_named_barrier, 0
	.set _ZN7rocprim17ROCPRIM_400000_NS6detail17trampoline_kernelINS0_14default_configENS1_27scan_by_key_config_selectorIiyEEZZNS1_16scan_by_key_implILNS1_25lookback_scan_determinismE0ELb1ES3_N6thrust23THRUST_200600_302600_NS6detail15normal_iteratorINS9_10device_ptrIiEEEENSB_INSC_IyEEEESG_yNS9_4plusIvEENS9_8equal_toIvEEyEE10hipError_tPvRmT2_T3_T4_T5_mT6_T7_P12ihipStream_tbENKUlT_T0_E_clISt17integral_constantIbLb0EES11_EEDaSW_SX_EUlSW_E_NS1_11comp_targetILNS1_3genE0ELNS1_11target_archE4294967295ELNS1_3gpuE0ELNS1_3repE0EEENS1_30default_config_static_selectorELNS0_4arch9wavefront6targetE0EEEvT1_.private_seg_size, 0
	.set _ZN7rocprim17ROCPRIM_400000_NS6detail17trampoline_kernelINS0_14default_configENS1_27scan_by_key_config_selectorIiyEEZZNS1_16scan_by_key_implILNS1_25lookback_scan_determinismE0ELb1ES3_N6thrust23THRUST_200600_302600_NS6detail15normal_iteratorINS9_10device_ptrIiEEEENSB_INSC_IyEEEESG_yNS9_4plusIvEENS9_8equal_toIvEEyEE10hipError_tPvRmT2_T3_T4_T5_mT6_T7_P12ihipStream_tbENKUlT_T0_E_clISt17integral_constantIbLb0EES11_EEDaSW_SX_EUlSW_E_NS1_11comp_targetILNS1_3genE0ELNS1_11target_archE4294967295ELNS1_3gpuE0ELNS1_3repE0EEENS1_30default_config_static_selectorELNS0_4arch9wavefront6targetE0EEEvT1_.uses_vcc, 0
	.set _ZN7rocprim17ROCPRIM_400000_NS6detail17trampoline_kernelINS0_14default_configENS1_27scan_by_key_config_selectorIiyEEZZNS1_16scan_by_key_implILNS1_25lookback_scan_determinismE0ELb1ES3_N6thrust23THRUST_200600_302600_NS6detail15normal_iteratorINS9_10device_ptrIiEEEENSB_INSC_IyEEEESG_yNS9_4plusIvEENS9_8equal_toIvEEyEE10hipError_tPvRmT2_T3_T4_T5_mT6_T7_P12ihipStream_tbENKUlT_T0_E_clISt17integral_constantIbLb0EES11_EEDaSW_SX_EUlSW_E_NS1_11comp_targetILNS1_3genE0ELNS1_11target_archE4294967295ELNS1_3gpuE0ELNS1_3repE0EEENS1_30default_config_static_selectorELNS0_4arch9wavefront6targetE0EEEvT1_.uses_flat_scratch, 0
	.set _ZN7rocprim17ROCPRIM_400000_NS6detail17trampoline_kernelINS0_14default_configENS1_27scan_by_key_config_selectorIiyEEZZNS1_16scan_by_key_implILNS1_25lookback_scan_determinismE0ELb1ES3_N6thrust23THRUST_200600_302600_NS6detail15normal_iteratorINS9_10device_ptrIiEEEENSB_INSC_IyEEEESG_yNS9_4plusIvEENS9_8equal_toIvEEyEE10hipError_tPvRmT2_T3_T4_T5_mT6_T7_P12ihipStream_tbENKUlT_T0_E_clISt17integral_constantIbLb0EES11_EEDaSW_SX_EUlSW_E_NS1_11comp_targetILNS1_3genE0ELNS1_11target_archE4294967295ELNS1_3gpuE0ELNS1_3repE0EEENS1_30default_config_static_selectorELNS0_4arch9wavefront6targetE0EEEvT1_.has_dyn_sized_stack, 0
	.set _ZN7rocprim17ROCPRIM_400000_NS6detail17trampoline_kernelINS0_14default_configENS1_27scan_by_key_config_selectorIiyEEZZNS1_16scan_by_key_implILNS1_25lookback_scan_determinismE0ELb1ES3_N6thrust23THRUST_200600_302600_NS6detail15normal_iteratorINS9_10device_ptrIiEEEENSB_INSC_IyEEEESG_yNS9_4plusIvEENS9_8equal_toIvEEyEE10hipError_tPvRmT2_T3_T4_T5_mT6_T7_P12ihipStream_tbENKUlT_T0_E_clISt17integral_constantIbLb0EES11_EEDaSW_SX_EUlSW_E_NS1_11comp_targetILNS1_3genE0ELNS1_11target_archE4294967295ELNS1_3gpuE0ELNS1_3repE0EEENS1_30default_config_static_selectorELNS0_4arch9wavefront6targetE0EEEvT1_.has_recursion, 0
	.set _ZN7rocprim17ROCPRIM_400000_NS6detail17trampoline_kernelINS0_14default_configENS1_27scan_by_key_config_selectorIiyEEZZNS1_16scan_by_key_implILNS1_25lookback_scan_determinismE0ELb1ES3_N6thrust23THRUST_200600_302600_NS6detail15normal_iteratorINS9_10device_ptrIiEEEENSB_INSC_IyEEEESG_yNS9_4plusIvEENS9_8equal_toIvEEyEE10hipError_tPvRmT2_T3_T4_T5_mT6_T7_P12ihipStream_tbENKUlT_T0_E_clISt17integral_constantIbLb0EES11_EEDaSW_SX_EUlSW_E_NS1_11comp_targetILNS1_3genE0ELNS1_11target_archE4294967295ELNS1_3gpuE0ELNS1_3repE0EEENS1_30default_config_static_selectorELNS0_4arch9wavefront6targetE0EEEvT1_.has_indirect_call, 0
	.section	.AMDGPU.csdata,"",@progbits
; Kernel info:
; codeLenInByte = 0
; TotalNumSgprs: 0
; NumVgprs: 0
; ScratchSize: 0
; MemoryBound: 0
; FloatMode: 240
; IeeeMode: 1
; LDSByteSize: 0 bytes/workgroup (compile time only)
; SGPRBlocks: 0
; VGPRBlocks: 0
; NumSGPRsForWavesPerEU: 1
; NumVGPRsForWavesPerEU: 1
; Occupancy: 16
; WaveLimiterHint : 0
; COMPUTE_PGM_RSRC2:SCRATCH_EN: 0
; COMPUTE_PGM_RSRC2:USER_SGPR: 6
; COMPUTE_PGM_RSRC2:TRAP_HANDLER: 0
; COMPUTE_PGM_RSRC2:TGID_X_EN: 1
; COMPUTE_PGM_RSRC2:TGID_Y_EN: 0
; COMPUTE_PGM_RSRC2:TGID_Z_EN: 0
; COMPUTE_PGM_RSRC2:TIDIG_COMP_CNT: 0
	.section	.text._ZN7rocprim17ROCPRIM_400000_NS6detail17trampoline_kernelINS0_14default_configENS1_27scan_by_key_config_selectorIiyEEZZNS1_16scan_by_key_implILNS1_25lookback_scan_determinismE0ELb1ES3_N6thrust23THRUST_200600_302600_NS6detail15normal_iteratorINS9_10device_ptrIiEEEENSB_INSC_IyEEEESG_yNS9_4plusIvEENS9_8equal_toIvEEyEE10hipError_tPvRmT2_T3_T4_T5_mT6_T7_P12ihipStream_tbENKUlT_T0_E_clISt17integral_constantIbLb0EES11_EEDaSW_SX_EUlSW_E_NS1_11comp_targetILNS1_3genE10ELNS1_11target_archE1201ELNS1_3gpuE5ELNS1_3repE0EEENS1_30default_config_static_selectorELNS0_4arch9wavefront6targetE0EEEvT1_,"axG",@progbits,_ZN7rocprim17ROCPRIM_400000_NS6detail17trampoline_kernelINS0_14default_configENS1_27scan_by_key_config_selectorIiyEEZZNS1_16scan_by_key_implILNS1_25lookback_scan_determinismE0ELb1ES3_N6thrust23THRUST_200600_302600_NS6detail15normal_iteratorINS9_10device_ptrIiEEEENSB_INSC_IyEEEESG_yNS9_4plusIvEENS9_8equal_toIvEEyEE10hipError_tPvRmT2_T3_T4_T5_mT6_T7_P12ihipStream_tbENKUlT_T0_E_clISt17integral_constantIbLb0EES11_EEDaSW_SX_EUlSW_E_NS1_11comp_targetILNS1_3genE10ELNS1_11target_archE1201ELNS1_3gpuE5ELNS1_3repE0EEENS1_30default_config_static_selectorELNS0_4arch9wavefront6targetE0EEEvT1_,comdat
	.protected	_ZN7rocprim17ROCPRIM_400000_NS6detail17trampoline_kernelINS0_14default_configENS1_27scan_by_key_config_selectorIiyEEZZNS1_16scan_by_key_implILNS1_25lookback_scan_determinismE0ELb1ES3_N6thrust23THRUST_200600_302600_NS6detail15normal_iteratorINS9_10device_ptrIiEEEENSB_INSC_IyEEEESG_yNS9_4plusIvEENS9_8equal_toIvEEyEE10hipError_tPvRmT2_T3_T4_T5_mT6_T7_P12ihipStream_tbENKUlT_T0_E_clISt17integral_constantIbLb0EES11_EEDaSW_SX_EUlSW_E_NS1_11comp_targetILNS1_3genE10ELNS1_11target_archE1201ELNS1_3gpuE5ELNS1_3repE0EEENS1_30default_config_static_selectorELNS0_4arch9wavefront6targetE0EEEvT1_ ; -- Begin function _ZN7rocprim17ROCPRIM_400000_NS6detail17trampoline_kernelINS0_14default_configENS1_27scan_by_key_config_selectorIiyEEZZNS1_16scan_by_key_implILNS1_25lookback_scan_determinismE0ELb1ES3_N6thrust23THRUST_200600_302600_NS6detail15normal_iteratorINS9_10device_ptrIiEEEENSB_INSC_IyEEEESG_yNS9_4plusIvEENS9_8equal_toIvEEyEE10hipError_tPvRmT2_T3_T4_T5_mT6_T7_P12ihipStream_tbENKUlT_T0_E_clISt17integral_constantIbLb0EES11_EEDaSW_SX_EUlSW_E_NS1_11comp_targetILNS1_3genE10ELNS1_11target_archE1201ELNS1_3gpuE5ELNS1_3repE0EEENS1_30default_config_static_selectorELNS0_4arch9wavefront6targetE0EEEvT1_
	.globl	_ZN7rocprim17ROCPRIM_400000_NS6detail17trampoline_kernelINS0_14default_configENS1_27scan_by_key_config_selectorIiyEEZZNS1_16scan_by_key_implILNS1_25lookback_scan_determinismE0ELb1ES3_N6thrust23THRUST_200600_302600_NS6detail15normal_iteratorINS9_10device_ptrIiEEEENSB_INSC_IyEEEESG_yNS9_4plusIvEENS9_8equal_toIvEEyEE10hipError_tPvRmT2_T3_T4_T5_mT6_T7_P12ihipStream_tbENKUlT_T0_E_clISt17integral_constantIbLb0EES11_EEDaSW_SX_EUlSW_E_NS1_11comp_targetILNS1_3genE10ELNS1_11target_archE1201ELNS1_3gpuE5ELNS1_3repE0EEENS1_30default_config_static_selectorELNS0_4arch9wavefront6targetE0EEEvT1_
	.p2align	8
	.type	_ZN7rocprim17ROCPRIM_400000_NS6detail17trampoline_kernelINS0_14default_configENS1_27scan_by_key_config_selectorIiyEEZZNS1_16scan_by_key_implILNS1_25lookback_scan_determinismE0ELb1ES3_N6thrust23THRUST_200600_302600_NS6detail15normal_iteratorINS9_10device_ptrIiEEEENSB_INSC_IyEEEESG_yNS9_4plusIvEENS9_8equal_toIvEEyEE10hipError_tPvRmT2_T3_T4_T5_mT6_T7_P12ihipStream_tbENKUlT_T0_E_clISt17integral_constantIbLb0EES11_EEDaSW_SX_EUlSW_E_NS1_11comp_targetILNS1_3genE10ELNS1_11target_archE1201ELNS1_3gpuE5ELNS1_3repE0EEENS1_30default_config_static_selectorELNS0_4arch9wavefront6targetE0EEEvT1_,@function
_ZN7rocprim17ROCPRIM_400000_NS6detail17trampoline_kernelINS0_14default_configENS1_27scan_by_key_config_selectorIiyEEZZNS1_16scan_by_key_implILNS1_25lookback_scan_determinismE0ELb1ES3_N6thrust23THRUST_200600_302600_NS6detail15normal_iteratorINS9_10device_ptrIiEEEENSB_INSC_IyEEEESG_yNS9_4plusIvEENS9_8equal_toIvEEyEE10hipError_tPvRmT2_T3_T4_T5_mT6_T7_P12ihipStream_tbENKUlT_T0_E_clISt17integral_constantIbLb0EES11_EEDaSW_SX_EUlSW_E_NS1_11comp_targetILNS1_3genE10ELNS1_11target_archE1201ELNS1_3gpuE5ELNS1_3repE0EEENS1_30default_config_static_selectorELNS0_4arch9wavefront6targetE0EEEvT1_: ; @_ZN7rocprim17ROCPRIM_400000_NS6detail17trampoline_kernelINS0_14default_configENS1_27scan_by_key_config_selectorIiyEEZZNS1_16scan_by_key_implILNS1_25lookback_scan_determinismE0ELb1ES3_N6thrust23THRUST_200600_302600_NS6detail15normal_iteratorINS9_10device_ptrIiEEEENSB_INSC_IyEEEESG_yNS9_4plusIvEENS9_8equal_toIvEEyEE10hipError_tPvRmT2_T3_T4_T5_mT6_T7_P12ihipStream_tbENKUlT_T0_E_clISt17integral_constantIbLb0EES11_EEDaSW_SX_EUlSW_E_NS1_11comp_targetILNS1_3genE10ELNS1_11target_archE1201ELNS1_3gpuE5ELNS1_3repE0EEENS1_30default_config_static_selectorELNS0_4arch9wavefront6targetE0EEEvT1_
; %bb.0:
	.section	.rodata,"a",@progbits
	.p2align	6, 0x0
	.amdhsa_kernel _ZN7rocprim17ROCPRIM_400000_NS6detail17trampoline_kernelINS0_14default_configENS1_27scan_by_key_config_selectorIiyEEZZNS1_16scan_by_key_implILNS1_25lookback_scan_determinismE0ELb1ES3_N6thrust23THRUST_200600_302600_NS6detail15normal_iteratorINS9_10device_ptrIiEEEENSB_INSC_IyEEEESG_yNS9_4plusIvEENS9_8equal_toIvEEyEE10hipError_tPvRmT2_T3_T4_T5_mT6_T7_P12ihipStream_tbENKUlT_T0_E_clISt17integral_constantIbLb0EES11_EEDaSW_SX_EUlSW_E_NS1_11comp_targetILNS1_3genE10ELNS1_11target_archE1201ELNS1_3gpuE5ELNS1_3repE0EEENS1_30default_config_static_selectorELNS0_4arch9wavefront6targetE0EEEvT1_
		.amdhsa_group_segment_fixed_size 0
		.amdhsa_private_segment_fixed_size 0
		.amdhsa_kernarg_size 136
		.amdhsa_user_sgpr_count 6
		.amdhsa_user_sgpr_private_segment_buffer 1
		.amdhsa_user_sgpr_dispatch_ptr 0
		.amdhsa_user_sgpr_queue_ptr 0
		.amdhsa_user_sgpr_kernarg_segment_ptr 1
		.amdhsa_user_sgpr_dispatch_id 0
		.amdhsa_user_sgpr_flat_scratch_init 0
		.amdhsa_user_sgpr_private_segment_size 0
		.amdhsa_wavefront_size32 1
		.amdhsa_uses_dynamic_stack 0
		.amdhsa_system_sgpr_private_segment_wavefront_offset 0
		.amdhsa_system_sgpr_workgroup_id_x 1
		.amdhsa_system_sgpr_workgroup_id_y 0
		.amdhsa_system_sgpr_workgroup_id_z 0
		.amdhsa_system_sgpr_workgroup_info 0
		.amdhsa_system_vgpr_workitem_id 0
		.amdhsa_next_free_vgpr 1
		.amdhsa_next_free_sgpr 1
		.amdhsa_reserve_vcc 0
		.amdhsa_reserve_flat_scratch 0
		.amdhsa_float_round_mode_32 0
		.amdhsa_float_round_mode_16_64 0
		.amdhsa_float_denorm_mode_32 3
		.amdhsa_float_denorm_mode_16_64 3
		.amdhsa_dx10_clamp 1
		.amdhsa_ieee_mode 1
		.amdhsa_fp16_overflow 0
		.amdhsa_workgroup_processor_mode 1
		.amdhsa_memory_ordered 1
		.amdhsa_forward_progress 1
		.amdhsa_shared_vgpr_count 0
		.amdhsa_exception_fp_ieee_invalid_op 0
		.amdhsa_exception_fp_denorm_src 0
		.amdhsa_exception_fp_ieee_div_zero 0
		.amdhsa_exception_fp_ieee_overflow 0
		.amdhsa_exception_fp_ieee_underflow 0
		.amdhsa_exception_fp_ieee_inexact 0
		.amdhsa_exception_int_div_zero 0
	.end_amdhsa_kernel
	.section	.text._ZN7rocprim17ROCPRIM_400000_NS6detail17trampoline_kernelINS0_14default_configENS1_27scan_by_key_config_selectorIiyEEZZNS1_16scan_by_key_implILNS1_25lookback_scan_determinismE0ELb1ES3_N6thrust23THRUST_200600_302600_NS6detail15normal_iteratorINS9_10device_ptrIiEEEENSB_INSC_IyEEEESG_yNS9_4plusIvEENS9_8equal_toIvEEyEE10hipError_tPvRmT2_T3_T4_T5_mT6_T7_P12ihipStream_tbENKUlT_T0_E_clISt17integral_constantIbLb0EES11_EEDaSW_SX_EUlSW_E_NS1_11comp_targetILNS1_3genE10ELNS1_11target_archE1201ELNS1_3gpuE5ELNS1_3repE0EEENS1_30default_config_static_selectorELNS0_4arch9wavefront6targetE0EEEvT1_,"axG",@progbits,_ZN7rocprim17ROCPRIM_400000_NS6detail17trampoline_kernelINS0_14default_configENS1_27scan_by_key_config_selectorIiyEEZZNS1_16scan_by_key_implILNS1_25lookback_scan_determinismE0ELb1ES3_N6thrust23THRUST_200600_302600_NS6detail15normal_iteratorINS9_10device_ptrIiEEEENSB_INSC_IyEEEESG_yNS9_4plusIvEENS9_8equal_toIvEEyEE10hipError_tPvRmT2_T3_T4_T5_mT6_T7_P12ihipStream_tbENKUlT_T0_E_clISt17integral_constantIbLb0EES11_EEDaSW_SX_EUlSW_E_NS1_11comp_targetILNS1_3genE10ELNS1_11target_archE1201ELNS1_3gpuE5ELNS1_3repE0EEENS1_30default_config_static_selectorELNS0_4arch9wavefront6targetE0EEEvT1_,comdat
.Lfunc_end1464:
	.size	_ZN7rocprim17ROCPRIM_400000_NS6detail17trampoline_kernelINS0_14default_configENS1_27scan_by_key_config_selectorIiyEEZZNS1_16scan_by_key_implILNS1_25lookback_scan_determinismE0ELb1ES3_N6thrust23THRUST_200600_302600_NS6detail15normal_iteratorINS9_10device_ptrIiEEEENSB_INSC_IyEEEESG_yNS9_4plusIvEENS9_8equal_toIvEEyEE10hipError_tPvRmT2_T3_T4_T5_mT6_T7_P12ihipStream_tbENKUlT_T0_E_clISt17integral_constantIbLb0EES11_EEDaSW_SX_EUlSW_E_NS1_11comp_targetILNS1_3genE10ELNS1_11target_archE1201ELNS1_3gpuE5ELNS1_3repE0EEENS1_30default_config_static_selectorELNS0_4arch9wavefront6targetE0EEEvT1_, .Lfunc_end1464-_ZN7rocprim17ROCPRIM_400000_NS6detail17trampoline_kernelINS0_14default_configENS1_27scan_by_key_config_selectorIiyEEZZNS1_16scan_by_key_implILNS1_25lookback_scan_determinismE0ELb1ES3_N6thrust23THRUST_200600_302600_NS6detail15normal_iteratorINS9_10device_ptrIiEEEENSB_INSC_IyEEEESG_yNS9_4plusIvEENS9_8equal_toIvEEyEE10hipError_tPvRmT2_T3_T4_T5_mT6_T7_P12ihipStream_tbENKUlT_T0_E_clISt17integral_constantIbLb0EES11_EEDaSW_SX_EUlSW_E_NS1_11comp_targetILNS1_3genE10ELNS1_11target_archE1201ELNS1_3gpuE5ELNS1_3repE0EEENS1_30default_config_static_selectorELNS0_4arch9wavefront6targetE0EEEvT1_
                                        ; -- End function
	.set _ZN7rocprim17ROCPRIM_400000_NS6detail17trampoline_kernelINS0_14default_configENS1_27scan_by_key_config_selectorIiyEEZZNS1_16scan_by_key_implILNS1_25lookback_scan_determinismE0ELb1ES3_N6thrust23THRUST_200600_302600_NS6detail15normal_iteratorINS9_10device_ptrIiEEEENSB_INSC_IyEEEESG_yNS9_4plusIvEENS9_8equal_toIvEEyEE10hipError_tPvRmT2_T3_T4_T5_mT6_T7_P12ihipStream_tbENKUlT_T0_E_clISt17integral_constantIbLb0EES11_EEDaSW_SX_EUlSW_E_NS1_11comp_targetILNS1_3genE10ELNS1_11target_archE1201ELNS1_3gpuE5ELNS1_3repE0EEENS1_30default_config_static_selectorELNS0_4arch9wavefront6targetE0EEEvT1_.num_vgpr, 0
	.set _ZN7rocprim17ROCPRIM_400000_NS6detail17trampoline_kernelINS0_14default_configENS1_27scan_by_key_config_selectorIiyEEZZNS1_16scan_by_key_implILNS1_25lookback_scan_determinismE0ELb1ES3_N6thrust23THRUST_200600_302600_NS6detail15normal_iteratorINS9_10device_ptrIiEEEENSB_INSC_IyEEEESG_yNS9_4plusIvEENS9_8equal_toIvEEyEE10hipError_tPvRmT2_T3_T4_T5_mT6_T7_P12ihipStream_tbENKUlT_T0_E_clISt17integral_constantIbLb0EES11_EEDaSW_SX_EUlSW_E_NS1_11comp_targetILNS1_3genE10ELNS1_11target_archE1201ELNS1_3gpuE5ELNS1_3repE0EEENS1_30default_config_static_selectorELNS0_4arch9wavefront6targetE0EEEvT1_.num_agpr, 0
	.set _ZN7rocprim17ROCPRIM_400000_NS6detail17trampoline_kernelINS0_14default_configENS1_27scan_by_key_config_selectorIiyEEZZNS1_16scan_by_key_implILNS1_25lookback_scan_determinismE0ELb1ES3_N6thrust23THRUST_200600_302600_NS6detail15normal_iteratorINS9_10device_ptrIiEEEENSB_INSC_IyEEEESG_yNS9_4plusIvEENS9_8equal_toIvEEyEE10hipError_tPvRmT2_T3_T4_T5_mT6_T7_P12ihipStream_tbENKUlT_T0_E_clISt17integral_constantIbLb0EES11_EEDaSW_SX_EUlSW_E_NS1_11comp_targetILNS1_3genE10ELNS1_11target_archE1201ELNS1_3gpuE5ELNS1_3repE0EEENS1_30default_config_static_selectorELNS0_4arch9wavefront6targetE0EEEvT1_.numbered_sgpr, 0
	.set _ZN7rocprim17ROCPRIM_400000_NS6detail17trampoline_kernelINS0_14default_configENS1_27scan_by_key_config_selectorIiyEEZZNS1_16scan_by_key_implILNS1_25lookback_scan_determinismE0ELb1ES3_N6thrust23THRUST_200600_302600_NS6detail15normal_iteratorINS9_10device_ptrIiEEEENSB_INSC_IyEEEESG_yNS9_4plusIvEENS9_8equal_toIvEEyEE10hipError_tPvRmT2_T3_T4_T5_mT6_T7_P12ihipStream_tbENKUlT_T0_E_clISt17integral_constantIbLb0EES11_EEDaSW_SX_EUlSW_E_NS1_11comp_targetILNS1_3genE10ELNS1_11target_archE1201ELNS1_3gpuE5ELNS1_3repE0EEENS1_30default_config_static_selectorELNS0_4arch9wavefront6targetE0EEEvT1_.num_named_barrier, 0
	.set _ZN7rocprim17ROCPRIM_400000_NS6detail17trampoline_kernelINS0_14default_configENS1_27scan_by_key_config_selectorIiyEEZZNS1_16scan_by_key_implILNS1_25lookback_scan_determinismE0ELb1ES3_N6thrust23THRUST_200600_302600_NS6detail15normal_iteratorINS9_10device_ptrIiEEEENSB_INSC_IyEEEESG_yNS9_4plusIvEENS9_8equal_toIvEEyEE10hipError_tPvRmT2_T3_T4_T5_mT6_T7_P12ihipStream_tbENKUlT_T0_E_clISt17integral_constantIbLb0EES11_EEDaSW_SX_EUlSW_E_NS1_11comp_targetILNS1_3genE10ELNS1_11target_archE1201ELNS1_3gpuE5ELNS1_3repE0EEENS1_30default_config_static_selectorELNS0_4arch9wavefront6targetE0EEEvT1_.private_seg_size, 0
	.set _ZN7rocprim17ROCPRIM_400000_NS6detail17trampoline_kernelINS0_14default_configENS1_27scan_by_key_config_selectorIiyEEZZNS1_16scan_by_key_implILNS1_25lookback_scan_determinismE0ELb1ES3_N6thrust23THRUST_200600_302600_NS6detail15normal_iteratorINS9_10device_ptrIiEEEENSB_INSC_IyEEEESG_yNS9_4plusIvEENS9_8equal_toIvEEyEE10hipError_tPvRmT2_T3_T4_T5_mT6_T7_P12ihipStream_tbENKUlT_T0_E_clISt17integral_constantIbLb0EES11_EEDaSW_SX_EUlSW_E_NS1_11comp_targetILNS1_3genE10ELNS1_11target_archE1201ELNS1_3gpuE5ELNS1_3repE0EEENS1_30default_config_static_selectorELNS0_4arch9wavefront6targetE0EEEvT1_.uses_vcc, 0
	.set _ZN7rocprim17ROCPRIM_400000_NS6detail17trampoline_kernelINS0_14default_configENS1_27scan_by_key_config_selectorIiyEEZZNS1_16scan_by_key_implILNS1_25lookback_scan_determinismE0ELb1ES3_N6thrust23THRUST_200600_302600_NS6detail15normal_iteratorINS9_10device_ptrIiEEEENSB_INSC_IyEEEESG_yNS9_4plusIvEENS9_8equal_toIvEEyEE10hipError_tPvRmT2_T3_T4_T5_mT6_T7_P12ihipStream_tbENKUlT_T0_E_clISt17integral_constantIbLb0EES11_EEDaSW_SX_EUlSW_E_NS1_11comp_targetILNS1_3genE10ELNS1_11target_archE1201ELNS1_3gpuE5ELNS1_3repE0EEENS1_30default_config_static_selectorELNS0_4arch9wavefront6targetE0EEEvT1_.uses_flat_scratch, 0
	.set _ZN7rocprim17ROCPRIM_400000_NS6detail17trampoline_kernelINS0_14default_configENS1_27scan_by_key_config_selectorIiyEEZZNS1_16scan_by_key_implILNS1_25lookback_scan_determinismE0ELb1ES3_N6thrust23THRUST_200600_302600_NS6detail15normal_iteratorINS9_10device_ptrIiEEEENSB_INSC_IyEEEESG_yNS9_4plusIvEENS9_8equal_toIvEEyEE10hipError_tPvRmT2_T3_T4_T5_mT6_T7_P12ihipStream_tbENKUlT_T0_E_clISt17integral_constantIbLb0EES11_EEDaSW_SX_EUlSW_E_NS1_11comp_targetILNS1_3genE10ELNS1_11target_archE1201ELNS1_3gpuE5ELNS1_3repE0EEENS1_30default_config_static_selectorELNS0_4arch9wavefront6targetE0EEEvT1_.has_dyn_sized_stack, 0
	.set _ZN7rocprim17ROCPRIM_400000_NS6detail17trampoline_kernelINS0_14default_configENS1_27scan_by_key_config_selectorIiyEEZZNS1_16scan_by_key_implILNS1_25lookback_scan_determinismE0ELb1ES3_N6thrust23THRUST_200600_302600_NS6detail15normal_iteratorINS9_10device_ptrIiEEEENSB_INSC_IyEEEESG_yNS9_4plusIvEENS9_8equal_toIvEEyEE10hipError_tPvRmT2_T3_T4_T5_mT6_T7_P12ihipStream_tbENKUlT_T0_E_clISt17integral_constantIbLb0EES11_EEDaSW_SX_EUlSW_E_NS1_11comp_targetILNS1_3genE10ELNS1_11target_archE1201ELNS1_3gpuE5ELNS1_3repE0EEENS1_30default_config_static_selectorELNS0_4arch9wavefront6targetE0EEEvT1_.has_recursion, 0
	.set _ZN7rocprim17ROCPRIM_400000_NS6detail17trampoline_kernelINS0_14default_configENS1_27scan_by_key_config_selectorIiyEEZZNS1_16scan_by_key_implILNS1_25lookback_scan_determinismE0ELb1ES3_N6thrust23THRUST_200600_302600_NS6detail15normal_iteratorINS9_10device_ptrIiEEEENSB_INSC_IyEEEESG_yNS9_4plusIvEENS9_8equal_toIvEEyEE10hipError_tPvRmT2_T3_T4_T5_mT6_T7_P12ihipStream_tbENKUlT_T0_E_clISt17integral_constantIbLb0EES11_EEDaSW_SX_EUlSW_E_NS1_11comp_targetILNS1_3genE10ELNS1_11target_archE1201ELNS1_3gpuE5ELNS1_3repE0EEENS1_30default_config_static_selectorELNS0_4arch9wavefront6targetE0EEEvT1_.has_indirect_call, 0
	.section	.AMDGPU.csdata,"",@progbits
; Kernel info:
; codeLenInByte = 0
; TotalNumSgprs: 0
; NumVgprs: 0
; ScratchSize: 0
; MemoryBound: 0
; FloatMode: 240
; IeeeMode: 1
; LDSByteSize: 0 bytes/workgroup (compile time only)
; SGPRBlocks: 0
; VGPRBlocks: 0
; NumSGPRsForWavesPerEU: 1
; NumVGPRsForWavesPerEU: 1
; Occupancy: 16
; WaveLimiterHint : 0
; COMPUTE_PGM_RSRC2:SCRATCH_EN: 0
; COMPUTE_PGM_RSRC2:USER_SGPR: 6
; COMPUTE_PGM_RSRC2:TRAP_HANDLER: 0
; COMPUTE_PGM_RSRC2:TGID_X_EN: 1
; COMPUTE_PGM_RSRC2:TGID_Y_EN: 0
; COMPUTE_PGM_RSRC2:TGID_Z_EN: 0
; COMPUTE_PGM_RSRC2:TIDIG_COMP_CNT: 0
	.section	.text._ZN7rocprim17ROCPRIM_400000_NS6detail17trampoline_kernelINS0_14default_configENS1_27scan_by_key_config_selectorIiyEEZZNS1_16scan_by_key_implILNS1_25lookback_scan_determinismE0ELb1ES3_N6thrust23THRUST_200600_302600_NS6detail15normal_iteratorINS9_10device_ptrIiEEEENSB_INSC_IyEEEESG_yNS9_4plusIvEENS9_8equal_toIvEEyEE10hipError_tPvRmT2_T3_T4_T5_mT6_T7_P12ihipStream_tbENKUlT_T0_E_clISt17integral_constantIbLb0EES11_EEDaSW_SX_EUlSW_E_NS1_11comp_targetILNS1_3genE5ELNS1_11target_archE942ELNS1_3gpuE9ELNS1_3repE0EEENS1_30default_config_static_selectorELNS0_4arch9wavefront6targetE0EEEvT1_,"axG",@progbits,_ZN7rocprim17ROCPRIM_400000_NS6detail17trampoline_kernelINS0_14default_configENS1_27scan_by_key_config_selectorIiyEEZZNS1_16scan_by_key_implILNS1_25lookback_scan_determinismE0ELb1ES3_N6thrust23THRUST_200600_302600_NS6detail15normal_iteratorINS9_10device_ptrIiEEEENSB_INSC_IyEEEESG_yNS9_4plusIvEENS9_8equal_toIvEEyEE10hipError_tPvRmT2_T3_T4_T5_mT6_T7_P12ihipStream_tbENKUlT_T0_E_clISt17integral_constantIbLb0EES11_EEDaSW_SX_EUlSW_E_NS1_11comp_targetILNS1_3genE5ELNS1_11target_archE942ELNS1_3gpuE9ELNS1_3repE0EEENS1_30default_config_static_selectorELNS0_4arch9wavefront6targetE0EEEvT1_,comdat
	.protected	_ZN7rocprim17ROCPRIM_400000_NS6detail17trampoline_kernelINS0_14default_configENS1_27scan_by_key_config_selectorIiyEEZZNS1_16scan_by_key_implILNS1_25lookback_scan_determinismE0ELb1ES3_N6thrust23THRUST_200600_302600_NS6detail15normal_iteratorINS9_10device_ptrIiEEEENSB_INSC_IyEEEESG_yNS9_4plusIvEENS9_8equal_toIvEEyEE10hipError_tPvRmT2_T3_T4_T5_mT6_T7_P12ihipStream_tbENKUlT_T0_E_clISt17integral_constantIbLb0EES11_EEDaSW_SX_EUlSW_E_NS1_11comp_targetILNS1_3genE5ELNS1_11target_archE942ELNS1_3gpuE9ELNS1_3repE0EEENS1_30default_config_static_selectorELNS0_4arch9wavefront6targetE0EEEvT1_ ; -- Begin function _ZN7rocprim17ROCPRIM_400000_NS6detail17trampoline_kernelINS0_14default_configENS1_27scan_by_key_config_selectorIiyEEZZNS1_16scan_by_key_implILNS1_25lookback_scan_determinismE0ELb1ES3_N6thrust23THRUST_200600_302600_NS6detail15normal_iteratorINS9_10device_ptrIiEEEENSB_INSC_IyEEEESG_yNS9_4plusIvEENS9_8equal_toIvEEyEE10hipError_tPvRmT2_T3_T4_T5_mT6_T7_P12ihipStream_tbENKUlT_T0_E_clISt17integral_constantIbLb0EES11_EEDaSW_SX_EUlSW_E_NS1_11comp_targetILNS1_3genE5ELNS1_11target_archE942ELNS1_3gpuE9ELNS1_3repE0EEENS1_30default_config_static_selectorELNS0_4arch9wavefront6targetE0EEEvT1_
	.globl	_ZN7rocprim17ROCPRIM_400000_NS6detail17trampoline_kernelINS0_14default_configENS1_27scan_by_key_config_selectorIiyEEZZNS1_16scan_by_key_implILNS1_25lookback_scan_determinismE0ELb1ES3_N6thrust23THRUST_200600_302600_NS6detail15normal_iteratorINS9_10device_ptrIiEEEENSB_INSC_IyEEEESG_yNS9_4plusIvEENS9_8equal_toIvEEyEE10hipError_tPvRmT2_T3_T4_T5_mT6_T7_P12ihipStream_tbENKUlT_T0_E_clISt17integral_constantIbLb0EES11_EEDaSW_SX_EUlSW_E_NS1_11comp_targetILNS1_3genE5ELNS1_11target_archE942ELNS1_3gpuE9ELNS1_3repE0EEENS1_30default_config_static_selectorELNS0_4arch9wavefront6targetE0EEEvT1_
	.p2align	8
	.type	_ZN7rocprim17ROCPRIM_400000_NS6detail17trampoline_kernelINS0_14default_configENS1_27scan_by_key_config_selectorIiyEEZZNS1_16scan_by_key_implILNS1_25lookback_scan_determinismE0ELb1ES3_N6thrust23THRUST_200600_302600_NS6detail15normal_iteratorINS9_10device_ptrIiEEEENSB_INSC_IyEEEESG_yNS9_4plusIvEENS9_8equal_toIvEEyEE10hipError_tPvRmT2_T3_T4_T5_mT6_T7_P12ihipStream_tbENKUlT_T0_E_clISt17integral_constantIbLb0EES11_EEDaSW_SX_EUlSW_E_NS1_11comp_targetILNS1_3genE5ELNS1_11target_archE942ELNS1_3gpuE9ELNS1_3repE0EEENS1_30default_config_static_selectorELNS0_4arch9wavefront6targetE0EEEvT1_,@function
_ZN7rocprim17ROCPRIM_400000_NS6detail17trampoline_kernelINS0_14default_configENS1_27scan_by_key_config_selectorIiyEEZZNS1_16scan_by_key_implILNS1_25lookback_scan_determinismE0ELb1ES3_N6thrust23THRUST_200600_302600_NS6detail15normal_iteratorINS9_10device_ptrIiEEEENSB_INSC_IyEEEESG_yNS9_4plusIvEENS9_8equal_toIvEEyEE10hipError_tPvRmT2_T3_T4_T5_mT6_T7_P12ihipStream_tbENKUlT_T0_E_clISt17integral_constantIbLb0EES11_EEDaSW_SX_EUlSW_E_NS1_11comp_targetILNS1_3genE5ELNS1_11target_archE942ELNS1_3gpuE9ELNS1_3repE0EEENS1_30default_config_static_selectorELNS0_4arch9wavefront6targetE0EEEvT1_: ; @_ZN7rocprim17ROCPRIM_400000_NS6detail17trampoline_kernelINS0_14default_configENS1_27scan_by_key_config_selectorIiyEEZZNS1_16scan_by_key_implILNS1_25lookback_scan_determinismE0ELb1ES3_N6thrust23THRUST_200600_302600_NS6detail15normal_iteratorINS9_10device_ptrIiEEEENSB_INSC_IyEEEESG_yNS9_4plusIvEENS9_8equal_toIvEEyEE10hipError_tPvRmT2_T3_T4_T5_mT6_T7_P12ihipStream_tbENKUlT_T0_E_clISt17integral_constantIbLb0EES11_EEDaSW_SX_EUlSW_E_NS1_11comp_targetILNS1_3genE5ELNS1_11target_archE942ELNS1_3gpuE9ELNS1_3repE0EEENS1_30default_config_static_selectorELNS0_4arch9wavefront6targetE0EEEvT1_
; %bb.0:
	.section	.rodata,"a",@progbits
	.p2align	6, 0x0
	.amdhsa_kernel _ZN7rocprim17ROCPRIM_400000_NS6detail17trampoline_kernelINS0_14default_configENS1_27scan_by_key_config_selectorIiyEEZZNS1_16scan_by_key_implILNS1_25lookback_scan_determinismE0ELb1ES3_N6thrust23THRUST_200600_302600_NS6detail15normal_iteratorINS9_10device_ptrIiEEEENSB_INSC_IyEEEESG_yNS9_4plusIvEENS9_8equal_toIvEEyEE10hipError_tPvRmT2_T3_T4_T5_mT6_T7_P12ihipStream_tbENKUlT_T0_E_clISt17integral_constantIbLb0EES11_EEDaSW_SX_EUlSW_E_NS1_11comp_targetILNS1_3genE5ELNS1_11target_archE942ELNS1_3gpuE9ELNS1_3repE0EEENS1_30default_config_static_selectorELNS0_4arch9wavefront6targetE0EEEvT1_
		.amdhsa_group_segment_fixed_size 0
		.amdhsa_private_segment_fixed_size 0
		.amdhsa_kernarg_size 136
		.amdhsa_user_sgpr_count 6
		.amdhsa_user_sgpr_private_segment_buffer 1
		.amdhsa_user_sgpr_dispatch_ptr 0
		.amdhsa_user_sgpr_queue_ptr 0
		.amdhsa_user_sgpr_kernarg_segment_ptr 1
		.amdhsa_user_sgpr_dispatch_id 0
		.amdhsa_user_sgpr_flat_scratch_init 0
		.amdhsa_user_sgpr_private_segment_size 0
		.amdhsa_wavefront_size32 1
		.amdhsa_uses_dynamic_stack 0
		.amdhsa_system_sgpr_private_segment_wavefront_offset 0
		.amdhsa_system_sgpr_workgroup_id_x 1
		.amdhsa_system_sgpr_workgroup_id_y 0
		.amdhsa_system_sgpr_workgroup_id_z 0
		.amdhsa_system_sgpr_workgroup_info 0
		.amdhsa_system_vgpr_workitem_id 0
		.amdhsa_next_free_vgpr 1
		.amdhsa_next_free_sgpr 1
		.amdhsa_reserve_vcc 0
		.amdhsa_reserve_flat_scratch 0
		.amdhsa_float_round_mode_32 0
		.amdhsa_float_round_mode_16_64 0
		.amdhsa_float_denorm_mode_32 3
		.amdhsa_float_denorm_mode_16_64 3
		.amdhsa_dx10_clamp 1
		.amdhsa_ieee_mode 1
		.amdhsa_fp16_overflow 0
		.amdhsa_workgroup_processor_mode 1
		.amdhsa_memory_ordered 1
		.amdhsa_forward_progress 1
		.amdhsa_shared_vgpr_count 0
		.amdhsa_exception_fp_ieee_invalid_op 0
		.amdhsa_exception_fp_denorm_src 0
		.amdhsa_exception_fp_ieee_div_zero 0
		.amdhsa_exception_fp_ieee_overflow 0
		.amdhsa_exception_fp_ieee_underflow 0
		.amdhsa_exception_fp_ieee_inexact 0
		.amdhsa_exception_int_div_zero 0
	.end_amdhsa_kernel
	.section	.text._ZN7rocprim17ROCPRIM_400000_NS6detail17trampoline_kernelINS0_14default_configENS1_27scan_by_key_config_selectorIiyEEZZNS1_16scan_by_key_implILNS1_25lookback_scan_determinismE0ELb1ES3_N6thrust23THRUST_200600_302600_NS6detail15normal_iteratorINS9_10device_ptrIiEEEENSB_INSC_IyEEEESG_yNS9_4plusIvEENS9_8equal_toIvEEyEE10hipError_tPvRmT2_T3_T4_T5_mT6_T7_P12ihipStream_tbENKUlT_T0_E_clISt17integral_constantIbLb0EES11_EEDaSW_SX_EUlSW_E_NS1_11comp_targetILNS1_3genE5ELNS1_11target_archE942ELNS1_3gpuE9ELNS1_3repE0EEENS1_30default_config_static_selectorELNS0_4arch9wavefront6targetE0EEEvT1_,"axG",@progbits,_ZN7rocprim17ROCPRIM_400000_NS6detail17trampoline_kernelINS0_14default_configENS1_27scan_by_key_config_selectorIiyEEZZNS1_16scan_by_key_implILNS1_25lookback_scan_determinismE0ELb1ES3_N6thrust23THRUST_200600_302600_NS6detail15normal_iteratorINS9_10device_ptrIiEEEENSB_INSC_IyEEEESG_yNS9_4plusIvEENS9_8equal_toIvEEyEE10hipError_tPvRmT2_T3_T4_T5_mT6_T7_P12ihipStream_tbENKUlT_T0_E_clISt17integral_constantIbLb0EES11_EEDaSW_SX_EUlSW_E_NS1_11comp_targetILNS1_3genE5ELNS1_11target_archE942ELNS1_3gpuE9ELNS1_3repE0EEENS1_30default_config_static_selectorELNS0_4arch9wavefront6targetE0EEEvT1_,comdat
.Lfunc_end1465:
	.size	_ZN7rocprim17ROCPRIM_400000_NS6detail17trampoline_kernelINS0_14default_configENS1_27scan_by_key_config_selectorIiyEEZZNS1_16scan_by_key_implILNS1_25lookback_scan_determinismE0ELb1ES3_N6thrust23THRUST_200600_302600_NS6detail15normal_iteratorINS9_10device_ptrIiEEEENSB_INSC_IyEEEESG_yNS9_4plusIvEENS9_8equal_toIvEEyEE10hipError_tPvRmT2_T3_T4_T5_mT6_T7_P12ihipStream_tbENKUlT_T0_E_clISt17integral_constantIbLb0EES11_EEDaSW_SX_EUlSW_E_NS1_11comp_targetILNS1_3genE5ELNS1_11target_archE942ELNS1_3gpuE9ELNS1_3repE0EEENS1_30default_config_static_selectorELNS0_4arch9wavefront6targetE0EEEvT1_, .Lfunc_end1465-_ZN7rocprim17ROCPRIM_400000_NS6detail17trampoline_kernelINS0_14default_configENS1_27scan_by_key_config_selectorIiyEEZZNS1_16scan_by_key_implILNS1_25lookback_scan_determinismE0ELb1ES3_N6thrust23THRUST_200600_302600_NS6detail15normal_iteratorINS9_10device_ptrIiEEEENSB_INSC_IyEEEESG_yNS9_4plusIvEENS9_8equal_toIvEEyEE10hipError_tPvRmT2_T3_T4_T5_mT6_T7_P12ihipStream_tbENKUlT_T0_E_clISt17integral_constantIbLb0EES11_EEDaSW_SX_EUlSW_E_NS1_11comp_targetILNS1_3genE5ELNS1_11target_archE942ELNS1_3gpuE9ELNS1_3repE0EEENS1_30default_config_static_selectorELNS0_4arch9wavefront6targetE0EEEvT1_
                                        ; -- End function
	.set _ZN7rocprim17ROCPRIM_400000_NS6detail17trampoline_kernelINS0_14default_configENS1_27scan_by_key_config_selectorIiyEEZZNS1_16scan_by_key_implILNS1_25lookback_scan_determinismE0ELb1ES3_N6thrust23THRUST_200600_302600_NS6detail15normal_iteratorINS9_10device_ptrIiEEEENSB_INSC_IyEEEESG_yNS9_4plusIvEENS9_8equal_toIvEEyEE10hipError_tPvRmT2_T3_T4_T5_mT6_T7_P12ihipStream_tbENKUlT_T0_E_clISt17integral_constantIbLb0EES11_EEDaSW_SX_EUlSW_E_NS1_11comp_targetILNS1_3genE5ELNS1_11target_archE942ELNS1_3gpuE9ELNS1_3repE0EEENS1_30default_config_static_selectorELNS0_4arch9wavefront6targetE0EEEvT1_.num_vgpr, 0
	.set _ZN7rocprim17ROCPRIM_400000_NS6detail17trampoline_kernelINS0_14default_configENS1_27scan_by_key_config_selectorIiyEEZZNS1_16scan_by_key_implILNS1_25lookback_scan_determinismE0ELb1ES3_N6thrust23THRUST_200600_302600_NS6detail15normal_iteratorINS9_10device_ptrIiEEEENSB_INSC_IyEEEESG_yNS9_4plusIvEENS9_8equal_toIvEEyEE10hipError_tPvRmT2_T3_T4_T5_mT6_T7_P12ihipStream_tbENKUlT_T0_E_clISt17integral_constantIbLb0EES11_EEDaSW_SX_EUlSW_E_NS1_11comp_targetILNS1_3genE5ELNS1_11target_archE942ELNS1_3gpuE9ELNS1_3repE0EEENS1_30default_config_static_selectorELNS0_4arch9wavefront6targetE0EEEvT1_.num_agpr, 0
	.set _ZN7rocprim17ROCPRIM_400000_NS6detail17trampoline_kernelINS0_14default_configENS1_27scan_by_key_config_selectorIiyEEZZNS1_16scan_by_key_implILNS1_25lookback_scan_determinismE0ELb1ES3_N6thrust23THRUST_200600_302600_NS6detail15normal_iteratorINS9_10device_ptrIiEEEENSB_INSC_IyEEEESG_yNS9_4plusIvEENS9_8equal_toIvEEyEE10hipError_tPvRmT2_T3_T4_T5_mT6_T7_P12ihipStream_tbENKUlT_T0_E_clISt17integral_constantIbLb0EES11_EEDaSW_SX_EUlSW_E_NS1_11comp_targetILNS1_3genE5ELNS1_11target_archE942ELNS1_3gpuE9ELNS1_3repE0EEENS1_30default_config_static_selectorELNS0_4arch9wavefront6targetE0EEEvT1_.numbered_sgpr, 0
	.set _ZN7rocprim17ROCPRIM_400000_NS6detail17trampoline_kernelINS0_14default_configENS1_27scan_by_key_config_selectorIiyEEZZNS1_16scan_by_key_implILNS1_25lookback_scan_determinismE0ELb1ES3_N6thrust23THRUST_200600_302600_NS6detail15normal_iteratorINS9_10device_ptrIiEEEENSB_INSC_IyEEEESG_yNS9_4plusIvEENS9_8equal_toIvEEyEE10hipError_tPvRmT2_T3_T4_T5_mT6_T7_P12ihipStream_tbENKUlT_T0_E_clISt17integral_constantIbLb0EES11_EEDaSW_SX_EUlSW_E_NS1_11comp_targetILNS1_3genE5ELNS1_11target_archE942ELNS1_3gpuE9ELNS1_3repE0EEENS1_30default_config_static_selectorELNS0_4arch9wavefront6targetE0EEEvT1_.num_named_barrier, 0
	.set _ZN7rocprim17ROCPRIM_400000_NS6detail17trampoline_kernelINS0_14default_configENS1_27scan_by_key_config_selectorIiyEEZZNS1_16scan_by_key_implILNS1_25lookback_scan_determinismE0ELb1ES3_N6thrust23THRUST_200600_302600_NS6detail15normal_iteratorINS9_10device_ptrIiEEEENSB_INSC_IyEEEESG_yNS9_4plusIvEENS9_8equal_toIvEEyEE10hipError_tPvRmT2_T3_T4_T5_mT6_T7_P12ihipStream_tbENKUlT_T0_E_clISt17integral_constantIbLb0EES11_EEDaSW_SX_EUlSW_E_NS1_11comp_targetILNS1_3genE5ELNS1_11target_archE942ELNS1_3gpuE9ELNS1_3repE0EEENS1_30default_config_static_selectorELNS0_4arch9wavefront6targetE0EEEvT1_.private_seg_size, 0
	.set _ZN7rocprim17ROCPRIM_400000_NS6detail17trampoline_kernelINS0_14default_configENS1_27scan_by_key_config_selectorIiyEEZZNS1_16scan_by_key_implILNS1_25lookback_scan_determinismE0ELb1ES3_N6thrust23THRUST_200600_302600_NS6detail15normal_iteratorINS9_10device_ptrIiEEEENSB_INSC_IyEEEESG_yNS9_4plusIvEENS9_8equal_toIvEEyEE10hipError_tPvRmT2_T3_T4_T5_mT6_T7_P12ihipStream_tbENKUlT_T0_E_clISt17integral_constantIbLb0EES11_EEDaSW_SX_EUlSW_E_NS1_11comp_targetILNS1_3genE5ELNS1_11target_archE942ELNS1_3gpuE9ELNS1_3repE0EEENS1_30default_config_static_selectorELNS0_4arch9wavefront6targetE0EEEvT1_.uses_vcc, 0
	.set _ZN7rocprim17ROCPRIM_400000_NS6detail17trampoline_kernelINS0_14default_configENS1_27scan_by_key_config_selectorIiyEEZZNS1_16scan_by_key_implILNS1_25lookback_scan_determinismE0ELb1ES3_N6thrust23THRUST_200600_302600_NS6detail15normal_iteratorINS9_10device_ptrIiEEEENSB_INSC_IyEEEESG_yNS9_4plusIvEENS9_8equal_toIvEEyEE10hipError_tPvRmT2_T3_T4_T5_mT6_T7_P12ihipStream_tbENKUlT_T0_E_clISt17integral_constantIbLb0EES11_EEDaSW_SX_EUlSW_E_NS1_11comp_targetILNS1_3genE5ELNS1_11target_archE942ELNS1_3gpuE9ELNS1_3repE0EEENS1_30default_config_static_selectorELNS0_4arch9wavefront6targetE0EEEvT1_.uses_flat_scratch, 0
	.set _ZN7rocprim17ROCPRIM_400000_NS6detail17trampoline_kernelINS0_14default_configENS1_27scan_by_key_config_selectorIiyEEZZNS1_16scan_by_key_implILNS1_25lookback_scan_determinismE0ELb1ES3_N6thrust23THRUST_200600_302600_NS6detail15normal_iteratorINS9_10device_ptrIiEEEENSB_INSC_IyEEEESG_yNS9_4plusIvEENS9_8equal_toIvEEyEE10hipError_tPvRmT2_T3_T4_T5_mT6_T7_P12ihipStream_tbENKUlT_T0_E_clISt17integral_constantIbLb0EES11_EEDaSW_SX_EUlSW_E_NS1_11comp_targetILNS1_3genE5ELNS1_11target_archE942ELNS1_3gpuE9ELNS1_3repE0EEENS1_30default_config_static_selectorELNS0_4arch9wavefront6targetE0EEEvT1_.has_dyn_sized_stack, 0
	.set _ZN7rocprim17ROCPRIM_400000_NS6detail17trampoline_kernelINS0_14default_configENS1_27scan_by_key_config_selectorIiyEEZZNS1_16scan_by_key_implILNS1_25lookback_scan_determinismE0ELb1ES3_N6thrust23THRUST_200600_302600_NS6detail15normal_iteratorINS9_10device_ptrIiEEEENSB_INSC_IyEEEESG_yNS9_4plusIvEENS9_8equal_toIvEEyEE10hipError_tPvRmT2_T3_T4_T5_mT6_T7_P12ihipStream_tbENKUlT_T0_E_clISt17integral_constantIbLb0EES11_EEDaSW_SX_EUlSW_E_NS1_11comp_targetILNS1_3genE5ELNS1_11target_archE942ELNS1_3gpuE9ELNS1_3repE0EEENS1_30default_config_static_selectorELNS0_4arch9wavefront6targetE0EEEvT1_.has_recursion, 0
	.set _ZN7rocprim17ROCPRIM_400000_NS6detail17trampoline_kernelINS0_14default_configENS1_27scan_by_key_config_selectorIiyEEZZNS1_16scan_by_key_implILNS1_25lookback_scan_determinismE0ELb1ES3_N6thrust23THRUST_200600_302600_NS6detail15normal_iteratorINS9_10device_ptrIiEEEENSB_INSC_IyEEEESG_yNS9_4plusIvEENS9_8equal_toIvEEyEE10hipError_tPvRmT2_T3_T4_T5_mT6_T7_P12ihipStream_tbENKUlT_T0_E_clISt17integral_constantIbLb0EES11_EEDaSW_SX_EUlSW_E_NS1_11comp_targetILNS1_3genE5ELNS1_11target_archE942ELNS1_3gpuE9ELNS1_3repE0EEENS1_30default_config_static_selectorELNS0_4arch9wavefront6targetE0EEEvT1_.has_indirect_call, 0
	.section	.AMDGPU.csdata,"",@progbits
; Kernel info:
; codeLenInByte = 0
; TotalNumSgprs: 0
; NumVgprs: 0
; ScratchSize: 0
; MemoryBound: 0
; FloatMode: 240
; IeeeMode: 1
; LDSByteSize: 0 bytes/workgroup (compile time only)
; SGPRBlocks: 0
; VGPRBlocks: 0
; NumSGPRsForWavesPerEU: 1
; NumVGPRsForWavesPerEU: 1
; Occupancy: 16
; WaveLimiterHint : 0
; COMPUTE_PGM_RSRC2:SCRATCH_EN: 0
; COMPUTE_PGM_RSRC2:USER_SGPR: 6
; COMPUTE_PGM_RSRC2:TRAP_HANDLER: 0
; COMPUTE_PGM_RSRC2:TGID_X_EN: 1
; COMPUTE_PGM_RSRC2:TGID_Y_EN: 0
; COMPUTE_PGM_RSRC2:TGID_Z_EN: 0
; COMPUTE_PGM_RSRC2:TIDIG_COMP_CNT: 0
	.section	.text._ZN7rocprim17ROCPRIM_400000_NS6detail17trampoline_kernelINS0_14default_configENS1_27scan_by_key_config_selectorIiyEEZZNS1_16scan_by_key_implILNS1_25lookback_scan_determinismE0ELb1ES3_N6thrust23THRUST_200600_302600_NS6detail15normal_iteratorINS9_10device_ptrIiEEEENSB_INSC_IyEEEESG_yNS9_4plusIvEENS9_8equal_toIvEEyEE10hipError_tPvRmT2_T3_T4_T5_mT6_T7_P12ihipStream_tbENKUlT_T0_E_clISt17integral_constantIbLb0EES11_EEDaSW_SX_EUlSW_E_NS1_11comp_targetILNS1_3genE4ELNS1_11target_archE910ELNS1_3gpuE8ELNS1_3repE0EEENS1_30default_config_static_selectorELNS0_4arch9wavefront6targetE0EEEvT1_,"axG",@progbits,_ZN7rocprim17ROCPRIM_400000_NS6detail17trampoline_kernelINS0_14default_configENS1_27scan_by_key_config_selectorIiyEEZZNS1_16scan_by_key_implILNS1_25lookback_scan_determinismE0ELb1ES3_N6thrust23THRUST_200600_302600_NS6detail15normal_iteratorINS9_10device_ptrIiEEEENSB_INSC_IyEEEESG_yNS9_4plusIvEENS9_8equal_toIvEEyEE10hipError_tPvRmT2_T3_T4_T5_mT6_T7_P12ihipStream_tbENKUlT_T0_E_clISt17integral_constantIbLb0EES11_EEDaSW_SX_EUlSW_E_NS1_11comp_targetILNS1_3genE4ELNS1_11target_archE910ELNS1_3gpuE8ELNS1_3repE0EEENS1_30default_config_static_selectorELNS0_4arch9wavefront6targetE0EEEvT1_,comdat
	.protected	_ZN7rocprim17ROCPRIM_400000_NS6detail17trampoline_kernelINS0_14default_configENS1_27scan_by_key_config_selectorIiyEEZZNS1_16scan_by_key_implILNS1_25lookback_scan_determinismE0ELb1ES3_N6thrust23THRUST_200600_302600_NS6detail15normal_iteratorINS9_10device_ptrIiEEEENSB_INSC_IyEEEESG_yNS9_4plusIvEENS9_8equal_toIvEEyEE10hipError_tPvRmT2_T3_T4_T5_mT6_T7_P12ihipStream_tbENKUlT_T0_E_clISt17integral_constantIbLb0EES11_EEDaSW_SX_EUlSW_E_NS1_11comp_targetILNS1_3genE4ELNS1_11target_archE910ELNS1_3gpuE8ELNS1_3repE0EEENS1_30default_config_static_selectorELNS0_4arch9wavefront6targetE0EEEvT1_ ; -- Begin function _ZN7rocprim17ROCPRIM_400000_NS6detail17trampoline_kernelINS0_14default_configENS1_27scan_by_key_config_selectorIiyEEZZNS1_16scan_by_key_implILNS1_25lookback_scan_determinismE0ELb1ES3_N6thrust23THRUST_200600_302600_NS6detail15normal_iteratorINS9_10device_ptrIiEEEENSB_INSC_IyEEEESG_yNS9_4plusIvEENS9_8equal_toIvEEyEE10hipError_tPvRmT2_T3_T4_T5_mT6_T7_P12ihipStream_tbENKUlT_T0_E_clISt17integral_constantIbLb0EES11_EEDaSW_SX_EUlSW_E_NS1_11comp_targetILNS1_3genE4ELNS1_11target_archE910ELNS1_3gpuE8ELNS1_3repE0EEENS1_30default_config_static_selectorELNS0_4arch9wavefront6targetE0EEEvT1_
	.globl	_ZN7rocprim17ROCPRIM_400000_NS6detail17trampoline_kernelINS0_14default_configENS1_27scan_by_key_config_selectorIiyEEZZNS1_16scan_by_key_implILNS1_25lookback_scan_determinismE0ELb1ES3_N6thrust23THRUST_200600_302600_NS6detail15normal_iteratorINS9_10device_ptrIiEEEENSB_INSC_IyEEEESG_yNS9_4plusIvEENS9_8equal_toIvEEyEE10hipError_tPvRmT2_T3_T4_T5_mT6_T7_P12ihipStream_tbENKUlT_T0_E_clISt17integral_constantIbLb0EES11_EEDaSW_SX_EUlSW_E_NS1_11comp_targetILNS1_3genE4ELNS1_11target_archE910ELNS1_3gpuE8ELNS1_3repE0EEENS1_30default_config_static_selectorELNS0_4arch9wavefront6targetE0EEEvT1_
	.p2align	8
	.type	_ZN7rocprim17ROCPRIM_400000_NS6detail17trampoline_kernelINS0_14default_configENS1_27scan_by_key_config_selectorIiyEEZZNS1_16scan_by_key_implILNS1_25lookback_scan_determinismE0ELb1ES3_N6thrust23THRUST_200600_302600_NS6detail15normal_iteratorINS9_10device_ptrIiEEEENSB_INSC_IyEEEESG_yNS9_4plusIvEENS9_8equal_toIvEEyEE10hipError_tPvRmT2_T3_T4_T5_mT6_T7_P12ihipStream_tbENKUlT_T0_E_clISt17integral_constantIbLb0EES11_EEDaSW_SX_EUlSW_E_NS1_11comp_targetILNS1_3genE4ELNS1_11target_archE910ELNS1_3gpuE8ELNS1_3repE0EEENS1_30default_config_static_selectorELNS0_4arch9wavefront6targetE0EEEvT1_,@function
_ZN7rocprim17ROCPRIM_400000_NS6detail17trampoline_kernelINS0_14default_configENS1_27scan_by_key_config_selectorIiyEEZZNS1_16scan_by_key_implILNS1_25lookback_scan_determinismE0ELb1ES3_N6thrust23THRUST_200600_302600_NS6detail15normal_iteratorINS9_10device_ptrIiEEEENSB_INSC_IyEEEESG_yNS9_4plusIvEENS9_8equal_toIvEEyEE10hipError_tPvRmT2_T3_T4_T5_mT6_T7_P12ihipStream_tbENKUlT_T0_E_clISt17integral_constantIbLb0EES11_EEDaSW_SX_EUlSW_E_NS1_11comp_targetILNS1_3genE4ELNS1_11target_archE910ELNS1_3gpuE8ELNS1_3repE0EEENS1_30default_config_static_selectorELNS0_4arch9wavefront6targetE0EEEvT1_: ; @_ZN7rocprim17ROCPRIM_400000_NS6detail17trampoline_kernelINS0_14default_configENS1_27scan_by_key_config_selectorIiyEEZZNS1_16scan_by_key_implILNS1_25lookback_scan_determinismE0ELb1ES3_N6thrust23THRUST_200600_302600_NS6detail15normal_iteratorINS9_10device_ptrIiEEEENSB_INSC_IyEEEESG_yNS9_4plusIvEENS9_8equal_toIvEEyEE10hipError_tPvRmT2_T3_T4_T5_mT6_T7_P12ihipStream_tbENKUlT_T0_E_clISt17integral_constantIbLb0EES11_EEDaSW_SX_EUlSW_E_NS1_11comp_targetILNS1_3genE4ELNS1_11target_archE910ELNS1_3gpuE8ELNS1_3repE0EEENS1_30default_config_static_selectorELNS0_4arch9wavefront6targetE0EEEvT1_
; %bb.0:
	.section	.rodata,"a",@progbits
	.p2align	6, 0x0
	.amdhsa_kernel _ZN7rocprim17ROCPRIM_400000_NS6detail17trampoline_kernelINS0_14default_configENS1_27scan_by_key_config_selectorIiyEEZZNS1_16scan_by_key_implILNS1_25lookback_scan_determinismE0ELb1ES3_N6thrust23THRUST_200600_302600_NS6detail15normal_iteratorINS9_10device_ptrIiEEEENSB_INSC_IyEEEESG_yNS9_4plusIvEENS9_8equal_toIvEEyEE10hipError_tPvRmT2_T3_T4_T5_mT6_T7_P12ihipStream_tbENKUlT_T0_E_clISt17integral_constantIbLb0EES11_EEDaSW_SX_EUlSW_E_NS1_11comp_targetILNS1_3genE4ELNS1_11target_archE910ELNS1_3gpuE8ELNS1_3repE0EEENS1_30default_config_static_selectorELNS0_4arch9wavefront6targetE0EEEvT1_
		.amdhsa_group_segment_fixed_size 0
		.amdhsa_private_segment_fixed_size 0
		.amdhsa_kernarg_size 136
		.amdhsa_user_sgpr_count 6
		.amdhsa_user_sgpr_private_segment_buffer 1
		.amdhsa_user_sgpr_dispatch_ptr 0
		.amdhsa_user_sgpr_queue_ptr 0
		.amdhsa_user_sgpr_kernarg_segment_ptr 1
		.amdhsa_user_sgpr_dispatch_id 0
		.amdhsa_user_sgpr_flat_scratch_init 0
		.amdhsa_user_sgpr_private_segment_size 0
		.amdhsa_wavefront_size32 1
		.amdhsa_uses_dynamic_stack 0
		.amdhsa_system_sgpr_private_segment_wavefront_offset 0
		.amdhsa_system_sgpr_workgroup_id_x 1
		.amdhsa_system_sgpr_workgroup_id_y 0
		.amdhsa_system_sgpr_workgroup_id_z 0
		.amdhsa_system_sgpr_workgroup_info 0
		.amdhsa_system_vgpr_workitem_id 0
		.amdhsa_next_free_vgpr 1
		.amdhsa_next_free_sgpr 1
		.amdhsa_reserve_vcc 0
		.amdhsa_reserve_flat_scratch 0
		.amdhsa_float_round_mode_32 0
		.amdhsa_float_round_mode_16_64 0
		.amdhsa_float_denorm_mode_32 3
		.amdhsa_float_denorm_mode_16_64 3
		.amdhsa_dx10_clamp 1
		.amdhsa_ieee_mode 1
		.amdhsa_fp16_overflow 0
		.amdhsa_workgroup_processor_mode 1
		.amdhsa_memory_ordered 1
		.amdhsa_forward_progress 1
		.amdhsa_shared_vgpr_count 0
		.amdhsa_exception_fp_ieee_invalid_op 0
		.amdhsa_exception_fp_denorm_src 0
		.amdhsa_exception_fp_ieee_div_zero 0
		.amdhsa_exception_fp_ieee_overflow 0
		.amdhsa_exception_fp_ieee_underflow 0
		.amdhsa_exception_fp_ieee_inexact 0
		.amdhsa_exception_int_div_zero 0
	.end_amdhsa_kernel
	.section	.text._ZN7rocprim17ROCPRIM_400000_NS6detail17trampoline_kernelINS0_14default_configENS1_27scan_by_key_config_selectorIiyEEZZNS1_16scan_by_key_implILNS1_25lookback_scan_determinismE0ELb1ES3_N6thrust23THRUST_200600_302600_NS6detail15normal_iteratorINS9_10device_ptrIiEEEENSB_INSC_IyEEEESG_yNS9_4plusIvEENS9_8equal_toIvEEyEE10hipError_tPvRmT2_T3_T4_T5_mT6_T7_P12ihipStream_tbENKUlT_T0_E_clISt17integral_constantIbLb0EES11_EEDaSW_SX_EUlSW_E_NS1_11comp_targetILNS1_3genE4ELNS1_11target_archE910ELNS1_3gpuE8ELNS1_3repE0EEENS1_30default_config_static_selectorELNS0_4arch9wavefront6targetE0EEEvT1_,"axG",@progbits,_ZN7rocprim17ROCPRIM_400000_NS6detail17trampoline_kernelINS0_14default_configENS1_27scan_by_key_config_selectorIiyEEZZNS1_16scan_by_key_implILNS1_25lookback_scan_determinismE0ELb1ES3_N6thrust23THRUST_200600_302600_NS6detail15normal_iteratorINS9_10device_ptrIiEEEENSB_INSC_IyEEEESG_yNS9_4plusIvEENS9_8equal_toIvEEyEE10hipError_tPvRmT2_T3_T4_T5_mT6_T7_P12ihipStream_tbENKUlT_T0_E_clISt17integral_constantIbLb0EES11_EEDaSW_SX_EUlSW_E_NS1_11comp_targetILNS1_3genE4ELNS1_11target_archE910ELNS1_3gpuE8ELNS1_3repE0EEENS1_30default_config_static_selectorELNS0_4arch9wavefront6targetE0EEEvT1_,comdat
.Lfunc_end1466:
	.size	_ZN7rocprim17ROCPRIM_400000_NS6detail17trampoline_kernelINS0_14default_configENS1_27scan_by_key_config_selectorIiyEEZZNS1_16scan_by_key_implILNS1_25lookback_scan_determinismE0ELb1ES3_N6thrust23THRUST_200600_302600_NS6detail15normal_iteratorINS9_10device_ptrIiEEEENSB_INSC_IyEEEESG_yNS9_4plusIvEENS9_8equal_toIvEEyEE10hipError_tPvRmT2_T3_T4_T5_mT6_T7_P12ihipStream_tbENKUlT_T0_E_clISt17integral_constantIbLb0EES11_EEDaSW_SX_EUlSW_E_NS1_11comp_targetILNS1_3genE4ELNS1_11target_archE910ELNS1_3gpuE8ELNS1_3repE0EEENS1_30default_config_static_selectorELNS0_4arch9wavefront6targetE0EEEvT1_, .Lfunc_end1466-_ZN7rocprim17ROCPRIM_400000_NS6detail17trampoline_kernelINS0_14default_configENS1_27scan_by_key_config_selectorIiyEEZZNS1_16scan_by_key_implILNS1_25lookback_scan_determinismE0ELb1ES3_N6thrust23THRUST_200600_302600_NS6detail15normal_iteratorINS9_10device_ptrIiEEEENSB_INSC_IyEEEESG_yNS9_4plusIvEENS9_8equal_toIvEEyEE10hipError_tPvRmT2_T3_T4_T5_mT6_T7_P12ihipStream_tbENKUlT_T0_E_clISt17integral_constantIbLb0EES11_EEDaSW_SX_EUlSW_E_NS1_11comp_targetILNS1_3genE4ELNS1_11target_archE910ELNS1_3gpuE8ELNS1_3repE0EEENS1_30default_config_static_selectorELNS0_4arch9wavefront6targetE0EEEvT1_
                                        ; -- End function
	.set _ZN7rocprim17ROCPRIM_400000_NS6detail17trampoline_kernelINS0_14default_configENS1_27scan_by_key_config_selectorIiyEEZZNS1_16scan_by_key_implILNS1_25lookback_scan_determinismE0ELb1ES3_N6thrust23THRUST_200600_302600_NS6detail15normal_iteratorINS9_10device_ptrIiEEEENSB_INSC_IyEEEESG_yNS9_4plusIvEENS9_8equal_toIvEEyEE10hipError_tPvRmT2_T3_T4_T5_mT6_T7_P12ihipStream_tbENKUlT_T0_E_clISt17integral_constantIbLb0EES11_EEDaSW_SX_EUlSW_E_NS1_11comp_targetILNS1_3genE4ELNS1_11target_archE910ELNS1_3gpuE8ELNS1_3repE0EEENS1_30default_config_static_selectorELNS0_4arch9wavefront6targetE0EEEvT1_.num_vgpr, 0
	.set _ZN7rocprim17ROCPRIM_400000_NS6detail17trampoline_kernelINS0_14default_configENS1_27scan_by_key_config_selectorIiyEEZZNS1_16scan_by_key_implILNS1_25lookback_scan_determinismE0ELb1ES3_N6thrust23THRUST_200600_302600_NS6detail15normal_iteratorINS9_10device_ptrIiEEEENSB_INSC_IyEEEESG_yNS9_4plusIvEENS9_8equal_toIvEEyEE10hipError_tPvRmT2_T3_T4_T5_mT6_T7_P12ihipStream_tbENKUlT_T0_E_clISt17integral_constantIbLb0EES11_EEDaSW_SX_EUlSW_E_NS1_11comp_targetILNS1_3genE4ELNS1_11target_archE910ELNS1_3gpuE8ELNS1_3repE0EEENS1_30default_config_static_selectorELNS0_4arch9wavefront6targetE0EEEvT1_.num_agpr, 0
	.set _ZN7rocprim17ROCPRIM_400000_NS6detail17trampoline_kernelINS0_14default_configENS1_27scan_by_key_config_selectorIiyEEZZNS1_16scan_by_key_implILNS1_25lookback_scan_determinismE0ELb1ES3_N6thrust23THRUST_200600_302600_NS6detail15normal_iteratorINS9_10device_ptrIiEEEENSB_INSC_IyEEEESG_yNS9_4plusIvEENS9_8equal_toIvEEyEE10hipError_tPvRmT2_T3_T4_T5_mT6_T7_P12ihipStream_tbENKUlT_T0_E_clISt17integral_constantIbLb0EES11_EEDaSW_SX_EUlSW_E_NS1_11comp_targetILNS1_3genE4ELNS1_11target_archE910ELNS1_3gpuE8ELNS1_3repE0EEENS1_30default_config_static_selectorELNS0_4arch9wavefront6targetE0EEEvT1_.numbered_sgpr, 0
	.set _ZN7rocprim17ROCPRIM_400000_NS6detail17trampoline_kernelINS0_14default_configENS1_27scan_by_key_config_selectorIiyEEZZNS1_16scan_by_key_implILNS1_25lookback_scan_determinismE0ELb1ES3_N6thrust23THRUST_200600_302600_NS6detail15normal_iteratorINS9_10device_ptrIiEEEENSB_INSC_IyEEEESG_yNS9_4plusIvEENS9_8equal_toIvEEyEE10hipError_tPvRmT2_T3_T4_T5_mT6_T7_P12ihipStream_tbENKUlT_T0_E_clISt17integral_constantIbLb0EES11_EEDaSW_SX_EUlSW_E_NS1_11comp_targetILNS1_3genE4ELNS1_11target_archE910ELNS1_3gpuE8ELNS1_3repE0EEENS1_30default_config_static_selectorELNS0_4arch9wavefront6targetE0EEEvT1_.num_named_barrier, 0
	.set _ZN7rocprim17ROCPRIM_400000_NS6detail17trampoline_kernelINS0_14default_configENS1_27scan_by_key_config_selectorIiyEEZZNS1_16scan_by_key_implILNS1_25lookback_scan_determinismE0ELb1ES3_N6thrust23THRUST_200600_302600_NS6detail15normal_iteratorINS9_10device_ptrIiEEEENSB_INSC_IyEEEESG_yNS9_4plusIvEENS9_8equal_toIvEEyEE10hipError_tPvRmT2_T3_T4_T5_mT6_T7_P12ihipStream_tbENKUlT_T0_E_clISt17integral_constantIbLb0EES11_EEDaSW_SX_EUlSW_E_NS1_11comp_targetILNS1_3genE4ELNS1_11target_archE910ELNS1_3gpuE8ELNS1_3repE0EEENS1_30default_config_static_selectorELNS0_4arch9wavefront6targetE0EEEvT1_.private_seg_size, 0
	.set _ZN7rocprim17ROCPRIM_400000_NS6detail17trampoline_kernelINS0_14default_configENS1_27scan_by_key_config_selectorIiyEEZZNS1_16scan_by_key_implILNS1_25lookback_scan_determinismE0ELb1ES3_N6thrust23THRUST_200600_302600_NS6detail15normal_iteratorINS9_10device_ptrIiEEEENSB_INSC_IyEEEESG_yNS9_4plusIvEENS9_8equal_toIvEEyEE10hipError_tPvRmT2_T3_T4_T5_mT6_T7_P12ihipStream_tbENKUlT_T0_E_clISt17integral_constantIbLb0EES11_EEDaSW_SX_EUlSW_E_NS1_11comp_targetILNS1_3genE4ELNS1_11target_archE910ELNS1_3gpuE8ELNS1_3repE0EEENS1_30default_config_static_selectorELNS0_4arch9wavefront6targetE0EEEvT1_.uses_vcc, 0
	.set _ZN7rocprim17ROCPRIM_400000_NS6detail17trampoline_kernelINS0_14default_configENS1_27scan_by_key_config_selectorIiyEEZZNS1_16scan_by_key_implILNS1_25lookback_scan_determinismE0ELb1ES3_N6thrust23THRUST_200600_302600_NS6detail15normal_iteratorINS9_10device_ptrIiEEEENSB_INSC_IyEEEESG_yNS9_4plusIvEENS9_8equal_toIvEEyEE10hipError_tPvRmT2_T3_T4_T5_mT6_T7_P12ihipStream_tbENKUlT_T0_E_clISt17integral_constantIbLb0EES11_EEDaSW_SX_EUlSW_E_NS1_11comp_targetILNS1_3genE4ELNS1_11target_archE910ELNS1_3gpuE8ELNS1_3repE0EEENS1_30default_config_static_selectorELNS0_4arch9wavefront6targetE0EEEvT1_.uses_flat_scratch, 0
	.set _ZN7rocprim17ROCPRIM_400000_NS6detail17trampoline_kernelINS0_14default_configENS1_27scan_by_key_config_selectorIiyEEZZNS1_16scan_by_key_implILNS1_25lookback_scan_determinismE0ELb1ES3_N6thrust23THRUST_200600_302600_NS6detail15normal_iteratorINS9_10device_ptrIiEEEENSB_INSC_IyEEEESG_yNS9_4plusIvEENS9_8equal_toIvEEyEE10hipError_tPvRmT2_T3_T4_T5_mT6_T7_P12ihipStream_tbENKUlT_T0_E_clISt17integral_constantIbLb0EES11_EEDaSW_SX_EUlSW_E_NS1_11comp_targetILNS1_3genE4ELNS1_11target_archE910ELNS1_3gpuE8ELNS1_3repE0EEENS1_30default_config_static_selectorELNS0_4arch9wavefront6targetE0EEEvT1_.has_dyn_sized_stack, 0
	.set _ZN7rocprim17ROCPRIM_400000_NS6detail17trampoline_kernelINS0_14default_configENS1_27scan_by_key_config_selectorIiyEEZZNS1_16scan_by_key_implILNS1_25lookback_scan_determinismE0ELb1ES3_N6thrust23THRUST_200600_302600_NS6detail15normal_iteratorINS9_10device_ptrIiEEEENSB_INSC_IyEEEESG_yNS9_4plusIvEENS9_8equal_toIvEEyEE10hipError_tPvRmT2_T3_T4_T5_mT6_T7_P12ihipStream_tbENKUlT_T0_E_clISt17integral_constantIbLb0EES11_EEDaSW_SX_EUlSW_E_NS1_11comp_targetILNS1_3genE4ELNS1_11target_archE910ELNS1_3gpuE8ELNS1_3repE0EEENS1_30default_config_static_selectorELNS0_4arch9wavefront6targetE0EEEvT1_.has_recursion, 0
	.set _ZN7rocprim17ROCPRIM_400000_NS6detail17trampoline_kernelINS0_14default_configENS1_27scan_by_key_config_selectorIiyEEZZNS1_16scan_by_key_implILNS1_25lookback_scan_determinismE0ELb1ES3_N6thrust23THRUST_200600_302600_NS6detail15normal_iteratorINS9_10device_ptrIiEEEENSB_INSC_IyEEEESG_yNS9_4plusIvEENS9_8equal_toIvEEyEE10hipError_tPvRmT2_T3_T4_T5_mT6_T7_P12ihipStream_tbENKUlT_T0_E_clISt17integral_constantIbLb0EES11_EEDaSW_SX_EUlSW_E_NS1_11comp_targetILNS1_3genE4ELNS1_11target_archE910ELNS1_3gpuE8ELNS1_3repE0EEENS1_30default_config_static_selectorELNS0_4arch9wavefront6targetE0EEEvT1_.has_indirect_call, 0
	.section	.AMDGPU.csdata,"",@progbits
; Kernel info:
; codeLenInByte = 0
; TotalNumSgprs: 0
; NumVgprs: 0
; ScratchSize: 0
; MemoryBound: 0
; FloatMode: 240
; IeeeMode: 1
; LDSByteSize: 0 bytes/workgroup (compile time only)
; SGPRBlocks: 0
; VGPRBlocks: 0
; NumSGPRsForWavesPerEU: 1
; NumVGPRsForWavesPerEU: 1
; Occupancy: 16
; WaveLimiterHint : 0
; COMPUTE_PGM_RSRC2:SCRATCH_EN: 0
; COMPUTE_PGM_RSRC2:USER_SGPR: 6
; COMPUTE_PGM_RSRC2:TRAP_HANDLER: 0
; COMPUTE_PGM_RSRC2:TGID_X_EN: 1
; COMPUTE_PGM_RSRC2:TGID_Y_EN: 0
; COMPUTE_PGM_RSRC2:TGID_Z_EN: 0
; COMPUTE_PGM_RSRC2:TIDIG_COMP_CNT: 0
	.section	.text._ZN7rocprim17ROCPRIM_400000_NS6detail17trampoline_kernelINS0_14default_configENS1_27scan_by_key_config_selectorIiyEEZZNS1_16scan_by_key_implILNS1_25lookback_scan_determinismE0ELb1ES3_N6thrust23THRUST_200600_302600_NS6detail15normal_iteratorINS9_10device_ptrIiEEEENSB_INSC_IyEEEESG_yNS9_4plusIvEENS9_8equal_toIvEEyEE10hipError_tPvRmT2_T3_T4_T5_mT6_T7_P12ihipStream_tbENKUlT_T0_E_clISt17integral_constantIbLb0EES11_EEDaSW_SX_EUlSW_E_NS1_11comp_targetILNS1_3genE3ELNS1_11target_archE908ELNS1_3gpuE7ELNS1_3repE0EEENS1_30default_config_static_selectorELNS0_4arch9wavefront6targetE0EEEvT1_,"axG",@progbits,_ZN7rocprim17ROCPRIM_400000_NS6detail17trampoline_kernelINS0_14default_configENS1_27scan_by_key_config_selectorIiyEEZZNS1_16scan_by_key_implILNS1_25lookback_scan_determinismE0ELb1ES3_N6thrust23THRUST_200600_302600_NS6detail15normal_iteratorINS9_10device_ptrIiEEEENSB_INSC_IyEEEESG_yNS9_4plusIvEENS9_8equal_toIvEEyEE10hipError_tPvRmT2_T3_T4_T5_mT6_T7_P12ihipStream_tbENKUlT_T0_E_clISt17integral_constantIbLb0EES11_EEDaSW_SX_EUlSW_E_NS1_11comp_targetILNS1_3genE3ELNS1_11target_archE908ELNS1_3gpuE7ELNS1_3repE0EEENS1_30default_config_static_selectorELNS0_4arch9wavefront6targetE0EEEvT1_,comdat
	.protected	_ZN7rocprim17ROCPRIM_400000_NS6detail17trampoline_kernelINS0_14default_configENS1_27scan_by_key_config_selectorIiyEEZZNS1_16scan_by_key_implILNS1_25lookback_scan_determinismE0ELb1ES3_N6thrust23THRUST_200600_302600_NS6detail15normal_iteratorINS9_10device_ptrIiEEEENSB_INSC_IyEEEESG_yNS9_4plusIvEENS9_8equal_toIvEEyEE10hipError_tPvRmT2_T3_T4_T5_mT6_T7_P12ihipStream_tbENKUlT_T0_E_clISt17integral_constantIbLb0EES11_EEDaSW_SX_EUlSW_E_NS1_11comp_targetILNS1_3genE3ELNS1_11target_archE908ELNS1_3gpuE7ELNS1_3repE0EEENS1_30default_config_static_selectorELNS0_4arch9wavefront6targetE0EEEvT1_ ; -- Begin function _ZN7rocprim17ROCPRIM_400000_NS6detail17trampoline_kernelINS0_14default_configENS1_27scan_by_key_config_selectorIiyEEZZNS1_16scan_by_key_implILNS1_25lookback_scan_determinismE0ELb1ES3_N6thrust23THRUST_200600_302600_NS6detail15normal_iteratorINS9_10device_ptrIiEEEENSB_INSC_IyEEEESG_yNS9_4plusIvEENS9_8equal_toIvEEyEE10hipError_tPvRmT2_T3_T4_T5_mT6_T7_P12ihipStream_tbENKUlT_T0_E_clISt17integral_constantIbLb0EES11_EEDaSW_SX_EUlSW_E_NS1_11comp_targetILNS1_3genE3ELNS1_11target_archE908ELNS1_3gpuE7ELNS1_3repE0EEENS1_30default_config_static_selectorELNS0_4arch9wavefront6targetE0EEEvT1_
	.globl	_ZN7rocprim17ROCPRIM_400000_NS6detail17trampoline_kernelINS0_14default_configENS1_27scan_by_key_config_selectorIiyEEZZNS1_16scan_by_key_implILNS1_25lookback_scan_determinismE0ELb1ES3_N6thrust23THRUST_200600_302600_NS6detail15normal_iteratorINS9_10device_ptrIiEEEENSB_INSC_IyEEEESG_yNS9_4plusIvEENS9_8equal_toIvEEyEE10hipError_tPvRmT2_T3_T4_T5_mT6_T7_P12ihipStream_tbENKUlT_T0_E_clISt17integral_constantIbLb0EES11_EEDaSW_SX_EUlSW_E_NS1_11comp_targetILNS1_3genE3ELNS1_11target_archE908ELNS1_3gpuE7ELNS1_3repE0EEENS1_30default_config_static_selectorELNS0_4arch9wavefront6targetE0EEEvT1_
	.p2align	8
	.type	_ZN7rocprim17ROCPRIM_400000_NS6detail17trampoline_kernelINS0_14default_configENS1_27scan_by_key_config_selectorIiyEEZZNS1_16scan_by_key_implILNS1_25lookback_scan_determinismE0ELb1ES3_N6thrust23THRUST_200600_302600_NS6detail15normal_iteratorINS9_10device_ptrIiEEEENSB_INSC_IyEEEESG_yNS9_4plusIvEENS9_8equal_toIvEEyEE10hipError_tPvRmT2_T3_T4_T5_mT6_T7_P12ihipStream_tbENKUlT_T0_E_clISt17integral_constantIbLb0EES11_EEDaSW_SX_EUlSW_E_NS1_11comp_targetILNS1_3genE3ELNS1_11target_archE908ELNS1_3gpuE7ELNS1_3repE0EEENS1_30default_config_static_selectorELNS0_4arch9wavefront6targetE0EEEvT1_,@function
_ZN7rocprim17ROCPRIM_400000_NS6detail17trampoline_kernelINS0_14default_configENS1_27scan_by_key_config_selectorIiyEEZZNS1_16scan_by_key_implILNS1_25lookback_scan_determinismE0ELb1ES3_N6thrust23THRUST_200600_302600_NS6detail15normal_iteratorINS9_10device_ptrIiEEEENSB_INSC_IyEEEESG_yNS9_4plusIvEENS9_8equal_toIvEEyEE10hipError_tPvRmT2_T3_T4_T5_mT6_T7_P12ihipStream_tbENKUlT_T0_E_clISt17integral_constantIbLb0EES11_EEDaSW_SX_EUlSW_E_NS1_11comp_targetILNS1_3genE3ELNS1_11target_archE908ELNS1_3gpuE7ELNS1_3repE0EEENS1_30default_config_static_selectorELNS0_4arch9wavefront6targetE0EEEvT1_: ; @_ZN7rocprim17ROCPRIM_400000_NS6detail17trampoline_kernelINS0_14default_configENS1_27scan_by_key_config_selectorIiyEEZZNS1_16scan_by_key_implILNS1_25lookback_scan_determinismE0ELb1ES3_N6thrust23THRUST_200600_302600_NS6detail15normal_iteratorINS9_10device_ptrIiEEEENSB_INSC_IyEEEESG_yNS9_4plusIvEENS9_8equal_toIvEEyEE10hipError_tPvRmT2_T3_T4_T5_mT6_T7_P12ihipStream_tbENKUlT_T0_E_clISt17integral_constantIbLb0EES11_EEDaSW_SX_EUlSW_E_NS1_11comp_targetILNS1_3genE3ELNS1_11target_archE908ELNS1_3gpuE7ELNS1_3repE0EEENS1_30default_config_static_selectorELNS0_4arch9wavefront6targetE0EEEvT1_
; %bb.0:
	.section	.rodata,"a",@progbits
	.p2align	6, 0x0
	.amdhsa_kernel _ZN7rocprim17ROCPRIM_400000_NS6detail17trampoline_kernelINS0_14default_configENS1_27scan_by_key_config_selectorIiyEEZZNS1_16scan_by_key_implILNS1_25lookback_scan_determinismE0ELb1ES3_N6thrust23THRUST_200600_302600_NS6detail15normal_iteratorINS9_10device_ptrIiEEEENSB_INSC_IyEEEESG_yNS9_4plusIvEENS9_8equal_toIvEEyEE10hipError_tPvRmT2_T3_T4_T5_mT6_T7_P12ihipStream_tbENKUlT_T0_E_clISt17integral_constantIbLb0EES11_EEDaSW_SX_EUlSW_E_NS1_11comp_targetILNS1_3genE3ELNS1_11target_archE908ELNS1_3gpuE7ELNS1_3repE0EEENS1_30default_config_static_selectorELNS0_4arch9wavefront6targetE0EEEvT1_
		.amdhsa_group_segment_fixed_size 0
		.amdhsa_private_segment_fixed_size 0
		.amdhsa_kernarg_size 136
		.amdhsa_user_sgpr_count 6
		.amdhsa_user_sgpr_private_segment_buffer 1
		.amdhsa_user_sgpr_dispatch_ptr 0
		.amdhsa_user_sgpr_queue_ptr 0
		.amdhsa_user_sgpr_kernarg_segment_ptr 1
		.amdhsa_user_sgpr_dispatch_id 0
		.amdhsa_user_sgpr_flat_scratch_init 0
		.amdhsa_user_sgpr_private_segment_size 0
		.amdhsa_wavefront_size32 1
		.amdhsa_uses_dynamic_stack 0
		.amdhsa_system_sgpr_private_segment_wavefront_offset 0
		.amdhsa_system_sgpr_workgroup_id_x 1
		.amdhsa_system_sgpr_workgroup_id_y 0
		.amdhsa_system_sgpr_workgroup_id_z 0
		.amdhsa_system_sgpr_workgroup_info 0
		.amdhsa_system_vgpr_workitem_id 0
		.amdhsa_next_free_vgpr 1
		.amdhsa_next_free_sgpr 1
		.amdhsa_reserve_vcc 0
		.amdhsa_reserve_flat_scratch 0
		.amdhsa_float_round_mode_32 0
		.amdhsa_float_round_mode_16_64 0
		.amdhsa_float_denorm_mode_32 3
		.amdhsa_float_denorm_mode_16_64 3
		.amdhsa_dx10_clamp 1
		.amdhsa_ieee_mode 1
		.amdhsa_fp16_overflow 0
		.amdhsa_workgroup_processor_mode 1
		.amdhsa_memory_ordered 1
		.amdhsa_forward_progress 1
		.amdhsa_shared_vgpr_count 0
		.amdhsa_exception_fp_ieee_invalid_op 0
		.amdhsa_exception_fp_denorm_src 0
		.amdhsa_exception_fp_ieee_div_zero 0
		.amdhsa_exception_fp_ieee_overflow 0
		.amdhsa_exception_fp_ieee_underflow 0
		.amdhsa_exception_fp_ieee_inexact 0
		.amdhsa_exception_int_div_zero 0
	.end_amdhsa_kernel
	.section	.text._ZN7rocprim17ROCPRIM_400000_NS6detail17trampoline_kernelINS0_14default_configENS1_27scan_by_key_config_selectorIiyEEZZNS1_16scan_by_key_implILNS1_25lookback_scan_determinismE0ELb1ES3_N6thrust23THRUST_200600_302600_NS6detail15normal_iteratorINS9_10device_ptrIiEEEENSB_INSC_IyEEEESG_yNS9_4plusIvEENS9_8equal_toIvEEyEE10hipError_tPvRmT2_T3_T4_T5_mT6_T7_P12ihipStream_tbENKUlT_T0_E_clISt17integral_constantIbLb0EES11_EEDaSW_SX_EUlSW_E_NS1_11comp_targetILNS1_3genE3ELNS1_11target_archE908ELNS1_3gpuE7ELNS1_3repE0EEENS1_30default_config_static_selectorELNS0_4arch9wavefront6targetE0EEEvT1_,"axG",@progbits,_ZN7rocprim17ROCPRIM_400000_NS6detail17trampoline_kernelINS0_14default_configENS1_27scan_by_key_config_selectorIiyEEZZNS1_16scan_by_key_implILNS1_25lookback_scan_determinismE0ELb1ES3_N6thrust23THRUST_200600_302600_NS6detail15normal_iteratorINS9_10device_ptrIiEEEENSB_INSC_IyEEEESG_yNS9_4plusIvEENS9_8equal_toIvEEyEE10hipError_tPvRmT2_T3_T4_T5_mT6_T7_P12ihipStream_tbENKUlT_T0_E_clISt17integral_constantIbLb0EES11_EEDaSW_SX_EUlSW_E_NS1_11comp_targetILNS1_3genE3ELNS1_11target_archE908ELNS1_3gpuE7ELNS1_3repE0EEENS1_30default_config_static_selectorELNS0_4arch9wavefront6targetE0EEEvT1_,comdat
.Lfunc_end1467:
	.size	_ZN7rocprim17ROCPRIM_400000_NS6detail17trampoline_kernelINS0_14default_configENS1_27scan_by_key_config_selectorIiyEEZZNS1_16scan_by_key_implILNS1_25lookback_scan_determinismE0ELb1ES3_N6thrust23THRUST_200600_302600_NS6detail15normal_iteratorINS9_10device_ptrIiEEEENSB_INSC_IyEEEESG_yNS9_4plusIvEENS9_8equal_toIvEEyEE10hipError_tPvRmT2_T3_T4_T5_mT6_T7_P12ihipStream_tbENKUlT_T0_E_clISt17integral_constantIbLb0EES11_EEDaSW_SX_EUlSW_E_NS1_11comp_targetILNS1_3genE3ELNS1_11target_archE908ELNS1_3gpuE7ELNS1_3repE0EEENS1_30default_config_static_selectorELNS0_4arch9wavefront6targetE0EEEvT1_, .Lfunc_end1467-_ZN7rocprim17ROCPRIM_400000_NS6detail17trampoline_kernelINS0_14default_configENS1_27scan_by_key_config_selectorIiyEEZZNS1_16scan_by_key_implILNS1_25lookback_scan_determinismE0ELb1ES3_N6thrust23THRUST_200600_302600_NS6detail15normal_iteratorINS9_10device_ptrIiEEEENSB_INSC_IyEEEESG_yNS9_4plusIvEENS9_8equal_toIvEEyEE10hipError_tPvRmT2_T3_T4_T5_mT6_T7_P12ihipStream_tbENKUlT_T0_E_clISt17integral_constantIbLb0EES11_EEDaSW_SX_EUlSW_E_NS1_11comp_targetILNS1_3genE3ELNS1_11target_archE908ELNS1_3gpuE7ELNS1_3repE0EEENS1_30default_config_static_selectorELNS0_4arch9wavefront6targetE0EEEvT1_
                                        ; -- End function
	.set _ZN7rocprim17ROCPRIM_400000_NS6detail17trampoline_kernelINS0_14default_configENS1_27scan_by_key_config_selectorIiyEEZZNS1_16scan_by_key_implILNS1_25lookback_scan_determinismE0ELb1ES3_N6thrust23THRUST_200600_302600_NS6detail15normal_iteratorINS9_10device_ptrIiEEEENSB_INSC_IyEEEESG_yNS9_4plusIvEENS9_8equal_toIvEEyEE10hipError_tPvRmT2_T3_T4_T5_mT6_T7_P12ihipStream_tbENKUlT_T0_E_clISt17integral_constantIbLb0EES11_EEDaSW_SX_EUlSW_E_NS1_11comp_targetILNS1_3genE3ELNS1_11target_archE908ELNS1_3gpuE7ELNS1_3repE0EEENS1_30default_config_static_selectorELNS0_4arch9wavefront6targetE0EEEvT1_.num_vgpr, 0
	.set _ZN7rocprim17ROCPRIM_400000_NS6detail17trampoline_kernelINS0_14default_configENS1_27scan_by_key_config_selectorIiyEEZZNS1_16scan_by_key_implILNS1_25lookback_scan_determinismE0ELb1ES3_N6thrust23THRUST_200600_302600_NS6detail15normal_iteratorINS9_10device_ptrIiEEEENSB_INSC_IyEEEESG_yNS9_4plusIvEENS9_8equal_toIvEEyEE10hipError_tPvRmT2_T3_T4_T5_mT6_T7_P12ihipStream_tbENKUlT_T0_E_clISt17integral_constantIbLb0EES11_EEDaSW_SX_EUlSW_E_NS1_11comp_targetILNS1_3genE3ELNS1_11target_archE908ELNS1_3gpuE7ELNS1_3repE0EEENS1_30default_config_static_selectorELNS0_4arch9wavefront6targetE0EEEvT1_.num_agpr, 0
	.set _ZN7rocprim17ROCPRIM_400000_NS6detail17trampoline_kernelINS0_14default_configENS1_27scan_by_key_config_selectorIiyEEZZNS1_16scan_by_key_implILNS1_25lookback_scan_determinismE0ELb1ES3_N6thrust23THRUST_200600_302600_NS6detail15normal_iteratorINS9_10device_ptrIiEEEENSB_INSC_IyEEEESG_yNS9_4plusIvEENS9_8equal_toIvEEyEE10hipError_tPvRmT2_T3_T4_T5_mT6_T7_P12ihipStream_tbENKUlT_T0_E_clISt17integral_constantIbLb0EES11_EEDaSW_SX_EUlSW_E_NS1_11comp_targetILNS1_3genE3ELNS1_11target_archE908ELNS1_3gpuE7ELNS1_3repE0EEENS1_30default_config_static_selectorELNS0_4arch9wavefront6targetE0EEEvT1_.numbered_sgpr, 0
	.set _ZN7rocprim17ROCPRIM_400000_NS6detail17trampoline_kernelINS0_14default_configENS1_27scan_by_key_config_selectorIiyEEZZNS1_16scan_by_key_implILNS1_25lookback_scan_determinismE0ELb1ES3_N6thrust23THRUST_200600_302600_NS6detail15normal_iteratorINS9_10device_ptrIiEEEENSB_INSC_IyEEEESG_yNS9_4plusIvEENS9_8equal_toIvEEyEE10hipError_tPvRmT2_T3_T4_T5_mT6_T7_P12ihipStream_tbENKUlT_T0_E_clISt17integral_constantIbLb0EES11_EEDaSW_SX_EUlSW_E_NS1_11comp_targetILNS1_3genE3ELNS1_11target_archE908ELNS1_3gpuE7ELNS1_3repE0EEENS1_30default_config_static_selectorELNS0_4arch9wavefront6targetE0EEEvT1_.num_named_barrier, 0
	.set _ZN7rocprim17ROCPRIM_400000_NS6detail17trampoline_kernelINS0_14default_configENS1_27scan_by_key_config_selectorIiyEEZZNS1_16scan_by_key_implILNS1_25lookback_scan_determinismE0ELb1ES3_N6thrust23THRUST_200600_302600_NS6detail15normal_iteratorINS9_10device_ptrIiEEEENSB_INSC_IyEEEESG_yNS9_4plusIvEENS9_8equal_toIvEEyEE10hipError_tPvRmT2_T3_T4_T5_mT6_T7_P12ihipStream_tbENKUlT_T0_E_clISt17integral_constantIbLb0EES11_EEDaSW_SX_EUlSW_E_NS1_11comp_targetILNS1_3genE3ELNS1_11target_archE908ELNS1_3gpuE7ELNS1_3repE0EEENS1_30default_config_static_selectorELNS0_4arch9wavefront6targetE0EEEvT1_.private_seg_size, 0
	.set _ZN7rocprim17ROCPRIM_400000_NS6detail17trampoline_kernelINS0_14default_configENS1_27scan_by_key_config_selectorIiyEEZZNS1_16scan_by_key_implILNS1_25lookback_scan_determinismE0ELb1ES3_N6thrust23THRUST_200600_302600_NS6detail15normal_iteratorINS9_10device_ptrIiEEEENSB_INSC_IyEEEESG_yNS9_4plusIvEENS9_8equal_toIvEEyEE10hipError_tPvRmT2_T3_T4_T5_mT6_T7_P12ihipStream_tbENKUlT_T0_E_clISt17integral_constantIbLb0EES11_EEDaSW_SX_EUlSW_E_NS1_11comp_targetILNS1_3genE3ELNS1_11target_archE908ELNS1_3gpuE7ELNS1_3repE0EEENS1_30default_config_static_selectorELNS0_4arch9wavefront6targetE0EEEvT1_.uses_vcc, 0
	.set _ZN7rocprim17ROCPRIM_400000_NS6detail17trampoline_kernelINS0_14default_configENS1_27scan_by_key_config_selectorIiyEEZZNS1_16scan_by_key_implILNS1_25lookback_scan_determinismE0ELb1ES3_N6thrust23THRUST_200600_302600_NS6detail15normal_iteratorINS9_10device_ptrIiEEEENSB_INSC_IyEEEESG_yNS9_4plusIvEENS9_8equal_toIvEEyEE10hipError_tPvRmT2_T3_T4_T5_mT6_T7_P12ihipStream_tbENKUlT_T0_E_clISt17integral_constantIbLb0EES11_EEDaSW_SX_EUlSW_E_NS1_11comp_targetILNS1_3genE3ELNS1_11target_archE908ELNS1_3gpuE7ELNS1_3repE0EEENS1_30default_config_static_selectorELNS0_4arch9wavefront6targetE0EEEvT1_.uses_flat_scratch, 0
	.set _ZN7rocprim17ROCPRIM_400000_NS6detail17trampoline_kernelINS0_14default_configENS1_27scan_by_key_config_selectorIiyEEZZNS1_16scan_by_key_implILNS1_25lookback_scan_determinismE0ELb1ES3_N6thrust23THRUST_200600_302600_NS6detail15normal_iteratorINS9_10device_ptrIiEEEENSB_INSC_IyEEEESG_yNS9_4plusIvEENS9_8equal_toIvEEyEE10hipError_tPvRmT2_T3_T4_T5_mT6_T7_P12ihipStream_tbENKUlT_T0_E_clISt17integral_constantIbLb0EES11_EEDaSW_SX_EUlSW_E_NS1_11comp_targetILNS1_3genE3ELNS1_11target_archE908ELNS1_3gpuE7ELNS1_3repE0EEENS1_30default_config_static_selectorELNS0_4arch9wavefront6targetE0EEEvT1_.has_dyn_sized_stack, 0
	.set _ZN7rocprim17ROCPRIM_400000_NS6detail17trampoline_kernelINS0_14default_configENS1_27scan_by_key_config_selectorIiyEEZZNS1_16scan_by_key_implILNS1_25lookback_scan_determinismE0ELb1ES3_N6thrust23THRUST_200600_302600_NS6detail15normal_iteratorINS9_10device_ptrIiEEEENSB_INSC_IyEEEESG_yNS9_4plusIvEENS9_8equal_toIvEEyEE10hipError_tPvRmT2_T3_T4_T5_mT6_T7_P12ihipStream_tbENKUlT_T0_E_clISt17integral_constantIbLb0EES11_EEDaSW_SX_EUlSW_E_NS1_11comp_targetILNS1_3genE3ELNS1_11target_archE908ELNS1_3gpuE7ELNS1_3repE0EEENS1_30default_config_static_selectorELNS0_4arch9wavefront6targetE0EEEvT1_.has_recursion, 0
	.set _ZN7rocprim17ROCPRIM_400000_NS6detail17trampoline_kernelINS0_14default_configENS1_27scan_by_key_config_selectorIiyEEZZNS1_16scan_by_key_implILNS1_25lookback_scan_determinismE0ELb1ES3_N6thrust23THRUST_200600_302600_NS6detail15normal_iteratorINS9_10device_ptrIiEEEENSB_INSC_IyEEEESG_yNS9_4plusIvEENS9_8equal_toIvEEyEE10hipError_tPvRmT2_T3_T4_T5_mT6_T7_P12ihipStream_tbENKUlT_T0_E_clISt17integral_constantIbLb0EES11_EEDaSW_SX_EUlSW_E_NS1_11comp_targetILNS1_3genE3ELNS1_11target_archE908ELNS1_3gpuE7ELNS1_3repE0EEENS1_30default_config_static_selectorELNS0_4arch9wavefront6targetE0EEEvT1_.has_indirect_call, 0
	.section	.AMDGPU.csdata,"",@progbits
; Kernel info:
; codeLenInByte = 0
; TotalNumSgprs: 0
; NumVgprs: 0
; ScratchSize: 0
; MemoryBound: 0
; FloatMode: 240
; IeeeMode: 1
; LDSByteSize: 0 bytes/workgroup (compile time only)
; SGPRBlocks: 0
; VGPRBlocks: 0
; NumSGPRsForWavesPerEU: 1
; NumVGPRsForWavesPerEU: 1
; Occupancy: 16
; WaveLimiterHint : 0
; COMPUTE_PGM_RSRC2:SCRATCH_EN: 0
; COMPUTE_PGM_RSRC2:USER_SGPR: 6
; COMPUTE_PGM_RSRC2:TRAP_HANDLER: 0
; COMPUTE_PGM_RSRC2:TGID_X_EN: 1
; COMPUTE_PGM_RSRC2:TGID_Y_EN: 0
; COMPUTE_PGM_RSRC2:TGID_Z_EN: 0
; COMPUTE_PGM_RSRC2:TIDIG_COMP_CNT: 0
	.section	.text._ZN7rocprim17ROCPRIM_400000_NS6detail17trampoline_kernelINS0_14default_configENS1_27scan_by_key_config_selectorIiyEEZZNS1_16scan_by_key_implILNS1_25lookback_scan_determinismE0ELb1ES3_N6thrust23THRUST_200600_302600_NS6detail15normal_iteratorINS9_10device_ptrIiEEEENSB_INSC_IyEEEESG_yNS9_4plusIvEENS9_8equal_toIvEEyEE10hipError_tPvRmT2_T3_T4_T5_mT6_T7_P12ihipStream_tbENKUlT_T0_E_clISt17integral_constantIbLb0EES11_EEDaSW_SX_EUlSW_E_NS1_11comp_targetILNS1_3genE2ELNS1_11target_archE906ELNS1_3gpuE6ELNS1_3repE0EEENS1_30default_config_static_selectorELNS0_4arch9wavefront6targetE0EEEvT1_,"axG",@progbits,_ZN7rocprim17ROCPRIM_400000_NS6detail17trampoline_kernelINS0_14default_configENS1_27scan_by_key_config_selectorIiyEEZZNS1_16scan_by_key_implILNS1_25lookback_scan_determinismE0ELb1ES3_N6thrust23THRUST_200600_302600_NS6detail15normal_iteratorINS9_10device_ptrIiEEEENSB_INSC_IyEEEESG_yNS9_4plusIvEENS9_8equal_toIvEEyEE10hipError_tPvRmT2_T3_T4_T5_mT6_T7_P12ihipStream_tbENKUlT_T0_E_clISt17integral_constantIbLb0EES11_EEDaSW_SX_EUlSW_E_NS1_11comp_targetILNS1_3genE2ELNS1_11target_archE906ELNS1_3gpuE6ELNS1_3repE0EEENS1_30default_config_static_selectorELNS0_4arch9wavefront6targetE0EEEvT1_,comdat
	.protected	_ZN7rocprim17ROCPRIM_400000_NS6detail17trampoline_kernelINS0_14default_configENS1_27scan_by_key_config_selectorIiyEEZZNS1_16scan_by_key_implILNS1_25lookback_scan_determinismE0ELb1ES3_N6thrust23THRUST_200600_302600_NS6detail15normal_iteratorINS9_10device_ptrIiEEEENSB_INSC_IyEEEESG_yNS9_4plusIvEENS9_8equal_toIvEEyEE10hipError_tPvRmT2_T3_T4_T5_mT6_T7_P12ihipStream_tbENKUlT_T0_E_clISt17integral_constantIbLb0EES11_EEDaSW_SX_EUlSW_E_NS1_11comp_targetILNS1_3genE2ELNS1_11target_archE906ELNS1_3gpuE6ELNS1_3repE0EEENS1_30default_config_static_selectorELNS0_4arch9wavefront6targetE0EEEvT1_ ; -- Begin function _ZN7rocprim17ROCPRIM_400000_NS6detail17trampoline_kernelINS0_14default_configENS1_27scan_by_key_config_selectorIiyEEZZNS1_16scan_by_key_implILNS1_25lookback_scan_determinismE0ELb1ES3_N6thrust23THRUST_200600_302600_NS6detail15normal_iteratorINS9_10device_ptrIiEEEENSB_INSC_IyEEEESG_yNS9_4plusIvEENS9_8equal_toIvEEyEE10hipError_tPvRmT2_T3_T4_T5_mT6_T7_P12ihipStream_tbENKUlT_T0_E_clISt17integral_constantIbLb0EES11_EEDaSW_SX_EUlSW_E_NS1_11comp_targetILNS1_3genE2ELNS1_11target_archE906ELNS1_3gpuE6ELNS1_3repE0EEENS1_30default_config_static_selectorELNS0_4arch9wavefront6targetE0EEEvT1_
	.globl	_ZN7rocprim17ROCPRIM_400000_NS6detail17trampoline_kernelINS0_14default_configENS1_27scan_by_key_config_selectorIiyEEZZNS1_16scan_by_key_implILNS1_25lookback_scan_determinismE0ELb1ES3_N6thrust23THRUST_200600_302600_NS6detail15normal_iteratorINS9_10device_ptrIiEEEENSB_INSC_IyEEEESG_yNS9_4plusIvEENS9_8equal_toIvEEyEE10hipError_tPvRmT2_T3_T4_T5_mT6_T7_P12ihipStream_tbENKUlT_T0_E_clISt17integral_constantIbLb0EES11_EEDaSW_SX_EUlSW_E_NS1_11comp_targetILNS1_3genE2ELNS1_11target_archE906ELNS1_3gpuE6ELNS1_3repE0EEENS1_30default_config_static_selectorELNS0_4arch9wavefront6targetE0EEEvT1_
	.p2align	8
	.type	_ZN7rocprim17ROCPRIM_400000_NS6detail17trampoline_kernelINS0_14default_configENS1_27scan_by_key_config_selectorIiyEEZZNS1_16scan_by_key_implILNS1_25lookback_scan_determinismE0ELb1ES3_N6thrust23THRUST_200600_302600_NS6detail15normal_iteratorINS9_10device_ptrIiEEEENSB_INSC_IyEEEESG_yNS9_4plusIvEENS9_8equal_toIvEEyEE10hipError_tPvRmT2_T3_T4_T5_mT6_T7_P12ihipStream_tbENKUlT_T0_E_clISt17integral_constantIbLb0EES11_EEDaSW_SX_EUlSW_E_NS1_11comp_targetILNS1_3genE2ELNS1_11target_archE906ELNS1_3gpuE6ELNS1_3repE0EEENS1_30default_config_static_selectorELNS0_4arch9wavefront6targetE0EEEvT1_,@function
_ZN7rocprim17ROCPRIM_400000_NS6detail17trampoline_kernelINS0_14default_configENS1_27scan_by_key_config_selectorIiyEEZZNS1_16scan_by_key_implILNS1_25lookback_scan_determinismE0ELb1ES3_N6thrust23THRUST_200600_302600_NS6detail15normal_iteratorINS9_10device_ptrIiEEEENSB_INSC_IyEEEESG_yNS9_4plusIvEENS9_8equal_toIvEEyEE10hipError_tPvRmT2_T3_T4_T5_mT6_T7_P12ihipStream_tbENKUlT_T0_E_clISt17integral_constantIbLb0EES11_EEDaSW_SX_EUlSW_E_NS1_11comp_targetILNS1_3genE2ELNS1_11target_archE906ELNS1_3gpuE6ELNS1_3repE0EEENS1_30default_config_static_selectorELNS0_4arch9wavefront6targetE0EEEvT1_: ; @_ZN7rocprim17ROCPRIM_400000_NS6detail17trampoline_kernelINS0_14default_configENS1_27scan_by_key_config_selectorIiyEEZZNS1_16scan_by_key_implILNS1_25lookback_scan_determinismE0ELb1ES3_N6thrust23THRUST_200600_302600_NS6detail15normal_iteratorINS9_10device_ptrIiEEEENSB_INSC_IyEEEESG_yNS9_4plusIvEENS9_8equal_toIvEEyEE10hipError_tPvRmT2_T3_T4_T5_mT6_T7_P12ihipStream_tbENKUlT_T0_E_clISt17integral_constantIbLb0EES11_EEDaSW_SX_EUlSW_E_NS1_11comp_targetILNS1_3genE2ELNS1_11target_archE906ELNS1_3gpuE6ELNS1_3repE0EEENS1_30default_config_static_selectorELNS0_4arch9wavefront6targetE0EEEvT1_
; %bb.0:
	.section	.rodata,"a",@progbits
	.p2align	6, 0x0
	.amdhsa_kernel _ZN7rocprim17ROCPRIM_400000_NS6detail17trampoline_kernelINS0_14default_configENS1_27scan_by_key_config_selectorIiyEEZZNS1_16scan_by_key_implILNS1_25lookback_scan_determinismE0ELb1ES3_N6thrust23THRUST_200600_302600_NS6detail15normal_iteratorINS9_10device_ptrIiEEEENSB_INSC_IyEEEESG_yNS9_4plusIvEENS9_8equal_toIvEEyEE10hipError_tPvRmT2_T3_T4_T5_mT6_T7_P12ihipStream_tbENKUlT_T0_E_clISt17integral_constantIbLb0EES11_EEDaSW_SX_EUlSW_E_NS1_11comp_targetILNS1_3genE2ELNS1_11target_archE906ELNS1_3gpuE6ELNS1_3repE0EEENS1_30default_config_static_selectorELNS0_4arch9wavefront6targetE0EEEvT1_
		.amdhsa_group_segment_fixed_size 0
		.amdhsa_private_segment_fixed_size 0
		.amdhsa_kernarg_size 136
		.amdhsa_user_sgpr_count 6
		.amdhsa_user_sgpr_private_segment_buffer 1
		.amdhsa_user_sgpr_dispatch_ptr 0
		.amdhsa_user_sgpr_queue_ptr 0
		.amdhsa_user_sgpr_kernarg_segment_ptr 1
		.amdhsa_user_sgpr_dispatch_id 0
		.amdhsa_user_sgpr_flat_scratch_init 0
		.amdhsa_user_sgpr_private_segment_size 0
		.amdhsa_wavefront_size32 1
		.amdhsa_uses_dynamic_stack 0
		.amdhsa_system_sgpr_private_segment_wavefront_offset 0
		.amdhsa_system_sgpr_workgroup_id_x 1
		.amdhsa_system_sgpr_workgroup_id_y 0
		.amdhsa_system_sgpr_workgroup_id_z 0
		.amdhsa_system_sgpr_workgroup_info 0
		.amdhsa_system_vgpr_workitem_id 0
		.amdhsa_next_free_vgpr 1
		.amdhsa_next_free_sgpr 1
		.amdhsa_reserve_vcc 0
		.amdhsa_reserve_flat_scratch 0
		.amdhsa_float_round_mode_32 0
		.amdhsa_float_round_mode_16_64 0
		.amdhsa_float_denorm_mode_32 3
		.amdhsa_float_denorm_mode_16_64 3
		.amdhsa_dx10_clamp 1
		.amdhsa_ieee_mode 1
		.amdhsa_fp16_overflow 0
		.amdhsa_workgroup_processor_mode 1
		.amdhsa_memory_ordered 1
		.amdhsa_forward_progress 1
		.amdhsa_shared_vgpr_count 0
		.amdhsa_exception_fp_ieee_invalid_op 0
		.amdhsa_exception_fp_denorm_src 0
		.amdhsa_exception_fp_ieee_div_zero 0
		.amdhsa_exception_fp_ieee_overflow 0
		.amdhsa_exception_fp_ieee_underflow 0
		.amdhsa_exception_fp_ieee_inexact 0
		.amdhsa_exception_int_div_zero 0
	.end_amdhsa_kernel
	.section	.text._ZN7rocprim17ROCPRIM_400000_NS6detail17trampoline_kernelINS0_14default_configENS1_27scan_by_key_config_selectorIiyEEZZNS1_16scan_by_key_implILNS1_25lookback_scan_determinismE0ELb1ES3_N6thrust23THRUST_200600_302600_NS6detail15normal_iteratorINS9_10device_ptrIiEEEENSB_INSC_IyEEEESG_yNS9_4plusIvEENS9_8equal_toIvEEyEE10hipError_tPvRmT2_T3_T4_T5_mT6_T7_P12ihipStream_tbENKUlT_T0_E_clISt17integral_constantIbLb0EES11_EEDaSW_SX_EUlSW_E_NS1_11comp_targetILNS1_3genE2ELNS1_11target_archE906ELNS1_3gpuE6ELNS1_3repE0EEENS1_30default_config_static_selectorELNS0_4arch9wavefront6targetE0EEEvT1_,"axG",@progbits,_ZN7rocprim17ROCPRIM_400000_NS6detail17trampoline_kernelINS0_14default_configENS1_27scan_by_key_config_selectorIiyEEZZNS1_16scan_by_key_implILNS1_25lookback_scan_determinismE0ELb1ES3_N6thrust23THRUST_200600_302600_NS6detail15normal_iteratorINS9_10device_ptrIiEEEENSB_INSC_IyEEEESG_yNS9_4plusIvEENS9_8equal_toIvEEyEE10hipError_tPvRmT2_T3_T4_T5_mT6_T7_P12ihipStream_tbENKUlT_T0_E_clISt17integral_constantIbLb0EES11_EEDaSW_SX_EUlSW_E_NS1_11comp_targetILNS1_3genE2ELNS1_11target_archE906ELNS1_3gpuE6ELNS1_3repE0EEENS1_30default_config_static_selectorELNS0_4arch9wavefront6targetE0EEEvT1_,comdat
.Lfunc_end1468:
	.size	_ZN7rocprim17ROCPRIM_400000_NS6detail17trampoline_kernelINS0_14default_configENS1_27scan_by_key_config_selectorIiyEEZZNS1_16scan_by_key_implILNS1_25lookback_scan_determinismE0ELb1ES3_N6thrust23THRUST_200600_302600_NS6detail15normal_iteratorINS9_10device_ptrIiEEEENSB_INSC_IyEEEESG_yNS9_4plusIvEENS9_8equal_toIvEEyEE10hipError_tPvRmT2_T3_T4_T5_mT6_T7_P12ihipStream_tbENKUlT_T0_E_clISt17integral_constantIbLb0EES11_EEDaSW_SX_EUlSW_E_NS1_11comp_targetILNS1_3genE2ELNS1_11target_archE906ELNS1_3gpuE6ELNS1_3repE0EEENS1_30default_config_static_selectorELNS0_4arch9wavefront6targetE0EEEvT1_, .Lfunc_end1468-_ZN7rocprim17ROCPRIM_400000_NS6detail17trampoline_kernelINS0_14default_configENS1_27scan_by_key_config_selectorIiyEEZZNS1_16scan_by_key_implILNS1_25lookback_scan_determinismE0ELb1ES3_N6thrust23THRUST_200600_302600_NS6detail15normal_iteratorINS9_10device_ptrIiEEEENSB_INSC_IyEEEESG_yNS9_4plusIvEENS9_8equal_toIvEEyEE10hipError_tPvRmT2_T3_T4_T5_mT6_T7_P12ihipStream_tbENKUlT_T0_E_clISt17integral_constantIbLb0EES11_EEDaSW_SX_EUlSW_E_NS1_11comp_targetILNS1_3genE2ELNS1_11target_archE906ELNS1_3gpuE6ELNS1_3repE0EEENS1_30default_config_static_selectorELNS0_4arch9wavefront6targetE0EEEvT1_
                                        ; -- End function
	.set _ZN7rocprim17ROCPRIM_400000_NS6detail17trampoline_kernelINS0_14default_configENS1_27scan_by_key_config_selectorIiyEEZZNS1_16scan_by_key_implILNS1_25lookback_scan_determinismE0ELb1ES3_N6thrust23THRUST_200600_302600_NS6detail15normal_iteratorINS9_10device_ptrIiEEEENSB_INSC_IyEEEESG_yNS9_4plusIvEENS9_8equal_toIvEEyEE10hipError_tPvRmT2_T3_T4_T5_mT6_T7_P12ihipStream_tbENKUlT_T0_E_clISt17integral_constantIbLb0EES11_EEDaSW_SX_EUlSW_E_NS1_11comp_targetILNS1_3genE2ELNS1_11target_archE906ELNS1_3gpuE6ELNS1_3repE0EEENS1_30default_config_static_selectorELNS0_4arch9wavefront6targetE0EEEvT1_.num_vgpr, 0
	.set _ZN7rocprim17ROCPRIM_400000_NS6detail17trampoline_kernelINS0_14default_configENS1_27scan_by_key_config_selectorIiyEEZZNS1_16scan_by_key_implILNS1_25lookback_scan_determinismE0ELb1ES3_N6thrust23THRUST_200600_302600_NS6detail15normal_iteratorINS9_10device_ptrIiEEEENSB_INSC_IyEEEESG_yNS9_4plusIvEENS9_8equal_toIvEEyEE10hipError_tPvRmT2_T3_T4_T5_mT6_T7_P12ihipStream_tbENKUlT_T0_E_clISt17integral_constantIbLb0EES11_EEDaSW_SX_EUlSW_E_NS1_11comp_targetILNS1_3genE2ELNS1_11target_archE906ELNS1_3gpuE6ELNS1_3repE0EEENS1_30default_config_static_selectorELNS0_4arch9wavefront6targetE0EEEvT1_.num_agpr, 0
	.set _ZN7rocprim17ROCPRIM_400000_NS6detail17trampoline_kernelINS0_14default_configENS1_27scan_by_key_config_selectorIiyEEZZNS1_16scan_by_key_implILNS1_25lookback_scan_determinismE0ELb1ES3_N6thrust23THRUST_200600_302600_NS6detail15normal_iteratorINS9_10device_ptrIiEEEENSB_INSC_IyEEEESG_yNS9_4plusIvEENS9_8equal_toIvEEyEE10hipError_tPvRmT2_T3_T4_T5_mT6_T7_P12ihipStream_tbENKUlT_T0_E_clISt17integral_constantIbLb0EES11_EEDaSW_SX_EUlSW_E_NS1_11comp_targetILNS1_3genE2ELNS1_11target_archE906ELNS1_3gpuE6ELNS1_3repE0EEENS1_30default_config_static_selectorELNS0_4arch9wavefront6targetE0EEEvT1_.numbered_sgpr, 0
	.set _ZN7rocprim17ROCPRIM_400000_NS6detail17trampoline_kernelINS0_14default_configENS1_27scan_by_key_config_selectorIiyEEZZNS1_16scan_by_key_implILNS1_25lookback_scan_determinismE0ELb1ES3_N6thrust23THRUST_200600_302600_NS6detail15normal_iteratorINS9_10device_ptrIiEEEENSB_INSC_IyEEEESG_yNS9_4plusIvEENS9_8equal_toIvEEyEE10hipError_tPvRmT2_T3_T4_T5_mT6_T7_P12ihipStream_tbENKUlT_T0_E_clISt17integral_constantIbLb0EES11_EEDaSW_SX_EUlSW_E_NS1_11comp_targetILNS1_3genE2ELNS1_11target_archE906ELNS1_3gpuE6ELNS1_3repE0EEENS1_30default_config_static_selectorELNS0_4arch9wavefront6targetE0EEEvT1_.num_named_barrier, 0
	.set _ZN7rocprim17ROCPRIM_400000_NS6detail17trampoline_kernelINS0_14default_configENS1_27scan_by_key_config_selectorIiyEEZZNS1_16scan_by_key_implILNS1_25lookback_scan_determinismE0ELb1ES3_N6thrust23THRUST_200600_302600_NS6detail15normal_iteratorINS9_10device_ptrIiEEEENSB_INSC_IyEEEESG_yNS9_4plusIvEENS9_8equal_toIvEEyEE10hipError_tPvRmT2_T3_T4_T5_mT6_T7_P12ihipStream_tbENKUlT_T0_E_clISt17integral_constantIbLb0EES11_EEDaSW_SX_EUlSW_E_NS1_11comp_targetILNS1_3genE2ELNS1_11target_archE906ELNS1_3gpuE6ELNS1_3repE0EEENS1_30default_config_static_selectorELNS0_4arch9wavefront6targetE0EEEvT1_.private_seg_size, 0
	.set _ZN7rocprim17ROCPRIM_400000_NS6detail17trampoline_kernelINS0_14default_configENS1_27scan_by_key_config_selectorIiyEEZZNS1_16scan_by_key_implILNS1_25lookback_scan_determinismE0ELb1ES3_N6thrust23THRUST_200600_302600_NS6detail15normal_iteratorINS9_10device_ptrIiEEEENSB_INSC_IyEEEESG_yNS9_4plusIvEENS9_8equal_toIvEEyEE10hipError_tPvRmT2_T3_T4_T5_mT6_T7_P12ihipStream_tbENKUlT_T0_E_clISt17integral_constantIbLb0EES11_EEDaSW_SX_EUlSW_E_NS1_11comp_targetILNS1_3genE2ELNS1_11target_archE906ELNS1_3gpuE6ELNS1_3repE0EEENS1_30default_config_static_selectorELNS0_4arch9wavefront6targetE0EEEvT1_.uses_vcc, 0
	.set _ZN7rocprim17ROCPRIM_400000_NS6detail17trampoline_kernelINS0_14default_configENS1_27scan_by_key_config_selectorIiyEEZZNS1_16scan_by_key_implILNS1_25lookback_scan_determinismE0ELb1ES3_N6thrust23THRUST_200600_302600_NS6detail15normal_iteratorINS9_10device_ptrIiEEEENSB_INSC_IyEEEESG_yNS9_4plusIvEENS9_8equal_toIvEEyEE10hipError_tPvRmT2_T3_T4_T5_mT6_T7_P12ihipStream_tbENKUlT_T0_E_clISt17integral_constantIbLb0EES11_EEDaSW_SX_EUlSW_E_NS1_11comp_targetILNS1_3genE2ELNS1_11target_archE906ELNS1_3gpuE6ELNS1_3repE0EEENS1_30default_config_static_selectorELNS0_4arch9wavefront6targetE0EEEvT1_.uses_flat_scratch, 0
	.set _ZN7rocprim17ROCPRIM_400000_NS6detail17trampoline_kernelINS0_14default_configENS1_27scan_by_key_config_selectorIiyEEZZNS1_16scan_by_key_implILNS1_25lookback_scan_determinismE0ELb1ES3_N6thrust23THRUST_200600_302600_NS6detail15normal_iteratorINS9_10device_ptrIiEEEENSB_INSC_IyEEEESG_yNS9_4plusIvEENS9_8equal_toIvEEyEE10hipError_tPvRmT2_T3_T4_T5_mT6_T7_P12ihipStream_tbENKUlT_T0_E_clISt17integral_constantIbLb0EES11_EEDaSW_SX_EUlSW_E_NS1_11comp_targetILNS1_3genE2ELNS1_11target_archE906ELNS1_3gpuE6ELNS1_3repE0EEENS1_30default_config_static_selectorELNS0_4arch9wavefront6targetE0EEEvT1_.has_dyn_sized_stack, 0
	.set _ZN7rocprim17ROCPRIM_400000_NS6detail17trampoline_kernelINS0_14default_configENS1_27scan_by_key_config_selectorIiyEEZZNS1_16scan_by_key_implILNS1_25lookback_scan_determinismE0ELb1ES3_N6thrust23THRUST_200600_302600_NS6detail15normal_iteratorINS9_10device_ptrIiEEEENSB_INSC_IyEEEESG_yNS9_4plusIvEENS9_8equal_toIvEEyEE10hipError_tPvRmT2_T3_T4_T5_mT6_T7_P12ihipStream_tbENKUlT_T0_E_clISt17integral_constantIbLb0EES11_EEDaSW_SX_EUlSW_E_NS1_11comp_targetILNS1_3genE2ELNS1_11target_archE906ELNS1_3gpuE6ELNS1_3repE0EEENS1_30default_config_static_selectorELNS0_4arch9wavefront6targetE0EEEvT1_.has_recursion, 0
	.set _ZN7rocprim17ROCPRIM_400000_NS6detail17trampoline_kernelINS0_14default_configENS1_27scan_by_key_config_selectorIiyEEZZNS1_16scan_by_key_implILNS1_25lookback_scan_determinismE0ELb1ES3_N6thrust23THRUST_200600_302600_NS6detail15normal_iteratorINS9_10device_ptrIiEEEENSB_INSC_IyEEEESG_yNS9_4plusIvEENS9_8equal_toIvEEyEE10hipError_tPvRmT2_T3_T4_T5_mT6_T7_P12ihipStream_tbENKUlT_T0_E_clISt17integral_constantIbLb0EES11_EEDaSW_SX_EUlSW_E_NS1_11comp_targetILNS1_3genE2ELNS1_11target_archE906ELNS1_3gpuE6ELNS1_3repE0EEENS1_30default_config_static_selectorELNS0_4arch9wavefront6targetE0EEEvT1_.has_indirect_call, 0
	.section	.AMDGPU.csdata,"",@progbits
; Kernel info:
; codeLenInByte = 0
; TotalNumSgprs: 0
; NumVgprs: 0
; ScratchSize: 0
; MemoryBound: 0
; FloatMode: 240
; IeeeMode: 1
; LDSByteSize: 0 bytes/workgroup (compile time only)
; SGPRBlocks: 0
; VGPRBlocks: 0
; NumSGPRsForWavesPerEU: 1
; NumVGPRsForWavesPerEU: 1
; Occupancy: 16
; WaveLimiterHint : 0
; COMPUTE_PGM_RSRC2:SCRATCH_EN: 0
; COMPUTE_PGM_RSRC2:USER_SGPR: 6
; COMPUTE_PGM_RSRC2:TRAP_HANDLER: 0
; COMPUTE_PGM_RSRC2:TGID_X_EN: 1
; COMPUTE_PGM_RSRC2:TGID_Y_EN: 0
; COMPUTE_PGM_RSRC2:TGID_Z_EN: 0
; COMPUTE_PGM_RSRC2:TIDIG_COMP_CNT: 0
	.section	.text._ZN7rocprim17ROCPRIM_400000_NS6detail17trampoline_kernelINS0_14default_configENS1_27scan_by_key_config_selectorIiyEEZZNS1_16scan_by_key_implILNS1_25lookback_scan_determinismE0ELb1ES3_N6thrust23THRUST_200600_302600_NS6detail15normal_iteratorINS9_10device_ptrIiEEEENSB_INSC_IyEEEESG_yNS9_4plusIvEENS9_8equal_toIvEEyEE10hipError_tPvRmT2_T3_T4_T5_mT6_T7_P12ihipStream_tbENKUlT_T0_E_clISt17integral_constantIbLb0EES11_EEDaSW_SX_EUlSW_E_NS1_11comp_targetILNS1_3genE10ELNS1_11target_archE1200ELNS1_3gpuE4ELNS1_3repE0EEENS1_30default_config_static_selectorELNS0_4arch9wavefront6targetE0EEEvT1_,"axG",@progbits,_ZN7rocprim17ROCPRIM_400000_NS6detail17trampoline_kernelINS0_14default_configENS1_27scan_by_key_config_selectorIiyEEZZNS1_16scan_by_key_implILNS1_25lookback_scan_determinismE0ELb1ES3_N6thrust23THRUST_200600_302600_NS6detail15normal_iteratorINS9_10device_ptrIiEEEENSB_INSC_IyEEEESG_yNS9_4plusIvEENS9_8equal_toIvEEyEE10hipError_tPvRmT2_T3_T4_T5_mT6_T7_P12ihipStream_tbENKUlT_T0_E_clISt17integral_constantIbLb0EES11_EEDaSW_SX_EUlSW_E_NS1_11comp_targetILNS1_3genE10ELNS1_11target_archE1200ELNS1_3gpuE4ELNS1_3repE0EEENS1_30default_config_static_selectorELNS0_4arch9wavefront6targetE0EEEvT1_,comdat
	.protected	_ZN7rocprim17ROCPRIM_400000_NS6detail17trampoline_kernelINS0_14default_configENS1_27scan_by_key_config_selectorIiyEEZZNS1_16scan_by_key_implILNS1_25lookback_scan_determinismE0ELb1ES3_N6thrust23THRUST_200600_302600_NS6detail15normal_iteratorINS9_10device_ptrIiEEEENSB_INSC_IyEEEESG_yNS9_4plusIvEENS9_8equal_toIvEEyEE10hipError_tPvRmT2_T3_T4_T5_mT6_T7_P12ihipStream_tbENKUlT_T0_E_clISt17integral_constantIbLb0EES11_EEDaSW_SX_EUlSW_E_NS1_11comp_targetILNS1_3genE10ELNS1_11target_archE1200ELNS1_3gpuE4ELNS1_3repE0EEENS1_30default_config_static_selectorELNS0_4arch9wavefront6targetE0EEEvT1_ ; -- Begin function _ZN7rocprim17ROCPRIM_400000_NS6detail17trampoline_kernelINS0_14default_configENS1_27scan_by_key_config_selectorIiyEEZZNS1_16scan_by_key_implILNS1_25lookback_scan_determinismE0ELb1ES3_N6thrust23THRUST_200600_302600_NS6detail15normal_iteratorINS9_10device_ptrIiEEEENSB_INSC_IyEEEESG_yNS9_4plusIvEENS9_8equal_toIvEEyEE10hipError_tPvRmT2_T3_T4_T5_mT6_T7_P12ihipStream_tbENKUlT_T0_E_clISt17integral_constantIbLb0EES11_EEDaSW_SX_EUlSW_E_NS1_11comp_targetILNS1_3genE10ELNS1_11target_archE1200ELNS1_3gpuE4ELNS1_3repE0EEENS1_30default_config_static_selectorELNS0_4arch9wavefront6targetE0EEEvT1_
	.globl	_ZN7rocprim17ROCPRIM_400000_NS6detail17trampoline_kernelINS0_14default_configENS1_27scan_by_key_config_selectorIiyEEZZNS1_16scan_by_key_implILNS1_25lookback_scan_determinismE0ELb1ES3_N6thrust23THRUST_200600_302600_NS6detail15normal_iteratorINS9_10device_ptrIiEEEENSB_INSC_IyEEEESG_yNS9_4plusIvEENS9_8equal_toIvEEyEE10hipError_tPvRmT2_T3_T4_T5_mT6_T7_P12ihipStream_tbENKUlT_T0_E_clISt17integral_constantIbLb0EES11_EEDaSW_SX_EUlSW_E_NS1_11comp_targetILNS1_3genE10ELNS1_11target_archE1200ELNS1_3gpuE4ELNS1_3repE0EEENS1_30default_config_static_selectorELNS0_4arch9wavefront6targetE0EEEvT1_
	.p2align	8
	.type	_ZN7rocprim17ROCPRIM_400000_NS6detail17trampoline_kernelINS0_14default_configENS1_27scan_by_key_config_selectorIiyEEZZNS1_16scan_by_key_implILNS1_25lookback_scan_determinismE0ELb1ES3_N6thrust23THRUST_200600_302600_NS6detail15normal_iteratorINS9_10device_ptrIiEEEENSB_INSC_IyEEEESG_yNS9_4plusIvEENS9_8equal_toIvEEyEE10hipError_tPvRmT2_T3_T4_T5_mT6_T7_P12ihipStream_tbENKUlT_T0_E_clISt17integral_constantIbLb0EES11_EEDaSW_SX_EUlSW_E_NS1_11comp_targetILNS1_3genE10ELNS1_11target_archE1200ELNS1_3gpuE4ELNS1_3repE0EEENS1_30default_config_static_selectorELNS0_4arch9wavefront6targetE0EEEvT1_,@function
_ZN7rocprim17ROCPRIM_400000_NS6detail17trampoline_kernelINS0_14default_configENS1_27scan_by_key_config_selectorIiyEEZZNS1_16scan_by_key_implILNS1_25lookback_scan_determinismE0ELb1ES3_N6thrust23THRUST_200600_302600_NS6detail15normal_iteratorINS9_10device_ptrIiEEEENSB_INSC_IyEEEESG_yNS9_4plusIvEENS9_8equal_toIvEEyEE10hipError_tPvRmT2_T3_T4_T5_mT6_T7_P12ihipStream_tbENKUlT_T0_E_clISt17integral_constantIbLb0EES11_EEDaSW_SX_EUlSW_E_NS1_11comp_targetILNS1_3genE10ELNS1_11target_archE1200ELNS1_3gpuE4ELNS1_3repE0EEENS1_30default_config_static_selectorELNS0_4arch9wavefront6targetE0EEEvT1_: ; @_ZN7rocprim17ROCPRIM_400000_NS6detail17trampoline_kernelINS0_14default_configENS1_27scan_by_key_config_selectorIiyEEZZNS1_16scan_by_key_implILNS1_25lookback_scan_determinismE0ELb1ES3_N6thrust23THRUST_200600_302600_NS6detail15normal_iteratorINS9_10device_ptrIiEEEENSB_INSC_IyEEEESG_yNS9_4plusIvEENS9_8equal_toIvEEyEE10hipError_tPvRmT2_T3_T4_T5_mT6_T7_P12ihipStream_tbENKUlT_T0_E_clISt17integral_constantIbLb0EES11_EEDaSW_SX_EUlSW_E_NS1_11comp_targetILNS1_3genE10ELNS1_11target_archE1200ELNS1_3gpuE4ELNS1_3repE0EEENS1_30default_config_static_selectorELNS0_4arch9wavefront6targetE0EEEvT1_
; %bb.0:
	.section	.rodata,"a",@progbits
	.p2align	6, 0x0
	.amdhsa_kernel _ZN7rocprim17ROCPRIM_400000_NS6detail17trampoline_kernelINS0_14default_configENS1_27scan_by_key_config_selectorIiyEEZZNS1_16scan_by_key_implILNS1_25lookback_scan_determinismE0ELb1ES3_N6thrust23THRUST_200600_302600_NS6detail15normal_iteratorINS9_10device_ptrIiEEEENSB_INSC_IyEEEESG_yNS9_4plusIvEENS9_8equal_toIvEEyEE10hipError_tPvRmT2_T3_T4_T5_mT6_T7_P12ihipStream_tbENKUlT_T0_E_clISt17integral_constantIbLb0EES11_EEDaSW_SX_EUlSW_E_NS1_11comp_targetILNS1_3genE10ELNS1_11target_archE1200ELNS1_3gpuE4ELNS1_3repE0EEENS1_30default_config_static_selectorELNS0_4arch9wavefront6targetE0EEEvT1_
		.amdhsa_group_segment_fixed_size 0
		.amdhsa_private_segment_fixed_size 0
		.amdhsa_kernarg_size 136
		.amdhsa_user_sgpr_count 6
		.amdhsa_user_sgpr_private_segment_buffer 1
		.amdhsa_user_sgpr_dispatch_ptr 0
		.amdhsa_user_sgpr_queue_ptr 0
		.amdhsa_user_sgpr_kernarg_segment_ptr 1
		.amdhsa_user_sgpr_dispatch_id 0
		.amdhsa_user_sgpr_flat_scratch_init 0
		.amdhsa_user_sgpr_private_segment_size 0
		.amdhsa_wavefront_size32 1
		.amdhsa_uses_dynamic_stack 0
		.amdhsa_system_sgpr_private_segment_wavefront_offset 0
		.amdhsa_system_sgpr_workgroup_id_x 1
		.amdhsa_system_sgpr_workgroup_id_y 0
		.amdhsa_system_sgpr_workgroup_id_z 0
		.amdhsa_system_sgpr_workgroup_info 0
		.amdhsa_system_vgpr_workitem_id 0
		.amdhsa_next_free_vgpr 1
		.amdhsa_next_free_sgpr 1
		.amdhsa_reserve_vcc 0
		.amdhsa_reserve_flat_scratch 0
		.amdhsa_float_round_mode_32 0
		.amdhsa_float_round_mode_16_64 0
		.amdhsa_float_denorm_mode_32 3
		.amdhsa_float_denorm_mode_16_64 3
		.amdhsa_dx10_clamp 1
		.amdhsa_ieee_mode 1
		.amdhsa_fp16_overflow 0
		.amdhsa_workgroup_processor_mode 1
		.amdhsa_memory_ordered 1
		.amdhsa_forward_progress 1
		.amdhsa_shared_vgpr_count 0
		.amdhsa_exception_fp_ieee_invalid_op 0
		.amdhsa_exception_fp_denorm_src 0
		.amdhsa_exception_fp_ieee_div_zero 0
		.amdhsa_exception_fp_ieee_overflow 0
		.amdhsa_exception_fp_ieee_underflow 0
		.amdhsa_exception_fp_ieee_inexact 0
		.amdhsa_exception_int_div_zero 0
	.end_amdhsa_kernel
	.section	.text._ZN7rocprim17ROCPRIM_400000_NS6detail17trampoline_kernelINS0_14default_configENS1_27scan_by_key_config_selectorIiyEEZZNS1_16scan_by_key_implILNS1_25lookback_scan_determinismE0ELb1ES3_N6thrust23THRUST_200600_302600_NS6detail15normal_iteratorINS9_10device_ptrIiEEEENSB_INSC_IyEEEESG_yNS9_4plusIvEENS9_8equal_toIvEEyEE10hipError_tPvRmT2_T3_T4_T5_mT6_T7_P12ihipStream_tbENKUlT_T0_E_clISt17integral_constantIbLb0EES11_EEDaSW_SX_EUlSW_E_NS1_11comp_targetILNS1_3genE10ELNS1_11target_archE1200ELNS1_3gpuE4ELNS1_3repE0EEENS1_30default_config_static_selectorELNS0_4arch9wavefront6targetE0EEEvT1_,"axG",@progbits,_ZN7rocprim17ROCPRIM_400000_NS6detail17trampoline_kernelINS0_14default_configENS1_27scan_by_key_config_selectorIiyEEZZNS1_16scan_by_key_implILNS1_25lookback_scan_determinismE0ELb1ES3_N6thrust23THRUST_200600_302600_NS6detail15normal_iteratorINS9_10device_ptrIiEEEENSB_INSC_IyEEEESG_yNS9_4plusIvEENS9_8equal_toIvEEyEE10hipError_tPvRmT2_T3_T4_T5_mT6_T7_P12ihipStream_tbENKUlT_T0_E_clISt17integral_constantIbLb0EES11_EEDaSW_SX_EUlSW_E_NS1_11comp_targetILNS1_3genE10ELNS1_11target_archE1200ELNS1_3gpuE4ELNS1_3repE0EEENS1_30default_config_static_selectorELNS0_4arch9wavefront6targetE0EEEvT1_,comdat
.Lfunc_end1469:
	.size	_ZN7rocprim17ROCPRIM_400000_NS6detail17trampoline_kernelINS0_14default_configENS1_27scan_by_key_config_selectorIiyEEZZNS1_16scan_by_key_implILNS1_25lookback_scan_determinismE0ELb1ES3_N6thrust23THRUST_200600_302600_NS6detail15normal_iteratorINS9_10device_ptrIiEEEENSB_INSC_IyEEEESG_yNS9_4plusIvEENS9_8equal_toIvEEyEE10hipError_tPvRmT2_T3_T4_T5_mT6_T7_P12ihipStream_tbENKUlT_T0_E_clISt17integral_constantIbLb0EES11_EEDaSW_SX_EUlSW_E_NS1_11comp_targetILNS1_3genE10ELNS1_11target_archE1200ELNS1_3gpuE4ELNS1_3repE0EEENS1_30default_config_static_selectorELNS0_4arch9wavefront6targetE0EEEvT1_, .Lfunc_end1469-_ZN7rocprim17ROCPRIM_400000_NS6detail17trampoline_kernelINS0_14default_configENS1_27scan_by_key_config_selectorIiyEEZZNS1_16scan_by_key_implILNS1_25lookback_scan_determinismE0ELb1ES3_N6thrust23THRUST_200600_302600_NS6detail15normal_iteratorINS9_10device_ptrIiEEEENSB_INSC_IyEEEESG_yNS9_4plusIvEENS9_8equal_toIvEEyEE10hipError_tPvRmT2_T3_T4_T5_mT6_T7_P12ihipStream_tbENKUlT_T0_E_clISt17integral_constantIbLb0EES11_EEDaSW_SX_EUlSW_E_NS1_11comp_targetILNS1_3genE10ELNS1_11target_archE1200ELNS1_3gpuE4ELNS1_3repE0EEENS1_30default_config_static_selectorELNS0_4arch9wavefront6targetE0EEEvT1_
                                        ; -- End function
	.set _ZN7rocprim17ROCPRIM_400000_NS6detail17trampoline_kernelINS0_14default_configENS1_27scan_by_key_config_selectorIiyEEZZNS1_16scan_by_key_implILNS1_25lookback_scan_determinismE0ELb1ES3_N6thrust23THRUST_200600_302600_NS6detail15normal_iteratorINS9_10device_ptrIiEEEENSB_INSC_IyEEEESG_yNS9_4plusIvEENS9_8equal_toIvEEyEE10hipError_tPvRmT2_T3_T4_T5_mT6_T7_P12ihipStream_tbENKUlT_T0_E_clISt17integral_constantIbLb0EES11_EEDaSW_SX_EUlSW_E_NS1_11comp_targetILNS1_3genE10ELNS1_11target_archE1200ELNS1_3gpuE4ELNS1_3repE0EEENS1_30default_config_static_selectorELNS0_4arch9wavefront6targetE0EEEvT1_.num_vgpr, 0
	.set _ZN7rocprim17ROCPRIM_400000_NS6detail17trampoline_kernelINS0_14default_configENS1_27scan_by_key_config_selectorIiyEEZZNS1_16scan_by_key_implILNS1_25lookback_scan_determinismE0ELb1ES3_N6thrust23THRUST_200600_302600_NS6detail15normal_iteratorINS9_10device_ptrIiEEEENSB_INSC_IyEEEESG_yNS9_4plusIvEENS9_8equal_toIvEEyEE10hipError_tPvRmT2_T3_T4_T5_mT6_T7_P12ihipStream_tbENKUlT_T0_E_clISt17integral_constantIbLb0EES11_EEDaSW_SX_EUlSW_E_NS1_11comp_targetILNS1_3genE10ELNS1_11target_archE1200ELNS1_3gpuE4ELNS1_3repE0EEENS1_30default_config_static_selectorELNS0_4arch9wavefront6targetE0EEEvT1_.num_agpr, 0
	.set _ZN7rocprim17ROCPRIM_400000_NS6detail17trampoline_kernelINS0_14default_configENS1_27scan_by_key_config_selectorIiyEEZZNS1_16scan_by_key_implILNS1_25lookback_scan_determinismE0ELb1ES3_N6thrust23THRUST_200600_302600_NS6detail15normal_iteratorINS9_10device_ptrIiEEEENSB_INSC_IyEEEESG_yNS9_4plusIvEENS9_8equal_toIvEEyEE10hipError_tPvRmT2_T3_T4_T5_mT6_T7_P12ihipStream_tbENKUlT_T0_E_clISt17integral_constantIbLb0EES11_EEDaSW_SX_EUlSW_E_NS1_11comp_targetILNS1_3genE10ELNS1_11target_archE1200ELNS1_3gpuE4ELNS1_3repE0EEENS1_30default_config_static_selectorELNS0_4arch9wavefront6targetE0EEEvT1_.numbered_sgpr, 0
	.set _ZN7rocprim17ROCPRIM_400000_NS6detail17trampoline_kernelINS0_14default_configENS1_27scan_by_key_config_selectorIiyEEZZNS1_16scan_by_key_implILNS1_25lookback_scan_determinismE0ELb1ES3_N6thrust23THRUST_200600_302600_NS6detail15normal_iteratorINS9_10device_ptrIiEEEENSB_INSC_IyEEEESG_yNS9_4plusIvEENS9_8equal_toIvEEyEE10hipError_tPvRmT2_T3_T4_T5_mT6_T7_P12ihipStream_tbENKUlT_T0_E_clISt17integral_constantIbLb0EES11_EEDaSW_SX_EUlSW_E_NS1_11comp_targetILNS1_3genE10ELNS1_11target_archE1200ELNS1_3gpuE4ELNS1_3repE0EEENS1_30default_config_static_selectorELNS0_4arch9wavefront6targetE0EEEvT1_.num_named_barrier, 0
	.set _ZN7rocprim17ROCPRIM_400000_NS6detail17trampoline_kernelINS0_14default_configENS1_27scan_by_key_config_selectorIiyEEZZNS1_16scan_by_key_implILNS1_25lookback_scan_determinismE0ELb1ES3_N6thrust23THRUST_200600_302600_NS6detail15normal_iteratorINS9_10device_ptrIiEEEENSB_INSC_IyEEEESG_yNS9_4plusIvEENS9_8equal_toIvEEyEE10hipError_tPvRmT2_T3_T4_T5_mT6_T7_P12ihipStream_tbENKUlT_T0_E_clISt17integral_constantIbLb0EES11_EEDaSW_SX_EUlSW_E_NS1_11comp_targetILNS1_3genE10ELNS1_11target_archE1200ELNS1_3gpuE4ELNS1_3repE0EEENS1_30default_config_static_selectorELNS0_4arch9wavefront6targetE0EEEvT1_.private_seg_size, 0
	.set _ZN7rocprim17ROCPRIM_400000_NS6detail17trampoline_kernelINS0_14default_configENS1_27scan_by_key_config_selectorIiyEEZZNS1_16scan_by_key_implILNS1_25lookback_scan_determinismE0ELb1ES3_N6thrust23THRUST_200600_302600_NS6detail15normal_iteratorINS9_10device_ptrIiEEEENSB_INSC_IyEEEESG_yNS9_4plusIvEENS9_8equal_toIvEEyEE10hipError_tPvRmT2_T3_T4_T5_mT6_T7_P12ihipStream_tbENKUlT_T0_E_clISt17integral_constantIbLb0EES11_EEDaSW_SX_EUlSW_E_NS1_11comp_targetILNS1_3genE10ELNS1_11target_archE1200ELNS1_3gpuE4ELNS1_3repE0EEENS1_30default_config_static_selectorELNS0_4arch9wavefront6targetE0EEEvT1_.uses_vcc, 0
	.set _ZN7rocprim17ROCPRIM_400000_NS6detail17trampoline_kernelINS0_14default_configENS1_27scan_by_key_config_selectorIiyEEZZNS1_16scan_by_key_implILNS1_25lookback_scan_determinismE0ELb1ES3_N6thrust23THRUST_200600_302600_NS6detail15normal_iteratorINS9_10device_ptrIiEEEENSB_INSC_IyEEEESG_yNS9_4plusIvEENS9_8equal_toIvEEyEE10hipError_tPvRmT2_T3_T4_T5_mT6_T7_P12ihipStream_tbENKUlT_T0_E_clISt17integral_constantIbLb0EES11_EEDaSW_SX_EUlSW_E_NS1_11comp_targetILNS1_3genE10ELNS1_11target_archE1200ELNS1_3gpuE4ELNS1_3repE0EEENS1_30default_config_static_selectorELNS0_4arch9wavefront6targetE0EEEvT1_.uses_flat_scratch, 0
	.set _ZN7rocprim17ROCPRIM_400000_NS6detail17trampoline_kernelINS0_14default_configENS1_27scan_by_key_config_selectorIiyEEZZNS1_16scan_by_key_implILNS1_25lookback_scan_determinismE0ELb1ES3_N6thrust23THRUST_200600_302600_NS6detail15normal_iteratorINS9_10device_ptrIiEEEENSB_INSC_IyEEEESG_yNS9_4plusIvEENS9_8equal_toIvEEyEE10hipError_tPvRmT2_T3_T4_T5_mT6_T7_P12ihipStream_tbENKUlT_T0_E_clISt17integral_constantIbLb0EES11_EEDaSW_SX_EUlSW_E_NS1_11comp_targetILNS1_3genE10ELNS1_11target_archE1200ELNS1_3gpuE4ELNS1_3repE0EEENS1_30default_config_static_selectorELNS0_4arch9wavefront6targetE0EEEvT1_.has_dyn_sized_stack, 0
	.set _ZN7rocprim17ROCPRIM_400000_NS6detail17trampoline_kernelINS0_14default_configENS1_27scan_by_key_config_selectorIiyEEZZNS1_16scan_by_key_implILNS1_25lookback_scan_determinismE0ELb1ES3_N6thrust23THRUST_200600_302600_NS6detail15normal_iteratorINS9_10device_ptrIiEEEENSB_INSC_IyEEEESG_yNS9_4plusIvEENS9_8equal_toIvEEyEE10hipError_tPvRmT2_T3_T4_T5_mT6_T7_P12ihipStream_tbENKUlT_T0_E_clISt17integral_constantIbLb0EES11_EEDaSW_SX_EUlSW_E_NS1_11comp_targetILNS1_3genE10ELNS1_11target_archE1200ELNS1_3gpuE4ELNS1_3repE0EEENS1_30default_config_static_selectorELNS0_4arch9wavefront6targetE0EEEvT1_.has_recursion, 0
	.set _ZN7rocprim17ROCPRIM_400000_NS6detail17trampoline_kernelINS0_14default_configENS1_27scan_by_key_config_selectorIiyEEZZNS1_16scan_by_key_implILNS1_25lookback_scan_determinismE0ELb1ES3_N6thrust23THRUST_200600_302600_NS6detail15normal_iteratorINS9_10device_ptrIiEEEENSB_INSC_IyEEEESG_yNS9_4plusIvEENS9_8equal_toIvEEyEE10hipError_tPvRmT2_T3_T4_T5_mT6_T7_P12ihipStream_tbENKUlT_T0_E_clISt17integral_constantIbLb0EES11_EEDaSW_SX_EUlSW_E_NS1_11comp_targetILNS1_3genE10ELNS1_11target_archE1200ELNS1_3gpuE4ELNS1_3repE0EEENS1_30default_config_static_selectorELNS0_4arch9wavefront6targetE0EEEvT1_.has_indirect_call, 0
	.section	.AMDGPU.csdata,"",@progbits
; Kernel info:
; codeLenInByte = 0
; TotalNumSgprs: 0
; NumVgprs: 0
; ScratchSize: 0
; MemoryBound: 0
; FloatMode: 240
; IeeeMode: 1
; LDSByteSize: 0 bytes/workgroup (compile time only)
; SGPRBlocks: 0
; VGPRBlocks: 0
; NumSGPRsForWavesPerEU: 1
; NumVGPRsForWavesPerEU: 1
; Occupancy: 16
; WaveLimiterHint : 0
; COMPUTE_PGM_RSRC2:SCRATCH_EN: 0
; COMPUTE_PGM_RSRC2:USER_SGPR: 6
; COMPUTE_PGM_RSRC2:TRAP_HANDLER: 0
; COMPUTE_PGM_RSRC2:TGID_X_EN: 1
; COMPUTE_PGM_RSRC2:TGID_Y_EN: 0
; COMPUTE_PGM_RSRC2:TGID_Z_EN: 0
; COMPUTE_PGM_RSRC2:TIDIG_COMP_CNT: 0
	.section	.text._ZN7rocprim17ROCPRIM_400000_NS6detail17trampoline_kernelINS0_14default_configENS1_27scan_by_key_config_selectorIiyEEZZNS1_16scan_by_key_implILNS1_25lookback_scan_determinismE0ELb1ES3_N6thrust23THRUST_200600_302600_NS6detail15normal_iteratorINS9_10device_ptrIiEEEENSB_INSC_IyEEEESG_yNS9_4plusIvEENS9_8equal_toIvEEyEE10hipError_tPvRmT2_T3_T4_T5_mT6_T7_P12ihipStream_tbENKUlT_T0_E_clISt17integral_constantIbLb0EES11_EEDaSW_SX_EUlSW_E_NS1_11comp_targetILNS1_3genE9ELNS1_11target_archE1100ELNS1_3gpuE3ELNS1_3repE0EEENS1_30default_config_static_selectorELNS0_4arch9wavefront6targetE0EEEvT1_,"axG",@progbits,_ZN7rocprim17ROCPRIM_400000_NS6detail17trampoline_kernelINS0_14default_configENS1_27scan_by_key_config_selectorIiyEEZZNS1_16scan_by_key_implILNS1_25lookback_scan_determinismE0ELb1ES3_N6thrust23THRUST_200600_302600_NS6detail15normal_iteratorINS9_10device_ptrIiEEEENSB_INSC_IyEEEESG_yNS9_4plusIvEENS9_8equal_toIvEEyEE10hipError_tPvRmT2_T3_T4_T5_mT6_T7_P12ihipStream_tbENKUlT_T0_E_clISt17integral_constantIbLb0EES11_EEDaSW_SX_EUlSW_E_NS1_11comp_targetILNS1_3genE9ELNS1_11target_archE1100ELNS1_3gpuE3ELNS1_3repE0EEENS1_30default_config_static_selectorELNS0_4arch9wavefront6targetE0EEEvT1_,comdat
	.protected	_ZN7rocprim17ROCPRIM_400000_NS6detail17trampoline_kernelINS0_14default_configENS1_27scan_by_key_config_selectorIiyEEZZNS1_16scan_by_key_implILNS1_25lookback_scan_determinismE0ELb1ES3_N6thrust23THRUST_200600_302600_NS6detail15normal_iteratorINS9_10device_ptrIiEEEENSB_INSC_IyEEEESG_yNS9_4plusIvEENS9_8equal_toIvEEyEE10hipError_tPvRmT2_T3_T4_T5_mT6_T7_P12ihipStream_tbENKUlT_T0_E_clISt17integral_constantIbLb0EES11_EEDaSW_SX_EUlSW_E_NS1_11comp_targetILNS1_3genE9ELNS1_11target_archE1100ELNS1_3gpuE3ELNS1_3repE0EEENS1_30default_config_static_selectorELNS0_4arch9wavefront6targetE0EEEvT1_ ; -- Begin function _ZN7rocprim17ROCPRIM_400000_NS6detail17trampoline_kernelINS0_14default_configENS1_27scan_by_key_config_selectorIiyEEZZNS1_16scan_by_key_implILNS1_25lookback_scan_determinismE0ELb1ES3_N6thrust23THRUST_200600_302600_NS6detail15normal_iteratorINS9_10device_ptrIiEEEENSB_INSC_IyEEEESG_yNS9_4plusIvEENS9_8equal_toIvEEyEE10hipError_tPvRmT2_T3_T4_T5_mT6_T7_P12ihipStream_tbENKUlT_T0_E_clISt17integral_constantIbLb0EES11_EEDaSW_SX_EUlSW_E_NS1_11comp_targetILNS1_3genE9ELNS1_11target_archE1100ELNS1_3gpuE3ELNS1_3repE0EEENS1_30default_config_static_selectorELNS0_4arch9wavefront6targetE0EEEvT1_
	.globl	_ZN7rocprim17ROCPRIM_400000_NS6detail17trampoline_kernelINS0_14default_configENS1_27scan_by_key_config_selectorIiyEEZZNS1_16scan_by_key_implILNS1_25lookback_scan_determinismE0ELb1ES3_N6thrust23THRUST_200600_302600_NS6detail15normal_iteratorINS9_10device_ptrIiEEEENSB_INSC_IyEEEESG_yNS9_4plusIvEENS9_8equal_toIvEEyEE10hipError_tPvRmT2_T3_T4_T5_mT6_T7_P12ihipStream_tbENKUlT_T0_E_clISt17integral_constantIbLb0EES11_EEDaSW_SX_EUlSW_E_NS1_11comp_targetILNS1_3genE9ELNS1_11target_archE1100ELNS1_3gpuE3ELNS1_3repE0EEENS1_30default_config_static_selectorELNS0_4arch9wavefront6targetE0EEEvT1_
	.p2align	8
	.type	_ZN7rocprim17ROCPRIM_400000_NS6detail17trampoline_kernelINS0_14default_configENS1_27scan_by_key_config_selectorIiyEEZZNS1_16scan_by_key_implILNS1_25lookback_scan_determinismE0ELb1ES3_N6thrust23THRUST_200600_302600_NS6detail15normal_iteratorINS9_10device_ptrIiEEEENSB_INSC_IyEEEESG_yNS9_4plusIvEENS9_8equal_toIvEEyEE10hipError_tPvRmT2_T3_T4_T5_mT6_T7_P12ihipStream_tbENKUlT_T0_E_clISt17integral_constantIbLb0EES11_EEDaSW_SX_EUlSW_E_NS1_11comp_targetILNS1_3genE9ELNS1_11target_archE1100ELNS1_3gpuE3ELNS1_3repE0EEENS1_30default_config_static_selectorELNS0_4arch9wavefront6targetE0EEEvT1_,@function
_ZN7rocprim17ROCPRIM_400000_NS6detail17trampoline_kernelINS0_14default_configENS1_27scan_by_key_config_selectorIiyEEZZNS1_16scan_by_key_implILNS1_25lookback_scan_determinismE0ELb1ES3_N6thrust23THRUST_200600_302600_NS6detail15normal_iteratorINS9_10device_ptrIiEEEENSB_INSC_IyEEEESG_yNS9_4plusIvEENS9_8equal_toIvEEyEE10hipError_tPvRmT2_T3_T4_T5_mT6_T7_P12ihipStream_tbENKUlT_T0_E_clISt17integral_constantIbLb0EES11_EEDaSW_SX_EUlSW_E_NS1_11comp_targetILNS1_3genE9ELNS1_11target_archE1100ELNS1_3gpuE3ELNS1_3repE0EEENS1_30default_config_static_selectorELNS0_4arch9wavefront6targetE0EEEvT1_: ; @_ZN7rocprim17ROCPRIM_400000_NS6detail17trampoline_kernelINS0_14default_configENS1_27scan_by_key_config_selectorIiyEEZZNS1_16scan_by_key_implILNS1_25lookback_scan_determinismE0ELb1ES3_N6thrust23THRUST_200600_302600_NS6detail15normal_iteratorINS9_10device_ptrIiEEEENSB_INSC_IyEEEESG_yNS9_4plusIvEENS9_8equal_toIvEEyEE10hipError_tPvRmT2_T3_T4_T5_mT6_T7_P12ihipStream_tbENKUlT_T0_E_clISt17integral_constantIbLb0EES11_EEDaSW_SX_EUlSW_E_NS1_11comp_targetILNS1_3genE9ELNS1_11target_archE1100ELNS1_3gpuE3ELNS1_3repE0EEENS1_30default_config_static_selectorELNS0_4arch9wavefront6targetE0EEEvT1_
; %bb.0:
	.section	.rodata,"a",@progbits
	.p2align	6, 0x0
	.amdhsa_kernel _ZN7rocprim17ROCPRIM_400000_NS6detail17trampoline_kernelINS0_14default_configENS1_27scan_by_key_config_selectorIiyEEZZNS1_16scan_by_key_implILNS1_25lookback_scan_determinismE0ELb1ES3_N6thrust23THRUST_200600_302600_NS6detail15normal_iteratorINS9_10device_ptrIiEEEENSB_INSC_IyEEEESG_yNS9_4plusIvEENS9_8equal_toIvEEyEE10hipError_tPvRmT2_T3_T4_T5_mT6_T7_P12ihipStream_tbENKUlT_T0_E_clISt17integral_constantIbLb0EES11_EEDaSW_SX_EUlSW_E_NS1_11comp_targetILNS1_3genE9ELNS1_11target_archE1100ELNS1_3gpuE3ELNS1_3repE0EEENS1_30default_config_static_selectorELNS0_4arch9wavefront6targetE0EEEvT1_
		.amdhsa_group_segment_fixed_size 0
		.amdhsa_private_segment_fixed_size 0
		.amdhsa_kernarg_size 136
		.amdhsa_user_sgpr_count 6
		.amdhsa_user_sgpr_private_segment_buffer 1
		.amdhsa_user_sgpr_dispatch_ptr 0
		.amdhsa_user_sgpr_queue_ptr 0
		.amdhsa_user_sgpr_kernarg_segment_ptr 1
		.amdhsa_user_sgpr_dispatch_id 0
		.amdhsa_user_sgpr_flat_scratch_init 0
		.amdhsa_user_sgpr_private_segment_size 0
		.amdhsa_wavefront_size32 1
		.amdhsa_uses_dynamic_stack 0
		.amdhsa_system_sgpr_private_segment_wavefront_offset 0
		.amdhsa_system_sgpr_workgroup_id_x 1
		.amdhsa_system_sgpr_workgroup_id_y 0
		.amdhsa_system_sgpr_workgroup_id_z 0
		.amdhsa_system_sgpr_workgroup_info 0
		.amdhsa_system_vgpr_workitem_id 0
		.amdhsa_next_free_vgpr 1
		.amdhsa_next_free_sgpr 1
		.amdhsa_reserve_vcc 0
		.amdhsa_reserve_flat_scratch 0
		.amdhsa_float_round_mode_32 0
		.amdhsa_float_round_mode_16_64 0
		.amdhsa_float_denorm_mode_32 3
		.amdhsa_float_denorm_mode_16_64 3
		.amdhsa_dx10_clamp 1
		.amdhsa_ieee_mode 1
		.amdhsa_fp16_overflow 0
		.amdhsa_workgroup_processor_mode 1
		.amdhsa_memory_ordered 1
		.amdhsa_forward_progress 1
		.amdhsa_shared_vgpr_count 0
		.amdhsa_exception_fp_ieee_invalid_op 0
		.amdhsa_exception_fp_denorm_src 0
		.amdhsa_exception_fp_ieee_div_zero 0
		.amdhsa_exception_fp_ieee_overflow 0
		.amdhsa_exception_fp_ieee_underflow 0
		.amdhsa_exception_fp_ieee_inexact 0
		.amdhsa_exception_int_div_zero 0
	.end_amdhsa_kernel
	.section	.text._ZN7rocprim17ROCPRIM_400000_NS6detail17trampoline_kernelINS0_14default_configENS1_27scan_by_key_config_selectorIiyEEZZNS1_16scan_by_key_implILNS1_25lookback_scan_determinismE0ELb1ES3_N6thrust23THRUST_200600_302600_NS6detail15normal_iteratorINS9_10device_ptrIiEEEENSB_INSC_IyEEEESG_yNS9_4plusIvEENS9_8equal_toIvEEyEE10hipError_tPvRmT2_T3_T4_T5_mT6_T7_P12ihipStream_tbENKUlT_T0_E_clISt17integral_constantIbLb0EES11_EEDaSW_SX_EUlSW_E_NS1_11comp_targetILNS1_3genE9ELNS1_11target_archE1100ELNS1_3gpuE3ELNS1_3repE0EEENS1_30default_config_static_selectorELNS0_4arch9wavefront6targetE0EEEvT1_,"axG",@progbits,_ZN7rocprim17ROCPRIM_400000_NS6detail17trampoline_kernelINS0_14default_configENS1_27scan_by_key_config_selectorIiyEEZZNS1_16scan_by_key_implILNS1_25lookback_scan_determinismE0ELb1ES3_N6thrust23THRUST_200600_302600_NS6detail15normal_iteratorINS9_10device_ptrIiEEEENSB_INSC_IyEEEESG_yNS9_4plusIvEENS9_8equal_toIvEEyEE10hipError_tPvRmT2_T3_T4_T5_mT6_T7_P12ihipStream_tbENKUlT_T0_E_clISt17integral_constantIbLb0EES11_EEDaSW_SX_EUlSW_E_NS1_11comp_targetILNS1_3genE9ELNS1_11target_archE1100ELNS1_3gpuE3ELNS1_3repE0EEENS1_30default_config_static_selectorELNS0_4arch9wavefront6targetE0EEEvT1_,comdat
.Lfunc_end1470:
	.size	_ZN7rocprim17ROCPRIM_400000_NS6detail17trampoline_kernelINS0_14default_configENS1_27scan_by_key_config_selectorIiyEEZZNS1_16scan_by_key_implILNS1_25lookback_scan_determinismE0ELb1ES3_N6thrust23THRUST_200600_302600_NS6detail15normal_iteratorINS9_10device_ptrIiEEEENSB_INSC_IyEEEESG_yNS9_4plusIvEENS9_8equal_toIvEEyEE10hipError_tPvRmT2_T3_T4_T5_mT6_T7_P12ihipStream_tbENKUlT_T0_E_clISt17integral_constantIbLb0EES11_EEDaSW_SX_EUlSW_E_NS1_11comp_targetILNS1_3genE9ELNS1_11target_archE1100ELNS1_3gpuE3ELNS1_3repE0EEENS1_30default_config_static_selectorELNS0_4arch9wavefront6targetE0EEEvT1_, .Lfunc_end1470-_ZN7rocprim17ROCPRIM_400000_NS6detail17trampoline_kernelINS0_14default_configENS1_27scan_by_key_config_selectorIiyEEZZNS1_16scan_by_key_implILNS1_25lookback_scan_determinismE0ELb1ES3_N6thrust23THRUST_200600_302600_NS6detail15normal_iteratorINS9_10device_ptrIiEEEENSB_INSC_IyEEEESG_yNS9_4plusIvEENS9_8equal_toIvEEyEE10hipError_tPvRmT2_T3_T4_T5_mT6_T7_P12ihipStream_tbENKUlT_T0_E_clISt17integral_constantIbLb0EES11_EEDaSW_SX_EUlSW_E_NS1_11comp_targetILNS1_3genE9ELNS1_11target_archE1100ELNS1_3gpuE3ELNS1_3repE0EEENS1_30default_config_static_selectorELNS0_4arch9wavefront6targetE0EEEvT1_
                                        ; -- End function
	.set _ZN7rocprim17ROCPRIM_400000_NS6detail17trampoline_kernelINS0_14default_configENS1_27scan_by_key_config_selectorIiyEEZZNS1_16scan_by_key_implILNS1_25lookback_scan_determinismE0ELb1ES3_N6thrust23THRUST_200600_302600_NS6detail15normal_iteratorINS9_10device_ptrIiEEEENSB_INSC_IyEEEESG_yNS9_4plusIvEENS9_8equal_toIvEEyEE10hipError_tPvRmT2_T3_T4_T5_mT6_T7_P12ihipStream_tbENKUlT_T0_E_clISt17integral_constantIbLb0EES11_EEDaSW_SX_EUlSW_E_NS1_11comp_targetILNS1_3genE9ELNS1_11target_archE1100ELNS1_3gpuE3ELNS1_3repE0EEENS1_30default_config_static_selectorELNS0_4arch9wavefront6targetE0EEEvT1_.num_vgpr, 0
	.set _ZN7rocprim17ROCPRIM_400000_NS6detail17trampoline_kernelINS0_14default_configENS1_27scan_by_key_config_selectorIiyEEZZNS1_16scan_by_key_implILNS1_25lookback_scan_determinismE0ELb1ES3_N6thrust23THRUST_200600_302600_NS6detail15normal_iteratorINS9_10device_ptrIiEEEENSB_INSC_IyEEEESG_yNS9_4plusIvEENS9_8equal_toIvEEyEE10hipError_tPvRmT2_T3_T4_T5_mT6_T7_P12ihipStream_tbENKUlT_T0_E_clISt17integral_constantIbLb0EES11_EEDaSW_SX_EUlSW_E_NS1_11comp_targetILNS1_3genE9ELNS1_11target_archE1100ELNS1_3gpuE3ELNS1_3repE0EEENS1_30default_config_static_selectorELNS0_4arch9wavefront6targetE0EEEvT1_.num_agpr, 0
	.set _ZN7rocprim17ROCPRIM_400000_NS6detail17trampoline_kernelINS0_14default_configENS1_27scan_by_key_config_selectorIiyEEZZNS1_16scan_by_key_implILNS1_25lookback_scan_determinismE0ELb1ES3_N6thrust23THRUST_200600_302600_NS6detail15normal_iteratorINS9_10device_ptrIiEEEENSB_INSC_IyEEEESG_yNS9_4plusIvEENS9_8equal_toIvEEyEE10hipError_tPvRmT2_T3_T4_T5_mT6_T7_P12ihipStream_tbENKUlT_T0_E_clISt17integral_constantIbLb0EES11_EEDaSW_SX_EUlSW_E_NS1_11comp_targetILNS1_3genE9ELNS1_11target_archE1100ELNS1_3gpuE3ELNS1_3repE0EEENS1_30default_config_static_selectorELNS0_4arch9wavefront6targetE0EEEvT1_.numbered_sgpr, 0
	.set _ZN7rocprim17ROCPRIM_400000_NS6detail17trampoline_kernelINS0_14default_configENS1_27scan_by_key_config_selectorIiyEEZZNS1_16scan_by_key_implILNS1_25lookback_scan_determinismE0ELb1ES3_N6thrust23THRUST_200600_302600_NS6detail15normal_iteratorINS9_10device_ptrIiEEEENSB_INSC_IyEEEESG_yNS9_4plusIvEENS9_8equal_toIvEEyEE10hipError_tPvRmT2_T3_T4_T5_mT6_T7_P12ihipStream_tbENKUlT_T0_E_clISt17integral_constantIbLb0EES11_EEDaSW_SX_EUlSW_E_NS1_11comp_targetILNS1_3genE9ELNS1_11target_archE1100ELNS1_3gpuE3ELNS1_3repE0EEENS1_30default_config_static_selectorELNS0_4arch9wavefront6targetE0EEEvT1_.num_named_barrier, 0
	.set _ZN7rocprim17ROCPRIM_400000_NS6detail17trampoline_kernelINS0_14default_configENS1_27scan_by_key_config_selectorIiyEEZZNS1_16scan_by_key_implILNS1_25lookback_scan_determinismE0ELb1ES3_N6thrust23THRUST_200600_302600_NS6detail15normal_iteratorINS9_10device_ptrIiEEEENSB_INSC_IyEEEESG_yNS9_4plusIvEENS9_8equal_toIvEEyEE10hipError_tPvRmT2_T3_T4_T5_mT6_T7_P12ihipStream_tbENKUlT_T0_E_clISt17integral_constantIbLb0EES11_EEDaSW_SX_EUlSW_E_NS1_11comp_targetILNS1_3genE9ELNS1_11target_archE1100ELNS1_3gpuE3ELNS1_3repE0EEENS1_30default_config_static_selectorELNS0_4arch9wavefront6targetE0EEEvT1_.private_seg_size, 0
	.set _ZN7rocprim17ROCPRIM_400000_NS6detail17trampoline_kernelINS0_14default_configENS1_27scan_by_key_config_selectorIiyEEZZNS1_16scan_by_key_implILNS1_25lookback_scan_determinismE0ELb1ES3_N6thrust23THRUST_200600_302600_NS6detail15normal_iteratorINS9_10device_ptrIiEEEENSB_INSC_IyEEEESG_yNS9_4plusIvEENS9_8equal_toIvEEyEE10hipError_tPvRmT2_T3_T4_T5_mT6_T7_P12ihipStream_tbENKUlT_T0_E_clISt17integral_constantIbLb0EES11_EEDaSW_SX_EUlSW_E_NS1_11comp_targetILNS1_3genE9ELNS1_11target_archE1100ELNS1_3gpuE3ELNS1_3repE0EEENS1_30default_config_static_selectorELNS0_4arch9wavefront6targetE0EEEvT1_.uses_vcc, 0
	.set _ZN7rocprim17ROCPRIM_400000_NS6detail17trampoline_kernelINS0_14default_configENS1_27scan_by_key_config_selectorIiyEEZZNS1_16scan_by_key_implILNS1_25lookback_scan_determinismE0ELb1ES3_N6thrust23THRUST_200600_302600_NS6detail15normal_iteratorINS9_10device_ptrIiEEEENSB_INSC_IyEEEESG_yNS9_4plusIvEENS9_8equal_toIvEEyEE10hipError_tPvRmT2_T3_T4_T5_mT6_T7_P12ihipStream_tbENKUlT_T0_E_clISt17integral_constantIbLb0EES11_EEDaSW_SX_EUlSW_E_NS1_11comp_targetILNS1_3genE9ELNS1_11target_archE1100ELNS1_3gpuE3ELNS1_3repE0EEENS1_30default_config_static_selectorELNS0_4arch9wavefront6targetE0EEEvT1_.uses_flat_scratch, 0
	.set _ZN7rocprim17ROCPRIM_400000_NS6detail17trampoline_kernelINS0_14default_configENS1_27scan_by_key_config_selectorIiyEEZZNS1_16scan_by_key_implILNS1_25lookback_scan_determinismE0ELb1ES3_N6thrust23THRUST_200600_302600_NS6detail15normal_iteratorINS9_10device_ptrIiEEEENSB_INSC_IyEEEESG_yNS9_4plusIvEENS9_8equal_toIvEEyEE10hipError_tPvRmT2_T3_T4_T5_mT6_T7_P12ihipStream_tbENKUlT_T0_E_clISt17integral_constantIbLb0EES11_EEDaSW_SX_EUlSW_E_NS1_11comp_targetILNS1_3genE9ELNS1_11target_archE1100ELNS1_3gpuE3ELNS1_3repE0EEENS1_30default_config_static_selectorELNS0_4arch9wavefront6targetE0EEEvT1_.has_dyn_sized_stack, 0
	.set _ZN7rocprim17ROCPRIM_400000_NS6detail17trampoline_kernelINS0_14default_configENS1_27scan_by_key_config_selectorIiyEEZZNS1_16scan_by_key_implILNS1_25lookback_scan_determinismE0ELb1ES3_N6thrust23THRUST_200600_302600_NS6detail15normal_iteratorINS9_10device_ptrIiEEEENSB_INSC_IyEEEESG_yNS9_4plusIvEENS9_8equal_toIvEEyEE10hipError_tPvRmT2_T3_T4_T5_mT6_T7_P12ihipStream_tbENKUlT_T0_E_clISt17integral_constantIbLb0EES11_EEDaSW_SX_EUlSW_E_NS1_11comp_targetILNS1_3genE9ELNS1_11target_archE1100ELNS1_3gpuE3ELNS1_3repE0EEENS1_30default_config_static_selectorELNS0_4arch9wavefront6targetE0EEEvT1_.has_recursion, 0
	.set _ZN7rocprim17ROCPRIM_400000_NS6detail17trampoline_kernelINS0_14default_configENS1_27scan_by_key_config_selectorIiyEEZZNS1_16scan_by_key_implILNS1_25lookback_scan_determinismE0ELb1ES3_N6thrust23THRUST_200600_302600_NS6detail15normal_iteratorINS9_10device_ptrIiEEEENSB_INSC_IyEEEESG_yNS9_4plusIvEENS9_8equal_toIvEEyEE10hipError_tPvRmT2_T3_T4_T5_mT6_T7_P12ihipStream_tbENKUlT_T0_E_clISt17integral_constantIbLb0EES11_EEDaSW_SX_EUlSW_E_NS1_11comp_targetILNS1_3genE9ELNS1_11target_archE1100ELNS1_3gpuE3ELNS1_3repE0EEENS1_30default_config_static_selectorELNS0_4arch9wavefront6targetE0EEEvT1_.has_indirect_call, 0
	.section	.AMDGPU.csdata,"",@progbits
; Kernel info:
; codeLenInByte = 0
; TotalNumSgprs: 0
; NumVgprs: 0
; ScratchSize: 0
; MemoryBound: 0
; FloatMode: 240
; IeeeMode: 1
; LDSByteSize: 0 bytes/workgroup (compile time only)
; SGPRBlocks: 0
; VGPRBlocks: 0
; NumSGPRsForWavesPerEU: 1
; NumVGPRsForWavesPerEU: 1
; Occupancy: 16
; WaveLimiterHint : 0
; COMPUTE_PGM_RSRC2:SCRATCH_EN: 0
; COMPUTE_PGM_RSRC2:USER_SGPR: 6
; COMPUTE_PGM_RSRC2:TRAP_HANDLER: 0
; COMPUTE_PGM_RSRC2:TGID_X_EN: 1
; COMPUTE_PGM_RSRC2:TGID_Y_EN: 0
; COMPUTE_PGM_RSRC2:TGID_Z_EN: 0
; COMPUTE_PGM_RSRC2:TIDIG_COMP_CNT: 0
	.section	.text._ZN7rocprim17ROCPRIM_400000_NS6detail17trampoline_kernelINS0_14default_configENS1_27scan_by_key_config_selectorIiyEEZZNS1_16scan_by_key_implILNS1_25lookback_scan_determinismE0ELb1ES3_N6thrust23THRUST_200600_302600_NS6detail15normal_iteratorINS9_10device_ptrIiEEEENSB_INSC_IyEEEESG_yNS9_4plusIvEENS9_8equal_toIvEEyEE10hipError_tPvRmT2_T3_T4_T5_mT6_T7_P12ihipStream_tbENKUlT_T0_E_clISt17integral_constantIbLb0EES11_EEDaSW_SX_EUlSW_E_NS1_11comp_targetILNS1_3genE8ELNS1_11target_archE1030ELNS1_3gpuE2ELNS1_3repE0EEENS1_30default_config_static_selectorELNS0_4arch9wavefront6targetE0EEEvT1_,"axG",@progbits,_ZN7rocprim17ROCPRIM_400000_NS6detail17trampoline_kernelINS0_14default_configENS1_27scan_by_key_config_selectorIiyEEZZNS1_16scan_by_key_implILNS1_25lookback_scan_determinismE0ELb1ES3_N6thrust23THRUST_200600_302600_NS6detail15normal_iteratorINS9_10device_ptrIiEEEENSB_INSC_IyEEEESG_yNS9_4plusIvEENS9_8equal_toIvEEyEE10hipError_tPvRmT2_T3_T4_T5_mT6_T7_P12ihipStream_tbENKUlT_T0_E_clISt17integral_constantIbLb0EES11_EEDaSW_SX_EUlSW_E_NS1_11comp_targetILNS1_3genE8ELNS1_11target_archE1030ELNS1_3gpuE2ELNS1_3repE0EEENS1_30default_config_static_selectorELNS0_4arch9wavefront6targetE0EEEvT1_,comdat
	.protected	_ZN7rocprim17ROCPRIM_400000_NS6detail17trampoline_kernelINS0_14default_configENS1_27scan_by_key_config_selectorIiyEEZZNS1_16scan_by_key_implILNS1_25lookback_scan_determinismE0ELb1ES3_N6thrust23THRUST_200600_302600_NS6detail15normal_iteratorINS9_10device_ptrIiEEEENSB_INSC_IyEEEESG_yNS9_4plusIvEENS9_8equal_toIvEEyEE10hipError_tPvRmT2_T3_T4_T5_mT6_T7_P12ihipStream_tbENKUlT_T0_E_clISt17integral_constantIbLb0EES11_EEDaSW_SX_EUlSW_E_NS1_11comp_targetILNS1_3genE8ELNS1_11target_archE1030ELNS1_3gpuE2ELNS1_3repE0EEENS1_30default_config_static_selectorELNS0_4arch9wavefront6targetE0EEEvT1_ ; -- Begin function _ZN7rocprim17ROCPRIM_400000_NS6detail17trampoline_kernelINS0_14default_configENS1_27scan_by_key_config_selectorIiyEEZZNS1_16scan_by_key_implILNS1_25lookback_scan_determinismE0ELb1ES3_N6thrust23THRUST_200600_302600_NS6detail15normal_iteratorINS9_10device_ptrIiEEEENSB_INSC_IyEEEESG_yNS9_4plusIvEENS9_8equal_toIvEEyEE10hipError_tPvRmT2_T3_T4_T5_mT6_T7_P12ihipStream_tbENKUlT_T0_E_clISt17integral_constantIbLb0EES11_EEDaSW_SX_EUlSW_E_NS1_11comp_targetILNS1_3genE8ELNS1_11target_archE1030ELNS1_3gpuE2ELNS1_3repE0EEENS1_30default_config_static_selectorELNS0_4arch9wavefront6targetE0EEEvT1_
	.globl	_ZN7rocprim17ROCPRIM_400000_NS6detail17trampoline_kernelINS0_14default_configENS1_27scan_by_key_config_selectorIiyEEZZNS1_16scan_by_key_implILNS1_25lookback_scan_determinismE0ELb1ES3_N6thrust23THRUST_200600_302600_NS6detail15normal_iteratorINS9_10device_ptrIiEEEENSB_INSC_IyEEEESG_yNS9_4plusIvEENS9_8equal_toIvEEyEE10hipError_tPvRmT2_T3_T4_T5_mT6_T7_P12ihipStream_tbENKUlT_T0_E_clISt17integral_constantIbLb0EES11_EEDaSW_SX_EUlSW_E_NS1_11comp_targetILNS1_3genE8ELNS1_11target_archE1030ELNS1_3gpuE2ELNS1_3repE0EEENS1_30default_config_static_selectorELNS0_4arch9wavefront6targetE0EEEvT1_
	.p2align	8
	.type	_ZN7rocprim17ROCPRIM_400000_NS6detail17trampoline_kernelINS0_14default_configENS1_27scan_by_key_config_selectorIiyEEZZNS1_16scan_by_key_implILNS1_25lookback_scan_determinismE0ELb1ES3_N6thrust23THRUST_200600_302600_NS6detail15normal_iteratorINS9_10device_ptrIiEEEENSB_INSC_IyEEEESG_yNS9_4plusIvEENS9_8equal_toIvEEyEE10hipError_tPvRmT2_T3_T4_T5_mT6_T7_P12ihipStream_tbENKUlT_T0_E_clISt17integral_constantIbLb0EES11_EEDaSW_SX_EUlSW_E_NS1_11comp_targetILNS1_3genE8ELNS1_11target_archE1030ELNS1_3gpuE2ELNS1_3repE0EEENS1_30default_config_static_selectorELNS0_4arch9wavefront6targetE0EEEvT1_,@function
_ZN7rocprim17ROCPRIM_400000_NS6detail17trampoline_kernelINS0_14default_configENS1_27scan_by_key_config_selectorIiyEEZZNS1_16scan_by_key_implILNS1_25lookback_scan_determinismE0ELb1ES3_N6thrust23THRUST_200600_302600_NS6detail15normal_iteratorINS9_10device_ptrIiEEEENSB_INSC_IyEEEESG_yNS9_4plusIvEENS9_8equal_toIvEEyEE10hipError_tPvRmT2_T3_T4_T5_mT6_T7_P12ihipStream_tbENKUlT_T0_E_clISt17integral_constantIbLb0EES11_EEDaSW_SX_EUlSW_E_NS1_11comp_targetILNS1_3genE8ELNS1_11target_archE1030ELNS1_3gpuE2ELNS1_3repE0EEENS1_30default_config_static_selectorELNS0_4arch9wavefront6targetE0EEEvT1_: ; @_ZN7rocprim17ROCPRIM_400000_NS6detail17trampoline_kernelINS0_14default_configENS1_27scan_by_key_config_selectorIiyEEZZNS1_16scan_by_key_implILNS1_25lookback_scan_determinismE0ELb1ES3_N6thrust23THRUST_200600_302600_NS6detail15normal_iteratorINS9_10device_ptrIiEEEENSB_INSC_IyEEEESG_yNS9_4plusIvEENS9_8equal_toIvEEyEE10hipError_tPvRmT2_T3_T4_T5_mT6_T7_P12ihipStream_tbENKUlT_T0_E_clISt17integral_constantIbLb0EES11_EEDaSW_SX_EUlSW_E_NS1_11comp_targetILNS1_3genE8ELNS1_11target_archE1030ELNS1_3gpuE2ELNS1_3repE0EEENS1_30default_config_static_selectorELNS0_4arch9wavefront6targetE0EEEvT1_
; %bb.0:
	s_clause 0x5
	s_load_dwordx8 s[8:15], s[4:5], 0x0
	s_load_dwordx2 s[28:29], s[4:5], 0x50
	s_load_dword s7, s[4:5], 0x58
	s_load_dwordx2 s[30:31], s[4:5], 0x20
	s_load_dwordx8 s[16:23], s[4:5], 0x30
	s_load_dwordx4 s[24:27], s[4:5], 0x60
	s_mov_b32 s1, 0
	s_mul_i32 s0, s6, 0x300
	s_waitcnt lgkmcnt(0)
	s_barrier
	buffer_gl0_inv
	s_lshl_b64 s[2:3], s[10:11], 2
	s_add_u32 s8, s8, s2
	s_addc_u32 s9, s9, s3
	s_lshl_b64 s[4:5], s[10:11], 3
	s_mul_i32 s23, s29, s7
	s_mul_hi_u32 s10, s28, s7
	s_add_u32 s12, s12, s4
	s_addc_u32 s13, s13, s5
	s_lshl_b64 s[2:3], s[0:1], 2
	s_add_i32 s23, s10, s23
	s_add_u32 s10, s8, s2
	s_addc_u32 s11, s9, s3
	s_lshl_b64 s[8:9], s[0:1], 3
	s_mul_i32 s0, s28, s7
	s_add_u32 s3, s12, s8
	s_addc_u32 s13, s13, s9
	s_add_u32 s34, s0, s6
	s_addc_u32 s35, s23, 0
	s_add_u32 s24, s24, -1
	s_addc_u32 s25, s25, -1
	s_mul_i32 s7, s24, 0xfffffd00
	v_cmp_ge_u64_e64 s12, s[34:35], s[24:25]
	s_and_b32 vcc_lo, exec_lo, s12
	s_cbranch_vccz .LBB1471_20
; %bb.1:
	v_mov_b32_e32 v1, s10
	v_mov_b32_e32 v2, s11
	s_add_i32 s23, s7, s22
	v_cmp_gt_u32_e64 s1, s23, v0
	flat_load_dword v1, v[1:2]
	s_waitcnt vmcnt(0) lgkmcnt(0)
	v_mov_b32_e32 v2, v1
	s_and_saveexec_b32 s0, s1
	s_cbranch_execz .LBB1471_3
; %bb.2:
	v_lshlrev_b32_e32 v2, 2, v0
	v_add_co_u32 v2, s2, s10, v2
	v_add_co_ci_u32_e64 v3, null, s11, 0, s2
	flat_load_dword v2, v[2:3]
.LBB1471_3:
	s_or_b32 exec_lo, exec_lo, s0
	v_or_b32_e32 v8, 0x100, v0
	v_mov_b32_e32 v3, v1
	v_cmp_gt_u32_e64 s0, s23, v8
	s_and_saveexec_b32 s2, s0
	s_cbranch_execz .LBB1471_5
; %bb.4:
	v_lshlrev_b32_e32 v3, 2, v0
	v_add_co_u32 v3, s24, s10, v3
	v_add_co_ci_u32_e64 v4, null, s11, 0, s24
	flat_load_dword v3, v[3:4] offset:1024
.LBB1471_5:
	s_or_b32 exec_lo, exec_lo, s2
	v_or_b32_e32 v7, 0x200, v0
	v_cmp_gt_u32_e32 vcc_lo, s23, v7
	s_and_saveexec_b32 s2, vcc_lo
	s_cbranch_execz .LBB1471_7
; %bb.6:
	v_lshlrev_b32_e32 v1, 2, v7
	v_add_co_u32 v4, s24, s10, v1
	v_add_co_ci_u32_e64 v5, null, s11, 0, s24
	flat_load_dword v1, v[4:5]
.LBB1471_7:
	s_or_b32 exec_lo, exec_lo, s2
	v_mov_b32_e32 v4, s10
	v_lshlrev_b32_e32 v9, 2, v0
	v_mov_b32_e32 v5, s11
	s_mov_b32 s24, exec_lo
	s_waitcnt vmcnt(0) lgkmcnt(0)
	ds_write2st64_b32 v9, v2, v3 offset1:4
	ds_write_b32 v9, v1 offset:2048
	s_waitcnt lgkmcnt(0)
	s_barrier
	buffer_gl0_inv
	flat_load_dword v14, v[4:5]
	v_lshl_add_u32 v1, v0, 3, v9
	ds_read_b32 v15, v1
	ds_read2_b32 v[11:12], v1 offset0:1 offset1:2
	s_waitcnt lgkmcnt(1)
	ds_write_b32 v9, v15 offset:4096
	s_waitcnt vmcnt(0) lgkmcnt(0)
	s_barrier
	buffer_gl0_inv
	v_cmpx_ne_u32_e32 0xff, v0
; %bb.8:
	ds_read_b32 v14, v9 offset:4100
; %bb.9:
	s_or_b32 exec_lo, exec_lo, s24
	v_mov_b32_e32 v1, 0
	s_waitcnt lgkmcnt(0)
	s_barrier
	buffer_gl0_inv
	v_mov_b32_e32 v2, v1
	v_mov_b32_e32 v3, v1
	;; [unrolled: 1-line block ×5, first 2 shown]
	s_and_saveexec_b32 s2, s1
	s_cbranch_execnz .LBB1471_136
; %bb.10:
	s_or_b32 exec_lo, exec_lo, s2
	s_and_saveexec_b32 s1, s0
	s_cbranch_execnz .LBB1471_137
.LBB1471_11:
	s_or_b32 exec_lo, exec_lo, s1
	v_mul_u32_u24_e32 v16, 3, v0
	s_and_saveexec_b32 s0, vcc_lo
	s_cbranch_execz .LBB1471_13
.LBB1471_12:
	v_lshlrev_b32_e32 v5, 3, v7
	v_add_co_u32 v5, s1, s3, v5
	v_add_co_ci_u32_e64 v6, null, s13, 0, s1
	flat_load_dwordx2 v[5:6], v[5:6]
.LBB1471_13:
	s_or_b32 exec_lo, exec_lo, s0
	v_lshl_add_u32 v18, v0, 2, v9
	v_mov_b32_e32 v9, 0
	v_mov_b32_e32 v7, 0
	;; [unrolled: 1-line block ×4, first 2 shown]
	s_waitcnt vmcnt(0) lgkmcnt(0)
	ds_write2st64_b64 v18, v[1:2], v[3:4] offset1:4
	ds_write_b64 v18, v[5:6] offset:4096
	v_mov_b32_e32 v5, 0
	v_mov_b32_e32 v1, 0
	;; [unrolled: 1-line block ×8, first 2 shown]
	s_mov_b32 s24, 0
	s_mov_b32 s1, 0
	s_mov_b32 s25, exec_lo
	s_waitcnt lgkmcnt(0)
	s_barrier
	buffer_gl0_inv
                                        ; implicit-def: $sgpr2
	v_cmpx_gt_u32_e64 s23, v16
	s_cbranch_execz .LBB1471_19
; %bb.14:
	v_lshlrev_b32_e32 v1, 4, v0
	v_cmp_ne_u32_e32 vcc_lo, v15, v11
	v_mov_b32_e32 v9, 0
	v_mov_b32_e32 v7, 0
	v_add_nc_u32_e32 v4, 1, v16
	v_add_nc_u32_e32 v1, v18, v1
	v_mov_b32_e32 v10, 0
	v_mov_b32_e32 v8, 0
	;; [unrolled: 1-line block ×3, first 2 shown]
	s_mov_b32 s33, exec_lo
	ds_read_b64 v[2:3], v1
                                        ; implicit-def: $sgpr2
	s_waitcnt lgkmcnt(0)
	v_cndmask_b32_e64 v6, v3, s31, vcc_lo
	v_cndmask_b32_e64 v5, v2, s30, vcc_lo
	v_cmpx_gt_u32_e64 s23, v4
	s_cbranch_execz .LBB1471_18
; %bb.15:
	ds_read2_b64 v[1:4], v1 offset0:1 offset1:2
	v_cmp_ne_u32_e64 s0, v11, v12
	v_add_nc_u32_e32 v11, 2, v16
	v_mov_b32_e32 v7, 0
	v_mov_b32_e32 v8, 0
                                        ; implicit-def: $sgpr2
	v_cmp_gt_u32_e64 s1, s23, v11
	s_mov_b32 s23, 0
	s_waitcnt lgkmcnt(0)
	v_cndmask_b32_e64 v10, v2, s31, s0
	v_cndmask_b32_e64 v9, v1, s30, s0
	s_and_saveexec_b32 s34, s1
	s_xor_b32 s1, exec_lo, s34
; %bb.16:
	v_cmp_ne_u32_e64 s2, v12, v14
	s_mov_b32 s23, exec_lo
	v_cndmask_b32_e64 v8, v4, s31, s2
	v_cndmask_b32_e64 v7, v3, s30, s2
; %bb.17:
	s_or_b32 exec_lo, exec_lo, s1
	v_cndmask_b32_e64 v13, 0, 1, s0
	s_and_b32 s1, s23, exec_lo
.LBB1471_18:
	s_or_b32 exec_lo, exec_lo, s33
	v_cndmask_b32_e64 v3, 0, 1, vcc_lo
	v_mov_b32_e32 v1, v9
	v_mov_b32_e32 v19, v13
	v_mov_b32_e32 v2, v10
	s_and_b32 s1, s1, exec_lo
	v_mov_b32_e32 v17, v3
.LBB1471_19:
	s_or_b32 exec_lo, exec_lo, s25
	s_and_b32 vcc_lo, exec_lo, s24
	s_cbranch_vccnz .LBB1471_21
	s_branch .LBB1471_24
.LBB1471_20:
                                        ; implicit-def: $sgpr2
                                        ; implicit-def: $vgpr5_vgpr6
                                        ; implicit-def: $vgpr13
                                        ; implicit-def: $vgpr9_vgpr10
                                        ; implicit-def: $vgpr3
                                        ; implicit-def: $vgpr7_vgpr8
                                        ; implicit-def: $vgpr19
                                        ; implicit-def: $vgpr1_vgpr2
                                        ; implicit-def: $vgpr17
	s_cbranch_execz .LBB1471_24
.LBB1471_21:
	v_lshlrev_b32_e32 v3, 2, v0
	v_add_co_u32 v1, s0, s10, v3
	v_add_co_ci_u32_e64 v2, null, s11, 0, s0
	v_add_co_u32 v4, vcc_lo, 0x800, v1
	v_add_co_ci_u32_e64 v5, null, 0, v2, vcc_lo
	s_clause 0x2
	flat_load_dword v6, v[1:2]
	flat_load_dword v7, v[1:2] offset:1024
	flat_load_dword v4, v[4:5]
	v_add_co_u32 v1, s0, 0x800, s10
	v_add_co_ci_u32_e64 v2, null, 0, s11, s0
	s_mov_b32 s0, exec_lo
	s_waitcnt vmcnt(1) lgkmcnt(1)
	ds_write2st64_b32 v3, v6, v7 offset1:4
	s_waitcnt vmcnt(0) lgkmcnt(1)
	ds_write_b32 v3, v4 offset:2048
	s_waitcnt lgkmcnt(0)
	s_barrier
	buffer_gl0_inv
	flat_load_dword v4, v[1:2] offset:1024
	v_lshl_add_u32 v1, v0, 3, v3
	ds_read_b32 v5, v1
	ds_read2_b32 v[1:2], v1 offset0:1 offset1:2
	s_waitcnt lgkmcnt(1)
	ds_write_b32 v3, v5 offset:4096
	s_waitcnt vmcnt(0) lgkmcnt(0)
	s_barrier
	buffer_gl0_inv
	v_cmpx_ne_u32_e32 0xff, v0
; %bb.22:
	ds_read_b32 v4, v3 offset:4100
; %bb.23:
	s_or_b32 exec_lo, exec_lo, s0
	v_lshlrev_b32_e32 v6, 3, v0
	s_waitcnt lgkmcnt(0)
	s_barrier
	buffer_gl0_inv
	v_lshl_add_u32 v3, v0, 2, v3
	v_add_co_u32 v6, s0, s3, v6
	v_add_co_ci_u32_e64 v7, null, s13, 0, s0
	v_lshl_add_u32 v12, v0, 4, v3
	v_add_co_u32 v8, vcc_lo, 0x800, v6
	v_add_co_ci_u32_e64 v9, null, 0, v7, vcc_lo
	v_add_co_u32 v10, vcc_lo, 0x1000, v6
	v_add_co_ci_u32_e64 v11, null, 0, v7, vcc_lo
	s_clause 0x2
	flat_load_dwordx2 v[6:7], v[6:7]
	flat_load_dwordx2 v[8:9], v[8:9]
	flat_load_dwordx2 v[10:11], v[10:11]
	v_cmp_ne_u32_e32 vcc_lo, v1, v2
	v_cmp_ne_u32_e64 s0, v5, v1
	v_cmp_ne_u32_e64 s2, v2, v4
	s_mov_b32 s1, -1
	s_waitcnt vmcnt(1) lgkmcnt(1)
	ds_write2st64_b64 v3, v[6:7], v[8:9] offset1:4
	s_waitcnt vmcnt(0) lgkmcnt(1)
	ds_write_b64 v3, v[10:11] offset:4096
	s_waitcnt lgkmcnt(0)
	s_barrier
	buffer_gl0_inv
	ds_read2_b64 v[7:10], v12 offset1:1
	ds_read_b64 v[11:12], v12 offset:16
	v_cndmask_b32_e64 v13, 0, 1, vcc_lo
	v_cndmask_b32_e64 v3, 0, 1, s0
	v_mov_b32_e32 v19, v13
	v_mov_b32_e32 v17, v3
	s_waitcnt lgkmcnt(1)
	v_cndmask_b32_e64 v9, v9, s30, vcc_lo
	v_cndmask_b32_e64 v10, v10, s31, vcc_lo
	v_cndmask_b32_e64 v6, v8, s31, s0
	v_cndmask_b32_e64 v5, v7, s30, s0
	s_waitcnt lgkmcnt(0)
	v_cndmask_b32_e64 v8, v12, s31, s2
	v_mov_b32_e32 v1, v9
	v_cndmask_b32_e64 v7, v11, s30, s2
	v_mov_b32_e32 v2, v10
.LBB1471_24:
	v_mov_b32_e32 v20, 0
	s_and_saveexec_b32 s0, s1
; %bb.25:
	v_mov_b32_e32 v1, v9
	v_cndmask_b32_e64 v20, 0, 1, s2
	v_mov_b32_e32 v17, v3
	v_mov_b32_e32 v2, v10
	;; [unrolled: 1-line block ×3, first 2 shown]
; %bb.26:
	s_or_b32 exec_lo, exec_lo, s0
	v_and_b32_e32 v22, 1, v17
	v_or_b32_e32 v21, v20, v19
	v_mbcnt_lo_u32_b32 v18, -1, 0
	s_cmp_lg_u32 s6, 0
	v_cmp_eq_u16_e32 vcc_lo, 0, v20
	v_cmp_eq_u32_e64 s1, 1, v22
	s_barrier
	buffer_gl0_inv
	s_cbranch_scc0 .LBB1471_84
; %bb.27:
	v_mov_b32_e32 v3, 0
	v_cmp_eq_u16_sdwa s0, v19, v3 src0_sel:BYTE_0 src1_sel:DWORD
	v_cmp_ne_u16_sdwa s3, v21, v3 src0_sel:BYTE_0 src1_sel:DWORD
	v_cndmask_b32_e64 v9, 0, v5, s0
	v_cndmask_b32_e64 v4, 0, v6, s0
	s_or_b32 s1, s3, s1
	v_cndmask_b32_e64 v11, 0, 1, s1
	v_add_co_u32 v9, s2, v9, v1
	v_add_co_ci_u32_e64 v3, null, v4, v2, s2
	v_cndmask_b32_e64 v4, 0, 1, s1
	v_cndmask_b32_e32 v9, 0, v9, vcc_lo
	s_mov_b32 s2, exec_lo
	v_cndmask_b32_e32 v3, 0, v3, vcc_lo
	v_mov_b32_dpp v14, v4 row_shr:1 row_mask:0xf bank_mask:0xf
	v_add_co_u32 v9, vcc_lo, v9, v7
	v_add_co_ci_u32_e64 v10, null, v3, v8, vcc_lo
	v_and_b32_e32 v3, 15, v18
	v_mov_b32_dpp v12, v9 row_shr:1 row_mask:0xf bank_mask:0xf
	v_mov_b32_dpp v13, v10 row_shr:1 row_mask:0xf bank_mask:0xf
	v_cmpx_ne_u32_e32 0, v3
	s_cbranch_execz .LBB1471_29
; %bb.28:
	v_and_b32_e32 v4, 1, v14
	v_cndmask_b32_e64 v12, v12, 0, s1
	v_cndmask_b32_e64 v13, v13, 0, s1
	v_or_b32_e32 v11, v4, v11
	v_add_co_u32 v9, vcc_lo, v12, v9
	v_add_co_ci_u32_e64 v10, null, v13, v10, vcc_lo
	v_and_b32_e32 v4, 0xffff, v11
.LBB1471_29:
	s_or_b32 exec_lo, exec_lo, s2
	v_mov_b32_dpp v12, v9 row_shr:2 row_mask:0xf bank_mask:0xf
	v_mov_b32_dpp v13, v10 row_shr:2 row_mask:0xf bank_mask:0xf
	v_mov_b32_dpp v14, v4 row_shr:2 row_mask:0xf bank_mask:0xf
	s_mov_b32 s3, exec_lo
	v_cmpx_lt_u32_e32 1, v3
	s_cbranch_execz .LBB1471_31
; %bb.30:
	v_cmp_eq_u16_e32 vcc_lo, 0, v11
	v_and_b32_e32 v4, 1, v11
	v_and_b32_e32 v11, 1, v14
	v_cndmask_b32_e32 v13, 0, v13, vcc_lo
	v_cndmask_b32_e32 v12, 0, v12, vcc_lo
	v_cmp_eq_u32_e32 vcc_lo, 1, v4
	v_cmp_eq_u32_e64 s1, 1, v11
	v_add_co_u32 v9, s2, v12, v9
	s_or_b32 s1, vcc_lo, s1
	v_add_co_ci_u32_e64 v10, null, v13, v10, s2
	v_cndmask_b32_e64 v11, 0, 1, s1
	v_cndmask_b32_e64 v4, 0, 1, s1
.LBB1471_31:
	s_or_b32 exec_lo, exec_lo, s3
	v_mov_b32_dpp v12, v9 row_shr:4 row_mask:0xf bank_mask:0xf
	v_mov_b32_dpp v13, v10 row_shr:4 row_mask:0xf bank_mask:0xf
	v_mov_b32_dpp v14, v4 row_shr:4 row_mask:0xf bank_mask:0xf
	s_mov_b32 s3, exec_lo
	v_cmpx_lt_u32_e32 3, v3
	s_cbranch_execz .LBB1471_33
; %bb.32:
	v_cmp_eq_u16_e32 vcc_lo, 0, v11
	v_and_b32_e32 v4, 1, v11
	v_and_b32_e32 v11, 1, v14
	v_cndmask_b32_e32 v13, 0, v13, vcc_lo
	v_cndmask_b32_e32 v12, 0, v12, vcc_lo
	v_cmp_eq_u32_e32 vcc_lo, 1, v4
	v_cmp_eq_u32_e64 s1, 1, v11
	v_add_co_u32 v9, s2, v12, v9
	s_or_b32 s1, vcc_lo, s1
	v_add_co_ci_u32_e64 v10, null, v13, v10, s2
	v_cndmask_b32_e64 v11, 0, 1, s1
	v_cndmask_b32_e64 v4, 0, 1, s1
.LBB1471_33:
	;; [unrolled: 21-line block ×3, first 2 shown]
	s_or_b32 exec_lo, exec_lo, s3
	ds_swizzle_b32 v3, v9 offset:swizzle(BROADCAST,32,15)
	ds_swizzle_b32 v12, v10 offset:swizzle(BROADCAST,32,15)
	;; [unrolled: 1-line block ×3, first 2 shown]
	v_and_b32_e32 v13, 16, v18
	s_mov_b32 s3, exec_lo
	v_cmpx_ne_u32_e32 0, v13
	s_cbranch_execz .LBB1471_37
; %bb.36:
	v_cmp_eq_u16_e32 vcc_lo, 0, v11
	v_and_b32_e32 v11, 1, v11
	s_waitcnt lgkmcnt(0)
	v_and_b32_e32 v4, 1, v4
	v_cndmask_b32_e32 v12, 0, v12, vcc_lo
	v_cndmask_b32_e32 v3, 0, v3, vcc_lo
	v_cmp_eq_u32_e32 vcc_lo, 1, v11
	v_cmp_eq_u32_e64 s1, 1, v4
	v_add_co_u32 v9, s2, v3, v9
	s_or_b32 s1, vcc_lo, s1
	v_add_co_ci_u32_e64 v10, null, v12, v10, s2
	v_cndmask_b32_e64 v11, 0, 1, s1
.LBB1471_37:
	s_or_b32 exec_lo, exec_lo, s3
	s_waitcnt lgkmcnt(0)
	v_lshrrev_b32_e32 v4, 5, v0
	v_or_b32_e32 v3, 31, v0
	s_mov_b32 s1, exec_lo
	v_lshlrev_b32_e32 v12, 4, v4
	v_cmpx_eq_u32_e64 v0, v3
	s_cbranch_execz .LBB1471_39
; %bb.38:
	ds_write_b64 v12, v[9:10]
	ds_write_b8 v12, v11 offset:8
.LBB1471_39:
	s_or_b32 exec_lo, exec_lo, s1
	s_mov_b32 s3, exec_lo
	s_waitcnt lgkmcnt(0)
	s_barrier
	buffer_gl0_inv
	v_cmpx_gt_u32_e32 8, v0
	s_cbranch_execz .LBB1471_47
; %bb.40:
	v_lshlrev_b32_e32 v13, 4, v0
	v_and_b32_e32 v14, 7, v18
	s_mov_b32 s1, exec_lo
	ds_read_b64 v[3:4], v13
	ds_read_b32 v24, v13 offset:8
	s_waitcnt lgkmcnt(1)
	v_mov_b32_dpp v25, v3 row_shr:1 row_mask:0xf bank_mask:0xf
	v_mov_b32_dpp v26, v4 row_shr:1 row_mask:0xf bank_mask:0xf
	s_waitcnt lgkmcnt(0)
	v_and_b32_e32 v16, 0xffffff00, v24
	v_mov_b32_dpp v27, v24 row_shr:1 row_mask:0xf bank_mask:0xf
	v_mov_b32_e32 v23, v24
	v_mov_b32_e32 v15, v24
	v_cmpx_ne_u32_e32 0, v14
	s_cbranch_execz .LBB1471_42
; %bb.41:
	v_mov_b32_e32 v15, 0
	v_cmp_eq_u16_sdwa vcc_lo, v24, v15 src0_sel:BYTE_0 src1_sel:DWORD
	v_or_b32_e32 v15, v27, v24
	v_cndmask_b32_e32 v25, 0, v25, vcc_lo
	v_cndmask_b32_e32 v24, 0, v26, vcc_lo
	v_and_b32_e32 v23, 1, v15
	v_and_b32_e32 v15, 1, v15
	v_add_co_u32 v3, vcc_lo, v25, v3
	v_add_co_ci_u32_e64 v4, null, v24, v4, vcc_lo
	v_or_b32_e32 v24, v15, v16
.LBB1471_42:
	s_or_b32 exec_lo, exec_lo, s1
	v_mov_b32_dpp v25, v3 row_shr:2 row_mask:0xf bank_mask:0xf
	v_mov_b32_dpp v26, v4 row_shr:2 row_mask:0xf bank_mask:0xf
	;; [unrolled: 1-line block ×3, first 2 shown]
	s_mov_b32 s10, exec_lo
	v_cmpx_lt_u32_e32 1, v14
	s_cbranch_execz .LBB1471_44
; %bb.43:
	v_mov_b32_e32 v23, 0
	v_and_b32_e32 v24, 1, v15
	v_and_b32_e32 v27, 1, v27
	v_cmp_eq_u16_sdwa vcc_lo, v15, v23 src0_sel:BYTE_0 src1_sel:DWORD
	v_cmp_eq_u32_e64 s1, 1, v24
	v_cmp_eq_u32_e64 s2, 1, v27
	v_cndmask_b32_e32 v24, 0, v25, vcc_lo
	v_cndmask_b32_e32 v15, 0, v26, vcc_lo
	s_or_b32 s1, s1, s2
	v_cndmask_b32_e64 v23, 0, 1, s1
	v_cndmask_b32_e64 v25, 0, 1, s1
	v_add_co_u32 v3, vcc_lo, v24, v3
	v_add_co_ci_u32_e64 v4, null, v15, v4, vcc_lo
	v_or_b32_e32 v24, v16, v25
	v_mov_b32_e32 v15, v23
.LBB1471_44:
	s_or_b32 exec_lo, exec_lo, s10
	v_mov_b32_dpp v16, v3 row_shr:4 row_mask:0xf bank_mask:0xf
	v_mov_b32_dpp v25, v4 row_shr:4 row_mask:0xf bank_mask:0xf
	;; [unrolled: 1-line block ×3, first 2 shown]
	s_mov_b32 s10, exec_lo
	v_cmpx_lt_u32_e32 3, v14
	s_cbranch_execz .LBB1471_46
; %bb.45:
	v_mov_b32_e32 v14, 0
	v_cmp_eq_u16_sdwa vcc_lo, v15, v14 src0_sel:BYTE_0 src1_sel:DWORD
	v_and_b32_e32 v14, 1, v15
	v_and_b32_e32 v15, 1, v24
	v_cndmask_b32_e32 v23, 0, v25, vcc_lo
	v_cndmask_b32_e32 v16, 0, v16, vcc_lo
	v_cmp_eq_u32_e32 vcc_lo, 1, v14
	v_cmp_eq_u32_e64 s1, 1, v15
	v_add_co_u32 v3, s2, v16, v3
	s_or_b32 s1, vcc_lo, s1
	v_add_co_ci_u32_e64 v4, null, v23, v4, s2
	v_cndmask_b32_e64 v23, 0, 1, s1
.LBB1471_46:
	s_or_b32 exec_lo, exec_lo, s10
	ds_write_b64 v13, v[3:4]
	ds_write_b8 v13, v23 offset:8
.LBB1471_47:
	s_or_b32 exec_lo, exec_lo, s3
	v_mov_b32_e32 v3, 0
	v_mov_b32_e32 v4, 0
	;; [unrolled: 1-line block ×3, first 2 shown]
	s_mov_b32 s2, exec_lo
	v_cmp_gt_u32_e32 vcc_lo, 32, v0
	s_waitcnt lgkmcnt(0)
	s_barrier
	buffer_gl0_inv
	v_cmpx_lt_u32_e32 31, v0
	s_cbranch_execz .LBB1471_49
; %bb.48:
	v_add_nc_u32_e32 v3, -16, v12
	v_add_nc_u32_e32 v12, -8, v12
	v_cmp_eq_u16_e64 s1, 0, v11
	ds_read_b64 v[3:4], v3
	ds_read_u8 v23, v12
	s_waitcnt lgkmcnt(1)
	v_cndmask_b32_e64 v13, 0, v3, s1
	v_cndmask_b32_e64 v12, 0, v4, s1
	s_waitcnt lgkmcnt(0)
	v_or_b32_e32 v11, v23, v11
	v_add_co_u32 v9, s1, v9, v13
	v_add_co_ci_u32_e64 v10, null, v10, v12, s1
.LBB1471_49:
	s_or_b32 exec_lo, exec_lo, s2
	v_sub_co_u32 v12, s1, v18, 1
	v_and_b32_e32 v11, 0xff, v11
	v_cmp_gt_i32_e64 s2, 0, v12
	v_cndmask_b32_e64 v12, v12, v18, s2
	v_lshlrev_b32_e32 v12, 2, v12
	ds_bpermute_b32 v25, v12, v9
	ds_bpermute_b32 v24, v12, v10
	;; [unrolled: 1-line block ×3, first 2 shown]
	s_and_saveexec_b32 s10, vcc_lo
	s_cbranch_execz .LBB1471_89
; %bb.50:
	v_mov_b32_e32 v13, 0
	ds_read_b64 v[9:10], v13 offset:112
	ds_read_u8 v27, v13 offset:120
	s_and_saveexec_b32 s2, s1
	s_cbranch_execz .LBB1471_52
; %bb.51:
	s_add_i32 s24, s6, 32
	s_mov_b32 s25, 0
	v_mov_b32_e32 v11, 1
	s_lshl_b64 s[34:35], s[24:25], 4
	v_mov_b32_e32 v12, s24
	s_add_u32 s34, s16, s34
	s_addc_u32 s35, s17, s35
	s_waitcnt lgkmcnt(1)
	global_store_dwordx2 v13, v[9:10], s[34:35]
	s_waitcnt lgkmcnt(0)
	global_store_byte v13, v27, s[34:35] offset:8
	s_waitcnt_vscnt null, 0x0
	buffer_gl1_inv
	buffer_gl0_inv
	global_store_byte v12, v11, s[20:21]
.LBB1471_52:
	s_or_b32 exec_lo, exec_lo, s2
	v_xad_u32 v11, v18, -1, s6
	s_mov_b32 s3, 0
	s_mov_b32 s2, exec_lo
	v_add_nc_u32_e32 v12, 32, v11
	global_load_ubyte v28, v12, s[20:21] glc dlc
	s_waitcnt vmcnt(0)
	v_cmpx_eq_u16_e32 0, v28
	s_cbranch_execz .LBB1471_56
; %bb.53:
	v_add_co_u32 v14, s11, s20, v12
	v_add_co_ci_u32_e64 v15, null, s21, 0, s11
.LBB1471_54:                            ; =>This Inner Loop Header: Depth=1
	global_load_ubyte v28, v[14:15], off glc dlc
	s_waitcnt vmcnt(0)
	v_cmp_ne_u16_e32 vcc_lo, 0, v28
	s_or_b32 s3, vcc_lo, s3
	s_andn2_b32 exec_lo, exec_lo, s3
	s_cbranch_execnz .LBB1471_54
; %bb.55:
	s_or_b32 exec_lo, exec_lo, s3
.LBB1471_56:
	s_or_b32 exec_lo, exec_lo, s2
	v_cmp_eq_u16_e32 vcc_lo, 1, v28
	v_mov_b32_e32 v15, s16
	v_mov_b32_e32 v14, s17
	v_lshlrev_b64 v[12:13], 4, v[12:13]
	s_waitcnt lgkmcnt(0)
	s_waitcnt_vscnt null, 0x0
	buffer_gl1_inv
	buffer_gl0_inv
	v_lshlrev_b32_e64 v30, v18, -1
	v_cndmask_b32_e32 v15, s18, v15, vcc_lo
	v_cndmask_b32_e32 v14, s19, v14, vcc_lo
	s_mov_b32 s2, exec_lo
	v_add_co_u32 v12, vcc_lo, v15, v12
	v_add_co_ci_u32_e64 v13, null, v14, v13, vcc_lo
	v_cmp_ne_u32_e32 vcc_lo, 31, v18
	s_clause 0x1
	global_load_ubyte v41, v[12:13], off offset:8
	global_load_dwordx2 v[15:16], v[12:13], off
	v_add_co_ci_u32_e64 v12, null, 0, v18, vcc_lo
	v_cmp_eq_u16_e32 vcc_lo, 2, v28
	v_lshlrev_b32_e32 v29, 2, v12
	v_and_or_b32 v12, vcc_lo, v30, 0x80000000
	v_ffbl_b32_e32 v12, v12
	s_waitcnt vmcnt(1)
	v_and_b32_e32 v13, 1, v41
	s_waitcnt vmcnt(0)
	ds_bpermute_b32 v14, v29, v15
	ds_bpermute_b32 v31, v29, v16
	;; [unrolled: 1-line block ×3, first 2 shown]
	v_cmpx_lt_u32_e64 v18, v12
	s_cbranch_execz .LBB1471_58
; %bb.57:
	v_mov_b32_e32 v13, 0
	v_cmp_eq_u16_sdwa vcc_lo, v41, v13 src0_sel:BYTE_0 src1_sel:DWORD
	s_waitcnt lgkmcnt(0)
	v_and_b32_e32 v13, 1, v32
	v_cndmask_b32_e32 v14, 0, v14, vcc_lo
	v_cndmask_b32_e32 v31, 0, v31, vcc_lo
	v_or_b32_e32 v41, v13, v41
	v_add_co_u32 v15, vcc_lo, v14, v15
	v_add_co_ci_u32_e64 v16, null, v31, v16, vcc_lo
	v_and_b32_e32 v13, 0xff, v41
.LBB1471_58:
	s_or_b32 exec_lo, exec_lo, s2
	v_cmp_gt_u32_e32 vcc_lo, 30, v18
	s_waitcnt lgkmcnt(0)
	v_add_nc_u32_e32 v32, 2, v18
	s_mov_b32 s11, exec_lo
	v_cndmask_b32_e64 v14, 0, 2, vcc_lo
	v_add_lshl_u32 v31, v14, v18, 2
	ds_bpermute_b32 v14, v31, v15
	ds_bpermute_b32 v33, v31, v16
	ds_bpermute_b32 v34, v31, v13
	v_cmpx_le_u32_e64 v32, v12
	s_cbranch_execz .LBB1471_60
; %bb.59:
	v_mov_b32_e32 v13, 0
	v_and_b32_e32 v35, 1, v41
	s_waitcnt lgkmcnt(0)
	v_and_b32_e32 v34, 1, v34
	v_cmp_eq_u16_sdwa vcc_lo, v41, v13 src0_sel:BYTE_0 src1_sel:DWORD
	v_cmp_eq_u32_e64 s2, 1, v35
	v_cmp_eq_u32_e64 s3, 1, v34
	v_cndmask_b32_e32 v14, 0, v14, vcc_lo
	v_cndmask_b32_e32 v13, 0, v33, vcc_lo
	s_or_b32 s2, s2, s3
	v_cndmask_b32_e64 v41, 0, 1, s2
	v_add_co_u32 v15, vcc_lo, v14, v15
	v_add_co_ci_u32_e64 v16, null, v13, v16, vcc_lo
	v_cndmask_b32_e64 v13, 0, 1, s2
.LBB1471_60:
	s_or_b32 exec_lo, exec_lo, s11
	v_cmp_gt_u32_e32 vcc_lo, 28, v18
	s_waitcnt lgkmcnt(0)
	v_add_nc_u32_e32 v34, 4, v18
	s_mov_b32 s11, exec_lo
	v_cndmask_b32_e64 v14, 0, 4, vcc_lo
	v_add_lshl_u32 v33, v14, v18, 2
	ds_bpermute_b32 v14, v33, v15
	ds_bpermute_b32 v35, v33, v16
	ds_bpermute_b32 v36, v33, v13
	v_cmpx_le_u32_e64 v34, v12
	s_cbranch_execz .LBB1471_62
; %bb.61:
	v_mov_b32_e32 v13, 0
	v_and_b32_e32 v37, 1, v41
	s_waitcnt lgkmcnt(0)
	v_and_b32_e32 v36, 1, v36
	v_cmp_eq_u16_sdwa vcc_lo, v41, v13 src0_sel:BYTE_0 src1_sel:DWORD
	v_cmp_eq_u32_e64 s2, 1, v37
	v_cmp_eq_u32_e64 s3, 1, v36
	v_cndmask_b32_e32 v14, 0, v14, vcc_lo
	v_cndmask_b32_e32 v13, 0, v35, vcc_lo
	s_or_b32 s2, s2, s3
	v_cndmask_b32_e64 v41, 0, 1, s2
	v_add_co_u32 v15, vcc_lo, v14, v15
	v_add_co_ci_u32_e64 v16, null, v13, v16, vcc_lo
	v_cndmask_b32_e64 v13, 0, 1, s2
.LBB1471_62:
	;; [unrolled: 28-line block ×3, first 2 shown]
	s_or_b32 exec_lo, exec_lo, s11
	s_waitcnt lgkmcnt(0)
	v_lshl_or_b32 v38, v18, 2, 64
	v_add_nc_u32_e32 v39, 16, v18
	s_mov_b32 s11, exec_lo
	ds_bpermute_b32 v14, v38, v15
	ds_bpermute_b32 v37, v38, v16
	;; [unrolled: 1-line block ×3, first 2 shown]
	v_cmpx_le_u32_e64 v39, v12
	s_cbranch_execz .LBB1471_66
; %bb.65:
	v_mov_b32_e32 v12, 0
	s_waitcnt lgkmcnt(0)
	v_and_b32_e32 v13, 1, v13
	v_cmp_eq_u16_sdwa vcc_lo, v41, v12 src0_sel:BYTE_0 src1_sel:DWORD
	v_and_b32_e32 v12, 1, v41
	v_cmp_eq_u32_e64 s2, 1, v13
	v_cndmask_b32_e32 v37, 0, v37, vcc_lo
	v_cndmask_b32_e32 v14, 0, v14, vcc_lo
	v_cmp_eq_u32_e32 vcc_lo, 1, v12
	v_add_co_u32 v15, s3, v14, v15
	s_or_b32 s2, vcc_lo, s2
	v_add_co_ci_u32_e64 v16, null, v37, v16, s3
	v_cndmask_b32_e64 v41, 0, 1, s2
.LBB1471_66:
	s_or_b32 exec_lo, exec_lo, s11
	v_mov_b32_e32 v12, 0
	v_mov_b32_e32 v40, 2
	s_branch .LBB1471_69
.LBB1471_67:                            ;   in Loop: Header=BB1471_69 Depth=1
	s_or_b32 exec_lo, exec_lo, s13
	v_cmp_eq_u16_sdwa vcc_lo, v37, v12 src0_sel:BYTE_0 src1_sel:DWORD
	v_and_b32_e32 v41, 1, v37
	v_subrev_nc_u32_e32 v11, 32, v11
	v_cndmask_b32_e32 v15, 0, v15, vcc_lo
	v_cndmask_b32_e32 v16, 0, v16, vcc_lo
	v_cmp_eq_u32_e32 vcc_lo, 1, v41
	v_add_co_u32 v15, s2, v15, v13
	v_add_co_ci_u32_e64 v16, null, v16, v14, s2
	s_or_b32 s2, vcc_lo, s11
	v_cndmask_b32_e64 v41, 0, 1, s2
	s_mov_b32 s2, 0
.LBB1471_68:                            ;   in Loop: Header=BB1471_69 Depth=1
	s_and_b32 vcc_lo, exec_lo, s2
	s_cbranch_vccnz .LBB1471_85
.LBB1471_69:                            ; =>This Loop Header: Depth=1
                                        ;     Child Loop BB1471_72 Depth 2
	v_cmp_ne_u16_sdwa s2, v28, v40 src0_sel:BYTE_0 src1_sel:DWORD
	s_waitcnt lgkmcnt(0)
	v_mov_b32_e32 v13, v15
	v_mov_b32_e32 v37, v41
	;; [unrolled: 1-line block ×3, first 2 shown]
                                        ; implicit-def: $vgpr41
                                        ; implicit-def: $vgpr15_vgpr16
                                        ; implicit-def: $vgpr28
	s_cmp_lg_u32 s2, exec_lo
	s_mov_b32 s2, -1
	s_cbranch_scc1 .LBB1471_68
; %bb.70:                               ;   in Loop: Header=BB1471_69 Depth=1
	global_load_ubyte v28, v11, s[20:21] glc dlc
	s_mov_b32 s2, exec_lo
	s_waitcnt vmcnt(0)
	v_cmpx_eq_u16_e32 0, v28
	s_cbranch_execz .LBB1471_74
; %bb.71:                               ;   in Loop: Header=BB1471_69 Depth=1
	v_add_co_u32 v15, s3, s20, v11
	v_add_co_ci_u32_e64 v16, null, s21, 0, s3
	s_mov_b32 s3, 0
.LBB1471_72:                            ;   Parent Loop BB1471_69 Depth=1
                                        ; =>  This Inner Loop Header: Depth=2
	global_load_ubyte v28, v[15:16], off glc dlc
	s_waitcnt vmcnt(0)
	v_cmp_ne_u16_e32 vcc_lo, 0, v28
	s_or_b32 s3, vcc_lo, s3
	s_andn2_b32 exec_lo, exec_lo, s3
	s_cbranch_execnz .LBB1471_72
; %bb.73:                               ;   in Loop: Header=BB1471_69 Depth=1
	s_or_b32 exec_lo, exec_lo, s3
.LBB1471_74:                            ;   in Loop: Header=BB1471_69 Depth=1
	s_or_b32 exec_lo, exec_lo, s2
	v_cmp_eq_u16_e32 vcc_lo, 1, v28
	v_mov_b32_e32 v42, s16
	v_mov_b32_e32 v41, s17
	v_lshlrev_b64 v[15:16], 4, v[11:12]
	buffer_gl1_inv
	buffer_gl0_inv
	s_mov_b32 s2, exec_lo
	v_cndmask_b32_e32 v42, s18, v42, vcc_lo
	v_cndmask_b32_e32 v41, s19, v41, vcc_lo
	v_add_co_u32 v15, vcc_lo, v42, v15
	v_add_co_ci_u32_e64 v16, null, v41, v16, vcc_lo
	v_cmp_eq_u16_e32 vcc_lo, 2, v28
	s_clause 0x1
	global_load_ubyte v42, v[15:16], off offset:8
	global_load_dwordx2 v[15:16], v[15:16], off
	v_and_or_b32 v41, vcc_lo, v30, 0x80000000
	v_ffbl_b32_e32 v41, v41
	s_waitcnt vmcnt(1)
	v_and_b32_e32 v43, 1, v42
	s_waitcnt vmcnt(0)
	ds_bpermute_b32 v44, v29, v15
	ds_bpermute_b32 v45, v29, v16
	;; [unrolled: 1-line block ×3, first 2 shown]
	v_cmpx_lt_u32_e64 v18, v41
	s_cbranch_execz .LBB1471_76
; %bb.75:                               ;   in Loop: Header=BB1471_69 Depth=1
	v_cmp_eq_u16_sdwa vcc_lo, v42, v12 src0_sel:BYTE_0 src1_sel:DWORD
	s_waitcnt lgkmcnt(0)
	v_and_b32_e32 v43, 1, v46
	v_cndmask_b32_e32 v44, 0, v44, vcc_lo
	v_cndmask_b32_e32 v45, 0, v45, vcc_lo
	v_or_b32_e32 v42, v43, v42
	v_add_co_u32 v15, vcc_lo, v44, v15
	v_add_co_ci_u32_e64 v16, null, v45, v16, vcc_lo
	v_and_b32_e32 v43, 0xff, v42
.LBB1471_76:                            ;   in Loop: Header=BB1471_69 Depth=1
	s_or_b32 exec_lo, exec_lo, s2
	s_waitcnt lgkmcnt(2)
	ds_bpermute_b32 v44, v31, v15
	s_waitcnt lgkmcnt(2)
	ds_bpermute_b32 v45, v31, v16
	s_waitcnt lgkmcnt(2)
	ds_bpermute_b32 v46, v31, v43
	v_and_b32_e32 v47, 1, v42
	s_mov_b32 s3, exec_lo
	v_cmp_eq_u32_e64 s11, 1, v47
	v_cmpx_le_u32_e64 v32, v41
	s_cbranch_execz .LBB1471_78
; %bb.77:                               ;   in Loop: Header=BB1471_69 Depth=1
	v_cmp_eq_u16_sdwa vcc_lo, v42, v12 src0_sel:BYTE_0 src1_sel:DWORD
	s_waitcnt lgkmcnt(0)
	v_and_b32_e32 v42, 1, v46
	v_cndmask_b32_e32 v44, 0, v44, vcc_lo
	v_cndmask_b32_e32 v43, 0, v45, vcc_lo
	v_cmp_eq_u32_e32 vcc_lo, 1, v42
	v_add_co_u32 v15, s2, v44, v15
	v_add_co_ci_u32_e64 v16, null, v43, v16, s2
	s_or_b32 s2, s11, vcc_lo
	s_andn2_b32 s11, s11, exec_lo
	v_cndmask_b32_e64 v42, 0, 1, s2
	v_cndmask_b32_e64 v43, 0, 1, s2
	s_and_b32 s2, s2, exec_lo
	s_or_b32 s11, s11, s2
.LBB1471_78:                            ;   in Loop: Header=BB1471_69 Depth=1
	s_or_b32 exec_lo, exec_lo, s3
	s_waitcnt lgkmcnt(2)
	ds_bpermute_b32 v44, v33, v15
	s_waitcnt lgkmcnt(2)
	ds_bpermute_b32 v45, v33, v16
	;; [unrolled: 2-line block ×3, first 2 shown]
	s_mov_b32 s13, exec_lo
	v_cmpx_le_u32_e64 v34, v41
	s_cbranch_execz .LBB1471_80
; %bb.79:                               ;   in Loop: Header=BB1471_69 Depth=1
	v_cmp_eq_u16_sdwa vcc_lo, v42, v12 src0_sel:BYTE_0 src1_sel:DWORD
	v_and_b32_e32 v42, 1, v42
	s_waitcnt lgkmcnt(0)
	v_and_b32_e32 v43, 1, v46
	v_cndmask_b32_e32 v45, 0, v45, vcc_lo
	v_cndmask_b32_e32 v44, 0, v44, vcc_lo
	v_cmp_eq_u32_e32 vcc_lo, 1, v42
	v_cmp_eq_u32_e64 s2, 1, v43
	v_add_co_u32 v15, s3, v44, v15
	s_or_b32 s2, vcc_lo, s2
	v_add_co_ci_u32_e64 v16, null, v45, v16, s3
	v_cndmask_b32_e64 v42, 0, 1, s2
	v_cndmask_b32_e64 v43, 0, 1, s2
	s_andn2_b32 s3, s11, exec_lo
	s_and_b32 s2, s2, exec_lo
	s_or_b32 s11, s3, s2
.LBB1471_80:                            ;   in Loop: Header=BB1471_69 Depth=1
	s_or_b32 exec_lo, exec_lo, s13
	s_waitcnt lgkmcnt(2)
	ds_bpermute_b32 v44, v35, v15
	s_waitcnt lgkmcnt(2)
	ds_bpermute_b32 v45, v35, v16
	;; [unrolled: 2-line block ×3, first 2 shown]
	s_mov_b32 s13, exec_lo
	v_cmpx_le_u32_e64 v36, v41
	s_cbranch_execz .LBB1471_82
; %bb.81:                               ;   in Loop: Header=BB1471_69 Depth=1
	v_cmp_eq_u16_sdwa vcc_lo, v42, v12 src0_sel:BYTE_0 src1_sel:DWORD
	v_and_b32_e32 v42, 1, v42
	s_waitcnt lgkmcnt(0)
	v_and_b32_e32 v43, 1, v46
	v_cndmask_b32_e32 v45, 0, v45, vcc_lo
	v_cndmask_b32_e32 v44, 0, v44, vcc_lo
	v_cmp_eq_u32_e32 vcc_lo, 1, v42
	v_cmp_eq_u32_e64 s2, 1, v43
	v_add_co_u32 v15, s3, v44, v15
	s_or_b32 s2, vcc_lo, s2
	v_add_co_ci_u32_e64 v16, null, v45, v16, s3
	v_cndmask_b32_e64 v42, 0, 1, s2
	v_cndmask_b32_e64 v43, 0, 1, s2
	s_andn2_b32 s3, s11, exec_lo
	s_and_b32 s2, s2, exec_lo
	s_or_b32 s11, s3, s2
.LBB1471_82:                            ;   in Loop: Header=BB1471_69 Depth=1
	s_or_b32 exec_lo, exec_lo, s13
	s_waitcnt lgkmcnt(2)
	ds_bpermute_b32 v44, v38, v15
	s_waitcnt lgkmcnt(2)
	ds_bpermute_b32 v45, v38, v16
	ds_bpermute_b32 v43, v38, v43
	s_mov_b32 s13, exec_lo
	v_cmpx_le_u32_e64 v39, v41
	s_cbranch_execz .LBB1471_67
; %bb.83:                               ;   in Loop: Header=BB1471_69 Depth=1
	v_cmp_eq_u16_sdwa vcc_lo, v42, v12 src0_sel:BYTE_0 src1_sel:DWORD
	v_and_b32_e32 v41, 1, v42
	s_waitcnt lgkmcnt(0)
	v_and_b32_e32 v42, 1, v43
	v_cndmask_b32_e32 v44, 0, v44, vcc_lo
	v_cndmask_b32_e32 v43, 0, v45, vcc_lo
	v_cmp_eq_u32_e32 vcc_lo, 1, v41
	v_cmp_eq_u32_e64 s2, 1, v42
	v_add_co_u32 v15, s3, v44, v15
	v_add_co_ci_u32_e64 v16, null, v43, v16, s3
	s_or_b32 s2, vcc_lo, s2
	s_andn2_b32 s3, s11, exec_lo
	s_and_b32 s2, s2, exec_lo
	s_or_b32 s11, s3, s2
	s_branch .LBB1471_67
.LBB1471_84:
                                        ; implicit-def: $vgpr9_vgpr10
                                        ; implicit-def: $vgpr13_vgpr14
                                        ; implicit-def: $vgpr11_vgpr12
	s_cbranch_execnz .LBB1471_92
	s_branch .LBB1471_119
.LBB1471_85:
	s_and_saveexec_b32 s2, s1
	s_cbranch_execz .LBB1471_87
; %bb.86:
	v_mov_b32_e32 v11, 0
	v_or_b32_e32 v12, v27, v37
	s_mov_b32 s17, 0
	s_add_i32 s16, s6, 32
	v_mov_b32_e32 v15, 2
	v_cmp_eq_u32_sdwa vcc_lo, v27, v11 src0_sel:BYTE_0 src1_sel:DWORD
	s_lshl_b64 s[24:25], s[16:17], 4
	v_mov_b32_e32 v28, s16
	v_and_b32_e32 v12, 1, v12
	s_add_u32 s16, s18, s24
	v_cndmask_b32_e32 v27, 0, v13, vcc_lo
	v_cndmask_b32_e32 v16, 0, v14, vcc_lo
	s_addc_u32 s17, s19, s25
	v_add_co_u32 v9, vcc_lo, v27, v9
	v_add_co_ci_u32_e64 v10, null, v16, v10, vcc_lo
	global_store_byte v11, v12, s[16:17] offset:8
	global_store_dwordx2 v11, v[9:10], s[16:17]
	s_waitcnt lgkmcnt(0)
	s_waitcnt_vscnt null, 0x0
	buffer_gl1_inv
	buffer_gl0_inv
	global_store_byte v28, v15, s[20:21]
.LBB1471_87:
	s_or_b32 exec_lo, exec_lo, s2
	v_cmp_eq_u32_e32 vcc_lo, 0, v0
	s_and_b32 exec_lo, exec_lo, vcc_lo
	s_cbranch_execz .LBB1471_89
; %bb.88:
	v_mov_b32_e32 v9, 0
	ds_write_b64 v9, v[13:14] offset:112
	ds_write_b8 v9, v37 offset:120
.LBB1471_89:
	s_or_b32 exec_lo, exec_lo, s10
	v_mov_b32_e32 v11, 0
	s_waitcnt lgkmcnt(0)
	s_waitcnt_vscnt null, 0x0
	s_barrier
	buffer_gl0_inv
	s_mov_b32 s2, 0
	ds_read_b64 v[9:10], v11 offset:112
	s_mov_b32 s3, exec_lo
	v_cmpx_ne_u32_e32 0, v0
	s_cbranch_execz .LBB1471_91
; %bb.90:
	v_cndmask_b32_e64 v12, v26, v23, s1
	v_cndmask_b32_e64 v3, v25, v3, s1
	;; [unrolled: 1-line block ×3, first 2 shown]
	v_cmp_eq_u16_sdwa vcc_lo, v12, v11 src0_sel:BYTE_0 src1_sel:DWORD
	s_waitcnt lgkmcnt(0)
	v_cndmask_b32_e32 v9, 0, v9, vcc_lo
	v_cndmask_b32_e32 v10, 0, v10, vcc_lo
	v_add_co_u32 v9, vcc_lo, v3, v9
	v_add_co_ci_u32_e64 v10, null, v4, v10, vcc_lo
.LBB1471_91:
	s_or_b32 exec_lo, exec_lo, s3
	v_cmp_eq_u16_sdwa vcc_lo, v17, v11 src0_sel:BYTE_0 src1_sel:DWORD
	s_waitcnt lgkmcnt(0)
	v_cndmask_b32_e32 v4, 0, v9, vcc_lo
	v_cndmask_b32_e32 v3, 0, v10, vcc_lo
	v_add_co_u32 v11, vcc_lo, v4, v5
	v_add_co_ci_u32_e64 v12, null, v3, v6, vcc_lo
	v_cndmask_b32_e64 v13, 0, v11, s0
	v_cndmask_b32_e64 v14, 0, v12, s0
	s_and_b32 vcc_lo, exec_lo, s2
	s_cbranch_vccz .LBB1471_119
.LBB1471_92:
	s_cmp_eq_u64 s[28:29], 0
	v_mov_b32_e32 v3, s30
	s_cselect_b32 s0, -1, 0
	s_cmp_eq_u64 s[26:27], 0
	v_mov_b32_e32 v4, s31
	s_cselect_b32 s1, -1, 0
	s_or_b32 s0, s0, s1
	s_and_b32 vcc_lo, exec_lo, s0
	s_cbranch_vccnz .LBB1471_94
; %bb.93:
	v_mov_b32_e32 v3, 0
	global_load_dwordx2 v[3:4], v3, s[26:27]
.LBB1471_94:
	v_mov_b32_e32 v9, 0
	v_cmp_eq_u32_e64 s0, 1, v22
	v_cmp_eq_u16_sdwa vcc_lo, v19, v9 src0_sel:BYTE_0 src1_sel:DWORD
	v_cmp_ne_u16_sdwa s2, v21, v9 src0_sel:BYTE_0 src1_sel:DWORD
	v_cndmask_b32_e32 v11, 0, v5, vcc_lo
	v_cndmask_b32_e32 v10, 0, v6, vcc_lo
	v_add_co_u32 v11, s1, v11, v1
	v_add_co_ci_u32_e64 v10, null, v10, v2, s1
	v_cmp_eq_u16_e64 s1, 0, v20
	v_cndmask_b32_e64 v12, 0, v11, s1
	v_cndmask_b32_e64 v9, 0, v10, s1
	s_or_b32 s1, s2, s0
	s_mov_b32 s2, exec_lo
	v_cndmask_b32_e64 v10, 0, 1, s1
	v_add_co_u32 v7, s0, v12, v7
	v_add_co_ci_u32_e64 v8, null, v9, v8, s0
	v_cndmask_b32_e64 v11, 0, 1, s1
	v_and_b32_e32 v9, 15, v18
	v_mov_b32_dpp v14, v10 row_shr:1 row_mask:0xf bank_mask:0xf
	v_mov_b32_dpp v12, v7 row_shr:1 row_mask:0xf bank_mask:0xf
	;; [unrolled: 1-line block ×3, first 2 shown]
	v_cmpx_ne_u32_e32 0, v9
	s_cbranch_execz .LBB1471_96
; %bb.95:
	v_and_b32_e32 v10, 1, v14
	v_cndmask_b32_e64 v12, v12, 0, s1
	v_cndmask_b32_e64 v13, v13, 0, s1
	v_or_b32_e32 v11, v10, v11
	v_add_co_u32 v7, s0, v12, v7
	v_add_co_ci_u32_e64 v8, null, v13, v8, s0
	v_and_b32_e32 v10, 0xffff, v11
.LBB1471_96:
	s_or_b32 exec_lo, exec_lo, s2
	v_mov_b32_dpp v12, v7 row_shr:2 row_mask:0xf bank_mask:0xf
	v_mov_b32_dpp v13, v8 row_shr:2 row_mask:0xf bank_mask:0xf
	v_mov_b32_dpp v14, v10 row_shr:2 row_mask:0xf bank_mask:0xf
	s_mov_b32 s3, exec_lo
	v_cmpx_lt_u32_e32 1, v9
	s_cbranch_execz .LBB1471_98
; %bb.97:
	v_cmp_eq_u16_e64 s0, 0, v11
	v_and_b32_e32 v10, 1, v11
	v_and_b32_e32 v11, 1, v14
	v_cndmask_b32_e64 v13, 0, v13, s0
	v_cndmask_b32_e64 v12, 0, v12, s0
	v_cmp_eq_u32_e64 s0, 1, v10
	v_cmp_eq_u32_e64 s1, 1, v11
	v_add_co_u32 v7, s2, v12, v7
	s_or_b32 s0, s0, s1
	v_add_co_ci_u32_e64 v8, null, v13, v8, s2
	v_cndmask_b32_e64 v11, 0, 1, s0
	v_cndmask_b32_e64 v10, 0, 1, s0
.LBB1471_98:
	s_or_b32 exec_lo, exec_lo, s3
	v_mov_b32_dpp v12, v7 row_shr:4 row_mask:0xf bank_mask:0xf
	v_mov_b32_dpp v13, v8 row_shr:4 row_mask:0xf bank_mask:0xf
	v_mov_b32_dpp v14, v10 row_shr:4 row_mask:0xf bank_mask:0xf
	s_mov_b32 s3, exec_lo
	v_cmpx_lt_u32_e32 3, v9
	s_cbranch_execz .LBB1471_100
; %bb.99:
	v_cmp_eq_u16_e64 s0, 0, v11
	v_and_b32_e32 v10, 1, v11
	v_and_b32_e32 v11, 1, v14
	v_cndmask_b32_e64 v13, 0, v13, s0
	v_cndmask_b32_e64 v12, 0, v12, s0
	v_cmp_eq_u32_e64 s0, 1, v10
	v_cmp_eq_u32_e64 s1, 1, v11
	v_add_co_u32 v7, s2, v12, v7
	s_or_b32 s0, s0, s1
	v_add_co_ci_u32_e64 v8, null, v13, v8, s2
	v_cndmask_b32_e64 v11, 0, 1, s0
	v_cndmask_b32_e64 v10, 0, 1, s0
.LBB1471_100:
	;; [unrolled: 21-line block ×3, first 2 shown]
	s_or_b32 exec_lo, exec_lo, s3
	ds_swizzle_b32 v9, v7 offset:swizzle(BROADCAST,32,15)
	ds_swizzle_b32 v12, v8 offset:swizzle(BROADCAST,32,15)
	;; [unrolled: 1-line block ×3, first 2 shown]
	v_and_b32_e32 v13, 16, v18
	s_mov_b32 s3, exec_lo
	v_cmpx_ne_u32_e32 0, v13
	s_cbranch_execz .LBB1471_104
; %bb.103:
	v_cmp_eq_u16_e64 s0, 0, v11
	v_and_b32_e32 v11, 1, v11
	s_waitcnt lgkmcnt(0)
	v_and_b32_e32 v10, 1, v10
	v_cndmask_b32_e64 v12, 0, v12, s0
	v_cndmask_b32_e64 v9, 0, v9, s0
	v_cmp_eq_u32_e64 s0, 1, v11
	v_cmp_eq_u32_e64 s1, 1, v10
	v_add_co_u32 v7, s2, v9, v7
	s_or_b32 s0, s0, s1
	v_add_co_ci_u32_e64 v8, null, v12, v8, s2
	v_cndmask_b32_e64 v11, 0, 1, s0
.LBB1471_104:
	s_or_b32 exec_lo, exec_lo, s3
	s_waitcnt lgkmcnt(0)
	v_lshrrev_b32_e32 v10, 5, v0
	v_or_b32_e32 v9, 31, v0
	s_mov_b32 s1, exec_lo
	v_lshlrev_b32_e32 v12, 4, v10
	v_cmpx_eq_u32_e64 v0, v9
	s_cbranch_execz .LBB1471_106
; %bb.105:
	ds_write_b64 v12, v[7:8]
	ds_write_b8 v12, v11 offset:8
.LBB1471_106:
	s_or_b32 exec_lo, exec_lo, s1
	s_mov_b32 s3, exec_lo
	s_waitcnt vmcnt(0) lgkmcnt(0)
	s_barrier
	buffer_gl0_inv
	v_cmpx_gt_u32_e32 8, v0
	s_cbranch_execz .LBB1471_114
; %bb.107:
	v_lshlrev_b32_e32 v13, 4, v0
	v_and_b32_e32 v14, 7, v18
	s_mov_b32 s1, exec_lo
	ds_read_b64 v[9:10], v13
	ds_read_b32 v20, v13 offset:8
	s_waitcnt lgkmcnt(1)
	v_mov_b32_dpp v21, v9 row_shr:1 row_mask:0xf bank_mask:0xf
	v_mov_b32_dpp v22, v10 row_shr:1 row_mask:0xf bank_mask:0xf
	s_waitcnt lgkmcnt(0)
	v_and_b32_e32 v16, 0xffffff00, v20
	v_mov_b32_dpp v23, v20 row_shr:1 row_mask:0xf bank_mask:0xf
	v_mov_b32_e32 v19, v20
	v_mov_b32_e32 v15, v20
	v_cmpx_ne_u32_e32 0, v14
	s_cbranch_execz .LBB1471_109
; %bb.108:
	v_mov_b32_e32 v15, 0
	v_cmp_eq_u16_sdwa s0, v20, v15 src0_sel:BYTE_0 src1_sel:DWORD
	v_or_b32_e32 v15, v23, v20
	v_cndmask_b32_e64 v21, 0, v21, s0
	v_cndmask_b32_e64 v20, 0, v22, s0
	v_and_b32_e32 v19, 1, v15
	v_and_b32_e32 v15, 1, v15
	v_add_co_u32 v9, s0, v21, v9
	v_add_co_ci_u32_e64 v10, null, v20, v10, s0
	v_or_b32_e32 v20, v15, v16
.LBB1471_109:
	s_or_b32 exec_lo, exec_lo, s1
	v_mov_b32_dpp v21, v9 row_shr:2 row_mask:0xf bank_mask:0xf
	v_mov_b32_dpp v22, v10 row_shr:2 row_mask:0xf bank_mask:0xf
	;; [unrolled: 1-line block ×3, first 2 shown]
	s_mov_b32 s6, exec_lo
	v_cmpx_lt_u32_e32 1, v14
	s_cbranch_execz .LBB1471_111
; %bb.110:
	v_mov_b32_e32 v19, 0
	v_and_b32_e32 v20, 1, v15
	v_and_b32_e32 v23, 1, v23
	v_cmp_eq_u16_sdwa s0, v15, v19 src0_sel:BYTE_0 src1_sel:DWORD
	v_cmp_eq_u32_e64 s1, 1, v20
	v_cmp_eq_u32_e64 s2, 1, v23
	v_cndmask_b32_e64 v15, 0, v22, s0
	v_cndmask_b32_e64 v20, 0, v21, s0
	s_or_b32 s0, s1, s2
	v_cndmask_b32_e64 v19, 0, 1, s0
	v_cndmask_b32_e64 v21, 0, 1, s0
	v_add_co_u32 v9, s0, v20, v9
	v_add_co_ci_u32_e64 v10, null, v15, v10, s0
	v_or_b32_e32 v20, v16, v21
	v_mov_b32_e32 v15, v19
.LBB1471_111:
	s_or_b32 exec_lo, exec_lo, s6
	v_mov_b32_dpp v16, v9 row_shr:4 row_mask:0xf bank_mask:0xf
	v_mov_b32_dpp v21, v10 row_shr:4 row_mask:0xf bank_mask:0xf
	;; [unrolled: 1-line block ×3, first 2 shown]
	s_mov_b32 s6, exec_lo
	v_cmpx_lt_u32_e32 3, v14
	s_cbranch_execz .LBB1471_113
; %bb.112:
	v_mov_b32_e32 v14, 0
	v_cmp_eq_u16_sdwa s0, v15, v14 src0_sel:BYTE_0 src1_sel:DWORD
	v_and_b32_e32 v14, 1, v15
	v_and_b32_e32 v15, 1, v20
	v_cndmask_b32_e64 v19, 0, v21, s0
	v_cndmask_b32_e64 v16, 0, v16, s0
	v_cmp_eq_u32_e64 s0, 1, v14
	v_cmp_eq_u32_e64 s1, 1, v15
	v_add_co_u32 v9, s2, v16, v9
	s_or_b32 s0, s0, s1
	v_add_co_ci_u32_e64 v10, null, v19, v10, s2
	v_cndmask_b32_e64 v19, 0, 1, s0
.LBB1471_113:
	s_or_b32 exec_lo, exec_lo, s6
	ds_write_b64 v13, v[9:10]
	ds_write_b8 v13, v19 offset:8
.LBB1471_114:
	s_or_b32 exec_lo, exec_lo, s3
	v_mov_b32_e32 v10, v4
	v_mov_b32_e32 v9, v3
	s_mov_b32 s1, exec_lo
	s_waitcnt lgkmcnt(0)
	s_barrier
	buffer_gl0_inv
	v_cmpx_lt_u32_e32 31, v0
	s_cbranch_execz .LBB1471_116
; %bb.115:
	v_add_nc_u32_e32 v9, -8, v12
	ds_read_u8 v13, v9
	v_add_nc_u32_e32 v9, -16, v12
	ds_read_b64 v[9:10], v9
	s_waitcnt lgkmcnt(1)
	v_cmp_eq_u16_e64 s0, 0, v13
	v_cndmask_b32_e64 v13, 0, v3, s0
	v_cndmask_b32_e64 v12, 0, v4, s0
	s_waitcnt lgkmcnt(0)
	v_add_co_u32 v9, s0, v13, v9
	v_add_co_ci_u32_e64 v10, null, v12, v10, s0
.LBB1471_116:
	s_or_b32 exec_lo, exec_lo, s1
	v_cmp_eq_u16_e64 s0, 0, v11
	v_sub_co_u32 v11, s1, v18, 1
	v_cndmask_b32_e64 v12, 0, v10, s0
	v_cndmask_b32_e64 v13, 0, v9, s0
	v_cmp_gt_i32_e64 s0, 0, v11
	v_cndmask_b32_e64 v11, v11, v18, s0
	v_add_co_u32 v7, s0, v13, v7
	v_add_co_ci_u32_e64 v8, null, v12, v8, s0
	v_lshlrev_b32_e32 v11, 2, v11
	v_cmp_eq_u32_e64 s0, 0, v0
	ds_bpermute_b32 v7, v11, v7
	ds_bpermute_b32 v8, v11, v8
	s_waitcnt lgkmcnt(1)
	v_cndmask_b32_e64 v9, v7, v9, s1
	v_mov_b32_e32 v7, 0
	s_waitcnt lgkmcnt(0)
	v_cndmask_b32_e64 v10, v8, v10, s1
	v_cndmask_b32_e64 v8, v9, v3, s0
	v_cmp_eq_u16_sdwa s1, v17, v7 src0_sel:BYTE_0 src1_sel:DWORD
	v_cndmask_b32_e64 v11, v10, v4, s0
	v_cndmask_b32_e64 v8, 0, v8, s1
	;; [unrolled: 1-line block ×3, first 2 shown]
	v_add_co_u32 v11, s1, v8, v5
	v_add_co_ci_u32_e64 v12, null, v12, v6, s1
	v_cndmask_b32_e32 v13, 0, v11, vcc_lo
	v_cndmask_b32_e32 v14, 0, v12, vcc_lo
	s_and_saveexec_b32 s1, s0
	s_cbranch_execz .LBB1471_118
; %bb.117:
	ds_read_u8 v8, v7 offset:120
	ds_read_b64 v[5:6], v7 offset:112
	v_mov_b32_e32 v15, 2
	s_waitcnt lgkmcnt(1)
	v_cmp_eq_u32_sdwa vcc_lo, v8, v7 src0_sel:WORD_0 src1_sel:DWORD
	v_cndmask_b32_e32 v10, 0, v3, vcc_lo
	v_cndmask_b32_e32 v9, 0, v4, vcc_lo
	s_waitcnt lgkmcnt(0)
	v_add_co_u32 v5, vcc_lo, v10, v5
	v_add_co_ci_u32_e64 v6, null, v9, v6, vcc_lo
	v_mov_b32_e32 v10, v4
	v_mov_b32_e32 v9, v3
	global_store_byte v7, v8, s[18:19] offset:520
	global_store_dwordx2 v7, v[5:6], s[18:19] offset:512
	s_waitcnt_vscnt null, 0x0
	buffer_gl1_inv
	buffer_gl0_inv
	global_store_byte v7, v15, s[20:21] offset:32
.LBB1471_118:
	s_or_b32 exec_lo, exec_lo, s1
.LBB1471_119:
	v_add_co_u32 v5, vcc_lo, v13, v1
	s_add_u32 s0, s14, s4
	v_add_co_ci_u32_e64 v6, null, v14, v2, vcc_lo
	s_addc_u32 s1, s15, s5
	s_add_u32 s0, s0, s8
	s_addc_u32 s1, s1, s9
	s_and_b32 vcc_lo, exec_lo, s12
	s_cbranch_vccz .LBB1471_131
; %bb.120:
	v_mov_b32_e32 v7, 0
	v_mov_b32_e32 v8, 0
	;; [unrolled: 1-line block ×4, first 2 shown]
	v_mul_u32_u24_e32 v13, 3, v0
	s_add_i32 s7, s7, s22
	v_mov_b32_e32 v4, v8
	v_mov_b32_e32 v2, v8
	s_mov_b32 s2, exec_lo
	v_cmpx_gt_u32_e64 s7, v13
	s_cbranch_execz .LBB1471_126
; %bb.121:
	v_mov_b32_e32 v1, 0
	v_mov_b32_e32 v3, 0
	v_add_nc_u32_e32 v7, 1, v13
	v_mov_b32_e32 v2, 0
	v_mov_b32_e32 v4, 0
	s_mov_b32 s3, exec_lo
	v_cmpx_gt_u32_e64 s7, v7
	s_cbranch_execz .LBB1471_125
; %bb.122:
	v_mov_b32_e32 v1, 0
	v_add_nc_u32_e32 v3, 2, v13
	v_mov_b32_e32 v2, 0
	s_mov_b32 s4, exec_lo
	v_cmpx_gt_u32_e64 s7, v3
; %bb.123:
	v_mov_b32_e32 v1, v5
	v_mov_b32_e32 v2, v6
; %bb.124:
	s_or_b32 exec_lo, exec_lo, s4
	v_mov_b32_e32 v3, v11
	v_mov_b32_e32 v4, v12
.LBB1471_125:
	s_or_b32 exec_lo, exec_lo, s3
	v_mov_b32_e32 v7, v9
	v_mov_b32_e32 v8, v10
.LBB1471_126:
	s_or_b32 exec_lo, exec_lo, s2
	v_lshlrev_b32_e32 v13, 3, v13
	v_lshlrev_b32_e32 v14, 4, v0
	s_waitcnt_vscnt null, 0x0
	s_barrier
	buffer_gl0_inv
	ds_write2_b64 v13, v[7:8], v[3:4] offset1:1
	v_sub_nc_u32_e32 v3, v13, v14
	ds_write_b64 v13, v[1:2] offset:16
	s_waitcnt lgkmcnt(0)
	s_barrier
	buffer_gl0_inv
	ds_read2st64_b64 v[1:4], v3 offset0:4 offset1:8
	v_lshlrev_b32_e32 v7, 3, v0
	v_add_co_u32 v7, s2, s0, v7
	v_add_co_ci_u32_e64 v8, null, s1, 0, s2
	s_mov_b32 s2, exec_lo
	v_cmpx_gt_u32_e64 s7, v0
	s_cbranch_execz .LBB1471_128
; %bb.127:
	v_sub_nc_u32_e32 v14, 0, v14
	v_add_nc_u32_e32 v13, v13, v14
	ds_read_b64 v[13:14], v13
	s_waitcnt lgkmcnt(0)
	flat_store_dwordx2 v[7:8], v[13:14]
.LBB1471_128:
	s_or_b32 exec_lo, exec_lo, s2
	v_or_b32_e32 v13, 0x100, v0
	s_mov_b32 s2, exec_lo
	v_cmpx_gt_u32_e64 s7, v13
	s_cbranch_execz .LBB1471_130
; %bb.129:
	v_add_co_u32 v7, vcc_lo, 0x800, v7
	v_add_co_ci_u32_e64 v8, null, 0, v8, vcc_lo
	s_waitcnt lgkmcnt(0)
	flat_store_dwordx2 v[7:8], v[1:2]
.LBB1471_130:
	s_or_b32 exec_lo, exec_lo, s2
	s_waitcnt lgkmcnt(0)
	v_or_b32_e32 v1, 0x200, v0
	v_cmp_gt_u32_e64 s2, s7, v1
	s_branch .LBB1471_133
.LBB1471_131:
	s_mov_b32 s2, 0
                                        ; implicit-def: $vgpr3_vgpr4
	s_cbranch_execz .LBB1471_133
; %bb.132:
	v_mul_u32_u24_e32 v1, 24, v0
	v_lshlrev_b32_e32 v2, 4, v0
	s_waitcnt_vscnt null, 0x0
	s_barrier
	buffer_gl0_inv
	ds_write2_b64 v1, v[9:10], v[11:12] offset1:1
	v_sub_nc_u32_e32 v2, v1, v2
	ds_write_b64 v1, v[5:6] offset:16
	s_waitcnt lgkmcnt(0)
	s_barrier
	buffer_gl0_inv
	ds_read2st64_b64 v[5:8], v2 offset1:4
	ds_read_b64 v[3:4], v2 offset:4096
	v_lshlrev_b32_e32 v1, 3, v0
	s_or_b32 s2, s2, exec_lo
	v_add_co_u32 v1, s3, s0, v1
	v_add_co_ci_u32_e64 v2, null, s1, 0, s3
	v_add_co_u32 v9, vcc_lo, 0x800, v1
	v_add_co_ci_u32_e64 v10, null, 0, v2, vcc_lo
	s_waitcnt lgkmcnt(1)
	flat_store_dwordx2 v[1:2], v[5:6]
	flat_store_dwordx2 v[9:10], v[7:8]
.LBB1471_133:
	s_and_saveexec_b32 s3, s2
	s_cbranch_execnz .LBB1471_135
; %bb.134:
	s_endpgm
.LBB1471_135:
	v_lshlrev_b32_e32 v0, 3, v0
	v_add_co_u32 v0, s0, s0, v0
	v_add_co_ci_u32_e64 v1, null, s1, 0, s0
	v_add_co_u32 v0, vcc_lo, 0x1000, v0
	v_add_co_ci_u32_e64 v1, null, 0, v1, vcc_lo
	s_waitcnt lgkmcnt(2)
	flat_store_dwordx2 v[0:1], v[3:4]
	s_endpgm
.LBB1471_136:
	v_lshlrev_b32_e32 v2, 3, v0
	v_mov_b32_e32 v18, v1
	v_mov_b32_e32 v19, v1
	;; [unrolled: 1-line block ×4, first 2 shown]
	v_add_co_u32 v2, s1, s3, v2
	v_add_co_ci_u32_e64 v3, null, s13, 0, s1
	flat_load_dwordx2 v[16:17], v[2:3]
	s_waitcnt vmcnt(0) lgkmcnt(0)
	v_mov_b32_e32 v1, v16
	v_mov_b32_e32 v2, v17
	;; [unrolled: 1-line block ×6, first 2 shown]
	s_or_b32 exec_lo, exec_lo, s2
	s_and_saveexec_b32 s1, s0
	s_cbranch_execz .LBB1471_11
.LBB1471_137:
	v_lshlrev_b32_e32 v3, 3, v8
	v_add_co_u32 v3, s0, s3, v3
	v_add_co_ci_u32_e64 v4, null, s13, 0, s0
	flat_load_dwordx2 v[3:4], v[3:4]
	s_or_b32 exec_lo, exec_lo, s1
	v_mul_u32_u24_e32 v16, 3, v0
	s_and_saveexec_b32 s0, vcc_lo
	s_cbranch_execnz .LBB1471_12
	s_branch .LBB1471_13
	.section	.rodata,"a",@progbits
	.p2align	6, 0x0
	.amdhsa_kernel _ZN7rocprim17ROCPRIM_400000_NS6detail17trampoline_kernelINS0_14default_configENS1_27scan_by_key_config_selectorIiyEEZZNS1_16scan_by_key_implILNS1_25lookback_scan_determinismE0ELb1ES3_N6thrust23THRUST_200600_302600_NS6detail15normal_iteratorINS9_10device_ptrIiEEEENSB_INSC_IyEEEESG_yNS9_4plusIvEENS9_8equal_toIvEEyEE10hipError_tPvRmT2_T3_T4_T5_mT6_T7_P12ihipStream_tbENKUlT_T0_E_clISt17integral_constantIbLb0EES11_EEDaSW_SX_EUlSW_E_NS1_11comp_targetILNS1_3genE8ELNS1_11target_archE1030ELNS1_3gpuE2ELNS1_3repE0EEENS1_30default_config_static_selectorELNS0_4arch9wavefront6targetE0EEEvT1_
		.amdhsa_group_segment_fixed_size 6144
		.amdhsa_private_segment_fixed_size 0
		.amdhsa_kernarg_size 136
		.amdhsa_user_sgpr_count 6
		.amdhsa_user_sgpr_private_segment_buffer 1
		.amdhsa_user_sgpr_dispatch_ptr 0
		.amdhsa_user_sgpr_queue_ptr 0
		.amdhsa_user_sgpr_kernarg_segment_ptr 1
		.amdhsa_user_sgpr_dispatch_id 0
		.amdhsa_user_sgpr_flat_scratch_init 0
		.amdhsa_user_sgpr_private_segment_size 0
		.amdhsa_wavefront_size32 1
		.amdhsa_uses_dynamic_stack 0
		.amdhsa_system_sgpr_private_segment_wavefront_offset 0
		.amdhsa_system_sgpr_workgroup_id_x 1
		.amdhsa_system_sgpr_workgroup_id_y 0
		.amdhsa_system_sgpr_workgroup_id_z 0
		.amdhsa_system_sgpr_workgroup_info 0
		.amdhsa_system_vgpr_workitem_id 0
		.amdhsa_next_free_vgpr 48
		.amdhsa_next_free_sgpr 36
		.amdhsa_reserve_vcc 1
		.amdhsa_reserve_flat_scratch 1
		.amdhsa_float_round_mode_32 0
		.amdhsa_float_round_mode_16_64 0
		.amdhsa_float_denorm_mode_32 3
		.amdhsa_float_denorm_mode_16_64 3
		.amdhsa_dx10_clamp 1
		.amdhsa_ieee_mode 1
		.amdhsa_fp16_overflow 0
		.amdhsa_workgroup_processor_mode 1
		.amdhsa_memory_ordered 1
		.amdhsa_forward_progress 1
		.amdhsa_shared_vgpr_count 0
		.amdhsa_exception_fp_ieee_invalid_op 0
		.amdhsa_exception_fp_denorm_src 0
		.amdhsa_exception_fp_ieee_div_zero 0
		.amdhsa_exception_fp_ieee_overflow 0
		.amdhsa_exception_fp_ieee_underflow 0
		.amdhsa_exception_fp_ieee_inexact 0
		.amdhsa_exception_int_div_zero 0
	.end_amdhsa_kernel
	.section	.text._ZN7rocprim17ROCPRIM_400000_NS6detail17trampoline_kernelINS0_14default_configENS1_27scan_by_key_config_selectorIiyEEZZNS1_16scan_by_key_implILNS1_25lookback_scan_determinismE0ELb1ES3_N6thrust23THRUST_200600_302600_NS6detail15normal_iteratorINS9_10device_ptrIiEEEENSB_INSC_IyEEEESG_yNS9_4plusIvEENS9_8equal_toIvEEyEE10hipError_tPvRmT2_T3_T4_T5_mT6_T7_P12ihipStream_tbENKUlT_T0_E_clISt17integral_constantIbLb0EES11_EEDaSW_SX_EUlSW_E_NS1_11comp_targetILNS1_3genE8ELNS1_11target_archE1030ELNS1_3gpuE2ELNS1_3repE0EEENS1_30default_config_static_selectorELNS0_4arch9wavefront6targetE0EEEvT1_,"axG",@progbits,_ZN7rocprim17ROCPRIM_400000_NS6detail17trampoline_kernelINS0_14default_configENS1_27scan_by_key_config_selectorIiyEEZZNS1_16scan_by_key_implILNS1_25lookback_scan_determinismE0ELb1ES3_N6thrust23THRUST_200600_302600_NS6detail15normal_iteratorINS9_10device_ptrIiEEEENSB_INSC_IyEEEESG_yNS9_4plusIvEENS9_8equal_toIvEEyEE10hipError_tPvRmT2_T3_T4_T5_mT6_T7_P12ihipStream_tbENKUlT_T0_E_clISt17integral_constantIbLb0EES11_EEDaSW_SX_EUlSW_E_NS1_11comp_targetILNS1_3genE8ELNS1_11target_archE1030ELNS1_3gpuE2ELNS1_3repE0EEENS1_30default_config_static_selectorELNS0_4arch9wavefront6targetE0EEEvT1_,comdat
.Lfunc_end1471:
	.size	_ZN7rocprim17ROCPRIM_400000_NS6detail17trampoline_kernelINS0_14default_configENS1_27scan_by_key_config_selectorIiyEEZZNS1_16scan_by_key_implILNS1_25lookback_scan_determinismE0ELb1ES3_N6thrust23THRUST_200600_302600_NS6detail15normal_iteratorINS9_10device_ptrIiEEEENSB_INSC_IyEEEESG_yNS9_4plusIvEENS9_8equal_toIvEEyEE10hipError_tPvRmT2_T3_T4_T5_mT6_T7_P12ihipStream_tbENKUlT_T0_E_clISt17integral_constantIbLb0EES11_EEDaSW_SX_EUlSW_E_NS1_11comp_targetILNS1_3genE8ELNS1_11target_archE1030ELNS1_3gpuE2ELNS1_3repE0EEENS1_30default_config_static_selectorELNS0_4arch9wavefront6targetE0EEEvT1_, .Lfunc_end1471-_ZN7rocprim17ROCPRIM_400000_NS6detail17trampoline_kernelINS0_14default_configENS1_27scan_by_key_config_selectorIiyEEZZNS1_16scan_by_key_implILNS1_25lookback_scan_determinismE0ELb1ES3_N6thrust23THRUST_200600_302600_NS6detail15normal_iteratorINS9_10device_ptrIiEEEENSB_INSC_IyEEEESG_yNS9_4plusIvEENS9_8equal_toIvEEyEE10hipError_tPvRmT2_T3_T4_T5_mT6_T7_P12ihipStream_tbENKUlT_T0_E_clISt17integral_constantIbLb0EES11_EEDaSW_SX_EUlSW_E_NS1_11comp_targetILNS1_3genE8ELNS1_11target_archE1030ELNS1_3gpuE2ELNS1_3repE0EEENS1_30default_config_static_selectorELNS0_4arch9wavefront6targetE0EEEvT1_
                                        ; -- End function
	.set _ZN7rocprim17ROCPRIM_400000_NS6detail17trampoline_kernelINS0_14default_configENS1_27scan_by_key_config_selectorIiyEEZZNS1_16scan_by_key_implILNS1_25lookback_scan_determinismE0ELb1ES3_N6thrust23THRUST_200600_302600_NS6detail15normal_iteratorINS9_10device_ptrIiEEEENSB_INSC_IyEEEESG_yNS9_4plusIvEENS9_8equal_toIvEEyEE10hipError_tPvRmT2_T3_T4_T5_mT6_T7_P12ihipStream_tbENKUlT_T0_E_clISt17integral_constantIbLb0EES11_EEDaSW_SX_EUlSW_E_NS1_11comp_targetILNS1_3genE8ELNS1_11target_archE1030ELNS1_3gpuE2ELNS1_3repE0EEENS1_30default_config_static_selectorELNS0_4arch9wavefront6targetE0EEEvT1_.num_vgpr, 48
	.set _ZN7rocprim17ROCPRIM_400000_NS6detail17trampoline_kernelINS0_14default_configENS1_27scan_by_key_config_selectorIiyEEZZNS1_16scan_by_key_implILNS1_25lookback_scan_determinismE0ELb1ES3_N6thrust23THRUST_200600_302600_NS6detail15normal_iteratorINS9_10device_ptrIiEEEENSB_INSC_IyEEEESG_yNS9_4plusIvEENS9_8equal_toIvEEyEE10hipError_tPvRmT2_T3_T4_T5_mT6_T7_P12ihipStream_tbENKUlT_T0_E_clISt17integral_constantIbLb0EES11_EEDaSW_SX_EUlSW_E_NS1_11comp_targetILNS1_3genE8ELNS1_11target_archE1030ELNS1_3gpuE2ELNS1_3repE0EEENS1_30default_config_static_selectorELNS0_4arch9wavefront6targetE0EEEvT1_.num_agpr, 0
	.set _ZN7rocprim17ROCPRIM_400000_NS6detail17trampoline_kernelINS0_14default_configENS1_27scan_by_key_config_selectorIiyEEZZNS1_16scan_by_key_implILNS1_25lookback_scan_determinismE0ELb1ES3_N6thrust23THRUST_200600_302600_NS6detail15normal_iteratorINS9_10device_ptrIiEEEENSB_INSC_IyEEEESG_yNS9_4plusIvEENS9_8equal_toIvEEyEE10hipError_tPvRmT2_T3_T4_T5_mT6_T7_P12ihipStream_tbENKUlT_T0_E_clISt17integral_constantIbLb0EES11_EEDaSW_SX_EUlSW_E_NS1_11comp_targetILNS1_3genE8ELNS1_11target_archE1030ELNS1_3gpuE2ELNS1_3repE0EEENS1_30default_config_static_selectorELNS0_4arch9wavefront6targetE0EEEvT1_.numbered_sgpr, 36
	.set _ZN7rocprim17ROCPRIM_400000_NS6detail17trampoline_kernelINS0_14default_configENS1_27scan_by_key_config_selectorIiyEEZZNS1_16scan_by_key_implILNS1_25lookback_scan_determinismE0ELb1ES3_N6thrust23THRUST_200600_302600_NS6detail15normal_iteratorINS9_10device_ptrIiEEEENSB_INSC_IyEEEESG_yNS9_4plusIvEENS9_8equal_toIvEEyEE10hipError_tPvRmT2_T3_T4_T5_mT6_T7_P12ihipStream_tbENKUlT_T0_E_clISt17integral_constantIbLb0EES11_EEDaSW_SX_EUlSW_E_NS1_11comp_targetILNS1_3genE8ELNS1_11target_archE1030ELNS1_3gpuE2ELNS1_3repE0EEENS1_30default_config_static_selectorELNS0_4arch9wavefront6targetE0EEEvT1_.num_named_barrier, 0
	.set _ZN7rocprim17ROCPRIM_400000_NS6detail17trampoline_kernelINS0_14default_configENS1_27scan_by_key_config_selectorIiyEEZZNS1_16scan_by_key_implILNS1_25lookback_scan_determinismE0ELb1ES3_N6thrust23THRUST_200600_302600_NS6detail15normal_iteratorINS9_10device_ptrIiEEEENSB_INSC_IyEEEESG_yNS9_4plusIvEENS9_8equal_toIvEEyEE10hipError_tPvRmT2_T3_T4_T5_mT6_T7_P12ihipStream_tbENKUlT_T0_E_clISt17integral_constantIbLb0EES11_EEDaSW_SX_EUlSW_E_NS1_11comp_targetILNS1_3genE8ELNS1_11target_archE1030ELNS1_3gpuE2ELNS1_3repE0EEENS1_30default_config_static_selectorELNS0_4arch9wavefront6targetE0EEEvT1_.private_seg_size, 0
	.set _ZN7rocprim17ROCPRIM_400000_NS6detail17trampoline_kernelINS0_14default_configENS1_27scan_by_key_config_selectorIiyEEZZNS1_16scan_by_key_implILNS1_25lookback_scan_determinismE0ELb1ES3_N6thrust23THRUST_200600_302600_NS6detail15normal_iteratorINS9_10device_ptrIiEEEENSB_INSC_IyEEEESG_yNS9_4plusIvEENS9_8equal_toIvEEyEE10hipError_tPvRmT2_T3_T4_T5_mT6_T7_P12ihipStream_tbENKUlT_T0_E_clISt17integral_constantIbLb0EES11_EEDaSW_SX_EUlSW_E_NS1_11comp_targetILNS1_3genE8ELNS1_11target_archE1030ELNS1_3gpuE2ELNS1_3repE0EEENS1_30default_config_static_selectorELNS0_4arch9wavefront6targetE0EEEvT1_.uses_vcc, 1
	.set _ZN7rocprim17ROCPRIM_400000_NS6detail17trampoline_kernelINS0_14default_configENS1_27scan_by_key_config_selectorIiyEEZZNS1_16scan_by_key_implILNS1_25lookback_scan_determinismE0ELb1ES3_N6thrust23THRUST_200600_302600_NS6detail15normal_iteratorINS9_10device_ptrIiEEEENSB_INSC_IyEEEESG_yNS9_4plusIvEENS9_8equal_toIvEEyEE10hipError_tPvRmT2_T3_T4_T5_mT6_T7_P12ihipStream_tbENKUlT_T0_E_clISt17integral_constantIbLb0EES11_EEDaSW_SX_EUlSW_E_NS1_11comp_targetILNS1_3genE8ELNS1_11target_archE1030ELNS1_3gpuE2ELNS1_3repE0EEENS1_30default_config_static_selectorELNS0_4arch9wavefront6targetE0EEEvT1_.uses_flat_scratch, 1
	.set _ZN7rocprim17ROCPRIM_400000_NS6detail17trampoline_kernelINS0_14default_configENS1_27scan_by_key_config_selectorIiyEEZZNS1_16scan_by_key_implILNS1_25lookback_scan_determinismE0ELb1ES3_N6thrust23THRUST_200600_302600_NS6detail15normal_iteratorINS9_10device_ptrIiEEEENSB_INSC_IyEEEESG_yNS9_4plusIvEENS9_8equal_toIvEEyEE10hipError_tPvRmT2_T3_T4_T5_mT6_T7_P12ihipStream_tbENKUlT_T0_E_clISt17integral_constantIbLb0EES11_EEDaSW_SX_EUlSW_E_NS1_11comp_targetILNS1_3genE8ELNS1_11target_archE1030ELNS1_3gpuE2ELNS1_3repE0EEENS1_30default_config_static_selectorELNS0_4arch9wavefront6targetE0EEEvT1_.has_dyn_sized_stack, 0
	.set _ZN7rocprim17ROCPRIM_400000_NS6detail17trampoline_kernelINS0_14default_configENS1_27scan_by_key_config_selectorIiyEEZZNS1_16scan_by_key_implILNS1_25lookback_scan_determinismE0ELb1ES3_N6thrust23THRUST_200600_302600_NS6detail15normal_iteratorINS9_10device_ptrIiEEEENSB_INSC_IyEEEESG_yNS9_4plusIvEENS9_8equal_toIvEEyEE10hipError_tPvRmT2_T3_T4_T5_mT6_T7_P12ihipStream_tbENKUlT_T0_E_clISt17integral_constantIbLb0EES11_EEDaSW_SX_EUlSW_E_NS1_11comp_targetILNS1_3genE8ELNS1_11target_archE1030ELNS1_3gpuE2ELNS1_3repE0EEENS1_30default_config_static_selectorELNS0_4arch9wavefront6targetE0EEEvT1_.has_recursion, 0
	.set _ZN7rocprim17ROCPRIM_400000_NS6detail17trampoline_kernelINS0_14default_configENS1_27scan_by_key_config_selectorIiyEEZZNS1_16scan_by_key_implILNS1_25lookback_scan_determinismE0ELb1ES3_N6thrust23THRUST_200600_302600_NS6detail15normal_iteratorINS9_10device_ptrIiEEEENSB_INSC_IyEEEESG_yNS9_4plusIvEENS9_8equal_toIvEEyEE10hipError_tPvRmT2_T3_T4_T5_mT6_T7_P12ihipStream_tbENKUlT_T0_E_clISt17integral_constantIbLb0EES11_EEDaSW_SX_EUlSW_E_NS1_11comp_targetILNS1_3genE8ELNS1_11target_archE1030ELNS1_3gpuE2ELNS1_3repE0EEENS1_30default_config_static_selectorELNS0_4arch9wavefront6targetE0EEEvT1_.has_indirect_call, 0
	.section	.AMDGPU.csdata,"",@progbits
; Kernel info:
; codeLenInByte = 7628
; TotalNumSgprs: 38
; NumVgprs: 48
; ScratchSize: 0
; MemoryBound: 0
; FloatMode: 240
; IeeeMode: 1
; LDSByteSize: 6144 bytes/workgroup (compile time only)
; SGPRBlocks: 0
; VGPRBlocks: 5
; NumSGPRsForWavesPerEU: 38
; NumVGPRsForWavesPerEU: 48
; Occupancy: 16
; WaveLimiterHint : 1
; COMPUTE_PGM_RSRC2:SCRATCH_EN: 0
; COMPUTE_PGM_RSRC2:USER_SGPR: 6
; COMPUTE_PGM_RSRC2:TRAP_HANDLER: 0
; COMPUTE_PGM_RSRC2:TGID_X_EN: 1
; COMPUTE_PGM_RSRC2:TGID_Y_EN: 0
; COMPUTE_PGM_RSRC2:TGID_Z_EN: 0
; COMPUTE_PGM_RSRC2:TIDIG_COMP_CNT: 0
	.section	.text._ZN7rocprim17ROCPRIM_400000_NS6detail17trampoline_kernelINS0_14default_configENS1_27scan_by_key_config_selectorIiyEEZZNS1_16scan_by_key_implILNS1_25lookback_scan_determinismE0ELb1ES3_N6thrust23THRUST_200600_302600_NS6detail15normal_iteratorINS9_10device_ptrIiEEEENSB_INSC_IyEEEESG_yNS9_4plusIvEENS9_8equal_toIvEEyEE10hipError_tPvRmT2_T3_T4_T5_mT6_T7_P12ihipStream_tbENKUlT_T0_E_clISt17integral_constantIbLb1EES11_EEDaSW_SX_EUlSW_E_NS1_11comp_targetILNS1_3genE0ELNS1_11target_archE4294967295ELNS1_3gpuE0ELNS1_3repE0EEENS1_30default_config_static_selectorELNS0_4arch9wavefront6targetE0EEEvT1_,"axG",@progbits,_ZN7rocprim17ROCPRIM_400000_NS6detail17trampoline_kernelINS0_14default_configENS1_27scan_by_key_config_selectorIiyEEZZNS1_16scan_by_key_implILNS1_25lookback_scan_determinismE0ELb1ES3_N6thrust23THRUST_200600_302600_NS6detail15normal_iteratorINS9_10device_ptrIiEEEENSB_INSC_IyEEEESG_yNS9_4plusIvEENS9_8equal_toIvEEyEE10hipError_tPvRmT2_T3_T4_T5_mT6_T7_P12ihipStream_tbENKUlT_T0_E_clISt17integral_constantIbLb1EES11_EEDaSW_SX_EUlSW_E_NS1_11comp_targetILNS1_3genE0ELNS1_11target_archE4294967295ELNS1_3gpuE0ELNS1_3repE0EEENS1_30default_config_static_selectorELNS0_4arch9wavefront6targetE0EEEvT1_,comdat
	.protected	_ZN7rocprim17ROCPRIM_400000_NS6detail17trampoline_kernelINS0_14default_configENS1_27scan_by_key_config_selectorIiyEEZZNS1_16scan_by_key_implILNS1_25lookback_scan_determinismE0ELb1ES3_N6thrust23THRUST_200600_302600_NS6detail15normal_iteratorINS9_10device_ptrIiEEEENSB_INSC_IyEEEESG_yNS9_4plusIvEENS9_8equal_toIvEEyEE10hipError_tPvRmT2_T3_T4_T5_mT6_T7_P12ihipStream_tbENKUlT_T0_E_clISt17integral_constantIbLb1EES11_EEDaSW_SX_EUlSW_E_NS1_11comp_targetILNS1_3genE0ELNS1_11target_archE4294967295ELNS1_3gpuE0ELNS1_3repE0EEENS1_30default_config_static_selectorELNS0_4arch9wavefront6targetE0EEEvT1_ ; -- Begin function _ZN7rocprim17ROCPRIM_400000_NS6detail17trampoline_kernelINS0_14default_configENS1_27scan_by_key_config_selectorIiyEEZZNS1_16scan_by_key_implILNS1_25lookback_scan_determinismE0ELb1ES3_N6thrust23THRUST_200600_302600_NS6detail15normal_iteratorINS9_10device_ptrIiEEEENSB_INSC_IyEEEESG_yNS9_4plusIvEENS9_8equal_toIvEEyEE10hipError_tPvRmT2_T3_T4_T5_mT6_T7_P12ihipStream_tbENKUlT_T0_E_clISt17integral_constantIbLb1EES11_EEDaSW_SX_EUlSW_E_NS1_11comp_targetILNS1_3genE0ELNS1_11target_archE4294967295ELNS1_3gpuE0ELNS1_3repE0EEENS1_30default_config_static_selectorELNS0_4arch9wavefront6targetE0EEEvT1_
	.globl	_ZN7rocprim17ROCPRIM_400000_NS6detail17trampoline_kernelINS0_14default_configENS1_27scan_by_key_config_selectorIiyEEZZNS1_16scan_by_key_implILNS1_25lookback_scan_determinismE0ELb1ES3_N6thrust23THRUST_200600_302600_NS6detail15normal_iteratorINS9_10device_ptrIiEEEENSB_INSC_IyEEEESG_yNS9_4plusIvEENS9_8equal_toIvEEyEE10hipError_tPvRmT2_T3_T4_T5_mT6_T7_P12ihipStream_tbENKUlT_T0_E_clISt17integral_constantIbLb1EES11_EEDaSW_SX_EUlSW_E_NS1_11comp_targetILNS1_3genE0ELNS1_11target_archE4294967295ELNS1_3gpuE0ELNS1_3repE0EEENS1_30default_config_static_selectorELNS0_4arch9wavefront6targetE0EEEvT1_
	.p2align	8
	.type	_ZN7rocprim17ROCPRIM_400000_NS6detail17trampoline_kernelINS0_14default_configENS1_27scan_by_key_config_selectorIiyEEZZNS1_16scan_by_key_implILNS1_25lookback_scan_determinismE0ELb1ES3_N6thrust23THRUST_200600_302600_NS6detail15normal_iteratorINS9_10device_ptrIiEEEENSB_INSC_IyEEEESG_yNS9_4plusIvEENS9_8equal_toIvEEyEE10hipError_tPvRmT2_T3_T4_T5_mT6_T7_P12ihipStream_tbENKUlT_T0_E_clISt17integral_constantIbLb1EES11_EEDaSW_SX_EUlSW_E_NS1_11comp_targetILNS1_3genE0ELNS1_11target_archE4294967295ELNS1_3gpuE0ELNS1_3repE0EEENS1_30default_config_static_selectorELNS0_4arch9wavefront6targetE0EEEvT1_,@function
_ZN7rocprim17ROCPRIM_400000_NS6detail17trampoline_kernelINS0_14default_configENS1_27scan_by_key_config_selectorIiyEEZZNS1_16scan_by_key_implILNS1_25lookback_scan_determinismE0ELb1ES3_N6thrust23THRUST_200600_302600_NS6detail15normal_iteratorINS9_10device_ptrIiEEEENSB_INSC_IyEEEESG_yNS9_4plusIvEENS9_8equal_toIvEEyEE10hipError_tPvRmT2_T3_T4_T5_mT6_T7_P12ihipStream_tbENKUlT_T0_E_clISt17integral_constantIbLb1EES11_EEDaSW_SX_EUlSW_E_NS1_11comp_targetILNS1_3genE0ELNS1_11target_archE4294967295ELNS1_3gpuE0ELNS1_3repE0EEENS1_30default_config_static_selectorELNS0_4arch9wavefront6targetE0EEEvT1_: ; @_ZN7rocprim17ROCPRIM_400000_NS6detail17trampoline_kernelINS0_14default_configENS1_27scan_by_key_config_selectorIiyEEZZNS1_16scan_by_key_implILNS1_25lookback_scan_determinismE0ELb1ES3_N6thrust23THRUST_200600_302600_NS6detail15normal_iteratorINS9_10device_ptrIiEEEENSB_INSC_IyEEEESG_yNS9_4plusIvEENS9_8equal_toIvEEyEE10hipError_tPvRmT2_T3_T4_T5_mT6_T7_P12ihipStream_tbENKUlT_T0_E_clISt17integral_constantIbLb1EES11_EEDaSW_SX_EUlSW_E_NS1_11comp_targetILNS1_3genE0ELNS1_11target_archE4294967295ELNS1_3gpuE0ELNS1_3repE0EEENS1_30default_config_static_selectorELNS0_4arch9wavefront6targetE0EEEvT1_
; %bb.0:
	.section	.rodata,"a",@progbits
	.p2align	6, 0x0
	.amdhsa_kernel _ZN7rocprim17ROCPRIM_400000_NS6detail17trampoline_kernelINS0_14default_configENS1_27scan_by_key_config_selectorIiyEEZZNS1_16scan_by_key_implILNS1_25lookback_scan_determinismE0ELb1ES3_N6thrust23THRUST_200600_302600_NS6detail15normal_iteratorINS9_10device_ptrIiEEEENSB_INSC_IyEEEESG_yNS9_4plusIvEENS9_8equal_toIvEEyEE10hipError_tPvRmT2_T3_T4_T5_mT6_T7_P12ihipStream_tbENKUlT_T0_E_clISt17integral_constantIbLb1EES11_EEDaSW_SX_EUlSW_E_NS1_11comp_targetILNS1_3genE0ELNS1_11target_archE4294967295ELNS1_3gpuE0ELNS1_3repE0EEENS1_30default_config_static_selectorELNS0_4arch9wavefront6targetE0EEEvT1_
		.amdhsa_group_segment_fixed_size 0
		.amdhsa_private_segment_fixed_size 0
		.amdhsa_kernarg_size 136
		.amdhsa_user_sgpr_count 6
		.amdhsa_user_sgpr_private_segment_buffer 1
		.amdhsa_user_sgpr_dispatch_ptr 0
		.amdhsa_user_sgpr_queue_ptr 0
		.amdhsa_user_sgpr_kernarg_segment_ptr 1
		.amdhsa_user_sgpr_dispatch_id 0
		.amdhsa_user_sgpr_flat_scratch_init 0
		.amdhsa_user_sgpr_private_segment_size 0
		.amdhsa_wavefront_size32 1
		.amdhsa_uses_dynamic_stack 0
		.amdhsa_system_sgpr_private_segment_wavefront_offset 0
		.amdhsa_system_sgpr_workgroup_id_x 1
		.amdhsa_system_sgpr_workgroup_id_y 0
		.amdhsa_system_sgpr_workgroup_id_z 0
		.amdhsa_system_sgpr_workgroup_info 0
		.amdhsa_system_vgpr_workitem_id 0
		.amdhsa_next_free_vgpr 1
		.amdhsa_next_free_sgpr 1
		.amdhsa_reserve_vcc 0
		.amdhsa_reserve_flat_scratch 0
		.amdhsa_float_round_mode_32 0
		.amdhsa_float_round_mode_16_64 0
		.amdhsa_float_denorm_mode_32 3
		.amdhsa_float_denorm_mode_16_64 3
		.amdhsa_dx10_clamp 1
		.amdhsa_ieee_mode 1
		.amdhsa_fp16_overflow 0
		.amdhsa_workgroup_processor_mode 1
		.amdhsa_memory_ordered 1
		.amdhsa_forward_progress 1
		.amdhsa_shared_vgpr_count 0
		.amdhsa_exception_fp_ieee_invalid_op 0
		.amdhsa_exception_fp_denorm_src 0
		.amdhsa_exception_fp_ieee_div_zero 0
		.amdhsa_exception_fp_ieee_overflow 0
		.amdhsa_exception_fp_ieee_underflow 0
		.amdhsa_exception_fp_ieee_inexact 0
		.amdhsa_exception_int_div_zero 0
	.end_amdhsa_kernel
	.section	.text._ZN7rocprim17ROCPRIM_400000_NS6detail17trampoline_kernelINS0_14default_configENS1_27scan_by_key_config_selectorIiyEEZZNS1_16scan_by_key_implILNS1_25lookback_scan_determinismE0ELb1ES3_N6thrust23THRUST_200600_302600_NS6detail15normal_iteratorINS9_10device_ptrIiEEEENSB_INSC_IyEEEESG_yNS9_4plusIvEENS9_8equal_toIvEEyEE10hipError_tPvRmT2_T3_T4_T5_mT6_T7_P12ihipStream_tbENKUlT_T0_E_clISt17integral_constantIbLb1EES11_EEDaSW_SX_EUlSW_E_NS1_11comp_targetILNS1_3genE0ELNS1_11target_archE4294967295ELNS1_3gpuE0ELNS1_3repE0EEENS1_30default_config_static_selectorELNS0_4arch9wavefront6targetE0EEEvT1_,"axG",@progbits,_ZN7rocprim17ROCPRIM_400000_NS6detail17trampoline_kernelINS0_14default_configENS1_27scan_by_key_config_selectorIiyEEZZNS1_16scan_by_key_implILNS1_25lookback_scan_determinismE0ELb1ES3_N6thrust23THRUST_200600_302600_NS6detail15normal_iteratorINS9_10device_ptrIiEEEENSB_INSC_IyEEEESG_yNS9_4plusIvEENS9_8equal_toIvEEyEE10hipError_tPvRmT2_T3_T4_T5_mT6_T7_P12ihipStream_tbENKUlT_T0_E_clISt17integral_constantIbLb1EES11_EEDaSW_SX_EUlSW_E_NS1_11comp_targetILNS1_3genE0ELNS1_11target_archE4294967295ELNS1_3gpuE0ELNS1_3repE0EEENS1_30default_config_static_selectorELNS0_4arch9wavefront6targetE0EEEvT1_,comdat
.Lfunc_end1472:
	.size	_ZN7rocprim17ROCPRIM_400000_NS6detail17trampoline_kernelINS0_14default_configENS1_27scan_by_key_config_selectorIiyEEZZNS1_16scan_by_key_implILNS1_25lookback_scan_determinismE0ELb1ES3_N6thrust23THRUST_200600_302600_NS6detail15normal_iteratorINS9_10device_ptrIiEEEENSB_INSC_IyEEEESG_yNS9_4plusIvEENS9_8equal_toIvEEyEE10hipError_tPvRmT2_T3_T4_T5_mT6_T7_P12ihipStream_tbENKUlT_T0_E_clISt17integral_constantIbLb1EES11_EEDaSW_SX_EUlSW_E_NS1_11comp_targetILNS1_3genE0ELNS1_11target_archE4294967295ELNS1_3gpuE0ELNS1_3repE0EEENS1_30default_config_static_selectorELNS0_4arch9wavefront6targetE0EEEvT1_, .Lfunc_end1472-_ZN7rocprim17ROCPRIM_400000_NS6detail17trampoline_kernelINS0_14default_configENS1_27scan_by_key_config_selectorIiyEEZZNS1_16scan_by_key_implILNS1_25lookback_scan_determinismE0ELb1ES3_N6thrust23THRUST_200600_302600_NS6detail15normal_iteratorINS9_10device_ptrIiEEEENSB_INSC_IyEEEESG_yNS9_4plusIvEENS9_8equal_toIvEEyEE10hipError_tPvRmT2_T3_T4_T5_mT6_T7_P12ihipStream_tbENKUlT_T0_E_clISt17integral_constantIbLb1EES11_EEDaSW_SX_EUlSW_E_NS1_11comp_targetILNS1_3genE0ELNS1_11target_archE4294967295ELNS1_3gpuE0ELNS1_3repE0EEENS1_30default_config_static_selectorELNS0_4arch9wavefront6targetE0EEEvT1_
                                        ; -- End function
	.set _ZN7rocprim17ROCPRIM_400000_NS6detail17trampoline_kernelINS0_14default_configENS1_27scan_by_key_config_selectorIiyEEZZNS1_16scan_by_key_implILNS1_25lookback_scan_determinismE0ELb1ES3_N6thrust23THRUST_200600_302600_NS6detail15normal_iteratorINS9_10device_ptrIiEEEENSB_INSC_IyEEEESG_yNS9_4plusIvEENS9_8equal_toIvEEyEE10hipError_tPvRmT2_T3_T4_T5_mT6_T7_P12ihipStream_tbENKUlT_T0_E_clISt17integral_constantIbLb1EES11_EEDaSW_SX_EUlSW_E_NS1_11comp_targetILNS1_3genE0ELNS1_11target_archE4294967295ELNS1_3gpuE0ELNS1_3repE0EEENS1_30default_config_static_selectorELNS0_4arch9wavefront6targetE0EEEvT1_.num_vgpr, 0
	.set _ZN7rocprim17ROCPRIM_400000_NS6detail17trampoline_kernelINS0_14default_configENS1_27scan_by_key_config_selectorIiyEEZZNS1_16scan_by_key_implILNS1_25lookback_scan_determinismE0ELb1ES3_N6thrust23THRUST_200600_302600_NS6detail15normal_iteratorINS9_10device_ptrIiEEEENSB_INSC_IyEEEESG_yNS9_4plusIvEENS9_8equal_toIvEEyEE10hipError_tPvRmT2_T3_T4_T5_mT6_T7_P12ihipStream_tbENKUlT_T0_E_clISt17integral_constantIbLb1EES11_EEDaSW_SX_EUlSW_E_NS1_11comp_targetILNS1_3genE0ELNS1_11target_archE4294967295ELNS1_3gpuE0ELNS1_3repE0EEENS1_30default_config_static_selectorELNS0_4arch9wavefront6targetE0EEEvT1_.num_agpr, 0
	.set _ZN7rocprim17ROCPRIM_400000_NS6detail17trampoline_kernelINS0_14default_configENS1_27scan_by_key_config_selectorIiyEEZZNS1_16scan_by_key_implILNS1_25lookback_scan_determinismE0ELb1ES3_N6thrust23THRUST_200600_302600_NS6detail15normal_iteratorINS9_10device_ptrIiEEEENSB_INSC_IyEEEESG_yNS9_4plusIvEENS9_8equal_toIvEEyEE10hipError_tPvRmT2_T3_T4_T5_mT6_T7_P12ihipStream_tbENKUlT_T0_E_clISt17integral_constantIbLb1EES11_EEDaSW_SX_EUlSW_E_NS1_11comp_targetILNS1_3genE0ELNS1_11target_archE4294967295ELNS1_3gpuE0ELNS1_3repE0EEENS1_30default_config_static_selectorELNS0_4arch9wavefront6targetE0EEEvT1_.numbered_sgpr, 0
	.set _ZN7rocprim17ROCPRIM_400000_NS6detail17trampoline_kernelINS0_14default_configENS1_27scan_by_key_config_selectorIiyEEZZNS1_16scan_by_key_implILNS1_25lookback_scan_determinismE0ELb1ES3_N6thrust23THRUST_200600_302600_NS6detail15normal_iteratorINS9_10device_ptrIiEEEENSB_INSC_IyEEEESG_yNS9_4plusIvEENS9_8equal_toIvEEyEE10hipError_tPvRmT2_T3_T4_T5_mT6_T7_P12ihipStream_tbENKUlT_T0_E_clISt17integral_constantIbLb1EES11_EEDaSW_SX_EUlSW_E_NS1_11comp_targetILNS1_3genE0ELNS1_11target_archE4294967295ELNS1_3gpuE0ELNS1_3repE0EEENS1_30default_config_static_selectorELNS0_4arch9wavefront6targetE0EEEvT1_.num_named_barrier, 0
	.set _ZN7rocprim17ROCPRIM_400000_NS6detail17trampoline_kernelINS0_14default_configENS1_27scan_by_key_config_selectorIiyEEZZNS1_16scan_by_key_implILNS1_25lookback_scan_determinismE0ELb1ES3_N6thrust23THRUST_200600_302600_NS6detail15normal_iteratorINS9_10device_ptrIiEEEENSB_INSC_IyEEEESG_yNS9_4plusIvEENS9_8equal_toIvEEyEE10hipError_tPvRmT2_T3_T4_T5_mT6_T7_P12ihipStream_tbENKUlT_T0_E_clISt17integral_constantIbLb1EES11_EEDaSW_SX_EUlSW_E_NS1_11comp_targetILNS1_3genE0ELNS1_11target_archE4294967295ELNS1_3gpuE0ELNS1_3repE0EEENS1_30default_config_static_selectorELNS0_4arch9wavefront6targetE0EEEvT1_.private_seg_size, 0
	.set _ZN7rocprim17ROCPRIM_400000_NS6detail17trampoline_kernelINS0_14default_configENS1_27scan_by_key_config_selectorIiyEEZZNS1_16scan_by_key_implILNS1_25lookback_scan_determinismE0ELb1ES3_N6thrust23THRUST_200600_302600_NS6detail15normal_iteratorINS9_10device_ptrIiEEEENSB_INSC_IyEEEESG_yNS9_4plusIvEENS9_8equal_toIvEEyEE10hipError_tPvRmT2_T3_T4_T5_mT6_T7_P12ihipStream_tbENKUlT_T0_E_clISt17integral_constantIbLb1EES11_EEDaSW_SX_EUlSW_E_NS1_11comp_targetILNS1_3genE0ELNS1_11target_archE4294967295ELNS1_3gpuE0ELNS1_3repE0EEENS1_30default_config_static_selectorELNS0_4arch9wavefront6targetE0EEEvT1_.uses_vcc, 0
	.set _ZN7rocprim17ROCPRIM_400000_NS6detail17trampoline_kernelINS0_14default_configENS1_27scan_by_key_config_selectorIiyEEZZNS1_16scan_by_key_implILNS1_25lookback_scan_determinismE0ELb1ES3_N6thrust23THRUST_200600_302600_NS6detail15normal_iteratorINS9_10device_ptrIiEEEENSB_INSC_IyEEEESG_yNS9_4plusIvEENS9_8equal_toIvEEyEE10hipError_tPvRmT2_T3_T4_T5_mT6_T7_P12ihipStream_tbENKUlT_T0_E_clISt17integral_constantIbLb1EES11_EEDaSW_SX_EUlSW_E_NS1_11comp_targetILNS1_3genE0ELNS1_11target_archE4294967295ELNS1_3gpuE0ELNS1_3repE0EEENS1_30default_config_static_selectorELNS0_4arch9wavefront6targetE0EEEvT1_.uses_flat_scratch, 0
	.set _ZN7rocprim17ROCPRIM_400000_NS6detail17trampoline_kernelINS0_14default_configENS1_27scan_by_key_config_selectorIiyEEZZNS1_16scan_by_key_implILNS1_25lookback_scan_determinismE0ELb1ES3_N6thrust23THRUST_200600_302600_NS6detail15normal_iteratorINS9_10device_ptrIiEEEENSB_INSC_IyEEEESG_yNS9_4plusIvEENS9_8equal_toIvEEyEE10hipError_tPvRmT2_T3_T4_T5_mT6_T7_P12ihipStream_tbENKUlT_T0_E_clISt17integral_constantIbLb1EES11_EEDaSW_SX_EUlSW_E_NS1_11comp_targetILNS1_3genE0ELNS1_11target_archE4294967295ELNS1_3gpuE0ELNS1_3repE0EEENS1_30default_config_static_selectorELNS0_4arch9wavefront6targetE0EEEvT1_.has_dyn_sized_stack, 0
	.set _ZN7rocprim17ROCPRIM_400000_NS6detail17trampoline_kernelINS0_14default_configENS1_27scan_by_key_config_selectorIiyEEZZNS1_16scan_by_key_implILNS1_25lookback_scan_determinismE0ELb1ES3_N6thrust23THRUST_200600_302600_NS6detail15normal_iteratorINS9_10device_ptrIiEEEENSB_INSC_IyEEEESG_yNS9_4plusIvEENS9_8equal_toIvEEyEE10hipError_tPvRmT2_T3_T4_T5_mT6_T7_P12ihipStream_tbENKUlT_T0_E_clISt17integral_constantIbLb1EES11_EEDaSW_SX_EUlSW_E_NS1_11comp_targetILNS1_3genE0ELNS1_11target_archE4294967295ELNS1_3gpuE0ELNS1_3repE0EEENS1_30default_config_static_selectorELNS0_4arch9wavefront6targetE0EEEvT1_.has_recursion, 0
	.set _ZN7rocprim17ROCPRIM_400000_NS6detail17trampoline_kernelINS0_14default_configENS1_27scan_by_key_config_selectorIiyEEZZNS1_16scan_by_key_implILNS1_25lookback_scan_determinismE0ELb1ES3_N6thrust23THRUST_200600_302600_NS6detail15normal_iteratorINS9_10device_ptrIiEEEENSB_INSC_IyEEEESG_yNS9_4plusIvEENS9_8equal_toIvEEyEE10hipError_tPvRmT2_T3_T4_T5_mT6_T7_P12ihipStream_tbENKUlT_T0_E_clISt17integral_constantIbLb1EES11_EEDaSW_SX_EUlSW_E_NS1_11comp_targetILNS1_3genE0ELNS1_11target_archE4294967295ELNS1_3gpuE0ELNS1_3repE0EEENS1_30default_config_static_selectorELNS0_4arch9wavefront6targetE0EEEvT1_.has_indirect_call, 0
	.section	.AMDGPU.csdata,"",@progbits
; Kernel info:
; codeLenInByte = 0
; TotalNumSgprs: 0
; NumVgprs: 0
; ScratchSize: 0
; MemoryBound: 0
; FloatMode: 240
; IeeeMode: 1
; LDSByteSize: 0 bytes/workgroup (compile time only)
; SGPRBlocks: 0
; VGPRBlocks: 0
; NumSGPRsForWavesPerEU: 1
; NumVGPRsForWavesPerEU: 1
; Occupancy: 16
; WaveLimiterHint : 0
; COMPUTE_PGM_RSRC2:SCRATCH_EN: 0
; COMPUTE_PGM_RSRC2:USER_SGPR: 6
; COMPUTE_PGM_RSRC2:TRAP_HANDLER: 0
; COMPUTE_PGM_RSRC2:TGID_X_EN: 1
; COMPUTE_PGM_RSRC2:TGID_Y_EN: 0
; COMPUTE_PGM_RSRC2:TGID_Z_EN: 0
; COMPUTE_PGM_RSRC2:TIDIG_COMP_CNT: 0
	.section	.text._ZN7rocprim17ROCPRIM_400000_NS6detail17trampoline_kernelINS0_14default_configENS1_27scan_by_key_config_selectorIiyEEZZNS1_16scan_by_key_implILNS1_25lookback_scan_determinismE0ELb1ES3_N6thrust23THRUST_200600_302600_NS6detail15normal_iteratorINS9_10device_ptrIiEEEENSB_INSC_IyEEEESG_yNS9_4plusIvEENS9_8equal_toIvEEyEE10hipError_tPvRmT2_T3_T4_T5_mT6_T7_P12ihipStream_tbENKUlT_T0_E_clISt17integral_constantIbLb1EES11_EEDaSW_SX_EUlSW_E_NS1_11comp_targetILNS1_3genE10ELNS1_11target_archE1201ELNS1_3gpuE5ELNS1_3repE0EEENS1_30default_config_static_selectorELNS0_4arch9wavefront6targetE0EEEvT1_,"axG",@progbits,_ZN7rocprim17ROCPRIM_400000_NS6detail17trampoline_kernelINS0_14default_configENS1_27scan_by_key_config_selectorIiyEEZZNS1_16scan_by_key_implILNS1_25lookback_scan_determinismE0ELb1ES3_N6thrust23THRUST_200600_302600_NS6detail15normal_iteratorINS9_10device_ptrIiEEEENSB_INSC_IyEEEESG_yNS9_4plusIvEENS9_8equal_toIvEEyEE10hipError_tPvRmT2_T3_T4_T5_mT6_T7_P12ihipStream_tbENKUlT_T0_E_clISt17integral_constantIbLb1EES11_EEDaSW_SX_EUlSW_E_NS1_11comp_targetILNS1_3genE10ELNS1_11target_archE1201ELNS1_3gpuE5ELNS1_3repE0EEENS1_30default_config_static_selectorELNS0_4arch9wavefront6targetE0EEEvT1_,comdat
	.protected	_ZN7rocprim17ROCPRIM_400000_NS6detail17trampoline_kernelINS0_14default_configENS1_27scan_by_key_config_selectorIiyEEZZNS1_16scan_by_key_implILNS1_25lookback_scan_determinismE0ELb1ES3_N6thrust23THRUST_200600_302600_NS6detail15normal_iteratorINS9_10device_ptrIiEEEENSB_INSC_IyEEEESG_yNS9_4plusIvEENS9_8equal_toIvEEyEE10hipError_tPvRmT2_T3_T4_T5_mT6_T7_P12ihipStream_tbENKUlT_T0_E_clISt17integral_constantIbLb1EES11_EEDaSW_SX_EUlSW_E_NS1_11comp_targetILNS1_3genE10ELNS1_11target_archE1201ELNS1_3gpuE5ELNS1_3repE0EEENS1_30default_config_static_selectorELNS0_4arch9wavefront6targetE0EEEvT1_ ; -- Begin function _ZN7rocprim17ROCPRIM_400000_NS6detail17trampoline_kernelINS0_14default_configENS1_27scan_by_key_config_selectorIiyEEZZNS1_16scan_by_key_implILNS1_25lookback_scan_determinismE0ELb1ES3_N6thrust23THRUST_200600_302600_NS6detail15normal_iteratorINS9_10device_ptrIiEEEENSB_INSC_IyEEEESG_yNS9_4plusIvEENS9_8equal_toIvEEyEE10hipError_tPvRmT2_T3_T4_T5_mT6_T7_P12ihipStream_tbENKUlT_T0_E_clISt17integral_constantIbLb1EES11_EEDaSW_SX_EUlSW_E_NS1_11comp_targetILNS1_3genE10ELNS1_11target_archE1201ELNS1_3gpuE5ELNS1_3repE0EEENS1_30default_config_static_selectorELNS0_4arch9wavefront6targetE0EEEvT1_
	.globl	_ZN7rocprim17ROCPRIM_400000_NS6detail17trampoline_kernelINS0_14default_configENS1_27scan_by_key_config_selectorIiyEEZZNS1_16scan_by_key_implILNS1_25lookback_scan_determinismE0ELb1ES3_N6thrust23THRUST_200600_302600_NS6detail15normal_iteratorINS9_10device_ptrIiEEEENSB_INSC_IyEEEESG_yNS9_4plusIvEENS9_8equal_toIvEEyEE10hipError_tPvRmT2_T3_T4_T5_mT6_T7_P12ihipStream_tbENKUlT_T0_E_clISt17integral_constantIbLb1EES11_EEDaSW_SX_EUlSW_E_NS1_11comp_targetILNS1_3genE10ELNS1_11target_archE1201ELNS1_3gpuE5ELNS1_3repE0EEENS1_30default_config_static_selectorELNS0_4arch9wavefront6targetE0EEEvT1_
	.p2align	8
	.type	_ZN7rocprim17ROCPRIM_400000_NS6detail17trampoline_kernelINS0_14default_configENS1_27scan_by_key_config_selectorIiyEEZZNS1_16scan_by_key_implILNS1_25lookback_scan_determinismE0ELb1ES3_N6thrust23THRUST_200600_302600_NS6detail15normal_iteratorINS9_10device_ptrIiEEEENSB_INSC_IyEEEESG_yNS9_4plusIvEENS9_8equal_toIvEEyEE10hipError_tPvRmT2_T3_T4_T5_mT6_T7_P12ihipStream_tbENKUlT_T0_E_clISt17integral_constantIbLb1EES11_EEDaSW_SX_EUlSW_E_NS1_11comp_targetILNS1_3genE10ELNS1_11target_archE1201ELNS1_3gpuE5ELNS1_3repE0EEENS1_30default_config_static_selectorELNS0_4arch9wavefront6targetE0EEEvT1_,@function
_ZN7rocprim17ROCPRIM_400000_NS6detail17trampoline_kernelINS0_14default_configENS1_27scan_by_key_config_selectorIiyEEZZNS1_16scan_by_key_implILNS1_25lookback_scan_determinismE0ELb1ES3_N6thrust23THRUST_200600_302600_NS6detail15normal_iteratorINS9_10device_ptrIiEEEENSB_INSC_IyEEEESG_yNS9_4plusIvEENS9_8equal_toIvEEyEE10hipError_tPvRmT2_T3_T4_T5_mT6_T7_P12ihipStream_tbENKUlT_T0_E_clISt17integral_constantIbLb1EES11_EEDaSW_SX_EUlSW_E_NS1_11comp_targetILNS1_3genE10ELNS1_11target_archE1201ELNS1_3gpuE5ELNS1_3repE0EEENS1_30default_config_static_selectorELNS0_4arch9wavefront6targetE0EEEvT1_: ; @_ZN7rocprim17ROCPRIM_400000_NS6detail17trampoline_kernelINS0_14default_configENS1_27scan_by_key_config_selectorIiyEEZZNS1_16scan_by_key_implILNS1_25lookback_scan_determinismE0ELb1ES3_N6thrust23THRUST_200600_302600_NS6detail15normal_iteratorINS9_10device_ptrIiEEEENSB_INSC_IyEEEESG_yNS9_4plusIvEENS9_8equal_toIvEEyEE10hipError_tPvRmT2_T3_T4_T5_mT6_T7_P12ihipStream_tbENKUlT_T0_E_clISt17integral_constantIbLb1EES11_EEDaSW_SX_EUlSW_E_NS1_11comp_targetILNS1_3genE10ELNS1_11target_archE1201ELNS1_3gpuE5ELNS1_3repE0EEENS1_30default_config_static_selectorELNS0_4arch9wavefront6targetE0EEEvT1_
; %bb.0:
	.section	.rodata,"a",@progbits
	.p2align	6, 0x0
	.amdhsa_kernel _ZN7rocprim17ROCPRIM_400000_NS6detail17trampoline_kernelINS0_14default_configENS1_27scan_by_key_config_selectorIiyEEZZNS1_16scan_by_key_implILNS1_25lookback_scan_determinismE0ELb1ES3_N6thrust23THRUST_200600_302600_NS6detail15normal_iteratorINS9_10device_ptrIiEEEENSB_INSC_IyEEEESG_yNS9_4plusIvEENS9_8equal_toIvEEyEE10hipError_tPvRmT2_T3_T4_T5_mT6_T7_P12ihipStream_tbENKUlT_T0_E_clISt17integral_constantIbLb1EES11_EEDaSW_SX_EUlSW_E_NS1_11comp_targetILNS1_3genE10ELNS1_11target_archE1201ELNS1_3gpuE5ELNS1_3repE0EEENS1_30default_config_static_selectorELNS0_4arch9wavefront6targetE0EEEvT1_
		.amdhsa_group_segment_fixed_size 0
		.amdhsa_private_segment_fixed_size 0
		.amdhsa_kernarg_size 136
		.amdhsa_user_sgpr_count 6
		.amdhsa_user_sgpr_private_segment_buffer 1
		.amdhsa_user_sgpr_dispatch_ptr 0
		.amdhsa_user_sgpr_queue_ptr 0
		.amdhsa_user_sgpr_kernarg_segment_ptr 1
		.amdhsa_user_sgpr_dispatch_id 0
		.amdhsa_user_sgpr_flat_scratch_init 0
		.amdhsa_user_sgpr_private_segment_size 0
		.amdhsa_wavefront_size32 1
		.amdhsa_uses_dynamic_stack 0
		.amdhsa_system_sgpr_private_segment_wavefront_offset 0
		.amdhsa_system_sgpr_workgroup_id_x 1
		.amdhsa_system_sgpr_workgroup_id_y 0
		.amdhsa_system_sgpr_workgroup_id_z 0
		.amdhsa_system_sgpr_workgroup_info 0
		.amdhsa_system_vgpr_workitem_id 0
		.amdhsa_next_free_vgpr 1
		.amdhsa_next_free_sgpr 1
		.amdhsa_reserve_vcc 0
		.amdhsa_reserve_flat_scratch 0
		.amdhsa_float_round_mode_32 0
		.amdhsa_float_round_mode_16_64 0
		.amdhsa_float_denorm_mode_32 3
		.amdhsa_float_denorm_mode_16_64 3
		.amdhsa_dx10_clamp 1
		.amdhsa_ieee_mode 1
		.amdhsa_fp16_overflow 0
		.amdhsa_workgroup_processor_mode 1
		.amdhsa_memory_ordered 1
		.amdhsa_forward_progress 1
		.amdhsa_shared_vgpr_count 0
		.amdhsa_exception_fp_ieee_invalid_op 0
		.amdhsa_exception_fp_denorm_src 0
		.amdhsa_exception_fp_ieee_div_zero 0
		.amdhsa_exception_fp_ieee_overflow 0
		.amdhsa_exception_fp_ieee_underflow 0
		.amdhsa_exception_fp_ieee_inexact 0
		.amdhsa_exception_int_div_zero 0
	.end_amdhsa_kernel
	.section	.text._ZN7rocprim17ROCPRIM_400000_NS6detail17trampoline_kernelINS0_14default_configENS1_27scan_by_key_config_selectorIiyEEZZNS1_16scan_by_key_implILNS1_25lookback_scan_determinismE0ELb1ES3_N6thrust23THRUST_200600_302600_NS6detail15normal_iteratorINS9_10device_ptrIiEEEENSB_INSC_IyEEEESG_yNS9_4plusIvEENS9_8equal_toIvEEyEE10hipError_tPvRmT2_T3_T4_T5_mT6_T7_P12ihipStream_tbENKUlT_T0_E_clISt17integral_constantIbLb1EES11_EEDaSW_SX_EUlSW_E_NS1_11comp_targetILNS1_3genE10ELNS1_11target_archE1201ELNS1_3gpuE5ELNS1_3repE0EEENS1_30default_config_static_selectorELNS0_4arch9wavefront6targetE0EEEvT1_,"axG",@progbits,_ZN7rocprim17ROCPRIM_400000_NS6detail17trampoline_kernelINS0_14default_configENS1_27scan_by_key_config_selectorIiyEEZZNS1_16scan_by_key_implILNS1_25lookback_scan_determinismE0ELb1ES3_N6thrust23THRUST_200600_302600_NS6detail15normal_iteratorINS9_10device_ptrIiEEEENSB_INSC_IyEEEESG_yNS9_4plusIvEENS9_8equal_toIvEEyEE10hipError_tPvRmT2_T3_T4_T5_mT6_T7_P12ihipStream_tbENKUlT_T0_E_clISt17integral_constantIbLb1EES11_EEDaSW_SX_EUlSW_E_NS1_11comp_targetILNS1_3genE10ELNS1_11target_archE1201ELNS1_3gpuE5ELNS1_3repE0EEENS1_30default_config_static_selectorELNS0_4arch9wavefront6targetE0EEEvT1_,comdat
.Lfunc_end1473:
	.size	_ZN7rocprim17ROCPRIM_400000_NS6detail17trampoline_kernelINS0_14default_configENS1_27scan_by_key_config_selectorIiyEEZZNS1_16scan_by_key_implILNS1_25lookback_scan_determinismE0ELb1ES3_N6thrust23THRUST_200600_302600_NS6detail15normal_iteratorINS9_10device_ptrIiEEEENSB_INSC_IyEEEESG_yNS9_4plusIvEENS9_8equal_toIvEEyEE10hipError_tPvRmT2_T3_T4_T5_mT6_T7_P12ihipStream_tbENKUlT_T0_E_clISt17integral_constantIbLb1EES11_EEDaSW_SX_EUlSW_E_NS1_11comp_targetILNS1_3genE10ELNS1_11target_archE1201ELNS1_3gpuE5ELNS1_3repE0EEENS1_30default_config_static_selectorELNS0_4arch9wavefront6targetE0EEEvT1_, .Lfunc_end1473-_ZN7rocprim17ROCPRIM_400000_NS6detail17trampoline_kernelINS0_14default_configENS1_27scan_by_key_config_selectorIiyEEZZNS1_16scan_by_key_implILNS1_25lookback_scan_determinismE0ELb1ES3_N6thrust23THRUST_200600_302600_NS6detail15normal_iteratorINS9_10device_ptrIiEEEENSB_INSC_IyEEEESG_yNS9_4plusIvEENS9_8equal_toIvEEyEE10hipError_tPvRmT2_T3_T4_T5_mT6_T7_P12ihipStream_tbENKUlT_T0_E_clISt17integral_constantIbLb1EES11_EEDaSW_SX_EUlSW_E_NS1_11comp_targetILNS1_3genE10ELNS1_11target_archE1201ELNS1_3gpuE5ELNS1_3repE0EEENS1_30default_config_static_selectorELNS0_4arch9wavefront6targetE0EEEvT1_
                                        ; -- End function
	.set _ZN7rocprim17ROCPRIM_400000_NS6detail17trampoline_kernelINS0_14default_configENS1_27scan_by_key_config_selectorIiyEEZZNS1_16scan_by_key_implILNS1_25lookback_scan_determinismE0ELb1ES3_N6thrust23THRUST_200600_302600_NS6detail15normal_iteratorINS9_10device_ptrIiEEEENSB_INSC_IyEEEESG_yNS9_4plusIvEENS9_8equal_toIvEEyEE10hipError_tPvRmT2_T3_T4_T5_mT6_T7_P12ihipStream_tbENKUlT_T0_E_clISt17integral_constantIbLb1EES11_EEDaSW_SX_EUlSW_E_NS1_11comp_targetILNS1_3genE10ELNS1_11target_archE1201ELNS1_3gpuE5ELNS1_3repE0EEENS1_30default_config_static_selectorELNS0_4arch9wavefront6targetE0EEEvT1_.num_vgpr, 0
	.set _ZN7rocprim17ROCPRIM_400000_NS6detail17trampoline_kernelINS0_14default_configENS1_27scan_by_key_config_selectorIiyEEZZNS1_16scan_by_key_implILNS1_25lookback_scan_determinismE0ELb1ES3_N6thrust23THRUST_200600_302600_NS6detail15normal_iteratorINS9_10device_ptrIiEEEENSB_INSC_IyEEEESG_yNS9_4plusIvEENS9_8equal_toIvEEyEE10hipError_tPvRmT2_T3_T4_T5_mT6_T7_P12ihipStream_tbENKUlT_T0_E_clISt17integral_constantIbLb1EES11_EEDaSW_SX_EUlSW_E_NS1_11comp_targetILNS1_3genE10ELNS1_11target_archE1201ELNS1_3gpuE5ELNS1_3repE0EEENS1_30default_config_static_selectorELNS0_4arch9wavefront6targetE0EEEvT1_.num_agpr, 0
	.set _ZN7rocprim17ROCPRIM_400000_NS6detail17trampoline_kernelINS0_14default_configENS1_27scan_by_key_config_selectorIiyEEZZNS1_16scan_by_key_implILNS1_25lookback_scan_determinismE0ELb1ES3_N6thrust23THRUST_200600_302600_NS6detail15normal_iteratorINS9_10device_ptrIiEEEENSB_INSC_IyEEEESG_yNS9_4plusIvEENS9_8equal_toIvEEyEE10hipError_tPvRmT2_T3_T4_T5_mT6_T7_P12ihipStream_tbENKUlT_T0_E_clISt17integral_constantIbLb1EES11_EEDaSW_SX_EUlSW_E_NS1_11comp_targetILNS1_3genE10ELNS1_11target_archE1201ELNS1_3gpuE5ELNS1_3repE0EEENS1_30default_config_static_selectorELNS0_4arch9wavefront6targetE0EEEvT1_.numbered_sgpr, 0
	.set _ZN7rocprim17ROCPRIM_400000_NS6detail17trampoline_kernelINS0_14default_configENS1_27scan_by_key_config_selectorIiyEEZZNS1_16scan_by_key_implILNS1_25lookback_scan_determinismE0ELb1ES3_N6thrust23THRUST_200600_302600_NS6detail15normal_iteratorINS9_10device_ptrIiEEEENSB_INSC_IyEEEESG_yNS9_4plusIvEENS9_8equal_toIvEEyEE10hipError_tPvRmT2_T3_T4_T5_mT6_T7_P12ihipStream_tbENKUlT_T0_E_clISt17integral_constantIbLb1EES11_EEDaSW_SX_EUlSW_E_NS1_11comp_targetILNS1_3genE10ELNS1_11target_archE1201ELNS1_3gpuE5ELNS1_3repE0EEENS1_30default_config_static_selectorELNS0_4arch9wavefront6targetE0EEEvT1_.num_named_barrier, 0
	.set _ZN7rocprim17ROCPRIM_400000_NS6detail17trampoline_kernelINS0_14default_configENS1_27scan_by_key_config_selectorIiyEEZZNS1_16scan_by_key_implILNS1_25lookback_scan_determinismE0ELb1ES3_N6thrust23THRUST_200600_302600_NS6detail15normal_iteratorINS9_10device_ptrIiEEEENSB_INSC_IyEEEESG_yNS9_4plusIvEENS9_8equal_toIvEEyEE10hipError_tPvRmT2_T3_T4_T5_mT6_T7_P12ihipStream_tbENKUlT_T0_E_clISt17integral_constantIbLb1EES11_EEDaSW_SX_EUlSW_E_NS1_11comp_targetILNS1_3genE10ELNS1_11target_archE1201ELNS1_3gpuE5ELNS1_3repE0EEENS1_30default_config_static_selectorELNS0_4arch9wavefront6targetE0EEEvT1_.private_seg_size, 0
	.set _ZN7rocprim17ROCPRIM_400000_NS6detail17trampoline_kernelINS0_14default_configENS1_27scan_by_key_config_selectorIiyEEZZNS1_16scan_by_key_implILNS1_25lookback_scan_determinismE0ELb1ES3_N6thrust23THRUST_200600_302600_NS6detail15normal_iteratorINS9_10device_ptrIiEEEENSB_INSC_IyEEEESG_yNS9_4plusIvEENS9_8equal_toIvEEyEE10hipError_tPvRmT2_T3_T4_T5_mT6_T7_P12ihipStream_tbENKUlT_T0_E_clISt17integral_constantIbLb1EES11_EEDaSW_SX_EUlSW_E_NS1_11comp_targetILNS1_3genE10ELNS1_11target_archE1201ELNS1_3gpuE5ELNS1_3repE0EEENS1_30default_config_static_selectorELNS0_4arch9wavefront6targetE0EEEvT1_.uses_vcc, 0
	.set _ZN7rocprim17ROCPRIM_400000_NS6detail17trampoline_kernelINS0_14default_configENS1_27scan_by_key_config_selectorIiyEEZZNS1_16scan_by_key_implILNS1_25lookback_scan_determinismE0ELb1ES3_N6thrust23THRUST_200600_302600_NS6detail15normal_iteratorINS9_10device_ptrIiEEEENSB_INSC_IyEEEESG_yNS9_4plusIvEENS9_8equal_toIvEEyEE10hipError_tPvRmT2_T3_T4_T5_mT6_T7_P12ihipStream_tbENKUlT_T0_E_clISt17integral_constantIbLb1EES11_EEDaSW_SX_EUlSW_E_NS1_11comp_targetILNS1_3genE10ELNS1_11target_archE1201ELNS1_3gpuE5ELNS1_3repE0EEENS1_30default_config_static_selectorELNS0_4arch9wavefront6targetE0EEEvT1_.uses_flat_scratch, 0
	.set _ZN7rocprim17ROCPRIM_400000_NS6detail17trampoline_kernelINS0_14default_configENS1_27scan_by_key_config_selectorIiyEEZZNS1_16scan_by_key_implILNS1_25lookback_scan_determinismE0ELb1ES3_N6thrust23THRUST_200600_302600_NS6detail15normal_iteratorINS9_10device_ptrIiEEEENSB_INSC_IyEEEESG_yNS9_4plusIvEENS9_8equal_toIvEEyEE10hipError_tPvRmT2_T3_T4_T5_mT6_T7_P12ihipStream_tbENKUlT_T0_E_clISt17integral_constantIbLb1EES11_EEDaSW_SX_EUlSW_E_NS1_11comp_targetILNS1_3genE10ELNS1_11target_archE1201ELNS1_3gpuE5ELNS1_3repE0EEENS1_30default_config_static_selectorELNS0_4arch9wavefront6targetE0EEEvT1_.has_dyn_sized_stack, 0
	.set _ZN7rocprim17ROCPRIM_400000_NS6detail17trampoline_kernelINS0_14default_configENS1_27scan_by_key_config_selectorIiyEEZZNS1_16scan_by_key_implILNS1_25lookback_scan_determinismE0ELb1ES3_N6thrust23THRUST_200600_302600_NS6detail15normal_iteratorINS9_10device_ptrIiEEEENSB_INSC_IyEEEESG_yNS9_4plusIvEENS9_8equal_toIvEEyEE10hipError_tPvRmT2_T3_T4_T5_mT6_T7_P12ihipStream_tbENKUlT_T0_E_clISt17integral_constantIbLb1EES11_EEDaSW_SX_EUlSW_E_NS1_11comp_targetILNS1_3genE10ELNS1_11target_archE1201ELNS1_3gpuE5ELNS1_3repE0EEENS1_30default_config_static_selectorELNS0_4arch9wavefront6targetE0EEEvT1_.has_recursion, 0
	.set _ZN7rocprim17ROCPRIM_400000_NS6detail17trampoline_kernelINS0_14default_configENS1_27scan_by_key_config_selectorIiyEEZZNS1_16scan_by_key_implILNS1_25lookback_scan_determinismE0ELb1ES3_N6thrust23THRUST_200600_302600_NS6detail15normal_iteratorINS9_10device_ptrIiEEEENSB_INSC_IyEEEESG_yNS9_4plusIvEENS9_8equal_toIvEEyEE10hipError_tPvRmT2_T3_T4_T5_mT6_T7_P12ihipStream_tbENKUlT_T0_E_clISt17integral_constantIbLb1EES11_EEDaSW_SX_EUlSW_E_NS1_11comp_targetILNS1_3genE10ELNS1_11target_archE1201ELNS1_3gpuE5ELNS1_3repE0EEENS1_30default_config_static_selectorELNS0_4arch9wavefront6targetE0EEEvT1_.has_indirect_call, 0
	.section	.AMDGPU.csdata,"",@progbits
; Kernel info:
; codeLenInByte = 0
; TotalNumSgprs: 0
; NumVgprs: 0
; ScratchSize: 0
; MemoryBound: 0
; FloatMode: 240
; IeeeMode: 1
; LDSByteSize: 0 bytes/workgroup (compile time only)
; SGPRBlocks: 0
; VGPRBlocks: 0
; NumSGPRsForWavesPerEU: 1
; NumVGPRsForWavesPerEU: 1
; Occupancy: 16
; WaveLimiterHint : 0
; COMPUTE_PGM_RSRC2:SCRATCH_EN: 0
; COMPUTE_PGM_RSRC2:USER_SGPR: 6
; COMPUTE_PGM_RSRC2:TRAP_HANDLER: 0
; COMPUTE_PGM_RSRC2:TGID_X_EN: 1
; COMPUTE_PGM_RSRC2:TGID_Y_EN: 0
; COMPUTE_PGM_RSRC2:TGID_Z_EN: 0
; COMPUTE_PGM_RSRC2:TIDIG_COMP_CNT: 0
	.section	.text._ZN7rocprim17ROCPRIM_400000_NS6detail17trampoline_kernelINS0_14default_configENS1_27scan_by_key_config_selectorIiyEEZZNS1_16scan_by_key_implILNS1_25lookback_scan_determinismE0ELb1ES3_N6thrust23THRUST_200600_302600_NS6detail15normal_iteratorINS9_10device_ptrIiEEEENSB_INSC_IyEEEESG_yNS9_4plusIvEENS9_8equal_toIvEEyEE10hipError_tPvRmT2_T3_T4_T5_mT6_T7_P12ihipStream_tbENKUlT_T0_E_clISt17integral_constantIbLb1EES11_EEDaSW_SX_EUlSW_E_NS1_11comp_targetILNS1_3genE5ELNS1_11target_archE942ELNS1_3gpuE9ELNS1_3repE0EEENS1_30default_config_static_selectorELNS0_4arch9wavefront6targetE0EEEvT1_,"axG",@progbits,_ZN7rocprim17ROCPRIM_400000_NS6detail17trampoline_kernelINS0_14default_configENS1_27scan_by_key_config_selectorIiyEEZZNS1_16scan_by_key_implILNS1_25lookback_scan_determinismE0ELb1ES3_N6thrust23THRUST_200600_302600_NS6detail15normal_iteratorINS9_10device_ptrIiEEEENSB_INSC_IyEEEESG_yNS9_4plusIvEENS9_8equal_toIvEEyEE10hipError_tPvRmT2_T3_T4_T5_mT6_T7_P12ihipStream_tbENKUlT_T0_E_clISt17integral_constantIbLb1EES11_EEDaSW_SX_EUlSW_E_NS1_11comp_targetILNS1_3genE5ELNS1_11target_archE942ELNS1_3gpuE9ELNS1_3repE0EEENS1_30default_config_static_selectorELNS0_4arch9wavefront6targetE0EEEvT1_,comdat
	.protected	_ZN7rocprim17ROCPRIM_400000_NS6detail17trampoline_kernelINS0_14default_configENS1_27scan_by_key_config_selectorIiyEEZZNS1_16scan_by_key_implILNS1_25lookback_scan_determinismE0ELb1ES3_N6thrust23THRUST_200600_302600_NS6detail15normal_iteratorINS9_10device_ptrIiEEEENSB_INSC_IyEEEESG_yNS9_4plusIvEENS9_8equal_toIvEEyEE10hipError_tPvRmT2_T3_T4_T5_mT6_T7_P12ihipStream_tbENKUlT_T0_E_clISt17integral_constantIbLb1EES11_EEDaSW_SX_EUlSW_E_NS1_11comp_targetILNS1_3genE5ELNS1_11target_archE942ELNS1_3gpuE9ELNS1_3repE0EEENS1_30default_config_static_selectorELNS0_4arch9wavefront6targetE0EEEvT1_ ; -- Begin function _ZN7rocprim17ROCPRIM_400000_NS6detail17trampoline_kernelINS0_14default_configENS1_27scan_by_key_config_selectorIiyEEZZNS1_16scan_by_key_implILNS1_25lookback_scan_determinismE0ELb1ES3_N6thrust23THRUST_200600_302600_NS6detail15normal_iteratorINS9_10device_ptrIiEEEENSB_INSC_IyEEEESG_yNS9_4plusIvEENS9_8equal_toIvEEyEE10hipError_tPvRmT2_T3_T4_T5_mT6_T7_P12ihipStream_tbENKUlT_T0_E_clISt17integral_constantIbLb1EES11_EEDaSW_SX_EUlSW_E_NS1_11comp_targetILNS1_3genE5ELNS1_11target_archE942ELNS1_3gpuE9ELNS1_3repE0EEENS1_30default_config_static_selectorELNS0_4arch9wavefront6targetE0EEEvT1_
	.globl	_ZN7rocprim17ROCPRIM_400000_NS6detail17trampoline_kernelINS0_14default_configENS1_27scan_by_key_config_selectorIiyEEZZNS1_16scan_by_key_implILNS1_25lookback_scan_determinismE0ELb1ES3_N6thrust23THRUST_200600_302600_NS6detail15normal_iteratorINS9_10device_ptrIiEEEENSB_INSC_IyEEEESG_yNS9_4plusIvEENS9_8equal_toIvEEyEE10hipError_tPvRmT2_T3_T4_T5_mT6_T7_P12ihipStream_tbENKUlT_T0_E_clISt17integral_constantIbLb1EES11_EEDaSW_SX_EUlSW_E_NS1_11comp_targetILNS1_3genE5ELNS1_11target_archE942ELNS1_3gpuE9ELNS1_3repE0EEENS1_30default_config_static_selectorELNS0_4arch9wavefront6targetE0EEEvT1_
	.p2align	8
	.type	_ZN7rocprim17ROCPRIM_400000_NS6detail17trampoline_kernelINS0_14default_configENS1_27scan_by_key_config_selectorIiyEEZZNS1_16scan_by_key_implILNS1_25lookback_scan_determinismE0ELb1ES3_N6thrust23THRUST_200600_302600_NS6detail15normal_iteratorINS9_10device_ptrIiEEEENSB_INSC_IyEEEESG_yNS9_4plusIvEENS9_8equal_toIvEEyEE10hipError_tPvRmT2_T3_T4_T5_mT6_T7_P12ihipStream_tbENKUlT_T0_E_clISt17integral_constantIbLb1EES11_EEDaSW_SX_EUlSW_E_NS1_11comp_targetILNS1_3genE5ELNS1_11target_archE942ELNS1_3gpuE9ELNS1_3repE0EEENS1_30default_config_static_selectorELNS0_4arch9wavefront6targetE0EEEvT1_,@function
_ZN7rocprim17ROCPRIM_400000_NS6detail17trampoline_kernelINS0_14default_configENS1_27scan_by_key_config_selectorIiyEEZZNS1_16scan_by_key_implILNS1_25lookback_scan_determinismE0ELb1ES3_N6thrust23THRUST_200600_302600_NS6detail15normal_iteratorINS9_10device_ptrIiEEEENSB_INSC_IyEEEESG_yNS9_4plusIvEENS9_8equal_toIvEEyEE10hipError_tPvRmT2_T3_T4_T5_mT6_T7_P12ihipStream_tbENKUlT_T0_E_clISt17integral_constantIbLb1EES11_EEDaSW_SX_EUlSW_E_NS1_11comp_targetILNS1_3genE5ELNS1_11target_archE942ELNS1_3gpuE9ELNS1_3repE0EEENS1_30default_config_static_selectorELNS0_4arch9wavefront6targetE0EEEvT1_: ; @_ZN7rocprim17ROCPRIM_400000_NS6detail17trampoline_kernelINS0_14default_configENS1_27scan_by_key_config_selectorIiyEEZZNS1_16scan_by_key_implILNS1_25lookback_scan_determinismE0ELb1ES3_N6thrust23THRUST_200600_302600_NS6detail15normal_iteratorINS9_10device_ptrIiEEEENSB_INSC_IyEEEESG_yNS9_4plusIvEENS9_8equal_toIvEEyEE10hipError_tPvRmT2_T3_T4_T5_mT6_T7_P12ihipStream_tbENKUlT_T0_E_clISt17integral_constantIbLb1EES11_EEDaSW_SX_EUlSW_E_NS1_11comp_targetILNS1_3genE5ELNS1_11target_archE942ELNS1_3gpuE9ELNS1_3repE0EEENS1_30default_config_static_selectorELNS0_4arch9wavefront6targetE0EEEvT1_
; %bb.0:
	.section	.rodata,"a",@progbits
	.p2align	6, 0x0
	.amdhsa_kernel _ZN7rocprim17ROCPRIM_400000_NS6detail17trampoline_kernelINS0_14default_configENS1_27scan_by_key_config_selectorIiyEEZZNS1_16scan_by_key_implILNS1_25lookback_scan_determinismE0ELb1ES3_N6thrust23THRUST_200600_302600_NS6detail15normal_iteratorINS9_10device_ptrIiEEEENSB_INSC_IyEEEESG_yNS9_4plusIvEENS9_8equal_toIvEEyEE10hipError_tPvRmT2_T3_T4_T5_mT6_T7_P12ihipStream_tbENKUlT_T0_E_clISt17integral_constantIbLb1EES11_EEDaSW_SX_EUlSW_E_NS1_11comp_targetILNS1_3genE5ELNS1_11target_archE942ELNS1_3gpuE9ELNS1_3repE0EEENS1_30default_config_static_selectorELNS0_4arch9wavefront6targetE0EEEvT1_
		.amdhsa_group_segment_fixed_size 0
		.amdhsa_private_segment_fixed_size 0
		.amdhsa_kernarg_size 136
		.amdhsa_user_sgpr_count 6
		.amdhsa_user_sgpr_private_segment_buffer 1
		.amdhsa_user_sgpr_dispatch_ptr 0
		.amdhsa_user_sgpr_queue_ptr 0
		.amdhsa_user_sgpr_kernarg_segment_ptr 1
		.amdhsa_user_sgpr_dispatch_id 0
		.amdhsa_user_sgpr_flat_scratch_init 0
		.amdhsa_user_sgpr_private_segment_size 0
		.amdhsa_wavefront_size32 1
		.amdhsa_uses_dynamic_stack 0
		.amdhsa_system_sgpr_private_segment_wavefront_offset 0
		.amdhsa_system_sgpr_workgroup_id_x 1
		.amdhsa_system_sgpr_workgroup_id_y 0
		.amdhsa_system_sgpr_workgroup_id_z 0
		.amdhsa_system_sgpr_workgroup_info 0
		.amdhsa_system_vgpr_workitem_id 0
		.amdhsa_next_free_vgpr 1
		.amdhsa_next_free_sgpr 1
		.amdhsa_reserve_vcc 0
		.amdhsa_reserve_flat_scratch 0
		.amdhsa_float_round_mode_32 0
		.amdhsa_float_round_mode_16_64 0
		.amdhsa_float_denorm_mode_32 3
		.amdhsa_float_denorm_mode_16_64 3
		.amdhsa_dx10_clamp 1
		.amdhsa_ieee_mode 1
		.amdhsa_fp16_overflow 0
		.amdhsa_workgroup_processor_mode 1
		.amdhsa_memory_ordered 1
		.amdhsa_forward_progress 1
		.amdhsa_shared_vgpr_count 0
		.amdhsa_exception_fp_ieee_invalid_op 0
		.amdhsa_exception_fp_denorm_src 0
		.amdhsa_exception_fp_ieee_div_zero 0
		.amdhsa_exception_fp_ieee_overflow 0
		.amdhsa_exception_fp_ieee_underflow 0
		.amdhsa_exception_fp_ieee_inexact 0
		.amdhsa_exception_int_div_zero 0
	.end_amdhsa_kernel
	.section	.text._ZN7rocprim17ROCPRIM_400000_NS6detail17trampoline_kernelINS0_14default_configENS1_27scan_by_key_config_selectorIiyEEZZNS1_16scan_by_key_implILNS1_25lookback_scan_determinismE0ELb1ES3_N6thrust23THRUST_200600_302600_NS6detail15normal_iteratorINS9_10device_ptrIiEEEENSB_INSC_IyEEEESG_yNS9_4plusIvEENS9_8equal_toIvEEyEE10hipError_tPvRmT2_T3_T4_T5_mT6_T7_P12ihipStream_tbENKUlT_T0_E_clISt17integral_constantIbLb1EES11_EEDaSW_SX_EUlSW_E_NS1_11comp_targetILNS1_3genE5ELNS1_11target_archE942ELNS1_3gpuE9ELNS1_3repE0EEENS1_30default_config_static_selectorELNS0_4arch9wavefront6targetE0EEEvT1_,"axG",@progbits,_ZN7rocprim17ROCPRIM_400000_NS6detail17trampoline_kernelINS0_14default_configENS1_27scan_by_key_config_selectorIiyEEZZNS1_16scan_by_key_implILNS1_25lookback_scan_determinismE0ELb1ES3_N6thrust23THRUST_200600_302600_NS6detail15normal_iteratorINS9_10device_ptrIiEEEENSB_INSC_IyEEEESG_yNS9_4plusIvEENS9_8equal_toIvEEyEE10hipError_tPvRmT2_T3_T4_T5_mT6_T7_P12ihipStream_tbENKUlT_T0_E_clISt17integral_constantIbLb1EES11_EEDaSW_SX_EUlSW_E_NS1_11comp_targetILNS1_3genE5ELNS1_11target_archE942ELNS1_3gpuE9ELNS1_3repE0EEENS1_30default_config_static_selectorELNS0_4arch9wavefront6targetE0EEEvT1_,comdat
.Lfunc_end1474:
	.size	_ZN7rocprim17ROCPRIM_400000_NS6detail17trampoline_kernelINS0_14default_configENS1_27scan_by_key_config_selectorIiyEEZZNS1_16scan_by_key_implILNS1_25lookback_scan_determinismE0ELb1ES3_N6thrust23THRUST_200600_302600_NS6detail15normal_iteratorINS9_10device_ptrIiEEEENSB_INSC_IyEEEESG_yNS9_4plusIvEENS9_8equal_toIvEEyEE10hipError_tPvRmT2_T3_T4_T5_mT6_T7_P12ihipStream_tbENKUlT_T0_E_clISt17integral_constantIbLb1EES11_EEDaSW_SX_EUlSW_E_NS1_11comp_targetILNS1_3genE5ELNS1_11target_archE942ELNS1_3gpuE9ELNS1_3repE0EEENS1_30default_config_static_selectorELNS0_4arch9wavefront6targetE0EEEvT1_, .Lfunc_end1474-_ZN7rocprim17ROCPRIM_400000_NS6detail17trampoline_kernelINS0_14default_configENS1_27scan_by_key_config_selectorIiyEEZZNS1_16scan_by_key_implILNS1_25lookback_scan_determinismE0ELb1ES3_N6thrust23THRUST_200600_302600_NS6detail15normal_iteratorINS9_10device_ptrIiEEEENSB_INSC_IyEEEESG_yNS9_4plusIvEENS9_8equal_toIvEEyEE10hipError_tPvRmT2_T3_T4_T5_mT6_T7_P12ihipStream_tbENKUlT_T0_E_clISt17integral_constantIbLb1EES11_EEDaSW_SX_EUlSW_E_NS1_11comp_targetILNS1_3genE5ELNS1_11target_archE942ELNS1_3gpuE9ELNS1_3repE0EEENS1_30default_config_static_selectorELNS0_4arch9wavefront6targetE0EEEvT1_
                                        ; -- End function
	.set _ZN7rocprim17ROCPRIM_400000_NS6detail17trampoline_kernelINS0_14default_configENS1_27scan_by_key_config_selectorIiyEEZZNS1_16scan_by_key_implILNS1_25lookback_scan_determinismE0ELb1ES3_N6thrust23THRUST_200600_302600_NS6detail15normal_iteratorINS9_10device_ptrIiEEEENSB_INSC_IyEEEESG_yNS9_4plusIvEENS9_8equal_toIvEEyEE10hipError_tPvRmT2_T3_T4_T5_mT6_T7_P12ihipStream_tbENKUlT_T0_E_clISt17integral_constantIbLb1EES11_EEDaSW_SX_EUlSW_E_NS1_11comp_targetILNS1_3genE5ELNS1_11target_archE942ELNS1_3gpuE9ELNS1_3repE0EEENS1_30default_config_static_selectorELNS0_4arch9wavefront6targetE0EEEvT1_.num_vgpr, 0
	.set _ZN7rocprim17ROCPRIM_400000_NS6detail17trampoline_kernelINS0_14default_configENS1_27scan_by_key_config_selectorIiyEEZZNS1_16scan_by_key_implILNS1_25lookback_scan_determinismE0ELb1ES3_N6thrust23THRUST_200600_302600_NS6detail15normal_iteratorINS9_10device_ptrIiEEEENSB_INSC_IyEEEESG_yNS9_4plusIvEENS9_8equal_toIvEEyEE10hipError_tPvRmT2_T3_T4_T5_mT6_T7_P12ihipStream_tbENKUlT_T0_E_clISt17integral_constantIbLb1EES11_EEDaSW_SX_EUlSW_E_NS1_11comp_targetILNS1_3genE5ELNS1_11target_archE942ELNS1_3gpuE9ELNS1_3repE0EEENS1_30default_config_static_selectorELNS0_4arch9wavefront6targetE0EEEvT1_.num_agpr, 0
	.set _ZN7rocprim17ROCPRIM_400000_NS6detail17trampoline_kernelINS0_14default_configENS1_27scan_by_key_config_selectorIiyEEZZNS1_16scan_by_key_implILNS1_25lookback_scan_determinismE0ELb1ES3_N6thrust23THRUST_200600_302600_NS6detail15normal_iteratorINS9_10device_ptrIiEEEENSB_INSC_IyEEEESG_yNS9_4plusIvEENS9_8equal_toIvEEyEE10hipError_tPvRmT2_T3_T4_T5_mT6_T7_P12ihipStream_tbENKUlT_T0_E_clISt17integral_constantIbLb1EES11_EEDaSW_SX_EUlSW_E_NS1_11comp_targetILNS1_3genE5ELNS1_11target_archE942ELNS1_3gpuE9ELNS1_3repE0EEENS1_30default_config_static_selectorELNS0_4arch9wavefront6targetE0EEEvT1_.numbered_sgpr, 0
	.set _ZN7rocprim17ROCPRIM_400000_NS6detail17trampoline_kernelINS0_14default_configENS1_27scan_by_key_config_selectorIiyEEZZNS1_16scan_by_key_implILNS1_25lookback_scan_determinismE0ELb1ES3_N6thrust23THRUST_200600_302600_NS6detail15normal_iteratorINS9_10device_ptrIiEEEENSB_INSC_IyEEEESG_yNS9_4plusIvEENS9_8equal_toIvEEyEE10hipError_tPvRmT2_T3_T4_T5_mT6_T7_P12ihipStream_tbENKUlT_T0_E_clISt17integral_constantIbLb1EES11_EEDaSW_SX_EUlSW_E_NS1_11comp_targetILNS1_3genE5ELNS1_11target_archE942ELNS1_3gpuE9ELNS1_3repE0EEENS1_30default_config_static_selectorELNS0_4arch9wavefront6targetE0EEEvT1_.num_named_barrier, 0
	.set _ZN7rocprim17ROCPRIM_400000_NS6detail17trampoline_kernelINS0_14default_configENS1_27scan_by_key_config_selectorIiyEEZZNS1_16scan_by_key_implILNS1_25lookback_scan_determinismE0ELb1ES3_N6thrust23THRUST_200600_302600_NS6detail15normal_iteratorINS9_10device_ptrIiEEEENSB_INSC_IyEEEESG_yNS9_4plusIvEENS9_8equal_toIvEEyEE10hipError_tPvRmT2_T3_T4_T5_mT6_T7_P12ihipStream_tbENKUlT_T0_E_clISt17integral_constantIbLb1EES11_EEDaSW_SX_EUlSW_E_NS1_11comp_targetILNS1_3genE5ELNS1_11target_archE942ELNS1_3gpuE9ELNS1_3repE0EEENS1_30default_config_static_selectorELNS0_4arch9wavefront6targetE0EEEvT1_.private_seg_size, 0
	.set _ZN7rocprim17ROCPRIM_400000_NS6detail17trampoline_kernelINS0_14default_configENS1_27scan_by_key_config_selectorIiyEEZZNS1_16scan_by_key_implILNS1_25lookback_scan_determinismE0ELb1ES3_N6thrust23THRUST_200600_302600_NS6detail15normal_iteratorINS9_10device_ptrIiEEEENSB_INSC_IyEEEESG_yNS9_4plusIvEENS9_8equal_toIvEEyEE10hipError_tPvRmT2_T3_T4_T5_mT6_T7_P12ihipStream_tbENKUlT_T0_E_clISt17integral_constantIbLb1EES11_EEDaSW_SX_EUlSW_E_NS1_11comp_targetILNS1_3genE5ELNS1_11target_archE942ELNS1_3gpuE9ELNS1_3repE0EEENS1_30default_config_static_selectorELNS0_4arch9wavefront6targetE0EEEvT1_.uses_vcc, 0
	.set _ZN7rocprim17ROCPRIM_400000_NS6detail17trampoline_kernelINS0_14default_configENS1_27scan_by_key_config_selectorIiyEEZZNS1_16scan_by_key_implILNS1_25lookback_scan_determinismE0ELb1ES3_N6thrust23THRUST_200600_302600_NS6detail15normal_iteratorINS9_10device_ptrIiEEEENSB_INSC_IyEEEESG_yNS9_4plusIvEENS9_8equal_toIvEEyEE10hipError_tPvRmT2_T3_T4_T5_mT6_T7_P12ihipStream_tbENKUlT_T0_E_clISt17integral_constantIbLb1EES11_EEDaSW_SX_EUlSW_E_NS1_11comp_targetILNS1_3genE5ELNS1_11target_archE942ELNS1_3gpuE9ELNS1_3repE0EEENS1_30default_config_static_selectorELNS0_4arch9wavefront6targetE0EEEvT1_.uses_flat_scratch, 0
	.set _ZN7rocprim17ROCPRIM_400000_NS6detail17trampoline_kernelINS0_14default_configENS1_27scan_by_key_config_selectorIiyEEZZNS1_16scan_by_key_implILNS1_25lookback_scan_determinismE0ELb1ES3_N6thrust23THRUST_200600_302600_NS6detail15normal_iteratorINS9_10device_ptrIiEEEENSB_INSC_IyEEEESG_yNS9_4plusIvEENS9_8equal_toIvEEyEE10hipError_tPvRmT2_T3_T4_T5_mT6_T7_P12ihipStream_tbENKUlT_T0_E_clISt17integral_constantIbLb1EES11_EEDaSW_SX_EUlSW_E_NS1_11comp_targetILNS1_3genE5ELNS1_11target_archE942ELNS1_3gpuE9ELNS1_3repE0EEENS1_30default_config_static_selectorELNS0_4arch9wavefront6targetE0EEEvT1_.has_dyn_sized_stack, 0
	.set _ZN7rocprim17ROCPRIM_400000_NS6detail17trampoline_kernelINS0_14default_configENS1_27scan_by_key_config_selectorIiyEEZZNS1_16scan_by_key_implILNS1_25lookback_scan_determinismE0ELb1ES3_N6thrust23THRUST_200600_302600_NS6detail15normal_iteratorINS9_10device_ptrIiEEEENSB_INSC_IyEEEESG_yNS9_4plusIvEENS9_8equal_toIvEEyEE10hipError_tPvRmT2_T3_T4_T5_mT6_T7_P12ihipStream_tbENKUlT_T0_E_clISt17integral_constantIbLb1EES11_EEDaSW_SX_EUlSW_E_NS1_11comp_targetILNS1_3genE5ELNS1_11target_archE942ELNS1_3gpuE9ELNS1_3repE0EEENS1_30default_config_static_selectorELNS0_4arch9wavefront6targetE0EEEvT1_.has_recursion, 0
	.set _ZN7rocprim17ROCPRIM_400000_NS6detail17trampoline_kernelINS0_14default_configENS1_27scan_by_key_config_selectorIiyEEZZNS1_16scan_by_key_implILNS1_25lookback_scan_determinismE0ELb1ES3_N6thrust23THRUST_200600_302600_NS6detail15normal_iteratorINS9_10device_ptrIiEEEENSB_INSC_IyEEEESG_yNS9_4plusIvEENS9_8equal_toIvEEyEE10hipError_tPvRmT2_T3_T4_T5_mT6_T7_P12ihipStream_tbENKUlT_T0_E_clISt17integral_constantIbLb1EES11_EEDaSW_SX_EUlSW_E_NS1_11comp_targetILNS1_3genE5ELNS1_11target_archE942ELNS1_3gpuE9ELNS1_3repE0EEENS1_30default_config_static_selectorELNS0_4arch9wavefront6targetE0EEEvT1_.has_indirect_call, 0
	.section	.AMDGPU.csdata,"",@progbits
; Kernel info:
; codeLenInByte = 0
; TotalNumSgprs: 0
; NumVgprs: 0
; ScratchSize: 0
; MemoryBound: 0
; FloatMode: 240
; IeeeMode: 1
; LDSByteSize: 0 bytes/workgroup (compile time only)
; SGPRBlocks: 0
; VGPRBlocks: 0
; NumSGPRsForWavesPerEU: 1
; NumVGPRsForWavesPerEU: 1
; Occupancy: 16
; WaveLimiterHint : 0
; COMPUTE_PGM_RSRC2:SCRATCH_EN: 0
; COMPUTE_PGM_RSRC2:USER_SGPR: 6
; COMPUTE_PGM_RSRC2:TRAP_HANDLER: 0
; COMPUTE_PGM_RSRC2:TGID_X_EN: 1
; COMPUTE_PGM_RSRC2:TGID_Y_EN: 0
; COMPUTE_PGM_RSRC2:TGID_Z_EN: 0
; COMPUTE_PGM_RSRC2:TIDIG_COMP_CNT: 0
	.section	.text._ZN7rocprim17ROCPRIM_400000_NS6detail17trampoline_kernelINS0_14default_configENS1_27scan_by_key_config_selectorIiyEEZZNS1_16scan_by_key_implILNS1_25lookback_scan_determinismE0ELb1ES3_N6thrust23THRUST_200600_302600_NS6detail15normal_iteratorINS9_10device_ptrIiEEEENSB_INSC_IyEEEESG_yNS9_4plusIvEENS9_8equal_toIvEEyEE10hipError_tPvRmT2_T3_T4_T5_mT6_T7_P12ihipStream_tbENKUlT_T0_E_clISt17integral_constantIbLb1EES11_EEDaSW_SX_EUlSW_E_NS1_11comp_targetILNS1_3genE4ELNS1_11target_archE910ELNS1_3gpuE8ELNS1_3repE0EEENS1_30default_config_static_selectorELNS0_4arch9wavefront6targetE0EEEvT1_,"axG",@progbits,_ZN7rocprim17ROCPRIM_400000_NS6detail17trampoline_kernelINS0_14default_configENS1_27scan_by_key_config_selectorIiyEEZZNS1_16scan_by_key_implILNS1_25lookback_scan_determinismE0ELb1ES3_N6thrust23THRUST_200600_302600_NS6detail15normal_iteratorINS9_10device_ptrIiEEEENSB_INSC_IyEEEESG_yNS9_4plusIvEENS9_8equal_toIvEEyEE10hipError_tPvRmT2_T3_T4_T5_mT6_T7_P12ihipStream_tbENKUlT_T0_E_clISt17integral_constantIbLb1EES11_EEDaSW_SX_EUlSW_E_NS1_11comp_targetILNS1_3genE4ELNS1_11target_archE910ELNS1_3gpuE8ELNS1_3repE0EEENS1_30default_config_static_selectorELNS0_4arch9wavefront6targetE0EEEvT1_,comdat
	.protected	_ZN7rocprim17ROCPRIM_400000_NS6detail17trampoline_kernelINS0_14default_configENS1_27scan_by_key_config_selectorIiyEEZZNS1_16scan_by_key_implILNS1_25lookback_scan_determinismE0ELb1ES3_N6thrust23THRUST_200600_302600_NS6detail15normal_iteratorINS9_10device_ptrIiEEEENSB_INSC_IyEEEESG_yNS9_4plusIvEENS9_8equal_toIvEEyEE10hipError_tPvRmT2_T3_T4_T5_mT6_T7_P12ihipStream_tbENKUlT_T0_E_clISt17integral_constantIbLb1EES11_EEDaSW_SX_EUlSW_E_NS1_11comp_targetILNS1_3genE4ELNS1_11target_archE910ELNS1_3gpuE8ELNS1_3repE0EEENS1_30default_config_static_selectorELNS0_4arch9wavefront6targetE0EEEvT1_ ; -- Begin function _ZN7rocprim17ROCPRIM_400000_NS6detail17trampoline_kernelINS0_14default_configENS1_27scan_by_key_config_selectorIiyEEZZNS1_16scan_by_key_implILNS1_25lookback_scan_determinismE0ELb1ES3_N6thrust23THRUST_200600_302600_NS6detail15normal_iteratorINS9_10device_ptrIiEEEENSB_INSC_IyEEEESG_yNS9_4plusIvEENS9_8equal_toIvEEyEE10hipError_tPvRmT2_T3_T4_T5_mT6_T7_P12ihipStream_tbENKUlT_T0_E_clISt17integral_constantIbLb1EES11_EEDaSW_SX_EUlSW_E_NS1_11comp_targetILNS1_3genE4ELNS1_11target_archE910ELNS1_3gpuE8ELNS1_3repE0EEENS1_30default_config_static_selectorELNS0_4arch9wavefront6targetE0EEEvT1_
	.globl	_ZN7rocprim17ROCPRIM_400000_NS6detail17trampoline_kernelINS0_14default_configENS1_27scan_by_key_config_selectorIiyEEZZNS1_16scan_by_key_implILNS1_25lookback_scan_determinismE0ELb1ES3_N6thrust23THRUST_200600_302600_NS6detail15normal_iteratorINS9_10device_ptrIiEEEENSB_INSC_IyEEEESG_yNS9_4plusIvEENS9_8equal_toIvEEyEE10hipError_tPvRmT2_T3_T4_T5_mT6_T7_P12ihipStream_tbENKUlT_T0_E_clISt17integral_constantIbLb1EES11_EEDaSW_SX_EUlSW_E_NS1_11comp_targetILNS1_3genE4ELNS1_11target_archE910ELNS1_3gpuE8ELNS1_3repE0EEENS1_30default_config_static_selectorELNS0_4arch9wavefront6targetE0EEEvT1_
	.p2align	8
	.type	_ZN7rocprim17ROCPRIM_400000_NS6detail17trampoline_kernelINS0_14default_configENS1_27scan_by_key_config_selectorIiyEEZZNS1_16scan_by_key_implILNS1_25lookback_scan_determinismE0ELb1ES3_N6thrust23THRUST_200600_302600_NS6detail15normal_iteratorINS9_10device_ptrIiEEEENSB_INSC_IyEEEESG_yNS9_4plusIvEENS9_8equal_toIvEEyEE10hipError_tPvRmT2_T3_T4_T5_mT6_T7_P12ihipStream_tbENKUlT_T0_E_clISt17integral_constantIbLb1EES11_EEDaSW_SX_EUlSW_E_NS1_11comp_targetILNS1_3genE4ELNS1_11target_archE910ELNS1_3gpuE8ELNS1_3repE0EEENS1_30default_config_static_selectorELNS0_4arch9wavefront6targetE0EEEvT1_,@function
_ZN7rocprim17ROCPRIM_400000_NS6detail17trampoline_kernelINS0_14default_configENS1_27scan_by_key_config_selectorIiyEEZZNS1_16scan_by_key_implILNS1_25lookback_scan_determinismE0ELb1ES3_N6thrust23THRUST_200600_302600_NS6detail15normal_iteratorINS9_10device_ptrIiEEEENSB_INSC_IyEEEESG_yNS9_4plusIvEENS9_8equal_toIvEEyEE10hipError_tPvRmT2_T3_T4_T5_mT6_T7_P12ihipStream_tbENKUlT_T0_E_clISt17integral_constantIbLb1EES11_EEDaSW_SX_EUlSW_E_NS1_11comp_targetILNS1_3genE4ELNS1_11target_archE910ELNS1_3gpuE8ELNS1_3repE0EEENS1_30default_config_static_selectorELNS0_4arch9wavefront6targetE0EEEvT1_: ; @_ZN7rocprim17ROCPRIM_400000_NS6detail17trampoline_kernelINS0_14default_configENS1_27scan_by_key_config_selectorIiyEEZZNS1_16scan_by_key_implILNS1_25lookback_scan_determinismE0ELb1ES3_N6thrust23THRUST_200600_302600_NS6detail15normal_iteratorINS9_10device_ptrIiEEEENSB_INSC_IyEEEESG_yNS9_4plusIvEENS9_8equal_toIvEEyEE10hipError_tPvRmT2_T3_T4_T5_mT6_T7_P12ihipStream_tbENKUlT_T0_E_clISt17integral_constantIbLb1EES11_EEDaSW_SX_EUlSW_E_NS1_11comp_targetILNS1_3genE4ELNS1_11target_archE910ELNS1_3gpuE8ELNS1_3repE0EEENS1_30default_config_static_selectorELNS0_4arch9wavefront6targetE0EEEvT1_
; %bb.0:
	.section	.rodata,"a",@progbits
	.p2align	6, 0x0
	.amdhsa_kernel _ZN7rocprim17ROCPRIM_400000_NS6detail17trampoline_kernelINS0_14default_configENS1_27scan_by_key_config_selectorIiyEEZZNS1_16scan_by_key_implILNS1_25lookback_scan_determinismE0ELb1ES3_N6thrust23THRUST_200600_302600_NS6detail15normal_iteratorINS9_10device_ptrIiEEEENSB_INSC_IyEEEESG_yNS9_4plusIvEENS9_8equal_toIvEEyEE10hipError_tPvRmT2_T3_T4_T5_mT6_T7_P12ihipStream_tbENKUlT_T0_E_clISt17integral_constantIbLb1EES11_EEDaSW_SX_EUlSW_E_NS1_11comp_targetILNS1_3genE4ELNS1_11target_archE910ELNS1_3gpuE8ELNS1_3repE0EEENS1_30default_config_static_selectorELNS0_4arch9wavefront6targetE0EEEvT1_
		.amdhsa_group_segment_fixed_size 0
		.amdhsa_private_segment_fixed_size 0
		.amdhsa_kernarg_size 136
		.amdhsa_user_sgpr_count 6
		.amdhsa_user_sgpr_private_segment_buffer 1
		.amdhsa_user_sgpr_dispatch_ptr 0
		.amdhsa_user_sgpr_queue_ptr 0
		.amdhsa_user_sgpr_kernarg_segment_ptr 1
		.amdhsa_user_sgpr_dispatch_id 0
		.amdhsa_user_sgpr_flat_scratch_init 0
		.amdhsa_user_sgpr_private_segment_size 0
		.amdhsa_wavefront_size32 1
		.amdhsa_uses_dynamic_stack 0
		.amdhsa_system_sgpr_private_segment_wavefront_offset 0
		.amdhsa_system_sgpr_workgroup_id_x 1
		.amdhsa_system_sgpr_workgroup_id_y 0
		.amdhsa_system_sgpr_workgroup_id_z 0
		.amdhsa_system_sgpr_workgroup_info 0
		.amdhsa_system_vgpr_workitem_id 0
		.amdhsa_next_free_vgpr 1
		.amdhsa_next_free_sgpr 1
		.amdhsa_reserve_vcc 0
		.amdhsa_reserve_flat_scratch 0
		.amdhsa_float_round_mode_32 0
		.amdhsa_float_round_mode_16_64 0
		.amdhsa_float_denorm_mode_32 3
		.amdhsa_float_denorm_mode_16_64 3
		.amdhsa_dx10_clamp 1
		.amdhsa_ieee_mode 1
		.amdhsa_fp16_overflow 0
		.amdhsa_workgroup_processor_mode 1
		.amdhsa_memory_ordered 1
		.amdhsa_forward_progress 1
		.amdhsa_shared_vgpr_count 0
		.amdhsa_exception_fp_ieee_invalid_op 0
		.amdhsa_exception_fp_denorm_src 0
		.amdhsa_exception_fp_ieee_div_zero 0
		.amdhsa_exception_fp_ieee_overflow 0
		.amdhsa_exception_fp_ieee_underflow 0
		.amdhsa_exception_fp_ieee_inexact 0
		.amdhsa_exception_int_div_zero 0
	.end_amdhsa_kernel
	.section	.text._ZN7rocprim17ROCPRIM_400000_NS6detail17trampoline_kernelINS0_14default_configENS1_27scan_by_key_config_selectorIiyEEZZNS1_16scan_by_key_implILNS1_25lookback_scan_determinismE0ELb1ES3_N6thrust23THRUST_200600_302600_NS6detail15normal_iteratorINS9_10device_ptrIiEEEENSB_INSC_IyEEEESG_yNS9_4plusIvEENS9_8equal_toIvEEyEE10hipError_tPvRmT2_T3_T4_T5_mT6_T7_P12ihipStream_tbENKUlT_T0_E_clISt17integral_constantIbLb1EES11_EEDaSW_SX_EUlSW_E_NS1_11comp_targetILNS1_3genE4ELNS1_11target_archE910ELNS1_3gpuE8ELNS1_3repE0EEENS1_30default_config_static_selectorELNS0_4arch9wavefront6targetE0EEEvT1_,"axG",@progbits,_ZN7rocprim17ROCPRIM_400000_NS6detail17trampoline_kernelINS0_14default_configENS1_27scan_by_key_config_selectorIiyEEZZNS1_16scan_by_key_implILNS1_25lookback_scan_determinismE0ELb1ES3_N6thrust23THRUST_200600_302600_NS6detail15normal_iteratorINS9_10device_ptrIiEEEENSB_INSC_IyEEEESG_yNS9_4plusIvEENS9_8equal_toIvEEyEE10hipError_tPvRmT2_T3_T4_T5_mT6_T7_P12ihipStream_tbENKUlT_T0_E_clISt17integral_constantIbLb1EES11_EEDaSW_SX_EUlSW_E_NS1_11comp_targetILNS1_3genE4ELNS1_11target_archE910ELNS1_3gpuE8ELNS1_3repE0EEENS1_30default_config_static_selectorELNS0_4arch9wavefront6targetE0EEEvT1_,comdat
.Lfunc_end1475:
	.size	_ZN7rocprim17ROCPRIM_400000_NS6detail17trampoline_kernelINS0_14default_configENS1_27scan_by_key_config_selectorIiyEEZZNS1_16scan_by_key_implILNS1_25lookback_scan_determinismE0ELb1ES3_N6thrust23THRUST_200600_302600_NS6detail15normal_iteratorINS9_10device_ptrIiEEEENSB_INSC_IyEEEESG_yNS9_4plusIvEENS9_8equal_toIvEEyEE10hipError_tPvRmT2_T3_T4_T5_mT6_T7_P12ihipStream_tbENKUlT_T0_E_clISt17integral_constantIbLb1EES11_EEDaSW_SX_EUlSW_E_NS1_11comp_targetILNS1_3genE4ELNS1_11target_archE910ELNS1_3gpuE8ELNS1_3repE0EEENS1_30default_config_static_selectorELNS0_4arch9wavefront6targetE0EEEvT1_, .Lfunc_end1475-_ZN7rocprim17ROCPRIM_400000_NS6detail17trampoline_kernelINS0_14default_configENS1_27scan_by_key_config_selectorIiyEEZZNS1_16scan_by_key_implILNS1_25lookback_scan_determinismE0ELb1ES3_N6thrust23THRUST_200600_302600_NS6detail15normal_iteratorINS9_10device_ptrIiEEEENSB_INSC_IyEEEESG_yNS9_4plusIvEENS9_8equal_toIvEEyEE10hipError_tPvRmT2_T3_T4_T5_mT6_T7_P12ihipStream_tbENKUlT_T0_E_clISt17integral_constantIbLb1EES11_EEDaSW_SX_EUlSW_E_NS1_11comp_targetILNS1_3genE4ELNS1_11target_archE910ELNS1_3gpuE8ELNS1_3repE0EEENS1_30default_config_static_selectorELNS0_4arch9wavefront6targetE0EEEvT1_
                                        ; -- End function
	.set _ZN7rocprim17ROCPRIM_400000_NS6detail17trampoline_kernelINS0_14default_configENS1_27scan_by_key_config_selectorIiyEEZZNS1_16scan_by_key_implILNS1_25lookback_scan_determinismE0ELb1ES3_N6thrust23THRUST_200600_302600_NS6detail15normal_iteratorINS9_10device_ptrIiEEEENSB_INSC_IyEEEESG_yNS9_4plusIvEENS9_8equal_toIvEEyEE10hipError_tPvRmT2_T3_T4_T5_mT6_T7_P12ihipStream_tbENKUlT_T0_E_clISt17integral_constantIbLb1EES11_EEDaSW_SX_EUlSW_E_NS1_11comp_targetILNS1_3genE4ELNS1_11target_archE910ELNS1_3gpuE8ELNS1_3repE0EEENS1_30default_config_static_selectorELNS0_4arch9wavefront6targetE0EEEvT1_.num_vgpr, 0
	.set _ZN7rocprim17ROCPRIM_400000_NS6detail17trampoline_kernelINS0_14default_configENS1_27scan_by_key_config_selectorIiyEEZZNS1_16scan_by_key_implILNS1_25lookback_scan_determinismE0ELb1ES3_N6thrust23THRUST_200600_302600_NS6detail15normal_iteratorINS9_10device_ptrIiEEEENSB_INSC_IyEEEESG_yNS9_4plusIvEENS9_8equal_toIvEEyEE10hipError_tPvRmT2_T3_T4_T5_mT6_T7_P12ihipStream_tbENKUlT_T0_E_clISt17integral_constantIbLb1EES11_EEDaSW_SX_EUlSW_E_NS1_11comp_targetILNS1_3genE4ELNS1_11target_archE910ELNS1_3gpuE8ELNS1_3repE0EEENS1_30default_config_static_selectorELNS0_4arch9wavefront6targetE0EEEvT1_.num_agpr, 0
	.set _ZN7rocprim17ROCPRIM_400000_NS6detail17trampoline_kernelINS0_14default_configENS1_27scan_by_key_config_selectorIiyEEZZNS1_16scan_by_key_implILNS1_25lookback_scan_determinismE0ELb1ES3_N6thrust23THRUST_200600_302600_NS6detail15normal_iteratorINS9_10device_ptrIiEEEENSB_INSC_IyEEEESG_yNS9_4plusIvEENS9_8equal_toIvEEyEE10hipError_tPvRmT2_T3_T4_T5_mT6_T7_P12ihipStream_tbENKUlT_T0_E_clISt17integral_constantIbLb1EES11_EEDaSW_SX_EUlSW_E_NS1_11comp_targetILNS1_3genE4ELNS1_11target_archE910ELNS1_3gpuE8ELNS1_3repE0EEENS1_30default_config_static_selectorELNS0_4arch9wavefront6targetE0EEEvT1_.numbered_sgpr, 0
	.set _ZN7rocprim17ROCPRIM_400000_NS6detail17trampoline_kernelINS0_14default_configENS1_27scan_by_key_config_selectorIiyEEZZNS1_16scan_by_key_implILNS1_25lookback_scan_determinismE0ELb1ES3_N6thrust23THRUST_200600_302600_NS6detail15normal_iteratorINS9_10device_ptrIiEEEENSB_INSC_IyEEEESG_yNS9_4plusIvEENS9_8equal_toIvEEyEE10hipError_tPvRmT2_T3_T4_T5_mT6_T7_P12ihipStream_tbENKUlT_T0_E_clISt17integral_constantIbLb1EES11_EEDaSW_SX_EUlSW_E_NS1_11comp_targetILNS1_3genE4ELNS1_11target_archE910ELNS1_3gpuE8ELNS1_3repE0EEENS1_30default_config_static_selectorELNS0_4arch9wavefront6targetE0EEEvT1_.num_named_barrier, 0
	.set _ZN7rocprim17ROCPRIM_400000_NS6detail17trampoline_kernelINS0_14default_configENS1_27scan_by_key_config_selectorIiyEEZZNS1_16scan_by_key_implILNS1_25lookback_scan_determinismE0ELb1ES3_N6thrust23THRUST_200600_302600_NS6detail15normal_iteratorINS9_10device_ptrIiEEEENSB_INSC_IyEEEESG_yNS9_4plusIvEENS9_8equal_toIvEEyEE10hipError_tPvRmT2_T3_T4_T5_mT6_T7_P12ihipStream_tbENKUlT_T0_E_clISt17integral_constantIbLb1EES11_EEDaSW_SX_EUlSW_E_NS1_11comp_targetILNS1_3genE4ELNS1_11target_archE910ELNS1_3gpuE8ELNS1_3repE0EEENS1_30default_config_static_selectorELNS0_4arch9wavefront6targetE0EEEvT1_.private_seg_size, 0
	.set _ZN7rocprim17ROCPRIM_400000_NS6detail17trampoline_kernelINS0_14default_configENS1_27scan_by_key_config_selectorIiyEEZZNS1_16scan_by_key_implILNS1_25lookback_scan_determinismE0ELb1ES3_N6thrust23THRUST_200600_302600_NS6detail15normal_iteratorINS9_10device_ptrIiEEEENSB_INSC_IyEEEESG_yNS9_4plusIvEENS9_8equal_toIvEEyEE10hipError_tPvRmT2_T3_T4_T5_mT6_T7_P12ihipStream_tbENKUlT_T0_E_clISt17integral_constantIbLb1EES11_EEDaSW_SX_EUlSW_E_NS1_11comp_targetILNS1_3genE4ELNS1_11target_archE910ELNS1_3gpuE8ELNS1_3repE0EEENS1_30default_config_static_selectorELNS0_4arch9wavefront6targetE0EEEvT1_.uses_vcc, 0
	.set _ZN7rocprim17ROCPRIM_400000_NS6detail17trampoline_kernelINS0_14default_configENS1_27scan_by_key_config_selectorIiyEEZZNS1_16scan_by_key_implILNS1_25lookback_scan_determinismE0ELb1ES3_N6thrust23THRUST_200600_302600_NS6detail15normal_iteratorINS9_10device_ptrIiEEEENSB_INSC_IyEEEESG_yNS9_4plusIvEENS9_8equal_toIvEEyEE10hipError_tPvRmT2_T3_T4_T5_mT6_T7_P12ihipStream_tbENKUlT_T0_E_clISt17integral_constantIbLb1EES11_EEDaSW_SX_EUlSW_E_NS1_11comp_targetILNS1_3genE4ELNS1_11target_archE910ELNS1_3gpuE8ELNS1_3repE0EEENS1_30default_config_static_selectorELNS0_4arch9wavefront6targetE0EEEvT1_.uses_flat_scratch, 0
	.set _ZN7rocprim17ROCPRIM_400000_NS6detail17trampoline_kernelINS0_14default_configENS1_27scan_by_key_config_selectorIiyEEZZNS1_16scan_by_key_implILNS1_25lookback_scan_determinismE0ELb1ES3_N6thrust23THRUST_200600_302600_NS6detail15normal_iteratorINS9_10device_ptrIiEEEENSB_INSC_IyEEEESG_yNS9_4plusIvEENS9_8equal_toIvEEyEE10hipError_tPvRmT2_T3_T4_T5_mT6_T7_P12ihipStream_tbENKUlT_T0_E_clISt17integral_constantIbLb1EES11_EEDaSW_SX_EUlSW_E_NS1_11comp_targetILNS1_3genE4ELNS1_11target_archE910ELNS1_3gpuE8ELNS1_3repE0EEENS1_30default_config_static_selectorELNS0_4arch9wavefront6targetE0EEEvT1_.has_dyn_sized_stack, 0
	.set _ZN7rocprim17ROCPRIM_400000_NS6detail17trampoline_kernelINS0_14default_configENS1_27scan_by_key_config_selectorIiyEEZZNS1_16scan_by_key_implILNS1_25lookback_scan_determinismE0ELb1ES3_N6thrust23THRUST_200600_302600_NS6detail15normal_iteratorINS9_10device_ptrIiEEEENSB_INSC_IyEEEESG_yNS9_4plusIvEENS9_8equal_toIvEEyEE10hipError_tPvRmT2_T3_T4_T5_mT6_T7_P12ihipStream_tbENKUlT_T0_E_clISt17integral_constantIbLb1EES11_EEDaSW_SX_EUlSW_E_NS1_11comp_targetILNS1_3genE4ELNS1_11target_archE910ELNS1_3gpuE8ELNS1_3repE0EEENS1_30default_config_static_selectorELNS0_4arch9wavefront6targetE0EEEvT1_.has_recursion, 0
	.set _ZN7rocprim17ROCPRIM_400000_NS6detail17trampoline_kernelINS0_14default_configENS1_27scan_by_key_config_selectorIiyEEZZNS1_16scan_by_key_implILNS1_25lookback_scan_determinismE0ELb1ES3_N6thrust23THRUST_200600_302600_NS6detail15normal_iteratorINS9_10device_ptrIiEEEENSB_INSC_IyEEEESG_yNS9_4plusIvEENS9_8equal_toIvEEyEE10hipError_tPvRmT2_T3_T4_T5_mT6_T7_P12ihipStream_tbENKUlT_T0_E_clISt17integral_constantIbLb1EES11_EEDaSW_SX_EUlSW_E_NS1_11comp_targetILNS1_3genE4ELNS1_11target_archE910ELNS1_3gpuE8ELNS1_3repE0EEENS1_30default_config_static_selectorELNS0_4arch9wavefront6targetE0EEEvT1_.has_indirect_call, 0
	.section	.AMDGPU.csdata,"",@progbits
; Kernel info:
; codeLenInByte = 0
; TotalNumSgprs: 0
; NumVgprs: 0
; ScratchSize: 0
; MemoryBound: 0
; FloatMode: 240
; IeeeMode: 1
; LDSByteSize: 0 bytes/workgroup (compile time only)
; SGPRBlocks: 0
; VGPRBlocks: 0
; NumSGPRsForWavesPerEU: 1
; NumVGPRsForWavesPerEU: 1
; Occupancy: 16
; WaveLimiterHint : 0
; COMPUTE_PGM_RSRC2:SCRATCH_EN: 0
; COMPUTE_PGM_RSRC2:USER_SGPR: 6
; COMPUTE_PGM_RSRC2:TRAP_HANDLER: 0
; COMPUTE_PGM_RSRC2:TGID_X_EN: 1
; COMPUTE_PGM_RSRC2:TGID_Y_EN: 0
; COMPUTE_PGM_RSRC2:TGID_Z_EN: 0
; COMPUTE_PGM_RSRC2:TIDIG_COMP_CNT: 0
	.section	.text._ZN7rocprim17ROCPRIM_400000_NS6detail17trampoline_kernelINS0_14default_configENS1_27scan_by_key_config_selectorIiyEEZZNS1_16scan_by_key_implILNS1_25lookback_scan_determinismE0ELb1ES3_N6thrust23THRUST_200600_302600_NS6detail15normal_iteratorINS9_10device_ptrIiEEEENSB_INSC_IyEEEESG_yNS9_4plusIvEENS9_8equal_toIvEEyEE10hipError_tPvRmT2_T3_T4_T5_mT6_T7_P12ihipStream_tbENKUlT_T0_E_clISt17integral_constantIbLb1EES11_EEDaSW_SX_EUlSW_E_NS1_11comp_targetILNS1_3genE3ELNS1_11target_archE908ELNS1_3gpuE7ELNS1_3repE0EEENS1_30default_config_static_selectorELNS0_4arch9wavefront6targetE0EEEvT1_,"axG",@progbits,_ZN7rocprim17ROCPRIM_400000_NS6detail17trampoline_kernelINS0_14default_configENS1_27scan_by_key_config_selectorIiyEEZZNS1_16scan_by_key_implILNS1_25lookback_scan_determinismE0ELb1ES3_N6thrust23THRUST_200600_302600_NS6detail15normal_iteratorINS9_10device_ptrIiEEEENSB_INSC_IyEEEESG_yNS9_4plusIvEENS9_8equal_toIvEEyEE10hipError_tPvRmT2_T3_T4_T5_mT6_T7_P12ihipStream_tbENKUlT_T0_E_clISt17integral_constantIbLb1EES11_EEDaSW_SX_EUlSW_E_NS1_11comp_targetILNS1_3genE3ELNS1_11target_archE908ELNS1_3gpuE7ELNS1_3repE0EEENS1_30default_config_static_selectorELNS0_4arch9wavefront6targetE0EEEvT1_,comdat
	.protected	_ZN7rocprim17ROCPRIM_400000_NS6detail17trampoline_kernelINS0_14default_configENS1_27scan_by_key_config_selectorIiyEEZZNS1_16scan_by_key_implILNS1_25lookback_scan_determinismE0ELb1ES3_N6thrust23THRUST_200600_302600_NS6detail15normal_iteratorINS9_10device_ptrIiEEEENSB_INSC_IyEEEESG_yNS9_4plusIvEENS9_8equal_toIvEEyEE10hipError_tPvRmT2_T3_T4_T5_mT6_T7_P12ihipStream_tbENKUlT_T0_E_clISt17integral_constantIbLb1EES11_EEDaSW_SX_EUlSW_E_NS1_11comp_targetILNS1_3genE3ELNS1_11target_archE908ELNS1_3gpuE7ELNS1_3repE0EEENS1_30default_config_static_selectorELNS0_4arch9wavefront6targetE0EEEvT1_ ; -- Begin function _ZN7rocprim17ROCPRIM_400000_NS6detail17trampoline_kernelINS0_14default_configENS1_27scan_by_key_config_selectorIiyEEZZNS1_16scan_by_key_implILNS1_25lookback_scan_determinismE0ELb1ES3_N6thrust23THRUST_200600_302600_NS6detail15normal_iteratorINS9_10device_ptrIiEEEENSB_INSC_IyEEEESG_yNS9_4plusIvEENS9_8equal_toIvEEyEE10hipError_tPvRmT2_T3_T4_T5_mT6_T7_P12ihipStream_tbENKUlT_T0_E_clISt17integral_constantIbLb1EES11_EEDaSW_SX_EUlSW_E_NS1_11comp_targetILNS1_3genE3ELNS1_11target_archE908ELNS1_3gpuE7ELNS1_3repE0EEENS1_30default_config_static_selectorELNS0_4arch9wavefront6targetE0EEEvT1_
	.globl	_ZN7rocprim17ROCPRIM_400000_NS6detail17trampoline_kernelINS0_14default_configENS1_27scan_by_key_config_selectorIiyEEZZNS1_16scan_by_key_implILNS1_25lookback_scan_determinismE0ELb1ES3_N6thrust23THRUST_200600_302600_NS6detail15normal_iteratorINS9_10device_ptrIiEEEENSB_INSC_IyEEEESG_yNS9_4plusIvEENS9_8equal_toIvEEyEE10hipError_tPvRmT2_T3_T4_T5_mT6_T7_P12ihipStream_tbENKUlT_T0_E_clISt17integral_constantIbLb1EES11_EEDaSW_SX_EUlSW_E_NS1_11comp_targetILNS1_3genE3ELNS1_11target_archE908ELNS1_3gpuE7ELNS1_3repE0EEENS1_30default_config_static_selectorELNS0_4arch9wavefront6targetE0EEEvT1_
	.p2align	8
	.type	_ZN7rocprim17ROCPRIM_400000_NS6detail17trampoline_kernelINS0_14default_configENS1_27scan_by_key_config_selectorIiyEEZZNS1_16scan_by_key_implILNS1_25lookback_scan_determinismE0ELb1ES3_N6thrust23THRUST_200600_302600_NS6detail15normal_iteratorINS9_10device_ptrIiEEEENSB_INSC_IyEEEESG_yNS9_4plusIvEENS9_8equal_toIvEEyEE10hipError_tPvRmT2_T3_T4_T5_mT6_T7_P12ihipStream_tbENKUlT_T0_E_clISt17integral_constantIbLb1EES11_EEDaSW_SX_EUlSW_E_NS1_11comp_targetILNS1_3genE3ELNS1_11target_archE908ELNS1_3gpuE7ELNS1_3repE0EEENS1_30default_config_static_selectorELNS0_4arch9wavefront6targetE0EEEvT1_,@function
_ZN7rocprim17ROCPRIM_400000_NS6detail17trampoline_kernelINS0_14default_configENS1_27scan_by_key_config_selectorIiyEEZZNS1_16scan_by_key_implILNS1_25lookback_scan_determinismE0ELb1ES3_N6thrust23THRUST_200600_302600_NS6detail15normal_iteratorINS9_10device_ptrIiEEEENSB_INSC_IyEEEESG_yNS9_4plusIvEENS9_8equal_toIvEEyEE10hipError_tPvRmT2_T3_T4_T5_mT6_T7_P12ihipStream_tbENKUlT_T0_E_clISt17integral_constantIbLb1EES11_EEDaSW_SX_EUlSW_E_NS1_11comp_targetILNS1_3genE3ELNS1_11target_archE908ELNS1_3gpuE7ELNS1_3repE0EEENS1_30default_config_static_selectorELNS0_4arch9wavefront6targetE0EEEvT1_: ; @_ZN7rocprim17ROCPRIM_400000_NS6detail17trampoline_kernelINS0_14default_configENS1_27scan_by_key_config_selectorIiyEEZZNS1_16scan_by_key_implILNS1_25lookback_scan_determinismE0ELb1ES3_N6thrust23THRUST_200600_302600_NS6detail15normal_iteratorINS9_10device_ptrIiEEEENSB_INSC_IyEEEESG_yNS9_4plusIvEENS9_8equal_toIvEEyEE10hipError_tPvRmT2_T3_T4_T5_mT6_T7_P12ihipStream_tbENKUlT_T0_E_clISt17integral_constantIbLb1EES11_EEDaSW_SX_EUlSW_E_NS1_11comp_targetILNS1_3genE3ELNS1_11target_archE908ELNS1_3gpuE7ELNS1_3repE0EEENS1_30default_config_static_selectorELNS0_4arch9wavefront6targetE0EEEvT1_
; %bb.0:
	.section	.rodata,"a",@progbits
	.p2align	6, 0x0
	.amdhsa_kernel _ZN7rocprim17ROCPRIM_400000_NS6detail17trampoline_kernelINS0_14default_configENS1_27scan_by_key_config_selectorIiyEEZZNS1_16scan_by_key_implILNS1_25lookback_scan_determinismE0ELb1ES3_N6thrust23THRUST_200600_302600_NS6detail15normal_iteratorINS9_10device_ptrIiEEEENSB_INSC_IyEEEESG_yNS9_4plusIvEENS9_8equal_toIvEEyEE10hipError_tPvRmT2_T3_T4_T5_mT6_T7_P12ihipStream_tbENKUlT_T0_E_clISt17integral_constantIbLb1EES11_EEDaSW_SX_EUlSW_E_NS1_11comp_targetILNS1_3genE3ELNS1_11target_archE908ELNS1_3gpuE7ELNS1_3repE0EEENS1_30default_config_static_selectorELNS0_4arch9wavefront6targetE0EEEvT1_
		.amdhsa_group_segment_fixed_size 0
		.amdhsa_private_segment_fixed_size 0
		.amdhsa_kernarg_size 136
		.amdhsa_user_sgpr_count 6
		.amdhsa_user_sgpr_private_segment_buffer 1
		.amdhsa_user_sgpr_dispatch_ptr 0
		.amdhsa_user_sgpr_queue_ptr 0
		.amdhsa_user_sgpr_kernarg_segment_ptr 1
		.amdhsa_user_sgpr_dispatch_id 0
		.amdhsa_user_sgpr_flat_scratch_init 0
		.amdhsa_user_sgpr_private_segment_size 0
		.amdhsa_wavefront_size32 1
		.amdhsa_uses_dynamic_stack 0
		.amdhsa_system_sgpr_private_segment_wavefront_offset 0
		.amdhsa_system_sgpr_workgroup_id_x 1
		.amdhsa_system_sgpr_workgroup_id_y 0
		.amdhsa_system_sgpr_workgroup_id_z 0
		.amdhsa_system_sgpr_workgroup_info 0
		.amdhsa_system_vgpr_workitem_id 0
		.amdhsa_next_free_vgpr 1
		.amdhsa_next_free_sgpr 1
		.amdhsa_reserve_vcc 0
		.amdhsa_reserve_flat_scratch 0
		.amdhsa_float_round_mode_32 0
		.amdhsa_float_round_mode_16_64 0
		.amdhsa_float_denorm_mode_32 3
		.amdhsa_float_denorm_mode_16_64 3
		.amdhsa_dx10_clamp 1
		.amdhsa_ieee_mode 1
		.amdhsa_fp16_overflow 0
		.amdhsa_workgroup_processor_mode 1
		.amdhsa_memory_ordered 1
		.amdhsa_forward_progress 1
		.amdhsa_shared_vgpr_count 0
		.amdhsa_exception_fp_ieee_invalid_op 0
		.amdhsa_exception_fp_denorm_src 0
		.amdhsa_exception_fp_ieee_div_zero 0
		.amdhsa_exception_fp_ieee_overflow 0
		.amdhsa_exception_fp_ieee_underflow 0
		.amdhsa_exception_fp_ieee_inexact 0
		.amdhsa_exception_int_div_zero 0
	.end_amdhsa_kernel
	.section	.text._ZN7rocprim17ROCPRIM_400000_NS6detail17trampoline_kernelINS0_14default_configENS1_27scan_by_key_config_selectorIiyEEZZNS1_16scan_by_key_implILNS1_25lookback_scan_determinismE0ELb1ES3_N6thrust23THRUST_200600_302600_NS6detail15normal_iteratorINS9_10device_ptrIiEEEENSB_INSC_IyEEEESG_yNS9_4plusIvEENS9_8equal_toIvEEyEE10hipError_tPvRmT2_T3_T4_T5_mT6_T7_P12ihipStream_tbENKUlT_T0_E_clISt17integral_constantIbLb1EES11_EEDaSW_SX_EUlSW_E_NS1_11comp_targetILNS1_3genE3ELNS1_11target_archE908ELNS1_3gpuE7ELNS1_3repE0EEENS1_30default_config_static_selectorELNS0_4arch9wavefront6targetE0EEEvT1_,"axG",@progbits,_ZN7rocprim17ROCPRIM_400000_NS6detail17trampoline_kernelINS0_14default_configENS1_27scan_by_key_config_selectorIiyEEZZNS1_16scan_by_key_implILNS1_25lookback_scan_determinismE0ELb1ES3_N6thrust23THRUST_200600_302600_NS6detail15normal_iteratorINS9_10device_ptrIiEEEENSB_INSC_IyEEEESG_yNS9_4plusIvEENS9_8equal_toIvEEyEE10hipError_tPvRmT2_T3_T4_T5_mT6_T7_P12ihipStream_tbENKUlT_T0_E_clISt17integral_constantIbLb1EES11_EEDaSW_SX_EUlSW_E_NS1_11comp_targetILNS1_3genE3ELNS1_11target_archE908ELNS1_3gpuE7ELNS1_3repE0EEENS1_30default_config_static_selectorELNS0_4arch9wavefront6targetE0EEEvT1_,comdat
.Lfunc_end1476:
	.size	_ZN7rocprim17ROCPRIM_400000_NS6detail17trampoline_kernelINS0_14default_configENS1_27scan_by_key_config_selectorIiyEEZZNS1_16scan_by_key_implILNS1_25lookback_scan_determinismE0ELb1ES3_N6thrust23THRUST_200600_302600_NS6detail15normal_iteratorINS9_10device_ptrIiEEEENSB_INSC_IyEEEESG_yNS9_4plusIvEENS9_8equal_toIvEEyEE10hipError_tPvRmT2_T3_T4_T5_mT6_T7_P12ihipStream_tbENKUlT_T0_E_clISt17integral_constantIbLb1EES11_EEDaSW_SX_EUlSW_E_NS1_11comp_targetILNS1_3genE3ELNS1_11target_archE908ELNS1_3gpuE7ELNS1_3repE0EEENS1_30default_config_static_selectorELNS0_4arch9wavefront6targetE0EEEvT1_, .Lfunc_end1476-_ZN7rocprim17ROCPRIM_400000_NS6detail17trampoline_kernelINS0_14default_configENS1_27scan_by_key_config_selectorIiyEEZZNS1_16scan_by_key_implILNS1_25lookback_scan_determinismE0ELb1ES3_N6thrust23THRUST_200600_302600_NS6detail15normal_iteratorINS9_10device_ptrIiEEEENSB_INSC_IyEEEESG_yNS9_4plusIvEENS9_8equal_toIvEEyEE10hipError_tPvRmT2_T3_T4_T5_mT6_T7_P12ihipStream_tbENKUlT_T0_E_clISt17integral_constantIbLb1EES11_EEDaSW_SX_EUlSW_E_NS1_11comp_targetILNS1_3genE3ELNS1_11target_archE908ELNS1_3gpuE7ELNS1_3repE0EEENS1_30default_config_static_selectorELNS0_4arch9wavefront6targetE0EEEvT1_
                                        ; -- End function
	.set _ZN7rocprim17ROCPRIM_400000_NS6detail17trampoline_kernelINS0_14default_configENS1_27scan_by_key_config_selectorIiyEEZZNS1_16scan_by_key_implILNS1_25lookback_scan_determinismE0ELb1ES3_N6thrust23THRUST_200600_302600_NS6detail15normal_iteratorINS9_10device_ptrIiEEEENSB_INSC_IyEEEESG_yNS9_4plusIvEENS9_8equal_toIvEEyEE10hipError_tPvRmT2_T3_T4_T5_mT6_T7_P12ihipStream_tbENKUlT_T0_E_clISt17integral_constantIbLb1EES11_EEDaSW_SX_EUlSW_E_NS1_11comp_targetILNS1_3genE3ELNS1_11target_archE908ELNS1_3gpuE7ELNS1_3repE0EEENS1_30default_config_static_selectorELNS0_4arch9wavefront6targetE0EEEvT1_.num_vgpr, 0
	.set _ZN7rocprim17ROCPRIM_400000_NS6detail17trampoline_kernelINS0_14default_configENS1_27scan_by_key_config_selectorIiyEEZZNS1_16scan_by_key_implILNS1_25lookback_scan_determinismE0ELb1ES3_N6thrust23THRUST_200600_302600_NS6detail15normal_iteratorINS9_10device_ptrIiEEEENSB_INSC_IyEEEESG_yNS9_4plusIvEENS9_8equal_toIvEEyEE10hipError_tPvRmT2_T3_T4_T5_mT6_T7_P12ihipStream_tbENKUlT_T0_E_clISt17integral_constantIbLb1EES11_EEDaSW_SX_EUlSW_E_NS1_11comp_targetILNS1_3genE3ELNS1_11target_archE908ELNS1_3gpuE7ELNS1_3repE0EEENS1_30default_config_static_selectorELNS0_4arch9wavefront6targetE0EEEvT1_.num_agpr, 0
	.set _ZN7rocprim17ROCPRIM_400000_NS6detail17trampoline_kernelINS0_14default_configENS1_27scan_by_key_config_selectorIiyEEZZNS1_16scan_by_key_implILNS1_25lookback_scan_determinismE0ELb1ES3_N6thrust23THRUST_200600_302600_NS6detail15normal_iteratorINS9_10device_ptrIiEEEENSB_INSC_IyEEEESG_yNS9_4plusIvEENS9_8equal_toIvEEyEE10hipError_tPvRmT2_T3_T4_T5_mT6_T7_P12ihipStream_tbENKUlT_T0_E_clISt17integral_constantIbLb1EES11_EEDaSW_SX_EUlSW_E_NS1_11comp_targetILNS1_3genE3ELNS1_11target_archE908ELNS1_3gpuE7ELNS1_3repE0EEENS1_30default_config_static_selectorELNS0_4arch9wavefront6targetE0EEEvT1_.numbered_sgpr, 0
	.set _ZN7rocprim17ROCPRIM_400000_NS6detail17trampoline_kernelINS0_14default_configENS1_27scan_by_key_config_selectorIiyEEZZNS1_16scan_by_key_implILNS1_25lookback_scan_determinismE0ELb1ES3_N6thrust23THRUST_200600_302600_NS6detail15normal_iteratorINS9_10device_ptrIiEEEENSB_INSC_IyEEEESG_yNS9_4plusIvEENS9_8equal_toIvEEyEE10hipError_tPvRmT2_T3_T4_T5_mT6_T7_P12ihipStream_tbENKUlT_T0_E_clISt17integral_constantIbLb1EES11_EEDaSW_SX_EUlSW_E_NS1_11comp_targetILNS1_3genE3ELNS1_11target_archE908ELNS1_3gpuE7ELNS1_3repE0EEENS1_30default_config_static_selectorELNS0_4arch9wavefront6targetE0EEEvT1_.num_named_barrier, 0
	.set _ZN7rocprim17ROCPRIM_400000_NS6detail17trampoline_kernelINS0_14default_configENS1_27scan_by_key_config_selectorIiyEEZZNS1_16scan_by_key_implILNS1_25lookback_scan_determinismE0ELb1ES3_N6thrust23THRUST_200600_302600_NS6detail15normal_iteratorINS9_10device_ptrIiEEEENSB_INSC_IyEEEESG_yNS9_4plusIvEENS9_8equal_toIvEEyEE10hipError_tPvRmT2_T3_T4_T5_mT6_T7_P12ihipStream_tbENKUlT_T0_E_clISt17integral_constantIbLb1EES11_EEDaSW_SX_EUlSW_E_NS1_11comp_targetILNS1_3genE3ELNS1_11target_archE908ELNS1_3gpuE7ELNS1_3repE0EEENS1_30default_config_static_selectorELNS0_4arch9wavefront6targetE0EEEvT1_.private_seg_size, 0
	.set _ZN7rocprim17ROCPRIM_400000_NS6detail17trampoline_kernelINS0_14default_configENS1_27scan_by_key_config_selectorIiyEEZZNS1_16scan_by_key_implILNS1_25lookback_scan_determinismE0ELb1ES3_N6thrust23THRUST_200600_302600_NS6detail15normal_iteratorINS9_10device_ptrIiEEEENSB_INSC_IyEEEESG_yNS9_4plusIvEENS9_8equal_toIvEEyEE10hipError_tPvRmT2_T3_T4_T5_mT6_T7_P12ihipStream_tbENKUlT_T0_E_clISt17integral_constantIbLb1EES11_EEDaSW_SX_EUlSW_E_NS1_11comp_targetILNS1_3genE3ELNS1_11target_archE908ELNS1_3gpuE7ELNS1_3repE0EEENS1_30default_config_static_selectorELNS0_4arch9wavefront6targetE0EEEvT1_.uses_vcc, 0
	.set _ZN7rocprim17ROCPRIM_400000_NS6detail17trampoline_kernelINS0_14default_configENS1_27scan_by_key_config_selectorIiyEEZZNS1_16scan_by_key_implILNS1_25lookback_scan_determinismE0ELb1ES3_N6thrust23THRUST_200600_302600_NS6detail15normal_iteratorINS9_10device_ptrIiEEEENSB_INSC_IyEEEESG_yNS9_4plusIvEENS9_8equal_toIvEEyEE10hipError_tPvRmT2_T3_T4_T5_mT6_T7_P12ihipStream_tbENKUlT_T0_E_clISt17integral_constantIbLb1EES11_EEDaSW_SX_EUlSW_E_NS1_11comp_targetILNS1_3genE3ELNS1_11target_archE908ELNS1_3gpuE7ELNS1_3repE0EEENS1_30default_config_static_selectorELNS0_4arch9wavefront6targetE0EEEvT1_.uses_flat_scratch, 0
	.set _ZN7rocprim17ROCPRIM_400000_NS6detail17trampoline_kernelINS0_14default_configENS1_27scan_by_key_config_selectorIiyEEZZNS1_16scan_by_key_implILNS1_25lookback_scan_determinismE0ELb1ES3_N6thrust23THRUST_200600_302600_NS6detail15normal_iteratorINS9_10device_ptrIiEEEENSB_INSC_IyEEEESG_yNS9_4plusIvEENS9_8equal_toIvEEyEE10hipError_tPvRmT2_T3_T4_T5_mT6_T7_P12ihipStream_tbENKUlT_T0_E_clISt17integral_constantIbLb1EES11_EEDaSW_SX_EUlSW_E_NS1_11comp_targetILNS1_3genE3ELNS1_11target_archE908ELNS1_3gpuE7ELNS1_3repE0EEENS1_30default_config_static_selectorELNS0_4arch9wavefront6targetE0EEEvT1_.has_dyn_sized_stack, 0
	.set _ZN7rocprim17ROCPRIM_400000_NS6detail17trampoline_kernelINS0_14default_configENS1_27scan_by_key_config_selectorIiyEEZZNS1_16scan_by_key_implILNS1_25lookback_scan_determinismE0ELb1ES3_N6thrust23THRUST_200600_302600_NS6detail15normal_iteratorINS9_10device_ptrIiEEEENSB_INSC_IyEEEESG_yNS9_4plusIvEENS9_8equal_toIvEEyEE10hipError_tPvRmT2_T3_T4_T5_mT6_T7_P12ihipStream_tbENKUlT_T0_E_clISt17integral_constantIbLb1EES11_EEDaSW_SX_EUlSW_E_NS1_11comp_targetILNS1_3genE3ELNS1_11target_archE908ELNS1_3gpuE7ELNS1_3repE0EEENS1_30default_config_static_selectorELNS0_4arch9wavefront6targetE0EEEvT1_.has_recursion, 0
	.set _ZN7rocprim17ROCPRIM_400000_NS6detail17trampoline_kernelINS0_14default_configENS1_27scan_by_key_config_selectorIiyEEZZNS1_16scan_by_key_implILNS1_25lookback_scan_determinismE0ELb1ES3_N6thrust23THRUST_200600_302600_NS6detail15normal_iteratorINS9_10device_ptrIiEEEENSB_INSC_IyEEEESG_yNS9_4plusIvEENS9_8equal_toIvEEyEE10hipError_tPvRmT2_T3_T4_T5_mT6_T7_P12ihipStream_tbENKUlT_T0_E_clISt17integral_constantIbLb1EES11_EEDaSW_SX_EUlSW_E_NS1_11comp_targetILNS1_3genE3ELNS1_11target_archE908ELNS1_3gpuE7ELNS1_3repE0EEENS1_30default_config_static_selectorELNS0_4arch9wavefront6targetE0EEEvT1_.has_indirect_call, 0
	.section	.AMDGPU.csdata,"",@progbits
; Kernel info:
; codeLenInByte = 0
; TotalNumSgprs: 0
; NumVgprs: 0
; ScratchSize: 0
; MemoryBound: 0
; FloatMode: 240
; IeeeMode: 1
; LDSByteSize: 0 bytes/workgroup (compile time only)
; SGPRBlocks: 0
; VGPRBlocks: 0
; NumSGPRsForWavesPerEU: 1
; NumVGPRsForWavesPerEU: 1
; Occupancy: 16
; WaveLimiterHint : 0
; COMPUTE_PGM_RSRC2:SCRATCH_EN: 0
; COMPUTE_PGM_RSRC2:USER_SGPR: 6
; COMPUTE_PGM_RSRC2:TRAP_HANDLER: 0
; COMPUTE_PGM_RSRC2:TGID_X_EN: 1
; COMPUTE_PGM_RSRC2:TGID_Y_EN: 0
; COMPUTE_PGM_RSRC2:TGID_Z_EN: 0
; COMPUTE_PGM_RSRC2:TIDIG_COMP_CNT: 0
	.section	.text._ZN7rocprim17ROCPRIM_400000_NS6detail17trampoline_kernelINS0_14default_configENS1_27scan_by_key_config_selectorIiyEEZZNS1_16scan_by_key_implILNS1_25lookback_scan_determinismE0ELb1ES3_N6thrust23THRUST_200600_302600_NS6detail15normal_iteratorINS9_10device_ptrIiEEEENSB_INSC_IyEEEESG_yNS9_4plusIvEENS9_8equal_toIvEEyEE10hipError_tPvRmT2_T3_T4_T5_mT6_T7_P12ihipStream_tbENKUlT_T0_E_clISt17integral_constantIbLb1EES11_EEDaSW_SX_EUlSW_E_NS1_11comp_targetILNS1_3genE2ELNS1_11target_archE906ELNS1_3gpuE6ELNS1_3repE0EEENS1_30default_config_static_selectorELNS0_4arch9wavefront6targetE0EEEvT1_,"axG",@progbits,_ZN7rocprim17ROCPRIM_400000_NS6detail17trampoline_kernelINS0_14default_configENS1_27scan_by_key_config_selectorIiyEEZZNS1_16scan_by_key_implILNS1_25lookback_scan_determinismE0ELb1ES3_N6thrust23THRUST_200600_302600_NS6detail15normal_iteratorINS9_10device_ptrIiEEEENSB_INSC_IyEEEESG_yNS9_4plusIvEENS9_8equal_toIvEEyEE10hipError_tPvRmT2_T3_T4_T5_mT6_T7_P12ihipStream_tbENKUlT_T0_E_clISt17integral_constantIbLb1EES11_EEDaSW_SX_EUlSW_E_NS1_11comp_targetILNS1_3genE2ELNS1_11target_archE906ELNS1_3gpuE6ELNS1_3repE0EEENS1_30default_config_static_selectorELNS0_4arch9wavefront6targetE0EEEvT1_,comdat
	.protected	_ZN7rocprim17ROCPRIM_400000_NS6detail17trampoline_kernelINS0_14default_configENS1_27scan_by_key_config_selectorIiyEEZZNS1_16scan_by_key_implILNS1_25lookback_scan_determinismE0ELb1ES3_N6thrust23THRUST_200600_302600_NS6detail15normal_iteratorINS9_10device_ptrIiEEEENSB_INSC_IyEEEESG_yNS9_4plusIvEENS9_8equal_toIvEEyEE10hipError_tPvRmT2_T3_T4_T5_mT6_T7_P12ihipStream_tbENKUlT_T0_E_clISt17integral_constantIbLb1EES11_EEDaSW_SX_EUlSW_E_NS1_11comp_targetILNS1_3genE2ELNS1_11target_archE906ELNS1_3gpuE6ELNS1_3repE0EEENS1_30default_config_static_selectorELNS0_4arch9wavefront6targetE0EEEvT1_ ; -- Begin function _ZN7rocprim17ROCPRIM_400000_NS6detail17trampoline_kernelINS0_14default_configENS1_27scan_by_key_config_selectorIiyEEZZNS1_16scan_by_key_implILNS1_25lookback_scan_determinismE0ELb1ES3_N6thrust23THRUST_200600_302600_NS6detail15normal_iteratorINS9_10device_ptrIiEEEENSB_INSC_IyEEEESG_yNS9_4plusIvEENS9_8equal_toIvEEyEE10hipError_tPvRmT2_T3_T4_T5_mT6_T7_P12ihipStream_tbENKUlT_T0_E_clISt17integral_constantIbLb1EES11_EEDaSW_SX_EUlSW_E_NS1_11comp_targetILNS1_3genE2ELNS1_11target_archE906ELNS1_3gpuE6ELNS1_3repE0EEENS1_30default_config_static_selectorELNS0_4arch9wavefront6targetE0EEEvT1_
	.globl	_ZN7rocprim17ROCPRIM_400000_NS6detail17trampoline_kernelINS0_14default_configENS1_27scan_by_key_config_selectorIiyEEZZNS1_16scan_by_key_implILNS1_25lookback_scan_determinismE0ELb1ES3_N6thrust23THRUST_200600_302600_NS6detail15normal_iteratorINS9_10device_ptrIiEEEENSB_INSC_IyEEEESG_yNS9_4plusIvEENS9_8equal_toIvEEyEE10hipError_tPvRmT2_T3_T4_T5_mT6_T7_P12ihipStream_tbENKUlT_T0_E_clISt17integral_constantIbLb1EES11_EEDaSW_SX_EUlSW_E_NS1_11comp_targetILNS1_3genE2ELNS1_11target_archE906ELNS1_3gpuE6ELNS1_3repE0EEENS1_30default_config_static_selectorELNS0_4arch9wavefront6targetE0EEEvT1_
	.p2align	8
	.type	_ZN7rocprim17ROCPRIM_400000_NS6detail17trampoline_kernelINS0_14default_configENS1_27scan_by_key_config_selectorIiyEEZZNS1_16scan_by_key_implILNS1_25lookback_scan_determinismE0ELb1ES3_N6thrust23THRUST_200600_302600_NS6detail15normal_iteratorINS9_10device_ptrIiEEEENSB_INSC_IyEEEESG_yNS9_4plusIvEENS9_8equal_toIvEEyEE10hipError_tPvRmT2_T3_T4_T5_mT6_T7_P12ihipStream_tbENKUlT_T0_E_clISt17integral_constantIbLb1EES11_EEDaSW_SX_EUlSW_E_NS1_11comp_targetILNS1_3genE2ELNS1_11target_archE906ELNS1_3gpuE6ELNS1_3repE0EEENS1_30default_config_static_selectorELNS0_4arch9wavefront6targetE0EEEvT1_,@function
_ZN7rocprim17ROCPRIM_400000_NS6detail17trampoline_kernelINS0_14default_configENS1_27scan_by_key_config_selectorIiyEEZZNS1_16scan_by_key_implILNS1_25lookback_scan_determinismE0ELb1ES3_N6thrust23THRUST_200600_302600_NS6detail15normal_iteratorINS9_10device_ptrIiEEEENSB_INSC_IyEEEESG_yNS9_4plusIvEENS9_8equal_toIvEEyEE10hipError_tPvRmT2_T3_T4_T5_mT6_T7_P12ihipStream_tbENKUlT_T0_E_clISt17integral_constantIbLb1EES11_EEDaSW_SX_EUlSW_E_NS1_11comp_targetILNS1_3genE2ELNS1_11target_archE906ELNS1_3gpuE6ELNS1_3repE0EEENS1_30default_config_static_selectorELNS0_4arch9wavefront6targetE0EEEvT1_: ; @_ZN7rocprim17ROCPRIM_400000_NS6detail17trampoline_kernelINS0_14default_configENS1_27scan_by_key_config_selectorIiyEEZZNS1_16scan_by_key_implILNS1_25lookback_scan_determinismE0ELb1ES3_N6thrust23THRUST_200600_302600_NS6detail15normal_iteratorINS9_10device_ptrIiEEEENSB_INSC_IyEEEESG_yNS9_4plusIvEENS9_8equal_toIvEEyEE10hipError_tPvRmT2_T3_T4_T5_mT6_T7_P12ihipStream_tbENKUlT_T0_E_clISt17integral_constantIbLb1EES11_EEDaSW_SX_EUlSW_E_NS1_11comp_targetILNS1_3genE2ELNS1_11target_archE906ELNS1_3gpuE6ELNS1_3repE0EEENS1_30default_config_static_selectorELNS0_4arch9wavefront6targetE0EEEvT1_
; %bb.0:
	.section	.rodata,"a",@progbits
	.p2align	6, 0x0
	.amdhsa_kernel _ZN7rocprim17ROCPRIM_400000_NS6detail17trampoline_kernelINS0_14default_configENS1_27scan_by_key_config_selectorIiyEEZZNS1_16scan_by_key_implILNS1_25lookback_scan_determinismE0ELb1ES3_N6thrust23THRUST_200600_302600_NS6detail15normal_iteratorINS9_10device_ptrIiEEEENSB_INSC_IyEEEESG_yNS9_4plusIvEENS9_8equal_toIvEEyEE10hipError_tPvRmT2_T3_T4_T5_mT6_T7_P12ihipStream_tbENKUlT_T0_E_clISt17integral_constantIbLb1EES11_EEDaSW_SX_EUlSW_E_NS1_11comp_targetILNS1_3genE2ELNS1_11target_archE906ELNS1_3gpuE6ELNS1_3repE0EEENS1_30default_config_static_selectorELNS0_4arch9wavefront6targetE0EEEvT1_
		.amdhsa_group_segment_fixed_size 0
		.amdhsa_private_segment_fixed_size 0
		.amdhsa_kernarg_size 136
		.amdhsa_user_sgpr_count 6
		.amdhsa_user_sgpr_private_segment_buffer 1
		.amdhsa_user_sgpr_dispatch_ptr 0
		.amdhsa_user_sgpr_queue_ptr 0
		.amdhsa_user_sgpr_kernarg_segment_ptr 1
		.amdhsa_user_sgpr_dispatch_id 0
		.amdhsa_user_sgpr_flat_scratch_init 0
		.amdhsa_user_sgpr_private_segment_size 0
		.amdhsa_wavefront_size32 1
		.amdhsa_uses_dynamic_stack 0
		.amdhsa_system_sgpr_private_segment_wavefront_offset 0
		.amdhsa_system_sgpr_workgroup_id_x 1
		.amdhsa_system_sgpr_workgroup_id_y 0
		.amdhsa_system_sgpr_workgroup_id_z 0
		.amdhsa_system_sgpr_workgroup_info 0
		.amdhsa_system_vgpr_workitem_id 0
		.amdhsa_next_free_vgpr 1
		.amdhsa_next_free_sgpr 1
		.amdhsa_reserve_vcc 0
		.amdhsa_reserve_flat_scratch 0
		.amdhsa_float_round_mode_32 0
		.amdhsa_float_round_mode_16_64 0
		.amdhsa_float_denorm_mode_32 3
		.amdhsa_float_denorm_mode_16_64 3
		.amdhsa_dx10_clamp 1
		.amdhsa_ieee_mode 1
		.amdhsa_fp16_overflow 0
		.amdhsa_workgroup_processor_mode 1
		.amdhsa_memory_ordered 1
		.amdhsa_forward_progress 1
		.amdhsa_shared_vgpr_count 0
		.amdhsa_exception_fp_ieee_invalid_op 0
		.amdhsa_exception_fp_denorm_src 0
		.amdhsa_exception_fp_ieee_div_zero 0
		.amdhsa_exception_fp_ieee_overflow 0
		.amdhsa_exception_fp_ieee_underflow 0
		.amdhsa_exception_fp_ieee_inexact 0
		.amdhsa_exception_int_div_zero 0
	.end_amdhsa_kernel
	.section	.text._ZN7rocprim17ROCPRIM_400000_NS6detail17trampoline_kernelINS0_14default_configENS1_27scan_by_key_config_selectorIiyEEZZNS1_16scan_by_key_implILNS1_25lookback_scan_determinismE0ELb1ES3_N6thrust23THRUST_200600_302600_NS6detail15normal_iteratorINS9_10device_ptrIiEEEENSB_INSC_IyEEEESG_yNS9_4plusIvEENS9_8equal_toIvEEyEE10hipError_tPvRmT2_T3_T4_T5_mT6_T7_P12ihipStream_tbENKUlT_T0_E_clISt17integral_constantIbLb1EES11_EEDaSW_SX_EUlSW_E_NS1_11comp_targetILNS1_3genE2ELNS1_11target_archE906ELNS1_3gpuE6ELNS1_3repE0EEENS1_30default_config_static_selectorELNS0_4arch9wavefront6targetE0EEEvT1_,"axG",@progbits,_ZN7rocprim17ROCPRIM_400000_NS6detail17trampoline_kernelINS0_14default_configENS1_27scan_by_key_config_selectorIiyEEZZNS1_16scan_by_key_implILNS1_25lookback_scan_determinismE0ELb1ES3_N6thrust23THRUST_200600_302600_NS6detail15normal_iteratorINS9_10device_ptrIiEEEENSB_INSC_IyEEEESG_yNS9_4plusIvEENS9_8equal_toIvEEyEE10hipError_tPvRmT2_T3_T4_T5_mT6_T7_P12ihipStream_tbENKUlT_T0_E_clISt17integral_constantIbLb1EES11_EEDaSW_SX_EUlSW_E_NS1_11comp_targetILNS1_3genE2ELNS1_11target_archE906ELNS1_3gpuE6ELNS1_3repE0EEENS1_30default_config_static_selectorELNS0_4arch9wavefront6targetE0EEEvT1_,comdat
.Lfunc_end1477:
	.size	_ZN7rocprim17ROCPRIM_400000_NS6detail17trampoline_kernelINS0_14default_configENS1_27scan_by_key_config_selectorIiyEEZZNS1_16scan_by_key_implILNS1_25lookback_scan_determinismE0ELb1ES3_N6thrust23THRUST_200600_302600_NS6detail15normal_iteratorINS9_10device_ptrIiEEEENSB_INSC_IyEEEESG_yNS9_4plusIvEENS9_8equal_toIvEEyEE10hipError_tPvRmT2_T3_T4_T5_mT6_T7_P12ihipStream_tbENKUlT_T0_E_clISt17integral_constantIbLb1EES11_EEDaSW_SX_EUlSW_E_NS1_11comp_targetILNS1_3genE2ELNS1_11target_archE906ELNS1_3gpuE6ELNS1_3repE0EEENS1_30default_config_static_selectorELNS0_4arch9wavefront6targetE0EEEvT1_, .Lfunc_end1477-_ZN7rocprim17ROCPRIM_400000_NS6detail17trampoline_kernelINS0_14default_configENS1_27scan_by_key_config_selectorIiyEEZZNS1_16scan_by_key_implILNS1_25lookback_scan_determinismE0ELb1ES3_N6thrust23THRUST_200600_302600_NS6detail15normal_iteratorINS9_10device_ptrIiEEEENSB_INSC_IyEEEESG_yNS9_4plusIvEENS9_8equal_toIvEEyEE10hipError_tPvRmT2_T3_T4_T5_mT6_T7_P12ihipStream_tbENKUlT_T0_E_clISt17integral_constantIbLb1EES11_EEDaSW_SX_EUlSW_E_NS1_11comp_targetILNS1_3genE2ELNS1_11target_archE906ELNS1_3gpuE6ELNS1_3repE0EEENS1_30default_config_static_selectorELNS0_4arch9wavefront6targetE0EEEvT1_
                                        ; -- End function
	.set _ZN7rocprim17ROCPRIM_400000_NS6detail17trampoline_kernelINS0_14default_configENS1_27scan_by_key_config_selectorIiyEEZZNS1_16scan_by_key_implILNS1_25lookback_scan_determinismE0ELb1ES3_N6thrust23THRUST_200600_302600_NS6detail15normal_iteratorINS9_10device_ptrIiEEEENSB_INSC_IyEEEESG_yNS9_4plusIvEENS9_8equal_toIvEEyEE10hipError_tPvRmT2_T3_T4_T5_mT6_T7_P12ihipStream_tbENKUlT_T0_E_clISt17integral_constantIbLb1EES11_EEDaSW_SX_EUlSW_E_NS1_11comp_targetILNS1_3genE2ELNS1_11target_archE906ELNS1_3gpuE6ELNS1_3repE0EEENS1_30default_config_static_selectorELNS0_4arch9wavefront6targetE0EEEvT1_.num_vgpr, 0
	.set _ZN7rocprim17ROCPRIM_400000_NS6detail17trampoline_kernelINS0_14default_configENS1_27scan_by_key_config_selectorIiyEEZZNS1_16scan_by_key_implILNS1_25lookback_scan_determinismE0ELb1ES3_N6thrust23THRUST_200600_302600_NS6detail15normal_iteratorINS9_10device_ptrIiEEEENSB_INSC_IyEEEESG_yNS9_4plusIvEENS9_8equal_toIvEEyEE10hipError_tPvRmT2_T3_T4_T5_mT6_T7_P12ihipStream_tbENKUlT_T0_E_clISt17integral_constantIbLb1EES11_EEDaSW_SX_EUlSW_E_NS1_11comp_targetILNS1_3genE2ELNS1_11target_archE906ELNS1_3gpuE6ELNS1_3repE0EEENS1_30default_config_static_selectorELNS0_4arch9wavefront6targetE0EEEvT1_.num_agpr, 0
	.set _ZN7rocprim17ROCPRIM_400000_NS6detail17trampoline_kernelINS0_14default_configENS1_27scan_by_key_config_selectorIiyEEZZNS1_16scan_by_key_implILNS1_25lookback_scan_determinismE0ELb1ES3_N6thrust23THRUST_200600_302600_NS6detail15normal_iteratorINS9_10device_ptrIiEEEENSB_INSC_IyEEEESG_yNS9_4plusIvEENS9_8equal_toIvEEyEE10hipError_tPvRmT2_T3_T4_T5_mT6_T7_P12ihipStream_tbENKUlT_T0_E_clISt17integral_constantIbLb1EES11_EEDaSW_SX_EUlSW_E_NS1_11comp_targetILNS1_3genE2ELNS1_11target_archE906ELNS1_3gpuE6ELNS1_3repE0EEENS1_30default_config_static_selectorELNS0_4arch9wavefront6targetE0EEEvT1_.numbered_sgpr, 0
	.set _ZN7rocprim17ROCPRIM_400000_NS6detail17trampoline_kernelINS0_14default_configENS1_27scan_by_key_config_selectorIiyEEZZNS1_16scan_by_key_implILNS1_25lookback_scan_determinismE0ELb1ES3_N6thrust23THRUST_200600_302600_NS6detail15normal_iteratorINS9_10device_ptrIiEEEENSB_INSC_IyEEEESG_yNS9_4plusIvEENS9_8equal_toIvEEyEE10hipError_tPvRmT2_T3_T4_T5_mT6_T7_P12ihipStream_tbENKUlT_T0_E_clISt17integral_constantIbLb1EES11_EEDaSW_SX_EUlSW_E_NS1_11comp_targetILNS1_3genE2ELNS1_11target_archE906ELNS1_3gpuE6ELNS1_3repE0EEENS1_30default_config_static_selectorELNS0_4arch9wavefront6targetE0EEEvT1_.num_named_barrier, 0
	.set _ZN7rocprim17ROCPRIM_400000_NS6detail17trampoline_kernelINS0_14default_configENS1_27scan_by_key_config_selectorIiyEEZZNS1_16scan_by_key_implILNS1_25lookback_scan_determinismE0ELb1ES3_N6thrust23THRUST_200600_302600_NS6detail15normal_iteratorINS9_10device_ptrIiEEEENSB_INSC_IyEEEESG_yNS9_4plusIvEENS9_8equal_toIvEEyEE10hipError_tPvRmT2_T3_T4_T5_mT6_T7_P12ihipStream_tbENKUlT_T0_E_clISt17integral_constantIbLb1EES11_EEDaSW_SX_EUlSW_E_NS1_11comp_targetILNS1_3genE2ELNS1_11target_archE906ELNS1_3gpuE6ELNS1_3repE0EEENS1_30default_config_static_selectorELNS0_4arch9wavefront6targetE0EEEvT1_.private_seg_size, 0
	.set _ZN7rocprim17ROCPRIM_400000_NS6detail17trampoline_kernelINS0_14default_configENS1_27scan_by_key_config_selectorIiyEEZZNS1_16scan_by_key_implILNS1_25lookback_scan_determinismE0ELb1ES3_N6thrust23THRUST_200600_302600_NS6detail15normal_iteratorINS9_10device_ptrIiEEEENSB_INSC_IyEEEESG_yNS9_4plusIvEENS9_8equal_toIvEEyEE10hipError_tPvRmT2_T3_T4_T5_mT6_T7_P12ihipStream_tbENKUlT_T0_E_clISt17integral_constantIbLb1EES11_EEDaSW_SX_EUlSW_E_NS1_11comp_targetILNS1_3genE2ELNS1_11target_archE906ELNS1_3gpuE6ELNS1_3repE0EEENS1_30default_config_static_selectorELNS0_4arch9wavefront6targetE0EEEvT1_.uses_vcc, 0
	.set _ZN7rocprim17ROCPRIM_400000_NS6detail17trampoline_kernelINS0_14default_configENS1_27scan_by_key_config_selectorIiyEEZZNS1_16scan_by_key_implILNS1_25lookback_scan_determinismE0ELb1ES3_N6thrust23THRUST_200600_302600_NS6detail15normal_iteratorINS9_10device_ptrIiEEEENSB_INSC_IyEEEESG_yNS9_4plusIvEENS9_8equal_toIvEEyEE10hipError_tPvRmT2_T3_T4_T5_mT6_T7_P12ihipStream_tbENKUlT_T0_E_clISt17integral_constantIbLb1EES11_EEDaSW_SX_EUlSW_E_NS1_11comp_targetILNS1_3genE2ELNS1_11target_archE906ELNS1_3gpuE6ELNS1_3repE0EEENS1_30default_config_static_selectorELNS0_4arch9wavefront6targetE0EEEvT1_.uses_flat_scratch, 0
	.set _ZN7rocprim17ROCPRIM_400000_NS6detail17trampoline_kernelINS0_14default_configENS1_27scan_by_key_config_selectorIiyEEZZNS1_16scan_by_key_implILNS1_25lookback_scan_determinismE0ELb1ES3_N6thrust23THRUST_200600_302600_NS6detail15normal_iteratorINS9_10device_ptrIiEEEENSB_INSC_IyEEEESG_yNS9_4plusIvEENS9_8equal_toIvEEyEE10hipError_tPvRmT2_T3_T4_T5_mT6_T7_P12ihipStream_tbENKUlT_T0_E_clISt17integral_constantIbLb1EES11_EEDaSW_SX_EUlSW_E_NS1_11comp_targetILNS1_3genE2ELNS1_11target_archE906ELNS1_3gpuE6ELNS1_3repE0EEENS1_30default_config_static_selectorELNS0_4arch9wavefront6targetE0EEEvT1_.has_dyn_sized_stack, 0
	.set _ZN7rocprim17ROCPRIM_400000_NS6detail17trampoline_kernelINS0_14default_configENS1_27scan_by_key_config_selectorIiyEEZZNS1_16scan_by_key_implILNS1_25lookback_scan_determinismE0ELb1ES3_N6thrust23THRUST_200600_302600_NS6detail15normal_iteratorINS9_10device_ptrIiEEEENSB_INSC_IyEEEESG_yNS9_4plusIvEENS9_8equal_toIvEEyEE10hipError_tPvRmT2_T3_T4_T5_mT6_T7_P12ihipStream_tbENKUlT_T0_E_clISt17integral_constantIbLb1EES11_EEDaSW_SX_EUlSW_E_NS1_11comp_targetILNS1_3genE2ELNS1_11target_archE906ELNS1_3gpuE6ELNS1_3repE0EEENS1_30default_config_static_selectorELNS0_4arch9wavefront6targetE0EEEvT1_.has_recursion, 0
	.set _ZN7rocprim17ROCPRIM_400000_NS6detail17trampoline_kernelINS0_14default_configENS1_27scan_by_key_config_selectorIiyEEZZNS1_16scan_by_key_implILNS1_25lookback_scan_determinismE0ELb1ES3_N6thrust23THRUST_200600_302600_NS6detail15normal_iteratorINS9_10device_ptrIiEEEENSB_INSC_IyEEEESG_yNS9_4plusIvEENS9_8equal_toIvEEyEE10hipError_tPvRmT2_T3_T4_T5_mT6_T7_P12ihipStream_tbENKUlT_T0_E_clISt17integral_constantIbLb1EES11_EEDaSW_SX_EUlSW_E_NS1_11comp_targetILNS1_3genE2ELNS1_11target_archE906ELNS1_3gpuE6ELNS1_3repE0EEENS1_30default_config_static_selectorELNS0_4arch9wavefront6targetE0EEEvT1_.has_indirect_call, 0
	.section	.AMDGPU.csdata,"",@progbits
; Kernel info:
; codeLenInByte = 0
; TotalNumSgprs: 0
; NumVgprs: 0
; ScratchSize: 0
; MemoryBound: 0
; FloatMode: 240
; IeeeMode: 1
; LDSByteSize: 0 bytes/workgroup (compile time only)
; SGPRBlocks: 0
; VGPRBlocks: 0
; NumSGPRsForWavesPerEU: 1
; NumVGPRsForWavesPerEU: 1
; Occupancy: 16
; WaveLimiterHint : 0
; COMPUTE_PGM_RSRC2:SCRATCH_EN: 0
; COMPUTE_PGM_RSRC2:USER_SGPR: 6
; COMPUTE_PGM_RSRC2:TRAP_HANDLER: 0
; COMPUTE_PGM_RSRC2:TGID_X_EN: 1
; COMPUTE_PGM_RSRC2:TGID_Y_EN: 0
; COMPUTE_PGM_RSRC2:TGID_Z_EN: 0
; COMPUTE_PGM_RSRC2:TIDIG_COMP_CNT: 0
	.section	.text._ZN7rocprim17ROCPRIM_400000_NS6detail17trampoline_kernelINS0_14default_configENS1_27scan_by_key_config_selectorIiyEEZZNS1_16scan_by_key_implILNS1_25lookback_scan_determinismE0ELb1ES3_N6thrust23THRUST_200600_302600_NS6detail15normal_iteratorINS9_10device_ptrIiEEEENSB_INSC_IyEEEESG_yNS9_4plusIvEENS9_8equal_toIvEEyEE10hipError_tPvRmT2_T3_T4_T5_mT6_T7_P12ihipStream_tbENKUlT_T0_E_clISt17integral_constantIbLb1EES11_EEDaSW_SX_EUlSW_E_NS1_11comp_targetILNS1_3genE10ELNS1_11target_archE1200ELNS1_3gpuE4ELNS1_3repE0EEENS1_30default_config_static_selectorELNS0_4arch9wavefront6targetE0EEEvT1_,"axG",@progbits,_ZN7rocprim17ROCPRIM_400000_NS6detail17trampoline_kernelINS0_14default_configENS1_27scan_by_key_config_selectorIiyEEZZNS1_16scan_by_key_implILNS1_25lookback_scan_determinismE0ELb1ES3_N6thrust23THRUST_200600_302600_NS6detail15normal_iteratorINS9_10device_ptrIiEEEENSB_INSC_IyEEEESG_yNS9_4plusIvEENS9_8equal_toIvEEyEE10hipError_tPvRmT2_T3_T4_T5_mT6_T7_P12ihipStream_tbENKUlT_T0_E_clISt17integral_constantIbLb1EES11_EEDaSW_SX_EUlSW_E_NS1_11comp_targetILNS1_3genE10ELNS1_11target_archE1200ELNS1_3gpuE4ELNS1_3repE0EEENS1_30default_config_static_selectorELNS0_4arch9wavefront6targetE0EEEvT1_,comdat
	.protected	_ZN7rocprim17ROCPRIM_400000_NS6detail17trampoline_kernelINS0_14default_configENS1_27scan_by_key_config_selectorIiyEEZZNS1_16scan_by_key_implILNS1_25lookback_scan_determinismE0ELb1ES3_N6thrust23THRUST_200600_302600_NS6detail15normal_iteratorINS9_10device_ptrIiEEEENSB_INSC_IyEEEESG_yNS9_4plusIvEENS9_8equal_toIvEEyEE10hipError_tPvRmT2_T3_T4_T5_mT6_T7_P12ihipStream_tbENKUlT_T0_E_clISt17integral_constantIbLb1EES11_EEDaSW_SX_EUlSW_E_NS1_11comp_targetILNS1_3genE10ELNS1_11target_archE1200ELNS1_3gpuE4ELNS1_3repE0EEENS1_30default_config_static_selectorELNS0_4arch9wavefront6targetE0EEEvT1_ ; -- Begin function _ZN7rocprim17ROCPRIM_400000_NS6detail17trampoline_kernelINS0_14default_configENS1_27scan_by_key_config_selectorIiyEEZZNS1_16scan_by_key_implILNS1_25lookback_scan_determinismE0ELb1ES3_N6thrust23THRUST_200600_302600_NS6detail15normal_iteratorINS9_10device_ptrIiEEEENSB_INSC_IyEEEESG_yNS9_4plusIvEENS9_8equal_toIvEEyEE10hipError_tPvRmT2_T3_T4_T5_mT6_T7_P12ihipStream_tbENKUlT_T0_E_clISt17integral_constantIbLb1EES11_EEDaSW_SX_EUlSW_E_NS1_11comp_targetILNS1_3genE10ELNS1_11target_archE1200ELNS1_3gpuE4ELNS1_3repE0EEENS1_30default_config_static_selectorELNS0_4arch9wavefront6targetE0EEEvT1_
	.globl	_ZN7rocprim17ROCPRIM_400000_NS6detail17trampoline_kernelINS0_14default_configENS1_27scan_by_key_config_selectorIiyEEZZNS1_16scan_by_key_implILNS1_25lookback_scan_determinismE0ELb1ES3_N6thrust23THRUST_200600_302600_NS6detail15normal_iteratorINS9_10device_ptrIiEEEENSB_INSC_IyEEEESG_yNS9_4plusIvEENS9_8equal_toIvEEyEE10hipError_tPvRmT2_T3_T4_T5_mT6_T7_P12ihipStream_tbENKUlT_T0_E_clISt17integral_constantIbLb1EES11_EEDaSW_SX_EUlSW_E_NS1_11comp_targetILNS1_3genE10ELNS1_11target_archE1200ELNS1_3gpuE4ELNS1_3repE0EEENS1_30default_config_static_selectorELNS0_4arch9wavefront6targetE0EEEvT1_
	.p2align	8
	.type	_ZN7rocprim17ROCPRIM_400000_NS6detail17trampoline_kernelINS0_14default_configENS1_27scan_by_key_config_selectorIiyEEZZNS1_16scan_by_key_implILNS1_25lookback_scan_determinismE0ELb1ES3_N6thrust23THRUST_200600_302600_NS6detail15normal_iteratorINS9_10device_ptrIiEEEENSB_INSC_IyEEEESG_yNS9_4plusIvEENS9_8equal_toIvEEyEE10hipError_tPvRmT2_T3_T4_T5_mT6_T7_P12ihipStream_tbENKUlT_T0_E_clISt17integral_constantIbLb1EES11_EEDaSW_SX_EUlSW_E_NS1_11comp_targetILNS1_3genE10ELNS1_11target_archE1200ELNS1_3gpuE4ELNS1_3repE0EEENS1_30default_config_static_selectorELNS0_4arch9wavefront6targetE0EEEvT1_,@function
_ZN7rocprim17ROCPRIM_400000_NS6detail17trampoline_kernelINS0_14default_configENS1_27scan_by_key_config_selectorIiyEEZZNS1_16scan_by_key_implILNS1_25lookback_scan_determinismE0ELb1ES3_N6thrust23THRUST_200600_302600_NS6detail15normal_iteratorINS9_10device_ptrIiEEEENSB_INSC_IyEEEESG_yNS9_4plusIvEENS9_8equal_toIvEEyEE10hipError_tPvRmT2_T3_T4_T5_mT6_T7_P12ihipStream_tbENKUlT_T0_E_clISt17integral_constantIbLb1EES11_EEDaSW_SX_EUlSW_E_NS1_11comp_targetILNS1_3genE10ELNS1_11target_archE1200ELNS1_3gpuE4ELNS1_3repE0EEENS1_30default_config_static_selectorELNS0_4arch9wavefront6targetE0EEEvT1_: ; @_ZN7rocprim17ROCPRIM_400000_NS6detail17trampoline_kernelINS0_14default_configENS1_27scan_by_key_config_selectorIiyEEZZNS1_16scan_by_key_implILNS1_25lookback_scan_determinismE0ELb1ES3_N6thrust23THRUST_200600_302600_NS6detail15normal_iteratorINS9_10device_ptrIiEEEENSB_INSC_IyEEEESG_yNS9_4plusIvEENS9_8equal_toIvEEyEE10hipError_tPvRmT2_T3_T4_T5_mT6_T7_P12ihipStream_tbENKUlT_T0_E_clISt17integral_constantIbLb1EES11_EEDaSW_SX_EUlSW_E_NS1_11comp_targetILNS1_3genE10ELNS1_11target_archE1200ELNS1_3gpuE4ELNS1_3repE0EEENS1_30default_config_static_selectorELNS0_4arch9wavefront6targetE0EEEvT1_
; %bb.0:
	.section	.rodata,"a",@progbits
	.p2align	6, 0x0
	.amdhsa_kernel _ZN7rocprim17ROCPRIM_400000_NS6detail17trampoline_kernelINS0_14default_configENS1_27scan_by_key_config_selectorIiyEEZZNS1_16scan_by_key_implILNS1_25lookback_scan_determinismE0ELb1ES3_N6thrust23THRUST_200600_302600_NS6detail15normal_iteratorINS9_10device_ptrIiEEEENSB_INSC_IyEEEESG_yNS9_4plusIvEENS9_8equal_toIvEEyEE10hipError_tPvRmT2_T3_T4_T5_mT6_T7_P12ihipStream_tbENKUlT_T0_E_clISt17integral_constantIbLb1EES11_EEDaSW_SX_EUlSW_E_NS1_11comp_targetILNS1_3genE10ELNS1_11target_archE1200ELNS1_3gpuE4ELNS1_3repE0EEENS1_30default_config_static_selectorELNS0_4arch9wavefront6targetE0EEEvT1_
		.amdhsa_group_segment_fixed_size 0
		.amdhsa_private_segment_fixed_size 0
		.amdhsa_kernarg_size 136
		.amdhsa_user_sgpr_count 6
		.amdhsa_user_sgpr_private_segment_buffer 1
		.amdhsa_user_sgpr_dispatch_ptr 0
		.amdhsa_user_sgpr_queue_ptr 0
		.amdhsa_user_sgpr_kernarg_segment_ptr 1
		.amdhsa_user_sgpr_dispatch_id 0
		.amdhsa_user_sgpr_flat_scratch_init 0
		.amdhsa_user_sgpr_private_segment_size 0
		.amdhsa_wavefront_size32 1
		.amdhsa_uses_dynamic_stack 0
		.amdhsa_system_sgpr_private_segment_wavefront_offset 0
		.amdhsa_system_sgpr_workgroup_id_x 1
		.amdhsa_system_sgpr_workgroup_id_y 0
		.amdhsa_system_sgpr_workgroup_id_z 0
		.amdhsa_system_sgpr_workgroup_info 0
		.amdhsa_system_vgpr_workitem_id 0
		.amdhsa_next_free_vgpr 1
		.amdhsa_next_free_sgpr 1
		.amdhsa_reserve_vcc 0
		.amdhsa_reserve_flat_scratch 0
		.amdhsa_float_round_mode_32 0
		.amdhsa_float_round_mode_16_64 0
		.amdhsa_float_denorm_mode_32 3
		.amdhsa_float_denorm_mode_16_64 3
		.amdhsa_dx10_clamp 1
		.amdhsa_ieee_mode 1
		.amdhsa_fp16_overflow 0
		.amdhsa_workgroup_processor_mode 1
		.amdhsa_memory_ordered 1
		.amdhsa_forward_progress 1
		.amdhsa_shared_vgpr_count 0
		.amdhsa_exception_fp_ieee_invalid_op 0
		.amdhsa_exception_fp_denorm_src 0
		.amdhsa_exception_fp_ieee_div_zero 0
		.amdhsa_exception_fp_ieee_overflow 0
		.amdhsa_exception_fp_ieee_underflow 0
		.amdhsa_exception_fp_ieee_inexact 0
		.amdhsa_exception_int_div_zero 0
	.end_amdhsa_kernel
	.section	.text._ZN7rocprim17ROCPRIM_400000_NS6detail17trampoline_kernelINS0_14default_configENS1_27scan_by_key_config_selectorIiyEEZZNS1_16scan_by_key_implILNS1_25lookback_scan_determinismE0ELb1ES3_N6thrust23THRUST_200600_302600_NS6detail15normal_iteratorINS9_10device_ptrIiEEEENSB_INSC_IyEEEESG_yNS9_4plusIvEENS9_8equal_toIvEEyEE10hipError_tPvRmT2_T3_T4_T5_mT6_T7_P12ihipStream_tbENKUlT_T0_E_clISt17integral_constantIbLb1EES11_EEDaSW_SX_EUlSW_E_NS1_11comp_targetILNS1_3genE10ELNS1_11target_archE1200ELNS1_3gpuE4ELNS1_3repE0EEENS1_30default_config_static_selectorELNS0_4arch9wavefront6targetE0EEEvT1_,"axG",@progbits,_ZN7rocprim17ROCPRIM_400000_NS6detail17trampoline_kernelINS0_14default_configENS1_27scan_by_key_config_selectorIiyEEZZNS1_16scan_by_key_implILNS1_25lookback_scan_determinismE0ELb1ES3_N6thrust23THRUST_200600_302600_NS6detail15normal_iteratorINS9_10device_ptrIiEEEENSB_INSC_IyEEEESG_yNS9_4plusIvEENS9_8equal_toIvEEyEE10hipError_tPvRmT2_T3_T4_T5_mT6_T7_P12ihipStream_tbENKUlT_T0_E_clISt17integral_constantIbLb1EES11_EEDaSW_SX_EUlSW_E_NS1_11comp_targetILNS1_3genE10ELNS1_11target_archE1200ELNS1_3gpuE4ELNS1_3repE0EEENS1_30default_config_static_selectorELNS0_4arch9wavefront6targetE0EEEvT1_,comdat
.Lfunc_end1478:
	.size	_ZN7rocprim17ROCPRIM_400000_NS6detail17trampoline_kernelINS0_14default_configENS1_27scan_by_key_config_selectorIiyEEZZNS1_16scan_by_key_implILNS1_25lookback_scan_determinismE0ELb1ES3_N6thrust23THRUST_200600_302600_NS6detail15normal_iteratorINS9_10device_ptrIiEEEENSB_INSC_IyEEEESG_yNS9_4plusIvEENS9_8equal_toIvEEyEE10hipError_tPvRmT2_T3_T4_T5_mT6_T7_P12ihipStream_tbENKUlT_T0_E_clISt17integral_constantIbLb1EES11_EEDaSW_SX_EUlSW_E_NS1_11comp_targetILNS1_3genE10ELNS1_11target_archE1200ELNS1_3gpuE4ELNS1_3repE0EEENS1_30default_config_static_selectorELNS0_4arch9wavefront6targetE0EEEvT1_, .Lfunc_end1478-_ZN7rocprim17ROCPRIM_400000_NS6detail17trampoline_kernelINS0_14default_configENS1_27scan_by_key_config_selectorIiyEEZZNS1_16scan_by_key_implILNS1_25lookback_scan_determinismE0ELb1ES3_N6thrust23THRUST_200600_302600_NS6detail15normal_iteratorINS9_10device_ptrIiEEEENSB_INSC_IyEEEESG_yNS9_4plusIvEENS9_8equal_toIvEEyEE10hipError_tPvRmT2_T3_T4_T5_mT6_T7_P12ihipStream_tbENKUlT_T0_E_clISt17integral_constantIbLb1EES11_EEDaSW_SX_EUlSW_E_NS1_11comp_targetILNS1_3genE10ELNS1_11target_archE1200ELNS1_3gpuE4ELNS1_3repE0EEENS1_30default_config_static_selectorELNS0_4arch9wavefront6targetE0EEEvT1_
                                        ; -- End function
	.set _ZN7rocprim17ROCPRIM_400000_NS6detail17trampoline_kernelINS0_14default_configENS1_27scan_by_key_config_selectorIiyEEZZNS1_16scan_by_key_implILNS1_25lookback_scan_determinismE0ELb1ES3_N6thrust23THRUST_200600_302600_NS6detail15normal_iteratorINS9_10device_ptrIiEEEENSB_INSC_IyEEEESG_yNS9_4plusIvEENS9_8equal_toIvEEyEE10hipError_tPvRmT2_T3_T4_T5_mT6_T7_P12ihipStream_tbENKUlT_T0_E_clISt17integral_constantIbLb1EES11_EEDaSW_SX_EUlSW_E_NS1_11comp_targetILNS1_3genE10ELNS1_11target_archE1200ELNS1_3gpuE4ELNS1_3repE0EEENS1_30default_config_static_selectorELNS0_4arch9wavefront6targetE0EEEvT1_.num_vgpr, 0
	.set _ZN7rocprim17ROCPRIM_400000_NS6detail17trampoline_kernelINS0_14default_configENS1_27scan_by_key_config_selectorIiyEEZZNS1_16scan_by_key_implILNS1_25lookback_scan_determinismE0ELb1ES3_N6thrust23THRUST_200600_302600_NS6detail15normal_iteratorINS9_10device_ptrIiEEEENSB_INSC_IyEEEESG_yNS9_4plusIvEENS9_8equal_toIvEEyEE10hipError_tPvRmT2_T3_T4_T5_mT6_T7_P12ihipStream_tbENKUlT_T0_E_clISt17integral_constantIbLb1EES11_EEDaSW_SX_EUlSW_E_NS1_11comp_targetILNS1_3genE10ELNS1_11target_archE1200ELNS1_3gpuE4ELNS1_3repE0EEENS1_30default_config_static_selectorELNS0_4arch9wavefront6targetE0EEEvT1_.num_agpr, 0
	.set _ZN7rocprim17ROCPRIM_400000_NS6detail17trampoline_kernelINS0_14default_configENS1_27scan_by_key_config_selectorIiyEEZZNS1_16scan_by_key_implILNS1_25lookback_scan_determinismE0ELb1ES3_N6thrust23THRUST_200600_302600_NS6detail15normal_iteratorINS9_10device_ptrIiEEEENSB_INSC_IyEEEESG_yNS9_4plusIvEENS9_8equal_toIvEEyEE10hipError_tPvRmT2_T3_T4_T5_mT6_T7_P12ihipStream_tbENKUlT_T0_E_clISt17integral_constantIbLb1EES11_EEDaSW_SX_EUlSW_E_NS1_11comp_targetILNS1_3genE10ELNS1_11target_archE1200ELNS1_3gpuE4ELNS1_3repE0EEENS1_30default_config_static_selectorELNS0_4arch9wavefront6targetE0EEEvT1_.numbered_sgpr, 0
	.set _ZN7rocprim17ROCPRIM_400000_NS6detail17trampoline_kernelINS0_14default_configENS1_27scan_by_key_config_selectorIiyEEZZNS1_16scan_by_key_implILNS1_25lookback_scan_determinismE0ELb1ES3_N6thrust23THRUST_200600_302600_NS6detail15normal_iteratorINS9_10device_ptrIiEEEENSB_INSC_IyEEEESG_yNS9_4plusIvEENS9_8equal_toIvEEyEE10hipError_tPvRmT2_T3_T4_T5_mT6_T7_P12ihipStream_tbENKUlT_T0_E_clISt17integral_constantIbLb1EES11_EEDaSW_SX_EUlSW_E_NS1_11comp_targetILNS1_3genE10ELNS1_11target_archE1200ELNS1_3gpuE4ELNS1_3repE0EEENS1_30default_config_static_selectorELNS0_4arch9wavefront6targetE0EEEvT1_.num_named_barrier, 0
	.set _ZN7rocprim17ROCPRIM_400000_NS6detail17trampoline_kernelINS0_14default_configENS1_27scan_by_key_config_selectorIiyEEZZNS1_16scan_by_key_implILNS1_25lookback_scan_determinismE0ELb1ES3_N6thrust23THRUST_200600_302600_NS6detail15normal_iteratorINS9_10device_ptrIiEEEENSB_INSC_IyEEEESG_yNS9_4plusIvEENS9_8equal_toIvEEyEE10hipError_tPvRmT2_T3_T4_T5_mT6_T7_P12ihipStream_tbENKUlT_T0_E_clISt17integral_constantIbLb1EES11_EEDaSW_SX_EUlSW_E_NS1_11comp_targetILNS1_3genE10ELNS1_11target_archE1200ELNS1_3gpuE4ELNS1_3repE0EEENS1_30default_config_static_selectorELNS0_4arch9wavefront6targetE0EEEvT1_.private_seg_size, 0
	.set _ZN7rocprim17ROCPRIM_400000_NS6detail17trampoline_kernelINS0_14default_configENS1_27scan_by_key_config_selectorIiyEEZZNS1_16scan_by_key_implILNS1_25lookback_scan_determinismE0ELb1ES3_N6thrust23THRUST_200600_302600_NS6detail15normal_iteratorINS9_10device_ptrIiEEEENSB_INSC_IyEEEESG_yNS9_4plusIvEENS9_8equal_toIvEEyEE10hipError_tPvRmT2_T3_T4_T5_mT6_T7_P12ihipStream_tbENKUlT_T0_E_clISt17integral_constantIbLb1EES11_EEDaSW_SX_EUlSW_E_NS1_11comp_targetILNS1_3genE10ELNS1_11target_archE1200ELNS1_3gpuE4ELNS1_3repE0EEENS1_30default_config_static_selectorELNS0_4arch9wavefront6targetE0EEEvT1_.uses_vcc, 0
	.set _ZN7rocprim17ROCPRIM_400000_NS6detail17trampoline_kernelINS0_14default_configENS1_27scan_by_key_config_selectorIiyEEZZNS1_16scan_by_key_implILNS1_25lookback_scan_determinismE0ELb1ES3_N6thrust23THRUST_200600_302600_NS6detail15normal_iteratorINS9_10device_ptrIiEEEENSB_INSC_IyEEEESG_yNS9_4plusIvEENS9_8equal_toIvEEyEE10hipError_tPvRmT2_T3_T4_T5_mT6_T7_P12ihipStream_tbENKUlT_T0_E_clISt17integral_constantIbLb1EES11_EEDaSW_SX_EUlSW_E_NS1_11comp_targetILNS1_3genE10ELNS1_11target_archE1200ELNS1_3gpuE4ELNS1_3repE0EEENS1_30default_config_static_selectorELNS0_4arch9wavefront6targetE0EEEvT1_.uses_flat_scratch, 0
	.set _ZN7rocprim17ROCPRIM_400000_NS6detail17trampoline_kernelINS0_14default_configENS1_27scan_by_key_config_selectorIiyEEZZNS1_16scan_by_key_implILNS1_25lookback_scan_determinismE0ELb1ES3_N6thrust23THRUST_200600_302600_NS6detail15normal_iteratorINS9_10device_ptrIiEEEENSB_INSC_IyEEEESG_yNS9_4plusIvEENS9_8equal_toIvEEyEE10hipError_tPvRmT2_T3_T4_T5_mT6_T7_P12ihipStream_tbENKUlT_T0_E_clISt17integral_constantIbLb1EES11_EEDaSW_SX_EUlSW_E_NS1_11comp_targetILNS1_3genE10ELNS1_11target_archE1200ELNS1_3gpuE4ELNS1_3repE0EEENS1_30default_config_static_selectorELNS0_4arch9wavefront6targetE0EEEvT1_.has_dyn_sized_stack, 0
	.set _ZN7rocprim17ROCPRIM_400000_NS6detail17trampoline_kernelINS0_14default_configENS1_27scan_by_key_config_selectorIiyEEZZNS1_16scan_by_key_implILNS1_25lookback_scan_determinismE0ELb1ES3_N6thrust23THRUST_200600_302600_NS6detail15normal_iteratorINS9_10device_ptrIiEEEENSB_INSC_IyEEEESG_yNS9_4plusIvEENS9_8equal_toIvEEyEE10hipError_tPvRmT2_T3_T4_T5_mT6_T7_P12ihipStream_tbENKUlT_T0_E_clISt17integral_constantIbLb1EES11_EEDaSW_SX_EUlSW_E_NS1_11comp_targetILNS1_3genE10ELNS1_11target_archE1200ELNS1_3gpuE4ELNS1_3repE0EEENS1_30default_config_static_selectorELNS0_4arch9wavefront6targetE0EEEvT1_.has_recursion, 0
	.set _ZN7rocprim17ROCPRIM_400000_NS6detail17trampoline_kernelINS0_14default_configENS1_27scan_by_key_config_selectorIiyEEZZNS1_16scan_by_key_implILNS1_25lookback_scan_determinismE0ELb1ES3_N6thrust23THRUST_200600_302600_NS6detail15normal_iteratorINS9_10device_ptrIiEEEENSB_INSC_IyEEEESG_yNS9_4plusIvEENS9_8equal_toIvEEyEE10hipError_tPvRmT2_T3_T4_T5_mT6_T7_P12ihipStream_tbENKUlT_T0_E_clISt17integral_constantIbLb1EES11_EEDaSW_SX_EUlSW_E_NS1_11comp_targetILNS1_3genE10ELNS1_11target_archE1200ELNS1_3gpuE4ELNS1_3repE0EEENS1_30default_config_static_selectorELNS0_4arch9wavefront6targetE0EEEvT1_.has_indirect_call, 0
	.section	.AMDGPU.csdata,"",@progbits
; Kernel info:
; codeLenInByte = 0
; TotalNumSgprs: 0
; NumVgprs: 0
; ScratchSize: 0
; MemoryBound: 0
; FloatMode: 240
; IeeeMode: 1
; LDSByteSize: 0 bytes/workgroup (compile time only)
; SGPRBlocks: 0
; VGPRBlocks: 0
; NumSGPRsForWavesPerEU: 1
; NumVGPRsForWavesPerEU: 1
; Occupancy: 16
; WaveLimiterHint : 0
; COMPUTE_PGM_RSRC2:SCRATCH_EN: 0
; COMPUTE_PGM_RSRC2:USER_SGPR: 6
; COMPUTE_PGM_RSRC2:TRAP_HANDLER: 0
; COMPUTE_PGM_RSRC2:TGID_X_EN: 1
; COMPUTE_PGM_RSRC2:TGID_Y_EN: 0
; COMPUTE_PGM_RSRC2:TGID_Z_EN: 0
; COMPUTE_PGM_RSRC2:TIDIG_COMP_CNT: 0
	.section	.text._ZN7rocprim17ROCPRIM_400000_NS6detail17trampoline_kernelINS0_14default_configENS1_27scan_by_key_config_selectorIiyEEZZNS1_16scan_by_key_implILNS1_25lookback_scan_determinismE0ELb1ES3_N6thrust23THRUST_200600_302600_NS6detail15normal_iteratorINS9_10device_ptrIiEEEENSB_INSC_IyEEEESG_yNS9_4plusIvEENS9_8equal_toIvEEyEE10hipError_tPvRmT2_T3_T4_T5_mT6_T7_P12ihipStream_tbENKUlT_T0_E_clISt17integral_constantIbLb1EES11_EEDaSW_SX_EUlSW_E_NS1_11comp_targetILNS1_3genE9ELNS1_11target_archE1100ELNS1_3gpuE3ELNS1_3repE0EEENS1_30default_config_static_selectorELNS0_4arch9wavefront6targetE0EEEvT1_,"axG",@progbits,_ZN7rocprim17ROCPRIM_400000_NS6detail17trampoline_kernelINS0_14default_configENS1_27scan_by_key_config_selectorIiyEEZZNS1_16scan_by_key_implILNS1_25lookback_scan_determinismE0ELb1ES3_N6thrust23THRUST_200600_302600_NS6detail15normal_iteratorINS9_10device_ptrIiEEEENSB_INSC_IyEEEESG_yNS9_4plusIvEENS9_8equal_toIvEEyEE10hipError_tPvRmT2_T3_T4_T5_mT6_T7_P12ihipStream_tbENKUlT_T0_E_clISt17integral_constantIbLb1EES11_EEDaSW_SX_EUlSW_E_NS1_11comp_targetILNS1_3genE9ELNS1_11target_archE1100ELNS1_3gpuE3ELNS1_3repE0EEENS1_30default_config_static_selectorELNS0_4arch9wavefront6targetE0EEEvT1_,comdat
	.protected	_ZN7rocprim17ROCPRIM_400000_NS6detail17trampoline_kernelINS0_14default_configENS1_27scan_by_key_config_selectorIiyEEZZNS1_16scan_by_key_implILNS1_25lookback_scan_determinismE0ELb1ES3_N6thrust23THRUST_200600_302600_NS6detail15normal_iteratorINS9_10device_ptrIiEEEENSB_INSC_IyEEEESG_yNS9_4plusIvEENS9_8equal_toIvEEyEE10hipError_tPvRmT2_T3_T4_T5_mT6_T7_P12ihipStream_tbENKUlT_T0_E_clISt17integral_constantIbLb1EES11_EEDaSW_SX_EUlSW_E_NS1_11comp_targetILNS1_3genE9ELNS1_11target_archE1100ELNS1_3gpuE3ELNS1_3repE0EEENS1_30default_config_static_selectorELNS0_4arch9wavefront6targetE0EEEvT1_ ; -- Begin function _ZN7rocprim17ROCPRIM_400000_NS6detail17trampoline_kernelINS0_14default_configENS1_27scan_by_key_config_selectorIiyEEZZNS1_16scan_by_key_implILNS1_25lookback_scan_determinismE0ELb1ES3_N6thrust23THRUST_200600_302600_NS6detail15normal_iteratorINS9_10device_ptrIiEEEENSB_INSC_IyEEEESG_yNS9_4plusIvEENS9_8equal_toIvEEyEE10hipError_tPvRmT2_T3_T4_T5_mT6_T7_P12ihipStream_tbENKUlT_T0_E_clISt17integral_constantIbLb1EES11_EEDaSW_SX_EUlSW_E_NS1_11comp_targetILNS1_3genE9ELNS1_11target_archE1100ELNS1_3gpuE3ELNS1_3repE0EEENS1_30default_config_static_selectorELNS0_4arch9wavefront6targetE0EEEvT1_
	.globl	_ZN7rocprim17ROCPRIM_400000_NS6detail17trampoline_kernelINS0_14default_configENS1_27scan_by_key_config_selectorIiyEEZZNS1_16scan_by_key_implILNS1_25lookback_scan_determinismE0ELb1ES3_N6thrust23THRUST_200600_302600_NS6detail15normal_iteratorINS9_10device_ptrIiEEEENSB_INSC_IyEEEESG_yNS9_4plusIvEENS9_8equal_toIvEEyEE10hipError_tPvRmT2_T3_T4_T5_mT6_T7_P12ihipStream_tbENKUlT_T0_E_clISt17integral_constantIbLb1EES11_EEDaSW_SX_EUlSW_E_NS1_11comp_targetILNS1_3genE9ELNS1_11target_archE1100ELNS1_3gpuE3ELNS1_3repE0EEENS1_30default_config_static_selectorELNS0_4arch9wavefront6targetE0EEEvT1_
	.p2align	8
	.type	_ZN7rocprim17ROCPRIM_400000_NS6detail17trampoline_kernelINS0_14default_configENS1_27scan_by_key_config_selectorIiyEEZZNS1_16scan_by_key_implILNS1_25lookback_scan_determinismE0ELb1ES3_N6thrust23THRUST_200600_302600_NS6detail15normal_iteratorINS9_10device_ptrIiEEEENSB_INSC_IyEEEESG_yNS9_4plusIvEENS9_8equal_toIvEEyEE10hipError_tPvRmT2_T3_T4_T5_mT6_T7_P12ihipStream_tbENKUlT_T0_E_clISt17integral_constantIbLb1EES11_EEDaSW_SX_EUlSW_E_NS1_11comp_targetILNS1_3genE9ELNS1_11target_archE1100ELNS1_3gpuE3ELNS1_3repE0EEENS1_30default_config_static_selectorELNS0_4arch9wavefront6targetE0EEEvT1_,@function
_ZN7rocprim17ROCPRIM_400000_NS6detail17trampoline_kernelINS0_14default_configENS1_27scan_by_key_config_selectorIiyEEZZNS1_16scan_by_key_implILNS1_25lookback_scan_determinismE0ELb1ES3_N6thrust23THRUST_200600_302600_NS6detail15normal_iteratorINS9_10device_ptrIiEEEENSB_INSC_IyEEEESG_yNS9_4plusIvEENS9_8equal_toIvEEyEE10hipError_tPvRmT2_T3_T4_T5_mT6_T7_P12ihipStream_tbENKUlT_T0_E_clISt17integral_constantIbLb1EES11_EEDaSW_SX_EUlSW_E_NS1_11comp_targetILNS1_3genE9ELNS1_11target_archE1100ELNS1_3gpuE3ELNS1_3repE0EEENS1_30default_config_static_selectorELNS0_4arch9wavefront6targetE0EEEvT1_: ; @_ZN7rocprim17ROCPRIM_400000_NS6detail17trampoline_kernelINS0_14default_configENS1_27scan_by_key_config_selectorIiyEEZZNS1_16scan_by_key_implILNS1_25lookback_scan_determinismE0ELb1ES3_N6thrust23THRUST_200600_302600_NS6detail15normal_iteratorINS9_10device_ptrIiEEEENSB_INSC_IyEEEESG_yNS9_4plusIvEENS9_8equal_toIvEEyEE10hipError_tPvRmT2_T3_T4_T5_mT6_T7_P12ihipStream_tbENKUlT_T0_E_clISt17integral_constantIbLb1EES11_EEDaSW_SX_EUlSW_E_NS1_11comp_targetILNS1_3genE9ELNS1_11target_archE1100ELNS1_3gpuE3ELNS1_3repE0EEENS1_30default_config_static_selectorELNS0_4arch9wavefront6targetE0EEEvT1_
; %bb.0:
	.section	.rodata,"a",@progbits
	.p2align	6, 0x0
	.amdhsa_kernel _ZN7rocprim17ROCPRIM_400000_NS6detail17trampoline_kernelINS0_14default_configENS1_27scan_by_key_config_selectorIiyEEZZNS1_16scan_by_key_implILNS1_25lookback_scan_determinismE0ELb1ES3_N6thrust23THRUST_200600_302600_NS6detail15normal_iteratorINS9_10device_ptrIiEEEENSB_INSC_IyEEEESG_yNS9_4plusIvEENS9_8equal_toIvEEyEE10hipError_tPvRmT2_T3_T4_T5_mT6_T7_P12ihipStream_tbENKUlT_T0_E_clISt17integral_constantIbLb1EES11_EEDaSW_SX_EUlSW_E_NS1_11comp_targetILNS1_3genE9ELNS1_11target_archE1100ELNS1_3gpuE3ELNS1_3repE0EEENS1_30default_config_static_selectorELNS0_4arch9wavefront6targetE0EEEvT1_
		.amdhsa_group_segment_fixed_size 0
		.amdhsa_private_segment_fixed_size 0
		.amdhsa_kernarg_size 136
		.amdhsa_user_sgpr_count 6
		.amdhsa_user_sgpr_private_segment_buffer 1
		.amdhsa_user_sgpr_dispatch_ptr 0
		.amdhsa_user_sgpr_queue_ptr 0
		.amdhsa_user_sgpr_kernarg_segment_ptr 1
		.amdhsa_user_sgpr_dispatch_id 0
		.amdhsa_user_sgpr_flat_scratch_init 0
		.amdhsa_user_sgpr_private_segment_size 0
		.amdhsa_wavefront_size32 1
		.amdhsa_uses_dynamic_stack 0
		.amdhsa_system_sgpr_private_segment_wavefront_offset 0
		.amdhsa_system_sgpr_workgroup_id_x 1
		.amdhsa_system_sgpr_workgroup_id_y 0
		.amdhsa_system_sgpr_workgroup_id_z 0
		.amdhsa_system_sgpr_workgroup_info 0
		.amdhsa_system_vgpr_workitem_id 0
		.amdhsa_next_free_vgpr 1
		.amdhsa_next_free_sgpr 1
		.amdhsa_reserve_vcc 0
		.amdhsa_reserve_flat_scratch 0
		.amdhsa_float_round_mode_32 0
		.amdhsa_float_round_mode_16_64 0
		.amdhsa_float_denorm_mode_32 3
		.amdhsa_float_denorm_mode_16_64 3
		.amdhsa_dx10_clamp 1
		.amdhsa_ieee_mode 1
		.amdhsa_fp16_overflow 0
		.amdhsa_workgroup_processor_mode 1
		.amdhsa_memory_ordered 1
		.amdhsa_forward_progress 1
		.amdhsa_shared_vgpr_count 0
		.amdhsa_exception_fp_ieee_invalid_op 0
		.amdhsa_exception_fp_denorm_src 0
		.amdhsa_exception_fp_ieee_div_zero 0
		.amdhsa_exception_fp_ieee_overflow 0
		.amdhsa_exception_fp_ieee_underflow 0
		.amdhsa_exception_fp_ieee_inexact 0
		.amdhsa_exception_int_div_zero 0
	.end_amdhsa_kernel
	.section	.text._ZN7rocprim17ROCPRIM_400000_NS6detail17trampoline_kernelINS0_14default_configENS1_27scan_by_key_config_selectorIiyEEZZNS1_16scan_by_key_implILNS1_25lookback_scan_determinismE0ELb1ES3_N6thrust23THRUST_200600_302600_NS6detail15normal_iteratorINS9_10device_ptrIiEEEENSB_INSC_IyEEEESG_yNS9_4plusIvEENS9_8equal_toIvEEyEE10hipError_tPvRmT2_T3_T4_T5_mT6_T7_P12ihipStream_tbENKUlT_T0_E_clISt17integral_constantIbLb1EES11_EEDaSW_SX_EUlSW_E_NS1_11comp_targetILNS1_3genE9ELNS1_11target_archE1100ELNS1_3gpuE3ELNS1_3repE0EEENS1_30default_config_static_selectorELNS0_4arch9wavefront6targetE0EEEvT1_,"axG",@progbits,_ZN7rocprim17ROCPRIM_400000_NS6detail17trampoline_kernelINS0_14default_configENS1_27scan_by_key_config_selectorIiyEEZZNS1_16scan_by_key_implILNS1_25lookback_scan_determinismE0ELb1ES3_N6thrust23THRUST_200600_302600_NS6detail15normal_iteratorINS9_10device_ptrIiEEEENSB_INSC_IyEEEESG_yNS9_4plusIvEENS9_8equal_toIvEEyEE10hipError_tPvRmT2_T3_T4_T5_mT6_T7_P12ihipStream_tbENKUlT_T0_E_clISt17integral_constantIbLb1EES11_EEDaSW_SX_EUlSW_E_NS1_11comp_targetILNS1_3genE9ELNS1_11target_archE1100ELNS1_3gpuE3ELNS1_3repE0EEENS1_30default_config_static_selectorELNS0_4arch9wavefront6targetE0EEEvT1_,comdat
.Lfunc_end1479:
	.size	_ZN7rocprim17ROCPRIM_400000_NS6detail17trampoline_kernelINS0_14default_configENS1_27scan_by_key_config_selectorIiyEEZZNS1_16scan_by_key_implILNS1_25lookback_scan_determinismE0ELb1ES3_N6thrust23THRUST_200600_302600_NS6detail15normal_iteratorINS9_10device_ptrIiEEEENSB_INSC_IyEEEESG_yNS9_4plusIvEENS9_8equal_toIvEEyEE10hipError_tPvRmT2_T3_T4_T5_mT6_T7_P12ihipStream_tbENKUlT_T0_E_clISt17integral_constantIbLb1EES11_EEDaSW_SX_EUlSW_E_NS1_11comp_targetILNS1_3genE9ELNS1_11target_archE1100ELNS1_3gpuE3ELNS1_3repE0EEENS1_30default_config_static_selectorELNS0_4arch9wavefront6targetE0EEEvT1_, .Lfunc_end1479-_ZN7rocprim17ROCPRIM_400000_NS6detail17trampoline_kernelINS0_14default_configENS1_27scan_by_key_config_selectorIiyEEZZNS1_16scan_by_key_implILNS1_25lookback_scan_determinismE0ELb1ES3_N6thrust23THRUST_200600_302600_NS6detail15normal_iteratorINS9_10device_ptrIiEEEENSB_INSC_IyEEEESG_yNS9_4plusIvEENS9_8equal_toIvEEyEE10hipError_tPvRmT2_T3_T4_T5_mT6_T7_P12ihipStream_tbENKUlT_T0_E_clISt17integral_constantIbLb1EES11_EEDaSW_SX_EUlSW_E_NS1_11comp_targetILNS1_3genE9ELNS1_11target_archE1100ELNS1_3gpuE3ELNS1_3repE0EEENS1_30default_config_static_selectorELNS0_4arch9wavefront6targetE0EEEvT1_
                                        ; -- End function
	.set _ZN7rocprim17ROCPRIM_400000_NS6detail17trampoline_kernelINS0_14default_configENS1_27scan_by_key_config_selectorIiyEEZZNS1_16scan_by_key_implILNS1_25lookback_scan_determinismE0ELb1ES3_N6thrust23THRUST_200600_302600_NS6detail15normal_iteratorINS9_10device_ptrIiEEEENSB_INSC_IyEEEESG_yNS9_4plusIvEENS9_8equal_toIvEEyEE10hipError_tPvRmT2_T3_T4_T5_mT6_T7_P12ihipStream_tbENKUlT_T0_E_clISt17integral_constantIbLb1EES11_EEDaSW_SX_EUlSW_E_NS1_11comp_targetILNS1_3genE9ELNS1_11target_archE1100ELNS1_3gpuE3ELNS1_3repE0EEENS1_30default_config_static_selectorELNS0_4arch9wavefront6targetE0EEEvT1_.num_vgpr, 0
	.set _ZN7rocprim17ROCPRIM_400000_NS6detail17trampoline_kernelINS0_14default_configENS1_27scan_by_key_config_selectorIiyEEZZNS1_16scan_by_key_implILNS1_25lookback_scan_determinismE0ELb1ES3_N6thrust23THRUST_200600_302600_NS6detail15normal_iteratorINS9_10device_ptrIiEEEENSB_INSC_IyEEEESG_yNS9_4plusIvEENS9_8equal_toIvEEyEE10hipError_tPvRmT2_T3_T4_T5_mT6_T7_P12ihipStream_tbENKUlT_T0_E_clISt17integral_constantIbLb1EES11_EEDaSW_SX_EUlSW_E_NS1_11comp_targetILNS1_3genE9ELNS1_11target_archE1100ELNS1_3gpuE3ELNS1_3repE0EEENS1_30default_config_static_selectorELNS0_4arch9wavefront6targetE0EEEvT1_.num_agpr, 0
	.set _ZN7rocprim17ROCPRIM_400000_NS6detail17trampoline_kernelINS0_14default_configENS1_27scan_by_key_config_selectorIiyEEZZNS1_16scan_by_key_implILNS1_25lookback_scan_determinismE0ELb1ES3_N6thrust23THRUST_200600_302600_NS6detail15normal_iteratorINS9_10device_ptrIiEEEENSB_INSC_IyEEEESG_yNS9_4plusIvEENS9_8equal_toIvEEyEE10hipError_tPvRmT2_T3_T4_T5_mT6_T7_P12ihipStream_tbENKUlT_T0_E_clISt17integral_constantIbLb1EES11_EEDaSW_SX_EUlSW_E_NS1_11comp_targetILNS1_3genE9ELNS1_11target_archE1100ELNS1_3gpuE3ELNS1_3repE0EEENS1_30default_config_static_selectorELNS0_4arch9wavefront6targetE0EEEvT1_.numbered_sgpr, 0
	.set _ZN7rocprim17ROCPRIM_400000_NS6detail17trampoline_kernelINS0_14default_configENS1_27scan_by_key_config_selectorIiyEEZZNS1_16scan_by_key_implILNS1_25lookback_scan_determinismE0ELb1ES3_N6thrust23THRUST_200600_302600_NS6detail15normal_iteratorINS9_10device_ptrIiEEEENSB_INSC_IyEEEESG_yNS9_4plusIvEENS9_8equal_toIvEEyEE10hipError_tPvRmT2_T3_T4_T5_mT6_T7_P12ihipStream_tbENKUlT_T0_E_clISt17integral_constantIbLb1EES11_EEDaSW_SX_EUlSW_E_NS1_11comp_targetILNS1_3genE9ELNS1_11target_archE1100ELNS1_3gpuE3ELNS1_3repE0EEENS1_30default_config_static_selectorELNS0_4arch9wavefront6targetE0EEEvT1_.num_named_barrier, 0
	.set _ZN7rocprim17ROCPRIM_400000_NS6detail17trampoline_kernelINS0_14default_configENS1_27scan_by_key_config_selectorIiyEEZZNS1_16scan_by_key_implILNS1_25lookback_scan_determinismE0ELb1ES3_N6thrust23THRUST_200600_302600_NS6detail15normal_iteratorINS9_10device_ptrIiEEEENSB_INSC_IyEEEESG_yNS9_4plusIvEENS9_8equal_toIvEEyEE10hipError_tPvRmT2_T3_T4_T5_mT6_T7_P12ihipStream_tbENKUlT_T0_E_clISt17integral_constantIbLb1EES11_EEDaSW_SX_EUlSW_E_NS1_11comp_targetILNS1_3genE9ELNS1_11target_archE1100ELNS1_3gpuE3ELNS1_3repE0EEENS1_30default_config_static_selectorELNS0_4arch9wavefront6targetE0EEEvT1_.private_seg_size, 0
	.set _ZN7rocprim17ROCPRIM_400000_NS6detail17trampoline_kernelINS0_14default_configENS1_27scan_by_key_config_selectorIiyEEZZNS1_16scan_by_key_implILNS1_25lookback_scan_determinismE0ELb1ES3_N6thrust23THRUST_200600_302600_NS6detail15normal_iteratorINS9_10device_ptrIiEEEENSB_INSC_IyEEEESG_yNS9_4plusIvEENS9_8equal_toIvEEyEE10hipError_tPvRmT2_T3_T4_T5_mT6_T7_P12ihipStream_tbENKUlT_T0_E_clISt17integral_constantIbLb1EES11_EEDaSW_SX_EUlSW_E_NS1_11comp_targetILNS1_3genE9ELNS1_11target_archE1100ELNS1_3gpuE3ELNS1_3repE0EEENS1_30default_config_static_selectorELNS0_4arch9wavefront6targetE0EEEvT1_.uses_vcc, 0
	.set _ZN7rocprim17ROCPRIM_400000_NS6detail17trampoline_kernelINS0_14default_configENS1_27scan_by_key_config_selectorIiyEEZZNS1_16scan_by_key_implILNS1_25lookback_scan_determinismE0ELb1ES3_N6thrust23THRUST_200600_302600_NS6detail15normal_iteratorINS9_10device_ptrIiEEEENSB_INSC_IyEEEESG_yNS9_4plusIvEENS9_8equal_toIvEEyEE10hipError_tPvRmT2_T3_T4_T5_mT6_T7_P12ihipStream_tbENKUlT_T0_E_clISt17integral_constantIbLb1EES11_EEDaSW_SX_EUlSW_E_NS1_11comp_targetILNS1_3genE9ELNS1_11target_archE1100ELNS1_3gpuE3ELNS1_3repE0EEENS1_30default_config_static_selectorELNS0_4arch9wavefront6targetE0EEEvT1_.uses_flat_scratch, 0
	.set _ZN7rocprim17ROCPRIM_400000_NS6detail17trampoline_kernelINS0_14default_configENS1_27scan_by_key_config_selectorIiyEEZZNS1_16scan_by_key_implILNS1_25lookback_scan_determinismE0ELb1ES3_N6thrust23THRUST_200600_302600_NS6detail15normal_iteratorINS9_10device_ptrIiEEEENSB_INSC_IyEEEESG_yNS9_4plusIvEENS9_8equal_toIvEEyEE10hipError_tPvRmT2_T3_T4_T5_mT6_T7_P12ihipStream_tbENKUlT_T0_E_clISt17integral_constantIbLb1EES11_EEDaSW_SX_EUlSW_E_NS1_11comp_targetILNS1_3genE9ELNS1_11target_archE1100ELNS1_3gpuE3ELNS1_3repE0EEENS1_30default_config_static_selectorELNS0_4arch9wavefront6targetE0EEEvT1_.has_dyn_sized_stack, 0
	.set _ZN7rocprim17ROCPRIM_400000_NS6detail17trampoline_kernelINS0_14default_configENS1_27scan_by_key_config_selectorIiyEEZZNS1_16scan_by_key_implILNS1_25lookback_scan_determinismE0ELb1ES3_N6thrust23THRUST_200600_302600_NS6detail15normal_iteratorINS9_10device_ptrIiEEEENSB_INSC_IyEEEESG_yNS9_4plusIvEENS9_8equal_toIvEEyEE10hipError_tPvRmT2_T3_T4_T5_mT6_T7_P12ihipStream_tbENKUlT_T0_E_clISt17integral_constantIbLb1EES11_EEDaSW_SX_EUlSW_E_NS1_11comp_targetILNS1_3genE9ELNS1_11target_archE1100ELNS1_3gpuE3ELNS1_3repE0EEENS1_30default_config_static_selectorELNS0_4arch9wavefront6targetE0EEEvT1_.has_recursion, 0
	.set _ZN7rocprim17ROCPRIM_400000_NS6detail17trampoline_kernelINS0_14default_configENS1_27scan_by_key_config_selectorIiyEEZZNS1_16scan_by_key_implILNS1_25lookback_scan_determinismE0ELb1ES3_N6thrust23THRUST_200600_302600_NS6detail15normal_iteratorINS9_10device_ptrIiEEEENSB_INSC_IyEEEESG_yNS9_4plusIvEENS9_8equal_toIvEEyEE10hipError_tPvRmT2_T3_T4_T5_mT6_T7_P12ihipStream_tbENKUlT_T0_E_clISt17integral_constantIbLb1EES11_EEDaSW_SX_EUlSW_E_NS1_11comp_targetILNS1_3genE9ELNS1_11target_archE1100ELNS1_3gpuE3ELNS1_3repE0EEENS1_30default_config_static_selectorELNS0_4arch9wavefront6targetE0EEEvT1_.has_indirect_call, 0
	.section	.AMDGPU.csdata,"",@progbits
; Kernel info:
; codeLenInByte = 0
; TotalNumSgprs: 0
; NumVgprs: 0
; ScratchSize: 0
; MemoryBound: 0
; FloatMode: 240
; IeeeMode: 1
; LDSByteSize: 0 bytes/workgroup (compile time only)
; SGPRBlocks: 0
; VGPRBlocks: 0
; NumSGPRsForWavesPerEU: 1
; NumVGPRsForWavesPerEU: 1
; Occupancy: 16
; WaveLimiterHint : 0
; COMPUTE_PGM_RSRC2:SCRATCH_EN: 0
; COMPUTE_PGM_RSRC2:USER_SGPR: 6
; COMPUTE_PGM_RSRC2:TRAP_HANDLER: 0
; COMPUTE_PGM_RSRC2:TGID_X_EN: 1
; COMPUTE_PGM_RSRC2:TGID_Y_EN: 0
; COMPUTE_PGM_RSRC2:TGID_Z_EN: 0
; COMPUTE_PGM_RSRC2:TIDIG_COMP_CNT: 0
	.section	.text._ZN7rocprim17ROCPRIM_400000_NS6detail17trampoline_kernelINS0_14default_configENS1_27scan_by_key_config_selectorIiyEEZZNS1_16scan_by_key_implILNS1_25lookback_scan_determinismE0ELb1ES3_N6thrust23THRUST_200600_302600_NS6detail15normal_iteratorINS9_10device_ptrIiEEEENSB_INSC_IyEEEESG_yNS9_4plusIvEENS9_8equal_toIvEEyEE10hipError_tPvRmT2_T3_T4_T5_mT6_T7_P12ihipStream_tbENKUlT_T0_E_clISt17integral_constantIbLb1EES11_EEDaSW_SX_EUlSW_E_NS1_11comp_targetILNS1_3genE8ELNS1_11target_archE1030ELNS1_3gpuE2ELNS1_3repE0EEENS1_30default_config_static_selectorELNS0_4arch9wavefront6targetE0EEEvT1_,"axG",@progbits,_ZN7rocprim17ROCPRIM_400000_NS6detail17trampoline_kernelINS0_14default_configENS1_27scan_by_key_config_selectorIiyEEZZNS1_16scan_by_key_implILNS1_25lookback_scan_determinismE0ELb1ES3_N6thrust23THRUST_200600_302600_NS6detail15normal_iteratorINS9_10device_ptrIiEEEENSB_INSC_IyEEEESG_yNS9_4plusIvEENS9_8equal_toIvEEyEE10hipError_tPvRmT2_T3_T4_T5_mT6_T7_P12ihipStream_tbENKUlT_T0_E_clISt17integral_constantIbLb1EES11_EEDaSW_SX_EUlSW_E_NS1_11comp_targetILNS1_3genE8ELNS1_11target_archE1030ELNS1_3gpuE2ELNS1_3repE0EEENS1_30default_config_static_selectorELNS0_4arch9wavefront6targetE0EEEvT1_,comdat
	.protected	_ZN7rocprim17ROCPRIM_400000_NS6detail17trampoline_kernelINS0_14default_configENS1_27scan_by_key_config_selectorIiyEEZZNS1_16scan_by_key_implILNS1_25lookback_scan_determinismE0ELb1ES3_N6thrust23THRUST_200600_302600_NS6detail15normal_iteratorINS9_10device_ptrIiEEEENSB_INSC_IyEEEESG_yNS9_4plusIvEENS9_8equal_toIvEEyEE10hipError_tPvRmT2_T3_T4_T5_mT6_T7_P12ihipStream_tbENKUlT_T0_E_clISt17integral_constantIbLb1EES11_EEDaSW_SX_EUlSW_E_NS1_11comp_targetILNS1_3genE8ELNS1_11target_archE1030ELNS1_3gpuE2ELNS1_3repE0EEENS1_30default_config_static_selectorELNS0_4arch9wavefront6targetE0EEEvT1_ ; -- Begin function _ZN7rocprim17ROCPRIM_400000_NS6detail17trampoline_kernelINS0_14default_configENS1_27scan_by_key_config_selectorIiyEEZZNS1_16scan_by_key_implILNS1_25lookback_scan_determinismE0ELb1ES3_N6thrust23THRUST_200600_302600_NS6detail15normal_iteratorINS9_10device_ptrIiEEEENSB_INSC_IyEEEESG_yNS9_4plusIvEENS9_8equal_toIvEEyEE10hipError_tPvRmT2_T3_T4_T5_mT6_T7_P12ihipStream_tbENKUlT_T0_E_clISt17integral_constantIbLb1EES11_EEDaSW_SX_EUlSW_E_NS1_11comp_targetILNS1_3genE8ELNS1_11target_archE1030ELNS1_3gpuE2ELNS1_3repE0EEENS1_30default_config_static_selectorELNS0_4arch9wavefront6targetE0EEEvT1_
	.globl	_ZN7rocprim17ROCPRIM_400000_NS6detail17trampoline_kernelINS0_14default_configENS1_27scan_by_key_config_selectorIiyEEZZNS1_16scan_by_key_implILNS1_25lookback_scan_determinismE0ELb1ES3_N6thrust23THRUST_200600_302600_NS6detail15normal_iteratorINS9_10device_ptrIiEEEENSB_INSC_IyEEEESG_yNS9_4plusIvEENS9_8equal_toIvEEyEE10hipError_tPvRmT2_T3_T4_T5_mT6_T7_P12ihipStream_tbENKUlT_T0_E_clISt17integral_constantIbLb1EES11_EEDaSW_SX_EUlSW_E_NS1_11comp_targetILNS1_3genE8ELNS1_11target_archE1030ELNS1_3gpuE2ELNS1_3repE0EEENS1_30default_config_static_selectorELNS0_4arch9wavefront6targetE0EEEvT1_
	.p2align	8
	.type	_ZN7rocprim17ROCPRIM_400000_NS6detail17trampoline_kernelINS0_14default_configENS1_27scan_by_key_config_selectorIiyEEZZNS1_16scan_by_key_implILNS1_25lookback_scan_determinismE0ELb1ES3_N6thrust23THRUST_200600_302600_NS6detail15normal_iteratorINS9_10device_ptrIiEEEENSB_INSC_IyEEEESG_yNS9_4plusIvEENS9_8equal_toIvEEyEE10hipError_tPvRmT2_T3_T4_T5_mT6_T7_P12ihipStream_tbENKUlT_T0_E_clISt17integral_constantIbLb1EES11_EEDaSW_SX_EUlSW_E_NS1_11comp_targetILNS1_3genE8ELNS1_11target_archE1030ELNS1_3gpuE2ELNS1_3repE0EEENS1_30default_config_static_selectorELNS0_4arch9wavefront6targetE0EEEvT1_,@function
_ZN7rocprim17ROCPRIM_400000_NS6detail17trampoline_kernelINS0_14default_configENS1_27scan_by_key_config_selectorIiyEEZZNS1_16scan_by_key_implILNS1_25lookback_scan_determinismE0ELb1ES3_N6thrust23THRUST_200600_302600_NS6detail15normal_iteratorINS9_10device_ptrIiEEEENSB_INSC_IyEEEESG_yNS9_4plusIvEENS9_8equal_toIvEEyEE10hipError_tPvRmT2_T3_T4_T5_mT6_T7_P12ihipStream_tbENKUlT_T0_E_clISt17integral_constantIbLb1EES11_EEDaSW_SX_EUlSW_E_NS1_11comp_targetILNS1_3genE8ELNS1_11target_archE1030ELNS1_3gpuE2ELNS1_3repE0EEENS1_30default_config_static_selectorELNS0_4arch9wavefront6targetE0EEEvT1_: ; @_ZN7rocprim17ROCPRIM_400000_NS6detail17trampoline_kernelINS0_14default_configENS1_27scan_by_key_config_selectorIiyEEZZNS1_16scan_by_key_implILNS1_25lookback_scan_determinismE0ELb1ES3_N6thrust23THRUST_200600_302600_NS6detail15normal_iteratorINS9_10device_ptrIiEEEENSB_INSC_IyEEEESG_yNS9_4plusIvEENS9_8equal_toIvEEyEE10hipError_tPvRmT2_T3_T4_T5_mT6_T7_P12ihipStream_tbENKUlT_T0_E_clISt17integral_constantIbLb1EES11_EEDaSW_SX_EUlSW_E_NS1_11comp_targetILNS1_3genE8ELNS1_11target_archE1030ELNS1_3gpuE2ELNS1_3repE0EEENS1_30default_config_static_selectorELNS0_4arch9wavefront6targetE0EEEvT1_
; %bb.0:
	s_endpgm
	.section	.rodata,"a",@progbits
	.p2align	6, 0x0
	.amdhsa_kernel _ZN7rocprim17ROCPRIM_400000_NS6detail17trampoline_kernelINS0_14default_configENS1_27scan_by_key_config_selectorIiyEEZZNS1_16scan_by_key_implILNS1_25lookback_scan_determinismE0ELb1ES3_N6thrust23THRUST_200600_302600_NS6detail15normal_iteratorINS9_10device_ptrIiEEEENSB_INSC_IyEEEESG_yNS9_4plusIvEENS9_8equal_toIvEEyEE10hipError_tPvRmT2_T3_T4_T5_mT6_T7_P12ihipStream_tbENKUlT_T0_E_clISt17integral_constantIbLb1EES11_EEDaSW_SX_EUlSW_E_NS1_11comp_targetILNS1_3genE8ELNS1_11target_archE1030ELNS1_3gpuE2ELNS1_3repE0EEENS1_30default_config_static_selectorELNS0_4arch9wavefront6targetE0EEEvT1_
		.amdhsa_group_segment_fixed_size 0
		.amdhsa_private_segment_fixed_size 0
		.amdhsa_kernarg_size 136
		.amdhsa_user_sgpr_count 6
		.amdhsa_user_sgpr_private_segment_buffer 1
		.amdhsa_user_sgpr_dispatch_ptr 0
		.amdhsa_user_sgpr_queue_ptr 0
		.amdhsa_user_sgpr_kernarg_segment_ptr 1
		.amdhsa_user_sgpr_dispatch_id 0
		.amdhsa_user_sgpr_flat_scratch_init 0
		.amdhsa_user_sgpr_private_segment_size 0
		.amdhsa_wavefront_size32 1
		.amdhsa_uses_dynamic_stack 0
		.amdhsa_system_sgpr_private_segment_wavefront_offset 0
		.amdhsa_system_sgpr_workgroup_id_x 1
		.amdhsa_system_sgpr_workgroup_id_y 0
		.amdhsa_system_sgpr_workgroup_id_z 0
		.amdhsa_system_sgpr_workgroup_info 0
		.amdhsa_system_vgpr_workitem_id 0
		.amdhsa_next_free_vgpr 1
		.amdhsa_next_free_sgpr 1
		.amdhsa_reserve_vcc 0
		.amdhsa_reserve_flat_scratch 0
		.amdhsa_float_round_mode_32 0
		.amdhsa_float_round_mode_16_64 0
		.amdhsa_float_denorm_mode_32 3
		.amdhsa_float_denorm_mode_16_64 3
		.amdhsa_dx10_clamp 1
		.amdhsa_ieee_mode 1
		.amdhsa_fp16_overflow 0
		.amdhsa_workgroup_processor_mode 1
		.amdhsa_memory_ordered 1
		.amdhsa_forward_progress 1
		.amdhsa_shared_vgpr_count 0
		.amdhsa_exception_fp_ieee_invalid_op 0
		.amdhsa_exception_fp_denorm_src 0
		.amdhsa_exception_fp_ieee_div_zero 0
		.amdhsa_exception_fp_ieee_overflow 0
		.amdhsa_exception_fp_ieee_underflow 0
		.amdhsa_exception_fp_ieee_inexact 0
		.amdhsa_exception_int_div_zero 0
	.end_amdhsa_kernel
	.section	.text._ZN7rocprim17ROCPRIM_400000_NS6detail17trampoline_kernelINS0_14default_configENS1_27scan_by_key_config_selectorIiyEEZZNS1_16scan_by_key_implILNS1_25lookback_scan_determinismE0ELb1ES3_N6thrust23THRUST_200600_302600_NS6detail15normal_iteratorINS9_10device_ptrIiEEEENSB_INSC_IyEEEESG_yNS9_4plusIvEENS9_8equal_toIvEEyEE10hipError_tPvRmT2_T3_T4_T5_mT6_T7_P12ihipStream_tbENKUlT_T0_E_clISt17integral_constantIbLb1EES11_EEDaSW_SX_EUlSW_E_NS1_11comp_targetILNS1_3genE8ELNS1_11target_archE1030ELNS1_3gpuE2ELNS1_3repE0EEENS1_30default_config_static_selectorELNS0_4arch9wavefront6targetE0EEEvT1_,"axG",@progbits,_ZN7rocprim17ROCPRIM_400000_NS6detail17trampoline_kernelINS0_14default_configENS1_27scan_by_key_config_selectorIiyEEZZNS1_16scan_by_key_implILNS1_25lookback_scan_determinismE0ELb1ES3_N6thrust23THRUST_200600_302600_NS6detail15normal_iteratorINS9_10device_ptrIiEEEENSB_INSC_IyEEEESG_yNS9_4plusIvEENS9_8equal_toIvEEyEE10hipError_tPvRmT2_T3_T4_T5_mT6_T7_P12ihipStream_tbENKUlT_T0_E_clISt17integral_constantIbLb1EES11_EEDaSW_SX_EUlSW_E_NS1_11comp_targetILNS1_3genE8ELNS1_11target_archE1030ELNS1_3gpuE2ELNS1_3repE0EEENS1_30default_config_static_selectorELNS0_4arch9wavefront6targetE0EEEvT1_,comdat
.Lfunc_end1480:
	.size	_ZN7rocprim17ROCPRIM_400000_NS6detail17trampoline_kernelINS0_14default_configENS1_27scan_by_key_config_selectorIiyEEZZNS1_16scan_by_key_implILNS1_25lookback_scan_determinismE0ELb1ES3_N6thrust23THRUST_200600_302600_NS6detail15normal_iteratorINS9_10device_ptrIiEEEENSB_INSC_IyEEEESG_yNS9_4plusIvEENS9_8equal_toIvEEyEE10hipError_tPvRmT2_T3_T4_T5_mT6_T7_P12ihipStream_tbENKUlT_T0_E_clISt17integral_constantIbLb1EES11_EEDaSW_SX_EUlSW_E_NS1_11comp_targetILNS1_3genE8ELNS1_11target_archE1030ELNS1_3gpuE2ELNS1_3repE0EEENS1_30default_config_static_selectorELNS0_4arch9wavefront6targetE0EEEvT1_, .Lfunc_end1480-_ZN7rocprim17ROCPRIM_400000_NS6detail17trampoline_kernelINS0_14default_configENS1_27scan_by_key_config_selectorIiyEEZZNS1_16scan_by_key_implILNS1_25lookback_scan_determinismE0ELb1ES3_N6thrust23THRUST_200600_302600_NS6detail15normal_iteratorINS9_10device_ptrIiEEEENSB_INSC_IyEEEESG_yNS9_4plusIvEENS9_8equal_toIvEEyEE10hipError_tPvRmT2_T3_T4_T5_mT6_T7_P12ihipStream_tbENKUlT_T0_E_clISt17integral_constantIbLb1EES11_EEDaSW_SX_EUlSW_E_NS1_11comp_targetILNS1_3genE8ELNS1_11target_archE1030ELNS1_3gpuE2ELNS1_3repE0EEENS1_30default_config_static_selectorELNS0_4arch9wavefront6targetE0EEEvT1_
                                        ; -- End function
	.set _ZN7rocprim17ROCPRIM_400000_NS6detail17trampoline_kernelINS0_14default_configENS1_27scan_by_key_config_selectorIiyEEZZNS1_16scan_by_key_implILNS1_25lookback_scan_determinismE0ELb1ES3_N6thrust23THRUST_200600_302600_NS6detail15normal_iteratorINS9_10device_ptrIiEEEENSB_INSC_IyEEEESG_yNS9_4plusIvEENS9_8equal_toIvEEyEE10hipError_tPvRmT2_T3_T4_T5_mT6_T7_P12ihipStream_tbENKUlT_T0_E_clISt17integral_constantIbLb1EES11_EEDaSW_SX_EUlSW_E_NS1_11comp_targetILNS1_3genE8ELNS1_11target_archE1030ELNS1_3gpuE2ELNS1_3repE0EEENS1_30default_config_static_selectorELNS0_4arch9wavefront6targetE0EEEvT1_.num_vgpr, 0
	.set _ZN7rocprim17ROCPRIM_400000_NS6detail17trampoline_kernelINS0_14default_configENS1_27scan_by_key_config_selectorIiyEEZZNS1_16scan_by_key_implILNS1_25lookback_scan_determinismE0ELb1ES3_N6thrust23THRUST_200600_302600_NS6detail15normal_iteratorINS9_10device_ptrIiEEEENSB_INSC_IyEEEESG_yNS9_4plusIvEENS9_8equal_toIvEEyEE10hipError_tPvRmT2_T3_T4_T5_mT6_T7_P12ihipStream_tbENKUlT_T0_E_clISt17integral_constantIbLb1EES11_EEDaSW_SX_EUlSW_E_NS1_11comp_targetILNS1_3genE8ELNS1_11target_archE1030ELNS1_3gpuE2ELNS1_3repE0EEENS1_30default_config_static_selectorELNS0_4arch9wavefront6targetE0EEEvT1_.num_agpr, 0
	.set _ZN7rocprim17ROCPRIM_400000_NS6detail17trampoline_kernelINS0_14default_configENS1_27scan_by_key_config_selectorIiyEEZZNS1_16scan_by_key_implILNS1_25lookback_scan_determinismE0ELb1ES3_N6thrust23THRUST_200600_302600_NS6detail15normal_iteratorINS9_10device_ptrIiEEEENSB_INSC_IyEEEESG_yNS9_4plusIvEENS9_8equal_toIvEEyEE10hipError_tPvRmT2_T3_T4_T5_mT6_T7_P12ihipStream_tbENKUlT_T0_E_clISt17integral_constantIbLb1EES11_EEDaSW_SX_EUlSW_E_NS1_11comp_targetILNS1_3genE8ELNS1_11target_archE1030ELNS1_3gpuE2ELNS1_3repE0EEENS1_30default_config_static_selectorELNS0_4arch9wavefront6targetE0EEEvT1_.numbered_sgpr, 0
	.set _ZN7rocprim17ROCPRIM_400000_NS6detail17trampoline_kernelINS0_14default_configENS1_27scan_by_key_config_selectorIiyEEZZNS1_16scan_by_key_implILNS1_25lookback_scan_determinismE0ELb1ES3_N6thrust23THRUST_200600_302600_NS6detail15normal_iteratorINS9_10device_ptrIiEEEENSB_INSC_IyEEEESG_yNS9_4plusIvEENS9_8equal_toIvEEyEE10hipError_tPvRmT2_T3_T4_T5_mT6_T7_P12ihipStream_tbENKUlT_T0_E_clISt17integral_constantIbLb1EES11_EEDaSW_SX_EUlSW_E_NS1_11comp_targetILNS1_3genE8ELNS1_11target_archE1030ELNS1_3gpuE2ELNS1_3repE0EEENS1_30default_config_static_selectorELNS0_4arch9wavefront6targetE0EEEvT1_.num_named_barrier, 0
	.set _ZN7rocprim17ROCPRIM_400000_NS6detail17trampoline_kernelINS0_14default_configENS1_27scan_by_key_config_selectorIiyEEZZNS1_16scan_by_key_implILNS1_25lookback_scan_determinismE0ELb1ES3_N6thrust23THRUST_200600_302600_NS6detail15normal_iteratorINS9_10device_ptrIiEEEENSB_INSC_IyEEEESG_yNS9_4plusIvEENS9_8equal_toIvEEyEE10hipError_tPvRmT2_T3_T4_T5_mT6_T7_P12ihipStream_tbENKUlT_T0_E_clISt17integral_constantIbLb1EES11_EEDaSW_SX_EUlSW_E_NS1_11comp_targetILNS1_3genE8ELNS1_11target_archE1030ELNS1_3gpuE2ELNS1_3repE0EEENS1_30default_config_static_selectorELNS0_4arch9wavefront6targetE0EEEvT1_.private_seg_size, 0
	.set _ZN7rocprim17ROCPRIM_400000_NS6detail17trampoline_kernelINS0_14default_configENS1_27scan_by_key_config_selectorIiyEEZZNS1_16scan_by_key_implILNS1_25lookback_scan_determinismE0ELb1ES3_N6thrust23THRUST_200600_302600_NS6detail15normal_iteratorINS9_10device_ptrIiEEEENSB_INSC_IyEEEESG_yNS9_4plusIvEENS9_8equal_toIvEEyEE10hipError_tPvRmT2_T3_T4_T5_mT6_T7_P12ihipStream_tbENKUlT_T0_E_clISt17integral_constantIbLb1EES11_EEDaSW_SX_EUlSW_E_NS1_11comp_targetILNS1_3genE8ELNS1_11target_archE1030ELNS1_3gpuE2ELNS1_3repE0EEENS1_30default_config_static_selectorELNS0_4arch9wavefront6targetE0EEEvT1_.uses_vcc, 0
	.set _ZN7rocprim17ROCPRIM_400000_NS6detail17trampoline_kernelINS0_14default_configENS1_27scan_by_key_config_selectorIiyEEZZNS1_16scan_by_key_implILNS1_25lookback_scan_determinismE0ELb1ES3_N6thrust23THRUST_200600_302600_NS6detail15normal_iteratorINS9_10device_ptrIiEEEENSB_INSC_IyEEEESG_yNS9_4plusIvEENS9_8equal_toIvEEyEE10hipError_tPvRmT2_T3_T4_T5_mT6_T7_P12ihipStream_tbENKUlT_T0_E_clISt17integral_constantIbLb1EES11_EEDaSW_SX_EUlSW_E_NS1_11comp_targetILNS1_3genE8ELNS1_11target_archE1030ELNS1_3gpuE2ELNS1_3repE0EEENS1_30default_config_static_selectorELNS0_4arch9wavefront6targetE0EEEvT1_.uses_flat_scratch, 0
	.set _ZN7rocprim17ROCPRIM_400000_NS6detail17trampoline_kernelINS0_14default_configENS1_27scan_by_key_config_selectorIiyEEZZNS1_16scan_by_key_implILNS1_25lookback_scan_determinismE0ELb1ES3_N6thrust23THRUST_200600_302600_NS6detail15normal_iteratorINS9_10device_ptrIiEEEENSB_INSC_IyEEEESG_yNS9_4plusIvEENS9_8equal_toIvEEyEE10hipError_tPvRmT2_T3_T4_T5_mT6_T7_P12ihipStream_tbENKUlT_T0_E_clISt17integral_constantIbLb1EES11_EEDaSW_SX_EUlSW_E_NS1_11comp_targetILNS1_3genE8ELNS1_11target_archE1030ELNS1_3gpuE2ELNS1_3repE0EEENS1_30default_config_static_selectorELNS0_4arch9wavefront6targetE0EEEvT1_.has_dyn_sized_stack, 0
	.set _ZN7rocprim17ROCPRIM_400000_NS6detail17trampoline_kernelINS0_14default_configENS1_27scan_by_key_config_selectorIiyEEZZNS1_16scan_by_key_implILNS1_25lookback_scan_determinismE0ELb1ES3_N6thrust23THRUST_200600_302600_NS6detail15normal_iteratorINS9_10device_ptrIiEEEENSB_INSC_IyEEEESG_yNS9_4plusIvEENS9_8equal_toIvEEyEE10hipError_tPvRmT2_T3_T4_T5_mT6_T7_P12ihipStream_tbENKUlT_T0_E_clISt17integral_constantIbLb1EES11_EEDaSW_SX_EUlSW_E_NS1_11comp_targetILNS1_3genE8ELNS1_11target_archE1030ELNS1_3gpuE2ELNS1_3repE0EEENS1_30default_config_static_selectorELNS0_4arch9wavefront6targetE0EEEvT1_.has_recursion, 0
	.set _ZN7rocprim17ROCPRIM_400000_NS6detail17trampoline_kernelINS0_14default_configENS1_27scan_by_key_config_selectorIiyEEZZNS1_16scan_by_key_implILNS1_25lookback_scan_determinismE0ELb1ES3_N6thrust23THRUST_200600_302600_NS6detail15normal_iteratorINS9_10device_ptrIiEEEENSB_INSC_IyEEEESG_yNS9_4plusIvEENS9_8equal_toIvEEyEE10hipError_tPvRmT2_T3_T4_T5_mT6_T7_P12ihipStream_tbENKUlT_T0_E_clISt17integral_constantIbLb1EES11_EEDaSW_SX_EUlSW_E_NS1_11comp_targetILNS1_3genE8ELNS1_11target_archE1030ELNS1_3gpuE2ELNS1_3repE0EEENS1_30default_config_static_selectorELNS0_4arch9wavefront6targetE0EEEvT1_.has_indirect_call, 0
	.section	.AMDGPU.csdata,"",@progbits
; Kernel info:
; codeLenInByte = 4
; TotalNumSgprs: 0
; NumVgprs: 0
; ScratchSize: 0
; MemoryBound: 0
; FloatMode: 240
; IeeeMode: 1
; LDSByteSize: 0 bytes/workgroup (compile time only)
; SGPRBlocks: 0
; VGPRBlocks: 0
; NumSGPRsForWavesPerEU: 1
; NumVGPRsForWavesPerEU: 1
; Occupancy: 16
; WaveLimiterHint : 0
; COMPUTE_PGM_RSRC2:SCRATCH_EN: 0
; COMPUTE_PGM_RSRC2:USER_SGPR: 6
; COMPUTE_PGM_RSRC2:TRAP_HANDLER: 0
; COMPUTE_PGM_RSRC2:TGID_X_EN: 1
; COMPUTE_PGM_RSRC2:TGID_Y_EN: 0
; COMPUTE_PGM_RSRC2:TGID_Z_EN: 0
; COMPUTE_PGM_RSRC2:TIDIG_COMP_CNT: 0
	.section	.text._ZN7rocprim17ROCPRIM_400000_NS6detail17trampoline_kernelINS0_14default_configENS1_27scan_by_key_config_selectorIiyEEZZNS1_16scan_by_key_implILNS1_25lookback_scan_determinismE0ELb1ES3_N6thrust23THRUST_200600_302600_NS6detail15normal_iteratorINS9_10device_ptrIiEEEENSB_INSC_IyEEEESG_yNS9_4plusIvEENS9_8equal_toIvEEyEE10hipError_tPvRmT2_T3_T4_T5_mT6_T7_P12ihipStream_tbENKUlT_T0_E_clISt17integral_constantIbLb1EES10_IbLb0EEEEDaSW_SX_EUlSW_E_NS1_11comp_targetILNS1_3genE0ELNS1_11target_archE4294967295ELNS1_3gpuE0ELNS1_3repE0EEENS1_30default_config_static_selectorELNS0_4arch9wavefront6targetE0EEEvT1_,"axG",@progbits,_ZN7rocprim17ROCPRIM_400000_NS6detail17trampoline_kernelINS0_14default_configENS1_27scan_by_key_config_selectorIiyEEZZNS1_16scan_by_key_implILNS1_25lookback_scan_determinismE0ELb1ES3_N6thrust23THRUST_200600_302600_NS6detail15normal_iteratorINS9_10device_ptrIiEEEENSB_INSC_IyEEEESG_yNS9_4plusIvEENS9_8equal_toIvEEyEE10hipError_tPvRmT2_T3_T4_T5_mT6_T7_P12ihipStream_tbENKUlT_T0_E_clISt17integral_constantIbLb1EES10_IbLb0EEEEDaSW_SX_EUlSW_E_NS1_11comp_targetILNS1_3genE0ELNS1_11target_archE4294967295ELNS1_3gpuE0ELNS1_3repE0EEENS1_30default_config_static_selectorELNS0_4arch9wavefront6targetE0EEEvT1_,comdat
	.protected	_ZN7rocprim17ROCPRIM_400000_NS6detail17trampoline_kernelINS0_14default_configENS1_27scan_by_key_config_selectorIiyEEZZNS1_16scan_by_key_implILNS1_25lookback_scan_determinismE0ELb1ES3_N6thrust23THRUST_200600_302600_NS6detail15normal_iteratorINS9_10device_ptrIiEEEENSB_INSC_IyEEEESG_yNS9_4plusIvEENS9_8equal_toIvEEyEE10hipError_tPvRmT2_T3_T4_T5_mT6_T7_P12ihipStream_tbENKUlT_T0_E_clISt17integral_constantIbLb1EES10_IbLb0EEEEDaSW_SX_EUlSW_E_NS1_11comp_targetILNS1_3genE0ELNS1_11target_archE4294967295ELNS1_3gpuE0ELNS1_3repE0EEENS1_30default_config_static_selectorELNS0_4arch9wavefront6targetE0EEEvT1_ ; -- Begin function _ZN7rocprim17ROCPRIM_400000_NS6detail17trampoline_kernelINS0_14default_configENS1_27scan_by_key_config_selectorIiyEEZZNS1_16scan_by_key_implILNS1_25lookback_scan_determinismE0ELb1ES3_N6thrust23THRUST_200600_302600_NS6detail15normal_iteratorINS9_10device_ptrIiEEEENSB_INSC_IyEEEESG_yNS9_4plusIvEENS9_8equal_toIvEEyEE10hipError_tPvRmT2_T3_T4_T5_mT6_T7_P12ihipStream_tbENKUlT_T0_E_clISt17integral_constantIbLb1EES10_IbLb0EEEEDaSW_SX_EUlSW_E_NS1_11comp_targetILNS1_3genE0ELNS1_11target_archE4294967295ELNS1_3gpuE0ELNS1_3repE0EEENS1_30default_config_static_selectorELNS0_4arch9wavefront6targetE0EEEvT1_
	.globl	_ZN7rocprim17ROCPRIM_400000_NS6detail17trampoline_kernelINS0_14default_configENS1_27scan_by_key_config_selectorIiyEEZZNS1_16scan_by_key_implILNS1_25lookback_scan_determinismE0ELb1ES3_N6thrust23THRUST_200600_302600_NS6detail15normal_iteratorINS9_10device_ptrIiEEEENSB_INSC_IyEEEESG_yNS9_4plusIvEENS9_8equal_toIvEEyEE10hipError_tPvRmT2_T3_T4_T5_mT6_T7_P12ihipStream_tbENKUlT_T0_E_clISt17integral_constantIbLb1EES10_IbLb0EEEEDaSW_SX_EUlSW_E_NS1_11comp_targetILNS1_3genE0ELNS1_11target_archE4294967295ELNS1_3gpuE0ELNS1_3repE0EEENS1_30default_config_static_selectorELNS0_4arch9wavefront6targetE0EEEvT1_
	.p2align	8
	.type	_ZN7rocprim17ROCPRIM_400000_NS6detail17trampoline_kernelINS0_14default_configENS1_27scan_by_key_config_selectorIiyEEZZNS1_16scan_by_key_implILNS1_25lookback_scan_determinismE0ELb1ES3_N6thrust23THRUST_200600_302600_NS6detail15normal_iteratorINS9_10device_ptrIiEEEENSB_INSC_IyEEEESG_yNS9_4plusIvEENS9_8equal_toIvEEyEE10hipError_tPvRmT2_T3_T4_T5_mT6_T7_P12ihipStream_tbENKUlT_T0_E_clISt17integral_constantIbLb1EES10_IbLb0EEEEDaSW_SX_EUlSW_E_NS1_11comp_targetILNS1_3genE0ELNS1_11target_archE4294967295ELNS1_3gpuE0ELNS1_3repE0EEENS1_30default_config_static_selectorELNS0_4arch9wavefront6targetE0EEEvT1_,@function
_ZN7rocprim17ROCPRIM_400000_NS6detail17trampoline_kernelINS0_14default_configENS1_27scan_by_key_config_selectorIiyEEZZNS1_16scan_by_key_implILNS1_25lookback_scan_determinismE0ELb1ES3_N6thrust23THRUST_200600_302600_NS6detail15normal_iteratorINS9_10device_ptrIiEEEENSB_INSC_IyEEEESG_yNS9_4plusIvEENS9_8equal_toIvEEyEE10hipError_tPvRmT2_T3_T4_T5_mT6_T7_P12ihipStream_tbENKUlT_T0_E_clISt17integral_constantIbLb1EES10_IbLb0EEEEDaSW_SX_EUlSW_E_NS1_11comp_targetILNS1_3genE0ELNS1_11target_archE4294967295ELNS1_3gpuE0ELNS1_3repE0EEENS1_30default_config_static_selectorELNS0_4arch9wavefront6targetE0EEEvT1_: ; @_ZN7rocprim17ROCPRIM_400000_NS6detail17trampoline_kernelINS0_14default_configENS1_27scan_by_key_config_selectorIiyEEZZNS1_16scan_by_key_implILNS1_25lookback_scan_determinismE0ELb1ES3_N6thrust23THRUST_200600_302600_NS6detail15normal_iteratorINS9_10device_ptrIiEEEENSB_INSC_IyEEEESG_yNS9_4plusIvEENS9_8equal_toIvEEyEE10hipError_tPvRmT2_T3_T4_T5_mT6_T7_P12ihipStream_tbENKUlT_T0_E_clISt17integral_constantIbLb1EES10_IbLb0EEEEDaSW_SX_EUlSW_E_NS1_11comp_targetILNS1_3genE0ELNS1_11target_archE4294967295ELNS1_3gpuE0ELNS1_3repE0EEENS1_30default_config_static_selectorELNS0_4arch9wavefront6targetE0EEEvT1_
; %bb.0:
	.section	.rodata,"a",@progbits
	.p2align	6, 0x0
	.amdhsa_kernel _ZN7rocprim17ROCPRIM_400000_NS6detail17trampoline_kernelINS0_14default_configENS1_27scan_by_key_config_selectorIiyEEZZNS1_16scan_by_key_implILNS1_25lookback_scan_determinismE0ELb1ES3_N6thrust23THRUST_200600_302600_NS6detail15normal_iteratorINS9_10device_ptrIiEEEENSB_INSC_IyEEEESG_yNS9_4plusIvEENS9_8equal_toIvEEyEE10hipError_tPvRmT2_T3_T4_T5_mT6_T7_P12ihipStream_tbENKUlT_T0_E_clISt17integral_constantIbLb1EES10_IbLb0EEEEDaSW_SX_EUlSW_E_NS1_11comp_targetILNS1_3genE0ELNS1_11target_archE4294967295ELNS1_3gpuE0ELNS1_3repE0EEENS1_30default_config_static_selectorELNS0_4arch9wavefront6targetE0EEEvT1_
		.amdhsa_group_segment_fixed_size 0
		.amdhsa_private_segment_fixed_size 0
		.amdhsa_kernarg_size 136
		.amdhsa_user_sgpr_count 6
		.amdhsa_user_sgpr_private_segment_buffer 1
		.amdhsa_user_sgpr_dispatch_ptr 0
		.amdhsa_user_sgpr_queue_ptr 0
		.amdhsa_user_sgpr_kernarg_segment_ptr 1
		.amdhsa_user_sgpr_dispatch_id 0
		.amdhsa_user_sgpr_flat_scratch_init 0
		.amdhsa_user_sgpr_private_segment_size 0
		.amdhsa_wavefront_size32 1
		.amdhsa_uses_dynamic_stack 0
		.amdhsa_system_sgpr_private_segment_wavefront_offset 0
		.amdhsa_system_sgpr_workgroup_id_x 1
		.amdhsa_system_sgpr_workgroup_id_y 0
		.amdhsa_system_sgpr_workgroup_id_z 0
		.amdhsa_system_sgpr_workgroup_info 0
		.amdhsa_system_vgpr_workitem_id 0
		.amdhsa_next_free_vgpr 1
		.amdhsa_next_free_sgpr 1
		.amdhsa_reserve_vcc 0
		.amdhsa_reserve_flat_scratch 0
		.amdhsa_float_round_mode_32 0
		.amdhsa_float_round_mode_16_64 0
		.amdhsa_float_denorm_mode_32 3
		.amdhsa_float_denorm_mode_16_64 3
		.amdhsa_dx10_clamp 1
		.amdhsa_ieee_mode 1
		.amdhsa_fp16_overflow 0
		.amdhsa_workgroup_processor_mode 1
		.amdhsa_memory_ordered 1
		.amdhsa_forward_progress 1
		.amdhsa_shared_vgpr_count 0
		.amdhsa_exception_fp_ieee_invalid_op 0
		.amdhsa_exception_fp_denorm_src 0
		.amdhsa_exception_fp_ieee_div_zero 0
		.amdhsa_exception_fp_ieee_overflow 0
		.amdhsa_exception_fp_ieee_underflow 0
		.amdhsa_exception_fp_ieee_inexact 0
		.amdhsa_exception_int_div_zero 0
	.end_amdhsa_kernel
	.section	.text._ZN7rocprim17ROCPRIM_400000_NS6detail17trampoline_kernelINS0_14default_configENS1_27scan_by_key_config_selectorIiyEEZZNS1_16scan_by_key_implILNS1_25lookback_scan_determinismE0ELb1ES3_N6thrust23THRUST_200600_302600_NS6detail15normal_iteratorINS9_10device_ptrIiEEEENSB_INSC_IyEEEESG_yNS9_4plusIvEENS9_8equal_toIvEEyEE10hipError_tPvRmT2_T3_T4_T5_mT6_T7_P12ihipStream_tbENKUlT_T0_E_clISt17integral_constantIbLb1EES10_IbLb0EEEEDaSW_SX_EUlSW_E_NS1_11comp_targetILNS1_3genE0ELNS1_11target_archE4294967295ELNS1_3gpuE0ELNS1_3repE0EEENS1_30default_config_static_selectorELNS0_4arch9wavefront6targetE0EEEvT1_,"axG",@progbits,_ZN7rocprim17ROCPRIM_400000_NS6detail17trampoline_kernelINS0_14default_configENS1_27scan_by_key_config_selectorIiyEEZZNS1_16scan_by_key_implILNS1_25lookback_scan_determinismE0ELb1ES3_N6thrust23THRUST_200600_302600_NS6detail15normal_iteratorINS9_10device_ptrIiEEEENSB_INSC_IyEEEESG_yNS9_4plusIvEENS9_8equal_toIvEEyEE10hipError_tPvRmT2_T3_T4_T5_mT6_T7_P12ihipStream_tbENKUlT_T0_E_clISt17integral_constantIbLb1EES10_IbLb0EEEEDaSW_SX_EUlSW_E_NS1_11comp_targetILNS1_3genE0ELNS1_11target_archE4294967295ELNS1_3gpuE0ELNS1_3repE0EEENS1_30default_config_static_selectorELNS0_4arch9wavefront6targetE0EEEvT1_,comdat
.Lfunc_end1481:
	.size	_ZN7rocprim17ROCPRIM_400000_NS6detail17trampoline_kernelINS0_14default_configENS1_27scan_by_key_config_selectorIiyEEZZNS1_16scan_by_key_implILNS1_25lookback_scan_determinismE0ELb1ES3_N6thrust23THRUST_200600_302600_NS6detail15normal_iteratorINS9_10device_ptrIiEEEENSB_INSC_IyEEEESG_yNS9_4plusIvEENS9_8equal_toIvEEyEE10hipError_tPvRmT2_T3_T4_T5_mT6_T7_P12ihipStream_tbENKUlT_T0_E_clISt17integral_constantIbLb1EES10_IbLb0EEEEDaSW_SX_EUlSW_E_NS1_11comp_targetILNS1_3genE0ELNS1_11target_archE4294967295ELNS1_3gpuE0ELNS1_3repE0EEENS1_30default_config_static_selectorELNS0_4arch9wavefront6targetE0EEEvT1_, .Lfunc_end1481-_ZN7rocprim17ROCPRIM_400000_NS6detail17trampoline_kernelINS0_14default_configENS1_27scan_by_key_config_selectorIiyEEZZNS1_16scan_by_key_implILNS1_25lookback_scan_determinismE0ELb1ES3_N6thrust23THRUST_200600_302600_NS6detail15normal_iteratorINS9_10device_ptrIiEEEENSB_INSC_IyEEEESG_yNS9_4plusIvEENS9_8equal_toIvEEyEE10hipError_tPvRmT2_T3_T4_T5_mT6_T7_P12ihipStream_tbENKUlT_T0_E_clISt17integral_constantIbLb1EES10_IbLb0EEEEDaSW_SX_EUlSW_E_NS1_11comp_targetILNS1_3genE0ELNS1_11target_archE4294967295ELNS1_3gpuE0ELNS1_3repE0EEENS1_30default_config_static_selectorELNS0_4arch9wavefront6targetE0EEEvT1_
                                        ; -- End function
	.set _ZN7rocprim17ROCPRIM_400000_NS6detail17trampoline_kernelINS0_14default_configENS1_27scan_by_key_config_selectorIiyEEZZNS1_16scan_by_key_implILNS1_25lookback_scan_determinismE0ELb1ES3_N6thrust23THRUST_200600_302600_NS6detail15normal_iteratorINS9_10device_ptrIiEEEENSB_INSC_IyEEEESG_yNS9_4plusIvEENS9_8equal_toIvEEyEE10hipError_tPvRmT2_T3_T4_T5_mT6_T7_P12ihipStream_tbENKUlT_T0_E_clISt17integral_constantIbLb1EES10_IbLb0EEEEDaSW_SX_EUlSW_E_NS1_11comp_targetILNS1_3genE0ELNS1_11target_archE4294967295ELNS1_3gpuE0ELNS1_3repE0EEENS1_30default_config_static_selectorELNS0_4arch9wavefront6targetE0EEEvT1_.num_vgpr, 0
	.set _ZN7rocprim17ROCPRIM_400000_NS6detail17trampoline_kernelINS0_14default_configENS1_27scan_by_key_config_selectorIiyEEZZNS1_16scan_by_key_implILNS1_25lookback_scan_determinismE0ELb1ES3_N6thrust23THRUST_200600_302600_NS6detail15normal_iteratorINS9_10device_ptrIiEEEENSB_INSC_IyEEEESG_yNS9_4plusIvEENS9_8equal_toIvEEyEE10hipError_tPvRmT2_T3_T4_T5_mT6_T7_P12ihipStream_tbENKUlT_T0_E_clISt17integral_constantIbLb1EES10_IbLb0EEEEDaSW_SX_EUlSW_E_NS1_11comp_targetILNS1_3genE0ELNS1_11target_archE4294967295ELNS1_3gpuE0ELNS1_3repE0EEENS1_30default_config_static_selectorELNS0_4arch9wavefront6targetE0EEEvT1_.num_agpr, 0
	.set _ZN7rocprim17ROCPRIM_400000_NS6detail17trampoline_kernelINS0_14default_configENS1_27scan_by_key_config_selectorIiyEEZZNS1_16scan_by_key_implILNS1_25lookback_scan_determinismE0ELb1ES3_N6thrust23THRUST_200600_302600_NS6detail15normal_iteratorINS9_10device_ptrIiEEEENSB_INSC_IyEEEESG_yNS9_4plusIvEENS9_8equal_toIvEEyEE10hipError_tPvRmT2_T3_T4_T5_mT6_T7_P12ihipStream_tbENKUlT_T0_E_clISt17integral_constantIbLb1EES10_IbLb0EEEEDaSW_SX_EUlSW_E_NS1_11comp_targetILNS1_3genE0ELNS1_11target_archE4294967295ELNS1_3gpuE0ELNS1_3repE0EEENS1_30default_config_static_selectorELNS0_4arch9wavefront6targetE0EEEvT1_.numbered_sgpr, 0
	.set _ZN7rocprim17ROCPRIM_400000_NS6detail17trampoline_kernelINS0_14default_configENS1_27scan_by_key_config_selectorIiyEEZZNS1_16scan_by_key_implILNS1_25lookback_scan_determinismE0ELb1ES3_N6thrust23THRUST_200600_302600_NS6detail15normal_iteratorINS9_10device_ptrIiEEEENSB_INSC_IyEEEESG_yNS9_4plusIvEENS9_8equal_toIvEEyEE10hipError_tPvRmT2_T3_T4_T5_mT6_T7_P12ihipStream_tbENKUlT_T0_E_clISt17integral_constantIbLb1EES10_IbLb0EEEEDaSW_SX_EUlSW_E_NS1_11comp_targetILNS1_3genE0ELNS1_11target_archE4294967295ELNS1_3gpuE0ELNS1_3repE0EEENS1_30default_config_static_selectorELNS0_4arch9wavefront6targetE0EEEvT1_.num_named_barrier, 0
	.set _ZN7rocprim17ROCPRIM_400000_NS6detail17trampoline_kernelINS0_14default_configENS1_27scan_by_key_config_selectorIiyEEZZNS1_16scan_by_key_implILNS1_25lookback_scan_determinismE0ELb1ES3_N6thrust23THRUST_200600_302600_NS6detail15normal_iteratorINS9_10device_ptrIiEEEENSB_INSC_IyEEEESG_yNS9_4plusIvEENS9_8equal_toIvEEyEE10hipError_tPvRmT2_T3_T4_T5_mT6_T7_P12ihipStream_tbENKUlT_T0_E_clISt17integral_constantIbLb1EES10_IbLb0EEEEDaSW_SX_EUlSW_E_NS1_11comp_targetILNS1_3genE0ELNS1_11target_archE4294967295ELNS1_3gpuE0ELNS1_3repE0EEENS1_30default_config_static_selectorELNS0_4arch9wavefront6targetE0EEEvT1_.private_seg_size, 0
	.set _ZN7rocprim17ROCPRIM_400000_NS6detail17trampoline_kernelINS0_14default_configENS1_27scan_by_key_config_selectorIiyEEZZNS1_16scan_by_key_implILNS1_25lookback_scan_determinismE0ELb1ES3_N6thrust23THRUST_200600_302600_NS6detail15normal_iteratorINS9_10device_ptrIiEEEENSB_INSC_IyEEEESG_yNS9_4plusIvEENS9_8equal_toIvEEyEE10hipError_tPvRmT2_T3_T4_T5_mT6_T7_P12ihipStream_tbENKUlT_T0_E_clISt17integral_constantIbLb1EES10_IbLb0EEEEDaSW_SX_EUlSW_E_NS1_11comp_targetILNS1_3genE0ELNS1_11target_archE4294967295ELNS1_3gpuE0ELNS1_3repE0EEENS1_30default_config_static_selectorELNS0_4arch9wavefront6targetE0EEEvT1_.uses_vcc, 0
	.set _ZN7rocprim17ROCPRIM_400000_NS6detail17trampoline_kernelINS0_14default_configENS1_27scan_by_key_config_selectorIiyEEZZNS1_16scan_by_key_implILNS1_25lookback_scan_determinismE0ELb1ES3_N6thrust23THRUST_200600_302600_NS6detail15normal_iteratorINS9_10device_ptrIiEEEENSB_INSC_IyEEEESG_yNS9_4plusIvEENS9_8equal_toIvEEyEE10hipError_tPvRmT2_T3_T4_T5_mT6_T7_P12ihipStream_tbENKUlT_T0_E_clISt17integral_constantIbLb1EES10_IbLb0EEEEDaSW_SX_EUlSW_E_NS1_11comp_targetILNS1_3genE0ELNS1_11target_archE4294967295ELNS1_3gpuE0ELNS1_3repE0EEENS1_30default_config_static_selectorELNS0_4arch9wavefront6targetE0EEEvT1_.uses_flat_scratch, 0
	.set _ZN7rocprim17ROCPRIM_400000_NS6detail17trampoline_kernelINS0_14default_configENS1_27scan_by_key_config_selectorIiyEEZZNS1_16scan_by_key_implILNS1_25lookback_scan_determinismE0ELb1ES3_N6thrust23THRUST_200600_302600_NS6detail15normal_iteratorINS9_10device_ptrIiEEEENSB_INSC_IyEEEESG_yNS9_4plusIvEENS9_8equal_toIvEEyEE10hipError_tPvRmT2_T3_T4_T5_mT6_T7_P12ihipStream_tbENKUlT_T0_E_clISt17integral_constantIbLb1EES10_IbLb0EEEEDaSW_SX_EUlSW_E_NS1_11comp_targetILNS1_3genE0ELNS1_11target_archE4294967295ELNS1_3gpuE0ELNS1_3repE0EEENS1_30default_config_static_selectorELNS0_4arch9wavefront6targetE0EEEvT1_.has_dyn_sized_stack, 0
	.set _ZN7rocprim17ROCPRIM_400000_NS6detail17trampoline_kernelINS0_14default_configENS1_27scan_by_key_config_selectorIiyEEZZNS1_16scan_by_key_implILNS1_25lookback_scan_determinismE0ELb1ES3_N6thrust23THRUST_200600_302600_NS6detail15normal_iteratorINS9_10device_ptrIiEEEENSB_INSC_IyEEEESG_yNS9_4plusIvEENS9_8equal_toIvEEyEE10hipError_tPvRmT2_T3_T4_T5_mT6_T7_P12ihipStream_tbENKUlT_T0_E_clISt17integral_constantIbLb1EES10_IbLb0EEEEDaSW_SX_EUlSW_E_NS1_11comp_targetILNS1_3genE0ELNS1_11target_archE4294967295ELNS1_3gpuE0ELNS1_3repE0EEENS1_30default_config_static_selectorELNS0_4arch9wavefront6targetE0EEEvT1_.has_recursion, 0
	.set _ZN7rocprim17ROCPRIM_400000_NS6detail17trampoline_kernelINS0_14default_configENS1_27scan_by_key_config_selectorIiyEEZZNS1_16scan_by_key_implILNS1_25lookback_scan_determinismE0ELb1ES3_N6thrust23THRUST_200600_302600_NS6detail15normal_iteratorINS9_10device_ptrIiEEEENSB_INSC_IyEEEESG_yNS9_4plusIvEENS9_8equal_toIvEEyEE10hipError_tPvRmT2_T3_T4_T5_mT6_T7_P12ihipStream_tbENKUlT_T0_E_clISt17integral_constantIbLb1EES10_IbLb0EEEEDaSW_SX_EUlSW_E_NS1_11comp_targetILNS1_3genE0ELNS1_11target_archE4294967295ELNS1_3gpuE0ELNS1_3repE0EEENS1_30default_config_static_selectorELNS0_4arch9wavefront6targetE0EEEvT1_.has_indirect_call, 0
	.section	.AMDGPU.csdata,"",@progbits
; Kernel info:
; codeLenInByte = 0
; TotalNumSgprs: 0
; NumVgprs: 0
; ScratchSize: 0
; MemoryBound: 0
; FloatMode: 240
; IeeeMode: 1
; LDSByteSize: 0 bytes/workgroup (compile time only)
; SGPRBlocks: 0
; VGPRBlocks: 0
; NumSGPRsForWavesPerEU: 1
; NumVGPRsForWavesPerEU: 1
; Occupancy: 16
; WaveLimiterHint : 0
; COMPUTE_PGM_RSRC2:SCRATCH_EN: 0
; COMPUTE_PGM_RSRC2:USER_SGPR: 6
; COMPUTE_PGM_RSRC2:TRAP_HANDLER: 0
; COMPUTE_PGM_RSRC2:TGID_X_EN: 1
; COMPUTE_PGM_RSRC2:TGID_Y_EN: 0
; COMPUTE_PGM_RSRC2:TGID_Z_EN: 0
; COMPUTE_PGM_RSRC2:TIDIG_COMP_CNT: 0
	.section	.text._ZN7rocprim17ROCPRIM_400000_NS6detail17trampoline_kernelINS0_14default_configENS1_27scan_by_key_config_selectorIiyEEZZNS1_16scan_by_key_implILNS1_25lookback_scan_determinismE0ELb1ES3_N6thrust23THRUST_200600_302600_NS6detail15normal_iteratorINS9_10device_ptrIiEEEENSB_INSC_IyEEEESG_yNS9_4plusIvEENS9_8equal_toIvEEyEE10hipError_tPvRmT2_T3_T4_T5_mT6_T7_P12ihipStream_tbENKUlT_T0_E_clISt17integral_constantIbLb1EES10_IbLb0EEEEDaSW_SX_EUlSW_E_NS1_11comp_targetILNS1_3genE10ELNS1_11target_archE1201ELNS1_3gpuE5ELNS1_3repE0EEENS1_30default_config_static_selectorELNS0_4arch9wavefront6targetE0EEEvT1_,"axG",@progbits,_ZN7rocprim17ROCPRIM_400000_NS6detail17trampoline_kernelINS0_14default_configENS1_27scan_by_key_config_selectorIiyEEZZNS1_16scan_by_key_implILNS1_25lookback_scan_determinismE0ELb1ES3_N6thrust23THRUST_200600_302600_NS6detail15normal_iteratorINS9_10device_ptrIiEEEENSB_INSC_IyEEEESG_yNS9_4plusIvEENS9_8equal_toIvEEyEE10hipError_tPvRmT2_T3_T4_T5_mT6_T7_P12ihipStream_tbENKUlT_T0_E_clISt17integral_constantIbLb1EES10_IbLb0EEEEDaSW_SX_EUlSW_E_NS1_11comp_targetILNS1_3genE10ELNS1_11target_archE1201ELNS1_3gpuE5ELNS1_3repE0EEENS1_30default_config_static_selectorELNS0_4arch9wavefront6targetE0EEEvT1_,comdat
	.protected	_ZN7rocprim17ROCPRIM_400000_NS6detail17trampoline_kernelINS0_14default_configENS1_27scan_by_key_config_selectorIiyEEZZNS1_16scan_by_key_implILNS1_25lookback_scan_determinismE0ELb1ES3_N6thrust23THRUST_200600_302600_NS6detail15normal_iteratorINS9_10device_ptrIiEEEENSB_INSC_IyEEEESG_yNS9_4plusIvEENS9_8equal_toIvEEyEE10hipError_tPvRmT2_T3_T4_T5_mT6_T7_P12ihipStream_tbENKUlT_T0_E_clISt17integral_constantIbLb1EES10_IbLb0EEEEDaSW_SX_EUlSW_E_NS1_11comp_targetILNS1_3genE10ELNS1_11target_archE1201ELNS1_3gpuE5ELNS1_3repE0EEENS1_30default_config_static_selectorELNS0_4arch9wavefront6targetE0EEEvT1_ ; -- Begin function _ZN7rocprim17ROCPRIM_400000_NS6detail17trampoline_kernelINS0_14default_configENS1_27scan_by_key_config_selectorIiyEEZZNS1_16scan_by_key_implILNS1_25lookback_scan_determinismE0ELb1ES3_N6thrust23THRUST_200600_302600_NS6detail15normal_iteratorINS9_10device_ptrIiEEEENSB_INSC_IyEEEESG_yNS9_4plusIvEENS9_8equal_toIvEEyEE10hipError_tPvRmT2_T3_T4_T5_mT6_T7_P12ihipStream_tbENKUlT_T0_E_clISt17integral_constantIbLb1EES10_IbLb0EEEEDaSW_SX_EUlSW_E_NS1_11comp_targetILNS1_3genE10ELNS1_11target_archE1201ELNS1_3gpuE5ELNS1_3repE0EEENS1_30default_config_static_selectorELNS0_4arch9wavefront6targetE0EEEvT1_
	.globl	_ZN7rocprim17ROCPRIM_400000_NS6detail17trampoline_kernelINS0_14default_configENS1_27scan_by_key_config_selectorIiyEEZZNS1_16scan_by_key_implILNS1_25lookback_scan_determinismE0ELb1ES3_N6thrust23THRUST_200600_302600_NS6detail15normal_iteratorINS9_10device_ptrIiEEEENSB_INSC_IyEEEESG_yNS9_4plusIvEENS9_8equal_toIvEEyEE10hipError_tPvRmT2_T3_T4_T5_mT6_T7_P12ihipStream_tbENKUlT_T0_E_clISt17integral_constantIbLb1EES10_IbLb0EEEEDaSW_SX_EUlSW_E_NS1_11comp_targetILNS1_3genE10ELNS1_11target_archE1201ELNS1_3gpuE5ELNS1_3repE0EEENS1_30default_config_static_selectorELNS0_4arch9wavefront6targetE0EEEvT1_
	.p2align	8
	.type	_ZN7rocprim17ROCPRIM_400000_NS6detail17trampoline_kernelINS0_14default_configENS1_27scan_by_key_config_selectorIiyEEZZNS1_16scan_by_key_implILNS1_25lookback_scan_determinismE0ELb1ES3_N6thrust23THRUST_200600_302600_NS6detail15normal_iteratorINS9_10device_ptrIiEEEENSB_INSC_IyEEEESG_yNS9_4plusIvEENS9_8equal_toIvEEyEE10hipError_tPvRmT2_T3_T4_T5_mT6_T7_P12ihipStream_tbENKUlT_T0_E_clISt17integral_constantIbLb1EES10_IbLb0EEEEDaSW_SX_EUlSW_E_NS1_11comp_targetILNS1_3genE10ELNS1_11target_archE1201ELNS1_3gpuE5ELNS1_3repE0EEENS1_30default_config_static_selectorELNS0_4arch9wavefront6targetE0EEEvT1_,@function
_ZN7rocprim17ROCPRIM_400000_NS6detail17trampoline_kernelINS0_14default_configENS1_27scan_by_key_config_selectorIiyEEZZNS1_16scan_by_key_implILNS1_25lookback_scan_determinismE0ELb1ES3_N6thrust23THRUST_200600_302600_NS6detail15normal_iteratorINS9_10device_ptrIiEEEENSB_INSC_IyEEEESG_yNS9_4plusIvEENS9_8equal_toIvEEyEE10hipError_tPvRmT2_T3_T4_T5_mT6_T7_P12ihipStream_tbENKUlT_T0_E_clISt17integral_constantIbLb1EES10_IbLb0EEEEDaSW_SX_EUlSW_E_NS1_11comp_targetILNS1_3genE10ELNS1_11target_archE1201ELNS1_3gpuE5ELNS1_3repE0EEENS1_30default_config_static_selectorELNS0_4arch9wavefront6targetE0EEEvT1_: ; @_ZN7rocprim17ROCPRIM_400000_NS6detail17trampoline_kernelINS0_14default_configENS1_27scan_by_key_config_selectorIiyEEZZNS1_16scan_by_key_implILNS1_25lookback_scan_determinismE0ELb1ES3_N6thrust23THRUST_200600_302600_NS6detail15normal_iteratorINS9_10device_ptrIiEEEENSB_INSC_IyEEEESG_yNS9_4plusIvEENS9_8equal_toIvEEyEE10hipError_tPvRmT2_T3_T4_T5_mT6_T7_P12ihipStream_tbENKUlT_T0_E_clISt17integral_constantIbLb1EES10_IbLb0EEEEDaSW_SX_EUlSW_E_NS1_11comp_targetILNS1_3genE10ELNS1_11target_archE1201ELNS1_3gpuE5ELNS1_3repE0EEENS1_30default_config_static_selectorELNS0_4arch9wavefront6targetE0EEEvT1_
; %bb.0:
	.section	.rodata,"a",@progbits
	.p2align	6, 0x0
	.amdhsa_kernel _ZN7rocprim17ROCPRIM_400000_NS6detail17trampoline_kernelINS0_14default_configENS1_27scan_by_key_config_selectorIiyEEZZNS1_16scan_by_key_implILNS1_25lookback_scan_determinismE0ELb1ES3_N6thrust23THRUST_200600_302600_NS6detail15normal_iteratorINS9_10device_ptrIiEEEENSB_INSC_IyEEEESG_yNS9_4plusIvEENS9_8equal_toIvEEyEE10hipError_tPvRmT2_T3_T4_T5_mT6_T7_P12ihipStream_tbENKUlT_T0_E_clISt17integral_constantIbLb1EES10_IbLb0EEEEDaSW_SX_EUlSW_E_NS1_11comp_targetILNS1_3genE10ELNS1_11target_archE1201ELNS1_3gpuE5ELNS1_3repE0EEENS1_30default_config_static_selectorELNS0_4arch9wavefront6targetE0EEEvT1_
		.amdhsa_group_segment_fixed_size 0
		.amdhsa_private_segment_fixed_size 0
		.amdhsa_kernarg_size 136
		.amdhsa_user_sgpr_count 6
		.amdhsa_user_sgpr_private_segment_buffer 1
		.amdhsa_user_sgpr_dispatch_ptr 0
		.amdhsa_user_sgpr_queue_ptr 0
		.amdhsa_user_sgpr_kernarg_segment_ptr 1
		.amdhsa_user_sgpr_dispatch_id 0
		.amdhsa_user_sgpr_flat_scratch_init 0
		.amdhsa_user_sgpr_private_segment_size 0
		.amdhsa_wavefront_size32 1
		.amdhsa_uses_dynamic_stack 0
		.amdhsa_system_sgpr_private_segment_wavefront_offset 0
		.amdhsa_system_sgpr_workgroup_id_x 1
		.amdhsa_system_sgpr_workgroup_id_y 0
		.amdhsa_system_sgpr_workgroup_id_z 0
		.amdhsa_system_sgpr_workgroup_info 0
		.amdhsa_system_vgpr_workitem_id 0
		.amdhsa_next_free_vgpr 1
		.amdhsa_next_free_sgpr 1
		.amdhsa_reserve_vcc 0
		.amdhsa_reserve_flat_scratch 0
		.amdhsa_float_round_mode_32 0
		.amdhsa_float_round_mode_16_64 0
		.amdhsa_float_denorm_mode_32 3
		.amdhsa_float_denorm_mode_16_64 3
		.amdhsa_dx10_clamp 1
		.amdhsa_ieee_mode 1
		.amdhsa_fp16_overflow 0
		.amdhsa_workgroup_processor_mode 1
		.amdhsa_memory_ordered 1
		.amdhsa_forward_progress 1
		.amdhsa_shared_vgpr_count 0
		.amdhsa_exception_fp_ieee_invalid_op 0
		.amdhsa_exception_fp_denorm_src 0
		.amdhsa_exception_fp_ieee_div_zero 0
		.amdhsa_exception_fp_ieee_overflow 0
		.amdhsa_exception_fp_ieee_underflow 0
		.amdhsa_exception_fp_ieee_inexact 0
		.amdhsa_exception_int_div_zero 0
	.end_amdhsa_kernel
	.section	.text._ZN7rocprim17ROCPRIM_400000_NS6detail17trampoline_kernelINS0_14default_configENS1_27scan_by_key_config_selectorIiyEEZZNS1_16scan_by_key_implILNS1_25lookback_scan_determinismE0ELb1ES3_N6thrust23THRUST_200600_302600_NS6detail15normal_iteratorINS9_10device_ptrIiEEEENSB_INSC_IyEEEESG_yNS9_4plusIvEENS9_8equal_toIvEEyEE10hipError_tPvRmT2_T3_T4_T5_mT6_T7_P12ihipStream_tbENKUlT_T0_E_clISt17integral_constantIbLb1EES10_IbLb0EEEEDaSW_SX_EUlSW_E_NS1_11comp_targetILNS1_3genE10ELNS1_11target_archE1201ELNS1_3gpuE5ELNS1_3repE0EEENS1_30default_config_static_selectorELNS0_4arch9wavefront6targetE0EEEvT1_,"axG",@progbits,_ZN7rocprim17ROCPRIM_400000_NS6detail17trampoline_kernelINS0_14default_configENS1_27scan_by_key_config_selectorIiyEEZZNS1_16scan_by_key_implILNS1_25lookback_scan_determinismE0ELb1ES3_N6thrust23THRUST_200600_302600_NS6detail15normal_iteratorINS9_10device_ptrIiEEEENSB_INSC_IyEEEESG_yNS9_4plusIvEENS9_8equal_toIvEEyEE10hipError_tPvRmT2_T3_T4_T5_mT6_T7_P12ihipStream_tbENKUlT_T0_E_clISt17integral_constantIbLb1EES10_IbLb0EEEEDaSW_SX_EUlSW_E_NS1_11comp_targetILNS1_3genE10ELNS1_11target_archE1201ELNS1_3gpuE5ELNS1_3repE0EEENS1_30default_config_static_selectorELNS0_4arch9wavefront6targetE0EEEvT1_,comdat
.Lfunc_end1482:
	.size	_ZN7rocprim17ROCPRIM_400000_NS6detail17trampoline_kernelINS0_14default_configENS1_27scan_by_key_config_selectorIiyEEZZNS1_16scan_by_key_implILNS1_25lookback_scan_determinismE0ELb1ES3_N6thrust23THRUST_200600_302600_NS6detail15normal_iteratorINS9_10device_ptrIiEEEENSB_INSC_IyEEEESG_yNS9_4plusIvEENS9_8equal_toIvEEyEE10hipError_tPvRmT2_T3_T4_T5_mT6_T7_P12ihipStream_tbENKUlT_T0_E_clISt17integral_constantIbLb1EES10_IbLb0EEEEDaSW_SX_EUlSW_E_NS1_11comp_targetILNS1_3genE10ELNS1_11target_archE1201ELNS1_3gpuE5ELNS1_3repE0EEENS1_30default_config_static_selectorELNS0_4arch9wavefront6targetE0EEEvT1_, .Lfunc_end1482-_ZN7rocprim17ROCPRIM_400000_NS6detail17trampoline_kernelINS0_14default_configENS1_27scan_by_key_config_selectorIiyEEZZNS1_16scan_by_key_implILNS1_25lookback_scan_determinismE0ELb1ES3_N6thrust23THRUST_200600_302600_NS6detail15normal_iteratorINS9_10device_ptrIiEEEENSB_INSC_IyEEEESG_yNS9_4plusIvEENS9_8equal_toIvEEyEE10hipError_tPvRmT2_T3_T4_T5_mT6_T7_P12ihipStream_tbENKUlT_T0_E_clISt17integral_constantIbLb1EES10_IbLb0EEEEDaSW_SX_EUlSW_E_NS1_11comp_targetILNS1_3genE10ELNS1_11target_archE1201ELNS1_3gpuE5ELNS1_3repE0EEENS1_30default_config_static_selectorELNS0_4arch9wavefront6targetE0EEEvT1_
                                        ; -- End function
	.set _ZN7rocprim17ROCPRIM_400000_NS6detail17trampoline_kernelINS0_14default_configENS1_27scan_by_key_config_selectorIiyEEZZNS1_16scan_by_key_implILNS1_25lookback_scan_determinismE0ELb1ES3_N6thrust23THRUST_200600_302600_NS6detail15normal_iteratorINS9_10device_ptrIiEEEENSB_INSC_IyEEEESG_yNS9_4plusIvEENS9_8equal_toIvEEyEE10hipError_tPvRmT2_T3_T4_T5_mT6_T7_P12ihipStream_tbENKUlT_T0_E_clISt17integral_constantIbLb1EES10_IbLb0EEEEDaSW_SX_EUlSW_E_NS1_11comp_targetILNS1_3genE10ELNS1_11target_archE1201ELNS1_3gpuE5ELNS1_3repE0EEENS1_30default_config_static_selectorELNS0_4arch9wavefront6targetE0EEEvT1_.num_vgpr, 0
	.set _ZN7rocprim17ROCPRIM_400000_NS6detail17trampoline_kernelINS0_14default_configENS1_27scan_by_key_config_selectorIiyEEZZNS1_16scan_by_key_implILNS1_25lookback_scan_determinismE0ELb1ES3_N6thrust23THRUST_200600_302600_NS6detail15normal_iteratorINS9_10device_ptrIiEEEENSB_INSC_IyEEEESG_yNS9_4plusIvEENS9_8equal_toIvEEyEE10hipError_tPvRmT2_T3_T4_T5_mT6_T7_P12ihipStream_tbENKUlT_T0_E_clISt17integral_constantIbLb1EES10_IbLb0EEEEDaSW_SX_EUlSW_E_NS1_11comp_targetILNS1_3genE10ELNS1_11target_archE1201ELNS1_3gpuE5ELNS1_3repE0EEENS1_30default_config_static_selectorELNS0_4arch9wavefront6targetE0EEEvT1_.num_agpr, 0
	.set _ZN7rocprim17ROCPRIM_400000_NS6detail17trampoline_kernelINS0_14default_configENS1_27scan_by_key_config_selectorIiyEEZZNS1_16scan_by_key_implILNS1_25lookback_scan_determinismE0ELb1ES3_N6thrust23THRUST_200600_302600_NS6detail15normal_iteratorINS9_10device_ptrIiEEEENSB_INSC_IyEEEESG_yNS9_4plusIvEENS9_8equal_toIvEEyEE10hipError_tPvRmT2_T3_T4_T5_mT6_T7_P12ihipStream_tbENKUlT_T0_E_clISt17integral_constantIbLb1EES10_IbLb0EEEEDaSW_SX_EUlSW_E_NS1_11comp_targetILNS1_3genE10ELNS1_11target_archE1201ELNS1_3gpuE5ELNS1_3repE0EEENS1_30default_config_static_selectorELNS0_4arch9wavefront6targetE0EEEvT1_.numbered_sgpr, 0
	.set _ZN7rocprim17ROCPRIM_400000_NS6detail17trampoline_kernelINS0_14default_configENS1_27scan_by_key_config_selectorIiyEEZZNS1_16scan_by_key_implILNS1_25lookback_scan_determinismE0ELb1ES3_N6thrust23THRUST_200600_302600_NS6detail15normal_iteratorINS9_10device_ptrIiEEEENSB_INSC_IyEEEESG_yNS9_4plusIvEENS9_8equal_toIvEEyEE10hipError_tPvRmT2_T3_T4_T5_mT6_T7_P12ihipStream_tbENKUlT_T0_E_clISt17integral_constantIbLb1EES10_IbLb0EEEEDaSW_SX_EUlSW_E_NS1_11comp_targetILNS1_3genE10ELNS1_11target_archE1201ELNS1_3gpuE5ELNS1_3repE0EEENS1_30default_config_static_selectorELNS0_4arch9wavefront6targetE0EEEvT1_.num_named_barrier, 0
	.set _ZN7rocprim17ROCPRIM_400000_NS6detail17trampoline_kernelINS0_14default_configENS1_27scan_by_key_config_selectorIiyEEZZNS1_16scan_by_key_implILNS1_25lookback_scan_determinismE0ELb1ES3_N6thrust23THRUST_200600_302600_NS6detail15normal_iteratorINS9_10device_ptrIiEEEENSB_INSC_IyEEEESG_yNS9_4plusIvEENS9_8equal_toIvEEyEE10hipError_tPvRmT2_T3_T4_T5_mT6_T7_P12ihipStream_tbENKUlT_T0_E_clISt17integral_constantIbLb1EES10_IbLb0EEEEDaSW_SX_EUlSW_E_NS1_11comp_targetILNS1_3genE10ELNS1_11target_archE1201ELNS1_3gpuE5ELNS1_3repE0EEENS1_30default_config_static_selectorELNS0_4arch9wavefront6targetE0EEEvT1_.private_seg_size, 0
	.set _ZN7rocprim17ROCPRIM_400000_NS6detail17trampoline_kernelINS0_14default_configENS1_27scan_by_key_config_selectorIiyEEZZNS1_16scan_by_key_implILNS1_25lookback_scan_determinismE0ELb1ES3_N6thrust23THRUST_200600_302600_NS6detail15normal_iteratorINS9_10device_ptrIiEEEENSB_INSC_IyEEEESG_yNS9_4plusIvEENS9_8equal_toIvEEyEE10hipError_tPvRmT2_T3_T4_T5_mT6_T7_P12ihipStream_tbENKUlT_T0_E_clISt17integral_constantIbLb1EES10_IbLb0EEEEDaSW_SX_EUlSW_E_NS1_11comp_targetILNS1_3genE10ELNS1_11target_archE1201ELNS1_3gpuE5ELNS1_3repE0EEENS1_30default_config_static_selectorELNS0_4arch9wavefront6targetE0EEEvT1_.uses_vcc, 0
	.set _ZN7rocprim17ROCPRIM_400000_NS6detail17trampoline_kernelINS0_14default_configENS1_27scan_by_key_config_selectorIiyEEZZNS1_16scan_by_key_implILNS1_25lookback_scan_determinismE0ELb1ES3_N6thrust23THRUST_200600_302600_NS6detail15normal_iteratorINS9_10device_ptrIiEEEENSB_INSC_IyEEEESG_yNS9_4plusIvEENS9_8equal_toIvEEyEE10hipError_tPvRmT2_T3_T4_T5_mT6_T7_P12ihipStream_tbENKUlT_T0_E_clISt17integral_constantIbLb1EES10_IbLb0EEEEDaSW_SX_EUlSW_E_NS1_11comp_targetILNS1_3genE10ELNS1_11target_archE1201ELNS1_3gpuE5ELNS1_3repE0EEENS1_30default_config_static_selectorELNS0_4arch9wavefront6targetE0EEEvT1_.uses_flat_scratch, 0
	.set _ZN7rocprim17ROCPRIM_400000_NS6detail17trampoline_kernelINS0_14default_configENS1_27scan_by_key_config_selectorIiyEEZZNS1_16scan_by_key_implILNS1_25lookback_scan_determinismE0ELb1ES3_N6thrust23THRUST_200600_302600_NS6detail15normal_iteratorINS9_10device_ptrIiEEEENSB_INSC_IyEEEESG_yNS9_4plusIvEENS9_8equal_toIvEEyEE10hipError_tPvRmT2_T3_T4_T5_mT6_T7_P12ihipStream_tbENKUlT_T0_E_clISt17integral_constantIbLb1EES10_IbLb0EEEEDaSW_SX_EUlSW_E_NS1_11comp_targetILNS1_3genE10ELNS1_11target_archE1201ELNS1_3gpuE5ELNS1_3repE0EEENS1_30default_config_static_selectorELNS0_4arch9wavefront6targetE0EEEvT1_.has_dyn_sized_stack, 0
	.set _ZN7rocprim17ROCPRIM_400000_NS6detail17trampoline_kernelINS0_14default_configENS1_27scan_by_key_config_selectorIiyEEZZNS1_16scan_by_key_implILNS1_25lookback_scan_determinismE0ELb1ES3_N6thrust23THRUST_200600_302600_NS6detail15normal_iteratorINS9_10device_ptrIiEEEENSB_INSC_IyEEEESG_yNS9_4plusIvEENS9_8equal_toIvEEyEE10hipError_tPvRmT2_T3_T4_T5_mT6_T7_P12ihipStream_tbENKUlT_T0_E_clISt17integral_constantIbLb1EES10_IbLb0EEEEDaSW_SX_EUlSW_E_NS1_11comp_targetILNS1_3genE10ELNS1_11target_archE1201ELNS1_3gpuE5ELNS1_3repE0EEENS1_30default_config_static_selectorELNS0_4arch9wavefront6targetE0EEEvT1_.has_recursion, 0
	.set _ZN7rocprim17ROCPRIM_400000_NS6detail17trampoline_kernelINS0_14default_configENS1_27scan_by_key_config_selectorIiyEEZZNS1_16scan_by_key_implILNS1_25lookback_scan_determinismE0ELb1ES3_N6thrust23THRUST_200600_302600_NS6detail15normal_iteratorINS9_10device_ptrIiEEEENSB_INSC_IyEEEESG_yNS9_4plusIvEENS9_8equal_toIvEEyEE10hipError_tPvRmT2_T3_T4_T5_mT6_T7_P12ihipStream_tbENKUlT_T0_E_clISt17integral_constantIbLb1EES10_IbLb0EEEEDaSW_SX_EUlSW_E_NS1_11comp_targetILNS1_3genE10ELNS1_11target_archE1201ELNS1_3gpuE5ELNS1_3repE0EEENS1_30default_config_static_selectorELNS0_4arch9wavefront6targetE0EEEvT1_.has_indirect_call, 0
	.section	.AMDGPU.csdata,"",@progbits
; Kernel info:
; codeLenInByte = 0
; TotalNumSgprs: 0
; NumVgprs: 0
; ScratchSize: 0
; MemoryBound: 0
; FloatMode: 240
; IeeeMode: 1
; LDSByteSize: 0 bytes/workgroup (compile time only)
; SGPRBlocks: 0
; VGPRBlocks: 0
; NumSGPRsForWavesPerEU: 1
; NumVGPRsForWavesPerEU: 1
; Occupancy: 16
; WaveLimiterHint : 0
; COMPUTE_PGM_RSRC2:SCRATCH_EN: 0
; COMPUTE_PGM_RSRC2:USER_SGPR: 6
; COMPUTE_PGM_RSRC2:TRAP_HANDLER: 0
; COMPUTE_PGM_RSRC2:TGID_X_EN: 1
; COMPUTE_PGM_RSRC2:TGID_Y_EN: 0
; COMPUTE_PGM_RSRC2:TGID_Z_EN: 0
; COMPUTE_PGM_RSRC2:TIDIG_COMP_CNT: 0
	.section	.text._ZN7rocprim17ROCPRIM_400000_NS6detail17trampoline_kernelINS0_14default_configENS1_27scan_by_key_config_selectorIiyEEZZNS1_16scan_by_key_implILNS1_25lookback_scan_determinismE0ELb1ES3_N6thrust23THRUST_200600_302600_NS6detail15normal_iteratorINS9_10device_ptrIiEEEENSB_INSC_IyEEEESG_yNS9_4plusIvEENS9_8equal_toIvEEyEE10hipError_tPvRmT2_T3_T4_T5_mT6_T7_P12ihipStream_tbENKUlT_T0_E_clISt17integral_constantIbLb1EES10_IbLb0EEEEDaSW_SX_EUlSW_E_NS1_11comp_targetILNS1_3genE5ELNS1_11target_archE942ELNS1_3gpuE9ELNS1_3repE0EEENS1_30default_config_static_selectorELNS0_4arch9wavefront6targetE0EEEvT1_,"axG",@progbits,_ZN7rocprim17ROCPRIM_400000_NS6detail17trampoline_kernelINS0_14default_configENS1_27scan_by_key_config_selectorIiyEEZZNS1_16scan_by_key_implILNS1_25lookback_scan_determinismE0ELb1ES3_N6thrust23THRUST_200600_302600_NS6detail15normal_iteratorINS9_10device_ptrIiEEEENSB_INSC_IyEEEESG_yNS9_4plusIvEENS9_8equal_toIvEEyEE10hipError_tPvRmT2_T3_T4_T5_mT6_T7_P12ihipStream_tbENKUlT_T0_E_clISt17integral_constantIbLb1EES10_IbLb0EEEEDaSW_SX_EUlSW_E_NS1_11comp_targetILNS1_3genE5ELNS1_11target_archE942ELNS1_3gpuE9ELNS1_3repE0EEENS1_30default_config_static_selectorELNS0_4arch9wavefront6targetE0EEEvT1_,comdat
	.protected	_ZN7rocprim17ROCPRIM_400000_NS6detail17trampoline_kernelINS0_14default_configENS1_27scan_by_key_config_selectorIiyEEZZNS1_16scan_by_key_implILNS1_25lookback_scan_determinismE0ELb1ES3_N6thrust23THRUST_200600_302600_NS6detail15normal_iteratorINS9_10device_ptrIiEEEENSB_INSC_IyEEEESG_yNS9_4plusIvEENS9_8equal_toIvEEyEE10hipError_tPvRmT2_T3_T4_T5_mT6_T7_P12ihipStream_tbENKUlT_T0_E_clISt17integral_constantIbLb1EES10_IbLb0EEEEDaSW_SX_EUlSW_E_NS1_11comp_targetILNS1_3genE5ELNS1_11target_archE942ELNS1_3gpuE9ELNS1_3repE0EEENS1_30default_config_static_selectorELNS0_4arch9wavefront6targetE0EEEvT1_ ; -- Begin function _ZN7rocprim17ROCPRIM_400000_NS6detail17trampoline_kernelINS0_14default_configENS1_27scan_by_key_config_selectorIiyEEZZNS1_16scan_by_key_implILNS1_25lookback_scan_determinismE0ELb1ES3_N6thrust23THRUST_200600_302600_NS6detail15normal_iteratorINS9_10device_ptrIiEEEENSB_INSC_IyEEEESG_yNS9_4plusIvEENS9_8equal_toIvEEyEE10hipError_tPvRmT2_T3_T4_T5_mT6_T7_P12ihipStream_tbENKUlT_T0_E_clISt17integral_constantIbLb1EES10_IbLb0EEEEDaSW_SX_EUlSW_E_NS1_11comp_targetILNS1_3genE5ELNS1_11target_archE942ELNS1_3gpuE9ELNS1_3repE0EEENS1_30default_config_static_selectorELNS0_4arch9wavefront6targetE0EEEvT1_
	.globl	_ZN7rocprim17ROCPRIM_400000_NS6detail17trampoline_kernelINS0_14default_configENS1_27scan_by_key_config_selectorIiyEEZZNS1_16scan_by_key_implILNS1_25lookback_scan_determinismE0ELb1ES3_N6thrust23THRUST_200600_302600_NS6detail15normal_iteratorINS9_10device_ptrIiEEEENSB_INSC_IyEEEESG_yNS9_4plusIvEENS9_8equal_toIvEEyEE10hipError_tPvRmT2_T3_T4_T5_mT6_T7_P12ihipStream_tbENKUlT_T0_E_clISt17integral_constantIbLb1EES10_IbLb0EEEEDaSW_SX_EUlSW_E_NS1_11comp_targetILNS1_3genE5ELNS1_11target_archE942ELNS1_3gpuE9ELNS1_3repE0EEENS1_30default_config_static_selectorELNS0_4arch9wavefront6targetE0EEEvT1_
	.p2align	8
	.type	_ZN7rocprim17ROCPRIM_400000_NS6detail17trampoline_kernelINS0_14default_configENS1_27scan_by_key_config_selectorIiyEEZZNS1_16scan_by_key_implILNS1_25lookback_scan_determinismE0ELb1ES3_N6thrust23THRUST_200600_302600_NS6detail15normal_iteratorINS9_10device_ptrIiEEEENSB_INSC_IyEEEESG_yNS9_4plusIvEENS9_8equal_toIvEEyEE10hipError_tPvRmT2_T3_T4_T5_mT6_T7_P12ihipStream_tbENKUlT_T0_E_clISt17integral_constantIbLb1EES10_IbLb0EEEEDaSW_SX_EUlSW_E_NS1_11comp_targetILNS1_3genE5ELNS1_11target_archE942ELNS1_3gpuE9ELNS1_3repE0EEENS1_30default_config_static_selectorELNS0_4arch9wavefront6targetE0EEEvT1_,@function
_ZN7rocprim17ROCPRIM_400000_NS6detail17trampoline_kernelINS0_14default_configENS1_27scan_by_key_config_selectorIiyEEZZNS1_16scan_by_key_implILNS1_25lookback_scan_determinismE0ELb1ES3_N6thrust23THRUST_200600_302600_NS6detail15normal_iteratorINS9_10device_ptrIiEEEENSB_INSC_IyEEEESG_yNS9_4plusIvEENS9_8equal_toIvEEyEE10hipError_tPvRmT2_T3_T4_T5_mT6_T7_P12ihipStream_tbENKUlT_T0_E_clISt17integral_constantIbLb1EES10_IbLb0EEEEDaSW_SX_EUlSW_E_NS1_11comp_targetILNS1_3genE5ELNS1_11target_archE942ELNS1_3gpuE9ELNS1_3repE0EEENS1_30default_config_static_selectorELNS0_4arch9wavefront6targetE0EEEvT1_: ; @_ZN7rocprim17ROCPRIM_400000_NS6detail17trampoline_kernelINS0_14default_configENS1_27scan_by_key_config_selectorIiyEEZZNS1_16scan_by_key_implILNS1_25lookback_scan_determinismE0ELb1ES3_N6thrust23THRUST_200600_302600_NS6detail15normal_iteratorINS9_10device_ptrIiEEEENSB_INSC_IyEEEESG_yNS9_4plusIvEENS9_8equal_toIvEEyEE10hipError_tPvRmT2_T3_T4_T5_mT6_T7_P12ihipStream_tbENKUlT_T0_E_clISt17integral_constantIbLb1EES10_IbLb0EEEEDaSW_SX_EUlSW_E_NS1_11comp_targetILNS1_3genE5ELNS1_11target_archE942ELNS1_3gpuE9ELNS1_3repE0EEENS1_30default_config_static_selectorELNS0_4arch9wavefront6targetE0EEEvT1_
; %bb.0:
	.section	.rodata,"a",@progbits
	.p2align	6, 0x0
	.amdhsa_kernel _ZN7rocprim17ROCPRIM_400000_NS6detail17trampoline_kernelINS0_14default_configENS1_27scan_by_key_config_selectorIiyEEZZNS1_16scan_by_key_implILNS1_25lookback_scan_determinismE0ELb1ES3_N6thrust23THRUST_200600_302600_NS6detail15normal_iteratorINS9_10device_ptrIiEEEENSB_INSC_IyEEEESG_yNS9_4plusIvEENS9_8equal_toIvEEyEE10hipError_tPvRmT2_T3_T4_T5_mT6_T7_P12ihipStream_tbENKUlT_T0_E_clISt17integral_constantIbLb1EES10_IbLb0EEEEDaSW_SX_EUlSW_E_NS1_11comp_targetILNS1_3genE5ELNS1_11target_archE942ELNS1_3gpuE9ELNS1_3repE0EEENS1_30default_config_static_selectorELNS0_4arch9wavefront6targetE0EEEvT1_
		.amdhsa_group_segment_fixed_size 0
		.amdhsa_private_segment_fixed_size 0
		.amdhsa_kernarg_size 136
		.amdhsa_user_sgpr_count 6
		.amdhsa_user_sgpr_private_segment_buffer 1
		.amdhsa_user_sgpr_dispatch_ptr 0
		.amdhsa_user_sgpr_queue_ptr 0
		.amdhsa_user_sgpr_kernarg_segment_ptr 1
		.amdhsa_user_sgpr_dispatch_id 0
		.amdhsa_user_sgpr_flat_scratch_init 0
		.amdhsa_user_sgpr_private_segment_size 0
		.amdhsa_wavefront_size32 1
		.amdhsa_uses_dynamic_stack 0
		.amdhsa_system_sgpr_private_segment_wavefront_offset 0
		.amdhsa_system_sgpr_workgroup_id_x 1
		.amdhsa_system_sgpr_workgroup_id_y 0
		.amdhsa_system_sgpr_workgroup_id_z 0
		.amdhsa_system_sgpr_workgroup_info 0
		.amdhsa_system_vgpr_workitem_id 0
		.amdhsa_next_free_vgpr 1
		.amdhsa_next_free_sgpr 1
		.amdhsa_reserve_vcc 0
		.amdhsa_reserve_flat_scratch 0
		.amdhsa_float_round_mode_32 0
		.amdhsa_float_round_mode_16_64 0
		.amdhsa_float_denorm_mode_32 3
		.amdhsa_float_denorm_mode_16_64 3
		.amdhsa_dx10_clamp 1
		.amdhsa_ieee_mode 1
		.amdhsa_fp16_overflow 0
		.amdhsa_workgroup_processor_mode 1
		.amdhsa_memory_ordered 1
		.amdhsa_forward_progress 1
		.amdhsa_shared_vgpr_count 0
		.amdhsa_exception_fp_ieee_invalid_op 0
		.amdhsa_exception_fp_denorm_src 0
		.amdhsa_exception_fp_ieee_div_zero 0
		.amdhsa_exception_fp_ieee_overflow 0
		.amdhsa_exception_fp_ieee_underflow 0
		.amdhsa_exception_fp_ieee_inexact 0
		.amdhsa_exception_int_div_zero 0
	.end_amdhsa_kernel
	.section	.text._ZN7rocprim17ROCPRIM_400000_NS6detail17trampoline_kernelINS0_14default_configENS1_27scan_by_key_config_selectorIiyEEZZNS1_16scan_by_key_implILNS1_25lookback_scan_determinismE0ELb1ES3_N6thrust23THRUST_200600_302600_NS6detail15normal_iteratorINS9_10device_ptrIiEEEENSB_INSC_IyEEEESG_yNS9_4plusIvEENS9_8equal_toIvEEyEE10hipError_tPvRmT2_T3_T4_T5_mT6_T7_P12ihipStream_tbENKUlT_T0_E_clISt17integral_constantIbLb1EES10_IbLb0EEEEDaSW_SX_EUlSW_E_NS1_11comp_targetILNS1_3genE5ELNS1_11target_archE942ELNS1_3gpuE9ELNS1_3repE0EEENS1_30default_config_static_selectorELNS0_4arch9wavefront6targetE0EEEvT1_,"axG",@progbits,_ZN7rocprim17ROCPRIM_400000_NS6detail17trampoline_kernelINS0_14default_configENS1_27scan_by_key_config_selectorIiyEEZZNS1_16scan_by_key_implILNS1_25lookback_scan_determinismE0ELb1ES3_N6thrust23THRUST_200600_302600_NS6detail15normal_iteratorINS9_10device_ptrIiEEEENSB_INSC_IyEEEESG_yNS9_4plusIvEENS9_8equal_toIvEEyEE10hipError_tPvRmT2_T3_T4_T5_mT6_T7_P12ihipStream_tbENKUlT_T0_E_clISt17integral_constantIbLb1EES10_IbLb0EEEEDaSW_SX_EUlSW_E_NS1_11comp_targetILNS1_3genE5ELNS1_11target_archE942ELNS1_3gpuE9ELNS1_3repE0EEENS1_30default_config_static_selectorELNS0_4arch9wavefront6targetE0EEEvT1_,comdat
.Lfunc_end1483:
	.size	_ZN7rocprim17ROCPRIM_400000_NS6detail17trampoline_kernelINS0_14default_configENS1_27scan_by_key_config_selectorIiyEEZZNS1_16scan_by_key_implILNS1_25lookback_scan_determinismE0ELb1ES3_N6thrust23THRUST_200600_302600_NS6detail15normal_iteratorINS9_10device_ptrIiEEEENSB_INSC_IyEEEESG_yNS9_4plusIvEENS9_8equal_toIvEEyEE10hipError_tPvRmT2_T3_T4_T5_mT6_T7_P12ihipStream_tbENKUlT_T0_E_clISt17integral_constantIbLb1EES10_IbLb0EEEEDaSW_SX_EUlSW_E_NS1_11comp_targetILNS1_3genE5ELNS1_11target_archE942ELNS1_3gpuE9ELNS1_3repE0EEENS1_30default_config_static_selectorELNS0_4arch9wavefront6targetE0EEEvT1_, .Lfunc_end1483-_ZN7rocprim17ROCPRIM_400000_NS6detail17trampoline_kernelINS0_14default_configENS1_27scan_by_key_config_selectorIiyEEZZNS1_16scan_by_key_implILNS1_25lookback_scan_determinismE0ELb1ES3_N6thrust23THRUST_200600_302600_NS6detail15normal_iteratorINS9_10device_ptrIiEEEENSB_INSC_IyEEEESG_yNS9_4plusIvEENS9_8equal_toIvEEyEE10hipError_tPvRmT2_T3_T4_T5_mT6_T7_P12ihipStream_tbENKUlT_T0_E_clISt17integral_constantIbLb1EES10_IbLb0EEEEDaSW_SX_EUlSW_E_NS1_11comp_targetILNS1_3genE5ELNS1_11target_archE942ELNS1_3gpuE9ELNS1_3repE0EEENS1_30default_config_static_selectorELNS0_4arch9wavefront6targetE0EEEvT1_
                                        ; -- End function
	.set _ZN7rocprim17ROCPRIM_400000_NS6detail17trampoline_kernelINS0_14default_configENS1_27scan_by_key_config_selectorIiyEEZZNS1_16scan_by_key_implILNS1_25lookback_scan_determinismE0ELb1ES3_N6thrust23THRUST_200600_302600_NS6detail15normal_iteratorINS9_10device_ptrIiEEEENSB_INSC_IyEEEESG_yNS9_4plusIvEENS9_8equal_toIvEEyEE10hipError_tPvRmT2_T3_T4_T5_mT6_T7_P12ihipStream_tbENKUlT_T0_E_clISt17integral_constantIbLb1EES10_IbLb0EEEEDaSW_SX_EUlSW_E_NS1_11comp_targetILNS1_3genE5ELNS1_11target_archE942ELNS1_3gpuE9ELNS1_3repE0EEENS1_30default_config_static_selectorELNS0_4arch9wavefront6targetE0EEEvT1_.num_vgpr, 0
	.set _ZN7rocprim17ROCPRIM_400000_NS6detail17trampoline_kernelINS0_14default_configENS1_27scan_by_key_config_selectorIiyEEZZNS1_16scan_by_key_implILNS1_25lookback_scan_determinismE0ELb1ES3_N6thrust23THRUST_200600_302600_NS6detail15normal_iteratorINS9_10device_ptrIiEEEENSB_INSC_IyEEEESG_yNS9_4plusIvEENS9_8equal_toIvEEyEE10hipError_tPvRmT2_T3_T4_T5_mT6_T7_P12ihipStream_tbENKUlT_T0_E_clISt17integral_constantIbLb1EES10_IbLb0EEEEDaSW_SX_EUlSW_E_NS1_11comp_targetILNS1_3genE5ELNS1_11target_archE942ELNS1_3gpuE9ELNS1_3repE0EEENS1_30default_config_static_selectorELNS0_4arch9wavefront6targetE0EEEvT1_.num_agpr, 0
	.set _ZN7rocprim17ROCPRIM_400000_NS6detail17trampoline_kernelINS0_14default_configENS1_27scan_by_key_config_selectorIiyEEZZNS1_16scan_by_key_implILNS1_25lookback_scan_determinismE0ELb1ES3_N6thrust23THRUST_200600_302600_NS6detail15normal_iteratorINS9_10device_ptrIiEEEENSB_INSC_IyEEEESG_yNS9_4plusIvEENS9_8equal_toIvEEyEE10hipError_tPvRmT2_T3_T4_T5_mT6_T7_P12ihipStream_tbENKUlT_T0_E_clISt17integral_constantIbLb1EES10_IbLb0EEEEDaSW_SX_EUlSW_E_NS1_11comp_targetILNS1_3genE5ELNS1_11target_archE942ELNS1_3gpuE9ELNS1_3repE0EEENS1_30default_config_static_selectorELNS0_4arch9wavefront6targetE0EEEvT1_.numbered_sgpr, 0
	.set _ZN7rocprim17ROCPRIM_400000_NS6detail17trampoline_kernelINS0_14default_configENS1_27scan_by_key_config_selectorIiyEEZZNS1_16scan_by_key_implILNS1_25lookback_scan_determinismE0ELb1ES3_N6thrust23THRUST_200600_302600_NS6detail15normal_iteratorINS9_10device_ptrIiEEEENSB_INSC_IyEEEESG_yNS9_4plusIvEENS9_8equal_toIvEEyEE10hipError_tPvRmT2_T3_T4_T5_mT6_T7_P12ihipStream_tbENKUlT_T0_E_clISt17integral_constantIbLb1EES10_IbLb0EEEEDaSW_SX_EUlSW_E_NS1_11comp_targetILNS1_3genE5ELNS1_11target_archE942ELNS1_3gpuE9ELNS1_3repE0EEENS1_30default_config_static_selectorELNS0_4arch9wavefront6targetE0EEEvT1_.num_named_barrier, 0
	.set _ZN7rocprim17ROCPRIM_400000_NS6detail17trampoline_kernelINS0_14default_configENS1_27scan_by_key_config_selectorIiyEEZZNS1_16scan_by_key_implILNS1_25lookback_scan_determinismE0ELb1ES3_N6thrust23THRUST_200600_302600_NS6detail15normal_iteratorINS9_10device_ptrIiEEEENSB_INSC_IyEEEESG_yNS9_4plusIvEENS9_8equal_toIvEEyEE10hipError_tPvRmT2_T3_T4_T5_mT6_T7_P12ihipStream_tbENKUlT_T0_E_clISt17integral_constantIbLb1EES10_IbLb0EEEEDaSW_SX_EUlSW_E_NS1_11comp_targetILNS1_3genE5ELNS1_11target_archE942ELNS1_3gpuE9ELNS1_3repE0EEENS1_30default_config_static_selectorELNS0_4arch9wavefront6targetE0EEEvT1_.private_seg_size, 0
	.set _ZN7rocprim17ROCPRIM_400000_NS6detail17trampoline_kernelINS0_14default_configENS1_27scan_by_key_config_selectorIiyEEZZNS1_16scan_by_key_implILNS1_25lookback_scan_determinismE0ELb1ES3_N6thrust23THRUST_200600_302600_NS6detail15normal_iteratorINS9_10device_ptrIiEEEENSB_INSC_IyEEEESG_yNS9_4plusIvEENS9_8equal_toIvEEyEE10hipError_tPvRmT2_T3_T4_T5_mT6_T7_P12ihipStream_tbENKUlT_T0_E_clISt17integral_constantIbLb1EES10_IbLb0EEEEDaSW_SX_EUlSW_E_NS1_11comp_targetILNS1_3genE5ELNS1_11target_archE942ELNS1_3gpuE9ELNS1_3repE0EEENS1_30default_config_static_selectorELNS0_4arch9wavefront6targetE0EEEvT1_.uses_vcc, 0
	.set _ZN7rocprim17ROCPRIM_400000_NS6detail17trampoline_kernelINS0_14default_configENS1_27scan_by_key_config_selectorIiyEEZZNS1_16scan_by_key_implILNS1_25lookback_scan_determinismE0ELb1ES3_N6thrust23THRUST_200600_302600_NS6detail15normal_iteratorINS9_10device_ptrIiEEEENSB_INSC_IyEEEESG_yNS9_4plusIvEENS9_8equal_toIvEEyEE10hipError_tPvRmT2_T3_T4_T5_mT6_T7_P12ihipStream_tbENKUlT_T0_E_clISt17integral_constantIbLb1EES10_IbLb0EEEEDaSW_SX_EUlSW_E_NS1_11comp_targetILNS1_3genE5ELNS1_11target_archE942ELNS1_3gpuE9ELNS1_3repE0EEENS1_30default_config_static_selectorELNS0_4arch9wavefront6targetE0EEEvT1_.uses_flat_scratch, 0
	.set _ZN7rocprim17ROCPRIM_400000_NS6detail17trampoline_kernelINS0_14default_configENS1_27scan_by_key_config_selectorIiyEEZZNS1_16scan_by_key_implILNS1_25lookback_scan_determinismE0ELb1ES3_N6thrust23THRUST_200600_302600_NS6detail15normal_iteratorINS9_10device_ptrIiEEEENSB_INSC_IyEEEESG_yNS9_4plusIvEENS9_8equal_toIvEEyEE10hipError_tPvRmT2_T3_T4_T5_mT6_T7_P12ihipStream_tbENKUlT_T0_E_clISt17integral_constantIbLb1EES10_IbLb0EEEEDaSW_SX_EUlSW_E_NS1_11comp_targetILNS1_3genE5ELNS1_11target_archE942ELNS1_3gpuE9ELNS1_3repE0EEENS1_30default_config_static_selectorELNS0_4arch9wavefront6targetE0EEEvT1_.has_dyn_sized_stack, 0
	.set _ZN7rocprim17ROCPRIM_400000_NS6detail17trampoline_kernelINS0_14default_configENS1_27scan_by_key_config_selectorIiyEEZZNS1_16scan_by_key_implILNS1_25lookback_scan_determinismE0ELb1ES3_N6thrust23THRUST_200600_302600_NS6detail15normal_iteratorINS9_10device_ptrIiEEEENSB_INSC_IyEEEESG_yNS9_4plusIvEENS9_8equal_toIvEEyEE10hipError_tPvRmT2_T3_T4_T5_mT6_T7_P12ihipStream_tbENKUlT_T0_E_clISt17integral_constantIbLb1EES10_IbLb0EEEEDaSW_SX_EUlSW_E_NS1_11comp_targetILNS1_3genE5ELNS1_11target_archE942ELNS1_3gpuE9ELNS1_3repE0EEENS1_30default_config_static_selectorELNS0_4arch9wavefront6targetE0EEEvT1_.has_recursion, 0
	.set _ZN7rocprim17ROCPRIM_400000_NS6detail17trampoline_kernelINS0_14default_configENS1_27scan_by_key_config_selectorIiyEEZZNS1_16scan_by_key_implILNS1_25lookback_scan_determinismE0ELb1ES3_N6thrust23THRUST_200600_302600_NS6detail15normal_iteratorINS9_10device_ptrIiEEEENSB_INSC_IyEEEESG_yNS9_4plusIvEENS9_8equal_toIvEEyEE10hipError_tPvRmT2_T3_T4_T5_mT6_T7_P12ihipStream_tbENKUlT_T0_E_clISt17integral_constantIbLb1EES10_IbLb0EEEEDaSW_SX_EUlSW_E_NS1_11comp_targetILNS1_3genE5ELNS1_11target_archE942ELNS1_3gpuE9ELNS1_3repE0EEENS1_30default_config_static_selectorELNS0_4arch9wavefront6targetE0EEEvT1_.has_indirect_call, 0
	.section	.AMDGPU.csdata,"",@progbits
; Kernel info:
; codeLenInByte = 0
; TotalNumSgprs: 0
; NumVgprs: 0
; ScratchSize: 0
; MemoryBound: 0
; FloatMode: 240
; IeeeMode: 1
; LDSByteSize: 0 bytes/workgroup (compile time only)
; SGPRBlocks: 0
; VGPRBlocks: 0
; NumSGPRsForWavesPerEU: 1
; NumVGPRsForWavesPerEU: 1
; Occupancy: 16
; WaveLimiterHint : 0
; COMPUTE_PGM_RSRC2:SCRATCH_EN: 0
; COMPUTE_PGM_RSRC2:USER_SGPR: 6
; COMPUTE_PGM_RSRC2:TRAP_HANDLER: 0
; COMPUTE_PGM_RSRC2:TGID_X_EN: 1
; COMPUTE_PGM_RSRC2:TGID_Y_EN: 0
; COMPUTE_PGM_RSRC2:TGID_Z_EN: 0
; COMPUTE_PGM_RSRC2:TIDIG_COMP_CNT: 0
	.section	.text._ZN7rocprim17ROCPRIM_400000_NS6detail17trampoline_kernelINS0_14default_configENS1_27scan_by_key_config_selectorIiyEEZZNS1_16scan_by_key_implILNS1_25lookback_scan_determinismE0ELb1ES3_N6thrust23THRUST_200600_302600_NS6detail15normal_iteratorINS9_10device_ptrIiEEEENSB_INSC_IyEEEESG_yNS9_4plusIvEENS9_8equal_toIvEEyEE10hipError_tPvRmT2_T3_T4_T5_mT6_T7_P12ihipStream_tbENKUlT_T0_E_clISt17integral_constantIbLb1EES10_IbLb0EEEEDaSW_SX_EUlSW_E_NS1_11comp_targetILNS1_3genE4ELNS1_11target_archE910ELNS1_3gpuE8ELNS1_3repE0EEENS1_30default_config_static_selectorELNS0_4arch9wavefront6targetE0EEEvT1_,"axG",@progbits,_ZN7rocprim17ROCPRIM_400000_NS6detail17trampoline_kernelINS0_14default_configENS1_27scan_by_key_config_selectorIiyEEZZNS1_16scan_by_key_implILNS1_25lookback_scan_determinismE0ELb1ES3_N6thrust23THRUST_200600_302600_NS6detail15normal_iteratorINS9_10device_ptrIiEEEENSB_INSC_IyEEEESG_yNS9_4plusIvEENS9_8equal_toIvEEyEE10hipError_tPvRmT2_T3_T4_T5_mT6_T7_P12ihipStream_tbENKUlT_T0_E_clISt17integral_constantIbLb1EES10_IbLb0EEEEDaSW_SX_EUlSW_E_NS1_11comp_targetILNS1_3genE4ELNS1_11target_archE910ELNS1_3gpuE8ELNS1_3repE0EEENS1_30default_config_static_selectorELNS0_4arch9wavefront6targetE0EEEvT1_,comdat
	.protected	_ZN7rocprim17ROCPRIM_400000_NS6detail17trampoline_kernelINS0_14default_configENS1_27scan_by_key_config_selectorIiyEEZZNS1_16scan_by_key_implILNS1_25lookback_scan_determinismE0ELb1ES3_N6thrust23THRUST_200600_302600_NS6detail15normal_iteratorINS9_10device_ptrIiEEEENSB_INSC_IyEEEESG_yNS9_4plusIvEENS9_8equal_toIvEEyEE10hipError_tPvRmT2_T3_T4_T5_mT6_T7_P12ihipStream_tbENKUlT_T0_E_clISt17integral_constantIbLb1EES10_IbLb0EEEEDaSW_SX_EUlSW_E_NS1_11comp_targetILNS1_3genE4ELNS1_11target_archE910ELNS1_3gpuE8ELNS1_3repE0EEENS1_30default_config_static_selectorELNS0_4arch9wavefront6targetE0EEEvT1_ ; -- Begin function _ZN7rocprim17ROCPRIM_400000_NS6detail17trampoline_kernelINS0_14default_configENS1_27scan_by_key_config_selectorIiyEEZZNS1_16scan_by_key_implILNS1_25lookback_scan_determinismE0ELb1ES3_N6thrust23THRUST_200600_302600_NS6detail15normal_iteratorINS9_10device_ptrIiEEEENSB_INSC_IyEEEESG_yNS9_4plusIvEENS9_8equal_toIvEEyEE10hipError_tPvRmT2_T3_T4_T5_mT6_T7_P12ihipStream_tbENKUlT_T0_E_clISt17integral_constantIbLb1EES10_IbLb0EEEEDaSW_SX_EUlSW_E_NS1_11comp_targetILNS1_3genE4ELNS1_11target_archE910ELNS1_3gpuE8ELNS1_3repE0EEENS1_30default_config_static_selectorELNS0_4arch9wavefront6targetE0EEEvT1_
	.globl	_ZN7rocprim17ROCPRIM_400000_NS6detail17trampoline_kernelINS0_14default_configENS1_27scan_by_key_config_selectorIiyEEZZNS1_16scan_by_key_implILNS1_25lookback_scan_determinismE0ELb1ES3_N6thrust23THRUST_200600_302600_NS6detail15normal_iteratorINS9_10device_ptrIiEEEENSB_INSC_IyEEEESG_yNS9_4plusIvEENS9_8equal_toIvEEyEE10hipError_tPvRmT2_T3_T4_T5_mT6_T7_P12ihipStream_tbENKUlT_T0_E_clISt17integral_constantIbLb1EES10_IbLb0EEEEDaSW_SX_EUlSW_E_NS1_11comp_targetILNS1_3genE4ELNS1_11target_archE910ELNS1_3gpuE8ELNS1_3repE0EEENS1_30default_config_static_selectorELNS0_4arch9wavefront6targetE0EEEvT1_
	.p2align	8
	.type	_ZN7rocprim17ROCPRIM_400000_NS6detail17trampoline_kernelINS0_14default_configENS1_27scan_by_key_config_selectorIiyEEZZNS1_16scan_by_key_implILNS1_25lookback_scan_determinismE0ELb1ES3_N6thrust23THRUST_200600_302600_NS6detail15normal_iteratorINS9_10device_ptrIiEEEENSB_INSC_IyEEEESG_yNS9_4plusIvEENS9_8equal_toIvEEyEE10hipError_tPvRmT2_T3_T4_T5_mT6_T7_P12ihipStream_tbENKUlT_T0_E_clISt17integral_constantIbLb1EES10_IbLb0EEEEDaSW_SX_EUlSW_E_NS1_11comp_targetILNS1_3genE4ELNS1_11target_archE910ELNS1_3gpuE8ELNS1_3repE0EEENS1_30default_config_static_selectorELNS0_4arch9wavefront6targetE0EEEvT1_,@function
_ZN7rocprim17ROCPRIM_400000_NS6detail17trampoline_kernelINS0_14default_configENS1_27scan_by_key_config_selectorIiyEEZZNS1_16scan_by_key_implILNS1_25lookback_scan_determinismE0ELb1ES3_N6thrust23THRUST_200600_302600_NS6detail15normal_iteratorINS9_10device_ptrIiEEEENSB_INSC_IyEEEESG_yNS9_4plusIvEENS9_8equal_toIvEEyEE10hipError_tPvRmT2_T3_T4_T5_mT6_T7_P12ihipStream_tbENKUlT_T0_E_clISt17integral_constantIbLb1EES10_IbLb0EEEEDaSW_SX_EUlSW_E_NS1_11comp_targetILNS1_3genE4ELNS1_11target_archE910ELNS1_3gpuE8ELNS1_3repE0EEENS1_30default_config_static_selectorELNS0_4arch9wavefront6targetE0EEEvT1_: ; @_ZN7rocprim17ROCPRIM_400000_NS6detail17trampoline_kernelINS0_14default_configENS1_27scan_by_key_config_selectorIiyEEZZNS1_16scan_by_key_implILNS1_25lookback_scan_determinismE0ELb1ES3_N6thrust23THRUST_200600_302600_NS6detail15normal_iteratorINS9_10device_ptrIiEEEENSB_INSC_IyEEEESG_yNS9_4plusIvEENS9_8equal_toIvEEyEE10hipError_tPvRmT2_T3_T4_T5_mT6_T7_P12ihipStream_tbENKUlT_T0_E_clISt17integral_constantIbLb1EES10_IbLb0EEEEDaSW_SX_EUlSW_E_NS1_11comp_targetILNS1_3genE4ELNS1_11target_archE910ELNS1_3gpuE8ELNS1_3repE0EEENS1_30default_config_static_selectorELNS0_4arch9wavefront6targetE0EEEvT1_
; %bb.0:
	.section	.rodata,"a",@progbits
	.p2align	6, 0x0
	.amdhsa_kernel _ZN7rocprim17ROCPRIM_400000_NS6detail17trampoline_kernelINS0_14default_configENS1_27scan_by_key_config_selectorIiyEEZZNS1_16scan_by_key_implILNS1_25lookback_scan_determinismE0ELb1ES3_N6thrust23THRUST_200600_302600_NS6detail15normal_iteratorINS9_10device_ptrIiEEEENSB_INSC_IyEEEESG_yNS9_4plusIvEENS9_8equal_toIvEEyEE10hipError_tPvRmT2_T3_T4_T5_mT6_T7_P12ihipStream_tbENKUlT_T0_E_clISt17integral_constantIbLb1EES10_IbLb0EEEEDaSW_SX_EUlSW_E_NS1_11comp_targetILNS1_3genE4ELNS1_11target_archE910ELNS1_3gpuE8ELNS1_3repE0EEENS1_30default_config_static_selectorELNS0_4arch9wavefront6targetE0EEEvT1_
		.amdhsa_group_segment_fixed_size 0
		.amdhsa_private_segment_fixed_size 0
		.amdhsa_kernarg_size 136
		.amdhsa_user_sgpr_count 6
		.amdhsa_user_sgpr_private_segment_buffer 1
		.amdhsa_user_sgpr_dispatch_ptr 0
		.amdhsa_user_sgpr_queue_ptr 0
		.amdhsa_user_sgpr_kernarg_segment_ptr 1
		.amdhsa_user_sgpr_dispatch_id 0
		.amdhsa_user_sgpr_flat_scratch_init 0
		.amdhsa_user_sgpr_private_segment_size 0
		.amdhsa_wavefront_size32 1
		.amdhsa_uses_dynamic_stack 0
		.amdhsa_system_sgpr_private_segment_wavefront_offset 0
		.amdhsa_system_sgpr_workgroup_id_x 1
		.amdhsa_system_sgpr_workgroup_id_y 0
		.amdhsa_system_sgpr_workgroup_id_z 0
		.amdhsa_system_sgpr_workgroup_info 0
		.amdhsa_system_vgpr_workitem_id 0
		.amdhsa_next_free_vgpr 1
		.amdhsa_next_free_sgpr 1
		.amdhsa_reserve_vcc 0
		.amdhsa_reserve_flat_scratch 0
		.amdhsa_float_round_mode_32 0
		.amdhsa_float_round_mode_16_64 0
		.amdhsa_float_denorm_mode_32 3
		.amdhsa_float_denorm_mode_16_64 3
		.amdhsa_dx10_clamp 1
		.amdhsa_ieee_mode 1
		.amdhsa_fp16_overflow 0
		.amdhsa_workgroup_processor_mode 1
		.amdhsa_memory_ordered 1
		.amdhsa_forward_progress 1
		.amdhsa_shared_vgpr_count 0
		.amdhsa_exception_fp_ieee_invalid_op 0
		.amdhsa_exception_fp_denorm_src 0
		.amdhsa_exception_fp_ieee_div_zero 0
		.amdhsa_exception_fp_ieee_overflow 0
		.amdhsa_exception_fp_ieee_underflow 0
		.amdhsa_exception_fp_ieee_inexact 0
		.amdhsa_exception_int_div_zero 0
	.end_amdhsa_kernel
	.section	.text._ZN7rocprim17ROCPRIM_400000_NS6detail17trampoline_kernelINS0_14default_configENS1_27scan_by_key_config_selectorIiyEEZZNS1_16scan_by_key_implILNS1_25lookback_scan_determinismE0ELb1ES3_N6thrust23THRUST_200600_302600_NS6detail15normal_iteratorINS9_10device_ptrIiEEEENSB_INSC_IyEEEESG_yNS9_4plusIvEENS9_8equal_toIvEEyEE10hipError_tPvRmT2_T3_T4_T5_mT6_T7_P12ihipStream_tbENKUlT_T0_E_clISt17integral_constantIbLb1EES10_IbLb0EEEEDaSW_SX_EUlSW_E_NS1_11comp_targetILNS1_3genE4ELNS1_11target_archE910ELNS1_3gpuE8ELNS1_3repE0EEENS1_30default_config_static_selectorELNS0_4arch9wavefront6targetE0EEEvT1_,"axG",@progbits,_ZN7rocprim17ROCPRIM_400000_NS6detail17trampoline_kernelINS0_14default_configENS1_27scan_by_key_config_selectorIiyEEZZNS1_16scan_by_key_implILNS1_25lookback_scan_determinismE0ELb1ES3_N6thrust23THRUST_200600_302600_NS6detail15normal_iteratorINS9_10device_ptrIiEEEENSB_INSC_IyEEEESG_yNS9_4plusIvEENS9_8equal_toIvEEyEE10hipError_tPvRmT2_T3_T4_T5_mT6_T7_P12ihipStream_tbENKUlT_T0_E_clISt17integral_constantIbLb1EES10_IbLb0EEEEDaSW_SX_EUlSW_E_NS1_11comp_targetILNS1_3genE4ELNS1_11target_archE910ELNS1_3gpuE8ELNS1_3repE0EEENS1_30default_config_static_selectorELNS0_4arch9wavefront6targetE0EEEvT1_,comdat
.Lfunc_end1484:
	.size	_ZN7rocprim17ROCPRIM_400000_NS6detail17trampoline_kernelINS0_14default_configENS1_27scan_by_key_config_selectorIiyEEZZNS1_16scan_by_key_implILNS1_25lookback_scan_determinismE0ELb1ES3_N6thrust23THRUST_200600_302600_NS6detail15normal_iteratorINS9_10device_ptrIiEEEENSB_INSC_IyEEEESG_yNS9_4plusIvEENS9_8equal_toIvEEyEE10hipError_tPvRmT2_T3_T4_T5_mT6_T7_P12ihipStream_tbENKUlT_T0_E_clISt17integral_constantIbLb1EES10_IbLb0EEEEDaSW_SX_EUlSW_E_NS1_11comp_targetILNS1_3genE4ELNS1_11target_archE910ELNS1_3gpuE8ELNS1_3repE0EEENS1_30default_config_static_selectorELNS0_4arch9wavefront6targetE0EEEvT1_, .Lfunc_end1484-_ZN7rocprim17ROCPRIM_400000_NS6detail17trampoline_kernelINS0_14default_configENS1_27scan_by_key_config_selectorIiyEEZZNS1_16scan_by_key_implILNS1_25lookback_scan_determinismE0ELb1ES3_N6thrust23THRUST_200600_302600_NS6detail15normal_iteratorINS9_10device_ptrIiEEEENSB_INSC_IyEEEESG_yNS9_4plusIvEENS9_8equal_toIvEEyEE10hipError_tPvRmT2_T3_T4_T5_mT6_T7_P12ihipStream_tbENKUlT_T0_E_clISt17integral_constantIbLb1EES10_IbLb0EEEEDaSW_SX_EUlSW_E_NS1_11comp_targetILNS1_3genE4ELNS1_11target_archE910ELNS1_3gpuE8ELNS1_3repE0EEENS1_30default_config_static_selectorELNS0_4arch9wavefront6targetE0EEEvT1_
                                        ; -- End function
	.set _ZN7rocprim17ROCPRIM_400000_NS6detail17trampoline_kernelINS0_14default_configENS1_27scan_by_key_config_selectorIiyEEZZNS1_16scan_by_key_implILNS1_25lookback_scan_determinismE0ELb1ES3_N6thrust23THRUST_200600_302600_NS6detail15normal_iteratorINS9_10device_ptrIiEEEENSB_INSC_IyEEEESG_yNS9_4plusIvEENS9_8equal_toIvEEyEE10hipError_tPvRmT2_T3_T4_T5_mT6_T7_P12ihipStream_tbENKUlT_T0_E_clISt17integral_constantIbLb1EES10_IbLb0EEEEDaSW_SX_EUlSW_E_NS1_11comp_targetILNS1_3genE4ELNS1_11target_archE910ELNS1_3gpuE8ELNS1_3repE0EEENS1_30default_config_static_selectorELNS0_4arch9wavefront6targetE0EEEvT1_.num_vgpr, 0
	.set _ZN7rocprim17ROCPRIM_400000_NS6detail17trampoline_kernelINS0_14default_configENS1_27scan_by_key_config_selectorIiyEEZZNS1_16scan_by_key_implILNS1_25lookback_scan_determinismE0ELb1ES3_N6thrust23THRUST_200600_302600_NS6detail15normal_iteratorINS9_10device_ptrIiEEEENSB_INSC_IyEEEESG_yNS9_4plusIvEENS9_8equal_toIvEEyEE10hipError_tPvRmT2_T3_T4_T5_mT6_T7_P12ihipStream_tbENKUlT_T0_E_clISt17integral_constantIbLb1EES10_IbLb0EEEEDaSW_SX_EUlSW_E_NS1_11comp_targetILNS1_3genE4ELNS1_11target_archE910ELNS1_3gpuE8ELNS1_3repE0EEENS1_30default_config_static_selectorELNS0_4arch9wavefront6targetE0EEEvT1_.num_agpr, 0
	.set _ZN7rocprim17ROCPRIM_400000_NS6detail17trampoline_kernelINS0_14default_configENS1_27scan_by_key_config_selectorIiyEEZZNS1_16scan_by_key_implILNS1_25lookback_scan_determinismE0ELb1ES3_N6thrust23THRUST_200600_302600_NS6detail15normal_iteratorINS9_10device_ptrIiEEEENSB_INSC_IyEEEESG_yNS9_4plusIvEENS9_8equal_toIvEEyEE10hipError_tPvRmT2_T3_T4_T5_mT6_T7_P12ihipStream_tbENKUlT_T0_E_clISt17integral_constantIbLb1EES10_IbLb0EEEEDaSW_SX_EUlSW_E_NS1_11comp_targetILNS1_3genE4ELNS1_11target_archE910ELNS1_3gpuE8ELNS1_3repE0EEENS1_30default_config_static_selectorELNS0_4arch9wavefront6targetE0EEEvT1_.numbered_sgpr, 0
	.set _ZN7rocprim17ROCPRIM_400000_NS6detail17trampoline_kernelINS0_14default_configENS1_27scan_by_key_config_selectorIiyEEZZNS1_16scan_by_key_implILNS1_25lookback_scan_determinismE0ELb1ES3_N6thrust23THRUST_200600_302600_NS6detail15normal_iteratorINS9_10device_ptrIiEEEENSB_INSC_IyEEEESG_yNS9_4plusIvEENS9_8equal_toIvEEyEE10hipError_tPvRmT2_T3_T4_T5_mT6_T7_P12ihipStream_tbENKUlT_T0_E_clISt17integral_constantIbLb1EES10_IbLb0EEEEDaSW_SX_EUlSW_E_NS1_11comp_targetILNS1_3genE4ELNS1_11target_archE910ELNS1_3gpuE8ELNS1_3repE0EEENS1_30default_config_static_selectorELNS0_4arch9wavefront6targetE0EEEvT1_.num_named_barrier, 0
	.set _ZN7rocprim17ROCPRIM_400000_NS6detail17trampoline_kernelINS0_14default_configENS1_27scan_by_key_config_selectorIiyEEZZNS1_16scan_by_key_implILNS1_25lookback_scan_determinismE0ELb1ES3_N6thrust23THRUST_200600_302600_NS6detail15normal_iteratorINS9_10device_ptrIiEEEENSB_INSC_IyEEEESG_yNS9_4plusIvEENS9_8equal_toIvEEyEE10hipError_tPvRmT2_T3_T4_T5_mT6_T7_P12ihipStream_tbENKUlT_T0_E_clISt17integral_constantIbLb1EES10_IbLb0EEEEDaSW_SX_EUlSW_E_NS1_11comp_targetILNS1_3genE4ELNS1_11target_archE910ELNS1_3gpuE8ELNS1_3repE0EEENS1_30default_config_static_selectorELNS0_4arch9wavefront6targetE0EEEvT1_.private_seg_size, 0
	.set _ZN7rocprim17ROCPRIM_400000_NS6detail17trampoline_kernelINS0_14default_configENS1_27scan_by_key_config_selectorIiyEEZZNS1_16scan_by_key_implILNS1_25lookback_scan_determinismE0ELb1ES3_N6thrust23THRUST_200600_302600_NS6detail15normal_iteratorINS9_10device_ptrIiEEEENSB_INSC_IyEEEESG_yNS9_4plusIvEENS9_8equal_toIvEEyEE10hipError_tPvRmT2_T3_T4_T5_mT6_T7_P12ihipStream_tbENKUlT_T0_E_clISt17integral_constantIbLb1EES10_IbLb0EEEEDaSW_SX_EUlSW_E_NS1_11comp_targetILNS1_3genE4ELNS1_11target_archE910ELNS1_3gpuE8ELNS1_3repE0EEENS1_30default_config_static_selectorELNS0_4arch9wavefront6targetE0EEEvT1_.uses_vcc, 0
	.set _ZN7rocprim17ROCPRIM_400000_NS6detail17trampoline_kernelINS0_14default_configENS1_27scan_by_key_config_selectorIiyEEZZNS1_16scan_by_key_implILNS1_25lookback_scan_determinismE0ELb1ES3_N6thrust23THRUST_200600_302600_NS6detail15normal_iteratorINS9_10device_ptrIiEEEENSB_INSC_IyEEEESG_yNS9_4plusIvEENS9_8equal_toIvEEyEE10hipError_tPvRmT2_T3_T4_T5_mT6_T7_P12ihipStream_tbENKUlT_T0_E_clISt17integral_constantIbLb1EES10_IbLb0EEEEDaSW_SX_EUlSW_E_NS1_11comp_targetILNS1_3genE4ELNS1_11target_archE910ELNS1_3gpuE8ELNS1_3repE0EEENS1_30default_config_static_selectorELNS0_4arch9wavefront6targetE0EEEvT1_.uses_flat_scratch, 0
	.set _ZN7rocprim17ROCPRIM_400000_NS6detail17trampoline_kernelINS0_14default_configENS1_27scan_by_key_config_selectorIiyEEZZNS1_16scan_by_key_implILNS1_25lookback_scan_determinismE0ELb1ES3_N6thrust23THRUST_200600_302600_NS6detail15normal_iteratorINS9_10device_ptrIiEEEENSB_INSC_IyEEEESG_yNS9_4plusIvEENS9_8equal_toIvEEyEE10hipError_tPvRmT2_T3_T4_T5_mT6_T7_P12ihipStream_tbENKUlT_T0_E_clISt17integral_constantIbLb1EES10_IbLb0EEEEDaSW_SX_EUlSW_E_NS1_11comp_targetILNS1_3genE4ELNS1_11target_archE910ELNS1_3gpuE8ELNS1_3repE0EEENS1_30default_config_static_selectorELNS0_4arch9wavefront6targetE0EEEvT1_.has_dyn_sized_stack, 0
	.set _ZN7rocprim17ROCPRIM_400000_NS6detail17trampoline_kernelINS0_14default_configENS1_27scan_by_key_config_selectorIiyEEZZNS1_16scan_by_key_implILNS1_25lookback_scan_determinismE0ELb1ES3_N6thrust23THRUST_200600_302600_NS6detail15normal_iteratorINS9_10device_ptrIiEEEENSB_INSC_IyEEEESG_yNS9_4plusIvEENS9_8equal_toIvEEyEE10hipError_tPvRmT2_T3_T4_T5_mT6_T7_P12ihipStream_tbENKUlT_T0_E_clISt17integral_constantIbLb1EES10_IbLb0EEEEDaSW_SX_EUlSW_E_NS1_11comp_targetILNS1_3genE4ELNS1_11target_archE910ELNS1_3gpuE8ELNS1_3repE0EEENS1_30default_config_static_selectorELNS0_4arch9wavefront6targetE0EEEvT1_.has_recursion, 0
	.set _ZN7rocprim17ROCPRIM_400000_NS6detail17trampoline_kernelINS0_14default_configENS1_27scan_by_key_config_selectorIiyEEZZNS1_16scan_by_key_implILNS1_25lookback_scan_determinismE0ELb1ES3_N6thrust23THRUST_200600_302600_NS6detail15normal_iteratorINS9_10device_ptrIiEEEENSB_INSC_IyEEEESG_yNS9_4plusIvEENS9_8equal_toIvEEyEE10hipError_tPvRmT2_T3_T4_T5_mT6_T7_P12ihipStream_tbENKUlT_T0_E_clISt17integral_constantIbLb1EES10_IbLb0EEEEDaSW_SX_EUlSW_E_NS1_11comp_targetILNS1_3genE4ELNS1_11target_archE910ELNS1_3gpuE8ELNS1_3repE0EEENS1_30default_config_static_selectorELNS0_4arch9wavefront6targetE0EEEvT1_.has_indirect_call, 0
	.section	.AMDGPU.csdata,"",@progbits
; Kernel info:
; codeLenInByte = 0
; TotalNumSgprs: 0
; NumVgprs: 0
; ScratchSize: 0
; MemoryBound: 0
; FloatMode: 240
; IeeeMode: 1
; LDSByteSize: 0 bytes/workgroup (compile time only)
; SGPRBlocks: 0
; VGPRBlocks: 0
; NumSGPRsForWavesPerEU: 1
; NumVGPRsForWavesPerEU: 1
; Occupancy: 16
; WaveLimiterHint : 0
; COMPUTE_PGM_RSRC2:SCRATCH_EN: 0
; COMPUTE_PGM_RSRC2:USER_SGPR: 6
; COMPUTE_PGM_RSRC2:TRAP_HANDLER: 0
; COMPUTE_PGM_RSRC2:TGID_X_EN: 1
; COMPUTE_PGM_RSRC2:TGID_Y_EN: 0
; COMPUTE_PGM_RSRC2:TGID_Z_EN: 0
; COMPUTE_PGM_RSRC2:TIDIG_COMP_CNT: 0
	.section	.text._ZN7rocprim17ROCPRIM_400000_NS6detail17trampoline_kernelINS0_14default_configENS1_27scan_by_key_config_selectorIiyEEZZNS1_16scan_by_key_implILNS1_25lookback_scan_determinismE0ELb1ES3_N6thrust23THRUST_200600_302600_NS6detail15normal_iteratorINS9_10device_ptrIiEEEENSB_INSC_IyEEEESG_yNS9_4plusIvEENS9_8equal_toIvEEyEE10hipError_tPvRmT2_T3_T4_T5_mT6_T7_P12ihipStream_tbENKUlT_T0_E_clISt17integral_constantIbLb1EES10_IbLb0EEEEDaSW_SX_EUlSW_E_NS1_11comp_targetILNS1_3genE3ELNS1_11target_archE908ELNS1_3gpuE7ELNS1_3repE0EEENS1_30default_config_static_selectorELNS0_4arch9wavefront6targetE0EEEvT1_,"axG",@progbits,_ZN7rocprim17ROCPRIM_400000_NS6detail17trampoline_kernelINS0_14default_configENS1_27scan_by_key_config_selectorIiyEEZZNS1_16scan_by_key_implILNS1_25lookback_scan_determinismE0ELb1ES3_N6thrust23THRUST_200600_302600_NS6detail15normal_iteratorINS9_10device_ptrIiEEEENSB_INSC_IyEEEESG_yNS9_4plusIvEENS9_8equal_toIvEEyEE10hipError_tPvRmT2_T3_T4_T5_mT6_T7_P12ihipStream_tbENKUlT_T0_E_clISt17integral_constantIbLb1EES10_IbLb0EEEEDaSW_SX_EUlSW_E_NS1_11comp_targetILNS1_3genE3ELNS1_11target_archE908ELNS1_3gpuE7ELNS1_3repE0EEENS1_30default_config_static_selectorELNS0_4arch9wavefront6targetE0EEEvT1_,comdat
	.protected	_ZN7rocprim17ROCPRIM_400000_NS6detail17trampoline_kernelINS0_14default_configENS1_27scan_by_key_config_selectorIiyEEZZNS1_16scan_by_key_implILNS1_25lookback_scan_determinismE0ELb1ES3_N6thrust23THRUST_200600_302600_NS6detail15normal_iteratorINS9_10device_ptrIiEEEENSB_INSC_IyEEEESG_yNS9_4plusIvEENS9_8equal_toIvEEyEE10hipError_tPvRmT2_T3_T4_T5_mT6_T7_P12ihipStream_tbENKUlT_T0_E_clISt17integral_constantIbLb1EES10_IbLb0EEEEDaSW_SX_EUlSW_E_NS1_11comp_targetILNS1_3genE3ELNS1_11target_archE908ELNS1_3gpuE7ELNS1_3repE0EEENS1_30default_config_static_selectorELNS0_4arch9wavefront6targetE0EEEvT1_ ; -- Begin function _ZN7rocprim17ROCPRIM_400000_NS6detail17trampoline_kernelINS0_14default_configENS1_27scan_by_key_config_selectorIiyEEZZNS1_16scan_by_key_implILNS1_25lookback_scan_determinismE0ELb1ES3_N6thrust23THRUST_200600_302600_NS6detail15normal_iteratorINS9_10device_ptrIiEEEENSB_INSC_IyEEEESG_yNS9_4plusIvEENS9_8equal_toIvEEyEE10hipError_tPvRmT2_T3_T4_T5_mT6_T7_P12ihipStream_tbENKUlT_T0_E_clISt17integral_constantIbLb1EES10_IbLb0EEEEDaSW_SX_EUlSW_E_NS1_11comp_targetILNS1_3genE3ELNS1_11target_archE908ELNS1_3gpuE7ELNS1_3repE0EEENS1_30default_config_static_selectorELNS0_4arch9wavefront6targetE0EEEvT1_
	.globl	_ZN7rocprim17ROCPRIM_400000_NS6detail17trampoline_kernelINS0_14default_configENS1_27scan_by_key_config_selectorIiyEEZZNS1_16scan_by_key_implILNS1_25lookback_scan_determinismE0ELb1ES3_N6thrust23THRUST_200600_302600_NS6detail15normal_iteratorINS9_10device_ptrIiEEEENSB_INSC_IyEEEESG_yNS9_4plusIvEENS9_8equal_toIvEEyEE10hipError_tPvRmT2_T3_T4_T5_mT6_T7_P12ihipStream_tbENKUlT_T0_E_clISt17integral_constantIbLb1EES10_IbLb0EEEEDaSW_SX_EUlSW_E_NS1_11comp_targetILNS1_3genE3ELNS1_11target_archE908ELNS1_3gpuE7ELNS1_3repE0EEENS1_30default_config_static_selectorELNS0_4arch9wavefront6targetE0EEEvT1_
	.p2align	8
	.type	_ZN7rocprim17ROCPRIM_400000_NS6detail17trampoline_kernelINS0_14default_configENS1_27scan_by_key_config_selectorIiyEEZZNS1_16scan_by_key_implILNS1_25lookback_scan_determinismE0ELb1ES3_N6thrust23THRUST_200600_302600_NS6detail15normal_iteratorINS9_10device_ptrIiEEEENSB_INSC_IyEEEESG_yNS9_4plusIvEENS9_8equal_toIvEEyEE10hipError_tPvRmT2_T3_T4_T5_mT6_T7_P12ihipStream_tbENKUlT_T0_E_clISt17integral_constantIbLb1EES10_IbLb0EEEEDaSW_SX_EUlSW_E_NS1_11comp_targetILNS1_3genE3ELNS1_11target_archE908ELNS1_3gpuE7ELNS1_3repE0EEENS1_30default_config_static_selectorELNS0_4arch9wavefront6targetE0EEEvT1_,@function
_ZN7rocprim17ROCPRIM_400000_NS6detail17trampoline_kernelINS0_14default_configENS1_27scan_by_key_config_selectorIiyEEZZNS1_16scan_by_key_implILNS1_25lookback_scan_determinismE0ELb1ES3_N6thrust23THRUST_200600_302600_NS6detail15normal_iteratorINS9_10device_ptrIiEEEENSB_INSC_IyEEEESG_yNS9_4plusIvEENS9_8equal_toIvEEyEE10hipError_tPvRmT2_T3_T4_T5_mT6_T7_P12ihipStream_tbENKUlT_T0_E_clISt17integral_constantIbLb1EES10_IbLb0EEEEDaSW_SX_EUlSW_E_NS1_11comp_targetILNS1_3genE3ELNS1_11target_archE908ELNS1_3gpuE7ELNS1_3repE0EEENS1_30default_config_static_selectorELNS0_4arch9wavefront6targetE0EEEvT1_: ; @_ZN7rocprim17ROCPRIM_400000_NS6detail17trampoline_kernelINS0_14default_configENS1_27scan_by_key_config_selectorIiyEEZZNS1_16scan_by_key_implILNS1_25lookback_scan_determinismE0ELb1ES3_N6thrust23THRUST_200600_302600_NS6detail15normal_iteratorINS9_10device_ptrIiEEEENSB_INSC_IyEEEESG_yNS9_4plusIvEENS9_8equal_toIvEEyEE10hipError_tPvRmT2_T3_T4_T5_mT6_T7_P12ihipStream_tbENKUlT_T0_E_clISt17integral_constantIbLb1EES10_IbLb0EEEEDaSW_SX_EUlSW_E_NS1_11comp_targetILNS1_3genE3ELNS1_11target_archE908ELNS1_3gpuE7ELNS1_3repE0EEENS1_30default_config_static_selectorELNS0_4arch9wavefront6targetE0EEEvT1_
; %bb.0:
	.section	.rodata,"a",@progbits
	.p2align	6, 0x0
	.amdhsa_kernel _ZN7rocprim17ROCPRIM_400000_NS6detail17trampoline_kernelINS0_14default_configENS1_27scan_by_key_config_selectorIiyEEZZNS1_16scan_by_key_implILNS1_25lookback_scan_determinismE0ELb1ES3_N6thrust23THRUST_200600_302600_NS6detail15normal_iteratorINS9_10device_ptrIiEEEENSB_INSC_IyEEEESG_yNS9_4plusIvEENS9_8equal_toIvEEyEE10hipError_tPvRmT2_T3_T4_T5_mT6_T7_P12ihipStream_tbENKUlT_T0_E_clISt17integral_constantIbLb1EES10_IbLb0EEEEDaSW_SX_EUlSW_E_NS1_11comp_targetILNS1_3genE3ELNS1_11target_archE908ELNS1_3gpuE7ELNS1_3repE0EEENS1_30default_config_static_selectorELNS0_4arch9wavefront6targetE0EEEvT1_
		.amdhsa_group_segment_fixed_size 0
		.amdhsa_private_segment_fixed_size 0
		.amdhsa_kernarg_size 136
		.amdhsa_user_sgpr_count 6
		.amdhsa_user_sgpr_private_segment_buffer 1
		.amdhsa_user_sgpr_dispatch_ptr 0
		.amdhsa_user_sgpr_queue_ptr 0
		.amdhsa_user_sgpr_kernarg_segment_ptr 1
		.amdhsa_user_sgpr_dispatch_id 0
		.amdhsa_user_sgpr_flat_scratch_init 0
		.amdhsa_user_sgpr_private_segment_size 0
		.amdhsa_wavefront_size32 1
		.amdhsa_uses_dynamic_stack 0
		.amdhsa_system_sgpr_private_segment_wavefront_offset 0
		.amdhsa_system_sgpr_workgroup_id_x 1
		.amdhsa_system_sgpr_workgroup_id_y 0
		.amdhsa_system_sgpr_workgroup_id_z 0
		.amdhsa_system_sgpr_workgroup_info 0
		.amdhsa_system_vgpr_workitem_id 0
		.amdhsa_next_free_vgpr 1
		.amdhsa_next_free_sgpr 1
		.amdhsa_reserve_vcc 0
		.amdhsa_reserve_flat_scratch 0
		.amdhsa_float_round_mode_32 0
		.amdhsa_float_round_mode_16_64 0
		.amdhsa_float_denorm_mode_32 3
		.amdhsa_float_denorm_mode_16_64 3
		.amdhsa_dx10_clamp 1
		.amdhsa_ieee_mode 1
		.amdhsa_fp16_overflow 0
		.amdhsa_workgroup_processor_mode 1
		.amdhsa_memory_ordered 1
		.amdhsa_forward_progress 1
		.amdhsa_shared_vgpr_count 0
		.amdhsa_exception_fp_ieee_invalid_op 0
		.amdhsa_exception_fp_denorm_src 0
		.amdhsa_exception_fp_ieee_div_zero 0
		.amdhsa_exception_fp_ieee_overflow 0
		.amdhsa_exception_fp_ieee_underflow 0
		.amdhsa_exception_fp_ieee_inexact 0
		.amdhsa_exception_int_div_zero 0
	.end_amdhsa_kernel
	.section	.text._ZN7rocprim17ROCPRIM_400000_NS6detail17trampoline_kernelINS0_14default_configENS1_27scan_by_key_config_selectorIiyEEZZNS1_16scan_by_key_implILNS1_25lookback_scan_determinismE0ELb1ES3_N6thrust23THRUST_200600_302600_NS6detail15normal_iteratorINS9_10device_ptrIiEEEENSB_INSC_IyEEEESG_yNS9_4plusIvEENS9_8equal_toIvEEyEE10hipError_tPvRmT2_T3_T4_T5_mT6_T7_P12ihipStream_tbENKUlT_T0_E_clISt17integral_constantIbLb1EES10_IbLb0EEEEDaSW_SX_EUlSW_E_NS1_11comp_targetILNS1_3genE3ELNS1_11target_archE908ELNS1_3gpuE7ELNS1_3repE0EEENS1_30default_config_static_selectorELNS0_4arch9wavefront6targetE0EEEvT1_,"axG",@progbits,_ZN7rocprim17ROCPRIM_400000_NS6detail17trampoline_kernelINS0_14default_configENS1_27scan_by_key_config_selectorIiyEEZZNS1_16scan_by_key_implILNS1_25lookback_scan_determinismE0ELb1ES3_N6thrust23THRUST_200600_302600_NS6detail15normal_iteratorINS9_10device_ptrIiEEEENSB_INSC_IyEEEESG_yNS9_4plusIvEENS9_8equal_toIvEEyEE10hipError_tPvRmT2_T3_T4_T5_mT6_T7_P12ihipStream_tbENKUlT_T0_E_clISt17integral_constantIbLb1EES10_IbLb0EEEEDaSW_SX_EUlSW_E_NS1_11comp_targetILNS1_3genE3ELNS1_11target_archE908ELNS1_3gpuE7ELNS1_3repE0EEENS1_30default_config_static_selectorELNS0_4arch9wavefront6targetE0EEEvT1_,comdat
.Lfunc_end1485:
	.size	_ZN7rocprim17ROCPRIM_400000_NS6detail17trampoline_kernelINS0_14default_configENS1_27scan_by_key_config_selectorIiyEEZZNS1_16scan_by_key_implILNS1_25lookback_scan_determinismE0ELb1ES3_N6thrust23THRUST_200600_302600_NS6detail15normal_iteratorINS9_10device_ptrIiEEEENSB_INSC_IyEEEESG_yNS9_4plusIvEENS9_8equal_toIvEEyEE10hipError_tPvRmT2_T3_T4_T5_mT6_T7_P12ihipStream_tbENKUlT_T0_E_clISt17integral_constantIbLb1EES10_IbLb0EEEEDaSW_SX_EUlSW_E_NS1_11comp_targetILNS1_3genE3ELNS1_11target_archE908ELNS1_3gpuE7ELNS1_3repE0EEENS1_30default_config_static_selectorELNS0_4arch9wavefront6targetE0EEEvT1_, .Lfunc_end1485-_ZN7rocprim17ROCPRIM_400000_NS6detail17trampoline_kernelINS0_14default_configENS1_27scan_by_key_config_selectorIiyEEZZNS1_16scan_by_key_implILNS1_25lookback_scan_determinismE0ELb1ES3_N6thrust23THRUST_200600_302600_NS6detail15normal_iteratorINS9_10device_ptrIiEEEENSB_INSC_IyEEEESG_yNS9_4plusIvEENS9_8equal_toIvEEyEE10hipError_tPvRmT2_T3_T4_T5_mT6_T7_P12ihipStream_tbENKUlT_T0_E_clISt17integral_constantIbLb1EES10_IbLb0EEEEDaSW_SX_EUlSW_E_NS1_11comp_targetILNS1_3genE3ELNS1_11target_archE908ELNS1_3gpuE7ELNS1_3repE0EEENS1_30default_config_static_selectorELNS0_4arch9wavefront6targetE0EEEvT1_
                                        ; -- End function
	.set _ZN7rocprim17ROCPRIM_400000_NS6detail17trampoline_kernelINS0_14default_configENS1_27scan_by_key_config_selectorIiyEEZZNS1_16scan_by_key_implILNS1_25lookback_scan_determinismE0ELb1ES3_N6thrust23THRUST_200600_302600_NS6detail15normal_iteratorINS9_10device_ptrIiEEEENSB_INSC_IyEEEESG_yNS9_4plusIvEENS9_8equal_toIvEEyEE10hipError_tPvRmT2_T3_T4_T5_mT6_T7_P12ihipStream_tbENKUlT_T0_E_clISt17integral_constantIbLb1EES10_IbLb0EEEEDaSW_SX_EUlSW_E_NS1_11comp_targetILNS1_3genE3ELNS1_11target_archE908ELNS1_3gpuE7ELNS1_3repE0EEENS1_30default_config_static_selectorELNS0_4arch9wavefront6targetE0EEEvT1_.num_vgpr, 0
	.set _ZN7rocprim17ROCPRIM_400000_NS6detail17trampoline_kernelINS0_14default_configENS1_27scan_by_key_config_selectorIiyEEZZNS1_16scan_by_key_implILNS1_25lookback_scan_determinismE0ELb1ES3_N6thrust23THRUST_200600_302600_NS6detail15normal_iteratorINS9_10device_ptrIiEEEENSB_INSC_IyEEEESG_yNS9_4plusIvEENS9_8equal_toIvEEyEE10hipError_tPvRmT2_T3_T4_T5_mT6_T7_P12ihipStream_tbENKUlT_T0_E_clISt17integral_constantIbLb1EES10_IbLb0EEEEDaSW_SX_EUlSW_E_NS1_11comp_targetILNS1_3genE3ELNS1_11target_archE908ELNS1_3gpuE7ELNS1_3repE0EEENS1_30default_config_static_selectorELNS0_4arch9wavefront6targetE0EEEvT1_.num_agpr, 0
	.set _ZN7rocprim17ROCPRIM_400000_NS6detail17trampoline_kernelINS0_14default_configENS1_27scan_by_key_config_selectorIiyEEZZNS1_16scan_by_key_implILNS1_25lookback_scan_determinismE0ELb1ES3_N6thrust23THRUST_200600_302600_NS6detail15normal_iteratorINS9_10device_ptrIiEEEENSB_INSC_IyEEEESG_yNS9_4plusIvEENS9_8equal_toIvEEyEE10hipError_tPvRmT2_T3_T4_T5_mT6_T7_P12ihipStream_tbENKUlT_T0_E_clISt17integral_constantIbLb1EES10_IbLb0EEEEDaSW_SX_EUlSW_E_NS1_11comp_targetILNS1_3genE3ELNS1_11target_archE908ELNS1_3gpuE7ELNS1_3repE0EEENS1_30default_config_static_selectorELNS0_4arch9wavefront6targetE0EEEvT1_.numbered_sgpr, 0
	.set _ZN7rocprim17ROCPRIM_400000_NS6detail17trampoline_kernelINS0_14default_configENS1_27scan_by_key_config_selectorIiyEEZZNS1_16scan_by_key_implILNS1_25lookback_scan_determinismE0ELb1ES3_N6thrust23THRUST_200600_302600_NS6detail15normal_iteratorINS9_10device_ptrIiEEEENSB_INSC_IyEEEESG_yNS9_4plusIvEENS9_8equal_toIvEEyEE10hipError_tPvRmT2_T3_T4_T5_mT6_T7_P12ihipStream_tbENKUlT_T0_E_clISt17integral_constantIbLb1EES10_IbLb0EEEEDaSW_SX_EUlSW_E_NS1_11comp_targetILNS1_3genE3ELNS1_11target_archE908ELNS1_3gpuE7ELNS1_3repE0EEENS1_30default_config_static_selectorELNS0_4arch9wavefront6targetE0EEEvT1_.num_named_barrier, 0
	.set _ZN7rocprim17ROCPRIM_400000_NS6detail17trampoline_kernelINS0_14default_configENS1_27scan_by_key_config_selectorIiyEEZZNS1_16scan_by_key_implILNS1_25lookback_scan_determinismE0ELb1ES3_N6thrust23THRUST_200600_302600_NS6detail15normal_iteratorINS9_10device_ptrIiEEEENSB_INSC_IyEEEESG_yNS9_4plusIvEENS9_8equal_toIvEEyEE10hipError_tPvRmT2_T3_T4_T5_mT6_T7_P12ihipStream_tbENKUlT_T0_E_clISt17integral_constantIbLb1EES10_IbLb0EEEEDaSW_SX_EUlSW_E_NS1_11comp_targetILNS1_3genE3ELNS1_11target_archE908ELNS1_3gpuE7ELNS1_3repE0EEENS1_30default_config_static_selectorELNS0_4arch9wavefront6targetE0EEEvT1_.private_seg_size, 0
	.set _ZN7rocprim17ROCPRIM_400000_NS6detail17trampoline_kernelINS0_14default_configENS1_27scan_by_key_config_selectorIiyEEZZNS1_16scan_by_key_implILNS1_25lookback_scan_determinismE0ELb1ES3_N6thrust23THRUST_200600_302600_NS6detail15normal_iteratorINS9_10device_ptrIiEEEENSB_INSC_IyEEEESG_yNS9_4plusIvEENS9_8equal_toIvEEyEE10hipError_tPvRmT2_T3_T4_T5_mT6_T7_P12ihipStream_tbENKUlT_T0_E_clISt17integral_constantIbLb1EES10_IbLb0EEEEDaSW_SX_EUlSW_E_NS1_11comp_targetILNS1_3genE3ELNS1_11target_archE908ELNS1_3gpuE7ELNS1_3repE0EEENS1_30default_config_static_selectorELNS0_4arch9wavefront6targetE0EEEvT1_.uses_vcc, 0
	.set _ZN7rocprim17ROCPRIM_400000_NS6detail17trampoline_kernelINS0_14default_configENS1_27scan_by_key_config_selectorIiyEEZZNS1_16scan_by_key_implILNS1_25lookback_scan_determinismE0ELb1ES3_N6thrust23THRUST_200600_302600_NS6detail15normal_iteratorINS9_10device_ptrIiEEEENSB_INSC_IyEEEESG_yNS9_4plusIvEENS9_8equal_toIvEEyEE10hipError_tPvRmT2_T3_T4_T5_mT6_T7_P12ihipStream_tbENKUlT_T0_E_clISt17integral_constantIbLb1EES10_IbLb0EEEEDaSW_SX_EUlSW_E_NS1_11comp_targetILNS1_3genE3ELNS1_11target_archE908ELNS1_3gpuE7ELNS1_3repE0EEENS1_30default_config_static_selectorELNS0_4arch9wavefront6targetE0EEEvT1_.uses_flat_scratch, 0
	.set _ZN7rocprim17ROCPRIM_400000_NS6detail17trampoline_kernelINS0_14default_configENS1_27scan_by_key_config_selectorIiyEEZZNS1_16scan_by_key_implILNS1_25lookback_scan_determinismE0ELb1ES3_N6thrust23THRUST_200600_302600_NS6detail15normal_iteratorINS9_10device_ptrIiEEEENSB_INSC_IyEEEESG_yNS9_4plusIvEENS9_8equal_toIvEEyEE10hipError_tPvRmT2_T3_T4_T5_mT6_T7_P12ihipStream_tbENKUlT_T0_E_clISt17integral_constantIbLb1EES10_IbLb0EEEEDaSW_SX_EUlSW_E_NS1_11comp_targetILNS1_3genE3ELNS1_11target_archE908ELNS1_3gpuE7ELNS1_3repE0EEENS1_30default_config_static_selectorELNS0_4arch9wavefront6targetE0EEEvT1_.has_dyn_sized_stack, 0
	.set _ZN7rocprim17ROCPRIM_400000_NS6detail17trampoline_kernelINS0_14default_configENS1_27scan_by_key_config_selectorIiyEEZZNS1_16scan_by_key_implILNS1_25lookback_scan_determinismE0ELb1ES3_N6thrust23THRUST_200600_302600_NS6detail15normal_iteratorINS9_10device_ptrIiEEEENSB_INSC_IyEEEESG_yNS9_4plusIvEENS9_8equal_toIvEEyEE10hipError_tPvRmT2_T3_T4_T5_mT6_T7_P12ihipStream_tbENKUlT_T0_E_clISt17integral_constantIbLb1EES10_IbLb0EEEEDaSW_SX_EUlSW_E_NS1_11comp_targetILNS1_3genE3ELNS1_11target_archE908ELNS1_3gpuE7ELNS1_3repE0EEENS1_30default_config_static_selectorELNS0_4arch9wavefront6targetE0EEEvT1_.has_recursion, 0
	.set _ZN7rocprim17ROCPRIM_400000_NS6detail17trampoline_kernelINS0_14default_configENS1_27scan_by_key_config_selectorIiyEEZZNS1_16scan_by_key_implILNS1_25lookback_scan_determinismE0ELb1ES3_N6thrust23THRUST_200600_302600_NS6detail15normal_iteratorINS9_10device_ptrIiEEEENSB_INSC_IyEEEESG_yNS9_4plusIvEENS9_8equal_toIvEEyEE10hipError_tPvRmT2_T3_T4_T5_mT6_T7_P12ihipStream_tbENKUlT_T0_E_clISt17integral_constantIbLb1EES10_IbLb0EEEEDaSW_SX_EUlSW_E_NS1_11comp_targetILNS1_3genE3ELNS1_11target_archE908ELNS1_3gpuE7ELNS1_3repE0EEENS1_30default_config_static_selectorELNS0_4arch9wavefront6targetE0EEEvT1_.has_indirect_call, 0
	.section	.AMDGPU.csdata,"",@progbits
; Kernel info:
; codeLenInByte = 0
; TotalNumSgprs: 0
; NumVgprs: 0
; ScratchSize: 0
; MemoryBound: 0
; FloatMode: 240
; IeeeMode: 1
; LDSByteSize: 0 bytes/workgroup (compile time only)
; SGPRBlocks: 0
; VGPRBlocks: 0
; NumSGPRsForWavesPerEU: 1
; NumVGPRsForWavesPerEU: 1
; Occupancy: 16
; WaveLimiterHint : 0
; COMPUTE_PGM_RSRC2:SCRATCH_EN: 0
; COMPUTE_PGM_RSRC2:USER_SGPR: 6
; COMPUTE_PGM_RSRC2:TRAP_HANDLER: 0
; COMPUTE_PGM_RSRC2:TGID_X_EN: 1
; COMPUTE_PGM_RSRC2:TGID_Y_EN: 0
; COMPUTE_PGM_RSRC2:TGID_Z_EN: 0
; COMPUTE_PGM_RSRC2:TIDIG_COMP_CNT: 0
	.section	.text._ZN7rocprim17ROCPRIM_400000_NS6detail17trampoline_kernelINS0_14default_configENS1_27scan_by_key_config_selectorIiyEEZZNS1_16scan_by_key_implILNS1_25lookback_scan_determinismE0ELb1ES3_N6thrust23THRUST_200600_302600_NS6detail15normal_iteratorINS9_10device_ptrIiEEEENSB_INSC_IyEEEESG_yNS9_4plusIvEENS9_8equal_toIvEEyEE10hipError_tPvRmT2_T3_T4_T5_mT6_T7_P12ihipStream_tbENKUlT_T0_E_clISt17integral_constantIbLb1EES10_IbLb0EEEEDaSW_SX_EUlSW_E_NS1_11comp_targetILNS1_3genE2ELNS1_11target_archE906ELNS1_3gpuE6ELNS1_3repE0EEENS1_30default_config_static_selectorELNS0_4arch9wavefront6targetE0EEEvT1_,"axG",@progbits,_ZN7rocprim17ROCPRIM_400000_NS6detail17trampoline_kernelINS0_14default_configENS1_27scan_by_key_config_selectorIiyEEZZNS1_16scan_by_key_implILNS1_25lookback_scan_determinismE0ELb1ES3_N6thrust23THRUST_200600_302600_NS6detail15normal_iteratorINS9_10device_ptrIiEEEENSB_INSC_IyEEEESG_yNS9_4plusIvEENS9_8equal_toIvEEyEE10hipError_tPvRmT2_T3_T4_T5_mT6_T7_P12ihipStream_tbENKUlT_T0_E_clISt17integral_constantIbLb1EES10_IbLb0EEEEDaSW_SX_EUlSW_E_NS1_11comp_targetILNS1_3genE2ELNS1_11target_archE906ELNS1_3gpuE6ELNS1_3repE0EEENS1_30default_config_static_selectorELNS0_4arch9wavefront6targetE0EEEvT1_,comdat
	.protected	_ZN7rocprim17ROCPRIM_400000_NS6detail17trampoline_kernelINS0_14default_configENS1_27scan_by_key_config_selectorIiyEEZZNS1_16scan_by_key_implILNS1_25lookback_scan_determinismE0ELb1ES3_N6thrust23THRUST_200600_302600_NS6detail15normal_iteratorINS9_10device_ptrIiEEEENSB_INSC_IyEEEESG_yNS9_4plusIvEENS9_8equal_toIvEEyEE10hipError_tPvRmT2_T3_T4_T5_mT6_T7_P12ihipStream_tbENKUlT_T0_E_clISt17integral_constantIbLb1EES10_IbLb0EEEEDaSW_SX_EUlSW_E_NS1_11comp_targetILNS1_3genE2ELNS1_11target_archE906ELNS1_3gpuE6ELNS1_3repE0EEENS1_30default_config_static_selectorELNS0_4arch9wavefront6targetE0EEEvT1_ ; -- Begin function _ZN7rocprim17ROCPRIM_400000_NS6detail17trampoline_kernelINS0_14default_configENS1_27scan_by_key_config_selectorIiyEEZZNS1_16scan_by_key_implILNS1_25lookback_scan_determinismE0ELb1ES3_N6thrust23THRUST_200600_302600_NS6detail15normal_iteratorINS9_10device_ptrIiEEEENSB_INSC_IyEEEESG_yNS9_4plusIvEENS9_8equal_toIvEEyEE10hipError_tPvRmT2_T3_T4_T5_mT6_T7_P12ihipStream_tbENKUlT_T0_E_clISt17integral_constantIbLb1EES10_IbLb0EEEEDaSW_SX_EUlSW_E_NS1_11comp_targetILNS1_3genE2ELNS1_11target_archE906ELNS1_3gpuE6ELNS1_3repE0EEENS1_30default_config_static_selectorELNS0_4arch9wavefront6targetE0EEEvT1_
	.globl	_ZN7rocprim17ROCPRIM_400000_NS6detail17trampoline_kernelINS0_14default_configENS1_27scan_by_key_config_selectorIiyEEZZNS1_16scan_by_key_implILNS1_25lookback_scan_determinismE0ELb1ES3_N6thrust23THRUST_200600_302600_NS6detail15normal_iteratorINS9_10device_ptrIiEEEENSB_INSC_IyEEEESG_yNS9_4plusIvEENS9_8equal_toIvEEyEE10hipError_tPvRmT2_T3_T4_T5_mT6_T7_P12ihipStream_tbENKUlT_T0_E_clISt17integral_constantIbLb1EES10_IbLb0EEEEDaSW_SX_EUlSW_E_NS1_11comp_targetILNS1_3genE2ELNS1_11target_archE906ELNS1_3gpuE6ELNS1_3repE0EEENS1_30default_config_static_selectorELNS0_4arch9wavefront6targetE0EEEvT1_
	.p2align	8
	.type	_ZN7rocprim17ROCPRIM_400000_NS6detail17trampoline_kernelINS0_14default_configENS1_27scan_by_key_config_selectorIiyEEZZNS1_16scan_by_key_implILNS1_25lookback_scan_determinismE0ELb1ES3_N6thrust23THRUST_200600_302600_NS6detail15normal_iteratorINS9_10device_ptrIiEEEENSB_INSC_IyEEEESG_yNS9_4plusIvEENS9_8equal_toIvEEyEE10hipError_tPvRmT2_T3_T4_T5_mT6_T7_P12ihipStream_tbENKUlT_T0_E_clISt17integral_constantIbLb1EES10_IbLb0EEEEDaSW_SX_EUlSW_E_NS1_11comp_targetILNS1_3genE2ELNS1_11target_archE906ELNS1_3gpuE6ELNS1_3repE0EEENS1_30default_config_static_selectorELNS0_4arch9wavefront6targetE0EEEvT1_,@function
_ZN7rocprim17ROCPRIM_400000_NS6detail17trampoline_kernelINS0_14default_configENS1_27scan_by_key_config_selectorIiyEEZZNS1_16scan_by_key_implILNS1_25lookback_scan_determinismE0ELb1ES3_N6thrust23THRUST_200600_302600_NS6detail15normal_iteratorINS9_10device_ptrIiEEEENSB_INSC_IyEEEESG_yNS9_4plusIvEENS9_8equal_toIvEEyEE10hipError_tPvRmT2_T3_T4_T5_mT6_T7_P12ihipStream_tbENKUlT_T0_E_clISt17integral_constantIbLb1EES10_IbLb0EEEEDaSW_SX_EUlSW_E_NS1_11comp_targetILNS1_3genE2ELNS1_11target_archE906ELNS1_3gpuE6ELNS1_3repE0EEENS1_30default_config_static_selectorELNS0_4arch9wavefront6targetE0EEEvT1_: ; @_ZN7rocprim17ROCPRIM_400000_NS6detail17trampoline_kernelINS0_14default_configENS1_27scan_by_key_config_selectorIiyEEZZNS1_16scan_by_key_implILNS1_25lookback_scan_determinismE0ELb1ES3_N6thrust23THRUST_200600_302600_NS6detail15normal_iteratorINS9_10device_ptrIiEEEENSB_INSC_IyEEEESG_yNS9_4plusIvEENS9_8equal_toIvEEyEE10hipError_tPvRmT2_T3_T4_T5_mT6_T7_P12ihipStream_tbENKUlT_T0_E_clISt17integral_constantIbLb1EES10_IbLb0EEEEDaSW_SX_EUlSW_E_NS1_11comp_targetILNS1_3genE2ELNS1_11target_archE906ELNS1_3gpuE6ELNS1_3repE0EEENS1_30default_config_static_selectorELNS0_4arch9wavefront6targetE0EEEvT1_
; %bb.0:
	.section	.rodata,"a",@progbits
	.p2align	6, 0x0
	.amdhsa_kernel _ZN7rocprim17ROCPRIM_400000_NS6detail17trampoline_kernelINS0_14default_configENS1_27scan_by_key_config_selectorIiyEEZZNS1_16scan_by_key_implILNS1_25lookback_scan_determinismE0ELb1ES3_N6thrust23THRUST_200600_302600_NS6detail15normal_iteratorINS9_10device_ptrIiEEEENSB_INSC_IyEEEESG_yNS9_4plusIvEENS9_8equal_toIvEEyEE10hipError_tPvRmT2_T3_T4_T5_mT6_T7_P12ihipStream_tbENKUlT_T0_E_clISt17integral_constantIbLb1EES10_IbLb0EEEEDaSW_SX_EUlSW_E_NS1_11comp_targetILNS1_3genE2ELNS1_11target_archE906ELNS1_3gpuE6ELNS1_3repE0EEENS1_30default_config_static_selectorELNS0_4arch9wavefront6targetE0EEEvT1_
		.amdhsa_group_segment_fixed_size 0
		.amdhsa_private_segment_fixed_size 0
		.amdhsa_kernarg_size 136
		.amdhsa_user_sgpr_count 6
		.amdhsa_user_sgpr_private_segment_buffer 1
		.amdhsa_user_sgpr_dispatch_ptr 0
		.amdhsa_user_sgpr_queue_ptr 0
		.amdhsa_user_sgpr_kernarg_segment_ptr 1
		.amdhsa_user_sgpr_dispatch_id 0
		.amdhsa_user_sgpr_flat_scratch_init 0
		.amdhsa_user_sgpr_private_segment_size 0
		.amdhsa_wavefront_size32 1
		.amdhsa_uses_dynamic_stack 0
		.amdhsa_system_sgpr_private_segment_wavefront_offset 0
		.amdhsa_system_sgpr_workgroup_id_x 1
		.amdhsa_system_sgpr_workgroup_id_y 0
		.amdhsa_system_sgpr_workgroup_id_z 0
		.amdhsa_system_sgpr_workgroup_info 0
		.amdhsa_system_vgpr_workitem_id 0
		.amdhsa_next_free_vgpr 1
		.amdhsa_next_free_sgpr 1
		.amdhsa_reserve_vcc 0
		.amdhsa_reserve_flat_scratch 0
		.amdhsa_float_round_mode_32 0
		.amdhsa_float_round_mode_16_64 0
		.amdhsa_float_denorm_mode_32 3
		.amdhsa_float_denorm_mode_16_64 3
		.amdhsa_dx10_clamp 1
		.amdhsa_ieee_mode 1
		.amdhsa_fp16_overflow 0
		.amdhsa_workgroup_processor_mode 1
		.amdhsa_memory_ordered 1
		.amdhsa_forward_progress 1
		.amdhsa_shared_vgpr_count 0
		.amdhsa_exception_fp_ieee_invalid_op 0
		.amdhsa_exception_fp_denorm_src 0
		.amdhsa_exception_fp_ieee_div_zero 0
		.amdhsa_exception_fp_ieee_overflow 0
		.amdhsa_exception_fp_ieee_underflow 0
		.amdhsa_exception_fp_ieee_inexact 0
		.amdhsa_exception_int_div_zero 0
	.end_amdhsa_kernel
	.section	.text._ZN7rocprim17ROCPRIM_400000_NS6detail17trampoline_kernelINS0_14default_configENS1_27scan_by_key_config_selectorIiyEEZZNS1_16scan_by_key_implILNS1_25lookback_scan_determinismE0ELb1ES3_N6thrust23THRUST_200600_302600_NS6detail15normal_iteratorINS9_10device_ptrIiEEEENSB_INSC_IyEEEESG_yNS9_4plusIvEENS9_8equal_toIvEEyEE10hipError_tPvRmT2_T3_T4_T5_mT6_T7_P12ihipStream_tbENKUlT_T0_E_clISt17integral_constantIbLb1EES10_IbLb0EEEEDaSW_SX_EUlSW_E_NS1_11comp_targetILNS1_3genE2ELNS1_11target_archE906ELNS1_3gpuE6ELNS1_3repE0EEENS1_30default_config_static_selectorELNS0_4arch9wavefront6targetE0EEEvT1_,"axG",@progbits,_ZN7rocprim17ROCPRIM_400000_NS6detail17trampoline_kernelINS0_14default_configENS1_27scan_by_key_config_selectorIiyEEZZNS1_16scan_by_key_implILNS1_25lookback_scan_determinismE0ELb1ES3_N6thrust23THRUST_200600_302600_NS6detail15normal_iteratorINS9_10device_ptrIiEEEENSB_INSC_IyEEEESG_yNS9_4plusIvEENS9_8equal_toIvEEyEE10hipError_tPvRmT2_T3_T4_T5_mT6_T7_P12ihipStream_tbENKUlT_T0_E_clISt17integral_constantIbLb1EES10_IbLb0EEEEDaSW_SX_EUlSW_E_NS1_11comp_targetILNS1_3genE2ELNS1_11target_archE906ELNS1_3gpuE6ELNS1_3repE0EEENS1_30default_config_static_selectorELNS0_4arch9wavefront6targetE0EEEvT1_,comdat
.Lfunc_end1486:
	.size	_ZN7rocprim17ROCPRIM_400000_NS6detail17trampoline_kernelINS0_14default_configENS1_27scan_by_key_config_selectorIiyEEZZNS1_16scan_by_key_implILNS1_25lookback_scan_determinismE0ELb1ES3_N6thrust23THRUST_200600_302600_NS6detail15normal_iteratorINS9_10device_ptrIiEEEENSB_INSC_IyEEEESG_yNS9_4plusIvEENS9_8equal_toIvEEyEE10hipError_tPvRmT2_T3_T4_T5_mT6_T7_P12ihipStream_tbENKUlT_T0_E_clISt17integral_constantIbLb1EES10_IbLb0EEEEDaSW_SX_EUlSW_E_NS1_11comp_targetILNS1_3genE2ELNS1_11target_archE906ELNS1_3gpuE6ELNS1_3repE0EEENS1_30default_config_static_selectorELNS0_4arch9wavefront6targetE0EEEvT1_, .Lfunc_end1486-_ZN7rocprim17ROCPRIM_400000_NS6detail17trampoline_kernelINS0_14default_configENS1_27scan_by_key_config_selectorIiyEEZZNS1_16scan_by_key_implILNS1_25lookback_scan_determinismE0ELb1ES3_N6thrust23THRUST_200600_302600_NS6detail15normal_iteratorINS9_10device_ptrIiEEEENSB_INSC_IyEEEESG_yNS9_4plusIvEENS9_8equal_toIvEEyEE10hipError_tPvRmT2_T3_T4_T5_mT6_T7_P12ihipStream_tbENKUlT_T0_E_clISt17integral_constantIbLb1EES10_IbLb0EEEEDaSW_SX_EUlSW_E_NS1_11comp_targetILNS1_3genE2ELNS1_11target_archE906ELNS1_3gpuE6ELNS1_3repE0EEENS1_30default_config_static_selectorELNS0_4arch9wavefront6targetE0EEEvT1_
                                        ; -- End function
	.set _ZN7rocprim17ROCPRIM_400000_NS6detail17trampoline_kernelINS0_14default_configENS1_27scan_by_key_config_selectorIiyEEZZNS1_16scan_by_key_implILNS1_25lookback_scan_determinismE0ELb1ES3_N6thrust23THRUST_200600_302600_NS6detail15normal_iteratorINS9_10device_ptrIiEEEENSB_INSC_IyEEEESG_yNS9_4plusIvEENS9_8equal_toIvEEyEE10hipError_tPvRmT2_T3_T4_T5_mT6_T7_P12ihipStream_tbENKUlT_T0_E_clISt17integral_constantIbLb1EES10_IbLb0EEEEDaSW_SX_EUlSW_E_NS1_11comp_targetILNS1_3genE2ELNS1_11target_archE906ELNS1_3gpuE6ELNS1_3repE0EEENS1_30default_config_static_selectorELNS0_4arch9wavefront6targetE0EEEvT1_.num_vgpr, 0
	.set _ZN7rocprim17ROCPRIM_400000_NS6detail17trampoline_kernelINS0_14default_configENS1_27scan_by_key_config_selectorIiyEEZZNS1_16scan_by_key_implILNS1_25lookback_scan_determinismE0ELb1ES3_N6thrust23THRUST_200600_302600_NS6detail15normal_iteratorINS9_10device_ptrIiEEEENSB_INSC_IyEEEESG_yNS9_4plusIvEENS9_8equal_toIvEEyEE10hipError_tPvRmT2_T3_T4_T5_mT6_T7_P12ihipStream_tbENKUlT_T0_E_clISt17integral_constantIbLb1EES10_IbLb0EEEEDaSW_SX_EUlSW_E_NS1_11comp_targetILNS1_3genE2ELNS1_11target_archE906ELNS1_3gpuE6ELNS1_3repE0EEENS1_30default_config_static_selectorELNS0_4arch9wavefront6targetE0EEEvT1_.num_agpr, 0
	.set _ZN7rocprim17ROCPRIM_400000_NS6detail17trampoline_kernelINS0_14default_configENS1_27scan_by_key_config_selectorIiyEEZZNS1_16scan_by_key_implILNS1_25lookback_scan_determinismE0ELb1ES3_N6thrust23THRUST_200600_302600_NS6detail15normal_iteratorINS9_10device_ptrIiEEEENSB_INSC_IyEEEESG_yNS9_4plusIvEENS9_8equal_toIvEEyEE10hipError_tPvRmT2_T3_T4_T5_mT6_T7_P12ihipStream_tbENKUlT_T0_E_clISt17integral_constantIbLb1EES10_IbLb0EEEEDaSW_SX_EUlSW_E_NS1_11comp_targetILNS1_3genE2ELNS1_11target_archE906ELNS1_3gpuE6ELNS1_3repE0EEENS1_30default_config_static_selectorELNS0_4arch9wavefront6targetE0EEEvT1_.numbered_sgpr, 0
	.set _ZN7rocprim17ROCPRIM_400000_NS6detail17trampoline_kernelINS0_14default_configENS1_27scan_by_key_config_selectorIiyEEZZNS1_16scan_by_key_implILNS1_25lookback_scan_determinismE0ELb1ES3_N6thrust23THRUST_200600_302600_NS6detail15normal_iteratorINS9_10device_ptrIiEEEENSB_INSC_IyEEEESG_yNS9_4plusIvEENS9_8equal_toIvEEyEE10hipError_tPvRmT2_T3_T4_T5_mT6_T7_P12ihipStream_tbENKUlT_T0_E_clISt17integral_constantIbLb1EES10_IbLb0EEEEDaSW_SX_EUlSW_E_NS1_11comp_targetILNS1_3genE2ELNS1_11target_archE906ELNS1_3gpuE6ELNS1_3repE0EEENS1_30default_config_static_selectorELNS0_4arch9wavefront6targetE0EEEvT1_.num_named_barrier, 0
	.set _ZN7rocprim17ROCPRIM_400000_NS6detail17trampoline_kernelINS0_14default_configENS1_27scan_by_key_config_selectorIiyEEZZNS1_16scan_by_key_implILNS1_25lookback_scan_determinismE0ELb1ES3_N6thrust23THRUST_200600_302600_NS6detail15normal_iteratorINS9_10device_ptrIiEEEENSB_INSC_IyEEEESG_yNS9_4plusIvEENS9_8equal_toIvEEyEE10hipError_tPvRmT2_T3_T4_T5_mT6_T7_P12ihipStream_tbENKUlT_T0_E_clISt17integral_constantIbLb1EES10_IbLb0EEEEDaSW_SX_EUlSW_E_NS1_11comp_targetILNS1_3genE2ELNS1_11target_archE906ELNS1_3gpuE6ELNS1_3repE0EEENS1_30default_config_static_selectorELNS0_4arch9wavefront6targetE0EEEvT1_.private_seg_size, 0
	.set _ZN7rocprim17ROCPRIM_400000_NS6detail17trampoline_kernelINS0_14default_configENS1_27scan_by_key_config_selectorIiyEEZZNS1_16scan_by_key_implILNS1_25lookback_scan_determinismE0ELb1ES3_N6thrust23THRUST_200600_302600_NS6detail15normal_iteratorINS9_10device_ptrIiEEEENSB_INSC_IyEEEESG_yNS9_4plusIvEENS9_8equal_toIvEEyEE10hipError_tPvRmT2_T3_T4_T5_mT6_T7_P12ihipStream_tbENKUlT_T0_E_clISt17integral_constantIbLb1EES10_IbLb0EEEEDaSW_SX_EUlSW_E_NS1_11comp_targetILNS1_3genE2ELNS1_11target_archE906ELNS1_3gpuE6ELNS1_3repE0EEENS1_30default_config_static_selectorELNS0_4arch9wavefront6targetE0EEEvT1_.uses_vcc, 0
	.set _ZN7rocprim17ROCPRIM_400000_NS6detail17trampoline_kernelINS0_14default_configENS1_27scan_by_key_config_selectorIiyEEZZNS1_16scan_by_key_implILNS1_25lookback_scan_determinismE0ELb1ES3_N6thrust23THRUST_200600_302600_NS6detail15normal_iteratorINS9_10device_ptrIiEEEENSB_INSC_IyEEEESG_yNS9_4plusIvEENS9_8equal_toIvEEyEE10hipError_tPvRmT2_T3_T4_T5_mT6_T7_P12ihipStream_tbENKUlT_T0_E_clISt17integral_constantIbLb1EES10_IbLb0EEEEDaSW_SX_EUlSW_E_NS1_11comp_targetILNS1_3genE2ELNS1_11target_archE906ELNS1_3gpuE6ELNS1_3repE0EEENS1_30default_config_static_selectorELNS0_4arch9wavefront6targetE0EEEvT1_.uses_flat_scratch, 0
	.set _ZN7rocprim17ROCPRIM_400000_NS6detail17trampoline_kernelINS0_14default_configENS1_27scan_by_key_config_selectorIiyEEZZNS1_16scan_by_key_implILNS1_25lookback_scan_determinismE0ELb1ES3_N6thrust23THRUST_200600_302600_NS6detail15normal_iteratorINS9_10device_ptrIiEEEENSB_INSC_IyEEEESG_yNS9_4plusIvEENS9_8equal_toIvEEyEE10hipError_tPvRmT2_T3_T4_T5_mT6_T7_P12ihipStream_tbENKUlT_T0_E_clISt17integral_constantIbLb1EES10_IbLb0EEEEDaSW_SX_EUlSW_E_NS1_11comp_targetILNS1_3genE2ELNS1_11target_archE906ELNS1_3gpuE6ELNS1_3repE0EEENS1_30default_config_static_selectorELNS0_4arch9wavefront6targetE0EEEvT1_.has_dyn_sized_stack, 0
	.set _ZN7rocprim17ROCPRIM_400000_NS6detail17trampoline_kernelINS0_14default_configENS1_27scan_by_key_config_selectorIiyEEZZNS1_16scan_by_key_implILNS1_25lookback_scan_determinismE0ELb1ES3_N6thrust23THRUST_200600_302600_NS6detail15normal_iteratorINS9_10device_ptrIiEEEENSB_INSC_IyEEEESG_yNS9_4plusIvEENS9_8equal_toIvEEyEE10hipError_tPvRmT2_T3_T4_T5_mT6_T7_P12ihipStream_tbENKUlT_T0_E_clISt17integral_constantIbLb1EES10_IbLb0EEEEDaSW_SX_EUlSW_E_NS1_11comp_targetILNS1_3genE2ELNS1_11target_archE906ELNS1_3gpuE6ELNS1_3repE0EEENS1_30default_config_static_selectorELNS0_4arch9wavefront6targetE0EEEvT1_.has_recursion, 0
	.set _ZN7rocprim17ROCPRIM_400000_NS6detail17trampoline_kernelINS0_14default_configENS1_27scan_by_key_config_selectorIiyEEZZNS1_16scan_by_key_implILNS1_25lookback_scan_determinismE0ELb1ES3_N6thrust23THRUST_200600_302600_NS6detail15normal_iteratorINS9_10device_ptrIiEEEENSB_INSC_IyEEEESG_yNS9_4plusIvEENS9_8equal_toIvEEyEE10hipError_tPvRmT2_T3_T4_T5_mT6_T7_P12ihipStream_tbENKUlT_T0_E_clISt17integral_constantIbLb1EES10_IbLb0EEEEDaSW_SX_EUlSW_E_NS1_11comp_targetILNS1_3genE2ELNS1_11target_archE906ELNS1_3gpuE6ELNS1_3repE0EEENS1_30default_config_static_selectorELNS0_4arch9wavefront6targetE0EEEvT1_.has_indirect_call, 0
	.section	.AMDGPU.csdata,"",@progbits
; Kernel info:
; codeLenInByte = 0
; TotalNumSgprs: 0
; NumVgprs: 0
; ScratchSize: 0
; MemoryBound: 0
; FloatMode: 240
; IeeeMode: 1
; LDSByteSize: 0 bytes/workgroup (compile time only)
; SGPRBlocks: 0
; VGPRBlocks: 0
; NumSGPRsForWavesPerEU: 1
; NumVGPRsForWavesPerEU: 1
; Occupancy: 16
; WaveLimiterHint : 0
; COMPUTE_PGM_RSRC2:SCRATCH_EN: 0
; COMPUTE_PGM_RSRC2:USER_SGPR: 6
; COMPUTE_PGM_RSRC2:TRAP_HANDLER: 0
; COMPUTE_PGM_RSRC2:TGID_X_EN: 1
; COMPUTE_PGM_RSRC2:TGID_Y_EN: 0
; COMPUTE_PGM_RSRC2:TGID_Z_EN: 0
; COMPUTE_PGM_RSRC2:TIDIG_COMP_CNT: 0
	.section	.text._ZN7rocprim17ROCPRIM_400000_NS6detail17trampoline_kernelINS0_14default_configENS1_27scan_by_key_config_selectorIiyEEZZNS1_16scan_by_key_implILNS1_25lookback_scan_determinismE0ELb1ES3_N6thrust23THRUST_200600_302600_NS6detail15normal_iteratorINS9_10device_ptrIiEEEENSB_INSC_IyEEEESG_yNS9_4plusIvEENS9_8equal_toIvEEyEE10hipError_tPvRmT2_T3_T4_T5_mT6_T7_P12ihipStream_tbENKUlT_T0_E_clISt17integral_constantIbLb1EES10_IbLb0EEEEDaSW_SX_EUlSW_E_NS1_11comp_targetILNS1_3genE10ELNS1_11target_archE1200ELNS1_3gpuE4ELNS1_3repE0EEENS1_30default_config_static_selectorELNS0_4arch9wavefront6targetE0EEEvT1_,"axG",@progbits,_ZN7rocprim17ROCPRIM_400000_NS6detail17trampoline_kernelINS0_14default_configENS1_27scan_by_key_config_selectorIiyEEZZNS1_16scan_by_key_implILNS1_25lookback_scan_determinismE0ELb1ES3_N6thrust23THRUST_200600_302600_NS6detail15normal_iteratorINS9_10device_ptrIiEEEENSB_INSC_IyEEEESG_yNS9_4plusIvEENS9_8equal_toIvEEyEE10hipError_tPvRmT2_T3_T4_T5_mT6_T7_P12ihipStream_tbENKUlT_T0_E_clISt17integral_constantIbLb1EES10_IbLb0EEEEDaSW_SX_EUlSW_E_NS1_11comp_targetILNS1_3genE10ELNS1_11target_archE1200ELNS1_3gpuE4ELNS1_3repE0EEENS1_30default_config_static_selectorELNS0_4arch9wavefront6targetE0EEEvT1_,comdat
	.protected	_ZN7rocprim17ROCPRIM_400000_NS6detail17trampoline_kernelINS0_14default_configENS1_27scan_by_key_config_selectorIiyEEZZNS1_16scan_by_key_implILNS1_25lookback_scan_determinismE0ELb1ES3_N6thrust23THRUST_200600_302600_NS6detail15normal_iteratorINS9_10device_ptrIiEEEENSB_INSC_IyEEEESG_yNS9_4plusIvEENS9_8equal_toIvEEyEE10hipError_tPvRmT2_T3_T4_T5_mT6_T7_P12ihipStream_tbENKUlT_T0_E_clISt17integral_constantIbLb1EES10_IbLb0EEEEDaSW_SX_EUlSW_E_NS1_11comp_targetILNS1_3genE10ELNS1_11target_archE1200ELNS1_3gpuE4ELNS1_3repE0EEENS1_30default_config_static_selectorELNS0_4arch9wavefront6targetE0EEEvT1_ ; -- Begin function _ZN7rocprim17ROCPRIM_400000_NS6detail17trampoline_kernelINS0_14default_configENS1_27scan_by_key_config_selectorIiyEEZZNS1_16scan_by_key_implILNS1_25lookback_scan_determinismE0ELb1ES3_N6thrust23THRUST_200600_302600_NS6detail15normal_iteratorINS9_10device_ptrIiEEEENSB_INSC_IyEEEESG_yNS9_4plusIvEENS9_8equal_toIvEEyEE10hipError_tPvRmT2_T3_T4_T5_mT6_T7_P12ihipStream_tbENKUlT_T0_E_clISt17integral_constantIbLb1EES10_IbLb0EEEEDaSW_SX_EUlSW_E_NS1_11comp_targetILNS1_3genE10ELNS1_11target_archE1200ELNS1_3gpuE4ELNS1_3repE0EEENS1_30default_config_static_selectorELNS0_4arch9wavefront6targetE0EEEvT1_
	.globl	_ZN7rocprim17ROCPRIM_400000_NS6detail17trampoline_kernelINS0_14default_configENS1_27scan_by_key_config_selectorIiyEEZZNS1_16scan_by_key_implILNS1_25lookback_scan_determinismE0ELb1ES3_N6thrust23THRUST_200600_302600_NS6detail15normal_iteratorINS9_10device_ptrIiEEEENSB_INSC_IyEEEESG_yNS9_4plusIvEENS9_8equal_toIvEEyEE10hipError_tPvRmT2_T3_T4_T5_mT6_T7_P12ihipStream_tbENKUlT_T0_E_clISt17integral_constantIbLb1EES10_IbLb0EEEEDaSW_SX_EUlSW_E_NS1_11comp_targetILNS1_3genE10ELNS1_11target_archE1200ELNS1_3gpuE4ELNS1_3repE0EEENS1_30default_config_static_selectorELNS0_4arch9wavefront6targetE0EEEvT1_
	.p2align	8
	.type	_ZN7rocprim17ROCPRIM_400000_NS6detail17trampoline_kernelINS0_14default_configENS1_27scan_by_key_config_selectorIiyEEZZNS1_16scan_by_key_implILNS1_25lookback_scan_determinismE0ELb1ES3_N6thrust23THRUST_200600_302600_NS6detail15normal_iteratorINS9_10device_ptrIiEEEENSB_INSC_IyEEEESG_yNS9_4plusIvEENS9_8equal_toIvEEyEE10hipError_tPvRmT2_T3_T4_T5_mT6_T7_P12ihipStream_tbENKUlT_T0_E_clISt17integral_constantIbLb1EES10_IbLb0EEEEDaSW_SX_EUlSW_E_NS1_11comp_targetILNS1_3genE10ELNS1_11target_archE1200ELNS1_3gpuE4ELNS1_3repE0EEENS1_30default_config_static_selectorELNS0_4arch9wavefront6targetE0EEEvT1_,@function
_ZN7rocprim17ROCPRIM_400000_NS6detail17trampoline_kernelINS0_14default_configENS1_27scan_by_key_config_selectorIiyEEZZNS1_16scan_by_key_implILNS1_25lookback_scan_determinismE0ELb1ES3_N6thrust23THRUST_200600_302600_NS6detail15normal_iteratorINS9_10device_ptrIiEEEENSB_INSC_IyEEEESG_yNS9_4plusIvEENS9_8equal_toIvEEyEE10hipError_tPvRmT2_T3_T4_T5_mT6_T7_P12ihipStream_tbENKUlT_T0_E_clISt17integral_constantIbLb1EES10_IbLb0EEEEDaSW_SX_EUlSW_E_NS1_11comp_targetILNS1_3genE10ELNS1_11target_archE1200ELNS1_3gpuE4ELNS1_3repE0EEENS1_30default_config_static_selectorELNS0_4arch9wavefront6targetE0EEEvT1_: ; @_ZN7rocprim17ROCPRIM_400000_NS6detail17trampoline_kernelINS0_14default_configENS1_27scan_by_key_config_selectorIiyEEZZNS1_16scan_by_key_implILNS1_25lookback_scan_determinismE0ELb1ES3_N6thrust23THRUST_200600_302600_NS6detail15normal_iteratorINS9_10device_ptrIiEEEENSB_INSC_IyEEEESG_yNS9_4plusIvEENS9_8equal_toIvEEyEE10hipError_tPvRmT2_T3_T4_T5_mT6_T7_P12ihipStream_tbENKUlT_T0_E_clISt17integral_constantIbLb1EES10_IbLb0EEEEDaSW_SX_EUlSW_E_NS1_11comp_targetILNS1_3genE10ELNS1_11target_archE1200ELNS1_3gpuE4ELNS1_3repE0EEENS1_30default_config_static_selectorELNS0_4arch9wavefront6targetE0EEEvT1_
; %bb.0:
	.section	.rodata,"a",@progbits
	.p2align	6, 0x0
	.amdhsa_kernel _ZN7rocprim17ROCPRIM_400000_NS6detail17trampoline_kernelINS0_14default_configENS1_27scan_by_key_config_selectorIiyEEZZNS1_16scan_by_key_implILNS1_25lookback_scan_determinismE0ELb1ES3_N6thrust23THRUST_200600_302600_NS6detail15normal_iteratorINS9_10device_ptrIiEEEENSB_INSC_IyEEEESG_yNS9_4plusIvEENS9_8equal_toIvEEyEE10hipError_tPvRmT2_T3_T4_T5_mT6_T7_P12ihipStream_tbENKUlT_T0_E_clISt17integral_constantIbLb1EES10_IbLb0EEEEDaSW_SX_EUlSW_E_NS1_11comp_targetILNS1_3genE10ELNS1_11target_archE1200ELNS1_3gpuE4ELNS1_3repE0EEENS1_30default_config_static_selectorELNS0_4arch9wavefront6targetE0EEEvT1_
		.amdhsa_group_segment_fixed_size 0
		.amdhsa_private_segment_fixed_size 0
		.amdhsa_kernarg_size 136
		.amdhsa_user_sgpr_count 6
		.amdhsa_user_sgpr_private_segment_buffer 1
		.amdhsa_user_sgpr_dispatch_ptr 0
		.amdhsa_user_sgpr_queue_ptr 0
		.amdhsa_user_sgpr_kernarg_segment_ptr 1
		.amdhsa_user_sgpr_dispatch_id 0
		.amdhsa_user_sgpr_flat_scratch_init 0
		.amdhsa_user_sgpr_private_segment_size 0
		.amdhsa_wavefront_size32 1
		.amdhsa_uses_dynamic_stack 0
		.amdhsa_system_sgpr_private_segment_wavefront_offset 0
		.amdhsa_system_sgpr_workgroup_id_x 1
		.amdhsa_system_sgpr_workgroup_id_y 0
		.amdhsa_system_sgpr_workgroup_id_z 0
		.amdhsa_system_sgpr_workgroup_info 0
		.amdhsa_system_vgpr_workitem_id 0
		.amdhsa_next_free_vgpr 1
		.amdhsa_next_free_sgpr 1
		.amdhsa_reserve_vcc 0
		.amdhsa_reserve_flat_scratch 0
		.amdhsa_float_round_mode_32 0
		.amdhsa_float_round_mode_16_64 0
		.amdhsa_float_denorm_mode_32 3
		.amdhsa_float_denorm_mode_16_64 3
		.amdhsa_dx10_clamp 1
		.amdhsa_ieee_mode 1
		.amdhsa_fp16_overflow 0
		.amdhsa_workgroup_processor_mode 1
		.amdhsa_memory_ordered 1
		.amdhsa_forward_progress 1
		.amdhsa_shared_vgpr_count 0
		.amdhsa_exception_fp_ieee_invalid_op 0
		.amdhsa_exception_fp_denorm_src 0
		.amdhsa_exception_fp_ieee_div_zero 0
		.amdhsa_exception_fp_ieee_overflow 0
		.amdhsa_exception_fp_ieee_underflow 0
		.amdhsa_exception_fp_ieee_inexact 0
		.amdhsa_exception_int_div_zero 0
	.end_amdhsa_kernel
	.section	.text._ZN7rocprim17ROCPRIM_400000_NS6detail17trampoline_kernelINS0_14default_configENS1_27scan_by_key_config_selectorIiyEEZZNS1_16scan_by_key_implILNS1_25lookback_scan_determinismE0ELb1ES3_N6thrust23THRUST_200600_302600_NS6detail15normal_iteratorINS9_10device_ptrIiEEEENSB_INSC_IyEEEESG_yNS9_4plusIvEENS9_8equal_toIvEEyEE10hipError_tPvRmT2_T3_T4_T5_mT6_T7_P12ihipStream_tbENKUlT_T0_E_clISt17integral_constantIbLb1EES10_IbLb0EEEEDaSW_SX_EUlSW_E_NS1_11comp_targetILNS1_3genE10ELNS1_11target_archE1200ELNS1_3gpuE4ELNS1_3repE0EEENS1_30default_config_static_selectorELNS0_4arch9wavefront6targetE0EEEvT1_,"axG",@progbits,_ZN7rocprim17ROCPRIM_400000_NS6detail17trampoline_kernelINS0_14default_configENS1_27scan_by_key_config_selectorIiyEEZZNS1_16scan_by_key_implILNS1_25lookback_scan_determinismE0ELb1ES3_N6thrust23THRUST_200600_302600_NS6detail15normal_iteratorINS9_10device_ptrIiEEEENSB_INSC_IyEEEESG_yNS9_4plusIvEENS9_8equal_toIvEEyEE10hipError_tPvRmT2_T3_T4_T5_mT6_T7_P12ihipStream_tbENKUlT_T0_E_clISt17integral_constantIbLb1EES10_IbLb0EEEEDaSW_SX_EUlSW_E_NS1_11comp_targetILNS1_3genE10ELNS1_11target_archE1200ELNS1_3gpuE4ELNS1_3repE0EEENS1_30default_config_static_selectorELNS0_4arch9wavefront6targetE0EEEvT1_,comdat
.Lfunc_end1487:
	.size	_ZN7rocprim17ROCPRIM_400000_NS6detail17trampoline_kernelINS0_14default_configENS1_27scan_by_key_config_selectorIiyEEZZNS1_16scan_by_key_implILNS1_25lookback_scan_determinismE0ELb1ES3_N6thrust23THRUST_200600_302600_NS6detail15normal_iteratorINS9_10device_ptrIiEEEENSB_INSC_IyEEEESG_yNS9_4plusIvEENS9_8equal_toIvEEyEE10hipError_tPvRmT2_T3_T4_T5_mT6_T7_P12ihipStream_tbENKUlT_T0_E_clISt17integral_constantIbLb1EES10_IbLb0EEEEDaSW_SX_EUlSW_E_NS1_11comp_targetILNS1_3genE10ELNS1_11target_archE1200ELNS1_3gpuE4ELNS1_3repE0EEENS1_30default_config_static_selectorELNS0_4arch9wavefront6targetE0EEEvT1_, .Lfunc_end1487-_ZN7rocprim17ROCPRIM_400000_NS6detail17trampoline_kernelINS0_14default_configENS1_27scan_by_key_config_selectorIiyEEZZNS1_16scan_by_key_implILNS1_25lookback_scan_determinismE0ELb1ES3_N6thrust23THRUST_200600_302600_NS6detail15normal_iteratorINS9_10device_ptrIiEEEENSB_INSC_IyEEEESG_yNS9_4plusIvEENS9_8equal_toIvEEyEE10hipError_tPvRmT2_T3_T4_T5_mT6_T7_P12ihipStream_tbENKUlT_T0_E_clISt17integral_constantIbLb1EES10_IbLb0EEEEDaSW_SX_EUlSW_E_NS1_11comp_targetILNS1_3genE10ELNS1_11target_archE1200ELNS1_3gpuE4ELNS1_3repE0EEENS1_30default_config_static_selectorELNS0_4arch9wavefront6targetE0EEEvT1_
                                        ; -- End function
	.set _ZN7rocprim17ROCPRIM_400000_NS6detail17trampoline_kernelINS0_14default_configENS1_27scan_by_key_config_selectorIiyEEZZNS1_16scan_by_key_implILNS1_25lookback_scan_determinismE0ELb1ES3_N6thrust23THRUST_200600_302600_NS6detail15normal_iteratorINS9_10device_ptrIiEEEENSB_INSC_IyEEEESG_yNS9_4plusIvEENS9_8equal_toIvEEyEE10hipError_tPvRmT2_T3_T4_T5_mT6_T7_P12ihipStream_tbENKUlT_T0_E_clISt17integral_constantIbLb1EES10_IbLb0EEEEDaSW_SX_EUlSW_E_NS1_11comp_targetILNS1_3genE10ELNS1_11target_archE1200ELNS1_3gpuE4ELNS1_3repE0EEENS1_30default_config_static_selectorELNS0_4arch9wavefront6targetE0EEEvT1_.num_vgpr, 0
	.set _ZN7rocprim17ROCPRIM_400000_NS6detail17trampoline_kernelINS0_14default_configENS1_27scan_by_key_config_selectorIiyEEZZNS1_16scan_by_key_implILNS1_25lookback_scan_determinismE0ELb1ES3_N6thrust23THRUST_200600_302600_NS6detail15normal_iteratorINS9_10device_ptrIiEEEENSB_INSC_IyEEEESG_yNS9_4plusIvEENS9_8equal_toIvEEyEE10hipError_tPvRmT2_T3_T4_T5_mT6_T7_P12ihipStream_tbENKUlT_T0_E_clISt17integral_constantIbLb1EES10_IbLb0EEEEDaSW_SX_EUlSW_E_NS1_11comp_targetILNS1_3genE10ELNS1_11target_archE1200ELNS1_3gpuE4ELNS1_3repE0EEENS1_30default_config_static_selectorELNS0_4arch9wavefront6targetE0EEEvT1_.num_agpr, 0
	.set _ZN7rocprim17ROCPRIM_400000_NS6detail17trampoline_kernelINS0_14default_configENS1_27scan_by_key_config_selectorIiyEEZZNS1_16scan_by_key_implILNS1_25lookback_scan_determinismE0ELb1ES3_N6thrust23THRUST_200600_302600_NS6detail15normal_iteratorINS9_10device_ptrIiEEEENSB_INSC_IyEEEESG_yNS9_4plusIvEENS9_8equal_toIvEEyEE10hipError_tPvRmT2_T3_T4_T5_mT6_T7_P12ihipStream_tbENKUlT_T0_E_clISt17integral_constantIbLb1EES10_IbLb0EEEEDaSW_SX_EUlSW_E_NS1_11comp_targetILNS1_3genE10ELNS1_11target_archE1200ELNS1_3gpuE4ELNS1_3repE0EEENS1_30default_config_static_selectorELNS0_4arch9wavefront6targetE0EEEvT1_.numbered_sgpr, 0
	.set _ZN7rocprim17ROCPRIM_400000_NS6detail17trampoline_kernelINS0_14default_configENS1_27scan_by_key_config_selectorIiyEEZZNS1_16scan_by_key_implILNS1_25lookback_scan_determinismE0ELb1ES3_N6thrust23THRUST_200600_302600_NS6detail15normal_iteratorINS9_10device_ptrIiEEEENSB_INSC_IyEEEESG_yNS9_4plusIvEENS9_8equal_toIvEEyEE10hipError_tPvRmT2_T3_T4_T5_mT6_T7_P12ihipStream_tbENKUlT_T0_E_clISt17integral_constantIbLb1EES10_IbLb0EEEEDaSW_SX_EUlSW_E_NS1_11comp_targetILNS1_3genE10ELNS1_11target_archE1200ELNS1_3gpuE4ELNS1_3repE0EEENS1_30default_config_static_selectorELNS0_4arch9wavefront6targetE0EEEvT1_.num_named_barrier, 0
	.set _ZN7rocprim17ROCPRIM_400000_NS6detail17trampoline_kernelINS0_14default_configENS1_27scan_by_key_config_selectorIiyEEZZNS1_16scan_by_key_implILNS1_25lookback_scan_determinismE0ELb1ES3_N6thrust23THRUST_200600_302600_NS6detail15normal_iteratorINS9_10device_ptrIiEEEENSB_INSC_IyEEEESG_yNS9_4plusIvEENS9_8equal_toIvEEyEE10hipError_tPvRmT2_T3_T4_T5_mT6_T7_P12ihipStream_tbENKUlT_T0_E_clISt17integral_constantIbLb1EES10_IbLb0EEEEDaSW_SX_EUlSW_E_NS1_11comp_targetILNS1_3genE10ELNS1_11target_archE1200ELNS1_3gpuE4ELNS1_3repE0EEENS1_30default_config_static_selectorELNS0_4arch9wavefront6targetE0EEEvT1_.private_seg_size, 0
	.set _ZN7rocprim17ROCPRIM_400000_NS6detail17trampoline_kernelINS0_14default_configENS1_27scan_by_key_config_selectorIiyEEZZNS1_16scan_by_key_implILNS1_25lookback_scan_determinismE0ELb1ES3_N6thrust23THRUST_200600_302600_NS6detail15normal_iteratorINS9_10device_ptrIiEEEENSB_INSC_IyEEEESG_yNS9_4plusIvEENS9_8equal_toIvEEyEE10hipError_tPvRmT2_T3_T4_T5_mT6_T7_P12ihipStream_tbENKUlT_T0_E_clISt17integral_constantIbLb1EES10_IbLb0EEEEDaSW_SX_EUlSW_E_NS1_11comp_targetILNS1_3genE10ELNS1_11target_archE1200ELNS1_3gpuE4ELNS1_3repE0EEENS1_30default_config_static_selectorELNS0_4arch9wavefront6targetE0EEEvT1_.uses_vcc, 0
	.set _ZN7rocprim17ROCPRIM_400000_NS6detail17trampoline_kernelINS0_14default_configENS1_27scan_by_key_config_selectorIiyEEZZNS1_16scan_by_key_implILNS1_25lookback_scan_determinismE0ELb1ES3_N6thrust23THRUST_200600_302600_NS6detail15normal_iteratorINS9_10device_ptrIiEEEENSB_INSC_IyEEEESG_yNS9_4plusIvEENS9_8equal_toIvEEyEE10hipError_tPvRmT2_T3_T4_T5_mT6_T7_P12ihipStream_tbENKUlT_T0_E_clISt17integral_constantIbLb1EES10_IbLb0EEEEDaSW_SX_EUlSW_E_NS1_11comp_targetILNS1_3genE10ELNS1_11target_archE1200ELNS1_3gpuE4ELNS1_3repE0EEENS1_30default_config_static_selectorELNS0_4arch9wavefront6targetE0EEEvT1_.uses_flat_scratch, 0
	.set _ZN7rocprim17ROCPRIM_400000_NS6detail17trampoline_kernelINS0_14default_configENS1_27scan_by_key_config_selectorIiyEEZZNS1_16scan_by_key_implILNS1_25lookback_scan_determinismE0ELb1ES3_N6thrust23THRUST_200600_302600_NS6detail15normal_iteratorINS9_10device_ptrIiEEEENSB_INSC_IyEEEESG_yNS9_4plusIvEENS9_8equal_toIvEEyEE10hipError_tPvRmT2_T3_T4_T5_mT6_T7_P12ihipStream_tbENKUlT_T0_E_clISt17integral_constantIbLb1EES10_IbLb0EEEEDaSW_SX_EUlSW_E_NS1_11comp_targetILNS1_3genE10ELNS1_11target_archE1200ELNS1_3gpuE4ELNS1_3repE0EEENS1_30default_config_static_selectorELNS0_4arch9wavefront6targetE0EEEvT1_.has_dyn_sized_stack, 0
	.set _ZN7rocprim17ROCPRIM_400000_NS6detail17trampoline_kernelINS0_14default_configENS1_27scan_by_key_config_selectorIiyEEZZNS1_16scan_by_key_implILNS1_25lookback_scan_determinismE0ELb1ES3_N6thrust23THRUST_200600_302600_NS6detail15normal_iteratorINS9_10device_ptrIiEEEENSB_INSC_IyEEEESG_yNS9_4plusIvEENS9_8equal_toIvEEyEE10hipError_tPvRmT2_T3_T4_T5_mT6_T7_P12ihipStream_tbENKUlT_T0_E_clISt17integral_constantIbLb1EES10_IbLb0EEEEDaSW_SX_EUlSW_E_NS1_11comp_targetILNS1_3genE10ELNS1_11target_archE1200ELNS1_3gpuE4ELNS1_3repE0EEENS1_30default_config_static_selectorELNS0_4arch9wavefront6targetE0EEEvT1_.has_recursion, 0
	.set _ZN7rocprim17ROCPRIM_400000_NS6detail17trampoline_kernelINS0_14default_configENS1_27scan_by_key_config_selectorIiyEEZZNS1_16scan_by_key_implILNS1_25lookback_scan_determinismE0ELb1ES3_N6thrust23THRUST_200600_302600_NS6detail15normal_iteratorINS9_10device_ptrIiEEEENSB_INSC_IyEEEESG_yNS9_4plusIvEENS9_8equal_toIvEEyEE10hipError_tPvRmT2_T3_T4_T5_mT6_T7_P12ihipStream_tbENKUlT_T0_E_clISt17integral_constantIbLb1EES10_IbLb0EEEEDaSW_SX_EUlSW_E_NS1_11comp_targetILNS1_3genE10ELNS1_11target_archE1200ELNS1_3gpuE4ELNS1_3repE0EEENS1_30default_config_static_selectorELNS0_4arch9wavefront6targetE0EEEvT1_.has_indirect_call, 0
	.section	.AMDGPU.csdata,"",@progbits
; Kernel info:
; codeLenInByte = 0
; TotalNumSgprs: 0
; NumVgprs: 0
; ScratchSize: 0
; MemoryBound: 0
; FloatMode: 240
; IeeeMode: 1
; LDSByteSize: 0 bytes/workgroup (compile time only)
; SGPRBlocks: 0
; VGPRBlocks: 0
; NumSGPRsForWavesPerEU: 1
; NumVGPRsForWavesPerEU: 1
; Occupancy: 16
; WaveLimiterHint : 0
; COMPUTE_PGM_RSRC2:SCRATCH_EN: 0
; COMPUTE_PGM_RSRC2:USER_SGPR: 6
; COMPUTE_PGM_RSRC2:TRAP_HANDLER: 0
; COMPUTE_PGM_RSRC2:TGID_X_EN: 1
; COMPUTE_PGM_RSRC2:TGID_Y_EN: 0
; COMPUTE_PGM_RSRC2:TGID_Z_EN: 0
; COMPUTE_PGM_RSRC2:TIDIG_COMP_CNT: 0
	.section	.text._ZN7rocprim17ROCPRIM_400000_NS6detail17trampoline_kernelINS0_14default_configENS1_27scan_by_key_config_selectorIiyEEZZNS1_16scan_by_key_implILNS1_25lookback_scan_determinismE0ELb1ES3_N6thrust23THRUST_200600_302600_NS6detail15normal_iteratorINS9_10device_ptrIiEEEENSB_INSC_IyEEEESG_yNS9_4plusIvEENS9_8equal_toIvEEyEE10hipError_tPvRmT2_T3_T4_T5_mT6_T7_P12ihipStream_tbENKUlT_T0_E_clISt17integral_constantIbLb1EES10_IbLb0EEEEDaSW_SX_EUlSW_E_NS1_11comp_targetILNS1_3genE9ELNS1_11target_archE1100ELNS1_3gpuE3ELNS1_3repE0EEENS1_30default_config_static_selectorELNS0_4arch9wavefront6targetE0EEEvT1_,"axG",@progbits,_ZN7rocprim17ROCPRIM_400000_NS6detail17trampoline_kernelINS0_14default_configENS1_27scan_by_key_config_selectorIiyEEZZNS1_16scan_by_key_implILNS1_25lookback_scan_determinismE0ELb1ES3_N6thrust23THRUST_200600_302600_NS6detail15normal_iteratorINS9_10device_ptrIiEEEENSB_INSC_IyEEEESG_yNS9_4plusIvEENS9_8equal_toIvEEyEE10hipError_tPvRmT2_T3_T4_T5_mT6_T7_P12ihipStream_tbENKUlT_T0_E_clISt17integral_constantIbLb1EES10_IbLb0EEEEDaSW_SX_EUlSW_E_NS1_11comp_targetILNS1_3genE9ELNS1_11target_archE1100ELNS1_3gpuE3ELNS1_3repE0EEENS1_30default_config_static_selectorELNS0_4arch9wavefront6targetE0EEEvT1_,comdat
	.protected	_ZN7rocprim17ROCPRIM_400000_NS6detail17trampoline_kernelINS0_14default_configENS1_27scan_by_key_config_selectorIiyEEZZNS1_16scan_by_key_implILNS1_25lookback_scan_determinismE0ELb1ES3_N6thrust23THRUST_200600_302600_NS6detail15normal_iteratorINS9_10device_ptrIiEEEENSB_INSC_IyEEEESG_yNS9_4plusIvEENS9_8equal_toIvEEyEE10hipError_tPvRmT2_T3_T4_T5_mT6_T7_P12ihipStream_tbENKUlT_T0_E_clISt17integral_constantIbLb1EES10_IbLb0EEEEDaSW_SX_EUlSW_E_NS1_11comp_targetILNS1_3genE9ELNS1_11target_archE1100ELNS1_3gpuE3ELNS1_3repE0EEENS1_30default_config_static_selectorELNS0_4arch9wavefront6targetE0EEEvT1_ ; -- Begin function _ZN7rocprim17ROCPRIM_400000_NS6detail17trampoline_kernelINS0_14default_configENS1_27scan_by_key_config_selectorIiyEEZZNS1_16scan_by_key_implILNS1_25lookback_scan_determinismE0ELb1ES3_N6thrust23THRUST_200600_302600_NS6detail15normal_iteratorINS9_10device_ptrIiEEEENSB_INSC_IyEEEESG_yNS9_4plusIvEENS9_8equal_toIvEEyEE10hipError_tPvRmT2_T3_T4_T5_mT6_T7_P12ihipStream_tbENKUlT_T0_E_clISt17integral_constantIbLb1EES10_IbLb0EEEEDaSW_SX_EUlSW_E_NS1_11comp_targetILNS1_3genE9ELNS1_11target_archE1100ELNS1_3gpuE3ELNS1_3repE0EEENS1_30default_config_static_selectorELNS0_4arch9wavefront6targetE0EEEvT1_
	.globl	_ZN7rocprim17ROCPRIM_400000_NS6detail17trampoline_kernelINS0_14default_configENS1_27scan_by_key_config_selectorIiyEEZZNS1_16scan_by_key_implILNS1_25lookback_scan_determinismE0ELb1ES3_N6thrust23THRUST_200600_302600_NS6detail15normal_iteratorINS9_10device_ptrIiEEEENSB_INSC_IyEEEESG_yNS9_4plusIvEENS9_8equal_toIvEEyEE10hipError_tPvRmT2_T3_T4_T5_mT6_T7_P12ihipStream_tbENKUlT_T0_E_clISt17integral_constantIbLb1EES10_IbLb0EEEEDaSW_SX_EUlSW_E_NS1_11comp_targetILNS1_3genE9ELNS1_11target_archE1100ELNS1_3gpuE3ELNS1_3repE0EEENS1_30default_config_static_selectorELNS0_4arch9wavefront6targetE0EEEvT1_
	.p2align	8
	.type	_ZN7rocprim17ROCPRIM_400000_NS6detail17trampoline_kernelINS0_14default_configENS1_27scan_by_key_config_selectorIiyEEZZNS1_16scan_by_key_implILNS1_25lookback_scan_determinismE0ELb1ES3_N6thrust23THRUST_200600_302600_NS6detail15normal_iteratorINS9_10device_ptrIiEEEENSB_INSC_IyEEEESG_yNS9_4plusIvEENS9_8equal_toIvEEyEE10hipError_tPvRmT2_T3_T4_T5_mT6_T7_P12ihipStream_tbENKUlT_T0_E_clISt17integral_constantIbLb1EES10_IbLb0EEEEDaSW_SX_EUlSW_E_NS1_11comp_targetILNS1_3genE9ELNS1_11target_archE1100ELNS1_3gpuE3ELNS1_3repE0EEENS1_30default_config_static_selectorELNS0_4arch9wavefront6targetE0EEEvT1_,@function
_ZN7rocprim17ROCPRIM_400000_NS6detail17trampoline_kernelINS0_14default_configENS1_27scan_by_key_config_selectorIiyEEZZNS1_16scan_by_key_implILNS1_25lookback_scan_determinismE0ELb1ES3_N6thrust23THRUST_200600_302600_NS6detail15normal_iteratorINS9_10device_ptrIiEEEENSB_INSC_IyEEEESG_yNS9_4plusIvEENS9_8equal_toIvEEyEE10hipError_tPvRmT2_T3_T4_T5_mT6_T7_P12ihipStream_tbENKUlT_T0_E_clISt17integral_constantIbLb1EES10_IbLb0EEEEDaSW_SX_EUlSW_E_NS1_11comp_targetILNS1_3genE9ELNS1_11target_archE1100ELNS1_3gpuE3ELNS1_3repE0EEENS1_30default_config_static_selectorELNS0_4arch9wavefront6targetE0EEEvT1_: ; @_ZN7rocprim17ROCPRIM_400000_NS6detail17trampoline_kernelINS0_14default_configENS1_27scan_by_key_config_selectorIiyEEZZNS1_16scan_by_key_implILNS1_25lookback_scan_determinismE0ELb1ES3_N6thrust23THRUST_200600_302600_NS6detail15normal_iteratorINS9_10device_ptrIiEEEENSB_INSC_IyEEEESG_yNS9_4plusIvEENS9_8equal_toIvEEyEE10hipError_tPvRmT2_T3_T4_T5_mT6_T7_P12ihipStream_tbENKUlT_T0_E_clISt17integral_constantIbLb1EES10_IbLb0EEEEDaSW_SX_EUlSW_E_NS1_11comp_targetILNS1_3genE9ELNS1_11target_archE1100ELNS1_3gpuE3ELNS1_3repE0EEENS1_30default_config_static_selectorELNS0_4arch9wavefront6targetE0EEEvT1_
; %bb.0:
	.section	.rodata,"a",@progbits
	.p2align	6, 0x0
	.amdhsa_kernel _ZN7rocprim17ROCPRIM_400000_NS6detail17trampoline_kernelINS0_14default_configENS1_27scan_by_key_config_selectorIiyEEZZNS1_16scan_by_key_implILNS1_25lookback_scan_determinismE0ELb1ES3_N6thrust23THRUST_200600_302600_NS6detail15normal_iteratorINS9_10device_ptrIiEEEENSB_INSC_IyEEEESG_yNS9_4plusIvEENS9_8equal_toIvEEyEE10hipError_tPvRmT2_T3_T4_T5_mT6_T7_P12ihipStream_tbENKUlT_T0_E_clISt17integral_constantIbLb1EES10_IbLb0EEEEDaSW_SX_EUlSW_E_NS1_11comp_targetILNS1_3genE9ELNS1_11target_archE1100ELNS1_3gpuE3ELNS1_3repE0EEENS1_30default_config_static_selectorELNS0_4arch9wavefront6targetE0EEEvT1_
		.amdhsa_group_segment_fixed_size 0
		.amdhsa_private_segment_fixed_size 0
		.amdhsa_kernarg_size 136
		.amdhsa_user_sgpr_count 6
		.amdhsa_user_sgpr_private_segment_buffer 1
		.amdhsa_user_sgpr_dispatch_ptr 0
		.amdhsa_user_sgpr_queue_ptr 0
		.amdhsa_user_sgpr_kernarg_segment_ptr 1
		.amdhsa_user_sgpr_dispatch_id 0
		.amdhsa_user_sgpr_flat_scratch_init 0
		.amdhsa_user_sgpr_private_segment_size 0
		.amdhsa_wavefront_size32 1
		.amdhsa_uses_dynamic_stack 0
		.amdhsa_system_sgpr_private_segment_wavefront_offset 0
		.amdhsa_system_sgpr_workgroup_id_x 1
		.amdhsa_system_sgpr_workgroup_id_y 0
		.amdhsa_system_sgpr_workgroup_id_z 0
		.amdhsa_system_sgpr_workgroup_info 0
		.amdhsa_system_vgpr_workitem_id 0
		.amdhsa_next_free_vgpr 1
		.amdhsa_next_free_sgpr 1
		.amdhsa_reserve_vcc 0
		.amdhsa_reserve_flat_scratch 0
		.amdhsa_float_round_mode_32 0
		.amdhsa_float_round_mode_16_64 0
		.amdhsa_float_denorm_mode_32 3
		.amdhsa_float_denorm_mode_16_64 3
		.amdhsa_dx10_clamp 1
		.amdhsa_ieee_mode 1
		.amdhsa_fp16_overflow 0
		.amdhsa_workgroup_processor_mode 1
		.amdhsa_memory_ordered 1
		.amdhsa_forward_progress 1
		.amdhsa_shared_vgpr_count 0
		.amdhsa_exception_fp_ieee_invalid_op 0
		.amdhsa_exception_fp_denorm_src 0
		.amdhsa_exception_fp_ieee_div_zero 0
		.amdhsa_exception_fp_ieee_overflow 0
		.amdhsa_exception_fp_ieee_underflow 0
		.amdhsa_exception_fp_ieee_inexact 0
		.amdhsa_exception_int_div_zero 0
	.end_amdhsa_kernel
	.section	.text._ZN7rocprim17ROCPRIM_400000_NS6detail17trampoline_kernelINS0_14default_configENS1_27scan_by_key_config_selectorIiyEEZZNS1_16scan_by_key_implILNS1_25lookback_scan_determinismE0ELb1ES3_N6thrust23THRUST_200600_302600_NS6detail15normal_iteratorINS9_10device_ptrIiEEEENSB_INSC_IyEEEESG_yNS9_4plusIvEENS9_8equal_toIvEEyEE10hipError_tPvRmT2_T3_T4_T5_mT6_T7_P12ihipStream_tbENKUlT_T0_E_clISt17integral_constantIbLb1EES10_IbLb0EEEEDaSW_SX_EUlSW_E_NS1_11comp_targetILNS1_3genE9ELNS1_11target_archE1100ELNS1_3gpuE3ELNS1_3repE0EEENS1_30default_config_static_selectorELNS0_4arch9wavefront6targetE0EEEvT1_,"axG",@progbits,_ZN7rocprim17ROCPRIM_400000_NS6detail17trampoline_kernelINS0_14default_configENS1_27scan_by_key_config_selectorIiyEEZZNS1_16scan_by_key_implILNS1_25lookback_scan_determinismE0ELb1ES3_N6thrust23THRUST_200600_302600_NS6detail15normal_iteratorINS9_10device_ptrIiEEEENSB_INSC_IyEEEESG_yNS9_4plusIvEENS9_8equal_toIvEEyEE10hipError_tPvRmT2_T3_T4_T5_mT6_T7_P12ihipStream_tbENKUlT_T0_E_clISt17integral_constantIbLb1EES10_IbLb0EEEEDaSW_SX_EUlSW_E_NS1_11comp_targetILNS1_3genE9ELNS1_11target_archE1100ELNS1_3gpuE3ELNS1_3repE0EEENS1_30default_config_static_selectorELNS0_4arch9wavefront6targetE0EEEvT1_,comdat
.Lfunc_end1488:
	.size	_ZN7rocprim17ROCPRIM_400000_NS6detail17trampoline_kernelINS0_14default_configENS1_27scan_by_key_config_selectorIiyEEZZNS1_16scan_by_key_implILNS1_25lookback_scan_determinismE0ELb1ES3_N6thrust23THRUST_200600_302600_NS6detail15normal_iteratorINS9_10device_ptrIiEEEENSB_INSC_IyEEEESG_yNS9_4plusIvEENS9_8equal_toIvEEyEE10hipError_tPvRmT2_T3_T4_T5_mT6_T7_P12ihipStream_tbENKUlT_T0_E_clISt17integral_constantIbLb1EES10_IbLb0EEEEDaSW_SX_EUlSW_E_NS1_11comp_targetILNS1_3genE9ELNS1_11target_archE1100ELNS1_3gpuE3ELNS1_3repE0EEENS1_30default_config_static_selectorELNS0_4arch9wavefront6targetE0EEEvT1_, .Lfunc_end1488-_ZN7rocprim17ROCPRIM_400000_NS6detail17trampoline_kernelINS0_14default_configENS1_27scan_by_key_config_selectorIiyEEZZNS1_16scan_by_key_implILNS1_25lookback_scan_determinismE0ELb1ES3_N6thrust23THRUST_200600_302600_NS6detail15normal_iteratorINS9_10device_ptrIiEEEENSB_INSC_IyEEEESG_yNS9_4plusIvEENS9_8equal_toIvEEyEE10hipError_tPvRmT2_T3_T4_T5_mT6_T7_P12ihipStream_tbENKUlT_T0_E_clISt17integral_constantIbLb1EES10_IbLb0EEEEDaSW_SX_EUlSW_E_NS1_11comp_targetILNS1_3genE9ELNS1_11target_archE1100ELNS1_3gpuE3ELNS1_3repE0EEENS1_30default_config_static_selectorELNS0_4arch9wavefront6targetE0EEEvT1_
                                        ; -- End function
	.set _ZN7rocprim17ROCPRIM_400000_NS6detail17trampoline_kernelINS0_14default_configENS1_27scan_by_key_config_selectorIiyEEZZNS1_16scan_by_key_implILNS1_25lookback_scan_determinismE0ELb1ES3_N6thrust23THRUST_200600_302600_NS6detail15normal_iteratorINS9_10device_ptrIiEEEENSB_INSC_IyEEEESG_yNS9_4plusIvEENS9_8equal_toIvEEyEE10hipError_tPvRmT2_T3_T4_T5_mT6_T7_P12ihipStream_tbENKUlT_T0_E_clISt17integral_constantIbLb1EES10_IbLb0EEEEDaSW_SX_EUlSW_E_NS1_11comp_targetILNS1_3genE9ELNS1_11target_archE1100ELNS1_3gpuE3ELNS1_3repE0EEENS1_30default_config_static_selectorELNS0_4arch9wavefront6targetE0EEEvT1_.num_vgpr, 0
	.set _ZN7rocprim17ROCPRIM_400000_NS6detail17trampoline_kernelINS0_14default_configENS1_27scan_by_key_config_selectorIiyEEZZNS1_16scan_by_key_implILNS1_25lookback_scan_determinismE0ELb1ES3_N6thrust23THRUST_200600_302600_NS6detail15normal_iteratorINS9_10device_ptrIiEEEENSB_INSC_IyEEEESG_yNS9_4plusIvEENS9_8equal_toIvEEyEE10hipError_tPvRmT2_T3_T4_T5_mT6_T7_P12ihipStream_tbENKUlT_T0_E_clISt17integral_constantIbLb1EES10_IbLb0EEEEDaSW_SX_EUlSW_E_NS1_11comp_targetILNS1_3genE9ELNS1_11target_archE1100ELNS1_3gpuE3ELNS1_3repE0EEENS1_30default_config_static_selectorELNS0_4arch9wavefront6targetE0EEEvT1_.num_agpr, 0
	.set _ZN7rocprim17ROCPRIM_400000_NS6detail17trampoline_kernelINS0_14default_configENS1_27scan_by_key_config_selectorIiyEEZZNS1_16scan_by_key_implILNS1_25lookback_scan_determinismE0ELb1ES3_N6thrust23THRUST_200600_302600_NS6detail15normal_iteratorINS9_10device_ptrIiEEEENSB_INSC_IyEEEESG_yNS9_4plusIvEENS9_8equal_toIvEEyEE10hipError_tPvRmT2_T3_T4_T5_mT6_T7_P12ihipStream_tbENKUlT_T0_E_clISt17integral_constantIbLb1EES10_IbLb0EEEEDaSW_SX_EUlSW_E_NS1_11comp_targetILNS1_3genE9ELNS1_11target_archE1100ELNS1_3gpuE3ELNS1_3repE0EEENS1_30default_config_static_selectorELNS0_4arch9wavefront6targetE0EEEvT1_.numbered_sgpr, 0
	.set _ZN7rocprim17ROCPRIM_400000_NS6detail17trampoline_kernelINS0_14default_configENS1_27scan_by_key_config_selectorIiyEEZZNS1_16scan_by_key_implILNS1_25lookback_scan_determinismE0ELb1ES3_N6thrust23THRUST_200600_302600_NS6detail15normal_iteratorINS9_10device_ptrIiEEEENSB_INSC_IyEEEESG_yNS9_4plusIvEENS9_8equal_toIvEEyEE10hipError_tPvRmT2_T3_T4_T5_mT6_T7_P12ihipStream_tbENKUlT_T0_E_clISt17integral_constantIbLb1EES10_IbLb0EEEEDaSW_SX_EUlSW_E_NS1_11comp_targetILNS1_3genE9ELNS1_11target_archE1100ELNS1_3gpuE3ELNS1_3repE0EEENS1_30default_config_static_selectorELNS0_4arch9wavefront6targetE0EEEvT1_.num_named_barrier, 0
	.set _ZN7rocprim17ROCPRIM_400000_NS6detail17trampoline_kernelINS0_14default_configENS1_27scan_by_key_config_selectorIiyEEZZNS1_16scan_by_key_implILNS1_25lookback_scan_determinismE0ELb1ES3_N6thrust23THRUST_200600_302600_NS6detail15normal_iteratorINS9_10device_ptrIiEEEENSB_INSC_IyEEEESG_yNS9_4plusIvEENS9_8equal_toIvEEyEE10hipError_tPvRmT2_T3_T4_T5_mT6_T7_P12ihipStream_tbENKUlT_T0_E_clISt17integral_constantIbLb1EES10_IbLb0EEEEDaSW_SX_EUlSW_E_NS1_11comp_targetILNS1_3genE9ELNS1_11target_archE1100ELNS1_3gpuE3ELNS1_3repE0EEENS1_30default_config_static_selectorELNS0_4arch9wavefront6targetE0EEEvT1_.private_seg_size, 0
	.set _ZN7rocprim17ROCPRIM_400000_NS6detail17trampoline_kernelINS0_14default_configENS1_27scan_by_key_config_selectorIiyEEZZNS1_16scan_by_key_implILNS1_25lookback_scan_determinismE0ELb1ES3_N6thrust23THRUST_200600_302600_NS6detail15normal_iteratorINS9_10device_ptrIiEEEENSB_INSC_IyEEEESG_yNS9_4plusIvEENS9_8equal_toIvEEyEE10hipError_tPvRmT2_T3_T4_T5_mT6_T7_P12ihipStream_tbENKUlT_T0_E_clISt17integral_constantIbLb1EES10_IbLb0EEEEDaSW_SX_EUlSW_E_NS1_11comp_targetILNS1_3genE9ELNS1_11target_archE1100ELNS1_3gpuE3ELNS1_3repE0EEENS1_30default_config_static_selectorELNS0_4arch9wavefront6targetE0EEEvT1_.uses_vcc, 0
	.set _ZN7rocprim17ROCPRIM_400000_NS6detail17trampoline_kernelINS0_14default_configENS1_27scan_by_key_config_selectorIiyEEZZNS1_16scan_by_key_implILNS1_25lookback_scan_determinismE0ELb1ES3_N6thrust23THRUST_200600_302600_NS6detail15normal_iteratorINS9_10device_ptrIiEEEENSB_INSC_IyEEEESG_yNS9_4plusIvEENS9_8equal_toIvEEyEE10hipError_tPvRmT2_T3_T4_T5_mT6_T7_P12ihipStream_tbENKUlT_T0_E_clISt17integral_constantIbLb1EES10_IbLb0EEEEDaSW_SX_EUlSW_E_NS1_11comp_targetILNS1_3genE9ELNS1_11target_archE1100ELNS1_3gpuE3ELNS1_3repE0EEENS1_30default_config_static_selectorELNS0_4arch9wavefront6targetE0EEEvT1_.uses_flat_scratch, 0
	.set _ZN7rocprim17ROCPRIM_400000_NS6detail17trampoline_kernelINS0_14default_configENS1_27scan_by_key_config_selectorIiyEEZZNS1_16scan_by_key_implILNS1_25lookback_scan_determinismE0ELb1ES3_N6thrust23THRUST_200600_302600_NS6detail15normal_iteratorINS9_10device_ptrIiEEEENSB_INSC_IyEEEESG_yNS9_4plusIvEENS9_8equal_toIvEEyEE10hipError_tPvRmT2_T3_T4_T5_mT6_T7_P12ihipStream_tbENKUlT_T0_E_clISt17integral_constantIbLb1EES10_IbLb0EEEEDaSW_SX_EUlSW_E_NS1_11comp_targetILNS1_3genE9ELNS1_11target_archE1100ELNS1_3gpuE3ELNS1_3repE0EEENS1_30default_config_static_selectorELNS0_4arch9wavefront6targetE0EEEvT1_.has_dyn_sized_stack, 0
	.set _ZN7rocprim17ROCPRIM_400000_NS6detail17trampoline_kernelINS0_14default_configENS1_27scan_by_key_config_selectorIiyEEZZNS1_16scan_by_key_implILNS1_25lookback_scan_determinismE0ELb1ES3_N6thrust23THRUST_200600_302600_NS6detail15normal_iteratorINS9_10device_ptrIiEEEENSB_INSC_IyEEEESG_yNS9_4plusIvEENS9_8equal_toIvEEyEE10hipError_tPvRmT2_T3_T4_T5_mT6_T7_P12ihipStream_tbENKUlT_T0_E_clISt17integral_constantIbLb1EES10_IbLb0EEEEDaSW_SX_EUlSW_E_NS1_11comp_targetILNS1_3genE9ELNS1_11target_archE1100ELNS1_3gpuE3ELNS1_3repE0EEENS1_30default_config_static_selectorELNS0_4arch9wavefront6targetE0EEEvT1_.has_recursion, 0
	.set _ZN7rocprim17ROCPRIM_400000_NS6detail17trampoline_kernelINS0_14default_configENS1_27scan_by_key_config_selectorIiyEEZZNS1_16scan_by_key_implILNS1_25lookback_scan_determinismE0ELb1ES3_N6thrust23THRUST_200600_302600_NS6detail15normal_iteratorINS9_10device_ptrIiEEEENSB_INSC_IyEEEESG_yNS9_4plusIvEENS9_8equal_toIvEEyEE10hipError_tPvRmT2_T3_T4_T5_mT6_T7_P12ihipStream_tbENKUlT_T0_E_clISt17integral_constantIbLb1EES10_IbLb0EEEEDaSW_SX_EUlSW_E_NS1_11comp_targetILNS1_3genE9ELNS1_11target_archE1100ELNS1_3gpuE3ELNS1_3repE0EEENS1_30default_config_static_selectorELNS0_4arch9wavefront6targetE0EEEvT1_.has_indirect_call, 0
	.section	.AMDGPU.csdata,"",@progbits
; Kernel info:
; codeLenInByte = 0
; TotalNumSgprs: 0
; NumVgprs: 0
; ScratchSize: 0
; MemoryBound: 0
; FloatMode: 240
; IeeeMode: 1
; LDSByteSize: 0 bytes/workgroup (compile time only)
; SGPRBlocks: 0
; VGPRBlocks: 0
; NumSGPRsForWavesPerEU: 1
; NumVGPRsForWavesPerEU: 1
; Occupancy: 16
; WaveLimiterHint : 0
; COMPUTE_PGM_RSRC2:SCRATCH_EN: 0
; COMPUTE_PGM_RSRC2:USER_SGPR: 6
; COMPUTE_PGM_RSRC2:TRAP_HANDLER: 0
; COMPUTE_PGM_RSRC2:TGID_X_EN: 1
; COMPUTE_PGM_RSRC2:TGID_Y_EN: 0
; COMPUTE_PGM_RSRC2:TGID_Z_EN: 0
; COMPUTE_PGM_RSRC2:TIDIG_COMP_CNT: 0
	.section	.text._ZN7rocprim17ROCPRIM_400000_NS6detail17trampoline_kernelINS0_14default_configENS1_27scan_by_key_config_selectorIiyEEZZNS1_16scan_by_key_implILNS1_25lookback_scan_determinismE0ELb1ES3_N6thrust23THRUST_200600_302600_NS6detail15normal_iteratorINS9_10device_ptrIiEEEENSB_INSC_IyEEEESG_yNS9_4plusIvEENS9_8equal_toIvEEyEE10hipError_tPvRmT2_T3_T4_T5_mT6_T7_P12ihipStream_tbENKUlT_T0_E_clISt17integral_constantIbLb1EES10_IbLb0EEEEDaSW_SX_EUlSW_E_NS1_11comp_targetILNS1_3genE8ELNS1_11target_archE1030ELNS1_3gpuE2ELNS1_3repE0EEENS1_30default_config_static_selectorELNS0_4arch9wavefront6targetE0EEEvT1_,"axG",@progbits,_ZN7rocprim17ROCPRIM_400000_NS6detail17trampoline_kernelINS0_14default_configENS1_27scan_by_key_config_selectorIiyEEZZNS1_16scan_by_key_implILNS1_25lookback_scan_determinismE0ELb1ES3_N6thrust23THRUST_200600_302600_NS6detail15normal_iteratorINS9_10device_ptrIiEEEENSB_INSC_IyEEEESG_yNS9_4plusIvEENS9_8equal_toIvEEyEE10hipError_tPvRmT2_T3_T4_T5_mT6_T7_P12ihipStream_tbENKUlT_T0_E_clISt17integral_constantIbLb1EES10_IbLb0EEEEDaSW_SX_EUlSW_E_NS1_11comp_targetILNS1_3genE8ELNS1_11target_archE1030ELNS1_3gpuE2ELNS1_3repE0EEENS1_30default_config_static_selectorELNS0_4arch9wavefront6targetE0EEEvT1_,comdat
	.protected	_ZN7rocprim17ROCPRIM_400000_NS6detail17trampoline_kernelINS0_14default_configENS1_27scan_by_key_config_selectorIiyEEZZNS1_16scan_by_key_implILNS1_25lookback_scan_determinismE0ELb1ES3_N6thrust23THRUST_200600_302600_NS6detail15normal_iteratorINS9_10device_ptrIiEEEENSB_INSC_IyEEEESG_yNS9_4plusIvEENS9_8equal_toIvEEyEE10hipError_tPvRmT2_T3_T4_T5_mT6_T7_P12ihipStream_tbENKUlT_T0_E_clISt17integral_constantIbLb1EES10_IbLb0EEEEDaSW_SX_EUlSW_E_NS1_11comp_targetILNS1_3genE8ELNS1_11target_archE1030ELNS1_3gpuE2ELNS1_3repE0EEENS1_30default_config_static_selectorELNS0_4arch9wavefront6targetE0EEEvT1_ ; -- Begin function _ZN7rocprim17ROCPRIM_400000_NS6detail17trampoline_kernelINS0_14default_configENS1_27scan_by_key_config_selectorIiyEEZZNS1_16scan_by_key_implILNS1_25lookback_scan_determinismE0ELb1ES3_N6thrust23THRUST_200600_302600_NS6detail15normal_iteratorINS9_10device_ptrIiEEEENSB_INSC_IyEEEESG_yNS9_4plusIvEENS9_8equal_toIvEEyEE10hipError_tPvRmT2_T3_T4_T5_mT6_T7_P12ihipStream_tbENKUlT_T0_E_clISt17integral_constantIbLb1EES10_IbLb0EEEEDaSW_SX_EUlSW_E_NS1_11comp_targetILNS1_3genE8ELNS1_11target_archE1030ELNS1_3gpuE2ELNS1_3repE0EEENS1_30default_config_static_selectorELNS0_4arch9wavefront6targetE0EEEvT1_
	.globl	_ZN7rocprim17ROCPRIM_400000_NS6detail17trampoline_kernelINS0_14default_configENS1_27scan_by_key_config_selectorIiyEEZZNS1_16scan_by_key_implILNS1_25lookback_scan_determinismE0ELb1ES3_N6thrust23THRUST_200600_302600_NS6detail15normal_iteratorINS9_10device_ptrIiEEEENSB_INSC_IyEEEESG_yNS9_4plusIvEENS9_8equal_toIvEEyEE10hipError_tPvRmT2_T3_T4_T5_mT6_T7_P12ihipStream_tbENKUlT_T0_E_clISt17integral_constantIbLb1EES10_IbLb0EEEEDaSW_SX_EUlSW_E_NS1_11comp_targetILNS1_3genE8ELNS1_11target_archE1030ELNS1_3gpuE2ELNS1_3repE0EEENS1_30default_config_static_selectorELNS0_4arch9wavefront6targetE0EEEvT1_
	.p2align	8
	.type	_ZN7rocprim17ROCPRIM_400000_NS6detail17trampoline_kernelINS0_14default_configENS1_27scan_by_key_config_selectorIiyEEZZNS1_16scan_by_key_implILNS1_25lookback_scan_determinismE0ELb1ES3_N6thrust23THRUST_200600_302600_NS6detail15normal_iteratorINS9_10device_ptrIiEEEENSB_INSC_IyEEEESG_yNS9_4plusIvEENS9_8equal_toIvEEyEE10hipError_tPvRmT2_T3_T4_T5_mT6_T7_P12ihipStream_tbENKUlT_T0_E_clISt17integral_constantIbLb1EES10_IbLb0EEEEDaSW_SX_EUlSW_E_NS1_11comp_targetILNS1_3genE8ELNS1_11target_archE1030ELNS1_3gpuE2ELNS1_3repE0EEENS1_30default_config_static_selectorELNS0_4arch9wavefront6targetE0EEEvT1_,@function
_ZN7rocprim17ROCPRIM_400000_NS6detail17trampoline_kernelINS0_14default_configENS1_27scan_by_key_config_selectorIiyEEZZNS1_16scan_by_key_implILNS1_25lookback_scan_determinismE0ELb1ES3_N6thrust23THRUST_200600_302600_NS6detail15normal_iteratorINS9_10device_ptrIiEEEENSB_INSC_IyEEEESG_yNS9_4plusIvEENS9_8equal_toIvEEyEE10hipError_tPvRmT2_T3_T4_T5_mT6_T7_P12ihipStream_tbENKUlT_T0_E_clISt17integral_constantIbLb1EES10_IbLb0EEEEDaSW_SX_EUlSW_E_NS1_11comp_targetILNS1_3genE8ELNS1_11target_archE1030ELNS1_3gpuE2ELNS1_3repE0EEENS1_30default_config_static_selectorELNS0_4arch9wavefront6targetE0EEEvT1_: ; @_ZN7rocprim17ROCPRIM_400000_NS6detail17trampoline_kernelINS0_14default_configENS1_27scan_by_key_config_selectorIiyEEZZNS1_16scan_by_key_implILNS1_25lookback_scan_determinismE0ELb1ES3_N6thrust23THRUST_200600_302600_NS6detail15normal_iteratorINS9_10device_ptrIiEEEENSB_INSC_IyEEEESG_yNS9_4plusIvEENS9_8equal_toIvEEyEE10hipError_tPvRmT2_T3_T4_T5_mT6_T7_P12ihipStream_tbENKUlT_T0_E_clISt17integral_constantIbLb1EES10_IbLb0EEEEDaSW_SX_EUlSW_E_NS1_11comp_targetILNS1_3genE8ELNS1_11target_archE1030ELNS1_3gpuE2ELNS1_3repE0EEENS1_30default_config_static_selectorELNS0_4arch9wavefront6targetE0EEEvT1_
; %bb.0:
	s_endpgm
	.section	.rodata,"a",@progbits
	.p2align	6, 0x0
	.amdhsa_kernel _ZN7rocprim17ROCPRIM_400000_NS6detail17trampoline_kernelINS0_14default_configENS1_27scan_by_key_config_selectorIiyEEZZNS1_16scan_by_key_implILNS1_25lookback_scan_determinismE0ELb1ES3_N6thrust23THRUST_200600_302600_NS6detail15normal_iteratorINS9_10device_ptrIiEEEENSB_INSC_IyEEEESG_yNS9_4plusIvEENS9_8equal_toIvEEyEE10hipError_tPvRmT2_T3_T4_T5_mT6_T7_P12ihipStream_tbENKUlT_T0_E_clISt17integral_constantIbLb1EES10_IbLb0EEEEDaSW_SX_EUlSW_E_NS1_11comp_targetILNS1_3genE8ELNS1_11target_archE1030ELNS1_3gpuE2ELNS1_3repE0EEENS1_30default_config_static_selectorELNS0_4arch9wavefront6targetE0EEEvT1_
		.amdhsa_group_segment_fixed_size 0
		.amdhsa_private_segment_fixed_size 0
		.amdhsa_kernarg_size 136
		.amdhsa_user_sgpr_count 6
		.amdhsa_user_sgpr_private_segment_buffer 1
		.amdhsa_user_sgpr_dispatch_ptr 0
		.amdhsa_user_sgpr_queue_ptr 0
		.amdhsa_user_sgpr_kernarg_segment_ptr 1
		.amdhsa_user_sgpr_dispatch_id 0
		.amdhsa_user_sgpr_flat_scratch_init 0
		.amdhsa_user_sgpr_private_segment_size 0
		.amdhsa_wavefront_size32 1
		.amdhsa_uses_dynamic_stack 0
		.amdhsa_system_sgpr_private_segment_wavefront_offset 0
		.amdhsa_system_sgpr_workgroup_id_x 1
		.amdhsa_system_sgpr_workgroup_id_y 0
		.amdhsa_system_sgpr_workgroup_id_z 0
		.amdhsa_system_sgpr_workgroup_info 0
		.amdhsa_system_vgpr_workitem_id 0
		.amdhsa_next_free_vgpr 1
		.amdhsa_next_free_sgpr 1
		.amdhsa_reserve_vcc 0
		.amdhsa_reserve_flat_scratch 0
		.amdhsa_float_round_mode_32 0
		.amdhsa_float_round_mode_16_64 0
		.amdhsa_float_denorm_mode_32 3
		.amdhsa_float_denorm_mode_16_64 3
		.amdhsa_dx10_clamp 1
		.amdhsa_ieee_mode 1
		.amdhsa_fp16_overflow 0
		.amdhsa_workgroup_processor_mode 1
		.amdhsa_memory_ordered 1
		.amdhsa_forward_progress 1
		.amdhsa_shared_vgpr_count 0
		.amdhsa_exception_fp_ieee_invalid_op 0
		.amdhsa_exception_fp_denorm_src 0
		.amdhsa_exception_fp_ieee_div_zero 0
		.amdhsa_exception_fp_ieee_overflow 0
		.amdhsa_exception_fp_ieee_underflow 0
		.amdhsa_exception_fp_ieee_inexact 0
		.amdhsa_exception_int_div_zero 0
	.end_amdhsa_kernel
	.section	.text._ZN7rocprim17ROCPRIM_400000_NS6detail17trampoline_kernelINS0_14default_configENS1_27scan_by_key_config_selectorIiyEEZZNS1_16scan_by_key_implILNS1_25lookback_scan_determinismE0ELb1ES3_N6thrust23THRUST_200600_302600_NS6detail15normal_iteratorINS9_10device_ptrIiEEEENSB_INSC_IyEEEESG_yNS9_4plusIvEENS9_8equal_toIvEEyEE10hipError_tPvRmT2_T3_T4_T5_mT6_T7_P12ihipStream_tbENKUlT_T0_E_clISt17integral_constantIbLb1EES10_IbLb0EEEEDaSW_SX_EUlSW_E_NS1_11comp_targetILNS1_3genE8ELNS1_11target_archE1030ELNS1_3gpuE2ELNS1_3repE0EEENS1_30default_config_static_selectorELNS0_4arch9wavefront6targetE0EEEvT1_,"axG",@progbits,_ZN7rocprim17ROCPRIM_400000_NS6detail17trampoline_kernelINS0_14default_configENS1_27scan_by_key_config_selectorIiyEEZZNS1_16scan_by_key_implILNS1_25lookback_scan_determinismE0ELb1ES3_N6thrust23THRUST_200600_302600_NS6detail15normal_iteratorINS9_10device_ptrIiEEEENSB_INSC_IyEEEESG_yNS9_4plusIvEENS9_8equal_toIvEEyEE10hipError_tPvRmT2_T3_T4_T5_mT6_T7_P12ihipStream_tbENKUlT_T0_E_clISt17integral_constantIbLb1EES10_IbLb0EEEEDaSW_SX_EUlSW_E_NS1_11comp_targetILNS1_3genE8ELNS1_11target_archE1030ELNS1_3gpuE2ELNS1_3repE0EEENS1_30default_config_static_selectorELNS0_4arch9wavefront6targetE0EEEvT1_,comdat
.Lfunc_end1489:
	.size	_ZN7rocprim17ROCPRIM_400000_NS6detail17trampoline_kernelINS0_14default_configENS1_27scan_by_key_config_selectorIiyEEZZNS1_16scan_by_key_implILNS1_25lookback_scan_determinismE0ELb1ES3_N6thrust23THRUST_200600_302600_NS6detail15normal_iteratorINS9_10device_ptrIiEEEENSB_INSC_IyEEEESG_yNS9_4plusIvEENS9_8equal_toIvEEyEE10hipError_tPvRmT2_T3_T4_T5_mT6_T7_P12ihipStream_tbENKUlT_T0_E_clISt17integral_constantIbLb1EES10_IbLb0EEEEDaSW_SX_EUlSW_E_NS1_11comp_targetILNS1_3genE8ELNS1_11target_archE1030ELNS1_3gpuE2ELNS1_3repE0EEENS1_30default_config_static_selectorELNS0_4arch9wavefront6targetE0EEEvT1_, .Lfunc_end1489-_ZN7rocprim17ROCPRIM_400000_NS6detail17trampoline_kernelINS0_14default_configENS1_27scan_by_key_config_selectorIiyEEZZNS1_16scan_by_key_implILNS1_25lookback_scan_determinismE0ELb1ES3_N6thrust23THRUST_200600_302600_NS6detail15normal_iteratorINS9_10device_ptrIiEEEENSB_INSC_IyEEEESG_yNS9_4plusIvEENS9_8equal_toIvEEyEE10hipError_tPvRmT2_T3_T4_T5_mT6_T7_P12ihipStream_tbENKUlT_T0_E_clISt17integral_constantIbLb1EES10_IbLb0EEEEDaSW_SX_EUlSW_E_NS1_11comp_targetILNS1_3genE8ELNS1_11target_archE1030ELNS1_3gpuE2ELNS1_3repE0EEENS1_30default_config_static_selectorELNS0_4arch9wavefront6targetE0EEEvT1_
                                        ; -- End function
	.set _ZN7rocprim17ROCPRIM_400000_NS6detail17trampoline_kernelINS0_14default_configENS1_27scan_by_key_config_selectorIiyEEZZNS1_16scan_by_key_implILNS1_25lookback_scan_determinismE0ELb1ES3_N6thrust23THRUST_200600_302600_NS6detail15normal_iteratorINS9_10device_ptrIiEEEENSB_INSC_IyEEEESG_yNS9_4plusIvEENS9_8equal_toIvEEyEE10hipError_tPvRmT2_T3_T4_T5_mT6_T7_P12ihipStream_tbENKUlT_T0_E_clISt17integral_constantIbLb1EES10_IbLb0EEEEDaSW_SX_EUlSW_E_NS1_11comp_targetILNS1_3genE8ELNS1_11target_archE1030ELNS1_3gpuE2ELNS1_3repE0EEENS1_30default_config_static_selectorELNS0_4arch9wavefront6targetE0EEEvT1_.num_vgpr, 0
	.set _ZN7rocprim17ROCPRIM_400000_NS6detail17trampoline_kernelINS0_14default_configENS1_27scan_by_key_config_selectorIiyEEZZNS1_16scan_by_key_implILNS1_25lookback_scan_determinismE0ELb1ES3_N6thrust23THRUST_200600_302600_NS6detail15normal_iteratorINS9_10device_ptrIiEEEENSB_INSC_IyEEEESG_yNS9_4plusIvEENS9_8equal_toIvEEyEE10hipError_tPvRmT2_T3_T4_T5_mT6_T7_P12ihipStream_tbENKUlT_T0_E_clISt17integral_constantIbLb1EES10_IbLb0EEEEDaSW_SX_EUlSW_E_NS1_11comp_targetILNS1_3genE8ELNS1_11target_archE1030ELNS1_3gpuE2ELNS1_3repE0EEENS1_30default_config_static_selectorELNS0_4arch9wavefront6targetE0EEEvT1_.num_agpr, 0
	.set _ZN7rocprim17ROCPRIM_400000_NS6detail17trampoline_kernelINS0_14default_configENS1_27scan_by_key_config_selectorIiyEEZZNS1_16scan_by_key_implILNS1_25lookback_scan_determinismE0ELb1ES3_N6thrust23THRUST_200600_302600_NS6detail15normal_iteratorINS9_10device_ptrIiEEEENSB_INSC_IyEEEESG_yNS9_4plusIvEENS9_8equal_toIvEEyEE10hipError_tPvRmT2_T3_T4_T5_mT6_T7_P12ihipStream_tbENKUlT_T0_E_clISt17integral_constantIbLb1EES10_IbLb0EEEEDaSW_SX_EUlSW_E_NS1_11comp_targetILNS1_3genE8ELNS1_11target_archE1030ELNS1_3gpuE2ELNS1_3repE0EEENS1_30default_config_static_selectorELNS0_4arch9wavefront6targetE0EEEvT1_.numbered_sgpr, 0
	.set _ZN7rocprim17ROCPRIM_400000_NS6detail17trampoline_kernelINS0_14default_configENS1_27scan_by_key_config_selectorIiyEEZZNS1_16scan_by_key_implILNS1_25lookback_scan_determinismE0ELb1ES3_N6thrust23THRUST_200600_302600_NS6detail15normal_iteratorINS9_10device_ptrIiEEEENSB_INSC_IyEEEESG_yNS9_4plusIvEENS9_8equal_toIvEEyEE10hipError_tPvRmT2_T3_T4_T5_mT6_T7_P12ihipStream_tbENKUlT_T0_E_clISt17integral_constantIbLb1EES10_IbLb0EEEEDaSW_SX_EUlSW_E_NS1_11comp_targetILNS1_3genE8ELNS1_11target_archE1030ELNS1_3gpuE2ELNS1_3repE0EEENS1_30default_config_static_selectorELNS0_4arch9wavefront6targetE0EEEvT1_.num_named_barrier, 0
	.set _ZN7rocprim17ROCPRIM_400000_NS6detail17trampoline_kernelINS0_14default_configENS1_27scan_by_key_config_selectorIiyEEZZNS1_16scan_by_key_implILNS1_25lookback_scan_determinismE0ELb1ES3_N6thrust23THRUST_200600_302600_NS6detail15normal_iteratorINS9_10device_ptrIiEEEENSB_INSC_IyEEEESG_yNS9_4plusIvEENS9_8equal_toIvEEyEE10hipError_tPvRmT2_T3_T4_T5_mT6_T7_P12ihipStream_tbENKUlT_T0_E_clISt17integral_constantIbLb1EES10_IbLb0EEEEDaSW_SX_EUlSW_E_NS1_11comp_targetILNS1_3genE8ELNS1_11target_archE1030ELNS1_3gpuE2ELNS1_3repE0EEENS1_30default_config_static_selectorELNS0_4arch9wavefront6targetE0EEEvT1_.private_seg_size, 0
	.set _ZN7rocprim17ROCPRIM_400000_NS6detail17trampoline_kernelINS0_14default_configENS1_27scan_by_key_config_selectorIiyEEZZNS1_16scan_by_key_implILNS1_25lookback_scan_determinismE0ELb1ES3_N6thrust23THRUST_200600_302600_NS6detail15normal_iteratorINS9_10device_ptrIiEEEENSB_INSC_IyEEEESG_yNS9_4plusIvEENS9_8equal_toIvEEyEE10hipError_tPvRmT2_T3_T4_T5_mT6_T7_P12ihipStream_tbENKUlT_T0_E_clISt17integral_constantIbLb1EES10_IbLb0EEEEDaSW_SX_EUlSW_E_NS1_11comp_targetILNS1_3genE8ELNS1_11target_archE1030ELNS1_3gpuE2ELNS1_3repE0EEENS1_30default_config_static_selectorELNS0_4arch9wavefront6targetE0EEEvT1_.uses_vcc, 0
	.set _ZN7rocprim17ROCPRIM_400000_NS6detail17trampoline_kernelINS0_14default_configENS1_27scan_by_key_config_selectorIiyEEZZNS1_16scan_by_key_implILNS1_25lookback_scan_determinismE0ELb1ES3_N6thrust23THRUST_200600_302600_NS6detail15normal_iteratorINS9_10device_ptrIiEEEENSB_INSC_IyEEEESG_yNS9_4plusIvEENS9_8equal_toIvEEyEE10hipError_tPvRmT2_T3_T4_T5_mT6_T7_P12ihipStream_tbENKUlT_T0_E_clISt17integral_constantIbLb1EES10_IbLb0EEEEDaSW_SX_EUlSW_E_NS1_11comp_targetILNS1_3genE8ELNS1_11target_archE1030ELNS1_3gpuE2ELNS1_3repE0EEENS1_30default_config_static_selectorELNS0_4arch9wavefront6targetE0EEEvT1_.uses_flat_scratch, 0
	.set _ZN7rocprim17ROCPRIM_400000_NS6detail17trampoline_kernelINS0_14default_configENS1_27scan_by_key_config_selectorIiyEEZZNS1_16scan_by_key_implILNS1_25lookback_scan_determinismE0ELb1ES3_N6thrust23THRUST_200600_302600_NS6detail15normal_iteratorINS9_10device_ptrIiEEEENSB_INSC_IyEEEESG_yNS9_4plusIvEENS9_8equal_toIvEEyEE10hipError_tPvRmT2_T3_T4_T5_mT6_T7_P12ihipStream_tbENKUlT_T0_E_clISt17integral_constantIbLb1EES10_IbLb0EEEEDaSW_SX_EUlSW_E_NS1_11comp_targetILNS1_3genE8ELNS1_11target_archE1030ELNS1_3gpuE2ELNS1_3repE0EEENS1_30default_config_static_selectorELNS0_4arch9wavefront6targetE0EEEvT1_.has_dyn_sized_stack, 0
	.set _ZN7rocprim17ROCPRIM_400000_NS6detail17trampoline_kernelINS0_14default_configENS1_27scan_by_key_config_selectorIiyEEZZNS1_16scan_by_key_implILNS1_25lookback_scan_determinismE0ELb1ES3_N6thrust23THRUST_200600_302600_NS6detail15normal_iteratorINS9_10device_ptrIiEEEENSB_INSC_IyEEEESG_yNS9_4plusIvEENS9_8equal_toIvEEyEE10hipError_tPvRmT2_T3_T4_T5_mT6_T7_P12ihipStream_tbENKUlT_T0_E_clISt17integral_constantIbLb1EES10_IbLb0EEEEDaSW_SX_EUlSW_E_NS1_11comp_targetILNS1_3genE8ELNS1_11target_archE1030ELNS1_3gpuE2ELNS1_3repE0EEENS1_30default_config_static_selectorELNS0_4arch9wavefront6targetE0EEEvT1_.has_recursion, 0
	.set _ZN7rocprim17ROCPRIM_400000_NS6detail17trampoline_kernelINS0_14default_configENS1_27scan_by_key_config_selectorIiyEEZZNS1_16scan_by_key_implILNS1_25lookback_scan_determinismE0ELb1ES3_N6thrust23THRUST_200600_302600_NS6detail15normal_iteratorINS9_10device_ptrIiEEEENSB_INSC_IyEEEESG_yNS9_4plusIvEENS9_8equal_toIvEEyEE10hipError_tPvRmT2_T3_T4_T5_mT6_T7_P12ihipStream_tbENKUlT_T0_E_clISt17integral_constantIbLb1EES10_IbLb0EEEEDaSW_SX_EUlSW_E_NS1_11comp_targetILNS1_3genE8ELNS1_11target_archE1030ELNS1_3gpuE2ELNS1_3repE0EEENS1_30default_config_static_selectorELNS0_4arch9wavefront6targetE0EEEvT1_.has_indirect_call, 0
	.section	.AMDGPU.csdata,"",@progbits
; Kernel info:
; codeLenInByte = 4
; TotalNumSgprs: 0
; NumVgprs: 0
; ScratchSize: 0
; MemoryBound: 0
; FloatMode: 240
; IeeeMode: 1
; LDSByteSize: 0 bytes/workgroup (compile time only)
; SGPRBlocks: 0
; VGPRBlocks: 0
; NumSGPRsForWavesPerEU: 1
; NumVGPRsForWavesPerEU: 1
; Occupancy: 16
; WaveLimiterHint : 0
; COMPUTE_PGM_RSRC2:SCRATCH_EN: 0
; COMPUTE_PGM_RSRC2:USER_SGPR: 6
; COMPUTE_PGM_RSRC2:TRAP_HANDLER: 0
; COMPUTE_PGM_RSRC2:TGID_X_EN: 1
; COMPUTE_PGM_RSRC2:TGID_Y_EN: 0
; COMPUTE_PGM_RSRC2:TGID_Z_EN: 0
; COMPUTE_PGM_RSRC2:TIDIG_COMP_CNT: 0
	.section	.text._ZN7rocprim17ROCPRIM_400000_NS6detail17trampoline_kernelINS0_14default_configENS1_27scan_by_key_config_selectorIiyEEZZNS1_16scan_by_key_implILNS1_25lookback_scan_determinismE0ELb1ES3_N6thrust23THRUST_200600_302600_NS6detail15normal_iteratorINS9_10device_ptrIiEEEENSB_INSC_IyEEEESG_yNS9_4plusIvEENS9_8equal_toIvEEyEE10hipError_tPvRmT2_T3_T4_T5_mT6_T7_P12ihipStream_tbENKUlT_T0_E_clISt17integral_constantIbLb0EES10_IbLb1EEEEDaSW_SX_EUlSW_E_NS1_11comp_targetILNS1_3genE0ELNS1_11target_archE4294967295ELNS1_3gpuE0ELNS1_3repE0EEENS1_30default_config_static_selectorELNS0_4arch9wavefront6targetE0EEEvT1_,"axG",@progbits,_ZN7rocprim17ROCPRIM_400000_NS6detail17trampoline_kernelINS0_14default_configENS1_27scan_by_key_config_selectorIiyEEZZNS1_16scan_by_key_implILNS1_25lookback_scan_determinismE0ELb1ES3_N6thrust23THRUST_200600_302600_NS6detail15normal_iteratorINS9_10device_ptrIiEEEENSB_INSC_IyEEEESG_yNS9_4plusIvEENS9_8equal_toIvEEyEE10hipError_tPvRmT2_T3_T4_T5_mT6_T7_P12ihipStream_tbENKUlT_T0_E_clISt17integral_constantIbLb0EES10_IbLb1EEEEDaSW_SX_EUlSW_E_NS1_11comp_targetILNS1_3genE0ELNS1_11target_archE4294967295ELNS1_3gpuE0ELNS1_3repE0EEENS1_30default_config_static_selectorELNS0_4arch9wavefront6targetE0EEEvT1_,comdat
	.protected	_ZN7rocprim17ROCPRIM_400000_NS6detail17trampoline_kernelINS0_14default_configENS1_27scan_by_key_config_selectorIiyEEZZNS1_16scan_by_key_implILNS1_25lookback_scan_determinismE0ELb1ES3_N6thrust23THRUST_200600_302600_NS6detail15normal_iteratorINS9_10device_ptrIiEEEENSB_INSC_IyEEEESG_yNS9_4plusIvEENS9_8equal_toIvEEyEE10hipError_tPvRmT2_T3_T4_T5_mT6_T7_P12ihipStream_tbENKUlT_T0_E_clISt17integral_constantIbLb0EES10_IbLb1EEEEDaSW_SX_EUlSW_E_NS1_11comp_targetILNS1_3genE0ELNS1_11target_archE4294967295ELNS1_3gpuE0ELNS1_3repE0EEENS1_30default_config_static_selectorELNS0_4arch9wavefront6targetE0EEEvT1_ ; -- Begin function _ZN7rocprim17ROCPRIM_400000_NS6detail17trampoline_kernelINS0_14default_configENS1_27scan_by_key_config_selectorIiyEEZZNS1_16scan_by_key_implILNS1_25lookback_scan_determinismE0ELb1ES3_N6thrust23THRUST_200600_302600_NS6detail15normal_iteratorINS9_10device_ptrIiEEEENSB_INSC_IyEEEESG_yNS9_4plusIvEENS9_8equal_toIvEEyEE10hipError_tPvRmT2_T3_T4_T5_mT6_T7_P12ihipStream_tbENKUlT_T0_E_clISt17integral_constantIbLb0EES10_IbLb1EEEEDaSW_SX_EUlSW_E_NS1_11comp_targetILNS1_3genE0ELNS1_11target_archE4294967295ELNS1_3gpuE0ELNS1_3repE0EEENS1_30default_config_static_selectorELNS0_4arch9wavefront6targetE0EEEvT1_
	.globl	_ZN7rocprim17ROCPRIM_400000_NS6detail17trampoline_kernelINS0_14default_configENS1_27scan_by_key_config_selectorIiyEEZZNS1_16scan_by_key_implILNS1_25lookback_scan_determinismE0ELb1ES3_N6thrust23THRUST_200600_302600_NS6detail15normal_iteratorINS9_10device_ptrIiEEEENSB_INSC_IyEEEESG_yNS9_4plusIvEENS9_8equal_toIvEEyEE10hipError_tPvRmT2_T3_T4_T5_mT6_T7_P12ihipStream_tbENKUlT_T0_E_clISt17integral_constantIbLb0EES10_IbLb1EEEEDaSW_SX_EUlSW_E_NS1_11comp_targetILNS1_3genE0ELNS1_11target_archE4294967295ELNS1_3gpuE0ELNS1_3repE0EEENS1_30default_config_static_selectorELNS0_4arch9wavefront6targetE0EEEvT1_
	.p2align	8
	.type	_ZN7rocprim17ROCPRIM_400000_NS6detail17trampoline_kernelINS0_14default_configENS1_27scan_by_key_config_selectorIiyEEZZNS1_16scan_by_key_implILNS1_25lookback_scan_determinismE0ELb1ES3_N6thrust23THRUST_200600_302600_NS6detail15normal_iteratorINS9_10device_ptrIiEEEENSB_INSC_IyEEEESG_yNS9_4plusIvEENS9_8equal_toIvEEyEE10hipError_tPvRmT2_T3_T4_T5_mT6_T7_P12ihipStream_tbENKUlT_T0_E_clISt17integral_constantIbLb0EES10_IbLb1EEEEDaSW_SX_EUlSW_E_NS1_11comp_targetILNS1_3genE0ELNS1_11target_archE4294967295ELNS1_3gpuE0ELNS1_3repE0EEENS1_30default_config_static_selectorELNS0_4arch9wavefront6targetE0EEEvT1_,@function
_ZN7rocprim17ROCPRIM_400000_NS6detail17trampoline_kernelINS0_14default_configENS1_27scan_by_key_config_selectorIiyEEZZNS1_16scan_by_key_implILNS1_25lookback_scan_determinismE0ELb1ES3_N6thrust23THRUST_200600_302600_NS6detail15normal_iteratorINS9_10device_ptrIiEEEENSB_INSC_IyEEEESG_yNS9_4plusIvEENS9_8equal_toIvEEyEE10hipError_tPvRmT2_T3_T4_T5_mT6_T7_P12ihipStream_tbENKUlT_T0_E_clISt17integral_constantIbLb0EES10_IbLb1EEEEDaSW_SX_EUlSW_E_NS1_11comp_targetILNS1_3genE0ELNS1_11target_archE4294967295ELNS1_3gpuE0ELNS1_3repE0EEENS1_30default_config_static_selectorELNS0_4arch9wavefront6targetE0EEEvT1_: ; @_ZN7rocprim17ROCPRIM_400000_NS6detail17trampoline_kernelINS0_14default_configENS1_27scan_by_key_config_selectorIiyEEZZNS1_16scan_by_key_implILNS1_25lookback_scan_determinismE0ELb1ES3_N6thrust23THRUST_200600_302600_NS6detail15normal_iteratorINS9_10device_ptrIiEEEENSB_INSC_IyEEEESG_yNS9_4plusIvEENS9_8equal_toIvEEyEE10hipError_tPvRmT2_T3_T4_T5_mT6_T7_P12ihipStream_tbENKUlT_T0_E_clISt17integral_constantIbLb0EES10_IbLb1EEEEDaSW_SX_EUlSW_E_NS1_11comp_targetILNS1_3genE0ELNS1_11target_archE4294967295ELNS1_3gpuE0ELNS1_3repE0EEENS1_30default_config_static_selectorELNS0_4arch9wavefront6targetE0EEEvT1_
; %bb.0:
	.section	.rodata,"a",@progbits
	.p2align	6, 0x0
	.amdhsa_kernel _ZN7rocprim17ROCPRIM_400000_NS6detail17trampoline_kernelINS0_14default_configENS1_27scan_by_key_config_selectorIiyEEZZNS1_16scan_by_key_implILNS1_25lookback_scan_determinismE0ELb1ES3_N6thrust23THRUST_200600_302600_NS6detail15normal_iteratorINS9_10device_ptrIiEEEENSB_INSC_IyEEEESG_yNS9_4plusIvEENS9_8equal_toIvEEyEE10hipError_tPvRmT2_T3_T4_T5_mT6_T7_P12ihipStream_tbENKUlT_T0_E_clISt17integral_constantIbLb0EES10_IbLb1EEEEDaSW_SX_EUlSW_E_NS1_11comp_targetILNS1_3genE0ELNS1_11target_archE4294967295ELNS1_3gpuE0ELNS1_3repE0EEENS1_30default_config_static_selectorELNS0_4arch9wavefront6targetE0EEEvT1_
		.amdhsa_group_segment_fixed_size 0
		.amdhsa_private_segment_fixed_size 0
		.amdhsa_kernarg_size 136
		.amdhsa_user_sgpr_count 6
		.amdhsa_user_sgpr_private_segment_buffer 1
		.amdhsa_user_sgpr_dispatch_ptr 0
		.amdhsa_user_sgpr_queue_ptr 0
		.amdhsa_user_sgpr_kernarg_segment_ptr 1
		.amdhsa_user_sgpr_dispatch_id 0
		.amdhsa_user_sgpr_flat_scratch_init 0
		.amdhsa_user_sgpr_private_segment_size 0
		.amdhsa_wavefront_size32 1
		.amdhsa_uses_dynamic_stack 0
		.amdhsa_system_sgpr_private_segment_wavefront_offset 0
		.amdhsa_system_sgpr_workgroup_id_x 1
		.amdhsa_system_sgpr_workgroup_id_y 0
		.amdhsa_system_sgpr_workgroup_id_z 0
		.amdhsa_system_sgpr_workgroup_info 0
		.amdhsa_system_vgpr_workitem_id 0
		.amdhsa_next_free_vgpr 1
		.amdhsa_next_free_sgpr 1
		.amdhsa_reserve_vcc 0
		.amdhsa_reserve_flat_scratch 0
		.amdhsa_float_round_mode_32 0
		.amdhsa_float_round_mode_16_64 0
		.amdhsa_float_denorm_mode_32 3
		.amdhsa_float_denorm_mode_16_64 3
		.amdhsa_dx10_clamp 1
		.amdhsa_ieee_mode 1
		.amdhsa_fp16_overflow 0
		.amdhsa_workgroup_processor_mode 1
		.amdhsa_memory_ordered 1
		.amdhsa_forward_progress 1
		.amdhsa_shared_vgpr_count 0
		.amdhsa_exception_fp_ieee_invalid_op 0
		.amdhsa_exception_fp_denorm_src 0
		.amdhsa_exception_fp_ieee_div_zero 0
		.amdhsa_exception_fp_ieee_overflow 0
		.amdhsa_exception_fp_ieee_underflow 0
		.amdhsa_exception_fp_ieee_inexact 0
		.amdhsa_exception_int_div_zero 0
	.end_amdhsa_kernel
	.section	.text._ZN7rocprim17ROCPRIM_400000_NS6detail17trampoline_kernelINS0_14default_configENS1_27scan_by_key_config_selectorIiyEEZZNS1_16scan_by_key_implILNS1_25lookback_scan_determinismE0ELb1ES3_N6thrust23THRUST_200600_302600_NS6detail15normal_iteratorINS9_10device_ptrIiEEEENSB_INSC_IyEEEESG_yNS9_4plusIvEENS9_8equal_toIvEEyEE10hipError_tPvRmT2_T3_T4_T5_mT6_T7_P12ihipStream_tbENKUlT_T0_E_clISt17integral_constantIbLb0EES10_IbLb1EEEEDaSW_SX_EUlSW_E_NS1_11comp_targetILNS1_3genE0ELNS1_11target_archE4294967295ELNS1_3gpuE0ELNS1_3repE0EEENS1_30default_config_static_selectorELNS0_4arch9wavefront6targetE0EEEvT1_,"axG",@progbits,_ZN7rocprim17ROCPRIM_400000_NS6detail17trampoline_kernelINS0_14default_configENS1_27scan_by_key_config_selectorIiyEEZZNS1_16scan_by_key_implILNS1_25lookback_scan_determinismE0ELb1ES3_N6thrust23THRUST_200600_302600_NS6detail15normal_iteratorINS9_10device_ptrIiEEEENSB_INSC_IyEEEESG_yNS9_4plusIvEENS9_8equal_toIvEEyEE10hipError_tPvRmT2_T3_T4_T5_mT6_T7_P12ihipStream_tbENKUlT_T0_E_clISt17integral_constantIbLb0EES10_IbLb1EEEEDaSW_SX_EUlSW_E_NS1_11comp_targetILNS1_3genE0ELNS1_11target_archE4294967295ELNS1_3gpuE0ELNS1_3repE0EEENS1_30default_config_static_selectorELNS0_4arch9wavefront6targetE0EEEvT1_,comdat
.Lfunc_end1490:
	.size	_ZN7rocprim17ROCPRIM_400000_NS6detail17trampoline_kernelINS0_14default_configENS1_27scan_by_key_config_selectorIiyEEZZNS1_16scan_by_key_implILNS1_25lookback_scan_determinismE0ELb1ES3_N6thrust23THRUST_200600_302600_NS6detail15normal_iteratorINS9_10device_ptrIiEEEENSB_INSC_IyEEEESG_yNS9_4plusIvEENS9_8equal_toIvEEyEE10hipError_tPvRmT2_T3_T4_T5_mT6_T7_P12ihipStream_tbENKUlT_T0_E_clISt17integral_constantIbLb0EES10_IbLb1EEEEDaSW_SX_EUlSW_E_NS1_11comp_targetILNS1_3genE0ELNS1_11target_archE4294967295ELNS1_3gpuE0ELNS1_3repE0EEENS1_30default_config_static_selectorELNS0_4arch9wavefront6targetE0EEEvT1_, .Lfunc_end1490-_ZN7rocprim17ROCPRIM_400000_NS6detail17trampoline_kernelINS0_14default_configENS1_27scan_by_key_config_selectorIiyEEZZNS1_16scan_by_key_implILNS1_25lookback_scan_determinismE0ELb1ES3_N6thrust23THRUST_200600_302600_NS6detail15normal_iteratorINS9_10device_ptrIiEEEENSB_INSC_IyEEEESG_yNS9_4plusIvEENS9_8equal_toIvEEyEE10hipError_tPvRmT2_T3_T4_T5_mT6_T7_P12ihipStream_tbENKUlT_T0_E_clISt17integral_constantIbLb0EES10_IbLb1EEEEDaSW_SX_EUlSW_E_NS1_11comp_targetILNS1_3genE0ELNS1_11target_archE4294967295ELNS1_3gpuE0ELNS1_3repE0EEENS1_30default_config_static_selectorELNS0_4arch9wavefront6targetE0EEEvT1_
                                        ; -- End function
	.set _ZN7rocprim17ROCPRIM_400000_NS6detail17trampoline_kernelINS0_14default_configENS1_27scan_by_key_config_selectorIiyEEZZNS1_16scan_by_key_implILNS1_25lookback_scan_determinismE0ELb1ES3_N6thrust23THRUST_200600_302600_NS6detail15normal_iteratorINS9_10device_ptrIiEEEENSB_INSC_IyEEEESG_yNS9_4plusIvEENS9_8equal_toIvEEyEE10hipError_tPvRmT2_T3_T4_T5_mT6_T7_P12ihipStream_tbENKUlT_T0_E_clISt17integral_constantIbLb0EES10_IbLb1EEEEDaSW_SX_EUlSW_E_NS1_11comp_targetILNS1_3genE0ELNS1_11target_archE4294967295ELNS1_3gpuE0ELNS1_3repE0EEENS1_30default_config_static_selectorELNS0_4arch9wavefront6targetE0EEEvT1_.num_vgpr, 0
	.set _ZN7rocprim17ROCPRIM_400000_NS6detail17trampoline_kernelINS0_14default_configENS1_27scan_by_key_config_selectorIiyEEZZNS1_16scan_by_key_implILNS1_25lookback_scan_determinismE0ELb1ES3_N6thrust23THRUST_200600_302600_NS6detail15normal_iteratorINS9_10device_ptrIiEEEENSB_INSC_IyEEEESG_yNS9_4plusIvEENS9_8equal_toIvEEyEE10hipError_tPvRmT2_T3_T4_T5_mT6_T7_P12ihipStream_tbENKUlT_T0_E_clISt17integral_constantIbLb0EES10_IbLb1EEEEDaSW_SX_EUlSW_E_NS1_11comp_targetILNS1_3genE0ELNS1_11target_archE4294967295ELNS1_3gpuE0ELNS1_3repE0EEENS1_30default_config_static_selectorELNS0_4arch9wavefront6targetE0EEEvT1_.num_agpr, 0
	.set _ZN7rocprim17ROCPRIM_400000_NS6detail17trampoline_kernelINS0_14default_configENS1_27scan_by_key_config_selectorIiyEEZZNS1_16scan_by_key_implILNS1_25lookback_scan_determinismE0ELb1ES3_N6thrust23THRUST_200600_302600_NS6detail15normal_iteratorINS9_10device_ptrIiEEEENSB_INSC_IyEEEESG_yNS9_4plusIvEENS9_8equal_toIvEEyEE10hipError_tPvRmT2_T3_T4_T5_mT6_T7_P12ihipStream_tbENKUlT_T0_E_clISt17integral_constantIbLb0EES10_IbLb1EEEEDaSW_SX_EUlSW_E_NS1_11comp_targetILNS1_3genE0ELNS1_11target_archE4294967295ELNS1_3gpuE0ELNS1_3repE0EEENS1_30default_config_static_selectorELNS0_4arch9wavefront6targetE0EEEvT1_.numbered_sgpr, 0
	.set _ZN7rocprim17ROCPRIM_400000_NS6detail17trampoline_kernelINS0_14default_configENS1_27scan_by_key_config_selectorIiyEEZZNS1_16scan_by_key_implILNS1_25lookback_scan_determinismE0ELb1ES3_N6thrust23THRUST_200600_302600_NS6detail15normal_iteratorINS9_10device_ptrIiEEEENSB_INSC_IyEEEESG_yNS9_4plusIvEENS9_8equal_toIvEEyEE10hipError_tPvRmT2_T3_T4_T5_mT6_T7_P12ihipStream_tbENKUlT_T0_E_clISt17integral_constantIbLb0EES10_IbLb1EEEEDaSW_SX_EUlSW_E_NS1_11comp_targetILNS1_3genE0ELNS1_11target_archE4294967295ELNS1_3gpuE0ELNS1_3repE0EEENS1_30default_config_static_selectorELNS0_4arch9wavefront6targetE0EEEvT1_.num_named_barrier, 0
	.set _ZN7rocprim17ROCPRIM_400000_NS6detail17trampoline_kernelINS0_14default_configENS1_27scan_by_key_config_selectorIiyEEZZNS1_16scan_by_key_implILNS1_25lookback_scan_determinismE0ELb1ES3_N6thrust23THRUST_200600_302600_NS6detail15normal_iteratorINS9_10device_ptrIiEEEENSB_INSC_IyEEEESG_yNS9_4plusIvEENS9_8equal_toIvEEyEE10hipError_tPvRmT2_T3_T4_T5_mT6_T7_P12ihipStream_tbENKUlT_T0_E_clISt17integral_constantIbLb0EES10_IbLb1EEEEDaSW_SX_EUlSW_E_NS1_11comp_targetILNS1_3genE0ELNS1_11target_archE4294967295ELNS1_3gpuE0ELNS1_3repE0EEENS1_30default_config_static_selectorELNS0_4arch9wavefront6targetE0EEEvT1_.private_seg_size, 0
	.set _ZN7rocprim17ROCPRIM_400000_NS6detail17trampoline_kernelINS0_14default_configENS1_27scan_by_key_config_selectorIiyEEZZNS1_16scan_by_key_implILNS1_25lookback_scan_determinismE0ELb1ES3_N6thrust23THRUST_200600_302600_NS6detail15normal_iteratorINS9_10device_ptrIiEEEENSB_INSC_IyEEEESG_yNS9_4plusIvEENS9_8equal_toIvEEyEE10hipError_tPvRmT2_T3_T4_T5_mT6_T7_P12ihipStream_tbENKUlT_T0_E_clISt17integral_constantIbLb0EES10_IbLb1EEEEDaSW_SX_EUlSW_E_NS1_11comp_targetILNS1_3genE0ELNS1_11target_archE4294967295ELNS1_3gpuE0ELNS1_3repE0EEENS1_30default_config_static_selectorELNS0_4arch9wavefront6targetE0EEEvT1_.uses_vcc, 0
	.set _ZN7rocprim17ROCPRIM_400000_NS6detail17trampoline_kernelINS0_14default_configENS1_27scan_by_key_config_selectorIiyEEZZNS1_16scan_by_key_implILNS1_25lookback_scan_determinismE0ELb1ES3_N6thrust23THRUST_200600_302600_NS6detail15normal_iteratorINS9_10device_ptrIiEEEENSB_INSC_IyEEEESG_yNS9_4plusIvEENS9_8equal_toIvEEyEE10hipError_tPvRmT2_T3_T4_T5_mT6_T7_P12ihipStream_tbENKUlT_T0_E_clISt17integral_constantIbLb0EES10_IbLb1EEEEDaSW_SX_EUlSW_E_NS1_11comp_targetILNS1_3genE0ELNS1_11target_archE4294967295ELNS1_3gpuE0ELNS1_3repE0EEENS1_30default_config_static_selectorELNS0_4arch9wavefront6targetE0EEEvT1_.uses_flat_scratch, 0
	.set _ZN7rocprim17ROCPRIM_400000_NS6detail17trampoline_kernelINS0_14default_configENS1_27scan_by_key_config_selectorIiyEEZZNS1_16scan_by_key_implILNS1_25lookback_scan_determinismE0ELb1ES3_N6thrust23THRUST_200600_302600_NS6detail15normal_iteratorINS9_10device_ptrIiEEEENSB_INSC_IyEEEESG_yNS9_4plusIvEENS9_8equal_toIvEEyEE10hipError_tPvRmT2_T3_T4_T5_mT6_T7_P12ihipStream_tbENKUlT_T0_E_clISt17integral_constantIbLb0EES10_IbLb1EEEEDaSW_SX_EUlSW_E_NS1_11comp_targetILNS1_3genE0ELNS1_11target_archE4294967295ELNS1_3gpuE0ELNS1_3repE0EEENS1_30default_config_static_selectorELNS0_4arch9wavefront6targetE0EEEvT1_.has_dyn_sized_stack, 0
	.set _ZN7rocprim17ROCPRIM_400000_NS6detail17trampoline_kernelINS0_14default_configENS1_27scan_by_key_config_selectorIiyEEZZNS1_16scan_by_key_implILNS1_25lookback_scan_determinismE0ELb1ES3_N6thrust23THRUST_200600_302600_NS6detail15normal_iteratorINS9_10device_ptrIiEEEENSB_INSC_IyEEEESG_yNS9_4plusIvEENS9_8equal_toIvEEyEE10hipError_tPvRmT2_T3_T4_T5_mT6_T7_P12ihipStream_tbENKUlT_T0_E_clISt17integral_constantIbLb0EES10_IbLb1EEEEDaSW_SX_EUlSW_E_NS1_11comp_targetILNS1_3genE0ELNS1_11target_archE4294967295ELNS1_3gpuE0ELNS1_3repE0EEENS1_30default_config_static_selectorELNS0_4arch9wavefront6targetE0EEEvT1_.has_recursion, 0
	.set _ZN7rocprim17ROCPRIM_400000_NS6detail17trampoline_kernelINS0_14default_configENS1_27scan_by_key_config_selectorIiyEEZZNS1_16scan_by_key_implILNS1_25lookback_scan_determinismE0ELb1ES3_N6thrust23THRUST_200600_302600_NS6detail15normal_iteratorINS9_10device_ptrIiEEEENSB_INSC_IyEEEESG_yNS9_4plusIvEENS9_8equal_toIvEEyEE10hipError_tPvRmT2_T3_T4_T5_mT6_T7_P12ihipStream_tbENKUlT_T0_E_clISt17integral_constantIbLb0EES10_IbLb1EEEEDaSW_SX_EUlSW_E_NS1_11comp_targetILNS1_3genE0ELNS1_11target_archE4294967295ELNS1_3gpuE0ELNS1_3repE0EEENS1_30default_config_static_selectorELNS0_4arch9wavefront6targetE0EEEvT1_.has_indirect_call, 0
	.section	.AMDGPU.csdata,"",@progbits
; Kernel info:
; codeLenInByte = 0
; TotalNumSgprs: 0
; NumVgprs: 0
; ScratchSize: 0
; MemoryBound: 0
; FloatMode: 240
; IeeeMode: 1
; LDSByteSize: 0 bytes/workgroup (compile time only)
; SGPRBlocks: 0
; VGPRBlocks: 0
; NumSGPRsForWavesPerEU: 1
; NumVGPRsForWavesPerEU: 1
; Occupancy: 16
; WaveLimiterHint : 0
; COMPUTE_PGM_RSRC2:SCRATCH_EN: 0
; COMPUTE_PGM_RSRC2:USER_SGPR: 6
; COMPUTE_PGM_RSRC2:TRAP_HANDLER: 0
; COMPUTE_PGM_RSRC2:TGID_X_EN: 1
; COMPUTE_PGM_RSRC2:TGID_Y_EN: 0
; COMPUTE_PGM_RSRC2:TGID_Z_EN: 0
; COMPUTE_PGM_RSRC2:TIDIG_COMP_CNT: 0
	.section	.text._ZN7rocprim17ROCPRIM_400000_NS6detail17trampoline_kernelINS0_14default_configENS1_27scan_by_key_config_selectorIiyEEZZNS1_16scan_by_key_implILNS1_25lookback_scan_determinismE0ELb1ES3_N6thrust23THRUST_200600_302600_NS6detail15normal_iteratorINS9_10device_ptrIiEEEENSB_INSC_IyEEEESG_yNS9_4plusIvEENS9_8equal_toIvEEyEE10hipError_tPvRmT2_T3_T4_T5_mT6_T7_P12ihipStream_tbENKUlT_T0_E_clISt17integral_constantIbLb0EES10_IbLb1EEEEDaSW_SX_EUlSW_E_NS1_11comp_targetILNS1_3genE10ELNS1_11target_archE1201ELNS1_3gpuE5ELNS1_3repE0EEENS1_30default_config_static_selectorELNS0_4arch9wavefront6targetE0EEEvT1_,"axG",@progbits,_ZN7rocprim17ROCPRIM_400000_NS6detail17trampoline_kernelINS0_14default_configENS1_27scan_by_key_config_selectorIiyEEZZNS1_16scan_by_key_implILNS1_25lookback_scan_determinismE0ELb1ES3_N6thrust23THRUST_200600_302600_NS6detail15normal_iteratorINS9_10device_ptrIiEEEENSB_INSC_IyEEEESG_yNS9_4plusIvEENS9_8equal_toIvEEyEE10hipError_tPvRmT2_T3_T4_T5_mT6_T7_P12ihipStream_tbENKUlT_T0_E_clISt17integral_constantIbLb0EES10_IbLb1EEEEDaSW_SX_EUlSW_E_NS1_11comp_targetILNS1_3genE10ELNS1_11target_archE1201ELNS1_3gpuE5ELNS1_3repE0EEENS1_30default_config_static_selectorELNS0_4arch9wavefront6targetE0EEEvT1_,comdat
	.protected	_ZN7rocprim17ROCPRIM_400000_NS6detail17trampoline_kernelINS0_14default_configENS1_27scan_by_key_config_selectorIiyEEZZNS1_16scan_by_key_implILNS1_25lookback_scan_determinismE0ELb1ES3_N6thrust23THRUST_200600_302600_NS6detail15normal_iteratorINS9_10device_ptrIiEEEENSB_INSC_IyEEEESG_yNS9_4plusIvEENS9_8equal_toIvEEyEE10hipError_tPvRmT2_T3_T4_T5_mT6_T7_P12ihipStream_tbENKUlT_T0_E_clISt17integral_constantIbLb0EES10_IbLb1EEEEDaSW_SX_EUlSW_E_NS1_11comp_targetILNS1_3genE10ELNS1_11target_archE1201ELNS1_3gpuE5ELNS1_3repE0EEENS1_30default_config_static_selectorELNS0_4arch9wavefront6targetE0EEEvT1_ ; -- Begin function _ZN7rocprim17ROCPRIM_400000_NS6detail17trampoline_kernelINS0_14default_configENS1_27scan_by_key_config_selectorIiyEEZZNS1_16scan_by_key_implILNS1_25lookback_scan_determinismE0ELb1ES3_N6thrust23THRUST_200600_302600_NS6detail15normal_iteratorINS9_10device_ptrIiEEEENSB_INSC_IyEEEESG_yNS9_4plusIvEENS9_8equal_toIvEEyEE10hipError_tPvRmT2_T3_T4_T5_mT6_T7_P12ihipStream_tbENKUlT_T0_E_clISt17integral_constantIbLb0EES10_IbLb1EEEEDaSW_SX_EUlSW_E_NS1_11comp_targetILNS1_3genE10ELNS1_11target_archE1201ELNS1_3gpuE5ELNS1_3repE0EEENS1_30default_config_static_selectorELNS0_4arch9wavefront6targetE0EEEvT1_
	.globl	_ZN7rocprim17ROCPRIM_400000_NS6detail17trampoline_kernelINS0_14default_configENS1_27scan_by_key_config_selectorIiyEEZZNS1_16scan_by_key_implILNS1_25lookback_scan_determinismE0ELb1ES3_N6thrust23THRUST_200600_302600_NS6detail15normal_iteratorINS9_10device_ptrIiEEEENSB_INSC_IyEEEESG_yNS9_4plusIvEENS9_8equal_toIvEEyEE10hipError_tPvRmT2_T3_T4_T5_mT6_T7_P12ihipStream_tbENKUlT_T0_E_clISt17integral_constantIbLb0EES10_IbLb1EEEEDaSW_SX_EUlSW_E_NS1_11comp_targetILNS1_3genE10ELNS1_11target_archE1201ELNS1_3gpuE5ELNS1_3repE0EEENS1_30default_config_static_selectorELNS0_4arch9wavefront6targetE0EEEvT1_
	.p2align	8
	.type	_ZN7rocprim17ROCPRIM_400000_NS6detail17trampoline_kernelINS0_14default_configENS1_27scan_by_key_config_selectorIiyEEZZNS1_16scan_by_key_implILNS1_25lookback_scan_determinismE0ELb1ES3_N6thrust23THRUST_200600_302600_NS6detail15normal_iteratorINS9_10device_ptrIiEEEENSB_INSC_IyEEEESG_yNS9_4plusIvEENS9_8equal_toIvEEyEE10hipError_tPvRmT2_T3_T4_T5_mT6_T7_P12ihipStream_tbENKUlT_T0_E_clISt17integral_constantIbLb0EES10_IbLb1EEEEDaSW_SX_EUlSW_E_NS1_11comp_targetILNS1_3genE10ELNS1_11target_archE1201ELNS1_3gpuE5ELNS1_3repE0EEENS1_30default_config_static_selectorELNS0_4arch9wavefront6targetE0EEEvT1_,@function
_ZN7rocprim17ROCPRIM_400000_NS6detail17trampoline_kernelINS0_14default_configENS1_27scan_by_key_config_selectorIiyEEZZNS1_16scan_by_key_implILNS1_25lookback_scan_determinismE0ELb1ES3_N6thrust23THRUST_200600_302600_NS6detail15normal_iteratorINS9_10device_ptrIiEEEENSB_INSC_IyEEEESG_yNS9_4plusIvEENS9_8equal_toIvEEyEE10hipError_tPvRmT2_T3_T4_T5_mT6_T7_P12ihipStream_tbENKUlT_T0_E_clISt17integral_constantIbLb0EES10_IbLb1EEEEDaSW_SX_EUlSW_E_NS1_11comp_targetILNS1_3genE10ELNS1_11target_archE1201ELNS1_3gpuE5ELNS1_3repE0EEENS1_30default_config_static_selectorELNS0_4arch9wavefront6targetE0EEEvT1_: ; @_ZN7rocprim17ROCPRIM_400000_NS6detail17trampoline_kernelINS0_14default_configENS1_27scan_by_key_config_selectorIiyEEZZNS1_16scan_by_key_implILNS1_25lookback_scan_determinismE0ELb1ES3_N6thrust23THRUST_200600_302600_NS6detail15normal_iteratorINS9_10device_ptrIiEEEENSB_INSC_IyEEEESG_yNS9_4plusIvEENS9_8equal_toIvEEyEE10hipError_tPvRmT2_T3_T4_T5_mT6_T7_P12ihipStream_tbENKUlT_T0_E_clISt17integral_constantIbLb0EES10_IbLb1EEEEDaSW_SX_EUlSW_E_NS1_11comp_targetILNS1_3genE10ELNS1_11target_archE1201ELNS1_3gpuE5ELNS1_3repE0EEENS1_30default_config_static_selectorELNS0_4arch9wavefront6targetE0EEEvT1_
; %bb.0:
	.section	.rodata,"a",@progbits
	.p2align	6, 0x0
	.amdhsa_kernel _ZN7rocprim17ROCPRIM_400000_NS6detail17trampoline_kernelINS0_14default_configENS1_27scan_by_key_config_selectorIiyEEZZNS1_16scan_by_key_implILNS1_25lookback_scan_determinismE0ELb1ES3_N6thrust23THRUST_200600_302600_NS6detail15normal_iteratorINS9_10device_ptrIiEEEENSB_INSC_IyEEEESG_yNS9_4plusIvEENS9_8equal_toIvEEyEE10hipError_tPvRmT2_T3_T4_T5_mT6_T7_P12ihipStream_tbENKUlT_T0_E_clISt17integral_constantIbLb0EES10_IbLb1EEEEDaSW_SX_EUlSW_E_NS1_11comp_targetILNS1_3genE10ELNS1_11target_archE1201ELNS1_3gpuE5ELNS1_3repE0EEENS1_30default_config_static_selectorELNS0_4arch9wavefront6targetE0EEEvT1_
		.amdhsa_group_segment_fixed_size 0
		.amdhsa_private_segment_fixed_size 0
		.amdhsa_kernarg_size 136
		.amdhsa_user_sgpr_count 6
		.amdhsa_user_sgpr_private_segment_buffer 1
		.amdhsa_user_sgpr_dispatch_ptr 0
		.amdhsa_user_sgpr_queue_ptr 0
		.amdhsa_user_sgpr_kernarg_segment_ptr 1
		.amdhsa_user_sgpr_dispatch_id 0
		.amdhsa_user_sgpr_flat_scratch_init 0
		.amdhsa_user_sgpr_private_segment_size 0
		.amdhsa_wavefront_size32 1
		.amdhsa_uses_dynamic_stack 0
		.amdhsa_system_sgpr_private_segment_wavefront_offset 0
		.amdhsa_system_sgpr_workgroup_id_x 1
		.amdhsa_system_sgpr_workgroup_id_y 0
		.amdhsa_system_sgpr_workgroup_id_z 0
		.amdhsa_system_sgpr_workgroup_info 0
		.amdhsa_system_vgpr_workitem_id 0
		.amdhsa_next_free_vgpr 1
		.amdhsa_next_free_sgpr 1
		.amdhsa_reserve_vcc 0
		.amdhsa_reserve_flat_scratch 0
		.amdhsa_float_round_mode_32 0
		.amdhsa_float_round_mode_16_64 0
		.amdhsa_float_denorm_mode_32 3
		.amdhsa_float_denorm_mode_16_64 3
		.amdhsa_dx10_clamp 1
		.amdhsa_ieee_mode 1
		.amdhsa_fp16_overflow 0
		.amdhsa_workgroup_processor_mode 1
		.amdhsa_memory_ordered 1
		.amdhsa_forward_progress 1
		.amdhsa_shared_vgpr_count 0
		.amdhsa_exception_fp_ieee_invalid_op 0
		.amdhsa_exception_fp_denorm_src 0
		.amdhsa_exception_fp_ieee_div_zero 0
		.amdhsa_exception_fp_ieee_overflow 0
		.amdhsa_exception_fp_ieee_underflow 0
		.amdhsa_exception_fp_ieee_inexact 0
		.amdhsa_exception_int_div_zero 0
	.end_amdhsa_kernel
	.section	.text._ZN7rocprim17ROCPRIM_400000_NS6detail17trampoline_kernelINS0_14default_configENS1_27scan_by_key_config_selectorIiyEEZZNS1_16scan_by_key_implILNS1_25lookback_scan_determinismE0ELb1ES3_N6thrust23THRUST_200600_302600_NS6detail15normal_iteratorINS9_10device_ptrIiEEEENSB_INSC_IyEEEESG_yNS9_4plusIvEENS9_8equal_toIvEEyEE10hipError_tPvRmT2_T3_T4_T5_mT6_T7_P12ihipStream_tbENKUlT_T0_E_clISt17integral_constantIbLb0EES10_IbLb1EEEEDaSW_SX_EUlSW_E_NS1_11comp_targetILNS1_3genE10ELNS1_11target_archE1201ELNS1_3gpuE5ELNS1_3repE0EEENS1_30default_config_static_selectorELNS0_4arch9wavefront6targetE0EEEvT1_,"axG",@progbits,_ZN7rocprim17ROCPRIM_400000_NS6detail17trampoline_kernelINS0_14default_configENS1_27scan_by_key_config_selectorIiyEEZZNS1_16scan_by_key_implILNS1_25lookback_scan_determinismE0ELb1ES3_N6thrust23THRUST_200600_302600_NS6detail15normal_iteratorINS9_10device_ptrIiEEEENSB_INSC_IyEEEESG_yNS9_4plusIvEENS9_8equal_toIvEEyEE10hipError_tPvRmT2_T3_T4_T5_mT6_T7_P12ihipStream_tbENKUlT_T0_E_clISt17integral_constantIbLb0EES10_IbLb1EEEEDaSW_SX_EUlSW_E_NS1_11comp_targetILNS1_3genE10ELNS1_11target_archE1201ELNS1_3gpuE5ELNS1_3repE0EEENS1_30default_config_static_selectorELNS0_4arch9wavefront6targetE0EEEvT1_,comdat
.Lfunc_end1491:
	.size	_ZN7rocprim17ROCPRIM_400000_NS6detail17trampoline_kernelINS0_14default_configENS1_27scan_by_key_config_selectorIiyEEZZNS1_16scan_by_key_implILNS1_25lookback_scan_determinismE0ELb1ES3_N6thrust23THRUST_200600_302600_NS6detail15normal_iteratorINS9_10device_ptrIiEEEENSB_INSC_IyEEEESG_yNS9_4plusIvEENS9_8equal_toIvEEyEE10hipError_tPvRmT2_T3_T4_T5_mT6_T7_P12ihipStream_tbENKUlT_T0_E_clISt17integral_constantIbLb0EES10_IbLb1EEEEDaSW_SX_EUlSW_E_NS1_11comp_targetILNS1_3genE10ELNS1_11target_archE1201ELNS1_3gpuE5ELNS1_3repE0EEENS1_30default_config_static_selectorELNS0_4arch9wavefront6targetE0EEEvT1_, .Lfunc_end1491-_ZN7rocprim17ROCPRIM_400000_NS6detail17trampoline_kernelINS0_14default_configENS1_27scan_by_key_config_selectorIiyEEZZNS1_16scan_by_key_implILNS1_25lookback_scan_determinismE0ELb1ES3_N6thrust23THRUST_200600_302600_NS6detail15normal_iteratorINS9_10device_ptrIiEEEENSB_INSC_IyEEEESG_yNS9_4plusIvEENS9_8equal_toIvEEyEE10hipError_tPvRmT2_T3_T4_T5_mT6_T7_P12ihipStream_tbENKUlT_T0_E_clISt17integral_constantIbLb0EES10_IbLb1EEEEDaSW_SX_EUlSW_E_NS1_11comp_targetILNS1_3genE10ELNS1_11target_archE1201ELNS1_3gpuE5ELNS1_3repE0EEENS1_30default_config_static_selectorELNS0_4arch9wavefront6targetE0EEEvT1_
                                        ; -- End function
	.set _ZN7rocprim17ROCPRIM_400000_NS6detail17trampoline_kernelINS0_14default_configENS1_27scan_by_key_config_selectorIiyEEZZNS1_16scan_by_key_implILNS1_25lookback_scan_determinismE0ELb1ES3_N6thrust23THRUST_200600_302600_NS6detail15normal_iteratorINS9_10device_ptrIiEEEENSB_INSC_IyEEEESG_yNS9_4plusIvEENS9_8equal_toIvEEyEE10hipError_tPvRmT2_T3_T4_T5_mT6_T7_P12ihipStream_tbENKUlT_T0_E_clISt17integral_constantIbLb0EES10_IbLb1EEEEDaSW_SX_EUlSW_E_NS1_11comp_targetILNS1_3genE10ELNS1_11target_archE1201ELNS1_3gpuE5ELNS1_3repE0EEENS1_30default_config_static_selectorELNS0_4arch9wavefront6targetE0EEEvT1_.num_vgpr, 0
	.set _ZN7rocprim17ROCPRIM_400000_NS6detail17trampoline_kernelINS0_14default_configENS1_27scan_by_key_config_selectorIiyEEZZNS1_16scan_by_key_implILNS1_25lookback_scan_determinismE0ELb1ES3_N6thrust23THRUST_200600_302600_NS6detail15normal_iteratorINS9_10device_ptrIiEEEENSB_INSC_IyEEEESG_yNS9_4plusIvEENS9_8equal_toIvEEyEE10hipError_tPvRmT2_T3_T4_T5_mT6_T7_P12ihipStream_tbENKUlT_T0_E_clISt17integral_constantIbLb0EES10_IbLb1EEEEDaSW_SX_EUlSW_E_NS1_11comp_targetILNS1_3genE10ELNS1_11target_archE1201ELNS1_3gpuE5ELNS1_3repE0EEENS1_30default_config_static_selectorELNS0_4arch9wavefront6targetE0EEEvT1_.num_agpr, 0
	.set _ZN7rocprim17ROCPRIM_400000_NS6detail17trampoline_kernelINS0_14default_configENS1_27scan_by_key_config_selectorIiyEEZZNS1_16scan_by_key_implILNS1_25lookback_scan_determinismE0ELb1ES3_N6thrust23THRUST_200600_302600_NS6detail15normal_iteratorINS9_10device_ptrIiEEEENSB_INSC_IyEEEESG_yNS9_4plusIvEENS9_8equal_toIvEEyEE10hipError_tPvRmT2_T3_T4_T5_mT6_T7_P12ihipStream_tbENKUlT_T0_E_clISt17integral_constantIbLb0EES10_IbLb1EEEEDaSW_SX_EUlSW_E_NS1_11comp_targetILNS1_3genE10ELNS1_11target_archE1201ELNS1_3gpuE5ELNS1_3repE0EEENS1_30default_config_static_selectorELNS0_4arch9wavefront6targetE0EEEvT1_.numbered_sgpr, 0
	.set _ZN7rocprim17ROCPRIM_400000_NS6detail17trampoline_kernelINS0_14default_configENS1_27scan_by_key_config_selectorIiyEEZZNS1_16scan_by_key_implILNS1_25lookback_scan_determinismE0ELb1ES3_N6thrust23THRUST_200600_302600_NS6detail15normal_iteratorINS9_10device_ptrIiEEEENSB_INSC_IyEEEESG_yNS9_4plusIvEENS9_8equal_toIvEEyEE10hipError_tPvRmT2_T3_T4_T5_mT6_T7_P12ihipStream_tbENKUlT_T0_E_clISt17integral_constantIbLb0EES10_IbLb1EEEEDaSW_SX_EUlSW_E_NS1_11comp_targetILNS1_3genE10ELNS1_11target_archE1201ELNS1_3gpuE5ELNS1_3repE0EEENS1_30default_config_static_selectorELNS0_4arch9wavefront6targetE0EEEvT1_.num_named_barrier, 0
	.set _ZN7rocprim17ROCPRIM_400000_NS6detail17trampoline_kernelINS0_14default_configENS1_27scan_by_key_config_selectorIiyEEZZNS1_16scan_by_key_implILNS1_25lookback_scan_determinismE0ELb1ES3_N6thrust23THRUST_200600_302600_NS6detail15normal_iteratorINS9_10device_ptrIiEEEENSB_INSC_IyEEEESG_yNS9_4plusIvEENS9_8equal_toIvEEyEE10hipError_tPvRmT2_T3_T4_T5_mT6_T7_P12ihipStream_tbENKUlT_T0_E_clISt17integral_constantIbLb0EES10_IbLb1EEEEDaSW_SX_EUlSW_E_NS1_11comp_targetILNS1_3genE10ELNS1_11target_archE1201ELNS1_3gpuE5ELNS1_3repE0EEENS1_30default_config_static_selectorELNS0_4arch9wavefront6targetE0EEEvT1_.private_seg_size, 0
	.set _ZN7rocprim17ROCPRIM_400000_NS6detail17trampoline_kernelINS0_14default_configENS1_27scan_by_key_config_selectorIiyEEZZNS1_16scan_by_key_implILNS1_25lookback_scan_determinismE0ELb1ES3_N6thrust23THRUST_200600_302600_NS6detail15normal_iteratorINS9_10device_ptrIiEEEENSB_INSC_IyEEEESG_yNS9_4plusIvEENS9_8equal_toIvEEyEE10hipError_tPvRmT2_T3_T4_T5_mT6_T7_P12ihipStream_tbENKUlT_T0_E_clISt17integral_constantIbLb0EES10_IbLb1EEEEDaSW_SX_EUlSW_E_NS1_11comp_targetILNS1_3genE10ELNS1_11target_archE1201ELNS1_3gpuE5ELNS1_3repE0EEENS1_30default_config_static_selectorELNS0_4arch9wavefront6targetE0EEEvT1_.uses_vcc, 0
	.set _ZN7rocprim17ROCPRIM_400000_NS6detail17trampoline_kernelINS0_14default_configENS1_27scan_by_key_config_selectorIiyEEZZNS1_16scan_by_key_implILNS1_25lookback_scan_determinismE0ELb1ES3_N6thrust23THRUST_200600_302600_NS6detail15normal_iteratorINS9_10device_ptrIiEEEENSB_INSC_IyEEEESG_yNS9_4plusIvEENS9_8equal_toIvEEyEE10hipError_tPvRmT2_T3_T4_T5_mT6_T7_P12ihipStream_tbENKUlT_T0_E_clISt17integral_constantIbLb0EES10_IbLb1EEEEDaSW_SX_EUlSW_E_NS1_11comp_targetILNS1_3genE10ELNS1_11target_archE1201ELNS1_3gpuE5ELNS1_3repE0EEENS1_30default_config_static_selectorELNS0_4arch9wavefront6targetE0EEEvT1_.uses_flat_scratch, 0
	.set _ZN7rocprim17ROCPRIM_400000_NS6detail17trampoline_kernelINS0_14default_configENS1_27scan_by_key_config_selectorIiyEEZZNS1_16scan_by_key_implILNS1_25lookback_scan_determinismE0ELb1ES3_N6thrust23THRUST_200600_302600_NS6detail15normal_iteratorINS9_10device_ptrIiEEEENSB_INSC_IyEEEESG_yNS9_4plusIvEENS9_8equal_toIvEEyEE10hipError_tPvRmT2_T3_T4_T5_mT6_T7_P12ihipStream_tbENKUlT_T0_E_clISt17integral_constantIbLb0EES10_IbLb1EEEEDaSW_SX_EUlSW_E_NS1_11comp_targetILNS1_3genE10ELNS1_11target_archE1201ELNS1_3gpuE5ELNS1_3repE0EEENS1_30default_config_static_selectorELNS0_4arch9wavefront6targetE0EEEvT1_.has_dyn_sized_stack, 0
	.set _ZN7rocprim17ROCPRIM_400000_NS6detail17trampoline_kernelINS0_14default_configENS1_27scan_by_key_config_selectorIiyEEZZNS1_16scan_by_key_implILNS1_25lookback_scan_determinismE0ELb1ES3_N6thrust23THRUST_200600_302600_NS6detail15normal_iteratorINS9_10device_ptrIiEEEENSB_INSC_IyEEEESG_yNS9_4plusIvEENS9_8equal_toIvEEyEE10hipError_tPvRmT2_T3_T4_T5_mT6_T7_P12ihipStream_tbENKUlT_T0_E_clISt17integral_constantIbLb0EES10_IbLb1EEEEDaSW_SX_EUlSW_E_NS1_11comp_targetILNS1_3genE10ELNS1_11target_archE1201ELNS1_3gpuE5ELNS1_3repE0EEENS1_30default_config_static_selectorELNS0_4arch9wavefront6targetE0EEEvT1_.has_recursion, 0
	.set _ZN7rocprim17ROCPRIM_400000_NS6detail17trampoline_kernelINS0_14default_configENS1_27scan_by_key_config_selectorIiyEEZZNS1_16scan_by_key_implILNS1_25lookback_scan_determinismE0ELb1ES3_N6thrust23THRUST_200600_302600_NS6detail15normal_iteratorINS9_10device_ptrIiEEEENSB_INSC_IyEEEESG_yNS9_4plusIvEENS9_8equal_toIvEEyEE10hipError_tPvRmT2_T3_T4_T5_mT6_T7_P12ihipStream_tbENKUlT_T0_E_clISt17integral_constantIbLb0EES10_IbLb1EEEEDaSW_SX_EUlSW_E_NS1_11comp_targetILNS1_3genE10ELNS1_11target_archE1201ELNS1_3gpuE5ELNS1_3repE0EEENS1_30default_config_static_selectorELNS0_4arch9wavefront6targetE0EEEvT1_.has_indirect_call, 0
	.section	.AMDGPU.csdata,"",@progbits
; Kernel info:
; codeLenInByte = 0
; TotalNumSgprs: 0
; NumVgprs: 0
; ScratchSize: 0
; MemoryBound: 0
; FloatMode: 240
; IeeeMode: 1
; LDSByteSize: 0 bytes/workgroup (compile time only)
; SGPRBlocks: 0
; VGPRBlocks: 0
; NumSGPRsForWavesPerEU: 1
; NumVGPRsForWavesPerEU: 1
; Occupancy: 16
; WaveLimiterHint : 0
; COMPUTE_PGM_RSRC2:SCRATCH_EN: 0
; COMPUTE_PGM_RSRC2:USER_SGPR: 6
; COMPUTE_PGM_RSRC2:TRAP_HANDLER: 0
; COMPUTE_PGM_RSRC2:TGID_X_EN: 1
; COMPUTE_PGM_RSRC2:TGID_Y_EN: 0
; COMPUTE_PGM_RSRC2:TGID_Z_EN: 0
; COMPUTE_PGM_RSRC2:TIDIG_COMP_CNT: 0
	.section	.text._ZN7rocprim17ROCPRIM_400000_NS6detail17trampoline_kernelINS0_14default_configENS1_27scan_by_key_config_selectorIiyEEZZNS1_16scan_by_key_implILNS1_25lookback_scan_determinismE0ELb1ES3_N6thrust23THRUST_200600_302600_NS6detail15normal_iteratorINS9_10device_ptrIiEEEENSB_INSC_IyEEEESG_yNS9_4plusIvEENS9_8equal_toIvEEyEE10hipError_tPvRmT2_T3_T4_T5_mT6_T7_P12ihipStream_tbENKUlT_T0_E_clISt17integral_constantIbLb0EES10_IbLb1EEEEDaSW_SX_EUlSW_E_NS1_11comp_targetILNS1_3genE5ELNS1_11target_archE942ELNS1_3gpuE9ELNS1_3repE0EEENS1_30default_config_static_selectorELNS0_4arch9wavefront6targetE0EEEvT1_,"axG",@progbits,_ZN7rocprim17ROCPRIM_400000_NS6detail17trampoline_kernelINS0_14default_configENS1_27scan_by_key_config_selectorIiyEEZZNS1_16scan_by_key_implILNS1_25lookback_scan_determinismE0ELb1ES3_N6thrust23THRUST_200600_302600_NS6detail15normal_iteratorINS9_10device_ptrIiEEEENSB_INSC_IyEEEESG_yNS9_4plusIvEENS9_8equal_toIvEEyEE10hipError_tPvRmT2_T3_T4_T5_mT6_T7_P12ihipStream_tbENKUlT_T0_E_clISt17integral_constantIbLb0EES10_IbLb1EEEEDaSW_SX_EUlSW_E_NS1_11comp_targetILNS1_3genE5ELNS1_11target_archE942ELNS1_3gpuE9ELNS1_3repE0EEENS1_30default_config_static_selectorELNS0_4arch9wavefront6targetE0EEEvT1_,comdat
	.protected	_ZN7rocprim17ROCPRIM_400000_NS6detail17trampoline_kernelINS0_14default_configENS1_27scan_by_key_config_selectorIiyEEZZNS1_16scan_by_key_implILNS1_25lookback_scan_determinismE0ELb1ES3_N6thrust23THRUST_200600_302600_NS6detail15normal_iteratorINS9_10device_ptrIiEEEENSB_INSC_IyEEEESG_yNS9_4plusIvEENS9_8equal_toIvEEyEE10hipError_tPvRmT2_T3_T4_T5_mT6_T7_P12ihipStream_tbENKUlT_T0_E_clISt17integral_constantIbLb0EES10_IbLb1EEEEDaSW_SX_EUlSW_E_NS1_11comp_targetILNS1_3genE5ELNS1_11target_archE942ELNS1_3gpuE9ELNS1_3repE0EEENS1_30default_config_static_selectorELNS0_4arch9wavefront6targetE0EEEvT1_ ; -- Begin function _ZN7rocprim17ROCPRIM_400000_NS6detail17trampoline_kernelINS0_14default_configENS1_27scan_by_key_config_selectorIiyEEZZNS1_16scan_by_key_implILNS1_25lookback_scan_determinismE0ELb1ES3_N6thrust23THRUST_200600_302600_NS6detail15normal_iteratorINS9_10device_ptrIiEEEENSB_INSC_IyEEEESG_yNS9_4plusIvEENS9_8equal_toIvEEyEE10hipError_tPvRmT2_T3_T4_T5_mT6_T7_P12ihipStream_tbENKUlT_T0_E_clISt17integral_constantIbLb0EES10_IbLb1EEEEDaSW_SX_EUlSW_E_NS1_11comp_targetILNS1_3genE5ELNS1_11target_archE942ELNS1_3gpuE9ELNS1_3repE0EEENS1_30default_config_static_selectorELNS0_4arch9wavefront6targetE0EEEvT1_
	.globl	_ZN7rocprim17ROCPRIM_400000_NS6detail17trampoline_kernelINS0_14default_configENS1_27scan_by_key_config_selectorIiyEEZZNS1_16scan_by_key_implILNS1_25lookback_scan_determinismE0ELb1ES3_N6thrust23THRUST_200600_302600_NS6detail15normal_iteratorINS9_10device_ptrIiEEEENSB_INSC_IyEEEESG_yNS9_4plusIvEENS9_8equal_toIvEEyEE10hipError_tPvRmT2_T3_T4_T5_mT6_T7_P12ihipStream_tbENKUlT_T0_E_clISt17integral_constantIbLb0EES10_IbLb1EEEEDaSW_SX_EUlSW_E_NS1_11comp_targetILNS1_3genE5ELNS1_11target_archE942ELNS1_3gpuE9ELNS1_3repE0EEENS1_30default_config_static_selectorELNS0_4arch9wavefront6targetE0EEEvT1_
	.p2align	8
	.type	_ZN7rocprim17ROCPRIM_400000_NS6detail17trampoline_kernelINS0_14default_configENS1_27scan_by_key_config_selectorIiyEEZZNS1_16scan_by_key_implILNS1_25lookback_scan_determinismE0ELb1ES3_N6thrust23THRUST_200600_302600_NS6detail15normal_iteratorINS9_10device_ptrIiEEEENSB_INSC_IyEEEESG_yNS9_4plusIvEENS9_8equal_toIvEEyEE10hipError_tPvRmT2_T3_T4_T5_mT6_T7_P12ihipStream_tbENKUlT_T0_E_clISt17integral_constantIbLb0EES10_IbLb1EEEEDaSW_SX_EUlSW_E_NS1_11comp_targetILNS1_3genE5ELNS1_11target_archE942ELNS1_3gpuE9ELNS1_3repE0EEENS1_30default_config_static_selectorELNS0_4arch9wavefront6targetE0EEEvT1_,@function
_ZN7rocprim17ROCPRIM_400000_NS6detail17trampoline_kernelINS0_14default_configENS1_27scan_by_key_config_selectorIiyEEZZNS1_16scan_by_key_implILNS1_25lookback_scan_determinismE0ELb1ES3_N6thrust23THRUST_200600_302600_NS6detail15normal_iteratorINS9_10device_ptrIiEEEENSB_INSC_IyEEEESG_yNS9_4plusIvEENS9_8equal_toIvEEyEE10hipError_tPvRmT2_T3_T4_T5_mT6_T7_P12ihipStream_tbENKUlT_T0_E_clISt17integral_constantIbLb0EES10_IbLb1EEEEDaSW_SX_EUlSW_E_NS1_11comp_targetILNS1_3genE5ELNS1_11target_archE942ELNS1_3gpuE9ELNS1_3repE0EEENS1_30default_config_static_selectorELNS0_4arch9wavefront6targetE0EEEvT1_: ; @_ZN7rocprim17ROCPRIM_400000_NS6detail17trampoline_kernelINS0_14default_configENS1_27scan_by_key_config_selectorIiyEEZZNS1_16scan_by_key_implILNS1_25lookback_scan_determinismE0ELb1ES3_N6thrust23THRUST_200600_302600_NS6detail15normal_iteratorINS9_10device_ptrIiEEEENSB_INSC_IyEEEESG_yNS9_4plusIvEENS9_8equal_toIvEEyEE10hipError_tPvRmT2_T3_T4_T5_mT6_T7_P12ihipStream_tbENKUlT_T0_E_clISt17integral_constantIbLb0EES10_IbLb1EEEEDaSW_SX_EUlSW_E_NS1_11comp_targetILNS1_3genE5ELNS1_11target_archE942ELNS1_3gpuE9ELNS1_3repE0EEENS1_30default_config_static_selectorELNS0_4arch9wavefront6targetE0EEEvT1_
; %bb.0:
	.section	.rodata,"a",@progbits
	.p2align	6, 0x0
	.amdhsa_kernel _ZN7rocprim17ROCPRIM_400000_NS6detail17trampoline_kernelINS0_14default_configENS1_27scan_by_key_config_selectorIiyEEZZNS1_16scan_by_key_implILNS1_25lookback_scan_determinismE0ELb1ES3_N6thrust23THRUST_200600_302600_NS6detail15normal_iteratorINS9_10device_ptrIiEEEENSB_INSC_IyEEEESG_yNS9_4plusIvEENS9_8equal_toIvEEyEE10hipError_tPvRmT2_T3_T4_T5_mT6_T7_P12ihipStream_tbENKUlT_T0_E_clISt17integral_constantIbLb0EES10_IbLb1EEEEDaSW_SX_EUlSW_E_NS1_11comp_targetILNS1_3genE5ELNS1_11target_archE942ELNS1_3gpuE9ELNS1_3repE0EEENS1_30default_config_static_selectorELNS0_4arch9wavefront6targetE0EEEvT1_
		.amdhsa_group_segment_fixed_size 0
		.amdhsa_private_segment_fixed_size 0
		.amdhsa_kernarg_size 136
		.amdhsa_user_sgpr_count 6
		.amdhsa_user_sgpr_private_segment_buffer 1
		.amdhsa_user_sgpr_dispatch_ptr 0
		.amdhsa_user_sgpr_queue_ptr 0
		.amdhsa_user_sgpr_kernarg_segment_ptr 1
		.amdhsa_user_sgpr_dispatch_id 0
		.amdhsa_user_sgpr_flat_scratch_init 0
		.amdhsa_user_sgpr_private_segment_size 0
		.amdhsa_wavefront_size32 1
		.amdhsa_uses_dynamic_stack 0
		.amdhsa_system_sgpr_private_segment_wavefront_offset 0
		.amdhsa_system_sgpr_workgroup_id_x 1
		.amdhsa_system_sgpr_workgroup_id_y 0
		.amdhsa_system_sgpr_workgroup_id_z 0
		.amdhsa_system_sgpr_workgroup_info 0
		.amdhsa_system_vgpr_workitem_id 0
		.amdhsa_next_free_vgpr 1
		.amdhsa_next_free_sgpr 1
		.amdhsa_reserve_vcc 0
		.amdhsa_reserve_flat_scratch 0
		.amdhsa_float_round_mode_32 0
		.amdhsa_float_round_mode_16_64 0
		.amdhsa_float_denorm_mode_32 3
		.amdhsa_float_denorm_mode_16_64 3
		.amdhsa_dx10_clamp 1
		.amdhsa_ieee_mode 1
		.amdhsa_fp16_overflow 0
		.amdhsa_workgroup_processor_mode 1
		.amdhsa_memory_ordered 1
		.amdhsa_forward_progress 1
		.amdhsa_shared_vgpr_count 0
		.amdhsa_exception_fp_ieee_invalid_op 0
		.amdhsa_exception_fp_denorm_src 0
		.amdhsa_exception_fp_ieee_div_zero 0
		.amdhsa_exception_fp_ieee_overflow 0
		.amdhsa_exception_fp_ieee_underflow 0
		.amdhsa_exception_fp_ieee_inexact 0
		.amdhsa_exception_int_div_zero 0
	.end_amdhsa_kernel
	.section	.text._ZN7rocprim17ROCPRIM_400000_NS6detail17trampoline_kernelINS0_14default_configENS1_27scan_by_key_config_selectorIiyEEZZNS1_16scan_by_key_implILNS1_25lookback_scan_determinismE0ELb1ES3_N6thrust23THRUST_200600_302600_NS6detail15normal_iteratorINS9_10device_ptrIiEEEENSB_INSC_IyEEEESG_yNS9_4plusIvEENS9_8equal_toIvEEyEE10hipError_tPvRmT2_T3_T4_T5_mT6_T7_P12ihipStream_tbENKUlT_T0_E_clISt17integral_constantIbLb0EES10_IbLb1EEEEDaSW_SX_EUlSW_E_NS1_11comp_targetILNS1_3genE5ELNS1_11target_archE942ELNS1_3gpuE9ELNS1_3repE0EEENS1_30default_config_static_selectorELNS0_4arch9wavefront6targetE0EEEvT1_,"axG",@progbits,_ZN7rocprim17ROCPRIM_400000_NS6detail17trampoline_kernelINS0_14default_configENS1_27scan_by_key_config_selectorIiyEEZZNS1_16scan_by_key_implILNS1_25lookback_scan_determinismE0ELb1ES3_N6thrust23THRUST_200600_302600_NS6detail15normal_iteratorINS9_10device_ptrIiEEEENSB_INSC_IyEEEESG_yNS9_4plusIvEENS9_8equal_toIvEEyEE10hipError_tPvRmT2_T3_T4_T5_mT6_T7_P12ihipStream_tbENKUlT_T0_E_clISt17integral_constantIbLb0EES10_IbLb1EEEEDaSW_SX_EUlSW_E_NS1_11comp_targetILNS1_3genE5ELNS1_11target_archE942ELNS1_3gpuE9ELNS1_3repE0EEENS1_30default_config_static_selectorELNS0_4arch9wavefront6targetE0EEEvT1_,comdat
.Lfunc_end1492:
	.size	_ZN7rocprim17ROCPRIM_400000_NS6detail17trampoline_kernelINS0_14default_configENS1_27scan_by_key_config_selectorIiyEEZZNS1_16scan_by_key_implILNS1_25lookback_scan_determinismE0ELb1ES3_N6thrust23THRUST_200600_302600_NS6detail15normal_iteratorINS9_10device_ptrIiEEEENSB_INSC_IyEEEESG_yNS9_4plusIvEENS9_8equal_toIvEEyEE10hipError_tPvRmT2_T3_T4_T5_mT6_T7_P12ihipStream_tbENKUlT_T0_E_clISt17integral_constantIbLb0EES10_IbLb1EEEEDaSW_SX_EUlSW_E_NS1_11comp_targetILNS1_3genE5ELNS1_11target_archE942ELNS1_3gpuE9ELNS1_3repE0EEENS1_30default_config_static_selectorELNS0_4arch9wavefront6targetE0EEEvT1_, .Lfunc_end1492-_ZN7rocprim17ROCPRIM_400000_NS6detail17trampoline_kernelINS0_14default_configENS1_27scan_by_key_config_selectorIiyEEZZNS1_16scan_by_key_implILNS1_25lookback_scan_determinismE0ELb1ES3_N6thrust23THRUST_200600_302600_NS6detail15normal_iteratorINS9_10device_ptrIiEEEENSB_INSC_IyEEEESG_yNS9_4plusIvEENS9_8equal_toIvEEyEE10hipError_tPvRmT2_T3_T4_T5_mT6_T7_P12ihipStream_tbENKUlT_T0_E_clISt17integral_constantIbLb0EES10_IbLb1EEEEDaSW_SX_EUlSW_E_NS1_11comp_targetILNS1_3genE5ELNS1_11target_archE942ELNS1_3gpuE9ELNS1_3repE0EEENS1_30default_config_static_selectorELNS0_4arch9wavefront6targetE0EEEvT1_
                                        ; -- End function
	.set _ZN7rocprim17ROCPRIM_400000_NS6detail17trampoline_kernelINS0_14default_configENS1_27scan_by_key_config_selectorIiyEEZZNS1_16scan_by_key_implILNS1_25lookback_scan_determinismE0ELb1ES3_N6thrust23THRUST_200600_302600_NS6detail15normal_iteratorINS9_10device_ptrIiEEEENSB_INSC_IyEEEESG_yNS9_4plusIvEENS9_8equal_toIvEEyEE10hipError_tPvRmT2_T3_T4_T5_mT6_T7_P12ihipStream_tbENKUlT_T0_E_clISt17integral_constantIbLb0EES10_IbLb1EEEEDaSW_SX_EUlSW_E_NS1_11comp_targetILNS1_3genE5ELNS1_11target_archE942ELNS1_3gpuE9ELNS1_3repE0EEENS1_30default_config_static_selectorELNS0_4arch9wavefront6targetE0EEEvT1_.num_vgpr, 0
	.set _ZN7rocprim17ROCPRIM_400000_NS6detail17trampoline_kernelINS0_14default_configENS1_27scan_by_key_config_selectorIiyEEZZNS1_16scan_by_key_implILNS1_25lookback_scan_determinismE0ELb1ES3_N6thrust23THRUST_200600_302600_NS6detail15normal_iteratorINS9_10device_ptrIiEEEENSB_INSC_IyEEEESG_yNS9_4plusIvEENS9_8equal_toIvEEyEE10hipError_tPvRmT2_T3_T4_T5_mT6_T7_P12ihipStream_tbENKUlT_T0_E_clISt17integral_constantIbLb0EES10_IbLb1EEEEDaSW_SX_EUlSW_E_NS1_11comp_targetILNS1_3genE5ELNS1_11target_archE942ELNS1_3gpuE9ELNS1_3repE0EEENS1_30default_config_static_selectorELNS0_4arch9wavefront6targetE0EEEvT1_.num_agpr, 0
	.set _ZN7rocprim17ROCPRIM_400000_NS6detail17trampoline_kernelINS0_14default_configENS1_27scan_by_key_config_selectorIiyEEZZNS1_16scan_by_key_implILNS1_25lookback_scan_determinismE0ELb1ES3_N6thrust23THRUST_200600_302600_NS6detail15normal_iteratorINS9_10device_ptrIiEEEENSB_INSC_IyEEEESG_yNS9_4plusIvEENS9_8equal_toIvEEyEE10hipError_tPvRmT2_T3_T4_T5_mT6_T7_P12ihipStream_tbENKUlT_T0_E_clISt17integral_constantIbLb0EES10_IbLb1EEEEDaSW_SX_EUlSW_E_NS1_11comp_targetILNS1_3genE5ELNS1_11target_archE942ELNS1_3gpuE9ELNS1_3repE0EEENS1_30default_config_static_selectorELNS0_4arch9wavefront6targetE0EEEvT1_.numbered_sgpr, 0
	.set _ZN7rocprim17ROCPRIM_400000_NS6detail17trampoline_kernelINS0_14default_configENS1_27scan_by_key_config_selectorIiyEEZZNS1_16scan_by_key_implILNS1_25lookback_scan_determinismE0ELb1ES3_N6thrust23THRUST_200600_302600_NS6detail15normal_iteratorINS9_10device_ptrIiEEEENSB_INSC_IyEEEESG_yNS9_4plusIvEENS9_8equal_toIvEEyEE10hipError_tPvRmT2_T3_T4_T5_mT6_T7_P12ihipStream_tbENKUlT_T0_E_clISt17integral_constantIbLb0EES10_IbLb1EEEEDaSW_SX_EUlSW_E_NS1_11comp_targetILNS1_3genE5ELNS1_11target_archE942ELNS1_3gpuE9ELNS1_3repE0EEENS1_30default_config_static_selectorELNS0_4arch9wavefront6targetE0EEEvT1_.num_named_barrier, 0
	.set _ZN7rocprim17ROCPRIM_400000_NS6detail17trampoline_kernelINS0_14default_configENS1_27scan_by_key_config_selectorIiyEEZZNS1_16scan_by_key_implILNS1_25lookback_scan_determinismE0ELb1ES3_N6thrust23THRUST_200600_302600_NS6detail15normal_iteratorINS9_10device_ptrIiEEEENSB_INSC_IyEEEESG_yNS9_4plusIvEENS9_8equal_toIvEEyEE10hipError_tPvRmT2_T3_T4_T5_mT6_T7_P12ihipStream_tbENKUlT_T0_E_clISt17integral_constantIbLb0EES10_IbLb1EEEEDaSW_SX_EUlSW_E_NS1_11comp_targetILNS1_3genE5ELNS1_11target_archE942ELNS1_3gpuE9ELNS1_3repE0EEENS1_30default_config_static_selectorELNS0_4arch9wavefront6targetE0EEEvT1_.private_seg_size, 0
	.set _ZN7rocprim17ROCPRIM_400000_NS6detail17trampoline_kernelINS0_14default_configENS1_27scan_by_key_config_selectorIiyEEZZNS1_16scan_by_key_implILNS1_25lookback_scan_determinismE0ELb1ES3_N6thrust23THRUST_200600_302600_NS6detail15normal_iteratorINS9_10device_ptrIiEEEENSB_INSC_IyEEEESG_yNS9_4plusIvEENS9_8equal_toIvEEyEE10hipError_tPvRmT2_T3_T4_T5_mT6_T7_P12ihipStream_tbENKUlT_T0_E_clISt17integral_constantIbLb0EES10_IbLb1EEEEDaSW_SX_EUlSW_E_NS1_11comp_targetILNS1_3genE5ELNS1_11target_archE942ELNS1_3gpuE9ELNS1_3repE0EEENS1_30default_config_static_selectorELNS0_4arch9wavefront6targetE0EEEvT1_.uses_vcc, 0
	.set _ZN7rocprim17ROCPRIM_400000_NS6detail17trampoline_kernelINS0_14default_configENS1_27scan_by_key_config_selectorIiyEEZZNS1_16scan_by_key_implILNS1_25lookback_scan_determinismE0ELb1ES3_N6thrust23THRUST_200600_302600_NS6detail15normal_iteratorINS9_10device_ptrIiEEEENSB_INSC_IyEEEESG_yNS9_4plusIvEENS9_8equal_toIvEEyEE10hipError_tPvRmT2_T3_T4_T5_mT6_T7_P12ihipStream_tbENKUlT_T0_E_clISt17integral_constantIbLb0EES10_IbLb1EEEEDaSW_SX_EUlSW_E_NS1_11comp_targetILNS1_3genE5ELNS1_11target_archE942ELNS1_3gpuE9ELNS1_3repE0EEENS1_30default_config_static_selectorELNS0_4arch9wavefront6targetE0EEEvT1_.uses_flat_scratch, 0
	.set _ZN7rocprim17ROCPRIM_400000_NS6detail17trampoline_kernelINS0_14default_configENS1_27scan_by_key_config_selectorIiyEEZZNS1_16scan_by_key_implILNS1_25lookback_scan_determinismE0ELb1ES3_N6thrust23THRUST_200600_302600_NS6detail15normal_iteratorINS9_10device_ptrIiEEEENSB_INSC_IyEEEESG_yNS9_4plusIvEENS9_8equal_toIvEEyEE10hipError_tPvRmT2_T3_T4_T5_mT6_T7_P12ihipStream_tbENKUlT_T0_E_clISt17integral_constantIbLb0EES10_IbLb1EEEEDaSW_SX_EUlSW_E_NS1_11comp_targetILNS1_3genE5ELNS1_11target_archE942ELNS1_3gpuE9ELNS1_3repE0EEENS1_30default_config_static_selectorELNS0_4arch9wavefront6targetE0EEEvT1_.has_dyn_sized_stack, 0
	.set _ZN7rocprim17ROCPRIM_400000_NS6detail17trampoline_kernelINS0_14default_configENS1_27scan_by_key_config_selectorIiyEEZZNS1_16scan_by_key_implILNS1_25lookback_scan_determinismE0ELb1ES3_N6thrust23THRUST_200600_302600_NS6detail15normal_iteratorINS9_10device_ptrIiEEEENSB_INSC_IyEEEESG_yNS9_4plusIvEENS9_8equal_toIvEEyEE10hipError_tPvRmT2_T3_T4_T5_mT6_T7_P12ihipStream_tbENKUlT_T0_E_clISt17integral_constantIbLb0EES10_IbLb1EEEEDaSW_SX_EUlSW_E_NS1_11comp_targetILNS1_3genE5ELNS1_11target_archE942ELNS1_3gpuE9ELNS1_3repE0EEENS1_30default_config_static_selectorELNS0_4arch9wavefront6targetE0EEEvT1_.has_recursion, 0
	.set _ZN7rocprim17ROCPRIM_400000_NS6detail17trampoline_kernelINS0_14default_configENS1_27scan_by_key_config_selectorIiyEEZZNS1_16scan_by_key_implILNS1_25lookback_scan_determinismE0ELb1ES3_N6thrust23THRUST_200600_302600_NS6detail15normal_iteratorINS9_10device_ptrIiEEEENSB_INSC_IyEEEESG_yNS9_4plusIvEENS9_8equal_toIvEEyEE10hipError_tPvRmT2_T3_T4_T5_mT6_T7_P12ihipStream_tbENKUlT_T0_E_clISt17integral_constantIbLb0EES10_IbLb1EEEEDaSW_SX_EUlSW_E_NS1_11comp_targetILNS1_3genE5ELNS1_11target_archE942ELNS1_3gpuE9ELNS1_3repE0EEENS1_30default_config_static_selectorELNS0_4arch9wavefront6targetE0EEEvT1_.has_indirect_call, 0
	.section	.AMDGPU.csdata,"",@progbits
; Kernel info:
; codeLenInByte = 0
; TotalNumSgprs: 0
; NumVgprs: 0
; ScratchSize: 0
; MemoryBound: 0
; FloatMode: 240
; IeeeMode: 1
; LDSByteSize: 0 bytes/workgroup (compile time only)
; SGPRBlocks: 0
; VGPRBlocks: 0
; NumSGPRsForWavesPerEU: 1
; NumVGPRsForWavesPerEU: 1
; Occupancy: 16
; WaveLimiterHint : 0
; COMPUTE_PGM_RSRC2:SCRATCH_EN: 0
; COMPUTE_PGM_RSRC2:USER_SGPR: 6
; COMPUTE_PGM_RSRC2:TRAP_HANDLER: 0
; COMPUTE_PGM_RSRC2:TGID_X_EN: 1
; COMPUTE_PGM_RSRC2:TGID_Y_EN: 0
; COMPUTE_PGM_RSRC2:TGID_Z_EN: 0
; COMPUTE_PGM_RSRC2:TIDIG_COMP_CNT: 0
	.section	.text._ZN7rocprim17ROCPRIM_400000_NS6detail17trampoline_kernelINS0_14default_configENS1_27scan_by_key_config_selectorIiyEEZZNS1_16scan_by_key_implILNS1_25lookback_scan_determinismE0ELb1ES3_N6thrust23THRUST_200600_302600_NS6detail15normal_iteratorINS9_10device_ptrIiEEEENSB_INSC_IyEEEESG_yNS9_4plusIvEENS9_8equal_toIvEEyEE10hipError_tPvRmT2_T3_T4_T5_mT6_T7_P12ihipStream_tbENKUlT_T0_E_clISt17integral_constantIbLb0EES10_IbLb1EEEEDaSW_SX_EUlSW_E_NS1_11comp_targetILNS1_3genE4ELNS1_11target_archE910ELNS1_3gpuE8ELNS1_3repE0EEENS1_30default_config_static_selectorELNS0_4arch9wavefront6targetE0EEEvT1_,"axG",@progbits,_ZN7rocprim17ROCPRIM_400000_NS6detail17trampoline_kernelINS0_14default_configENS1_27scan_by_key_config_selectorIiyEEZZNS1_16scan_by_key_implILNS1_25lookback_scan_determinismE0ELb1ES3_N6thrust23THRUST_200600_302600_NS6detail15normal_iteratorINS9_10device_ptrIiEEEENSB_INSC_IyEEEESG_yNS9_4plusIvEENS9_8equal_toIvEEyEE10hipError_tPvRmT2_T3_T4_T5_mT6_T7_P12ihipStream_tbENKUlT_T0_E_clISt17integral_constantIbLb0EES10_IbLb1EEEEDaSW_SX_EUlSW_E_NS1_11comp_targetILNS1_3genE4ELNS1_11target_archE910ELNS1_3gpuE8ELNS1_3repE0EEENS1_30default_config_static_selectorELNS0_4arch9wavefront6targetE0EEEvT1_,comdat
	.protected	_ZN7rocprim17ROCPRIM_400000_NS6detail17trampoline_kernelINS0_14default_configENS1_27scan_by_key_config_selectorIiyEEZZNS1_16scan_by_key_implILNS1_25lookback_scan_determinismE0ELb1ES3_N6thrust23THRUST_200600_302600_NS6detail15normal_iteratorINS9_10device_ptrIiEEEENSB_INSC_IyEEEESG_yNS9_4plusIvEENS9_8equal_toIvEEyEE10hipError_tPvRmT2_T3_T4_T5_mT6_T7_P12ihipStream_tbENKUlT_T0_E_clISt17integral_constantIbLb0EES10_IbLb1EEEEDaSW_SX_EUlSW_E_NS1_11comp_targetILNS1_3genE4ELNS1_11target_archE910ELNS1_3gpuE8ELNS1_3repE0EEENS1_30default_config_static_selectorELNS0_4arch9wavefront6targetE0EEEvT1_ ; -- Begin function _ZN7rocprim17ROCPRIM_400000_NS6detail17trampoline_kernelINS0_14default_configENS1_27scan_by_key_config_selectorIiyEEZZNS1_16scan_by_key_implILNS1_25lookback_scan_determinismE0ELb1ES3_N6thrust23THRUST_200600_302600_NS6detail15normal_iteratorINS9_10device_ptrIiEEEENSB_INSC_IyEEEESG_yNS9_4plusIvEENS9_8equal_toIvEEyEE10hipError_tPvRmT2_T3_T4_T5_mT6_T7_P12ihipStream_tbENKUlT_T0_E_clISt17integral_constantIbLb0EES10_IbLb1EEEEDaSW_SX_EUlSW_E_NS1_11comp_targetILNS1_3genE4ELNS1_11target_archE910ELNS1_3gpuE8ELNS1_3repE0EEENS1_30default_config_static_selectorELNS0_4arch9wavefront6targetE0EEEvT1_
	.globl	_ZN7rocprim17ROCPRIM_400000_NS6detail17trampoline_kernelINS0_14default_configENS1_27scan_by_key_config_selectorIiyEEZZNS1_16scan_by_key_implILNS1_25lookback_scan_determinismE0ELb1ES3_N6thrust23THRUST_200600_302600_NS6detail15normal_iteratorINS9_10device_ptrIiEEEENSB_INSC_IyEEEESG_yNS9_4plusIvEENS9_8equal_toIvEEyEE10hipError_tPvRmT2_T3_T4_T5_mT6_T7_P12ihipStream_tbENKUlT_T0_E_clISt17integral_constantIbLb0EES10_IbLb1EEEEDaSW_SX_EUlSW_E_NS1_11comp_targetILNS1_3genE4ELNS1_11target_archE910ELNS1_3gpuE8ELNS1_3repE0EEENS1_30default_config_static_selectorELNS0_4arch9wavefront6targetE0EEEvT1_
	.p2align	8
	.type	_ZN7rocprim17ROCPRIM_400000_NS6detail17trampoline_kernelINS0_14default_configENS1_27scan_by_key_config_selectorIiyEEZZNS1_16scan_by_key_implILNS1_25lookback_scan_determinismE0ELb1ES3_N6thrust23THRUST_200600_302600_NS6detail15normal_iteratorINS9_10device_ptrIiEEEENSB_INSC_IyEEEESG_yNS9_4plusIvEENS9_8equal_toIvEEyEE10hipError_tPvRmT2_T3_T4_T5_mT6_T7_P12ihipStream_tbENKUlT_T0_E_clISt17integral_constantIbLb0EES10_IbLb1EEEEDaSW_SX_EUlSW_E_NS1_11comp_targetILNS1_3genE4ELNS1_11target_archE910ELNS1_3gpuE8ELNS1_3repE0EEENS1_30default_config_static_selectorELNS0_4arch9wavefront6targetE0EEEvT1_,@function
_ZN7rocprim17ROCPRIM_400000_NS6detail17trampoline_kernelINS0_14default_configENS1_27scan_by_key_config_selectorIiyEEZZNS1_16scan_by_key_implILNS1_25lookback_scan_determinismE0ELb1ES3_N6thrust23THRUST_200600_302600_NS6detail15normal_iteratorINS9_10device_ptrIiEEEENSB_INSC_IyEEEESG_yNS9_4plusIvEENS9_8equal_toIvEEyEE10hipError_tPvRmT2_T3_T4_T5_mT6_T7_P12ihipStream_tbENKUlT_T0_E_clISt17integral_constantIbLb0EES10_IbLb1EEEEDaSW_SX_EUlSW_E_NS1_11comp_targetILNS1_3genE4ELNS1_11target_archE910ELNS1_3gpuE8ELNS1_3repE0EEENS1_30default_config_static_selectorELNS0_4arch9wavefront6targetE0EEEvT1_: ; @_ZN7rocprim17ROCPRIM_400000_NS6detail17trampoline_kernelINS0_14default_configENS1_27scan_by_key_config_selectorIiyEEZZNS1_16scan_by_key_implILNS1_25lookback_scan_determinismE0ELb1ES3_N6thrust23THRUST_200600_302600_NS6detail15normal_iteratorINS9_10device_ptrIiEEEENSB_INSC_IyEEEESG_yNS9_4plusIvEENS9_8equal_toIvEEyEE10hipError_tPvRmT2_T3_T4_T5_mT6_T7_P12ihipStream_tbENKUlT_T0_E_clISt17integral_constantIbLb0EES10_IbLb1EEEEDaSW_SX_EUlSW_E_NS1_11comp_targetILNS1_3genE4ELNS1_11target_archE910ELNS1_3gpuE8ELNS1_3repE0EEENS1_30default_config_static_selectorELNS0_4arch9wavefront6targetE0EEEvT1_
; %bb.0:
	.section	.rodata,"a",@progbits
	.p2align	6, 0x0
	.amdhsa_kernel _ZN7rocprim17ROCPRIM_400000_NS6detail17trampoline_kernelINS0_14default_configENS1_27scan_by_key_config_selectorIiyEEZZNS1_16scan_by_key_implILNS1_25lookback_scan_determinismE0ELb1ES3_N6thrust23THRUST_200600_302600_NS6detail15normal_iteratorINS9_10device_ptrIiEEEENSB_INSC_IyEEEESG_yNS9_4plusIvEENS9_8equal_toIvEEyEE10hipError_tPvRmT2_T3_T4_T5_mT6_T7_P12ihipStream_tbENKUlT_T0_E_clISt17integral_constantIbLb0EES10_IbLb1EEEEDaSW_SX_EUlSW_E_NS1_11comp_targetILNS1_3genE4ELNS1_11target_archE910ELNS1_3gpuE8ELNS1_3repE0EEENS1_30default_config_static_selectorELNS0_4arch9wavefront6targetE0EEEvT1_
		.amdhsa_group_segment_fixed_size 0
		.amdhsa_private_segment_fixed_size 0
		.amdhsa_kernarg_size 136
		.amdhsa_user_sgpr_count 6
		.amdhsa_user_sgpr_private_segment_buffer 1
		.amdhsa_user_sgpr_dispatch_ptr 0
		.amdhsa_user_sgpr_queue_ptr 0
		.amdhsa_user_sgpr_kernarg_segment_ptr 1
		.amdhsa_user_sgpr_dispatch_id 0
		.amdhsa_user_sgpr_flat_scratch_init 0
		.amdhsa_user_sgpr_private_segment_size 0
		.amdhsa_wavefront_size32 1
		.amdhsa_uses_dynamic_stack 0
		.amdhsa_system_sgpr_private_segment_wavefront_offset 0
		.amdhsa_system_sgpr_workgroup_id_x 1
		.amdhsa_system_sgpr_workgroup_id_y 0
		.amdhsa_system_sgpr_workgroup_id_z 0
		.amdhsa_system_sgpr_workgroup_info 0
		.amdhsa_system_vgpr_workitem_id 0
		.amdhsa_next_free_vgpr 1
		.amdhsa_next_free_sgpr 1
		.amdhsa_reserve_vcc 0
		.amdhsa_reserve_flat_scratch 0
		.amdhsa_float_round_mode_32 0
		.amdhsa_float_round_mode_16_64 0
		.amdhsa_float_denorm_mode_32 3
		.amdhsa_float_denorm_mode_16_64 3
		.amdhsa_dx10_clamp 1
		.amdhsa_ieee_mode 1
		.amdhsa_fp16_overflow 0
		.amdhsa_workgroup_processor_mode 1
		.amdhsa_memory_ordered 1
		.amdhsa_forward_progress 1
		.amdhsa_shared_vgpr_count 0
		.amdhsa_exception_fp_ieee_invalid_op 0
		.amdhsa_exception_fp_denorm_src 0
		.amdhsa_exception_fp_ieee_div_zero 0
		.amdhsa_exception_fp_ieee_overflow 0
		.amdhsa_exception_fp_ieee_underflow 0
		.amdhsa_exception_fp_ieee_inexact 0
		.amdhsa_exception_int_div_zero 0
	.end_amdhsa_kernel
	.section	.text._ZN7rocprim17ROCPRIM_400000_NS6detail17trampoline_kernelINS0_14default_configENS1_27scan_by_key_config_selectorIiyEEZZNS1_16scan_by_key_implILNS1_25lookback_scan_determinismE0ELb1ES3_N6thrust23THRUST_200600_302600_NS6detail15normal_iteratorINS9_10device_ptrIiEEEENSB_INSC_IyEEEESG_yNS9_4plusIvEENS9_8equal_toIvEEyEE10hipError_tPvRmT2_T3_T4_T5_mT6_T7_P12ihipStream_tbENKUlT_T0_E_clISt17integral_constantIbLb0EES10_IbLb1EEEEDaSW_SX_EUlSW_E_NS1_11comp_targetILNS1_3genE4ELNS1_11target_archE910ELNS1_3gpuE8ELNS1_3repE0EEENS1_30default_config_static_selectorELNS0_4arch9wavefront6targetE0EEEvT1_,"axG",@progbits,_ZN7rocprim17ROCPRIM_400000_NS6detail17trampoline_kernelINS0_14default_configENS1_27scan_by_key_config_selectorIiyEEZZNS1_16scan_by_key_implILNS1_25lookback_scan_determinismE0ELb1ES3_N6thrust23THRUST_200600_302600_NS6detail15normal_iteratorINS9_10device_ptrIiEEEENSB_INSC_IyEEEESG_yNS9_4plusIvEENS9_8equal_toIvEEyEE10hipError_tPvRmT2_T3_T4_T5_mT6_T7_P12ihipStream_tbENKUlT_T0_E_clISt17integral_constantIbLb0EES10_IbLb1EEEEDaSW_SX_EUlSW_E_NS1_11comp_targetILNS1_3genE4ELNS1_11target_archE910ELNS1_3gpuE8ELNS1_3repE0EEENS1_30default_config_static_selectorELNS0_4arch9wavefront6targetE0EEEvT1_,comdat
.Lfunc_end1493:
	.size	_ZN7rocprim17ROCPRIM_400000_NS6detail17trampoline_kernelINS0_14default_configENS1_27scan_by_key_config_selectorIiyEEZZNS1_16scan_by_key_implILNS1_25lookback_scan_determinismE0ELb1ES3_N6thrust23THRUST_200600_302600_NS6detail15normal_iteratorINS9_10device_ptrIiEEEENSB_INSC_IyEEEESG_yNS9_4plusIvEENS9_8equal_toIvEEyEE10hipError_tPvRmT2_T3_T4_T5_mT6_T7_P12ihipStream_tbENKUlT_T0_E_clISt17integral_constantIbLb0EES10_IbLb1EEEEDaSW_SX_EUlSW_E_NS1_11comp_targetILNS1_3genE4ELNS1_11target_archE910ELNS1_3gpuE8ELNS1_3repE0EEENS1_30default_config_static_selectorELNS0_4arch9wavefront6targetE0EEEvT1_, .Lfunc_end1493-_ZN7rocprim17ROCPRIM_400000_NS6detail17trampoline_kernelINS0_14default_configENS1_27scan_by_key_config_selectorIiyEEZZNS1_16scan_by_key_implILNS1_25lookback_scan_determinismE0ELb1ES3_N6thrust23THRUST_200600_302600_NS6detail15normal_iteratorINS9_10device_ptrIiEEEENSB_INSC_IyEEEESG_yNS9_4plusIvEENS9_8equal_toIvEEyEE10hipError_tPvRmT2_T3_T4_T5_mT6_T7_P12ihipStream_tbENKUlT_T0_E_clISt17integral_constantIbLb0EES10_IbLb1EEEEDaSW_SX_EUlSW_E_NS1_11comp_targetILNS1_3genE4ELNS1_11target_archE910ELNS1_3gpuE8ELNS1_3repE0EEENS1_30default_config_static_selectorELNS0_4arch9wavefront6targetE0EEEvT1_
                                        ; -- End function
	.set _ZN7rocprim17ROCPRIM_400000_NS6detail17trampoline_kernelINS0_14default_configENS1_27scan_by_key_config_selectorIiyEEZZNS1_16scan_by_key_implILNS1_25lookback_scan_determinismE0ELb1ES3_N6thrust23THRUST_200600_302600_NS6detail15normal_iteratorINS9_10device_ptrIiEEEENSB_INSC_IyEEEESG_yNS9_4plusIvEENS9_8equal_toIvEEyEE10hipError_tPvRmT2_T3_T4_T5_mT6_T7_P12ihipStream_tbENKUlT_T0_E_clISt17integral_constantIbLb0EES10_IbLb1EEEEDaSW_SX_EUlSW_E_NS1_11comp_targetILNS1_3genE4ELNS1_11target_archE910ELNS1_3gpuE8ELNS1_3repE0EEENS1_30default_config_static_selectorELNS0_4arch9wavefront6targetE0EEEvT1_.num_vgpr, 0
	.set _ZN7rocprim17ROCPRIM_400000_NS6detail17trampoline_kernelINS0_14default_configENS1_27scan_by_key_config_selectorIiyEEZZNS1_16scan_by_key_implILNS1_25lookback_scan_determinismE0ELb1ES3_N6thrust23THRUST_200600_302600_NS6detail15normal_iteratorINS9_10device_ptrIiEEEENSB_INSC_IyEEEESG_yNS9_4plusIvEENS9_8equal_toIvEEyEE10hipError_tPvRmT2_T3_T4_T5_mT6_T7_P12ihipStream_tbENKUlT_T0_E_clISt17integral_constantIbLb0EES10_IbLb1EEEEDaSW_SX_EUlSW_E_NS1_11comp_targetILNS1_3genE4ELNS1_11target_archE910ELNS1_3gpuE8ELNS1_3repE0EEENS1_30default_config_static_selectorELNS0_4arch9wavefront6targetE0EEEvT1_.num_agpr, 0
	.set _ZN7rocprim17ROCPRIM_400000_NS6detail17trampoline_kernelINS0_14default_configENS1_27scan_by_key_config_selectorIiyEEZZNS1_16scan_by_key_implILNS1_25lookback_scan_determinismE0ELb1ES3_N6thrust23THRUST_200600_302600_NS6detail15normal_iteratorINS9_10device_ptrIiEEEENSB_INSC_IyEEEESG_yNS9_4plusIvEENS9_8equal_toIvEEyEE10hipError_tPvRmT2_T3_T4_T5_mT6_T7_P12ihipStream_tbENKUlT_T0_E_clISt17integral_constantIbLb0EES10_IbLb1EEEEDaSW_SX_EUlSW_E_NS1_11comp_targetILNS1_3genE4ELNS1_11target_archE910ELNS1_3gpuE8ELNS1_3repE0EEENS1_30default_config_static_selectorELNS0_4arch9wavefront6targetE0EEEvT1_.numbered_sgpr, 0
	.set _ZN7rocprim17ROCPRIM_400000_NS6detail17trampoline_kernelINS0_14default_configENS1_27scan_by_key_config_selectorIiyEEZZNS1_16scan_by_key_implILNS1_25lookback_scan_determinismE0ELb1ES3_N6thrust23THRUST_200600_302600_NS6detail15normal_iteratorINS9_10device_ptrIiEEEENSB_INSC_IyEEEESG_yNS9_4plusIvEENS9_8equal_toIvEEyEE10hipError_tPvRmT2_T3_T4_T5_mT6_T7_P12ihipStream_tbENKUlT_T0_E_clISt17integral_constantIbLb0EES10_IbLb1EEEEDaSW_SX_EUlSW_E_NS1_11comp_targetILNS1_3genE4ELNS1_11target_archE910ELNS1_3gpuE8ELNS1_3repE0EEENS1_30default_config_static_selectorELNS0_4arch9wavefront6targetE0EEEvT1_.num_named_barrier, 0
	.set _ZN7rocprim17ROCPRIM_400000_NS6detail17trampoline_kernelINS0_14default_configENS1_27scan_by_key_config_selectorIiyEEZZNS1_16scan_by_key_implILNS1_25lookback_scan_determinismE0ELb1ES3_N6thrust23THRUST_200600_302600_NS6detail15normal_iteratorINS9_10device_ptrIiEEEENSB_INSC_IyEEEESG_yNS9_4plusIvEENS9_8equal_toIvEEyEE10hipError_tPvRmT2_T3_T4_T5_mT6_T7_P12ihipStream_tbENKUlT_T0_E_clISt17integral_constantIbLb0EES10_IbLb1EEEEDaSW_SX_EUlSW_E_NS1_11comp_targetILNS1_3genE4ELNS1_11target_archE910ELNS1_3gpuE8ELNS1_3repE0EEENS1_30default_config_static_selectorELNS0_4arch9wavefront6targetE0EEEvT1_.private_seg_size, 0
	.set _ZN7rocprim17ROCPRIM_400000_NS6detail17trampoline_kernelINS0_14default_configENS1_27scan_by_key_config_selectorIiyEEZZNS1_16scan_by_key_implILNS1_25lookback_scan_determinismE0ELb1ES3_N6thrust23THRUST_200600_302600_NS6detail15normal_iteratorINS9_10device_ptrIiEEEENSB_INSC_IyEEEESG_yNS9_4plusIvEENS9_8equal_toIvEEyEE10hipError_tPvRmT2_T3_T4_T5_mT6_T7_P12ihipStream_tbENKUlT_T0_E_clISt17integral_constantIbLb0EES10_IbLb1EEEEDaSW_SX_EUlSW_E_NS1_11comp_targetILNS1_3genE4ELNS1_11target_archE910ELNS1_3gpuE8ELNS1_3repE0EEENS1_30default_config_static_selectorELNS0_4arch9wavefront6targetE0EEEvT1_.uses_vcc, 0
	.set _ZN7rocprim17ROCPRIM_400000_NS6detail17trampoline_kernelINS0_14default_configENS1_27scan_by_key_config_selectorIiyEEZZNS1_16scan_by_key_implILNS1_25lookback_scan_determinismE0ELb1ES3_N6thrust23THRUST_200600_302600_NS6detail15normal_iteratorINS9_10device_ptrIiEEEENSB_INSC_IyEEEESG_yNS9_4plusIvEENS9_8equal_toIvEEyEE10hipError_tPvRmT2_T3_T4_T5_mT6_T7_P12ihipStream_tbENKUlT_T0_E_clISt17integral_constantIbLb0EES10_IbLb1EEEEDaSW_SX_EUlSW_E_NS1_11comp_targetILNS1_3genE4ELNS1_11target_archE910ELNS1_3gpuE8ELNS1_3repE0EEENS1_30default_config_static_selectorELNS0_4arch9wavefront6targetE0EEEvT1_.uses_flat_scratch, 0
	.set _ZN7rocprim17ROCPRIM_400000_NS6detail17trampoline_kernelINS0_14default_configENS1_27scan_by_key_config_selectorIiyEEZZNS1_16scan_by_key_implILNS1_25lookback_scan_determinismE0ELb1ES3_N6thrust23THRUST_200600_302600_NS6detail15normal_iteratorINS9_10device_ptrIiEEEENSB_INSC_IyEEEESG_yNS9_4plusIvEENS9_8equal_toIvEEyEE10hipError_tPvRmT2_T3_T4_T5_mT6_T7_P12ihipStream_tbENKUlT_T0_E_clISt17integral_constantIbLb0EES10_IbLb1EEEEDaSW_SX_EUlSW_E_NS1_11comp_targetILNS1_3genE4ELNS1_11target_archE910ELNS1_3gpuE8ELNS1_3repE0EEENS1_30default_config_static_selectorELNS0_4arch9wavefront6targetE0EEEvT1_.has_dyn_sized_stack, 0
	.set _ZN7rocprim17ROCPRIM_400000_NS6detail17trampoline_kernelINS0_14default_configENS1_27scan_by_key_config_selectorIiyEEZZNS1_16scan_by_key_implILNS1_25lookback_scan_determinismE0ELb1ES3_N6thrust23THRUST_200600_302600_NS6detail15normal_iteratorINS9_10device_ptrIiEEEENSB_INSC_IyEEEESG_yNS9_4plusIvEENS9_8equal_toIvEEyEE10hipError_tPvRmT2_T3_T4_T5_mT6_T7_P12ihipStream_tbENKUlT_T0_E_clISt17integral_constantIbLb0EES10_IbLb1EEEEDaSW_SX_EUlSW_E_NS1_11comp_targetILNS1_3genE4ELNS1_11target_archE910ELNS1_3gpuE8ELNS1_3repE0EEENS1_30default_config_static_selectorELNS0_4arch9wavefront6targetE0EEEvT1_.has_recursion, 0
	.set _ZN7rocprim17ROCPRIM_400000_NS6detail17trampoline_kernelINS0_14default_configENS1_27scan_by_key_config_selectorIiyEEZZNS1_16scan_by_key_implILNS1_25lookback_scan_determinismE0ELb1ES3_N6thrust23THRUST_200600_302600_NS6detail15normal_iteratorINS9_10device_ptrIiEEEENSB_INSC_IyEEEESG_yNS9_4plusIvEENS9_8equal_toIvEEyEE10hipError_tPvRmT2_T3_T4_T5_mT6_T7_P12ihipStream_tbENKUlT_T0_E_clISt17integral_constantIbLb0EES10_IbLb1EEEEDaSW_SX_EUlSW_E_NS1_11comp_targetILNS1_3genE4ELNS1_11target_archE910ELNS1_3gpuE8ELNS1_3repE0EEENS1_30default_config_static_selectorELNS0_4arch9wavefront6targetE0EEEvT1_.has_indirect_call, 0
	.section	.AMDGPU.csdata,"",@progbits
; Kernel info:
; codeLenInByte = 0
; TotalNumSgprs: 0
; NumVgprs: 0
; ScratchSize: 0
; MemoryBound: 0
; FloatMode: 240
; IeeeMode: 1
; LDSByteSize: 0 bytes/workgroup (compile time only)
; SGPRBlocks: 0
; VGPRBlocks: 0
; NumSGPRsForWavesPerEU: 1
; NumVGPRsForWavesPerEU: 1
; Occupancy: 16
; WaveLimiterHint : 0
; COMPUTE_PGM_RSRC2:SCRATCH_EN: 0
; COMPUTE_PGM_RSRC2:USER_SGPR: 6
; COMPUTE_PGM_RSRC2:TRAP_HANDLER: 0
; COMPUTE_PGM_RSRC2:TGID_X_EN: 1
; COMPUTE_PGM_RSRC2:TGID_Y_EN: 0
; COMPUTE_PGM_RSRC2:TGID_Z_EN: 0
; COMPUTE_PGM_RSRC2:TIDIG_COMP_CNT: 0
	.section	.text._ZN7rocprim17ROCPRIM_400000_NS6detail17trampoline_kernelINS0_14default_configENS1_27scan_by_key_config_selectorIiyEEZZNS1_16scan_by_key_implILNS1_25lookback_scan_determinismE0ELb1ES3_N6thrust23THRUST_200600_302600_NS6detail15normal_iteratorINS9_10device_ptrIiEEEENSB_INSC_IyEEEESG_yNS9_4plusIvEENS9_8equal_toIvEEyEE10hipError_tPvRmT2_T3_T4_T5_mT6_T7_P12ihipStream_tbENKUlT_T0_E_clISt17integral_constantIbLb0EES10_IbLb1EEEEDaSW_SX_EUlSW_E_NS1_11comp_targetILNS1_3genE3ELNS1_11target_archE908ELNS1_3gpuE7ELNS1_3repE0EEENS1_30default_config_static_selectorELNS0_4arch9wavefront6targetE0EEEvT1_,"axG",@progbits,_ZN7rocprim17ROCPRIM_400000_NS6detail17trampoline_kernelINS0_14default_configENS1_27scan_by_key_config_selectorIiyEEZZNS1_16scan_by_key_implILNS1_25lookback_scan_determinismE0ELb1ES3_N6thrust23THRUST_200600_302600_NS6detail15normal_iteratorINS9_10device_ptrIiEEEENSB_INSC_IyEEEESG_yNS9_4plusIvEENS9_8equal_toIvEEyEE10hipError_tPvRmT2_T3_T4_T5_mT6_T7_P12ihipStream_tbENKUlT_T0_E_clISt17integral_constantIbLb0EES10_IbLb1EEEEDaSW_SX_EUlSW_E_NS1_11comp_targetILNS1_3genE3ELNS1_11target_archE908ELNS1_3gpuE7ELNS1_3repE0EEENS1_30default_config_static_selectorELNS0_4arch9wavefront6targetE0EEEvT1_,comdat
	.protected	_ZN7rocprim17ROCPRIM_400000_NS6detail17trampoline_kernelINS0_14default_configENS1_27scan_by_key_config_selectorIiyEEZZNS1_16scan_by_key_implILNS1_25lookback_scan_determinismE0ELb1ES3_N6thrust23THRUST_200600_302600_NS6detail15normal_iteratorINS9_10device_ptrIiEEEENSB_INSC_IyEEEESG_yNS9_4plusIvEENS9_8equal_toIvEEyEE10hipError_tPvRmT2_T3_T4_T5_mT6_T7_P12ihipStream_tbENKUlT_T0_E_clISt17integral_constantIbLb0EES10_IbLb1EEEEDaSW_SX_EUlSW_E_NS1_11comp_targetILNS1_3genE3ELNS1_11target_archE908ELNS1_3gpuE7ELNS1_3repE0EEENS1_30default_config_static_selectorELNS0_4arch9wavefront6targetE0EEEvT1_ ; -- Begin function _ZN7rocprim17ROCPRIM_400000_NS6detail17trampoline_kernelINS0_14default_configENS1_27scan_by_key_config_selectorIiyEEZZNS1_16scan_by_key_implILNS1_25lookback_scan_determinismE0ELb1ES3_N6thrust23THRUST_200600_302600_NS6detail15normal_iteratorINS9_10device_ptrIiEEEENSB_INSC_IyEEEESG_yNS9_4plusIvEENS9_8equal_toIvEEyEE10hipError_tPvRmT2_T3_T4_T5_mT6_T7_P12ihipStream_tbENKUlT_T0_E_clISt17integral_constantIbLb0EES10_IbLb1EEEEDaSW_SX_EUlSW_E_NS1_11comp_targetILNS1_3genE3ELNS1_11target_archE908ELNS1_3gpuE7ELNS1_3repE0EEENS1_30default_config_static_selectorELNS0_4arch9wavefront6targetE0EEEvT1_
	.globl	_ZN7rocprim17ROCPRIM_400000_NS6detail17trampoline_kernelINS0_14default_configENS1_27scan_by_key_config_selectorIiyEEZZNS1_16scan_by_key_implILNS1_25lookback_scan_determinismE0ELb1ES3_N6thrust23THRUST_200600_302600_NS6detail15normal_iteratorINS9_10device_ptrIiEEEENSB_INSC_IyEEEESG_yNS9_4plusIvEENS9_8equal_toIvEEyEE10hipError_tPvRmT2_T3_T4_T5_mT6_T7_P12ihipStream_tbENKUlT_T0_E_clISt17integral_constantIbLb0EES10_IbLb1EEEEDaSW_SX_EUlSW_E_NS1_11comp_targetILNS1_3genE3ELNS1_11target_archE908ELNS1_3gpuE7ELNS1_3repE0EEENS1_30default_config_static_selectorELNS0_4arch9wavefront6targetE0EEEvT1_
	.p2align	8
	.type	_ZN7rocprim17ROCPRIM_400000_NS6detail17trampoline_kernelINS0_14default_configENS1_27scan_by_key_config_selectorIiyEEZZNS1_16scan_by_key_implILNS1_25lookback_scan_determinismE0ELb1ES3_N6thrust23THRUST_200600_302600_NS6detail15normal_iteratorINS9_10device_ptrIiEEEENSB_INSC_IyEEEESG_yNS9_4plusIvEENS9_8equal_toIvEEyEE10hipError_tPvRmT2_T3_T4_T5_mT6_T7_P12ihipStream_tbENKUlT_T0_E_clISt17integral_constantIbLb0EES10_IbLb1EEEEDaSW_SX_EUlSW_E_NS1_11comp_targetILNS1_3genE3ELNS1_11target_archE908ELNS1_3gpuE7ELNS1_3repE0EEENS1_30default_config_static_selectorELNS0_4arch9wavefront6targetE0EEEvT1_,@function
_ZN7rocprim17ROCPRIM_400000_NS6detail17trampoline_kernelINS0_14default_configENS1_27scan_by_key_config_selectorIiyEEZZNS1_16scan_by_key_implILNS1_25lookback_scan_determinismE0ELb1ES3_N6thrust23THRUST_200600_302600_NS6detail15normal_iteratorINS9_10device_ptrIiEEEENSB_INSC_IyEEEESG_yNS9_4plusIvEENS9_8equal_toIvEEyEE10hipError_tPvRmT2_T3_T4_T5_mT6_T7_P12ihipStream_tbENKUlT_T0_E_clISt17integral_constantIbLb0EES10_IbLb1EEEEDaSW_SX_EUlSW_E_NS1_11comp_targetILNS1_3genE3ELNS1_11target_archE908ELNS1_3gpuE7ELNS1_3repE0EEENS1_30default_config_static_selectorELNS0_4arch9wavefront6targetE0EEEvT1_: ; @_ZN7rocprim17ROCPRIM_400000_NS6detail17trampoline_kernelINS0_14default_configENS1_27scan_by_key_config_selectorIiyEEZZNS1_16scan_by_key_implILNS1_25lookback_scan_determinismE0ELb1ES3_N6thrust23THRUST_200600_302600_NS6detail15normal_iteratorINS9_10device_ptrIiEEEENSB_INSC_IyEEEESG_yNS9_4plusIvEENS9_8equal_toIvEEyEE10hipError_tPvRmT2_T3_T4_T5_mT6_T7_P12ihipStream_tbENKUlT_T0_E_clISt17integral_constantIbLb0EES10_IbLb1EEEEDaSW_SX_EUlSW_E_NS1_11comp_targetILNS1_3genE3ELNS1_11target_archE908ELNS1_3gpuE7ELNS1_3repE0EEENS1_30default_config_static_selectorELNS0_4arch9wavefront6targetE0EEEvT1_
; %bb.0:
	.section	.rodata,"a",@progbits
	.p2align	6, 0x0
	.amdhsa_kernel _ZN7rocprim17ROCPRIM_400000_NS6detail17trampoline_kernelINS0_14default_configENS1_27scan_by_key_config_selectorIiyEEZZNS1_16scan_by_key_implILNS1_25lookback_scan_determinismE0ELb1ES3_N6thrust23THRUST_200600_302600_NS6detail15normal_iteratorINS9_10device_ptrIiEEEENSB_INSC_IyEEEESG_yNS9_4plusIvEENS9_8equal_toIvEEyEE10hipError_tPvRmT2_T3_T4_T5_mT6_T7_P12ihipStream_tbENKUlT_T0_E_clISt17integral_constantIbLb0EES10_IbLb1EEEEDaSW_SX_EUlSW_E_NS1_11comp_targetILNS1_3genE3ELNS1_11target_archE908ELNS1_3gpuE7ELNS1_3repE0EEENS1_30default_config_static_selectorELNS0_4arch9wavefront6targetE0EEEvT1_
		.amdhsa_group_segment_fixed_size 0
		.amdhsa_private_segment_fixed_size 0
		.amdhsa_kernarg_size 136
		.amdhsa_user_sgpr_count 6
		.amdhsa_user_sgpr_private_segment_buffer 1
		.amdhsa_user_sgpr_dispatch_ptr 0
		.amdhsa_user_sgpr_queue_ptr 0
		.amdhsa_user_sgpr_kernarg_segment_ptr 1
		.amdhsa_user_sgpr_dispatch_id 0
		.amdhsa_user_sgpr_flat_scratch_init 0
		.amdhsa_user_sgpr_private_segment_size 0
		.amdhsa_wavefront_size32 1
		.amdhsa_uses_dynamic_stack 0
		.amdhsa_system_sgpr_private_segment_wavefront_offset 0
		.amdhsa_system_sgpr_workgroup_id_x 1
		.amdhsa_system_sgpr_workgroup_id_y 0
		.amdhsa_system_sgpr_workgroup_id_z 0
		.amdhsa_system_sgpr_workgroup_info 0
		.amdhsa_system_vgpr_workitem_id 0
		.amdhsa_next_free_vgpr 1
		.amdhsa_next_free_sgpr 1
		.amdhsa_reserve_vcc 0
		.amdhsa_reserve_flat_scratch 0
		.amdhsa_float_round_mode_32 0
		.amdhsa_float_round_mode_16_64 0
		.amdhsa_float_denorm_mode_32 3
		.amdhsa_float_denorm_mode_16_64 3
		.amdhsa_dx10_clamp 1
		.amdhsa_ieee_mode 1
		.amdhsa_fp16_overflow 0
		.amdhsa_workgroup_processor_mode 1
		.amdhsa_memory_ordered 1
		.amdhsa_forward_progress 1
		.amdhsa_shared_vgpr_count 0
		.amdhsa_exception_fp_ieee_invalid_op 0
		.amdhsa_exception_fp_denorm_src 0
		.amdhsa_exception_fp_ieee_div_zero 0
		.amdhsa_exception_fp_ieee_overflow 0
		.amdhsa_exception_fp_ieee_underflow 0
		.amdhsa_exception_fp_ieee_inexact 0
		.amdhsa_exception_int_div_zero 0
	.end_amdhsa_kernel
	.section	.text._ZN7rocprim17ROCPRIM_400000_NS6detail17trampoline_kernelINS0_14default_configENS1_27scan_by_key_config_selectorIiyEEZZNS1_16scan_by_key_implILNS1_25lookback_scan_determinismE0ELb1ES3_N6thrust23THRUST_200600_302600_NS6detail15normal_iteratorINS9_10device_ptrIiEEEENSB_INSC_IyEEEESG_yNS9_4plusIvEENS9_8equal_toIvEEyEE10hipError_tPvRmT2_T3_T4_T5_mT6_T7_P12ihipStream_tbENKUlT_T0_E_clISt17integral_constantIbLb0EES10_IbLb1EEEEDaSW_SX_EUlSW_E_NS1_11comp_targetILNS1_3genE3ELNS1_11target_archE908ELNS1_3gpuE7ELNS1_3repE0EEENS1_30default_config_static_selectorELNS0_4arch9wavefront6targetE0EEEvT1_,"axG",@progbits,_ZN7rocprim17ROCPRIM_400000_NS6detail17trampoline_kernelINS0_14default_configENS1_27scan_by_key_config_selectorIiyEEZZNS1_16scan_by_key_implILNS1_25lookback_scan_determinismE0ELb1ES3_N6thrust23THRUST_200600_302600_NS6detail15normal_iteratorINS9_10device_ptrIiEEEENSB_INSC_IyEEEESG_yNS9_4plusIvEENS9_8equal_toIvEEyEE10hipError_tPvRmT2_T3_T4_T5_mT6_T7_P12ihipStream_tbENKUlT_T0_E_clISt17integral_constantIbLb0EES10_IbLb1EEEEDaSW_SX_EUlSW_E_NS1_11comp_targetILNS1_3genE3ELNS1_11target_archE908ELNS1_3gpuE7ELNS1_3repE0EEENS1_30default_config_static_selectorELNS0_4arch9wavefront6targetE0EEEvT1_,comdat
.Lfunc_end1494:
	.size	_ZN7rocprim17ROCPRIM_400000_NS6detail17trampoline_kernelINS0_14default_configENS1_27scan_by_key_config_selectorIiyEEZZNS1_16scan_by_key_implILNS1_25lookback_scan_determinismE0ELb1ES3_N6thrust23THRUST_200600_302600_NS6detail15normal_iteratorINS9_10device_ptrIiEEEENSB_INSC_IyEEEESG_yNS9_4plusIvEENS9_8equal_toIvEEyEE10hipError_tPvRmT2_T3_T4_T5_mT6_T7_P12ihipStream_tbENKUlT_T0_E_clISt17integral_constantIbLb0EES10_IbLb1EEEEDaSW_SX_EUlSW_E_NS1_11comp_targetILNS1_3genE3ELNS1_11target_archE908ELNS1_3gpuE7ELNS1_3repE0EEENS1_30default_config_static_selectorELNS0_4arch9wavefront6targetE0EEEvT1_, .Lfunc_end1494-_ZN7rocprim17ROCPRIM_400000_NS6detail17trampoline_kernelINS0_14default_configENS1_27scan_by_key_config_selectorIiyEEZZNS1_16scan_by_key_implILNS1_25lookback_scan_determinismE0ELb1ES3_N6thrust23THRUST_200600_302600_NS6detail15normal_iteratorINS9_10device_ptrIiEEEENSB_INSC_IyEEEESG_yNS9_4plusIvEENS9_8equal_toIvEEyEE10hipError_tPvRmT2_T3_T4_T5_mT6_T7_P12ihipStream_tbENKUlT_T0_E_clISt17integral_constantIbLb0EES10_IbLb1EEEEDaSW_SX_EUlSW_E_NS1_11comp_targetILNS1_3genE3ELNS1_11target_archE908ELNS1_3gpuE7ELNS1_3repE0EEENS1_30default_config_static_selectorELNS0_4arch9wavefront6targetE0EEEvT1_
                                        ; -- End function
	.set _ZN7rocprim17ROCPRIM_400000_NS6detail17trampoline_kernelINS0_14default_configENS1_27scan_by_key_config_selectorIiyEEZZNS1_16scan_by_key_implILNS1_25lookback_scan_determinismE0ELb1ES3_N6thrust23THRUST_200600_302600_NS6detail15normal_iteratorINS9_10device_ptrIiEEEENSB_INSC_IyEEEESG_yNS9_4plusIvEENS9_8equal_toIvEEyEE10hipError_tPvRmT2_T3_T4_T5_mT6_T7_P12ihipStream_tbENKUlT_T0_E_clISt17integral_constantIbLb0EES10_IbLb1EEEEDaSW_SX_EUlSW_E_NS1_11comp_targetILNS1_3genE3ELNS1_11target_archE908ELNS1_3gpuE7ELNS1_3repE0EEENS1_30default_config_static_selectorELNS0_4arch9wavefront6targetE0EEEvT1_.num_vgpr, 0
	.set _ZN7rocprim17ROCPRIM_400000_NS6detail17trampoline_kernelINS0_14default_configENS1_27scan_by_key_config_selectorIiyEEZZNS1_16scan_by_key_implILNS1_25lookback_scan_determinismE0ELb1ES3_N6thrust23THRUST_200600_302600_NS6detail15normal_iteratorINS9_10device_ptrIiEEEENSB_INSC_IyEEEESG_yNS9_4plusIvEENS9_8equal_toIvEEyEE10hipError_tPvRmT2_T3_T4_T5_mT6_T7_P12ihipStream_tbENKUlT_T0_E_clISt17integral_constantIbLb0EES10_IbLb1EEEEDaSW_SX_EUlSW_E_NS1_11comp_targetILNS1_3genE3ELNS1_11target_archE908ELNS1_3gpuE7ELNS1_3repE0EEENS1_30default_config_static_selectorELNS0_4arch9wavefront6targetE0EEEvT1_.num_agpr, 0
	.set _ZN7rocprim17ROCPRIM_400000_NS6detail17trampoline_kernelINS0_14default_configENS1_27scan_by_key_config_selectorIiyEEZZNS1_16scan_by_key_implILNS1_25lookback_scan_determinismE0ELb1ES3_N6thrust23THRUST_200600_302600_NS6detail15normal_iteratorINS9_10device_ptrIiEEEENSB_INSC_IyEEEESG_yNS9_4plusIvEENS9_8equal_toIvEEyEE10hipError_tPvRmT2_T3_T4_T5_mT6_T7_P12ihipStream_tbENKUlT_T0_E_clISt17integral_constantIbLb0EES10_IbLb1EEEEDaSW_SX_EUlSW_E_NS1_11comp_targetILNS1_3genE3ELNS1_11target_archE908ELNS1_3gpuE7ELNS1_3repE0EEENS1_30default_config_static_selectorELNS0_4arch9wavefront6targetE0EEEvT1_.numbered_sgpr, 0
	.set _ZN7rocprim17ROCPRIM_400000_NS6detail17trampoline_kernelINS0_14default_configENS1_27scan_by_key_config_selectorIiyEEZZNS1_16scan_by_key_implILNS1_25lookback_scan_determinismE0ELb1ES3_N6thrust23THRUST_200600_302600_NS6detail15normal_iteratorINS9_10device_ptrIiEEEENSB_INSC_IyEEEESG_yNS9_4plusIvEENS9_8equal_toIvEEyEE10hipError_tPvRmT2_T3_T4_T5_mT6_T7_P12ihipStream_tbENKUlT_T0_E_clISt17integral_constantIbLb0EES10_IbLb1EEEEDaSW_SX_EUlSW_E_NS1_11comp_targetILNS1_3genE3ELNS1_11target_archE908ELNS1_3gpuE7ELNS1_3repE0EEENS1_30default_config_static_selectorELNS0_4arch9wavefront6targetE0EEEvT1_.num_named_barrier, 0
	.set _ZN7rocprim17ROCPRIM_400000_NS6detail17trampoline_kernelINS0_14default_configENS1_27scan_by_key_config_selectorIiyEEZZNS1_16scan_by_key_implILNS1_25lookback_scan_determinismE0ELb1ES3_N6thrust23THRUST_200600_302600_NS6detail15normal_iteratorINS9_10device_ptrIiEEEENSB_INSC_IyEEEESG_yNS9_4plusIvEENS9_8equal_toIvEEyEE10hipError_tPvRmT2_T3_T4_T5_mT6_T7_P12ihipStream_tbENKUlT_T0_E_clISt17integral_constantIbLb0EES10_IbLb1EEEEDaSW_SX_EUlSW_E_NS1_11comp_targetILNS1_3genE3ELNS1_11target_archE908ELNS1_3gpuE7ELNS1_3repE0EEENS1_30default_config_static_selectorELNS0_4arch9wavefront6targetE0EEEvT1_.private_seg_size, 0
	.set _ZN7rocprim17ROCPRIM_400000_NS6detail17trampoline_kernelINS0_14default_configENS1_27scan_by_key_config_selectorIiyEEZZNS1_16scan_by_key_implILNS1_25lookback_scan_determinismE0ELb1ES3_N6thrust23THRUST_200600_302600_NS6detail15normal_iteratorINS9_10device_ptrIiEEEENSB_INSC_IyEEEESG_yNS9_4plusIvEENS9_8equal_toIvEEyEE10hipError_tPvRmT2_T3_T4_T5_mT6_T7_P12ihipStream_tbENKUlT_T0_E_clISt17integral_constantIbLb0EES10_IbLb1EEEEDaSW_SX_EUlSW_E_NS1_11comp_targetILNS1_3genE3ELNS1_11target_archE908ELNS1_3gpuE7ELNS1_3repE0EEENS1_30default_config_static_selectorELNS0_4arch9wavefront6targetE0EEEvT1_.uses_vcc, 0
	.set _ZN7rocprim17ROCPRIM_400000_NS6detail17trampoline_kernelINS0_14default_configENS1_27scan_by_key_config_selectorIiyEEZZNS1_16scan_by_key_implILNS1_25lookback_scan_determinismE0ELb1ES3_N6thrust23THRUST_200600_302600_NS6detail15normal_iteratorINS9_10device_ptrIiEEEENSB_INSC_IyEEEESG_yNS9_4plusIvEENS9_8equal_toIvEEyEE10hipError_tPvRmT2_T3_T4_T5_mT6_T7_P12ihipStream_tbENKUlT_T0_E_clISt17integral_constantIbLb0EES10_IbLb1EEEEDaSW_SX_EUlSW_E_NS1_11comp_targetILNS1_3genE3ELNS1_11target_archE908ELNS1_3gpuE7ELNS1_3repE0EEENS1_30default_config_static_selectorELNS0_4arch9wavefront6targetE0EEEvT1_.uses_flat_scratch, 0
	.set _ZN7rocprim17ROCPRIM_400000_NS6detail17trampoline_kernelINS0_14default_configENS1_27scan_by_key_config_selectorIiyEEZZNS1_16scan_by_key_implILNS1_25lookback_scan_determinismE0ELb1ES3_N6thrust23THRUST_200600_302600_NS6detail15normal_iteratorINS9_10device_ptrIiEEEENSB_INSC_IyEEEESG_yNS9_4plusIvEENS9_8equal_toIvEEyEE10hipError_tPvRmT2_T3_T4_T5_mT6_T7_P12ihipStream_tbENKUlT_T0_E_clISt17integral_constantIbLb0EES10_IbLb1EEEEDaSW_SX_EUlSW_E_NS1_11comp_targetILNS1_3genE3ELNS1_11target_archE908ELNS1_3gpuE7ELNS1_3repE0EEENS1_30default_config_static_selectorELNS0_4arch9wavefront6targetE0EEEvT1_.has_dyn_sized_stack, 0
	.set _ZN7rocprim17ROCPRIM_400000_NS6detail17trampoline_kernelINS0_14default_configENS1_27scan_by_key_config_selectorIiyEEZZNS1_16scan_by_key_implILNS1_25lookback_scan_determinismE0ELb1ES3_N6thrust23THRUST_200600_302600_NS6detail15normal_iteratorINS9_10device_ptrIiEEEENSB_INSC_IyEEEESG_yNS9_4plusIvEENS9_8equal_toIvEEyEE10hipError_tPvRmT2_T3_T4_T5_mT6_T7_P12ihipStream_tbENKUlT_T0_E_clISt17integral_constantIbLb0EES10_IbLb1EEEEDaSW_SX_EUlSW_E_NS1_11comp_targetILNS1_3genE3ELNS1_11target_archE908ELNS1_3gpuE7ELNS1_3repE0EEENS1_30default_config_static_selectorELNS0_4arch9wavefront6targetE0EEEvT1_.has_recursion, 0
	.set _ZN7rocprim17ROCPRIM_400000_NS6detail17trampoline_kernelINS0_14default_configENS1_27scan_by_key_config_selectorIiyEEZZNS1_16scan_by_key_implILNS1_25lookback_scan_determinismE0ELb1ES3_N6thrust23THRUST_200600_302600_NS6detail15normal_iteratorINS9_10device_ptrIiEEEENSB_INSC_IyEEEESG_yNS9_4plusIvEENS9_8equal_toIvEEyEE10hipError_tPvRmT2_T3_T4_T5_mT6_T7_P12ihipStream_tbENKUlT_T0_E_clISt17integral_constantIbLb0EES10_IbLb1EEEEDaSW_SX_EUlSW_E_NS1_11comp_targetILNS1_3genE3ELNS1_11target_archE908ELNS1_3gpuE7ELNS1_3repE0EEENS1_30default_config_static_selectorELNS0_4arch9wavefront6targetE0EEEvT1_.has_indirect_call, 0
	.section	.AMDGPU.csdata,"",@progbits
; Kernel info:
; codeLenInByte = 0
; TotalNumSgprs: 0
; NumVgprs: 0
; ScratchSize: 0
; MemoryBound: 0
; FloatMode: 240
; IeeeMode: 1
; LDSByteSize: 0 bytes/workgroup (compile time only)
; SGPRBlocks: 0
; VGPRBlocks: 0
; NumSGPRsForWavesPerEU: 1
; NumVGPRsForWavesPerEU: 1
; Occupancy: 16
; WaveLimiterHint : 0
; COMPUTE_PGM_RSRC2:SCRATCH_EN: 0
; COMPUTE_PGM_RSRC2:USER_SGPR: 6
; COMPUTE_PGM_RSRC2:TRAP_HANDLER: 0
; COMPUTE_PGM_RSRC2:TGID_X_EN: 1
; COMPUTE_PGM_RSRC2:TGID_Y_EN: 0
; COMPUTE_PGM_RSRC2:TGID_Z_EN: 0
; COMPUTE_PGM_RSRC2:TIDIG_COMP_CNT: 0
	.section	.text._ZN7rocprim17ROCPRIM_400000_NS6detail17trampoline_kernelINS0_14default_configENS1_27scan_by_key_config_selectorIiyEEZZNS1_16scan_by_key_implILNS1_25lookback_scan_determinismE0ELb1ES3_N6thrust23THRUST_200600_302600_NS6detail15normal_iteratorINS9_10device_ptrIiEEEENSB_INSC_IyEEEESG_yNS9_4plusIvEENS9_8equal_toIvEEyEE10hipError_tPvRmT2_T3_T4_T5_mT6_T7_P12ihipStream_tbENKUlT_T0_E_clISt17integral_constantIbLb0EES10_IbLb1EEEEDaSW_SX_EUlSW_E_NS1_11comp_targetILNS1_3genE2ELNS1_11target_archE906ELNS1_3gpuE6ELNS1_3repE0EEENS1_30default_config_static_selectorELNS0_4arch9wavefront6targetE0EEEvT1_,"axG",@progbits,_ZN7rocprim17ROCPRIM_400000_NS6detail17trampoline_kernelINS0_14default_configENS1_27scan_by_key_config_selectorIiyEEZZNS1_16scan_by_key_implILNS1_25lookback_scan_determinismE0ELb1ES3_N6thrust23THRUST_200600_302600_NS6detail15normal_iteratorINS9_10device_ptrIiEEEENSB_INSC_IyEEEESG_yNS9_4plusIvEENS9_8equal_toIvEEyEE10hipError_tPvRmT2_T3_T4_T5_mT6_T7_P12ihipStream_tbENKUlT_T0_E_clISt17integral_constantIbLb0EES10_IbLb1EEEEDaSW_SX_EUlSW_E_NS1_11comp_targetILNS1_3genE2ELNS1_11target_archE906ELNS1_3gpuE6ELNS1_3repE0EEENS1_30default_config_static_selectorELNS0_4arch9wavefront6targetE0EEEvT1_,comdat
	.protected	_ZN7rocprim17ROCPRIM_400000_NS6detail17trampoline_kernelINS0_14default_configENS1_27scan_by_key_config_selectorIiyEEZZNS1_16scan_by_key_implILNS1_25lookback_scan_determinismE0ELb1ES3_N6thrust23THRUST_200600_302600_NS6detail15normal_iteratorINS9_10device_ptrIiEEEENSB_INSC_IyEEEESG_yNS9_4plusIvEENS9_8equal_toIvEEyEE10hipError_tPvRmT2_T3_T4_T5_mT6_T7_P12ihipStream_tbENKUlT_T0_E_clISt17integral_constantIbLb0EES10_IbLb1EEEEDaSW_SX_EUlSW_E_NS1_11comp_targetILNS1_3genE2ELNS1_11target_archE906ELNS1_3gpuE6ELNS1_3repE0EEENS1_30default_config_static_selectorELNS0_4arch9wavefront6targetE0EEEvT1_ ; -- Begin function _ZN7rocprim17ROCPRIM_400000_NS6detail17trampoline_kernelINS0_14default_configENS1_27scan_by_key_config_selectorIiyEEZZNS1_16scan_by_key_implILNS1_25lookback_scan_determinismE0ELb1ES3_N6thrust23THRUST_200600_302600_NS6detail15normal_iteratorINS9_10device_ptrIiEEEENSB_INSC_IyEEEESG_yNS9_4plusIvEENS9_8equal_toIvEEyEE10hipError_tPvRmT2_T3_T4_T5_mT6_T7_P12ihipStream_tbENKUlT_T0_E_clISt17integral_constantIbLb0EES10_IbLb1EEEEDaSW_SX_EUlSW_E_NS1_11comp_targetILNS1_3genE2ELNS1_11target_archE906ELNS1_3gpuE6ELNS1_3repE0EEENS1_30default_config_static_selectorELNS0_4arch9wavefront6targetE0EEEvT1_
	.globl	_ZN7rocprim17ROCPRIM_400000_NS6detail17trampoline_kernelINS0_14default_configENS1_27scan_by_key_config_selectorIiyEEZZNS1_16scan_by_key_implILNS1_25lookback_scan_determinismE0ELb1ES3_N6thrust23THRUST_200600_302600_NS6detail15normal_iteratorINS9_10device_ptrIiEEEENSB_INSC_IyEEEESG_yNS9_4plusIvEENS9_8equal_toIvEEyEE10hipError_tPvRmT2_T3_T4_T5_mT6_T7_P12ihipStream_tbENKUlT_T0_E_clISt17integral_constantIbLb0EES10_IbLb1EEEEDaSW_SX_EUlSW_E_NS1_11comp_targetILNS1_3genE2ELNS1_11target_archE906ELNS1_3gpuE6ELNS1_3repE0EEENS1_30default_config_static_selectorELNS0_4arch9wavefront6targetE0EEEvT1_
	.p2align	8
	.type	_ZN7rocprim17ROCPRIM_400000_NS6detail17trampoline_kernelINS0_14default_configENS1_27scan_by_key_config_selectorIiyEEZZNS1_16scan_by_key_implILNS1_25lookback_scan_determinismE0ELb1ES3_N6thrust23THRUST_200600_302600_NS6detail15normal_iteratorINS9_10device_ptrIiEEEENSB_INSC_IyEEEESG_yNS9_4plusIvEENS9_8equal_toIvEEyEE10hipError_tPvRmT2_T3_T4_T5_mT6_T7_P12ihipStream_tbENKUlT_T0_E_clISt17integral_constantIbLb0EES10_IbLb1EEEEDaSW_SX_EUlSW_E_NS1_11comp_targetILNS1_3genE2ELNS1_11target_archE906ELNS1_3gpuE6ELNS1_3repE0EEENS1_30default_config_static_selectorELNS0_4arch9wavefront6targetE0EEEvT1_,@function
_ZN7rocprim17ROCPRIM_400000_NS6detail17trampoline_kernelINS0_14default_configENS1_27scan_by_key_config_selectorIiyEEZZNS1_16scan_by_key_implILNS1_25lookback_scan_determinismE0ELb1ES3_N6thrust23THRUST_200600_302600_NS6detail15normal_iteratorINS9_10device_ptrIiEEEENSB_INSC_IyEEEESG_yNS9_4plusIvEENS9_8equal_toIvEEyEE10hipError_tPvRmT2_T3_T4_T5_mT6_T7_P12ihipStream_tbENKUlT_T0_E_clISt17integral_constantIbLb0EES10_IbLb1EEEEDaSW_SX_EUlSW_E_NS1_11comp_targetILNS1_3genE2ELNS1_11target_archE906ELNS1_3gpuE6ELNS1_3repE0EEENS1_30default_config_static_selectorELNS0_4arch9wavefront6targetE0EEEvT1_: ; @_ZN7rocprim17ROCPRIM_400000_NS6detail17trampoline_kernelINS0_14default_configENS1_27scan_by_key_config_selectorIiyEEZZNS1_16scan_by_key_implILNS1_25lookback_scan_determinismE0ELb1ES3_N6thrust23THRUST_200600_302600_NS6detail15normal_iteratorINS9_10device_ptrIiEEEENSB_INSC_IyEEEESG_yNS9_4plusIvEENS9_8equal_toIvEEyEE10hipError_tPvRmT2_T3_T4_T5_mT6_T7_P12ihipStream_tbENKUlT_T0_E_clISt17integral_constantIbLb0EES10_IbLb1EEEEDaSW_SX_EUlSW_E_NS1_11comp_targetILNS1_3genE2ELNS1_11target_archE906ELNS1_3gpuE6ELNS1_3repE0EEENS1_30default_config_static_selectorELNS0_4arch9wavefront6targetE0EEEvT1_
; %bb.0:
	.section	.rodata,"a",@progbits
	.p2align	6, 0x0
	.amdhsa_kernel _ZN7rocprim17ROCPRIM_400000_NS6detail17trampoline_kernelINS0_14default_configENS1_27scan_by_key_config_selectorIiyEEZZNS1_16scan_by_key_implILNS1_25lookback_scan_determinismE0ELb1ES3_N6thrust23THRUST_200600_302600_NS6detail15normal_iteratorINS9_10device_ptrIiEEEENSB_INSC_IyEEEESG_yNS9_4plusIvEENS9_8equal_toIvEEyEE10hipError_tPvRmT2_T3_T4_T5_mT6_T7_P12ihipStream_tbENKUlT_T0_E_clISt17integral_constantIbLb0EES10_IbLb1EEEEDaSW_SX_EUlSW_E_NS1_11comp_targetILNS1_3genE2ELNS1_11target_archE906ELNS1_3gpuE6ELNS1_3repE0EEENS1_30default_config_static_selectorELNS0_4arch9wavefront6targetE0EEEvT1_
		.amdhsa_group_segment_fixed_size 0
		.amdhsa_private_segment_fixed_size 0
		.amdhsa_kernarg_size 136
		.amdhsa_user_sgpr_count 6
		.amdhsa_user_sgpr_private_segment_buffer 1
		.amdhsa_user_sgpr_dispatch_ptr 0
		.amdhsa_user_sgpr_queue_ptr 0
		.amdhsa_user_sgpr_kernarg_segment_ptr 1
		.amdhsa_user_sgpr_dispatch_id 0
		.amdhsa_user_sgpr_flat_scratch_init 0
		.amdhsa_user_sgpr_private_segment_size 0
		.amdhsa_wavefront_size32 1
		.amdhsa_uses_dynamic_stack 0
		.amdhsa_system_sgpr_private_segment_wavefront_offset 0
		.amdhsa_system_sgpr_workgroup_id_x 1
		.amdhsa_system_sgpr_workgroup_id_y 0
		.amdhsa_system_sgpr_workgroup_id_z 0
		.amdhsa_system_sgpr_workgroup_info 0
		.amdhsa_system_vgpr_workitem_id 0
		.amdhsa_next_free_vgpr 1
		.amdhsa_next_free_sgpr 1
		.amdhsa_reserve_vcc 0
		.amdhsa_reserve_flat_scratch 0
		.amdhsa_float_round_mode_32 0
		.amdhsa_float_round_mode_16_64 0
		.amdhsa_float_denorm_mode_32 3
		.amdhsa_float_denorm_mode_16_64 3
		.amdhsa_dx10_clamp 1
		.amdhsa_ieee_mode 1
		.amdhsa_fp16_overflow 0
		.amdhsa_workgroup_processor_mode 1
		.amdhsa_memory_ordered 1
		.amdhsa_forward_progress 1
		.amdhsa_shared_vgpr_count 0
		.amdhsa_exception_fp_ieee_invalid_op 0
		.amdhsa_exception_fp_denorm_src 0
		.amdhsa_exception_fp_ieee_div_zero 0
		.amdhsa_exception_fp_ieee_overflow 0
		.amdhsa_exception_fp_ieee_underflow 0
		.amdhsa_exception_fp_ieee_inexact 0
		.amdhsa_exception_int_div_zero 0
	.end_amdhsa_kernel
	.section	.text._ZN7rocprim17ROCPRIM_400000_NS6detail17trampoline_kernelINS0_14default_configENS1_27scan_by_key_config_selectorIiyEEZZNS1_16scan_by_key_implILNS1_25lookback_scan_determinismE0ELb1ES3_N6thrust23THRUST_200600_302600_NS6detail15normal_iteratorINS9_10device_ptrIiEEEENSB_INSC_IyEEEESG_yNS9_4plusIvEENS9_8equal_toIvEEyEE10hipError_tPvRmT2_T3_T4_T5_mT6_T7_P12ihipStream_tbENKUlT_T0_E_clISt17integral_constantIbLb0EES10_IbLb1EEEEDaSW_SX_EUlSW_E_NS1_11comp_targetILNS1_3genE2ELNS1_11target_archE906ELNS1_3gpuE6ELNS1_3repE0EEENS1_30default_config_static_selectorELNS0_4arch9wavefront6targetE0EEEvT1_,"axG",@progbits,_ZN7rocprim17ROCPRIM_400000_NS6detail17trampoline_kernelINS0_14default_configENS1_27scan_by_key_config_selectorIiyEEZZNS1_16scan_by_key_implILNS1_25lookback_scan_determinismE0ELb1ES3_N6thrust23THRUST_200600_302600_NS6detail15normal_iteratorINS9_10device_ptrIiEEEENSB_INSC_IyEEEESG_yNS9_4plusIvEENS9_8equal_toIvEEyEE10hipError_tPvRmT2_T3_T4_T5_mT6_T7_P12ihipStream_tbENKUlT_T0_E_clISt17integral_constantIbLb0EES10_IbLb1EEEEDaSW_SX_EUlSW_E_NS1_11comp_targetILNS1_3genE2ELNS1_11target_archE906ELNS1_3gpuE6ELNS1_3repE0EEENS1_30default_config_static_selectorELNS0_4arch9wavefront6targetE0EEEvT1_,comdat
.Lfunc_end1495:
	.size	_ZN7rocprim17ROCPRIM_400000_NS6detail17trampoline_kernelINS0_14default_configENS1_27scan_by_key_config_selectorIiyEEZZNS1_16scan_by_key_implILNS1_25lookback_scan_determinismE0ELb1ES3_N6thrust23THRUST_200600_302600_NS6detail15normal_iteratorINS9_10device_ptrIiEEEENSB_INSC_IyEEEESG_yNS9_4plusIvEENS9_8equal_toIvEEyEE10hipError_tPvRmT2_T3_T4_T5_mT6_T7_P12ihipStream_tbENKUlT_T0_E_clISt17integral_constantIbLb0EES10_IbLb1EEEEDaSW_SX_EUlSW_E_NS1_11comp_targetILNS1_3genE2ELNS1_11target_archE906ELNS1_3gpuE6ELNS1_3repE0EEENS1_30default_config_static_selectorELNS0_4arch9wavefront6targetE0EEEvT1_, .Lfunc_end1495-_ZN7rocprim17ROCPRIM_400000_NS6detail17trampoline_kernelINS0_14default_configENS1_27scan_by_key_config_selectorIiyEEZZNS1_16scan_by_key_implILNS1_25lookback_scan_determinismE0ELb1ES3_N6thrust23THRUST_200600_302600_NS6detail15normal_iteratorINS9_10device_ptrIiEEEENSB_INSC_IyEEEESG_yNS9_4plusIvEENS9_8equal_toIvEEyEE10hipError_tPvRmT2_T3_T4_T5_mT6_T7_P12ihipStream_tbENKUlT_T0_E_clISt17integral_constantIbLb0EES10_IbLb1EEEEDaSW_SX_EUlSW_E_NS1_11comp_targetILNS1_3genE2ELNS1_11target_archE906ELNS1_3gpuE6ELNS1_3repE0EEENS1_30default_config_static_selectorELNS0_4arch9wavefront6targetE0EEEvT1_
                                        ; -- End function
	.set _ZN7rocprim17ROCPRIM_400000_NS6detail17trampoline_kernelINS0_14default_configENS1_27scan_by_key_config_selectorIiyEEZZNS1_16scan_by_key_implILNS1_25lookback_scan_determinismE0ELb1ES3_N6thrust23THRUST_200600_302600_NS6detail15normal_iteratorINS9_10device_ptrIiEEEENSB_INSC_IyEEEESG_yNS9_4plusIvEENS9_8equal_toIvEEyEE10hipError_tPvRmT2_T3_T4_T5_mT6_T7_P12ihipStream_tbENKUlT_T0_E_clISt17integral_constantIbLb0EES10_IbLb1EEEEDaSW_SX_EUlSW_E_NS1_11comp_targetILNS1_3genE2ELNS1_11target_archE906ELNS1_3gpuE6ELNS1_3repE0EEENS1_30default_config_static_selectorELNS0_4arch9wavefront6targetE0EEEvT1_.num_vgpr, 0
	.set _ZN7rocprim17ROCPRIM_400000_NS6detail17trampoline_kernelINS0_14default_configENS1_27scan_by_key_config_selectorIiyEEZZNS1_16scan_by_key_implILNS1_25lookback_scan_determinismE0ELb1ES3_N6thrust23THRUST_200600_302600_NS6detail15normal_iteratorINS9_10device_ptrIiEEEENSB_INSC_IyEEEESG_yNS9_4plusIvEENS9_8equal_toIvEEyEE10hipError_tPvRmT2_T3_T4_T5_mT6_T7_P12ihipStream_tbENKUlT_T0_E_clISt17integral_constantIbLb0EES10_IbLb1EEEEDaSW_SX_EUlSW_E_NS1_11comp_targetILNS1_3genE2ELNS1_11target_archE906ELNS1_3gpuE6ELNS1_3repE0EEENS1_30default_config_static_selectorELNS0_4arch9wavefront6targetE0EEEvT1_.num_agpr, 0
	.set _ZN7rocprim17ROCPRIM_400000_NS6detail17trampoline_kernelINS0_14default_configENS1_27scan_by_key_config_selectorIiyEEZZNS1_16scan_by_key_implILNS1_25lookback_scan_determinismE0ELb1ES3_N6thrust23THRUST_200600_302600_NS6detail15normal_iteratorINS9_10device_ptrIiEEEENSB_INSC_IyEEEESG_yNS9_4plusIvEENS9_8equal_toIvEEyEE10hipError_tPvRmT2_T3_T4_T5_mT6_T7_P12ihipStream_tbENKUlT_T0_E_clISt17integral_constantIbLb0EES10_IbLb1EEEEDaSW_SX_EUlSW_E_NS1_11comp_targetILNS1_3genE2ELNS1_11target_archE906ELNS1_3gpuE6ELNS1_3repE0EEENS1_30default_config_static_selectorELNS0_4arch9wavefront6targetE0EEEvT1_.numbered_sgpr, 0
	.set _ZN7rocprim17ROCPRIM_400000_NS6detail17trampoline_kernelINS0_14default_configENS1_27scan_by_key_config_selectorIiyEEZZNS1_16scan_by_key_implILNS1_25lookback_scan_determinismE0ELb1ES3_N6thrust23THRUST_200600_302600_NS6detail15normal_iteratorINS9_10device_ptrIiEEEENSB_INSC_IyEEEESG_yNS9_4plusIvEENS9_8equal_toIvEEyEE10hipError_tPvRmT2_T3_T4_T5_mT6_T7_P12ihipStream_tbENKUlT_T0_E_clISt17integral_constantIbLb0EES10_IbLb1EEEEDaSW_SX_EUlSW_E_NS1_11comp_targetILNS1_3genE2ELNS1_11target_archE906ELNS1_3gpuE6ELNS1_3repE0EEENS1_30default_config_static_selectorELNS0_4arch9wavefront6targetE0EEEvT1_.num_named_barrier, 0
	.set _ZN7rocprim17ROCPRIM_400000_NS6detail17trampoline_kernelINS0_14default_configENS1_27scan_by_key_config_selectorIiyEEZZNS1_16scan_by_key_implILNS1_25lookback_scan_determinismE0ELb1ES3_N6thrust23THRUST_200600_302600_NS6detail15normal_iteratorINS9_10device_ptrIiEEEENSB_INSC_IyEEEESG_yNS9_4plusIvEENS9_8equal_toIvEEyEE10hipError_tPvRmT2_T3_T4_T5_mT6_T7_P12ihipStream_tbENKUlT_T0_E_clISt17integral_constantIbLb0EES10_IbLb1EEEEDaSW_SX_EUlSW_E_NS1_11comp_targetILNS1_3genE2ELNS1_11target_archE906ELNS1_3gpuE6ELNS1_3repE0EEENS1_30default_config_static_selectorELNS0_4arch9wavefront6targetE0EEEvT1_.private_seg_size, 0
	.set _ZN7rocprim17ROCPRIM_400000_NS6detail17trampoline_kernelINS0_14default_configENS1_27scan_by_key_config_selectorIiyEEZZNS1_16scan_by_key_implILNS1_25lookback_scan_determinismE0ELb1ES3_N6thrust23THRUST_200600_302600_NS6detail15normal_iteratorINS9_10device_ptrIiEEEENSB_INSC_IyEEEESG_yNS9_4plusIvEENS9_8equal_toIvEEyEE10hipError_tPvRmT2_T3_T4_T5_mT6_T7_P12ihipStream_tbENKUlT_T0_E_clISt17integral_constantIbLb0EES10_IbLb1EEEEDaSW_SX_EUlSW_E_NS1_11comp_targetILNS1_3genE2ELNS1_11target_archE906ELNS1_3gpuE6ELNS1_3repE0EEENS1_30default_config_static_selectorELNS0_4arch9wavefront6targetE0EEEvT1_.uses_vcc, 0
	.set _ZN7rocprim17ROCPRIM_400000_NS6detail17trampoline_kernelINS0_14default_configENS1_27scan_by_key_config_selectorIiyEEZZNS1_16scan_by_key_implILNS1_25lookback_scan_determinismE0ELb1ES3_N6thrust23THRUST_200600_302600_NS6detail15normal_iteratorINS9_10device_ptrIiEEEENSB_INSC_IyEEEESG_yNS9_4plusIvEENS9_8equal_toIvEEyEE10hipError_tPvRmT2_T3_T4_T5_mT6_T7_P12ihipStream_tbENKUlT_T0_E_clISt17integral_constantIbLb0EES10_IbLb1EEEEDaSW_SX_EUlSW_E_NS1_11comp_targetILNS1_3genE2ELNS1_11target_archE906ELNS1_3gpuE6ELNS1_3repE0EEENS1_30default_config_static_selectorELNS0_4arch9wavefront6targetE0EEEvT1_.uses_flat_scratch, 0
	.set _ZN7rocprim17ROCPRIM_400000_NS6detail17trampoline_kernelINS0_14default_configENS1_27scan_by_key_config_selectorIiyEEZZNS1_16scan_by_key_implILNS1_25lookback_scan_determinismE0ELb1ES3_N6thrust23THRUST_200600_302600_NS6detail15normal_iteratorINS9_10device_ptrIiEEEENSB_INSC_IyEEEESG_yNS9_4plusIvEENS9_8equal_toIvEEyEE10hipError_tPvRmT2_T3_T4_T5_mT6_T7_P12ihipStream_tbENKUlT_T0_E_clISt17integral_constantIbLb0EES10_IbLb1EEEEDaSW_SX_EUlSW_E_NS1_11comp_targetILNS1_3genE2ELNS1_11target_archE906ELNS1_3gpuE6ELNS1_3repE0EEENS1_30default_config_static_selectorELNS0_4arch9wavefront6targetE0EEEvT1_.has_dyn_sized_stack, 0
	.set _ZN7rocprim17ROCPRIM_400000_NS6detail17trampoline_kernelINS0_14default_configENS1_27scan_by_key_config_selectorIiyEEZZNS1_16scan_by_key_implILNS1_25lookback_scan_determinismE0ELb1ES3_N6thrust23THRUST_200600_302600_NS6detail15normal_iteratorINS9_10device_ptrIiEEEENSB_INSC_IyEEEESG_yNS9_4plusIvEENS9_8equal_toIvEEyEE10hipError_tPvRmT2_T3_T4_T5_mT6_T7_P12ihipStream_tbENKUlT_T0_E_clISt17integral_constantIbLb0EES10_IbLb1EEEEDaSW_SX_EUlSW_E_NS1_11comp_targetILNS1_3genE2ELNS1_11target_archE906ELNS1_3gpuE6ELNS1_3repE0EEENS1_30default_config_static_selectorELNS0_4arch9wavefront6targetE0EEEvT1_.has_recursion, 0
	.set _ZN7rocprim17ROCPRIM_400000_NS6detail17trampoline_kernelINS0_14default_configENS1_27scan_by_key_config_selectorIiyEEZZNS1_16scan_by_key_implILNS1_25lookback_scan_determinismE0ELb1ES3_N6thrust23THRUST_200600_302600_NS6detail15normal_iteratorINS9_10device_ptrIiEEEENSB_INSC_IyEEEESG_yNS9_4plusIvEENS9_8equal_toIvEEyEE10hipError_tPvRmT2_T3_T4_T5_mT6_T7_P12ihipStream_tbENKUlT_T0_E_clISt17integral_constantIbLb0EES10_IbLb1EEEEDaSW_SX_EUlSW_E_NS1_11comp_targetILNS1_3genE2ELNS1_11target_archE906ELNS1_3gpuE6ELNS1_3repE0EEENS1_30default_config_static_selectorELNS0_4arch9wavefront6targetE0EEEvT1_.has_indirect_call, 0
	.section	.AMDGPU.csdata,"",@progbits
; Kernel info:
; codeLenInByte = 0
; TotalNumSgprs: 0
; NumVgprs: 0
; ScratchSize: 0
; MemoryBound: 0
; FloatMode: 240
; IeeeMode: 1
; LDSByteSize: 0 bytes/workgroup (compile time only)
; SGPRBlocks: 0
; VGPRBlocks: 0
; NumSGPRsForWavesPerEU: 1
; NumVGPRsForWavesPerEU: 1
; Occupancy: 16
; WaveLimiterHint : 0
; COMPUTE_PGM_RSRC2:SCRATCH_EN: 0
; COMPUTE_PGM_RSRC2:USER_SGPR: 6
; COMPUTE_PGM_RSRC2:TRAP_HANDLER: 0
; COMPUTE_PGM_RSRC2:TGID_X_EN: 1
; COMPUTE_PGM_RSRC2:TGID_Y_EN: 0
; COMPUTE_PGM_RSRC2:TGID_Z_EN: 0
; COMPUTE_PGM_RSRC2:TIDIG_COMP_CNT: 0
	.section	.text._ZN7rocprim17ROCPRIM_400000_NS6detail17trampoline_kernelINS0_14default_configENS1_27scan_by_key_config_selectorIiyEEZZNS1_16scan_by_key_implILNS1_25lookback_scan_determinismE0ELb1ES3_N6thrust23THRUST_200600_302600_NS6detail15normal_iteratorINS9_10device_ptrIiEEEENSB_INSC_IyEEEESG_yNS9_4plusIvEENS9_8equal_toIvEEyEE10hipError_tPvRmT2_T3_T4_T5_mT6_T7_P12ihipStream_tbENKUlT_T0_E_clISt17integral_constantIbLb0EES10_IbLb1EEEEDaSW_SX_EUlSW_E_NS1_11comp_targetILNS1_3genE10ELNS1_11target_archE1200ELNS1_3gpuE4ELNS1_3repE0EEENS1_30default_config_static_selectorELNS0_4arch9wavefront6targetE0EEEvT1_,"axG",@progbits,_ZN7rocprim17ROCPRIM_400000_NS6detail17trampoline_kernelINS0_14default_configENS1_27scan_by_key_config_selectorIiyEEZZNS1_16scan_by_key_implILNS1_25lookback_scan_determinismE0ELb1ES3_N6thrust23THRUST_200600_302600_NS6detail15normal_iteratorINS9_10device_ptrIiEEEENSB_INSC_IyEEEESG_yNS9_4plusIvEENS9_8equal_toIvEEyEE10hipError_tPvRmT2_T3_T4_T5_mT6_T7_P12ihipStream_tbENKUlT_T0_E_clISt17integral_constantIbLb0EES10_IbLb1EEEEDaSW_SX_EUlSW_E_NS1_11comp_targetILNS1_3genE10ELNS1_11target_archE1200ELNS1_3gpuE4ELNS1_3repE0EEENS1_30default_config_static_selectorELNS0_4arch9wavefront6targetE0EEEvT1_,comdat
	.protected	_ZN7rocprim17ROCPRIM_400000_NS6detail17trampoline_kernelINS0_14default_configENS1_27scan_by_key_config_selectorIiyEEZZNS1_16scan_by_key_implILNS1_25lookback_scan_determinismE0ELb1ES3_N6thrust23THRUST_200600_302600_NS6detail15normal_iteratorINS9_10device_ptrIiEEEENSB_INSC_IyEEEESG_yNS9_4plusIvEENS9_8equal_toIvEEyEE10hipError_tPvRmT2_T3_T4_T5_mT6_T7_P12ihipStream_tbENKUlT_T0_E_clISt17integral_constantIbLb0EES10_IbLb1EEEEDaSW_SX_EUlSW_E_NS1_11comp_targetILNS1_3genE10ELNS1_11target_archE1200ELNS1_3gpuE4ELNS1_3repE0EEENS1_30default_config_static_selectorELNS0_4arch9wavefront6targetE0EEEvT1_ ; -- Begin function _ZN7rocprim17ROCPRIM_400000_NS6detail17trampoline_kernelINS0_14default_configENS1_27scan_by_key_config_selectorIiyEEZZNS1_16scan_by_key_implILNS1_25lookback_scan_determinismE0ELb1ES3_N6thrust23THRUST_200600_302600_NS6detail15normal_iteratorINS9_10device_ptrIiEEEENSB_INSC_IyEEEESG_yNS9_4plusIvEENS9_8equal_toIvEEyEE10hipError_tPvRmT2_T3_T4_T5_mT6_T7_P12ihipStream_tbENKUlT_T0_E_clISt17integral_constantIbLb0EES10_IbLb1EEEEDaSW_SX_EUlSW_E_NS1_11comp_targetILNS1_3genE10ELNS1_11target_archE1200ELNS1_3gpuE4ELNS1_3repE0EEENS1_30default_config_static_selectorELNS0_4arch9wavefront6targetE0EEEvT1_
	.globl	_ZN7rocprim17ROCPRIM_400000_NS6detail17trampoline_kernelINS0_14default_configENS1_27scan_by_key_config_selectorIiyEEZZNS1_16scan_by_key_implILNS1_25lookback_scan_determinismE0ELb1ES3_N6thrust23THRUST_200600_302600_NS6detail15normal_iteratorINS9_10device_ptrIiEEEENSB_INSC_IyEEEESG_yNS9_4plusIvEENS9_8equal_toIvEEyEE10hipError_tPvRmT2_T3_T4_T5_mT6_T7_P12ihipStream_tbENKUlT_T0_E_clISt17integral_constantIbLb0EES10_IbLb1EEEEDaSW_SX_EUlSW_E_NS1_11comp_targetILNS1_3genE10ELNS1_11target_archE1200ELNS1_3gpuE4ELNS1_3repE0EEENS1_30default_config_static_selectorELNS0_4arch9wavefront6targetE0EEEvT1_
	.p2align	8
	.type	_ZN7rocprim17ROCPRIM_400000_NS6detail17trampoline_kernelINS0_14default_configENS1_27scan_by_key_config_selectorIiyEEZZNS1_16scan_by_key_implILNS1_25lookback_scan_determinismE0ELb1ES3_N6thrust23THRUST_200600_302600_NS6detail15normal_iteratorINS9_10device_ptrIiEEEENSB_INSC_IyEEEESG_yNS9_4plusIvEENS9_8equal_toIvEEyEE10hipError_tPvRmT2_T3_T4_T5_mT6_T7_P12ihipStream_tbENKUlT_T0_E_clISt17integral_constantIbLb0EES10_IbLb1EEEEDaSW_SX_EUlSW_E_NS1_11comp_targetILNS1_3genE10ELNS1_11target_archE1200ELNS1_3gpuE4ELNS1_3repE0EEENS1_30default_config_static_selectorELNS0_4arch9wavefront6targetE0EEEvT1_,@function
_ZN7rocprim17ROCPRIM_400000_NS6detail17trampoline_kernelINS0_14default_configENS1_27scan_by_key_config_selectorIiyEEZZNS1_16scan_by_key_implILNS1_25lookback_scan_determinismE0ELb1ES3_N6thrust23THRUST_200600_302600_NS6detail15normal_iteratorINS9_10device_ptrIiEEEENSB_INSC_IyEEEESG_yNS9_4plusIvEENS9_8equal_toIvEEyEE10hipError_tPvRmT2_T3_T4_T5_mT6_T7_P12ihipStream_tbENKUlT_T0_E_clISt17integral_constantIbLb0EES10_IbLb1EEEEDaSW_SX_EUlSW_E_NS1_11comp_targetILNS1_3genE10ELNS1_11target_archE1200ELNS1_3gpuE4ELNS1_3repE0EEENS1_30default_config_static_selectorELNS0_4arch9wavefront6targetE0EEEvT1_: ; @_ZN7rocprim17ROCPRIM_400000_NS6detail17trampoline_kernelINS0_14default_configENS1_27scan_by_key_config_selectorIiyEEZZNS1_16scan_by_key_implILNS1_25lookback_scan_determinismE0ELb1ES3_N6thrust23THRUST_200600_302600_NS6detail15normal_iteratorINS9_10device_ptrIiEEEENSB_INSC_IyEEEESG_yNS9_4plusIvEENS9_8equal_toIvEEyEE10hipError_tPvRmT2_T3_T4_T5_mT6_T7_P12ihipStream_tbENKUlT_T0_E_clISt17integral_constantIbLb0EES10_IbLb1EEEEDaSW_SX_EUlSW_E_NS1_11comp_targetILNS1_3genE10ELNS1_11target_archE1200ELNS1_3gpuE4ELNS1_3repE0EEENS1_30default_config_static_selectorELNS0_4arch9wavefront6targetE0EEEvT1_
; %bb.0:
	.section	.rodata,"a",@progbits
	.p2align	6, 0x0
	.amdhsa_kernel _ZN7rocprim17ROCPRIM_400000_NS6detail17trampoline_kernelINS0_14default_configENS1_27scan_by_key_config_selectorIiyEEZZNS1_16scan_by_key_implILNS1_25lookback_scan_determinismE0ELb1ES3_N6thrust23THRUST_200600_302600_NS6detail15normal_iteratorINS9_10device_ptrIiEEEENSB_INSC_IyEEEESG_yNS9_4plusIvEENS9_8equal_toIvEEyEE10hipError_tPvRmT2_T3_T4_T5_mT6_T7_P12ihipStream_tbENKUlT_T0_E_clISt17integral_constantIbLb0EES10_IbLb1EEEEDaSW_SX_EUlSW_E_NS1_11comp_targetILNS1_3genE10ELNS1_11target_archE1200ELNS1_3gpuE4ELNS1_3repE0EEENS1_30default_config_static_selectorELNS0_4arch9wavefront6targetE0EEEvT1_
		.amdhsa_group_segment_fixed_size 0
		.amdhsa_private_segment_fixed_size 0
		.amdhsa_kernarg_size 136
		.amdhsa_user_sgpr_count 6
		.amdhsa_user_sgpr_private_segment_buffer 1
		.amdhsa_user_sgpr_dispatch_ptr 0
		.amdhsa_user_sgpr_queue_ptr 0
		.amdhsa_user_sgpr_kernarg_segment_ptr 1
		.amdhsa_user_sgpr_dispatch_id 0
		.amdhsa_user_sgpr_flat_scratch_init 0
		.amdhsa_user_sgpr_private_segment_size 0
		.amdhsa_wavefront_size32 1
		.amdhsa_uses_dynamic_stack 0
		.amdhsa_system_sgpr_private_segment_wavefront_offset 0
		.amdhsa_system_sgpr_workgroup_id_x 1
		.amdhsa_system_sgpr_workgroup_id_y 0
		.amdhsa_system_sgpr_workgroup_id_z 0
		.amdhsa_system_sgpr_workgroup_info 0
		.amdhsa_system_vgpr_workitem_id 0
		.amdhsa_next_free_vgpr 1
		.amdhsa_next_free_sgpr 1
		.amdhsa_reserve_vcc 0
		.amdhsa_reserve_flat_scratch 0
		.amdhsa_float_round_mode_32 0
		.amdhsa_float_round_mode_16_64 0
		.amdhsa_float_denorm_mode_32 3
		.amdhsa_float_denorm_mode_16_64 3
		.amdhsa_dx10_clamp 1
		.amdhsa_ieee_mode 1
		.amdhsa_fp16_overflow 0
		.amdhsa_workgroup_processor_mode 1
		.amdhsa_memory_ordered 1
		.amdhsa_forward_progress 1
		.amdhsa_shared_vgpr_count 0
		.amdhsa_exception_fp_ieee_invalid_op 0
		.amdhsa_exception_fp_denorm_src 0
		.amdhsa_exception_fp_ieee_div_zero 0
		.amdhsa_exception_fp_ieee_overflow 0
		.amdhsa_exception_fp_ieee_underflow 0
		.amdhsa_exception_fp_ieee_inexact 0
		.amdhsa_exception_int_div_zero 0
	.end_amdhsa_kernel
	.section	.text._ZN7rocprim17ROCPRIM_400000_NS6detail17trampoline_kernelINS0_14default_configENS1_27scan_by_key_config_selectorIiyEEZZNS1_16scan_by_key_implILNS1_25lookback_scan_determinismE0ELb1ES3_N6thrust23THRUST_200600_302600_NS6detail15normal_iteratorINS9_10device_ptrIiEEEENSB_INSC_IyEEEESG_yNS9_4plusIvEENS9_8equal_toIvEEyEE10hipError_tPvRmT2_T3_T4_T5_mT6_T7_P12ihipStream_tbENKUlT_T0_E_clISt17integral_constantIbLb0EES10_IbLb1EEEEDaSW_SX_EUlSW_E_NS1_11comp_targetILNS1_3genE10ELNS1_11target_archE1200ELNS1_3gpuE4ELNS1_3repE0EEENS1_30default_config_static_selectorELNS0_4arch9wavefront6targetE0EEEvT1_,"axG",@progbits,_ZN7rocprim17ROCPRIM_400000_NS6detail17trampoline_kernelINS0_14default_configENS1_27scan_by_key_config_selectorIiyEEZZNS1_16scan_by_key_implILNS1_25lookback_scan_determinismE0ELb1ES3_N6thrust23THRUST_200600_302600_NS6detail15normal_iteratorINS9_10device_ptrIiEEEENSB_INSC_IyEEEESG_yNS9_4plusIvEENS9_8equal_toIvEEyEE10hipError_tPvRmT2_T3_T4_T5_mT6_T7_P12ihipStream_tbENKUlT_T0_E_clISt17integral_constantIbLb0EES10_IbLb1EEEEDaSW_SX_EUlSW_E_NS1_11comp_targetILNS1_3genE10ELNS1_11target_archE1200ELNS1_3gpuE4ELNS1_3repE0EEENS1_30default_config_static_selectorELNS0_4arch9wavefront6targetE0EEEvT1_,comdat
.Lfunc_end1496:
	.size	_ZN7rocprim17ROCPRIM_400000_NS6detail17trampoline_kernelINS0_14default_configENS1_27scan_by_key_config_selectorIiyEEZZNS1_16scan_by_key_implILNS1_25lookback_scan_determinismE0ELb1ES3_N6thrust23THRUST_200600_302600_NS6detail15normal_iteratorINS9_10device_ptrIiEEEENSB_INSC_IyEEEESG_yNS9_4plusIvEENS9_8equal_toIvEEyEE10hipError_tPvRmT2_T3_T4_T5_mT6_T7_P12ihipStream_tbENKUlT_T0_E_clISt17integral_constantIbLb0EES10_IbLb1EEEEDaSW_SX_EUlSW_E_NS1_11comp_targetILNS1_3genE10ELNS1_11target_archE1200ELNS1_3gpuE4ELNS1_3repE0EEENS1_30default_config_static_selectorELNS0_4arch9wavefront6targetE0EEEvT1_, .Lfunc_end1496-_ZN7rocprim17ROCPRIM_400000_NS6detail17trampoline_kernelINS0_14default_configENS1_27scan_by_key_config_selectorIiyEEZZNS1_16scan_by_key_implILNS1_25lookback_scan_determinismE0ELb1ES3_N6thrust23THRUST_200600_302600_NS6detail15normal_iteratorINS9_10device_ptrIiEEEENSB_INSC_IyEEEESG_yNS9_4plusIvEENS9_8equal_toIvEEyEE10hipError_tPvRmT2_T3_T4_T5_mT6_T7_P12ihipStream_tbENKUlT_T0_E_clISt17integral_constantIbLb0EES10_IbLb1EEEEDaSW_SX_EUlSW_E_NS1_11comp_targetILNS1_3genE10ELNS1_11target_archE1200ELNS1_3gpuE4ELNS1_3repE0EEENS1_30default_config_static_selectorELNS0_4arch9wavefront6targetE0EEEvT1_
                                        ; -- End function
	.set _ZN7rocprim17ROCPRIM_400000_NS6detail17trampoline_kernelINS0_14default_configENS1_27scan_by_key_config_selectorIiyEEZZNS1_16scan_by_key_implILNS1_25lookback_scan_determinismE0ELb1ES3_N6thrust23THRUST_200600_302600_NS6detail15normal_iteratorINS9_10device_ptrIiEEEENSB_INSC_IyEEEESG_yNS9_4plusIvEENS9_8equal_toIvEEyEE10hipError_tPvRmT2_T3_T4_T5_mT6_T7_P12ihipStream_tbENKUlT_T0_E_clISt17integral_constantIbLb0EES10_IbLb1EEEEDaSW_SX_EUlSW_E_NS1_11comp_targetILNS1_3genE10ELNS1_11target_archE1200ELNS1_3gpuE4ELNS1_3repE0EEENS1_30default_config_static_selectorELNS0_4arch9wavefront6targetE0EEEvT1_.num_vgpr, 0
	.set _ZN7rocprim17ROCPRIM_400000_NS6detail17trampoline_kernelINS0_14default_configENS1_27scan_by_key_config_selectorIiyEEZZNS1_16scan_by_key_implILNS1_25lookback_scan_determinismE0ELb1ES3_N6thrust23THRUST_200600_302600_NS6detail15normal_iteratorINS9_10device_ptrIiEEEENSB_INSC_IyEEEESG_yNS9_4plusIvEENS9_8equal_toIvEEyEE10hipError_tPvRmT2_T3_T4_T5_mT6_T7_P12ihipStream_tbENKUlT_T0_E_clISt17integral_constantIbLb0EES10_IbLb1EEEEDaSW_SX_EUlSW_E_NS1_11comp_targetILNS1_3genE10ELNS1_11target_archE1200ELNS1_3gpuE4ELNS1_3repE0EEENS1_30default_config_static_selectorELNS0_4arch9wavefront6targetE0EEEvT1_.num_agpr, 0
	.set _ZN7rocprim17ROCPRIM_400000_NS6detail17trampoline_kernelINS0_14default_configENS1_27scan_by_key_config_selectorIiyEEZZNS1_16scan_by_key_implILNS1_25lookback_scan_determinismE0ELb1ES3_N6thrust23THRUST_200600_302600_NS6detail15normal_iteratorINS9_10device_ptrIiEEEENSB_INSC_IyEEEESG_yNS9_4plusIvEENS9_8equal_toIvEEyEE10hipError_tPvRmT2_T3_T4_T5_mT6_T7_P12ihipStream_tbENKUlT_T0_E_clISt17integral_constantIbLb0EES10_IbLb1EEEEDaSW_SX_EUlSW_E_NS1_11comp_targetILNS1_3genE10ELNS1_11target_archE1200ELNS1_3gpuE4ELNS1_3repE0EEENS1_30default_config_static_selectorELNS0_4arch9wavefront6targetE0EEEvT1_.numbered_sgpr, 0
	.set _ZN7rocprim17ROCPRIM_400000_NS6detail17trampoline_kernelINS0_14default_configENS1_27scan_by_key_config_selectorIiyEEZZNS1_16scan_by_key_implILNS1_25lookback_scan_determinismE0ELb1ES3_N6thrust23THRUST_200600_302600_NS6detail15normal_iteratorINS9_10device_ptrIiEEEENSB_INSC_IyEEEESG_yNS9_4plusIvEENS9_8equal_toIvEEyEE10hipError_tPvRmT2_T3_T4_T5_mT6_T7_P12ihipStream_tbENKUlT_T0_E_clISt17integral_constantIbLb0EES10_IbLb1EEEEDaSW_SX_EUlSW_E_NS1_11comp_targetILNS1_3genE10ELNS1_11target_archE1200ELNS1_3gpuE4ELNS1_3repE0EEENS1_30default_config_static_selectorELNS0_4arch9wavefront6targetE0EEEvT1_.num_named_barrier, 0
	.set _ZN7rocprim17ROCPRIM_400000_NS6detail17trampoline_kernelINS0_14default_configENS1_27scan_by_key_config_selectorIiyEEZZNS1_16scan_by_key_implILNS1_25lookback_scan_determinismE0ELb1ES3_N6thrust23THRUST_200600_302600_NS6detail15normal_iteratorINS9_10device_ptrIiEEEENSB_INSC_IyEEEESG_yNS9_4plusIvEENS9_8equal_toIvEEyEE10hipError_tPvRmT2_T3_T4_T5_mT6_T7_P12ihipStream_tbENKUlT_T0_E_clISt17integral_constantIbLb0EES10_IbLb1EEEEDaSW_SX_EUlSW_E_NS1_11comp_targetILNS1_3genE10ELNS1_11target_archE1200ELNS1_3gpuE4ELNS1_3repE0EEENS1_30default_config_static_selectorELNS0_4arch9wavefront6targetE0EEEvT1_.private_seg_size, 0
	.set _ZN7rocprim17ROCPRIM_400000_NS6detail17trampoline_kernelINS0_14default_configENS1_27scan_by_key_config_selectorIiyEEZZNS1_16scan_by_key_implILNS1_25lookback_scan_determinismE0ELb1ES3_N6thrust23THRUST_200600_302600_NS6detail15normal_iteratorINS9_10device_ptrIiEEEENSB_INSC_IyEEEESG_yNS9_4plusIvEENS9_8equal_toIvEEyEE10hipError_tPvRmT2_T3_T4_T5_mT6_T7_P12ihipStream_tbENKUlT_T0_E_clISt17integral_constantIbLb0EES10_IbLb1EEEEDaSW_SX_EUlSW_E_NS1_11comp_targetILNS1_3genE10ELNS1_11target_archE1200ELNS1_3gpuE4ELNS1_3repE0EEENS1_30default_config_static_selectorELNS0_4arch9wavefront6targetE0EEEvT1_.uses_vcc, 0
	.set _ZN7rocprim17ROCPRIM_400000_NS6detail17trampoline_kernelINS0_14default_configENS1_27scan_by_key_config_selectorIiyEEZZNS1_16scan_by_key_implILNS1_25lookback_scan_determinismE0ELb1ES3_N6thrust23THRUST_200600_302600_NS6detail15normal_iteratorINS9_10device_ptrIiEEEENSB_INSC_IyEEEESG_yNS9_4plusIvEENS9_8equal_toIvEEyEE10hipError_tPvRmT2_T3_T4_T5_mT6_T7_P12ihipStream_tbENKUlT_T0_E_clISt17integral_constantIbLb0EES10_IbLb1EEEEDaSW_SX_EUlSW_E_NS1_11comp_targetILNS1_3genE10ELNS1_11target_archE1200ELNS1_3gpuE4ELNS1_3repE0EEENS1_30default_config_static_selectorELNS0_4arch9wavefront6targetE0EEEvT1_.uses_flat_scratch, 0
	.set _ZN7rocprim17ROCPRIM_400000_NS6detail17trampoline_kernelINS0_14default_configENS1_27scan_by_key_config_selectorIiyEEZZNS1_16scan_by_key_implILNS1_25lookback_scan_determinismE0ELb1ES3_N6thrust23THRUST_200600_302600_NS6detail15normal_iteratorINS9_10device_ptrIiEEEENSB_INSC_IyEEEESG_yNS9_4plusIvEENS9_8equal_toIvEEyEE10hipError_tPvRmT2_T3_T4_T5_mT6_T7_P12ihipStream_tbENKUlT_T0_E_clISt17integral_constantIbLb0EES10_IbLb1EEEEDaSW_SX_EUlSW_E_NS1_11comp_targetILNS1_3genE10ELNS1_11target_archE1200ELNS1_3gpuE4ELNS1_3repE0EEENS1_30default_config_static_selectorELNS0_4arch9wavefront6targetE0EEEvT1_.has_dyn_sized_stack, 0
	.set _ZN7rocprim17ROCPRIM_400000_NS6detail17trampoline_kernelINS0_14default_configENS1_27scan_by_key_config_selectorIiyEEZZNS1_16scan_by_key_implILNS1_25lookback_scan_determinismE0ELb1ES3_N6thrust23THRUST_200600_302600_NS6detail15normal_iteratorINS9_10device_ptrIiEEEENSB_INSC_IyEEEESG_yNS9_4plusIvEENS9_8equal_toIvEEyEE10hipError_tPvRmT2_T3_T4_T5_mT6_T7_P12ihipStream_tbENKUlT_T0_E_clISt17integral_constantIbLb0EES10_IbLb1EEEEDaSW_SX_EUlSW_E_NS1_11comp_targetILNS1_3genE10ELNS1_11target_archE1200ELNS1_3gpuE4ELNS1_3repE0EEENS1_30default_config_static_selectorELNS0_4arch9wavefront6targetE0EEEvT1_.has_recursion, 0
	.set _ZN7rocprim17ROCPRIM_400000_NS6detail17trampoline_kernelINS0_14default_configENS1_27scan_by_key_config_selectorIiyEEZZNS1_16scan_by_key_implILNS1_25lookback_scan_determinismE0ELb1ES3_N6thrust23THRUST_200600_302600_NS6detail15normal_iteratorINS9_10device_ptrIiEEEENSB_INSC_IyEEEESG_yNS9_4plusIvEENS9_8equal_toIvEEyEE10hipError_tPvRmT2_T3_T4_T5_mT6_T7_P12ihipStream_tbENKUlT_T0_E_clISt17integral_constantIbLb0EES10_IbLb1EEEEDaSW_SX_EUlSW_E_NS1_11comp_targetILNS1_3genE10ELNS1_11target_archE1200ELNS1_3gpuE4ELNS1_3repE0EEENS1_30default_config_static_selectorELNS0_4arch9wavefront6targetE0EEEvT1_.has_indirect_call, 0
	.section	.AMDGPU.csdata,"",@progbits
; Kernel info:
; codeLenInByte = 0
; TotalNumSgprs: 0
; NumVgprs: 0
; ScratchSize: 0
; MemoryBound: 0
; FloatMode: 240
; IeeeMode: 1
; LDSByteSize: 0 bytes/workgroup (compile time only)
; SGPRBlocks: 0
; VGPRBlocks: 0
; NumSGPRsForWavesPerEU: 1
; NumVGPRsForWavesPerEU: 1
; Occupancy: 16
; WaveLimiterHint : 0
; COMPUTE_PGM_RSRC2:SCRATCH_EN: 0
; COMPUTE_PGM_RSRC2:USER_SGPR: 6
; COMPUTE_PGM_RSRC2:TRAP_HANDLER: 0
; COMPUTE_PGM_RSRC2:TGID_X_EN: 1
; COMPUTE_PGM_RSRC2:TGID_Y_EN: 0
; COMPUTE_PGM_RSRC2:TGID_Z_EN: 0
; COMPUTE_PGM_RSRC2:TIDIG_COMP_CNT: 0
	.section	.text._ZN7rocprim17ROCPRIM_400000_NS6detail17trampoline_kernelINS0_14default_configENS1_27scan_by_key_config_selectorIiyEEZZNS1_16scan_by_key_implILNS1_25lookback_scan_determinismE0ELb1ES3_N6thrust23THRUST_200600_302600_NS6detail15normal_iteratorINS9_10device_ptrIiEEEENSB_INSC_IyEEEESG_yNS9_4plusIvEENS9_8equal_toIvEEyEE10hipError_tPvRmT2_T3_T4_T5_mT6_T7_P12ihipStream_tbENKUlT_T0_E_clISt17integral_constantIbLb0EES10_IbLb1EEEEDaSW_SX_EUlSW_E_NS1_11comp_targetILNS1_3genE9ELNS1_11target_archE1100ELNS1_3gpuE3ELNS1_3repE0EEENS1_30default_config_static_selectorELNS0_4arch9wavefront6targetE0EEEvT1_,"axG",@progbits,_ZN7rocprim17ROCPRIM_400000_NS6detail17trampoline_kernelINS0_14default_configENS1_27scan_by_key_config_selectorIiyEEZZNS1_16scan_by_key_implILNS1_25lookback_scan_determinismE0ELb1ES3_N6thrust23THRUST_200600_302600_NS6detail15normal_iteratorINS9_10device_ptrIiEEEENSB_INSC_IyEEEESG_yNS9_4plusIvEENS9_8equal_toIvEEyEE10hipError_tPvRmT2_T3_T4_T5_mT6_T7_P12ihipStream_tbENKUlT_T0_E_clISt17integral_constantIbLb0EES10_IbLb1EEEEDaSW_SX_EUlSW_E_NS1_11comp_targetILNS1_3genE9ELNS1_11target_archE1100ELNS1_3gpuE3ELNS1_3repE0EEENS1_30default_config_static_selectorELNS0_4arch9wavefront6targetE0EEEvT1_,comdat
	.protected	_ZN7rocprim17ROCPRIM_400000_NS6detail17trampoline_kernelINS0_14default_configENS1_27scan_by_key_config_selectorIiyEEZZNS1_16scan_by_key_implILNS1_25lookback_scan_determinismE0ELb1ES3_N6thrust23THRUST_200600_302600_NS6detail15normal_iteratorINS9_10device_ptrIiEEEENSB_INSC_IyEEEESG_yNS9_4plusIvEENS9_8equal_toIvEEyEE10hipError_tPvRmT2_T3_T4_T5_mT6_T7_P12ihipStream_tbENKUlT_T0_E_clISt17integral_constantIbLb0EES10_IbLb1EEEEDaSW_SX_EUlSW_E_NS1_11comp_targetILNS1_3genE9ELNS1_11target_archE1100ELNS1_3gpuE3ELNS1_3repE0EEENS1_30default_config_static_selectorELNS0_4arch9wavefront6targetE0EEEvT1_ ; -- Begin function _ZN7rocprim17ROCPRIM_400000_NS6detail17trampoline_kernelINS0_14default_configENS1_27scan_by_key_config_selectorIiyEEZZNS1_16scan_by_key_implILNS1_25lookback_scan_determinismE0ELb1ES3_N6thrust23THRUST_200600_302600_NS6detail15normal_iteratorINS9_10device_ptrIiEEEENSB_INSC_IyEEEESG_yNS9_4plusIvEENS9_8equal_toIvEEyEE10hipError_tPvRmT2_T3_T4_T5_mT6_T7_P12ihipStream_tbENKUlT_T0_E_clISt17integral_constantIbLb0EES10_IbLb1EEEEDaSW_SX_EUlSW_E_NS1_11comp_targetILNS1_3genE9ELNS1_11target_archE1100ELNS1_3gpuE3ELNS1_3repE0EEENS1_30default_config_static_selectorELNS0_4arch9wavefront6targetE0EEEvT1_
	.globl	_ZN7rocprim17ROCPRIM_400000_NS6detail17trampoline_kernelINS0_14default_configENS1_27scan_by_key_config_selectorIiyEEZZNS1_16scan_by_key_implILNS1_25lookback_scan_determinismE0ELb1ES3_N6thrust23THRUST_200600_302600_NS6detail15normal_iteratorINS9_10device_ptrIiEEEENSB_INSC_IyEEEESG_yNS9_4plusIvEENS9_8equal_toIvEEyEE10hipError_tPvRmT2_T3_T4_T5_mT6_T7_P12ihipStream_tbENKUlT_T0_E_clISt17integral_constantIbLb0EES10_IbLb1EEEEDaSW_SX_EUlSW_E_NS1_11comp_targetILNS1_3genE9ELNS1_11target_archE1100ELNS1_3gpuE3ELNS1_3repE0EEENS1_30default_config_static_selectorELNS0_4arch9wavefront6targetE0EEEvT1_
	.p2align	8
	.type	_ZN7rocprim17ROCPRIM_400000_NS6detail17trampoline_kernelINS0_14default_configENS1_27scan_by_key_config_selectorIiyEEZZNS1_16scan_by_key_implILNS1_25lookback_scan_determinismE0ELb1ES3_N6thrust23THRUST_200600_302600_NS6detail15normal_iteratorINS9_10device_ptrIiEEEENSB_INSC_IyEEEESG_yNS9_4plusIvEENS9_8equal_toIvEEyEE10hipError_tPvRmT2_T3_T4_T5_mT6_T7_P12ihipStream_tbENKUlT_T0_E_clISt17integral_constantIbLb0EES10_IbLb1EEEEDaSW_SX_EUlSW_E_NS1_11comp_targetILNS1_3genE9ELNS1_11target_archE1100ELNS1_3gpuE3ELNS1_3repE0EEENS1_30default_config_static_selectorELNS0_4arch9wavefront6targetE0EEEvT1_,@function
_ZN7rocprim17ROCPRIM_400000_NS6detail17trampoline_kernelINS0_14default_configENS1_27scan_by_key_config_selectorIiyEEZZNS1_16scan_by_key_implILNS1_25lookback_scan_determinismE0ELb1ES3_N6thrust23THRUST_200600_302600_NS6detail15normal_iteratorINS9_10device_ptrIiEEEENSB_INSC_IyEEEESG_yNS9_4plusIvEENS9_8equal_toIvEEyEE10hipError_tPvRmT2_T3_T4_T5_mT6_T7_P12ihipStream_tbENKUlT_T0_E_clISt17integral_constantIbLb0EES10_IbLb1EEEEDaSW_SX_EUlSW_E_NS1_11comp_targetILNS1_3genE9ELNS1_11target_archE1100ELNS1_3gpuE3ELNS1_3repE0EEENS1_30default_config_static_selectorELNS0_4arch9wavefront6targetE0EEEvT1_: ; @_ZN7rocprim17ROCPRIM_400000_NS6detail17trampoline_kernelINS0_14default_configENS1_27scan_by_key_config_selectorIiyEEZZNS1_16scan_by_key_implILNS1_25lookback_scan_determinismE0ELb1ES3_N6thrust23THRUST_200600_302600_NS6detail15normal_iteratorINS9_10device_ptrIiEEEENSB_INSC_IyEEEESG_yNS9_4plusIvEENS9_8equal_toIvEEyEE10hipError_tPvRmT2_T3_T4_T5_mT6_T7_P12ihipStream_tbENKUlT_T0_E_clISt17integral_constantIbLb0EES10_IbLb1EEEEDaSW_SX_EUlSW_E_NS1_11comp_targetILNS1_3genE9ELNS1_11target_archE1100ELNS1_3gpuE3ELNS1_3repE0EEENS1_30default_config_static_selectorELNS0_4arch9wavefront6targetE0EEEvT1_
; %bb.0:
	.section	.rodata,"a",@progbits
	.p2align	6, 0x0
	.amdhsa_kernel _ZN7rocprim17ROCPRIM_400000_NS6detail17trampoline_kernelINS0_14default_configENS1_27scan_by_key_config_selectorIiyEEZZNS1_16scan_by_key_implILNS1_25lookback_scan_determinismE0ELb1ES3_N6thrust23THRUST_200600_302600_NS6detail15normal_iteratorINS9_10device_ptrIiEEEENSB_INSC_IyEEEESG_yNS9_4plusIvEENS9_8equal_toIvEEyEE10hipError_tPvRmT2_T3_T4_T5_mT6_T7_P12ihipStream_tbENKUlT_T0_E_clISt17integral_constantIbLb0EES10_IbLb1EEEEDaSW_SX_EUlSW_E_NS1_11comp_targetILNS1_3genE9ELNS1_11target_archE1100ELNS1_3gpuE3ELNS1_3repE0EEENS1_30default_config_static_selectorELNS0_4arch9wavefront6targetE0EEEvT1_
		.amdhsa_group_segment_fixed_size 0
		.amdhsa_private_segment_fixed_size 0
		.amdhsa_kernarg_size 136
		.amdhsa_user_sgpr_count 6
		.amdhsa_user_sgpr_private_segment_buffer 1
		.amdhsa_user_sgpr_dispatch_ptr 0
		.amdhsa_user_sgpr_queue_ptr 0
		.amdhsa_user_sgpr_kernarg_segment_ptr 1
		.amdhsa_user_sgpr_dispatch_id 0
		.amdhsa_user_sgpr_flat_scratch_init 0
		.amdhsa_user_sgpr_private_segment_size 0
		.amdhsa_wavefront_size32 1
		.amdhsa_uses_dynamic_stack 0
		.amdhsa_system_sgpr_private_segment_wavefront_offset 0
		.amdhsa_system_sgpr_workgroup_id_x 1
		.amdhsa_system_sgpr_workgroup_id_y 0
		.amdhsa_system_sgpr_workgroup_id_z 0
		.amdhsa_system_sgpr_workgroup_info 0
		.amdhsa_system_vgpr_workitem_id 0
		.amdhsa_next_free_vgpr 1
		.amdhsa_next_free_sgpr 1
		.amdhsa_reserve_vcc 0
		.amdhsa_reserve_flat_scratch 0
		.amdhsa_float_round_mode_32 0
		.amdhsa_float_round_mode_16_64 0
		.amdhsa_float_denorm_mode_32 3
		.amdhsa_float_denorm_mode_16_64 3
		.amdhsa_dx10_clamp 1
		.amdhsa_ieee_mode 1
		.amdhsa_fp16_overflow 0
		.amdhsa_workgroup_processor_mode 1
		.amdhsa_memory_ordered 1
		.amdhsa_forward_progress 1
		.amdhsa_shared_vgpr_count 0
		.amdhsa_exception_fp_ieee_invalid_op 0
		.amdhsa_exception_fp_denorm_src 0
		.amdhsa_exception_fp_ieee_div_zero 0
		.amdhsa_exception_fp_ieee_overflow 0
		.amdhsa_exception_fp_ieee_underflow 0
		.amdhsa_exception_fp_ieee_inexact 0
		.amdhsa_exception_int_div_zero 0
	.end_amdhsa_kernel
	.section	.text._ZN7rocprim17ROCPRIM_400000_NS6detail17trampoline_kernelINS0_14default_configENS1_27scan_by_key_config_selectorIiyEEZZNS1_16scan_by_key_implILNS1_25lookback_scan_determinismE0ELb1ES3_N6thrust23THRUST_200600_302600_NS6detail15normal_iteratorINS9_10device_ptrIiEEEENSB_INSC_IyEEEESG_yNS9_4plusIvEENS9_8equal_toIvEEyEE10hipError_tPvRmT2_T3_T4_T5_mT6_T7_P12ihipStream_tbENKUlT_T0_E_clISt17integral_constantIbLb0EES10_IbLb1EEEEDaSW_SX_EUlSW_E_NS1_11comp_targetILNS1_3genE9ELNS1_11target_archE1100ELNS1_3gpuE3ELNS1_3repE0EEENS1_30default_config_static_selectorELNS0_4arch9wavefront6targetE0EEEvT1_,"axG",@progbits,_ZN7rocprim17ROCPRIM_400000_NS6detail17trampoline_kernelINS0_14default_configENS1_27scan_by_key_config_selectorIiyEEZZNS1_16scan_by_key_implILNS1_25lookback_scan_determinismE0ELb1ES3_N6thrust23THRUST_200600_302600_NS6detail15normal_iteratorINS9_10device_ptrIiEEEENSB_INSC_IyEEEESG_yNS9_4plusIvEENS9_8equal_toIvEEyEE10hipError_tPvRmT2_T3_T4_T5_mT6_T7_P12ihipStream_tbENKUlT_T0_E_clISt17integral_constantIbLb0EES10_IbLb1EEEEDaSW_SX_EUlSW_E_NS1_11comp_targetILNS1_3genE9ELNS1_11target_archE1100ELNS1_3gpuE3ELNS1_3repE0EEENS1_30default_config_static_selectorELNS0_4arch9wavefront6targetE0EEEvT1_,comdat
.Lfunc_end1497:
	.size	_ZN7rocprim17ROCPRIM_400000_NS6detail17trampoline_kernelINS0_14default_configENS1_27scan_by_key_config_selectorIiyEEZZNS1_16scan_by_key_implILNS1_25lookback_scan_determinismE0ELb1ES3_N6thrust23THRUST_200600_302600_NS6detail15normal_iteratorINS9_10device_ptrIiEEEENSB_INSC_IyEEEESG_yNS9_4plusIvEENS9_8equal_toIvEEyEE10hipError_tPvRmT2_T3_T4_T5_mT6_T7_P12ihipStream_tbENKUlT_T0_E_clISt17integral_constantIbLb0EES10_IbLb1EEEEDaSW_SX_EUlSW_E_NS1_11comp_targetILNS1_3genE9ELNS1_11target_archE1100ELNS1_3gpuE3ELNS1_3repE0EEENS1_30default_config_static_selectorELNS0_4arch9wavefront6targetE0EEEvT1_, .Lfunc_end1497-_ZN7rocprim17ROCPRIM_400000_NS6detail17trampoline_kernelINS0_14default_configENS1_27scan_by_key_config_selectorIiyEEZZNS1_16scan_by_key_implILNS1_25lookback_scan_determinismE0ELb1ES3_N6thrust23THRUST_200600_302600_NS6detail15normal_iteratorINS9_10device_ptrIiEEEENSB_INSC_IyEEEESG_yNS9_4plusIvEENS9_8equal_toIvEEyEE10hipError_tPvRmT2_T3_T4_T5_mT6_T7_P12ihipStream_tbENKUlT_T0_E_clISt17integral_constantIbLb0EES10_IbLb1EEEEDaSW_SX_EUlSW_E_NS1_11comp_targetILNS1_3genE9ELNS1_11target_archE1100ELNS1_3gpuE3ELNS1_3repE0EEENS1_30default_config_static_selectorELNS0_4arch9wavefront6targetE0EEEvT1_
                                        ; -- End function
	.set _ZN7rocprim17ROCPRIM_400000_NS6detail17trampoline_kernelINS0_14default_configENS1_27scan_by_key_config_selectorIiyEEZZNS1_16scan_by_key_implILNS1_25lookback_scan_determinismE0ELb1ES3_N6thrust23THRUST_200600_302600_NS6detail15normal_iteratorINS9_10device_ptrIiEEEENSB_INSC_IyEEEESG_yNS9_4plusIvEENS9_8equal_toIvEEyEE10hipError_tPvRmT2_T3_T4_T5_mT6_T7_P12ihipStream_tbENKUlT_T0_E_clISt17integral_constantIbLb0EES10_IbLb1EEEEDaSW_SX_EUlSW_E_NS1_11comp_targetILNS1_3genE9ELNS1_11target_archE1100ELNS1_3gpuE3ELNS1_3repE0EEENS1_30default_config_static_selectorELNS0_4arch9wavefront6targetE0EEEvT1_.num_vgpr, 0
	.set _ZN7rocprim17ROCPRIM_400000_NS6detail17trampoline_kernelINS0_14default_configENS1_27scan_by_key_config_selectorIiyEEZZNS1_16scan_by_key_implILNS1_25lookback_scan_determinismE0ELb1ES3_N6thrust23THRUST_200600_302600_NS6detail15normal_iteratorINS9_10device_ptrIiEEEENSB_INSC_IyEEEESG_yNS9_4plusIvEENS9_8equal_toIvEEyEE10hipError_tPvRmT2_T3_T4_T5_mT6_T7_P12ihipStream_tbENKUlT_T0_E_clISt17integral_constantIbLb0EES10_IbLb1EEEEDaSW_SX_EUlSW_E_NS1_11comp_targetILNS1_3genE9ELNS1_11target_archE1100ELNS1_3gpuE3ELNS1_3repE0EEENS1_30default_config_static_selectorELNS0_4arch9wavefront6targetE0EEEvT1_.num_agpr, 0
	.set _ZN7rocprim17ROCPRIM_400000_NS6detail17trampoline_kernelINS0_14default_configENS1_27scan_by_key_config_selectorIiyEEZZNS1_16scan_by_key_implILNS1_25lookback_scan_determinismE0ELb1ES3_N6thrust23THRUST_200600_302600_NS6detail15normal_iteratorINS9_10device_ptrIiEEEENSB_INSC_IyEEEESG_yNS9_4plusIvEENS9_8equal_toIvEEyEE10hipError_tPvRmT2_T3_T4_T5_mT6_T7_P12ihipStream_tbENKUlT_T0_E_clISt17integral_constantIbLb0EES10_IbLb1EEEEDaSW_SX_EUlSW_E_NS1_11comp_targetILNS1_3genE9ELNS1_11target_archE1100ELNS1_3gpuE3ELNS1_3repE0EEENS1_30default_config_static_selectorELNS0_4arch9wavefront6targetE0EEEvT1_.numbered_sgpr, 0
	.set _ZN7rocprim17ROCPRIM_400000_NS6detail17trampoline_kernelINS0_14default_configENS1_27scan_by_key_config_selectorIiyEEZZNS1_16scan_by_key_implILNS1_25lookback_scan_determinismE0ELb1ES3_N6thrust23THRUST_200600_302600_NS6detail15normal_iteratorINS9_10device_ptrIiEEEENSB_INSC_IyEEEESG_yNS9_4plusIvEENS9_8equal_toIvEEyEE10hipError_tPvRmT2_T3_T4_T5_mT6_T7_P12ihipStream_tbENKUlT_T0_E_clISt17integral_constantIbLb0EES10_IbLb1EEEEDaSW_SX_EUlSW_E_NS1_11comp_targetILNS1_3genE9ELNS1_11target_archE1100ELNS1_3gpuE3ELNS1_3repE0EEENS1_30default_config_static_selectorELNS0_4arch9wavefront6targetE0EEEvT1_.num_named_barrier, 0
	.set _ZN7rocprim17ROCPRIM_400000_NS6detail17trampoline_kernelINS0_14default_configENS1_27scan_by_key_config_selectorIiyEEZZNS1_16scan_by_key_implILNS1_25lookback_scan_determinismE0ELb1ES3_N6thrust23THRUST_200600_302600_NS6detail15normal_iteratorINS9_10device_ptrIiEEEENSB_INSC_IyEEEESG_yNS9_4plusIvEENS9_8equal_toIvEEyEE10hipError_tPvRmT2_T3_T4_T5_mT6_T7_P12ihipStream_tbENKUlT_T0_E_clISt17integral_constantIbLb0EES10_IbLb1EEEEDaSW_SX_EUlSW_E_NS1_11comp_targetILNS1_3genE9ELNS1_11target_archE1100ELNS1_3gpuE3ELNS1_3repE0EEENS1_30default_config_static_selectorELNS0_4arch9wavefront6targetE0EEEvT1_.private_seg_size, 0
	.set _ZN7rocprim17ROCPRIM_400000_NS6detail17trampoline_kernelINS0_14default_configENS1_27scan_by_key_config_selectorIiyEEZZNS1_16scan_by_key_implILNS1_25lookback_scan_determinismE0ELb1ES3_N6thrust23THRUST_200600_302600_NS6detail15normal_iteratorINS9_10device_ptrIiEEEENSB_INSC_IyEEEESG_yNS9_4plusIvEENS9_8equal_toIvEEyEE10hipError_tPvRmT2_T3_T4_T5_mT6_T7_P12ihipStream_tbENKUlT_T0_E_clISt17integral_constantIbLb0EES10_IbLb1EEEEDaSW_SX_EUlSW_E_NS1_11comp_targetILNS1_3genE9ELNS1_11target_archE1100ELNS1_3gpuE3ELNS1_3repE0EEENS1_30default_config_static_selectorELNS0_4arch9wavefront6targetE0EEEvT1_.uses_vcc, 0
	.set _ZN7rocprim17ROCPRIM_400000_NS6detail17trampoline_kernelINS0_14default_configENS1_27scan_by_key_config_selectorIiyEEZZNS1_16scan_by_key_implILNS1_25lookback_scan_determinismE0ELb1ES3_N6thrust23THRUST_200600_302600_NS6detail15normal_iteratorINS9_10device_ptrIiEEEENSB_INSC_IyEEEESG_yNS9_4plusIvEENS9_8equal_toIvEEyEE10hipError_tPvRmT2_T3_T4_T5_mT6_T7_P12ihipStream_tbENKUlT_T0_E_clISt17integral_constantIbLb0EES10_IbLb1EEEEDaSW_SX_EUlSW_E_NS1_11comp_targetILNS1_3genE9ELNS1_11target_archE1100ELNS1_3gpuE3ELNS1_3repE0EEENS1_30default_config_static_selectorELNS0_4arch9wavefront6targetE0EEEvT1_.uses_flat_scratch, 0
	.set _ZN7rocprim17ROCPRIM_400000_NS6detail17trampoline_kernelINS0_14default_configENS1_27scan_by_key_config_selectorIiyEEZZNS1_16scan_by_key_implILNS1_25lookback_scan_determinismE0ELb1ES3_N6thrust23THRUST_200600_302600_NS6detail15normal_iteratorINS9_10device_ptrIiEEEENSB_INSC_IyEEEESG_yNS9_4plusIvEENS9_8equal_toIvEEyEE10hipError_tPvRmT2_T3_T4_T5_mT6_T7_P12ihipStream_tbENKUlT_T0_E_clISt17integral_constantIbLb0EES10_IbLb1EEEEDaSW_SX_EUlSW_E_NS1_11comp_targetILNS1_3genE9ELNS1_11target_archE1100ELNS1_3gpuE3ELNS1_3repE0EEENS1_30default_config_static_selectorELNS0_4arch9wavefront6targetE0EEEvT1_.has_dyn_sized_stack, 0
	.set _ZN7rocprim17ROCPRIM_400000_NS6detail17trampoline_kernelINS0_14default_configENS1_27scan_by_key_config_selectorIiyEEZZNS1_16scan_by_key_implILNS1_25lookback_scan_determinismE0ELb1ES3_N6thrust23THRUST_200600_302600_NS6detail15normal_iteratorINS9_10device_ptrIiEEEENSB_INSC_IyEEEESG_yNS9_4plusIvEENS9_8equal_toIvEEyEE10hipError_tPvRmT2_T3_T4_T5_mT6_T7_P12ihipStream_tbENKUlT_T0_E_clISt17integral_constantIbLb0EES10_IbLb1EEEEDaSW_SX_EUlSW_E_NS1_11comp_targetILNS1_3genE9ELNS1_11target_archE1100ELNS1_3gpuE3ELNS1_3repE0EEENS1_30default_config_static_selectorELNS0_4arch9wavefront6targetE0EEEvT1_.has_recursion, 0
	.set _ZN7rocprim17ROCPRIM_400000_NS6detail17trampoline_kernelINS0_14default_configENS1_27scan_by_key_config_selectorIiyEEZZNS1_16scan_by_key_implILNS1_25lookback_scan_determinismE0ELb1ES3_N6thrust23THRUST_200600_302600_NS6detail15normal_iteratorINS9_10device_ptrIiEEEENSB_INSC_IyEEEESG_yNS9_4plusIvEENS9_8equal_toIvEEyEE10hipError_tPvRmT2_T3_T4_T5_mT6_T7_P12ihipStream_tbENKUlT_T0_E_clISt17integral_constantIbLb0EES10_IbLb1EEEEDaSW_SX_EUlSW_E_NS1_11comp_targetILNS1_3genE9ELNS1_11target_archE1100ELNS1_3gpuE3ELNS1_3repE0EEENS1_30default_config_static_selectorELNS0_4arch9wavefront6targetE0EEEvT1_.has_indirect_call, 0
	.section	.AMDGPU.csdata,"",@progbits
; Kernel info:
; codeLenInByte = 0
; TotalNumSgprs: 0
; NumVgprs: 0
; ScratchSize: 0
; MemoryBound: 0
; FloatMode: 240
; IeeeMode: 1
; LDSByteSize: 0 bytes/workgroup (compile time only)
; SGPRBlocks: 0
; VGPRBlocks: 0
; NumSGPRsForWavesPerEU: 1
; NumVGPRsForWavesPerEU: 1
; Occupancy: 16
; WaveLimiterHint : 0
; COMPUTE_PGM_RSRC2:SCRATCH_EN: 0
; COMPUTE_PGM_RSRC2:USER_SGPR: 6
; COMPUTE_PGM_RSRC2:TRAP_HANDLER: 0
; COMPUTE_PGM_RSRC2:TGID_X_EN: 1
; COMPUTE_PGM_RSRC2:TGID_Y_EN: 0
; COMPUTE_PGM_RSRC2:TGID_Z_EN: 0
; COMPUTE_PGM_RSRC2:TIDIG_COMP_CNT: 0
	.section	.text._ZN7rocprim17ROCPRIM_400000_NS6detail17trampoline_kernelINS0_14default_configENS1_27scan_by_key_config_selectorIiyEEZZNS1_16scan_by_key_implILNS1_25lookback_scan_determinismE0ELb1ES3_N6thrust23THRUST_200600_302600_NS6detail15normal_iteratorINS9_10device_ptrIiEEEENSB_INSC_IyEEEESG_yNS9_4plusIvEENS9_8equal_toIvEEyEE10hipError_tPvRmT2_T3_T4_T5_mT6_T7_P12ihipStream_tbENKUlT_T0_E_clISt17integral_constantIbLb0EES10_IbLb1EEEEDaSW_SX_EUlSW_E_NS1_11comp_targetILNS1_3genE8ELNS1_11target_archE1030ELNS1_3gpuE2ELNS1_3repE0EEENS1_30default_config_static_selectorELNS0_4arch9wavefront6targetE0EEEvT1_,"axG",@progbits,_ZN7rocprim17ROCPRIM_400000_NS6detail17trampoline_kernelINS0_14default_configENS1_27scan_by_key_config_selectorIiyEEZZNS1_16scan_by_key_implILNS1_25lookback_scan_determinismE0ELb1ES3_N6thrust23THRUST_200600_302600_NS6detail15normal_iteratorINS9_10device_ptrIiEEEENSB_INSC_IyEEEESG_yNS9_4plusIvEENS9_8equal_toIvEEyEE10hipError_tPvRmT2_T3_T4_T5_mT6_T7_P12ihipStream_tbENKUlT_T0_E_clISt17integral_constantIbLb0EES10_IbLb1EEEEDaSW_SX_EUlSW_E_NS1_11comp_targetILNS1_3genE8ELNS1_11target_archE1030ELNS1_3gpuE2ELNS1_3repE0EEENS1_30default_config_static_selectorELNS0_4arch9wavefront6targetE0EEEvT1_,comdat
	.protected	_ZN7rocprim17ROCPRIM_400000_NS6detail17trampoline_kernelINS0_14default_configENS1_27scan_by_key_config_selectorIiyEEZZNS1_16scan_by_key_implILNS1_25lookback_scan_determinismE0ELb1ES3_N6thrust23THRUST_200600_302600_NS6detail15normal_iteratorINS9_10device_ptrIiEEEENSB_INSC_IyEEEESG_yNS9_4plusIvEENS9_8equal_toIvEEyEE10hipError_tPvRmT2_T3_T4_T5_mT6_T7_P12ihipStream_tbENKUlT_T0_E_clISt17integral_constantIbLb0EES10_IbLb1EEEEDaSW_SX_EUlSW_E_NS1_11comp_targetILNS1_3genE8ELNS1_11target_archE1030ELNS1_3gpuE2ELNS1_3repE0EEENS1_30default_config_static_selectorELNS0_4arch9wavefront6targetE0EEEvT1_ ; -- Begin function _ZN7rocprim17ROCPRIM_400000_NS6detail17trampoline_kernelINS0_14default_configENS1_27scan_by_key_config_selectorIiyEEZZNS1_16scan_by_key_implILNS1_25lookback_scan_determinismE0ELb1ES3_N6thrust23THRUST_200600_302600_NS6detail15normal_iteratorINS9_10device_ptrIiEEEENSB_INSC_IyEEEESG_yNS9_4plusIvEENS9_8equal_toIvEEyEE10hipError_tPvRmT2_T3_T4_T5_mT6_T7_P12ihipStream_tbENKUlT_T0_E_clISt17integral_constantIbLb0EES10_IbLb1EEEEDaSW_SX_EUlSW_E_NS1_11comp_targetILNS1_3genE8ELNS1_11target_archE1030ELNS1_3gpuE2ELNS1_3repE0EEENS1_30default_config_static_selectorELNS0_4arch9wavefront6targetE0EEEvT1_
	.globl	_ZN7rocprim17ROCPRIM_400000_NS6detail17trampoline_kernelINS0_14default_configENS1_27scan_by_key_config_selectorIiyEEZZNS1_16scan_by_key_implILNS1_25lookback_scan_determinismE0ELb1ES3_N6thrust23THRUST_200600_302600_NS6detail15normal_iteratorINS9_10device_ptrIiEEEENSB_INSC_IyEEEESG_yNS9_4plusIvEENS9_8equal_toIvEEyEE10hipError_tPvRmT2_T3_T4_T5_mT6_T7_P12ihipStream_tbENKUlT_T0_E_clISt17integral_constantIbLb0EES10_IbLb1EEEEDaSW_SX_EUlSW_E_NS1_11comp_targetILNS1_3genE8ELNS1_11target_archE1030ELNS1_3gpuE2ELNS1_3repE0EEENS1_30default_config_static_selectorELNS0_4arch9wavefront6targetE0EEEvT1_
	.p2align	8
	.type	_ZN7rocprim17ROCPRIM_400000_NS6detail17trampoline_kernelINS0_14default_configENS1_27scan_by_key_config_selectorIiyEEZZNS1_16scan_by_key_implILNS1_25lookback_scan_determinismE0ELb1ES3_N6thrust23THRUST_200600_302600_NS6detail15normal_iteratorINS9_10device_ptrIiEEEENSB_INSC_IyEEEESG_yNS9_4plusIvEENS9_8equal_toIvEEyEE10hipError_tPvRmT2_T3_T4_T5_mT6_T7_P12ihipStream_tbENKUlT_T0_E_clISt17integral_constantIbLb0EES10_IbLb1EEEEDaSW_SX_EUlSW_E_NS1_11comp_targetILNS1_3genE8ELNS1_11target_archE1030ELNS1_3gpuE2ELNS1_3repE0EEENS1_30default_config_static_selectorELNS0_4arch9wavefront6targetE0EEEvT1_,@function
_ZN7rocprim17ROCPRIM_400000_NS6detail17trampoline_kernelINS0_14default_configENS1_27scan_by_key_config_selectorIiyEEZZNS1_16scan_by_key_implILNS1_25lookback_scan_determinismE0ELb1ES3_N6thrust23THRUST_200600_302600_NS6detail15normal_iteratorINS9_10device_ptrIiEEEENSB_INSC_IyEEEESG_yNS9_4plusIvEENS9_8equal_toIvEEyEE10hipError_tPvRmT2_T3_T4_T5_mT6_T7_P12ihipStream_tbENKUlT_T0_E_clISt17integral_constantIbLb0EES10_IbLb1EEEEDaSW_SX_EUlSW_E_NS1_11comp_targetILNS1_3genE8ELNS1_11target_archE1030ELNS1_3gpuE2ELNS1_3repE0EEENS1_30default_config_static_selectorELNS0_4arch9wavefront6targetE0EEEvT1_: ; @_ZN7rocprim17ROCPRIM_400000_NS6detail17trampoline_kernelINS0_14default_configENS1_27scan_by_key_config_selectorIiyEEZZNS1_16scan_by_key_implILNS1_25lookback_scan_determinismE0ELb1ES3_N6thrust23THRUST_200600_302600_NS6detail15normal_iteratorINS9_10device_ptrIiEEEENSB_INSC_IyEEEESG_yNS9_4plusIvEENS9_8equal_toIvEEyEE10hipError_tPvRmT2_T3_T4_T5_mT6_T7_P12ihipStream_tbENKUlT_T0_E_clISt17integral_constantIbLb0EES10_IbLb1EEEEDaSW_SX_EUlSW_E_NS1_11comp_targetILNS1_3genE8ELNS1_11target_archE1030ELNS1_3gpuE2ELNS1_3repE0EEENS1_30default_config_static_selectorELNS0_4arch9wavefront6targetE0EEEvT1_
; %bb.0:
	s_clause 0x3
	s_load_dwordx8 s[16:23], s[4:5], 0x0
	s_load_dwordx2 s[28:29], s[4:5], 0x20
	s_load_dwordx8 s[8:15], s[4:5], 0x30
	s_load_dwordx2 s[30:31], s[4:5], 0x50
	v_cmp_ne_u32_e64 s2, 0, v0
	v_cmp_eq_u32_e64 s0, 0, v0
	s_and_saveexec_b32 s1, s0
	s_cbranch_execz .LBB1498_4
; %bb.1:
	s_mov_b32 s6, exec_lo
	s_mov_b32 s3, exec_lo
	v_mbcnt_lo_u32_b32 v1, s6, 0
                                        ; implicit-def: $vgpr2
	v_cmpx_eq_u32_e32 0, v1
	s_cbranch_execz .LBB1498_3
; %bb.2:
	s_load_dwordx2 s[24:25], s[4:5], 0x80
	s_bcnt1_i32_b32 s6, s6
	v_mov_b32_e32 v2, 0
	v_mov_b32_e32 v3, s6
	s_waitcnt lgkmcnt(0)
	global_atomic_add v2, v2, v3, s[24:25] glc
.LBB1498_3:
	s_or_b32 exec_lo, exec_lo, s3
	s_waitcnt vmcnt(0)
	v_readfirstlane_b32 s3, v2
	v_mov_b32_e32 v2, 0
	v_add_nc_u32_e32 v1, s3, v1
	ds_write_b32 v2, v1
.LBB1498_4:
	s_or_b32 exec_lo, exec_lo, s1
	v_mov_b32_e32 v1, 0
	s_clause 0x1
	s_load_dword s1, s[4:5], 0x58
	s_load_dwordx4 s[24:27], s[4:5], 0x60
	s_waitcnt lgkmcnt(0)
	s_barrier
	buffer_gl0_inv
	ds_read_b32 v1, v1
	s_lshl_b64 s[4:5], s[18:19], 2
	s_waitcnt lgkmcnt(0)
	s_add_u32 s34, s16, s4
	s_addc_u32 s35, s17, s5
	s_lshl_b64 s[16:17], s[18:19], 3
	s_mov_b32 s5, 0
	s_add_u32 s20, s20, s16
	s_addc_u32 s21, s21, s17
	s_barrier
	buffer_gl0_inv
	s_barrier
	buffer_gl0_inv
	s_mul_i32 s3, s31, s1
	s_mul_hi_u32 s15, s30, s1
	s_mul_i32 s1, s30, s1
	s_add_i32 s15, s15, s3
	v_readfirstlane_b32 s33, v1
	v_add_co_u32 v1, s1, s1, v1
	v_add_co_ci_u32_e64 v2, null, s15, 0, s1
	s_mul_i32 s4, s33, 0x300
	s_lshl_b64 s[6:7], s[4:5], 2
	s_add_u32 s6, s34, s6
	s_addc_u32 s7, s35, s7
	s_lshl_b64 s[18:19], s[4:5], 3
	s_add_u32 s20, s20, s18
	s_addc_u32 s21, s21, s19
	s_add_u32 s24, s24, -1
	s_addc_u32 s25, s25, -1
	s_mul_i32 s15, s24, 0xfffffd00
	v_cmp_le_u64_e64 s1, s[24:25], v[1:2]
	s_and_b32 vcc_lo, exec_lo, s1
	s_cbranch_vccz .LBB1498_24
; %bb.5:
	v_mov_b32_e32 v1, s6
	v_mov_b32_e32 v2, s7
	s_add_i32 s24, s15, s14
	v_cmp_gt_u32_e64 s4, s24, v0
	flat_load_dword v1, v[1:2]
	s_waitcnt vmcnt(0) lgkmcnt(0)
	v_mov_b32_e32 v2, v1
	s_and_saveexec_b32 s3, s4
	s_cbranch_execz .LBB1498_7
; %bb.6:
	v_lshlrev_b32_e32 v2, 2, v0
	v_add_co_u32 v2, s5, s6, v2
	v_add_co_ci_u32_e64 v3, null, s7, 0, s5
	flat_load_dword v2, v[2:3]
.LBB1498_7:
	s_or_b32 exec_lo, exec_lo, s3
	v_or_b32_e32 v8, 0x100, v0
	v_mov_b32_e32 v3, v1
	v_cmp_gt_u32_e64 s3, s24, v8
	s_and_saveexec_b32 s5, s3
	s_cbranch_execz .LBB1498_9
; %bb.8:
	v_lshlrev_b32_e32 v3, 2, v0
	v_add_co_u32 v3, s25, s6, v3
	v_add_co_ci_u32_e64 v4, null, s7, 0, s25
	flat_load_dword v3, v[3:4] offset:1024
.LBB1498_9:
	s_or_b32 exec_lo, exec_lo, s5
	v_or_b32_e32 v7, 0x200, v0
	v_cmp_gt_u32_e32 vcc_lo, s24, v7
	s_and_saveexec_b32 s5, vcc_lo
	s_cbranch_execz .LBB1498_11
; %bb.10:
	v_lshlrev_b32_e32 v1, 2, v7
	v_add_co_u32 v4, s25, s6, v1
	v_add_co_ci_u32_e64 v5, null, s7, 0, s25
	flat_load_dword v1, v[4:5]
.LBB1498_11:
	s_or_b32 exec_lo, exec_lo, s5
	v_mov_b32_e32 v4, s6
	v_lshlrev_b32_e32 v9, 2, v0
	v_mov_b32_e32 v5, s7
	s_mov_b32 s25, exec_lo
	s_waitcnt vmcnt(0) lgkmcnt(0)
	ds_write2st64_b32 v9, v2, v3 offset1:4
	ds_write_b32 v9, v1 offset:2048
	s_waitcnt lgkmcnt(0)
	s_barrier
	buffer_gl0_inv
	flat_load_dword v14, v[4:5]
	v_lshl_add_u32 v1, v0, 3, v9
	ds_read_b32 v15, v1
	ds_read2_b32 v[11:12], v1 offset0:1 offset1:2
	s_waitcnt lgkmcnt(1)
	ds_write_b32 v9, v15 offset:4096
	s_waitcnt vmcnt(0) lgkmcnt(0)
	s_barrier
	buffer_gl0_inv
	v_cmpx_ne_u32_e32 0xff, v0
; %bb.12:
	ds_read_b32 v14, v9 offset:4100
; %bb.13:
	s_or_b32 exec_lo, exec_lo, s25
	v_mov_b32_e32 v1, 0
	s_waitcnt lgkmcnt(0)
	s_barrier
	buffer_gl0_inv
	v_mov_b32_e32 v2, v1
	v_mov_b32_e32 v3, v1
	;; [unrolled: 1-line block ×5, first 2 shown]
	s_and_saveexec_b32 s5, s4
	s_cbranch_execnz .LBB1498_140
; %bb.14:
	s_or_b32 exec_lo, exec_lo, s5
	s_and_saveexec_b32 s4, s3
	s_cbranch_execnz .LBB1498_141
.LBB1498_15:
	s_or_b32 exec_lo, exec_lo, s4
	v_mul_u32_u24_e32 v16, 3, v0
	s_and_saveexec_b32 s3, vcc_lo
	s_cbranch_execz .LBB1498_17
.LBB1498_16:
	v_lshlrev_b32_e32 v5, 3, v7
	v_add_co_u32 v5, s4, s20, v5
	v_add_co_ci_u32_e64 v6, null, s21, 0, s4
	flat_load_dwordx2 v[5:6], v[5:6]
.LBB1498_17:
	s_or_b32 exec_lo, exec_lo, s3
	v_lshl_add_u32 v18, v0, 2, v9
	v_mov_b32_e32 v9, 0
	v_mov_b32_e32 v7, 0
	;; [unrolled: 1-line block ×4, first 2 shown]
	s_waitcnt vmcnt(0) lgkmcnt(0)
	ds_write2st64_b64 v18, v[1:2], v[3:4] offset1:4
	ds_write_b64 v18, v[5:6] offset:4096
	v_mov_b32_e32 v5, 0
	v_mov_b32_e32 v1, 0
	;; [unrolled: 1-line block ×8, first 2 shown]
	s_mov_b32 s34, 0
	s_mov_b32 s5, 0
	s_mov_b32 s35, exec_lo
	s_waitcnt lgkmcnt(0)
	s_barrier
	buffer_gl0_inv
                                        ; implicit-def: $sgpr25
	v_cmpx_gt_u32_e64 s24, v16
	s_cbranch_execz .LBB1498_23
; %bb.18:
	v_lshlrev_b32_e32 v1, 4, v0
	v_cmp_ne_u32_e32 vcc_lo, v15, v11
	v_mov_b32_e32 v9, 0
	v_mov_b32_e32 v7, 0
	v_add_nc_u32_e32 v4, 1, v16
	v_add_nc_u32_e32 v1, v18, v1
	v_mov_b32_e32 v10, 0
	v_mov_b32_e32 v8, 0
	v_mov_b32_e32 v13, 0
	s_mov_b32 s4, 0
	ds_read_b64 v[2:3], v1
	s_mov_b32 s5, exec_lo
                                        ; implicit-def: $sgpr25
	s_waitcnt lgkmcnt(0)
	v_cndmask_b32_e64 v6, v3, s29, vcc_lo
	v_cndmask_b32_e64 v5, v2, s28, vcc_lo
	v_cmpx_gt_u32_e64 s24, v4
	s_cbranch_execz .LBB1498_22
; %bb.19:
	ds_read2_b64 v[1:4], v1 offset0:1 offset1:2
	v_cmp_ne_u32_e64 s3, v11, v12
	v_add_nc_u32_e32 v11, 2, v16
	v_mov_b32_e32 v7, 0
	v_mov_b32_e32 v8, 0
                                        ; implicit-def: $sgpr25
	v_cmp_gt_u32_e64 s4, s24, v11
	s_mov_b32 s24, 0
	s_waitcnt lgkmcnt(0)
	v_cndmask_b32_e64 v10, v2, s29, s3
	v_cndmask_b32_e64 v9, v1, s28, s3
	s_and_saveexec_b32 s36, s4
	s_xor_b32 s4, exec_lo, s36
; %bb.20:
	v_cmp_ne_u32_e64 s25, v12, v14
	s_mov_b32 s24, exec_lo
	v_cndmask_b32_e64 v8, v4, s29, s25
	v_cndmask_b32_e64 v7, v3, s28, s25
; %bb.21:
	s_or_b32 exec_lo, exec_lo, s4
	v_cndmask_b32_e64 v13, 0, 1, s3
	s_and_b32 s4, s24, exec_lo
.LBB1498_22:
	s_or_b32 exec_lo, exec_lo, s5
	v_cndmask_b32_e64 v3, 0, 1, vcc_lo
	v_mov_b32_e32 v1, v9
	v_mov_b32_e32 v19, v13
	;; [unrolled: 1-line block ×3, first 2 shown]
	s_and_b32 s5, s4, exec_lo
	v_mov_b32_e32 v17, v3
.LBB1498_23:
	s_or_b32 exec_lo, exec_lo, s35
	s_and_b32 vcc_lo, exec_lo, s34
	s_cbranch_vccnz .LBB1498_25
	s_branch .LBB1498_28
.LBB1498_24:
                                        ; implicit-def: $sgpr25
                                        ; implicit-def: $vgpr5_vgpr6
                                        ; implicit-def: $vgpr13
                                        ; implicit-def: $vgpr9_vgpr10
                                        ; implicit-def: $vgpr3
                                        ; implicit-def: $vgpr7_vgpr8
                                        ; implicit-def: $vgpr19
                                        ; implicit-def: $vgpr1_vgpr2
                                        ; implicit-def: $vgpr17
	s_cbranch_execz .LBB1498_28
.LBB1498_25:
	v_lshlrev_b32_e32 v3, 2, v0
	v_add_co_u32 v1, s3, s6, v3
	v_add_co_ci_u32_e64 v2, null, s7, 0, s3
	v_add_co_u32 v4, vcc_lo, 0x800, v1
	v_add_co_ci_u32_e64 v5, null, 0, v2, vcc_lo
	s_clause 0x2
	flat_load_dword v6, v[1:2]
	flat_load_dword v7, v[1:2] offset:1024
	flat_load_dword v4, v[4:5]
	v_add_co_u32 v1, s3, 0x800, s6
	v_add_co_ci_u32_e64 v2, null, 0, s7, s3
	s_mov_b32 s3, exec_lo
	s_waitcnt vmcnt(1) lgkmcnt(1)
	ds_write2st64_b32 v3, v6, v7 offset1:4
	s_waitcnt vmcnt(0) lgkmcnt(1)
	ds_write_b32 v3, v4 offset:2048
	s_waitcnt lgkmcnt(0)
	s_barrier
	buffer_gl0_inv
	flat_load_dword v4, v[1:2] offset:1024
	v_lshl_add_u32 v1, v0, 3, v3
	ds_read_b32 v5, v1
	ds_read2_b32 v[1:2], v1 offset0:1 offset1:2
	s_waitcnt lgkmcnt(1)
	ds_write_b32 v3, v5 offset:4096
	s_waitcnt vmcnt(0) lgkmcnt(0)
	s_barrier
	buffer_gl0_inv
	v_cmpx_ne_u32_e32 0xff, v0
; %bb.26:
	ds_read_b32 v4, v3 offset:4100
; %bb.27:
	s_or_b32 exec_lo, exec_lo, s3
	v_lshlrev_b32_e32 v6, 3, v0
	s_waitcnt lgkmcnt(0)
	s_barrier
	buffer_gl0_inv
	v_lshl_add_u32 v3, v0, 2, v3
	v_add_co_u32 v6, s3, s20, v6
	v_add_co_ci_u32_e64 v7, null, s21, 0, s3
	v_lshl_add_u32 v12, v0, 4, v3
	v_add_co_u32 v8, vcc_lo, 0x800, v6
	v_add_co_ci_u32_e64 v9, null, 0, v7, vcc_lo
	v_add_co_u32 v10, vcc_lo, 0x1000, v6
	v_add_co_ci_u32_e64 v11, null, 0, v7, vcc_lo
	s_clause 0x2
	flat_load_dwordx2 v[6:7], v[6:7]
	flat_load_dwordx2 v[8:9], v[8:9]
	;; [unrolled: 1-line block ×3, first 2 shown]
	v_cmp_ne_u32_e32 vcc_lo, v1, v2
	v_cmp_ne_u32_e64 s3, v5, v1
	v_cmp_ne_u32_e64 s25, v2, v4
	s_mov_b32 s5, -1
	s_waitcnt vmcnt(1) lgkmcnt(1)
	ds_write2st64_b64 v3, v[6:7], v[8:9] offset1:4
	s_waitcnt vmcnt(0) lgkmcnt(1)
	ds_write_b64 v3, v[10:11] offset:4096
	s_waitcnt lgkmcnt(0)
	s_barrier
	buffer_gl0_inv
	ds_read2_b64 v[7:10], v12 offset1:1
	ds_read_b64 v[11:12], v12 offset:16
	v_cndmask_b32_e64 v13, 0, 1, vcc_lo
	v_cndmask_b32_e64 v3, 0, 1, s3
	v_mov_b32_e32 v19, v13
	v_mov_b32_e32 v17, v3
	s_waitcnt lgkmcnt(1)
	v_cndmask_b32_e64 v9, v9, s28, vcc_lo
	v_cndmask_b32_e64 v10, v10, s29, vcc_lo
	v_cndmask_b32_e64 v6, v8, s29, s3
	v_cndmask_b32_e64 v5, v7, s28, s3
	s_waitcnt lgkmcnt(0)
	v_cndmask_b32_e64 v8, v12, s29, s25
	v_mov_b32_e32 v1, v9
	v_cndmask_b32_e64 v7, v11, s28, s25
	v_mov_b32_e32 v2, v10
.LBB1498_28:
	v_mov_b32_e32 v20, 0
	s_and_saveexec_b32 s3, s5
; %bb.29:
	v_mov_b32_e32 v1, v9
	v_cndmask_b32_e64 v20, 0, 1, s25
	v_mov_b32_e32 v17, v3
	v_mov_b32_e32 v2, v10
	;; [unrolled: 1-line block ×3, first 2 shown]
; %bb.30:
	s_or_b32 exec_lo, exec_lo, s3
	v_and_b32_e32 v22, 1, v17
	v_or_b32_e32 v21, v20, v19
	v_mbcnt_lo_u32_b32 v18, -1, 0
	s_cmp_lg_u32 s33, 0
	v_cmp_eq_u16_e32 vcc_lo, 0, v20
	v_cmp_eq_u32_e64 s4, 1, v22
	s_barrier
	buffer_gl0_inv
	s_cbranch_scc0 .LBB1498_88
; %bb.31:
	v_mov_b32_e32 v3, 0
	v_cmp_eq_u16_sdwa s3, v19, v3 src0_sel:BYTE_0 src1_sel:DWORD
	v_cmp_ne_u16_sdwa s6, v21, v3 src0_sel:BYTE_0 src1_sel:DWORD
	v_cndmask_b32_e64 v9, 0, v5, s3
	v_cndmask_b32_e64 v4, 0, v6, s3
	s_or_b32 s4, s6, s4
	v_cndmask_b32_e64 v11, 0, 1, s4
	v_add_co_u32 v9, s5, v9, v1
	v_add_co_ci_u32_e64 v3, null, v4, v2, s5
	v_cndmask_b32_e64 v4, 0, 1, s4
	v_cndmask_b32_e32 v9, 0, v9, vcc_lo
	s_mov_b32 s5, exec_lo
	v_cndmask_b32_e32 v3, 0, v3, vcc_lo
	v_mov_b32_dpp v14, v4 row_shr:1 row_mask:0xf bank_mask:0xf
	v_add_co_u32 v9, vcc_lo, v9, v7
	v_add_co_ci_u32_e64 v10, null, v3, v8, vcc_lo
	v_and_b32_e32 v3, 15, v18
	v_mov_b32_dpp v12, v9 row_shr:1 row_mask:0xf bank_mask:0xf
	v_mov_b32_dpp v13, v10 row_shr:1 row_mask:0xf bank_mask:0xf
	v_cmpx_ne_u32_e32 0, v3
	s_cbranch_execz .LBB1498_33
; %bb.32:
	v_and_b32_e32 v4, 1, v14
	v_cndmask_b32_e64 v12, v12, 0, s4
	v_cndmask_b32_e64 v13, v13, 0, s4
	v_or_b32_e32 v11, v4, v11
	v_add_co_u32 v9, vcc_lo, v12, v9
	v_add_co_ci_u32_e64 v10, null, v13, v10, vcc_lo
	v_and_b32_e32 v4, 0xffff, v11
.LBB1498_33:
	s_or_b32 exec_lo, exec_lo, s5
	v_mov_b32_dpp v12, v9 row_shr:2 row_mask:0xf bank_mask:0xf
	v_mov_b32_dpp v13, v10 row_shr:2 row_mask:0xf bank_mask:0xf
	v_mov_b32_dpp v14, v4 row_shr:2 row_mask:0xf bank_mask:0xf
	s_mov_b32 s6, exec_lo
	v_cmpx_lt_u32_e32 1, v3
	s_cbranch_execz .LBB1498_35
; %bb.34:
	v_cmp_eq_u16_e32 vcc_lo, 0, v11
	v_and_b32_e32 v4, 1, v11
	v_and_b32_e32 v11, 1, v14
	v_cndmask_b32_e32 v13, 0, v13, vcc_lo
	v_cndmask_b32_e32 v12, 0, v12, vcc_lo
	v_cmp_eq_u32_e32 vcc_lo, 1, v4
	v_cmp_eq_u32_e64 s4, 1, v11
	v_add_co_u32 v9, s5, v12, v9
	s_or_b32 s4, vcc_lo, s4
	v_add_co_ci_u32_e64 v10, null, v13, v10, s5
	v_cndmask_b32_e64 v11, 0, 1, s4
	v_cndmask_b32_e64 v4, 0, 1, s4
.LBB1498_35:
	s_or_b32 exec_lo, exec_lo, s6
	v_mov_b32_dpp v12, v9 row_shr:4 row_mask:0xf bank_mask:0xf
	v_mov_b32_dpp v13, v10 row_shr:4 row_mask:0xf bank_mask:0xf
	v_mov_b32_dpp v14, v4 row_shr:4 row_mask:0xf bank_mask:0xf
	s_mov_b32 s6, exec_lo
	v_cmpx_lt_u32_e32 3, v3
	s_cbranch_execz .LBB1498_37
; %bb.36:
	v_cmp_eq_u16_e32 vcc_lo, 0, v11
	v_and_b32_e32 v4, 1, v11
	v_and_b32_e32 v11, 1, v14
	v_cndmask_b32_e32 v13, 0, v13, vcc_lo
	v_cndmask_b32_e32 v12, 0, v12, vcc_lo
	v_cmp_eq_u32_e32 vcc_lo, 1, v4
	v_cmp_eq_u32_e64 s4, 1, v11
	v_add_co_u32 v9, s5, v12, v9
	s_or_b32 s4, vcc_lo, s4
	v_add_co_ci_u32_e64 v10, null, v13, v10, s5
	v_cndmask_b32_e64 v11, 0, 1, s4
	v_cndmask_b32_e64 v4, 0, 1, s4
.LBB1498_37:
	;; [unrolled: 21-line block ×3, first 2 shown]
	s_or_b32 exec_lo, exec_lo, s6
	ds_swizzle_b32 v3, v9 offset:swizzle(BROADCAST,32,15)
	ds_swizzle_b32 v12, v10 offset:swizzle(BROADCAST,32,15)
	;; [unrolled: 1-line block ×3, first 2 shown]
	v_and_b32_e32 v13, 16, v18
	s_mov_b32 s6, exec_lo
	v_cmpx_ne_u32_e32 0, v13
	s_cbranch_execz .LBB1498_41
; %bb.40:
	v_cmp_eq_u16_e32 vcc_lo, 0, v11
	v_and_b32_e32 v11, 1, v11
	s_waitcnt lgkmcnt(0)
	v_and_b32_e32 v4, 1, v4
	v_cndmask_b32_e32 v12, 0, v12, vcc_lo
	v_cndmask_b32_e32 v3, 0, v3, vcc_lo
	v_cmp_eq_u32_e32 vcc_lo, 1, v11
	v_cmp_eq_u32_e64 s4, 1, v4
	v_add_co_u32 v9, s5, v3, v9
	s_or_b32 s4, vcc_lo, s4
	v_add_co_ci_u32_e64 v10, null, v12, v10, s5
	v_cndmask_b32_e64 v11, 0, 1, s4
.LBB1498_41:
	s_or_b32 exec_lo, exec_lo, s6
	s_waitcnt lgkmcnt(0)
	v_lshrrev_b32_e32 v4, 5, v0
	v_or_b32_e32 v3, 31, v0
	s_mov_b32 s4, exec_lo
	v_lshlrev_b32_e32 v12, 4, v4
	v_cmpx_eq_u32_e64 v0, v3
	s_cbranch_execz .LBB1498_43
; %bb.42:
	ds_write_b64 v12, v[9:10]
	ds_write_b8 v12, v11 offset:8
.LBB1498_43:
	s_or_b32 exec_lo, exec_lo, s4
	s_mov_b32 s6, exec_lo
	s_waitcnt lgkmcnt(0)
	s_barrier
	buffer_gl0_inv
	v_cmpx_gt_u32_e32 8, v0
	s_cbranch_execz .LBB1498_51
; %bb.44:
	v_lshlrev_b32_e32 v13, 4, v0
	v_and_b32_e32 v14, 7, v18
	s_mov_b32 s4, exec_lo
	ds_read_b64 v[3:4], v13
	ds_read_b32 v24, v13 offset:8
	s_waitcnt lgkmcnt(1)
	v_mov_b32_dpp v25, v3 row_shr:1 row_mask:0xf bank_mask:0xf
	v_mov_b32_dpp v26, v4 row_shr:1 row_mask:0xf bank_mask:0xf
	s_waitcnt lgkmcnt(0)
	v_and_b32_e32 v16, 0xffffff00, v24
	v_mov_b32_dpp v27, v24 row_shr:1 row_mask:0xf bank_mask:0xf
	v_mov_b32_e32 v23, v24
	v_mov_b32_e32 v15, v24
	v_cmpx_ne_u32_e32 0, v14
	s_cbranch_execz .LBB1498_46
; %bb.45:
	v_mov_b32_e32 v15, 0
	v_cmp_eq_u16_sdwa vcc_lo, v24, v15 src0_sel:BYTE_0 src1_sel:DWORD
	v_or_b32_e32 v15, v27, v24
	v_cndmask_b32_e32 v25, 0, v25, vcc_lo
	v_cndmask_b32_e32 v24, 0, v26, vcc_lo
	v_and_b32_e32 v23, 1, v15
	v_and_b32_e32 v15, 1, v15
	v_add_co_u32 v3, vcc_lo, v25, v3
	v_add_co_ci_u32_e64 v4, null, v24, v4, vcc_lo
	v_or_b32_e32 v24, v15, v16
.LBB1498_46:
	s_or_b32 exec_lo, exec_lo, s4
	v_mov_b32_dpp v25, v3 row_shr:2 row_mask:0xf bank_mask:0xf
	v_mov_b32_dpp v26, v4 row_shr:2 row_mask:0xf bank_mask:0xf
	;; [unrolled: 1-line block ×3, first 2 shown]
	s_mov_b32 s7, exec_lo
	v_cmpx_lt_u32_e32 1, v14
	s_cbranch_execz .LBB1498_48
; %bb.47:
	v_mov_b32_e32 v23, 0
	v_and_b32_e32 v24, 1, v15
	v_and_b32_e32 v27, 1, v27
	v_cmp_eq_u16_sdwa vcc_lo, v15, v23 src0_sel:BYTE_0 src1_sel:DWORD
	v_cmp_eq_u32_e64 s4, 1, v24
	v_cmp_eq_u32_e64 s5, 1, v27
	v_cndmask_b32_e32 v24, 0, v25, vcc_lo
	v_cndmask_b32_e32 v15, 0, v26, vcc_lo
	s_or_b32 s4, s4, s5
	v_cndmask_b32_e64 v23, 0, 1, s4
	v_cndmask_b32_e64 v25, 0, 1, s4
	v_add_co_u32 v3, vcc_lo, v24, v3
	v_add_co_ci_u32_e64 v4, null, v15, v4, vcc_lo
	v_or_b32_e32 v24, v16, v25
	v_mov_b32_e32 v15, v23
.LBB1498_48:
	s_or_b32 exec_lo, exec_lo, s7
	v_mov_b32_dpp v16, v3 row_shr:4 row_mask:0xf bank_mask:0xf
	v_mov_b32_dpp v25, v4 row_shr:4 row_mask:0xf bank_mask:0xf
	;; [unrolled: 1-line block ×3, first 2 shown]
	s_mov_b32 s7, exec_lo
	v_cmpx_lt_u32_e32 3, v14
	s_cbranch_execz .LBB1498_50
; %bb.49:
	v_mov_b32_e32 v14, 0
	v_cmp_eq_u16_sdwa vcc_lo, v15, v14 src0_sel:BYTE_0 src1_sel:DWORD
	v_and_b32_e32 v14, 1, v15
	v_and_b32_e32 v15, 1, v24
	v_cndmask_b32_e32 v23, 0, v25, vcc_lo
	v_cndmask_b32_e32 v16, 0, v16, vcc_lo
	v_cmp_eq_u32_e32 vcc_lo, 1, v14
	v_cmp_eq_u32_e64 s4, 1, v15
	v_add_co_u32 v3, s5, v16, v3
	s_or_b32 s4, vcc_lo, s4
	v_add_co_ci_u32_e64 v4, null, v23, v4, s5
	v_cndmask_b32_e64 v23, 0, 1, s4
.LBB1498_50:
	s_or_b32 exec_lo, exec_lo, s7
	ds_write_b64 v13, v[3:4]
	ds_write_b8 v13, v23 offset:8
.LBB1498_51:
	s_or_b32 exec_lo, exec_lo, s6
	v_mov_b32_e32 v3, 0
	v_mov_b32_e32 v4, 0
	;; [unrolled: 1-line block ×3, first 2 shown]
	s_mov_b32 s5, exec_lo
	v_cmp_gt_u32_e32 vcc_lo, 32, v0
	s_waitcnt lgkmcnt(0)
	s_barrier
	buffer_gl0_inv
	v_cmpx_lt_u32_e32 31, v0
	s_cbranch_execz .LBB1498_53
; %bb.52:
	v_add_nc_u32_e32 v3, -16, v12
	v_add_nc_u32_e32 v12, -8, v12
	v_cmp_eq_u16_e64 s4, 0, v11
	ds_read_b64 v[3:4], v3
	ds_read_u8 v23, v12
	s_waitcnt lgkmcnt(1)
	v_cndmask_b32_e64 v13, 0, v3, s4
	v_cndmask_b32_e64 v12, 0, v4, s4
	s_waitcnt lgkmcnt(0)
	v_or_b32_e32 v11, v23, v11
	v_add_co_u32 v9, s4, v9, v13
	v_add_co_ci_u32_e64 v10, null, v10, v12, s4
.LBB1498_53:
	s_or_b32 exec_lo, exec_lo, s5
	v_sub_co_u32 v12, s4, v18, 1
	v_and_b32_e32 v11, 0xff, v11
	v_cmp_gt_i32_e64 s5, 0, v12
	v_cndmask_b32_e64 v12, v12, v18, s5
	v_lshlrev_b32_e32 v12, 2, v12
	ds_bpermute_b32 v25, v12, v9
	ds_bpermute_b32 v24, v12, v10
	;; [unrolled: 1-line block ×3, first 2 shown]
	s_and_saveexec_b32 s7, vcc_lo
	s_cbranch_execz .LBB1498_93
; %bb.54:
	v_mov_b32_e32 v13, 0
	ds_read_b64 v[9:10], v13 offset:112
	ds_read_u8 v27, v13 offset:120
	s_and_saveexec_b32 s5, s4
	s_cbranch_execz .LBB1498_56
; %bb.55:
	s_add_i32 s20, s33, 32
	s_mov_b32 s21, 0
	v_mov_b32_e32 v11, 1
	s_lshl_b64 s[24:25], s[20:21], 4
	v_mov_b32_e32 v12, s20
	s_add_u32 s24, s8, s24
	s_addc_u32 s25, s9, s25
	s_waitcnt lgkmcnt(1)
	global_store_dwordx2 v13, v[9:10], s[24:25]
	s_waitcnt lgkmcnt(0)
	global_store_byte v13, v27, s[24:25] offset:8
	s_waitcnt_vscnt null, 0x0
	buffer_gl1_inv
	buffer_gl0_inv
	global_store_byte v12, v11, s[12:13]
.LBB1498_56:
	s_or_b32 exec_lo, exec_lo, s5
	v_xad_u32 v11, v18, -1, s33
	s_mov_b32 s6, 0
	s_mov_b32 s5, exec_lo
	v_add_nc_u32_e32 v12, 32, v11
	global_load_ubyte v28, v12, s[12:13] glc dlc
	s_waitcnt vmcnt(0)
	v_cmpx_eq_u16_e32 0, v28
	s_cbranch_execz .LBB1498_60
; %bb.57:
	v_add_co_u32 v14, s20, s12, v12
	v_add_co_ci_u32_e64 v15, null, s13, 0, s20
.LBB1498_58:                            ; =>This Inner Loop Header: Depth=1
	global_load_ubyte v28, v[14:15], off glc dlc
	s_waitcnt vmcnt(0)
	v_cmp_ne_u16_e32 vcc_lo, 0, v28
	s_or_b32 s6, vcc_lo, s6
	s_andn2_b32 exec_lo, exec_lo, s6
	s_cbranch_execnz .LBB1498_58
; %bb.59:
	s_or_b32 exec_lo, exec_lo, s6
.LBB1498_60:
	s_or_b32 exec_lo, exec_lo, s5
	v_cmp_eq_u16_e32 vcc_lo, 1, v28
	v_mov_b32_e32 v15, s8
	v_mov_b32_e32 v14, s9
	v_lshlrev_b64 v[12:13], 4, v[12:13]
	s_waitcnt lgkmcnt(0)
	s_waitcnt_vscnt null, 0x0
	buffer_gl1_inv
	buffer_gl0_inv
	v_lshlrev_b32_e64 v30, v18, -1
	v_cndmask_b32_e32 v15, s10, v15, vcc_lo
	v_cndmask_b32_e32 v14, s11, v14, vcc_lo
	s_mov_b32 s5, exec_lo
	v_add_co_u32 v12, vcc_lo, v15, v12
	v_add_co_ci_u32_e64 v13, null, v14, v13, vcc_lo
	v_cmp_ne_u32_e32 vcc_lo, 31, v18
	s_clause 0x1
	global_load_ubyte v41, v[12:13], off offset:8
	global_load_dwordx2 v[15:16], v[12:13], off
	v_add_co_ci_u32_e64 v12, null, 0, v18, vcc_lo
	v_cmp_eq_u16_e32 vcc_lo, 2, v28
	v_lshlrev_b32_e32 v29, 2, v12
	v_and_or_b32 v12, vcc_lo, v30, 0x80000000
	v_ffbl_b32_e32 v12, v12
	s_waitcnt vmcnt(1)
	v_and_b32_e32 v13, 1, v41
	s_waitcnt vmcnt(0)
	ds_bpermute_b32 v14, v29, v15
	ds_bpermute_b32 v31, v29, v16
	ds_bpermute_b32 v32, v29, v13
	v_cmpx_lt_u32_e64 v18, v12
	s_cbranch_execz .LBB1498_62
; %bb.61:
	v_mov_b32_e32 v13, 0
	v_cmp_eq_u16_sdwa vcc_lo, v41, v13 src0_sel:BYTE_0 src1_sel:DWORD
	s_waitcnt lgkmcnt(0)
	v_and_b32_e32 v13, 1, v32
	v_cndmask_b32_e32 v14, 0, v14, vcc_lo
	v_cndmask_b32_e32 v31, 0, v31, vcc_lo
	v_or_b32_e32 v41, v13, v41
	v_add_co_u32 v15, vcc_lo, v14, v15
	v_add_co_ci_u32_e64 v16, null, v31, v16, vcc_lo
	v_and_b32_e32 v13, 0xff, v41
.LBB1498_62:
	s_or_b32 exec_lo, exec_lo, s5
	v_cmp_gt_u32_e32 vcc_lo, 30, v18
	s_waitcnt lgkmcnt(0)
	v_add_nc_u32_e32 v32, 2, v18
	s_mov_b32 s20, exec_lo
	v_cndmask_b32_e64 v14, 0, 2, vcc_lo
	v_add_lshl_u32 v31, v14, v18, 2
	ds_bpermute_b32 v14, v31, v15
	ds_bpermute_b32 v33, v31, v16
	ds_bpermute_b32 v34, v31, v13
	v_cmpx_le_u32_e64 v32, v12
	s_cbranch_execz .LBB1498_64
; %bb.63:
	v_mov_b32_e32 v13, 0
	v_and_b32_e32 v35, 1, v41
	s_waitcnt lgkmcnt(0)
	v_and_b32_e32 v34, 1, v34
	v_cmp_eq_u16_sdwa vcc_lo, v41, v13 src0_sel:BYTE_0 src1_sel:DWORD
	v_cmp_eq_u32_e64 s5, 1, v35
	v_cmp_eq_u32_e64 s6, 1, v34
	v_cndmask_b32_e32 v14, 0, v14, vcc_lo
	v_cndmask_b32_e32 v13, 0, v33, vcc_lo
	s_or_b32 s5, s5, s6
	v_cndmask_b32_e64 v41, 0, 1, s5
	v_add_co_u32 v15, vcc_lo, v14, v15
	v_add_co_ci_u32_e64 v16, null, v13, v16, vcc_lo
	v_cndmask_b32_e64 v13, 0, 1, s5
.LBB1498_64:
	s_or_b32 exec_lo, exec_lo, s20
	v_cmp_gt_u32_e32 vcc_lo, 28, v18
	s_waitcnt lgkmcnt(0)
	v_add_nc_u32_e32 v34, 4, v18
	s_mov_b32 s20, exec_lo
	v_cndmask_b32_e64 v14, 0, 4, vcc_lo
	v_add_lshl_u32 v33, v14, v18, 2
	ds_bpermute_b32 v14, v33, v15
	ds_bpermute_b32 v35, v33, v16
	ds_bpermute_b32 v36, v33, v13
	v_cmpx_le_u32_e64 v34, v12
	s_cbranch_execz .LBB1498_66
; %bb.65:
	v_mov_b32_e32 v13, 0
	v_and_b32_e32 v37, 1, v41
	s_waitcnt lgkmcnt(0)
	v_and_b32_e32 v36, 1, v36
	v_cmp_eq_u16_sdwa vcc_lo, v41, v13 src0_sel:BYTE_0 src1_sel:DWORD
	v_cmp_eq_u32_e64 s5, 1, v37
	v_cmp_eq_u32_e64 s6, 1, v36
	v_cndmask_b32_e32 v14, 0, v14, vcc_lo
	v_cndmask_b32_e32 v13, 0, v35, vcc_lo
	s_or_b32 s5, s5, s6
	v_cndmask_b32_e64 v41, 0, 1, s5
	v_add_co_u32 v15, vcc_lo, v14, v15
	v_add_co_ci_u32_e64 v16, null, v13, v16, vcc_lo
	v_cndmask_b32_e64 v13, 0, 1, s5
.LBB1498_66:
	;; [unrolled: 28-line block ×3, first 2 shown]
	s_or_b32 exec_lo, exec_lo, s20
	s_waitcnt lgkmcnt(0)
	v_lshl_or_b32 v38, v18, 2, 64
	v_add_nc_u32_e32 v39, 16, v18
	s_mov_b32 s20, exec_lo
	ds_bpermute_b32 v14, v38, v15
	ds_bpermute_b32 v37, v38, v16
	;; [unrolled: 1-line block ×3, first 2 shown]
	v_cmpx_le_u32_e64 v39, v12
	s_cbranch_execz .LBB1498_70
; %bb.69:
	v_mov_b32_e32 v12, 0
	s_waitcnt lgkmcnt(0)
	v_and_b32_e32 v13, 1, v13
	v_cmp_eq_u16_sdwa vcc_lo, v41, v12 src0_sel:BYTE_0 src1_sel:DWORD
	v_and_b32_e32 v12, 1, v41
	v_cmp_eq_u32_e64 s5, 1, v13
	v_cndmask_b32_e32 v37, 0, v37, vcc_lo
	v_cndmask_b32_e32 v14, 0, v14, vcc_lo
	v_cmp_eq_u32_e32 vcc_lo, 1, v12
	v_add_co_u32 v15, s6, v14, v15
	s_or_b32 s5, vcc_lo, s5
	v_add_co_ci_u32_e64 v16, null, v37, v16, s6
	v_cndmask_b32_e64 v41, 0, 1, s5
.LBB1498_70:
	s_or_b32 exec_lo, exec_lo, s20
	v_mov_b32_e32 v12, 0
	v_mov_b32_e32 v40, 2
	s_branch .LBB1498_73
.LBB1498_71:                            ;   in Loop: Header=BB1498_73 Depth=1
	s_or_b32 exec_lo, exec_lo, s21
	v_cmp_eq_u16_sdwa vcc_lo, v37, v12 src0_sel:BYTE_0 src1_sel:DWORD
	v_and_b32_e32 v41, 1, v37
	v_subrev_nc_u32_e32 v11, 32, v11
	v_cndmask_b32_e32 v15, 0, v15, vcc_lo
	v_cndmask_b32_e32 v16, 0, v16, vcc_lo
	v_cmp_eq_u32_e32 vcc_lo, 1, v41
	v_add_co_u32 v15, s5, v15, v13
	v_add_co_ci_u32_e64 v16, null, v16, v14, s5
	s_or_b32 s5, vcc_lo, s20
	v_cndmask_b32_e64 v41, 0, 1, s5
	s_mov_b32 s5, 0
.LBB1498_72:                            ;   in Loop: Header=BB1498_73 Depth=1
	s_and_b32 vcc_lo, exec_lo, s5
	s_cbranch_vccnz .LBB1498_89
.LBB1498_73:                            ; =>This Loop Header: Depth=1
                                        ;     Child Loop BB1498_76 Depth 2
	v_cmp_ne_u16_sdwa s5, v28, v40 src0_sel:BYTE_0 src1_sel:DWORD
	s_waitcnt lgkmcnt(0)
	v_mov_b32_e32 v13, v15
	v_mov_b32_e32 v37, v41
	;; [unrolled: 1-line block ×3, first 2 shown]
                                        ; implicit-def: $vgpr41
                                        ; implicit-def: $vgpr15_vgpr16
                                        ; implicit-def: $vgpr28
	s_cmp_lg_u32 s5, exec_lo
	s_mov_b32 s5, -1
	s_cbranch_scc1 .LBB1498_72
; %bb.74:                               ;   in Loop: Header=BB1498_73 Depth=1
	global_load_ubyte v28, v11, s[12:13] glc dlc
	s_mov_b32 s5, exec_lo
	s_waitcnt vmcnt(0)
	v_cmpx_eq_u16_e32 0, v28
	s_cbranch_execz .LBB1498_78
; %bb.75:                               ;   in Loop: Header=BB1498_73 Depth=1
	v_add_co_u32 v15, s6, s12, v11
	v_add_co_ci_u32_e64 v16, null, s13, 0, s6
	s_mov_b32 s6, 0
.LBB1498_76:                            ;   Parent Loop BB1498_73 Depth=1
                                        ; =>  This Inner Loop Header: Depth=2
	global_load_ubyte v28, v[15:16], off glc dlc
	s_waitcnt vmcnt(0)
	v_cmp_ne_u16_e32 vcc_lo, 0, v28
	s_or_b32 s6, vcc_lo, s6
	s_andn2_b32 exec_lo, exec_lo, s6
	s_cbranch_execnz .LBB1498_76
; %bb.77:                               ;   in Loop: Header=BB1498_73 Depth=1
	s_or_b32 exec_lo, exec_lo, s6
.LBB1498_78:                            ;   in Loop: Header=BB1498_73 Depth=1
	s_or_b32 exec_lo, exec_lo, s5
	v_cmp_eq_u16_e32 vcc_lo, 1, v28
	v_mov_b32_e32 v42, s8
	v_mov_b32_e32 v41, s9
	v_lshlrev_b64 v[15:16], 4, v[11:12]
	buffer_gl1_inv
	buffer_gl0_inv
	s_mov_b32 s5, exec_lo
	v_cndmask_b32_e32 v42, s10, v42, vcc_lo
	v_cndmask_b32_e32 v41, s11, v41, vcc_lo
	v_add_co_u32 v15, vcc_lo, v42, v15
	v_add_co_ci_u32_e64 v16, null, v41, v16, vcc_lo
	v_cmp_eq_u16_e32 vcc_lo, 2, v28
	s_clause 0x1
	global_load_ubyte v42, v[15:16], off offset:8
	global_load_dwordx2 v[15:16], v[15:16], off
	v_and_or_b32 v41, vcc_lo, v30, 0x80000000
	v_ffbl_b32_e32 v41, v41
	s_waitcnt vmcnt(1)
	v_and_b32_e32 v43, 1, v42
	s_waitcnt vmcnt(0)
	ds_bpermute_b32 v44, v29, v15
	ds_bpermute_b32 v45, v29, v16
	;; [unrolled: 1-line block ×3, first 2 shown]
	v_cmpx_lt_u32_e64 v18, v41
	s_cbranch_execz .LBB1498_80
; %bb.79:                               ;   in Loop: Header=BB1498_73 Depth=1
	v_cmp_eq_u16_sdwa vcc_lo, v42, v12 src0_sel:BYTE_0 src1_sel:DWORD
	s_waitcnt lgkmcnt(0)
	v_and_b32_e32 v43, 1, v46
	v_cndmask_b32_e32 v44, 0, v44, vcc_lo
	v_cndmask_b32_e32 v45, 0, v45, vcc_lo
	v_or_b32_e32 v42, v43, v42
	v_add_co_u32 v15, vcc_lo, v44, v15
	v_add_co_ci_u32_e64 v16, null, v45, v16, vcc_lo
	v_and_b32_e32 v43, 0xff, v42
.LBB1498_80:                            ;   in Loop: Header=BB1498_73 Depth=1
	s_or_b32 exec_lo, exec_lo, s5
	s_waitcnt lgkmcnt(2)
	ds_bpermute_b32 v44, v31, v15
	s_waitcnt lgkmcnt(2)
	ds_bpermute_b32 v45, v31, v16
	;; [unrolled: 2-line block ×3, first 2 shown]
	v_and_b32_e32 v47, 1, v42
	s_mov_b32 s6, exec_lo
	v_cmp_eq_u32_e64 s20, 1, v47
	v_cmpx_le_u32_e64 v32, v41
	s_cbranch_execz .LBB1498_82
; %bb.81:                               ;   in Loop: Header=BB1498_73 Depth=1
	v_cmp_eq_u16_sdwa vcc_lo, v42, v12 src0_sel:BYTE_0 src1_sel:DWORD
	s_waitcnt lgkmcnt(0)
	v_and_b32_e32 v42, 1, v46
	v_cndmask_b32_e32 v44, 0, v44, vcc_lo
	v_cndmask_b32_e32 v43, 0, v45, vcc_lo
	v_cmp_eq_u32_e32 vcc_lo, 1, v42
	v_add_co_u32 v15, s5, v44, v15
	v_add_co_ci_u32_e64 v16, null, v43, v16, s5
	s_or_b32 s5, s20, vcc_lo
	s_andn2_b32 s20, s20, exec_lo
	v_cndmask_b32_e64 v42, 0, 1, s5
	v_cndmask_b32_e64 v43, 0, 1, s5
	s_and_b32 s5, s5, exec_lo
	s_or_b32 s20, s20, s5
.LBB1498_82:                            ;   in Loop: Header=BB1498_73 Depth=1
	s_or_b32 exec_lo, exec_lo, s6
	s_waitcnt lgkmcnt(2)
	ds_bpermute_b32 v44, v33, v15
	s_waitcnt lgkmcnt(2)
	ds_bpermute_b32 v45, v33, v16
	;; [unrolled: 2-line block ×3, first 2 shown]
	s_mov_b32 s21, exec_lo
	v_cmpx_le_u32_e64 v34, v41
	s_cbranch_execz .LBB1498_84
; %bb.83:                               ;   in Loop: Header=BB1498_73 Depth=1
	v_cmp_eq_u16_sdwa vcc_lo, v42, v12 src0_sel:BYTE_0 src1_sel:DWORD
	v_and_b32_e32 v42, 1, v42
	s_waitcnt lgkmcnt(0)
	v_and_b32_e32 v43, 1, v46
	v_cndmask_b32_e32 v45, 0, v45, vcc_lo
	v_cndmask_b32_e32 v44, 0, v44, vcc_lo
	v_cmp_eq_u32_e32 vcc_lo, 1, v42
	v_cmp_eq_u32_e64 s5, 1, v43
	v_add_co_u32 v15, s6, v44, v15
	s_or_b32 s5, vcc_lo, s5
	v_add_co_ci_u32_e64 v16, null, v45, v16, s6
	v_cndmask_b32_e64 v42, 0, 1, s5
	v_cndmask_b32_e64 v43, 0, 1, s5
	s_andn2_b32 s6, s20, exec_lo
	s_and_b32 s5, s5, exec_lo
	s_or_b32 s20, s6, s5
.LBB1498_84:                            ;   in Loop: Header=BB1498_73 Depth=1
	s_or_b32 exec_lo, exec_lo, s21
	s_waitcnt lgkmcnt(2)
	ds_bpermute_b32 v44, v35, v15
	s_waitcnt lgkmcnt(2)
	ds_bpermute_b32 v45, v35, v16
	;; [unrolled: 2-line block ×3, first 2 shown]
	s_mov_b32 s21, exec_lo
	v_cmpx_le_u32_e64 v36, v41
	s_cbranch_execz .LBB1498_86
; %bb.85:                               ;   in Loop: Header=BB1498_73 Depth=1
	v_cmp_eq_u16_sdwa vcc_lo, v42, v12 src0_sel:BYTE_0 src1_sel:DWORD
	v_and_b32_e32 v42, 1, v42
	s_waitcnt lgkmcnt(0)
	v_and_b32_e32 v43, 1, v46
	v_cndmask_b32_e32 v45, 0, v45, vcc_lo
	v_cndmask_b32_e32 v44, 0, v44, vcc_lo
	v_cmp_eq_u32_e32 vcc_lo, 1, v42
	v_cmp_eq_u32_e64 s5, 1, v43
	v_add_co_u32 v15, s6, v44, v15
	s_or_b32 s5, vcc_lo, s5
	v_add_co_ci_u32_e64 v16, null, v45, v16, s6
	v_cndmask_b32_e64 v42, 0, 1, s5
	v_cndmask_b32_e64 v43, 0, 1, s5
	s_andn2_b32 s6, s20, exec_lo
	s_and_b32 s5, s5, exec_lo
	s_or_b32 s20, s6, s5
.LBB1498_86:                            ;   in Loop: Header=BB1498_73 Depth=1
	s_or_b32 exec_lo, exec_lo, s21
	s_waitcnt lgkmcnt(2)
	ds_bpermute_b32 v44, v38, v15
	s_waitcnt lgkmcnt(2)
	ds_bpermute_b32 v45, v38, v16
	ds_bpermute_b32 v43, v38, v43
	s_mov_b32 s21, exec_lo
	v_cmpx_le_u32_e64 v39, v41
	s_cbranch_execz .LBB1498_71
; %bb.87:                               ;   in Loop: Header=BB1498_73 Depth=1
	v_cmp_eq_u16_sdwa vcc_lo, v42, v12 src0_sel:BYTE_0 src1_sel:DWORD
	v_and_b32_e32 v41, 1, v42
	s_waitcnt lgkmcnt(0)
	v_and_b32_e32 v42, 1, v43
	v_cndmask_b32_e32 v44, 0, v44, vcc_lo
	v_cndmask_b32_e32 v43, 0, v45, vcc_lo
	v_cmp_eq_u32_e32 vcc_lo, 1, v41
	v_cmp_eq_u32_e64 s5, 1, v42
	v_add_co_u32 v15, s6, v44, v15
	v_add_co_ci_u32_e64 v16, null, v43, v16, s6
	s_or_b32 s5, vcc_lo, s5
	s_andn2_b32 s6, s20, exec_lo
	s_and_b32 s5, s5, exec_lo
	s_or_b32 s20, s6, s5
	s_branch .LBB1498_71
.LBB1498_88:
                                        ; implicit-def: $vgpr9_vgpr10
                                        ; implicit-def: $vgpr13_vgpr14
                                        ; implicit-def: $vgpr11_vgpr12
	s_cbranch_execnz .LBB1498_96
	s_branch .LBB1498_123
.LBB1498_89:
	s_and_saveexec_b32 s5, s4
	s_cbranch_execz .LBB1498_91
; %bb.90:
	v_mov_b32_e32 v11, 0
	v_or_b32_e32 v12, v27, v37
	s_mov_b32 s9, 0
	s_add_i32 s8, s33, 32
	v_mov_b32_e32 v15, 2
	v_cmp_eq_u32_sdwa vcc_lo, v27, v11 src0_sel:BYTE_0 src1_sel:DWORD
	s_lshl_b64 s[20:21], s[8:9], 4
	v_mov_b32_e32 v28, s8
	v_and_b32_e32 v12, 1, v12
	s_add_u32 s8, s10, s20
	v_cndmask_b32_e32 v27, 0, v13, vcc_lo
	v_cndmask_b32_e32 v16, 0, v14, vcc_lo
	s_addc_u32 s9, s11, s21
	v_add_co_u32 v9, vcc_lo, v27, v9
	v_add_co_ci_u32_e64 v10, null, v16, v10, vcc_lo
	global_store_byte v11, v12, s[8:9] offset:8
	global_store_dwordx2 v11, v[9:10], s[8:9]
	s_waitcnt lgkmcnt(0)
	s_waitcnt_vscnt null, 0x0
	buffer_gl1_inv
	buffer_gl0_inv
	global_store_byte v28, v15, s[12:13]
.LBB1498_91:
	s_or_b32 exec_lo, exec_lo, s5
	s_and_b32 exec_lo, exec_lo, s0
	s_cbranch_execz .LBB1498_93
; %bb.92:
	v_mov_b32_e32 v9, 0
	ds_write_b64 v9, v[13:14] offset:112
	ds_write_b8 v9, v37 offset:120
.LBB1498_93:
	s_or_b32 exec_lo, exec_lo, s7
	v_mov_b32_e32 v11, 0
	s_waitcnt lgkmcnt(0)
	s_waitcnt_vscnt null, 0x0
	s_barrier
	buffer_gl0_inv
	ds_read_b64 v[9:10], v11 offset:112
	s_and_saveexec_b32 s5, s2
	s_cbranch_execz .LBB1498_95
; %bb.94:
	v_cndmask_b32_e64 v12, v26, v23, s4
	v_cndmask_b32_e64 v3, v25, v3, s4
	;; [unrolled: 1-line block ×3, first 2 shown]
	v_cmp_eq_u16_sdwa vcc_lo, v12, v11 src0_sel:BYTE_0 src1_sel:DWORD
	s_waitcnt lgkmcnt(0)
	v_cndmask_b32_e32 v9, 0, v9, vcc_lo
	v_cndmask_b32_e32 v10, 0, v10, vcc_lo
	v_add_co_u32 v9, vcc_lo, v3, v9
	v_add_co_ci_u32_e64 v10, null, v4, v10, vcc_lo
.LBB1498_95:
	s_or_b32 exec_lo, exec_lo, s5
	v_cmp_eq_u16_sdwa vcc_lo, v17, v11 src0_sel:BYTE_0 src1_sel:DWORD
	s_waitcnt lgkmcnt(0)
	v_cndmask_b32_e32 v4, 0, v9, vcc_lo
	v_cndmask_b32_e32 v3, 0, v10, vcc_lo
	v_add_co_u32 v11, vcc_lo, v4, v5
	v_add_co_ci_u32_e64 v12, null, v3, v6, vcc_lo
	v_cndmask_b32_e64 v13, 0, v11, s3
	v_cndmask_b32_e64 v14, 0, v12, s3
	s_branch .LBB1498_123
.LBB1498_96:
	s_cmp_eq_u64 s[30:31], 0
	v_mov_b32_e32 v3, s28
	s_cselect_b32 s2, -1, 0
	s_cmp_eq_u64 s[26:27], 0
	v_mov_b32_e32 v4, s29
	s_cselect_b32 s3, -1, 0
	s_or_b32 s2, s2, s3
	s_and_b32 vcc_lo, exec_lo, s2
	s_cbranch_vccnz .LBB1498_98
; %bb.97:
	v_mov_b32_e32 v3, 0
	global_load_dwordx2 v[3:4], v3, s[26:27]
.LBB1498_98:
	v_mov_b32_e32 v9, 0
	v_cmp_eq_u32_e64 s2, 1, v22
	v_cmp_eq_u16_sdwa vcc_lo, v19, v9 src0_sel:BYTE_0 src1_sel:DWORD
	v_cmp_ne_u16_sdwa s4, v21, v9 src0_sel:BYTE_0 src1_sel:DWORD
	v_cndmask_b32_e32 v11, 0, v5, vcc_lo
	v_cndmask_b32_e32 v10, 0, v6, vcc_lo
	v_add_co_u32 v11, s3, v11, v1
	v_add_co_ci_u32_e64 v10, null, v10, v2, s3
	v_cmp_eq_u16_e64 s3, 0, v20
	v_cndmask_b32_e64 v12, 0, v11, s3
	v_cndmask_b32_e64 v9, 0, v10, s3
	s_or_b32 s3, s4, s2
	s_mov_b32 s4, exec_lo
	v_cndmask_b32_e64 v10, 0, 1, s3
	v_add_co_u32 v7, s2, v12, v7
	v_add_co_ci_u32_e64 v8, null, v9, v8, s2
	v_cndmask_b32_e64 v11, 0, 1, s3
	v_and_b32_e32 v9, 15, v18
	v_mov_b32_dpp v14, v10 row_shr:1 row_mask:0xf bank_mask:0xf
	v_mov_b32_dpp v12, v7 row_shr:1 row_mask:0xf bank_mask:0xf
	;; [unrolled: 1-line block ×3, first 2 shown]
	v_cmpx_ne_u32_e32 0, v9
	s_cbranch_execz .LBB1498_100
; %bb.99:
	v_and_b32_e32 v10, 1, v14
	v_cndmask_b32_e64 v12, v12, 0, s3
	v_cndmask_b32_e64 v13, v13, 0, s3
	v_or_b32_e32 v11, v10, v11
	v_add_co_u32 v7, s2, v12, v7
	v_add_co_ci_u32_e64 v8, null, v13, v8, s2
	v_and_b32_e32 v10, 0xffff, v11
.LBB1498_100:
	s_or_b32 exec_lo, exec_lo, s4
	v_mov_b32_dpp v12, v7 row_shr:2 row_mask:0xf bank_mask:0xf
	v_mov_b32_dpp v13, v8 row_shr:2 row_mask:0xf bank_mask:0xf
	v_mov_b32_dpp v14, v10 row_shr:2 row_mask:0xf bank_mask:0xf
	s_mov_b32 s5, exec_lo
	v_cmpx_lt_u32_e32 1, v9
	s_cbranch_execz .LBB1498_102
; %bb.101:
	v_cmp_eq_u16_e64 s2, 0, v11
	v_and_b32_e32 v10, 1, v11
	v_and_b32_e32 v11, 1, v14
	v_cndmask_b32_e64 v13, 0, v13, s2
	v_cndmask_b32_e64 v12, 0, v12, s2
	v_cmp_eq_u32_e64 s2, 1, v10
	v_cmp_eq_u32_e64 s3, 1, v11
	v_add_co_u32 v7, s4, v12, v7
	s_or_b32 s2, s2, s3
	v_add_co_ci_u32_e64 v8, null, v13, v8, s4
	v_cndmask_b32_e64 v11, 0, 1, s2
	v_cndmask_b32_e64 v10, 0, 1, s2
.LBB1498_102:
	s_or_b32 exec_lo, exec_lo, s5
	v_mov_b32_dpp v12, v7 row_shr:4 row_mask:0xf bank_mask:0xf
	v_mov_b32_dpp v13, v8 row_shr:4 row_mask:0xf bank_mask:0xf
	v_mov_b32_dpp v14, v10 row_shr:4 row_mask:0xf bank_mask:0xf
	s_mov_b32 s5, exec_lo
	v_cmpx_lt_u32_e32 3, v9
	s_cbranch_execz .LBB1498_104
; %bb.103:
	v_cmp_eq_u16_e64 s2, 0, v11
	v_and_b32_e32 v10, 1, v11
	v_and_b32_e32 v11, 1, v14
	v_cndmask_b32_e64 v13, 0, v13, s2
	v_cndmask_b32_e64 v12, 0, v12, s2
	v_cmp_eq_u32_e64 s2, 1, v10
	v_cmp_eq_u32_e64 s3, 1, v11
	v_add_co_u32 v7, s4, v12, v7
	s_or_b32 s2, s2, s3
	v_add_co_ci_u32_e64 v8, null, v13, v8, s4
	v_cndmask_b32_e64 v11, 0, 1, s2
	v_cndmask_b32_e64 v10, 0, 1, s2
.LBB1498_104:
	;; [unrolled: 21-line block ×3, first 2 shown]
	s_or_b32 exec_lo, exec_lo, s5
	ds_swizzle_b32 v9, v7 offset:swizzle(BROADCAST,32,15)
	ds_swizzle_b32 v12, v8 offset:swizzle(BROADCAST,32,15)
	;; [unrolled: 1-line block ×3, first 2 shown]
	v_and_b32_e32 v13, 16, v18
	s_mov_b32 s5, exec_lo
	v_cmpx_ne_u32_e32 0, v13
	s_cbranch_execz .LBB1498_108
; %bb.107:
	v_cmp_eq_u16_e64 s2, 0, v11
	v_and_b32_e32 v11, 1, v11
	s_waitcnt lgkmcnt(0)
	v_and_b32_e32 v10, 1, v10
	v_cndmask_b32_e64 v12, 0, v12, s2
	v_cndmask_b32_e64 v9, 0, v9, s2
	v_cmp_eq_u32_e64 s2, 1, v11
	v_cmp_eq_u32_e64 s3, 1, v10
	v_add_co_u32 v7, s4, v9, v7
	s_or_b32 s2, s2, s3
	v_add_co_ci_u32_e64 v8, null, v12, v8, s4
	v_cndmask_b32_e64 v11, 0, 1, s2
.LBB1498_108:
	s_or_b32 exec_lo, exec_lo, s5
	s_waitcnt lgkmcnt(0)
	v_lshrrev_b32_e32 v10, 5, v0
	v_or_b32_e32 v9, 31, v0
	s_mov_b32 s3, exec_lo
	v_lshlrev_b32_e32 v12, 4, v10
	v_cmpx_eq_u32_e64 v0, v9
	s_cbranch_execz .LBB1498_110
; %bb.109:
	ds_write_b64 v12, v[7:8]
	ds_write_b8 v12, v11 offset:8
.LBB1498_110:
	s_or_b32 exec_lo, exec_lo, s3
	s_mov_b32 s5, exec_lo
	s_waitcnt vmcnt(0) lgkmcnt(0)
	s_barrier
	buffer_gl0_inv
	v_cmpx_gt_u32_e32 8, v0
	s_cbranch_execz .LBB1498_118
; %bb.111:
	v_lshlrev_b32_e32 v13, 4, v0
	v_and_b32_e32 v14, 7, v18
	s_mov_b32 s3, exec_lo
	ds_read_b64 v[9:10], v13
	ds_read_b32 v20, v13 offset:8
	s_waitcnt lgkmcnt(1)
	v_mov_b32_dpp v21, v9 row_shr:1 row_mask:0xf bank_mask:0xf
	v_mov_b32_dpp v22, v10 row_shr:1 row_mask:0xf bank_mask:0xf
	s_waitcnt lgkmcnt(0)
	v_and_b32_e32 v16, 0xffffff00, v20
	v_mov_b32_dpp v23, v20 row_shr:1 row_mask:0xf bank_mask:0xf
	v_mov_b32_e32 v19, v20
	v_mov_b32_e32 v15, v20
	v_cmpx_ne_u32_e32 0, v14
	s_cbranch_execz .LBB1498_113
; %bb.112:
	v_mov_b32_e32 v15, 0
	v_cmp_eq_u16_sdwa s2, v20, v15 src0_sel:BYTE_0 src1_sel:DWORD
	v_or_b32_e32 v15, v23, v20
	v_cndmask_b32_e64 v21, 0, v21, s2
	v_cndmask_b32_e64 v20, 0, v22, s2
	v_and_b32_e32 v19, 1, v15
	v_and_b32_e32 v15, 1, v15
	v_add_co_u32 v9, s2, v21, v9
	v_add_co_ci_u32_e64 v10, null, v20, v10, s2
	v_or_b32_e32 v20, v15, v16
.LBB1498_113:
	s_or_b32 exec_lo, exec_lo, s3
	v_mov_b32_dpp v21, v9 row_shr:2 row_mask:0xf bank_mask:0xf
	v_mov_b32_dpp v22, v10 row_shr:2 row_mask:0xf bank_mask:0xf
	;; [unrolled: 1-line block ×3, first 2 shown]
	s_mov_b32 s6, exec_lo
	v_cmpx_lt_u32_e32 1, v14
	s_cbranch_execz .LBB1498_115
; %bb.114:
	v_mov_b32_e32 v19, 0
	v_and_b32_e32 v20, 1, v15
	v_and_b32_e32 v23, 1, v23
	v_cmp_eq_u16_sdwa s2, v15, v19 src0_sel:BYTE_0 src1_sel:DWORD
	v_cmp_eq_u32_e64 s3, 1, v20
	v_cmp_eq_u32_e64 s4, 1, v23
	v_cndmask_b32_e64 v15, 0, v22, s2
	v_cndmask_b32_e64 v20, 0, v21, s2
	s_or_b32 s2, s3, s4
	v_cndmask_b32_e64 v19, 0, 1, s2
	v_cndmask_b32_e64 v21, 0, 1, s2
	v_add_co_u32 v9, s2, v20, v9
	v_add_co_ci_u32_e64 v10, null, v15, v10, s2
	v_or_b32_e32 v20, v16, v21
	v_mov_b32_e32 v15, v19
.LBB1498_115:
	s_or_b32 exec_lo, exec_lo, s6
	v_mov_b32_dpp v16, v9 row_shr:4 row_mask:0xf bank_mask:0xf
	v_mov_b32_dpp v21, v10 row_shr:4 row_mask:0xf bank_mask:0xf
	;; [unrolled: 1-line block ×3, first 2 shown]
	s_mov_b32 s6, exec_lo
	v_cmpx_lt_u32_e32 3, v14
	s_cbranch_execz .LBB1498_117
; %bb.116:
	v_mov_b32_e32 v14, 0
	v_cmp_eq_u16_sdwa s2, v15, v14 src0_sel:BYTE_0 src1_sel:DWORD
	v_and_b32_e32 v14, 1, v15
	v_and_b32_e32 v15, 1, v20
	v_cndmask_b32_e64 v19, 0, v21, s2
	v_cndmask_b32_e64 v16, 0, v16, s2
	v_cmp_eq_u32_e64 s2, 1, v14
	v_cmp_eq_u32_e64 s3, 1, v15
	v_add_co_u32 v9, s4, v16, v9
	s_or_b32 s2, s2, s3
	v_add_co_ci_u32_e64 v10, null, v19, v10, s4
	v_cndmask_b32_e64 v19, 0, 1, s2
.LBB1498_117:
	s_or_b32 exec_lo, exec_lo, s6
	ds_write_b64 v13, v[9:10]
	ds_write_b8 v13, v19 offset:8
.LBB1498_118:
	s_or_b32 exec_lo, exec_lo, s5
	v_mov_b32_e32 v10, v4
	v_mov_b32_e32 v9, v3
	s_mov_b32 s3, exec_lo
	s_waitcnt lgkmcnt(0)
	s_barrier
	buffer_gl0_inv
	v_cmpx_lt_u32_e32 31, v0
	s_cbranch_execz .LBB1498_120
; %bb.119:
	v_add_nc_u32_e32 v9, -8, v12
	ds_read_u8 v13, v9
	v_add_nc_u32_e32 v9, -16, v12
	ds_read_b64 v[9:10], v9
	s_waitcnt lgkmcnt(1)
	v_cmp_eq_u16_e64 s2, 0, v13
	v_cndmask_b32_e64 v13, 0, v3, s2
	v_cndmask_b32_e64 v12, 0, v4, s2
	s_waitcnt lgkmcnt(0)
	v_add_co_u32 v9, s2, v13, v9
	v_add_co_ci_u32_e64 v10, null, v12, v10, s2
.LBB1498_120:
	s_or_b32 exec_lo, exec_lo, s3
	v_cmp_eq_u16_e64 s2, 0, v11
	v_sub_co_u32 v11, s3, v18, 1
	v_cndmask_b32_e64 v12, 0, v10, s2
	v_cndmask_b32_e64 v13, 0, v9, s2
	v_cmp_gt_i32_e64 s2, 0, v11
	v_cndmask_b32_e64 v11, v11, v18, s2
	v_add_co_u32 v7, s2, v13, v7
	v_add_co_ci_u32_e64 v8, null, v12, v8, s2
	v_lshlrev_b32_e32 v11, 2, v11
	ds_bpermute_b32 v7, v11, v7
	ds_bpermute_b32 v8, v11, v8
	s_waitcnt lgkmcnt(1)
	v_cndmask_b32_e64 v9, v7, v9, s3
	v_mov_b32_e32 v7, 0
	s_waitcnt lgkmcnt(0)
	v_cndmask_b32_e64 v10, v8, v10, s3
	v_cndmask_b32_e64 v8, v9, v3, s0
	v_cmp_eq_u16_sdwa s2, v17, v7 src0_sel:BYTE_0 src1_sel:DWORD
	v_cndmask_b32_e64 v11, v10, v4, s0
	v_cndmask_b32_e64 v8, 0, v8, s2
	;; [unrolled: 1-line block ×3, first 2 shown]
	v_add_co_u32 v11, s2, v8, v5
	v_add_co_ci_u32_e64 v12, null, v12, v6, s2
	v_cndmask_b32_e32 v13, 0, v11, vcc_lo
	v_cndmask_b32_e32 v14, 0, v12, vcc_lo
	s_and_saveexec_b32 s2, s0
	s_cbranch_execz .LBB1498_122
; %bb.121:
	ds_read_u8 v8, v7 offset:120
	ds_read_b64 v[5:6], v7 offset:112
	v_mov_b32_e32 v15, 2
	s_waitcnt lgkmcnt(1)
	v_cmp_eq_u32_sdwa vcc_lo, v8, v7 src0_sel:WORD_0 src1_sel:DWORD
	v_cndmask_b32_e32 v10, 0, v3, vcc_lo
	v_cndmask_b32_e32 v9, 0, v4, vcc_lo
	s_waitcnt lgkmcnt(0)
	v_add_co_u32 v5, vcc_lo, v10, v5
	v_add_co_ci_u32_e64 v6, null, v9, v6, vcc_lo
	v_mov_b32_e32 v10, v4
	v_mov_b32_e32 v9, v3
	global_store_byte v7, v8, s[10:11] offset:520
	global_store_dwordx2 v7, v[5:6], s[10:11] offset:512
	s_waitcnt_vscnt null, 0x0
	buffer_gl1_inv
	buffer_gl0_inv
	global_store_byte v7, v15, s[12:13] offset:32
.LBB1498_122:
	s_or_b32 exec_lo, exec_lo, s2
.LBB1498_123:
	v_add_co_u32 v5, vcc_lo, v13, v1
	s_add_u32 s0, s22, s16
	v_add_co_ci_u32_e64 v6, null, v14, v2, vcc_lo
	s_addc_u32 s2, s23, s17
	s_add_u32 s0, s0, s18
	s_addc_u32 s2, s2, s19
	s_and_b32 vcc_lo, exec_lo, s1
	s_cbranch_vccz .LBB1498_135
; %bb.124:
	v_mov_b32_e32 v7, 0
	v_mov_b32_e32 v8, 0
	;; [unrolled: 1-line block ×4, first 2 shown]
	v_mul_u32_u24_e32 v13, 3, v0
	s_add_i32 s15, s15, s14
	v_mov_b32_e32 v4, v8
	v_mov_b32_e32 v2, v8
	s_mov_b32 s1, exec_lo
	v_cmpx_gt_u32_e64 s15, v13
	s_cbranch_execz .LBB1498_130
; %bb.125:
	v_mov_b32_e32 v1, 0
	v_mov_b32_e32 v3, 0
	v_add_nc_u32_e32 v7, 1, v13
	v_mov_b32_e32 v2, 0
	v_mov_b32_e32 v4, 0
	s_mov_b32 s3, exec_lo
	v_cmpx_gt_u32_e64 s15, v7
	s_cbranch_execz .LBB1498_129
; %bb.126:
	v_mov_b32_e32 v1, 0
	v_add_nc_u32_e32 v3, 2, v13
	v_mov_b32_e32 v2, 0
	s_mov_b32 s4, exec_lo
	v_cmpx_gt_u32_e64 s15, v3
; %bb.127:
	v_mov_b32_e32 v1, v5
	v_mov_b32_e32 v2, v6
; %bb.128:
	s_or_b32 exec_lo, exec_lo, s4
	v_mov_b32_e32 v3, v11
	v_mov_b32_e32 v4, v12
.LBB1498_129:
	s_or_b32 exec_lo, exec_lo, s3
	v_mov_b32_e32 v7, v9
	v_mov_b32_e32 v8, v10
.LBB1498_130:
	s_or_b32 exec_lo, exec_lo, s1
	v_lshlrev_b32_e32 v13, 3, v13
	v_lshlrev_b32_e32 v14, 4, v0
	s_waitcnt_vscnt null, 0x0
	s_barrier
	buffer_gl0_inv
	ds_write2_b64 v13, v[7:8], v[3:4] offset1:1
	v_sub_nc_u32_e32 v3, v13, v14
	ds_write_b64 v13, v[1:2] offset:16
	s_waitcnt lgkmcnt(0)
	s_barrier
	buffer_gl0_inv
	ds_read2st64_b64 v[1:4], v3 offset0:4 offset1:8
	v_lshlrev_b32_e32 v7, 3, v0
	v_add_co_u32 v7, s1, s0, v7
	v_add_co_ci_u32_e64 v8, null, s2, 0, s1
	s_mov_b32 s1, exec_lo
	v_cmpx_gt_u32_e64 s15, v0
	s_cbranch_execz .LBB1498_132
; %bb.131:
	v_sub_nc_u32_e32 v14, 0, v14
	v_add_nc_u32_e32 v13, v13, v14
	ds_read_b64 v[13:14], v13
	s_waitcnt lgkmcnt(0)
	flat_store_dwordx2 v[7:8], v[13:14]
.LBB1498_132:
	s_or_b32 exec_lo, exec_lo, s1
	v_or_b32_e32 v13, 0x100, v0
	s_mov_b32 s1, exec_lo
	v_cmpx_gt_u32_e64 s15, v13
	s_cbranch_execz .LBB1498_134
; %bb.133:
	v_add_co_u32 v7, vcc_lo, 0x800, v7
	v_add_co_ci_u32_e64 v8, null, 0, v8, vcc_lo
	s_waitcnt lgkmcnt(0)
	flat_store_dwordx2 v[7:8], v[1:2]
.LBB1498_134:
	s_or_b32 exec_lo, exec_lo, s1
	s_waitcnt lgkmcnt(0)
	v_or_b32_e32 v1, 0x200, v0
	v_cmp_gt_u32_e64 s1, s15, v1
	s_branch .LBB1498_137
.LBB1498_135:
	s_mov_b32 s1, 0
                                        ; implicit-def: $vgpr3_vgpr4
	s_cbranch_execz .LBB1498_137
; %bb.136:
	v_mul_u32_u24_e32 v1, 24, v0
	v_lshlrev_b32_e32 v2, 4, v0
	s_waitcnt_vscnt null, 0x0
	s_barrier
	buffer_gl0_inv
	ds_write2_b64 v1, v[9:10], v[11:12] offset1:1
	v_sub_nc_u32_e32 v2, v1, v2
	ds_write_b64 v1, v[5:6] offset:16
	s_waitcnt lgkmcnt(0)
	s_barrier
	buffer_gl0_inv
	ds_read2st64_b64 v[5:8], v2 offset1:4
	ds_read_b64 v[3:4], v2 offset:4096
	v_lshlrev_b32_e32 v1, 3, v0
	s_or_b32 s1, s1, exec_lo
	v_add_co_u32 v1, s3, s0, v1
	v_add_co_ci_u32_e64 v2, null, s2, 0, s3
	v_add_co_u32 v9, vcc_lo, 0x800, v1
	v_add_co_ci_u32_e64 v10, null, 0, v2, vcc_lo
	s_waitcnt lgkmcnt(1)
	flat_store_dwordx2 v[1:2], v[5:6]
	flat_store_dwordx2 v[9:10], v[7:8]
.LBB1498_137:
	s_and_saveexec_b32 s3, s1
	s_cbranch_execnz .LBB1498_139
; %bb.138:
	s_endpgm
.LBB1498_139:
	v_lshlrev_b32_e32 v0, 3, v0
	v_add_co_u32 v0, s0, s0, v0
	v_add_co_ci_u32_e64 v1, null, s2, 0, s0
	v_add_co_u32 v0, vcc_lo, 0x1000, v0
	v_add_co_ci_u32_e64 v1, null, 0, v1, vcc_lo
	s_waitcnt lgkmcnt(2)
	flat_store_dwordx2 v[0:1], v[3:4]
	s_endpgm
.LBB1498_140:
	v_lshlrev_b32_e32 v2, 3, v0
	v_mov_b32_e32 v18, v1
	v_mov_b32_e32 v19, v1
	;; [unrolled: 1-line block ×4, first 2 shown]
	v_add_co_u32 v2, s4, s20, v2
	v_add_co_ci_u32_e64 v3, null, s21, 0, s4
	flat_load_dwordx2 v[16:17], v[2:3]
	s_waitcnt vmcnt(0) lgkmcnt(0)
	v_mov_b32_e32 v1, v16
	v_mov_b32_e32 v2, v17
	;; [unrolled: 1-line block ×6, first 2 shown]
	s_or_b32 exec_lo, exec_lo, s5
	s_and_saveexec_b32 s4, s3
	s_cbranch_execz .LBB1498_15
.LBB1498_141:
	v_lshlrev_b32_e32 v3, 3, v8
	v_add_co_u32 v3, s3, s20, v3
	v_add_co_ci_u32_e64 v4, null, s21, 0, s3
	flat_load_dwordx2 v[3:4], v[3:4]
	s_or_b32 exec_lo, exec_lo, s4
	v_mul_u32_u24_e32 v16, 3, v0
	s_and_saveexec_b32 s3, vcc_lo
	s_cbranch_execnz .LBB1498_16
	s_branch .LBB1498_17
	.section	.rodata,"a",@progbits
	.p2align	6, 0x0
	.amdhsa_kernel _ZN7rocprim17ROCPRIM_400000_NS6detail17trampoline_kernelINS0_14default_configENS1_27scan_by_key_config_selectorIiyEEZZNS1_16scan_by_key_implILNS1_25lookback_scan_determinismE0ELb1ES3_N6thrust23THRUST_200600_302600_NS6detail15normal_iteratorINS9_10device_ptrIiEEEENSB_INSC_IyEEEESG_yNS9_4plusIvEENS9_8equal_toIvEEyEE10hipError_tPvRmT2_T3_T4_T5_mT6_T7_P12ihipStream_tbENKUlT_T0_E_clISt17integral_constantIbLb0EES10_IbLb1EEEEDaSW_SX_EUlSW_E_NS1_11comp_targetILNS1_3genE8ELNS1_11target_archE1030ELNS1_3gpuE2ELNS1_3repE0EEENS1_30default_config_static_selectorELNS0_4arch9wavefront6targetE0EEEvT1_
		.amdhsa_group_segment_fixed_size 6144
		.amdhsa_private_segment_fixed_size 0
		.amdhsa_kernarg_size 136
		.amdhsa_user_sgpr_count 6
		.amdhsa_user_sgpr_private_segment_buffer 1
		.amdhsa_user_sgpr_dispatch_ptr 0
		.amdhsa_user_sgpr_queue_ptr 0
		.amdhsa_user_sgpr_kernarg_segment_ptr 1
		.amdhsa_user_sgpr_dispatch_id 0
		.amdhsa_user_sgpr_flat_scratch_init 0
		.amdhsa_user_sgpr_private_segment_size 0
		.amdhsa_wavefront_size32 1
		.amdhsa_uses_dynamic_stack 0
		.amdhsa_system_sgpr_private_segment_wavefront_offset 0
		.amdhsa_system_sgpr_workgroup_id_x 1
		.amdhsa_system_sgpr_workgroup_id_y 0
		.amdhsa_system_sgpr_workgroup_id_z 0
		.amdhsa_system_sgpr_workgroup_info 0
		.amdhsa_system_vgpr_workitem_id 0
		.amdhsa_next_free_vgpr 48
		.amdhsa_next_free_sgpr 37
		.amdhsa_reserve_vcc 1
		.amdhsa_reserve_flat_scratch 1
		.amdhsa_float_round_mode_32 0
		.amdhsa_float_round_mode_16_64 0
		.amdhsa_float_denorm_mode_32 3
		.amdhsa_float_denorm_mode_16_64 3
		.amdhsa_dx10_clamp 1
		.amdhsa_ieee_mode 1
		.amdhsa_fp16_overflow 0
		.amdhsa_workgroup_processor_mode 1
		.amdhsa_memory_ordered 1
		.amdhsa_forward_progress 1
		.amdhsa_shared_vgpr_count 0
		.amdhsa_exception_fp_ieee_invalid_op 0
		.amdhsa_exception_fp_denorm_src 0
		.amdhsa_exception_fp_ieee_div_zero 0
		.amdhsa_exception_fp_ieee_overflow 0
		.amdhsa_exception_fp_ieee_underflow 0
		.amdhsa_exception_fp_ieee_inexact 0
		.amdhsa_exception_int_div_zero 0
	.end_amdhsa_kernel
	.section	.text._ZN7rocprim17ROCPRIM_400000_NS6detail17trampoline_kernelINS0_14default_configENS1_27scan_by_key_config_selectorIiyEEZZNS1_16scan_by_key_implILNS1_25lookback_scan_determinismE0ELb1ES3_N6thrust23THRUST_200600_302600_NS6detail15normal_iteratorINS9_10device_ptrIiEEEENSB_INSC_IyEEEESG_yNS9_4plusIvEENS9_8equal_toIvEEyEE10hipError_tPvRmT2_T3_T4_T5_mT6_T7_P12ihipStream_tbENKUlT_T0_E_clISt17integral_constantIbLb0EES10_IbLb1EEEEDaSW_SX_EUlSW_E_NS1_11comp_targetILNS1_3genE8ELNS1_11target_archE1030ELNS1_3gpuE2ELNS1_3repE0EEENS1_30default_config_static_selectorELNS0_4arch9wavefront6targetE0EEEvT1_,"axG",@progbits,_ZN7rocprim17ROCPRIM_400000_NS6detail17trampoline_kernelINS0_14default_configENS1_27scan_by_key_config_selectorIiyEEZZNS1_16scan_by_key_implILNS1_25lookback_scan_determinismE0ELb1ES3_N6thrust23THRUST_200600_302600_NS6detail15normal_iteratorINS9_10device_ptrIiEEEENSB_INSC_IyEEEESG_yNS9_4plusIvEENS9_8equal_toIvEEyEE10hipError_tPvRmT2_T3_T4_T5_mT6_T7_P12ihipStream_tbENKUlT_T0_E_clISt17integral_constantIbLb0EES10_IbLb1EEEEDaSW_SX_EUlSW_E_NS1_11comp_targetILNS1_3genE8ELNS1_11target_archE1030ELNS1_3gpuE2ELNS1_3repE0EEENS1_30default_config_static_selectorELNS0_4arch9wavefront6targetE0EEEvT1_,comdat
.Lfunc_end1498:
	.size	_ZN7rocprim17ROCPRIM_400000_NS6detail17trampoline_kernelINS0_14default_configENS1_27scan_by_key_config_selectorIiyEEZZNS1_16scan_by_key_implILNS1_25lookback_scan_determinismE0ELb1ES3_N6thrust23THRUST_200600_302600_NS6detail15normal_iteratorINS9_10device_ptrIiEEEENSB_INSC_IyEEEESG_yNS9_4plusIvEENS9_8equal_toIvEEyEE10hipError_tPvRmT2_T3_T4_T5_mT6_T7_P12ihipStream_tbENKUlT_T0_E_clISt17integral_constantIbLb0EES10_IbLb1EEEEDaSW_SX_EUlSW_E_NS1_11comp_targetILNS1_3genE8ELNS1_11target_archE1030ELNS1_3gpuE2ELNS1_3repE0EEENS1_30default_config_static_selectorELNS0_4arch9wavefront6targetE0EEEvT1_, .Lfunc_end1498-_ZN7rocprim17ROCPRIM_400000_NS6detail17trampoline_kernelINS0_14default_configENS1_27scan_by_key_config_selectorIiyEEZZNS1_16scan_by_key_implILNS1_25lookback_scan_determinismE0ELb1ES3_N6thrust23THRUST_200600_302600_NS6detail15normal_iteratorINS9_10device_ptrIiEEEENSB_INSC_IyEEEESG_yNS9_4plusIvEENS9_8equal_toIvEEyEE10hipError_tPvRmT2_T3_T4_T5_mT6_T7_P12ihipStream_tbENKUlT_T0_E_clISt17integral_constantIbLb0EES10_IbLb1EEEEDaSW_SX_EUlSW_E_NS1_11comp_targetILNS1_3genE8ELNS1_11target_archE1030ELNS1_3gpuE2ELNS1_3repE0EEENS1_30default_config_static_selectorELNS0_4arch9wavefront6targetE0EEEvT1_
                                        ; -- End function
	.set _ZN7rocprim17ROCPRIM_400000_NS6detail17trampoline_kernelINS0_14default_configENS1_27scan_by_key_config_selectorIiyEEZZNS1_16scan_by_key_implILNS1_25lookback_scan_determinismE0ELb1ES3_N6thrust23THRUST_200600_302600_NS6detail15normal_iteratorINS9_10device_ptrIiEEEENSB_INSC_IyEEEESG_yNS9_4plusIvEENS9_8equal_toIvEEyEE10hipError_tPvRmT2_T3_T4_T5_mT6_T7_P12ihipStream_tbENKUlT_T0_E_clISt17integral_constantIbLb0EES10_IbLb1EEEEDaSW_SX_EUlSW_E_NS1_11comp_targetILNS1_3genE8ELNS1_11target_archE1030ELNS1_3gpuE2ELNS1_3repE0EEENS1_30default_config_static_selectorELNS0_4arch9wavefront6targetE0EEEvT1_.num_vgpr, 48
	.set _ZN7rocprim17ROCPRIM_400000_NS6detail17trampoline_kernelINS0_14default_configENS1_27scan_by_key_config_selectorIiyEEZZNS1_16scan_by_key_implILNS1_25lookback_scan_determinismE0ELb1ES3_N6thrust23THRUST_200600_302600_NS6detail15normal_iteratorINS9_10device_ptrIiEEEENSB_INSC_IyEEEESG_yNS9_4plusIvEENS9_8equal_toIvEEyEE10hipError_tPvRmT2_T3_T4_T5_mT6_T7_P12ihipStream_tbENKUlT_T0_E_clISt17integral_constantIbLb0EES10_IbLb1EEEEDaSW_SX_EUlSW_E_NS1_11comp_targetILNS1_3genE8ELNS1_11target_archE1030ELNS1_3gpuE2ELNS1_3repE0EEENS1_30default_config_static_selectorELNS0_4arch9wavefront6targetE0EEEvT1_.num_agpr, 0
	.set _ZN7rocprim17ROCPRIM_400000_NS6detail17trampoline_kernelINS0_14default_configENS1_27scan_by_key_config_selectorIiyEEZZNS1_16scan_by_key_implILNS1_25lookback_scan_determinismE0ELb1ES3_N6thrust23THRUST_200600_302600_NS6detail15normal_iteratorINS9_10device_ptrIiEEEENSB_INSC_IyEEEESG_yNS9_4plusIvEENS9_8equal_toIvEEyEE10hipError_tPvRmT2_T3_T4_T5_mT6_T7_P12ihipStream_tbENKUlT_T0_E_clISt17integral_constantIbLb0EES10_IbLb1EEEEDaSW_SX_EUlSW_E_NS1_11comp_targetILNS1_3genE8ELNS1_11target_archE1030ELNS1_3gpuE2ELNS1_3repE0EEENS1_30default_config_static_selectorELNS0_4arch9wavefront6targetE0EEEvT1_.numbered_sgpr, 37
	.set _ZN7rocprim17ROCPRIM_400000_NS6detail17trampoline_kernelINS0_14default_configENS1_27scan_by_key_config_selectorIiyEEZZNS1_16scan_by_key_implILNS1_25lookback_scan_determinismE0ELb1ES3_N6thrust23THRUST_200600_302600_NS6detail15normal_iteratorINS9_10device_ptrIiEEEENSB_INSC_IyEEEESG_yNS9_4plusIvEENS9_8equal_toIvEEyEE10hipError_tPvRmT2_T3_T4_T5_mT6_T7_P12ihipStream_tbENKUlT_T0_E_clISt17integral_constantIbLb0EES10_IbLb1EEEEDaSW_SX_EUlSW_E_NS1_11comp_targetILNS1_3genE8ELNS1_11target_archE1030ELNS1_3gpuE2ELNS1_3repE0EEENS1_30default_config_static_selectorELNS0_4arch9wavefront6targetE0EEEvT1_.num_named_barrier, 0
	.set _ZN7rocprim17ROCPRIM_400000_NS6detail17trampoline_kernelINS0_14default_configENS1_27scan_by_key_config_selectorIiyEEZZNS1_16scan_by_key_implILNS1_25lookback_scan_determinismE0ELb1ES3_N6thrust23THRUST_200600_302600_NS6detail15normal_iteratorINS9_10device_ptrIiEEEENSB_INSC_IyEEEESG_yNS9_4plusIvEENS9_8equal_toIvEEyEE10hipError_tPvRmT2_T3_T4_T5_mT6_T7_P12ihipStream_tbENKUlT_T0_E_clISt17integral_constantIbLb0EES10_IbLb1EEEEDaSW_SX_EUlSW_E_NS1_11comp_targetILNS1_3genE8ELNS1_11target_archE1030ELNS1_3gpuE2ELNS1_3repE0EEENS1_30default_config_static_selectorELNS0_4arch9wavefront6targetE0EEEvT1_.private_seg_size, 0
	.set _ZN7rocprim17ROCPRIM_400000_NS6detail17trampoline_kernelINS0_14default_configENS1_27scan_by_key_config_selectorIiyEEZZNS1_16scan_by_key_implILNS1_25lookback_scan_determinismE0ELb1ES3_N6thrust23THRUST_200600_302600_NS6detail15normal_iteratorINS9_10device_ptrIiEEEENSB_INSC_IyEEEESG_yNS9_4plusIvEENS9_8equal_toIvEEyEE10hipError_tPvRmT2_T3_T4_T5_mT6_T7_P12ihipStream_tbENKUlT_T0_E_clISt17integral_constantIbLb0EES10_IbLb1EEEEDaSW_SX_EUlSW_E_NS1_11comp_targetILNS1_3genE8ELNS1_11target_archE1030ELNS1_3gpuE2ELNS1_3repE0EEENS1_30default_config_static_selectorELNS0_4arch9wavefront6targetE0EEEvT1_.uses_vcc, 1
	.set _ZN7rocprim17ROCPRIM_400000_NS6detail17trampoline_kernelINS0_14default_configENS1_27scan_by_key_config_selectorIiyEEZZNS1_16scan_by_key_implILNS1_25lookback_scan_determinismE0ELb1ES3_N6thrust23THRUST_200600_302600_NS6detail15normal_iteratorINS9_10device_ptrIiEEEENSB_INSC_IyEEEESG_yNS9_4plusIvEENS9_8equal_toIvEEyEE10hipError_tPvRmT2_T3_T4_T5_mT6_T7_P12ihipStream_tbENKUlT_T0_E_clISt17integral_constantIbLb0EES10_IbLb1EEEEDaSW_SX_EUlSW_E_NS1_11comp_targetILNS1_3genE8ELNS1_11target_archE1030ELNS1_3gpuE2ELNS1_3repE0EEENS1_30default_config_static_selectorELNS0_4arch9wavefront6targetE0EEEvT1_.uses_flat_scratch, 1
	.set _ZN7rocprim17ROCPRIM_400000_NS6detail17trampoline_kernelINS0_14default_configENS1_27scan_by_key_config_selectorIiyEEZZNS1_16scan_by_key_implILNS1_25lookback_scan_determinismE0ELb1ES3_N6thrust23THRUST_200600_302600_NS6detail15normal_iteratorINS9_10device_ptrIiEEEENSB_INSC_IyEEEESG_yNS9_4plusIvEENS9_8equal_toIvEEyEE10hipError_tPvRmT2_T3_T4_T5_mT6_T7_P12ihipStream_tbENKUlT_T0_E_clISt17integral_constantIbLb0EES10_IbLb1EEEEDaSW_SX_EUlSW_E_NS1_11comp_targetILNS1_3genE8ELNS1_11target_archE1030ELNS1_3gpuE2ELNS1_3repE0EEENS1_30default_config_static_selectorELNS0_4arch9wavefront6targetE0EEEvT1_.has_dyn_sized_stack, 0
	.set _ZN7rocprim17ROCPRIM_400000_NS6detail17trampoline_kernelINS0_14default_configENS1_27scan_by_key_config_selectorIiyEEZZNS1_16scan_by_key_implILNS1_25lookback_scan_determinismE0ELb1ES3_N6thrust23THRUST_200600_302600_NS6detail15normal_iteratorINS9_10device_ptrIiEEEENSB_INSC_IyEEEESG_yNS9_4plusIvEENS9_8equal_toIvEEyEE10hipError_tPvRmT2_T3_T4_T5_mT6_T7_P12ihipStream_tbENKUlT_T0_E_clISt17integral_constantIbLb0EES10_IbLb1EEEEDaSW_SX_EUlSW_E_NS1_11comp_targetILNS1_3genE8ELNS1_11target_archE1030ELNS1_3gpuE2ELNS1_3repE0EEENS1_30default_config_static_selectorELNS0_4arch9wavefront6targetE0EEEvT1_.has_recursion, 0
	.set _ZN7rocprim17ROCPRIM_400000_NS6detail17trampoline_kernelINS0_14default_configENS1_27scan_by_key_config_selectorIiyEEZZNS1_16scan_by_key_implILNS1_25lookback_scan_determinismE0ELb1ES3_N6thrust23THRUST_200600_302600_NS6detail15normal_iteratorINS9_10device_ptrIiEEEENSB_INSC_IyEEEESG_yNS9_4plusIvEENS9_8equal_toIvEEyEE10hipError_tPvRmT2_T3_T4_T5_mT6_T7_P12ihipStream_tbENKUlT_T0_E_clISt17integral_constantIbLb0EES10_IbLb1EEEEDaSW_SX_EUlSW_E_NS1_11comp_targetILNS1_3genE8ELNS1_11target_archE1030ELNS1_3gpuE2ELNS1_3repE0EEENS1_30default_config_static_selectorELNS0_4arch9wavefront6targetE0EEEvT1_.has_indirect_call, 0
	.section	.AMDGPU.csdata,"",@progbits
; Kernel info:
; codeLenInByte = 7776
; TotalNumSgprs: 39
; NumVgprs: 48
; ScratchSize: 0
; MemoryBound: 0
; FloatMode: 240
; IeeeMode: 1
; LDSByteSize: 6144 bytes/workgroup (compile time only)
; SGPRBlocks: 0
; VGPRBlocks: 5
; NumSGPRsForWavesPerEU: 39
; NumVGPRsForWavesPerEU: 48
; Occupancy: 16
; WaveLimiterHint : 1
; COMPUTE_PGM_RSRC2:SCRATCH_EN: 0
; COMPUTE_PGM_RSRC2:USER_SGPR: 6
; COMPUTE_PGM_RSRC2:TRAP_HANDLER: 0
; COMPUTE_PGM_RSRC2:TGID_X_EN: 1
; COMPUTE_PGM_RSRC2:TGID_Y_EN: 0
; COMPUTE_PGM_RSRC2:TGID_Z_EN: 0
; COMPUTE_PGM_RSRC2:TIDIG_COMP_CNT: 0
	.section	.text._ZN7rocprim17ROCPRIM_400000_NS6detail17trampoline_kernelINS0_14default_configENS1_27scan_by_key_config_selectorIijEEZZNS1_16scan_by_key_implILNS1_25lookback_scan_determinismE0ELb1ES3_N6thrust23THRUST_200600_302600_NS6detail15normal_iteratorINS9_10device_ptrIiEEEENSB_INSC_IjEEEESG_jNS9_4plusIvEENS9_8equal_toIvEEjEE10hipError_tPvRmT2_T3_T4_T5_mT6_T7_P12ihipStream_tbENKUlT_T0_E_clISt17integral_constantIbLb0EES11_EEDaSW_SX_EUlSW_E_NS1_11comp_targetILNS1_3genE0ELNS1_11target_archE4294967295ELNS1_3gpuE0ELNS1_3repE0EEENS1_30default_config_static_selectorELNS0_4arch9wavefront6targetE0EEEvT1_,"axG",@progbits,_ZN7rocprim17ROCPRIM_400000_NS6detail17trampoline_kernelINS0_14default_configENS1_27scan_by_key_config_selectorIijEEZZNS1_16scan_by_key_implILNS1_25lookback_scan_determinismE0ELb1ES3_N6thrust23THRUST_200600_302600_NS6detail15normal_iteratorINS9_10device_ptrIiEEEENSB_INSC_IjEEEESG_jNS9_4plusIvEENS9_8equal_toIvEEjEE10hipError_tPvRmT2_T3_T4_T5_mT6_T7_P12ihipStream_tbENKUlT_T0_E_clISt17integral_constantIbLb0EES11_EEDaSW_SX_EUlSW_E_NS1_11comp_targetILNS1_3genE0ELNS1_11target_archE4294967295ELNS1_3gpuE0ELNS1_3repE0EEENS1_30default_config_static_selectorELNS0_4arch9wavefront6targetE0EEEvT1_,comdat
	.protected	_ZN7rocprim17ROCPRIM_400000_NS6detail17trampoline_kernelINS0_14default_configENS1_27scan_by_key_config_selectorIijEEZZNS1_16scan_by_key_implILNS1_25lookback_scan_determinismE0ELb1ES3_N6thrust23THRUST_200600_302600_NS6detail15normal_iteratorINS9_10device_ptrIiEEEENSB_INSC_IjEEEESG_jNS9_4plusIvEENS9_8equal_toIvEEjEE10hipError_tPvRmT2_T3_T4_T5_mT6_T7_P12ihipStream_tbENKUlT_T0_E_clISt17integral_constantIbLb0EES11_EEDaSW_SX_EUlSW_E_NS1_11comp_targetILNS1_3genE0ELNS1_11target_archE4294967295ELNS1_3gpuE0ELNS1_3repE0EEENS1_30default_config_static_selectorELNS0_4arch9wavefront6targetE0EEEvT1_ ; -- Begin function _ZN7rocprim17ROCPRIM_400000_NS6detail17trampoline_kernelINS0_14default_configENS1_27scan_by_key_config_selectorIijEEZZNS1_16scan_by_key_implILNS1_25lookback_scan_determinismE0ELb1ES3_N6thrust23THRUST_200600_302600_NS6detail15normal_iteratorINS9_10device_ptrIiEEEENSB_INSC_IjEEEESG_jNS9_4plusIvEENS9_8equal_toIvEEjEE10hipError_tPvRmT2_T3_T4_T5_mT6_T7_P12ihipStream_tbENKUlT_T0_E_clISt17integral_constantIbLb0EES11_EEDaSW_SX_EUlSW_E_NS1_11comp_targetILNS1_3genE0ELNS1_11target_archE4294967295ELNS1_3gpuE0ELNS1_3repE0EEENS1_30default_config_static_selectorELNS0_4arch9wavefront6targetE0EEEvT1_
	.globl	_ZN7rocprim17ROCPRIM_400000_NS6detail17trampoline_kernelINS0_14default_configENS1_27scan_by_key_config_selectorIijEEZZNS1_16scan_by_key_implILNS1_25lookback_scan_determinismE0ELb1ES3_N6thrust23THRUST_200600_302600_NS6detail15normal_iteratorINS9_10device_ptrIiEEEENSB_INSC_IjEEEESG_jNS9_4plusIvEENS9_8equal_toIvEEjEE10hipError_tPvRmT2_T3_T4_T5_mT6_T7_P12ihipStream_tbENKUlT_T0_E_clISt17integral_constantIbLb0EES11_EEDaSW_SX_EUlSW_E_NS1_11comp_targetILNS1_3genE0ELNS1_11target_archE4294967295ELNS1_3gpuE0ELNS1_3repE0EEENS1_30default_config_static_selectorELNS0_4arch9wavefront6targetE0EEEvT1_
	.p2align	8
	.type	_ZN7rocprim17ROCPRIM_400000_NS6detail17trampoline_kernelINS0_14default_configENS1_27scan_by_key_config_selectorIijEEZZNS1_16scan_by_key_implILNS1_25lookback_scan_determinismE0ELb1ES3_N6thrust23THRUST_200600_302600_NS6detail15normal_iteratorINS9_10device_ptrIiEEEENSB_INSC_IjEEEESG_jNS9_4plusIvEENS9_8equal_toIvEEjEE10hipError_tPvRmT2_T3_T4_T5_mT6_T7_P12ihipStream_tbENKUlT_T0_E_clISt17integral_constantIbLb0EES11_EEDaSW_SX_EUlSW_E_NS1_11comp_targetILNS1_3genE0ELNS1_11target_archE4294967295ELNS1_3gpuE0ELNS1_3repE0EEENS1_30default_config_static_selectorELNS0_4arch9wavefront6targetE0EEEvT1_,@function
_ZN7rocprim17ROCPRIM_400000_NS6detail17trampoline_kernelINS0_14default_configENS1_27scan_by_key_config_selectorIijEEZZNS1_16scan_by_key_implILNS1_25lookback_scan_determinismE0ELb1ES3_N6thrust23THRUST_200600_302600_NS6detail15normal_iteratorINS9_10device_ptrIiEEEENSB_INSC_IjEEEESG_jNS9_4plusIvEENS9_8equal_toIvEEjEE10hipError_tPvRmT2_T3_T4_T5_mT6_T7_P12ihipStream_tbENKUlT_T0_E_clISt17integral_constantIbLb0EES11_EEDaSW_SX_EUlSW_E_NS1_11comp_targetILNS1_3genE0ELNS1_11target_archE4294967295ELNS1_3gpuE0ELNS1_3repE0EEENS1_30default_config_static_selectorELNS0_4arch9wavefront6targetE0EEEvT1_: ; @_ZN7rocprim17ROCPRIM_400000_NS6detail17trampoline_kernelINS0_14default_configENS1_27scan_by_key_config_selectorIijEEZZNS1_16scan_by_key_implILNS1_25lookback_scan_determinismE0ELb1ES3_N6thrust23THRUST_200600_302600_NS6detail15normal_iteratorINS9_10device_ptrIiEEEENSB_INSC_IjEEEESG_jNS9_4plusIvEENS9_8equal_toIvEEjEE10hipError_tPvRmT2_T3_T4_T5_mT6_T7_P12ihipStream_tbENKUlT_T0_E_clISt17integral_constantIbLb0EES11_EEDaSW_SX_EUlSW_E_NS1_11comp_targetILNS1_3genE0ELNS1_11target_archE4294967295ELNS1_3gpuE0ELNS1_3repE0EEENS1_30default_config_static_selectorELNS0_4arch9wavefront6targetE0EEEvT1_
; %bb.0:
	.section	.rodata,"a",@progbits
	.p2align	6, 0x0
	.amdhsa_kernel _ZN7rocprim17ROCPRIM_400000_NS6detail17trampoline_kernelINS0_14default_configENS1_27scan_by_key_config_selectorIijEEZZNS1_16scan_by_key_implILNS1_25lookback_scan_determinismE0ELb1ES3_N6thrust23THRUST_200600_302600_NS6detail15normal_iteratorINS9_10device_ptrIiEEEENSB_INSC_IjEEEESG_jNS9_4plusIvEENS9_8equal_toIvEEjEE10hipError_tPvRmT2_T3_T4_T5_mT6_T7_P12ihipStream_tbENKUlT_T0_E_clISt17integral_constantIbLb0EES11_EEDaSW_SX_EUlSW_E_NS1_11comp_targetILNS1_3genE0ELNS1_11target_archE4294967295ELNS1_3gpuE0ELNS1_3repE0EEENS1_30default_config_static_selectorELNS0_4arch9wavefront6targetE0EEEvT1_
		.amdhsa_group_segment_fixed_size 0
		.amdhsa_private_segment_fixed_size 0
		.amdhsa_kernarg_size 112
		.amdhsa_user_sgpr_count 6
		.amdhsa_user_sgpr_private_segment_buffer 1
		.amdhsa_user_sgpr_dispatch_ptr 0
		.amdhsa_user_sgpr_queue_ptr 0
		.amdhsa_user_sgpr_kernarg_segment_ptr 1
		.amdhsa_user_sgpr_dispatch_id 0
		.amdhsa_user_sgpr_flat_scratch_init 0
		.amdhsa_user_sgpr_private_segment_size 0
		.amdhsa_wavefront_size32 1
		.amdhsa_uses_dynamic_stack 0
		.amdhsa_system_sgpr_private_segment_wavefront_offset 0
		.amdhsa_system_sgpr_workgroup_id_x 1
		.amdhsa_system_sgpr_workgroup_id_y 0
		.amdhsa_system_sgpr_workgroup_id_z 0
		.amdhsa_system_sgpr_workgroup_info 0
		.amdhsa_system_vgpr_workitem_id 0
		.amdhsa_next_free_vgpr 1
		.amdhsa_next_free_sgpr 1
		.amdhsa_reserve_vcc 0
		.amdhsa_reserve_flat_scratch 0
		.amdhsa_float_round_mode_32 0
		.amdhsa_float_round_mode_16_64 0
		.amdhsa_float_denorm_mode_32 3
		.amdhsa_float_denorm_mode_16_64 3
		.amdhsa_dx10_clamp 1
		.amdhsa_ieee_mode 1
		.amdhsa_fp16_overflow 0
		.amdhsa_workgroup_processor_mode 1
		.amdhsa_memory_ordered 1
		.amdhsa_forward_progress 1
		.amdhsa_shared_vgpr_count 0
		.amdhsa_exception_fp_ieee_invalid_op 0
		.amdhsa_exception_fp_denorm_src 0
		.amdhsa_exception_fp_ieee_div_zero 0
		.amdhsa_exception_fp_ieee_overflow 0
		.amdhsa_exception_fp_ieee_underflow 0
		.amdhsa_exception_fp_ieee_inexact 0
		.amdhsa_exception_int_div_zero 0
	.end_amdhsa_kernel
	.section	.text._ZN7rocprim17ROCPRIM_400000_NS6detail17trampoline_kernelINS0_14default_configENS1_27scan_by_key_config_selectorIijEEZZNS1_16scan_by_key_implILNS1_25lookback_scan_determinismE0ELb1ES3_N6thrust23THRUST_200600_302600_NS6detail15normal_iteratorINS9_10device_ptrIiEEEENSB_INSC_IjEEEESG_jNS9_4plusIvEENS9_8equal_toIvEEjEE10hipError_tPvRmT2_T3_T4_T5_mT6_T7_P12ihipStream_tbENKUlT_T0_E_clISt17integral_constantIbLb0EES11_EEDaSW_SX_EUlSW_E_NS1_11comp_targetILNS1_3genE0ELNS1_11target_archE4294967295ELNS1_3gpuE0ELNS1_3repE0EEENS1_30default_config_static_selectorELNS0_4arch9wavefront6targetE0EEEvT1_,"axG",@progbits,_ZN7rocprim17ROCPRIM_400000_NS6detail17trampoline_kernelINS0_14default_configENS1_27scan_by_key_config_selectorIijEEZZNS1_16scan_by_key_implILNS1_25lookback_scan_determinismE0ELb1ES3_N6thrust23THRUST_200600_302600_NS6detail15normal_iteratorINS9_10device_ptrIiEEEENSB_INSC_IjEEEESG_jNS9_4plusIvEENS9_8equal_toIvEEjEE10hipError_tPvRmT2_T3_T4_T5_mT6_T7_P12ihipStream_tbENKUlT_T0_E_clISt17integral_constantIbLb0EES11_EEDaSW_SX_EUlSW_E_NS1_11comp_targetILNS1_3genE0ELNS1_11target_archE4294967295ELNS1_3gpuE0ELNS1_3repE0EEENS1_30default_config_static_selectorELNS0_4arch9wavefront6targetE0EEEvT1_,comdat
.Lfunc_end1499:
	.size	_ZN7rocprim17ROCPRIM_400000_NS6detail17trampoline_kernelINS0_14default_configENS1_27scan_by_key_config_selectorIijEEZZNS1_16scan_by_key_implILNS1_25lookback_scan_determinismE0ELb1ES3_N6thrust23THRUST_200600_302600_NS6detail15normal_iteratorINS9_10device_ptrIiEEEENSB_INSC_IjEEEESG_jNS9_4plusIvEENS9_8equal_toIvEEjEE10hipError_tPvRmT2_T3_T4_T5_mT6_T7_P12ihipStream_tbENKUlT_T0_E_clISt17integral_constantIbLb0EES11_EEDaSW_SX_EUlSW_E_NS1_11comp_targetILNS1_3genE0ELNS1_11target_archE4294967295ELNS1_3gpuE0ELNS1_3repE0EEENS1_30default_config_static_selectorELNS0_4arch9wavefront6targetE0EEEvT1_, .Lfunc_end1499-_ZN7rocprim17ROCPRIM_400000_NS6detail17trampoline_kernelINS0_14default_configENS1_27scan_by_key_config_selectorIijEEZZNS1_16scan_by_key_implILNS1_25lookback_scan_determinismE0ELb1ES3_N6thrust23THRUST_200600_302600_NS6detail15normal_iteratorINS9_10device_ptrIiEEEENSB_INSC_IjEEEESG_jNS9_4plusIvEENS9_8equal_toIvEEjEE10hipError_tPvRmT2_T3_T4_T5_mT6_T7_P12ihipStream_tbENKUlT_T0_E_clISt17integral_constantIbLb0EES11_EEDaSW_SX_EUlSW_E_NS1_11comp_targetILNS1_3genE0ELNS1_11target_archE4294967295ELNS1_3gpuE0ELNS1_3repE0EEENS1_30default_config_static_selectorELNS0_4arch9wavefront6targetE0EEEvT1_
                                        ; -- End function
	.set _ZN7rocprim17ROCPRIM_400000_NS6detail17trampoline_kernelINS0_14default_configENS1_27scan_by_key_config_selectorIijEEZZNS1_16scan_by_key_implILNS1_25lookback_scan_determinismE0ELb1ES3_N6thrust23THRUST_200600_302600_NS6detail15normal_iteratorINS9_10device_ptrIiEEEENSB_INSC_IjEEEESG_jNS9_4plusIvEENS9_8equal_toIvEEjEE10hipError_tPvRmT2_T3_T4_T5_mT6_T7_P12ihipStream_tbENKUlT_T0_E_clISt17integral_constantIbLb0EES11_EEDaSW_SX_EUlSW_E_NS1_11comp_targetILNS1_3genE0ELNS1_11target_archE4294967295ELNS1_3gpuE0ELNS1_3repE0EEENS1_30default_config_static_selectorELNS0_4arch9wavefront6targetE0EEEvT1_.num_vgpr, 0
	.set _ZN7rocprim17ROCPRIM_400000_NS6detail17trampoline_kernelINS0_14default_configENS1_27scan_by_key_config_selectorIijEEZZNS1_16scan_by_key_implILNS1_25lookback_scan_determinismE0ELb1ES3_N6thrust23THRUST_200600_302600_NS6detail15normal_iteratorINS9_10device_ptrIiEEEENSB_INSC_IjEEEESG_jNS9_4plusIvEENS9_8equal_toIvEEjEE10hipError_tPvRmT2_T3_T4_T5_mT6_T7_P12ihipStream_tbENKUlT_T0_E_clISt17integral_constantIbLb0EES11_EEDaSW_SX_EUlSW_E_NS1_11comp_targetILNS1_3genE0ELNS1_11target_archE4294967295ELNS1_3gpuE0ELNS1_3repE0EEENS1_30default_config_static_selectorELNS0_4arch9wavefront6targetE0EEEvT1_.num_agpr, 0
	.set _ZN7rocprim17ROCPRIM_400000_NS6detail17trampoline_kernelINS0_14default_configENS1_27scan_by_key_config_selectorIijEEZZNS1_16scan_by_key_implILNS1_25lookback_scan_determinismE0ELb1ES3_N6thrust23THRUST_200600_302600_NS6detail15normal_iteratorINS9_10device_ptrIiEEEENSB_INSC_IjEEEESG_jNS9_4plusIvEENS9_8equal_toIvEEjEE10hipError_tPvRmT2_T3_T4_T5_mT6_T7_P12ihipStream_tbENKUlT_T0_E_clISt17integral_constantIbLb0EES11_EEDaSW_SX_EUlSW_E_NS1_11comp_targetILNS1_3genE0ELNS1_11target_archE4294967295ELNS1_3gpuE0ELNS1_3repE0EEENS1_30default_config_static_selectorELNS0_4arch9wavefront6targetE0EEEvT1_.numbered_sgpr, 0
	.set _ZN7rocprim17ROCPRIM_400000_NS6detail17trampoline_kernelINS0_14default_configENS1_27scan_by_key_config_selectorIijEEZZNS1_16scan_by_key_implILNS1_25lookback_scan_determinismE0ELb1ES3_N6thrust23THRUST_200600_302600_NS6detail15normal_iteratorINS9_10device_ptrIiEEEENSB_INSC_IjEEEESG_jNS9_4plusIvEENS9_8equal_toIvEEjEE10hipError_tPvRmT2_T3_T4_T5_mT6_T7_P12ihipStream_tbENKUlT_T0_E_clISt17integral_constantIbLb0EES11_EEDaSW_SX_EUlSW_E_NS1_11comp_targetILNS1_3genE0ELNS1_11target_archE4294967295ELNS1_3gpuE0ELNS1_3repE0EEENS1_30default_config_static_selectorELNS0_4arch9wavefront6targetE0EEEvT1_.num_named_barrier, 0
	.set _ZN7rocprim17ROCPRIM_400000_NS6detail17trampoline_kernelINS0_14default_configENS1_27scan_by_key_config_selectorIijEEZZNS1_16scan_by_key_implILNS1_25lookback_scan_determinismE0ELb1ES3_N6thrust23THRUST_200600_302600_NS6detail15normal_iteratorINS9_10device_ptrIiEEEENSB_INSC_IjEEEESG_jNS9_4plusIvEENS9_8equal_toIvEEjEE10hipError_tPvRmT2_T3_T4_T5_mT6_T7_P12ihipStream_tbENKUlT_T0_E_clISt17integral_constantIbLb0EES11_EEDaSW_SX_EUlSW_E_NS1_11comp_targetILNS1_3genE0ELNS1_11target_archE4294967295ELNS1_3gpuE0ELNS1_3repE0EEENS1_30default_config_static_selectorELNS0_4arch9wavefront6targetE0EEEvT1_.private_seg_size, 0
	.set _ZN7rocprim17ROCPRIM_400000_NS6detail17trampoline_kernelINS0_14default_configENS1_27scan_by_key_config_selectorIijEEZZNS1_16scan_by_key_implILNS1_25lookback_scan_determinismE0ELb1ES3_N6thrust23THRUST_200600_302600_NS6detail15normal_iteratorINS9_10device_ptrIiEEEENSB_INSC_IjEEEESG_jNS9_4plusIvEENS9_8equal_toIvEEjEE10hipError_tPvRmT2_T3_T4_T5_mT6_T7_P12ihipStream_tbENKUlT_T0_E_clISt17integral_constantIbLb0EES11_EEDaSW_SX_EUlSW_E_NS1_11comp_targetILNS1_3genE0ELNS1_11target_archE4294967295ELNS1_3gpuE0ELNS1_3repE0EEENS1_30default_config_static_selectorELNS0_4arch9wavefront6targetE0EEEvT1_.uses_vcc, 0
	.set _ZN7rocprim17ROCPRIM_400000_NS6detail17trampoline_kernelINS0_14default_configENS1_27scan_by_key_config_selectorIijEEZZNS1_16scan_by_key_implILNS1_25lookback_scan_determinismE0ELb1ES3_N6thrust23THRUST_200600_302600_NS6detail15normal_iteratorINS9_10device_ptrIiEEEENSB_INSC_IjEEEESG_jNS9_4plusIvEENS9_8equal_toIvEEjEE10hipError_tPvRmT2_T3_T4_T5_mT6_T7_P12ihipStream_tbENKUlT_T0_E_clISt17integral_constantIbLb0EES11_EEDaSW_SX_EUlSW_E_NS1_11comp_targetILNS1_3genE0ELNS1_11target_archE4294967295ELNS1_3gpuE0ELNS1_3repE0EEENS1_30default_config_static_selectorELNS0_4arch9wavefront6targetE0EEEvT1_.uses_flat_scratch, 0
	.set _ZN7rocprim17ROCPRIM_400000_NS6detail17trampoline_kernelINS0_14default_configENS1_27scan_by_key_config_selectorIijEEZZNS1_16scan_by_key_implILNS1_25lookback_scan_determinismE0ELb1ES3_N6thrust23THRUST_200600_302600_NS6detail15normal_iteratorINS9_10device_ptrIiEEEENSB_INSC_IjEEEESG_jNS9_4plusIvEENS9_8equal_toIvEEjEE10hipError_tPvRmT2_T3_T4_T5_mT6_T7_P12ihipStream_tbENKUlT_T0_E_clISt17integral_constantIbLb0EES11_EEDaSW_SX_EUlSW_E_NS1_11comp_targetILNS1_3genE0ELNS1_11target_archE4294967295ELNS1_3gpuE0ELNS1_3repE0EEENS1_30default_config_static_selectorELNS0_4arch9wavefront6targetE0EEEvT1_.has_dyn_sized_stack, 0
	.set _ZN7rocprim17ROCPRIM_400000_NS6detail17trampoline_kernelINS0_14default_configENS1_27scan_by_key_config_selectorIijEEZZNS1_16scan_by_key_implILNS1_25lookback_scan_determinismE0ELb1ES3_N6thrust23THRUST_200600_302600_NS6detail15normal_iteratorINS9_10device_ptrIiEEEENSB_INSC_IjEEEESG_jNS9_4plusIvEENS9_8equal_toIvEEjEE10hipError_tPvRmT2_T3_T4_T5_mT6_T7_P12ihipStream_tbENKUlT_T0_E_clISt17integral_constantIbLb0EES11_EEDaSW_SX_EUlSW_E_NS1_11comp_targetILNS1_3genE0ELNS1_11target_archE4294967295ELNS1_3gpuE0ELNS1_3repE0EEENS1_30default_config_static_selectorELNS0_4arch9wavefront6targetE0EEEvT1_.has_recursion, 0
	.set _ZN7rocprim17ROCPRIM_400000_NS6detail17trampoline_kernelINS0_14default_configENS1_27scan_by_key_config_selectorIijEEZZNS1_16scan_by_key_implILNS1_25lookback_scan_determinismE0ELb1ES3_N6thrust23THRUST_200600_302600_NS6detail15normal_iteratorINS9_10device_ptrIiEEEENSB_INSC_IjEEEESG_jNS9_4plusIvEENS9_8equal_toIvEEjEE10hipError_tPvRmT2_T3_T4_T5_mT6_T7_P12ihipStream_tbENKUlT_T0_E_clISt17integral_constantIbLb0EES11_EEDaSW_SX_EUlSW_E_NS1_11comp_targetILNS1_3genE0ELNS1_11target_archE4294967295ELNS1_3gpuE0ELNS1_3repE0EEENS1_30default_config_static_selectorELNS0_4arch9wavefront6targetE0EEEvT1_.has_indirect_call, 0
	.section	.AMDGPU.csdata,"",@progbits
; Kernel info:
; codeLenInByte = 0
; TotalNumSgprs: 0
; NumVgprs: 0
; ScratchSize: 0
; MemoryBound: 0
; FloatMode: 240
; IeeeMode: 1
; LDSByteSize: 0 bytes/workgroup (compile time only)
; SGPRBlocks: 0
; VGPRBlocks: 0
; NumSGPRsForWavesPerEU: 1
; NumVGPRsForWavesPerEU: 1
; Occupancy: 16
; WaveLimiterHint : 0
; COMPUTE_PGM_RSRC2:SCRATCH_EN: 0
; COMPUTE_PGM_RSRC2:USER_SGPR: 6
; COMPUTE_PGM_RSRC2:TRAP_HANDLER: 0
; COMPUTE_PGM_RSRC2:TGID_X_EN: 1
; COMPUTE_PGM_RSRC2:TGID_Y_EN: 0
; COMPUTE_PGM_RSRC2:TGID_Z_EN: 0
; COMPUTE_PGM_RSRC2:TIDIG_COMP_CNT: 0
	.section	.text._ZN7rocprim17ROCPRIM_400000_NS6detail17trampoline_kernelINS0_14default_configENS1_27scan_by_key_config_selectorIijEEZZNS1_16scan_by_key_implILNS1_25lookback_scan_determinismE0ELb1ES3_N6thrust23THRUST_200600_302600_NS6detail15normal_iteratorINS9_10device_ptrIiEEEENSB_INSC_IjEEEESG_jNS9_4plusIvEENS9_8equal_toIvEEjEE10hipError_tPvRmT2_T3_T4_T5_mT6_T7_P12ihipStream_tbENKUlT_T0_E_clISt17integral_constantIbLb0EES11_EEDaSW_SX_EUlSW_E_NS1_11comp_targetILNS1_3genE10ELNS1_11target_archE1201ELNS1_3gpuE5ELNS1_3repE0EEENS1_30default_config_static_selectorELNS0_4arch9wavefront6targetE0EEEvT1_,"axG",@progbits,_ZN7rocprim17ROCPRIM_400000_NS6detail17trampoline_kernelINS0_14default_configENS1_27scan_by_key_config_selectorIijEEZZNS1_16scan_by_key_implILNS1_25lookback_scan_determinismE0ELb1ES3_N6thrust23THRUST_200600_302600_NS6detail15normal_iteratorINS9_10device_ptrIiEEEENSB_INSC_IjEEEESG_jNS9_4plusIvEENS9_8equal_toIvEEjEE10hipError_tPvRmT2_T3_T4_T5_mT6_T7_P12ihipStream_tbENKUlT_T0_E_clISt17integral_constantIbLb0EES11_EEDaSW_SX_EUlSW_E_NS1_11comp_targetILNS1_3genE10ELNS1_11target_archE1201ELNS1_3gpuE5ELNS1_3repE0EEENS1_30default_config_static_selectorELNS0_4arch9wavefront6targetE0EEEvT1_,comdat
	.protected	_ZN7rocprim17ROCPRIM_400000_NS6detail17trampoline_kernelINS0_14default_configENS1_27scan_by_key_config_selectorIijEEZZNS1_16scan_by_key_implILNS1_25lookback_scan_determinismE0ELb1ES3_N6thrust23THRUST_200600_302600_NS6detail15normal_iteratorINS9_10device_ptrIiEEEENSB_INSC_IjEEEESG_jNS9_4plusIvEENS9_8equal_toIvEEjEE10hipError_tPvRmT2_T3_T4_T5_mT6_T7_P12ihipStream_tbENKUlT_T0_E_clISt17integral_constantIbLb0EES11_EEDaSW_SX_EUlSW_E_NS1_11comp_targetILNS1_3genE10ELNS1_11target_archE1201ELNS1_3gpuE5ELNS1_3repE0EEENS1_30default_config_static_selectorELNS0_4arch9wavefront6targetE0EEEvT1_ ; -- Begin function _ZN7rocprim17ROCPRIM_400000_NS6detail17trampoline_kernelINS0_14default_configENS1_27scan_by_key_config_selectorIijEEZZNS1_16scan_by_key_implILNS1_25lookback_scan_determinismE0ELb1ES3_N6thrust23THRUST_200600_302600_NS6detail15normal_iteratorINS9_10device_ptrIiEEEENSB_INSC_IjEEEESG_jNS9_4plusIvEENS9_8equal_toIvEEjEE10hipError_tPvRmT2_T3_T4_T5_mT6_T7_P12ihipStream_tbENKUlT_T0_E_clISt17integral_constantIbLb0EES11_EEDaSW_SX_EUlSW_E_NS1_11comp_targetILNS1_3genE10ELNS1_11target_archE1201ELNS1_3gpuE5ELNS1_3repE0EEENS1_30default_config_static_selectorELNS0_4arch9wavefront6targetE0EEEvT1_
	.globl	_ZN7rocprim17ROCPRIM_400000_NS6detail17trampoline_kernelINS0_14default_configENS1_27scan_by_key_config_selectorIijEEZZNS1_16scan_by_key_implILNS1_25lookback_scan_determinismE0ELb1ES3_N6thrust23THRUST_200600_302600_NS6detail15normal_iteratorINS9_10device_ptrIiEEEENSB_INSC_IjEEEESG_jNS9_4plusIvEENS9_8equal_toIvEEjEE10hipError_tPvRmT2_T3_T4_T5_mT6_T7_P12ihipStream_tbENKUlT_T0_E_clISt17integral_constantIbLb0EES11_EEDaSW_SX_EUlSW_E_NS1_11comp_targetILNS1_3genE10ELNS1_11target_archE1201ELNS1_3gpuE5ELNS1_3repE0EEENS1_30default_config_static_selectorELNS0_4arch9wavefront6targetE0EEEvT1_
	.p2align	8
	.type	_ZN7rocprim17ROCPRIM_400000_NS6detail17trampoline_kernelINS0_14default_configENS1_27scan_by_key_config_selectorIijEEZZNS1_16scan_by_key_implILNS1_25lookback_scan_determinismE0ELb1ES3_N6thrust23THRUST_200600_302600_NS6detail15normal_iteratorINS9_10device_ptrIiEEEENSB_INSC_IjEEEESG_jNS9_4plusIvEENS9_8equal_toIvEEjEE10hipError_tPvRmT2_T3_T4_T5_mT6_T7_P12ihipStream_tbENKUlT_T0_E_clISt17integral_constantIbLb0EES11_EEDaSW_SX_EUlSW_E_NS1_11comp_targetILNS1_3genE10ELNS1_11target_archE1201ELNS1_3gpuE5ELNS1_3repE0EEENS1_30default_config_static_selectorELNS0_4arch9wavefront6targetE0EEEvT1_,@function
_ZN7rocprim17ROCPRIM_400000_NS6detail17trampoline_kernelINS0_14default_configENS1_27scan_by_key_config_selectorIijEEZZNS1_16scan_by_key_implILNS1_25lookback_scan_determinismE0ELb1ES3_N6thrust23THRUST_200600_302600_NS6detail15normal_iteratorINS9_10device_ptrIiEEEENSB_INSC_IjEEEESG_jNS9_4plusIvEENS9_8equal_toIvEEjEE10hipError_tPvRmT2_T3_T4_T5_mT6_T7_P12ihipStream_tbENKUlT_T0_E_clISt17integral_constantIbLb0EES11_EEDaSW_SX_EUlSW_E_NS1_11comp_targetILNS1_3genE10ELNS1_11target_archE1201ELNS1_3gpuE5ELNS1_3repE0EEENS1_30default_config_static_selectorELNS0_4arch9wavefront6targetE0EEEvT1_: ; @_ZN7rocprim17ROCPRIM_400000_NS6detail17trampoline_kernelINS0_14default_configENS1_27scan_by_key_config_selectorIijEEZZNS1_16scan_by_key_implILNS1_25lookback_scan_determinismE0ELb1ES3_N6thrust23THRUST_200600_302600_NS6detail15normal_iteratorINS9_10device_ptrIiEEEENSB_INSC_IjEEEESG_jNS9_4plusIvEENS9_8equal_toIvEEjEE10hipError_tPvRmT2_T3_T4_T5_mT6_T7_P12ihipStream_tbENKUlT_T0_E_clISt17integral_constantIbLb0EES11_EEDaSW_SX_EUlSW_E_NS1_11comp_targetILNS1_3genE10ELNS1_11target_archE1201ELNS1_3gpuE5ELNS1_3repE0EEENS1_30default_config_static_selectorELNS0_4arch9wavefront6targetE0EEEvT1_
; %bb.0:
	.section	.rodata,"a",@progbits
	.p2align	6, 0x0
	.amdhsa_kernel _ZN7rocprim17ROCPRIM_400000_NS6detail17trampoline_kernelINS0_14default_configENS1_27scan_by_key_config_selectorIijEEZZNS1_16scan_by_key_implILNS1_25lookback_scan_determinismE0ELb1ES3_N6thrust23THRUST_200600_302600_NS6detail15normal_iteratorINS9_10device_ptrIiEEEENSB_INSC_IjEEEESG_jNS9_4plusIvEENS9_8equal_toIvEEjEE10hipError_tPvRmT2_T3_T4_T5_mT6_T7_P12ihipStream_tbENKUlT_T0_E_clISt17integral_constantIbLb0EES11_EEDaSW_SX_EUlSW_E_NS1_11comp_targetILNS1_3genE10ELNS1_11target_archE1201ELNS1_3gpuE5ELNS1_3repE0EEENS1_30default_config_static_selectorELNS0_4arch9wavefront6targetE0EEEvT1_
		.amdhsa_group_segment_fixed_size 0
		.amdhsa_private_segment_fixed_size 0
		.amdhsa_kernarg_size 112
		.amdhsa_user_sgpr_count 6
		.amdhsa_user_sgpr_private_segment_buffer 1
		.amdhsa_user_sgpr_dispatch_ptr 0
		.amdhsa_user_sgpr_queue_ptr 0
		.amdhsa_user_sgpr_kernarg_segment_ptr 1
		.amdhsa_user_sgpr_dispatch_id 0
		.amdhsa_user_sgpr_flat_scratch_init 0
		.amdhsa_user_sgpr_private_segment_size 0
		.amdhsa_wavefront_size32 1
		.amdhsa_uses_dynamic_stack 0
		.amdhsa_system_sgpr_private_segment_wavefront_offset 0
		.amdhsa_system_sgpr_workgroup_id_x 1
		.amdhsa_system_sgpr_workgroup_id_y 0
		.amdhsa_system_sgpr_workgroup_id_z 0
		.amdhsa_system_sgpr_workgroup_info 0
		.amdhsa_system_vgpr_workitem_id 0
		.amdhsa_next_free_vgpr 1
		.amdhsa_next_free_sgpr 1
		.amdhsa_reserve_vcc 0
		.amdhsa_reserve_flat_scratch 0
		.amdhsa_float_round_mode_32 0
		.amdhsa_float_round_mode_16_64 0
		.amdhsa_float_denorm_mode_32 3
		.amdhsa_float_denorm_mode_16_64 3
		.amdhsa_dx10_clamp 1
		.amdhsa_ieee_mode 1
		.amdhsa_fp16_overflow 0
		.amdhsa_workgroup_processor_mode 1
		.amdhsa_memory_ordered 1
		.amdhsa_forward_progress 1
		.amdhsa_shared_vgpr_count 0
		.amdhsa_exception_fp_ieee_invalid_op 0
		.amdhsa_exception_fp_denorm_src 0
		.amdhsa_exception_fp_ieee_div_zero 0
		.amdhsa_exception_fp_ieee_overflow 0
		.amdhsa_exception_fp_ieee_underflow 0
		.amdhsa_exception_fp_ieee_inexact 0
		.amdhsa_exception_int_div_zero 0
	.end_amdhsa_kernel
	.section	.text._ZN7rocprim17ROCPRIM_400000_NS6detail17trampoline_kernelINS0_14default_configENS1_27scan_by_key_config_selectorIijEEZZNS1_16scan_by_key_implILNS1_25lookback_scan_determinismE0ELb1ES3_N6thrust23THRUST_200600_302600_NS6detail15normal_iteratorINS9_10device_ptrIiEEEENSB_INSC_IjEEEESG_jNS9_4plusIvEENS9_8equal_toIvEEjEE10hipError_tPvRmT2_T3_T4_T5_mT6_T7_P12ihipStream_tbENKUlT_T0_E_clISt17integral_constantIbLb0EES11_EEDaSW_SX_EUlSW_E_NS1_11comp_targetILNS1_3genE10ELNS1_11target_archE1201ELNS1_3gpuE5ELNS1_3repE0EEENS1_30default_config_static_selectorELNS0_4arch9wavefront6targetE0EEEvT1_,"axG",@progbits,_ZN7rocprim17ROCPRIM_400000_NS6detail17trampoline_kernelINS0_14default_configENS1_27scan_by_key_config_selectorIijEEZZNS1_16scan_by_key_implILNS1_25lookback_scan_determinismE0ELb1ES3_N6thrust23THRUST_200600_302600_NS6detail15normal_iteratorINS9_10device_ptrIiEEEENSB_INSC_IjEEEESG_jNS9_4plusIvEENS9_8equal_toIvEEjEE10hipError_tPvRmT2_T3_T4_T5_mT6_T7_P12ihipStream_tbENKUlT_T0_E_clISt17integral_constantIbLb0EES11_EEDaSW_SX_EUlSW_E_NS1_11comp_targetILNS1_3genE10ELNS1_11target_archE1201ELNS1_3gpuE5ELNS1_3repE0EEENS1_30default_config_static_selectorELNS0_4arch9wavefront6targetE0EEEvT1_,comdat
.Lfunc_end1500:
	.size	_ZN7rocprim17ROCPRIM_400000_NS6detail17trampoline_kernelINS0_14default_configENS1_27scan_by_key_config_selectorIijEEZZNS1_16scan_by_key_implILNS1_25lookback_scan_determinismE0ELb1ES3_N6thrust23THRUST_200600_302600_NS6detail15normal_iteratorINS9_10device_ptrIiEEEENSB_INSC_IjEEEESG_jNS9_4plusIvEENS9_8equal_toIvEEjEE10hipError_tPvRmT2_T3_T4_T5_mT6_T7_P12ihipStream_tbENKUlT_T0_E_clISt17integral_constantIbLb0EES11_EEDaSW_SX_EUlSW_E_NS1_11comp_targetILNS1_3genE10ELNS1_11target_archE1201ELNS1_3gpuE5ELNS1_3repE0EEENS1_30default_config_static_selectorELNS0_4arch9wavefront6targetE0EEEvT1_, .Lfunc_end1500-_ZN7rocprim17ROCPRIM_400000_NS6detail17trampoline_kernelINS0_14default_configENS1_27scan_by_key_config_selectorIijEEZZNS1_16scan_by_key_implILNS1_25lookback_scan_determinismE0ELb1ES3_N6thrust23THRUST_200600_302600_NS6detail15normal_iteratorINS9_10device_ptrIiEEEENSB_INSC_IjEEEESG_jNS9_4plusIvEENS9_8equal_toIvEEjEE10hipError_tPvRmT2_T3_T4_T5_mT6_T7_P12ihipStream_tbENKUlT_T0_E_clISt17integral_constantIbLb0EES11_EEDaSW_SX_EUlSW_E_NS1_11comp_targetILNS1_3genE10ELNS1_11target_archE1201ELNS1_3gpuE5ELNS1_3repE0EEENS1_30default_config_static_selectorELNS0_4arch9wavefront6targetE0EEEvT1_
                                        ; -- End function
	.set _ZN7rocprim17ROCPRIM_400000_NS6detail17trampoline_kernelINS0_14default_configENS1_27scan_by_key_config_selectorIijEEZZNS1_16scan_by_key_implILNS1_25lookback_scan_determinismE0ELb1ES3_N6thrust23THRUST_200600_302600_NS6detail15normal_iteratorINS9_10device_ptrIiEEEENSB_INSC_IjEEEESG_jNS9_4plusIvEENS9_8equal_toIvEEjEE10hipError_tPvRmT2_T3_T4_T5_mT6_T7_P12ihipStream_tbENKUlT_T0_E_clISt17integral_constantIbLb0EES11_EEDaSW_SX_EUlSW_E_NS1_11comp_targetILNS1_3genE10ELNS1_11target_archE1201ELNS1_3gpuE5ELNS1_3repE0EEENS1_30default_config_static_selectorELNS0_4arch9wavefront6targetE0EEEvT1_.num_vgpr, 0
	.set _ZN7rocprim17ROCPRIM_400000_NS6detail17trampoline_kernelINS0_14default_configENS1_27scan_by_key_config_selectorIijEEZZNS1_16scan_by_key_implILNS1_25lookback_scan_determinismE0ELb1ES3_N6thrust23THRUST_200600_302600_NS6detail15normal_iteratorINS9_10device_ptrIiEEEENSB_INSC_IjEEEESG_jNS9_4plusIvEENS9_8equal_toIvEEjEE10hipError_tPvRmT2_T3_T4_T5_mT6_T7_P12ihipStream_tbENKUlT_T0_E_clISt17integral_constantIbLb0EES11_EEDaSW_SX_EUlSW_E_NS1_11comp_targetILNS1_3genE10ELNS1_11target_archE1201ELNS1_3gpuE5ELNS1_3repE0EEENS1_30default_config_static_selectorELNS0_4arch9wavefront6targetE0EEEvT1_.num_agpr, 0
	.set _ZN7rocprim17ROCPRIM_400000_NS6detail17trampoline_kernelINS0_14default_configENS1_27scan_by_key_config_selectorIijEEZZNS1_16scan_by_key_implILNS1_25lookback_scan_determinismE0ELb1ES3_N6thrust23THRUST_200600_302600_NS6detail15normal_iteratorINS9_10device_ptrIiEEEENSB_INSC_IjEEEESG_jNS9_4plusIvEENS9_8equal_toIvEEjEE10hipError_tPvRmT2_T3_T4_T5_mT6_T7_P12ihipStream_tbENKUlT_T0_E_clISt17integral_constantIbLb0EES11_EEDaSW_SX_EUlSW_E_NS1_11comp_targetILNS1_3genE10ELNS1_11target_archE1201ELNS1_3gpuE5ELNS1_3repE0EEENS1_30default_config_static_selectorELNS0_4arch9wavefront6targetE0EEEvT1_.numbered_sgpr, 0
	.set _ZN7rocprim17ROCPRIM_400000_NS6detail17trampoline_kernelINS0_14default_configENS1_27scan_by_key_config_selectorIijEEZZNS1_16scan_by_key_implILNS1_25lookback_scan_determinismE0ELb1ES3_N6thrust23THRUST_200600_302600_NS6detail15normal_iteratorINS9_10device_ptrIiEEEENSB_INSC_IjEEEESG_jNS9_4plusIvEENS9_8equal_toIvEEjEE10hipError_tPvRmT2_T3_T4_T5_mT6_T7_P12ihipStream_tbENKUlT_T0_E_clISt17integral_constantIbLb0EES11_EEDaSW_SX_EUlSW_E_NS1_11comp_targetILNS1_3genE10ELNS1_11target_archE1201ELNS1_3gpuE5ELNS1_3repE0EEENS1_30default_config_static_selectorELNS0_4arch9wavefront6targetE0EEEvT1_.num_named_barrier, 0
	.set _ZN7rocprim17ROCPRIM_400000_NS6detail17trampoline_kernelINS0_14default_configENS1_27scan_by_key_config_selectorIijEEZZNS1_16scan_by_key_implILNS1_25lookback_scan_determinismE0ELb1ES3_N6thrust23THRUST_200600_302600_NS6detail15normal_iteratorINS9_10device_ptrIiEEEENSB_INSC_IjEEEESG_jNS9_4plusIvEENS9_8equal_toIvEEjEE10hipError_tPvRmT2_T3_T4_T5_mT6_T7_P12ihipStream_tbENKUlT_T0_E_clISt17integral_constantIbLb0EES11_EEDaSW_SX_EUlSW_E_NS1_11comp_targetILNS1_3genE10ELNS1_11target_archE1201ELNS1_3gpuE5ELNS1_3repE0EEENS1_30default_config_static_selectorELNS0_4arch9wavefront6targetE0EEEvT1_.private_seg_size, 0
	.set _ZN7rocprim17ROCPRIM_400000_NS6detail17trampoline_kernelINS0_14default_configENS1_27scan_by_key_config_selectorIijEEZZNS1_16scan_by_key_implILNS1_25lookback_scan_determinismE0ELb1ES3_N6thrust23THRUST_200600_302600_NS6detail15normal_iteratorINS9_10device_ptrIiEEEENSB_INSC_IjEEEESG_jNS9_4plusIvEENS9_8equal_toIvEEjEE10hipError_tPvRmT2_T3_T4_T5_mT6_T7_P12ihipStream_tbENKUlT_T0_E_clISt17integral_constantIbLb0EES11_EEDaSW_SX_EUlSW_E_NS1_11comp_targetILNS1_3genE10ELNS1_11target_archE1201ELNS1_3gpuE5ELNS1_3repE0EEENS1_30default_config_static_selectorELNS0_4arch9wavefront6targetE0EEEvT1_.uses_vcc, 0
	.set _ZN7rocprim17ROCPRIM_400000_NS6detail17trampoline_kernelINS0_14default_configENS1_27scan_by_key_config_selectorIijEEZZNS1_16scan_by_key_implILNS1_25lookback_scan_determinismE0ELb1ES3_N6thrust23THRUST_200600_302600_NS6detail15normal_iteratorINS9_10device_ptrIiEEEENSB_INSC_IjEEEESG_jNS9_4plusIvEENS9_8equal_toIvEEjEE10hipError_tPvRmT2_T3_T4_T5_mT6_T7_P12ihipStream_tbENKUlT_T0_E_clISt17integral_constantIbLb0EES11_EEDaSW_SX_EUlSW_E_NS1_11comp_targetILNS1_3genE10ELNS1_11target_archE1201ELNS1_3gpuE5ELNS1_3repE0EEENS1_30default_config_static_selectorELNS0_4arch9wavefront6targetE0EEEvT1_.uses_flat_scratch, 0
	.set _ZN7rocprim17ROCPRIM_400000_NS6detail17trampoline_kernelINS0_14default_configENS1_27scan_by_key_config_selectorIijEEZZNS1_16scan_by_key_implILNS1_25lookback_scan_determinismE0ELb1ES3_N6thrust23THRUST_200600_302600_NS6detail15normal_iteratorINS9_10device_ptrIiEEEENSB_INSC_IjEEEESG_jNS9_4plusIvEENS9_8equal_toIvEEjEE10hipError_tPvRmT2_T3_T4_T5_mT6_T7_P12ihipStream_tbENKUlT_T0_E_clISt17integral_constantIbLb0EES11_EEDaSW_SX_EUlSW_E_NS1_11comp_targetILNS1_3genE10ELNS1_11target_archE1201ELNS1_3gpuE5ELNS1_3repE0EEENS1_30default_config_static_selectorELNS0_4arch9wavefront6targetE0EEEvT1_.has_dyn_sized_stack, 0
	.set _ZN7rocprim17ROCPRIM_400000_NS6detail17trampoline_kernelINS0_14default_configENS1_27scan_by_key_config_selectorIijEEZZNS1_16scan_by_key_implILNS1_25lookback_scan_determinismE0ELb1ES3_N6thrust23THRUST_200600_302600_NS6detail15normal_iteratorINS9_10device_ptrIiEEEENSB_INSC_IjEEEESG_jNS9_4plusIvEENS9_8equal_toIvEEjEE10hipError_tPvRmT2_T3_T4_T5_mT6_T7_P12ihipStream_tbENKUlT_T0_E_clISt17integral_constantIbLb0EES11_EEDaSW_SX_EUlSW_E_NS1_11comp_targetILNS1_3genE10ELNS1_11target_archE1201ELNS1_3gpuE5ELNS1_3repE0EEENS1_30default_config_static_selectorELNS0_4arch9wavefront6targetE0EEEvT1_.has_recursion, 0
	.set _ZN7rocprim17ROCPRIM_400000_NS6detail17trampoline_kernelINS0_14default_configENS1_27scan_by_key_config_selectorIijEEZZNS1_16scan_by_key_implILNS1_25lookback_scan_determinismE0ELb1ES3_N6thrust23THRUST_200600_302600_NS6detail15normal_iteratorINS9_10device_ptrIiEEEENSB_INSC_IjEEEESG_jNS9_4plusIvEENS9_8equal_toIvEEjEE10hipError_tPvRmT2_T3_T4_T5_mT6_T7_P12ihipStream_tbENKUlT_T0_E_clISt17integral_constantIbLb0EES11_EEDaSW_SX_EUlSW_E_NS1_11comp_targetILNS1_3genE10ELNS1_11target_archE1201ELNS1_3gpuE5ELNS1_3repE0EEENS1_30default_config_static_selectorELNS0_4arch9wavefront6targetE0EEEvT1_.has_indirect_call, 0
	.section	.AMDGPU.csdata,"",@progbits
; Kernel info:
; codeLenInByte = 0
; TotalNumSgprs: 0
; NumVgprs: 0
; ScratchSize: 0
; MemoryBound: 0
; FloatMode: 240
; IeeeMode: 1
; LDSByteSize: 0 bytes/workgroup (compile time only)
; SGPRBlocks: 0
; VGPRBlocks: 0
; NumSGPRsForWavesPerEU: 1
; NumVGPRsForWavesPerEU: 1
; Occupancy: 16
; WaveLimiterHint : 0
; COMPUTE_PGM_RSRC2:SCRATCH_EN: 0
; COMPUTE_PGM_RSRC2:USER_SGPR: 6
; COMPUTE_PGM_RSRC2:TRAP_HANDLER: 0
; COMPUTE_PGM_RSRC2:TGID_X_EN: 1
; COMPUTE_PGM_RSRC2:TGID_Y_EN: 0
; COMPUTE_PGM_RSRC2:TGID_Z_EN: 0
; COMPUTE_PGM_RSRC2:TIDIG_COMP_CNT: 0
	.section	.text._ZN7rocprim17ROCPRIM_400000_NS6detail17trampoline_kernelINS0_14default_configENS1_27scan_by_key_config_selectorIijEEZZNS1_16scan_by_key_implILNS1_25lookback_scan_determinismE0ELb1ES3_N6thrust23THRUST_200600_302600_NS6detail15normal_iteratorINS9_10device_ptrIiEEEENSB_INSC_IjEEEESG_jNS9_4plusIvEENS9_8equal_toIvEEjEE10hipError_tPvRmT2_T3_T4_T5_mT6_T7_P12ihipStream_tbENKUlT_T0_E_clISt17integral_constantIbLb0EES11_EEDaSW_SX_EUlSW_E_NS1_11comp_targetILNS1_3genE5ELNS1_11target_archE942ELNS1_3gpuE9ELNS1_3repE0EEENS1_30default_config_static_selectorELNS0_4arch9wavefront6targetE0EEEvT1_,"axG",@progbits,_ZN7rocprim17ROCPRIM_400000_NS6detail17trampoline_kernelINS0_14default_configENS1_27scan_by_key_config_selectorIijEEZZNS1_16scan_by_key_implILNS1_25lookback_scan_determinismE0ELb1ES3_N6thrust23THRUST_200600_302600_NS6detail15normal_iteratorINS9_10device_ptrIiEEEENSB_INSC_IjEEEESG_jNS9_4plusIvEENS9_8equal_toIvEEjEE10hipError_tPvRmT2_T3_T4_T5_mT6_T7_P12ihipStream_tbENKUlT_T0_E_clISt17integral_constantIbLb0EES11_EEDaSW_SX_EUlSW_E_NS1_11comp_targetILNS1_3genE5ELNS1_11target_archE942ELNS1_3gpuE9ELNS1_3repE0EEENS1_30default_config_static_selectorELNS0_4arch9wavefront6targetE0EEEvT1_,comdat
	.protected	_ZN7rocprim17ROCPRIM_400000_NS6detail17trampoline_kernelINS0_14default_configENS1_27scan_by_key_config_selectorIijEEZZNS1_16scan_by_key_implILNS1_25lookback_scan_determinismE0ELb1ES3_N6thrust23THRUST_200600_302600_NS6detail15normal_iteratorINS9_10device_ptrIiEEEENSB_INSC_IjEEEESG_jNS9_4plusIvEENS9_8equal_toIvEEjEE10hipError_tPvRmT2_T3_T4_T5_mT6_T7_P12ihipStream_tbENKUlT_T0_E_clISt17integral_constantIbLb0EES11_EEDaSW_SX_EUlSW_E_NS1_11comp_targetILNS1_3genE5ELNS1_11target_archE942ELNS1_3gpuE9ELNS1_3repE0EEENS1_30default_config_static_selectorELNS0_4arch9wavefront6targetE0EEEvT1_ ; -- Begin function _ZN7rocprim17ROCPRIM_400000_NS6detail17trampoline_kernelINS0_14default_configENS1_27scan_by_key_config_selectorIijEEZZNS1_16scan_by_key_implILNS1_25lookback_scan_determinismE0ELb1ES3_N6thrust23THRUST_200600_302600_NS6detail15normal_iteratorINS9_10device_ptrIiEEEENSB_INSC_IjEEEESG_jNS9_4plusIvEENS9_8equal_toIvEEjEE10hipError_tPvRmT2_T3_T4_T5_mT6_T7_P12ihipStream_tbENKUlT_T0_E_clISt17integral_constantIbLb0EES11_EEDaSW_SX_EUlSW_E_NS1_11comp_targetILNS1_3genE5ELNS1_11target_archE942ELNS1_3gpuE9ELNS1_3repE0EEENS1_30default_config_static_selectorELNS0_4arch9wavefront6targetE0EEEvT1_
	.globl	_ZN7rocprim17ROCPRIM_400000_NS6detail17trampoline_kernelINS0_14default_configENS1_27scan_by_key_config_selectorIijEEZZNS1_16scan_by_key_implILNS1_25lookback_scan_determinismE0ELb1ES3_N6thrust23THRUST_200600_302600_NS6detail15normal_iteratorINS9_10device_ptrIiEEEENSB_INSC_IjEEEESG_jNS9_4plusIvEENS9_8equal_toIvEEjEE10hipError_tPvRmT2_T3_T4_T5_mT6_T7_P12ihipStream_tbENKUlT_T0_E_clISt17integral_constantIbLb0EES11_EEDaSW_SX_EUlSW_E_NS1_11comp_targetILNS1_3genE5ELNS1_11target_archE942ELNS1_3gpuE9ELNS1_3repE0EEENS1_30default_config_static_selectorELNS0_4arch9wavefront6targetE0EEEvT1_
	.p2align	8
	.type	_ZN7rocprim17ROCPRIM_400000_NS6detail17trampoline_kernelINS0_14default_configENS1_27scan_by_key_config_selectorIijEEZZNS1_16scan_by_key_implILNS1_25lookback_scan_determinismE0ELb1ES3_N6thrust23THRUST_200600_302600_NS6detail15normal_iteratorINS9_10device_ptrIiEEEENSB_INSC_IjEEEESG_jNS9_4plusIvEENS9_8equal_toIvEEjEE10hipError_tPvRmT2_T3_T4_T5_mT6_T7_P12ihipStream_tbENKUlT_T0_E_clISt17integral_constantIbLb0EES11_EEDaSW_SX_EUlSW_E_NS1_11comp_targetILNS1_3genE5ELNS1_11target_archE942ELNS1_3gpuE9ELNS1_3repE0EEENS1_30default_config_static_selectorELNS0_4arch9wavefront6targetE0EEEvT1_,@function
_ZN7rocprim17ROCPRIM_400000_NS6detail17trampoline_kernelINS0_14default_configENS1_27scan_by_key_config_selectorIijEEZZNS1_16scan_by_key_implILNS1_25lookback_scan_determinismE0ELb1ES3_N6thrust23THRUST_200600_302600_NS6detail15normal_iteratorINS9_10device_ptrIiEEEENSB_INSC_IjEEEESG_jNS9_4plusIvEENS9_8equal_toIvEEjEE10hipError_tPvRmT2_T3_T4_T5_mT6_T7_P12ihipStream_tbENKUlT_T0_E_clISt17integral_constantIbLb0EES11_EEDaSW_SX_EUlSW_E_NS1_11comp_targetILNS1_3genE5ELNS1_11target_archE942ELNS1_3gpuE9ELNS1_3repE0EEENS1_30default_config_static_selectorELNS0_4arch9wavefront6targetE0EEEvT1_: ; @_ZN7rocprim17ROCPRIM_400000_NS6detail17trampoline_kernelINS0_14default_configENS1_27scan_by_key_config_selectorIijEEZZNS1_16scan_by_key_implILNS1_25lookback_scan_determinismE0ELb1ES3_N6thrust23THRUST_200600_302600_NS6detail15normal_iteratorINS9_10device_ptrIiEEEENSB_INSC_IjEEEESG_jNS9_4plusIvEENS9_8equal_toIvEEjEE10hipError_tPvRmT2_T3_T4_T5_mT6_T7_P12ihipStream_tbENKUlT_T0_E_clISt17integral_constantIbLb0EES11_EEDaSW_SX_EUlSW_E_NS1_11comp_targetILNS1_3genE5ELNS1_11target_archE942ELNS1_3gpuE9ELNS1_3repE0EEENS1_30default_config_static_selectorELNS0_4arch9wavefront6targetE0EEEvT1_
; %bb.0:
	.section	.rodata,"a",@progbits
	.p2align	6, 0x0
	.amdhsa_kernel _ZN7rocprim17ROCPRIM_400000_NS6detail17trampoline_kernelINS0_14default_configENS1_27scan_by_key_config_selectorIijEEZZNS1_16scan_by_key_implILNS1_25lookback_scan_determinismE0ELb1ES3_N6thrust23THRUST_200600_302600_NS6detail15normal_iteratorINS9_10device_ptrIiEEEENSB_INSC_IjEEEESG_jNS9_4plusIvEENS9_8equal_toIvEEjEE10hipError_tPvRmT2_T3_T4_T5_mT6_T7_P12ihipStream_tbENKUlT_T0_E_clISt17integral_constantIbLb0EES11_EEDaSW_SX_EUlSW_E_NS1_11comp_targetILNS1_3genE5ELNS1_11target_archE942ELNS1_3gpuE9ELNS1_3repE0EEENS1_30default_config_static_selectorELNS0_4arch9wavefront6targetE0EEEvT1_
		.amdhsa_group_segment_fixed_size 0
		.amdhsa_private_segment_fixed_size 0
		.amdhsa_kernarg_size 112
		.amdhsa_user_sgpr_count 6
		.amdhsa_user_sgpr_private_segment_buffer 1
		.amdhsa_user_sgpr_dispatch_ptr 0
		.amdhsa_user_sgpr_queue_ptr 0
		.amdhsa_user_sgpr_kernarg_segment_ptr 1
		.amdhsa_user_sgpr_dispatch_id 0
		.amdhsa_user_sgpr_flat_scratch_init 0
		.amdhsa_user_sgpr_private_segment_size 0
		.amdhsa_wavefront_size32 1
		.amdhsa_uses_dynamic_stack 0
		.amdhsa_system_sgpr_private_segment_wavefront_offset 0
		.amdhsa_system_sgpr_workgroup_id_x 1
		.amdhsa_system_sgpr_workgroup_id_y 0
		.amdhsa_system_sgpr_workgroup_id_z 0
		.amdhsa_system_sgpr_workgroup_info 0
		.amdhsa_system_vgpr_workitem_id 0
		.amdhsa_next_free_vgpr 1
		.amdhsa_next_free_sgpr 1
		.amdhsa_reserve_vcc 0
		.amdhsa_reserve_flat_scratch 0
		.amdhsa_float_round_mode_32 0
		.amdhsa_float_round_mode_16_64 0
		.amdhsa_float_denorm_mode_32 3
		.amdhsa_float_denorm_mode_16_64 3
		.amdhsa_dx10_clamp 1
		.amdhsa_ieee_mode 1
		.amdhsa_fp16_overflow 0
		.amdhsa_workgroup_processor_mode 1
		.amdhsa_memory_ordered 1
		.amdhsa_forward_progress 1
		.amdhsa_shared_vgpr_count 0
		.amdhsa_exception_fp_ieee_invalid_op 0
		.amdhsa_exception_fp_denorm_src 0
		.amdhsa_exception_fp_ieee_div_zero 0
		.amdhsa_exception_fp_ieee_overflow 0
		.amdhsa_exception_fp_ieee_underflow 0
		.amdhsa_exception_fp_ieee_inexact 0
		.amdhsa_exception_int_div_zero 0
	.end_amdhsa_kernel
	.section	.text._ZN7rocprim17ROCPRIM_400000_NS6detail17trampoline_kernelINS0_14default_configENS1_27scan_by_key_config_selectorIijEEZZNS1_16scan_by_key_implILNS1_25lookback_scan_determinismE0ELb1ES3_N6thrust23THRUST_200600_302600_NS6detail15normal_iteratorINS9_10device_ptrIiEEEENSB_INSC_IjEEEESG_jNS9_4plusIvEENS9_8equal_toIvEEjEE10hipError_tPvRmT2_T3_T4_T5_mT6_T7_P12ihipStream_tbENKUlT_T0_E_clISt17integral_constantIbLb0EES11_EEDaSW_SX_EUlSW_E_NS1_11comp_targetILNS1_3genE5ELNS1_11target_archE942ELNS1_3gpuE9ELNS1_3repE0EEENS1_30default_config_static_selectorELNS0_4arch9wavefront6targetE0EEEvT1_,"axG",@progbits,_ZN7rocprim17ROCPRIM_400000_NS6detail17trampoline_kernelINS0_14default_configENS1_27scan_by_key_config_selectorIijEEZZNS1_16scan_by_key_implILNS1_25lookback_scan_determinismE0ELb1ES3_N6thrust23THRUST_200600_302600_NS6detail15normal_iteratorINS9_10device_ptrIiEEEENSB_INSC_IjEEEESG_jNS9_4plusIvEENS9_8equal_toIvEEjEE10hipError_tPvRmT2_T3_T4_T5_mT6_T7_P12ihipStream_tbENKUlT_T0_E_clISt17integral_constantIbLb0EES11_EEDaSW_SX_EUlSW_E_NS1_11comp_targetILNS1_3genE5ELNS1_11target_archE942ELNS1_3gpuE9ELNS1_3repE0EEENS1_30default_config_static_selectorELNS0_4arch9wavefront6targetE0EEEvT1_,comdat
.Lfunc_end1501:
	.size	_ZN7rocprim17ROCPRIM_400000_NS6detail17trampoline_kernelINS0_14default_configENS1_27scan_by_key_config_selectorIijEEZZNS1_16scan_by_key_implILNS1_25lookback_scan_determinismE0ELb1ES3_N6thrust23THRUST_200600_302600_NS6detail15normal_iteratorINS9_10device_ptrIiEEEENSB_INSC_IjEEEESG_jNS9_4plusIvEENS9_8equal_toIvEEjEE10hipError_tPvRmT2_T3_T4_T5_mT6_T7_P12ihipStream_tbENKUlT_T0_E_clISt17integral_constantIbLb0EES11_EEDaSW_SX_EUlSW_E_NS1_11comp_targetILNS1_3genE5ELNS1_11target_archE942ELNS1_3gpuE9ELNS1_3repE0EEENS1_30default_config_static_selectorELNS0_4arch9wavefront6targetE0EEEvT1_, .Lfunc_end1501-_ZN7rocprim17ROCPRIM_400000_NS6detail17trampoline_kernelINS0_14default_configENS1_27scan_by_key_config_selectorIijEEZZNS1_16scan_by_key_implILNS1_25lookback_scan_determinismE0ELb1ES3_N6thrust23THRUST_200600_302600_NS6detail15normal_iteratorINS9_10device_ptrIiEEEENSB_INSC_IjEEEESG_jNS9_4plusIvEENS9_8equal_toIvEEjEE10hipError_tPvRmT2_T3_T4_T5_mT6_T7_P12ihipStream_tbENKUlT_T0_E_clISt17integral_constantIbLb0EES11_EEDaSW_SX_EUlSW_E_NS1_11comp_targetILNS1_3genE5ELNS1_11target_archE942ELNS1_3gpuE9ELNS1_3repE0EEENS1_30default_config_static_selectorELNS0_4arch9wavefront6targetE0EEEvT1_
                                        ; -- End function
	.set _ZN7rocprim17ROCPRIM_400000_NS6detail17trampoline_kernelINS0_14default_configENS1_27scan_by_key_config_selectorIijEEZZNS1_16scan_by_key_implILNS1_25lookback_scan_determinismE0ELb1ES3_N6thrust23THRUST_200600_302600_NS6detail15normal_iteratorINS9_10device_ptrIiEEEENSB_INSC_IjEEEESG_jNS9_4plusIvEENS9_8equal_toIvEEjEE10hipError_tPvRmT2_T3_T4_T5_mT6_T7_P12ihipStream_tbENKUlT_T0_E_clISt17integral_constantIbLb0EES11_EEDaSW_SX_EUlSW_E_NS1_11comp_targetILNS1_3genE5ELNS1_11target_archE942ELNS1_3gpuE9ELNS1_3repE0EEENS1_30default_config_static_selectorELNS0_4arch9wavefront6targetE0EEEvT1_.num_vgpr, 0
	.set _ZN7rocprim17ROCPRIM_400000_NS6detail17trampoline_kernelINS0_14default_configENS1_27scan_by_key_config_selectorIijEEZZNS1_16scan_by_key_implILNS1_25lookback_scan_determinismE0ELb1ES3_N6thrust23THRUST_200600_302600_NS6detail15normal_iteratorINS9_10device_ptrIiEEEENSB_INSC_IjEEEESG_jNS9_4plusIvEENS9_8equal_toIvEEjEE10hipError_tPvRmT2_T3_T4_T5_mT6_T7_P12ihipStream_tbENKUlT_T0_E_clISt17integral_constantIbLb0EES11_EEDaSW_SX_EUlSW_E_NS1_11comp_targetILNS1_3genE5ELNS1_11target_archE942ELNS1_3gpuE9ELNS1_3repE0EEENS1_30default_config_static_selectorELNS0_4arch9wavefront6targetE0EEEvT1_.num_agpr, 0
	.set _ZN7rocprim17ROCPRIM_400000_NS6detail17trampoline_kernelINS0_14default_configENS1_27scan_by_key_config_selectorIijEEZZNS1_16scan_by_key_implILNS1_25lookback_scan_determinismE0ELb1ES3_N6thrust23THRUST_200600_302600_NS6detail15normal_iteratorINS9_10device_ptrIiEEEENSB_INSC_IjEEEESG_jNS9_4plusIvEENS9_8equal_toIvEEjEE10hipError_tPvRmT2_T3_T4_T5_mT6_T7_P12ihipStream_tbENKUlT_T0_E_clISt17integral_constantIbLb0EES11_EEDaSW_SX_EUlSW_E_NS1_11comp_targetILNS1_3genE5ELNS1_11target_archE942ELNS1_3gpuE9ELNS1_3repE0EEENS1_30default_config_static_selectorELNS0_4arch9wavefront6targetE0EEEvT1_.numbered_sgpr, 0
	.set _ZN7rocprim17ROCPRIM_400000_NS6detail17trampoline_kernelINS0_14default_configENS1_27scan_by_key_config_selectorIijEEZZNS1_16scan_by_key_implILNS1_25lookback_scan_determinismE0ELb1ES3_N6thrust23THRUST_200600_302600_NS6detail15normal_iteratorINS9_10device_ptrIiEEEENSB_INSC_IjEEEESG_jNS9_4plusIvEENS9_8equal_toIvEEjEE10hipError_tPvRmT2_T3_T4_T5_mT6_T7_P12ihipStream_tbENKUlT_T0_E_clISt17integral_constantIbLb0EES11_EEDaSW_SX_EUlSW_E_NS1_11comp_targetILNS1_3genE5ELNS1_11target_archE942ELNS1_3gpuE9ELNS1_3repE0EEENS1_30default_config_static_selectorELNS0_4arch9wavefront6targetE0EEEvT1_.num_named_barrier, 0
	.set _ZN7rocprim17ROCPRIM_400000_NS6detail17trampoline_kernelINS0_14default_configENS1_27scan_by_key_config_selectorIijEEZZNS1_16scan_by_key_implILNS1_25lookback_scan_determinismE0ELb1ES3_N6thrust23THRUST_200600_302600_NS6detail15normal_iteratorINS9_10device_ptrIiEEEENSB_INSC_IjEEEESG_jNS9_4plusIvEENS9_8equal_toIvEEjEE10hipError_tPvRmT2_T3_T4_T5_mT6_T7_P12ihipStream_tbENKUlT_T0_E_clISt17integral_constantIbLb0EES11_EEDaSW_SX_EUlSW_E_NS1_11comp_targetILNS1_3genE5ELNS1_11target_archE942ELNS1_3gpuE9ELNS1_3repE0EEENS1_30default_config_static_selectorELNS0_4arch9wavefront6targetE0EEEvT1_.private_seg_size, 0
	.set _ZN7rocprim17ROCPRIM_400000_NS6detail17trampoline_kernelINS0_14default_configENS1_27scan_by_key_config_selectorIijEEZZNS1_16scan_by_key_implILNS1_25lookback_scan_determinismE0ELb1ES3_N6thrust23THRUST_200600_302600_NS6detail15normal_iteratorINS9_10device_ptrIiEEEENSB_INSC_IjEEEESG_jNS9_4plusIvEENS9_8equal_toIvEEjEE10hipError_tPvRmT2_T3_T4_T5_mT6_T7_P12ihipStream_tbENKUlT_T0_E_clISt17integral_constantIbLb0EES11_EEDaSW_SX_EUlSW_E_NS1_11comp_targetILNS1_3genE5ELNS1_11target_archE942ELNS1_3gpuE9ELNS1_3repE0EEENS1_30default_config_static_selectorELNS0_4arch9wavefront6targetE0EEEvT1_.uses_vcc, 0
	.set _ZN7rocprim17ROCPRIM_400000_NS6detail17trampoline_kernelINS0_14default_configENS1_27scan_by_key_config_selectorIijEEZZNS1_16scan_by_key_implILNS1_25lookback_scan_determinismE0ELb1ES3_N6thrust23THRUST_200600_302600_NS6detail15normal_iteratorINS9_10device_ptrIiEEEENSB_INSC_IjEEEESG_jNS9_4plusIvEENS9_8equal_toIvEEjEE10hipError_tPvRmT2_T3_T4_T5_mT6_T7_P12ihipStream_tbENKUlT_T0_E_clISt17integral_constantIbLb0EES11_EEDaSW_SX_EUlSW_E_NS1_11comp_targetILNS1_3genE5ELNS1_11target_archE942ELNS1_3gpuE9ELNS1_3repE0EEENS1_30default_config_static_selectorELNS0_4arch9wavefront6targetE0EEEvT1_.uses_flat_scratch, 0
	.set _ZN7rocprim17ROCPRIM_400000_NS6detail17trampoline_kernelINS0_14default_configENS1_27scan_by_key_config_selectorIijEEZZNS1_16scan_by_key_implILNS1_25lookback_scan_determinismE0ELb1ES3_N6thrust23THRUST_200600_302600_NS6detail15normal_iteratorINS9_10device_ptrIiEEEENSB_INSC_IjEEEESG_jNS9_4plusIvEENS9_8equal_toIvEEjEE10hipError_tPvRmT2_T3_T4_T5_mT6_T7_P12ihipStream_tbENKUlT_T0_E_clISt17integral_constantIbLb0EES11_EEDaSW_SX_EUlSW_E_NS1_11comp_targetILNS1_3genE5ELNS1_11target_archE942ELNS1_3gpuE9ELNS1_3repE0EEENS1_30default_config_static_selectorELNS0_4arch9wavefront6targetE0EEEvT1_.has_dyn_sized_stack, 0
	.set _ZN7rocprim17ROCPRIM_400000_NS6detail17trampoline_kernelINS0_14default_configENS1_27scan_by_key_config_selectorIijEEZZNS1_16scan_by_key_implILNS1_25lookback_scan_determinismE0ELb1ES3_N6thrust23THRUST_200600_302600_NS6detail15normal_iteratorINS9_10device_ptrIiEEEENSB_INSC_IjEEEESG_jNS9_4plusIvEENS9_8equal_toIvEEjEE10hipError_tPvRmT2_T3_T4_T5_mT6_T7_P12ihipStream_tbENKUlT_T0_E_clISt17integral_constantIbLb0EES11_EEDaSW_SX_EUlSW_E_NS1_11comp_targetILNS1_3genE5ELNS1_11target_archE942ELNS1_3gpuE9ELNS1_3repE0EEENS1_30default_config_static_selectorELNS0_4arch9wavefront6targetE0EEEvT1_.has_recursion, 0
	.set _ZN7rocprim17ROCPRIM_400000_NS6detail17trampoline_kernelINS0_14default_configENS1_27scan_by_key_config_selectorIijEEZZNS1_16scan_by_key_implILNS1_25lookback_scan_determinismE0ELb1ES3_N6thrust23THRUST_200600_302600_NS6detail15normal_iteratorINS9_10device_ptrIiEEEENSB_INSC_IjEEEESG_jNS9_4plusIvEENS9_8equal_toIvEEjEE10hipError_tPvRmT2_T3_T4_T5_mT6_T7_P12ihipStream_tbENKUlT_T0_E_clISt17integral_constantIbLb0EES11_EEDaSW_SX_EUlSW_E_NS1_11comp_targetILNS1_3genE5ELNS1_11target_archE942ELNS1_3gpuE9ELNS1_3repE0EEENS1_30default_config_static_selectorELNS0_4arch9wavefront6targetE0EEEvT1_.has_indirect_call, 0
	.section	.AMDGPU.csdata,"",@progbits
; Kernel info:
; codeLenInByte = 0
; TotalNumSgprs: 0
; NumVgprs: 0
; ScratchSize: 0
; MemoryBound: 0
; FloatMode: 240
; IeeeMode: 1
; LDSByteSize: 0 bytes/workgroup (compile time only)
; SGPRBlocks: 0
; VGPRBlocks: 0
; NumSGPRsForWavesPerEU: 1
; NumVGPRsForWavesPerEU: 1
; Occupancy: 16
; WaveLimiterHint : 0
; COMPUTE_PGM_RSRC2:SCRATCH_EN: 0
; COMPUTE_PGM_RSRC2:USER_SGPR: 6
; COMPUTE_PGM_RSRC2:TRAP_HANDLER: 0
; COMPUTE_PGM_RSRC2:TGID_X_EN: 1
; COMPUTE_PGM_RSRC2:TGID_Y_EN: 0
; COMPUTE_PGM_RSRC2:TGID_Z_EN: 0
; COMPUTE_PGM_RSRC2:TIDIG_COMP_CNT: 0
	.section	.text._ZN7rocprim17ROCPRIM_400000_NS6detail17trampoline_kernelINS0_14default_configENS1_27scan_by_key_config_selectorIijEEZZNS1_16scan_by_key_implILNS1_25lookback_scan_determinismE0ELb1ES3_N6thrust23THRUST_200600_302600_NS6detail15normal_iteratorINS9_10device_ptrIiEEEENSB_INSC_IjEEEESG_jNS9_4plusIvEENS9_8equal_toIvEEjEE10hipError_tPvRmT2_T3_T4_T5_mT6_T7_P12ihipStream_tbENKUlT_T0_E_clISt17integral_constantIbLb0EES11_EEDaSW_SX_EUlSW_E_NS1_11comp_targetILNS1_3genE4ELNS1_11target_archE910ELNS1_3gpuE8ELNS1_3repE0EEENS1_30default_config_static_selectorELNS0_4arch9wavefront6targetE0EEEvT1_,"axG",@progbits,_ZN7rocprim17ROCPRIM_400000_NS6detail17trampoline_kernelINS0_14default_configENS1_27scan_by_key_config_selectorIijEEZZNS1_16scan_by_key_implILNS1_25lookback_scan_determinismE0ELb1ES3_N6thrust23THRUST_200600_302600_NS6detail15normal_iteratorINS9_10device_ptrIiEEEENSB_INSC_IjEEEESG_jNS9_4plusIvEENS9_8equal_toIvEEjEE10hipError_tPvRmT2_T3_T4_T5_mT6_T7_P12ihipStream_tbENKUlT_T0_E_clISt17integral_constantIbLb0EES11_EEDaSW_SX_EUlSW_E_NS1_11comp_targetILNS1_3genE4ELNS1_11target_archE910ELNS1_3gpuE8ELNS1_3repE0EEENS1_30default_config_static_selectorELNS0_4arch9wavefront6targetE0EEEvT1_,comdat
	.protected	_ZN7rocprim17ROCPRIM_400000_NS6detail17trampoline_kernelINS0_14default_configENS1_27scan_by_key_config_selectorIijEEZZNS1_16scan_by_key_implILNS1_25lookback_scan_determinismE0ELb1ES3_N6thrust23THRUST_200600_302600_NS6detail15normal_iteratorINS9_10device_ptrIiEEEENSB_INSC_IjEEEESG_jNS9_4plusIvEENS9_8equal_toIvEEjEE10hipError_tPvRmT2_T3_T4_T5_mT6_T7_P12ihipStream_tbENKUlT_T0_E_clISt17integral_constantIbLb0EES11_EEDaSW_SX_EUlSW_E_NS1_11comp_targetILNS1_3genE4ELNS1_11target_archE910ELNS1_3gpuE8ELNS1_3repE0EEENS1_30default_config_static_selectorELNS0_4arch9wavefront6targetE0EEEvT1_ ; -- Begin function _ZN7rocprim17ROCPRIM_400000_NS6detail17trampoline_kernelINS0_14default_configENS1_27scan_by_key_config_selectorIijEEZZNS1_16scan_by_key_implILNS1_25lookback_scan_determinismE0ELb1ES3_N6thrust23THRUST_200600_302600_NS6detail15normal_iteratorINS9_10device_ptrIiEEEENSB_INSC_IjEEEESG_jNS9_4plusIvEENS9_8equal_toIvEEjEE10hipError_tPvRmT2_T3_T4_T5_mT6_T7_P12ihipStream_tbENKUlT_T0_E_clISt17integral_constantIbLb0EES11_EEDaSW_SX_EUlSW_E_NS1_11comp_targetILNS1_3genE4ELNS1_11target_archE910ELNS1_3gpuE8ELNS1_3repE0EEENS1_30default_config_static_selectorELNS0_4arch9wavefront6targetE0EEEvT1_
	.globl	_ZN7rocprim17ROCPRIM_400000_NS6detail17trampoline_kernelINS0_14default_configENS1_27scan_by_key_config_selectorIijEEZZNS1_16scan_by_key_implILNS1_25lookback_scan_determinismE0ELb1ES3_N6thrust23THRUST_200600_302600_NS6detail15normal_iteratorINS9_10device_ptrIiEEEENSB_INSC_IjEEEESG_jNS9_4plusIvEENS9_8equal_toIvEEjEE10hipError_tPvRmT2_T3_T4_T5_mT6_T7_P12ihipStream_tbENKUlT_T0_E_clISt17integral_constantIbLb0EES11_EEDaSW_SX_EUlSW_E_NS1_11comp_targetILNS1_3genE4ELNS1_11target_archE910ELNS1_3gpuE8ELNS1_3repE0EEENS1_30default_config_static_selectorELNS0_4arch9wavefront6targetE0EEEvT1_
	.p2align	8
	.type	_ZN7rocprim17ROCPRIM_400000_NS6detail17trampoline_kernelINS0_14default_configENS1_27scan_by_key_config_selectorIijEEZZNS1_16scan_by_key_implILNS1_25lookback_scan_determinismE0ELb1ES3_N6thrust23THRUST_200600_302600_NS6detail15normal_iteratorINS9_10device_ptrIiEEEENSB_INSC_IjEEEESG_jNS9_4plusIvEENS9_8equal_toIvEEjEE10hipError_tPvRmT2_T3_T4_T5_mT6_T7_P12ihipStream_tbENKUlT_T0_E_clISt17integral_constantIbLb0EES11_EEDaSW_SX_EUlSW_E_NS1_11comp_targetILNS1_3genE4ELNS1_11target_archE910ELNS1_3gpuE8ELNS1_3repE0EEENS1_30default_config_static_selectorELNS0_4arch9wavefront6targetE0EEEvT1_,@function
_ZN7rocprim17ROCPRIM_400000_NS6detail17trampoline_kernelINS0_14default_configENS1_27scan_by_key_config_selectorIijEEZZNS1_16scan_by_key_implILNS1_25lookback_scan_determinismE0ELb1ES3_N6thrust23THRUST_200600_302600_NS6detail15normal_iteratorINS9_10device_ptrIiEEEENSB_INSC_IjEEEESG_jNS9_4plusIvEENS9_8equal_toIvEEjEE10hipError_tPvRmT2_T3_T4_T5_mT6_T7_P12ihipStream_tbENKUlT_T0_E_clISt17integral_constantIbLb0EES11_EEDaSW_SX_EUlSW_E_NS1_11comp_targetILNS1_3genE4ELNS1_11target_archE910ELNS1_3gpuE8ELNS1_3repE0EEENS1_30default_config_static_selectorELNS0_4arch9wavefront6targetE0EEEvT1_: ; @_ZN7rocprim17ROCPRIM_400000_NS6detail17trampoline_kernelINS0_14default_configENS1_27scan_by_key_config_selectorIijEEZZNS1_16scan_by_key_implILNS1_25lookback_scan_determinismE0ELb1ES3_N6thrust23THRUST_200600_302600_NS6detail15normal_iteratorINS9_10device_ptrIiEEEENSB_INSC_IjEEEESG_jNS9_4plusIvEENS9_8equal_toIvEEjEE10hipError_tPvRmT2_T3_T4_T5_mT6_T7_P12ihipStream_tbENKUlT_T0_E_clISt17integral_constantIbLb0EES11_EEDaSW_SX_EUlSW_E_NS1_11comp_targetILNS1_3genE4ELNS1_11target_archE910ELNS1_3gpuE8ELNS1_3repE0EEENS1_30default_config_static_selectorELNS0_4arch9wavefront6targetE0EEEvT1_
; %bb.0:
	.section	.rodata,"a",@progbits
	.p2align	6, 0x0
	.amdhsa_kernel _ZN7rocprim17ROCPRIM_400000_NS6detail17trampoline_kernelINS0_14default_configENS1_27scan_by_key_config_selectorIijEEZZNS1_16scan_by_key_implILNS1_25lookback_scan_determinismE0ELb1ES3_N6thrust23THRUST_200600_302600_NS6detail15normal_iteratorINS9_10device_ptrIiEEEENSB_INSC_IjEEEESG_jNS9_4plusIvEENS9_8equal_toIvEEjEE10hipError_tPvRmT2_T3_T4_T5_mT6_T7_P12ihipStream_tbENKUlT_T0_E_clISt17integral_constantIbLb0EES11_EEDaSW_SX_EUlSW_E_NS1_11comp_targetILNS1_3genE4ELNS1_11target_archE910ELNS1_3gpuE8ELNS1_3repE0EEENS1_30default_config_static_selectorELNS0_4arch9wavefront6targetE0EEEvT1_
		.amdhsa_group_segment_fixed_size 0
		.amdhsa_private_segment_fixed_size 0
		.amdhsa_kernarg_size 112
		.amdhsa_user_sgpr_count 6
		.amdhsa_user_sgpr_private_segment_buffer 1
		.amdhsa_user_sgpr_dispatch_ptr 0
		.amdhsa_user_sgpr_queue_ptr 0
		.amdhsa_user_sgpr_kernarg_segment_ptr 1
		.amdhsa_user_sgpr_dispatch_id 0
		.amdhsa_user_sgpr_flat_scratch_init 0
		.amdhsa_user_sgpr_private_segment_size 0
		.amdhsa_wavefront_size32 1
		.amdhsa_uses_dynamic_stack 0
		.amdhsa_system_sgpr_private_segment_wavefront_offset 0
		.amdhsa_system_sgpr_workgroup_id_x 1
		.amdhsa_system_sgpr_workgroup_id_y 0
		.amdhsa_system_sgpr_workgroup_id_z 0
		.amdhsa_system_sgpr_workgroup_info 0
		.amdhsa_system_vgpr_workitem_id 0
		.amdhsa_next_free_vgpr 1
		.amdhsa_next_free_sgpr 1
		.amdhsa_reserve_vcc 0
		.amdhsa_reserve_flat_scratch 0
		.amdhsa_float_round_mode_32 0
		.amdhsa_float_round_mode_16_64 0
		.amdhsa_float_denorm_mode_32 3
		.amdhsa_float_denorm_mode_16_64 3
		.amdhsa_dx10_clamp 1
		.amdhsa_ieee_mode 1
		.amdhsa_fp16_overflow 0
		.amdhsa_workgroup_processor_mode 1
		.amdhsa_memory_ordered 1
		.amdhsa_forward_progress 1
		.amdhsa_shared_vgpr_count 0
		.amdhsa_exception_fp_ieee_invalid_op 0
		.amdhsa_exception_fp_denorm_src 0
		.amdhsa_exception_fp_ieee_div_zero 0
		.amdhsa_exception_fp_ieee_overflow 0
		.amdhsa_exception_fp_ieee_underflow 0
		.amdhsa_exception_fp_ieee_inexact 0
		.amdhsa_exception_int_div_zero 0
	.end_amdhsa_kernel
	.section	.text._ZN7rocprim17ROCPRIM_400000_NS6detail17trampoline_kernelINS0_14default_configENS1_27scan_by_key_config_selectorIijEEZZNS1_16scan_by_key_implILNS1_25lookback_scan_determinismE0ELb1ES3_N6thrust23THRUST_200600_302600_NS6detail15normal_iteratorINS9_10device_ptrIiEEEENSB_INSC_IjEEEESG_jNS9_4plusIvEENS9_8equal_toIvEEjEE10hipError_tPvRmT2_T3_T4_T5_mT6_T7_P12ihipStream_tbENKUlT_T0_E_clISt17integral_constantIbLb0EES11_EEDaSW_SX_EUlSW_E_NS1_11comp_targetILNS1_3genE4ELNS1_11target_archE910ELNS1_3gpuE8ELNS1_3repE0EEENS1_30default_config_static_selectorELNS0_4arch9wavefront6targetE0EEEvT1_,"axG",@progbits,_ZN7rocprim17ROCPRIM_400000_NS6detail17trampoline_kernelINS0_14default_configENS1_27scan_by_key_config_selectorIijEEZZNS1_16scan_by_key_implILNS1_25lookback_scan_determinismE0ELb1ES3_N6thrust23THRUST_200600_302600_NS6detail15normal_iteratorINS9_10device_ptrIiEEEENSB_INSC_IjEEEESG_jNS9_4plusIvEENS9_8equal_toIvEEjEE10hipError_tPvRmT2_T3_T4_T5_mT6_T7_P12ihipStream_tbENKUlT_T0_E_clISt17integral_constantIbLb0EES11_EEDaSW_SX_EUlSW_E_NS1_11comp_targetILNS1_3genE4ELNS1_11target_archE910ELNS1_3gpuE8ELNS1_3repE0EEENS1_30default_config_static_selectorELNS0_4arch9wavefront6targetE0EEEvT1_,comdat
.Lfunc_end1502:
	.size	_ZN7rocprim17ROCPRIM_400000_NS6detail17trampoline_kernelINS0_14default_configENS1_27scan_by_key_config_selectorIijEEZZNS1_16scan_by_key_implILNS1_25lookback_scan_determinismE0ELb1ES3_N6thrust23THRUST_200600_302600_NS6detail15normal_iteratorINS9_10device_ptrIiEEEENSB_INSC_IjEEEESG_jNS9_4plusIvEENS9_8equal_toIvEEjEE10hipError_tPvRmT2_T3_T4_T5_mT6_T7_P12ihipStream_tbENKUlT_T0_E_clISt17integral_constantIbLb0EES11_EEDaSW_SX_EUlSW_E_NS1_11comp_targetILNS1_3genE4ELNS1_11target_archE910ELNS1_3gpuE8ELNS1_3repE0EEENS1_30default_config_static_selectorELNS0_4arch9wavefront6targetE0EEEvT1_, .Lfunc_end1502-_ZN7rocprim17ROCPRIM_400000_NS6detail17trampoline_kernelINS0_14default_configENS1_27scan_by_key_config_selectorIijEEZZNS1_16scan_by_key_implILNS1_25lookback_scan_determinismE0ELb1ES3_N6thrust23THRUST_200600_302600_NS6detail15normal_iteratorINS9_10device_ptrIiEEEENSB_INSC_IjEEEESG_jNS9_4plusIvEENS9_8equal_toIvEEjEE10hipError_tPvRmT2_T3_T4_T5_mT6_T7_P12ihipStream_tbENKUlT_T0_E_clISt17integral_constantIbLb0EES11_EEDaSW_SX_EUlSW_E_NS1_11comp_targetILNS1_3genE4ELNS1_11target_archE910ELNS1_3gpuE8ELNS1_3repE0EEENS1_30default_config_static_selectorELNS0_4arch9wavefront6targetE0EEEvT1_
                                        ; -- End function
	.set _ZN7rocprim17ROCPRIM_400000_NS6detail17trampoline_kernelINS0_14default_configENS1_27scan_by_key_config_selectorIijEEZZNS1_16scan_by_key_implILNS1_25lookback_scan_determinismE0ELb1ES3_N6thrust23THRUST_200600_302600_NS6detail15normal_iteratorINS9_10device_ptrIiEEEENSB_INSC_IjEEEESG_jNS9_4plusIvEENS9_8equal_toIvEEjEE10hipError_tPvRmT2_T3_T4_T5_mT6_T7_P12ihipStream_tbENKUlT_T0_E_clISt17integral_constantIbLb0EES11_EEDaSW_SX_EUlSW_E_NS1_11comp_targetILNS1_3genE4ELNS1_11target_archE910ELNS1_3gpuE8ELNS1_3repE0EEENS1_30default_config_static_selectorELNS0_4arch9wavefront6targetE0EEEvT1_.num_vgpr, 0
	.set _ZN7rocprim17ROCPRIM_400000_NS6detail17trampoline_kernelINS0_14default_configENS1_27scan_by_key_config_selectorIijEEZZNS1_16scan_by_key_implILNS1_25lookback_scan_determinismE0ELb1ES3_N6thrust23THRUST_200600_302600_NS6detail15normal_iteratorINS9_10device_ptrIiEEEENSB_INSC_IjEEEESG_jNS9_4plusIvEENS9_8equal_toIvEEjEE10hipError_tPvRmT2_T3_T4_T5_mT6_T7_P12ihipStream_tbENKUlT_T0_E_clISt17integral_constantIbLb0EES11_EEDaSW_SX_EUlSW_E_NS1_11comp_targetILNS1_3genE4ELNS1_11target_archE910ELNS1_3gpuE8ELNS1_3repE0EEENS1_30default_config_static_selectorELNS0_4arch9wavefront6targetE0EEEvT1_.num_agpr, 0
	.set _ZN7rocprim17ROCPRIM_400000_NS6detail17trampoline_kernelINS0_14default_configENS1_27scan_by_key_config_selectorIijEEZZNS1_16scan_by_key_implILNS1_25lookback_scan_determinismE0ELb1ES3_N6thrust23THRUST_200600_302600_NS6detail15normal_iteratorINS9_10device_ptrIiEEEENSB_INSC_IjEEEESG_jNS9_4plusIvEENS9_8equal_toIvEEjEE10hipError_tPvRmT2_T3_T4_T5_mT6_T7_P12ihipStream_tbENKUlT_T0_E_clISt17integral_constantIbLb0EES11_EEDaSW_SX_EUlSW_E_NS1_11comp_targetILNS1_3genE4ELNS1_11target_archE910ELNS1_3gpuE8ELNS1_3repE0EEENS1_30default_config_static_selectorELNS0_4arch9wavefront6targetE0EEEvT1_.numbered_sgpr, 0
	.set _ZN7rocprim17ROCPRIM_400000_NS6detail17trampoline_kernelINS0_14default_configENS1_27scan_by_key_config_selectorIijEEZZNS1_16scan_by_key_implILNS1_25lookback_scan_determinismE0ELb1ES3_N6thrust23THRUST_200600_302600_NS6detail15normal_iteratorINS9_10device_ptrIiEEEENSB_INSC_IjEEEESG_jNS9_4plusIvEENS9_8equal_toIvEEjEE10hipError_tPvRmT2_T3_T4_T5_mT6_T7_P12ihipStream_tbENKUlT_T0_E_clISt17integral_constantIbLb0EES11_EEDaSW_SX_EUlSW_E_NS1_11comp_targetILNS1_3genE4ELNS1_11target_archE910ELNS1_3gpuE8ELNS1_3repE0EEENS1_30default_config_static_selectorELNS0_4arch9wavefront6targetE0EEEvT1_.num_named_barrier, 0
	.set _ZN7rocprim17ROCPRIM_400000_NS6detail17trampoline_kernelINS0_14default_configENS1_27scan_by_key_config_selectorIijEEZZNS1_16scan_by_key_implILNS1_25lookback_scan_determinismE0ELb1ES3_N6thrust23THRUST_200600_302600_NS6detail15normal_iteratorINS9_10device_ptrIiEEEENSB_INSC_IjEEEESG_jNS9_4plusIvEENS9_8equal_toIvEEjEE10hipError_tPvRmT2_T3_T4_T5_mT6_T7_P12ihipStream_tbENKUlT_T0_E_clISt17integral_constantIbLb0EES11_EEDaSW_SX_EUlSW_E_NS1_11comp_targetILNS1_3genE4ELNS1_11target_archE910ELNS1_3gpuE8ELNS1_3repE0EEENS1_30default_config_static_selectorELNS0_4arch9wavefront6targetE0EEEvT1_.private_seg_size, 0
	.set _ZN7rocprim17ROCPRIM_400000_NS6detail17trampoline_kernelINS0_14default_configENS1_27scan_by_key_config_selectorIijEEZZNS1_16scan_by_key_implILNS1_25lookback_scan_determinismE0ELb1ES3_N6thrust23THRUST_200600_302600_NS6detail15normal_iteratorINS9_10device_ptrIiEEEENSB_INSC_IjEEEESG_jNS9_4plusIvEENS9_8equal_toIvEEjEE10hipError_tPvRmT2_T3_T4_T5_mT6_T7_P12ihipStream_tbENKUlT_T0_E_clISt17integral_constantIbLb0EES11_EEDaSW_SX_EUlSW_E_NS1_11comp_targetILNS1_3genE4ELNS1_11target_archE910ELNS1_3gpuE8ELNS1_3repE0EEENS1_30default_config_static_selectorELNS0_4arch9wavefront6targetE0EEEvT1_.uses_vcc, 0
	.set _ZN7rocprim17ROCPRIM_400000_NS6detail17trampoline_kernelINS0_14default_configENS1_27scan_by_key_config_selectorIijEEZZNS1_16scan_by_key_implILNS1_25lookback_scan_determinismE0ELb1ES3_N6thrust23THRUST_200600_302600_NS6detail15normal_iteratorINS9_10device_ptrIiEEEENSB_INSC_IjEEEESG_jNS9_4plusIvEENS9_8equal_toIvEEjEE10hipError_tPvRmT2_T3_T4_T5_mT6_T7_P12ihipStream_tbENKUlT_T0_E_clISt17integral_constantIbLb0EES11_EEDaSW_SX_EUlSW_E_NS1_11comp_targetILNS1_3genE4ELNS1_11target_archE910ELNS1_3gpuE8ELNS1_3repE0EEENS1_30default_config_static_selectorELNS0_4arch9wavefront6targetE0EEEvT1_.uses_flat_scratch, 0
	.set _ZN7rocprim17ROCPRIM_400000_NS6detail17trampoline_kernelINS0_14default_configENS1_27scan_by_key_config_selectorIijEEZZNS1_16scan_by_key_implILNS1_25lookback_scan_determinismE0ELb1ES3_N6thrust23THRUST_200600_302600_NS6detail15normal_iteratorINS9_10device_ptrIiEEEENSB_INSC_IjEEEESG_jNS9_4plusIvEENS9_8equal_toIvEEjEE10hipError_tPvRmT2_T3_T4_T5_mT6_T7_P12ihipStream_tbENKUlT_T0_E_clISt17integral_constantIbLb0EES11_EEDaSW_SX_EUlSW_E_NS1_11comp_targetILNS1_3genE4ELNS1_11target_archE910ELNS1_3gpuE8ELNS1_3repE0EEENS1_30default_config_static_selectorELNS0_4arch9wavefront6targetE0EEEvT1_.has_dyn_sized_stack, 0
	.set _ZN7rocprim17ROCPRIM_400000_NS6detail17trampoline_kernelINS0_14default_configENS1_27scan_by_key_config_selectorIijEEZZNS1_16scan_by_key_implILNS1_25lookback_scan_determinismE0ELb1ES3_N6thrust23THRUST_200600_302600_NS6detail15normal_iteratorINS9_10device_ptrIiEEEENSB_INSC_IjEEEESG_jNS9_4plusIvEENS9_8equal_toIvEEjEE10hipError_tPvRmT2_T3_T4_T5_mT6_T7_P12ihipStream_tbENKUlT_T0_E_clISt17integral_constantIbLb0EES11_EEDaSW_SX_EUlSW_E_NS1_11comp_targetILNS1_3genE4ELNS1_11target_archE910ELNS1_3gpuE8ELNS1_3repE0EEENS1_30default_config_static_selectorELNS0_4arch9wavefront6targetE0EEEvT1_.has_recursion, 0
	.set _ZN7rocprim17ROCPRIM_400000_NS6detail17trampoline_kernelINS0_14default_configENS1_27scan_by_key_config_selectorIijEEZZNS1_16scan_by_key_implILNS1_25lookback_scan_determinismE0ELb1ES3_N6thrust23THRUST_200600_302600_NS6detail15normal_iteratorINS9_10device_ptrIiEEEENSB_INSC_IjEEEESG_jNS9_4plusIvEENS9_8equal_toIvEEjEE10hipError_tPvRmT2_T3_T4_T5_mT6_T7_P12ihipStream_tbENKUlT_T0_E_clISt17integral_constantIbLb0EES11_EEDaSW_SX_EUlSW_E_NS1_11comp_targetILNS1_3genE4ELNS1_11target_archE910ELNS1_3gpuE8ELNS1_3repE0EEENS1_30default_config_static_selectorELNS0_4arch9wavefront6targetE0EEEvT1_.has_indirect_call, 0
	.section	.AMDGPU.csdata,"",@progbits
; Kernel info:
; codeLenInByte = 0
; TotalNumSgprs: 0
; NumVgprs: 0
; ScratchSize: 0
; MemoryBound: 0
; FloatMode: 240
; IeeeMode: 1
; LDSByteSize: 0 bytes/workgroup (compile time only)
; SGPRBlocks: 0
; VGPRBlocks: 0
; NumSGPRsForWavesPerEU: 1
; NumVGPRsForWavesPerEU: 1
; Occupancy: 16
; WaveLimiterHint : 0
; COMPUTE_PGM_RSRC2:SCRATCH_EN: 0
; COMPUTE_PGM_RSRC2:USER_SGPR: 6
; COMPUTE_PGM_RSRC2:TRAP_HANDLER: 0
; COMPUTE_PGM_RSRC2:TGID_X_EN: 1
; COMPUTE_PGM_RSRC2:TGID_Y_EN: 0
; COMPUTE_PGM_RSRC2:TGID_Z_EN: 0
; COMPUTE_PGM_RSRC2:TIDIG_COMP_CNT: 0
	.section	.text._ZN7rocprim17ROCPRIM_400000_NS6detail17trampoline_kernelINS0_14default_configENS1_27scan_by_key_config_selectorIijEEZZNS1_16scan_by_key_implILNS1_25lookback_scan_determinismE0ELb1ES3_N6thrust23THRUST_200600_302600_NS6detail15normal_iteratorINS9_10device_ptrIiEEEENSB_INSC_IjEEEESG_jNS9_4plusIvEENS9_8equal_toIvEEjEE10hipError_tPvRmT2_T3_T4_T5_mT6_T7_P12ihipStream_tbENKUlT_T0_E_clISt17integral_constantIbLb0EES11_EEDaSW_SX_EUlSW_E_NS1_11comp_targetILNS1_3genE3ELNS1_11target_archE908ELNS1_3gpuE7ELNS1_3repE0EEENS1_30default_config_static_selectorELNS0_4arch9wavefront6targetE0EEEvT1_,"axG",@progbits,_ZN7rocprim17ROCPRIM_400000_NS6detail17trampoline_kernelINS0_14default_configENS1_27scan_by_key_config_selectorIijEEZZNS1_16scan_by_key_implILNS1_25lookback_scan_determinismE0ELb1ES3_N6thrust23THRUST_200600_302600_NS6detail15normal_iteratorINS9_10device_ptrIiEEEENSB_INSC_IjEEEESG_jNS9_4plusIvEENS9_8equal_toIvEEjEE10hipError_tPvRmT2_T3_T4_T5_mT6_T7_P12ihipStream_tbENKUlT_T0_E_clISt17integral_constantIbLb0EES11_EEDaSW_SX_EUlSW_E_NS1_11comp_targetILNS1_3genE3ELNS1_11target_archE908ELNS1_3gpuE7ELNS1_3repE0EEENS1_30default_config_static_selectorELNS0_4arch9wavefront6targetE0EEEvT1_,comdat
	.protected	_ZN7rocprim17ROCPRIM_400000_NS6detail17trampoline_kernelINS0_14default_configENS1_27scan_by_key_config_selectorIijEEZZNS1_16scan_by_key_implILNS1_25lookback_scan_determinismE0ELb1ES3_N6thrust23THRUST_200600_302600_NS6detail15normal_iteratorINS9_10device_ptrIiEEEENSB_INSC_IjEEEESG_jNS9_4plusIvEENS9_8equal_toIvEEjEE10hipError_tPvRmT2_T3_T4_T5_mT6_T7_P12ihipStream_tbENKUlT_T0_E_clISt17integral_constantIbLb0EES11_EEDaSW_SX_EUlSW_E_NS1_11comp_targetILNS1_3genE3ELNS1_11target_archE908ELNS1_3gpuE7ELNS1_3repE0EEENS1_30default_config_static_selectorELNS0_4arch9wavefront6targetE0EEEvT1_ ; -- Begin function _ZN7rocprim17ROCPRIM_400000_NS6detail17trampoline_kernelINS0_14default_configENS1_27scan_by_key_config_selectorIijEEZZNS1_16scan_by_key_implILNS1_25lookback_scan_determinismE0ELb1ES3_N6thrust23THRUST_200600_302600_NS6detail15normal_iteratorINS9_10device_ptrIiEEEENSB_INSC_IjEEEESG_jNS9_4plusIvEENS9_8equal_toIvEEjEE10hipError_tPvRmT2_T3_T4_T5_mT6_T7_P12ihipStream_tbENKUlT_T0_E_clISt17integral_constantIbLb0EES11_EEDaSW_SX_EUlSW_E_NS1_11comp_targetILNS1_3genE3ELNS1_11target_archE908ELNS1_3gpuE7ELNS1_3repE0EEENS1_30default_config_static_selectorELNS0_4arch9wavefront6targetE0EEEvT1_
	.globl	_ZN7rocprim17ROCPRIM_400000_NS6detail17trampoline_kernelINS0_14default_configENS1_27scan_by_key_config_selectorIijEEZZNS1_16scan_by_key_implILNS1_25lookback_scan_determinismE0ELb1ES3_N6thrust23THRUST_200600_302600_NS6detail15normal_iteratorINS9_10device_ptrIiEEEENSB_INSC_IjEEEESG_jNS9_4plusIvEENS9_8equal_toIvEEjEE10hipError_tPvRmT2_T3_T4_T5_mT6_T7_P12ihipStream_tbENKUlT_T0_E_clISt17integral_constantIbLb0EES11_EEDaSW_SX_EUlSW_E_NS1_11comp_targetILNS1_3genE3ELNS1_11target_archE908ELNS1_3gpuE7ELNS1_3repE0EEENS1_30default_config_static_selectorELNS0_4arch9wavefront6targetE0EEEvT1_
	.p2align	8
	.type	_ZN7rocprim17ROCPRIM_400000_NS6detail17trampoline_kernelINS0_14default_configENS1_27scan_by_key_config_selectorIijEEZZNS1_16scan_by_key_implILNS1_25lookback_scan_determinismE0ELb1ES3_N6thrust23THRUST_200600_302600_NS6detail15normal_iteratorINS9_10device_ptrIiEEEENSB_INSC_IjEEEESG_jNS9_4plusIvEENS9_8equal_toIvEEjEE10hipError_tPvRmT2_T3_T4_T5_mT6_T7_P12ihipStream_tbENKUlT_T0_E_clISt17integral_constantIbLb0EES11_EEDaSW_SX_EUlSW_E_NS1_11comp_targetILNS1_3genE3ELNS1_11target_archE908ELNS1_3gpuE7ELNS1_3repE0EEENS1_30default_config_static_selectorELNS0_4arch9wavefront6targetE0EEEvT1_,@function
_ZN7rocprim17ROCPRIM_400000_NS6detail17trampoline_kernelINS0_14default_configENS1_27scan_by_key_config_selectorIijEEZZNS1_16scan_by_key_implILNS1_25lookback_scan_determinismE0ELb1ES3_N6thrust23THRUST_200600_302600_NS6detail15normal_iteratorINS9_10device_ptrIiEEEENSB_INSC_IjEEEESG_jNS9_4plusIvEENS9_8equal_toIvEEjEE10hipError_tPvRmT2_T3_T4_T5_mT6_T7_P12ihipStream_tbENKUlT_T0_E_clISt17integral_constantIbLb0EES11_EEDaSW_SX_EUlSW_E_NS1_11comp_targetILNS1_3genE3ELNS1_11target_archE908ELNS1_3gpuE7ELNS1_3repE0EEENS1_30default_config_static_selectorELNS0_4arch9wavefront6targetE0EEEvT1_: ; @_ZN7rocprim17ROCPRIM_400000_NS6detail17trampoline_kernelINS0_14default_configENS1_27scan_by_key_config_selectorIijEEZZNS1_16scan_by_key_implILNS1_25lookback_scan_determinismE0ELb1ES3_N6thrust23THRUST_200600_302600_NS6detail15normal_iteratorINS9_10device_ptrIiEEEENSB_INSC_IjEEEESG_jNS9_4plusIvEENS9_8equal_toIvEEjEE10hipError_tPvRmT2_T3_T4_T5_mT6_T7_P12ihipStream_tbENKUlT_T0_E_clISt17integral_constantIbLb0EES11_EEDaSW_SX_EUlSW_E_NS1_11comp_targetILNS1_3genE3ELNS1_11target_archE908ELNS1_3gpuE7ELNS1_3repE0EEENS1_30default_config_static_selectorELNS0_4arch9wavefront6targetE0EEEvT1_
; %bb.0:
	.section	.rodata,"a",@progbits
	.p2align	6, 0x0
	.amdhsa_kernel _ZN7rocprim17ROCPRIM_400000_NS6detail17trampoline_kernelINS0_14default_configENS1_27scan_by_key_config_selectorIijEEZZNS1_16scan_by_key_implILNS1_25lookback_scan_determinismE0ELb1ES3_N6thrust23THRUST_200600_302600_NS6detail15normal_iteratorINS9_10device_ptrIiEEEENSB_INSC_IjEEEESG_jNS9_4plusIvEENS9_8equal_toIvEEjEE10hipError_tPvRmT2_T3_T4_T5_mT6_T7_P12ihipStream_tbENKUlT_T0_E_clISt17integral_constantIbLb0EES11_EEDaSW_SX_EUlSW_E_NS1_11comp_targetILNS1_3genE3ELNS1_11target_archE908ELNS1_3gpuE7ELNS1_3repE0EEENS1_30default_config_static_selectorELNS0_4arch9wavefront6targetE0EEEvT1_
		.amdhsa_group_segment_fixed_size 0
		.amdhsa_private_segment_fixed_size 0
		.amdhsa_kernarg_size 112
		.amdhsa_user_sgpr_count 6
		.amdhsa_user_sgpr_private_segment_buffer 1
		.amdhsa_user_sgpr_dispatch_ptr 0
		.amdhsa_user_sgpr_queue_ptr 0
		.amdhsa_user_sgpr_kernarg_segment_ptr 1
		.amdhsa_user_sgpr_dispatch_id 0
		.amdhsa_user_sgpr_flat_scratch_init 0
		.amdhsa_user_sgpr_private_segment_size 0
		.amdhsa_wavefront_size32 1
		.amdhsa_uses_dynamic_stack 0
		.amdhsa_system_sgpr_private_segment_wavefront_offset 0
		.amdhsa_system_sgpr_workgroup_id_x 1
		.amdhsa_system_sgpr_workgroup_id_y 0
		.amdhsa_system_sgpr_workgroup_id_z 0
		.amdhsa_system_sgpr_workgroup_info 0
		.amdhsa_system_vgpr_workitem_id 0
		.amdhsa_next_free_vgpr 1
		.amdhsa_next_free_sgpr 1
		.amdhsa_reserve_vcc 0
		.amdhsa_reserve_flat_scratch 0
		.amdhsa_float_round_mode_32 0
		.amdhsa_float_round_mode_16_64 0
		.amdhsa_float_denorm_mode_32 3
		.amdhsa_float_denorm_mode_16_64 3
		.amdhsa_dx10_clamp 1
		.amdhsa_ieee_mode 1
		.amdhsa_fp16_overflow 0
		.amdhsa_workgroup_processor_mode 1
		.amdhsa_memory_ordered 1
		.amdhsa_forward_progress 1
		.amdhsa_shared_vgpr_count 0
		.amdhsa_exception_fp_ieee_invalid_op 0
		.amdhsa_exception_fp_denorm_src 0
		.amdhsa_exception_fp_ieee_div_zero 0
		.amdhsa_exception_fp_ieee_overflow 0
		.amdhsa_exception_fp_ieee_underflow 0
		.amdhsa_exception_fp_ieee_inexact 0
		.amdhsa_exception_int_div_zero 0
	.end_amdhsa_kernel
	.section	.text._ZN7rocprim17ROCPRIM_400000_NS6detail17trampoline_kernelINS0_14default_configENS1_27scan_by_key_config_selectorIijEEZZNS1_16scan_by_key_implILNS1_25lookback_scan_determinismE0ELb1ES3_N6thrust23THRUST_200600_302600_NS6detail15normal_iteratorINS9_10device_ptrIiEEEENSB_INSC_IjEEEESG_jNS9_4plusIvEENS9_8equal_toIvEEjEE10hipError_tPvRmT2_T3_T4_T5_mT6_T7_P12ihipStream_tbENKUlT_T0_E_clISt17integral_constantIbLb0EES11_EEDaSW_SX_EUlSW_E_NS1_11comp_targetILNS1_3genE3ELNS1_11target_archE908ELNS1_3gpuE7ELNS1_3repE0EEENS1_30default_config_static_selectorELNS0_4arch9wavefront6targetE0EEEvT1_,"axG",@progbits,_ZN7rocprim17ROCPRIM_400000_NS6detail17trampoline_kernelINS0_14default_configENS1_27scan_by_key_config_selectorIijEEZZNS1_16scan_by_key_implILNS1_25lookback_scan_determinismE0ELb1ES3_N6thrust23THRUST_200600_302600_NS6detail15normal_iteratorINS9_10device_ptrIiEEEENSB_INSC_IjEEEESG_jNS9_4plusIvEENS9_8equal_toIvEEjEE10hipError_tPvRmT2_T3_T4_T5_mT6_T7_P12ihipStream_tbENKUlT_T0_E_clISt17integral_constantIbLb0EES11_EEDaSW_SX_EUlSW_E_NS1_11comp_targetILNS1_3genE3ELNS1_11target_archE908ELNS1_3gpuE7ELNS1_3repE0EEENS1_30default_config_static_selectorELNS0_4arch9wavefront6targetE0EEEvT1_,comdat
.Lfunc_end1503:
	.size	_ZN7rocprim17ROCPRIM_400000_NS6detail17trampoline_kernelINS0_14default_configENS1_27scan_by_key_config_selectorIijEEZZNS1_16scan_by_key_implILNS1_25lookback_scan_determinismE0ELb1ES3_N6thrust23THRUST_200600_302600_NS6detail15normal_iteratorINS9_10device_ptrIiEEEENSB_INSC_IjEEEESG_jNS9_4plusIvEENS9_8equal_toIvEEjEE10hipError_tPvRmT2_T3_T4_T5_mT6_T7_P12ihipStream_tbENKUlT_T0_E_clISt17integral_constantIbLb0EES11_EEDaSW_SX_EUlSW_E_NS1_11comp_targetILNS1_3genE3ELNS1_11target_archE908ELNS1_3gpuE7ELNS1_3repE0EEENS1_30default_config_static_selectorELNS0_4arch9wavefront6targetE0EEEvT1_, .Lfunc_end1503-_ZN7rocprim17ROCPRIM_400000_NS6detail17trampoline_kernelINS0_14default_configENS1_27scan_by_key_config_selectorIijEEZZNS1_16scan_by_key_implILNS1_25lookback_scan_determinismE0ELb1ES3_N6thrust23THRUST_200600_302600_NS6detail15normal_iteratorINS9_10device_ptrIiEEEENSB_INSC_IjEEEESG_jNS9_4plusIvEENS9_8equal_toIvEEjEE10hipError_tPvRmT2_T3_T4_T5_mT6_T7_P12ihipStream_tbENKUlT_T0_E_clISt17integral_constantIbLb0EES11_EEDaSW_SX_EUlSW_E_NS1_11comp_targetILNS1_3genE3ELNS1_11target_archE908ELNS1_3gpuE7ELNS1_3repE0EEENS1_30default_config_static_selectorELNS0_4arch9wavefront6targetE0EEEvT1_
                                        ; -- End function
	.set _ZN7rocprim17ROCPRIM_400000_NS6detail17trampoline_kernelINS0_14default_configENS1_27scan_by_key_config_selectorIijEEZZNS1_16scan_by_key_implILNS1_25lookback_scan_determinismE0ELb1ES3_N6thrust23THRUST_200600_302600_NS6detail15normal_iteratorINS9_10device_ptrIiEEEENSB_INSC_IjEEEESG_jNS9_4plusIvEENS9_8equal_toIvEEjEE10hipError_tPvRmT2_T3_T4_T5_mT6_T7_P12ihipStream_tbENKUlT_T0_E_clISt17integral_constantIbLb0EES11_EEDaSW_SX_EUlSW_E_NS1_11comp_targetILNS1_3genE3ELNS1_11target_archE908ELNS1_3gpuE7ELNS1_3repE0EEENS1_30default_config_static_selectorELNS0_4arch9wavefront6targetE0EEEvT1_.num_vgpr, 0
	.set _ZN7rocprim17ROCPRIM_400000_NS6detail17trampoline_kernelINS0_14default_configENS1_27scan_by_key_config_selectorIijEEZZNS1_16scan_by_key_implILNS1_25lookback_scan_determinismE0ELb1ES3_N6thrust23THRUST_200600_302600_NS6detail15normal_iteratorINS9_10device_ptrIiEEEENSB_INSC_IjEEEESG_jNS9_4plusIvEENS9_8equal_toIvEEjEE10hipError_tPvRmT2_T3_T4_T5_mT6_T7_P12ihipStream_tbENKUlT_T0_E_clISt17integral_constantIbLb0EES11_EEDaSW_SX_EUlSW_E_NS1_11comp_targetILNS1_3genE3ELNS1_11target_archE908ELNS1_3gpuE7ELNS1_3repE0EEENS1_30default_config_static_selectorELNS0_4arch9wavefront6targetE0EEEvT1_.num_agpr, 0
	.set _ZN7rocprim17ROCPRIM_400000_NS6detail17trampoline_kernelINS0_14default_configENS1_27scan_by_key_config_selectorIijEEZZNS1_16scan_by_key_implILNS1_25lookback_scan_determinismE0ELb1ES3_N6thrust23THRUST_200600_302600_NS6detail15normal_iteratorINS9_10device_ptrIiEEEENSB_INSC_IjEEEESG_jNS9_4plusIvEENS9_8equal_toIvEEjEE10hipError_tPvRmT2_T3_T4_T5_mT6_T7_P12ihipStream_tbENKUlT_T0_E_clISt17integral_constantIbLb0EES11_EEDaSW_SX_EUlSW_E_NS1_11comp_targetILNS1_3genE3ELNS1_11target_archE908ELNS1_3gpuE7ELNS1_3repE0EEENS1_30default_config_static_selectorELNS0_4arch9wavefront6targetE0EEEvT1_.numbered_sgpr, 0
	.set _ZN7rocprim17ROCPRIM_400000_NS6detail17trampoline_kernelINS0_14default_configENS1_27scan_by_key_config_selectorIijEEZZNS1_16scan_by_key_implILNS1_25lookback_scan_determinismE0ELb1ES3_N6thrust23THRUST_200600_302600_NS6detail15normal_iteratorINS9_10device_ptrIiEEEENSB_INSC_IjEEEESG_jNS9_4plusIvEENS9_8equal_toIvEEjEE10hipError_tPvRmT2_T3_T4_T5_mT6_T7_P12ihipStream_tbENKUlT_T0_E_clISt17integral_constantIbLb0EES11_EEDaSW_SX_EUlSW_E_NS1_11comp_targetILNS1_3genE3ELNS1_11target_archE908ELNS1_3gpuE7ELNS1_3repE0EEENS1_30default_config_static_selectorELNS0_4arch9wavefront6targetE0EEEvT1_.num_named_barrier, 0
	.set _ZN7rocprim17ROCPRIM_400000_NS6detail17trampoline_kernelINS0_14default_configENS1_27scan_by_key_config_selectorIijEEZZNS1_16scan_by_key_implILNS1_25lookback_scan_determinismE0ELb1ES3_N6thrust23THRUST_200600_302600_NS6detail15normal_iteratorINS9_10device_ptrIiEEEENSB_INSC_IjEEEESG_jNS9_4plusIvEENS9_8equal_toIvEEjEE10hipError_tPvRmT2_T3_T4_T5_mT6_T7_P12ihipStream_tbENKUlT_T0_E_clISt17integral_constantIbLb0EES11_EEDaSW_SX_EUlSW_E_NS1_11comp_targetILNS1_3genE3ELNS1_11target_archE908ELNS1_3gpuE7ELNS1_3repE0EEENS1_30default_config_static_selectorELNS0_4arch9wavefront6targetE0EEEvT1_.private_seg_size, 0
	.set _ZN7rocprim17ROCPRIM_400000_NS6detail17trampoline_kernelINS0_14default_configENS1_27scan_by_key_config_selectorIijEEZZNS1_16scan_by_key_implILNS1_25lookback_scan_determinismE0ELb1ES3_N6thrust23THRUST_200600_302600_NS6detail15normal_iteratorINS9_10device_ptrIiEEEENSB_INSC_IjEEEESG_jNS9_4plusIvEENS9_8equal_toIvEEjEE10hipError_tPvRmT2_T3_T4_T5_mT6_T7_P12ihipStream_tbENKUlT_T0_E_clISt17integral_constantIbLb0EES11_EEDaSW_SX_EUlSW_E_NS1_11comp_targetILNS1_3genE3ELNS1_11target_archE908ELNS1_3gpuE7ELNS1_3repE0EEENS1_30default_config_static_selectorELNS0_4arch9wavefront6targetE0EEEvT1_.uses_vcc, 0
	.set _ZN7rocprim17ROCPRIM_400000_NS6detail17trampoline_kernelINS0_14default_configENS1_27scan_by_key_config_selectorIijEEZZNS1_16scan_by_key_implILNS1_25lookback_scan_determinismE0ELb1ES3_N6thrust23THRUST_200600_302600_NS6detail15normal_iteratorINS9_10device_ptrIiEEEENSB_INSC_IjEEEESG_jNS9_4plusIvEENS9_8equal_toIvEEjEE10hipError_tPvRmT2_T3_T4_T5_mT6_T7_P12ihipStream_tbENKUlT_T0_E_clISt17integral_constantIbLb0EES11_EEDaSW_SX_EUlSW_E_NS1_11comp_targetILNS1_3genE3ELNS1_11target_archE908ELNS1_3gpuE7ELNS1_3repE0EEENS1_30default_config_static_selectorELNS0_4arch9wavefront6targetE0EEEvT1_.uses_flat_scratch, 0
	.set _ZN7rocprim17ROCPRIM_400000_NS6detail17trampoline_kernelINS0_14default_configENS1_27scan_by_key_config_selectorIijEEZZNS1_16scan_by_key_implILNS1_25lookback_scan_determinismE0ELb1ES3_N6thrust23THRUST_200600_302600_NS6detail15normal_iteratorINS9_10device_ptrIiEEEENSB_INSC_IjEEEESG_jNS9_4plusIvEENS9_8equal_toIvEEjEE10hipError_tPvRmT2_T3_T4_T5_mT6_T7_P12ihipStream_tbENKUlT_T0_E_clISt17integral_constantIbLb0EES11_EEDaSW_SX_EUlSW_E_NS1_11comp_targetILNS1_3genE3ELNS1_11target_archE908ELNS1_3gpuE7ELNS1_3repE0EEENS1_30default_config_static_selectorELNS0_4arch9wavefront6targetE0EEEvT1_.has_dyn_sized_stack, 0
	.set _ZN7rocprim17ROCPRIM_400000_NS6detail17trampoline_kernelINS0_14default_configENS1_27scan_by_key_config_selectorIijEEZZNS1_16scan_by_key_implILNS1_25lookback_scan_determinismE0ELb1ES3_N6thrust23THRUST_200600_302600_NS6detail15normal_iteratorINS9_10device_ptrIiEEEENSB_INSC_IjEEEESG_jNS9_4plusIvEENS9_8equal_toIvEEjEE10hipError_tPvRmT2_T3_T4_T5_mT6_T7_P12ihipStream_tbENKUlT_T0_E_clISt17integral_constantIbLb0EES11_EEDaSW_SX_EUlSW_E_NS1_11comp_targetILNS1_3genE3ELNS1_11target_archE908ELNS1_3gpuE7ELNS1_3repE0EEENS1_30default_config_static_selectorELNS0_4arch9wavefront6targetE0EEEvT1_.has_recursion, 0
	.set _ZN7rocprim17ROCPRIM_400000_NS6detail17trampoline_kernelINS0_14default_configENS1_27scan_by_key_config_selectorIijEEZZNS1_16scan_by_key_implILNS1_25lookback_scan_determinismE0ELb1ES3_N6thrust23THRUST_200600_302600_NS6detail15normal_iteratorINS9_10device_ptrIiEEEENSB_INSC_IjEEEESG_jNS9_4plusIvEENS9_8equal_toIvEEjEE10hipError_tPvRmT2_T3_T4_T5_mT6_T7_P12ihipStream_tbENKUlT_T0_E_clISt17integral_constantIbLb0EES11_EEDaSW_SX_EUlSW_E_NS1_11comp_targetILNS1_3genE3ELNS1_11target_archE908ELNS1_3gpuE7ELNS1_3repE0EEENS1_30default_config_static_selectorELNS0_4arch9wavefront6targetE0EEEvT1_.has_indirect_call, 0
	.section	.AMDGPU.csdata,"",@progbits
; Kernel info:
; codeLenInByte = 0
; TotalNumSgprs: 0
; NumVgprs: 0
; ScratchSize: 0
; MemoryBound: 0
; FloatMode: 240
; IeeeMode: 1
; LDSByteSize: 0 bytes/workgroup (compile time only)
; SGPRBlocks: 0
; VGPRBlocks: 0
; NumSGPRsForWavesPerEU: 1
; NumVGPRsForWavesPerEU: 1
; Occupancy: 16
; WaveLimiterHint : 0
; COMPUTE_PGM_RSRC2:SCRATCH_EN: 0
; COMPUTE_PGM_RSRC2:USER_SGPR: 6
; COMPUTE_PGM_RSRC2:TRAP_HANDLER: 0
; COMPUTE_PGM_RSRC2:TGID_X_EN: 1
; COMPUTE_PGM_RSRC2:TGID_Y_EN: 0
; COMPUTE_PGM_RSRC2:TGID_Z_EN: 0
; COMPUTE_PGM_RSRC2:TIDIG_COMP_CNT: 0
	.section	.text._ZN7rocprim17ROCPRIM_400000_NS6detail17trampoline_kernelINS0_14default_configENS1_27scan_by_key_config_selectorIijEEZZNS1_16scan_by_key_implILNS1_25lookback_scan_determinismE0ELb1ES3_N6thrust23THRUST_200600_302600_NS6detail15normal_iteratorINS9_10device_ptrIiEEEENSB_INSC_IjEEEESG_jNS9_4plusIvEENS9_8equal_toIvEEjEE10hipError_tPvRmT2_T3_T4_T5_mT6_T7_P12ihipStream_tbENKUlT_T0_E_clISt17integral_constantIbLb0EES11_EEDaSW_SX_EUlSW_E_NS1_11comp_targetILNS1_3genE2ELNS1_11target_archE906ELNS1_3gpuE6ELNS1_3repE0EEENS1_30default_config_static_selectorELNS0_4arch9wavefront6targetE0EEEvT1_,"axG",@progbits,_ZN7rocprim17ROCPRIM_400000_NS6detail17trampoline_kernelINS0_14default_configENS1_27scan_by_key_config_selectorIijEEZZNS1_16scan_by_key_implILNS1_25lookback_scan_determinismE0ELb1ES3_N6thrust23THRUST_200600_302600_NS6detail15normal_iteratorINS9_10device_ptrIiEEEENSB_INSC_IjEEEESG_jNS9_4plusIvEENS9_8equal_toIvEEjEE10hipError_tPvRmT2_T3_T4_T5_mT6_T7_P12ihipStream_tbENKUlT_T0_E_clISt17integral_constantIbLb0EES11_EEDaSW_SX_EUlSW_E_NS1_11comp_targetILNS1_3genE2ELNS1_11target_archE906ELNS1_3gpuE6ELNS1_3repE0EEENS1_30default_config_static_selectorELNS0_4arch9wavefront6targetE0EEEvT1_,comdat
	.protected	_ZN7rocprim17ROCPRIM_400000_NS6detail17trampoline_kernelINS0_14default_configENS1_27scan_by_key_config_selectorIijEEZZNS1_16scan_by_key_implILNS1_25lookback_scan_determinismE0ELb1ES3_N6thrust23THRUST_200600_302600_NS6detail15normal_iteratorINS9_10device_ptrIiEEEENSB_INSC_IjEEEESG_jNS9_4plusIvEENS9_8equal_toIvEEjEE10hipError_tPvRmT2_T3_T4_T5_mT6_T7_P12ihipStream_tbENKUlT_T0_E_clISt17integral_constantIbLb0EES11_EEDaSW_SX_EUlSW_E_NS1_11comp_targetILNS1_3genE2ELNS1_11target_archE906ELNS1_3gpuE6ELNS1_3repE0EEENS1_30default_config_static_selectorELNS0_4arch9wavefront6targetE0EEEvT1_ ; -- Begin function _ZN7rocprim17ROCPRIM_400000_NS6detail17trampoline_kernelINS0_14default_configENS1_27scan_by_key_config_selectorIijEEZZNS1_16scan_by_key_implILNS1_25lookback_scan_determinismE0ELb1ES3_N6thrust23THRUST_200600_302600_NS6detail15normal_iteratorINS9_10device_ptrIiEEEENSB_INSC_IjEEEESG_jNS9_4plusIvEENS9_8equal_toIvEEjEE10hipError_tPvRmT2_T3_T4_T5_mT6_T7_P12ihipStream_tbENKUlT_T0_E_clISt17integral_constantIbLb0EES11_EEDaSW_SX_EUlSW_E_NS1_11comp_targetILNS1_3genE2ELNS1_11target_archE906ELNS1_3gpuE6ELNS1_3repE0EEENS1_30default_config_static_selectorELNS0_4arch9wavefront6targetE0EEEvT1_
	.globl	_ZN7rocprim17ROCPRIM_400000_NS6detail17trampoline_kernelINS0_14default_configENS1_27scan_by_key_config_selectorIijEEZZNS1_16scan_by_key_implILNS1_25lookback_scan_determinismE0ELb1ES3_N6thrust23THRUST_200600_302600_NS6detail15normal_iteratorINS9_10device_ptrIiEEEENSB_INSC_IjEEEESG_jNS9_4plusIvEENS9_8equal_toIvEEjEE10hipError_tPvRmT2_T3_T4_T5_mT6_T7_P12ihipStream_tbENKUlT_T0_E_clISt17integral_constantIbLb0EES11_EEDaSW_SX_EUlSW_E_NS1_11comp_targetILNS1_3genE2ELNS1_11target_archE906ELNS1_3gpuE6ELNS1_3repE0EEENS1_30default_config_static_selectorELNS0_4arch9wavefront6targetE0EEEvT1_
	.p2align	8
	.type	_ZN7rocprim17ROCPRIM_400000_NS6detail17trampoline_kernelINS0_14default_configENS1_27scan_by_key_config_selectorIijEEZZNS1_16scan_by_key_implILNS1_25lookback_scan_determinismE0ELb1ES3_N6thrust23THRUST_200600_302600_NS6detail15normal_iteratorINS9_10device_ptrIiEEEENSB_INSC_IjEEEESG_jNS9_4plusIvEENS9_8equal_toIvEEjEE10hipError_tPvRmT2_T3_T4_T5_mT6_T7_P12ihipStream_tbENKUlT_T0_E_clISt17integral_constantIbLb0EES11_EEDaSW_SX_EUlSW_E_NS1_11comp_targetILNS1_3genE2ELNS1_11target_archE906ELNS1_3gpuE6ELNS1_3repE0EEENS1_30default_config_static_selectorELNS0_4arch9wavefront6targetE0EEEvT1_,@function
_ZN7rocprim17ROCPRIM_400000_NS6detail17trampoline_kernelINS0_14default_configENS1_27scan_by_key_config_selectorIijEEZZNS1_16scan_by_key_implILNS1_25lookback_scan_determinismE0ELb1ES3_N6thrust23THRUST_200600_302600_NS6detail15normal_iteratorINS9_10device_ptrIiEEEENSB_INSC_IjEEEESG_jNS9_4plusIvEENS9_8equal_toIvEEjEE10hipError_tPvRmT2_T3_T4_T5_mT6_T7_P12ihipStream_tbENKUlT_T0_E_clISt17integral_constantIbLb0EES11_EEDaSW_SX_EUlSW_E_NS1_11comp_targetILNS1_3genE2ELNS1_11target_archE906ELNS1_3gpuE6ELNS1_3repE0EEENS1_30default_config_static_selectorELNS0_4arch9wavefront6targetE0EEEvT1_: ; @_ZN7rocprim17ROCPRIM_400000_NS6detail17trampoline_kernelINS0_14default_configENS1_27scan_by_key_config_selectorIijEEZZNS1_16scan_by_key_implILNS1_25lookback_scan_determinismE0ELb1ES3_N6thrust23THRUST_200600_302600_NS6detail15normal_iteratorINS9_10device_ptrIiEEEENSB_INSC_IjEEEESG_jNS9_4plusIvEENS9_8equal_toIvEEjEE10hipError_tPvRmT2_T3_T4_T5_mT6_T7_P12ihipStream_tbENKUlT_T0_E_clISt17integral_constantIbLb0EES11_EEDaSW_SX_EUlSW_E_NS1_11comp_targetILNS1_3genE2ELNS1_11target_archE906ELNS1_3gpuE6ELNS1_3repE0EEENS1_30default_config_static_selectorELNS0_4arch9wavefront6targetE0EEEvT1_
; %bb.0:
	.section	.rodata,"a",@progbits
	.p2align	6, 0x0
	.amdhsa_kernel _ZN7rocprim17ROCPRIM_400000_NS6detail17trampoline_kernelINS0_14default_configENS1_27scan_by_key_config_selectorIijEEZZNS1_16scan_by_key_implILNS1_25lookback_scan_determinismE0ELb1ES3_N6thrust23THRUST_200600_302600_NS6detail15normal_iteratorINS9_10device_ptrIiEEEENSB_INSC_IjEEEESG_jNS9_4plusIvEENS9_8equal_toIvEEjEE10hipError_tPvRmT2_T3_T4_T5_mT6_T7_P12ihipStream_tbENKUlT_T0_E_clISt17integral_constantIbLb0EES11_EEDaSW_SX_EUlSW_E_NS1_11comp_targetILNS1_3genE2ELNS1_11target_archE906ELNS1_3gpuE6ELNS1_3repE0EEENS1_30default_config_static_selectorELNS0_4arch9wavefront6targetE0EEEvT1_
		.amdhsa_group_segment_fixed_size 0
		.amdhsa_private_segment_fixed_size 0
		.amdhsa_kernarg_size 112
		.amdhsa_user_sgpr_count 6
		.amdhsa_user_sgpr_private_segment_buffer 1
		.amdhsa_user_sgpr_dispatch_ptr 0
		.amdhsa_user_sgpr_queue_ptr 0
		.amdhsa_user_sgpr_kernarg_segment_ptr 1
		.amdhsa_user_sgpr_dispatch_id 0
		.amdhsa_user_sgpr_flat_scratch_init 0
		.amdhsa_user_sgpr_private_segment_size 0
		.amdhsa_wavefront_size32 1
		.amdhsa_uses_dynamic_stack 0
		.amdhsa_system_sgpr_private_segment_wavefront_offset 0
		.amdhsa_system_sgpr_workgroup_id_x 1
		.amdhsa_system_sgpr_workgroup_id_y 0
		.amdhsa_system_sgpr_workgroup_id_z 0
		.amdhsa_system_sgpr_workgroup_info 0
		.amdhsa_system_vgpr_workitem_id 0
		.amdhsa_next_free_vgpr 1
		.amdhsa_next_free_sgpr 1
		.amdhsa_reserve_vcc 0
		.amdhsa_reserve_flat_scratch 0
		.amdhsa_float_round_mode_32 0
		.amdhsa_float_round_mode_16_64 0
		.amdhsa_float_denorm_mode_32 3
		.amdhsa_float_denorm_mode_16_64 3
		.amdhsa_dx10_clamp 1
		.amdhsa_ieee_mode 1
		.amdhsa_fp16_overflow 0
		.amdhsa_workgroup_processor_mode 1
		.amdhsa_memory_ordered 1
		.amdhsa_forward_progress 1
		.amdhsa_shared_vgpr_count 0
		.amdhsa_exception_fp_ieee_invalid_op 0
		.amdhsa_exception_fp_denorm_src 0
		.amdhsa_exception_fp_ieee_div_zero 0
		.amdhsa_exception_fp_ieee_overflow 0
		.amdhsa_exception_fp_ieee_underflow 0
		.amdhsa_exception_fp_ieee_inexact 0
		.amdhsa_exception_int_div_zero 0
	.end_amdhsa_kernel
	.section	.text._ZN7rocprim17ROCPRIM_400000_NS6detail17trampoline_kernelINS0_14default_configENS1_27scan_by_key_config_selectorIijEEZZNS1_16scan_by_key_implILNS1_25lookback_scan_determinismE0ELb1ES3_N6thrust23THRUST_200600_302600_NS6detail15normal_iteratorINS9_10device_ptrIiEEEENSB_INSC_IjEEEESG_jNS9_4plusIvEENS9_8equal_toIvEEjEE10hipError_tPvRmT2_T3_T4_T5_mT6_T7_P12ihipStream_tbENKUlT_T0_E_clISt17integral_constantIbLb0EES11_EEDaSW_SX_EUlSW_E_NS1_11comp_targetILNS1_3genE2ELNS1_11target_archE906ELNS1_3gpuE6ELNS1_3repE0EEENS1_30default_config_static_selectorELNS0_4arch9wavefront6targetE0EEEvT1_,"axG",@progbits,_ZN7rocprim17ROCPRIM_400000_NS6detail17trampoline_kernelINS0_14default_configENS1_27scan_by_key_config_selectorIijEEZZNS1_16scan_by_key_implILNS1_25lookback_scan_determinismE0ELb1ES3_N6thrust23THRUST_200600_302600_NS6detail15normal_iteratorINS9_10device_ptrIiEEEENSB_INSC_IjEEEESG_jNS9_4plusIvEENS9_8equal_toIvEEjEE10hipError_tPvRmT2_T3_T4_T5_mT6_T7_P12ihipStream_tbENKUlT_T0_E_clISt17integral_constantIbLb0EES11_EEDaSW_SX_EUlSW_E_NS1_11comp_targetILNS1_3genE2ELNS1_11target_archE906ELNS1_3gpuE6ELNS1_3repE0EEENS1_30default_config_static_selectorELNS0_4arch9wavefront6targetE0EEEvT1_,comdat
.Lfunc_end1504:
	.size	_ZN7rocprim17ROCPRIM_400000_NS6detail17trampoline_kernelINS0_14default_configENS1_27scan_by_key_config_selectorIijEEZZNS1_16scan_by_key_implILNS1_25lookback_scan_determinismE0ELb1ES3_N6thrust23THRUST_200600_302600_NS6detail15normal_iteratorINS9_10device_ptrIiEEEENSB_INSC_IjEEEESG_jNS9_4plusIvEENS9_8equal_toIvEEjEE10hipError_tPvRmT2_T3_T4_T5_mT6_T7_P12ihipStream_tbENKUlT_T0_E_clISt17integral_constantIbLb0EES11_EEDaSW_SX_EUlSW_E_NS1_11comp_targetILNS1_3genE2ELNS1_11target_archE906ELNS1_3gpuE6ELNS1_3repE0EEENS1_30default_config_static_selectorELNS0_4arch9wavefront6targetE0EEEvT1_, .Lfunc_end1504-_ZN7rocprim17ROCPRIM_400000_NS6detail17trampoline_kernelINS0_14default_configENS1_27scan_by_key_config_selectorIijEEZZNS1_16scan_by_key_implILNS1_25lookback_scan_determinismE0ELb1ES3_N6thrust23THRUST_200600_302600_NS6detail15normal_iteratorINS9_10device_ptrIiEEEENSB_INSC_IjEEEESG_jNS9_4plusIvEENS9_8equal_toIvEEjEE10hipError_tPvRmT2_T3_T4_T5_mT6_T7_P12ihipStream_tbENKUlT_T0_E_clISt17integral_constantIbLb0EES11_EEDaSW_SX_EUlSW_E_NS1_11comp_targetILNS1_3genE2ELNS1_11target_archE906ELNS1_3gpuE6ELNS1_3repE0EEENS1_30default_config_static_selectorELNS0_4arch9wavefront6targetE0EEEvT1_
                                        ; -- End function
	.set _ZN7rocprim17ROCPRIM_400000_NS6detail17trampoline_kernelINS0_14default_configENS1_27scan_by_key_config_selectorIijEEZZNS1_16scan_by_key_implILNS1_25lookback_scan_determinismE0ELb1ES3_N6thrust23THRUST_200600_302600_NS6detail15normal_iteratorINS9_10device_ptrIiEEEENSB_INSC_IjEEEESG_jNS9_4plusIvEENS9_8equal_toIvEEjEE10hipError_tPvRmT2_T3_T4_T5_mT6_T7_P12ihipStream_tbENKUlT_T0_E_clISt17integral_constantIbLb0EES11_EEDaSW_SX_EUlSW_E_NS1_11comp_targetILNS1_3genE2ELNS1_11target_archE906ELNS1_3gpuE6ELNS1_3repE0EEENS1_30default_config_static_selectorELNS0_4arch9wavefront6targetE0EEEvT1_.num_vgpr, 0
	.set _ZN7rocprim17ROCPRIM_400000_NS6detail17trampoline_kernelINS0_14default_configENS1_27scan_by_key_config_selectorIijEEZZNS1_16scan_by_key_implILNS1_25lookback_scan_determinismE0ELb1ES3_N6thrust23THRUST_200600_302600_NS6detail15normal_iteratorINS9_10device_ptrIiEEEENSB_INSC_IjEEEESG_jNS9_4plusIvEENS9_8equal_toIvEEjEE10hipError_tPvRmT2_T3_T4_T5_mT6_T7_P12ihipStream_tbENKUlT_T0_E_clISt17integral_constantIbLb0EES11_EEDaSW_SX_EUlSW_E_NS1_11comp_targetILNS1_3genE2ELNS1_11target_archE906ELNS1_3gpuE6ELNS1_3repE0EEENS1_30default_config_static_selectorELNS0_4arch9wavefront6targetE0EEEvT1_.num_agpr, 0
	.set _ZN7rocprim17ROCPRIM_400000_NS6detail17trampoline_kernelINS0_14default_configENS1_27scan_by_key_config_selectorIijEEZZNS1_16scan_by_key_implILNS1_25lookback_scan_determinismE0ELb1ES3_N6thrust23THRUST_200600_302600_NS6detail15normal_iteratorINS9_10device_ptrIiEEEENSB_INSC_IjEEEESG_jNS9_4plusIvEENS9_8equal_toIvEEjEE10hipError_tPvRmT2_T3_T4_T5_mT6_T7_P12ihipStream_tbENKUlT_T0_E_clISt17integral_constantIbLb0EES11_EEDaSW_SX_EUlSW_E_NS1_11comp_targetILNS1_3genE2ELNS1_11target_archE906ELNS1_3gpuE6ELNS1_3repE0EEENS1_30default_config_static_selectorELNS0_4arch9wavefront6targetE0EEEvT1_.numbered_sgpr, 0
	.set _ZN7rocprim17ROCPRIM_400000_NS6detail17trampoline_kernelINS0_14default_configENS1_27scan_by_key_config_selectorIijEEZZNS1_16scan_by_key_implILNS1_25lookback_scan_determinismE0ELb1ES3_N6thrust23THRUST_200600_302600_NS6detail15normal_iteratorINS9_10device_ptrIiEEEENSB_INSC_IjEEEESG_jNS9_4plusIvEENS9_8equal_toIvEEjEE10hipError_tPvRmT2_T3_T4_T5_mT6_T7_P12ihipStream_tbENKUlT_T0_E_clISt17integral_constantIbLb0EES11_EEDaSW_SX_EUlSW_E_NS1_11comp_targetILNS1_3genE2ELNS1_11target_archE906ELNS1_3gpuE6ELNS1_3repE0EEENS1_30default_config_static_selectorELNS0_4arch9wavefront6targetE0EEEvT1_.num_named_barrier, 0
	.set _ZN7rocprim17ROCPRIM_400000_NS6detail17trampoline_kernelINS0_14default_configENS1_27scan_by_key_config_selectorIijEEZZNS1_16scan_by_key_implILNS1_25lookback_scan_determinismE0ELb1ES3_N6thrust23THRUST_200600_302600_NS6detail15normal_iteratorINS9_10device_ptrIiEEEENSB_INSC_IjEEEESG_jNS9_4plusIvEENS9_8equal_toIvEEjEE10hipError_tPvRmT2_T3_T4_T5_mT6_T7_P12ihipStream_tbENKUlT_T0_E_clISt17integral_constantIbLb0EES11_EEDaSW_SX_EUlSW_E_NS1_11comp_targetILNS1_3genE2ELNS1_11target_archE906ELNS1_3gpuE6ELNS1_3repE0EEENS1_30default_config_static_selectorELNS0_4arch9wavefront6targetE0EEEvT1_.private_seg_size, 0
	.set _ZN7rocprim17ROCPRIM_400000_NS6detail17trampoline_kernelINS0_14default_configENS1_27scan_by_key_config_selectorIijEEZZNS1_16scan_by_key_implILNS1_25lookback_scan_determinismE0ELb1ES3_N6thrust23THRUST_200600_302600_NS6detail15normal_iteratorINS9_10device_ptrIiEEEENSB_INSC_IjEEEESG_jNS9_4plusIvEENS9_8equal_toIvEEjEE10hipError_tPvRmT2_T3_T4_T5_mT6_T7_P12ihipStream_tbENKUlT_T0_E_clISt17integral_constantIbLb0EES11_EEDaSW_SX_EUlSW_E_NS1_11comp_targetILNS1_3genE2ELNS1_11target_archE906ELNS1_3gpuE6ELNS1_3repE0EEENS1_30default_config_static_selectorELNS0_4arch9wavefront6targetE0EEEvT1_.uses_vcc, 0
	.set _ZN7rocprim17ROCPRIM_400000_NS6detail17trampoline_kernelINS0_14default_configENS1_27scan_by_key_config_selectorIijEEZZNS1_16scan_by_key_implILNS1_25lookback_scan_determinismE0ELb1ES3_N6thrust23THRUST_200600_302600_NS6detail15normal_iteratorINS9_10device_ptrIiEEEENSB_INSC_IjEEEESG_jNS9_4plusIvEENS9_8equal_toIvEEjEE10hipError_tPvRmT2_T3_T4_T5_mT6_T7_P12ihipStream_tbENKUlT_T0_E_clISt17integral_constantIbLb0EES11_EEDaSW_SX_EUlSW_E_NS1_11comp_targetILNS1_3genE2ELNS1_11target_archE906ELNS1_3gpuE6ELNS1_3repE0EEENS1_30default_config_static_selectorELNS0_4arch9wavefront6targetE0EEEvT1_.uses_flat_scratch, 0
	.set _ZN7rocprim17ROCPRIM_400000_NS6detail17trampoline_kernelINS0_14default_configENS1_27scan_by_key_config_selectorIijEEZZNS1_16scan_by_key_implILNS1_25lookback_scan_determinismE0ELb1ES3_N6thrust23THRUST_200600_302600_NS6detail15normal_iteratorINS9_10device_ptrIiEEEENSB_INSC_IjEEEESG_jNS9_4plusIvEENS9_8equal_toIvEEjEE10hipError_tPvRmT2_T3_T4_T5_mT6_T7_P12ihipStream_tbENKUlT_T0_E_clISt17integral_constantIbLb0EES11_EEDaSW_SX_EUlSW_E_NS1_11comp_targetILNS1_3genE2ELNS1_11target_archE906ELNS1_3gpuE6ELNS1_3repE0EEENS1_30default_config_static_selectorELNS0_4arch9wavefront6targetE0EEEvT1_.has_dyn_sized_stack, 0
	.set _ZN7rocprim17ROCPRIM_400000_NS6detail17trampoline_kernelINS0_14default_configENS1_27scan_by_key_config_selectorIijEEZZNS1_16scan_by_key_implILNS1_25lookback_scan_determinismE0ELb1ES3_N6thrust23THRUST_200600_302600_NS6detail15normal_iteratorINS9_10device_ptrIiEEEENSB_INSC_IjEEEESG_jNS9_4plusIvEENS9_8equal_toIvEEjEE10hipError_tPvRmT2_T3_T4_T5_mT6_T7_P12ihipStream_tbENKUlT_T0_E_clISt17integral_constantIbLb0EES11_EEDaSW_SX_EUlSW_E_NS1_11comp_targetILNS1_3genE2ELNS1_11target_archE906ELNS1_3gpuE6ELNS1_3repE0EEENS1_30default_config_static_selectorELNS0_4arch9wavefront6targetE0EEEvT1_.has_recursion, 0
	.set _ZN7rocprim17ROCPRIM_400000_NS6detail17trampoline_kernelINS0_14default_configENS1_27scan_by_key_config_selectorIijEEZZNS1_16scan_by_key_implILNS1_25lookback_scan_determinismE0ELb1ES3_N6thrust23THRUST_200600_302600_NS6detail15normal_iteratorINS9_10device_ptrIiEEEENSB_INSC_IjEEEESG_jNS9_4plusIvEENS9_8equal_toIvEEjEE10hipError_tPvRmT2_T3_T4_T5_mT6_T7_P12ihipStream_tbENKUlT_T0_E_clISt17integral_constantIbLb0EES11_EEDaSW_SX_EUlSW_E_NS1_11comp_targetILNS1_3genE2ELNS1_11target_archE906ELNS1_3gpuE6ELNS1_3repE0EEENS1_30default_config_static_selectorELNS0_4arch9wavefront6targetE0EEEvT1_.has_indirect_call, 0
	.section	.AMDGPU.csdata,"",@progbits
; Kernel info:
; codeLenInByte = 0
; TotalNumSgprs: 0
; NumVgprs: 0
; ScratchSize: 0
; MemoryBound: 0
; FloatMode: 240
; IeeeMode: 1
; LDSByteSize: 0 bytes/workgroup (compile time only)
; SGPRBlocks: 0
; VGPRBlocks: 0
; NumSGPRsForWavesPerEU: 1
; NumVGPRsForWavesPerEU: 1
; Occupancy: 16
; WaveLimiterHint : 0
; COMPUTE_PGM_RSRC2:SCRATCH_EN: 0
; COMPUTE_PGM_RSRC2:USER_SGPR: 6
; COMPUTE_PGM_RSRC2:TRAP_HANDLER: 0
; COMPUTE_PGM_RSRC2:TGID_X_EN: 1
; COMPUTE_PGM_RSRC2:TGID_Y_EN: 0
; COMPUTE_PGM_RSRC2:TGID_Z_EN: 0
; COMPUTE_PGM_RSRC2:TIDIG_COMP_CNT: 0
	.section	.text._ZN7rocprim17ROCPRIM_400000_NS6detail17trampoline_kernelINS0_14default_configENS1_27scan_by_key_config_selectorIijEEZZNS1_16scan_by_key_implILNS1_25lookback_scan_determinismE0ELb1ES3_N6thrust23THRUST_200600_302600_NS6detail15normal_iteratorINS9_10device_ptrIiEEEENSB_INSC_IjEEEESG_jNS9_4plusIvEENS9_8equal_toIvEEjEE10hipError_tPvRmT2_T3_T4_T5_mT6_T7_P12ihipStream_tbENKUlT_T0_E_clISt17integral_constantIbLb0EES11_EEDaSW_SX_EUlSW_E_NS1_11comp_targetILNS1_3genE10ELNS1_11target_archE1200ELNS1_3gpuE4ELNS1_3repE0EEENS1_30default_config_static_selectorELNS0_4arch9wavefront6targetE0EEEvT1_,"axG",@progbits,_ZN7rocprim17ROCPRIM_400000_NS6detail17trampoline_kernelINS0_14default_configENS1_27scan_by_key_config_selectorIijEEZZNS1_16scan_by_key_implILNS1_25lookback_scan_determinismE0ELb1ES3_N6thrust23THRUST_200600_302600_NS6detail15normal_iteratorINS9_10device_ptrIiEEEENSB_INSC_IjEEEESG_jNS9_4plusIvEENS9_8equal_toIvEEjEE10hipError_tPvRmT2_T3_T4_T5_mT6_T7_P12ihipStream_tbENKUlT_T0_E_clISt17integral_constantIbLb0EES11_EEDaSW_SX_EUlSW_E_NS1_11comp_targetILNS1_3genE10ELNS1_11target_archE1200ELNS1_3gpuE4ELNS1_3repE0EEENS1_30default_config_static_selectorELNS0_4arch9wavefront6targetE0EEEvT1_,comdat
	.protected	_ZN7rocprim17ROCPRIM_400000_NS6detail17trampoline_kernelINS0_14default_configENS1_27scan_by_key_config_selectorIijEEZZNS1_16scan_by_key_implILNS1_25lookback_scan_determinismE0ELb1ES3_N6thrust23THRUST_200600_302600_NS6detail15normal_iteratorINS9_10device_ptrIiEEEENSB_INSC_IjEEEESG_jNS9_4plusIvEENS9_8equal_toIvEEjEE10hipError_tPvRmT2_T3_T4_T5_mT6_T7_P12ihipStream_tbENKUlT_T0_E_clISt17integral_constantIbLb0EES11_EEDaSW_SX_EUlSW_E_NS1_11comp_targetILNS1_3genE10ELNS1_11target_archE1200ELNS1_3gpuE4ELNS1_3repE0EEENS1_30default_config_static_selectorELNS0_4arch9wavefront6targetE0EEEvT1_ ; -- Begin function _ZN7rocprim17ROCPRIM_400000_NS6detail17trampoline_kernelINS0_14default_configENS1_27scan_by_key_config_selectorIijEEZZNS1_16scan_by_key_implILNS1_25lookback_scan_determinismE0ELb1ES3_N6thrust23THRUST_200600_302600_NS6detail15normal_iteratorINS9_10device_ptrIiEEEENSB_INSC_IjEEEESG_jNS9_4plusIvEENS9_8equal_toIvEEjEE10hipError_tPvRmT2_T3_T4_T5_mT6_T7_P12ihipStream_tbENKUlT_T0_E_clISt17integral_constantIbLb0EES11_EEDaSW_SX_EUlSW_E_NS1_11comp_targetILNS1_3genE10ELNS1_11target_archE1200ELNS1_3gpuE4ELNS1_3repE0EEENS1_30default_config_static_selectorELNS0_4arch9wavefront6targetE0EEEvT1_
	.globl	_ZN7rocprim17ROCPRIM_400000_NS6detail17trampoline_kernelINS0_14default_configENS1_27scan_by_key_config_selectorIijEEZZNS1_16scan_by_key_implILNS1_25lookback_scan_determinismE0ELb1ES3_N6thrust23THRUST_200600_302600_NS6detail15normal_iteratorINS9_10device_ptrIiEEEENSB_INSC_IjEEEESG_jNS9_4plusIvEENS9_8equal_toIvEEjEE10hipError_tPvRmT2_T3_T4_T5_mT6_T7_P12ihipStream_tbENKUlT_T0_E_clISt17integral_constantIbLb0EES11_EEDaSW_SX_EUlSW_E_NS1_11comp_targetILNS1_3genE10ELNS1_11target_archE1200ELNS1_3gpuE4ELNS1_3repE0EEENS1_30default_config_static_selectorELNS0_4arch9wavefront6targetE0EEEvT1_
	.p2align	8
	.type	_ZN7rocprim17ROCPRIM_400000_NS6detail17trampoline_kernelINS0_14default_configENS1_27scan_by_key_config_selectorIijEEZZNS1_16scan_by_key_implILNS1_25lookback_scan_determinismE0ELb1ES3_N6thrust23THRUST_200600_302600_NS6detail15normal_iteratorINS9_10device_ptrIiEEEENSB_INSC_IjEEEESG_jNS9_4plusIvEENS9_8equal_toIvEEjEE10hipError_tPvRmT2_T3_T4_T5_mT6_T7_P12ihipStream_tbENKUlT_T0_E_clISt17integral_constantIbLb0EES11_EEDaSW_SX_EUlSW_E_NS1_11comp_targetILNS1_3genE10ELNS1_11target_archE1200ELNS1_3gpuE4ELNS1_3repE0EEENS1_30default_config_static_selectorELNS0_4arch9wavefront6targetE0EEEvT1_,@function
_ZN7rocprim17ROCPRIM_400000_NS6detail17trampoline_kernelINS0_14default_configENS1_27scan_by_key_config_selectorIijEEZZNS1_16scan_by_key_implILNS1_25lookback_scan_determinismE0ELb1ES3_N6thrust23THRUST_200600_302600_NS6detail15normal_iteratorINS9_10device_ptrIiEEEENSB_INSC_IjEEEESG_jNS9_4plusIvEENS9_8equal_toIvEEjEE10hipError_tPvRmT2_T3_T4_T5_mT6_T7_P12ihipStream_tbENKUlT_T0_E_clISt17integral_constantIbLb0EES11_EEDaSW_SX_EUlSW_E_NS1_11comp_targetILNS1_3genE10ELNS1_11target_archE1200ELNS1_3gpuE4ELNS1_3repE0EEENS1_30default_config_static_selectorELNS0_4arch9wavefront6targetE0EEEvT1_: ; @_ZN7rocprim17ROCPRIM_400000_NS6detail17trampoline_kernelINS0_14default_configENS1_27scan_by_key_config_selectorIijEEZZNS1_16scan_by_key_implILNS1_25lookback_scan_determinismE0ELb1ES3_N6thrust23THRUST_200600_302600_NS6detail15normal_iteratorINS9_10device_ptrIiEEEENSB_INSC_IjEEEESG_jNS9_4plusIvEENS9_8equal_toIvEEjEE10hipError_tPvRmT2_T3_T4_T5_mT6_T7_P12ihipStream_tbENKUlT_T0_E_clISt17integral_constantIbLb0EES11_EEDaSW_SX_EUlSW_E_NS1_11comp_targetILNS1_3genE10ELNS1_11target_archE1200ELNS1_3gpuE4ELNS1_3repE0EEENS1_30default_config_static_selectorELNS0_4arch9wavefront6targetE0EEEvT1_
; %bb.0:
	.section	.rodata,"a",@progbits
	.p2align	6, 0x0
	.amdhsa_kernel _ZN7rocprim17ROCPRIM_400000_NS6detail17trampoline_kernelINS0_14default_configENS1_27scan_by_key_config_selectorIijEEZZNS1_16scan_by_key_implILNS1_25lookback_scan_determinismE0ELb1ES3_N6thrust23THRUST_200600_302600_NS6detail15normal_iteratorINS9_10device_ptrIiEEEENSB_INSC_IjEEEESG_jNS9_4plusIvEENS9_8equal_toIvEEjEE10hipError_tPvRmT2_T3_T4_T5_mT6_T7_P12ihipStream_tbENKUlT_T0_E_clISt17integral_constantIbLb0EES11_EEDaSW_SX_EUlSW_E_NS1_11comp_targetILNS1_3genE10ELNS1_11target_archE1200ELNS1_3gpuE4ELNS1_3repE0EEENS1_30default_config_static_selectorELNS0_4arch9wavefront6targetE0EEEvT1_
		.amdhsa_group_segment_fixed_size 0
		.amdhsa_private_segment_fixed_size 0
		.amdhsa_kernarg_size 112
		.amdhsa_user_sgpr_count 6
		.amdhsa_user_sgpr_private_segment_buffer 1
		.amdhsa_user_sgpr_dispatch_ptr 0
		.amdhsa_user_sgpr_queue_ptr 0
		.amdhsa_user_sgpr_kernarg_segment_ptr 1
		.amdhsa_user_sgpr_dispatch_id 0
		.amdhsa_user_sgpr_flat_scratch_init 0
		.amdhsa_user_sgpr_private_segment_size 0
		.amdhsa_wavefront_size32 1
		.amdhsa_uses_dynamic_stack 0
		.amdhsa_system_sgpr_private_segment_wavefront_offset 0
		.amdhsa_system_sgpr_workgroup_id_x 1
		.amdhsa_system_sgpr_workgroup_id_y 0
		.amdhsa_system_sgpr_workgroup_id_z 0
		.amdhsa_system_sgpr_workgroup_info 0
		.amdhsa_system_vgpr_workitem_id 0
		.amdhsa_next_free_vgpr 1
		.amdhsa_next_free_sgpr 1
		.amdhsa_reserve_vcc 0
		.amdhsa_reserve_flat_scratch 0
		.amdhsa_float_round_mode_32 0
		.amdhsa_float_round_mode_16_64 0
		.amdhsa_float_denorm_mode_32 3
		.amdhsa_float_denorm_mode_16_64 3
		.amdhsa_dx10_clamp 1
		.amdhsa_ieee_mode 1
		.amdhsa_fp16_overflow 0
		.amdhsa_workgroup_processor_mode 1
		.amdhsa_memory_ordered 1
		.amdhsa_forward_progress 1
		.amdhsa_shared_vgpr_count 0
		.amdhsa_exception_fp_ieee_invalid_op 0
		.amdhsa_exception_fp_denorm_src 0
		.amdhsa_exception_fp_ieee_div_zero 0
		.amdhsa_exception_fp_ieee_overflow 0
		.amdhsa_exception_fp_ieee_underflow 0
		.amdhsa_exception_fp_ieee_inexact 0
		.amdhsa_exception_int_div_zero 0
	.end_amdhsa_kernel
	.section	.text._ZN7rocprim17ROCPRIM_400000_NS6detail17trampoline_kernelINS0_14default_configENS1_27scan_by_key_config_selectorIijEEZZNS1_16scan_by_key_implILNS1_25lookback_scan_determinismE0ELb1ES3_N6thrust23THRUST_200600_302600_NS6detail15normal_iteratorINS9_10device_ptrIiEEEENSB_INSC_IjEEEESG_jNS9_4plusIvEENS9_8equal_toIvEEjEE10hipError_tPvRmT2_T3_T4_T5_mT6_T7_P12ihipStream_tbENKUlT_T0_E_clISt17integral_constantIbLb0EES11_EEDaSW_SX_EUlSW_E_NS1_11comp_targetILNS1_3genE10ELNS1_11target_archE1200ELNS1_3gpuE4ELNS1_3repE0EEENS1_30default_config_static_selectorELNS0_4arch9wavefront6targetE0EEEvT1_,"axG",@progbits,_ZN7rocprim17ROCPRIM_400000_NS6detail17trampoline_kernelINS0_14default_configENS1_27scan_by_key_config_selectorIijEEZZNS1_16scan_by_key_implILNS1_25lookback_scan_determinismE0ELb1ES3_N6thrust23THRUST_200600_302600_NS6detail15normal_iteratorINS9_10device_ptrIiEEEENSB_INSC_IjEEEESG_jNS9_4plusIvEENS9_8equal_toIvEEjEE10hipError_tPvRmT2_T3_T4_T5_mT6_T7_P12ihipStream_tbENKUlT_T0_E_clISt17integral_constantIbLb0EES11_EEDaSW_SX_EUlSW_E_NS1_11comp_targetILNS1_3genE10ELNS1_11target_archE1200ELNS1_3gpuE4ELNS1_3repE0EEENS1_30default_config_static_selectorELNS0_4arch9wavefront6targetE0EEEvT1_,comdat
.Lfunc_end1505:
	.size	_ZN7rocprim17ROCPRIM_400000_NS6detail17trampoline_kernelINS0_14default_configENS1_27scan_by_key_config_selectorIijEEZZNS1_16scan_by_key_implILNS1_25lookback_scan_determinismE0ELb1ES3_N6thrust23THRUST_200600_302600_NS6detail15normal_iteratorINS9_10device_ptrIiEEEENSB_INSC_IjEEEESG_jNS9_4plusIvEENS9_8equal_toIvEEjEE10hipError_tPvRmT2_T3_T4_T5_mT6_T7_P12ihipStream_tbENKUlT_T0_E_clISt17integral_constantIbLb0EES11_EEDaSW_SX_EUlSW_E_NS1_11comp_targetILNS1_3genE10ELNS1_11target_archE1200ELNS1_3gpuE4ELNS1_3repE0EEENS1_30default_config_static_selectorELNS0_4arch9wavefront6targetE0EEEvT1_, .Lfunc_end1505-_ZN7rocprim17ROCPRIM_400000_NS6detail17trampoline_kernelINS0_14default_configENS1_27scan_by_key_config_selectorIijEEZZNS1_16scan_by_key_implILNS1_25lookback_scan_determinismE0ELb1ES3_N6thrust23THRUST_200600_302600_NS6detail15normal_iteratorINS9_10device_ptrIiEEEENSB_INSC_IjEEEESG_jNS9_4plusIvEENS9_8equal_toIvEEjEE10hipError_tPvRmT2_T3_T4_T5_mT6_T7_P12ihipStream_tbENKUlT_T0_E_clISt17integral_constantIbLb0EES11_EEDaSW_SX_EUlSW_E_NS1_11comp_targetILNS1_3genE10ELNS1_11target_archE1200ELNS1_3gpuE4ELNS1_3repE0EEENS1_30default_config_static_selectorELNS0_4arch9wavefront6targetE0EEEvT1_
                                        ; -- End function
	.set _ZN7rocprim17ROCPRIM_400000_NS6detail17trampoline_kernelINS0_14default_configENS1_27scan_by_key_config_selectorIijEEZZNS1_16scan_by_key_implILNS1_25lookback_scan_determinismE0ELb1ES3_N6thrust23THRUST_200600_302600_NS6detail15normal_iteratorINS9_10device_ptrIiEEEENSB_INSC_IjEEEESG_jNS9_4plusIvEENS9_8equal_toIvEEjEE10hipError_tPvRmT2_T3_T4_T5_mT6_T7_P12ihipStream_tbENKUlT_T0_E_clISt17integral_constantIbLb0EES11_EEDaSW_SX_EUlSW_E_NS1_11comp_targetILNS1_3genE10ELNS1_11target_archE1200ELNS1_3gpuE4ELNS1_3repE0EEENS1_30default_config_static_selectorELNS0_4arch9wavefront6targetE0EEEvT1_.num_vgpr, 0
	.set _ZN7rocprim17ROCPRIM_400000_NS6detail17trampoline_kernelINS0_14default_configENS1_27scan_by_key_config_selectorIijEEZZNS1_16scan_by_key_implILNS1_25lookback_scan_determinismE0ELb1ES3_N6thrust23THRUST_200600_302600_NS6detail15normal_iteratorINS9_10device_ptrIiEEEENSB_INSC_IjEEEESG_jNS9_4plusIvEENS9_8equal_toIvEEjEE10hipError_tPvRmT2_T3_T4_T5_mT6_T7_P12ihipStream_tbENKUlT_T0_E_clISt17integral_constantIbLb0EES11_EEDaSW_SX_EUlSW_E_NS1_11comp_targetILNS1_3genE10ELNS1_11target_archE1200ELNS1_3gpuE4ELNS1_3repE0EEENS1_30default_config_static_selectorELNS0_4arch9wavefront6targetE0EEEvT1_.num_agpr, 0
	.set _ZN7rocprim17ROCPRIM_400000_NS6detail17trampoline_kernelINS0_14default_configENS1_27scan_by_key_config_selectorIijEEZZNS1_16scan_by_key_implILNS1_25lookback_scan_determinismE0ELb1ES3_N6thrust23THRUST_200600_302600_NS6detail15normal_iteratorINS9_10device_ptrIiEEEENSB_INSC_IjEEEESG_jNS9_4plusIvEENS9_8equal_toIvEEjEE10hipError_tPvRmT2_T3_T4_T5_mT6_T7_P12ihipStream_tbENKUlT_T0_E_clISt17integral_constantIbLb0EES11_EEDaSW_SX_EUlSW_E_NS1_11comp_targetILNS1_3genE10ELNS1_11target_archE1200ELNS1_3gpuE4ELNS1_3repE0EEENS1_30default_config_static_selectorELNS0_4arch9wavefront6targetE0EEEvT1_.numbered_sgpr, 0
	.set _ZN7rocprim17ROCPRIM_400000_NS6detail17trampoline_kernelINS0_14default_configENS1_27scan_by_key_config_selectorIijEEZZNS1_16scan_by_key_implILNS1_25lookback_scan_determinismE0ELb1ES3_N6thrust23THRUST_200600_302600_NS6detail15normal_iteratorINS9_10device_ptrIiEEEENSB_INSC_IjEEEESG_jNS9_4plusIvEENS9_8equal_toIvEEjEE10hipError_tPvRmT2_T3_T4_T5_mT6_T7_P12ihipStream_tbENKUlT_T0_E_clISt17integral_constantIbLb0EES11_EEDaSW_SX_EUlSW_E_NS1_11comp_targetILNS1_3genE10ELNS1_11target_archE1200ELNS1_3gpuE4ELNS1_3repE0EEENS1_30default_config_static_selectorELNS0_4arch9wavefront6targetE0EEEvT1_.num_named_barrier, 0
	.set _ZN7rocprim17ROCPRIM_400000_NS6detail17trampoline_kernelINS0_14default_configENS1_27scan_by_key_config_selectorIijEEZZNS1_16scan_by_key_implILNS1_25lookback_scan_determinismE0ELb1ES3_N6thrust23THRUST_200600_302600_NS6detail15normal_iteratorINS9_10device_ptrIiEEEENSB_INSC_IjEEEESG_jNS9_4plusIvEENS9_8equal_toIvEEjEE10hipError_tPvRmT2_T3_T4_T5_mT6_T7_P12ihipStream_tbENKUlT_T0_E_clISt17integral_constantIbLb0EES11_EEDaSW_SX_EUlSW_E_NS1_11comp_targetILNS1_3genE10ELNS1_11target_archE1200ELNS1_3gpuE4ELNS1_3repE0EEENS1_30default_config_static_selectorELNS0_4arch9wavefront6targetE0EEEvT1_.private_seg_size, 0
	.set _ZN7rocprim17ROCPRIM_400000_NS6detail17trampoline_kernelINS0_14default_configENS1_27scan_by_key_config_selectorIijEEZZNS1_16scan_by_key_implILNS1_25lookback_scan_determinismE0ELb1ES3_N6thrust23THRUST_200600_302600_NS6detail15normal_iteratorINS9_10device_ptrIiEEEENSB_INSC_IjEEEESG_jNS9_4plusIvEENS9_8equal_toIvEEjEE10hipError_tPvRmT2_T3_T4_T5_mT6_T7_P12ihipStream_tbENKUlT_T0_E_clISt17integral_constantIbLb0EES11_EEDaSW_SX_EUlSW_E_NS1_11comp_targetILNS1_3genE10ELNS1_11target_archE1200ELNS1_3gpuE4ELNS1_3repE0EEENS1_30default_config_static_selectorELNS0_4arch9wavefront6targetE0EEEvT1_.uses_vcc, 0
	.set _ZN7rocprim17ROCPRIM_400000_NS6detail17trampoline_kernelINS0_14default_configENS1_27scan_by_key_config_selectorIijEEZZNS1_16scan_by_key_implILNS1_25lookback_scan_determinismE0ELb1ES3_N6thrust23THRUST_200600_302600_NS6detail15normal_iteratorINS9_10device_ptrIiEEEENSB_INSC_IjEEEESG_jNS9_4plusIvEENS9_8equal_toIvEEjEE10hipError_tPvRmT2_T3_T4_T5_mT6_T7_P12ihipStream_tbENKUlT_T0_E_clISt17integral_constantIbLb0EES11_EEDaSW_SX_EUlSW_E_NS1_11comp_targetILNS1_3genE10ELNS1_11target_archE1200ELNS1_3gpuE4ELNS1_3repE0EEENS1_30default_config_static_selectorELNS0_4arch9wavefront6targetE0EEEvT1_.uses_flat_scratch, 0
	.set _ZN7rocprim17ROCPRIM_400000_NS6detail17trampoline_kernelINS0_14default_configENS1_27scan_by_key_config_selectorIijEEZZNS1_16scan_by_key_implILNS1_25lookback_scan_determinismE0ELb1ES3_N6thrust23THRUST_200600_302600_NS6detail15normal_iteratorINS9_10device_ptrIiEEEENSB_INSC_IjEEEESG_jNS9_4plusIvEENS9_8equal_toIvEEjEE10hipError_tPvRmT2_T3_T4_T5_mT6_T7_P12ihipStream_tbENKUlT_T0_E_clISt17integral_constantIbLb0EES11_EEDaSW_SX_EUlSW_E_NS1_11comp_targetILNS1_3genE10ELNS1_11target_archE1200ELNS1_3gpuE4ELNS1_3repE0EEENS1_30default_config_static_selectorELNS0_4arch9wavefront6targetE0EEEvT1_.has_dyn_sized_stack, 0
	.set _ZN7rocprim17ROCPRIM_400000_NS6detail17trampoline_kernelINS0_14default_configENS1_27scan_by_key_config_selectorIijEEZZNS1_16scan_by_key_implILNS1_25lookback_scan_determinismE0ELb1ES3_N6thrust23THRUST_200600_302600_NS6detail15normal_iteratorINS9_10device_ptrIiEEEENSB_INSC_IjEEEESG_jNS9_4plusIvEENS9_8equal_toIvEEjEE10hipError_tPvRmT2_T3_T4_T5_mT6_T7_P12ihipStream_tbENKUlT_T0_E_clISt17integral_constantIbLb0EES11_EEDaSW_SX_EUlSW_E_NS1_11comp_targetILNS1_3genE10ELNS1_11target_archE1200ELNS1_3gpuE4ELNS1_3repE0EEENS1_30default_config_static_selectorELNS0_4arch9wavefront6targetE0EEEvT1_.has_recursion, 0
	.set _ZN7rocprim17ROCPRIM_400000_NS6detail17trampoline_kernelINS0_14default_configENS1_27scan_by_key_config_selectorIijEEZZNS1_16scan_by_key_implILNS1_25lookback_scan_determinismE0ELb1ES3_N6thrust23THRUST_200600_302600_NS6detail15normal_iteratorINS9_10device_ptrIiEEEENSB_INSC_IjEEEESG_jNS9_4plusIvEENS9_8equal_toIvEEjEE10hipError_tPvRmT2_T3_T4_T5_mT6_T7_P12ihipStream_tbENKUlT_T0_E_clISt17integral_constantIbLb0EES11_EEDaSW_SX_EUlSW_E_NS1_11comp_targetILNS1_3genE10ELNS1_11target_archE1200ELNS1_3gpuE4ELNS1_3repE0EEENS1_30default_config_static_selectorELNS0_4arch9wavefront6targetE0EEEvT1_.has_indirect_call, 0
	.section	.AMDGPU.csdata,"",@progbits
; Kernel info:
; codeLenInByte = 0
; TotalNumSgprs: 0
; NumVgprs: 0
; ScratchSize: 0
; MemoryBound: 0
; FloatMode: 240
; IeeeMode: 1
; LDSByteSize: 0 bytes/workgroup (compile time only)
; SGPRBlocks: 0
; VGPRBlocks: 0
; NumSGPRsForWavesPerEU: 1
; NumVGPRsForWavesPerEU: 1
; Occupancy: 16
; WaveLimiterHint : 0
; COMPUTE_PGM_RSRC2:SCRATCH_EN: 0
; COMPUTE_PGM_RSRC2:USER_SGPR: 6
; COMPUTE_PGM_RSRC2:TRAP_HANDLER: 0
; COMPUTE_PGM_RSRC2:TGID_X_EN: 1
; COMPUTE_PGM_RSRC2:TGID_Y_EN: 0
; COMPUTE_PGM_RSRC2:TGID_Z_EN: 0
; COMPUTE_PGM_RSRC2:TIDIG_COMP_CNT: 0
	.section	.text._ZN7rocprim17ROCPRIM_400000_NS6detail17trampoline_kernelINS0_14default_configENS1_27scan_by_key_config_selectorIijEEZZNS1_16scan_by_key_implILNS1_25lookback_scan_determinismE0ELb1ES3_N6thrust23THRUST_200600_302600_NS6detail15normal_iteratorINS9_10device_ptrIiEEEENSB_INSC_IjEEEESG_jNS9_4plusIvEENS9_8equal_toIvEEjEE10hipError_tPvRmT2_T3_T4_T5_mT6_T7_P12ihipStream_tbENKUlT_T0_E_clISt17integral_constantIbLb0EES11_EEDaSW_SX_EUlSW_E_NS1_11comp_targetILNS1_3genE9ELNS1_11target_archE1100ELNS1_3gpuE3ELNS1_3repE0EEENS1_30default_config_static_selectorELNS0_4arch9wavefront6targetE0EEEvT1_,"axG",@progbits,_ZN7rocprim17ROCPRIM_400000_NS6detail17trampoline_kernelINS0_14default_configENS1_27scan_by_key_config_selectorIijEEZZNS1_16scan_by_key_implILNS1_25lookback_scan_determinismE0ELb1ES3_N6thrust23THRUST_200600_302600_NS6detail15normal_iteratorINS9_10device_ptrIiEEEENSB_INSC_IjEEEESG_jNS9_4plusIvEENS9_8equal_toIvEEjEE10hipError_tPvRmT2_T3_T4_T5_mT6_T7_P12ihipStream_tbENKUlT_T0_E_clISt17integral_constantIbLb0EES11_EEDaSW_SX_EUlSW_E_NS1_11comp_targetILNS1_3genE9ELNS1_11target_archE1100ELNS1_3gpuE3ELNS1_3repE0EEENS1_30default_config_static_selectorELNS0_4arch9wavefront6targetE0EEEvT1_,comdat
	.protected	_ZN7rocprim17ROCPRIM_400000_NS6detail17trampoline_kernelINS0_14default_configENS1_27scan_by_key_config_selectorIijEEZZNS1_16scan_by_key_implILNS1_25lookback_scan_determinismE0ELb1ES3_N6thrust23THRUST_200600_302600_NS6detail15normal_iteratorINS9_10device_ptrIiEEEENSB_INSC_IjEEEESG_jNS9_4plusIvEENS9_8equal_toIvEEjEE10hipError_tPvRmT2_T3_T4_T5_mT6_T7_P12ihipStream_tbENKUlT_T0_E_clISt17integral_constantIbLb0EES11_EEDaSW_SX_EUlSW_E_NS1_11comp_targetILNS1_3genE9ELNS1_11target_archE1100ELNS1_3gpuE3ELNS1_3repE0EEENS1_30default_config_static_selectorELNS0_4arch9wavefront6targetE0EEEvT1_ ; -- Begin function _ZN7rocprim17ROCPRIM_400000_NS6detail17trampoline_kernelINS0_14default_configENS1_27scan_by_key_config_selectorIijEEZZNS1_16scan_by_key_implILNS1_25lookback_scan_determinismE0ELb1ES3_N6thrust23THRUST_200600_302600_NS6detail15normal_iteratorINS9_10device_ptrIiEEEENSB_INSC_IjEEEESG_jNS9_4plusIvEENS9_8equal_toIvEEjEE10hipError_tPvRmT2_T3_T4_T5_mT6_T7_P12ihipStream_tbENKUlT_T0_E_clISt17integral_constantIbLb0EES11_EEDaSW_SX_EUlSW_E_NS1_11comp_targetILNS1_3genE9ELNS1_11target_archE1100ELNS1_3gpuE3ELNS1_3repE0EEENS1_30default_config_static_selectorELNS0_4arch9wavefront6targetE0EEEvT1_
	.globl	_ZN7rocprim17ROCPRIM_400000_NS6detail17trampoline_kernelINS0_14default_configENS1_27scan_by_key_config_selectorIijEEZZNS1_16scan_by_key_implILNS1_25lookback_scan_determinismE0ELb1ES3_N6thrust23THRUST_200600_302600_NS6detail15normal_iteratorINS9_10device_ptrIiEEEENSB_INSC_IjEEEESG_jNS9_4plusIvEENS9_8equal_toIvEEjEE10hipError_tPvRmT2_T3_T4_T5_mT6_T7_P12ihipStream_tbENKUlT_T0_E_clISt17integral_constantIbLb0EES11_EEDaSW_SX_EUlSW_E_NS1_11comp_targetILNS1_3genE9ELNS1_11target_archE1100ELNS1_3gpuE3ELNS1_3repE0EEENS1_30default_config_static_selectorELNS0_4arch9wavefront6targetE0EEEvT1_
	.p2align	8
	.type	_ZN7rocprim17ROCPRIM_400000_NS6detail17trampoline_kernelINS0_14default_configENS1_27scan_by_key_config_selectorIijEEZZNS1_16scan_by_key_implILNS1_25lookback_scan_determinismE0ELb1ES3_N6thrust23THRUST_200600_302600_NS6detail15normal_iteratorINS9_10device_ptrIiEEEENSB_INSC_IjEEEESG_jNS9_4plusIvEENS9_8equal_toIvEEjEE10hipError_tPvRmT2_T3_T4_T5_mT6_T7_P12ihipStream_tbENKUlT_T0_E_clISt17integral_constantIbLb0EES11_EEDaSW_SX_EUlSW_E_NS1_11comp_targetILNS1_3genE9ELNS1_11target_archE1100ELNS1_3gpuE3ELNS1_3repE0EEENS1_30default_config_static_selectorELNS0_4arch9wavefront6targetE0EEEvT1_,@function
_ZN7rocprim17ROCPRIM_400000_NS6detail17trampoline_kernelINS0_14default_configENS1_27scan_by_key_config_selectorIijEEZZNS1_16scan_by_key_implILNS1_25lookback_scan_determinismE0ELb1ES3_N6thrust23THRUST_200600_302600_NS6detail15normal_iteratorINS9_10device_ptrIiEEEENSB_INSC_IjEEEESG_jNS9_4plusIvEENS9_8equal_toIvEEjEE10hipError_tPvRmT2_T3_T4_T5_mT6_T7_P12ihipStream_tbENKUlT_T0_E_clISt17integral_constantIbLb0EES11_EEDaSW_SX_EUlSW_E_NS1_11comp_targetILNS1_3genE9ELNS1_11target_archE1100ELNS1_3gpuE3ELNS1_3repE0EEENS1_30default_config_static_selectorELNS0_4arch9wavefront6targetE0EEEvT1_: ; @_ZN7rocprim17ROCPRIM_400000_NS6detail17trampoline_kernelINS0_14default_configENS1_27scan_by_key_config_selectorIijEEZZNS1_16scan_by_key_implILNS1_25lookback_scan_determinismE0ELb1ES3_N6thrust23THRUST_200600_302600_NS6detail15normal_iteratorINS9_10device_ptrIiEEEENSB_INSC_IjEEEESG_jNS9_4plusIvEENS9_8equal_toIvEEjEE10hipError_tPvRmT2_T3_T4_T5_mT6_T7_P12ihipStream_tbENKUlT_T0_E_clISt17integral_constantIbLb0EES11_EEDaSW_SX_EUlSW_E_NS1_11comp_targetILNS1_3genE9ELNS1_11target_archE1100ELNS1_3gpuE3ELNS1_3repE0EEENS1_30default_config_static_selectorELNS0_4arch9wavefront6targetE0EEEvT1_
; %bb.0:
	.section	.rodata,"a",@progbits
	.p2align	6, 0x0
	.amdhsa_kernel _ZN7rocprim17ROCPRIM_400000_NS6detail17trampoline_kernelINS0_14default_configENS1_27scan_by_key_config_selectorIijEEZZNS1_16scan_by_key_implILNS1_25lookback_scan_determinismE0ELb1ES3_N6thrust23THRUST_200600_302600_NS6detail15normal_iteratorINS9_10device_ptrIiEEEENSB_INSC_IjEEEESG_jNS9_4plusIvEENS9_8equal_toIvEEjEE10hipError_tPvRmT2_T3_T4_T5_mT6_T7_P12ihipStream_tbENKUlT_T0_E_clISt17integral_constantIbLb0EES11_EEDaSW_SX_EUlSW_E_NS1_11comp_targetILNS1_3genE9ELNS1_11target_archE1100ELNS1_3gpuE3ELNS1_3repE0EEENS1_30default_config_static_selectorELNS0_4arch9wavefront6targetE0EEEvT1_
		.amdhsa_group_segment_fixed_size 0
		.amdhsa_private_segment_fixed_size 0
		.amdhsa_kernarg_size 112
		.amdhsa_user_sgpr_count 6
		.amdhsa_user_sgpr_private_segment_buffer 1
		.amdhsa_user_sgpr_dispatch_ptr 0
		.amdhsa_user_sgpr_queue_ptr 0
		.amdhsa_user_sgpr_kernarg_segment_ptr 1
		.amdhsa_user_sgpr_dispatch_id 0
		.amdhsa_user_sgpr_flat_scratch_init 0
		.amdhsa_user_sgpr_private_segment_size 0
		.amdhsa_wavefront_size32 1
		.amdhsa_uses_dynamic_stack 0
		.amdhsa_system_sgpr_private_segment_wavefront_offset 0
		.amdhsa_system_sgpr_workgroup_id_x 1
		.amdhsa_system_sgpr_workgroup_id_y 0
		.amdhsa_system_sgpr_workgroup_id_z 0
		.amdhsa_system_sgpr_workgroup_info 0
		.amdhsa_system_vgpr_workitem_id 0
		.amdhsa_next_free_vgpr 1
		.amdhsa_next_free_sgpr 1
		.amdhsa_reserve_vcc 0
		.amdhsa_reserve_flat_scratch 0
		.amdhsa_float_round_mode_32 0
		.amdhsa_float_round_mode_16_64 0
		.amdhsa_float_denorm_mode_32 3
		.amdhsa_float_denorm_mode_16_64 3
		.amdhsa_dx10_clamp 1
		.amdhsa_ieee_mode 1
		.amdhsa_fp16_overflow 0
		.amdhsa_workgroup_processor_mode 1
		.amdhsa_memory_ordered 1
		.amdhsa_forward_progress 1
		.amdhsa_shared_vgpr_count 0
		.amdhsa_exception_fp_ieee_invalid_op 0
		.amdhsa_exception_fp_denorm_src 0
		.amdhsa_exception_fp_ieee_div_zero 0
		.amdhsa_exception_fp_ieee_overflow 0
		.amdhsa_exception_fp_ieee_underflow 0
		.amdhsa_exception_fp_ieee_inexact 0
		.amdhsa_exception_int_div_zero 0
	.end_amdhsa_kernel
	.section	.text._ZN7rocprim17ROCPRIM_400000_NS6detail17trampoline_kernelINS0_14default_configENS1_27scan_by_key_config_selectorIijEEZZNS1_16scan_by_key_implILNS1_25lookback_scan_determinismE0ELb1ES3_N6thrust23THRUST_200600_302600_NS6detail15normal_iteratorINS9_10device_ptrIiEEEENSB_INSC_IjEEEESG_jNS9_4plusIvEENS9_8equal_toIvEEjEE10hipError_tPvRmT2_T3_T4_T5_mT6_T7_P12ihipStream_tbENKUlT_T0_E_clISt17integral_constantIbLb0EES11_EEDaSW_SX_EUlSW_E_NS1_11comp_targetILNS1_3genE9ELNS1_11target_archE1100ELNS1_3gpuE3ELNS1_3repE0EEENS1_30default_config_static_selectorELNS0_4arch9wavefront6targetE0EEEvT1_,"axG",@progbits,_ZN7rocprim17ROCPRIM_400000_NS6detail17trampoline_kernelINS0_14default_configENS1_27scan_by_key_config_selectorIijEEZZNS1_16scan_by_key_implILNS1_25lookback_scan_determinismE0ELb1ES3_N6thrust23THRUST_200600_302600_NS6detail15normal_iteratorINS9_10device_ptrIiEEEENSB_INSC_IjEEEESG_jNS9_4plusIvEENS9_8equal_toIvEEjEE10hipError_tPvRmT2_T3_T4_T5_mT6_T7_P12ihipStream_tbENKUlT_T0_E_clISt17integral_constantIbLb0EES11_EEDaSW_SX_EUlSW_E_NS1_11comp_targetILNS1_3genE9ELNS1_11target_archE1100ELNS1_3gpuE3ELNS1_3repE0EEENS1_30default_config_static_selectorELNS0_4arch9wavefront6targetE0EEEvT1_,comdat
.Lfunc_end1506:
	.size	_ZN7rocprim17ROCPRIM_400000_NS6detail17trampoline_kernelINS0_14default_configENS1_27scan_by_key_config_selectorIijEEZZNS1_16scan_by_key_implILNS1_25lookback_scan_determinismE0ELb1ES3_N6thrust23THRUST_200600_302600_NS6detail15normal_iteratorINS9_10device_ptrIiEEEENSB_INSC_IjEEEESG_jNS9_4plusIvEENS9_8equal_toIvEEjEE10hipError_tPvRmT2_T3_T4_T5_mT6_T7_P12ihipStream_tbENKUlT_T0_E_clISt17integral_constantIbLb0EES11_EEDaSW_SX_EUlSW_E_NS1_11comp_targetILNS1_3genE9ELNS1_11target_archE1100ELNS1_3gpuE3ELNS1_3repE0EEENS1_30default_config_static_selectorELNS0_4arch9wavefront6targetE0EEEvT1_, .Lfunc_end1506-_ZN7rocprim17ROCPRIM_400000_NS6detail17trampoline_kernelINS0_14default_configENS1_27scan_by_key_config_selectorIijEEZZNS1_16scan_by_key_implILNS1_25lookback_scan_determinismE0ELb1ES3_N6thrust23THRUST_200600_302600_NS6detail15normal_iteratorINS9_10device_ptrIiEEEENSB_INSC_IjEEEESG_jNS9_4plusIvEENS9_8equal_toIvEEjEE10hipError_tPvRmT2_T3_T4_T5_mT6_T7_P12ihipStream_tbENKUlT_T0_E_clISt17integral_constantIbLb0EES11_EEDaSW_SX_EUlSW_E_NS1_11comp_targetILNS1_3genE9ELNS1_11target_archE1100ELNS1_3gpuE3ELNS1_3repE0EEENS1_30default_config_static_selectorELNS0_4arch9wavefront6targetE0EEEvT1_
                                        ; -- End function
	.set _ZN7rocprim17ROCPRIM_400000_NS6detail17trampoline_kernelINS0_14default_configENS1_27scan_by_key_config_selectorIijEEZZNS1_16scan_by_key_implILNS1_25lookback_scan_determinismE0ELb1ES3_N6thrust23THRUST_200600_302600_NS6detail15normal_iteratorINS9_10device_ptrIiEEEENSB_INSC_IjEEEESG_jNS9_4plusIvEENS9_8equal_toIvEEjEE10hipError_tPvRmT2_T3_T4_T5_mT6_T7_P12ihipStream_tbENKUlT_T0_E_clISt17integral_constantIbLb0EES11_EEDaSW_SX_EUlSW_E_NS1_11comp_targetILNS1_3genE9ELNS1_11target_archE1100ELNS1_3gpuE3ELNS1_3repE0EEENS1_30default_config_static_selectorELNS0_4arch9wavefront6targetE0EEEvT1_.num_vgpr, 0
	.set _ZN7rocprim17ROCPRIM_400000_NS6detail17trampoline_kernelINS0_14default_configENS1_27scan_by_key_config_selectorIijEEZZNS1_16scan_by_key_implILNS1_25lookback_scan_determinismE0ELb1ES3_N6thrust23THRUST_200600_302600_NS6detail15normal_iteratorINS9_10device_ptrIiEEEENSB_INSC_IjEEEESG_jNS9_4plusIvEENS9_8equal_toIvEEjEE10hipError_tPvRmT2_T3_T4_T5_mT6_T7_P12ihipStream_tbENKUlT_T0_E_clISt17integral_constantIbLb0EES11_EEDaSW_SX_EUlSW_E_NS1_11comp_targetILNS1_3genE9ELNS1_11target_archE1100ELNS1_3gpuE3ELNS1_3repE0EEENS1_30default_config_static_selectorELNS0_4arch9wavefront6targetE0EEEvT1_.num_agpr, 0
	.set _ZN7rocprim17ROCPRIM_400000_NS6detail17trampoline_kernelINS0_14default_configENS1_27scan_by_key_config_selectorIijEEZZNS1_16scan_by_key_implILNS1_25lookback_scan_determinismE0ELb1ES3_N6thrust23THRUST_200600_302600_NS6detail15normal_iteratorINS9_10device_ptrIiEEEENSB_INSC_IjEEEESG_jNS9_4plusIvEENS9_8equal_toIvEEjEE10hipError_tPvRmT2_T3_T4_T5_mT6_T7_P12ihipStream_tbENKUlT_T0_E_clISt17integral_constantIbLb0EES11_EEDaSW_SX_EUlSW_E_NS1_11comp_targetILNS1_3genE9ELNS1_11target_archE1100ELNS1_3gpuE3ELNS1_3repE0EEENS1_30default_config_static_selectorELNS0_4arch9wavefront6targetE0EEEvT1_.numbered_sgpr, 0
	.set _ZN7rocprim17ROCPRIM_400000_NS6detail17trampoline_kernelINS0_14default_configENS1_27scan_by_key_config_selectorIijEEZZNS1_16scan_by_key_implILNS1_25lookback_scan_determinismE0ELb1ES3_N6thrust23THRUST_200600_302600_NS6detail15normal_iteratorINS9_10device_ptrIiEEEENSB_INSC_IjEEEESG_jNS9_4plusIvEENS9_8equal_toIvEEjEE10hipError_tPvRmT2_T3_T4_T5_mT6_T7_P12ihipStream_tbENKUlT_T0_E_clISt17integral_constantIbLb0EES11_EEDaSW_SX_EUlSW_E_NS1_11comp_targetILNS1_3genE9ELNS1_11target_archE1100ELNS1_3gpuE3ELNS1_3repE0EEENS1_30default_config_static_selectorELNS0_4arch9wavefront6targetE0EEEvT1_.num_named_barrier, 0
	.set _ZN7rocprim17ROCPRIM_400000_NS6detail17trampoline_kernelINS0_14default_configENS1_27scan_by_key_config_selectorIijEEZZNS1_16scan_by_key_implILNS1_25lookback_scan_determinismE0ELb1ES3_N6thrust23THRUST_200600_302600_NS6detail15normal_iteratorINS9_10device_ptrIiEEEENSB_INSC_IjEEEESG_jNS9_4plusIvEENS9_8equal_toIvEEjEE10hipError_tPvRmT2_T3_T4_T5_mT6_T7_P12ihipStream_tbENKUlT_T0_E_clISt17integral_constantIbLb0EES11_EEDaSW_SX_EUlSW_E_NS1_11comp_targetILNS1_3genE9ELNS1_11target_archE1100ELNS1_3gpuE3ELNS1_3repE0EEENS1_30default_config_static_selectorELNS0_4arch9wavefront6targetE0EEEvT1_.private_seg_size, 0
	.set _ZN7rocprim17ROCPRIM_400000_NS6detail17trampoline_kernelINS0_14default_configENS1_27scan_by_key_config_selectorIijEEZZNS1_16scan_by_key_implILNS1_25lookback_scan_determinismE0ELb1ES3_N6thrust23THRUST_200600_302600_NS6detail15normal_iteratorINS9_10device_ptrIiEEEENSB_INSC_IjEEEESG_jNS9_4plusIvEENS9_8equal_toIvEEjEE10hipError_tPvRmT2_T3_T4_T5_mT6_T7_P12ihipStream_tbENKUlT_T0_E_clISt17integral_constantIbLb0EES11_EEDaSW_SX_EUlSW_E_NS1_11comp_targetILNS1_3genE9ELNS1_11target_archE1100ELNS1_3gpuE3ELNS1_3repE0EEENS1_30default_config_static_selectorELNS0_4arch9wavefront6targetE0EEEvT1_.uses_vcc, 0
	.set _ZN7rocprim17ROCPRIM_400000_NS6detail17trampoline_kernelINS0_14default_configENS1_27scan_by_key_config_selectorIijEEZZNS1_16scan_by_key_implILNS1_25lookback_scan_determinismE0ELb1ES3_N6thrust23THRUST_200600_302600_NS6detail15normal_iteratorINS9_10device_ptrIiEEEENSB_INSC_IjEEEESG_jNS9_4plusIvEENS9_8equal_toIvEEjEE10hipError_tPvRmT2_T3_T4_T5_mT6_T7_P12ihipStream_tbENKUlT_T0_E_clISt17integral_constantIbLb0EES11_EEDaSW_SX_EUlSW_E_NS1_11comp_targetILNS1_3genE9ELNS1_11target_archE1100ELNS1_3gpuE3ELNS1_3repE0EEENS1_30default_config_static_selectorELNS0_4arch9wavefront6targetE0EEEvT1_.uses_flat_scratch, 0
	.set _ZN7rocprim17ROCPRIM_400000_NS6detail17trampoline_kernelINS0_14default_configENS1_27scan_by_key_config_selectorIijEEZZNS1_16scan_by_key_implILNS1_25lookback_scan_determinismE0ELb1ES3_N6thrust23THRUST_200600_302600_NS6detail15normal_iteratorINS9_10device_ptrIiEEEENSB_INSC_IjEEEESG_jNS9_4plusIvEENS9_8equal_toIvEEjEE10hipError_tPvRmT2_T3_T4_T5_mT6_T7_P12ihipStream_tbENKUlT_T0_E_clISt17integral_constantIbLb0EES11_EEDaSW_SX_EUlSW_E_NS1_11comp_targetILNS1_3genE9ELNS1_11target_archE1100ELNS1_3gpuE3ELNS1_3repE0EEENS1_30default_config_static_selectorELNS0_4arch9wavefront6targetE0EEEvT1_.has_dyn_sized_stack, 0
	.set _ZN7rocprim17ROCPRIM_400000_NS6detail17trampoline_kernelINS0_14default_configENS1_27scan_by_key_config_selectorIijEEZZNS1_16scan_by_key_implILNS1_25lookback_scan_determinismE0ELb1ES3_N6thrust23THRUST_200600_302600_NS6detail15normal_iteratorINS9_10device_ptrIiEEEENSB_INSC_IjEEEESG_jNS9_4plusIvEENS9_8equal_toIvEEjEE10hipError_tPvRmT2_T3_T4_T5_mT6_T7_P12ihipStream_tbENKUlT_T0_E_clISt17integral_constantIbLb0EES11_EEDaSW_SX_EUlSW_E_NS1_11comp_targetILNS1_3genE9ELNS1_11target_archE1100ELNS1_3gpuE3ELNS1_3repE0EEENS1_30default_config_static_selectorELNS0_4arch9wavefront6targetE0EEEvT1_.has_recursion, 0
	.set _ZN7rocprim17ROCPRIM_400000_NS6detail17trampoline_kernelINS0_14default_configENS1_27scan_by_key_config_selectorIijEEZZNS1_16scan_by_key_implILNS1_25lookback_scan_determinismE0ELb1ES3_N6thrust23THRUST_200600_302600_NS6detail15normal_iteratorINS9_10device_ptrIiEEEENSB_INSC_IjEEEESG_jNS9_4plusIvEENS9_8equal_toIvEEjEE10hipError_tPvRmT2_T3_T4_T5_mT6_T7_P12ihipStream_tbENKUlT_T0_E_clISt17integral_constantIbLb0EES11_EEDaSW_SX_EUlSW_E_NS1_11comp_targetILNS1_3genE9ELNS1_11target_archE1100ELNS1_3gpuE3ELNS1_3repE0EEENS1_30default_config_static_selectorELNS0_4arch9wavefront6targetE0EEEvT1_.has_indirect_call, 0
	.section	.AMDGPU.csdata,"",@progbits
; Kernel info:
; codeLenInByte = 0
; TotalNumSgprs: 0
; NumVgprs: 0
; ScratchSize: 0
; MemoryBound: 0
; FloatMode: 240
; IeeeMode: 1
; LDSByteSize: 0 bytes/workgroup (compile time only)
; SGPRBlocks: 0
; VGPRBlocks: 0
; NumSGPRsForWavesPerEU: 1
; NumVGPRsForWavesPerEU: 1
; Occupancy: 16
; WaveLimiterHint : 0
; COMPUTE_PGM_RSRC2:SCRATCH_EN: 0
; COMPUTE_PGM_RSRC2:USER_SGPR: 6
; COMPUTE_PGM_RSRC2:TRAP_HANDLER: 0
; COMPUTE_PGM_RSRC2:TGID_X_EN: 1
; COMPUTE_PGM_RSRC2:TGID_Y_EN: 0
; COMPUTE_PGM_RSRC2:TGID_Z_EN: 0
; COMPUTE_PGM_RSRC2:TIDIG_COMP_CNT: 0
	.section	.text._ZN7rocprim17ROCPRIM_400000_NS6detail17trampoline_kernelINS0_14default_configENS1_27scan_by_key_config_selectorIijEEZZNS1_16scan_by_key_implILNS1_25lookback_scan_determinismE0ELb1ES3_N6thrust23THRUST_200600_302600_NS6detail15normal_iteratorINS9_10device_ptrIiEEEENSB_INSC_IjEEEESG_jNS9_4plusIvEENS9_8equal_toIvEEjEE10hipError_tPvRmT2_T3_T4_T5_mT6_T7_P12ihipStream_tbENKUlT_T0_E_clISt17integral_constantIbLb0EES11_EEDaSW_SX_EUlSW_E_NS1_11comp_targetILNS1_3genE8ELNS1_11target_archE1030ELNS1_3gpuE2ELNS1_3repE0EEENS1_30default_config_static_selectorELNS0_4arch9wavefront6targetE0EEEvT1_,"axG",@progbits,_ZN7rocprim17ROCPRIM_400000_NS6detail17trampoline_kernelINS0_14default_configENS1_27scan_by_key_config_selectorIijEEZZNS1_16scan_by_key_implILNS1_25lookback_scan_determinismE0ELb1ES3_N6thrust23THRUST_200600_302600_NS6detail15normal_iteratorINS9_10device_ptrIiEEEENSB_INSC_IjEEEESG_jNS9_4plusIvEENS9_8equal_toIvEEjEE10hipError_tPvRmT2_T3_T4_T5_mT6_T7_P12ihipStream_tbENKUlT_T0_E_clISt17integral_constantIbLb0EES11_EEDaSW_SX_EUlSW_E_NS1_11comp_targetILNS1_3genE8ELNS1_11target_archE1030ELNS1_3gpuE2ELNS1_3repE0EEENS1_30default_config_static_selectorELNS0_4arch9wavefront6targetE0EEEvT1_,comdat
	.protected	_ZN7rocprim17ROCPRIM_400000_NS6detail17trampoline_kernelINS0_14default_configENS1_27scan_by_key_config_selectorIijEEZZNS1_16scan_by_key_implILNS1_25lookback_scan_determinismE0ELb1ES3_N6thrust23THRUST_200600_302600_NS6detail15normal_iteratorINS9_10device_ptrIiEEEENSB_INSC_IjEEEESG_jNS9_4plusIvEENS9_8equal_toIvEEjEE10hipError_tPvRmT2_T3_T4_T5_mT6_T7_P12ihipStream_tbENKUlT_T0_E_clISt17integral_constantIbLb0EES11_EEDaSW_SX_EUlSW_E_NS1_11comp_targetILNS1_3genE8ELNS1_11target_archE1030ELNS1_3gpuE2ELNS1_3repE0EEENS1_30default_config_static_selectorELNS0_4arch9wavefront6targetE0EEEvT1_ ; -- Begin function _ZN7rocprim17ROCPRIM_400000_NS6detail17trampoline_kernelINS0_14default_configENS1_27scan_by_key_config_selectorIijEEZZNS1_16scan_by_key_implILNS1_25lookback_scan_determinismE0ELb1ES3_N6thrust23THRUST_200600_302600_NS6detail15normal_iteratorINS9_10device_ptrIiEEEENSB_INSC_IjEEEESG_jNS9_4plusIvEENS9_8equal_toIvEEjEE10hipError_tPvRmT2_T3_T4_T5_mT6_T7_P12ihipStream_tbENKUlT_T0_E_clISt17integral_constantIbLb0EES11_EEDaSW_SX_EUlSW_E_NS1_11comp_targetILNS1_3genE8ELNS1_11target_archE1030ELNS1_3gpuE2ELNS1_3repE0EEENS1_30default_config_static_selectorELNS0_4arch9wavefront6targetE0EEEvT1_
	.globl	_ZN7rocprim17ROCPRIM_400000_NS6detail17trampoline_kernelINS0_14default_configENS1_27scan_by_key_config_selectorIijEEZZNS1_16scan_by_key_implILNS1_25lookback_scan_determinismE0ELb1ES3_N6thrust23THRUST_200600_302600_NS6detail15normal_iteratorINS9_10device_ptrIiEEEENSB_INSC_IjEEEESG_jNS9_4plusIvEENS9_8equal_toIvEEjEE10hipError_tPvRmT2_T3_T4_T5_mT6_T7_P12ihipStream_tbENKUlT_T0_E_clISt17integral_constantIbLb0EES11_EEDaSW_SX_EUlSW_E_NS1_11comp_targetILNS1_3genE8ELNS1_11target_archE1030ELNS1_3gpuE2ELNS1_3repE0EEENS1_30default_config_static_selectorELNS0_4arch9wavefront6targetE0EEEvT1_
	.p2align	8
	.type	_ZN7rocprim17ROCPRIM_400000_NS6detail17trampoline_kernelINS0_14default_configENS1_27scan_by_key_config_selectorIijEEZZNS1_16scan_by_key_implILNS1_25lookback_scan_determinismE0ELb1ES3_N6thrust23THRUST_200600_302600_NS6detail15normal_iteratorINS9_10device_ptrIiEEEENSB_INSC_IjEEEESG_jNS9_4plusIvEENS9_8equal_toIvEEjEE10hipError_tPvRmT2_T3_T4_T5_mT6_T7_P12ihipStream_tbENKUlT_T0_E_clISt17integral_constantIbLb0EES11_EEDaSW_SX_EUlSW_E_NS1_11comp_targetILNS1_3genE8ELNS1_11target_archE1030ELNS1_3gpuE2ELNS1_3repE0EEENS1_30default_config_static_selectorELNS0_4arch9wavefront6targetE0EEEvT1_,@function
_ZN7rocprim17ROCPRIM_400000_NS6detail17trampoline_kernelINS0_14default_configENS1_27scan_by_key_config_selectorIijEEZZNS1_16scan_by_key_implILNS1_25lookback_scan_determinismE0ELb1ES3_N6thrust23THRUST_200600_302600_NS6detail15normal_iteratorINS9_10device_ptrIiEEEENSB_INSC_IjEEEESG_jNS9_4plusIvEENS9_8equal_toIvEEjEE10hipError_tPvRmT2_T3_T4_T5_mT6_T7_P12ihipStream_tbENKUlT_T0_E_clISt17integral_constantIbLb0EES11_EEDaSW_SX_EUlSW_E_NS1_11comp_targetILNS1_3genE8ELNS1_11target_archE1030ELNS1_3gpuE2ELNS1_3repE0EEENS1_30default_config_static_selectorELNS0_4arch9wavefront6targetE0EEEvT1_: ; @_ZN7rocprim17ROCPRIM_400000_NS6detail17trampoline_kernelINS0_14default_configENS1_27scan_by_key_config_selectorIijEEZZNS1_16scan_by_key_implILNS1_25lookback_scan_determinismE0ELb1ES3_N6thrust23THRUST_200600_302600_NS6detail15normal_iteratorINS9_10device_ptrIiEEEENSB_INSC_IjEEEESG_jNS9_4plusIvEENS9_8equal_toIvEEjEE10hipError_tPvRmT2_T3_T4_T5_mT6_T7_P12ihipStream_tbENKUlT_T0_E_clISt17integral_constantIbLb0EES11_EEDaSW_SX_EUlSW_E_NS1_11comp_targetILNS1_3genE8ELNS1_11target_archE1030ELNS1_3gpuE2ELNS1_3repE0EEENS1_30default_config_static_selectorELNS0_4arch9wavefront6targetE0EEEvT1_
; %bb.0:
	s_clause 0x5
	s_load_dwordx8 s[8:15], s[4:5], 0x0
	s_load_dwordx2 s[24:25], s[4:5], 0x38
	s_load_dword s2, s[4:5], 0x40
	s_load_dwordx4 s[20:23], s[4:5], 0x48
	s_load_dword s26, s[4:5], 0x20
	s_load_dwordx4 s[16:19], s[4:5], 0x28
	s_mov_b32 s1, 0
	s_mul_i32 s0, s6, 0x300
	s_waitcnt lgkmcnt(0)
	s_barrier
	buffer_gl0_inv
	s_lshl_b64 s[4:5], s[10:11], 2
	s_add_u32 s10, s8, s4
	s_addc_u32 s11, s9, s5
	s_mul_i32 s3, s25, s2
	s_mul_hi_u32 s7, s24, s2
	s_add_u32 s12, s12, s4
	s_addc_u32 s13, s13, s5
	s_lshl_b64 s[8:9], s[0:1], 2
	s_add_i32 s7, s7, s3
	s_add_u32 s10, s10, s8
	s_addc_u32 s11, s11, s9
	s_mul_i32 s0, s24, s2
	s_add_u32 s3, s12, s8
	s_addc_u32 s13, s13, s9
	s_add_u32 s28, s0, s6
	s_addc_u32 s29, s7, 0
	s_add_u32 s20, s20, -1
	s_addc_u32 s21, s21, -1
	s_mul_i32 s12, s20, 0xfffffd00
	v_cmp_ge_u64_e64 s7, s[28:29], s[20:21]
	s_and_b32 vcc_lo, exec_lo, s7
	s_cbranch_vccz .LBB1507_20
; %bb.1:
	v_mov_b32_e32 v1, s10
	v_mov_b32_e32 v2, s11
	s_add_i32 s19, s12, s18
	v_cmp_gt_u32_e32 vcc_lo, s19, v0
	flat_load_dword v1, v[1:2]
	s_waitcnt vmcnt(0) lgkmcnt(0)
	v_mov_b32_e32 v2, v1
	s_and_saveexec_b32 s0, vcc_lo
	s_cbranch_execz .LBB1507_3
; %bb.2:
	v_lshlrev_b32_e32 v2, 2, v0
	v_add_co_u32 v2, s1, s10, v2
	v_add_co_ci_u32_e64 v3, null, s11, 0, s1
	flat_load_dword v2, v[2:3]
.LBB1507_3:
	s_or_b32 exec_lo, exec_lo, s0
	v_or_b32_e32 v3, 0x100, v0
	v_cmp_gt_u32_e64 s0, s19, v3
	v_mov_b32_e32 v3, v1
	s_and_saveexec_b32 s1, s0
	s_cbranch_execz .LBB1507_5
; %bb.4:
	v_lshlrev_b32_e32 v3, 2, v0
	v_add_co_u32 v3, s2, s10, v3
	v_add_co_ci_u32_e64 v4, null, s11, 0, s2
	flat_load_dword v3, v[3:4] offset:1024
.LBB1507_5:
	s_or_b32 exec_lo, exec_lo, s1
	v_or_b32_e32 v4, 0x200, v0
	v_cmp_gt_u32_e64 s1, s19, v4
	v_lshlrev_b32_e32 v9, 2, v4
	s_and_saveexec_b32 s2, s1
	s_cbranch_execz .LBB1507_7
; %bb.6:
	v_add_co_u32 v4, s20, s10, v9
	v_add_co_ci_u32_e64 v5, null, s11, 0, s20
	flat_load_dword v1, v[4:5]
.LBB1507_7:
	s_or_b32 exec_lo, exec_lo, s2
	v_mov_b32_e32 v4, s10
	v_lshlrev_b32_e32 v10, 2, v0
	v_mov_b32_e32 v5, s11
	s_mov_b32 s20, exec_lo
	s_waitcnt vmcnt(0) lgkmcnt(0)
	ds_write2st64_b32 v10, v2, v3 offset1:4
	ds_write_b32 v10, v1 offset:2048
	s_waitcnt lgkmcnt(0)
	s_barrier
	buffer_gl0_inv
	flat_load_dword v8, v[4:5]
	v_lshlrev_b32_e32 v1, 3, v0
	v_add_nc_u32_e32 v6, v10, v1
	ds_read_b32 v7, v6
	ds_read2_b32 v[4:5], v6 offset0:1 offset1:2
	s_waitcnt lgkmcnt(1)
	ds_write_b32 v10, v7 offset:4096
	s_waitcnt vmcnt(0) lgkmcnt(0)
	s_barrier
	buffer_gl0_inv
	v_cmpx_ne_u32_e32 0xff, v0
; %bb.8:
	v_sub_nc_u32_e32 v1, 0, v1
	v_add_nc_u32_e32 v1, v6, v1
	ds_read_b32 v8, v1 offset:4100
; %bb.9:
	s_or_b32 exec_lo, exec_lo, s20
	v_mov_b32_e32 v1, 0
	s_waitcnt lgkmcnt(0)
	s_barrier
	buffer_gl0_inv
	v_mov_b32_e32 v2, v1
	v_mov_b32_e32 v3, v1
	s_and_saveexec_b32 s2, vcc_lo
	s_cbranch_execnz .LBB1507_90
; %bb.10:
	s_or_b32 exec_lo, exec_lo, s2
	s_and_saveexec_b32 s2, s0
	s_cbranch_execnz .LBB1507_91
.LBB1507_11:
	s_or_b32 exec_lo, exec_lo, s2
	v_mul_u32_u24_e32 v13, 3, v0
	s_and_saveexec_b32 s0, s1
	s_cbranch_execz .LBB1507_13
.LBB1507_12:
	v_add_co_u32 v11, s1, s3, v9
	v_add_co_ci_u32_e64 v12, null, s13, 0, s1
	flat_load_dword v3, v[11:12]
.LBB1507_13:
	s_or_b32 exec_lo, exec_lo, s0
	s_waitcnt vmcnt(0) lgkmcnt(0)
	ds_write2st64_b32 v10, v1, v2 offset1:4
	ds_write_b32 v10, v3 offset:2048
	v_mov_b32_e32 v9, 0
	v_mov_b32_e32 v1, 0
	;; [unrolled: 1-line block ×6, first 2 shown]
	s_mov_b32 s2, 0
	s_mov_b32 s1, 0
	s_mov_b32 s20, exec_lo
	s_waitcnt lgkmcnt(0)
	s_barrier
	buffer_gl0_inv
                                        ; implicit-def: $sgpr0
                                        ; implicit-def: $vgpr3
	v_cmpx_gt_u32_e64 s19, v13
	s_cbranch_execz .LBB1507_19
; %bb.14:
	ds_read_b32 v3, v6
	v_cmp_ne_u32_e32 vcc_lo, v7, v4
	v_mov_b32_e32 v1, 0
	v_add_nc_u32_e32 v11, 1, v13
	v_mov_b32_e32 v2, 0
	s_mov_b32 s21, 0
	v_cndmask_b32_e64 v10, 0, 1, vcc_lo
	v_cmp_eq_u32_e32 vcc_lo, v7, v4
	s_mov_b32 s1, exec_lo
                                        ; implicit-def: $sgpr0
	s_waitcnt lgkmcnt(0)
	v_cndmask_b32_e32 v9, s26, v3, vcc_lo
                                        ; implicit-def: $vgpr3
	v_cmpx_gt_u32_e64 s19, v11
	s_cbranch_execz .LBB1507_18
; %bb.15:
	ds_read2_b32 v[6:7], v6 offset0:1 offset1:2
	v_cmp_ne_u32_e32 vcc_lo, v4, v5
	v_add_nc_u32_e32 v3, 2, v13
                                        ; implicit-def: $sgpr0
	v_cndmask_b32_e64 v2, 0, 1, vcc_lo
	v_cmp_eq_u32_e32 vcc_lo, v4, v5
	s_waitcnt lgkmcnt(0)
	v_cndmask_b32_e32 v1, s26, v6, vcc_lo
	v_cmp_gt_u32_e32 vcc_lo, s19, v3
	s_mov_b32 s19, 0
                                        ; implicit-def: $vgpr3
	s_and_saveexec_b32 s21, vcc_lo
	s_xor_b32 s21, exec_lo, s21
; %bb.16:
	v_cmp_ne_u32_e64 s0, v5, v8
	s_mov_b32 s19, exec_lo
	v_cndmask_b32_e64 v3, v7, s26, s0
; %bb.17:
	s_or_b32 exec_lo, exec_lo, s21
	s_and_b32 s21, s19, exec_lo
.LBB1507_18:
	s_or_b32 exec_lo, exec_lo, s1
	v_mov_b32_e32 v12, v2
	v_mov_b32_e32 v11, v1
	s_and_b32 s1, s21, exec_lo
.LBB1507_19:
	s_or_b32 exec_lo, exec_lo, s20
	v_lshlrev_b32_e32 v18, 2, v0
	v_lshlrev_b32_e32 v19, 3, v0
	s_and_b32 vcc_lo, exec_lo, s2
	s_cbranch_vccnz .LBB1507_21
	s_branch .LBB1507_24
.LBB1507_20:
                                        ; implicit-def: $sgpr0
                                        ; implicit-def: $vgpr3
                                        ; implicit-def: $vgpr9_vgpr10
                                        ; implicit-def: $vgpr1_vgpr2
                                        ; implicit-def: $vgpr11_vgpr12
	v_lshlrev_b32_e32 v18, 2, v0
	v_lshlrev_b32_e32 v19, 3, v0
	s_cbranch_execz .LBB1507_24
.LBB1507_21:
	v_add_co_u32 v1, s0, s10, v18
	v_add_co_ci_u32_e64 v2, null, s11, 0, s0
	v_add_co_u32 v3, vcc_lo, 0x800, v1
	v_add_co_ci_u32_e64 v4, null, 0, v2, vcc_lo
	s_clause 0x2
	flat_load_dword v5, v[1:2]
	flat_load_dword v6, v[1:2] offset:1024
	flat_load_dword v3, v[3:4]
	v_add_co_u32 v1, s0, 0x800, s10
	v_add_co_ci_u32_e64 v2, null, 0, s11, s0
	s_mov_b32 s0, exec_lo
	s_waitcnt vmcnt(1) lgkmcnt(1)
	ds_write2st64_b32 v18, v5, v6 offset1:4
	s_waitcnt vmcnt(0) lgkmcnt(1)
	ds_write_b32 v18, v3 offset:2048
	s_waitcnt lgkmcnt(0)
	s_barrier
	buffer_gl0_inv
	flat_load_dword v5, v[1:2] offset:1024
	v_add_nc_u32_e32 v1, v18, v19
	ds_read_b32 v6, v1
	ds_read2_b32 v[3:4], v1 offset0:1 offset1:2
	s_waitcnt lgkmcnt(1)
	ds_write_b32 v18, v6 offset:4096
	s_waitcnt vmcnt(0) lgkmcnt(0)
	s_barrier
	buffer_gl0_inv
	v_cmpx_ne_u32_e32 0xff, v0
; %bb.22:
	v_sub_nc_u32_e32 v2, 0, v19
	v_add_nc_u32_e32 v2, v1, v2
	ds_read_b32 v5, v2 offset:4100
; %bb.23:
	s_or_b32 exec_lo, exec_lo, s0
	v_add_co_u32 v7, s0, s3, v18
	v_add_co_ci_u32_e64 v8, null, s13, 0, s0
	s_waitcnt lgkmcnt(0)
	v_add_co_u32 v9, vcc_lo, 0x800, v7
	v_add_co_ci_u32_e64 v10, null, 0, v8, vcc_lo
	s_barrier
	buffer_gl0_inv
	s_clause 0x2
	flat_load_dword v2, v[7:8]
	flat_load_dword v7, v[7:8] offset:1024
	flat_load_dword v8, v[9:10]
	v_cmp_eq_u32_e32 vcc_lo, v6, v3
	v_cmp_ne_u32_e64 s0, v4, v5
	s_mov_b32 s1, -1
	s_waitcnt vmcnt(1) lgkmcnt(1)
	ds_write2st64_b32 v18, v2, v7 offset1:4
	s_waitcnt vmcnt(0) lgkmcnt(1)
	ds_write_b32 v18, v8 offset:2048
	s_waitcnt lgkmcnt(0)
	s_barrier
	buffer_gl0_inv
	ds_read2_b32 v[7:8], v1 offset1:1
	ds_read_b32 v11, v1 offset:8
	s_waitcnt lgkmcnt(1)
	v_cndmask_b32_e32 v9, s26, v7, vcc_lo
	v_cmp_eq_u32_e32 vcc_lo, v3, v4
	v_cndmask_b32_e32 v1, s26, v8, vcc_lo
	v_cmp_ne_u32_e32 vcc_lo, v3, v4
	v_cndmask_b32_e64 v2, 0, 1, vcc_lo
	v_cmp_ne_u32_e32 vcc_lo, v6, v3
	s_waitcnt lgkmcnt(0)
	v_cndmask_b32_e64 v3, v11, s26, s0
	v_mov_b32_e32 v12, v2
	v_cndmask_b32_e64 v10, 0, 1, vcc_lo
	v_mov_b32_e32 v11, v1
.LBB1507_24:
	v_mov_b32_e32 v13, 0
	v_mov_b32_e32 v14, 0
	s_and_saveexec_b32 s2, s1
; %bb.25:
	v_cndmask_b32_e64 v4, 0, 1, s0
	v_mov_b32_e32 v12, v2
	v_mov_b32_e32 v11, v1
	;; [unrolled: 1-line block ×4, first 2 shown]
; %bb.26:
	s_or_b32 exec_lo, exec_lo, s2
	v_or_b32_e32 v23, v12, v14
	v_mbcnt_lo_u32_b32 v20, -1, 0
	v_lshrrev_b32_e32 v21, 5, v0
	v_or_b32_e32 v22, 31, v0
	s_cmp_lg_u32 s6, 0
	s_mov_b32 s2, 0
	s_barrier
	buffer_gl0_inv
	s_cbranch_scc0 .LBB1507_52
; %bb.27:
	v_and_b32_e32 v2, 0xff, v23
	v_mov_b32_e32 v1, 0
	s_mov_b32 s3, 1
	v_cmp_gt_u64_e64 s0, s[2:3], v[11:12]
	v_cmp_eq_u64_e32 vcc_lo, 0, v[1:2]
	v_cndmask_b32_e64 v3, 0, v9, s0
	v_cndmask_b32_e32 v2, 1, v10, vcc_lo
	v_cmp_gt_u64_e32 vcc_lo, s[2:3], v[13:14]
	v_add_nc_u32_e32 v3, v3, v11
	v_and_b32_e32 v4, 0xff, v2
	v_and_b32_e32 v6, 1, v2
	v_cndmask_b32_e32 v3, 0, v3, vcc_lo
	v_mov_b32_dpp v5, v4 row_shr:1 row_mask:0xf bank_mask:0xf
	v_cmp_eq_u32_e32 vcc_lo, 1, v6
	v_and_b32_e32 v6, 15, v20
	v_add_nc_u32_e32 v3, v3, v13
	v_and_b32_e32 v5, 1, v5
	v_mov_b32_dpp v7, v3 row_shr:1 row_mask:0xf bank_mask:0xf
	v_cndmask_b32_e64 v5, v5, 1, vcc_lo
	v_cmp_eq_u16_e32 vcc_lo, 0, v4
	v_and_b32_e32 v8, 0xffff, v5
	v_cndmask_b32_e32 v7, 0, v7, vcc_lo
	v_cmp_eq_u32_e32 vcc_lo, 0, v6
	v_cndmask_b32_e32 v4, v8, v4, vcc_lo
	v_cndmask_b32_e32 v2, v5, v2, vcc_lo
	v_cndmask_b32_e64 v7, v7, 0, vcc_lo
	v_mov_b32_dpp v5, v4 row_shr:2 row_mask:0xf bank_mask:0xf
	v_and_b32_e32 v8, 1, v2
	v_add_nc_u32_e32 v3, v7, v3
	v_cmp_eq_u16_sdwa s2, v2, v1 src0_sel:BYTE_0 src1_sel:DWORD
	v_and_b32_e32 v5, 1, v5
	v_cmp_eq_u32_e32 vcc_lo, 1, v8
	v_cndmask_b32_e64 v5, v5, 1, vcc_lo
	v_cmp_lt_u32_e32 vcc_lo, 1, v6
	v_and_b32_e32 v8, 0xffff, v5
	v_cndmask_b32_e32 v5, v2, v5, vcc_lo
	v_mov_b32_dpp v2, v3 row_shr:2 row_mask:0xf bank_mask:0xf
	v_cndmask_b32_e32 v4, v4, v8, vcc_lo
	v_and_b32_e32 v7, 1, v5
	s_and_b32 vcc_lo, vcc_lo, s2
	v_cndmask_b32_e32 v2, 0, v2, vcc_lo
	v_mov_b32_dpp v8, v4 row_shr:4 row_mask:0xf bank_mask:0xf
	v_cmp_eq_u32_e64 s1, 1, v7
	v_cmp_lt_u32_e32 vcc_lo, 3, v6
	v_add_nc_u32_e32 v2, v2, v3
	v_and_b32_e32 v8, 1, v8
	v_cndmask_b32_e64 v7, v8, 1, s1
	v_cmp_eq_u16_sdwa s1, v5, v1 src0_sel:BYTE_0 src1_sel:DWORD
	v_and_b32_e32 v8, 0xffff, v7
	v_cndmask_b32_e32 v3, v5, v7, vcc_lo
	v_mov_b32_dpp v5, v2 row_shr:4 row_mask:0xf bank_mask:0xf
	v_cndmask_b32_e32 v4, v4, v8, vcc_lo
	s_and_b32 vcc_lo, vcc_lo, s1
	v_and_b32_e32 v8, 1, v3
	v_cndmask_b32_e32 v5, 0, v5, vcc_lo
	v_cmp_eq_u16_sdwa s1, v3, v1 src0_sel:BYTE_0 src1_sel:DWORD
	v_mov_b32_dpp v7, v4 row_shr:8 row_mask:0xf bank_mask:0xf
	v_cmp_eq_u32_e32 vcc_lo, 1, v8
	v_add_nc_u32_e32 v2, v5, v2
	v_and_b32_e32 v7, 1, v7
	v_cndmask_b32_e64 v5, v7, 1, vcc_lo
	v_cmp_lt_u32_e32 vcc_lo, 7, v6
	v_mov_b32_dpp v6, v2 row_shr:8 row_mask:0xf bank_mask:0xf
	s_and_b32 s1, vcc_lo, s1
	v_cndmask_b32_e32 v7, v3, v5, vcc_lo
	v_cndmask_b32_e64 v3, 0, v6, s1
	v_and_b32_e32 v5, 0xffff, v5
	v_and_b32_e32 v6, 16, v20
	v_add_nc_u32_e32 v2, v3, v2
	v_cndmask_b32_e32 v3, v4, v5, vcc_lo
	v_cmp_eq_u16_sdwa vcc_lo, v7, v1 src0_sel:BYTE_0 src1_sel:DWORD
	v_bfe_i32 v5, v20, 4, 1
	v_cmp_eq_u32_e64 s1, 0, v6
	ds_swizzle_b32 v4, v2 offset:swizzle(BROADCAST,32,15)
	ds_swizzle_b32 v3, v3 offset:swizzle(BROADCAST,32,15)
	s_waitcnt lgkmcnt(1)
	v_cndmask_b32_e32 v1, 0, v4, vcc_lo
	v_and_b32_e32 v4, 1, v7
	s_waitcnt lgkmcnt(0)
	v_and_b32_e32 v3, 1, v3
	v_and_b32_e32 v1, v5, v1
	v_cmp_eq_u32_e32 vcc_lo, 1, v4
	v_lshlrev_b32_e32 v5, 3, v21
	v_cndmask_b32_e64 v4, v3, 1, vcc_lo
	v_add_nc_u32_e32 v3, v1, v2
	v_cndmask_b32_e64 v4, v4, v7, s1
	s_mov_b32 s1, exec_lo
	v_cmpx_eq_u32_e64 v0, v22
	s_cbranch_execz .LBB1507_29
; %bb.28:
	ds_write_b32 v5, v3
	ds_write_b8 v5, v4 offset:4
.LBB1507_29:
	s_or_b32 exec_lo, exec_lo, s1
	s_mov_b32 s1, exec_lo
	s_waitcnt lgkmcnt(0)
	s_barrier
	buffer_gl0_inv
	v_cmpx_gt_u32_e32 8, v0
	s_cbranch_execz .LBB1507_35
; %bb.30:
	ds_read_b64 v[1:2], v19
	v_and_b32_e32 v6, 7, v20
	s_mov_b32 s2, exec_lo
	s_waitcnt lgkmcnt(0)
	v_and_b32_e32 v7, 0xffffff00, v2
	v_mov_b32_dpp v15, v1 row_shr:1 row_mask:0xf bank_mask:0xf
	v_mov_b32_dpp v16, v2 row_shr:1 row_mask:0xf bank_mask:0xf
	v_mov_b32_e32 v8, v2
	v_cmpx_ne_u32_e32 0, v6
	s_cbranch_execz .LBB1507_32
; %bb.31:
	v_mov_b32_e32 v8, 0
	v_and_b32_e32 v17, 1, v2
	v_and_b32_e32 v16, 1, v16
	v_cmp_eq_u16_sdwa vcc_lo, v2, v8 src0_sel:BYTE_0 src1_sel:DWORD
	v_cndmask_b32_e32 v2, 0, v15, vcc_lo
	v_cmp_eq_u32_e32 vcc_lo, 1, v17
	v_add_nc_u32_e32 v1, v2, v1
	v_cndmask_b32_e64 v15, v16, 1, vcc_lo
	v_or_b32_sdwa v8, v7, v15 dst_sel:DWORD dst_unused:UNUSED_PAD src0_sel:DWORD src1_sel:WORD_0
	v_mov_b32_e32 v2, v15
.LBB1507_32:
	s_or_b32 exec_lo, exec_lo, s2
	v_mov_b32_dpp v15, v1 row_shr:2 row_mask:0xf bank_mask:0xf
	v_mov_b32_dpp v16, v8 row_shr:2 row_mask:0xf bank_mask:0xf
	s_mov_b32 s2, exec_lo
	v_cmpx_lt_u32_e32 1, v6
	s_cbranch_execz .LBB1507_34
; %bb.33:
	v_mov_b32_e32 v8, 0
	v_and_b32_e32 v17, 1, v2
	v_and_b32_e32 v16, 1, v16
	v_cmp_eq_u16_sdwa vcc_lo, v2, v8 src0_sel:BYTE_0 src1_sel:DWORD
	v_cndmask_b32_e32 v2, 0, v15, vcc_lo
	v_cmp_eq_u32_e32 vcc_lo, 1, v17
	v_add_nc_u32_e32 v1, v2, v1
	v_cndmask_b32_e64 v15, v16, 1, vcc_lo
	v_or_b32_sdwa v8, v7, v15 dst_sel:DWORD dst_unused:UNUSED_PAD src0_sel:DWORD src1_sel:WORD_0
	v_mov_b32_e32 v2, v15
.LBB1507_34:
	s_or_b32 exec_lo, exec_lo, s2
	v_mov_b32_dpp v7, v8 row_shr:4 row_mask:0xf bank_mask:0xf
	v_and_b32_e32 v15, 1, v2
	v_mov_b32_e32 v8, 0
	v_and_b32_e32 v7, 1, v7
	v_cmp_eq_u32_e32 vcc_lo, 1, v15
	v_cmp_eq_u16_sdwa s2, v2, v8 src0_sel:BYTE_0 src1_sel:DWORD
	v_cndmask_b32_e64 v7, v7, 1, vcc_lo
	v_cmp_lt_u32_e32 vcc_lo, 3, v6
	v_mov_b32_dpp v6, v1 row_shr:4 row_mask:0xf bank_mask:0xf
	v_cndmask_b32_e32 v2, v2, v7, vcc_lo
	s_and_b32 vcc_lo, vcc_lo, s2
	v_cndmask_b32_e32 v6, 0, v6, vcc_lo
	v_add_nc_u32_e32 v1, v6, v1
	ds_write_b32 v19, v1
	ds_write_b8 v19, v2 offset:4
.LBB1507_35:
	s_or_b32 exec_lo, exec_lo, s1
	v_mov_b32_e32 v25, 0
	v_mov_b32_e32 v24, 0
	s_mov_b32 s2, exec_lo
	v_cmp_gt_u32_e32 vcc_lo, 32, v0
	s_waitcnt lgkmcnt(0)
	s_barrier
	buffer_gl0_inv
	v_cmpx_lt_u32_e32 31, v0
	s_cbranch_execz .LBB1507_37
; %bb.36:
	v_add_nc_u32_e32 v1, -8, v5
	v_and_b32_e32 v2, 1, v4
	ds_read_b32 v24, v1
	v_add_nc_u32_e32 v1, -4, v5
	ds_read_u8 v25, v1
	v_mov_b32_e32 v1, 0
	v_cmp_eq_u16_sdwa s1, v4, v1 src0_sel:BYTE_0 src1_sel:DWORD
	s_waitcnt lgkmcnt(1)
	v_cndmask_b32_e64 v1, 0, v24, s1
	v_cmp_eq_u32_e64 s1, 1, v2
	v_add_nc_u32_e32 v3, v1, v3
	s_waitcnt lgkmcnt(0)
	v_cndmask_b32_e64 v4, v25, 1, s1
.LBB1507_37:
	s_or_b32 exec_lo, exec_lo, s2
	v_sub_co_u32 v1, s1, v20, 1
	v_and_b32_e32 v2, 0xff, v4
	v_cmp_gt_i32_e64 s2, 0, v1
	v_cndmask_b32_e64 v1, v1, v20, s2
	v_lshlrev_b32_e32 v1, 2, v1
	ds_bpermute_b32 v26, v1, v3
	ds_bpermute_b32 v27, v1, v2
	s_and_saveexec_b32 s3, vcc_lo
	s_cbranch_execz .LBB1507_57
; %bb.38:
	v_mov_b32_e32 v4, 0
	ds_read_b64 v[1:2], v4 offset:56
	s_and_saveexec_b32 s2, s1
	s_cbranch_execz .LBB1507_40
; %bb.39:
	s_add_i32 s10, s6, 32
	s_mov_b32 s11, 0
	v_mov_b32_e32 v3, 1
	s_lshl_b64 s[10:11], s[10:11], 4
	s_add_u32 s10, s16, s10
	s_addc_u32 s11, s17, s11
	v_mov_b32_e32 v5, s10
	v_mov_b32_e32 v6, s11
	s_waitcnt lgkmcnt(0)
	;;#ASMSTART
	global_store_dwordx4 v[5:6], v[1:4] off	
s_waitcnt vmcnt(0)
	;;#ASMEND
.LBB1507_40:
	s_or_b32 exec_lo, exec_lo, s2
	v_xad_u32 v15, v20, -1, s6
	s_mov_b32 s10, 0
	v_add_nc_u32_e32 v3, 32, v15
	v_lshlrev_b64 v[5:6], 4, v[3:4]
	v_add_co_u32 v16, vcc_lo, s16, v5
	v_add_co_ci_u32_e64 v17, null, s17, v6, vcc_lo
	;;#ASMSTART
	global_load_dwordx4 v[5:8], v[16:17] off glc dlc	
s_waitcnt vmcnt(0)
	;;#ASMEND
	v_and_b32_e32 v6, 0xff, v6
	v_cmp_eq_u16_sdwa s11, v7, v4 src0_sel:BYTE_0 src1_sel:DWORD
	s_and_saveexec_b32 s2, s11
	s_cbranch_execz .LBB1507_44
; %bb.41:
	v_mov_b32_e32 v3, 0
.LBB1507_42:                            ; =>This Inner Loop Header: Depth=1
	;;#ASMSTART
	global_load_dwordx4 v[5:8], v[16:17] off glc dlc	
s_waitcnt vmcnt(0)
	;;#ASMEND
	v_cmp_ne_u16_sdwa s11, v7, v3 src0_sel:BYTE_0 src1_sel:DWORD
	s_or_b32 s10, s11, s10
	s_andn2_b32 exec_lo, exec_lo, s10
	s_cbranch_execnz .LBB1507_42
; %bb.43:
	s_or_b32 exec_lo, exec_lo, s10
	v_and_b32_e32 v6, 0xff, v6
.LBB1507_44:
	s_or_b32 exec_lo, exec_lo, s2
	v_cmp_ne_u32_e32 vcc_lo, 31, v20
	v_mov_b32_e32 v28, 2
	v_lshlrev_b32_e64 v29, v20, -1
	v_and_b32_e32 v8, 1, v6
	s_mov_b32 s10, 0
	v_add_co_ci_u32_e64 v3, null, 0, v20, vcc_lo
	v_cmp_eq_u16_sdwa s2, v7, v28 src0_sel:BYTE_0 src1_sel:DWORD
	v_cmp_eq_u32_e32 vcc_lo, 1, v8
	s_mov_b32 s11, 1
	v_lshlrev_b32_e32 v17, 2, v3
	v_add_nc_u32_e32 v37, 8, v20
	v_and_or_b32 v4, s2, v29, 0x80000000
	v_cmp_gt_u64_e64 s2, s[10:11], v[5:6]
	v_lshl_or_b32 v38, v20, 2, 64
	ds_bpermute_b32 v3, v17, v6
	ds_bpermute_b32 v16, v17, v5
	v_ffbl_b32_e32 v4, v4
	v_add_nc_u32_e32 v39, 16, v20
	s_waitcnt lgkmcnt(1)
	v_and_b32_e32 v3, 1, v3
	v_cndmask_b32_e64 v3, v3, 1, vcc_lo
	v_cmp_gt_u32_e32 vcc_lo, 30, v20
	v_and_b32_e32 v31, 0xffff, v3
	v_cndmask_b32_e64 v8, 0, 2, vcc_lo
	v_cmp_lt_u32_e32 vcc_lo, v20, v4
	v_add_lshl_u32 v30, v8, v20, 2
	v_cndmask_b32_e32 v8, v6, v31, vcc_lo
	v_cndmask_b32_e32 v3, v6, v3, vcc_lo
	s_and_b32 vcc_lo, vcc_lo, s2
	s_waitcnt lgkmcnt(0)
	v_cndmask_b32_e32 v6, 0, v16, vcc_lo
	ds_bpermute_b32 v31, v30, v8
	v_and_b32_e32 v16, 1, v3
	v_add_nc_u32_e32 v5, v6, v5
	v_cmp_eq_u32_e32 vcc_lo, 1, v16
	v_mov_b32_e32 v16, 0
	ds_bpermute_b32 v6, v30, v5
	v_cmp_eq_u16_sdwa s2, v3, v16 src0_sel:BYTE_0 src1_sel:DWORD
	s_waitcnt lgkmcnt(1)
	v_and_b32_e32 v32, 1, v31
	v_add_nc_u32_e32 v31, 2, v20
	v_cndmask_b32_e64 v33, v32, 1, vcc_lo
	v_cmp_gt_u32_e32 vcc_lo, 28, v20
	v_and_b32_e32 v34, 0xffff, v33
	v_cndmask_b32_e64 v32, 0, 4, vcc_lo
	v_cmp_gt_u32_e32 vcc_lo, v31, v4
	v_add_lshl_u32 v32, v32, v20, 2
	v_cndmask_b32_e32 v8, v34, v8, vcc_lo
	v_cndmask_b32_e32 v35, v33, v3, vcc_lo
	s_waitcnt lgkmcnt(0)
	v_cndmask_b32_e64 v3, 0, v6, s2
	v_add_nc_u32_e32 v33, 4, v20
	ds_bpermute_b32 v6, v32, v8
	v_and_b32_e32 v34, 1, v35
	v_cndmask_b32_e64 v3, v3, 0, vcc_lo
	v_cmp_eq_u16_sdwa s2, v35, v16 src0_sel:BYTE_0 src1_sel:DWORD
	v_cmp_eq_u32_e32 vcc_lo, 1, v34
	v_add_nc_u32_e32 v3, v3, v5
	ds_bpermute_b32 v5, v32, v3
	s_waitcnt lgkmcnt(1)
	v_and_b32_e32 v6, 1, v6
	v_cndmask_b32_e64 v6, v6, 1, vcc_lo
	v_cmp_gt_u32_e32 vcc_lo, 24, v20
	v_and_b32_e32 v36, 0xffff, v6
	v_cndmask_b32_e64 v34, 0, 8, vcc_lo
	v_cmp_gt_u32_e32 vcc_lo, v33, v4
	s_waitcnt lgkmcnt(0)
	v_cndmask_b32_e64 v5, 0, v5, s2
	v_add_lshl_u32 v34, v34, v20, 2
	v_cndmask_b32_e32 v8, v36, v8, vcc_lo
	v_cndmask_b32_e32 v6, v6, v35, vcc_lo
	v_cndmask_b32_e64 v5, v5, 0, vcc_lo
	ds_bpermute_b32 v35, v34, v8
	v_and_b32_e32 v36, 1, v6
	v_add_nc_u32_e32 v3, v5, v3
	v_cmp_eq_u32_e32 vcc_lo, 1, v36
	ds_bpermute_b32 v5, v34, v3
	s_waitcnt lgkmcnt(1)
	v_and_b32_e32 v35, 1, v35
	v_cndmask_b32_e64 v35, v35, 1, vcc_lo
	v_cmp_eq_u16_sdwa vcc_lo, v6, v16 src0_sel:BYTE_0 src1_sel:DWORD
	v_and_b32_e32 v36, 0xffff, v35
	s_waitcnt lgkmcnt(0)
	v_cndmask_b32_e32 v5, 0, v5, vcc_lo
	v_cmp_gt_u32_e32 vcc_lo, v37, v4
	v_cndmask_b32_e64 v5, v5, 0, vcc_lo
	v_cndmask_b32_e32 v8, v36, v8, vcc_lo
	v_cndmask_b32_e32 v6, v35, v6, vcc_lo
	v_add_nc_u32_e32 v3, v5, v3
	ds_bpermute_b32 v5, v38, v8
	v_and_b32_e32 v35, 1, v6
	v_cmp_eq_u16_sdwa vcc_lo, v6, v16 src0_sel:BYTE_0 src1_sel:DWORD
	ds_bpermute_b32 v8, v38, v3
	s_waitcnt lgkmcnt(1)
	v_and_b32_e32 v5, 1, v5
	s_waitcnt lgkmcnt(0)
	v_cndmask_b32_e32 v8, 0, v8, vcc_lo
	v_cmp_eq_u32_e32 vcc_lo, 1, v35
	v_cndmask_b32_e64 v5, v5, 1, vcc_lo
	v_cmp_gt_u32_e32 vcc_lo, v39, v4
	v_cndmask_b32_e32 v4, v5, v6, vcc_lo
	v_cndmask_b32_e64 v5, v8, 0, vcc_lo
	v_add_nc_u32_e32 v3, v5, v3
	s_branch .LBB1507_48
.LBB1507_45:                            ;   in Loop: Header=BB1507_48 Depth=1
	s_or_b32 exec_lo, exec_lo, s13
	v_and_b32_e32 v6, 0xff, v6
.LBB1507_46:                            ;   in Loop: Header=BB1507_48 Depth=1
	s_or_b32 exec_lo, exec_lo, s2
	ds_bpermute_b32 v3, v17, v6
	v_cmp_eq_u16_sdwa s2, v7, v28 src0_sel:BYTE_0 src1_sel:DWORD
	v_and_b32_e32 v4, 1, v6
	v_subrev_nc_u32_e32 v15, 32, v15
	v_and_or_b32 v8, s2, v29, 0x80000000
	v_cmp_eq_u32_e32 vcc_lo, 1, v4
	v_cmp_gt_u64_e64 s2, s[10:11], v[5:6]
	v_ffbl_b32_e32 v4, v8
	ds_bpermute_b32 v8, v17, v5
	s_waitcnt lgkmcnt(1)
	v_and_b32_e32 v3, 1, v3
	v_cndmask_b32_e64 v3, v3, 1, vcc_lo
	v_cmp_lt_u32_e32 vcc_lo, v20, v4
	v_and_b32_e32 v40, 0xffff, v3
	v_cndmask_b32_e32 v3, v6, v3, vcc_lo
	v_cndmask_b32_e32 v40, v6, v40, vcc_lo
	s_and_b32 vcc_lo, vcc_lo, s2
	v_cmp_eq_u16_sdwa s2, v3, v16 src0_sel:BYTE_0 src1_sel:DWORD
	s_waitcnt lgkmcnt(0)
	v_cndmask_b32_e32 v6, 0, v8, vcc_lo
	v_and_b32_e32 v8, 1, v3
	ds_bpermute_b32 v41, v30, v40
	v_add_nc_u32_e32 v5, v6, v5
	v_cmp_eq_u32_e32 vcc_lo, 1, v8
	ds_bpermute_b32 v6, v30, v5
	s_waitcnt lgkmcnt(1)
	v_and_b32_e32 v41, 1, v41
	v_cndmask_b32_e64 v8, v41, 1, vcc_lo
	v_cmp_gt_u32_e32 vcc_lo, v31, v4
	v_and_b32_e32 v41, 0xffff, v8
	v_cndmask_b32_e32 v8, v8, v3, vcc_lo
	s_waitcnt lgkmcnt(0)
	v_cndmask_b32_e64 v3, 0, v6, s2
	v_cndmask_b32_e32 v40, v41, v40, vcc_lo
	v_and_b32_e32 v41, 1, v8
	v_cndmask_b32_e64 v3, v3, 0, vcc_lo
	v_cmp_eq_u16_sdwa s2, v8, v16 src0_sel:BYTE_0 src1_sel:DWORD
	ds_bpermute_b32 v6, v32, v40
	v_cmp_eq_u32_e32 vcc_lo, 1, v41
	v_add_nc_u32_e32 v3, v3, v5
	ds_bpermute_b32 v5, v32, v3
	s_waitcnt lgkmcnt(1)
	v_and_b32_e32 v6, 1, v6
	v_cndmask_b32_e64 v6, v6, 1, vcc_lo
	v_cmp_gt_u32_e32 vcc_lo, v33, v4
	s_waitcnt lgkmcnt(0)
	v_cndmask_b32_e64 v5, 0, v5, s2
	s_mov_b32 s2, 0
	v_and_b32_e32 v41, 0xffff, v6
	v_cndmask_b32_e32 v6, v6, v8, vcc_lo
	v_cndmask_b32_e64 v5, v5, 0, vcc_lo
	v_cndmask_b32_e32 v8, v41, v40, vcc_lo
	v_and_b32_e32 v41, 1, v6
	v_add_nc_u32_e32 v3, v5, v3
	ds_bpermute_b32 v40, v34, v8
	v_cmp_eq_u32_e32 vcc_lo, 1, v41
	ds_bpermute_b32 v5, v34, v3
	s_waitcnt lgkmcnt(1)
	v_and_b32_e32 v40, 1, v40
	v_cndmask_b32_e64 v40, v40, 1, vcc_lo
	v_cmp_eq_u16_sdwa vcc_lo, v6, v16 src0_sel:BYTE_0 src1_sel:DWORD
	v_and_b32_e32 v41, 0xffff, v40
	s_waitcnt lgkmcnt(0)
	v_cndmask_b32_e32 v5, 0, v5, vcc_lo
	v_cmp_gt_u32_e32 vcc_lo, v37, v4
	v_cndmask_b32_e64 v5, v5, 0, vcc_lo
	v_cndmask_b32_e32 v8, v41, v8, vcc_lo
	v_cndmask_b32_e32 v6, v40, v6, vcc_lo
	v_add_nc_u32_e32 v3, v5, v3
	ds_bpermute_b32 v5, v38, v8
	v_and_b32_e32 v40, 1, v6
	ds_bpermute_b32 v8, v38, v3
	v_cmp_eq_u32_e32 vcc_lo, 1, v40
	s_waitcnt lgkmcnt(1)
	v_cndmask_b32_e64 v5, v5, 1, vcc_lo
	v_cmp_eq_u16_sdwa vcc_lo, v6, v16 src0_sel:BYTE_0 src1_sel:DWORD
	s_waitcnt lgkmcnt(0)
	v_cndmask_b32_e32 v8, 0, v8, vcc_lo
	v_cmp_gt_u32_e32 vcc_lo, v39, v4
	v_cndmask_b32_e32 v4, v5, v6, vcc_lo
	v_cndmask_b32_e64 v5, v8, 0, vcc_lo
	v_cmp_eq_u16_sdwa vcc_lo, v35, v16 src0_sel:BYTE_0 src1_sel:DWORD
	v_and_b32_e32 v4, 1, v4
	v_add_nc_u32_e32 v3, v5, v3
	v_and_b32_e32 v5, 1, v35
	v_cndmask_b32_e32 v3, 0, v3, vcc_lo
	v_cmp_eq_u32_e32 vcc_lo, 1, v5
	v_add_nc_u32_e32 v3, v3, v36
	v_cndmask_b32_e64 v4, v4, 1, vcc_lo
.LBB1507_47:                            ;   in Loop: Header=BB1507_48 Depth=1
	s_and_b32 vcc_lo, exec_lo, s2
	s_cbranch_vccnz .LBB1507_53
.LBB1507_48:                            ; =>This Loop Header: Depth=1
                                        ;     Child Loop BB1507_51 Depth 2
	v_cmp_ne_u16_sdwa s2, v7, v28 src0_sel:BYTE_0 src1_sel:DWORD
	v_mov_b32_e32 v35, v4
	v_mov_b32_e32 v36, v3
                                        ; implicit-def: $vgpr4
                                        ; implicit-def: $vgpr3
                                        ; implicit-def: $vgpr7
	s_cmp_lg_u32 s2, exec_lo
	s_mov_b32 s2, -1
	s_cbranch_scc1 .LBB1507_47
; %bb.49:                               ;   in Loop: Header=BB1507_48 Depth=1
	v_lshlrev_b64 v[3:4], 4, v[15:16]
	v_add_co_u32 v3, vcc_lo, s16, v3
	v_add_co_ci_u32_e64 v4, null, s17, v4, vcc_lo
	;;#ASMSTART
	global_load_dwordx4 v[5:8], v[3:4] off glc dlc	
s_waitcnt vmcnt(0)
	;;#ASMEND
	v_and_b32_e32 v6, 0xff, v6
	v_cmp_eq_u16_sdwa s13, v7, v16 src0_sel:BYTE_0 src1_sel:DWORD
	s_and_saveexec_b32 s2, s13
	s_cbranch_execz .LBB1507_46
; %bb.50:                               ;   in Loop: Header=BB1507_48 Depth=1
	s_mov_b32 s13, 0
.LBB1507_51:                            ;   Parent Loop BB1507_48 Depth=1
                                        ; =>  This Inner Loop Header: Depth=2
	;;#ASMSTART
	global_load_dwordx4 v[5:8], v[3:4] off glc dlc	
s_waitcnt vmcnt(0)
	;;#ASMEND
	v_cmp_ne_u16_sdwa s19, v7, v16 src0_sel:BYTE_0 src1_sel:DWORD
	s_or_b32 s13, s19, s13
	s_andn2_b32 exec_lo, exec_lo, s13
	s_cbranch_execnz .LBB1507_51
	s_branch .LBB1507_45
.LBB1507_52:
                                        ; implicit-def: $vgpr6
                                        ; implicit-def: $vgpr5
                                        ; implicit-def: $vgpr7
	s_cbranch_execnz .LBB1507_58
	s_branch .LBB1507_73
.LBB1507_53:
	s_and_saveexec_b32 s2, s1
	s_cbranch_execz .LBB1507_55
; %bb.54:
	v_mov_b32_e32 v4, 0
	v_and_b32_e32 v3, 1, v2
	s_mov_b32 s11, 0
	s_add_i32 s10, s6, 32
	v_and_b32_e32 v5, 1, v35
	v_cmp_eq_u32_sdwa vcc_lo, v2, v4 src0_sel:BYTE_0 src1_sel:DWORD
	s_lshl_b64 s[10:11], s[10:11], 4
	s_add_u32 s10, s16, s10
	s_addc_u32 s11, s17, s11
	v_cndmask_b32_e32 v2, 0, v36, vcc_lo
	v_cmp_eq_u32_e32 vcc_lo, 1, v3
	v_mov_b32_e32 v3, 2
	v_add_nc_u32_e32 v1, v2, v1
	v_cndmask_b32_e64 v2, v5, 1, vcc_lo
	v_mov_b32_e32 v5, s10
	v_mov_b32_e32 v6, s11
	;;#ASMSTART
	global_store_dwordx4 v[5:6], v[1:4] off	
s_waitcnt vmcnt(0)
	;;#ASMEND
.LBB1507_55:
	s_or_b32 exec_lo, exec_lo, s2
	v_cmp_eq_u32_e32 vcc_lo, 0, v0
	s_and_b32 exec_lo, exec_lo, vcc_lo
	s_cbranch_execz .LBB1507_57
; %bb.56:
	v_mov_b32_e32 v1, 0
	ds_write_b32 v1, v36 offset:56
	ds_write_b8 v1, v35 offset:60
.LBB1507_57:
	s_or_b32 exec_lo, exec_lo, s3
	v_mov_b32_e32 v1, 0
	s_waitcnt lgkmcnt(0)
	s_barrier
	buffer_gl0_inv
	v_cndmask_b32_e64 v2, v27, v25, s1
	ds_read_b32 v3, v1 offset:56
	v_cndmask_b32_e64 v4, v26, v24, s1
	v_cmp_eq_u16_sdwa vcc_lo, v2, v1 src0_sel:BYTE_0 src1_sel:DWORD
	s_waitcnt lgkmcnt(0)
	v_cndmask_b32_e32 v2, 0, v3, vcc_lo
	v_cmp_eq_u32_e32 vcc_lo, 0, v0
	v_add_nc_u32_e32 v4, v2, v4
	v_and_b32_e32 v2, 0xff, v10
	v_cndmask_b32_e32 v6, v4, v3, vcc_lo
	v_cmp_eq_u64_e32 vcc_lo, 0, v[1:2]
	v_cndmask_b32_e32 v1, 0, v6, vcc_lo
	v_add_nc_u32_e32 v5, v1, v9
	v_cndmask_b32_e64 v1, 0, v5, s0
	v_add_nc_u32_e32 v7, v1, v11
	s_branch .LBB1507_73
.LBB1507_58:
	s_cmp_eq_u64 s[24:25], 0
	v_mov_b32_e32 v3, s26
	s_cselect_b32 s0, -1, 0
	s_cmp_eq_u64 s[22:23], 0
	s_cselect_b32 s1, -1, 0
	s_or_b32 s0, s0, s1
	s_and_b32 vcc_lo, exec_lo, s0
	s_cbranch_vccnz .LBB1507_60
; %bb.59:
	v_mov_b32_e32 v1, 0
	global_load_dword v3, v1, s[22:23]
.LBB1507_60:
	v_and_b32_e32 v2, 0xff, v23
	v_mov_b32_e32 v1, 0
	s_mov_b32 s2, 0
	s_mov_b32 s3, 1
	v_cmp_gt_u64_e32 vcc_lo, s[2:3], v[11:12]
	v_cmp_eq_u64_e64 s0, 0, v[1:2]
	v_cndmask_b32_e32 v4, 0, v9, vcc_lo
	v_cndmask_b32_e64 v2, 1, v10, s0
	v_cmp_gt_u64_e64 s0, s[2:3], v[13:14]
	v_add_nc_u32_e32 v4, v4, v11
	v_and_b32_e32 v5, 0xff, v2
	v_and_b32_e32 v7, 1, v2
	v_cndmask_b32_e64 v4, 0, v4, s0
	v_mov_b32_dpp v6, v5 row_shr:1 row_mask:0xf bank_mask:0xf
	v_cmp_eq_u32_e64 s0, 1, v7
	v_and_b32_e32 v7, 15, v20
	v_add_nc_u32_e32 v4, v4, v13
	v_and_b32_e32 v6, 1, v6
	v_mov_b32_dpp v8, v4 row_shr:1 row_mask:0xf bank_mask:0xf
	v_cndmask_b32_e64 v6, v6, 1, s0
	v_cmp_eq_u16_e64 s0, 0, v5
	v_and_b32_e32 v12, 0xffff, v6
	v_cndmask_b32_e64 v8, 0, v8, s0
	v_cmp_eq_u32_e64 s0, 0, v7
	v_cndmask_b32_e64 v5, v12, v5, s0
	v_cndmask_b32_e64 v2, v6, v2, s0
	;; [unrolled: 1-line block ×3, first 2 shown]
	v_mov_b32_dpp v6, v5 row_shr:2 row_mask:0xf bank_mask:0xf
	v_and_b32_e32 v12, 1, v2
	v_add_nc_u32_e32 v4, v8, v4
	v_cmp_eq_u16_sdwa s2, v2, v1 src0_sel:BYTE_0 src1_sel:DWORD
	v_and_b32_e32 v6, 1, v6
	v_cmp_eq_u32_e64 s0, 1, v12
	v_cndmask_b32_e64 v6, v6, 1, s0
	v_cmp_lt_u32_e64 s0, 1, v7
	v_and_b32_e32 v12, 0xffff, v6
	v_cndmask_b32_e64 v6, v2, v6, s0
	v_mov_b32_dpp v2, v4 row_shr:2 row_mask:0xf bank_mask:0xf
	v_cndmask_b32_e64 v5, v5, v12, s0
	v_and_b32_e32 v8, 1, v6
	s_and_b32 s0, s0, s2
	v_cndmask_b32_e64 v2, 0, v2, s0
	v_mov_b32_dpp v12, v5 row_shr:4 row_mask:0xf bank_mask:0xf
	v_cmp_eq_u32_e64 s1, 1, v8
	v_cmp_lt_u32_e64 s0, 3, v7
	v_add_nc_u32_e32 v2, v2, v4
	v_and_b32_e32 v12, 1, v12
	v_cndmask_b32_e64 v8, v12, 1, s1
	v_cmp_eq_u16_sdwa s1, v6, v1 src0_sel:BYTE_0 src1_sel:DWORD
	v_and_b32_e32 v12, 0xffff, v8
	v_cndmask_b32_e64 v4, v6, v8, s0
	v_mov_b32_dpp v6, v2 row_shr:4 row_mask:0xf bank_mask:0xf
	v_cndmask_b32_e64 v5, v5, v12, s0
	s_and_b32 s0, s0, s1
	v_and_b32_e32 v12, 1, v4
	v_cndmask_b32_e64 v6, 0, v6, s0
	v_cmp_eq_u16_sdwa s1, v4, v1 src0_sel:BYTE_0 src1_sel:DWORD
	v_mov_b32_dpp v8, v5 row_shr:8 row_mask:0xf bank_mask:0xf
	v_cmp_eq_u32_e64 s0, 1, v12
	v_add_nc_u32_e32 v2, v6, v2
	v_and_b32_e32 v8, 1, v8
	v_cndmask_b32_e64 v6, v8, 1, s0
	v_cmp_lt_u32_e64 s0, 7, v7
	v_mov_b32_dpp v7, v2 row_shr:8 row_mask:0xf bank_mask:0xf
	s_and_b32 s1, s0, s1
	v_cndmask_b32_e64 v8, v4, v6, s0
	v_cndmask_b32_e64 v4, 0, v7, s1
	v_and_b32_e32 v6, 0xffff, v6
	v_and_b32_e32 v7, 16, v20
	v_add_nc_u32_e32 v2, v4, v2
	v_cndmask_b32_e64 v4, v5, v6, s0
	v_cmp_eq_u16_sdwa s0, v8, v1 src0_sel:BYTE_0 src1_sel:DWORD
	v_bfe_i32 v6, v20, 4, 1
	v_cmp_eq_u32_e64 s1, 0, v7
	ds_swizzle_b32 v5, v2 offset:swizzle(BROADCAST,32,15)
	ds_swizzle_b32 v4, v4 offset:swizzle(BROADCAST,32,15)
	s_waitcnt lgkmcnt(1)
	v_cndmask_b32_e64 v1, 0, v5, s0
	v_and_b32_e32 v5, 1, v8
	s_waitcnt lgkmcnt(0)
	v_and_b32_e32 v4, 1, v4
	v_and_b32_e32 v1, v6, v1
	v_cmp_eq_u32_e64 s0, 1, v5
	v_lshlrev_b32_e32 v6, 3, v21
	v_cndmask_b32_e64 v5, v4, 1, s0
	v_add_nc_u32_e32 v4, v1, v2
	v_cndmask_b32_e64 v5, v5, v8, s1
	s_mov_b32 s1, exec_lo
	v_cmpx_eq_u32_e64 v0, v22
	s_cbranch_execz .LBB1507_62
; %bb.61:
	ds_write_b32 v6, v4
	ds_write_b8 v6, v5 offset:4
.LBB1507_62:
	s_or_b32 exec_lo, exec_lo, s1
	s_mov_b32 s1, exec_lo
	s_waitcnt vmcnt(0) lgkmcnt(0)
	s_barrier
	buffer_gl0_inv
	v_cmpx_gt_u32_e32 8, v0
	s_cbranch_execz .LBB1507_68
; %bb.63:
	ds_read_b64 v[1:2], v19
	v_and_b32_e32 v7, 7, v20
	s_mov_b32 s2, exec_lo
	s_waitcnt lgkmcnt(0)
	v_and_b32_e32 v8, 0xffffff00, v2
	v_mov_b32_dpp v13, v1 row_shr:1 row_mask:0xf bank_mask:0xf
	v_mov_b32_dpp v14, v2 row_shr:1 row_mask:0xf bank_mask:0xf
	v_mov_b32_e32 v12, v2
	v_cmpx_ne_u32_e32 0, v7
	s_cbranch_execz .LBB1507_65
; %bb.64:
	v_mov_b32_e32 v12, 0
	v_and_b32_e32 v15, 1, v2
	v_and_b32_e32 v14, 1, v14
	v_cmp_eq_u16_sdwa s0, v2, v12 src0_sel:BYTE_0 src1_sel:DWORD
	v_cndmask_b32_e64 v2, 0, v13, s0
	v_cmp_eq_u32_e64 s0, 1, v15
	v_add_nc_u32_e32 v1, v2, v1
	v_cndmask_b32_e64 v13, v14, 1, s0
	v_or_b32_sdwa v12, v8, v13 dst_sel:DWORD dst_unused:UNUSED_PAD src0_sel:DWORD src1_sel:WORD_0
	v_mov_b32_e32 v2, v13
.LBB1507_65:
	s_or_b32 exec_lo, exec_lo, s2
	v_mov_b32_dpp v13, v1 row_shr:2 row_mask:0xf bank_mask:0xf
	v_mov_b32_dpp v14, v12 row_shr:2 row_mask:0xf bank_mask:0xf
	s_mov_b32 s2, exec_lo
	v_cmpx_lt_u32_e32 1, v7
	s_cbranch_execz .LBB1507_67
; %bb.66:
	v_mov_b32_e32 v12, 0
	v_and_b32_e32 v15, 1, v2
	v_and_b32_e32 v14, 1, v14
	v_cmp_eq_u16_sdwa s0, v2, v12 src0_sel:BYTE_0 src1_sel:DWORD
	v_cndmask_b32_e64 v2, 0, v13, s0
	v_cmp_eq_u32_e64 s0, 1, v15
	v_add_nc_u32_e32 v1, v2, v1
	v_cndmask_b32_e64 v13, v14, 1, s0
	v_or_b32_sdwa v12, v8, v13 dst_sel:DWORD dst_unused:UNUSED_PAD src0_sel:DWORD src1_sel:WORD_0
	v_mov_b32_e32 v2, v13
.LBB1507_67:
	s_or_b32 exec_lo, exec_lo, s2
	v_mov_b32_dpp v8, v12 row_shr:4 row_mask:0xf bank_mask:0xf
	v_and_b32_e32 v13, 1, v2
	v_mov_b32_e32 v12, 0
	v_and_b32_e32 v8, 1, v8
	v_cmp_eq_u32_e64 s0, 1, v13
	v_cmp_eq_u16_sdwa s2, v2, v12 src0_sel:BYTE_0 src1_sel:DWORD
	v_cndmask_b32_e64 v8, v8, 1, s0
	v_cmp_lt_u32_e64 s0, 3, v7
	v_mov_b32_dpp v7, v1 row_shr:4 row_mask:0xf bank_mask:0xf
	v_cndmask_b32_e64 v2, v2, v8, s0
	s_and_b32 s0, s0, s2
	v_cndmask_b32_e64 v7, 0, v7, s0
	v_add_nc_u32_e32 v1, v7, v1
	ds_write_b32 v19, v1
	ds_write_b8 v19, v2 offset:4
.LBB1507_68:
	s_or_b32 exec_lo, exec_lo, s1
	v_mov_b32_e32 v2, v3
	s_mov_b32 s1, exec_lo
	s_waitcnt lgkmcnt(0)
	s_barrier
	buffer_gl0_inv
	v_cmpx_lt_u32_e32 31, v0
	s_cbranch_execz .LBB1507_70
; %bb.69:
	v_add_nc_u32_e32 v1, -4, v6
	v_add_nc_u32_e32 v2, -8, v6
	ds_read_u8 v1, v1
	ds_read_b32 v2, v2
	s_waitcnt lgkmcnt(1)
	v_cmp_eq_u16_e64 s0, 0, v1
	v_cndmask_b32_e64 v1, 0, v3, s0
	s_waitcnt lgkmcnt(0)
	v_add_nc_u32_e32 v2, v1, v2
.LBB1507_70:
	s_or_b32 exec_lo, exec_lo, s1
	v_mov_b32_e32 v1, 0
	v_sub_co_u32 v6, s0, v20, 1
	v_cmp_eq_u16_sdwa s1, v5, v1 src0_sel:BYTE_0 src1_sel:DWORD
	v_cndmask_b32_e64 v5, 0, v2, s1
	v_cmp_gt_i32_e64 s1, 0, v6
	v_add_nc_u32_e32 v4, v5, v4
	v_cndmask_b32_e64 v6, v6, v20, s1
	v_lshlrev_b32_e32 v5, 2, v6
	ds_bpermute_b32 v4, v5, v4
	s_waitcnt lgkmcnt(0)
	v_cndmask_b32_e64 v6, v4, v2, s0
	v_and_b32_e32 v2, 0xff, v10
	v_cmp_eq_u32_e64 s0, 0, v0
	v_cmp_eq_u64_e64 s1, 0, v[1:2]
	v_cndmask_b32_e64 v4, v6, v3, s0
	v_cndmask_b32_e64 v2, 0, v4, s1
	v_add_nc_u32_e32 v5, v2, v9
	v_cndmask_b32_e32 v2, 0, v5, vcc_lo
	s_and_saveexec_b32 s1, s0
	s_cbranch_execz .LBB1507_72
; %bb.71:
	ds_read_u8 v4, v1 offset:60
	ds_read_b32 v6, v1 offset:56
	v_mov_b32_e32 v9, v1
	s_add_u32 s2, s16, 0x200
	s_addc_u32 s3, s17, 0
	v_mov_b32_e32 v10, v1
	v_mov_b32_e32 v13, s3
	;; [unrolled: 1-line block ×3, first 2 shown]
	s_waitcnt lgkmcnt(1)
	v_and_b32_e32 v8, 0xffff, v4
	v_cmp_eq_u64_e32 vcc_lo, 0, v[8:9]
	v_mov_b32_e32 v9, 2
	v_cndmask_b32_e32 v4, 0, v3, vcc_lo
	s_waitcnt lgkmcnt(0)
	v_add_nc_u32_e32 v7, v4, v6
	v_mov_b32_e32 v6, v3
	;;#ASMSTART
	global_store_dwordx4 v[12:13], v[7:10] off	
s_waitcnt vmcnt(0)
	;;#ASMEND
.LBB1507_72:
	s_or_b32 exec_lo, exec_lo, s1
	v_add_nc_u32_e32 v7, v2, v11
.LBB1507_73:
	s_add_u32 s0, s14, s4
	v_mov_b32_e32 v3, 0
	s_addc_u32 s1, s15, s5
	s_add_u32 s0, s0, s8
	s_addc_u32 s1, s1, s9
	s_and_b32 vcc_lo, exec_lo, s7
	s_cbranch_vccz .LBB1507_85
; %bb.74:
	v_mul_u32_u24_e32 v1, 3, v0
	v_mov_b32_e32 v4, 0
	v_mov_b32_e32 v2, 0
	s_add_i32 s12, s12, s18
	s_mov_b32 s2, exec_lo
	v_cmpx_gt_u32_e64 s12, v1
	s_cbranch_execz .LBB1507_80
; %bb.75:
	v_add_nc_u32_e32 v3, 1, v1
	v_mov_b32_e32 v2, 0
	v_mov_b32_e32 v4, 0
	s_mov_b32 s3, exec_lo
	v_cmpx_gt_u32_e64 s12, v3
	s_cbranch_execz .LBB1507_79
; %bb.76:
	v_add_nc_u32_e32 v2, 2, v1
	v_cmp_gt_u32_e32 vcc_lo, s12, v2
	v_mov_b32_e32 v2, 0
	s_and_saveexec_b32 s4, vcc_lo
; %bb.77:
	v_mov_b32_e32 v2, v7
; %bb.78:
	s_or_b32 exec_lo, exec_lo, s4
	v_mov_b32_e32 v4, v5
.LBB1507_79:
	s_or_b32 exec_lo, exec_lo, s3
	v_mov_b32_e32 v3, v6
.LBB1507_80:
	s_or_b32 exec_lo, exec_lo, s2
	v_lshlrev_b32_e32 v8, 2, v1
	s_barrier
	buffer_gl0_inv
	v_sub_nc_u32_e32 v1, v8, v19
	ds_write2_b32 v8, v3, v4 offset1:1
	ds_write_b32 v8, v2 offset:8
	s_waitcnt lgkmcnt(0)
	s_barrier
	buffer_gl0_inv
	ds_read2st64_b32 v[1:2], v1 offset0:4 offset1:8
	v_add_co_u32 v3, s2, s0, v18
	v_add_co_ci_u32_e64 v4, null, s1, 0, s2
	s_mov_b32 s2, exec_lo
	v_cmpx_gt_u32_e64 s12, v0
	s_cbranch_execz .LBB1507_82
; %bb.81:
	v_sub_nc_u32_e32 v9, 0, v19
	v_add_nc_u32_e32 v8, v8, v9
	ds_read_b32 v8, v8
	s_waitcnt lgkmcnt(0)
	flat_store_dword v[3:4], v8
.LBB1507_82:
	s_or_b32 exec_lo, exec_lo, s2
	v_or_b32_e32 v8, 0x100, v0
	s_mov_b32 s2, exec_lo
	v_cmpx_gt_u32_e64 s12, v8
	s_cbranch_execz .LBB1507_84
; %bb.83:
	s_waitcnt lgkmcnt(0)
	flat_store_dword v[3:4], v1 offset:1024
.LBB1507_84:
	s_or_b32 exec_lo, exec_lo, s2
	s_waitcnt lgkmcnt(0)
	v_or_b32_e32 v1, 0x200, v0
	v_cmp_gt_u32_e64 s2, s12, v1
	s_branch .LBB1507_87
.LBB1507_85:
	s_mov_b32 s2, 0
                                        ; implicit-def: $vgpr2
	s_cbranch_execz .LBB1507_87
; %bb.86:
	v_mul_u32_u24_e32 v1, 12, v0
	s_waitcnt_vscnt null, 0x0
	s_barrier
	buffer_gl0_inv
	s_or_b32 s2, s2, exec_lo
	v_sub_nc_u32_e32 v2, v1, v19
	ds_write2_b32 v1, v6, v5 offset1:1
	ds_write_b32 v1, v7 offset:8
	s_waitcnt lgkmcnt(0)
	s_barrier
	buffer_gl0_inv
	ds_read2st64_b32 v[3:4], v2 offset1:4
	ds_read_b32 v2, v2 offset:2048
	v_add_co_u32 v5, s3, s0, v18
	v_add_co_ci_u32_e64 v6, null, s1, 0, s3
	s_waitcnt lgkmcnt(1)
	flat_store_dword v[5:6], v3
	flat_store_dword v[5:6], v4 offset:1024
.LBB1507_87:
	s_and_saveexec_b32 s3, s2
	s_cbranch_execnz .LBB1507_89
; %bb.88:
	s_endpgm
.LBB1507_89:
	v_lshlrev_b32_e32 v0, 2, v0
	v_add_co_u32 v0, s0, s0, v0
	v_add_co_ci_u32_e64 v1, null, s1, 0, s0
	v_add_co_u32 v0, vcc_lo, 0x800, v0
	v_add_co_ci_u32_e64 v1, null, 0, v1, vcc_lo
	s_waitcnt lgkmcnt(2)
	flat_store_dword v[0:1], v2
	s_endpgm
.LBB1507_90:
	v_add_co_u32 v2, s20, s3, v10
	v_add_co_ci_u32_e64 v3, null, s13, 0, s20
	v_mov_b32_e32 v12, v1
	v_mov_b32_e32 v13, v1
	flat_load_dword v11, v[2:3]
	s_waitcnt vmcnt(0) lgkmcnt(0)
	v_mov_b32_e32 v1, v11
	v_mov_b32_e32 v2, v12
	;; [unrolled: 1-line block ×3, first 2 shown]
	s_or_b32 exec_lo, exec_lo, s2
	s_and_saveexec_b32 s2, s0
	s_cbranch_execz .LBB1507_11
.LBB1507_91:
	v_add_co_u32 v11, s0, s3, v10
	v_add_co_ci_u32_e64 v12, null, s13, 0, s0
	flat_load_dword v2, v[11:12] offset:1024
	s_or_b32 exec_lo, exec_lo, s2
	v_mul_u32_u24_e32 v13, 3, v0
	s_and_saveexec_b32 s0, s1
	s_cbranch_execnz .LBB1507_12
	s_branch .LBB1507_13
	.section	.rodata,"a",@progbits
	.p2align	6, 0x0
	.amdhsa_kernel _ZN7rocprim17ROCPRIM_400000_NS6detail17trampoline_kernelINS0_14default_configENS1_27scan_by_key_config_selectorIijEEZZNS1_16scan_by_key_implILNS1_25lookback_scan_determinismE0ELb1ES3_N6thrust23THRUST_200600_302600_NS6detail15normal_iteratorINS9_10device_ptrIiEEEENSB_INSC_IjEEEESG_jNS9_4plusIvEENS9_8equal_toIvEEjEE10hipError_tPvRmT2_T3_T4_T5_mT6_T7_P12ihipStream_tbENKUlT_T0_E_clISt17integral_constantIbLb0EES11_EEDaSW_SX_EUlSW_E_NS1_11comp_targetILNS1_3genE8ELNS1_11target_archE1030ELNS1_3gpuE2ELNS1_3repE0EEENS1_30default_config_static_selectorELNS0_4arch9wavefront6targetE0EEEvT1_
		.amdhsa_group_segment_fixed_size 5120
		.amdhsa_private_segment_fixed_size 0
		.amdhsa_kernarg_size 112
		.amdhsa_user_sgpr_count 6
		.amdhsa_user_sgpr_private_segment_buffer 1
		.amdhsa_user_sgpr_dispatch_ptr 0
		.amdhsa_user_sgpr_queue_ptr 0
		.amdhsa_user_sgpr_kernarg_segment_ptr 1
		.amdhsa_user_sgpr_dispatch_id 0
		.amdhsa_user_sgpr_flat_scratch_init 0
		.amdhsa_user_sgpr_private_segment_size 0
		.amdhsa_wavefront_size32 1
		.amdhsa_uses_dynamic_stack 0
		.amdhsa_system_sgpr_private_segment_wavefront_offset 0
		.amdhsa_system_sgpr_workgroup_id_x 1
		.amdhsa_system_sgpr_workgroup_id_y 0
		.amdhsa_system_sgpr_workgroup_id_z 0
		.amdhsa_system_sgpr_workgroup_info 0
		.amdhsa_system_vgpr_workitem_id 0
		.amdhsa_next_free_vgpr 42
		.amdhsa_next_free_sgpr 30
		.amdhsa_reserve_vcc 1
		.amdhsa_reserve_flat_scratch 1
		.amdhsa_float_round_mode_32 0
		.amdhsa_float_round_mode_16_64 0
		.amdhsa_float_denorm_mode_32 3
		.amdhsa_float_denorm_mode_16_64 3
		.amdhsa_dx10_clamp 1
		.amdhsa_ieee_mode 1
		.amdhsa_fp16_overflow 0
		.amdhsa_workgroup_processor_mode 1
		.amdhsa_memory_ordered 1
		.amdhsa_forward_progress 1
		.amdhsa_shared_vgpr_count 0
		.amdhsa_exception_fp_ieee_invalid_op 0
		.amdhsa_exception_fp_denorm_src 0
		.amdhsa_exception_fp_ieee_div_zero 0
		.amdhsa_exception_fp_ieee_overflow 0
		.amdhsa_exception_fp_ieee_underflow 0
		.amdhsa_exception_fp_ieee_inexact 0
		.amdhsa_exception_int_div_zero 0
	.end_amdhsa_kernel
	.section	.text._ZN7rocprim17ROCPRIM_400000_NS6detail17trampoline_kernelINS0_14default_configENS1_27scan_by_key_config_selectorIijEEZZNS1_16scan_by_key_implILNS1_25lookback_scan_determinismE0ELb1ES3_N6thrust23THRUST_200600_302600_NS6detail15normal_iteratorINS9_10device_ptrIiEEEENSB_INSC_IjEEEESG_jNS9_4plusIvEENS9_8equal_toIvEEjEE10hipError_tPvRmT2_T3_T4_T5_mT6_T7_P12ihipStream_tbENKUlT_T0_E_clISt17integral_constantIbLb0EES11_EEDaSW_SX_EUlSW_E_NS1_11comp_targetILNS1_3genE8ELNS1_11target_archE1030ELNS1_3gpuE2ELNS1_3repE0EEENS1_30default_config_static_selectorELNS0_4arch9wavefront6targetE0EEEvT1_,"axG",@progbits,_ZN7rocprim17ROCPRIM_400000_NS6detail17trampoline_kernelINS0_14default_configENS1_27scan_by_key_config_selectorIijEEZZNS1_16scan_by_key_implILNS1_25lookback_scan_determinismE0ELb1ES3_N6thrust23THRUST_200600_302600_NS6detail15normal_iteratorINS9_10device_ptrIiEEEENSB_INSC_IjEEEESG_jNS9_4plusIvEENS9_8equal_toIvEEjEE10hipError_tPvRmT2_T3_T4_T5_mT6_T7_P12ihipStream_tbENKUlT_T0_E_clISt17integral_constantIbLb0EES11_EEDaSW_SX_EUlSW_E_NS1_11comp_targetILNS1_3genE8ELNS1_11target_archE1030ELNS1_3gpuE2ELNS1_3repE0EEENS1_30default_config_static_selectorELNS0_4arch9wavefront6targetE0EEEvT1_,comdat
.Lfunc_end1507:
	.size	_ZN7rocprim17ROCPRIM_400000_NS6detail17trampoline_kernelINS0_14default_configENS1_27scan_by_key_config_selectorIijEEZZNS1_16scan_by_key_implILNS1_25lookback_scan_determinismE0ELb1ES3_N6thrust23THRUST_200600_302600_NS6detail15normal_iteratorINS9_10device_ptrIiEEEENSB_INSC_IjEEEESG_jNS9_4plusIvEENS9_8equal_toIvEEjEE10hipError_tPvRmT2_T3_T4_T5_mT6_T7_P12ihipStream_tbENKUlT_T0_E_clISt17integral_constantIbLb0EES11_EEDaSW_SX_EUlSW_E_NS1_11comp_targetILNS1_3genE8ELNS1_11target_archE1030ELNS1_3gpuE2ELNS1_3repE0EEENS1_30default_config_static_selectorELNS0_4arch9wavefront6targetE0EEEvT1_, .Lfunc_end1507-_ZN7rocprim17ROCPRIM_400000_NS6detail17trampoline_kernelINS0_14default_configENS1_27scan_by_key_config_selectorIijEEZZNS1_16scan_by_key_implILNS1_25lookback_scan_determinismE0ELb1ES3_N6thrust23THRUST_200600_302600_NS6detail15normal_iteratorINS9_10device_ptrIiEEEENSB_INSC_IjEEEESG_jNS9_4plusIvEENS9_8equal_toIvEEjEE10hipError_tPvRmT2_T3_T4_T5_mT6_T7_P12ihipStream_tbENKUlT_T0_E_clISt17integral_constantIbLb0EES11_EEDaSW_SX_EUlSW_E_NS1_11comp_targetILNS1_3genE8ELNS1_11target_archE1030ELNS1_3gpuE2ELNS1_3repE0EEENS1_30default_config_static_selectorELNS0_4arch9wavefront6targetE0EEEvT1_
                                        ; -- End function
	.set _ZN7rocprim17ROCPRIM_400000_NS6detail17trampoline_kernelINS0_14default_configENS1_27scan_by_key_config_selectorIijEEZZNS1_16scan_by_key_implILNS1_25lookback_scan_determinismE0ELb1ES3_N6thrust23THRUST_200600_302600_NS6detail15normal_iteratorINS9_10device_ptrIiEEEENSB_INSC_IjEEEESG_jNS9_4plusIvEENS9_8equal_toIvEEjEE10hipError_tPvRmT2_T3_T4_T5_mT6_T7_P12ihipStream_tbENKUlT_T0_E_clISt17integral_constantIbLb0EES11_EEDaSW_SX_EUlSW_E_NS1_11comp_targetILNS1_3genE8ELNS1_11target_archE1030ELNS1_3gpuE2ELNS1_3repE0EEENS1_30default_config_static_selectorELNS0_4arch9wavefront6targetE0EEEvT1_.num_vgpr, 42
	.set _ZN7rocprim17ROCPRIM_400000_NS6detail17trampoline_kernelINS0_14default_configENS1_27scan_by_key_config_selectorIijEEZZNS1_16scan_by_key_implILNS1_25lookback_scan_determinismE0ELb1ES3_N6thrust23THRUST_200600_302600_NS6detail15normal_iteratorINS9_10device_ptrIiEEEENSB_INSC_IjEEEESG_jNS9_4plusIvEENS9_8equal_toIvEEjEE10hipError_tPvRmT2_T3_T4_T5_mT6_T7_P12ihipStream_tbENKUlT_T0_E_clISt17integral_constantIbLb0EES11_EEDaSW_SX_EUlSW_E_NS1_11comp_targetILNS1_3genE8ELNS1_11target_archE1030ELNS1_3gpuE2ELNS1_3repE0EEENS1_30default_config_static_selectorELNS0_4arch9wavefront6targetE0EEEvT1_.num_agpr, 0
	.set _ZN7rocprim17ROCPRIM_400000_NS6detail17trampoline_kernelINS0_14default_configENS1_27scan_by_key_config_selectorIijEEZZNS1_16scan_by_key_implILNS1_25lookback_scan_determinismE0ELb1ES3_N6thrust23THRUST_200600_302600_NS6detail15normal_iteratorINS9_10device_ptrIiEEEENSB_INSC_IjEEEESG_jNS9_4plusIvEENS9_8equal_toIvEEjEE10hipError_tPvRmT2_T3_T4_T5_mT6_T7_P12ihipStream_tbENKUlT_T0_E_clISt17integral_constantIbLb0EES11_EEDaSW_SX_EUlSW_E_NS1_11comp_targetILNS1_3genE8ELNS1_11target_archE1030ELNS1_3gpuE2ELNS1_3repE0EEENS1_30default_config_static_selectorELNS0_4arch9wavefront6targetE0EEEvT1_.numbered_sgpr, 30
	.set _ZN7rocprim17ROCPRIM_400000_NS6detail17trampoline_kernelINS0_14default_configENS1_27scan_by_key_config_selectorIijEEZZNS1_16scan_by_key_implILNS1_25lookback_scan_determinismE0ELb1ES3_N6thrust23THRUST_200600_302600_NS6detail15normal_iteratorINS9_10device_ptrIiEEEENSB_INSC_IjEEEESG_jNS9_4plusIvEENS9_8equal_toIvEEjEE10hipError_tPvRmT2_T3_T4_T5_mT6_T7_P12ihipStream_tbENKUlT_T0_E_clISt17integral_constantIbLb0EES11_EEDaSW_SX_EUlSW_E_NS1_11comp_targetILNS1_3genE8ELNS1_11target_archE1030ELNS1_3gpuE2ELNS1_3repE0EEENS1_30default_config_static_selectorELNS0_4arch9wavefront6targetE0EEEvT1_.num_named_barrier, 0
	.set _ZN7rocprim17ROCPRIM_400000_NS6detail17trampoline_kernelINS0_14default_configENS1_27scan_by_key_config_selectorIijEEZZNS1_16scan_by_key_implILNS1_25lookback_scan_determinismE0ELb1ES3_N6thrust23THRUST_200600_302600_NS6detail15normal_iteratorINS9_10device_ptrIiEEEENSB_INSC_IjEEEESG_jNS9_4plusIvEENS9_8equal_toIvEEjEE10hipError_tPvRmT2_T3_T4_T5_mT6_T7_P12ihipStream_tbENKUlT_T0_E_clISt17integral_constantIbLb0EES11_EEDaSW_SX_EUlSW_E_NS1_11comp_targetILNS1_3genE8ELNS1_11target_archE1030ELNS1_3gpuE2ELNS1_3repE0EEENS1_30default_config_static_selectorELNS0_4arch9wavefront6targetE0EEEvT1_.private_seg_size, 0
	.set _ZN7rocprim17ROCPRIM_400000_NS6detail17trampoline_kernelINS0_14default_configENS1_27scan_by_key_config_selectorIijEEZZNS1_16scan_by_key_implILNS1_25lookback_scan_determinismE0ELb1ES3_N6thrust23THRUST_200600_302600_NS6detail15normal_iteratorINS9_10device_ptrIiEEEENSB_INSC_IjEEEESG_jNS9_4plusIvEENS9_8equal_toIvEEjEE10hipError_tPvRmT2_T3_T4_T5_mT6_T7_P12ihipStream_tbENKUlT_T0_E_clISt17integral_constantIbLb0EES11_EEDaSW_SX_EUlSW_E_NS1_11comp_targetILNS1_3genE8ELNS1_11target_archE1030ELNS1_3gpuE2ELNS1_3repE0EEENS1_30default_config_static_selectorELNS0_4arch9wavefront6targetE0EEEvT1_.uses_vcc, 1
	.set _ZN7rocprim17ROCPRIM_400000_NS6detail17trampoline_kernelINS0_14default_configENS1_27scan_by_key_config_selectorIijEEZZNS1_16scan_by_key_implILNS1_25lookback_scan_determinismE0ELb1ES3_N6thrust23THRUST_200600_302600_NS6detail15normal_iteratorINS9_10device_ptrIiEEEENSB_INSC_IjEEEESG_jNS9_4plusIvEENS9_8equal_toIvEEjEE10hipError_tPvRmT2_T3_T4_T5_mT6_T7_P12ihipStream_tbENKUlT_T0_E_clISt17integral_constantIbLb0EES11_EEDaSW_SX_EUlSW_E_NS1_11comp_targetILNS1_3genE8ELNS1_11target_archE1030ELNS1_3gpuE2ELNS1_3repE0EEENS1_30default_config_static_selectorELNS0_4arch9wavefront6targetE0EEEvT1_.uses_flat_scratch, 1
	.set _ZN7rocprim17ROCPRIM_400000_NS6detail17trampoline_kernelINS0_14default_configENS1_27scan_by_key_config_selectorIijEEZZNS1_16scan_by_key_implILNS1_25lookback_scan_determinismE0ELb1ES3_N6thrust23THRUST_200600_302600_NS6detail15normal_iteratorINS9_10device_ptrIiEEEENSB_INSC_IjEEEESG_jNS9_4plusIvEENS9_8equal_toIvEEjEE10hipError_tPvRmT2_T3_T4_T5_mT6_T7_P12ihipStream_tbENKUlT_T0_E_clISt17integral_constantIbLb0EES11_EEDaSW_SX_EUlSW_E_NS1_11comp_targetILNS1_3genE8ELNS1_11target_archE1030ELNS1_3gpuE2ELNS1_3repE0EEENS1_30default_config_static_selectorELNS0_4arch9wavefront6targetE0EEEvT1_.has_dyn_sized_stack, 0
	.set _ZN7rocprim17ROCPRIM_400000_NS6detail17trampoline_kernelINS0_14default_configENS1_27scan_by_key_config_selectorIijEEZZNS1_16scan_by_key_implILNS1_25lookback_scan_determinismE0ELb1ES3_N6thrust23THRUST_200600_302600_NS6detail15normal_iteratorINS9_10device_ptrIiEEEENSB_INSC_IjEEEESG_jNS9_4plusIvEENS9_8equal_toIvEEjEE10hipError_tPvRmT2_T3_T4_T5_mT6_T7_P12ihipStream_tbENKUlT_T0_E_clISt17integral_constantIbLb0EES11_EEDaSW_SX_EUlSW_E_NS1_11comp_targetILNS1_3genE8ELNS1_11target_archE1030ELNS1_3gpuE2ELNS1_3repE0EEENS1_30default_config_static_selectorELNS0_4arch9wavefront6targetE0EEEvT1_.has_recursion, 0
	.set _ZN7rocprim17ROCPRIM_400000_NS6detail17trampoline_kernelINS0_14default_configENS1_27scan_by_key_config_selectorIijEEZZNS1_16scan_by_key_implILNS1_25lookback_scan_determinismE0ELb1ES3_N6thrust23THRUST_200600_302600_NS6detail15normal_iteratorINS9_10device_ptrIiEEEENSB_INSC_IjEEEESG_jNS9_4plusIvEENS9_8equal_toIvEEjEE10hipError_tPvRmT2_T3_T4_T5_mT6_T7_P12ihipStream_tbENKUlT_T0_E_clISt17integral_constantIbLb0EES11_EEDaSW_SX_EUlSW_E_NS1_11comp_targetILNS1_3genE8ELNS1_11target_archE1030ELNS1_3gpuE2ELNS1_3repE0EEENS1_30default_config_static_selectorELNS0_4arch9wavefront6targetE0EEEvT1_.has_indirect_call, 0
	.section	.AMDGPU.csdata,"",@progbits
; Kernel info:
; codeLenInByte = 6184
; TotalNumSgprs: 32
; NumVgprs: 42
; ScratchSize: 0
; MemoryBound: 0
; FloatMode: 240
; IeeeMode: 1
; LDSByteSize: 5120 bytes/workgroup (compile time only)
; SGPRBlocks: 0
; VGPRBlocks: 5
; NumSGPRsForWavesPerEU: 32
; NumVGPRsForWavesPerEU: 42
; Occupancy: 16
; WaveLimiterHint : 1
; COMPUTE_PGM_RSRC2:SCRATCH_EN: 0
; COMPUTE_PGM_RSRC2:USER_SGPR: 6
; COMPUTE_PGM_RSRC2:TRAP_HANDLER: 0
; COMPUTE_PGM_RSRC2:TGID_X_EN: 1
; COMPUTE_PGM_RSRC2:TGID_Y_EN: 0
; COMPUTE_PGM_RSRC2:TGID_Z_EN: 0
; COMPUTE_PGM_RSRC2:TIDIG_COMP_CNT: 0
	.section	.text._ZN7rocprim17ROCPRIM_400000_NS6detail17trampoline_kernelINS0_14default_configENS1_27scan_by_key_config_selectorIijEEZZNS1_16scan_by_key_implILNS1_25lookback_scan_determinismE0ELb1ES3_N6thrust23THRUST_200600_302600_NS6detail15normal_iteratorINS9_10device_ptrIiEEEENSB_INSC_IjEEEESG_jNS9_4plusIvEENS9_8equal_toIvEEjEE10hipError_tPvRmT2_T3_T4_T5_mT6_T7_P12ihipStream_tbENKUlT_T0_E_clISt17integral_constantIbLb1EES11_EEDaSW_SX_EUlSW_E_NS1_11comp_targetILNS1_3genE0ELNS1_11target_archE4294967295ELNS1_3gpuE0ELNS1_3repE0EEENS1_30default_config_static_selectorELNS0_4arch9wavefront6targetE0EEEvT1_,"axG",@progbits,_ZN7rocprim17ROCPRIM_400000_NS6detail17trampoline_kernelINS0_14default_configENS1_27scan_by_key_config_selectorIijEEZZNS1_16scan_by_key_implILNS1_25lookback_scan_determinismE0ELb1ES3_N6thrust23THRUST_200600_302600_NS6detail15normal_iteratorINS9_10device_ptrIiEEEENSB_INSC_IjEEEESG_jNS9_4plusIvEENS9_8equal_toIvEEjEE10hipError_tPvRmT2_T3_T4_T5_mT6_T7_P12ihipStream_tbENKUlT_T0_E_clISt17integral_constantIbLb1EES11_EEDaSW_SX_EUlSW_E_NS1_11comp_targetILNS1_3genE0ELNS1_11target_archE4294967295ELNS1_3gpuE0ELNS1_3repE0EEENS1_30default_config_static_selectorELNS0_4arch9wavefront6targetE0EEEvT1_,comdat
	.protected	_ZN7rocprim17ROCPRIM_400000_NS6detail17trampoline_kernelINS0_14default_configENS1_27scan_by_key_config_selectorIijEEZZNS1_16scan_by_key_implILNS1_25lookback_scan_determinismE0ELb1ES3_N6thrust23THRUST_200600_302600_NS6detail15normal_iteratorINS9_10device_ptrIiEEEENSB_INSC_IjEEEESG_jNS9_4plusIvEENS9_8equal_toIvEEjEE10hipError_tPvRmT2_T3_T4_T5_mT6_T7_P12ihipStream_tbENKUlT_T0_E_clISt17integral_constantIbLb1EES11_EEDaSW_SX_EUlSW_E_NS1_11comp_targetILNS1_3genE0ELNS1_11target_archE4294967295ELNS1_3gpuE0ELNS1_3repE0EEENS1_30default_config_static_selectorELNS0_4arch9wavefront6targetE0EEEvT1_ ; -- Begin function _ZN7rocprim17ROCPRIM_400000_NS6detail17trampoline_kernelINS0_14default_configENS1_27scan_by_key_config_selectorIijEEZZNS1_16scan_by_key_implILNS1_25lookback_scan_determinismE0ELb1ES3_N6thrust23THRUST_200600_302600_NS6detail15normal_iteratorINS9_10device_ptrIiEEEENSB_INSC_IjEEEESG_jNS9_4plusIvEENS9_8equal_toIvEEjEE10hipError_tPvRmT2_T3_T4_T5_mT6_T7_P12ihipStream_tbENKUlT_T0_E_clISt17integral_constantIbLb1EES11_EEDaSW_SX_EUlSW_E_NS1_11comp_targetILNS1_3genE0ELNS1_11target_archE4294967295ELNS1_3gpuE0ELNS1_3repE0EEENS1_30default_config_static_selectorELNS0_4arch9wavefront6targetE0EEEvT1_
	.globl	_ZN7rocprim17ROCPRIM_400000_NS6detail17trampoline_kernelINS0_14default_configENS1_27scan_by_key_config_selectorIijEEZZNS1_16scan_by_key_implILNS1_25lookback_scan_determinismE0ELb1ES3_N6thrust23THRUST_200600_302600_NS6detail15normal_iteratorINS9_10device_ptrIiEEEENSB_INSC_IjEEEESG_jNS9_4plusIvEENS9_8equal_toIvEEjEE10hipError_tPvRmT2_T3_T4_T5_mT6_T7_P12ihipStream_tbENKUlT_T0_E_clISt17integral_constantIbLb1EES11_EEDaSW_SX_EUlSW_E_NS1_11comp_targetILNS1_3genE0ELNS1_11target_archE4294967295ELNS1_3gpuE0ELNS1_3repE0EEENS1_30default_config_static_selectorELNS0_4arch9wavefront6targetE0EEEvT1_
	.p2align	8
	.type	_ZN7rocprim17ROCPRIM_400000_NS6detail17trampoline_kernelINS0_14default_configENS1_27scan_by_key_config_selectorIijEEZZNS1_16scan_by_key_implILNS1_25lookback_scan_determinismE0ELb1ES3_N6thrust23THRUST_200600_302600_NS6detail15normal_iteratorINS9_10device_ptrIiEEEENSB_INSC_IjEEEESG_jNS9_4plusIvEENS9_8equal_toIvEEjEE10hipError_tPvRmT2_T3_T4_T5_mT6_T7_P12ihipStream_tbENKUlT_T0_E_clISt17integral_constantIbLb1EES11_EEDaSW_SX_EUlSW_E_NS1_11comp_targetILNS1_3genE0ELNS1_11target_archE4294967295ELNS1_3gpuE0ELNS1_3repE0EEENS1_30default_config_static_selectorELNS0_4arch9wavefront6targetE0EEEvT1_,@function
_ZN7rocprim17ROCPRIM_400000_NS6detail17trampoline_kernelINS0_14default_configENS1_27scan_by_key_config_selectorIijEEZZNS1_16scan_by_key_implILNS1_25lookback_scan_determinismE0ELb1ES3_N6thrust23THRUST_200600_302600_NS6detail15normal_iteratorINS9_10device_ptrIiEEEENSB_INSC_IjEEEESG_jNS9_4plusIvEENS9_8equal_toIvEEjEE10hipError_tPvRmT2_T3_T4_T5_mT6_T7_P12ihipStream_tbENKUlT_T0_E_clISt17integral_constantIbLb1EES11_EEDaSW_SX_EUlSW_E_NS1_11comp_targetILNS1_3genE0ELNS1_11target_archE4294967295ELNS1_3gpuE0ELNS1_3repE0EEENS1_30default_config_static_selectorELNS0_4arch9wavefront6targetE0EEEvT1_: ; @_ZN7rocprim17ROCPRIM_400000_NS6detail17trampoline_kernelINS0_14default_configENS1_27scan_by_key_config_selectorIijEEZZNS1_16scan_by_key_implILNS1_25lookback_scan_determinismE0ELb1ES3_N6thrust23THRUST_200600_302600_NS6detail15normal_iteratorINS9_10device_ptrIiEEEENSB_INSC_IjEEEESG_jNS9_4plusIvEENS9_8equal_toIvEEjEE10hipError_tPvRmT2_T3_T4_T5_mT6_T7_P12ihipStream_tbENKUlT_T0_E_clISt17integral_constantIbLb1EES11_EEDaSW_SX_EUlSW_E_NS1_11comp_targetILNS1_3genE0ELNS1_11target_archE4294967295ELNS1_3gpuE0ELNS1_3repE0EEENS1_30default_config_static_selectorELNS0_4arch9wavefront6targetE0EEEvT1_
; %bb.0:
	.section	.rodata,"a",@progbits
	.p2align	6, 0x0
	.amdhsa_kernel _ZN7rocprim17ROCPRIM_400000_NS6detail17trampoline_kernelINS0_14default_configENS1_27scan_by_key_config_selectorIijEEZZNS1_16scan_by_key_implILNS1_25lookback_scan_determinismE0ELb1ES3_N6thrust23THRUST_200600_302600_NS6detail15normal_iteratorINS9_10device_ptrIiEEEENSB_INSC_IjEEEESG_jNS9_4plusIvEENS9_8equal_toIvEEjEE10hipError_tPvRmT2_T3_T4_T5_mT6_T7_P12ihipStream_tbENKUlT_T0_E_clISt17integral_constantIbLb1EES11_EEDaSW_SX_EUlSW_E_NS1_11comp_targetILNS1_3genE0ELNS1_11target_archE4294967295ELNS1_3gpuE0ELNS1_3repE0EEENS1_30default_config_static_selectorELNS0_4arch9wavefront6targetE0EEEvT1_
		.amdhsa_group_segment_fixed_size 0
		.amdhsa_private_segment_fixed_size 0
		.amdhsa_kernarg_size 112
		.amdhsa_user_sgpr_count 6
		.amdhsa_user_sgpr_private_segment_buffer 1
		.amdhsa_user_sgpr_dispatch_ptr 0
		.amdhsa_user_sgpr_queue_ptr 0
		.amdhsa_user_sgpr_kernarg_segment_ptr 1
		.amdhsa_user_sgpr_dispatch_id 0
		.amdhsa_user_sgpr_flat_scratch_init 0
		.amdhsa_user_sgpr_private_segment_size 0
		.amdhsa_wavefront_size32 1
		.amdhsa_uses_dynamic_stack 0
		.amdhsa_system_sgpr_private_segment_wavefront_offset 0
		.amdhsa_system_sgpr_workgroup_id_x 1
		.amdhsa_system_sgpr_workgroup_id_y 0
		.amdhsa_system_sgpr_workgroup_id_z 0
		.amdhsa_system_sgpr_workgroup_info 0
		.amdhsa_system_vgpr_workitem_id 0
		.amdhsa_next_free_vgpr 1
		.amdhsa_next_free_sgpr 1
		.amdhsa_reserve_vcc 0
		.amdhsa_reserve_flat_scratch 0
		.amdhsa_float_round_mode_32 0
		.amdhsa_float_round_mode_16_64 0
		.amdhsa_float_denorm_mode_32 3
		.amdhsa_float_denorm_mode_16_64 3
		.amdhsa_dx10_clamp 1
		.amdhsa_ieee_mode 1
		.amdhsa_fp16_overflow 0
		.amdhsa_workgroup_processor_mode 1
		.amdhsa_memory_ordered 1
		.amdhsa_forward_progress 1
		.amdhsa_shared_vgpr_count 0
		.amdhsa_exception_fp_ieee_invalid_op 0
		.amdhsa_exception_fp_denorm_src 0
		.amdhsa_exception_fp_ieee_div_zero 0
		.amdhsa_exception_fp_ieee_overflow 0
		.amdhsa_exception_fp_ieee_underflow 0
		.amdhsa_exception_fp_ieee_inexact 0
		.amdhsa_exception_int_div_zero 0
	.end_amdhsa_kernel
	.section	.text._ZN7rocprim17ROCPRIM_400000_NS6detail17trampoline_kernelINS0_14default_configENS1_27scan_by_key_config_selectorIijEEZZNS1_16scan_by_key_implILNS1_25lookback_scan_determinismE0ELb1ES3_N6thrust23THRUST_200600_302600_NS6detail15normal_iteratorINS9_10device_ptrIiEEEENSB_INSC_IjEEEESG_jNS9_4plusIvEENS9_8equal_toIvEEjEE10hipError_tPvRmT2_T3_T4_T5_mT6_T7_P12ihipStream_tbENKUlT_T0_E_clISt17integral_constantIbLb1EES11_EEDaSW_SX_EUlSW_E_NS1_11comp_targetILNS1_3genE0ELNS1_11target_archE4294967295ELNS1_3gpuE0ELNS1_3repE0EEENS1_30default_config_static_selectorELNS0_4arch9wavefront6targetE0EEEvT1_,"axG",@progbits,_ZN7rocprim17ROCPRIM_400000_NS6detail17trampoline_kernelINS0_14default_configENS1_27scan_by_key_config_selectorIijEEZZNS1_16scan_by_key_implILNS1_25lookback_scan_determinismE0ELb1ES3_N6thrust23THRUST_200600_302600_NS6detail15normal_iteratorINS9_10device_ptrIiEEEENSB_INSC_IjEEEESG_jNS9_4plusIvEENS9_8equal_toIvEEjEE10hipError_tPvRmT2_T3_T4_T5_mT6_T7_P12ihipStream_tbENKUlT_T0_E_clISt17integral_constantIbLb1EES11_EEDaSW_SX_EUlSW_E_NS1_11comp_targetILNS1_3genE0ELNS1_11target_archE4294967295ELNS1_3gpuE0ELNS1_3repE0EEENS1_30default_config_static_selectorELNS0_4arch9wavefront6targetE0EEEvT1_,comdat
.Lfunc_end1508:
	.size	_ZN7rocprim17ROCPRIM_400000_NS6detail17trampoline_kernelINS0_14default_configENS1_27scan_by_key_config_selectorIijEEZZNS1_16scan_by_key_implILNS1_25lookback_scan_determinismE0ELb1ES3_N6thrust23THRUST_200600_302600_NS6detail15normal_iteratorINS9_10device_ptrIiEEEENSB_INSC_IjEEEESG_jNS9_4plusIvEENS9_8equal_toIvEEjEE10hipError_tPvRmT2_T3_T4_T5_mT6_T7_P12ihipStream_tbENKUlT_T0_E_clISt17integral_constantIbLb1EES11_EEDaSW_SX_EUlSW_E_NS1_11comp_targetILNS1_3genE0ELNS1_11target_archE4294967295ELNS1_3gpuE0ELNS1_3repE0EEENS1_30default_config_static_selectorELNS0_4arch9wavefront6targetE0EEEvT1_, .Lfunc_end1508-_ZN7rocprim17ROCPRIM_400000_NS6detail17trampoline_kernelINS0_14default_configENS1_27scan_by_key_config_selectorIijEEZZNS1_16scan_by_key_implILNS1_25lookback_scan_determinismE0ELb1ES3_N6thrust23THRUST_200600_302600_NS6detail15normal_iteratorINS9_10device_ptrIiEEEENSB_INSC_IjEEEESG_jNS9_4plusIvEENS9_8equal_toIvEEjEE10hipError_tPvRmT2_T3_T4_T5_mT6_T7_P12ihipStream_tbENKUlT_T0_E_clISt17integral_constantIbLb1EES11_EEDaSW_SX_EUlSW_E_NS1_11comp_targetILNS1_3genE0ELNS1_11target_archE4294967295ELNS1_3gpuE0ELNS1_3repE0EEENS1_30default_config_static_selectorELNS0_4arch9wavefront6targetE0EEEvT1_
                                        ; -- End function
	.set _ZN7rocprim17ROCPRIM_400000_NS6detail17trampoline_kernelINS0_14default_configENS1_27scan_by_key_config_selectorIijEEZZNS1_16scan_by_key_implILNS1_25lookback_scan_determinismE0ELb1ES3_N6thrust23THRUST_200600_302600_NS6detail15normal_iteratorINS9_10device_ptrIiEEEENSB_INSC_IjEEEESG_jNS9_4plusIvEENS9_8equal_toIvEEjEE10hipError_tPvRmT2_T3_T4_T5_mT6_T7_P12ihipStream_tbENKUlT_T0_E_clISt17integral_constantIbLb1EES11_EEDaSW_SX_EUlSW_E_NS1_11comp_targetILNS1_3genE0ELNS1_11target_archE4294967295ELNS1_3gpuE0ELNS1_3repE0EEENS1_30default_config_static_selectorELNS0_4arch9wavefront6targetE0EEEvT1_.num_vgpr, 0
	.set _ZN7rocprim17ROCPRIM_400000_NS6detail17trampoline_kernelINS0_14default_configENS1_27scan_by_key_config_selectorIijEEZZNS1_16scan_by_key_implILNS1_25lookback_scan_determinismE0ELb1ES3_N6thrust23THRUST_200600_302600_NS6detail15normal_iteratorINS9_10device_ptrIiEEEENSB_INSC_IjEEEESG_jNS9_4plusIvEENS9_8equal_toIvEEjEE10hipError_tPvRmT2_T3_T4_T5_mT6_T7_P12ihipStream_tbENKUlT_T0_E_clISt17integral_constantIbLb1EES11_EEDaSW_SX_EUlSW_E_NS1_11comp_targetILNS1_3genE0ELNS1_11target_archE4294967295ELNS1_3gpuE0ELNS1_3repE0EEENS1_30default_config_static_selectorELNS0_4arch9wavefront6targetE0EEEvT1_.num_agpr, 0
	.set _ZN7rocprim17ROCPRIM_400000_NS6detail17trampoline_kernelINS0_14default_configENS1_27scan_by_key_config_selectorIijEEZZNS1_16scan_by_key_implILNS1_25lookback_scan_determinismE0ELb1ES3_N6thrust23THRUST_200600_302600_NS6detail15normal_iteratorINS9_10device_ptrIiEEEENSB_INSC_IjEEEESG_jNS9_4plusIvEENS9_8equal_toIvEEjEE10hipError_tPvRmT2_T3_T4_T5_mT6_T7_P12ihipStream_tbENKUlT_T0_E_clISt17integral_constantIbLb1EES11_EEDaSW_SX_EUlSW_E_NS1_11comp_targetILNS1_3genE0ELNS1_11target_archE4294967295ELNS1_3gpuE0ELNS1_3repE0EEENS1_30default_config_static_selectorELNS0_4arch9wavefront6targetE0EEEvT1_.numbered_sgpr, 0
	.set _ZN7rocprim17ROCPRIM_400000_NS6detail17trampoline_kernelINS0_14default_configENS1_27scan_by_key_config_selectorIijEEZZNS1_16scan_by_key_implILNS1_25lookback_scan_determinismE0ELb1ES3_N6thrust23THRUST_200600_302600_NS6detail15normal_iteratorINS9_10device_ptrIiEEEENSB_INSC_IjEEEESG_jNS9_4plusIvEENS9_8equal_toIvEEjEE10hipError_tPvRmT2_T3_T4_T5_mT6_T7_P12ihipStream_tbENKUlT_T0_E_clISt17integral_constantIbLb1EES11_EEDaSW_SX_EUlSW_E_NS1_11comp_targetILNS1_3genE0ELNS1_11target_archE4294967295ELNS1_3gpuE0ELNS1_3repE0EEENS1_30default_config_static_selectorELNS0_4arch9wavefront6targetE0EEEvT1_.num_named_barrier, 0
	.set _ZN7rocprim17ROCPRIM_400000_NS6detail17trampoline_kernelINS0_14default_configENS1_27scan_by_key_config_selectorIijEEZZNS1_16scan_by_key_implILNS1_25lookback_scan_determinismE0ELb1ES3_N6thrust23THRUST_200600_302600_NS6detail15normal_iteratorINS9_10device_ptrIiEEEENSB_INSC_IjEEEESG_jNS9_4plusIvEENS9_8equal_toIvEEjEE10hipError_tPvRmT2_T3_T4_T5_mT6_T7_P12ihipStream_tbENKUlT_T0_E_clISt17integral_constantIbLb1EES11_EEDaSW_SX_EUlSW_E_NS1_11comp_targetILNS1_3genE0ELNS1_11target_archE4294967295ELNS1_3gpuE0ELNS1_3repE0EEENS1_30default_config_static_selectorELNS0_4arch9wavefront6targetE0EEEvT1_.private_seg_size, 0
	.set _ZN7rocprim17ROCPRIM_400000_NS6detail17trampoline_kernelINS0_14default_configENS1_27scan_by_key_config_selectorIijEEZZNS1_16scan_by_key_implILNS1_25lookback_scan_determinismE0ELb1ES3_N6thrust23THRUST_200600_302600_NS6detail15normal_iteratorINS9_10device_ptrIiEEEENSB_INSC_IjEEEESG_jNS9_4plusIvEENS9_8equal_toIvEEjEE10hipError_tPvRmT2_T3_T4_T5_mT6_T7_P12ihipStream_tbENKUlT_T0_E_clISt17integral_constantIbLb1EES11_EEDaSW_SX_EUlSW_E_NS1_11comp_targetILNS1_3genE0ELNS1_11target_archE4294967295ELNS1_3gpuE0ELNS1_3repE0EEENS1_30default_config_static_selectorELNS0_4arch9wavefront6targetE0EEEvT1_.uses_vcc, 0
	.set _ZN7rocprim17ROCPRIM_400000_NS6detail17trampoline_kernelINS0_14default_configENS1_27scan_by_key_config_selectorIijEEZZNS1_16scan_by_key_implILNS1_25lookback_scan_determinismE0ELb1ES3_N6thrust23THRUST_200600_302600_NS6detail15normal_iteratorINS9_10device_ptrIiEEEENSB_INSC_IjEEEESG_jNS9_4plusIvEENS9_8equal_toIvEEjEE10hipError_tPvRmT2_T3_T4_T5_mT6_T7_P12ihipStream_tbENKUlT_T0_E_clISt17integral_constantIbLb1EES11_EEDaSW_SX_EUlSW_E_NS1_11comp_targetILNS1_3genE0ELNS1_11target_archE4294967295ELNS1_3gpuE0ELNS1_3repE0EEENS1_30default_config_static_selectorELNS0_4arch9wavefront6targetE0EEEvT1_.uses_flat_scratch, 0
	.set _ZN7rocprim17ROCPRIM_400000_NS6detail17trampoline_kernelINS0_14default_configENS1_27scan_by_key_config_selectorIijEEZZNS1_16scan_by_key_implILNS1_25lookback_scan_determinismE0ELb1ES3_N6thrust23THRUST_200600_302600_NS6detail15normal_iteratorINS9_10device_ptrIiEEEENSB_INSC_IjEEEESG_jNS9_4plusIvEENS9_8equal_toIvEEjEE10hipError_tPvRmT2_T3_T4_T5_mT6_T7_P12ihipStream_tbENKUlT_T0_E_clISt17integral_constantIbLb1EES11_EEDaSW_SX_EUlSW_E_NS1_11comp_targetILNS1_3genE0ELNS1_11target_archE4294967295ELNS1_3gpuE0ELNS1_3repE0EEENS1_30default_config_static_selectorELNS0_4arch9wavefront6targetE0EEEvT1_.has_dyn_sized_stack, 0
	.set _ZN7rocprim17ROCPRIM_400000_NS6detail17trampoline_kernelINS0_14default_configENS1_27scan_by_key_config_selectorIijEEZZNS1_16scan_by_key_implILNS1_25lookback_scan_determinismE0ELb1ES3_N6thrust23THRUST_200600_302600_NS6detail15normal_iteratorINS9_10device_ptrIiEEEENSB_INSC_IjEEEESG_jNS9_4plusIvEENS9_8equal_toIvEEjEE10hipError_tPvRmT2_T3_T4_T5_mT6_T7_P12ihipStream_tbENKUlT_T0_E_clISt17integral_constantIbLb1EES11_EEDaSW_SX_EUlSW_E_NS1_11comp_targetILNS1_3genE0ELNS1_11target_archE4294967295ELNS1_3gpuE0ELNS1_3repE0EEENS1_30default_config_static_selectorELNS0_4arch9wavefront6targetE0EEEvT1_.has_recursion, 0
	.set _ZN7rocprim17ROCPRIM_400000_NS6detail17trampoline_kernelINS0_14default_configENS1_27scan_by_key_config_selectorIijEEZZNS1_16scan_by_key_implILNS1_25lookback_scan_determinismE0ELb1ES3_N6thrust23THRUST_200600_302600_NS6detail15normal_iteratorINS9_10device_ptrIiEEEENSB_INSC_IjEEEESG_jNS9_4plusIvEENS9_8equal_toIvEEjEE10hipError_tPvRmT2_T3_T4_T5_mT6_T7_P12ihipStream_tbENKUlT_T0_E_clISt17integral_constantIbLb1EES11_EEDaSW_SX_EUlSW_E_NS1_11comp_targetILNS1_3genE0ELNS1_11target_archE4294967295ELNS1_3gpuE0ELNS1_3repE0EEENS1_30default_config_static_selectorELNS0_4arch9wavefront6targetE0EEEvT1_.has_indirect_call, 0
	.section	.AMDGPU.csdata,"",@progbits
; Kernel info:
; codeLenInByte = 0
; TotalNumSgprs: 0
; NumVgprs: 0
; ScratchSize: 0
; MemoryBound: 0
; FloatMode: 240
; IeeeMode: 1
; LDSByteSize: 0 bytes/workgroup (compile time only)
; SGPRBlocks: 0
; VGPRBlocks: 0
; NumSGPRsForWavesPerEU: 1
; NumVGPRsForWavesPerEU: 1
; Occupancy: 16
; WaveLimiterHint : 0
; COMPUTE_PGM_RSRC2:SCRATCH_EN: 0
; COMPUTE_PGM_RSRC2:USER_SGPR: 6
; COMPUTE_PGM_RSRC2:TRAP_HANDLER: 0
; COMPUTE_PGM_RSRC2:TGID_X_EN: 1
; COMPUTE_PGM_RSRC2:TGID_Y_EN: 0
; COMPUTE_PGM_RSRC2:TGID_Z_EN: 0
; COMPUTE_PGM_RSRC2:TIDIG_COMP_CNT: 0
	.section	.text._ZN7rocprim17ROCPRIM_400000_NS6detail17trampoline_kernelINS0_14default_configENS1_27scan_by_key_config_selectorIijEEZZNS1_16scan_by_key_implILNS1_25lookback_scan_determinismE0ELb1ES3_N6thrust23THRUST_200600_302600_NS6detail15normal_iteratorINS9_10device_ptrIiEEEENSB_INSC_IjEEEESG_jNS9_4plusIvEENS9_8equal_toIvEEjEE10hipError_tPvRmT2_T3_T4_T5_mT6_T7_P12ihipStream_tbENKUlT_T0_E_clISt17integral_constantIbLb1EES11_EEDaSW_SX_EUlSW_E_NS1_11comp_targetILNS1_3genE10ELNS1_11target_archE1201ELNS1_3gpuE5ELNS1_3repE0EEENS1_30default_config_static_selectorELNS0_4arch9wavefront6targetE0EEEvT1_,"axG",@progbits,_ZN7rocprim17ROCPRIM_400000_NS6detail17trampoline_kernelINS0_14default_configENS1_27scan_by_key_config_selectorIijEEZZNS1_16scan_by_key_implILNS1_25lookback_scan_determinismE0ELb1ES3_N6thrust23THRUST_200600_302600_NS6detail15normal_iteratorINS9_10device_ptrIiEEEENSB_INSC_IjEEEESG_jNS9_4plusIvEENS9_8equal_toIvEEjEE10hipError_tPvRmT2_T3_T4_T5_mT6_T7_P12ihipStream_tbENKUlT_T0_E_clISt17integral_constantIbLb1EES11_EEDaSW_SX_EUlSW_E_NS1_11comp_targetILNS1_3genE10ELNS1_11target_archE1201ELNS1_3gpuE5ELNS1_3repE0EEENS1_30default_config_static_selectorELNS0_4arch9wavefront6targetE0EEEvT1_,comdat
	.protected	_ZN7rocprim17ROCPRIM_400000_NS6detail17trampoline_kernelINS0_14default_configENS1_27scan_by_key_config_selectorIijEEZZNS1_16scan_by_key_implILNS1_25lookback_scan_determinismE0ELb1ES3_N6thrust23THRUST_200600_302600_NS6detail15normal_iteratorINS9_10device_ptrIiEEEENSB_INSC_IjEEEESG_jNS9_4plusIvEENS9_8equal_toIvEEjEE10hipError_tPvRmT2_T3_T4_T5_mT6_T7_P12ihipStream_tbENKUlT_T0_E_clISt17integral_constantIbLb1EES11_EEDaSW_SX_EUlSW_E_NS1_11comp_targetILNS1_3genE10ELNS1_11target_archE1201ELNS1_3gpuE5ELNS1_3repE0EEENS1_30default_config_static_selectorELNS0_4arch9wavefront6targetE0EEEvT1_ ; -- Begin function _ZN7rocprim17ROCPRIM_400000_NS6detail17trampoline_kernelINS0_14default_configENS1_27scan_by_key_config_selectorIijEEZZNS1_16scan_by_key_implILNS1_25lookback_scan_determinismE0ELb1ES3_N6thrust23THRUST_200600_302600_NS6detail15normal_iteratorINS9_10device_ptrIiEEEENSB_INSC_IjEEEESG_jNS9_4plusIvEENS9_8equal_toIvEEjEE10hipError_tPvRmT2_T3_T4_T5_mT6_T7_P12ihipStream_tbENKUlT_T0_E_clISt17integral_constantIbLb1EES11_EEDaSW_SX_EUlSW_E_NS1_11comp_targetILNS1_3genE10ELNS1_11target_archE1201ELNS1_3gpuE5ELNS1_3repE0EEENS1_30default_config_static_selectorELNS0_4arch9wavefront6targetE0EEEvT1_
	.globl	_ZN7rocprim17ROCPRIM_400000_NS6detail17trampoline_kernelINS0_14default_configENS1_27scan_by_key_config_selectorIijEEZZNS1_16scan_by_key_implILNS1_25lookback_scan_determinismE0ELb1ES3_N6thrust23THRUST_200600_302600_NS6detail15normal_iteratorINS9_10device_ptrIiEEEENSB_INSC_IjEEEESG_jNS9_4plusIvEENS9_8equal_toIvEEjEE10hipError_tPvRmT2_T3_T4_T5_mT6_T7_P12ihipStream_tbENKUlT_T0_E_clISt17integral_constantIbLb1EES11_EEDaSW_SX_EUlSW_E_NS1_11comp_targetILNS1_3genE10ELNS1_11target_archE1201ELNS1_3gpuE5ELNS1_3repE0EEENS1_30default_config_static_selectorELNS0_4arch9wavefront6targetE0EEEvT1_
	.p2align	8
	.type	_ZN7rocprim17ROCPRIM_400000_NS6detail17trampoline_kernelINS0_14default_configENS1_27scan_by_key_config_selectorIijEEZZNS1_16scan_by_key_implILNS1_25lookback_scan_determinismE0ELb1ES3_N6thrust23THRUST_200600_302600_NS6detail15normal_iteratorINS9_10device_ptrIiEEEENSB_INSC_IjEEEESG_jNS9_4plusIvEENS9_8equal_toIvEEjEE10hipError_tPvRmT2_T3_T4_T5_mT6_T7_P12ihipStream_tbENKUlT_T0_E_clISt17integral_constantIbLb1EES11_EEDaSW_SX_EUlSW_E_NS1_11comp_targetILNS1_3genE10ELNS1_11target_archE1201ELNS1_3gpuE5ELNS1_3repE0EEENS1_30default_config_static_selectorELNS0_4arch9wavefront6targetE0EEEvT1_,@function
_ZN7rocprim17ROCPRIM_400000_NS6detail17trampoline_kernelINS0_14default_configENS1_27scan_by_key_config_selectorIijEEZZNS1_16scan_by_key_implILNS1_25lookback_scan_determinismE0ELb1ES3_N6thrust23THRUST_200600_302600_NS6detail15normal_iteratorINS9_10device_ptrIiEEEENSB_INSC_IjEEEESG_jNS9_4plusIvEENS9_8equal_toIvEEjEE10hipError_tPvRmT2_T3_T4_T5_mT6_T7_P12ihipStream_tbENKUlT_T0_E_clISt17integral_constantIbLb1EES11_EEDaSW_SX_EUlSW_E_NS1_11comp_targetILNS1_3genE10ELNS1_11target_archE1201ELNS1_3gpuE5ELNS1_3repE0EEENS1_30default_config_static_selectorELNS0_4arch9wavefront6targetE0EEEvT1_: ; @_ZN7rocprim17ROCPRIM_400000_NS6detail17trampoline_kernelINS0_14default_configENS1_27scan_by_key_config_selectorIijEEZZNS1_16scan_by_key_implILNS1_25lookback_scan_determinismE0ELb1ES3_N6thrust23THRUST_200600_302600_NS6detail15normal_iteratorINS9_10device_ptrIiEEEENSB_INSC_IjEEEESG_jNS9_4plusIvEENS9_8equal_toIvEEjEE10hipError_tPvRmT2_T3_T4_T5_mT6_T7_P12ihipStream_tbENKUlT_T0_E_clISt17integral_constantIbLb1EES11_EEDaSW_SX_EUlSW_E_NS1_11comp_targetILNS1_3genE10ELNS1_11target_archE1201ELNS1_3gpuE5ELNS1_3repE0EEENS1_30default_config_static_selectorELNS0_4arch9wavefront6targetE0EEEvT1_
; %bb.0:
	.section	.rodata,"a",@progbits
	.p2align	6, 0x0
	.amdhsa_kernel _ZN7rocprim17ROCPRIM_400000_NS6detail17trampoline_kernelINS0_14default_configENS1_27scan_by_key_config_selectorIijEEZZNS1_16scan_by_key_implILNS1_25lookback_scan_determinismE0ELb1ES3_N6thrust23THRUST_200600_302600_NS6detail15normal_iteratorINS9_10device_ptrIiEEEENSB_INSC_IjEEEESG_jNS9_4plusIvEENS9_8equal_toIvEEjEE10hipError_tPvRmT2_T3_T4_T5_mT6_T7_P12ihipStream_tbENKUlT_T0_E_clISt17integral_constantIbLb1EES11_EEDaSW_SX_EUlSW_E_NS1_11comp_targetILNS1_3genE10ELNS1_11target_archE1201ELNS1_3gpuE5ELNS1_3repE0EEENS1_30default_config_static_selectorELNS0_4arch9wavefront6targetE0EEEvT1_
		.amdhsa_group_segment_fixed_size 0
		.amdhsa_private_segment_fixed_size 0
		.amdhsa_kernarg_size 112
		.amdhsa_user_sgpr_count 6
		.amdhsa_user_sgpr_private_segment_buffer 1
		.amdhsa_user_sgpr_dispatch_ptr 0
		.amdhsa_user_sgpr_queue_ptr 0
		.amdhsa_user_sgpr_kernarg_segment_ptr 1
		.amdhsa_user_sgpr_dispatch_id 0
		.amdhsa_user_sgpr_flat_scratch_init 0
		.amdhsa_user_sgpr_private_segment_size 0
		.amdhsa_wavefront_size32 1
		.amdhsa_uses_dynamic_stack 0
		.amdhsa_system_sgpr_private_segment_wavefront_offset 0
		.amdhsa_system_sgpr_workgroup_id_x 1
		.amdhsa_system_sgpr_workgroup_id_y 0
		.amdhsa_system_sgpr_workgroup_id_z 0
		.amdhsa_system_sgpr_workgroup_info 0
		.amdhsa_system_vgpr_workitem_id 0
		.amdhsa_next_free_vgpr 1
		.amdhsa_next_free_sgpr 1
		.amdhsa_reserve_vcc 0
		.amdhsa_reserve_flat_scratch 0
		.amdhsa_float_round_mode_32 0
		.amdhsa_float_round_mode_16_64 0
		.amdhsa_float_denorm_mode_32 3
		.amdhsa_float_denorm_mode_16_64 3
		.amdhsa_dx10_clamp 1
		.amdhsa_ieee_mode 1
		.amdhsa_fp16_overflow 0
		.amdhsa_workgroup_processor_mode 1
		.amdhsa_memory_ordered 1
		.amdhsa_forward_progress 1
		.amdhsa_shared_vgpr_count 0
		.amdhsa_exception_fp_ieee_invalid_op 0
		.amdhsa_exception_fp_denorm_src 0
		.amdhsa_exception_fp_ieee_div_zero 0
		.amdhsa_exception_fp_ieee_overflow 0
		.amdhsa_exception_fp_ieee_underflow 0
		.amdhsa_exception_fp_ieee_inexact 0
		.amdhsa_exception_int_div_zero 0
	.end_amdhsa_kernel
	.section	.text._ZN7rocprim17ROCPRIM_400000_NS6detail17trampoline_kernelINS0_14default_configENS1_27scan_by_key_config_selectorIijEEZZNS1_16scan_by_key_implILNS1_25lookback_scan_determinismE0ELb1ES3_N6thrust23THRUST_200600_302600_NS6detail15normal_iteratorINS9_10device_ptrIiEEEENSB_INSC_IjEEEESG_jNS9_4plusIvEENS9_8equal_toIvEEjEE10hipError_tPvRmT2_T3_T4_T5_mT6_T7_P12ihipStream_tbENKUlT_T0_E_clISt17integral_constantIbLb1EES11_EEDaSW_SX_EUlSW_E_NS1_11comp_targetILNS1_3genE10ELNS1_11target_archE1201ELNS1_3gpuE5ELNS1_3repE0EEENS1_30default_config_static_selectorELNS0_4arch9wavefront6targetE0EEEvT1_,"axG",@progbits,_ZN7rocprim17ROCPRIM_400000_NS6detail17trampoline_kernelINS0_14default_configENS1_27scan_by_key_config_selectorIijEEZZNS1_16scan_by_key_implILNS1_25lookback_scan_determinismE0ELb1ES3_N6thrust23THRUST_200600_302600_NS6detail15normal_iteratorINS9_10device_ptrIiEEEENSB_INSC_IjEEEESG_jNS9_4plusIvEENS9_8equal_toIvEEjEE10hipError_tPvRmT2_T3_T4_T5_mT6_T7_P12ihipStream_tbENKUlT_T0_E_clISt17integral_constantIbLb1EES11_EEDaSW_SX_EUlSW_E_NS1_11comp_targetILNS1_3genE10ELNS1_11target_archE1201ELNS1_3gpuE5ELNS1_3repE0EEENS1_30default_config_static_selectorELNS0_4arch9wavefront6targetE0EEEvT1_,comdat
.Lfunc_end1509:
	.size	_ZN7rocprim17ROCPRIM_400000_NS6detail17trampoline_kernelINS0_14default_configENS1_27scan_by_key_config_selectorIijEEZZNS1_16scan_by_key_implILNS1_25lookback_scan_determinismE0ELb1ES3_N6thrust23THRUST_200600_302600_NS6detail15normal_iteratorINS9_10device_ptrIiEEEENSB_INSC_IjEEEESG_jNS9_4plusIvEENS9_8equal_toIvEEjEE10hipError_tPvRmT2_T3_T4_T5_mT6_T7_P12ihipStream_tbENKUlT_T0_E_clISt17integral_constantIbLb1EES11_EEDaSW_SX_EUlSW_E_NS1_11comp_targetILNS1_3genE10ELNS1_11target_archE1201ELNS1_3gpuE5ELNS1_3repE0EEENS1_30default_config_static_selectorELNS0_4arch9wavefront6targetE0EEEvT1_, .Lfunc_end1509-_ZN7rocprim17ROCPRIM_400000_NS6detail17trampoline_kernelINS0_14default_configENS1_27scan_by_key_config_selectorIijEEZZNS1_16scan_by_key_implILNS1_25lookback_scan_determinismE0ELb1ES3_N6thrust23THRUST_200600_302600_NS6detail15normal_iteratorINS9_10device_ptrIiEEEENSB_INSC_IjEEEESG_jNS9_4plusIvEENS9_8equal_toIvEEjEE10hipError_tPvRmT2_T3_T4_T5_mT6_T7_P12ihipStream_tbENKUlT_T0_E_clISt17integral_constantIbLb1EES11_EEDaSW_SX_EUlSW_E_NS1_11comp_targetILNS1_3genE10ELNS1_11target_archE1201ELNS1_3gpuE5ELNS1_3repE0EEENS1_30default_config_static_selectorELNS0_4arch9wavefront6targetE0EEEvT1_
                                        ; -- End function
	.set _ZN7rocprim17ROCPRIM_400000_NS6detail17trampoline_kernelINS0_14default_configENS1_27scan_by_key_config_selectorIijEEZZNS1_16scan_by_key_implILNS1_25lookback_scan_determinismE0ELb1ES3_N6thrust23THRUST_200600_302600_NS6detail15normal_iteratorINS9_10device_ptrIiEEEENSB_INSC_IjEEEESG_jNS9_4plusIvEENS9_8equal_toIvEEjEE10hipError_tPvRmT2_T3_T4_T5_mT6_T7_P12ihipStream_tbENKUlT_T0_E_clISt17integral_constantIbLb1EES11_EEDaSW_SX_EUlSW_E_NS1_11comp_targetILNS1_3genE10ELNS1_11target_archE1201ELNS1_3gpuE5ELNS1_3repE0EEENS1_30default_config_static_selectorELNS0_4arch9wavefront6targetE0EEEvT1_.num_vgpr, 0
	.set _ZN7rocprim17ROCPRIM_400000_NS6detail17trampoline_kernelINS0_14default_configENS1_27scan_by_key_config_selectorIijEEZZNS1_16scan_by_key_implILNS1_25lookback_scan_determinismE0ELb1ES3_N6thrust23THRUST_200600_302600_NS6detail15normal_iteratorINS9_10device_ptrIiEEEENSB_INSC_IjEEEESG_jNS9_4plusIvEENS9_8equal_toIvEEjEE10hipError_tPvRmT2_T3_T4_T5_mT6_T7_P12ihipStream_tbENKUlT_T0_E_clISt17integral_constantIbLb1EES11_EEDaSW_SX_EUlSW_E_NS1_11comp_targetILNS1_3genE10ELNS1_11target_archE1201ELNS1_3gpuE5ELNS1_3repE0EEENS1_30default_config_static_selectorELNS0_4arch9wavefront6targetE0EEEvT1_.num_agpr, 0
	.set _ZN7rocprim17ROCPRIM_400000_NS6detail17trampoline_kernelINS0_14default_configENS1_27scan_by_key_config_selectorIijEEZZNS1_16scan_by_key_implILNS1_25lookback_scan_determinismE0ELb1ES3_N6thrust23THRUST_200600_302600_NS6detail15normal_iteratorINS9_10device_ptrIiEEEENSB_INSC_IjEEEESG_jNS9_4plusIvEENS9_8equal_toIvEEjEE10hipError_tPvRmT2_T3_T4_T5_mT6_T7_P12ihipStream_tbENKUlT_T0_E_clISt17integral_constantIbLb1EES11_EEDaSW_SX_EUlSW_E_NS1_11comp_targetILNS1_3genE10ELNS1_11target_archE1201ELNS1_3gpuE5ELNS1_3repE0EEENS1_30default_config_static_selectorELNS0_4arch9wavefront6targetE0EEEvT1_.numbered_sgpr, 0
	.set _ZN7rocprim17ROCPRIM_400000_NS6detail17trampoline_kernelINS0_14default_configENS1_27scan_by_key_config_selectorIijEEZZNS1_16scan_by_key_implILNS1_25lookback_scan_determinismE0ELb1ES3_N6thrust23THRUST_200600_302600_NS6detail15normal_iteratorINS9_10device_ptrIiEEEENSB_INSC_IjEEEESG_jNS9_4plusIvEENS9_8equal_toIvEEjEE10hipError_tPvRmT2_T3_T4_T5_mT6_T7_P12ihipStream_tbENKUlT_T0_E_clISt17integral_constantIbLb1EES11_EEDaSW_SX_EUlSW_E_NS1_11comp_targetILNS1_3genE10ELNS1_11target_archE1201ELNS1_3gpuE5ELNS1_3repE0EEENS1_30default_config_static_selectorELNS0_4arch9wavefront6targetE0EEEvT1_.num_named_barrier, 0
	.set _ZN7rocprim17ROCPRIM_400000_NS6detail17trampoline_kernelINS0_14default_configENS1_27scan_by_key_config_selectorIijEEZZNS1_16scan_by_key_implILNS1_25lookback_scan_determinismE0ELb1ES3_N6thrust23THRUST_200600_302600_NS6detail15normal_iteratorINS9_10device_ptrIiEEEENSB_INSC_IjEEEESG_jNS9_4plusIvEENS9_8equal_toIvEEjEE10hipError_tPvRmT2_T3_T4_T5_mT6_T7_P12ihipStream_tbENKUlT_T0_E_clISt17integral_constantIbLb1EES11_EEDaSW_SX_EUlSW_E_NS1_11comp_targetILNS1_3genE10ELNS1_11target_archE1201ELNS1_3gpuE5ELNS1_3repE0EEENS1_30default_config_static_selectorELNS0_4arch9wavefront6targetE0EEEvT1_.private_seg_size, 0
	.set _ZN7rocprim17ROCPRIM_400000_NS6detail17trampoline_kernelINS0_14default_configENS1_27scan_by_key_config_selectorIijEEZZNS1_16scan_by_key_implILNS1_25lookback_scan_determinismE0ELb1ES3_N6thrust23THRUST_200600_302600_NS6detail15normal_iteratorINS9_10device_ptrIiEEEENSB_INSC_IjEEEESG_jNS9_4plusIvEENS9_8equal_toIvEEjEE10hipError_tPvRmT2_T3_T4_T5_mT6_T7_P12ihipStream_tbENKUlT_T0_E_clISt17integral_constantIbLb1EES11_EEDaSW_SX_EUlSW_E_NS1_11comp_targetILNS1_3genE10ELNS1_11target_archE1201ELNS1_3gpuE5ELNS1_3repE0EEENS1_30default_config_static_selectorELNS0_4arch9wavefront6targetE0EEEvT1_.uses_vcc, 0
	.set _ZN7rocprim17ROCPRIM_400000_NS6detail17trampoline_kernelINS0_14default_configENS1_27scan_by_key_config_selectorIijEEZZNS1_16scan_by_key_implILNS1_25lookback_scan_determinismE0ELb1ES3_N6thrust23THRUST_200600_302600_NS6detail15normal_iteratorINS9_10device_ptrIiEEEENSB_INSC_IjEEEESG_jNS9_4plusIvEENS9_8equal_toIvEEjEE10hipError_tPvRmT2_T3_T4_T5_mT6_T7_P12ihipStream_tbENKUlT_T0_E_clISt17integral_constantIbLb1EES11_EEDaSW_SX_EUlSW_E_NS1_11comp_targetILNS1_3genE10ELNS1_11target_archE1201ELNS1_3gpuE5ELNS1_3repE0EEENS1_30default_config_static_selectorELNS0_4arch9wavefront6targetE0EEEvT1_.uses_flat_scratch, 0
	.set _ZN7rocprim17ROCPRIM_400000_NS6detail17trampoline_kernelINS0_14default_configENS1_27scan_by_key_config_selectorIijEEZZNS1_16scan_by_key_implILNS1_25lookback_scan_determinismE0ELb1ES3_N6thrust23THRUST_200600_302600_NS6detail15normal_iteratorINS9_10device_ptrIiEEEENSB_INSC_IjEEEESG_jNS9_4plusIvEENS9_8equal_toIvEEjEE10hipError_tPvRmT2_T3_T4_T5_mT6_T7_P12ihipStream_tbENKUlT_T0_E_clISt17integral_constantIbLb1EES11_EEDaSW_SX_EUlSW_E_NS1_11comp_targetILNS1_3genE10ELNS1_11target_archE1201ELNS1_3gpuE5ELNS1_3repE0EEENS1_30default_config_static_selectorELNS0_4arch9wavefront6targetE0EEEvT1_.has_dyn_sized_stack, 0
	.set _ZN7rocprim17ROCPRIM_400000_NS6detail17trampoline_kernelINS0_14default_configENS1_27scan_by_key_config_selectorIijEEZZNS1_16scan_by_key_implILNS1_25lookback_scan_determinismE0ELb1ES3_N6thrust23THRUST_200600_302600_NS6detail15normal_iteratorINS9_10device_ptrIiEEEENSB_INSC_IjEEEESG_jNS9_4plusIvEENS9_8equal_toIvEEjEE10hipError_tPvRmT2_T3_T4_T5_mT6_T7_P12ihipStream_tbENKUlT_T0_E_clISt17integral_constantIbLb1EES11_EEDaSW_SX_EUlSW_E_NS1_11comp_targetILNS1_3genE10ELNS1_11target_archE1201ELNS1_3gpuE5ELNS1_3repE0EEENS1_30default_config_static_selectorELNS0_4arch9wavefront6targetE0EEEvT1_.has_recursion, 0
	.set _ZN7rocprim17ROCPRIM_400000_NS6detail17trampoline_kernelINS0_14default_configENS1_27scan_by_key_config_selectorIijEEZZNS1_16scan_by_key_implILNS1_25lookback_scan_determinismE0ELb1ES3_N6thrust23THRUST_200600_302600_NS6detail15normal_iteratorINS9_10device_ptrIiEEEENSB_INSC_IjEEEESG_jNS9_4plusIvEENS9_8equal_toIvEEjEE10hipError_tPvRmT2_T3_T4_T5_mT6_T7_P12ihipStream_tbENKUlT_T0_E_clISt17integral_constantIbLb1EES11_EEDaSW_SX_EUlSW_E_NS1_11comp_targetILNS1_3genE10ELNS1_11target_archE1201ELNS1_3gpuE5ELNS1_3repE0EEENS1_30default_config_static_selectorELNS0_4arch9wavefront6targetE0EEEvT1_.has_indirect_call, 0
	.section	.AMDGPU.csdata,"",@progbits
; Kernel info:
; codeLenInByte = 0
; TotalNumSgprs: 0
; NumVgprs: 0
; ScratchSize: 0
; MemoryBound: 0
; FloatMode: 240
; IeeeMode: 1
; LDSByteSize: 0 bytes/workgroup (compile time only)
; SGPRBlocks: 0
; VGPRBlocks: 0
; NumSGPRsForWavesPerEU: 1
; NumVGPRsForWavesPerEU: 1
; Occupancy: 16
; WaveLimiterHint : 0
; COMPUTE_PGM_RSRC2:SCRATCH_EN: 0
; COMPUTE_PGM_RSRC2:USER_SGPR: 6
; COMPUTE_PGM_RSRC2:TRAP_HANDLER: 0
; COMPUTE_PGM_RSRC2:TGID_X_EN: 1
; COMPUTE_PGM_RSRC2:TGID_Y_EN: 0
; COMPUTE_PGM_RSRC2:TGID_Z_EN: 0
; COMPUTE_PGM_RSRC2:TIDIG_COMP_CNT: 0
	.section	.text._ZN7rocprim17ROCPRIM_400000_NS6detail17trampoline_kernelINS0_14default_configENS1_27scan_by_key_config_selectorIijEEZZNS1_16scan_by_key_implILNS1_25lookback_scan_determinismE0ELb1ES3_N6thrust23THRUST_200600_302600_NS6detail15normal_iteratorINS9_10device_ptrIiEEEENSB_INSC_IjEEEESG_jNS9_4plusIvEENS9_8equal_toIvEEjEE10hipError_tPvRmT2_T3_T4_T5_mT6_T7_P12ihipStream_tbENKUlT_T0_E_clISt17integral_constantIbLb1EES11_EEDaSW_SX_EUlSW_E_NS1_11comp_targetILNS1_3genE5ELNS1_11target_archE942ELNS1_3gpuE9ELNS1_3repE0EEENS1_30default_config_static_selectorELNS0_4arch9wavefront6targetE0EEEvT1_,"axG",@progbits,_ZN7rocprim17ROCPRIM_400000_NS6detail17trampoline_kernelINS0_14default_configENS1_27scan_by_key_config_selectorIijEEZZNS1_16scan_by_key_implILNS1_25lookback_scan_determinismE0ELb1ES3_N6thrust23THRUST_200600_302600_NS6detail15normal_iteratorINS9_10device_ptrIiEEEENSB_INSC_IjEEEESG_jNS9_4plusIvEENS9_8equal_toIvEEjEE10hipError_tPvRmT2_T3_T4_T5_mT6_T7_P12ihipStream_tbENKUlT_T0_E_clISt17integral_constantIbLb1EES11_EEDaSW_SX_EUlSW_E_NS1_11comp_targetILNS1_3genE5ELNS1_11target_archE942ELNS1_3gpuE9ELNS1_3repE0EEENS1_30default_config_static_selectorELNS0_4arch9wavefront6targetE0EEEvT1_,comdat
	.protected	_ZN7rocprim17ROCPRIM_400000_NS6detail17trampoline_kernelINS0_14default_configENS1_27scan_by_key_config_selectorIijEEZZNS1_16scan_by_key_implILNS1_25lookback_scan_determinismE0ELb1ES3_N6thrust23THRUST_200600_302600_NS6detail15normal_iteratorINS9_10device_ptrIiEEEENSB_INSC_IjEEEESG_jNS9_4plusIvEENS9_8equal_toIvEEjEE10hipError_tPvRmT2_T3_T4_T5_mT6_T7_P12ihipStream_tbENKUlT_T0_E_clISt17integral_constantIbLb1EES11_EEDaSW_SX_EUlSW_E_NS1_11comp_targetILNS1_3genE5ELNS1_11target_archE942ELNS1_3gpuE9ELNS1_3repE0EEENS1_30default_config_static_selectorELNS0_4arch9wavefront6targetE0EEEvT1_ ; -- Begin function _ZN7rocprim17ROCPRIM_400000_NS6detail17trampoline_kernelINS0_14default_configENS1_27scan_by_key_config_selectorIijEEZZNS1_16scan_by_key_implILNS1_25lookback_scan_determinismE0ELb1ES3_N6thrust23THRUST_200600_302600_NS6detail15normal_iteratorINS9_10device_ptrIiEEEENSB_INSC_IjEEEESG_jNS9_4plusIvEENS9_8equal_toIvEEjEE10hipError_tPvRmT2_T3_T4_T5_mT6_T7_P12ihipStream_tbENKUlT_T0_E_clISt17integral_constantIbLb1EES11_EEDaSW_SX_EUlSW_E_NS1_11comp_targetILNS1_3genE5ELNS1_11target_archE942ELNS1_3gpuE9ELNS1_3repE0EEENS1_30default_config_static_selectorELNS0_4arch9wavefront6targetE0EEEvT1_
	.globl	_ZN7rocprim17ROCPRIM_400000_NS6detail17trampoline_kernelINS0_14default_configENS1_27scan_by_key_config_selectorIijEEZZNS1_16scan_by_key_implILNS1_25lookback_scan_determinismE0ELb1ES3_N6thrust23THRUST_200600_302600_NS6detail15normal_iteratorINS9_10device_ptrIiEEEENSB_INSC_IjEEEESG_jNS9_4plusIvEENS9_8equal_toIvEEjEE10hipError_tPvRmT2_T3_T4_T5_mT6_T7_P12ihipStream_tbENKUlT_T0_E_clISt17integral_constantIbLb1EES11_EEDaSW_SX_EUlSW_E_NS1_11comp_targetILNS1_3genE5ELNS1_11target_archE942ELNS1_3gpuE9ELNS1_3repE0EEENS1_30default_config_static_selectorELNS0_4arch9wavefront6targetE0EEEvT1_
	.p2align	8
	.type	_ZN7rocprim17ROCPRIM_400000_NS6detail17trampoline_kernelINS0_14default_configENS1_27scan_by_key_config_selectorIijEEZZNS1_16scan_by_key_implILNS1_25lookback_scan_determinismE0ELb1ES3_N6thrust23THRUST_200600_302600_NS6detail15normal_iteratorINS9_10device_ptrIiEEEENSB_INSC_IjEEEESG_jNS9_4plusIvEENS9_8equal_toIvEEjEE10hipError_tPvRmT2_T3_T4_T5_mT6_T7_P12ihipStream_tbENKUlT_T0_E_clISt17integral_constantIbLb1EES11_EEDaSW_SX_EUlSW_E_NS1_11comp_targetILNS1_3genE5ELNS1_11target_archE942ELNS1_3gpuE9ELNS1_3repE0EEENS1_30default_config_static_selectorELNS0_4arch9wavefront6targetE0EEEvT1_,@function
_ZN7rocprim17ROCPRIM_400000_NS6detail17trampoline_kernelINS0_14default_configENS1_27scan_by_key_config_selectorIijEEZZNS1_16scan_by_key_implILNS1_25lookback_scan_determinismE0ELb1ES3_N6thrust23THRUST_200600_302600_NS6detail15normal_iteratorINS9_10device_ptrIiEEEENSB_INSC_IjEEEESG_jNS9_4plusIvEENS9_8equal_toIvEEjEE10hipError_tPvRmT2_T3_T4_T5_mT6_T7_P12ihipStream_tbENKUlT_T0_E_clISt17integral_constantIbLb1EES11_EEDaSW_SX_EUlSW_E_NS1_11comp_targetILNS1_3genE5ELNS1_11target_archE942ELNS1_3gpuE9ELNS1_3repE0EEENS1_30default_config_static_selectorELNS0_4arch9wavefront6targetE0EEEvT1_: ; @_ZN7rocprim17ROCPRIM_400000_NS6detail17trampoline_kernelINS0_14default_configENS1_27scan_by_key_config_selectorIijEEZZNS1_16scan_by_key_implILNS1_25lookback_scan_determinismE0ELb1ES3_N6thrust23THRUST_200600_302600_NS6detail15normal_iteratorINS9_10device_ptrIiEEEENSB_INSC_IjEEEESG_jNS9_4plusIvEENS9_8equal_toIvEEjEE10hipError_tPvRmT2_T3_T4_T5_mT6_T7_P12ihipStream_tbENKUlT_T0_E_clISt17integral_constantIbLb1EES11_EEDaSW_SX_EUlSW_E_NS1_11comp_targetILNS1_3genE5ELNS1_11target_archE942ELNS1_3gpuE9ELNS1_3repE0EEENS1_30default_config_static_selectorELNS0_4arch9wavefront6targetE0EEEvT1_
; %bb.0:
	.section	.rodata,"a",@progbits
	.p2align	6, 0x0
	.amdhsa_kernel _ZN7rocprim17ROCPRIM_400000_NS6detail17trampoline_kernelINS0_14default_configENS1_27scan_by_key_config_selectorIijEEZZNS1_16scan_by_key_implILNS1_25lookback_scan_determinismE0ELb1ES3_N6thrust23THRUST_200600_302600_NS6detail15normal_iteratorINS9_10device_ptrIiEEEENSB_INSC_IjEEEESG_jNS9_4plusIvEENS9_8equal_toIvEEjEE10hipError_tPvRmT2_T3_T4_T5_mT6_T7_P12ihipStream_tbENKUlT_T0_E_clISt17integral_constantIbLb1EES11_EEDaSW_SX_EUlSW_E_NS1_11comp_targetILNS1_3genE5ELNS1_11target_archE942ELNS1_3gpuE9ELNS1_3repE0EEENS1_30default_config_static_selectorELNS0_4arch9wavefront6targetE0EEEvT1_
		.amdhsa_group_segment_fixed_size 0
		.amdhsa_private_segment_fixed_size 0
		.amdhsa_kernarg_size 112
		.amdhsa_user_sgpr_count 6
		.amdhsa_user_sgpr_private_segment_buffer 1
		.amdhsa_user_sgpr_dispatch_ptr 0
		.amdhsa_user_sgpr_queue_ptr 0
		.amdhsa_user_sgpr_kernarg_segment_ptr 1
		.amdhsa_user_sgpr_dispatch_id 0
		.amdhsa_user_sgpr_flat_scratch_init 0
		.amdhsa_user_sgpr_private_segment_size 0
		.amdhsa_wavefront_size32 1
		.amdhsa_uses_dynamic_stack 0
		.amdhsa_system_sgpr_private_segment_wavefront_offset 0
		.amdhsa_system_sgpr_workgroup_id_x 1
		.amdhsa_system_sgpr_workgroup_id_y 0
		.amdhsa_system_sgpr_workgroup_id_z 0
		.amdhsa_system_sgpr_workgroup_info 0
		.amdhsa_system_vgpr_workitem_id 0
		.amdhsa_next_free_vgpr 1
		.amdhsa_next_free_sgpr 1
		.amdhsa_reserve_vcc 0
		.amdhsa_reserve_flat_scratch 0
		.amdhsa_float_round_mode_32 0
		.amdhsa_float_round_mode_16_64 0
		.amdhsa_float_denorm_mode_32 3
		.amdhsa_float_denorm_mode_16_64 3
		.amdhsa_dx10_clamp 1
		.amdhsa_ieee_mode 1
		.amdhsa_fp16_overflow 0
		.amdhsa_workgroup_processor_mode 1
		.amdhsa_memory_ordered 1
		.amdhsa_forward_progress 1
		.amdhsa_shared_vgpr_count 0
		.amdhsa_exception_fp_ieee_invalid_op 0
		.amdhsa_exception_fp_denorm_src 0
		.amdhsa_exception_fp_ieee_div_zero 0
		.amdhsa_exception_fp_ieee_overflow 0
		.amdhsa_exception_fp_ieee_underflow 0
		.amdhsa_exception_fp_ieee_inexact 0
		.amdhsa_exception_int_div_zero 0
	.end_amdhsa_kernel
	.section	.text._ZN7rocprim17ROCPRIM_400000_NS6detail17trampoline_kernelINS0_14default_configENS1_27scan_by_key_config_selectorIijEEZZNS1_16scan_by_key_implILNS1_25lookback_scan_determinismE0ELb1ES3_N6thrust23THRUST_200600_302600_NS6detail15normal_iteratorINS9_10device_ptrIiEEEENSB_INSC_IjEEEESG_jNS9_4plusIvEENS9_8equal_toIvEEjEE10hipError_tPvRmT2_T3_T4_T5_mT6_T7_P12ihipStream_tbENKUlT_T0_E_clISt17integral_constantIbLb1EES11_EEDaSW_SX_EUlSW_E_NS1_11comp_targetILNS1_3genE5ELNS1_11target_archE942ELNS1_3gpuE9ELNS1_3repE0EEENS1_30default_config_static_selectorELNS0_4arch9wavefront6targetE0EEEvT1_,"axG",@progbits,_ZN7rocprim17ROCPRIM_400000_NS6detail17trampoline_kernelINS0_14default_configENS1_27scan_by_key_config_selectorIijEEZZNS1_16scan_by_key_implILNS1_25lookback_scan_determinismE0ELb1ES3_N6thrust23THRUST_200600_302600_NS6detail15normal_iteratorINS9_10device_ptrIiEEEENSB_INSC_IjEEEESG_jNS9_4plusIvEENS9_8equal_toIvEEjEE10hipError_tPvRmT2_T3_T4_T5_mT6_T7_P12ihipStream_tbENKUlT_T0_E_clISt17integral_constantIbLb1EES11_EEDaSW_SX_EUlSW_E_NS1_11comp_targetILNS1_3genE5ELNS1_11target_archE942ELNS1_3gpuE9ELNS1_3repE0EEENS1_30default_config_static_selectorELNS0_4arch9wavefront6targetE0EEEvT1_,comdat
.Lfunc_end1510:
	.size	_ZN7rocprim17ROCPRIM_400000_NS6detail17trampoline_kernelINS0_14default_configENS1_27scan_by_key_config_selectorIijEEZZNS1_16scan_by_key_implILNS1_25lookback_scan_determinismE0ELb1ES3_N6thrust23THRUST_200600_302600_NS6detail15normal_iteratorINS9_10device_ptrIiEEEENSB_INSC_IjEEEESG_jNS9_4plusIvEENS9_8equal_toIvEEjEE10hipError_tPvRmT2_T3_T4_T5_mT6_T7_P12ihipStream_tbENKUlT_T0_E_clISt17integral_constantIbLb1EES11_EEDaSW_SX_EUlSW_E_NS1_11comp_targetILNS1_3genE5ELNS1_11target_archE942ELNS1_3gpuE9ELNS1_3repE0EEENS1_30default_config_static_selectorELNS0_4arch9wavefront6targetE0EEEvT1_, .Lfunc_end1510-_ZN7rocprim17ROCPRIM_400000_NS6detail17trampoline_kernelINS0_14default_configENS1_27scan_by_key_config_selectorIijEEZZNS1_16scan_by_key_implILNS1_25lookback_scan_determinismE0ELb1ES3_N6thrust23THRUST_200600_302600_NS6detail15normal_iteratorINS9_10device_ptrIiEEEENSB_INSC_IjEEEESG_jNS9_4plusIvEENS9_8equal_toIvEEjEE10hipError_tPvRmT2_T3_T4_T5_mT6_T7_P12ihipStream_tbENKUlT_T0_E_clISt17integral_constantIbLb1EES11_EEDaSW_SX_EUlSW_E_NS1_11comp_targetILNS1_3genE5ELNS1_11target_archE942ELNS1_3gpuE9ELNS1_3repE0EEENS1_30default_config_static_selectorELNS0_4arch9wavefront6targetE0EEEvT1_
                                        ; -- End function
	.set _ZN7rocprim17ROCPRIM_400000_NS6detail17trampoline_kernelINS0_14default_configENS1_27scan_by_key_config_selectorIijEEZZNS1_16scan_by_key_implILNS1_25lookback_scan_determinismE0ELb1ES3_N6thrust23THRUST_200600_302600_NS6detail15normal_iteratorINS9_10device_ptrIiEEEENSB_INSC_IjEEEESG_jNS9_4plusIvEENS9_8equal_toIvEEjEE10hipError_tPvRmT2_T3_T4_T5_mT6_T7_P12ihipStream_tbENKUlT_T0_E_clISt17integral_constantIbLb1EES11_EEDaSW_SX_EUlSW_E_NS1_11comp_targetILNS1_3genE5ELNS1_11target_archE942ELNS1_3gpuE9ELNS1_3repE0EEENS1_30default_config_static_selectorELNS0_4arch9wavefront6targetE0EEEvT1_.num_vgpr, 0
	.set _ZN7rocprim17ROCPRIM_400000_NS6detail17trampoline_kernelINS0_14default_configENS1_27scan_by_key_config_selectorIijEEZZNS1_16scan_by_key_implILNS1_25lookback_scan_determinismE0ELb1ES3_N6thrust23THRUST_200600_302600_NS6detail15normal_iteratorINS9_10device_ptrIiEEEENSB_INSC_IjEEEESG_jNS9_4plusIvEENS9_8equal_toIvEEjEE10hipError_tPvRmT2_T3_T4_T5_mT6_T7_P12ihipStream_tbENKUlT_T0_E_clISt17integral_constantIbLb1EES11_EEDaSW_SX_EUlSW_E_NS1_11comp_targetILNS1_3genE5ELNS1_11target_archE942ELNS1_3gpuE9ELNS1_3repE0EEENS1_30default_config_static_selectorELNS0_4arch9wavefront6targetE0EEEvT1_.num_agpr, 0
	.set _ZN7rocprim17ROCPRIM_400000_NS6detail17trampoline_kernelINS0_14default_configENS1_27scan_by_key_config_selectorIijEEZZNS1_16scan_by_key_implILNS1_25lookback_scan_determinismE0ELb1ES3_N6thrust23THRUST_200600_302600_NS6detail15normal_iteratorINS9_10device_ptrIiEEEENSB_INSC_IjEEEESG_jNS9_4plusIvEENS9_8equal_toIvEEjEE10hipError_tPvRmT2_T3_T4_T5_mT6_T7_P12ihipStream_tbENKUlT_T0_E_clISt17integral_constantIbLb1EES11_EEDaSW_SX_EUlSW_E_NS1_11comp_targetILNS1_3genE5ELNS1_11target_archE942ELNS1_3gpuE9ELNS1_3repE0EEENS1_30default_config_static_selectorELNS0_4arch9wavefront6targetE0EEEvT1_.numbered_sgpr, 0
	.set _ZN7rocprim17ROCPRIM_400000_NS6detail17trampoline_kernelINS0_14default_configENS1_27scan_by_key_config_selectorIijEEZZNS1_16scan_by_key_implILNS1_25lookback_scan_determinismE0ELb1ES3_N6thrust23THRUST_200600_302600_NS6detail15normal_iteratorINS9_10device_ptrIiEEEENSB_INSC_IjEEEESG_jNS9_4plusIvEENS9_8equal_toIvEEjEE10hipError_tPvRmT2_T3_T4_T5_mT6_T7_P12ihipStream_tbENKUlT_T0_E_clISt17integral_constantIbLb1EES11_EEDaSW_SX_EUlSW_E_NS1_11comp_targetILNS1_3genE5ELNS1_11target_archE942ELNS1_3gpuE9ELNS1_3repE0EEENS1_30default_config_static_selectorELNS0_4arch9wavefront6targetE0EEEvT1_.num_named_barrier, 0
	.set _ZN7rocprim17ROCPRIM_400000_NS6detail17trampoline_kernelINS0_14default_configENS1_27scan_by_key_config_selectorIijEEZZNS1_16scan_by_key_implILNS1_25lookback_scan_determinismE0ELb1ES3_N6thrust23THRUST_200600_302600_NS6detail15normal_iteratorINS9_10device_ptrIiEEEENSB_INSC_IjEEEESG_jNS9_4plusIvEENS9_8equal_toIvEEjEE10hipError_tPvRmT2_T3_T4_T5_mT6_T7_P12ihipStream_tbENKUlT_T0_E_clISt17integral_constantIbLb1EES11_EEDaSW_SX_EUlSW_E_NS1_11comp_targetILNS1_3genE5ELNS1_11target_archE942ELNS1_3gpuE9ELNS1_3repE0EEENS1_30default_config_static_selectorELNS0_4arch9wavefront6targetE0EEEvT1_.private_seg_size, 0
	.set _ZN7rocprim17ROCPRIM_400000_NS6detail17trampoline_kernelINS0_14default_configENS1_27scan_by_key_config_selectorIijEEZZNS1_16scan_by_key_implILNS1_25lookback_scan_determinismE0ELb1ES3_N6thrust23THRUST_200600_302600_NS6detail15normal_iteratorINS9_10device_ptrIiEEEENSB_INSC_IjEEEESG_jNS9_4plusIvEENS9_8equal_toIvEEjEE10hipError_tPvRmT2_T3_T4_T5_mT6_T7_P12ihipStream_tbENKUlT_T0_E_clISt17integral_constantIbLb1EES11_EEDaSW_SX_EUlSW_E_NS1_11comp_targetILNS1_3genE5ELNS1_11target_archE942ELNS1_3gpuE9ELNS1_3repE0EEENS1_30default_config_static_selectorELNS0_4arch9wavefront6targetE0EEEvT1_.uses_vcc, 0
	.set _ZN7rocprim17ROCPRIM_400000_NS6detail17trampoline_kernelINS0_14default_configENS1_27scan_by_key_config_selectorIijEEZZNS1_16scan_by_key_implILNS1_25lookback_scan_determinismE0ELb1ES3_N6thrust23THRUST_200600_302600_NS6detail15normal_iteratorINS9_10device_ptrIiEEEENSB_INSC_IjEEEESG_jNS9_4plusIvEENS9_8equal_toIvEEjEE10hipError_tPvRmT2_T3_T4_T5_mT6_T7_P12ihipStream_tbENKUlT_T0_E_clISt17integral_constantIbLb1EES11_EEDaSW_SX_EUlSW_E_NS1_11comp_targetILNS1_3genE5ELNS1_11target_archE942ELNS1_3gpuE9ELNS1_3repE0EEENS1_30default_config_static_selectorELNS0_4arch9wavefront6targetE0EEEvT1_.uses_flat_scratch, 0
	.set _ZN7rocprim17ROCPRIM_400000_NS6detail17trampoline_kernelINS0_14default_configENS1_27scan_by_key_config_selectorIijEEZZNS1_16scan_by_key_implILNS1_25lookback_scan_determinismE0ELb1ES3_N6thrust23THRUST_200600_302600_NS6detail15normal_iteratorINS9_10device_ptrIiEEEENSB_INSC_IjEEEESG_jNS9_4plusIvEENS9_8equal_toIvEEjEE10hipError_tPvRmT2_T3_T4_T5_mT6_T7_P12ihipStream_tbENKUlT_T0_E_clISt17integral_constantIbLb1EES11_EEDaSW_SX_EUlSW_E_NS1_11comp_targetILNS1_3genE5ELNS1_11target_archE942ELNS1_3gpuE9ELNS1_3repE0EEENS1_30default_config_static_selectorELNS0_4arch9wavefront6targetE0EEEvT1_.has_dyn_sized_stack, 0
	.set _ZN7rocprim17ROCPRIM_400000_NS6detail17trampoline_kernelINS0_14default_configENS1_27scan_by_key_config_selectorIijEEZZNS1_16scan_by_key_implILNS1_25lookback_scan_determinismE0ELb1ES3_N6thrust23THRUST_200600_302600_NS6detail15normal_iteratorINS9_10device_ptrIiEEEENSB_INSC_IjEEEESG_jNS9_4plusIvEENS9_8equal_toIvEEjEE10hipError_tPvRmT2_T3_T4_T5_mT6_T7_P12ihipStream_tbENKUlT_T0_E_clISt17integral_constantIbLb1EES11_EEDaSW_SX_EUlSW_E_NS1_11comp_targetILNS1_3genE5ELNS1_11target_archE942ELNS1_3gpuE9ELNS1_3repE0EEENS1_30default_config_static_selectorELNS0_4arch9wavefront6targetE0EEEvT1_.has_recursion, 0
	.set _ZN7rocprim17ROCPRIM_400000_NS6detail17trampoline_kernelINS0_14default_configENS1_27scan_by_key_config_selectorIijEEZZNS1_16scan_by_key_implILNS1_25lookback_scan_determinismE0ELb1ES3_N6thrust23THRUST_200600_302600_NS6detail15normal_iteratorINS9_10device_ptrIiEEEENSB_INSC_IjEEEESG_jNS9_4plusIvEENS9_8equal_toIvEEjEE10hipError_tPvRmT2_T3_T4_T5_mT6_T7_P12ihipStream_tbENKUlT_T0_E_clISt17integral_constantIbLb1EES11_EEDaSW_SX_EUlSW_E_NS1_11comp_targetILNS1_3genE5ELNS1_11target_archE942ELNS1_3gpuE9ELNS1_3repE0EEENS1_30default_config_static_selectorELNS0_4arch9wavefront6targetE0EEEvT1_.has_indirect_call, 0
	.section	.AMDGPU.csdata,"",@progbits
; Kernel info:
; codeLenInByte = 0
; TotalNumSgprs: 0
; NumVgprs: 0
; ScratchSize: 0
; MemoryBound: 0
; FloatMode: 240
; IeeeMode: 1
; LDSByteSize: 0 bytes/workgroup (compile time only)
; SGPRBlocks: 0
; VGPRBlocks: 0
; NumSGPRsForWavesPerEU: 1
; NumVGPRsForWavesPerEU: 1
; Occupancy: 16
; WaveLimiterHint : 0
; COMPUTE_PGM_RSRC2:SCRATCH_EN: 0
; COMPUTE_PGM_RSRC2:USER_SGPR: 6
; COMPUTE_PGM_RSRC2:TRAP_HANDLER: 0
; COMPUTE_PGM_RSRC2:TGID_X_EN: 1
; COMPUTE_PGM_RSRC2:TGID_Y_EN: 0
; COMPUTE_PGM_RSRC2:TGID_Z_EN: 0
; COMPUTE_PGM_RSRC2:TIDIG_COMP_CNT: 0
	.section	.text._ZN7rocprim17ROCPRIM_400000_NS6detail17trampoline_kernelINS0_14default_configENS1_27scan_by_key_config_selectorIijEEZZNS1_16scan_by_key_implILNS1_25lookback_scan_determinismE0ELb1ES3_N6thrust23THRUST_200600_302600_NS6detail15normal_iteratorINS9_10device_ptrIiEEEENSB_INSC_IjEEEESG_jNS9_4plusIvEENS9_8equal_toIvEEjEE10hipError_tPvRmT2_T3_T4_T5_mT6_T7_P12ihipStream_tbENKUlT_T0_E_clISt17integral_constantIbLb1EES11_EEDaSW_SX_EUlSW_E_NS1_11comp_targetILNS1_3genE4ELNS1_11target_archE910ELNS1_3gpuE8ELNS1_3repE0EEENS1_30default_config_static_selectorELNS0_4arch9wavefront6targetE0EEEvT1_,"axG",@progbits,_ZN7rocprim17ROCPRIM_400000_NS6detail17trampoline_kernelINS0_14default_configENS1_27scan_by_key_config_selectorIijEEZZNS1_16scan_by_key_implILNS1_25lookback_scan_determinismE0ELb1ES3_N6thrust23THRUST_200600_302600_NS6detail15normal_iteratorINS9_10device_ptrIiEEEENSB_INSC_IjEEEESG_jNS9_4plusIvEENS9_8equal_toIvEEjEE10hipError_tPvRmT2_T3_T4_T5_mT6_T7_P12ihipStream_tbENKUlT_T0_E_clISt17integral_constantIbLb1EES11_EEDaSW_SX_EUlSW_E_NS1_11comp_targetILNS1_3genE4ELNS1_11target_archE910ELNS1_3gpuE8ELNS1_3repE0EEENS1_30default_config_static_selectorELNS0_4arch9wavefront6targetE0EEEvT1_,comdat
	.protected	_ZN7rocprim17ROCPRIM_400000_NS6detail17trampoline_kernelINS0_14default_configENS1_27scan_by_key_config_selectorIijEEZZNS1_16scan_by_key_implILNS1_25lookback_scan_determinismE0ELb1ES3_N6thrust23THRUST_200600_302600_NS6detail15normal_iteratorINS9_10device_ptrIiEEEENSB_INSC_IjEEEESG_jNS9_4plusIvEENS9_8equal_toIvEEjEE10hipError_tPvRmT2_T3_T4_T5_mT6_T7_P12ihipStream_tbENKUlT_T0_E_clISt17integral_constantIbLb1EES11_EEDaSW_SX_EUlSW_E_NS1_11comp_targetILNS1_3genE4ELNS1_11target_archE910ELNS1_3gpuE8ELNS1_3repE0EEENS1_30default_config_static_selectorELNS0_4arch9wavefront6targetE0EEEvT1_ ; -- Begin function _ZN7rocprim17ROCPRIM_400000_NS6detail17trampoline_kernelINS0_14default_configENS1_27scan_by_key_config_selectorIijEEZZNS1_16scan_by_key_implILNS1_25lookback_scan_determinismE0ELb1ES3_N6thrust23THRUST_200600_302600_NS6detail15normal_iteratorINS9_10device_ptrIiEEEENSB_INSC_IjEEEESG_jNS9_4plusIvEENS9_8equal_toIvEEjEE10hipError_tPvRmT2_T3_T4_T5_mT6_T7_P12ihipStream_tbENKUlT_T0_E_clISt17integral_constantIbLb1EES11_EEDaSW_SX_EUlSW_E_NS1_11comp_targetILNS1_3genE4ELNS1_11target_archE910ELNS1_3gpuE8ELNS1_3repE0EEENS1_30default_config_static_selectorELNS0_4arch9wavefront6targetE0EEEvT1_
	.globl	_ZN7rocprim17ROCPRIM_400000_NS6detail17trampoline_kernelINS0_14default_configENS1_27scan_by_key_config_selectorIijEEZZNS1_16scan_by_key_implILNS1_25lookback_scan_determinismE0ELb1ES3_N6thrust23THRUST_200600_302600_NS6detail15normal_iteratorINS9_10device_ptrIiEEEENSB_INSC_IjEEEESG_jNS9_4plusIvEENS9_8equal_toIvEEjEE10hipError_tPvRmT2_T3_T4_T5_mT6_T7_P12ihipStream_tbENKUlT_T0_E_clISt17integral_constantIbLb1EES11_EEDaSW_SX_EUlSW_E_NS1_11comp_targetILNS1_3genE4ELNS1_11target_archE910ELNS1_3gpuE8ELNS1_3repE0EEENS1_30default_config_static_selectorELNS0_4arch9wavefront6targetE0EEEvT1_
	.p2align	8
	.type	_ZN7rocprim17ROCPRIM_400000_NS6detail17trampoline_kernelINS0_14default_configENS1_27scan_by_key_config_selectorIijEEZZNS1_16scan_by_key_implILNS1_25lookback_scan_determinismE0ELb1ES3_N6thrust23THRUST_200600_302600_NS6detail15normal_iteratorINS9_10device_ptrIiEEEENSB_INSC_IjEEEESG_jNS9_4plusIvEENS9_8equal_toIvEEjEE10hipError_tPvRmT2_T3_T4_T5_mT6_T7_P12ihipStream_tbENKUlT_T0_E_clISt17integral_constantIbLb1EES11_EEDaSW_SX_EUlSW_E_NS1_11comp_targetILNS1_3genE4ELNS1_11target_archE910ELNS1_3gpuE8ELNS1_3repE0EEENS1_30default_config_static_selectorELNS0_4arch9wavefront6targetE0EEEvT1_,@function
_ZN7rocprim17ROCPRIM_400000_NS6detail17trampoline_kernelINS0_14default_configENS1_27scan_by_key_config_selectorIijEEZZNS1_16scan_by_key_implILNS1_25lookback_scan_determinismE0ELb1ES3_N6thrust23THRUST_200600_302600_NS6detail15normal_iteratorINS9_10device_ptrIiEEEENSB_INSC_IjEEEESG_jNS9_4plusIvEENS9_8equal_toIvEEjEE10hipError_tPvRmT2_T3_T4_T5_mT6_T7_P12ihipStream_tbENKUlT_T0_E_clISt17integral_constantIbLb1EES11_EEDaSW_SX_EUlSW_E_NS1_11comp_targetILNS1_3genE4ELNS1_11target_archE910ELNS1_3gpuE8ELNS1_3repE0EEENS1_30default_config_static_selectorELNS0_4arch9wavefront6targetE0EEEvT1_: ; @_ZN7rocprim17ROCPRIM_400000_NS6detail17trampoline_kernelINS0_14default_configENS1_27scan_by_key_config_selectorIijEEZZNS1_16scan_by_key_implILNS1_25lookback_scan_determinismE0ELb1ES3_N6thrust23THRUST_200600_302600_NS6detail15normal_iteratorINS9_10device_ptrIiEEEENSB_INSC_IjEEEESG_jNS9_4plusIvEENS9_8equal_toIvEEjEE10hipError_tPvRmT2_T3_T4_T5_mT6_T7_P12ihipStream_tbENKUlT_T0_E_clISt17integral_constantIbLb1EES11_EEDaSW_SX_EUlSW_E_NS1_11comp_targetILNS1_3genE4ELNS1_11target_archE910ELNS1_3gpuE8ELNS1_3repE0EEENS1_30default_config_static_selectorELNS0_4arch9wavefront6targetE0EEEvT1_
; %bb.0:
	.section	.rodata,"a",@progbits
	.p2align	6, 0x0
	.amdhsa_kernel _ZN7rocprim17ROCPRIM_400000_NS6detail17trampoline_kernelINS0_14default_configENS1_27scan_by_key_config_selectorIijEEZZNS1_16scan_by_key_implILNS1_25lookback_scan_determinismE0ELb1ES3_N6thrust23THRUST_200600_302600_NS6detail15normal_iteratorINS9_10device_ptrIiEEEENSB_INSC_IjEEEESG_jNS9_4plusIvEENS9_8equal_toIvEEjEE10hipError_tPvRmT2_T3_T4_T5_mT6_T7_P12ihipStream_tbENKUlT_T0_E_clISt17integral_constantIbLb1EES11_EEDaSW_SX_EUlSW_E_NS1_11comp_targetILNS1_3genE4ELNS1_11target_archE910ELNS1_3gpuE8ELNS1_3repE0EEENS1_30default_config_static_selectorELNS0_4arch9wavefront6targetE0EEEvT1_
		.amdhsa_group_segment_fixed_size 0
		.amdhsa_private_segment_fixed_size 0
		.amdhsa_kernarg_size 112
		.amdhsa_user_sgpr_count 6
		.amdhsa_user_sgpr_private_segment_buffer 1
		.amdhsa_user_sgpr_dispatch_ptr 0
		.amdhsa_user_sgpr_queue_ptr 0
		.amdhsa_user_sgpr_kernarg_segment_ptr 1
		.amdhsa_user_sgpr_dispatch_id 0
		.amdhsa_user_sgpr_flat_scratch_init 0
		.amdhsa_user_sgpr_private_segment_size 0
		.amdhsa_wavefront_size32 1
		.amdhsa_uses_dynamic_stack 0
		.amdhsa_system_sgpr_private_segment_wavefront_offset 0
		.amdhsa_system_sgpr_workgroup_id_x 1
		.amdhsa_system_sgpr_workgroup_id_y 0
		.amdhsa_system_sgpr_workgroup_id_z 0
		.amdhsa_system_sgpr_workgroup_info 0
		.amdhsa_system_vgpr_workitem_id 0
		.amdhsa_next_free_vgpr 1
		.amdhsa_next_free_sgpr 1
		.amdhsa_reserve_vcc 0
		.amdhsa_reserve_flat_scratch 0
		.amdhsa_float_round_mode_32 0
		.amdhsa_float_round_mode_16_64 0
		.amdhsa_float_denorm_mode_32 3
		.amdhsa_float_denorm_mode_16_64 3
		.amdhsa_dx10_clamp 1
		.amdhsa_ieee_mode 1
		.amdhsa_fp16_overflow 0
		.amdhsa_workgroup_processor_mode 1
		.amdhsa_memory_ordered 1
		.amdhsa_forward_progress 1
		.amdhsa_shared_vgpr_count 0
		.amdhsa_exception_fp_ieee_invalid_op 0
		.amdhsa_exception_fp_denorm_src 0
		.amdhsa_exception_fp_ieee_div_zero 0
		.amdhsa_exception_fp_ieee_overflow 0
		.amdhsa_exception_fp_ieee_underflow 0
		.amdhsa_exception_fp_ieee_inexact 0
		.amdhsa_exception_int_div_zero 0
	.end_amdhsa_kernel
	.section	.text._ZN7rocprim17ROCPRIM_400000_NS6detail17trampoline_kernelINS0_14default_configENS1_27scan_by_key_config_selectorIijEEZZNS1_16scan_by_key_implILNS1_25lookback_scan_determinismE0ELb1ES3_N6thrust23THRUST_200600_302600_NS6detail15normal_iteratorINS9_10device_ptrIiEEEENSB_INSC_IjEEEESG_jNS9_4plusIvEENS9_8equal_toIvEEjEE10hipError_tPvRmT2_T3_T4_T5_mT6_T7_P12ihipStream_tbENKUlT_T0_E_clISt17integral_constantIbLb1EES11_EEDaSW_SX_EUlSW_E_NS1_11comp_targetILNS1_3genE4ELNS1_11target_archE910ELNS1_3gpuE8ELNS1_3repE0EEENS1_30default_config_static_selectorELNS0_4arch9wavefront6targetE0EEEvT1_,"axG",@progbits,_ZN7rocprim17ROCPRIM_400000_NS6detail17trampoline_kernelINS0_14default_configENS1_27scan_by_key_config_selectorIijEEZZNS1_16scan_by_key_implILNS1_25lookback_scan_determinismE0ELb1ES3_N6thrust23THRUST_200600_302600_NS6detail15normal_iteratorINS9_10device_ptrIiEEEENSB_INSC_IjEEEESG_jNS9_4plusIvEENS9_8equal_toIvEEjEE10hipError_tPvRmT2_T3_T4_T5_mT6_T7_P12ihipStream_tbENKUlT_T0_E_clISt17integral_constantIbLb1EES11_EEDaSW_SX_EUlSW_E_NS1_11comp_targetILNS1_3genE4ELNS1_11target_archE910ELNS1_3gpuE8ELNS1_3repE0EEENS1_30default_config_static_selectorELNS0_4arch9wavefront6targetE0EEEvT1_,comdat
.Lfunc_end1511:
	.size	_ZN7rocprim17ROCPRIM_400000_NS6detail17trampoline_kernelINS0_14default_configENS1_27scan_by_key_config_selectorIijEEZZNS1_16scan_by_key_implILNS1_25lookback_scan_determinismE0ELb1ES3_N6thrust23THRUST_200600_302600_NS6detail15normal_iteratorINS9_10device_ptrIiEEEENSB_INSC_IjEEEESG_jNS9_4plusIvEENS9_8equal_toIvEEjEE10hipError_tPvRmT2_T3_T4_T5_mT6_T7_P12ihipStream_tbENKUlT_T0_E_clISt17integral_constantIbLb1EES11_EEDaSW_SX_EUlSW_E_NS1_11comp_targetILNS1_3genE4ELNS1_11target_archE910ELNS1_3gpuE8ELNS1_3repE0EEENS1_30default_config_static_selectorELNS0_4arch9wavefront6targetE0EEEvT1_, .Lfunc_end1511-_ZN7rocprim17ROCPRIM_400000_NS6detail17trampoline_kernelINS0_14default_configENS1_27scan_by_key_config_selectorIijEEZZNS1_16scan_by_key_implILNS1_25lookback_scan_determinismE0ELb1ES3_N6thrust23THRUST_200600_302600_NS6detail15normal_iteratorINS9_10device_ptrIiEEEENSB_INSC_IjEEEESG_jNS9_4plusIvEENS9_8equal_toIvEEjEE10hipError_tPvRmT2_T3_T4_T5_mT6_T7_P12ihipStream_tbENKUlT_T0_E_clISt17integral_constantIbLb1EES11_EEDaSW_SX_EUlSW_E_NS1_11comp_targetILNS1_3genE4ELNS1_11target_archE910ELNS1_3gpuE8ELNS1_3repE0EEENS1_30default_config_static_selectorELNS0_4arch9wavefront6targetE0EEEvT1_
                                        ; -- End function
	.set _ZN7rocprim17ROCPRIM_400000_NS6detail17trampoline_kernelINS0_14default_configENS1_27scan_by_key_config_selectorIijEEZZNS1_16scan_by_key_implILNS1_25lookback_scan_determinismE0ELb1ES3_N6thrust23THRUST_200600_302600_NS6detail15normal_iteratorINS9_10device_ptrIiEEEENSB_INSC_IjEEEESG_jNS9_4plusIvEENS9_8equal_toIvEEjEE10hipError_tPvRmT2_T3_T4_T5_mT6_T7_P12ihipStream_tbENKUlT_T0_E_clISt17integral_constantIbLb1EES11_EEDaSW_SX_EUlSW_E_NS1_11comp_targetILNS1_3genE4ELNS1_11target_archE910ELNS1_3gpuE8ELNS1_3repE0EEENS1_30default_config_static_selectorELNS0_4arch9wavefront6targetE0EEEvT1_.num_vgpr, 0
	.set _ZN7rocprim17ROCPRIM_400000_NS6detail17trampoline_kernelINS0_14default_configENS1_27scan_by_key_config_selectorIijEEZZNS1_16scan_by_key_implILNS1_25lookback_scan_determinismE0ELb1ES3_N6thrust23THRUST_200600_302600_NS6detail15normal_iteratorINS9_10device_ptrIiEEEENSB_INSC_IjEEEESG_jNS9_4plusIvEENS9_8equal_toIvEEjEE10hipError_tPvRmT2_T3_T4_T5_mT6_T7_P12ihipStream_tbENKUlT_T0_E_clISt17integral_constantIbLb1EES11_EEDaSW_SX_EUlSW_E_NS1_11comp_targetILNS1_3genE4ELNS1_11target_archE910ELNS1_3gpuE8ELNS1_3repE0EEENS1_30default_config_static_selectorELNS0_4arch9wavefront6targetE0EEEvT1_.num_agpr, 0
	.set _ZN7rocprim17ROCPRIM_400000_NS6detail17trampoline_kernelINS0_14default_configENS1_27scan_by_key_config_selectorIijEEZZNS1_16scan_by_key_implILNS1_25lookback_scan_determinismE0ELb1ES3_N6thrust23THRUST_200600_302600_NS6detail15normal_iteratorINS9_10device_ptrIiEEEENSB_INSC_IjEEEESG_jNS9_4plusIvEENS9_8equal_toIvEEjEE10hipError_tPvRmT2_T3_T4_T5_mT6_T7_P12ihipStream_tbENKUlT_T0_E_clISt17integral_constantIbLb1EES11_EEDaSW_SX_EUlSW_E_NS1_11comp_targetILNS1_3genE4ELNS1_11target_archE910ELNS1_3gpuE8ELNS1_3repE0EEENS1_30default_config_static_selectorELNS0_4arch9wavefront6targetE0EEEvT1_.numbered_sgpr, 0
	.set _ZN7rocprim17ROCPRIM_400000_NS6detail17trampoline_kernelINS0_14default_configENS1_27scan_by_key_config_selectorIijEEZZNS1_16scan_by_key_implILNS1_25lookback_scan_determinismE0ELb1ES3_N6thrust23THRUST_200600_302600_NS6detail15normal_iteratorINS9_10device_ptrIiEEEENSB_INSC_IjEEEESG_jNS9_4plusIvEENS9_8equal_toIvEEjEE10hipError_tPvRmT2_T3_T4_T5_mT6_T7_P12ihipStream_tbENKUlT_T0_E_clISt17integral_constantIbLb1EES11_EEDaSW_SX_EUlSW_E_NS1_11comp_targetILNS1_3genE4ELNS1_11target_archE910ELNS1_3gpuE8ELNS1_3repE0EEENS1_30default_config_static_selectorELNS0_4arch9wavefront6targetE0EEEvT1_.num_named_barrier, 0
	.set _ZN7rocprim17ROCPRIM_400000_NS6detail17trampoline_kernelINS0_14default_configENS1_27scan_by_key_config_selectorIijEEZZNS1_16scan_by_key_implILNS1_25lookback_scan_determinismE0ELb1ES3_N6thrust23THRUST_200600_302600_NS6detail15normal_iteratorINS9_10device_ptrIiEEEENSB_INSC_IjEEEESG_jNS9_4plusIvEENS9_8equal_toIvEEjEE10hipError_tPvRmT2_T3_T4_T5_mT6_T7_P12ihipStream_tbENKUlT_T0_E_clISt17integral_constantIbLb1EES11_EEDaSW_SX_EUlSW_E_NS1_11comp_targetILNS1_3genE4ELNS1_11target_archE910ELNS1_3gpuE8ELNS1_3repE0EEENS1_30default_config_static_selectorELNS0_4arch9wavefront6targetE0EEEvT1_.private_seg_size, 0
	.set _ZN7rocprim17ROCPRIM_400000_NS6detail17trampoline_kernelINS0_14default_configENS1_27scan_by_key_config_selectorIijEEZZNS1_16scan_by_key_implILNS1_25lookback_scan_determinismE0ELb1ES3_N6thrust23THRUST_200600_302600_NS6detail15normal_iteratorINS9_10device_ptrIiEEEENSB_INSC_IjEEEESG_jNS9_4plusIvEENS9_8equal_toIvEEjEE10hipError_tPvRmT2_T3_T4_T5_mT6_T7_P12ihipStream_tbENKUlT_T0_E_clISt17integral_constantIbLb1EES11_EEDaSW_SX_EUlSW_E_NS1_11comp_targetILNS1_3genE4ELNS1_11target_archE910ELNS1_3gpuE8ELNS1_3repE0EEENS1_30default_config_static_selectorELNS0_4arch9wavefront6targetE0EEEvT1_.uses_vcc, 0
	.set _ZN7rocprim17ROCPRIM_400000_NS6detail17trampoline_kernelINS0_14default_configENS1_27scan_by_key_config_selectorIijEEZZNS1_16scan_by_key_implILNS1_25lookback_scan_determinismE0ELb1ES3_N6thrust23THRUST_200600_302600_NS6detail15normal_iteratorINS9_10device_ptrIiEEEENSB_INSC_IjEEEESG_jNS9_4plusIvEENS9_8equal_toIvEEjEE10hipError_tPvRmT2_T3_T4_T5_mT6_T7_P12ihipStream_tbENKUlT_T0_E_clISt17integral_constantIbLb1EES11_EEDaSW_SX_EUlSW_E_NS1_11comp_targetILNS1_3genE4ELNS1_11target_archE910ELNS1_3gpuE8ELNS1_3repE0EEENS1_30default_config_static_selectorELNS0_4arch9wavefront6targetE0EEEvT1_.uses_flat_scratch, 0
	.set _ZN7rocprim17ROCPRIM_400000_NS6detail17trampoline_kernelINS0_14default_configENS1_27scan_by_key_config_selectorIijEEZZNS1_16scan_by_key_implILNS1_25lookback_scan_determinismE0ELb1ES3_N6thrust23THRUST_200600_302600_NS6detail15normal_iteratorINS9_10device_ptrIiEEEENSB_INSC_IjEEEESG_jNS9_4plusIvEENS9_8equal_toIvEEjEE10hipError_tPvRmT2_T3_T4_T5_mT6_T7_P12ihipStream_tbENKUlT_T0_E_clISt17integral_constantIbLb1EES11_EEDaSW_SX_EUlSW_E_NS1_11comp_targetILNS1_3genE4ELNS1_11target_archE910ELNS1_3gpuE8ELNS1_3repE0EEENS1_30default_config_static_selectorELNS0_4arch9wavefront6targetE0EEEvT1_.has_dyn_sized_stack, 0
	.set _ZN7rocprim17ROCPRIM_400000_NS6detail17trampoline_kernelINS0_14default_configENS1_27scan_by_key_config_selectorIijEEZZNS1_16scan_by_key_implILNS1_25lookback_scan_determinismE0ELb1ES3_N6thrust23THRUST_200600_302600_NS6detail15normal_iteratorINS9_10device_ptrIiEEEENSB_INSC_IjEEEESG_jNS9_4plusIvEENS9_8equal_toIvEEjEE10hipError_tPvRmT2_T3_T4_T5_mT6_T7_P12ihipStream_tbENKUlT_T0_E_clISt17integral_constantIbLb1EES11_EEDaSW_SX_EUlSW_E_NS1_11comp_targetILNS1_3genE4ELNS1_11target_archE910ELNS1_3gpuE8ELNS1_3repE0EEENS1_30default_config_static_selectorELNS0_4arch9wavefront6targetE0EEEvT1_.has_recursion, 0
	.set _ZN7rocprim17ROCPRIM_400000_NS6detail17trampoline_kernelINS0_14default_configENS1_27scan_by_key_config_selectorIijEEZZNS1_16scan_by_key_implILNS1_25lookback_scan_determinismE0ELb1ES3_N6thrust23THRUST_200600_302600_NS6detail15normal_iteratorINS9_10device_ptrIiEEEENSB_INSC_IjEEEESG_jNS9_4plusIvEENS9_8equal_toIvEEjEE10hipError_tPvRmT2_T3_T4_T5_mT6_T7_P12ihipStream_tbENKUlT_T0_E_clISt17integral_constantIbLb1EES11_EEDaSW_SX_EUlSW_E_NS1_11comp_targetILNS1_3genE4ELNS1_11target_archE910ELNS1_3gpuE8ELNS1_3repE0EEENS1_30default_config_static_selectorELNS0_4arch9wavefront6targetE0EEEvT1_.has_indirect_call, 0
	.section	.AMDGPU.csdata,"",@progbits
; Kernel info:
; codeLenInByte = 0
; TotalNumSgprs: 0
; NumVgprs: 0
; ScratchSize: 0
; MemoryBound: 0
; FloatMode: 240
; IeeeMode: 1
; LDSByteSize: 0 bytes/workgroup (compile time only)
; SGPRBlocks: 0
; VGPRBlocks: 0
; NumSGPRsForWavesPerEU: 1
; NumVGPRsForWavesPerEU: 1
; Occupancy: 16
; WaveLimiterHint : 0
; COMPUTE_PGM_RSRC2:SCRATCH_EN: 0
; COMPUTE_PGM_RSRC2:USER_SGPR: 6
; COMPUTE_PGM_RSRC2:TRAP_HANDLER: 0
; COMPUTE_PGM_RSRC2:TGID_X_EN: 1
; COMPUTE_PGM_RSRC2:TGID_Y_EN: 0
; COMPUTE_PGM_RSRC2:TGID_Z_EN: 0
; COMPUTE_PGM_RSRC2:TIDIG_COMP_CNT: 0
	.section	.text._ZN7rocprim17ROCPRIM_400000_NS6detail17trampoline_kernelINS0_14default_configENS1_27scan_by_key_config_selectorIijEEZZNS1_16scan_by_key_implILNS1_25lookback_scan_determinismE0ELb1ES3_N6thrust23THRUST_200600_302600_NS6detail15normal_iteratorINS9_10device_ptrIiEEEENSB_INSC_IjEEEESG_jNS9_4plusIvEENS9_8equal_toIvEEjEE10hipError_tPvRmT2_T3_T4_T5_mT6_T7_P12ihipStream_tbENKUlT_T0_E_clISt17integral_constantIbLb1EES11_EEDaSW_SX_EUlSW_E_NS1_11comp_targetILNS1_3genE3ELNS1_11target_archE908ELNS1_3gpuE7ELNS1_3repE0EEENS1_30default_config_static_selectorELNS0_4arch9wavefront6targetE0EEEvT1_,"axG",@progbits,_ZN7rocprim17ROCPRIM_400000_NS6detail17trampoline_kernelINS0_14default_configENS1_27scan_by_key_config_selectorIijEEZZNS1_16scan_by_key_implILNS1_25lookback_scan_determinismE0ELb1ES3_N6thrust23THRUST_200600_302600_NS6detail15normal_iteratorINS9_10device_ptrIiEEEENSB_INSC_IjEEEESG_jNS9_4plusIvEENS9_8equal_toIvEEjEE10hipError_tPvRmT2_T3_T4_T5_mT6_T7_P12ihipStream_tbENKUlT_T0_E_clISt17integral_constantIbLb1EES11_EEDaSW_SX_EUlSW_E_NS1_11comp_targetILNS1_3genE3ELNS1_11target_archE908ELNS1_3gpuE7ELNS1_3repE0EEENS1_30default_config_static_selectorELNS0_4arch9wavefront6targetE0EEEvT1_,comdat
	.protected	_ZN7rocprim17ROCPRIM_400000_NS6detail17trampoline_kernelINS0_14default_configENS1_27scan_by_key_config_selectorIijEEZZNS1_16scan_by_key_implILNS1_25lookback_scan_determinismE0ELb1ES3_N6thrust23THRUST_200600_302600_NS6detail15normal_iteratorINS9_10device_ptrIiEEEENSB_INSC_IjEEEESG_jNS9_4plusIvEENS9_8equal_toIvEEjEE10hipError_tPvRmT2_T3_T4_T5_mT6_T7_P12ihipStream_tbENKUlT_T0_E_clISt17integral_constantIbLb1EES11_EEDaSW_SX_EUlSW_E_NS1_11comp_targetILNS1_3genE3ELNS1_11target_archE908ELNS1_3gpuE7ELNS1_3repE0EEENS1_30default_config_static_selectorELNS0_4arch9wavefront6targetE0EEEvT1_ ; -- Begin function _ZN7rocprim17ROCPRIM_400000_NS6detail17trampoline_kernelINS0_14default_configENS1_27scan_by_key_config_selectorIijEEZZNS1_16scan_by_key_implILNS1_25lookback_scan_determinismE0ELb1ES3_N6thrust23THRUST_200600_302600_NS6detail15normal_iteratorINS9_10device_ptrIiEEEENSB_INSC_IjEEEESG_jNS9_4plusIvEENS9_8equal_toIvEEjEE10hipError_tPvRmT2_T3_T4_T5_mT6_T7_P12ihipStream_tbENKUlT_T0_E_clISt17integral_constantIbLb1EES11_EEDaSW_SX_EUlSW_E_NS1_11comp_targetILNS1_3genE3ELNS1_11target_archE908ELNS1_3gpuE7ELNS1_3repE0EEENS1_30default_config_static_selectorELNS0_4arch9wavefront6targetE0EEEvT1_
	.globl	_ZN7rocprim17ROCPRIM_400000_NS6detail17trampoline_kernelINS0_14default_configENS1_27scan_by_key_config_selectorIijEEZZNS1_16scan_by_key_implILNS1_25lookback_scan_determinismE0ELb1ES3_N6thrust23THRUST_200600_302600_NS6detail15normal_iteratorINS9_10device_ptrIiEEEENSB_INSC_IjEEEESG_jNS9_4plusIvEENS9_8equal_toIvEEjEE10hipError_tPvRmT2_T3_T4_T5_mT6_T7_P12ihipStream_tbENKUlT_T0_E_clISt17integral_constantIbLb1EES11_EEDaSW_SX_EUlSW_E_NS1_11comp_targetILNS1_3genE3ELNS1_11target_archE908ELNS1_3gpuE7ELNS1_3repE0EEENS1_30default_config_static_selectorELNS0_4arch9wavefront6targetE0EEEvT1_
	.p2align	8
	.type	_ZN7rocprim17ROCPRIM_400000_NS6detail17trampoline_kernelINS0_14default_configENS1_27scan_by_key_config_selectorIijEEZZNS1_16scan_by_key_implILNS1_25lookback_scan_determinismE0ELb1ES3_N6thrust23THRUST_200600_302600_NS6detail15normal_iteratorINS9_10device_ptrIiEEEENSB_INSC_IjEEEESG_jNS9_4plusIvEENS9_8equal_toIvEEjEE10hipError_tPvRmT2_T3_T4_T5_mT6_T7_P12ihipStream_tbENKUlT_T0_E_clISt17integral_constantIbLb1EES11_EEDaSW_SX_EUlSW_E_NS1_11comp_targetILNS1_3genE3ELNS1_11target_archE908ELNS1_3gpuE7ELNS1_3repE0EEENS1_30default_config_static_selectorELNS0_4arch9wavefront6targetE0EEEvT1_,@function
_ZN7rocprim17ROCPRIM_400000_NS6detail17trampoline_kernelINS0_14default_configENS1_27scan_by_key_config_selectorIijEEZZNS1_16scan_by_key_implILNS1_25lookback_scan_determinismE0ELb1ES3_N6thrust23THRUST_200600_302600_NS6detail15normal_iteratorINS9_10device_ptrIiEEEENSB_INSC_IjEEEESG_jNS9_4plusIvEENS9_8equal_toIvEEjEE10hipError_tPvRmT2_T3_T4_T5_mT6_T7_P12ihipStream_tbENKUlT_T0_E_clISt17integral_constantIbLb1EES11_EEDaSW_SX_EUlSW_E_NS1_11comp_targetILNS1_3genE3ELNS1_11target_archE908ELNS1_3gpuE7ELNS1_3repE0EEENS1_30default_config_static_selectorELNS0_4arch9wavefront6targetE0EEEvT1_: ; @_ZN7rocprim17ROCPRIM_400000_NS6detail17trampoline_kernelINS0_14default_configENS1_27scan_by_key_config_selectorIijEEZZNS1_16scan_by_key_implILNS1_25lookback_scan_determinismE0ELb1ES3_N6thrust23THRUST_200600_302600_NS6detail15normal_iteratorINS9_10device_ptrIiEEEENSB_INSC_IjEEEESG_jNS9_4plusIvEENS9_8equal_toIvEEjEE10hipError_tPvRmT2_T3_T4_T5_mT6_T7_P12ihipStream_tbENKUlT_T0_E_clISt17integral_constantIbLb1EES11_EEDaSW_SX_EUlSW_E_NS1_11comp_targetILNS1_3genE3ELNS1_11target_archE908ELNS1_3gpuE7ELNS1_3repE0EEENS1_30default_config_static_selectorELNS0_4arch9wavefront6targetE0EEEvT1_
; %bb.0:
	.section	.rodata,"a",@progbits
	.p2align	6, 0x0
	.amdhsa_kernel _ZN7rocprim17ROCPRIM_400000_NS6detail17trampoline_kernelINS0_14default_configENS1_27scan_by_key_config_selectorIijEEZZNS1_16scan_by_key_implILNS1_25lookback_scan_determinismE0ELb1ES3_N6thrust23THRUST_200600_302600_NS6detail15normal_iteratorINS9_10device_ptrIiEEEENSB_INSC_IjEEEESG_jNS9_4plusIvEENS9_8equal_toIvEEjEE10hipError_tPvRmT2_T3_T4_T5_mT6_T7_P12ihipStream_tbENKUlT_T0_E_clISt17integral_constantIbLb1EES11_EEDaSW_SX_EUlSW_E_NS1_11comp_targetILNS1_3genE3ELNS1_11target_archE908ELNS1_3gpuE7ELNS1_3repE0EEENS1_30default_config_static_selectorELNS0_4arch9wavefront6targetE0EEEvT1_
		.amdhsa_group_segment_fixed_size 0
		.amdhsa_private_segment_fixed_size 0
		.amdhsa_kernarg_size 112
		.amdhsa_user_sgpr_count 6
		.amdhsa_user_sgpr_private_segment_buffer 1
		.amdhsa_user_sgpr_dispatch_ptr 0
		.amdhsa_user_sgpr_queue_ptr 0
		.amdhsa_user_sgpr_kernarg_segment_ptr 1
		.amdhsa_user_sgpr_dispatch_id 0
		.amdhsa_user_sgpr_flat_scratch_init 0
		.amdhsa_user_sgpr_private_segment_size 0
		.amdhsa_wavefront_size32 1
		.amdhsa_uses_dynamic_stack 0
		.amdhsa_system_sgpr_private_segment_wavefront_offset 0
		.amdhsa_system_sgpr_workgroup_id_x 1
		.amdhsa_system_sgpr_workgroup_id_y 0
		.amdhsa_system_sgpr_workgroup_id_z 0
		.amdhsa_system_sgpr_workgroup_info 0
		.amdhsa_system_vgpr_workitem_id 0
		.amdhsa_next_free_vgpr 1
		.amdhsa_next_free_sgpr 1
		.amdhsa_reserve_vcc 0
		.amdhsa_reserve_flat_scratch 0
		.amdhsa_float_round_mode_32 0
		.amdhsa_float_round_mode_16_64 0
		.amdhsa_float_denorm_mode_32 3
		.amdhsa_float_denorm_mode_16_64 3
		.amdhsa_dx10_clamp 1
		.amdhsa_ieee_mode 1
		.amdhsa_fp16_overflow 0
		.amdhsa_workgroup_processor_mode 1
		.amdhsa_memory_ordered 1
		.amdhsa_forward_progress 1
		.amdhsa_shared_vgpr_count 0
		.amdhsa_exception_fp_ieee_invalid_op 0
		.amdhsa_exception_fp_denorm_src 0
		.amdhsa_exception_fp_ieee_div_zero 0
		.amdhsa_exception_fp_ieee_overflow 0
		.amdhsa_exception_fp_ieee_underflow 0
		.amdhsa_exception_fp_ieee_inexact 0
		.amdhsa_exception_int_div_zero 0
	.end_amdhsa_kernel
	.section	.text._ZN7rocprim17ROCPRIM_400000_NS6detail17trampoline_kernelINS0_14default_configENS1_27scan_by_key_config_selectorIijEEZZNS1_16scan_by_key_implILNS1_25lookback_scan_determinismE0ELb1ES3_N6thrust23THRUST_200600_302600_NS6detail15normal_iteratorINS9_10device_ptrIiEEEENSB_INSC_IjEEEESG_jNS9_4plusIvEENS9_8equal_toIvEEjEE10hipError_tPvRmT2_T3_T4_T5_mT6_T7_P12ihipStream_tbENKUlT_T0_E_clISt17integral_constantIbLb1EES11_EEDaSW_SX_EUlSW_E_NS1_11comp_targetILNS1_3genE3ELNS1_11target_archE908ELNS1_3gpuE7ELNS1_3repE0EEENS1_30default_config_static_selectorELNS0_4arch9wavefront6targetE0EEEvT1_,"axG",@progbits,_ZN7rocprim17ROCPRIM_400000_NS6detail17trampoline_kernelINS0_14default_configENS1_27scan_by_key_config_selectorIijEEZZNS1_16scan_by_key_implILNS1_25lookback_scan_determinismE0ELb1ES3_N6thrust23THRUST_200600_302600_NS6detail15normal_iteratorINS9_10device_ptrIiEEEENSB_INSC_IjEEEESG_jNS9_4plusIvEENS9_8equal_toIvEEjEE10hipError_tPvRmT2_T3_T4_T5_mT6_T7_P12ihipStream_tbENKUlT_T0_E_clISt17integral_constantIbLb1EES11_EEDaSW_SX_EUlSW_E_NS1_11comp_targetILNS1_3genE3ELNS1_11target_archE908ELNS1_3gpuE7ELNS1_3repE0EEENS1_30default_config_static_selectorELNS0_4arch9wavefront6targetE0EEEvT1_,comdat
.Lfunc_end1512:
	.size	_ZN7rocprim17ROCPRIM_400000_NS6detail17trampoline_kernelINS0_14default_configENS1_27scan_by_key_config_selectorIijEEZZNS1_16scan_by_key_implILNS1_25lookback_scan_determinismE0ELb1ES3_N6thrust23THRUST_200600_302600_NS6detail15normal_iteratorINS9_10device_ptrIiEEEENSB_INSC_IjEEEESG_jNS9_4plusIvEENS9_8equal_toIvEEjEE10hipError_tPvRmT2_T3_T4_T5_mT6_T7_P12ihipStream_tbENKUlT_T0_E_clISt17integral_constantIbLb1EES11_EEDaSW_SX_EUlSW_E_NS1_11comp_targetILNS1_3genE3ELNS1_11target_archE908ELNS1_3gpuE7ELNS1_3repE0EEENS1_30default_config_static_selectorELNS0_4arch9wavefront6targetE0EEEvT1_, .Lfunc_end1512-_ZN7rocprim17ROCPRIM_400000_NS6detail17trampoline_kernelINS0_14default_configENS1_27scan_by_key_config_selectorIijEEZZNS1_16scan_by_key_implILNS1_25lookback_scan_determinismE0ELb1ES3_N6thrust23THRUST_200600_302600_NS6detail15normal_iteratorINS9_10device_ptrIiEEEENSB_INSC_IjEEEESG_jNS9_4plusIvEENS9_8equal_toIvEEjEE10hipError_tPvRmT2_T3_T4_T5_mT6_T7_P12ihipStream_tbENKUlT_T0_E_clISt17integral_constantIbLb1EES11_EEDaSW_SX_EUlSW_E_NS1_11comp_targetILNS1_3genE3ELNS1_11target_archE908ELNS1_3gpuE7ELNS1_3repE0EEENS1_30default_config_static_selectorELNS0_4arch9wavefront6targetE0EEEvT1_
                                        ; -- End function
	.set _ZN7rocprim17ROCPRIM_400000_NS6detail17trampoline_kernelINS0_14default_configENS1_27scan_by_key_config_selectorIijEEZZNS1_16scan_by_key_implILNS1_25lookback_scan_determinismE0ELb1ES3_N6thrust23THRUST_200600_302600_NS6detail15normal_iteratorINS9_10device_ptrIiEEEENSB_INSC_IjEEEESG_jNS9_4plusIvEENS9_8equal_toIvEEjEE10hipError_tPvRmT2_T3_T4_T5_mT6_T7_P12ihipStream_tbENKUlT_T0_E_clISt17integral_constantIbLb1EES11_EEDaSW_SX_EUlSW_E_NS1_11comp_targetILNS1_3genE3ELNS1_11target_archE908ELNS1_3gpuE7ELNS1_3repE0EEENS1_30default_config_static_selectorELNS0_4arch9wavefront6targetE0EEEvT1_.num_vgpr, 0
	.set _ZN7rocprim17ROCPRIM_400000_NS6detail17trampoline_kernelINS0_14default_configENS1_27scan_by_key_config_selectorIijEEZZNS1_16scan_by_key_implILNS1_25lookback_scan_determinismE0ELb1ES3_N6thrust23THRUST_200600_302600_NS6detail15normal_iteratorINS9_10device_ptrIiEEEENSB_INSC_IjEEEESG_jNS9_4plusIvEENS9_8equal_toIvEEjEE10hipError_tPvRmT2_T3_T4_T5_mT6_T7_P12ihipStream_tbENKUlT_T0_E_clISt17integral_constantIbLb1EES11_EEDaSW_SX_EUlSW_E_NS1_11comp_targetILNS1_3genE3ELNS1_11target_archE908ELNS1_3gpuE7ELNS1_3repE0EEENS1_30default_config_static_selectorELNS0_4arch9wavefront6targetE0EEEvT1_.num_agpr, 0
	.set _ZN7rocprim17ROCPRIM_400000_NS6detail17trampoline_kernelINS0_14default_configENS1_27scan_by_key_config_selectorIijEEZZNS1_16scan_by_key_implILNS1_25lookback_scan_determinismE0ELb1ES3_N6thrust23THRUST_200600_302600_NS6detail15normal_iteratorINS9_10device_ptrIiEEEENSB_INSC_IjEEEESG_jNS9_4plusIvEENS9_8equal_toIvEEjEE10hipError_tPvRmT2_T3_T4_T5_mT6_T7_P12ihipStream_tbENKUlT_T0_E_clISt17integral_constantIbLb1EES11_EEDaSW_SX_EUlSW_E_NS1_11comp_targetILNS1_3genE3ELNS1_11target_archE908ELNS1_3gpuE7ELNS1_3repE0EEENS1_30default_config_static_selectorELNS0_4arch9wavefront6targetE0EEEvT1_.numbered_sgpr, 0
	.set _ZN7rocprim17ROCPRIM_400000_NS6detail17trampoline_kernelINS0_14default_configENS1_27scan_by_key_config_selectorIijEEZZNS1_16scan_by_key_implILNS1_25lookback_scan_determinismE0ELb1ES3_N6thrust23THRUST_200600_302600_NS6detail15normal_iteratorINS9_10device_ptrIiEEEENSB_INSC_IjEEEESG_jNS9_4plusIvEENS9_8equal_toIvEEjEE10hipError_tPvRmT2_T3_T4_T5_mT6_T7_P12ihipStream_tbENKUlT_T0_E_clISt17integral_constantIbLb1EES11_EEDaSW_SX_EUlSW_E_NS1_11comp_targetILNS1_3genE3ELNS1_11target_archE908ELNS1_3gpuE7ELNS1_3repE0EEENS1_30default_config_static_selectorELNS0_4arch9wavefront6targetE0EEEvT1_.num_named_barrier, 0
	.set _ZN7rocprim17ROCPRIM_400000_NS6detail17trampoline_kernelINS0_14default_configENS1_27scan_by_key_config_selectorIijEEZZNS1_16scan_by_key_implILNS1_25lookback_scan_determinismE0ELb1ES3_N6thrust23THRUST_200600_302600_NS6detail15normal_iteratorINS9_10device_ptrIiEEEENSB_INSC_IjEEEESG_jNS9_4plusIvEENS9_8equal_toIvEEjEE10hipError_tPvRmT2_T3_T4_T5_mT6_T7_P12ihipStream_tbENKUlT_T0_E_clISt17integral_constantIbLb1EES11_EEDaSW_SX_EUlSW_E_NS1_11comp_targetILNS1_3genE3ELNS1_11target_archE908ELNS1_3gpuE7ELNS1_3repE0EEENS1_30default_config_static_selectorELNS0_4arch9wavefront6targetE0EEEvT1_.private_seg_size, 0
	.set _ZN7rocprim17ROCPRIM_400000_NS6detail17trampoline_kernelINS0_14default_configENS1_27scan_by_key_config_selectorIijEEZZNS1_16scan_by_key_implILNS1_25lookback_scan_determinismE0ELb1ES3_N6thrust23THRUST_200600_302600_NS6detail15normal_iteratorINS9_10device_ptrIiEEEENSB_INSC_IjEEEESG_jNS9_4plusIvEENS9_8equal_toIvEEjEE10hipError_tPvRmT2_T3_T4_T5_mT6_T7_P12ihipStream_tbENKUlT_T0_E_clISt17integral_constantIbLb1EES11_EEDaSW_SX_EUlSW_E_NS1_11comp_targetILNS1_3genE3ELNS1_11target_archE908ELNS1_3gpuE7ELNS1_3repE0EEENS1_30default_config_static_selectorELNS0_4arch9wavefront6targetE0EEEvT1_.uses_vcc, 0
	.set _ZN7rocprim17ROCPRIM_400000_NS6detail17trampoline_kernelINS0_14default_configENS1_27scan_by_key_config_selectorIijEEZZNS1_16scan_by_key_implILNS1_25lookback_scan_determinismE0ELb1ES3_N6thrust23THRUST_200600_302600_NS6detail15normal_iteratorINS9_10device_ptrIiEEEENSB_INSC_IjEEEESG_jNS9_4plusIvEENS9_8equal_toIvEEjEE10hipError_tPvRmT2_T3_T4_T5_mT6_T7_P12ihipStream_tbENKUlT_T0_E_clISt17integral_constantIbLb1EES11_EEDaSW_SX_EUlSW_E_NS1_11comp_targetILNS1_3genE3ELNS1_11target_archE908ELNS1_3gpuE7ELNS1_3repE0EEENS1_30default_config_static_selectorELNS0_4arch9wavefront6targetE0EEEvT1_.uses_flat_scratch, 0
	.set _ZN7rocprim17ROCPRIM_400000_NS6detail17trampoline_kernelINS0_14default_configENS1_27scan_by_key_config_selectorIijEEZZNS1_16scan_by_key_implILNS1_25lookback_scan_determinismE0ELb1ES3_N6thrust23THRUST_200600_302600_NS6detail15normal_iteratorINS9_10device_ptrIiEEEENSB_INSC_IjEEEESG_jNS9_4plusIvEENS9_8equal_toIvEEjEE10hipError_tPvRmT2_T3_T4_T5_mT6_T7_P12ihipStream_tbENKUlT_T0_E_clISt17integral_constantIbLb1EES11_EEDaSW_SX_EUlSW_E_NS1_11comp_targetILNS1_3genE3ELNS1_11target_archE908ELNS1_3gpuE7ELNS1_3repE0EEENS1_30default_config_static_selectorELNS0_4arch9wavefront6targetE0EEEvT1_.has_dyn_sized_stack, 0
	.set _ZN7rocprim17ROCPRIM_400000_NS6detail17trampoline_kernelINS0_14default_configENS1_27scan_by_key_config_selectorIijEEZZNS1_16scan_by_key_implILNS1_25lookback_scan_determinismE0ELb1ES3_N6thrust23THRUST_200600_302600_NS6detail15normal_iteratorINS9_10device_ptrIiEEEENSB_INSC_IjEEEESG_jNS9_4plusIvEENS9_8equal_toIvEEjEE10hipError_tPvRmT2_T3_T4_T5_mT6_T7_P12ihipStream_tbENKUlT_T0_E_clISt17integral_constantIbLb1EES11_EEDaSW_SX_EUlSW_E_NS1_11comp_targetILNS1_3genE3ELNS1_11target_archE908ELNS1_3gpuE7ELNS1_3repE0EEENS1_30default_config_static_selectorELNS0_4arch9wavefront6targetE0EEEvT1_.has_recursion, 0
	.set _ZN7rocprim17ROCPRIM_400000_NS6detail17trampoline_kernelINS0_14default_configENS1_27scan_by_key_config_selectorIijEEZZNS1_16scan_by_key_implILNS1_25lookback_scan_determinismE0ELb1ES3_N6thrust23THRUST_200600_302600_NS6detail15normal_iteratorINS9_10device_ptrIiEEEENSB_INSC_IjEEEESG_jNS9_4plusIvEENS9_8equal_toIvEEjEE10hipError_tPvRmT2_T3_T4_T5_mT6_T7_P12ihipStream_tbENKUlT_T0_E_clISt17integral_constantIbLb1EES11_EEDaSW_SX_EUlSW_E_NS1_11comp_targetILNS1_3genE3ELNS1_11target_archE908ELNS1_3gpuE7ELNS1_3repE0EEENS1_30default_config_static_selectorELNS0_4arch9wavefront6targetE0EEEvT1_.has_indirect_call, 0
	.section	.AMDGPU.csdata,"",@progbits
; Kernel info:
; codeLenInByte = 0
; TotalNumSgprs: 0
; NumVgprs: 0
; ScratchSize: 0
; MemoryBound: 0
; FloatMode: 240
; IeeeMode: 1
; LDSByteSize: 0 bytes/workgroup (compile time only)
; SGPRBlocks: 0
; VGPRBlocks: 0
; NumSGPRsForWavesPerEU: 1
; NumVGPRsForWavesPerEU: 1
; Occupancy: 16
; WaveLimiterHint : 0
; COMPUTE_PGM_RSRC2:SCRATCH_EN: 0
; COMPUTE_PGM_RSRC2:USER_SGPR: 6
; COMPUTE_PGM_RSRC2:TRAP_HANDLER: 0
; COMPUTE_PGM_RSRC2:TGID_X_EN: 1
; COMPUTE_PGM_RSRC2:TGID_Y_EN: 0
; COMPUTE_PGM_RSRC2:TGID_Z_EN: 0
; COMPUTE_PGM_RSRC2:TIDIG_COMP_CNT: 0
	.section	.text._ZN7rocprim17ROCPRIM_400000_NS6detail17trampoline_kernelINS0_14default_configENS1_27scan_by_key_config_selectorIijEEZZNS1_16scan_by_key_implILNS1_25lookback_scan_determinismE0ELb1ES3_N6thrust23THRUST_200600_302600_NS6detail15normal_iteratorINS9_10device_ptrIiEEEENSB_INSC_IjEEEESG_jNS9_4plusIvEENS9_8equal_toIvEEjEE10hipError_tPvRmT2_T3_T4_T5_mT6_T7_P12ihipStream_tbENKUlT_T0_E_clISt17integral_constantIbLb1EES11_EEDaSW_SX_EUlSW_E_NS1_11comp_targetILNS1_3genE2ELNS1_11target_archE906ELNS1_3gpuE6ELNS1_3repE0EEENS1_30default_config_static_selectorELNS0_4arch9wavefront6targetE0EEEvT1_,"axG",@progbits,_ZN7rocprim17ROCPRIM_400000_NS6detail17trampoline_kernelINS0_14default_configENS1_27scan_by_key_config_selectorIijEEZZNS1_16scan_by_key_implILNS1_25lookback_scan_determinismE0ELb1ES3_N6thrust23THRUST_200600_302600_NS6detail15normal_iteratorINS9_10device_ptrIiEEEENSB_INSC_IjEEEESG_jNS9_4plusIvEENS9_8equal_toIvEEjEE10hipError_tPvRmT2_T3_T4_T5_mT6_T7_P12ihipStream_tbENKUlT_T0_E_clISt17integral_constantIbLb1EES11_EEDaSW_SX_EUlSW_E_NS1_11comp_targetILNS1_3genE2ELNS1_11target_archE906ELNS1_3gpuE6ELNS1_3repE0EEENS1_30default_config_static_selectorELNS0_4arch9wavefront6targetE0EEEvT1_,comdat
	.protected	_ZN7rocprim17ROCPRIM_400000_NS6detail17trampoline_kernelINS0_14default_configENS1_27scan_by_key_config_selectorIijEEZZNS1_16scan_by_key_implILNS1_25lookback_scan_determinismE0ELb1ES3_N6thrust23THRUST_200600_302600_NS6detail15normal_iteratorINS9_10device_ptrIiEEEENSB_INSC_IjEEEESG_jNS9_4plusIvEENS9_8equal_toIvEEjEE10hipError_tPvRmT2_T3_T4_T5_mT6_T7_P12ihipStream_tbENKUlT_T0_E_clISt17integral_constantIbLb1EES11_EEDaSW_SX_EUlSW_E_NS1_11comp_targetILNS1_3genE2ELNS1_11target_archE906ELNS1_3gpuE6ELNS1_3repE0EEENS1_30default_config_static_selectorELNS0_4arch9wavefront6targetE0EEEvT1_ ; -- Begin function _ZN7rocprim17ROCPRIM_400000_NS6detail17trampoline_kernelINS0_14default_configENS1_27scan_by_key_config_selectorIijEEZZNS1_16scan_by_key_implILNS1_25lookback_scan_determinismE0ELb1ES3_N6thrust23THRUST_200600_302600_NS6detail15normal_iteratorINS9_10device_ptrIiEEEENSB_INSC_IjEEEESG_jNS9_4plusIvEENS9_8equal_toIvEEjEE10hipError_tPvRmT2_T3_T4_T5_mT6_T7_P12ihipStream_tbENKUlT_T0_E_clISt17integral_constantIbLb1EES11_EEDaSW_SX_EUlSW_E_NS1_11comp_targetILNS1_3genE2ELNS1_11target_archE906ELNS1_3gpuE6ELNS1_3repE0EEENS1_30default_config_static_selectorELNS0_4arch9wavefront6targetE0EEEvT1_
	.globl	_ZN7rocprim17ROCPRIM_400000_NS6detail17trampoline_kernelINS0_14default_configENS1_27scan_by_key_config_selectorIijEEZZNS1_16scan_by_key_implILNS1_25lookback_scan_determinismE0ELb1ES3_N6thrust23THRUST_200600_302600_NS6detail15normal_iteratorINS9_10device_ptrIiEEEENSB_INSC_IjEEEESG_jNS9_4plusIvEENS9_8equal_toIvEEjEE10hipError_tPvRmT2_T3_T4_T5_mT6_T7_P12ihipStream_tbENKUlT_T0_E_clISt17integral_constantIbLb1EES11_EEDaSW_SX_EUlSW_E_NS1_11comp_targetILNS1_3genE2ELNS1_11target_archE906ELNS1_3gpuE6ELNS1_3repE0EEENS1_30default_config_static_selectorELNS0_4arch9wavefront6targetE0EEEvT1_
	.p2align	8
	.type	_ZN7rocprim17ROCPRIM_400000_NS6detail17trampoline_kernelINS0_14default_configENS1_27scan_by_key_config_selectorIijEEZZNS1_16scan_by_key_implILNS1_25lookback_scan_determinismE0ELb1ES3_N6thrust23THRUST_200600_302600_NS6detail15normal_iteratorINS9_10device_ptrIiEEEENSB_INSC_IjEEEESG_jNS9_4plusIvEENS9_8equal_toIvEEjEE10hipError_tPvRmT2_T3_T4_T5_mT6_T7_P12ihipStream_tbENKUlT_T0_E_clISt17integral_constantIbLb1EES11_EEDaSW_SX_EUlSW_E_NS1_11comp_targetILNS1_3genE2ELNS1_11target_archE906ELNS1_3gpuE6ELNS1_3repE0EEENS1_30default_config_static_selectorELNS0_4arch9wavefront6targetE0EEEvT1_,@function
_ZN7rocprim17ROCPRIM_400000_NS6detail17trampoline_kernelINS0_14default_configENS1_27scan_by_key_config_selectorIijEEZZNS1_16scan_by_key_implILNS1_25lookback_scan_determinismE0ELb1ES3_N6thrust23THRUST_200600_302600_NS6detail15normal_iteratorINS9_10device_ptrIiEEEENSB_INSC_IjEEEESG_jNS9_4plusIvEENS9_8equal_toIvEEjEE10hipError_tPvRmT2_T3_T4_T5_mT6_T7_P12ihipStream_tbENKUlT_T0_E_clISt17integral_constantIbLb1EES11_EEDaSW_SX_EUlSW_E_NS1_11comp_targetILNS1_3genE2ELNS1_11target_archE906ELNS1_3gpuE6ELNS1_3repE0EEENS1_30default_config_static_selectorELNS0_4arch9wavefront6targetE0EEEvT1_: ; @_ZN7rocprim17ROCPRIM_400000_NS6detail17trampoline_kernelINS0_14default_configENS1_27scan_by_key_config_selectorIijEEZZNS1_16scan_by_key_implILNS1_25lookback_scan_determinismE0ELb1ES3_N6thrust23THRUST_200600_302600_NS6detail15normal_iteratorINS9_10device_ptrIiEEEENSB_INSC_IjEEEESG_jNS9_4plusIvEENS9_8equal_toIvEEjEE10hipError_tPvRmT2_T3_T4_T5_mT6_T7_P12ihipStream_tbENKUlT_T0_E_clISt17integral_constantIbLb1EES11_EEDaSW_SX_EUlSW_E_NS1_11comp_targetILNS1_3genE2ELNS1_11target_archE906ELNS1_3gpuE6ELNS1_3repE0EEENS1_30default_config_static_selectorELNS0_4arch9wavefront6targetE0EEEvT1_
; %bb.0:
	.section	.rodata,"a",@progbits
	.p2align	6, 0x0
	.amdhsa_kernel _ZN7rocprim17ROCPRIM_400000_NS6detail17trampoline_kernelINS0_14default_configENS1_27scan_by_key_config_selectorIijEEZZNS1_16scan_by_key_implILNS1_25lookback_scan_determinismE0ELb1ES3_N6thrust23THRUST_200600_302600_NS6detail15normal_iteratorINS9_10device_ptrIiEEEENSB_INSC_IjEEEESG_jNS9_4plusIvEENS9_8equal_toIvEEjEE10hipError_tPvRmT2_T3_T4_T5_mT6_T7_P12ihipStream_tbENKUlT_T0_E_clISt17integral_constantIbLb1EES11_EEDaSW_SX_EUlSW_E_NS1_11comp_targetILNS1_3genE2ELNS1_11target_archE906ELNS1_3gpuE6ELNS1_3repE0EEENS1_30default_config_static_selectorELNS0_4arch9wavefront6targetE0EEEvT1_
		.amdhsa_group_segment_fixed_size 0
		.amdhsa_private_segment_fixed_size 0
		.amdhsa_kernarg_size 112
		.amdhsa_user_sgpr_count 6
		.amdhsa_user_sgpr_private_segment_buffer 1
		.amdhsa_user_sgpr_dispatch_ptr 0
		.amdhsa_user_sgpr_queue_ptr 0
		.amdhsa_user_sgpr_kernarg_segment_ptr 1
		.amdhsa_user_sgpr_dispatch_id 0
		.amdhsa_user_sgpr_flat_scratch_init 0
		.amdhsa_user_sgpr_private_segment_size 0
		.amdhsa_wavefront_size32 1
		.amdhsa_uses_dynamic_stack 0
		.amdhsa_system_sgpr_private_segment_wavefront_offset 0
		.amdhsa_system_sgpr_workgroup_id_x 1
		.amdhsa_system_sgpr_workgroup_id_y 0
		.amdhsa_system_sgpr_workgroup_id_z 0
		.amdhsa_system_sgpr_workgroup_info 0
		.amdhsa_system_vgpr_workitem_id 0
		.amdhsa_next_free_vgpr 1
		.amdhsa_next_free_sgpr 1
		.amdhsa_reserve_vcc 0
		.amdhsa_reserve_flat_scratch 0
		.amdhsa_float_round_mode_32 0
		.amdhsa_float_round_mode_16_64 0
		.amdhsa_float_denorm_mode_32 3
		.amdhsa_float_denorm_mode_16_64 3
		.amdhsa_dx10_clamp 1
		.amdhsa_ieee_mode 1
		.amdhsa_fp16_overflow 0
		.amdhsa_workgroup_processor_mode 1
		.amdhsa_memory_ordered 1
		.amdhsa_forward_progress 1
		.amdhsa_shared_vgpr_count 0
		.amdhsa_exception_fp_ieee_invalid_op 0
		.amdhsa_exception_fp_denorm_src 0
		.amdhsa_exception_fp_ieee_div_zero 0
		.amdhsa_exception_fp_ieee_overflow 0
		.amdhsa_exception_fp_ieee_underflow 0
		.amdhsa_exception_fp_ieee_inexact 0
		.amdhsa_exception_int_div_zero 0
	.end_amdhsa_kernel
	.section	.text._ZN7rocprim17ROCPRIM_400000_NS6detail17trampoline_kernelINS0_14default_configENS1_27scan_by_key_config_selectorIijEEZZNS1_16scan_by_key_implILNS1_25lookback_scan_determinismE0ELb1ES3_N6thrust23THRUST_200600_302600_NS6detail15normal_iteratorINS9_10device_ptrIiEEEENSB_INSC_IjEEEESG_jNS9_4plusIvEENS9_8equal_toIvEEjEE10hipError_tPvRmT2_T3_T4_T5_mT6_T7_P12ihipStream_tbENKUlT_T0_E_clISt17integral_constantIbLb1EES11_EEDaSW_SX_EUlSW_E_NS1_11comp_targetILNS1_3genE2ELNS1_11target_archE906ELNS1_3gpuE6ELNS1_3repE0EEENS1_30default_config_static_selectorELNS0_4arch9wavefront6targetE0EEEvT1_,"axG",@progbits,_ZN7rocprim17ROCPRIM_400000_NS6detail17trampoline_kernelINS0_14default_configENS1_27scan_by_key_config_selectorIijEEZZNS1_16scan_by_key_implILNS1_25lookback_scan_determinismE0ELb1ES3_N6thrust23THRUST_200600_302600_NS6detail15normal_iteratorINS9_10device_ptrIiEEEENSB_INSC_IjEEEESG_jNS9_4plusIvEENS9_8equal_toIvEEjEE10hipError_tPvRmT2_T3_T4_T5_mT6_T7_P12ihipStream_tbENKUlT_T0_E_clISt17integral_constantIbLb1EES11_EEDaSW_SX_EUlSW_E_NS1_11comp_targetILNS1_3genE2ELNS1_11target_archE906ELNS1_3gpuE6ELNS1_3repE0EEENS1_30default_config_static_selectorELNS0_4arch9wavefront6targetE0EEEvT1_,comdat
.Lfunc_end1513:
	.size	_ZN7rocprim17ROCPRIM_400000_NS6detail17trampoline_kernelINS0_14default_configENS1_27scan_by_key_config_selectorIijEEZZNS1_16scan_by_key_implILNS1_25lookback_scan_determinismE0ELb1ES3_N6thrust23THRUST_200600_302600_NS6detail15normal_iteratorINS9_10device_ptrIiEEEENSB_INSC_IjEEEESG_jNS9_4plusIvEENS9_8equal_toIvEEjEE10hipError_tPvRmT2_T3_T4_T5_mT6_T7_P12ihipStream_tbENKUlT_T0_E_clISt17integral_constantIbLb1EES11_EEDaSW_SX_EUlSW_E_NS1_11comp_targetILNS1_3genE2ELNS1_11target_archE906ELNS1_3gpuE6ELNS1_3repE0EEENS1_30default_config_static_selectorELNS0_4arch9wavefront6targetE0EEEvT1_, .Lfunc_end1513-_ZN7rocprim17ROCPRIM_400000_NS6detail17trampoline_kernelINS0_14default_configENS1_27scan_by_key_config_selectorIijEEZZNS1_16scan_by_key_implILNS1_25lookback_scan_determinismE0ELb1ES3_N6thrust23THRUST_200600_302600_NS6detail15normal_iteratorINS9_10device_ptrIiEEEENSB_INSC_IjEEEESG_jNS9_4plusIvEENS9_8equal_toIvEEjEE10hipError_tPvRmT2_T3_T4_T5_mT6_T7_P12ihipStream_tbENKUlT_T0_E_clISt17integral_constantIbLb1EES11_EEDaSW_SX_EUlSW_E_NS1_11comp_targetILNS1_3genE2ELNS1_11target_archE906ELNS1_3gpuE6ELNS1_3repE0EEENS1_30default_config_static_selectorELNS0_4arch9wavefront6targetE0EEEvT1_
                                        ; -- End function
	.set _ZN7rocprim17ROCPRIM_400000_NS6detail17trampoline_kernelINS0_14default_configENS1_27scan_by_key_config_selectorIijEEZZNS1_16scan_by_key_implILNS1_25lookback_scan_determinismE0ELb1ES3_N6thrust23THRUST_200600_302600_NS6detail15normal_iteratorINS9_10device_ptrIiEEEENSB_INSC_IjEEEESG_jNS9_4plusIvEENS9_8equal_toIvEEjEE10hipError_tPvRmT2_T3_T4_T5_mT6_T7_P12ihipStream_tbENKUlT_T0_E_clISt17integral_constantIbLb1EES11_EEDaSW_SX_EUlSW_E_NS1_11comp_targetILNS1_3genE2ELNS1_11target_archE906ELNS1_3gpuE6ELNS1_3repE0EEENS1_30default_config_static_selectorELNS0_4arch9wavefront6targetE0EEEvT1_.num_vgpr, 0
	.set _ZN7rocprim17ROCPRIM_400000_NS6detail17trampoline_kernelINS0_14default_configENS1_27scan_by_key_config_selectorIijEEZZNS1_16scan_by_key_implILNS1_25lookback_scan_determinismE0ELb1ES3_N6thrust23THRUST_200600_302600_NS6detail15normal_iteratorINS9_10device_ptrIiEEEENSB_INSC_IjEEEESG_jNS9_4plusIvEENS9_8equal_toIvEEjEE10hipError_tPvRmT2_T3_T4_T5_mT6_T7_P12ihipStream_tbENKUlT_T0_E_clISt17integral_constantIbLb1EES11_EEDaSW_SX_EUlSW_E_NS1_11comp_targetILNS1_3genE2ELNS1_11target_archE906ELNS1_3gpuE6ELNS1_3repE0EEENS1_30default_config_static_selectorELNS0_4arch9wavefront6targetE0EEEvT1_.num_agpr, 0
	.set _ZN7rocprim17ROCPRIM_400000_NS6detail17trampoline_kernelINS0_14default_configENS1_27scan_by_key_config_selectorIijEEZZNS1_16scan_by_key_implILNS1_25lookback_scan_determinismE0ELb1ES3_N6thrust23THRUST_200600_302600_NS6detail15normal_iteratorINS9_10device_ptrIiEEEENSB_INSC_IjEEEESG_jNS9_4plusIvEENS9_8equal_toIvEEjEE10hipError_tPvRmT2_T3_T4_T5_mT6_T7_P12ihipStream_tbENKUlT_T0_E_clISt17integral_constantIbLb1EES11_EEDaSW_SX_EUlSW_E_NS1_11comp_targetILNS1_3genE2ELNS1_11target_archE906ELNS1_3gpuE6ELNS1_3repE0EEENS1_30default_config_static_selectorELNS0_4arch9wavefront6targetE0EEEvT1_.numbered_sgpr, 0
	.set _ZN7rocprim17ROCPRIM_400000_NS6detail17trampoline_kernelINS0_14default_configENS1_27scan_by_key_config_selectorIijEEZZNS1_16scan_by_key_implILNS1_25lookback_scan_determinismE0ELb1ES3_N6thrust23THRUST_200600_302600_NS6detail15normal_iteratorINS9_10device_ptrIiEEEENSB_INSC_IjEEEESG_jNS9_4plusIvEENS9_8equal_toIvEEjEE10hipError_tPvRmT2_T3_T4_T5_mT6_T7_P12ihipStream_tbENKUlT_T0_E_clISt17integral_constantIbLb1EES11_EEDaSW_SX_EUlSW_E_NS1_11comp_targetILNS1_3genE2ELNS1_11target_archE906ELNS1_3gpuE6ELNS1_3repE0EEENS1_30default_config_static_selectorELNS0_4arch9wavefront6targetE0EEEvT1_.num_named_barrier, 0
	.set _ZN7rocprim17ROCPRIM_400000_NS6detail17trampoline_kernelINS0_14default_configENS1_27scan_by_key_config_selectorIijEEZZNS1_16scan_by_key_implILNS1_25lookback_scan_determinismE0ELb1ES3_N6thrust23THRUST_200600_302600_NS6detail15normal_iteratorINS9_10device_ptrIiEEEENSB_INSC_IjEEEESG_jNS9_4plusIvEENS9_8equal_toIvEEjEE10hipError_tPvRmT2_T3_T4_T5_mT6_T7_P12ihipStream_tbENKUlT_T0_E_clISt17integral_constantIbLb1EES11_EEDaSW_SX_EUlSW_E_NS1_11comp_targetILNS1_3genE2ELNS1_11target_archE906ELNS1_3gpuE6ELNS1_3repE0EEENS1_30default_config_static_selectorELNS0_4arch9wavefront6targetE0EEEvT1_.private_seg_size, 0
	.set _ZN7rocprim17ROCPRIM_400000_NS6detail17trampoline_kernelINS0_14default_configENS1_27scan_by_key_config_selectorIijEEZZNS1_16scan_by_key_implILNS1_25lookback_scan_determinismE0ELb1ES3_N6thrust23THRUST_200600_302600_NS6detail15normal_iteratorINS9_10device_ptrIiEEEENSB_INSC_IjEEEESG_jNS9_4plusIvEENS9_8equal_toIvEEjEE10hipError_tPvRmT2_T3_T4_T5_mT6_T7_P12ihipStream_tbENKUlT_T0_E_clISt17integral_constantIbLb1EES11_EEDaSW_SX_EUlSW_E_NS1_11comp_targetILNS1_3genE2ELNS1_11target_archE906ELNS1_3gpuE6ELNS1_3repE0EEENS1_30default_config_static_selectorELNS0_4arch9wavefront6targetE0EEEvT1_.uses_vcc, 0
	.set _ZN7rocprim17ROCPRIM_400000_NS6detail17trampoline_kernelINS0_14default_configENS1_27scan_by_key_config_selectorIijEEZZNS1_16scan_by_key_implILNS1_25lookback_scan_determinismE0ELb1ES3_N6thrust23THRUST_200600_302600_NS6detail15normal_iteratorINS9_10device_ptrIiEEEENSB_INSC_IjEEEESG_jNS9_4plusIvEENS9_8equal_toIvEEjEE10hipError_tPvRmT2_T3_T4_T5_mT6_T7_P12ihipStream_tbENKUlT_T0_E_clISt17integral_constantIbLb1EES11_EEDaSW_SX_EUlSW_E_NS1_11comp_targetILNS1_3genE2ELNS1_11target_archE906ELNS1_3gpuE6ELNS1_3repE0EEENS1_30default_config_static_selectorELNS0_4arch9wavefront6targetE0EEEvT1_.uses_flat_scratch, 0
	.set _ZN7rocprim17ROCPRIM_400000_NS6detail17trampoline_kernelINS0_14default_configENS1_27scan_by_key_config_selectorIijEEZZNS1_16scan_by_key_implILNS1_25lookback_scan_determinismE0ELb1ES3_N6thrust23THRUST_200600_302600_NS6detail15normal_iteratorINS9_10device_ptrIiEEEENSB_INSC_IjEEEESG_jNS9_4plusIvEENS9_8equal_toIvEEjEE10hipError_tPvRmT2_T3_T4_T5_mT6_T7_P12ihipStream_tbENKUlT_T0_E_clISt17integral_constantIbLb1EES11_EEDaSW_SX_EUlSW_E_NS1_11comp_targetILNS1_3genE2ELNS1_11target_archE906ELNS1_3gpuE6ELNS1_3repE0EEENS1_30default_config_static_selectorELNS0_4arch9wavefront6targetE0EEEvT1_.has_dyn_sized_stack, 0
	.set _ZN7rocprim17ROCPRIM_400000_NS6detail17trampoline_kernelINS0_14default_configENS1_27scan_by_key_config_selectorIijEEZZNS1_16scan_by_key_implILNS1_25lookback_scan_determinismE0ELb1ES3_N6thrust23THRUST_200600_302600_NS6detail15normal_iteratorINS9_10device_ptrIiEEEENSB_INSC_IjEEEESG_jNS9_4plusIvEENS9_8equal_toIvEEjEE10hipError_tPvRmT2_T3_T4_T5_mT6_T7_P12ihipStream_tbENKUlT_T0_E_clISt17integral_constantIbLb1EES11_EEDaSW_SX_EUlSW_E_NS1_11comp_targetILNS1_3genE2ELNS1_11target_archE906ELNS1_3gpuE6ELNS1_3repE0EEENS1_30default_config_static_selectorELNS0_4arch9wavefront6targetE0EEEvT1_.has_recursion, 0
	.set _ZN7rocprim17ROCPRIM_400000_NS6detail17trampoline_kernelINS0_14default_configENS1_27scan_by_key_config_selectorIijEEZZNS1_16scan_by_key_implILNS1_25lookback_scan_determinismE0ELb1ES3_N6thrust23THRUST_200600_302600_NS6detail15normal_iteratorINS9_10device_ptrIiEEEENSB_INSC_IjEEEESG_jNS9_4plusIvEENS9_8equal_toIvEEjEE10hipError_tPvRmT2_T3_T4_T5_mT6_T7_P12ihipStream_tbENKUlT_T0_E_clISt17integral_constantIbLb1EES11_EEDaSW_SX_EUlSW_E_NS1_11comp_targetILNS1_3genE2ELNS1_11target_archE906ELNS1_3gpuE6ELNS1_3repE0EEENS1_30default_config_static_selectorELNS0_4arch9wavefront6targetE0EEEvT1_.has_indirect_call, 0
	.section	.AMDGPU.csdata,"",@progbits
; Kernel info:
; codeLenInByte = 0
; TotalNumSgprs: 0
; NumVgprs: 0
; ScratchSize: 0
; MemoryBound: 0
; FloatMode: 240
; IeeeMode: 1
; LDSByteSize: 0 bytes/workgroup (compile time only)
; SGPRBlocks: 0
; VGPRBlocks: 0
; NumSGPRsForWavesPerEU: 1
; NumVGPRsForWavesPerEU: 1
; Occupancy: 16
; WaveLimiterHint : 0
; COMPUTE_PGM_RSRC2:SCRATCH_EN: 0
; COMPUTE_PGM_RSRC2:USER_SGPR: 6
; COMPUTE_PGM_RSRC2:TRAP_HANDLER: 0
; COMPUTE_PGM_RSRC2:TGID_X_EN: 1
; COMPUTE_PGM_RSRC2:TGID_Y_EN: 0
; COMPUTE_PGM_RSRC2:TGID_Z_EN: 0
; COMPUTE_PGM_RSRC2:TIDIG_COMP_CNT: 0
	.section	.text._ZN7rocprim17ROCPRIM_400000_NS6detail17trampoline_kernelINS0_14default_configENS1_27scan_by_key_config_selectorIijEEZZNS1_16scan_by_key_implILNS1_25lookback_scan_determinismE0ELb1ES3_N6thrust23THRUST_200600_302600_NS6detail15normal_iteratorINS9_10device_ptrIiEEEENSB_INSC_IjEEEESG_jNS9_4plusIvEENS9_8equal_toIvEEjEE10hipError_tPvRmT2_T3_T4_T5_mT6_T7_P12ihipStream_tbENKUlT_T0_E_clISt17integral_constantIbLb1EES11_EEDaSW_SX_EUlSW_E_NS1_11comp_targetILNS1_3genE10ELNS1_11target_archE1200ELNS1_3gpuE4ELNS1_3repE0EEENS1_30default_config_static_selectorELNS0_4arch9wavefront6targetE0EEEvT1_,"axG",@progbits,_ZN7rocprim17ROCPRIM_400000_NS6detail17trampoline_kernelINS0_14default_configENS1_27scan_by_key_config_selectorIijEEZZNS1_16scan_by_key_implILNS1_25lookback_scan_determinismE0ELb1ES3_N6thrust23THRUST_200600_302600_NS6detail15normal_iteratorINS9_10device_ptrIiEEEENSB_INSC_IjEEEESG_jNS9_4plusIvEENS9_8equal_toIvEEjEE10hipError_tPvRmT2_T3_T4_T5_mT6_T7_P12ihipStream_tbENKUlT_T0_E_clISt17integral_constantIbLb1EES11_EEDaSW_SX_EUlSW_E_NS1_11comp_targetILNS1_3genE10ELNS1_11target_archE1200ELNS1_3gpuE4ELNS1_3repE0EEENS1_30default_config_static_selectorELNS0_4arch9wavefront6targetE0EEEvT1_,comdat
	.protected	_ZN7rocprim17ROCPRIM_400000_NS6detail17trampoline_kernelINS0_14default_configENS1_27scan_by_key_config_selectorIijEEZZNS1_16scan_by_key_implILNS1_25lookback_scan_determinismE0ELb1ES3_N6thrust23THRUST_200600_302600_NS6detail15normal_iteratorINS9_10device_ptrIiEEEENSB_INSC_IjEEEESG_jNS9_4plusIvEENS9_8equal_toIvEEjEE10hipError_tPvRmT2_T3_T4_T5_mT6_T7_P12ihipStream_tbENKUlT_T0_E_clISt17integral_constantIbLb1EES11_EEDaSW_SX_EUlSW_E_NS1_11comp_targetILNS1_3genE10ELNS1_11target_archE1200ELNS1_3gpuE4ELNS1_3repE0EEENS1_30default_config_static_selectorELNS0_4arch9wavefront6targetE0EEEvT1_ ; -- Begin function _ZN7rocprim17ROCPRIM_400000_NS6detail17trampoline_kernelINS0_14default_configENS1_27scan_by_key_config_selectorIijEEZZNS1_16scan_by_key_implILNS1_25lookback_scan_determinismE0ELb1ES3_N6thrust23THRUST_200600_302600_NS6detail15normal_iteratorINS9_10device_ptrIiEEEENSB_INSC_IjEEEESG_jNS9_4plusIvEENS9_8equal_toIvEEjEE10hipError_tPvRmT2_T3_T4_T5_mT6_T7_P12ihipStream_tbENKUlT_T0_E_clISt17integral_constantIbLb1EES11_EEDaSW_SX_EUlSW_E_NS1_11comp_targetILNS1_3genE10ELNS1_11target_archE1200ELNS1_3gpuE4ELNS1_3repE0EEENS1_30default_config_static_selectorELNS0_4arch9wavefront6targetE0EEEvT1_
	.globl	_ZN7rocprim17ROCPRIM_400000_NS6detail17trampoline_kernelINS0_14default_configENS1_27scan_by_key_config_selectorIijEEZZNS1_16scan_by_key_implILNS1_25lookback_scan_determinismE0ELb1ES3_N6thrust23THRUST_200600_302600_NS6detail15normal_iteratorINS9_10device_ptrIiEEEENSB_INSC_IjEEEESG_jNS9_4plusIvEENS9_8equal_toIvEEjEE10hipError_tPvRmT2_T3_T4_T5_mT6_T7_P12ihipStream_tbENKUlT_T0_E_clISt17integral_constantIbLb1EES11_EEDaSW_SX_EUlSW_E_NS1_11comp_targetILNS1_3genE10ELNS1_11target_archE1200ELNS1_3gpuE4ELNS1_3repE0EEENS1_30default_config_static_selectorELNS0_4arch9wavefront6targetE0EEEvT1_
	.p2align	8
	.type	_ZN7rocprim17ROCPRIM_400000_NS6detail17trampoline_kernelINS0_14default_configENS1_27scan_by_key_config_selectorIijEEZZNS1_16scan_by_key_implILNS1_25lookback_scan_determinismE0ELb1ES3_N6thrust23THRUST_200600_302600_NS6detail15normal_iteratorINS9_10device_ptrIiEEEENSB_INSC_IjEEEESG_jNS9_4plusIvEENS9_8equal_toIvEEjEE10hipError_tPvRmT2_T3_T4_T5_mT6_T7_P12ihipStream_tbENKUlT_T0_E_clISt17integral_constantIbLb1EES11_EEDaSW_SX_EUlSW_E_NS1_11comp_targetILNS1_3genE10ELNS1_11target_archE1200ELNS1_3gpuE4ELNS1_3repE0EEENS1_30default_config_static_selectorELNS0_4arch9wavefront6targetE0EEEvT1_,@function
_ZN7rocprim17ROCPRIM_400000_NS6detail17trampoline_kernelINS0_14default_configENS1_27scan_by_key_config_selectorIijEEZZNS1_16scan_by_key_implILNS1_25lookback_scan_determinismE0ELb1ES3_N6thrust23THRUST_200600_302600_NS6detail15normal_iteratorINS9_10device_ptrIiEEEENSB_INSC_IjEEEESG_jNS9_4plusIvEENS9_8equal_toIvEEjEE10hipError_tPvRmT2_T3_T4_T5_mT6_T7_P12ihipStream_tbENKUlT_T0_E_clISt17integral_constantIbLb1EES11_EEDaSW_SX_EUlSW_E_NS1_11comp_targetILNS1_3genE10ELNS1_11target_archE1200ELNS1_3gpuE4ELNS1_3repE0EEENS1_30default_config_static_selectorELNS0_4arch9wavefront6targetE0EEEvT1_: ; @_ZN7rocprim17ROCPRIM_400000_NS6detail17trampoline_kernelINS0_14default_configENS1_27scan_by_key_config_selectorIijEEZZNS1_16scan_by_key_implILNS1_25lookback_scan_determinismE0ELb1ES3_N6thrust23THRUST_200600_302600_NS6detail15normal_iteratorINS9_10device_ptrIiEEEENSB_INSC_IjEEEESG_jNS9_4plusIvEENS9_8equal_toIvEEjEE10hipError_tPvRmT2_T3_T4_T5_mT6_T7_P12ihipStream_tbENKUlT_T0_E_clISt17integral_constantIbLb1EES11_EEDaSW_SX_EUlSW_E_NS1_11comp_targetILNS1_3genE10ELNS1_11target_archE1200ELNS1_3gpuE4ELNS1_3repE0EEENS1_30default_config_static_selectorELNS0_4arch9wavefront6targetE0EEEvT1_
; %bb.0:
	.section	.rodata,"a",@progbits
	.p2align	6, 0x0
	.amdhsa_kernel _ZN7rocprim17ROCPRIM_400000_NS6detail17trampoline_kernelINS0_14default_configENS1_27scan_by_key_config_selectorIijEEZZNS1_16scan_by_key_implILNS1_25lookback_scan_determinismE0ELb1ES3_N6thrust23THRUST_200600_302600_NS6detail15normal_iteratorINS9_10device_ptrIiEEEENSB_INSC_IjEEEESG_jNS9_4plusIvEENS9_8equal_toIvEEjEE10hipError_tPvRmT2_T3_T4_T5_mT6_T7_P12ihipStream_tbENKUlT_T0_E_clISt17integral_constantIbLb1EES11_EEDaSW_SX_EUlSW_E_NS1_11comp_targetILNS1_3genE10ELNS1_11target_archE1200ELNS1_3gpuE4ELNS1_3repE0EEENS1_30default_config_static_selectorELNS0_4arch9wavefront6targetE0EEEvT1_
		.amdhsa_group_segment_fixed_size 0
		.amdhsa_private_segment_fixed_size 0
		.amdhsa_kernarg_size 112
		.amdhsa_user_sgpr_count 6
		.amdhsa_user_sgpr_private_segment_buffer 1
		.amdhsa_user_sgpr_dispatch_ptr 0
		.amdhsa_user_sgpr_queue_ptr 0
		.amdhsa_user_sgpr_kernarg_segment_ptr 1
		.amdhsa_user_sgpr_dispatch_id 0
		.amdhsa_user_sgpr_flat_scratch_init 0
		.amdhsa_user_sgpr_private_segment_size 0
		.amdhsa_wavefront_size32 1
		.amdhsa_uses_dynamic_stack 0
		.amdhsa_system_sgpr_private_segment_wavefront_offset 0
		.amdhsa_system_sgpr_workgroup_id_x 1
		.amdhsa_system_sgpr_workgroup_id_y 0
		.amdhsa_system_sgpr_workgroup_id_z 0
		.amdhsa_system_sgpr_workgroup_info 0
		.amdhsa_system_vgpr_workitem_id 0
		.amdhsa_next_free_vgpr 1
		.amdhsa_next_free_sgpr 1
		.amdhsa_reserve_vcc 0
		.amdhsa_reserve_flat_scratch 0
		.amdhsa_float_round_mode_32 0
		.amdhsa_float_round_mode_16_64 0
		.amdhsa_float_denorm_mode_32 3
		.amdhsa_float_denorm_mode_16_64 3
		.amdhsa_dx10_clamp 1
		.amdhsa_ieee_mode 1
		.amdhsa_fp16_overflow 0
		.amdhsa_workgroup_processor_mode 1
		.amdhsa_memory_ordered 1
		.amdhsa_forward_progress 1
		.amdhsa_shared_vgpr_count 0
		.amdhsa_exception_fp_ieee_invalid_op 0
		.amdhsa_exception_fp_denorm_src 0
		.amdhsa_exception_fp_ieee_div_zero 0
		.amdhsa_exception_fp_ieee_overflow 0
		.amdhsa_exception_fp_ieee_underflow 0
		.amdhsa_exception_fp_ieee_inexact 0
		.amdhsa_exception_int_div_zero 0
	.end_amdhsa_kernel
	.section	.text._ZN7rocprim17ROCPRIM_400000_NS6detail17trampoline_kernelINS0_14default_configENS1_27scan_by_key_config_selectorIijEEZZNS1_16scan_by_key_implILNS1_25lookback_scan_determinismE0ELb1ES3_N6thrust23THRUST_200600_302600_NS6detail15normal_iteratorINS9_10device_ptrIiEEEENSB_INSC_IjEEEESG_jNS9_4plusIvEENS9_8equal_toIvEEjEE10hipError_tPvRmT2_T3_T4_T5_mT6_T7_P12ihipStream_tbENKUlT_T0_E_clISt17integral_constantIbLb1EES11_EEDaSW_SX_EUlSW_E_NS1_11comp_targetILNS1_3genE10ELNS1_11target_archE1200ELNS1_3gpuE4ELNS1_3repE0EEENS1_30default_config_static_selectorELNS0_4arch9wavefront6targetE0EEEvT1_,"axG",@progbits,_ZN7rocprim17ROCPRIM_400000_NS6detail17trampoline_kernelINS0_14default_configENS1_27scan_by_key_config_selectorIijEEZZNS1_16scan_by_key_implILNS1_25lookback_scan_determinismE0ELb1ES3_N6thrust23THRUST_200600_302600_NS6detail15normal_iteratorINS9_10device_ptrIiEEEENSB_INSC_IjEEEESG_jNS9_4plusIvEENS9_8equal_toIvEEjEE10hipError_tPvRmT2_T3_T4_T5_mT6_T7_P12ihipStream_tbENKUlT_T0_E_clISt17integral_constantIbLb1EES11_EEDaSW_SX_EUlSW_E_NS1_11comp_targetILNS1_3genE10ELNS1_11target_archE1200ELNS1_3gpuE4ELNS1_3repE0EEENS1_30default_config_static_selectorELNS0_4arch9wavefront6targetE0EEEvT1_,comdat
.Lfunc_end1514:
	.size	_ZN7rocprim17ROCPRIM_400000_NS6detail17trampoline_kernelINS0_14default_configENS1_27scan_by_key_config_selectorIijEEZZNS1_16scan_by_key_implILNS1_25lookback_scan_determinismE0ELb1ES3_N6thrust23THRUST_200600_302600_NS6detail15normal_iteratorINS9_10device_ptrIiEEEENSB_INSC_IjEEEESG_jNS9_4plusIvEENS9_8equal_toIvEEjEE10hipError_tPvRmT2_T3_T4_T5_mT6_T7_P12ihipStream_tbENKUlT_T0_E_clISt17integral_constantIbLb1EES11_EEDaSW_SX_EUlSW_E_NS1_11comp_targetILNS1_3genE10ELNS1_11target_archE1200ELNS1_3gpuE4ELNS1_3repE0EEENS1_30default_config_static_selectorELNS0_4arch9wavefront6targetE0EEEvT1_, .Lfunc_end1514-_ZN7rocprim17ROCPRIM_400000_NS6detail17trampoline_kernelINS0_14default_configENS1_27scan_by_key_config_selectorIijEEZZNS1_16scan_by_key_implILNS1_25lookback_scan_determinismE0ELb1ES3_N6thrust23THRUST_200600_302600_NS6detail15normal_iteratorINS9_10device_ptrIiEEEENSB_INSC_IjEEEESG_jNS9_4plusIvEENS9_8equal_toIvEEjEE10hipError_tPvRmT2_T3_T4_T5_mT6_T7_P12ihipStream_tbENKUlT_T0_E_clISt17integral_constantIbLb1EES11_EEDaSW_SX_EUlSW_E_NS1_11comp_targetILNS1_3genE10ELNS1_11target_archE1200ELNS1_3gpuE4ELNS1_3repE0EEENS1_30default_config_static_selectorELNS0_4arch9wavefront6targetE0EEEvT1_
                                        ; -- End function
	.set _ZN7rocprim17ROCPRIM_400000_NS6detail17trampoline_kernelINS0_14default_configENS1_27scan_by_key_config_selectorIijEEZZNS1_16scan_by_key_implILNS1_25lookback_scan_determinismE0ELb1ES3_N6thrust23THRUST_200600_302600_NS6detail15normal_iteratorINS9_10device_ptrIiEEEENSB_INSC_IjEEEESG_jNS9_4plusIvEENS9_8equal_toIvEEjEE10hipError_tPvRmT2_T3_T4_T5_mT6_T7_P12ihipStream_tbENKUlT_T0_E_clISt17integral_constantIbLb1EES11_EEDaSW_SX_EUlSW_E_NS1_11comp_targetILNS1_3genE10ELNS1_11target_archE1200ELNS1_3gpuE4ELNS1_3repE0EEENS1_30default_config_static_selectorELNS0_4arch9wavefront6targetE0EEEvT1_.num_vgpr, 0
	.set _ZN7rocprim17ROCPRIM_400000_NS6detail17trampoline_kernelINS0_14default_configENS1_27scan_by_key_config_selectorIijEEZZNS1_16scan_by_key_implILNS1_25lookback_scan_determinismE0ELb1ES3_N6thrust23THRUST_200600_302600_NS6detail15normal_iteratorINS9_10device_ptrIiEEEENSB_INSC_IjEEEESG_jNS9_4plusIvEENS9_8equal_toIvEEjEE10hipError_tPvRmT2_T3_T4_T5_mT6_T7_P12ihipStream_tbENKUlT_T0_E_clISt17integral_constantIbLb1EES11_EEDaSW_SX_EUlSW_E_NS1_11comp_targetILNS1_3genE10ELNS1_11target_archE1200ELNS1_3gpuE4ELNS1_3repE0EEENS1_30default_config_static_selectorELNS0_4arch9wavefront6targetE0EEEvT1_.num_agpr, 0
	.set _ZN7rocprim17ROCPRIM_400000_NS6detail17trampoline_kernelINS0_14default_configENS1_27scan_by_key_config_selectorIijEEZZNS1_16scan_by_key_implILNS1_25lookback_scan_determinismE0ELb1ES3_N6thrust23THRUST_200600_302600_NS6detail15normal_iteratorINS9_10device_ptrIiEEEENSB_INSC_IjEEEESG_jNS9_4plusIvEENS9_8equal_toIvEEjEE10hipError_tPvRmT2_T3_T4_T5_mT6_T7_P12ihipStream_tbENKUlT_T0_E_clISt17integral_constantIbLb1EES11_EEDaSW_SX_EUlSW_E_NS1_11comp_targetILNS1_3genE10ELNS1_11target_archE1200ELNS1_3gpuE4ELNS1_3repE0EEENS1_30default_config_static_selectorELNS0_4arch9wavefront6targetE0EEEvT1_.numbered_sgpr, 0
	.set _ZN7rocprim17ROCPRIM_400000_NS6detail17trampoline_kernelINS0_14default_configENS1_27scan_by_key_config_selectorIijEEZZNS1_16scan_by_key_implILNS1_25lookback_scan_determinismE0ELb1ES3_N6thrust23THRUST_200600_302600_NS6detail15normal_iteratorINS9_10device_ptrIiEEEENSB_INSC_IjEEEESG_jNS9_4plusIvEENS9_8equal_toIvEEjEE10hipError_tPvRmT2_T3_T4_T5_mT6_T7_P12ihipStream_tbENKUlT_T0_E_clISt17integral_constantIbLb1EES11_EEDaSW_SX_EUlSW_E_NS1_11comp_targetILNS1_3genE10ELNS1_11target_archE1200ELNS1_3gpuE4ELNS1_3repE0EEENS1_30default_config_static_selectorELNS0_4arch9wavefront6targetE0EEEvT1_.num_named_barrier, 0
	.set _ZN7rocprim17ROCPRIM_400000_NS6detail17trampoline_kernelINS0_14default_configENS1_27scan_by_key_config_selectorIijEEZZNS1_16scan_by_key_implILNS1_25lookback_scan_determinismE0ELb1ES3_N6thrust23THRUST_200600_302600_NS6detail15normal_iteratorINS9_10device_ptrIiEEEENSB_INSC_IjEEEESG_jNS9_4plusIvEENS9_8equal_toIvEEjEE10hipError_tPvRmT2_T3_T4_T5_mT6_T7_P12ihipStream_tbENKUlT_T0_E_clISt17integral_constantIbLb1EES11_EEDaSW_SX_EUlSW_E_NS1_11comp_targetILNS1_3genE10ELNS1_11target_archE1200ELNS1_3gpuE4ELNS1_3repE0EEENS1_30default_config_static_selectorELNS0_4arch9wavefront6targetE0EEEvT1_.private_seg_size, 0
	.set _ZN7rocprim17ROCPRIM_400000_NS6detail17trampoline_kernelINS0_14default_configENS1_27scan_by_key_config_selectorIijEEZZNS1_16scan_by_key_implILNS1_25lookback_scan_determinismE0ELb1ES3_N6thrust23THRUST_200600_302600_NS6detail15normal_iteratorINS9_10device_ptrIiEEEENSB_INSC_IjEEEESG_jNS9_4plusIvEENS9_8equal_toIvEEjEE10hipError_tPvRmT2_T3_T4_T5_mT6_T7_P12ihipStream_tbENKUlT_T0_E_clISt17integral_constantIbLb1EES11_EEDaSW_SX_EUlSW_E_NS1_11comp_targetILNS1_3genE10ELNS1_11target_archE1200ELNS1_3gpuE4ELNS1_3repE0EEENS1_30default_config_static_selectorELNS0_4arch9wavefront6targetE0EEEvT1_.uses_vcc, 0
	.set _ZN7rocprim17ROCPRIM_400000_NS6detail17trampoline_kernelINS0_14default_configENS1_27scan_by_key_config_selectorIijEEZZNS1_16scan_by_key_implILNS1_25lookback_scan_determinismE0ELb1ES3_N6thrust23THRUST_200600_302600_NS6detail15normal_iteratorINS9_10device_ptrIiEEEENSB_INSC_IjEEEESG_jNS9_4plusIvEENS9_8equal_toIvEEjEE10hipError_tPvRmT2_T3_T4_T5_mT6_T7_P12ihipStream_tbENKUlT_T0_E_clISt17integral_constantIbLb1EES11_EEDaSW_SX_EUlSW_E_NS1_11comp_targetILNS1_3genE10ELNS1_11target_archE1200ELNS1_3gpuE4ELNS1_3repE0EEENS1_30default_config_static_selectorELNS0_4arch9wavefront6targetE0EEEvT1_.uses_flat_scratch, 0
	.set _ZN7rocprim17ROCPRIM_400000_NS6detail17trampoline_kernelINS0_14default_configENS1_27scan_by_key_config_selectorIijEEZZNS1_16scan_by_key_implILNS1_25lookback_scan_determinismE0ELb1ES3_N6thrust23THRUST_200600_302600_NS6detail15normal_iteratorINS9_10device_ptrIiEEEENSB_INSC_IjEEEESG_jNS9_4plusIvEENS9_8equal_toIvEEjEE10hipError_tPvRmT2_T3_T4_T5_mT6_T7_P12ihipStream_tbENKUlT_T0_E_clISt17integral_constantIbLb1EES11_EEDaSW_SX_EUlSW_E_NS1_11comp_targetILNS1_3genE10ELNS1_11target_archE1200ELNS1_3gpuE4ELNS1_3repE0EEENS1_30default_config_static_selectorELNS0_4arch9wavefront6targetE0EEEvT1_.has_dyn_sized_stack, 0
	.set _ZN7rocprim17ROCPRIM_400000_NS6detail17trampoline_kernelINS0_14default_configENS1_27scan_by_key_config_selectorIijEEZZNS1_16scan_by_key_implILNS1_25lookback_scan_determinismE0ELb1ES3_N6thrust23THRUST_200600_302600_NS6detail15normal_iteratorINS9_10device_ptrIiEEEENSB_INSC_IjEEEESG_jNS9_4plusIvEENS9_8equal_toIvEEjEE10hipError_tPvRmT2_T3_T4_T5_mT6_T7_P12ihipStream_tbENKUlT_T0_E_clISt17integral_constantIbLb1EES11_EEDaSW_SX_EUlSW_E_NS1_11comp_targetILNS1_3genE10ELNS1_11target_archE1200ELNS1_3gpuE4ELNS1_3repE0EEENS1_30default_config_static_selectorELNS0_4arch9wavefront6targetE0EEEvT1_.has_recursion, 0
	.set _ZN7rocprim17ROCPRIM_400000_NS6detail17trampoline_kernelINS0_14default_configENS1_27scan_by_key_config_selectorIijEEZZNS1_16scan_by_key_implILNS1_25lookback_scan_determinismE0ELb1ES3_N6thrust23THRUST_200600_302600_NS6detail15normal_iteratorINS9_10device_ptrIiEEEENSB_INSC_IjEEEESG_jNS9_4plusIvEENS9_8equal_toIvEEjEE10hipError_tPvRmT2_T3_T4_T5_mT6_T7_P12ihipStream_tbENKUlT_T0_E_clISt17integral_constantIbLb1EES11_EEDaSW_SX_EUlSW_E_NS1_11comp_targetILNS1_3genE10ELNS1_11target_archE1200ELNS1_3gpuE4ELNS1_3repE0EEENS1_30default_config_static_selectorELNS0_4arch9wavefront6targetE0EEEvT1_.has_indirect_call, 0
	.section	.AMDGPU.csdata,"",@progbits
; Kernel info:
; codeLenInByte = 0
; TotalNumSgprs: 0
; NumVgprs: 0
; ScratchSize: 0
; MemoryBound: 0
; FloatMode: 240
; IeeeMode: 1
; LDSByteSize: 0 bytes/workgroup (compile time only)
; SGPRBlocks: 0
; VGPRBlocks: 0
; NumSGPRsForWavesPerEU: 1
; NumVGPRsForWavesPerEU: 1
; Occupancy: 16
; WaveLimiterHint : 0
; COMPUTE_PGM_RSRC2:SCRATCH_EN: 0
; COMPUTE_PGM_RSRC2:USER_SGPR: 6
; COMPUTE_PGM_RSRC2:TRAP_HANDLER: 0
; COMPUTE_PGM_RSRC2:TGID_X_EN: 1
; COMPUTE_PGM_RSRC2:TGID_Y_EN: 0
; COMPUTE_PGM_RSRC2:TGID_Z_EN: 0
; COMPUTE_PGM_RSRC2:TIDIG_COMP_CNT: 0
	.section	.text._ZN7rocprim17ROCPRIM_400000_NS6detail17trampoline_kernelINS0_14default_configENS1_27scan_by_key_config_selectorIijEEZZNS1_16scan_by_key_implILNS1_25lookback_scan_determinismE0ELb1ES3_N6thrust23THRUST_200600_302600_NS6detail15normal_iteratorINS9_10device_ptrIiEEEENSB_INSC_IjEEEESG_jNS9_4plusIvEENS9_8equal_toIvEEjEE10hipError_tPvRmT2_T3_T4_T5_mT6_T7_P12ihipStream_tbENKUlT_T0_E_clISt17integral_constantIbLb1EES11_EEDaSW_SX_EUlSW_E_NS1_11comp_targetILNS1_3genE9ELNS1_11target_archE1100ELNS1_3gpuE3ELNS1_3repE0EEENS1_30default_config_static_selectorELNS0_4arch9wavefront6targetE0EEEvT1_,"axG",@progbits,_ZN7rocprim17ROCPRIM_400000_NS6detail17trampoline_kernelINS0_14default_configENS1_27scan_by_key_config_selectorIijEEZZNS1_16scan_by_key_implILNS1_25lookback_scan_determinismE0ELb1ES3_N6thrust23THRUST_200600_302600_NS6detail15normal_iteratorINS9_10device_ptrIiEEEENSB_INSC_IjEEEESG_jNS9_4plusIvEENS9_8equal_toIvEEjEE10hipError_tPvRmT2_T3_T4_T5_mT6_T7_P12ihipStream_tbENKUlT_T0_E_clISt17integral_constantIbLb1EES11_EEDaSW_SX_EUlSW_E_NS1_11comp_targetILNS1_3genE9ELNS1_11target_archE1100ELNS1_3gpuE3ELNS1_3repE0EEENS1_30default_config_static_selectorELNS0_4arch9wavefront6targetE0EEEvT1_,comdat
	.protected	_ZN7rocprim17ROCPRIM_400000_NS6detail17trampoline_kernelINS0_14default_configENS1_27scan_by_key_config_selectorIijEEZZNS1_16scan_by_key_implILNS1_25lookback_scan_determinismE0ELb1ES3_N6thrust23THRUST_200600_302600_NS6detail15normal_iteratorINS9_10device_ptrIiEEEENSB_INSC_IjEEEESG_jNS9_4plusIvEENS9_8equal_toIvEEjEE10hipError_tPvRmT2_T3_T4_T5_mT6_T7_P12ihipStream_tbENKUlT_T0_E_clISt17integral_constantIbLb1EES11_EEDaSW_SX_EUlSW_E_NS1_11comp_targetILNS1_3genE9ELNS1_11target_archE1100ELNS1_3gpuE3ELNS1_3repE0EEENS1_30default_config_static_selectorELNS0_4arch9wavefront6targetE0EEEvT1_ ; -- Begin function _ZN7rocprim17ROCPRIM_400000_NS6detail17trampoline_kernelINS0_14default_configENS1_27scan_by_key_config_selectorIijEEZZNS1_16scan_by_key_implILNS1_25lookback_scan_determinismE0ELb1ES3_N6thrust23THRUST_200600_302600_NS6detail15normal_iteratorINS9_10device_ptrIiEEEENSB_INSC_IjEEEESG_jNS9_4plusIvEENS9_8equal_toIvEEjEE10hipError_tPvRmT2_T3_T4_T5_mT6_T7_P12ihipStream_tbENKUlT_T0_E_clISt17integral_constantIbLb1EES11_EEDaSW_SX_EUlSW_E_NS1_11comp_targetILNS1_3genE9ELNS1_11target_archE1100ELNS1_3gpuE3ELNS1_3repE0EEENS1_30default_config_static_selectorELNS0_4arch9wavefront6targetE0EEEvT1_
	.globl	_ZN7rocprim17ROCPRIM_400000_NS6detail17trampoline_kernelINS0_14default_configENS1_27scan_by_key_config_selectorIijEEZZNS1_16scan_by_key_implILNS1_25lookback_scan_determinismE0ELb1ES3_N6thrust23THRUST_200600_302600_NS6detail15normal_iteratorINS9_10device_ptrIiEEEENSB_INSC_IjEEEESG_jNS9_4plusIvEENS9_8equal_toIvEEjEE10hipError_tPvRmT2_T3_T4_T5_mT6_T7_P12ihipStream_tbENKUlT_T0_E_clISt17integral_constantIbLb1EES11_EEDaSW_SX_EUlSW_E_NS1_11comp_targetILNS1_3genE9ELNS1_11target_archE1100ELNS1_3gpuE3ELNS1_3repE0EEENS1_30default_config_static_selectorELNS0_4arch9wavefront6targetE0EEEvT1_
	.p2align	8
	.type	_ZN7rocprim17ROCPRIM_400000_NS6detail17trampoline_kernelINS0_14default_configENS1_27scan_by_key_config_selectorIijEEZZNS1_16scan_by_key_implILNS1_25lookback_scan_determinismE0ELb1ES3_N6thrust23THRUST_200600_302600_NS6detail15normal_iteratorINS9_10device_ptrIiEEEENSB_INSC_IjEEEESG_jNS9_4plusIvEENS9_8equal_toIvEEjEE10hipError_tPvRmT2_T3_T4_T5_mT6_T7_P12ihipStream_tbENKUlT_T0_E_clISt17integral_constantIbLb1EES11_EEDaSW_SX_EUlSW_E_NS1_11comp_targetILNS1_3genE9ELNS1_11target_archE1100ELNS1_3gpuE3ELNS1_3repE0EEENS1_30default_config_static_selectorELNS0_4arch9wavefront6targetE0EEEvT1_,@function
_ZN7rocprim17ROCPRIM_400000_NS6detail17trampoline_kernelINS0_14default_configENS1_27scan_by_key_config_selectorIijEEZZNS1_16scan_by_key_implILNS1_25lookback_scan_determinismE0ELb1ES3_N6thrust23THRUST_200600_302600_NS6detail15normal_iteratorINS9_10device_ptrIiEEEENSB_INSC_IjEEEESG_jNS9_4plusIvEENS9_8equal_toIvEEjEE10hipError_tPvRmT2_T3_T4_T5_mT6_T7_P12ihipStream_tbENKUlT_T0_E_clISt17integral_constantIbLb1EES11_EEDaSW_SX_EUlSW_E_NS1_11comp_targetILNS1_3genE9ELNS1_11target_archE1100ELNS1_3gpuE3ELNS1_3repE0EEENS1_30default_config_static_selectorELNS0_4arch9wavefront6targetE0EEEvT1_: ; @_ZN7rocprim17ROCPRIM_400000_NS6detail17trampoline_kernelINS0_14default_configENS1_27scan_by_key_config_selectorIijEEZZNS1_16scan_by_key_implILNS1_25lookback_scan_determinismE0ELb1ES3_N6thrust23THRUST_200600_302600_NS6detail15normal_iteratorINS9_10device_ptrIiEEEENSB_INSC_IjEEEESG_jNS9_4plusIvEENS9_8equal_toIvEEjEE10hipError_tPvRmT2_T3_T4_T5_mT6_T7_P12ihipStream_tbENKUlT_T0_E_clISt17integral_constantIbLb1EES11_EEDaSW_SX_EUlSW_E_NS1_11comp_targetILNS1_3genE9ELNS1_11target_archE1100ELNS1_3gpuE3ELNS1_3repE0EEENS1_30default_config_static_selectorELNS0_4arch9wavefront6targetE0EEEvT1_
; %bb.0:
	.section	.rodata,"a",@progbits
	.p2align	6, 0x0
	.amdhsa_kernel _ZN7rocprim17ROCPRIM_400000_NS6detail17trampoline_kernelINS0_14default_configENS1_27scan_by_key_config_selectorIijEEZZNS1_16scan_by_key_implILNS1_25lookback_scan_determinismE0ELb1ES3_N6thrust23THRUST_200600_302600_NS6detail15normal_iteratorINS9_10device_ptrIiEEEENSB_INSC_IjEEEESG_jNS9_4plusIvEENS9_8equal_toIvEEjEE10hipError_tPvRmT2_T3_T4_T5_mT6_T7_P12ihipStream_tbENKUlT_T0_E_clISt17integral_constantIbLb1EES11_EEDaSW_SX_EUlSW_E_NS1_11comp_targetILNS1_3genE9ELNS1_11target_archE1100ELNS1_3gpuE3ELNS1_3repE0EEENS1_30default_config_static_selectorELNS0_4arch9wavefront6targetE0EEEvT1_
		.amdhsa_group_segment_fixed_size 0
		.amdhsa_private_segment_fixed_size 0
		.amdhsa_kernarg_size 112
		.amdhsa_user_sgpr_count 6
		.amdhsa_user_sgpr_private_segment_buffer 1
		.amdhsa_user_sgpr_dispatch_ptr 0
		.amdhsa_user_sgpr_queue_ptr 0
		.amdhsa_user_sgpr_kernarg_segment_ptr 1
		.amdhsa_user_sgpr_dispatch_id 0
		.amdhsa_user_sgpr_flat_scratch_init 0
		.amdhsa_user_sgpr_private_segment_size 0
		.amdhsa_wavefront_size32 1
		.amdhsa_uses_dynamic_stack 0
		.amdhsa_system_sgpr_private_segment_wavefront_offset 0
		.amdhsa_system_sgpr_workgroup_id_x 1
		.amdhsa_system_sgpr_workgroup_id_y 0
		.amdhsa_system_sgpr_workgroup_id_z 0
		.amdhsa_system_sgpr_workgroup_info 0
		.amdhsa_system_vgpr_workitem_id 0
		.amdhsa_next_free_vgpr 1
		.amdhsa_next_free_sgpr 1
		.amdhsa_reserve_vcc 0
		.amdhsa_reserve_flat_scratch 0
		.amdhsa_float_round_mode_32 0
		.amdhsa_float_round_mode_16_64 0
		.amdhsa_float_denorm_mode_32 3
		.amdhsa_float_denorm_mode_16_64 3
		.amdhsa_dx10_clamp 1
		.amdhsa_ieee_mode 1
		.amdhsa_fp16_overflow 0
		.amdhsa_workgroup_processor_mode 1
		.amdhsa_memory_ordered 1
		.amdhsa_forward_progress 1
		.amdhsa_shared_vgpr_count 0
		.amdhsa_exception_fp_ieee_invalid_op 0
		.amdhsa_exception_fp_denorm_src 0
		.amdhsa_exception_fp_ieee_div_zero 0
		.amdhsa_exception_fp_ieee_overflow 0
		.amdhsa_exception_fp_ieee_underflow 0
		.amdhsa_exception_fp_ieee_inexact 0
		.amdhsa_exception_int_div_zero 0
	.end_amdhsa_kernel
	.section	.text._ZN7rocprim17ROCPRIM_400000_NS6detail17trampoline_kernelINS0_14default_configENS1_27scan_by_key_config_selectorIijEEZZNS1_16scan_by_key_implILNS1_25lookback_scan_determinismE0ELb1ES3_N6thrust23THRUST_200600_302600_NS6detail15normal_iteratorINS9_10device_ptrIiEEEENSB_INSC_IjEEEESG_jNS9_4plusIvEENS9_8equal_toIvEEjEE10hipError_tPvRmT2_T3_T4_T5_mT6_T7_P12ihipStream_tbENKUlT_T0_E_clISt17integral_constantIbLb1EES11_EEDaSW_SX_EUlSW_E_NS1_11comp_targetILNS1_3genE9ELNS1_11target_archE1100ELNS1_3gpuE3ELNS1_3repE0EEENS1_30default_config_static_selectorELNS0_4arch9wavefront6targetE0EEEvT1_,"axG",@progbits,_ZN7rocprim17ROCPRIM_400000_NS6detail17trampoline_kernelINS0_14default_configENS1_27scan_by_key_config_selectorIijEEZZNS1_16scan_by_key_implILNS1_25lookback_scan_determinismE0ELb1ES3_N6thrust23THRUST_200600_302600_NS6detail15normal_iteratorINS9_10device_ptrIiEEEENSB_INSC_IjEEEESG_jNS9_4plusIvEENS9_8equal_toIvEEjEE10hipError_tPvRmT2_T3_T4_T5_mT6_T7_P12ihipStream_tbENKUlT_T0_E_clISt17integral_constantIbLb1EES11_EEDaSW_SX_EUlSW_E_NS1_11comp_targetILNS1_3genE9ELNS1_11target_archE1100ELNS1_3gpuE3ELNS1_3repE0EEENS1_30default_config_static_selectorELNS0_4arch9wavefront6targetE0EEEvT1_,comdat
.Lfunc_end1515:
	.size	_ZN7rocprim17ROCPRIM_400000_NS6detail17trampoline_kernelINS0_14default_configENS1_27scan_by_key_config_selectorIijEEZZNS1_16scan_by_key_implILNS1_25lookback_scan_determinismE0ELb1ES3_N6thrust23THRUST_200600_302600_NS6detail15normal_iteratorINS9_10device_ptrIiEEEENSB_INSC_IjEEEESG_jNS9_4plusIvEENS9_8equal_toIvEEjEE10hipError_tPvRmT2_T3_T4_T5_mT6_T7_P12ihipStream_tbENKUlT_T0_E_clISt17integral_constantIbLb1EES11_EEDaSW_SX_EUlSW_E_NS1_11comp_targetILNS1_3genE9ELNS1_11target_archE1100ELNS1_3gpuE3ELNS1_3repE0EEENS1_30default_config_static_selectorELNS0_4arch9wavefront6targetE0EEEvT1_, .Lfunc_end1515-_ZN7rocprim17ROCPRIM_400000_NS6detail17trampoline_kernelINS0_14default_configENS1_27scan_by_key_config_selectorIijEEZZNS1_16scan_by_key_implILNS1_25lookback_scan_determinismE0ELb1ES3_N6thrust23THRUST_200600_302600_NS6detail15normal_iteratorINS9_10device_ptrIiEEEENSB_INSC_IjEEEESG_jNS9_4plusIvEENS9_8equal_toIvEEjEE10hipError_tPvRmT2_T3_T4_T5_mT6_T7_P12ihipStream_tbENKUlT_T0_E_clISt17integral_constantIbLb1EES11_EEDaSW_SX_EUlSW_E_NS1_11comp_targetILNS1_3genE9ELNS1_11target_archE1100ELNS1_3gpuE3ELNS1_3repE0EEENS1_30default_config_static_selectorELNS0_4arch9wavefront6targetE0EEEvT1_
                                        ; -- End function
	.set _ZN7rocprim17ROCPRIM_400000_NS6detail17trampoline_kernelINS0_14default_configENS1_27scan_by_key_config_selectorIijEEZZNS1_16scan_by_key_implILNS1_25lookback_scan_determinismE0ELb1ES3_N6thrust23THRUST_200600_302600_NS6detail15normal_iteratorINS9_10device_ptrIiEEEENSB_INSC_IjEEEESG_jNS9_4plusIvEENS9_8equal_toIvEEjEE10hipError_tPvRmT2_T3_T4_T5_mT6_T7_P12ihipStream_tbENKUlT_T0_E_clISt17integral_constantIbLb1EES11_EEDaSW_SX_EUlSW_E_NS1_11comp_targetILNS1_3genE9ELNS1_11target_archE1100ELNS1_3gpuE3ELNS1_3repE0EEENS1_30default_config_static_selectorELNS0_4arch9wavefront6targetE0EEEvT1_.num_vgpr, 0
	.set _ZN7rocprim17ROCPRIM_400000_NS6detail17trampoline_kernelINS0_14default_configENS1_27scan_by_key_config_selectorIijEEZZNS1_16scan_by_key_implILNS1_25lookback_scan_determinismE0ELb1ES3_N6thrust23THRUST_200600_302600_NS6detail15normal_iteratorINS9_10device_ptrIiEEEENSB_INSC_IjEEEESG_jNS9_4plusIvEENS9_8equal_toIvEEjEE10hipError_tPvRmT2_T3_T4_T5_mT6_T7_P12ihipStream_tbENKUlT_T0_E_clISt17integral_constantIbLb1EES11_EEDaSW_SX_EUlSW_E_NS1_11comp_targetILNS1_3genE9ELNS1_11target_archE1100ELNS1_3gpuE3ELNS1_3repE0EEENS1_30default_config_static_selectorELNS0_4arch9wavefront6targetE0EEEvT1_.num_agpr, 0
	.set _ZN7rocprim17ROCPRIM_400000_NS6detail17trampoline_kernelINS0_14default_configENS1_27scan_by_key_config_selectorIijEEZZNS1_16scan_by_key_implILNS1_25lookback_scan_determinismE0ELb1ES3_N6thrust23THRUST_200600_302600_NS6detail15normal_iteratorINS9_10device_ptrIiEEEENSB_INSC_IjEEEESG_jNS9_4plusIvEENS9_8equal_toIvEEjEE10hipError_tPvRmT2_T3_T4_T5_mT6_T7_P12ihipStream_tbENKUlT_T0_E_clISt17integral_constantIbLb1EES11_EEDaSW_SX_EUlSW_E_NS1_11comp_targetILNS1_3genE9ELNS1_11target_archE1100ELNS1_3gpuE3ELNS1_3repE0EEENS1_30default_config_static_selectorELNS0_4arch9wavefront6targetE0EEEvT1_.numbered_sgpr, 0
	.set _ZN7rocprim17ROCPRIM_400000_NS6detail17trampoline_kernelINS0_14default_configENS1_27scan_by_key_config_selectorIijEEZZNS1_16scan_by_key_implILNS1_25lookback_scan_determinismE0ELb1ES3_N6thrust23THRUST_200600_302600_NS6detail15normal_iteratorINS9_10device_ptrIiEEEENSB_INSC_IjEEEESG_jNS9_4plusIvEENS9_8equal_toIvEEjEE10hipError_tPvRmT2_T3_T4_T5_mT6_T7_P12ihipStream_tbENKUlT_T0_E_clISt17integral_constantIbLb1EES11_EEDaSW_SX_EUlSW_E_NS1_11comp_targetILNS1_3genE9ELNS1_11target_archE1100ELNS1_3gpuE3ELNS1_3repE0EEENS1_30default_config_static_selectorELNS0_4arch9wavefront6targetE0EEEvT1_.num_named_barrier, 0
	.set _ZN7rocprim17ROCPRIM_400000_NS6detail17trampoline_kernelINS0_14default_configENS1_27scan_by_key_config_selectorIijEEZZNS1_16scan_by_key_implILNS1_25lookback_scan_determinismE0ELb1ES3_N6thrust23THRUST_200600_302600_NS6detail15normal_iteratorINS9_10device_ptrIiEEEENSB_INSC_IjEEEESG_jNS9_4plusIvEENS9_8equal_toIvEEjEE10hipError_tPvRmT2_T3_T4_T5_mT6_T7_P12ihipStream_tbENKUlT_T0_E_clISt17integral_constantIbLb1EES11_EEDaSW_SX_EUlSW_E_NS1_11comp_targetILNS1_3genE9ELNS1_11target_archE1100ELNS1_3gpuE3ELNS1_3repE0EEENS1_30default_config_static_selectorELNS0_4arch9wavefront6targetE0EEEvT1_.private_seg_size, 0
	.set _ZN7rocprim17ROCPRIM_400000_NS6detail17trampoline_kernelINS0_14default_configENS1_27scan_by_key_config_selectorIijEEZZNS1_16scan_by_key_implILNS1_25lookback_scan_determinismE0ELb1ES3_N6thrust23THRUST_200600_302600_NS6detail15normal_iteratorINS9_10device_ptrIiEEEENSB_INSC_IjEEEESG_jNS9_4plusIvEENS9_8equal_toIvEEjEE10hipError_tPvRmT2_T3_T4_T5_mT6_T7_P12ihipStream_tbENKUlT_T0_E_clISt17integral_constantIbLb1EES11_EEDaSW_SX_EUlSW_E_NS1_11comp_targetILNS1_3genE9ELNS1_11target_archE1100ELNS1_3gpuE3ELNS1_3repE0EEENS1_30default_config_static_selectorELNS0_4arch9wavefront6targetE0EEEvT1_.uses_vcc, 0
	.set _ZN7rocprim17ROCPRIM_400000_NS6detail17trampoline_kernelINS0_14default_configENS1_27scan_by_key_config_selectorIijEEZZNS1_16scan_by_key_implILNS1_25lookback_scan_determinismE0ELb1ES3_N6thrust23THRUST_200600_302600_NS6detail15normal_iteratorINS9_10device_ptrIiEEEENSB_INSC_IjEEEESG_jNS9_4plusIvEENS9_8equal_toIvEEjEE10hipError_tPvRmT2_T3_T4_T5_mT6_T7_P12ihipStream_tbENKUlT_T0_E_clISt17integral_constantIbLb1EES11_EEDaSW_SX_EUlSW_E_NS1_11comp_targetILNS1_3genE9ELNS1_11target_archE1100ELNS1_3gpuE3ELNS1_3repE0EEENS1_30default_config_static_selectorELNS0_4arch9wavefront6targetE0EEEvT1_.uses_flat_scratch, 0
	.set _ZN7rocprim17ROCPRIM_400000_NS6detail17trampoline_kernelINS0_14default_configENS1_27scan_by_key_config_selectorIijEEZZNS1_16scan_by_key_implILNS1_25lookback_scan_determinismE0ELb1ES3_N6thrust23THRUST_200600_302600_NS6detail15normal_iteratorINS9_10device_ptrIiEEEENSB_INSC_IjEEEESG_jNS9_4plusIvEENS9_8equal_toIvEEjEE10hipError_tPvRmT2_T3_T4_T5_mT6_T7_P12ihipStream_tbENKUlT_T0_E_clISt17integral_constantIbLb1EES11_EEDaSW_SX_EUlSW_E_NS1_11comp_targetILNS1_3genE9ELNS1_11target_archE1100ELNS1_3gpuE3ELNS1_3repE0EEENS1_30default_config_static_selectorELNS0_4arch9wavefront6targetE0EEEvT1_.has_dyn_sized_stack, 0
	.set _ZN7rocprim17ROCPRIM_400000_NS6detail17trampoline_kernelINS0_14default_configENS1_27scan_by_key_config_selectorIijEEZZNS1_16scan_by_key_implILNS1_25lookback_scan_determinismE0ELb1ES3_N6thrust23THRUST_200600_302600_NS6detail15normal_iteratorINS9_10device_ptrIiEEEENSB_INSC_IjEEEESG_jNS9_4plusIvEENS9_8equal_toIvEEjEE10hipError_tPvRmT2_T3_T4_T5_mT6_T7_P12ihipStream_tbENKUlT_T0_E_clISt17integral_constantIbLb1EES11_EEDaSW_SX_EUlSW_E_NS1_11comp_targetILNS1_3genE9ELNS1_11target_archE1100ELNS1_3gpuE3ELNS1_3repE0EEENS1_30default_config_static_selectorELNS0_4arch9wavefront6targetE0EEEvT1_.has_recursion, 0
	.set _ZN7rocprim17ROCPRIM_400000_NS6detail17trampoline_kernelINS0_14default_configENS1_27scan_by_key_config_selectorIijEEZZNS1_16scan_by_key_implILNS1_25lookback_scan_determinismE0ELb1ES3_N6thrust23THRUST_200600_302600_NS6detail15normal_iteratorINS9_10device_ptrIiEEEENSB_INSC_IjEEEESG_jNS9_4plusIvEENS9_8equal_toIvEEjEE10hipError_tPvRmT2_T3_T4_T5_mT6_T7_P12ihipStream_tbENKUlT_T0_E_clISt17integral_constantIbLb1EES11_EEDaSW_SX_EUlSW_E_NS1_11comp_targetILNS1_3genE9ELNS1_11target_archE1100ELNS1_3gpuE3ELNS1_3repE0EEENS1_30default_config_static_selectorELNS0_4arch9wavefront6targetE0EEEvT1_.has_indirect_call, 0
	.section	.AMDGPU.csdata,"",@progbits
; Kernel info:
; codeLenInByte = 0
; TotalNumSgprs: 0
; NumVgprs: 0
; ScratchSize: 0
; MemoryBound: 0
; FloatMode: 240
; IeeeMode: 1
; LDSByteSize: 0 bytes/workgroup (compile time only)
; SGPRBlocks: 0
; VGPRBlocks: 0
; NumSGPRsForWavesPerEU: 1
; NumVGPRsForWavesPerEU: 1
; Occupancy: 16
; WaveLimiterHint : 0
; COMPUTE_PGM_RSRC2:SCRATCH_EN: 0
; COMPUTE_PGM_RSRC2:USER_SGPR: 6
; COMPUTE_PGM_RSRC2:TRAP_HANDLER: 0
; COMPUTE_PGM_RSRC2:TGID_X_EN: 1
; COMPUTE_PGM_RSRC2:TGID_Y_EN: 0
; COMPUTE_PGM_RSRC2:TGID_Z_EN: 0
; COMPUTE_PGM_RSRC2:TIDIG_COMP_CNT: 0
	.section	.text._ZN7rocprim17ROCPRIM_400000_NS6detail17trampoline_kernelINS0_14default_configENS1_27scan_by_key_config_selectorIijEEZZNS1_16scan_by_key_implILNS1_25lookback_scan_determinismE0ELb1ES3_N6thrust23THRUST_200600_302600_NS6detail15normal_iteratorINS9_10device_ptrIiEEEENSB_INSC_IjEEEESG_jNS9_4plusIvEENS9_8equal_toIvEEjEE10hipError_tPvRmT2_T3_T4_T5_mT6_T7_P12ihipStream_tbENKUlT_T0_E_clISt17integral_constantIbLb1EES11_EEDaSW_SX_EUlSW_E_NS1_11comp_targetILNS1_3genE8ELNS1_11target_archE1030ELNS1_3gpuE2ELNS1_3repE0EEENS1_30default_config_static_selectorELNS0_4arch9wavefront6targetE0EEEvT1_,"axG",@progbits,_ZN7rocprim17ROCPRIM_400000_NS6detail17trampoline_kernelINS0_14default_configENS1_27scan_by_key_config_selectorIijEEZZNS1_16scan_by_key_implILNS1_25lookback_scan_determinismE0ELb1ES3_N6thrust23THRUST_200600_302600_NS6detail15normal_iteratorINS9_10device_ptrIiEEEENSB_INSC_IjEEEESG_jNS9_4plusIvEENS9_8equal_toIvEEjEE10hipError_tPvRmT2_T3_T4_T5_mT6_T7_P12ihipStream_tbENKUlT_T0_E_clISt17integral_constantIbLb1EES11_EEDaSW_SX_EUlSW_E_NS1_11comp_targetILNS1_3genE8ELNS1_11target_archE1030ELNS1_3gpuE2ELNS1_3repE0EEENS1_30default_config_static_selectorELNS0_4arch9wavefront6targetE0EEEvT1_,comdat
	.protected	_ZN7rocprim17ROCPRIM_400000_NS6detail17trampoline_kernelINS0_14default_configENS1_27scan_by_key_config_selectorIijEEZZNS1_16scan_by_key_implILNS1_25lookback_scan_determinismE0ELb1ES3_N6thrust23THRUST_200600_302600_NS6detail15normal_iteratorINS9_10device_ptrIiEEEENSB_INSC_IjEEEESG_jNS9_4plusIvEENS9_8equal_toIvEEjEE10hipError_tPvRmT2_T3_T4_T5_mT6_T7_P12ihipStream_tbENKUlT_T0_E_clISt17integral_constantIbLb1EES11_EEDaSW_SX_EUlSW_E_NS1_11comp_targetILNS1_3genE8ELNS1_11target_archE1030ELNS1_3gpuE2ELNS1_3repE0EEENS1_30default_config_static_selectorELNS0_4arch9wavefront6targetE0EEEvT1_ ; -- Begin function _ZN7rocprim17ROCPRIM_400000_NS6detail17trampoline_kernelINS0_14default_configENS1_27scan_by_key_config_selectorIijEEZZNS1_16scan_by_key_implILNS1_25lookback_scan_determinismE0ELb1ES3_N6thrust23THRUST_200600_302600_NS6detail15normal_iteratorINS9_10device_ptrIiEEEENSB_INSC_IjEEEESG_jNS9_4plusIvEENS9_8equal_toIvEEjEE10hipError_tPvRmT2_T3_T4_T5_mT6_T7_P12ihipStream_tbENKUlT_T0_E_clISt17integral_constantIbLb1EES11_EEDaSW_SX_EUlSW_E_NS1_11comp_targetILNS1_3genE8ELNS1_11target_archE1030ELNS1_3gpuE2ELNS1_3repE0EEENS1_30default_config_static_selectorELNS0_4arch9wavefront6targetE0EEEvT1_
	.globl	_ZN7rocprim17ROCPRIM_400000_NS6detail17trampoline_kernelINS0_14default_configENS1_27scan_by_key_config_selectorIijEEZZNS1_16scan_by_key_implILNS1_25lookback_scan_determinismE0ELb1ES3_N6thrust23THRUST_200600_302600_NS6detail15normal_iteratorINS9_10device_ptrIiEEEENSB_INSC_IjEEEESG_jNS9_4plusIvEENS9_8equal_toIvEEjEE10hipError_tPvRmT2_T3_T4_T5_mT6_T7_P12ihipStream_tbENKUlT_T0_E_clISt17integral_constantIbLb1EES11_EEDaSW_SX_EUlSW_E_NS1_11comp_targetILNS1_3genE8ELNS1_11target_archE1030ELNS1_3gpuE2ELNS1_3repE0EEENS1_30default_config_static_selectorELNS0_4arch9wavefront6targetE0EEEvT1_
	.p2align	8
	.type	_ZN7rocprim17ROCPRIM_400000_NS6detail17trampoline_kernelINS0_14default_configENS1_27scan_by_key_config_selectorIijEEZZNS1_16scan_by_key_implILNS1_25lookback_scan_determinismE0ELb1ES3_N6thrust23THRUST_200600_302600_NS6detail15normal_iteratorINS9_10device_ptrIiEEEENSB_INSC_IjEEEESG_jNS9_4plusIvEENS9_8equal_toIvEEjEE10hipError_tPvRmT2_T3_T4_T5_mT6_T7_P12ihipStream_tbENKUlT_T0_E_clISt17integral_constantIbLb1EES11_EEDaSW_SX_EUlSW_E_NS1_11comp_targetILNS1_3genE8ELNS1_11target_archE1030ELNS1_3gpuE2ELNS1_3repE0EEENS1_30default_config_static_selectorELNS0_4arch9wavefront6targetE0EEEvT1_,@function
_ZN7rocprim17ROCPRIM_400000_NS6detail17trampoline_kernelINS0_14default_configENS1_27scan_by_key_config_selectorIijEEZZNS1_16scan_by_key_implILNS1_25lookback_scan_determinismE0ELb1ES3_N6thrust23THRUST_200600_302600_NS6detail15normal_iteratorINS9_10device_ptrIiEEEENSB_INSC_IjEEEESG_jNS9_4plusIvEENS9_8equal_toIvEEjEE10hipError_tPvRmT2_T3_T4_T5_mT6_T7_P12ihipStream_tbENKUlT_T0_E_clISt17integral_constantIbLb1EES11_EEDaSW_SX_EUlSW_E_NS1_11comp_targetILNS1_3genE8ELNS1_11target_archE1030ELNS1_3gpuE2ELNS1_3repE0EEENS1_30default_config_static_selectorELNS0_4arch9wavefront6targetE0EEEvT1_: ; @_ZN7rocprim17ROCPRIM_400000_NS6detail17trampoline_kernelINS0_14default_configENS1_27scan_by_key_config_selectorIijEEZZNS1_16scan_by_key_implILNS1_25lookback_scan_determinismE0ELb1ES3_N6thrust23THRUST_200600_302600_NS6detail15normal_iteratorINS9_10device_ptrIiEEEENSB_INSC_IjEEEESG_jNS9_4plusIvEENS9_8equal_toIvEEjEE10hipError_tPvRmT2_T3_T4_T5_mT6_T7_P12ihipStream_tbENKUlT_T0_E_clISt17integral_constantIbLb1EES11_EEDaSW_SX_EUlSW_E_NS1_11comp_targetILNS1_3genE8ELNS1_11target_archE1030ELNS1_3gpuE2ELNS1_3repE0EEENS1_30default_config_static_selectorELNS0_4arch9wavefront6targetE0EEEvT1_
; %bb.0:
	s_endpgm
	.section	.rodata,"a",@progbits
	.p2align	6, 0x0
	.amdhsa_kernel _ZN7rocprim17ROCPRIM_400000_NS6detail17trampoline_kernelINS0_14default_configENS1_27scan_by_key_config_selectorIijEEZZNS1_16scan_by_key_implILNS1_25lookback_scan_determinismE0ELb1ES3_N6thrust23THRUST_200600_302600_NS6detail15normal_iteratorINS9_10device_ptrIiEEEENSB_INSC_IjEEEESG_jNS9_4plusIvEENS9_8equal_toIvEEjEE10hipError_tPvRmT2_T3_T4_T5_mT6_T7_P12ihipStream_tbENKUlT_T0_E_clISt17integral_constantIbLb1EES11_EEDaSW_SX_EUlSW_E_NS1_11comp_targetILNS1_3genE8ELNS1_11target_archE1030ELNS1_3gpuE2ELNS1_3repE0EEENS1_30default_config_static_selectorELNS0_4arch9wavefront6targetE0EEEvT1_
		.amdhsa_group_segment_fixed_size 0
		.amdhsa_private_segment_fixed_size 0
		.amdhsa_kernarg_size 112
		.amdhsa_user_sgpr_count 6
		.amdhsa_user_sgpr_private_segment_buffer 1
		.amdhsa_user_sgpr_dispatch_ptr 0
		.amdhsa_user_sgpr_queue_ptr 0
		.amdhsa_user_sgpr_kernarg_segment_ptr 1
		.amdhsa_user_sgpr_dispatch_id 0
		.amdhsa_user_sgpr_flat_scratch_init 0
		.amdhsa_user_sgpr_private_segment_size 0
		.amdhsa_wavefront_size32 1
		.amdhsa_uses_dynamic_stack 0
		.amdhsa_system_sgpr_private_segment_wavefront_offset 0
		.amdhsa_system_sgpr_workgroup_id_x 1
		.amdhsa_system_sgpr_workgroup_id_y 0
		.amdhsa_system_sgpr_workgroup_id_z 0
		.amdhsa_system_sgpr_workgroup_info 0
		.amdhsa_system_vgpr_workitem_id 0
		.amdhsa_next_free_vgpr 1
		.amdhsa_next_free_sgpr 1
		.amdhsa_reserve_vcc 0
		.amdhsa_reserve_flat_scratch 0
		.amdhsa_float_round_mode_32 0
		.amdhsa_float_round_mode_16_64 0
		.amdhsa_float_denorm_mode_32 3
		.amdhsa_float_denorm_mode_16_64 3
		.amdhsa_dx10_clamp 1
		.amdhsa_ieee_mode 1
		.amdhsa_fp16_overflow 0
		.amdhsa_workgroup_processor_mode 1
		.amdhsa_memory_ordered 1
		.amdhsa_forward_progress 1
		.amdhsa_shared_vgpr_count 0
		.amdhsa_exception_fp_ieee_invalid_op 0
		.amdhsa_exception_fp_denorm_src 0
		.amdhsa_exception_fp_ieee_div_zero 0
		.amdhsa_exception_fp_ieee_overflow 0
		.amdhsa_exception_fp_ieee_underflow 0
		.amdhsa_exception_fp_ieee_inexact 0
		.amdhsa_exception_int_div_zero 0
	.end_amdhsa_kernel
	.section	.text._ZN7rocprim17ROCPRIM_400000_NS6detail17trampoline_kernelINS0_14default_configENS1_27scan_by_key_config_selectorIijEEZZNS1_16scan_by_key_implILNS1_25lookback_scan_determinismE0ELb1ES3_N6thrust23THRUST_200600_302600_NS6detail15normal_iteratorINS9_10device_ptrIiEEEENSB_INSC_IjEEEESG_jNS9_4plusIvEENS9_8equal_toIvEEjEE10hipError_tPvRmT2_T3_T4_T5_mT6_T7_P12ihipStream_tbENKUlT_T0_E_clISt17integral_constantIbLb1EES11_EEDaSW_SX_EUlSW_E_NS1_11comp_targetILNS1_3genE8ELNS1_11target_archE1030ELNS1_3gpuE2ELNS1_3repE0EEENS1_30default_config_static_selectorELNS0_4arch9wavefront6targetE0EEEvT1_,"axG",@progbits,_ZN7rocprim17ROCPRIM_400000_NS6detail17trampoline_kernelINS0_14default_configENS1_27scan_by_key_config_selectorIijEEZZNS1_16scan_by_key_implILNS1_25lookback_scan_determinismE0ELb1ES3_N6thrust23THRUST_200600_302600_NS6detail15normal_iteratorINS9_10device_ptrIiEEEENSB_INSC_IjEEEESG_jNS9_4plusIvEENS9_8equal_toIvEEjEE10hipError_tPvRmT2_T3_T4_T5_mT6_T7_P12ihipStream_tbENKUlT_T0_E_clISt17integral_constantIbLb1EES11_EEDaSW_SX_EUlSW_E_NS1_11comp_targetILNS1_3genE8ELNS1_11target_archE1030ELNS1_3gpuE2ELNS1_3repE0EEENS1_30default_config_static_selectorELNS0_4arch9wavefront6targetE0EEEvT1_,comdat
.Lfunc_end1516:
	.size	_ZN7rocprim17ROCPRIM_400000_NS6detail17trampoline_kernelINS0_14default_configENS1_27scan_by_key_config_selectorIijEEZZNS1_16scan_by_key_implILNS1_25lookback_scan_determinismE0ELb1ES3_N6thrust23THRUST_200600_302600_NS6detail15normal_iteratorINS9_10device_ptrIiEEEENSB_INSC_IjEEEESG_jNS9_4plusIvEENS9_8equal_toIvEEjEE10hipError_tPvRmT2_T3_T4_T5_mT6_T7_P12ihipStream_tbENKUlT_T0_E_clISt17integral_constantIbLb1EES11_EEDaSW_SX_EUlSW_E_NS1_11comp_targetILNS1_3genE8ELNS1_11target_archE1030ELNS1_3gpuE2ELNS1_3repE0EEENS1_30default_config_static_selectorELNS0_4arch9wavefront6targetE0EEEvT1_, .Lfunc_end1516-_ZN7rocprim17ROCPRIM_400000_NS6detail17trampoline_kernelINS0_14default_configENS1_27scan_by_key_config_selectorIijEEZZNS1_16scan_by_key_implILNS1_25lookback_scan_determinismE0ELb1ES3_N6thrust23THRUST_200600_302600_NS6detail15normal_iteratorINS9_10device_ptrIiEEEENSB_INSC_IjEEEESG_jNS9_4plusIvEENS9_8equal_toIvEEjEE10hipError_tPvRmT2_T3_T4_T5_mT6_T7_P12ihipStream_tbENKUlT_T0_E_clISt17integral_constantIbLb1EES11_EEDaSW_SX_EUlSW_E_NS1_11comp_targetILNS1_3genE8ELNS1_11target_archE1030ELNS1_3gpuE2ELNS1_3repE0EEENS1_30default_config_static_selectorELNS0_4arch9wavefront6targetE0EEEvT1_
                                        ; -- End function
	.set _ZN7rocprim17ROCPRIM_400000_NS6detail17trampoline_kernelINS0_14default_configENS1_27scan_by_key_config_selectorIijEEZZNS1_16scan_by_key_implILNS1_25lookback_scan_determinismE0ELb1ES3_N6thrust23THRUST_200600_302600_NS6detail15normal_iteratorINS9_10device_ptrIiEEEENSB_INSC_IjEEEESG_jNS9_4plusIvEENS9_8equal_toIvEEjEE10hipError_tPvRmT2_T3_T4_T5_mT6_T7_P12ihipStream_tbENKUlT_T0_E_clISt17integral_constantIbLb1EES11_EEDaSW_SX_EUlSW_E_NS1_11comp_targetILNS1_3genE8ELNS1_11target_archE1030ELNS1_3gpuE2ELNS1_3repE0EEENS1_30default_config_static_selectorELNS0_4arch9wavefront6targetE0EEEvT1_.num_vgpr, 0
	.set _ZN7rocprim17ROCPRIM_400000_NS6detail17trampoline_kernelINS0_14default_configENS1_27scan_by_key_config_selectorIijEEZZNS1_16scan_by_key_implILNS1_25lookback_scan_determinismE0ELb1ES3_N6thrust23THRUST_200600_302600_NS6detail15normal_iteratorINS9_10device_ptrIiEEEENSB_INSC_IjEEEESG_jNS9_4plusIvEENS9_8equal_toIvEEjEE10hipError_tPvRmT2_T3_T4_T5_mT6_T7_P12ihipStream_tbENKUlT_T0_E_clISt17integral_constantIbLb1EES11_EEDaSW_SX_EUlSW_E_NS1_11comp_targetILNS1_3genE8ELNS1_11target_archE1030ELNS1_3gpuE2ELNS1_3repE0EEENS1_30default_config_static_selectorELNS0_4arch9wavefront6targetE0EEEvT1_.num_agpr, 0
	.set _ZN7rocprim17ROCPRIM_400000_NS6detail17trampoline_kernelINS0_14default_configENS1_27scan_by_key_config_selectorIijEEZZNS1_16scan_by_key_implILNS1_25lookback_scan_determinismE0ELb1ES3_N6thrust23THRUST_200600_302600_NS6detail15normal_iteratorINS9_10device_ptrIiEEEENSB_INSC_IjEEEESG_jNS9_4plusIvEENS9_8equal_toIvEEjEE10hipError_tPvRmT2_T3_T4_T5_mT6_T7_P12ihipStream_tbENKUlT_T0_E_clISt17integral_constantIbLb1EES11_EEDaSW_SX_EUlSW_E_NS1_11comp_targetILNS1_3genE8ELNS1_11target_archE1030ELNS1_3gpuE2ELNS1_3repE0EEENS1_30default_config_static_selectorELNS0_4arch9wavefront6targetE0EEEvT1_.numbered_sgpr, 0
	.set _ZN7rocprim17ROCPRIM_400000_NS6detail17trampoline_kernelINS0_14default_configENS1_27scan_by_key_config_selectorIijEEZZNS1_16scan_by_key_implILNS1_25lookback_scan_determinismE0ELb1ES3_N6thrust23THRUST_200600_302600_NS6detail15normal_iteratorINS9_10device_ptrIiEEEENSB_INSC_IjEEEESG_jNS9_4plusIvEENS9_8equal_toIvEEjEE10hipError_tPvRmT2_T3_T4_T5_mT6_T7_P12ihipStream_tbENKUlT_T0_E_clISt17integral_constantIbLb1EES11_EEDaSW_SX_EUlSW_E_NS1_11comp_targetILNS1_3genE8ELNS1_11target_archE1030ELNS1_3gpuE2ELNS1_3repE0EEENS1_30default_config_static_selectorELNS0_4arch9wavefront6targetE0EEEvT1_.num_named_barrier, 0
	.set _ZN7rocprim17ROCPRIM_400000_NS6detail17trampoline_kernelINS0_14default_configENS1_27scan_by_key_config_selectorIijEEZZNS1_16scan_by_key_implILNS1_25lookback_scan_determinismE0ELb1ES3_N6thrust23THRUST_200600_302600_NS6detail15normal_iteratorINS9_10device_ptrIiEEEENSB_INSC_IjEEEESG_jNS9_4plusIvEENS9_8equal_toIvEEjEE10hipError_tPvRmT2_T3_T4_T5_mT6_T7_P12ihipStream_tbENKUlT_T0_E_clISt17integral_constantIbLb1EES11_EEDaSW_SX_EUlSW_E_NS1_11comp_targetILNS1_3genE8ELNS1_11target_archE1030ELNS1_3gpuE2ELNS1_3repE0EEENS1_30default_config_static_selectorELNS0_4arch9wavefront6targetE0EEEvT1_.private_seg_size, 0
	.set _ZN7rocprim17ROCPRIM_400000_NS6detail17trampoline_kernelINS0_14default_configENS1_27scan_by_key_config_selectorIijEEZZNS1_16scan_by_key_implILNS1_25lookback_scan_determinismE0ELb1ES3_N6thrust23THRUST_200600_302600_NS6detail15normal_iteratorINS9_10device_ptrIiEEEENSB_INSC_IjEEEESG_jNS9_4plusIvEENS9_8equal_toIvEEjEE10hipError_tPvRmT2_T3_T4_T5_mT6_T7_P12ihipStream_tbENKUlT_T0_E_clISt17integral_constantIbLb1EES11_EEDaSW_SX_EUlSW_E_NS1_11comp_targetILNS1_3genE8ELNS1_11target_archE1030ELNS1_3gpuE2ELNS1_3repE0EEENS1_30default_config_static_selectorELNS0_4arch9wavefront6targetE0EEEvT1_.uses_vcc, 0
	.set _ZN7rocprim17ROCPRIM_400000_NS6detail17trampoline_kernelINS0_14default_configENS1_27scan_by_key_config_selectorIijEEZZNS1_16scan_by_key_implILNS1_25lookback_scan_determinismE0ELb1ES3_N6thrust23THRUST_200600_302600_NS6detail15normal_iteratorINS9_10device_ptrIiEEEENSB_INSC_IjEEEESG_jNS9_4plusIvEENS9_8equal_toIvEEjEE10hipError_tPvRmT2_T3_T4_T5_mT6_T7_P12ihipStream_tbENKUlT_T0_E_clISt17integral_constantIbLb1EES11_EEDaSW_SX_EUlSW_E_NS1_11comp_targetILNS1_3genE8ELNS1_11target_archE1030ELNS1_3gpuE2ELNS1_3repE0EEENS1_30default_config_static_selectorELNS0_4arch9wavefront6targetE0EEEvT1_.uses_flat_scratch, 0
	.set _ZN7rocprim17ROCPRIM_400000_NS6detail17trampoline_kernelINS0_14default_configENS1_27scan_by_key_config_selectorIijEEZZNS1_16scan_by_key_implILNS1_25lookback_scan_determinismE0ELb1ES3_N6thrust23THRUST_200600_302600_NS6detail15normal_iteratorINS9_10device_ptrIiEEEENSB_INSC_IjEEEESG_jNS9_4plusIvEENS9_8equal_toIvEEjEE10hipError_tPvRmT2_T3_T4_T5_mT6_T7_P12ihipStream_tbENKUlT_T0_E_clISt17integral_constantIbLb1EES11_EEDaSW_SX_EUlSW_E_NS1_11comp_targetILNS1_3genE8ELNS1_11target_archE1030ELNS1_3gpuE2ELNS1_3repE0EEENS1_30default_config_static_selectorELNS0_4arch9wavefront6targetE0EEEvT1_.has_dyn_sized_stack, 0
	.set _ZN7rocprim17ROCPRIM_400000_NS6detail17trampoline_kernelINS0_14default_configENS1_27scan_by_key_config_selectorIijEEZZNS1_16scan_by_key_implILNS1_25lookback_scan_determinismE0ELb1ES3_N6thrust23THRUST_200600_302600_NS6detail15normal_iteratorINS9_10device_ptrIiEEEENSB_INSC_IjEEEESG_jNS9_4plusIvEENS9_8equal_toIvEEjEE10hipError_tPvRmT2_T3_T4_T5_mT6_T7_P12ihipStream_tbENKUlT_T0_E_clISt17integral_constantIbLb1EES11_EEDaSW_SX_EUlSW_E_NS1_11comp_targetILNS1_3genE8ELNS1_11target_archE1030ELNS1_3gpuE2ELNS1_3repE0EEENS1_30default_config_static_selectorELNS0_4arch9wavefront6targetE0EEEvT1_.has_recursion, 0
	.set _ZN7rocprim17ROCPRIM_400000_NS6detail17trampoline_kernelINS0_14default_configENS1_27scan_by_key_config_selectorIijEEZZNS1_16scan_by_key_implILNS1_25lookback_scan_determinismE0ELb1ES3_N6thrust23THRUST_200600_302600_NS6detail15normal_iteratorINS9_10device_ptrIiEEEENSB_INSC_IjEEEESG_jNS9_4plusIvEENS9_8equal_toIvEEjEE10hipError_tPvRmT2_T3_T4_T5_mT6_T7_P12ihipStream_tbENKUlT_T0_E_clISt17integral_constantIbLb1EES11_EEDaSW_SX_EUlSW_E_NS1_11comp_targetILNS1_3genE8ELNS1_11target_archE1030ELNS1_3gpuE2ELNS1_3repE0EEENS1_30default_config_static_selectorELNS0_4arch9wavefront6targetE0EEEvT1_.has_indirect_call, 0
	.section	.AMDGPU.csdata,"",@progbits
; Kernel info:
; codeLenInByte = 4
; TotalNumSgprs: 0
; NumVgprs: 0
; ScratchSize: 0
; MemoryBound: 0
; FloatMode: 240
; IeeeMode: 1
; LDSByteSize: 0 bytes/workgroup (compile time only)
; SGPRBlocks: 0
; VGPRBlocks: 0
; NumSGPRsForWavesPerEU: 1
; NumVGPRsForWavesPerEU: 1
; Occupancy: 16
; WaveLimiterHint : 0
; COMPUTE_PGM_RSRC2:SCRATCH_EN: 0
; COMPUTE_PGM_RSRC2:USER_SGPR: 6
; COMPUTE_PGM_RSRC2:TRAP_HANDLER: 0
; COMPUTE_PGM_RSRC2:TGID_X_EN: 1
; COMPUTE_PGM_RSRC2:TGID_Y_EN: 0
; COMPUTE_PGM_RSRC2:TGID_Z_EN: 0
; COMPUTE_PGM_RSRC2:TIDIG_COMP_CNT: 0
	.section	.text._ZN7rocprim17ROCPRIM_400000_NS6detail17trampoline_kernelINS0_14default_configENS1_27scan_by_key_config_selectorIijEEZZNS1_16scan_by_key_implILNS1_25lookback_scan_determinismE0ELb1ES3_N6thrust23THRUST_200600_302600_NS6detail15normal_iteratorINS9_10device_ptrIiEEEENSB_INSC_IjEEEESG_jNS9_4plusIvEENS9_8equal_toIvEEjEE10hipError_tPvRmT2_T3_T4_T5_mT6_T7_P12ihipStream_tbENKUlT_T0_E_clISt17integral_constantIbLb1EES10_IbLb0EEEEDaSW_SX_EUlSW_E_NS1_11comp_targetILNS1_3genE0ELNS1_11target_archE4294967295ELNS1_3gpuE0ELNS1_3repE0EEENS1_30default_config_static_selectorELNS0_4arch9wavefront6targetE0EEEvT1_,"axG",@progbits,_ZN7rocprim17ROCPRIM_400000_NS6detail17trampoline_kernelINS0_14default_configENS1_27scan_by_key_config_selectorIijEEZZNS1_16scan_by_key_implILNS1_25lookback_scan_determinismE0ELb1ES3_N6thrust23THRUST_200600_302600_NS6detail15normal_iteratorINS9_10device_ptrIiEEEENSB_INSC_IjEEEESG_jNS9_4plusIvEENS9_8equal_toIvEEjEE10hipError_tPvRmT2_T3_T4_T5_mT6_T7_P12ihipStream_tbENKUlT_T0_E_clISt17integral_constantIbLb1EES10_IbLb0EEEEDaSW_SX_EUlSW_E_NS1_11comp_targetILNS1_3genE0ELNS1_11target_archE4294967295ELNS1_3gpuE0ELNS1_3repE0EEENS1_30default_config_static_selectorELNS0_4arch9wavefront6targetE0EEEvT1_,comdat
	.protected	_ZN7rocprim17ROCPRIM_400000_NS6detail17trampoline_kernelINS0_14default_configENS1_27scan_by_key_config_selectorIijEEZZNS1_16scan_by_key_implILNS1_25lookback_scan_determinismE0ELb1ES3_N6thrust23THRUST_200600_302600_NS6detail15normal_iteratorINS9_10device_ptrIiEEEENSB_INSC_IjEEEESG_jNS9_4plusIvEENS9_8equal_toIvEEjEE10hipError_tPvRmT2_T3_T4_T5_mT6_T7_P12ihipStream_tbENKUlT_T0_E_clISt17integral_constantIbLb1EES10_IbLb0EEEEDaSW_SX_EUlSW_E_NS1_11comp_targetILNS1_3genE0ELNS1_11target_archE4294967295ELNS1_3gpuE0ELNS1_3repE0EEENS1_30default_config_static_selectorELNS0_4arch9wavefront6targetE0EEEvT1_ ; -- Begin function _ZN7rocprim17ROCPRIM_400000_NS6detail17trampoline_kernelINS0_14default_configENS1_27scan_by_key_config_selectorIijEEZZNS1_16scan_by_key_implILNS1_25lookback_scan_determinismE0ELb1ES3_N6thrust23THRUST_200600_302600_NS6detail15normal_iteratorINS9_10device_ptrIiEEEENSB_INSC_IjEEEESG_jNS9_4plusIvEENS9_8equal_toIvEEjEE10hipError_tPvRmT2_T3_T4_T5_mT6_T7_P12ihipStream_tbENKUlT_T0_E_clISt17integral_constantIbLb1EES10_IbLb0EEEEDaSW_SX_EUlSW_E_NS1_11comp_targetILNS1_3genE0ELNS1_11target_archE4294967295ELNS1_3gpuE0ELNS1_3repE0EEENS1_30default_config_static_selectorELNS0_4arch9wavefront6targetE0EEEvT1_
	.globl	_ZN7rocprim17ROCPRIM_400000_NS6detail17trampoline_kernelINS0_14default_configENS1_27scan_by_key_config_selectorIijEEZZNS1_16scan_by_key_implILNS1_25lookback_scan_determinismE0ELb1ES3_N6thrust23THRUST_200600_302600_NS6detail15normal_iteratorINS9_10device_ptrIiEEEENSB_INSC_IjEEEESG_jNS9_4plusIvEENS9_8equal_toIvEEjEE10hipError_tPvRmT2_T3_T4_T5_mT6_T7_P12ihipStream_tbENKUlT_T0_E_clISt17integral_constantIbLb1EES10_IbLb0EEEEDaSW_SX_EUlSW_E_NS1_11comp_targetILNS1_3genE0ELNS1_11target_archE4294967295ELNS1_3gpuE0ELNS1_3repE0EEENS1_30default_config_static_selectorELNS0_4arch9wavefront6targetE0EEEvT1_
	.p2align	8
	.type	_ZN7rocprim17ROCPRIM_400000_NS6detail17trampoline_kernelINS0_14default_configENS1_27scan_by_key_config_selectorIijEEZZNS1_16scan_by_key_implILNS1_25lookback_scan_determinismE0ELb1ES3_N6thrust23THRUST_200600_302600_NS6detail15normal_iteratorINS9_10device_ptrIiEEEENSB_INSC_IjEEEESG_jNS9_4plusIvEENS9_8equal_toIvEEjEE10hipError_tPvRmT2_T3_T4_T5_mT6_T7_P12ihipStream_tbENKUlT_T0_E_clISt17integral_constantIbLb1EES10_IbLb0EEEEDaSW_SX_EUlSW_E_NS1_11comp_targetILNS1_3genE0ELNS1_11target_archE4294967295ELNS1_3gpuE0ELNS1_3repE0EEENS1_30default_config_static_selectorELNS0_4arch9wavefront6targetE0EEEvT1_,@function
_ZN7rocprim17ROCPRIM_400000_NS6detail17trampoline_kernelINS0_14default_configENS1_27scan_by_key_config_selectorIijEEZZNS1_16scan_by_key_implILNS1_25lookback_scan_determinismE0ELb1ES3_N6thrust23THRUST_200600_302600_NS6detail15normal_iteratorINS9_10device_ptrIiEEEENSB_INSC_IjEEEESG_jNS9_4plusIvEENS9_8equal_toIvEEjEE10hipError_tPvRmT2_T3_T4_T5_mT6_T7_P12ihipStream_tbENKUlT_T0_E_clISt17integral_constantIbLb1EES10_IbLb0EEEEDaSW_SX_EUlSW_E_NS1_11comp_targetILNS1_3genE0ELNS1_11target_archE4294967295ELNS1_3gpuE0ELNS1_3repE0EEENS1_30default_config_static_selectorELNS0_4arch9wavefront6targetE0EEEvT1_: ; @_ZN7rocprim17ROCPRIM_400000_NS6detail17trampoline_kernelINS0_14default_configENS1_27scan_by_key_config_selectorIijEEZZNS1_16scan_by_key_implILNS1_25lookback_scan_determinismE0ELb1ES3_N6thrust23THRUST_200600_302600_NS6detail15normal_iteratorINS9_10device_ptrIiEEEENSB_INSC_IjEEEESG_jNS9_4plusIvEENS9_8equal_toIvEEjEE10hipError_tPvRmT2_T3_T4_T5_mT6_T7_P12ihipStream_tbENKUlT_T0_E_clISt17integral_constantIbLb1EES10_IbLb0EEEEDaSW_SX_EUlSW_E_NS1_11comp_targetILNS1_3genE0ELNS1_11target_archE4294967295ELNS1_3gpuE0ELNS1_3repE0EEENS1_30default_config_static_selectorELNS0_4arch9wavefront6targetE0EEEvT1_
; %bb.0:
	.section	.rodata,"a",@progbits
	.p2align	6, 0x0
	.amdhsa_kernel _ZN7rocprim17ROCPRIM_400000_NS6detail17trampoline_kernelINS0_14default_configENS1_27scan_by_key_config_selectorIijEEZZNS1_16scan_by_key_implILNS1_25lookback_scan_determinismE0ELb1ES3_N6thrust23THRUST_200600_302600_NS6detail15normal_iteratorINS9_10device_ptrIiEEEENSB_INSC_IjEEEESG_jNS9_4plusIvEENS9_8equal_toIvEEjEE10hipError_tPvRmT2_T3_T4_T5_mT6_T7_P12ihipStream_tbENKUlT_T0_E_clISt17integral_constantIbLb1EES10_IbLb0EEEEDaSW_SX_EUlSW_E_NS1_11comp_targetILNS1_3genE0ELNS1_11target_archE4294967295ELNS1_3gpuE0ELNS1_3repE0EEENS1_30default_config_static_selectorELNS0_4arch9wavefront6targetE0EEEvT1_
		.amdhsa_group_segment_fixed_size 0
		.amdhsa_private_segment_fixed_size 0
		.amdhsa_kernarg_size 112
		.amdhsa_user_sgpr_count 6
		.amdhsa_user_sgpr_private_segment_buffer 1
		.amdhsa_user_sgpr_dispatch_ptr 0
		.amdhsa_user_sgpr_queue_ptr 0
		.amdhsa_user_sgpr_kernarg_segment_ptr 1
		.amdhsa_user_sgpr_dispatch_id 0
		.amdhsa_user_sgpr_flat_scratch_init 0
		.amdhsa_user_sgpr_private_segment_size 0
		.amdhsa_wavefront_size32 1
		.amdhsa_uses_dynamic_stack 0
		.amdhsa_system_sgpr_private_segment_wavefront_offset 0
		.amdhsa_system_sgpr_workgroup_id_x 1
		.amdhsa_system_sgpr_workgroup_id_y 0
		.amdhsa_system_sgpr_workgroup_id_z 0
		.amdhsa_system_sgpr_workgroup_info 0
		.amdhsa_system_vgpr_workitem_id 0
		.amdhsa_next_free_vgpr 1
		.amdhsa_next_free_sgpr 1
		.amdhsa_reserve_vcc 0
		.amdhsa_reserve_flat_scratch 0
		.amdhsa_float_round_mode_32 0
		.amdhsa_float_round_mode_16_64 0
		.amdhsa_float_denorm_mode_32 3
		.amdhsa_float_denorm_mode_16_64 3
		.amdhsa_dx10_clamp 1
		.amdhsa_ieee_mode 1
		.amdhsa_fp16_overflow 0
		.amdhsa_workgroup_processor_mode 1
		.amdhsa_memory_ordered 1
		.amdhsa_forward_progress 1
		.amdhsa_shared_vgpr_count 0
		.amdhsa_exception_fp_ieee_invalid_op 0
		.amdhsa_exception_fp_denorm_src 0
		.amdhsa_exception_fp_ieee_div_zero 0
		.amdhsa_exception_fp_ieee_overflow 0
		.amdhsa_exception_fp_ieee_underflow 0
		.amdhsa_exception_fp_ieee_inexact 0
		.amdhsa_exception_int_div_zero 0
	.end_amdhsa_kernel
	.section	.text._ZN7rocprim17ROCPRIM_400000_NS6detail17trampoline_kernelINS0_14default_configENS1_27scan_by_key_config_selectorIijEEZZNS1_16scan_by_key_implILNS1_25lookback_scan_determinismE0ELb1ES3_N6thrust23THRUST_200600_302600_NS6detail15normal_iteratorINS9_10device_ptrIiEEEENSB_INSC_IjEEEESG_jNS9_4plusIvEENS9_8equal_toIvEEjEE10hipError_tPvRmT2_T3_T4_T5_mT6_T7_P12ihipStream_tbENKUlT_T0_E_clISt17integral_constantIbLb1EES10_IbLb0EEEEDaSW_SX_EUlSW_E_NS1_11comp_targetILNS1_3genE0ELNS1_11target_archE4294967295ELNS1_3gpuE0ELNS1_3repE0EEENS1_30default_config_static_selectorELNS0_4arch9wavefront6targetE0EEEvT1_,"axG",@progbits,_ZN7rocprim17ROCPRIM_400000_NS6detail17trampoline_kernelINS0_14default_configENS1_27scan_by_key_config_selectorIijEEZZNS1_16scan_by_key_implILNS1_25lookback_scan_determinismE0ELb1ES3_N6thrust23THRUST_200600_302600_NS6detail15normal_iteratorINS9_10device_ptrIiEEEENSB_INSC_IjEEEESG_jNS9_4plusIvEENS9_8equal_toIvEEjEE10hipError_tPvRmT2_T3_T4_T5_mT6_T7_P12ihipStream_tbENKUlT_T0_E_clISt17integral_constantIbLb1EES10_IbLb0EEEEDaSW_SX_EUlSW_E_NS1_11comp_targetILNS1_3genE0ELNS1_11target_archE4294967295ELNS1_3gpuE0ELNS1_3repE0EEENS1_30default_config_static_selectorELNS0_4arch9wavefront6targetE0EEEvT1_,comdat
.Lfunc_end1517:
	.size	_ZN7rocprim17ROCPRIM_400000_NS6detail17trampoline_kernelINS0_14default_configENS1_27scan_by_key_config_selectorIijEEZZNS1_16scan_by_key_implILNS1_25lookback_scan_determinismE0ELb1ES3_N6thrust23THRUST_200600_302600_NS6detail15normal_iteratorINS9_10device_ptrIiEEEENSB_INSC_IjEEEESG_jNS9_4plusIvEENS9_8equal_toIvEEjEE10hipError_tPvRmT2_T3_T4_T5_mT6_T7_P12ihipStream_tbENKUlT_T0_E_clISt17integral_constantIbLb1EES10_IbLb0EEEEDaSW_SX_EUlSW_E_NS1_11comp_targetILNS1_3genE0ELNS1_11target_archE4294967295ELNS1_3gpuE0ELNS1_3repE0EEENS1_30default_config_static_selectorELNS0_4arch9wavefront6targetE0EEEvT1_, .Lfunc_end1517-_ZN7rocprim17ROCPRIM_400000_NS6detail17trampoline_kernelINS0_14default_configENS1_27scan_by_key_config_selectorIijEEZZNS1_16scan_by_key_implILNS1_25lookback_scan_determinismE0ELb1ES3_N6thrust23THRUST_200600_302600_NS6detail15normal_iteratorINS9_10device_ptrIiEEEENSB_INSC_IjEEEESG_jNS9_4plusIvEENS9_8equal_toIvEEjEE10hipError_tPvRmT2_T3_T4_T5_mT6_T7_P12ihipStream_tbENKUlT_T0_E_clISt17integral_constantIbLb1EES10_IbLb0EEEEDaSW_SX_EUlSW_E_NS1_11comp_targetILNS1_3genE0ELNS1_11target_archE4294967295ELNS1_3gpuE0ELNS1_3repE0EEENS1_30default_config_static_selectorELNS0_4arch9wavefront6targetE0EEEvT1_
                                        ; -- End function
	.set _ZN7rocprim17ROCPRIM_400000_NS6detail17trampoline_kernelINS0_14default_configENS1_27scan_by_key_config_selectorIijEEZZNS1_16scan_by_key_implILNS1_25lookback_scan_determinismE0ELb1ES3_N6thrust23THRUST_200600_302600_NS6detail15normal_iteratorINS9_10device_ptrIiEEEENSB_INSC_IjEEEESG_jNS9_4plusIvEENS9_8equal_toIvEEjEE10hipError_tPvRmT2_T3_T4_T5_mT6_T7_P12ihipStream_tbENKUlT_T0_E_clISt17integral_constantIbLb1EES10_IbLb0EEEEDaSW_SX_EUlSW_E_NS1_11comp_targetILNS1_3genE0ELNS1_11target_archE4294967295ELNS1_3gpuE0ELNS1_3repE0EEENS1_30default_config_static_selectorELNS0_4arch9wavefront6targetE0EEEvT1_.num_vgpr, 0
	.set _ZN7rocprim17ROCPRIM_400000_NS6detail17trampoline_kernelINS0_14default_configENS1_27scan_by_key_config_selectorIijEEZZNS1_16scan_by_key_implILNS1_25lookback_scan_determinismE0ELb1ES3_N6thrust23THRUST_200600_302600_NS6detail15normal_iteratorINS9_10device_ptrIiEEEENSB_INSC_IjEEEESG_jNS9_4plusIvEENS9_8equal_toIvEEjEE10hipError_tPvRmT2_T3_T4_T5_mT6_T7_P12ihipStream_tbENKUlT_T0_E_clISt17integral_constantIbLb1EES10_IbLb0EEEEDaSW_SX_EUlSW_E_NS1_11comp_targetILNS1_3genE0ELNS1_11target_archE4294967295ELNS1_3gpuE0ELNS1_3repE0EEENS1_30default_config_static_selectorELNS0_4arch9wavefront6targetE0EEEvT1_.num_agpr, 0
	.set _ZN7rocprim17ROCPRIM_400000_NS6detail17trampoline_kernelINS0_14default_configENS1_27scan_by_key_config_selectorIijEEZZNS1_16scan_by_key_implILNS1_25lookback_scan_determinismE0ELb1ES3_N6thrust23THRUST_200600_302600_NS6detail15normal_iteratorINS9_10device_ptrIiEEEENSB_INSC_IjEEEESG_jNS9_4plusIvEENS9_8equal_toIvEEjEE10hipError_tPvRmT2_T3_T4_T5_mT6_T7_P12ihipStream_tbENKUlT_T0_E_clISt17integral_constantIbLb1EES10_IbLb0EEEEDaSW_SX_EUlSW_E_NS1_11comp_targetILNS1_3genE0ELNS1_11target_archE4294967295ELNS1_3gpuE0ELNS1_3repE0EEENS1_30default_config_static_selectorELNS0_4arch9wavefront6targetE0EEEvT1_.numbered_sgpr, 0
	.set _ZN7rocprim17ROCPRIM_400000_NS6detail17trampoline_kernelINS0_14default_configENS1_27scan_by_key_config_selectorIijEEZZNS1_16scan_by_key_implILNS1_25lookback_scan_determinismE0ELb1ES3_N6thrust23THRUST_200600_302600_NS6detail15normal_iteratorINS9_10device_ptrIiEEEENSB_INSC_IjEEEESG_jNS9_4plusIvEENS9_8equal_toIvEEjEE10hipError_tPvRmT2_T3_T4_T5_mT6_T7_P12ihipStream_tbENKUlT_T0_E_clISt17integral_constantIbLb1EES10_IbLb0EEEEDaSW_SX_EUlSW_E_NS1_11comp_targetILNS1_3genE0ELNS1_11target_archE4294967295ELNS1_3gpuE0ELNS1_3repE0EEENS1_30default_config_static_selectorELNS0_4arch9wavefront6targetE0EEEvT1_.num_named_barrier, 0
	.set _ZN7rocprim17ROCPRIM_400000_NS6detail17trampoline_kernelINS0_14default_configENS1_27scan_by_key_config_selectorIijEEZZNS1_16scan_by_key_implILNS1_25lookback_scan_determinismE0ELb1ES3_N6thrust23THRUST_200600_302600_NS6detail15normal_iteratorINS9_10device_ptrIiEEEENSB_INSC_IjEEEESG_jNS9_4plusIvEENS9_8equal_toIvEEjEE10hipError_tPvRmT2_T3_T4_T5_mT6_T7_P12ihipStream_tbENKUlT_T0_E_clISt17integral_constantIbLb1EES10_IbLb0EEEEDaSW_SX_EUlSW_E_NS1_11comp_targetILNS1_3genE0ELNS1_11target_archE4294967295ELNS1_3gpuE0ELNS1_3repE0EEENS1_30default_config_static_selectorELNS0_4arch9wavefront6targetE0EEEvT1_.private_seg_size, 0
	.set _ZN7rocprim17ROCPRIM_400000_NS6detail17trampoline_kernelINS0_14default_configENS1_27scan_by_key_config_selectorIijEEZZNS1_16scan_by_key_implILNS1_25lookback_scan_determinismE0ELb1ES3_N6thrust23THRUST_200600_302600_NS6detail15normal_iteratorINS9_10device_ptrIiEEEENSB_INSC_IjEEEESG_jNS9_4plusIvEENS9_8equal_toIvEEjEE10hipError_tPvRmT2_T3_T4_T5_mT6_T7_P12ihipStream_tbENKUlT_T0_E_clISt17integral_constantIbLb1EES10_IbLb0EEEEDaSW_SX_EUlSW_E_NS1_11comp_targetILNS1_3genE0ELNS1_11target_archE4294967295ELNS1_3gpuE0ELNS1_3repE0EEENS1_30default_config_static_selectorELNS0_4arch9wavefront6targetE0EEEvT1_.uses_vcc, 0
	.set _ZN7rocprim17ROCPRIM_400000_NS6detail17trampoline_kernelINS0_14default_configENS1_27scan_by_key_config_selectorIijEEZZNS1_16scan_by_key_implILNS1_25lookback_scan_determinismE0ELb1ES3_N6thrust23THRUST_200600_302600_NS6detail15normal_iteratorINS9_10device_ptrIiEEEENSB_INSC_IjEEEESG_jNS9_4plusIvEENS9_8equal_toIvEEjEE10hipError_tPvRmT2_T3_T4_T5_mT6_T7_P12ihipStream_tbENKUlT_T0_E_clISt17integral_constantIbLb1EES10_IbLb0EEEEDaSW_SX_EUlSW_E_NS1_11comp_targetILNS1_3genE0ELNS1_11target_archE4294967295ELNS1_3gpuE0ELNS1_3repE0EEENS1_30default_config_static_selectorELNS0_4arch9wavefront6targetE0EEEvT1_.uses_flat_scratch, 0
	.set _ZN7rocprim17ROCPRIM_400000_NS6detail17trampoline_kernelINS0_14default_configENS1_27scan_by_key_config_selectorIijEEZZNS1_16scan_by_key_implILNS1_25lookback_scan_determinismE0ELb1ES3_N6thrust23THRUST_200600_302600_NS6detail15normal_iteratorINS9_10device_ptrIiEEEENSB_INSC_IjEEEESG_jNS9_4plusIvEENS9_8equal_toIvEEjEE10hipError_tPvRmT2_T3_T4_T5_mT6_T7_P12ihipStream_tbENKUlT_T0_E_clISt17integral_constantIbLb1EES10_IbLb0EEEEDaSW_SX_EUlSW_E_NS1_11comp_targetILNS1_3genE0ELNS1_11target_archE4294967295ELNS1_3gpuE0ELNS1_3repE0EEENS1_30default_config_static_selectorELNS0_4arch9wavefront6targetE0EEEvT1_.has_dyn_sized_stack, 0
	.set _ZN7rocprim17ROCPRIM_400000_NS6detail17trampoline_kernelINS0_14default_configENS1_27scan_by_key_config_selectorIijEEZZNS1_16scan_by_key_implILNS1_25lookback_scan_determinismE0ELb1ES3_N6thrust23THRUST_200600_302600_NS6detail15normal_iteratorINS9_10device_ptrIiEEEENSB_INSC_IjEEEESG_jNS9_4plusIvEENS9_8equal_toIvEEjEE10hipError_tPvRmT2_T3_T4_T5_mT6_T7_P12ihipStream_tbENKUlT_T0_E_clISt17integral_constantIbLb1EES10_IbLb0EEEEDaSW_SX_EUlSW_E_NS1_11comp_targetILNS1_3genE0ELNS1_11target_archE4294967295ELNS1_3gpuE0ELNS1_3repE0EEENS1_30default_config_static_selectorELNS0_4arch9wavefront6targetE0EEEvT1_.has_recursion, 0
	.set _ZN7rocprim17ROCPRIM_400000_NS6detail17trampoline_kernelINS0_14default_configENS1_27scan_by_key_config_selectorIijEEZZNS1_16scan_by_key_implILNS1_25lookback_scan_determinismE0ELb1ES3_N6thrust23THRUST_200600_302600_NS6detail15normal_iteratorINS9_10device_ptrIiEEEENSB_INSC_IjEEEESG_jNS9_4plusIvEENS9_8equal_toIvEEjEE10hipError_tPvRmT2_T3_T4_T5_mT6_T7_P12ihipStream_tbENKUlT_T0_E_clISt17integral_constantIbLb1EES10_IbLb0EEEEDaSW_SX_EUlSW_E_NS1_11comp_targetILNS1_3genE0ELNS1_11target_archE4294967295ELNS1_3gpuE0ELNS1_3repE0EEENS1_30default_config_static_selectorELNS0_4arch9wavefront6targetE0EEEvT1_.has_indirect_call, 0
	.section	.AMDGPU.csdata,"",@progbits
; Kernel info:
; codeLenInByte = 0
; TotalNumSgprs: 0
; NumVgprs: 0
; ScratchSize: 0
; MemoryBound: 0
; FloatMode: 240
; IeeeMode: 1
; LDSByteSize: 0 bytes/workgroup (compile time only)
; SGPRBlocks: 0
; VGPRBlocks: 0
; NumSGPRsForWavesPerEU: 1
; NumVGPRsForWavesPerEU: 1
; Occupancy: 16
; WaveLimiterHint : 0
; COMPUTE_PGM_RSRC2:SCRATCH_EN: 0
; COMPUTE_PGM_RSRC2:USER_SGPR: 6
; COMPUTE_PGM_RSRC2:TRAP_HANDLER: 0
; COMPUTE_PGM_RSRC2:TGID_X_EN: 1
; COMPUTE_PGM_RSRC2:TGID_Y_EN: 0
; COMPUTE_PGM_RSRC2:TGID_Z_EN: 0
; COMPUTE_PGM_RSRC2:TIDIG_COMP_CNT: 0
	.section	.text._ZN7rocprim17ROCPRIM_400000_NS6detail17trampoline_kernelINS0_14default_configENS1_27scan_by_key_config_selectorIijEEZZNS1_16scan_by_key_implILNS1_25lookback_scan_determinismE0ELb1ES3_N6thrust23THRUST_200600_302600_NS6detail15normal_iteratorINS9_10device_ptrIiEEEENSB_INSC_IjEEEESG_jNS9_4plusIvEENS9_8equal_toIvEEjEE10hipError_tPvRmT2_T3_T4_T5_mT6_T7_P12ihipStream_tbENKUlT_T0_E_clISt17integral_constantIbLb1EES10_IbLb0EEEEDaSW_SX_EUlSW_E_NS1_11comp_targetILNS1_3genE10ELNS1_11target_archE1201ELNS1_3gpuE5ELNS1_3repE0EEENS1_30default_config_static_selectorELNS0_4arch9wavefront6targetE0EEEvT1_,"axG",@progbits,_ZN7rocprim17ROCPRIM_400000_NS6detail17trampoline_kernelINS0_14default_configENS1_27scan_by_key_config_selectorIijEEZZNS1_16scan_by_key_implILNS1_25lookback_scan_determinismE0ELb1ES3_N6thrust23THRUST_200600_302600_NS6detail15normal_iteratorINS9_10device_ptrIiEEEENSB_INSC_IjEEEESG_jNS9_4plusIvEENS9_8equal_toIvEEjEE10hipError_tPvRmT2_T3_T4_T5_mT6_T7_P12ihipStream_tbENKUlT_T0_E_clISt17integral_constantIbLb1EES10_IbLb0EEEEDaSW_SX_EUlSW_E_NS1_11comp_targetILNS1_3genE10ELNS1_11target_archE1201ELNS1_3gpuE5ELNS1_3repE0EEENS1_30default_config_static_selectorELNS0_4arch9wavefront6targetE0EEEvT1_,comdat
	.protected	_ZN7rocprim17ROCPRIM_400000_NS6detail17trampoline_kernelINS0_14default_configENS1_27scan_by_key_config_selectorIijEEZZNS1_16scan_by_key_implILNS1_25lookback_scan_determinismE0ELb1ES3_N6thrust23THRUST_200600_302600_NS6detail15normal_iteratorINS9_10device_ptrIiEEEENSB_INSC_IjEEEESG_jNS9_4plusIvEENS9_8equal_toIvEEjEE10hipError_tPvRmT2_T3_T4_T5_mT6_T7_P12ihipStream_tbENKUlT_T0_E_clISt17integral_constantIbLb1EES10_IbLb0EEEEDaSW_SX_EUlSW_E_NS1_11comp_targetILNS1_3genE10ELNS1_11target_archE1201ELNS1_3gpuE5ELNS1_3repE0EEENS1_30default_config_static_selectorELNS0_4arch9wavefront6targetE0EEEvT1_ ; -- Begin function _ZN7rocprim17ROCPRIM_400000_NS6detail17trampoline_kernelINS0_14default_configENS1_27scan_by_key_config_selectorIijEEZZNS1_16scan_by_key_implILNS1_25lookback_scan_determinismE0ELb1ES3_N6thrust23THRUST_200600_302600_NS6detail15normal_iteratorINS9_10device_ptrIiEEEENSB_INSC_IjEEEESG_jNS9_4plusIvEENS9_8equal_toIvEEjEE10hipError_tPvRmT2_T3_T4_T5_mT6_T7_P12ihipStream_tbENKUlT_T0_E_clISt17integral_constantIbLb1EES10_IbLb0EEEEDaSW_SX_EUlSW_E_NS1_11comp_targetILNS1_3genE10ELNS1_11target_archE1201ELNS1_3gpuE5ELNS1_3repE0EEENS1_30default_config_static_selectorELNS0_4arch9wavefront6targetE0EEEvT1_
	.globl	_ZN7rocprim17ROCPRIM_400000_NS6detail17trampoline_kernelINS0_14default_configENS1_27scan_by_key_config_selectorIijEEZZNS1_16scan_by_key_implILNS1_25lookback_scan_determinismE0ELb1ES3_N6thrust23THRUST_200600_302600_NS6detail15normal_iteratorINS9_10device_ptrIiEEEENSB_INSC_IjEEEESG_jNS9_4plusIvEENS9_8equal_toIvEEjEE10hipError_tPvRmT2_T3_T4_T5_mT6_T7_P12ihipStream_tbENKUlT_T0_E_clISt17integral_constantIbLb1EES10_IbLb0EEEEDaSW_SX_EUlSW_E_NS1_11comp_targetILNS1_3genE10ELNS1_11target_archE1201ELNS1_3gpuE5ELNS1_3repE0EEENS1_30default_config_static_selectorELNS0_4arch9wavefront6targetE0EEEvT1_
	.p2align	8
	.type	_ZN7rocprim17ROCPRIM_400000_NS6detail17trampoline_kernelINS0_14default_configENS1_27scan_by_key_config_selectorIijEEZZNS1_16scan_by_key_implILNS1_25lookback_scan_determinismE0ELb1ES3_N6thrust23THRUST_200600_302600_NS6detail15normal_iteratorINS9_10device_ptrIiEEEENSB_INSC_IjEEEESG_jNS9_4plusIvEENS9_8equal_toIvEEjEE10hipError_tPvRmT2_T3_T4_T5_mT6_T7_P12ihipStream_tbENKUlT_T0_E_clISt17integral_constantIbLb1EES10_IbLb0EEEEDaSW_SX_EUlSW_E_NS1_11comp_targetILNS1_3genE10ELNS1_11target_archE1201ELNS1_3gpuE5ELNS1_3repE0EEENS1_30default_config_static_selectorELNS0_4arch9wavefront6targetE0EEEvT1_,@function
_ZN7rocprim17ROCPRIM_400000_NS6detail17trampoline_kernelINS0_14default_configENS1_27scan_by_key_config_selectorIijEEZZNS1_16scan_by_key_implILNS1_25lookback_scan_determinismE0ELb1ES3_N6thrust23THRUST_200600_302600_NS6detail15normal_iteratorINS9_10device_ptrIiEEEENSB_INSC_IjEEEESG_jNS9_4plusIvEENS9_8equal_toIvEEjEE10hipError_tPvRmT2_T3_T4_T5_mT6_T7_P12ihipStream_tbENKUlT_T0_E_clISt17integral_constantIbLb1EES10_IbLb0EEEEDaSW_SX_EUlSW_E_NS1_11comp_targetILNS1_3genE10ELNS1_11target_archE1201ELNS1_3gpuE5ELNS1_3repE0EEENS1_30default_config_static_selectorELNS0_4arch9wavefront6targetE0EEEvT1_: ; @_ZN7rocprim17ROCPRIM_400000_NS6detail17trampoline_kernelINS0_14default_configENS1_27scan_by_key_config_selectorIijEEZZNS1_16scan_by_key_implILNS1_25lookback_scan_determinismE0ELb1ES3_N6thrust23THRUST_200600_302600_NS6detail15normal_iteratorINS9_10device_ptrIiEEEENSB_INSC_IjEEEESG_jNS9_4plusIvEENS9_8equal_toIvEEjEE10hipError_tPvRmT2_T3_T4_T5_mT6_T7_P12ihipStream_tbENKUlT_T0_E_clISt17integral_constantIbLb1EES10_IbLb0EEEEDaSW_SX_EUlSW_E_NS1_11comp_targetILNS1_3genE10ELNS1_11target_archE1201ELNS1_3gpuE5ELNS1_3repE0EEENS1_30default_config_static_selectorELNS0_4arch9wavefront6targetE0EEEvT1_
; %bb.0:
	.section	.rodata,"a",@progbits
	.p2align	6, 0x0
	.amdhsa_kernel _ZN7rocprim17ROCPRIM_400000_NS6detail17trampoline_kernelINS0_14default_configENS1_27scan_by_key_config_selectorIijEEZZNS1_16scan_by_key_implILNS1_25lookback_scan_determinismE0ELb1ES3_N6thrust23THRUST_200600_302600_NS6detail15normal_iteratorINS9_10device_ptrIiEEEENSB_INSC_IjEEEESG_jNS9_4plusIvEENS9_8equal_toIvEEjEE10hipError_tPvRmT2_T3_T4_T5_mT6_T7_P12ihipStream_tbENKUlT_T0_E_clISt17integral_constantIbLb1EES10_IbLb0EEEEDaSW_SX_EUlSW_E_NS1_11comp_targetILNS1_3genE10ELNS1_11target_archE1201ELNS1_3gpuE5ELNS1_3repE0EEENS1_30default_config_static_selectorELNS0_4arch9wavefront6targetE0EEEvT1_
		.amdhsa_group_segment_fixed_size 0
		.amdhsa_private_segment_fixed_size 0
		.amdhsa_kernarg_size 112
		.amdhsa_user_sgpr_count 6
		.amdhsa_user_sgpr_private_segment_buffer 1
		.amdhsa_user_sgpr_dispatch_ptr 0
		.amdhsa_user_sgpr_queue_ptr 0
		.amdhsa_user_sgpr_kernarg_segment_ptr 1
		.amdhsa_user_sgpr_dispatch_id 0
		.amdhsa_user_sgpr_flat_scratch_init 0
		.amdhsa_user_sgpr_private_segment_size 0
		.amdhsa_wavefront_size32 1
		.amdhsa_uses_dynamic_stack 0
		.amdhsa_system_sgpr_private_segment_wavefront_offset 0
		.amdhsa_system_sgpr_workgroup_id_x 1
		.amdhsa_system_sgpr_workgroup_id_y 0
		.amdhsa_system_sgpr_workgroup_id_z 0
		.amdhsa_system_sgpr_workgroup_info 0
		.amdhsa_system_vgpr_workitem_id 0
		.amdhsa_next_free_vgpr 1
		.amdhsa_next_free_sgpr 1
		.amdhsa_reserve_vcc 0
		.amdhsa_reserve_flat_scratch 0
		.amdhsa_float_round_mode_32 0
		.amdhsa_float_round_mode_16_64 0
		.amdhsa_float_denorm_mode_32 3
		.amdhsa_float_denorm_mode_16_64 3
		.amdhsa_dx10_clamp 1
		.amdhsa_ieee_mode 1
		.amdhsa_fp16_overflow 0
		.amdhsa_workgroup_processor_mode 1
		.amdhsa_memory_ordered 1
		.amdhsa_forward_progress 1
		.amdhsa_shared_vgpr_count 0
		.amdhsa_exception_fp_ieee_invalid_op 0
		.amdhsa_exception_fp_denorm_src 0
		.amdhsa_exception_fp_ieee_div_zero 0
		.amdhsa_exception_fp_ieee_overflow 0
		.amdhsa_exception_fp_ieee_underflow 0
		.amdhsa_exception_fp_ieee_inexact 0
		.amdhsa_exception_int_div_zero 0
	.end_amdhsa_kernel
	.section	.text._ZN7rocprim17ROCPRIM_400000_NS6detail17trampoline_kernelINS0_14default_configENS1_27scan_by_key_config_selectorIijEEZZNS1_16scan_by_key_implILNS1_25lookback_scan_determinismE0ELb1ES3_N6thrust23THRUST_200600_302600_NS6detail15normal_iteratorINS9_10device_ptrIiEEEENSB_INSC_IjEEEESG_jNS9_4plusIvEENS9_8equal_toIvEEjEE10hipError_tPvRmT2_T3_T4_T5_mT6_T7_P12ihipStream_tbENKUlT_T0_E_clISt17integral_constantIbLb1EES10_IbLb0EEEEDaSW_SX_EUlSW_E_NS1_11comp_targetILNS1_3genE10ELNS1_11target_archE1201ELNS1_3gpuE5ELNS1_3repE0EEENS1_30default_config_static_selectorELNS0_4arch9wavefront6targetE0EEEvT1_,"axG",@progbits,_ZN7rocprim17ROCPRIM_400000_NS6detail17trampoline_kernelINS0_14default_configENS1_27scan_by_key_config_selectorIijEEZZNS1_16scan_by_key_implILNS1_25lookback_scan_determinismE0ELb1ES3_N6thrust23THRUST_200600_302600_NS6detail15normal_iteratorINS9_10device_ptrIiEEEENSB_INSC_IjEEEESG_jNS9_4plusIvEENS9_8equal_toIvEEjEE10hipError_tPvRmT2_T3_T4_T5_mT6_T7_P12ihipStream_tbENKUlT_T0_E_clISt17integral_constantIbLb1EES10_IbLb0EEEEDaSW_SX_EUlSW_E_NS1_11comp_targetILNS1_3genE10ELNS1_11target_archE1201ELNS1_3gpuE5ELNS1_3repE0EEENS1_30default_config_static_selectorELNS0_4arch9wavefront6targetE0EEEvT1_,comdat
.Lfunc_end1518:
	.size	_ZN7rocprim17ROCPRIM_400000_NS6detail17trampoline_kernelINS0_14default_configENS1_27scan_by_key_config_selectorIijEEZZNS1_16scan_by_key_implILNS1_25lookback_scan_determinismE0ELb1ES3_N6thrust23THRUST_200600_302600_NS6detail15normal_iteratorINS9_10device_ptrIiEEEENSB_INSC_IjEEEESG_jNS9_4plusIvEENS9_8equal_toIvEEjEE10hipError_tPvRmT2_T3_T4_T5_mT6_T7_P12ihipStream_tbENKUlT_T0_E_clISt17integral_constantIbLb1EES10_IbLb0EEEEDaSW_SX_EUlSW_E_NS1_11comp_targetILNS1_3genE10ELNS1_11target_archE1201ELNS1_3gpuE5ELNS1_3repE0EEENS1_30default_config_static_selectorELNS0_4arch9wavefront6targetE0EEEvT1_, .Lfunc_end1518-_ZN7rocprim17ROCPRIM_400000_NS6detail17trampoline_kernelINS0_14default_configENS1_27scan_by_key_config_selectorIijEEZZNS1_16scan_by_key_implILNS1_25lookback_scan_determinismE0ELb1ES3_N6thrust23THRUST_200600_302600_NS6detail15normal_iteratorINS9_10device_ptrIiEEEENSB_INSC_IjEEEESG_jNS9_4plusIvEENS9_8equal_toIvEEjEE10hipError_tPvRmT2_T3_T4_T5_mT6_T7_P12ihipStream_tbENKUlT_T0_E_clISt17integral_constantIbLb1EES10_IbLb0EEEEDaSW_SX_EUlSW_E_NS1_11comp_targetILNS1_3genE10ELNS1_11target_archE1201ELNS1_3gpuE5ELNS1_3repE0EEENS1_30default_config_static_selectorELNS0_4arch9wavefront6targetE0EEEvT1_
                                        ; -- End function
	.set _ZN7rocprim17ROCPRIM_400000_NS6detail17trampoline_kernelINS0_14default_configENS1_27scan_by_key_config_selectorIijEEZZNS1_16scan_by_key_implILNS1_25lookback_scan_determinismE0ELb1ES3_N6thrust23THRUST_200600_302600_NS6detail15normal_iteratorINS9_10device_ptrIiEEEENSB_INSC_IjEEEESG_jNS9_4plusIvEENS9_8equal_toIvEEjEE10hipError_tPvRmT2_T3_T4_T5_mT6_T7_P12ihipStream_tbENKUlT_T0_E_clISt17integral_constantIbLb1EES10_IbLb0EEEEDaSW_SX_EUlSW_E_NS1_11comp_targetILNS1_3genE10ELNS1_11target_archE1201ELNS1_3gpuE5ELNS1_3repE0EEENS1_30default_config_static_selectorELNS0_4arch9wavefront6targetE0EEEvT1_.num_vgpr, 0
	.set _ZN7rocprim17ROCPRIM_400000_NS6detail17trampoline_kernelINS0_14default_configENS1_27scan_by_key_config_selectorIijEEZZNS1_16scan_by_key_implILNS1_25lookback_scan_determinismE0ELb1ES3_N6thrust23THRUST_200600_302600_NS6detail15normal_iteratorINS9_10device_ptrIiEEEENSB_INSC_IjEEEESG_jNS9_4plusIvEENS9_8equal_toIvEEjEE10hipError_tPvRmT2_T3_T4_T5_mT6_T7_P12ihipStream_tbENKUlT_T0_E_clISt17integral_constantIbLb1EES10_IbLb0EEEEDaSW_SX_EUlSW_E_NS1_11comp_targetILNS1_3genE10ELNS1_11target_archE1201ELNS1_3gpuE5ELNS1_3repE0EEENS1_30default_config_static_selectorELNS0_4arch9wavefront6targetE0EEEvT1_.num_agpr, 0
	.set _ZN7rocprim17ROCPRIM_400000_NS6detail17trampoline_kernelINS0_14default_configENS1_27scan_by_key_config_selectorIijEEZZNS1_16scan_by_key_implILNS1_25lookback_scan_determinismE0ELb1ES3_N6thrust23THRUST_200600_302600_NS6detail15normal_iteratorINS9_10device_ptrIiEEEENSB_INSC_IjEEEESG_jNS9_4plusIvEENS9_8equal_toIvEEjEE10hipError_tPvRmT2_T3_T4_T5_mT6_T7_P12ihipStream_tbENKUlT_T0_E_clISt17integral_constantIbLb1EES10_IbLb0EEEEDaSW_SX_EUlSW_E_NS1_11comp_targetILNS1_3genE10ELNS1_11target_archE1201ELNS1_3gpuE5ELNS1_3repE0EEENS1_30default_config_static_selectorELNS0_4arch9wavefront6targetE0EEEvT1_.numbered_sgpr, 0
	.set _ZN7rocprim17ROCPRIM_400000_NS6detail17trampoline_kernelINS0_14default_configENS1_27scan_by_key_config_selectorIijEEZZNS1_16scan_by_key_implILNS1_25lookback_scan_determinismE0ELb1ES3_N6thrust23THRUST_200600_302600_NS6detail15normal_iteratorINS9_10device_ptrIiEEEENSB_INSC_IjEEEESG_jNS9_4plusIvEENS9_8equal_toIvEEjEE10hipError_tPvRmT2_T3_T4_T5_mT6_T7_P12ihipStream_tbENKUlT_T0_E_clISt17integral_constantIbLb1EES10_IbLb0EEEEDaSW_SX_EUlSW_E_NS1_11comp_targetILNS1_3genE10ELNS1_11target_archE1201ELNS1_3gpuE5ELNS1_3repE0EEENS1_30default_config_static_selectorELNS0_4arch9wavefront6targetE0EEEvT1_.num_named_barrier, 0
	.set _ZN7rocprim17ROCPRIM_400000_NS6detail17trampoline_kernelINS0_14default_configENS1_27scan_by_key_config_selectorIijEEZZNS1_16scan_by_key_implILNS1_25lookback_scan_determinismE0ELb1ES3_N6thrust23THRUST_200600_302600_NS6detail15normal_iteratorINS9_10device_ptrIiEEEENSB_INSC_IjEEEESG_jNS9_4plusIvEENS9_8equal_toIvEEjEE10hipError_tPvRmT2_T3_T4_T5_mT6_T7_P12ihipStream_tbENKUlT_T0_E_clISt17integral_constantIbLb1EES10_IbLb0EEEEDaSW_SX_EUlSW_E_NS1_11comp_targetILNS1_3genE10ELNS1_11target_archE1201ELNS1_3gpuE5ELNS1_3repE0EEENS1_30default_config_static_selectorELNS0_4arch9wavefront6targetE0EEEvT1_.private_seg_size, 0
	.set _ZN7rocprim17ROCPRIM_400000_NS6detail17trampoline_kernelINS0_14default_configENS1_27scan_by_key_config_selectorIijEEZZNS1_16scan_by_key_implILNS1_25lookback_scan_determinismE0ELb1ES3_N6thrust23THRUST_200600_302600_NS6detail15normal_iteratorINS9_10device_ptrIiEEEENSB_INSC_IjEEEESG_jNS9_4plusIvEENS9_8equal_toIvEEjEE10hipError_tPvRmT2_T3_T4_T5_mT6_T7_P12ihipStream_tbENKUlT_T0_E_clISt17integral_constantIbLb1EES10_IbLb0EEEEDaSW_SX_EUlSW_E_NS1_11comp_targetILNS1_3genE10ELNS1_11target_archE1201ELNS1_3gpuE5ELNS1_3repE0EEENS1_30default_config_static_selectorELNS0_4arch9wavefront6targetE0EEEvT1_.uses_vcc, 0
	.set _ZN7rocprim17ROCPRIM_400000_NS6detail17trampoline_kernelINS0_14default_configENS1_27scan_by_key_config_selectorIijEEZZNS1_16scan_by_key_implILNS1_25lookback_scan_determinismE0ELb1ES3_N6thrust23THRUST_200600_302600_NS6detail15normal_iteratorINS9_10device_ptrIiEEEENSB_INSC_IjEEEESG_jNS9_4plusIvEENS9_8equal_toIvEEjEE10hipError_tPvRmT2_T3_T4_T5_mT6_T7_P12ihipStream_tbENKUlT_T0_E_clISt17integral_constantIbLb1EES10_IbLb0EEEEDaSW_SX_EUlSW_E_NS1_11comp_targetILNS1_3genE10ELNS1_11target_archE1201ELNS1_3gpuE5ELNS1_3repE0EEENS1_30default_config_static_selectorELNS0_4arch9wavefront6targetE0EEEvT1_.uses_flat_scratch, 0
	.set _ZN7rocprim17ROCPRIM_400000_NS6detail17trampoline_kernelINS0_14default_configENS1_27scan_by_key_config_selectorIijEEZZNS1_16scan_by_key_implILNS1_25lookback_scan_determinismE0ELb1ES3_N6thrust23THRUST_200600_302600_NS6detail15normal_iteratorINS9_10device_ptrIiEEEENSB_INSC_IjEEEESG_jNS9_4plusIvEENS9_8equal_toIvEEjEE10hipError_tPvRmT2_T3_T4_T5_mT6_T7_P12ihipStream_tbENKUlT_T0_E_clISt17integral_constantIbLb1EES10_IbLb0EEEEDaSW_SX_EUlSW_E_NS1_11comp_targetILNS1_3genE10ELNS1_11target_archE1201ELNS1_3gpuE5ELNS1_3repE0EEENS1_30default_config_static_selectorELNS0_4arch9wavefront6targetE0EEEvT1_.has_dyn_sized_stack, 0
	.set _ZN7rocprim17ROCPRIM_400000_NS6detail17trampoline_kernelINS0_14default_configENS1_27scan_by_key_config_selectorIijEEZZNS1_16scan_by_key_implILNS1_25lookback_scan_determinismE0ELb1ES3_N6thrust23THRUST_200600_302600_NS6detail15normal_iteratorINS9_10device_ptrIiEEEENSB_INSC_IjEEEESG_jNS9_4plusIvEENS9_8equal_toIvEEjEE10hipError_tPvRmT2_T3_T4_T5_mT6_T7_P12ihipStream_tbENKUlT_T0_E_clISt17integral_constantIbLb1EES10_IbLb0EEEEDaSW_SX_EUlSW_E_NS1_11comp_targetILNS1_3genE10ELNS1_11target_archE1201ELNS1_3gpuE5ELNS1_3repE0EEENS1_30default_config_static_selectorELNS0_4arch9wavefront6targetE0EEEvT1_.has_recursion, 0
	.set _ZN7rocprim17ROCPRIM_400000_NS6detail17trampoline_kernelINS0_14default_configENS1_27scan_by_key_config_selectorIijEEZZNS1_16scan_by_key_implILNS1_25lookback_scan_determinismE0ELb1ES3_N6thrust23THRUST_200600_302600_NS6detail15normal_iteratorINS9_10device_ptrIiEEEENSB_INSC_IjEEEESG_jNS9_4plusIvEENS9_8equal_toIvEEjEE10hipError_tPvRmT2_T3_T4_T5_mT6_T7_P12ihipStream_tbENKUlT_T0_E_clISt17integral_constantIbLb1EES10_IbLb0EEEEDaSW_SX_EUlSW_E_NS1_11comp_targetILNS1_3genE10ELNS1_11target_archE1201ELNS1_3gpuE5ELNS1_3repE0EEENS1_30default_config_static_selectorELNS0_4arch9wavefront6targetE0EEEvT1_.has_indirect_call, 0
	.section	.AMDGPU.csdata,"",@progbits
; Kernel info:
; codeLenInByte = 0
; TotalNumSgprs: 0
; NumVgprs: 0
; ScratchSize: 0
; MemoryBound: 0
; FloatMode: 240
; IeeeMode: 1
; LDSByteSize: 0 bytes/workgroup (compile time only)
; SGPRBlocks: 0
; VGPRBlocks: 0
; NumSGPRsForWavesPerEU: 1
; NumVGPRsForWavesPerEU: 1
; Occupancy: 16
; WaveLimiterHint : 0
; COMPUTE_PGM_RSRC2:SCRATCH_EN: 0
; COMPUTE_PGM_RSRC2:USER_SGPR: 6
; COMPUTE_PGM_RSRC2:TRAP_HANDLER: 0
; COMPUTE_PGM_RSRC2:TGID_X_EN: 1
; COMPUTE_PGM_RSRC2:TGID_Y_EN: 0
; COMPUTE_PGM_RSRC2:TGID_Z_EN: 0
; COMPUTE_PGM_RSRC2:TIDIG_COMP_CNT: 0
	.section	.text._ZN7rocprim17ROCPRIM_400000_NS6detail17trampoline_kernelINS0_14default_configENS1_27scan_by_key_config_selectorIijEEZZNS1_16scan_by_key_implILNS1_25lookback_scan_determinismE0ELb1ES3_N6thrust23THRUST_200600_302600_NS6detail15normal_iteratorINS9_10device_ptrIiEEEENSB_INSC_IjEEEESG_jNS9_4plusIvEENS9_8equal_toIvEEjEE10hipError_tPvRmT2_T3_T4_T5_mT6_T7_P12ihipStream_tbENKUlT_T0_E_clISt17integral_constantIbLb1EES10_IbLb0EEEEDaSW_SX_EUlSW_E_NS1_11comp_targetILNS1_3genE5ELNS1_11target_archE942ELNS1_3gpuE9ELNS1_3repE0EEENS1_30default_config_static_selectorELNS0_4arch9wavefront6targetE0EEEvT1_,"axG",@progbits,_ZN7rocprim17ROCPRIM_400000_NS6detail17trampoline_kernelINS0_14default_configENS1_27scan_by_key_config_selectorIijEEZZNS1_16scan_by_key_implILNS1_25lookback_scan_determinismE0ELb1ES3_N6thrust23THRUST_200600_302600_NS6detail15normal_iteratorINS9_10device_ptrIiEEEENSB_INSC_IjEEEESG_jNS9_4plusIvEENS9_8equal_toIvEEjEE10hipError_tPvRmT2_T3_T4_T5_mT6_T7_P12ihipStream_tbENKUlT_T0_E_clISt17integral_constantIbLb1EES10_IbLb0EEEEDaSW_SX_EUlSW_E_NS1_11comp_targetILNS1_3genE5ELNS1_11target_archE942ELNS1_3gpuE9ELNS1_3repE0EEENS1_30default_config_static_selectorELNS0_4arch9wavefront6targetE0EEEvT1_,comdat
	.protected	_ZN7rocprim17ROCPRIM_400000_NS6detail17trampoline_kernelINS0_14default_configENS1_27scan_by_key_config_selectorIijEEZZNS1_16scan_by_key_implILNS1_25lookback_scan_determinismE0ELb1ES3_N6thrust23THRUST_200600_302600_NS6detail15normal_iteratorINS9_10device_ptrIiEEEENSB_INSC_IjEEEESG_jNS9_4plusIvEENS9_8equal_toIvEEjEE10hipError_tPvRmT2_T3_T4_T5_mT6_T7_P12ihipStream_tbENKUlT_T0_E_clISt17integral_constantIbLb1EES10_IbLb0EEEEDaSW_SX_EUlSW_E_NS1_11comp_targetILNS1_3genE5ELNS1_11target_archE942ELNS1_3gpuE9ELNS1_3repE0EEENS1_30default_config_static_selectorELNS0_4arch9wavefront6targetE0EEEvT1_ ; -- Begin function _ZN7rocprim17ROCPRIM_400000_NS6detail17trampoline_kernelINS0_14default_configENS1_27scan_by_key_config_selectorIijEEZZNS1_16scan_by_key_implILNS1_25lookback_scan_determinismE0ELb1ES3_N6thrust23THRUST_200600_302600_NS6detail15normal_iteratorINS9_10device_ptrIiEEEENSB_INSC_IjEEEESG_jNS9_4plusIvEENS9_8equal_toIvEEjEE10hipError_tPvRmT2_T3_T4_T5_mT6_T7_P12ihipStream_tbENKUlT_T0_E_clISt17integral_constantIbLb1EES10_IbLb0EEEEDaSW_SX_EUlSW_E_NS1_11comp_targetILNS1_3genE5ELNS1_11target_archE942ELNS1_3gpuE9ELNS1_3repE0EEENS1_30default_config_static_selectorELNS0_4arch9wavefront6targetE0EEEvT1_
	.globl	_ZN7rocprim17ROCPRIM_400000_NS6detail17trampoline_kernelINS0_14default_configENS1_27scan_by_key_config_selectorIijEEZZNS1_16scan_by_key_implILNS1_25lookback_scan_determinismE0ELb1ES3_N6thrust23THRUST_200600_302600_NS6detail15normal_iteratorINS9_10device_ptrIiEEEENSB_INSC_IjEEEESG_jNS9_4plusIvEENS9_8equal_toIvEEjEE10hipError_tPvRmT2_T3_T4_T5_mT6_T7_P12ihipStream_tbENKUlT_T0_E_clISt17integral_constantIbLb1EES10_IbLb0EEEEDaSW_SX_EUlSW_E_NS1_11comp_targetILNS1_3genE5ELNS1_11target_archE942ELNS1_3gpuE9ELNS1_3repE0EEENS1_30default_config_static_selectorELNS0_4arch9wavefront6targetE0EEEvT1_
	.p2align	8
	.type	_ZN7rocprim17ROCPRIM_400000_NS6detail17trampoline_kernelINS0_14default_configENS1_27scan_by_key_config_selectorIijEEZZNS1_16scan_by_key_implILNS1_25lookback_scan_determinismE0ELb1ES3_N6thrust23THRUST_200600_302600_NS6detail15normal_iteratorINS9_10device_ptrIiEEEENSB_INSC_IjEEEESG_jNS9_4plusIvEENS9_8equal_toIvEEjEE10hipError_tPvRmT2_T3_T4_T5_mT6_T7_P12ihipStream_tbENKUlT_T0_E_clISt17integral_constantIbLb1EES10_IbLb0EEEEDaSW_SX_EUlSW_E_NS1_11comp_targetILNS1_3genE5ELNS1_11target_archE942ELNS1_3gpuE9ELNS1_3repE0EEENS1_30default_config_static_selectorELNS0_4arch9wavefront6targetE0EEEvT1_,@function
_ZN7rocprim17ROCPRIM_400000_NS6detail17trampoline_kernelINS0_14default_configENS1_27scan_by_key_config_selectorIijEEZZNS1_16scan_by_key_implILNS1_25lookback_scan_determinismE0ELb1ES3_N6thrust23THRUST_200600_302600_NS6detail15normal_iteratorINS9_10device_ptrIiEEEENSB_INSC_IjEEEESG_jNS9_4plusIvEENS9_8equal_toIvEEjEE10hipError_tPvRmT2_T3_T4_T5_mT6_T7_P12ihipStream_tbENKUlT_T0_E_clISt17integral_constantIbLb1EES10_IbLb0EEEEDaSW_SX_EUlSW_E_NS1_11comp_targetILNS1_3genE5ELNS1_11target_archE942ELNS1_3gpuE9ELNS1_3repE0EEENS1_30default_config_static_selectorELNS0_4arch9wavefront6targetE0EEEvT1_: ; @_ZN7rocprim17ROCPRIM_400000_NS6detail17trampoline_kernelINS0_14default_configENS1_27scan_by_key_config_selectorIijEEZZNS1_16scan_by_key_implILNS1_25lookback_scan_determinismE0ELb1ES3_N6thrust23THRUST_200600_302600_NS6detail15normal_iteratorINS9_10device_ptrIiEEEENSB_INSC_IjEEEESG_jNS9_4plusIvEENS9_8equal_toIvEEjEE10hipError_tPvRmT2_T3_T4_T5_mT6_T7_P12ihipStream_tbENKUlT_T0_E_clISt17integral_constantIbLb1EES10_IbLb0EEEEDaSW_SX_EUlSW_E_NS1_11comp_targetILNS1_3genE5ELNS1_11target_archE942ELNS1_3gpuE9ELNS1_3repE0EEENS1_30default_config_static_selectorELNS0_4arch9wavefront6targetE0EEEvT1_
; %bb.0:
	.section	.rodata,"a",@progbits
	.p2align	6, 0x0
	.amdhsa_kernel _ZN7rocprim17ROCPRIM_400000_NS6detail17trampoline_kernelINS0_14default_configENS1_27scan_by_key_config_selectorIijEEZZNS1_16scan_by_key_implILNS1_25lookback_scan_determinismE0ELb1ES3_N6thrust23THRUST_200600_302600_NS6detail15normal_iteratorINS9_10device_ptrIiEEEENSB_INSC_IjEEEESG_jNS9_4plusIvEENS9_8equal_toIvEEjEE10hipError_tPvRmT2_T3_T4_T5_mT6_T7_P12ihipStream_tbENKUlT_T0_E_clISt17integral_constantIbLb1EES10_IbLb0EEEEDaSW_SX_EUlSW_E_NS1_11comp_targetILNS1_3genE5ELNS1_11target_archE942ELNS1_3gpuE9ELNS1_3repE0EEENS1_30default_config_static_selectorELNS0_4arch9wavefront6targetE0EEEvT1_
		.amdhsa_group_segment_fixed_size 0
		.amdhsa_private_segment_fixed_size 0
		.amdhsa_kernarg_size 112
		.amdhsa_user_sgpr_count 6
		.amdhsa_user_sgpr_private_segment_buffer 1
		.amdhsa_user_sgpr_dispatch_ptr 0
		.amdhsa_user_sgpr_queue_ptr 0
		.amdhsa_user_sgpr_kernarg_segment_ptr 1
		.amdhsa_user_sgpr_dispatch_id 0
		.amdhsa_user_sgpr_flat_scratch_init 0
		.amdhsa_user_sgpr_private_segment_size 0
		.amdhsa_wavefront_size32 1
		.amdhsa_uses_dynamic_stack 0
		.amdhsa_system_sgpr_private_segment_wavefront_offset 0
		.amdhsa_system_sgpr_workgroup_id_x 1
		.amdhsa_system_sgpr_workgroup_id_y 0
		.amdhsa_system_sgpr_workgroup_id_z 0
		.amdhsa_system_sgpr_workgroup_info 0
		.amdhsa_system_vgpr_workitem_id 0
		.amdhsa_next_free_vgpr 1
		.amdhsa_next_free_sgpr 1
		.amdhsa_reserve_vcc 0
		.amdhsa_reserve_flat_scratch 0
		.amdhsa_float_round_mode_32 0
		.amdhsa_float_round_mode_16_64 0
		.amdhsa_float_denorm_mode_32 3
		.amdhsa_float_denorm_mode_16_64 3
		.amdhsa_dx10_clamp 1
		.amdhsa_ieee_mode 1
		.amdhsa_fp16_overflow 0
		.amdhsa_workgroup_processor_mode 1
		.amdhsa_memory_ordered 1
		.amdhsa_forward_progress 1
		.amdhsa_shared_vgpr_count 0
		.amdhsa_exception_fp_ieee_invalid_op 0
		.amdhsa_exception_fp_denorm_src 0
		.amdhsa_exception_fp_ieee_div_zero 0
		.amdhsa_exception_fp_ieee_overflow 0
		.amdhsa_exception_fp_ieee_underflow 0
		.amdhsa_exception_fp_ieee_inexact 0
		.amdhsa_exception_int_div_zero 0
	.end_amdhsa_kernel
	.section	.text._ZN7rocprim17ROCPRIM_400000_NS6detail17trampoline_kernelINS0_14default_configENS1_27scan_by_key_config_selectorIijEEZZNS1_16scan_by_key_implILNS1_25lookback_scan_determinismE0ELb1ES3_N6thrust23THRUST_200600_302600_NS6detail15normal_iteratorINS9_10device_ptrIiEEEENSB_INSC_IjEEEESG_jNS9_4plusIvEENS9_8equal_toIvEEjEE10hipError_tPvRmT2_T3_T4_T5_mT6_T7_P12ihipStream_tbENKUlT_T0_E_clISt17integral_constantIbLb1EES10_IbLb0EEEEDaSW_SX_EUlSW_E_NS1_11comp_targetILNS1_3genE5ELNS1_11target_archE942ELNS1_3gpuE9ELNS1_3repE0EEENS1_30default_config_static_selectorELNS0_4arch9wavefront6targetE0EEEvT1_,"axG",@progbits,_ZN7rocprim17ROCPRIM_400000_NS6detail17trampoline_kernelINS0_14default_configENS1_27scan_by_key_config_selectorIijEEZZNS1_16scan_by_key_implILNS1_25lookback_scan_determinismE0ELb1ES3_N6thrust23THRUST_200600_302600_NS6detail15normal_iteratorINS9_10device_ptrIiEEEENSB_INSC_IjEEEESG_jNS9_4plusIvEENS9_8equal_toIvEEjEE10hipError_tPvRmT2_T3_T4_T5_mT6_T7_P12ihipStream_tbENKUlT_T0_E_clISt17integral_constantIbLb1EES10_IbLb0EEEEDaSW_SX_EUlSW_E_NS1_11comp_targetILNS1_3genE5ELNS1_11target_archE942ELNS1_3gpuE9ELNS1_3repE0EEENS1_30default_config_static_selectorELNS0_4arch9wavefront6targetE0EEEvT1_,comdat
.Lfunc_end1519:
	.size	_ZN7rocprim17ROCPRIM_400000_NS6detail17trampoline_kernelINS0_14default_configENS1_27scan_by_key_config_selectorIijEEZZNS1_16scan_by_key_implILNS1_25lookback_scan_determinismE0ELb1ES3_N6thrust23THRUST_200600_302600_NS6detail15normal_iteratorINS9_10device_ptrIiEEEENSB_INSC_IjEEEESG_jNS9_4plusIvEENS9_8equal_toIvEEjEE10hipError_tPvRmT2_T3_T4_T5_mT6_T7_P12ihipStream_tbENKUlT_T0_E_clISt17integral_constantIbLb1EES10_IbLb0EEEEDaSW_SX_EUlSW_E_NS1_11comp_targetILNS1_3genE5ELNS1_11target_archE942ELNS1_3gpuE9ELNS1_3repE0EEENS1_30default_config_static_selectorELNS0_4arch9wavefront6targetE0EEEvT1_, .Lfunc_end1519-_ZN7rocprim17ROCPRIM_400000_NS6detail17trampoline_kernelINS0_14default_configENS1_27scan_by_key_config_selectorIijEEZZNS1_16scan_by_key_implILNS1_25lookback_scan_determinismE0ELb1ES3_N6thrust23THRUST_200600_302600_NS6detail15normal_iteratorINS9_10device_ptrIiEEEENSB_INSC_IjEEEESG_jNS9_4plusIvEENS9_8equal_toIvEEjEE10hipError_tPvRmT2_T3_T4_T5_mT6_T7_P12ihipStream_tbENKUlT_T0_E_clISt17integral_constantIbLb1EES10_IbLb0EEEEDaSW_SX_EUlSW_E_NS1_11comp_targetILNS1_3genE5ELNS1_11target_archE942ELNS1_3gpuE9ELNS1_3repE0EEENS1_30default_config_static_selectorELNS0_4arch9wavefront6targetE0EEEvT1_
                                        ; -- End function
	.set _ZN7rocprim17ROCPRIM_400000_NS6detail17trampoline_kernelINS0_14default_configENS1_27scan_by_key_config_selectorIijEEZZNS1_16scan_by_key_implILNS1_25lookback_scan_determinismE0ELb1ES3_N6thrust23THRUST_200600_302600_NS6detail15normal_iteratorINS9_10device_ptrIiEEEENSB_INSC_IjEEEESG_jNS9_4plusIvEENS9_8equal_toIvEEjEE10hipError_tPvRmT2_T3_T4_T5_mT6_T7_P12ihipStream_tbENKUlT_T0_E_clISt17integral_constantIbLb1EES10_IbLb0EEEEDaSW_SX_EUlSW_E_NS1_11comp_targetILNS1_3genE5ELNS1_11target_archE942ELNS1_3gpuE9ELNS1_3repE0EEENS1_30default_config_static_selectorELNS0_4arch9wavefront6targetE0EEEvT1_.num_vgpr, 0
	.set _ZN7rocprim17ROCPRIM_400000_NS6detail17trampoline_kernelINS0_14default_configENS1_27scan_by_key_config_selectorIijEEZZNS1_16scan_by_key_implILNS1_25lookback_scan_determinismE0ELb1ES3_N6thrust23THRUST_200600_302600_NS6detail15normal_iteratorINS9_10device_ptrIiEEEENSB_INSC_IjEEEESG_jNS9_4plusIvEENS9_8equal_toIvEEjEE10hipError_tPvRmT2_T3_T4_T5_mT6_T7_P12ihipStream_tbENKUlT_T0_E_clISt17integral_constantIbLb1EES10_IbLb0EEEEDaSW_SX_EUlSW_E_NS1_11comp_targetILNS1_3genE5ELNS1_11target_archE942ELNS1_3gpuE9ELNS1_3repE0EEENS1_30default_config_static_selectorELNS0_4arch9wavefront6targetE0EEEvT1_.num_agpr, 0
	.set _ZN7rocprim17ROCPRIM_400000_NS6detail17trampoline_kernelINS0_14default_configENS1_27scan_by_key_config_selectorIijEEZZNS1_16scan_by_key_implILNS1_25lookback_scan_determinismE0ELb1ES3_N6thrust23THRUST_200600_302600_NS6detail15normal_iteratorINS9_10device_ptrIiEEEENSB_INSC_IjEEEESG_jNS9_4plusIvEENS9_8equal_toIvEEjEE10hipError_tPvRmT2_T3_T4_T5_mT6_T7_P12ihipStream_tbENKUlT_T0_E_clISt17integral_constantIbLb1EES10_IbLb0EEEEDaSW_SX_EUlSW_E_NS1_11comp_targetILNS1_3genE5ELNS1_11target_archE942ELNS1_3gpuE9ELNS1_3repE0EEENS1_30default_config_static_selectorELNS0_4arch9wavefront6targetE0EEEvT1_.numbered_sgpr, 0
	.set _ZN7rocprim17ROCPRIM_400000_NS6detail17trampoline_kernelINS0_14default_configENS1_27scan_by_key_config_selectorIijEEZZNS1_16scan_by_key_implILNS1_25lookback_scan_determinismE0ELb1ES3_N6thrust23THRUST_200600_302600_NS6detail15normal_iteratorINS9_10device_ptrIiEEEENSB_INSC_IjEEEESG_jNS9_4plusIvEENS9_8equal_toIvEEjEE10hipError_tPvRmT2_T3_T4_T5_mT6_T7_P12ihipStream_tbENKUlT_T0_E_clISt17integral_constantIbLb1EES10_IbLb0EEEEDaSW_SX_EUlSW_E_NS1_11comp_targetILNS1_3genE5ELNS1_11target_archE942ELNS1_3gpuE9ELNS1_3repE0EEENS1_30default_config_static_selectorELNS0_4arch9wavefront6targetE0EEEvT1_.num_named_barrier, 0
	.set _ZN7rocprim17ROCPRIM_400000_NS6detail17trampoline_kernelINS0_14default_configENS1_27scan_by_key_config_selectorIijEEZZNS1_16scan_by_key_implILNS1_25lookback_scan_determinismE0ELb1ES3_N6thrust23THRUST_200600_302600_NS6detail15normal_iteratorINS9_10device_ptrIiEEEENSB_INSC_IjEEEESG_jNS9_4plusIvEENS9_8equal_toIvEEjEE10hipError_tPvRmT2_T3_T4_T5_mT6_T7_P12ihipStream_tbENKUlT_T0_E_clISt17integral_constantIbLb1EES10_IbLb0EEEEDaSW_SX_EUlSW_E_NS1_11comp_targetILNS1_3genE5ELNS1_11target_archE942ELNS1_3gpuE9ELNS1_3repE0EEENS1_30default_config_static_selectorELNS0_4arch9wavefront6targetE0EEEvT1_.private_seg_size, 0
	.set _ZN7rocprim17ROCPRIM_400000_NS6detail17trampoline_kernelINS0_14default_configENS1_27scan_by_key_config_selectorIijEEZZNS1_16scan_by_key_implILNS1_25lookback_scan_determinismE0ELb1ES3_N6thrust23THRUST_200600_302600_NS6detail15normal_iteratorINS9_10device_ptrIiEEEENSB_INSC_IjEEEESG_jNS9_4plusIvEENS9_8equal_toIvEEjEE10hipError_tPvRmT2_T3_T4_T5_mT6_T7_P12ihipStream_tbENKUlT_T0_E_clISt17integral_constantIbLb1EES10_IbLb0EEEEDaSW_SX_EUlSW_E_NS1_11comp_targetILNS1_3genE5ELNS1_11target_archE942ELNS1_3gpuE9ELNS1_3repE0EEENS1_30default_config_static_selectorELNS0_4arch9wavefront6targetE0EEEvT1_.uses_vcc, 0
	.set _ZN7rocprim17ROCPRIM_400000_NS6detail17trampoline_kernelINS0_14default_configENS1_27scan_by_key_config_selectorIijEEZZNS1_16scan_by_key_implILNS1_25lookback_scan_determinismE0ELb1ES3_N6thrust23THRUST_200600_302600_NS6detail15normal_iteratorINS9_10device_ptrIiEEEENSB_INSC_IjEEEESG_jNS9_4plusIvEENS9_8equal_toIvEEjEE10hipError_tPvRmT2_T3_T4_T5_mT6_T7_P12ihipStream_tbENKUlT_T0_E_clISt17integral_constantIbLb1EES10_IbLb0EEEEDaSW_SX_EUlSW_E_NS1_11comp_targetILNS1_3genE5ELNS1_11target_archE942ELNS1_3gpuE9ELNS1_3repE0EEENS1_30default_config_static_selectorELNS0_4arch9wavefront6targetE0EEEvT1_.uses_flat_scratch, 0
	.set _ZN7rocprim17ROCPRIM_400000_NS6detail17trampoline_kernelINS0_14default_configENS1_27scan_by_key_config_selectorIijEEZZNS1_16scan_by_key_implILNS1_25lookback_scan_determinismE0ELb1ES3_N6thrust23THRUST_200600_302600_NS6detail15normal_iteratorINS9_10device_ptrIiEEEENSB_INSC_IjEEEESG_jNS9_4plusIvEENS9_8equal_toIvEEjEE10hipError_tPvRmT2_T3_T4_T5_mT6_T7_P12ihipStream_tbENKUlT_T0_E_clISt17integral_constantIbLb1EES10_IbLb0EEEEDaSW_SX_EUlSW_E_NS1_11comp_targetILNS1_3genE5ELNS1_11target_archE942ELNS1_3gpuE9ELNS1_3repE0EEENS1_30default_config_static_selectorELNS0_4arch9wavefront6targetE0EEEvT1_.has_dyn_sized_stack, 0
	.set _ZN7rocprim17ROCPRIM_400000_NS6detail17trampoline_kernelINS0_14default_configENS1_27scan_by_key_config_selectorIijEEZZNS1_16scan_by_key_implILNS1_25lookback_scan_determinismE0ELb1ES3_N6thrust23THRUST_200600_302600_NS6detail15normal_iteratorINS9_10device_ptrIiEEEENSB_INSC_IjEEEESG_jNS9_4plusIvEENS9_8equal_toIvEEjEE10hipError_tPvRmT2_T3_T4_T5_mT6_T7_P12ihipStream_tbENKUlT_T0_E_clISt17integral_constantIbLb1EES10_IbLb0EEEEDaSW_SX_EUlSW_E_NS1_11comp_targetILNS1_3genE5ELNS1_11target_archE942ELNS1_3gpuE9ELNS1_3repE0EEENS1_30default_config_static_selectorELNS0_4arch9wavefront6targetE0EEEvT1_.has_recursion, 0
	.set _ZN7rocprim17ROCPRIM_400000_NS6detail17trampoline_kernelINS0_14default_configENS1_27scan_by_key_config_selectorIijEEZZNS1_16scan_by_key_implILNS1_25lookback_scan_determinismE0ELb1ES3_N6thrust23THRUST_200600_302600_NS6detail15normal_iteratorINS9_10device_ptrIiEEEENSB_INSC_IjEEEESG_jNS9_4plusIvEENS9_8equal_toIvEEjEE10hipError_tPvRmT2_T3_T4_T5_mT6_T7_P12ihipStream_tbENKUlT_T0_E_clISt17integral_constantIbLb1EES10_IbLb0EEEEDaSW_SX_EUlSW_E_NS1_11comp_targetILNS1_3genE5ELNS1_11target_archE942ELNS1_3gpuE9ELNS1_3repE0EEENS1_30default_config_static_selectorELNS0_4arch9wavefront6targetE0EEEvT1_.has_indirect_call, 0
	.section	.AMDGPU.csdata,"",@progbits
; Kernel info:
; codeLenInByte = 0
; TotalNumSgprs: 0
; NumVgprs: 0
; ScratchSize: 0
; MemoryBound: 0
; FloatMode: 240
; IeeeMode: 1
; LDSByteSize: 0 bytes/workgroup (compile time only)
; SGPRBlocks: 0
; VGPRBlocks: 0
; NumSGPRsForWavesPerEU: 1
; NumVGPRsForWavesPerEU: 1
; Occupancy: 16
; WaveLimiterHint : 0
; COMPUTE_PGM_RSRC2:SCRATCH_EN: 0
; COMPUTE_PGM_RSRC2:USER_SGPR: 6
; COMPUTE_PGM_RSRC2:TRAP_HANDLER: 0
; COMPUTE_PGM_RSRC2:TGID_X_EN: 1
; COMPUTE_PGM_RSRC2:TGID_Y_EN: 0
; COMPUTE_PGM_RSRC2:TGID_Z_EN: 0
; COMPUTE_PGM_RSRC2:TIDIG_COMP_CNT: 0
	.section	.text._ZN7rocprim17ROCPRIM_400000_NS6detail17trampoline_kernelINS0_14default_configENS1_27scan_by_key_config_selectorIijEEZZNS1_16scan_by_key_implILNS1_25lookback_scan_determinismE0ELb1ES3_N6thrust23THRUST_200600_302600_NS6detail15normal_iteratorINS9_10device_ptrIiEEEENSB_INSC_IjEEEESG_jNS9_4plusIvEENS9_8equal_toIvEEjEE10hipError_tPvRmT2_T3_T4_T5_mT6_T7_P12ihipStream_tbENKUlT_T0_E_clISt17integral_constantIbLb1EES10_IbLb0EEEEDaSW_SX_EUlSW_E_NS1_11comp_targetILNS1_3genE4ELNS1_11target_archE910ELNS1_3gpuE8ELNS1_3repE0EEENS1_30default_config_static_selectorELNS0_4arch9wavefront6targetE0EEEvT1_,"axG",@progbits,_ZN7rocprim17ROCPRIM_400000_NS6detail17trampoline_kernelINS0_14default_configENS1_27scan_by_key_config_selectorIijEEZZNS1_16scan_by_key_implILNS1_25lookback_scan_determinismE0ELb1ES3_N6thrust23THRUST_200600_302600_NS6detail15normal_iteratorINS9_10device_ptrIiEEEENSB_INSC_IjEEEESG_jNS9_4plusIvEENS9_8equal_toIvEEjEE10hipError_tPvRmT2_T3_T4_T5_mT6_T7_P12ihipStream_tbENKUlT_T0_E_clISt17integral_constantIbLb1EES10_IbLb0EEEEDaSW_SX_EUlSW_E_NS1_11comp_targetILNS1_3genE4ELNS1_11target_archE910ELNS1_3gpuE8ELNS1_3repE0EEENS1_30default_config_static_selectorELNS0_4arch9wavefront6targetE0EEEvT1_,comdat
	.protected	_ZN7rocprim17ROCPRIM_400000_NS6detail17trampoline_kernelINS0_14default_configENS1_27scan_by_key_config_selectorIijEEZZNS1_16scan_by_key_implILNS1_25lookback_scan_determinismE0ELb1ES3_N6thrust23THRUST_200600_302600_NS6detail15normal_iteratorINS9_10device_ptrIiEEEENSB_INSC_IjEEEESG_jNS9_4plusIvEENS9_8equal_toIvEEjEE10hipError_tPvRmT2_T3_T4_T5_mT6_T7_P12ihipStream_tbENKUlT_T0_E_clISt17integral_constantIbLb1EES10_IbLb0EEEEDaSW_SX_EUlSW_E_NS1_11comp_targetILNS1_3genE4ELNS1_11target_archE910ELNS1_3gpuE8ELNS1_3repE0EEENS1_30default_config_static_selectorELNS0_4arch9wavefront6targetE0EEEvT1_ ; -- Begin function _ZN7rocprim17ROCPRIM_400000_NS6detail17trampoline_kernelINS0_14default_configENS1_27scan_by_key_config_selectorIijEEZZNS1_16scan_by_key_implILNS1_25lookback_scan_determinismE0ELb1ES3_N6thrust23THRUST_200600_302600_NS6detail15normal_iteratorINS9_10device_ptrIiEEEENSB_INSC_IjEEEESG_jNS9_4plusIvEENS9_8equal_toIvEEjEE10hipError_tPvRmT2_T3_T4_T5_mT6_T7_P12ihipStream_tbENKUlT_T0_E_clISt17integral_constantIbLb1EES10_IbLb0EEEEDaSW_SX_EUlSW_E_NS1_11comp_targetILNS1_3genE4ELNS1_11target_archE910ELNS1_3gpuE8ELNS1_3repE0EEENS1_30default_config_static_selectorELNS0_4arch9wavefront6targetE0EEEvT1_
	.globl	_ZN7rocprim17ROCPRIM_400000_NS6detail17trampoline_kernelINS0_14default_configENS1_27scan_by_key_config_selectorIijEEZZNS1_16scan_by_key_implILNS1_25lookback_scan_determinismE0ELb1ES3_N6thrust23THRUST_200600_302600_NS6detail15normal_iteratorINS9_10device_ptrIiEEEENSB_INSC_IjEEEESG_jNS9_4plusIvEENS9_8equal_toIvEEjEE10hipError_tPvRmT2_T3_T4_T5_mT6_T7_P12ihipStream_tbENKUlT_T0_E_clISt17integral_constantIbLb1EES10_IbLb0EEEEDaSW_SX_EUlSW_E_NS1_11comp_targetILNS1_3genE4ELNS1_11target_archE910ELNS1_3gpuE8ELNS1_3repE0EEENS1_30default_config_static_selectorELNS0_4arch9wavefront6targetE0EEEvT1_
	.p2align	8
	.type	_ZN7rocprim17ROCPRIM_400000_NS6detail17trampoline_kernelINS0_14default_configENS1_27scan_by_key_config_selectorIijEEZZNS1_16scan_by_key_implILNS1_25lookback_scan_determinismE0ELb1ES3_N6thrust23THRUST_200600_302600_NS6detail15normal_iteratorINS9_10device_ptrIiEEEENSB_INSC_IjEEEESG_jNS9_4plusIvEENS9_8equal_toIvEEjEE10hipError_tPvRmT2_T3_T4_T5_mT6_T7_P12ihipStream_tbENKUlT_T0_E_clISt17integral_constantIbLb1EES10_IbLb0EEEEDaSW_SX_EUlSW_E_NS1_11comp_targetILNS1_3genE4ELNS1_11target_archE910ELNS1_3gpuE8ELNS1_3repE0EEENS1_30default_config_static_selectorELNS0_4arch9wavefront6targetE0EEEvT1_,@function
_ZN7rocprim17ROCPRIM_400000_NS6detail17trampoline_kernelINS0_14default_configENS1_27scan_by_key_config_selectorIijEEZZNS1_16scan_by_key_implILNS1_25lookback_scan_determinismE0ELb1ES3_N6thrust23THRUST_200600_302600_NS6detail15normal_iteratorINS9_10device_ptrIiEEEENSB_INSC_IjEEEESG_jNS9_4plusIvEENS9_8equal_toIvEEjEE10hipError_tPvRmT2_T3_T4_T5_mT6_T7_P12ihipStream_tbENKUlT_T0_E_clISt17integral_constantIbLb1EES10_IbLb0EEEEDaSW_SX_EUlSW_E_NS1_11comp_targetILNS1_3genE4ELNS1_11target_archE910ELNS1_3gpuE8ELNS1_3repE0EEENS1_30default_config_static_selectorELNS0_4arch9wavefront6targetE0EEEvT1_: ; @_ZN7rocprim17ROCPRIM_400000_NS6detail17trampoline_kernelINS0_14default_configENS1_27scan_by_key_config_selectorIijEEZZNS1_16scan_by_key_implILNS1_25lookback_scan_determinismE0ELb1ES3_N6thrust23THRUST_200600_302600_NS6detail15normal_iteratorINS9_10device_ptrIiEEEENSB_INSC_IjEEEESG_jNS9_4plusIvEENS9_8equal_toIvEEjEE10hipError_tPvRmT2_T3_T4_T5_mT6_T7_P12ihipStream_tbENKUlT_T0_E_clISt17integral_constantIbLb1EES10_IbLb0EEEEDaSW_SX_EUlSW_E_NS1_11comp_targetILNS1_3genE4ELNS1_11target_archE910ELNS1_3gpuE8ELNS1_3repE0EEENS1_30default_config_static_selectorELNS0_4arch9wavefront6targetE0EEEvT1_
; %bb.0:
	.section	.rodata,"a",@progbits
	.p2align	6, 0x0
	.amdhsa_kernel _ZN7rocprim17ROCPRIM_400000_NS6detail17trampoline_kernelINS0_14default_configENS1_27scan_by_key_config_selectorIijEEZZNS1_16scan_by_key_implILNS1_25lookback_scan_determinismE0ELb1ES3_N6thrust23THRUST_200600_302600_NS6detail15normal_iteratorINS9_10device_ptrIiEEEENSB_INSC_IjEEEESG_jNS9_4plusIvEENS9_8equal_toIvEEjEE10hipError_tPvRmT2_T3_T4_T5_mT6_T7_P12ihipStream_tbENKUlT_T0_E_clISt17integral_constantIbLb1EES10_IbLb0EEEEDaSW_SX_EUlSW_E_NS1_11comp_targetILNS1_3genE4ELNS1_11target_archE910ELNS1_3gpuE8ELNS1_3repE0EEENS1_30default_config_static_selectorELNS0_4arch9wavefront6targetE0EEEvT1_
		.amdhsa_group_segment_fixed_size 0
		.amdhsa_private_segment_fixed_size 0
		.amdhsa_kernarg_size 112
		.amdhsa_user_sgpr_count 6
		.amdhsa_user_sgpr_private_segment_buffer 1
		.amdhsa_user_sgpr_dispatch_ptr 0
		.amdhsa_user_sgpr_queue_ptr 0
		.amdhsa_user_sgpr_kernarg_segment_ptr 1
		.amdhsa_user_sgpr_dispatch_id 0
		.amdhsa_user_sgpr_flat_scratch_init 0
		.amdhsa_user_sgpr_private_segment_size 0
		.amdhsa_wavefront_size32 1
		.amdhsa_uses_dynamic_stack 0
		.amdhsa_system_sgpr_private_segment_wavefront_offset 0
		.amdhsa_system_sgpr_workgroup_id_x 1
		.amdhsa_system_sgpr_workgroup_id_y 0
		.amdhsa_system_sgpr_workgroup_id_z 0
		.amdhsa_system_sgpr_workgroup_info 0
		.amdhsa_system_vgpr_workitem_id 0
		.amdhsa_next_free_vgpr 1
		.amdhsa_next_free_sgpr 1
		.amdhsa_reserve_vcc 0
		.amdhsa_reserve_flat_scratch 0
		.amdhsa_float_round_mode_32 0
		.amdhsa_float_round_mode_16_64 0
		.amdhsa_float_denorm_mode_32 3
		.amdhsa_float_denorm_mode_16_64 3
		.amdhsa_dx10_clamp 1
		.amdhsa_ieee_mode 1
		.amdhsa_fp16_overflow 0
		.amdhsa_workgroup_processor_mode 1
		.amdhsa_memory_ordered 1
		.amdhsa_forward_progress 1
		.amdhsa_shared_vgpr_count 0
		.amdhsa_exception_fp_ieee_invalid_op 0
		.amdhsa_exception_fp_denorm_src 0
		.amdhsa_exception_fp_ieee_div_zero 0
		.amdhsa_exception_fp_ieee_overflow 0
		.amdhsa_exception_fp_ieee_underflow 0
		.amdhsa_exception_fp_ieee_inexact 0
		.amdhsa_exception_int_div_zero 0
	.end_amdhsa_kernel
	.section	.text._ZN7rocprim17ROCPRIM_400000_NS6detail17trampoline_kernelINS0_14default_configENS1_27scan_by_key_config_selectorIijEEZZNS1_16scan_by_key_implILNS1_25lookback_scan_determinismE0ELb1ES3_N6thrust23THRUST_200600_302600_NS6detail15normal_iteratorINS9_10device_ptrIiEEEENSB_INSC_IjEEEESG_jNS9_4plusIvEENS9_8equal_toIvEEjEE10hipError_tPvRmT2_T3_T4_T5_mT6_T7_P12ihipStream_tbENKUlT_T0_E_clISt17integral_constantIbLb1EES10_IbLb0EEEEDaSW_SX_EUlSW_E_NS1_11comp_targetILNS1_3genE4ELNS1_11target_archE910ELNS1_3gpuE8ELNS1_3repE0EEENS1_30default_config_static_selectorELNS0_4arch9wavefront6targetE0EEEvT1_,"axG",@progbits,_ZN7rocprim17ROCPRIM_400000_NS6detail17trampoline_kernelINS0_14default_configENS1_27scan_by_key_config_selectorIijEEZZNS1_16scan_by_key_implILNS1_25lookback_scan_determinismE0ELb1ES3_N6thrust23THRUST_200600_302600_NS6detail15normal_iteratorINS9_10device_ptrIiEEEENSB_INSC_IjEEEESG_jNS9_4plusIvEENS9_8equal_toIvEEjEE10hipError_tPvRmT2_T3_T4_T5_mT6_T7_P12ihipStream_tbENKUlT_T0_E_clISt17integral_constantIbLb1EES10_IbLb0EEEEDaSW_SX_EUlSW_E_NS1_11comp_targetILNS1_3genE4ELNS1_11target_archE910ELNS1_3gpuE8ELNS1_3repE0EEENS1_30default_config_static_selectorELNS0_4arch9wavefront6targetE0EEEvT1_,comdat
.Lfunc_end1520:
	.size	_ZN7rocprim17ROCPRIM_400000_NS6detail17trampoline_kernelINS0_14default_configENS1_27scan_by_key_config_selectorIijEEZZNS1_16scan_by_key_implILNS1_25lookback_scan_determinismE0ELb1ES3_N6thrust23THRUST_200600_302600_NS6detail15normal_iteratorINS9_10device_ptrIiEEEENSB_INSC_IjEEEESG_jNS9_4plusIvEENS9_8equal_toIvEEjEE10hipError_tPvRmT2_T3_T4_T5_mT6_T7_P12ihipStream_tbENKUlT_T0_E_clISt17integral_constantIbLb1EES10_IbLb0EEEEDaSW_SX_EUlSW_E_NS1_11comp_targetILNS1_3genE4ELNS1_11target_archE910ELNS1_3gpuE8ELNS1_3repE0EEENS1_30default_config_static_selectorELNS0_4arch9wavefront6targetE0EEEvT1_, .Lfunc_end1520-_ZN7rocprim17ROCPRIM_400000_NS6detail17trampoline_kernelINS0_14default_configENS1_27scan_by_key_config_selectorIijEEZZNS1_16scan_by_key_implILNS1_25lookback_scan_determinismE0ELb1ES3_N6thrust23THRUST_200600_302600_NS6detail15normal_iteratorINS9_10device_ptrIiEEEENSB_INSC_IjEEEESG_jNS9_4plusIvEENS9_8equal_toIvEEjEE10hipError_tPvRmT2_T3_T4_T5_mT6_T7_P12ihipStream_tbENKUlT_T0_E_clISt17integral_constantIbLb1EES10_IbLb0EEEEDaSW_SX_EUlSW_E_NS1_11comp_targetILNS1_3genE4ELNS1_11target_archE910ELNS1_3gpuE8ELNS1_3repE0EEENS1_30default_config_static_selectorELNS0_4arch9wavefront6targetE0EEEvT1_
                                        ; -- End function
	.set _ZN7rocprim17ROCPRIM_400000_NS6detail17trampoline_kernelINS0_14default_configENS1_27scan_by_key_config_selectorIijEEZZNS1_16scan_by_key_implILNS1_25lookback_scan_determinismE0ELb1ES3_N6thrust23THRUST_200600_302600_NS6detail15normal_iteratorINS9_10device_ptrIiEEEENSB_INSC_IjEEEESG_jNS9_4plusIvEENS9_8equal_toIvEEjEE10hipError_tPvRmT2_T3_T4_T5_mT6_T7_P12ihipStream_tbENKUlT_T0_E_clISt17integral_constantIbLb1EES10_IbLb0EEEEDaSW_SX_EUlSW_E_NS1_11comp_targetILNS1_3genE4ELNS1_11target_archE910ELNS1_3gpuE8ELNS1_3repE0EEENS1_30default_config_static_selectorELNS0_4arch9wavefront6targetE0EEEvT1_.num_vgpr, 0
	.set _ZN7rocprim17ROCPRIM_400000_NS6detail17trampoline_kernelINS0_14default_configENS1_27scan_by_key_config_selectorIijEEZZNS1_16scan_by_key_implILNS1_25lookback_scan_determinismE0ELb1ES3_N6thrust23THRUST_200600_302600_NS6detail15normal_iteratorINS9_10device_ptrIiEEEENSB_INSC_IjEEEESG_jNS9_4plusIvEENS9_8equal_toIvEEjEE10hipError_tPvRmT2_T3_T4_T5_mT6_T7_P12ihipStream_tbENKUlT_T0_E_clISt17integral_constantIbLb1EES10_IbLb0EEEEDaSW_SX_EUlSW_E_NS1_11comp_targetILNS1_3genE4ELNS1_11target_archE910ELNS1_3gpuE8ELNS1_3repE0EEENS1_30default_config_static_selectorELNS0_4arch9wavefront6targetE0EEEvT1_.num_agpr, 0
	.set _ZN7rocprim17ROCPRIM_400000_NS6detail17trampoline_kernelINS0_14default_configENS1_27scan_by_key_config_selectorIijEEZZNS1_16scan_by_key_implILNS1_25lookback_scan_determinismE0ELb1ES3_N6thrust23THRUST_200600_302600_NS6detail15normal_iteratorINS9_10device_ptrIiEEEENSB_INSC_IjEEEESG_jNS9_4plusIvEENS9_8equal_toIvEEjEE10hipError_tPvRmT2_T3_T4_T5_mT6_T7_P12ihipStream_tbENKUlT_T0_E_clISt17integral_constantIbLb1EES10_IbLb0EEEEDaSW_SX_EUlSW_E_NS1_11comp_targetILNS1_3genE4ELNS1_11target_archE910ELNS1_3gpuE8ELNS1_3repE0EEENS1_30default_config_static_selectorELNS0_4arch9wavefront6targetE0EEEvT1_.numbered_sgpr, 0
	.set _ZN7rocprim17ROCPRIM_400000_NS6detail17trampoline_kernelINS0_14default_configENS1_27scan_by_key_config_selectorIijEEZZNS1_16scan_by_key_implILNS1_25lookback_scan_determinismE0ELb1ES3_N6thrust23THRUST_200600_302600_NS6detail15normal_iteratorINS9_10device_ptrIiEEEENSB_INSC_IjEEEESG_jNS9_4plusIvEENS9_8equal_toIvEEjEE10hipError_tPvRmT2_T3_T4_T5_mT6_T7_P12ihipStream_tbENKUlT_T0_E_clISt17integral_constantIbLb1EES10_IbLb0EEEEDaSW_SX_EUlSW_E_NS1_11comp_targetILNS1_3genE4ELNS1_11target_archE910ELNS1_3gpuE8ELNS1_3repE0EEENS1_30default_config_static_selectorELNS0_4arch9wavefront6targetE0EEEvT1_.num_named_barrier, 0
	.set _ZN7rocprim17ROCPRIM_400000_NS6detail17trampoline_kernelINS0_14default_configENS1_27scan_by_key_config_selectorIijEEZZNS1_16scan_by_key_implILNS1_25lookback_scan_determinismE0ELb1ES3_N6thrust23THRUST_200600_302600_NS6detail15normal_iteratorINS9_10device_ptrIiEEEENSB_INSC_IjEEEESG_jNS9_4plusIvEENS9_8equal_toIvEEjEE10hipError_tPvRmT2_T3_T4_T5_mT6_T7_P12ihipStream_tbENKUlT_T0_E_clISt17integral_constantIbLb1EES10_IbLb0EEEEDaSW_SX_EUlSW_E_NS1_11comp_targetILNS1_3genE4ELNS1_11target_archE910ELNS1_3gpuE8ELNS1_3repE0EEENS1_30default_config_static_selectorELNS0_4arch9wavefront6targetE0EEEvT1_.private_seg_size, 0
	.set _ZN7rocprim17ROCPRIM_400000_NS6detail17trampoline_kernelINS0_14default_configENS1_27scan_by_key_config_selectorIijEEZZNS1_16scan_by_key_implILNS1_25lookback_scan_determinismE0ELb1ES3_N6thrust23THRUST_200600_302600_NS6detail15normal_iteratorINS9_10device_ptrIiEEEENSB_INSC_IjEEEESG_jNS9_4plusIvEENS9_8equal_toIvEEjEE10hipError_tPvRmT2_T3_T4_T5_mT6_T7_P12ihipStream_tbENKUlT_T0_E_clISt17integral_constantIbLb1EES10_IbLb0EEEEDaSW_SX_EUlSW_E_NS1_11comp_targetILNS1_3genE4ELNS1_11target_archE910ELNS1_3gpuE8ELNS1_3repE0EEENS1_30default_config_static_selectorELNS0_4arch9wavefront6targetE0EEEvT1_.uses_vcc, 0
	.set _ZN7rocprim17ROCPRIM_400000_NS6detail17trampoline_kernelINS0_14default_configENS1_27scan_by_key_config_selectorIijEEZZNS1_16scan_by_key_implILNS1_25lookback_scan_determinismE0ELb1ES3_N6thrust23THRUST_200600_302600_NS6detail15normal_iteratorINS9_10device_ptrIiEEEENSB_INSC_IjEEEESG_jNS9_4plusIvEENS9_8equal_toIvEEjEE10hipError_tPvRmT2_T3_T4_T5_mT6_T7_P12ihipStream_tbENKUlT_T0_E_clISt17integral_constantIbLb1EES10_IbLb0EEEEDaSW_SX_EUlSW_E_NS1_11comp_targetILNS1_3genE4ELNS1_11target_archE910ELNS1_3gpuE8ELNS1_3repE0EEENS1_30default_config_static_selectorELNS0_4arch9wavefront6targetE0EEEvT1_.uses_flat_scratch, 0
	.set _ZN7rocprim17ROCPRIM_400000_NS6detail17trampoline_kernelINS0_14default_configENS1_27scan_by_key_config_selectorIijEEZZNS1_16scan_by_key_implILNS1_25lookback_scan_determinismE0ELb1ES3_N6thrust23THRUST_200600_302600_NS6detail15normal_iteratorINS9_10device_ptrIiEEEENSB_INSC_IjEEEESG_jNS9_4plusIvEENS9_8equal_toIvEEjEE10hipError_tPvRmT2_T3_T4_T5_mT6_T7_P12ihipStream_tbENKUlT_T0_E_clISt17integral_constantIbLb1EES10_IbLb0EEEEDaSW_SX_EUlSW_E_NS1_11comp_targetILNS1_3genE4ELNS1_11target_archE910ELNS1_3gpuE8ELNS1_3repE0EEENS1_30default_config_static_selectorELNS0_4arch9wavefront6targetE0EEEvT1_.has_dyn_sized_stack, 0
	.set _ZN7rocprim17ROCPRIM_400000_NS6detail17trampoline_kernelINS0_14default_configENS1_27scan_by_key_config_selectorIijEEZZNS1_16scan_by_key_implILNS1_25lookback_scan_determinismE0ELb1ES3_N6thrust23THRUST_200600_302600_NS6detail15normal_iteratorINS9_10device_ptrIiEEEENSB_INSC_IjEEEESG_jNS9_4plusIvEENS9_8equal_toIvEEjEE10hipError_tPvRmT2_T3_T4_T5_mT6_T7_P12ihipStream_tbENKUlT_T0_E_clISt17integral_constantIbLb1EES10_IbLb0EEEEDaSW_SX_EUlSW_E_NS1_11comp_targetILNS1_3genE4ELNS1_11target_archE910ELNS1_3gpuE8ELNS1_3repE0EEENS1_30default_config_static_selectorELNS0_4arch9wavefront6targetE0EEEvT1_.has_recursion, 0
	.set _ZN7rocprim17ROCPRIM_400000_NS6detail17trampoline_kernelINS0_14default_configENS1_27scan_by_key_config_selectorIijEEZZNS1_16scan_by_key_implILNS1_25lookback_scan_determinismE0ELb1ES3_N6thrust23THRUST_200600_302600_NS6detail15normal_iteratorINS9_10device_ptrIiEEEENSB_INSC_IjEEEESG_jNS9_4plusIvEENS9_8equal_toIvEEjEE10hipError_tPvRmT2_T3_T4_T5_mT6_T7_P12ihipStream_tbENKUlT_T0_E_clISt17integral_constantIbLb1EES10_IbLb0EEEEDaSW_SX_EUlSW_E_NS1_11comp_targetILNS1_3genE4ELNS1_11target_archE910ELNS1_3gpuE8ELNS1_3repE0EEENS1_30default_config_static_selectorELNS0_4arch9wavefront6targetE0EEEvT1_.has_indirect_call, 0
	.section	.AMDGPU.csdata,"",@progbits
; Kernel info:
; codeLenInByte = 0
; TotalNumSgprs: 0
; NumVgprs: 0
; ScratchSize: 0
; MemoryBound: 0
; FloatMode: 240
; IeeeMode: 1
; LDSByteSize: 0 bytes/workgroup (compile time only)
; SGPRBlocks: 0
; VGPRBlocks: 0
; NumSGPRsForWavesPerEU: 1
; NumVGPRsForWavesPerEU: 1
; Occupancy: 16
; WaveLimiterHint : 0
; COMPUTE_PGM_RSRC2:SCRATCH_EN: 0
; COMPUTE_PGM_RSRC2:USER_SGPR: 6
; COMPUTE_PGM_RSRC2:TRAP_HANDLER: 0
; COMPUTE_PGM_RSRC2:TGID_X_EN: 1
; COMPUTE_PGM_RSRC2:TGID_Y_EN: 0
; COMPUTE_PGM_RSRC2:TGID_Z_EN: 0
; COMPUTE_PGM_RSRC2:TIDIG_COMP_CNT: 0
	.section	.text._ZN7rocprim17ROCPRIM_400000_NS6detail17trampoline_kernelINS0_14default_configENS1_27scan_by_key_config_selectorIijEEZZNS1_16scan_by_key_implILNS1_25lookback_scan_determinismE0ELb1ES3_N6thrust23THRUST_200600_302600_NS6detail15normal_iteratorINS9_10device_ptrIiEEEENSB_INSC_IjEEEESG_jNS9_4plusIvEENS9_8equal_toIvEEjEE10hipError_tPvRmT2_T3_T4_T5_mT6_T7_P12ihipStream_tbENKUlT_T0_E_clISt17integral_constantIbLb1EES10_IbLb0EEEEDaSW_SX_EUlSW_E_NS1_11comp_targetILNS1_3genE3ELNS1_11target_archE908ELNS1_3gpuE7ELNS1_3repE0EEENS1_30default_config_static_selectorELNS0_4arch9wavefront6targetE0EEEvT1_,"axG",@progbits,_ZN7rocprim17ROCPRIM_400000_NS6detail17trampoline_kernelINS0_14default_configENS1_27scan_by_key_config_selectorIijEEZZNS1_16scan_by_key_implILNS1_25lookback_scan_determinismE0ELb1ES3_N6thrust23THRUST_200600_302600_NS6detail15normal_iteratorINS9_10device_ptrIiEEEENSB_INSC_IjEEEESG_jNS9_4plusIvEENS9_8equal_toIvEEjEE10hipError_tPvRmT2_T3_T4_T5_mT6_T7_P12ihipStream_tbENKUlT_T0_E_clISt17integral_constantIbLb1EES10_IbLb0EEEEDaSW_SX_EUlSW_E_NS1_11comp_targetILNS1_3genE3ELNS1_11target_archE908ELNS1_3gpuE7ELNS1_3repE0EEENS1_30default_config_static_selectorELNS0_4arch9wavefront6targetE0EEEvT1_,comdat
	.protected	_ZN7rocprim17ROCPRIM_400000_NS6detail17trampoline_kernelINS0_14default_configENS1_27scan_by_key_config_selectorIijEEZZNS1_16scan_by_key_implILNS1_25lookback_scan_determinismE0ELb1ES3_N6thrust23THRUST_200600_302600_NS6detail15normal_iteratorINS9_10device_ptrIiEEEENSB_INSC_IjEEEESG_jNS9_4plusIvEENS9_8equal_toIvEEjEE10hipError_tPvRmT2_T3_T4_T5_mT6_T7_P12ihipStream_tbENKUlT_T0_E_clISt17integral_constantIbLb1EES10_IbLb0EEEEDaSW_SX_EUlSW_E_NS1_11comp_targetILNS1_3genE3ELNS1_11target_archE908ELNS1_3gpuE7ELNS1_3repE0EEENS1_30default_config_static_selectorELNS0_4arch9wavefront6targetE0EEEvT1_ ; -- Begin function _ZN7rocprim17ROCPRIM_400000_NS6detail17trampoline_kernelINS0_14default_configENS1_27scan_by_key_config_selectorIijEEZZNS1_16scan_by_key_implILNS1_25lookback_scan_determinismE0ELb1ES3_N6thrust23THRUST_200600_302600_NS6detail15normal_iteratorINS9_10device_ptrIiEEEENSB_INSC_IjEEEESG_jNS9_4plusIvEENS9_8equal_toIvEEjEE10hipError_tPvRmT2_T3_T4_T5_mT6_T7_P12ihipStream_tbENKUlT_T0_E_clISt17integral_constantIbLb1EES10_IbLb0EEEEDaSW_SX_EUlSW_E_NS1_11comp_targetILNS1_3genE3ELNS1_11target_archE908ELNS1_3gpuE7ELNS1_3repE0EEENS1_30default_config_static_selectorELNS0_4arch9wavefront6targetE0EEEvT1_
	.globl	_ZN7rocprim17ROCPRIM_400000_NS6detail17trampoline_kernelINS0_14default_configENS1_27scan_by_key_config_selectorIijEEZZNS1_16scan_by_key_implILNS1_25lookback_scan_determinismE0ELb1ES3_N6thrust23THRUST_200600_302600_NS6detail15normal_iteratorINS9_10device_ptrIiEEEENSB_INSC_IjEEEESG_jNS9_4plusIvEENS9_8equal_toIvEEjEE10hipError_tPvRmT2_T3_T4_T5_mT6_T7_P12ihipStream_tbENKUlT_T0_E_clISt17integral_constantIbLb1EES10_IbLb0EEEEDaSW_SX_EUlSW_E_NS1_11comp_targetILNS1_3genE3ELNS1_11target_archE908ELNS1_3gpuE7ELNS1_3repE0EEENS1_30default_config_static_selectorELNS0_4arch9wavefront6targetE0EEEvT1_
	.p2align	8
	.type	_ZN7rocprim17ROCPRIM_400000_NS6detail17trampoline_kernelINS0_14default_configENS1_27scan_by_key_config_selectorIijEEZZNS1_16scan_by_key_implILNS1_25lookback_scan_determinismE0ELb1ES3_N6thrust23THRUST_200600_302600_NS6detail15normal_iteratorINS9_10device_ptrIiEEEENSB_INSC_IjEEEESG_jNS9_4plusIvEENS9_8equal_toIvEEjEE10hipError_tPvRmT2_T3_T4_T5_mT6_T7_P12ihipStream_tbENKUlT_T0_E_clISt17integral_constantIbLb1EES10_IbLb0EEEEDaSW_SX_EUlSW_E_NS1_11comp_targetILNS1_3genE3ELNS1_11target_archE908ELNS1_3gpuE7ELNS1_3repE0EEENS1_30default_config_static_selectorELNS0_4arch9wavefront6targetE0EEEvT1_,@function
_ZN7rocprim17ROCPRIM_400000_NS6detail17trampoline_kernelINS0_14default_configENS1_27scan_by_key_config_selectorIijEEZZNS1_16scan_by_key_implILNS1_25lookback_scan_determinismE0ELb1ES3_N6thrust23THRUST_200600_302600_NS6detail15normal_iteratorINS9_10device_ptrIiEEEENSB_INSC_IjEEEESG_jNS9_4plusIvEENS9_8equal_toIvEEjEE10hipError_tPvRmT2_T3_T4_T5_mT6_T7_P12ihipStream_tbENKUlT_T0_E_clISt17integral_constantIbLb1EES10_IbLb0EEEEDaSW_SX_EUlSW_E_NS1_11comp_targetILNS1_3genE3ELNS1_11target_archE908ELNS1_3gpuE7ELNS1_3repE0EEENS1_30default_config_static_selectorELNS0_4arch9wavefront6targetE0EEEvT1_: ; @_ZN7rocprim17ROCPRIM_400000_NS6detail17trampoline_kernelINS0_14default_configENS1_27scan_by_key_config_selectorIijEEZZNS1_16scan_by_key_implILNS1_25lookback_scan_determinismE0ELb1ES3_N6thrust23THRUST_200600_302600_NS6detail15normal_iteratorINS9_10device_ptrIiEEEENSB_INSC_IjEEEESG_jNS9_4plusIvEENS9_8equal_toIvEEjEE10hipError_tPvRmT2_T3_T4_T5_mT6_T7_P12ihipStream_tbENKUlT_T0_E_clISt17integral_constantIbLb1EES10_IbLb0EEEEDaSW_SX_EUlSW_E_NS1_11comp_targetILNS1_3genE3ELNS1_11target_archE908ELNS1_3gpuE7ELNS1_3repE0EEENS1_30default_config_static_selectorELNS0_4arch9wavefront6targetE0EEEvT1_
; %bb.0:
	.section	.rodata,"a",@progbits
	.p2align	6, 0x0
	.amdhsa_kernel _ZN7rocprim17ROCPRIM_400000_NS6detail17trampoline_kernelINS0_14default_configENS1_27scan_by_key_config_selectorIijEEZZNS1_16scan_by_key_implILNS1_25lookback_scan_determinismE0ELb1ES3_N6thrust23THRUST_200600_302600_NS6detail15normal_iteratorINS9_10device_ptrIiEEEENSB_INSC_IjEEEESG_jNS9_4plusIvEENS9_8equal_toIvEEjEE10hipError_tPvRmT2_T3_T4_T5_mT6_T7_P12ihipStream_tbENKUlT_T0_E_clISt17integral_constantIbLb1EES10_IbLb0EEEEDaSW_SX_EUlSW_E_NS1_11comp_targetILNS1_3genE3ELNS1_11target_archE908ELNS1_3gpuE7ELNS1_3repE0EEENS1_30default_config_static_selectorELNS0_4arch9wavefront6targetE0EEEvT1_
		.amdhsa_group_segment_fixed_size 0
		.amdhsa_private_segment_fixed_size 0
		.amdhsa_kernarg_size 112
		.amdhsa_user_sgpr_count 6
		.amdhsa_user_sgpr_private_segment_buffer 1
		.amdhsa_user_sgpr_dispatch_ptr 0
		.amdhsa_user_sgpr_queue_ptr 0
		.amdhsa_user_sgpr_kernarg_segment_ptr 1
		.amdhsa_user_sgpr_dispatch_id 0
		.amdhsa_user_sgpr_flat_scratch_init 0
		.amdhsa_user_sgpr_private_segment_size 0
		.amdhsa_wavefront_size32 1
		.amdhsa_uses_dynamic_stack 0
		.amdhsa_system_sgpr_private_segment_wavefront_offset 0
		.amdhsa_system_sgpr_workgroup_id_x 1
		.amdhsa_system_sgpr_workgroup_id_y 0
		.amdhsa_system_sgpr_workgroup_id_z 0
		.amdhsa_system_sgpr_workgroup_info 0
		.amdhsa_system_vgpr_workitem_id 0
		.amdhsa_next_free_vgpr 1
		.amdhsa_next_free_sgpr 1
		.amdhsa_reserve_vcc 0
		.amdhsa_reserve_flat_scratch 0
		.amdhsa_float_round_mode_32 0
		.amdhsa_float_round_mode_16_64 0
		.amdhsa_float_denorm_mode_32 3
		.amdhsa_float_denorm_mode_16_64 3
		.amdhsa_dx10_clamp 1
		.amdhsa_ieee_mode 1
		.amdhsa_fp16_overflow 0
		.amdhsa_workgroup_processor_mode 1
		.amdhsa_memory_ordered 1
		.amdhsa_forward_progress 1
		.amdhsa_shared_vgpr_count 0
		.amdhsa_exception_fp_ieee_invalid_op 0
		.amdhsa_exception_fp_denorm_src 0
		.amdhsa_exception_fp_ieee_div_zero 0
		.amdhsa_exception_fp_ieee_overflow 0
		.amdhsa_exception_fp_ieee_underflow 0
		.amdhsa_exception_fp_ieee_inexact 0
		.amdhsa_exception_int_div_zero 0
	.end_amdhsa_kernel
	.section	.text._ZN7rocprim17ROCPRIM_400000_NS6detail17trampoline_kernelINS0_14default_configENS1_27scan_by_key_config_selectorIijEEZZNS1_16scan_by_key_implILNS1_25lookback_scan_determinismE0ELb1ES3_N6thrust23THRUST_200600_302600_NS6detail15normal_iteratorINS9_10device_ptrIiEEEENSB_INSC_IjEEEESG_jNS9_4plusIvEENS9_8equal_toIvEEjEE10hipError_tPvRmT2_T3_T4_T5_mT6_T7_P12ihipStream_tbENKUlT_T0_E_clISt17integral_constantIbLb1EES10_IbLb0EEEEDaSW_SX_EUlSW_E_NS1_11comp_targetILNS1_3genE3ELNS1_11target_archE908ELNS1_3gpuE7ELNS1_3repE0EEENS1_30default_config_static_selectorELNS0_4arch9wavefront6targetE0EEEvT1_,"axG",@progbits,_ZN7rocprim17ROCPRIM_400000_NS6detail17trampoline_kernelINS0_14default_configENS1_27scan_by_key_config_selectorIijEEZZNS1_16scan_by_key_implILNS1_25lookback_scan_determinismE0ELb1ES3_N6thrust23THRUST_200600_302600_NS6detail15normal_iteratorINS9_10device_ptrIiEEEENSB_INSC_IjEEEESG_jNS9_4plusIvEENS9_8equal_toIvEEjEE10hipError_tPvRmT2_T3_T4_T5_mT6_T7_P12ihipStream_tbENKUlT_T0_E_clISt17integral_constantIbLb1EES10_IbLb0EEEEDaSW_SX_EUlSW_E_NS1_11comp_targetILNS1_3genE3ELNS1_11target_archE908ELNS1_3gpuE7ELNS1_3repE0EEENS1_30default_config_static_selectorELNS0_4arch9wavefront6targetE0EEEvT1_,comdat
.Lfunc_end1521:
	.size	_ZN7rocprim17ROCPRIM_400000_NS6detail17trampoline_kernelINS0_14default_configENS1_27scan_by_key_config_selectorIijEEZZNS1_16scan_by_key_implILNS1_25lookback_scan_determinismE0ELb1ES3_N6thrust23THRUST_200600_302600_NS6detail15normal_iteratorINS9_10device_ptrIiEEEENSB_INSC_IjEEEESG_jNS9_4plusIvEENS9_8equal_toIvEEjEE10hipError_tPvRmT2_T3_T4_T5_mT6_T7_P12ihipStream_tbENKUlT_T0_E_clISt17integral_constantIbLb1EES10_IbLb0EEEEDaSW_SX_EUlSW_E_NS1_11comp_targetILNS1_3genE3ELNS1_11target_archE908ELNS1_3gpuE7ELNS1_3repE0EEENS1_30default_config_static_selectorELNS0_4arch9wavefront6targetE0EEEvT1_, .Lfunc_end1521-_ZN7rocprim17ROCPRIM_400000_NS6detail17trampoline_kernelINS0_14default_configENS1_27scan_by_key_config_selectorIijEEZZNS1_16scan_by_key_implILNS1_25lookback_scan_determinismE0ELb1ES3_N6thrust23THRUST_200600_302600_NS6detail15normal_iteratorINS9_10device_ptrIiEEEENSB_INSC_IjEEEESG_jNS9_4plusIvEENS9_8equal_toIvEEjEE10hipError_tPvRmT2_T3_T4_T5_mT6_T7_P12ihipStream_tbENKUlT_T0_E_clISt17integral_constantIbLb1EES10_IbLb0EEEEDaSW_SX_EUlSW_E_NS1_11comp_targetILNS1_3genE3ELNS1_11target_archE908ELNS1_3gpuE7ELNS1_3repE0EEENS1_30default_config_static_selectorELNS0_4arch9wavefront6targetE0EEEvT1_
                                        ; -- End function
	.set _ZN7rocprim17ROCPRIM_400000_NS6detail17trampoline_kernelINS0_14default_configENS1_27scan_by_key_config_selectorIijEEZZNS1_16scan_by_key_implILNS1_25lookback_scan_determinismE0ELb1ES3_N6thrust23THRUST_200600_302600_NS6detail15normal_iteratorINS9_10device_ptrIiEEEENSB_INSC_IjEEEESG_jNS9_4plusIvEENS9_8equal_toIvEEjEE10hipError_tPvRmT2_T3_T4_T5_mT6_T7_P12ihipStream_tbENKUlT_T0_E_clISt17integral_constantIbLb1EES10_IbLb0EEEEDaSW_SX_EUlSW_E_NS1_11comp_targetILNS1_3genE3ELNS1_11target_archE908ELNS1_3gpuE7ELNS1_3repE0EEENS1_30default_config_static_selectorELNS0_4arch9wavefront6targetE0EEEvT1_.num_vgpr, 0
	.set _ZN7rocprim17ROCPRIM_400000_NS6detail17trampoline_kernelINS0_14default_configENS1_27scan_by_key_config_selectorIijEEZZNS1_16scan_by_key_implILNS1_25lookback_scan_determinismE0ELb1ES3_N6thrust23THRUST_200600_302600_NS6detail15normal_iteratorINS9_10device_ptrIiEEEENSB_INSC_IjEEEESG_jNS9_4plusIvEENS9_8equal_toIvEEjEE10hipError_tPvRmT2_T3_T4_T5_mT6_T7_P12ihipStream_tbENKUlT_T0_E_clISt17integral_constantIbLb1EES10_IbLb0EEEEDaSW_SX_EUlSW_E_NS1_11comp_targetILNS1_3genE3ELNS1_11target_archE908ELNS1_3gpuE7ELNS1_3repE0EEENS1_30default_config_static_selectorELNS0_4arch9wavefront6targetE0EEEvT1_.num_agpr, 0
	.set _ZN7rocprim17ROCPRIM_400000_NS6detail17trampoline_kernelINS0_14default_configENS1_27scan_by_key_config_selectorIijEEZZNS1_16scan_by_key_implILNS1_25lookback_scan_determinismE0ELb1ES3_N6thrust23THRUST_200600_302600_NS6detail15normal_iteratorINS9_10device_ptrIiEEEENSB_INSC_IjEEEESG_jNS9_4plusIvEENS9_8equal_toIvEEjEE10hipError_tPvRmT2_T3_T4_T5_mT6_T7_P12ihipStream_tbENKUlT_T0_E_clISt17integral_constantIbLb1EES10_IbLb0EEEEDaSW_SX_EUlSW_E_NS1_11comp_targetILNS1_3genE3ELNS1_11target_archE908ELNS1_3gpuE7ELNS1_3repE0EEENS1_30default_config_static_selectorELNS0_4arch9wavefront6targetE0EEEvT1_.numbered_sgpr, 0
	.set _ZN7rocprim17ROCPRIM_400000_NS6detail17trampoline_kernelINS0_14default_configENS1_27scan_by_key_config_selectorIijEEZZNS1_16scan_by_key_implILNS1_25lookback_scan_determinismE0ELb1ES3_N6thrust23THRUST_200600_302600_NS6detail15normal_iteratorINS9_10device_ptrIiEEEENSB_INSC_IjEEEESG_jNS9_4plusIvEENS9_8equal_toIvEEjEE10hipError_tPvRmT2_T3_T4_T5_mT6_T7_P12ihipStream_tbENKUlT_T0_E_clISt17integral_constantIbLb1EES10_IbLb0EEEEDaSW_SX_EUlSW_E_NS1_11comp_targetILNS1_3genE3ELNS1_11target_archE908ELNS1_3gpuE7ELNS1_3repE0EEENS1_30default_config_static_selectorELNS0_4arch9wavefront6targetE0EEEvT1_.num_named_barrier, 0
	.set _ZN7rocprim17ROCPRIM_400000_NS6detail17trampoline_kernelINS0_14default_configENS1_27scan_by_key_config_selectorIijEEZZNS1_16scan_by_key_implILNS1_25lookback_scan_determinismE0ELb1ES3_N6thrust23THRUST_200600_302600_NS6detail15normal_iteratorINS9_10device_ptrIiEEEENSB_INSC_IjEEEESG_jNS9_4plusIvEENS9_8equal_toIvEEjEE10hipError_tPvRmT2_T3_T4_T5_mT6_T7_P12ihipStream_tbENKUlT_T0_E_clISt17integral_constantIbLb1EES10_IbLb0EEEEDaSW_SX_EUlSW_E_NS1_11comp_targetILNS1_3genE3ELNS1_11target_archE908ELNS1_3gpuE7ELNS1_3repE0EEENS1_30default_config_static_selectorELNS0_4arch9wavefront6targetE0EEEvT1_.private_seg_size, 0
	.set _ZN7rocprim17ROCPRIM_400000_NS6detail17trampoline_kernelINS0_14default_configENS1_27scan_by_key_config_selectorIijEEZZNS1_16scan_by_key_implILNS1_25lookback_scan_determinismE0ELb1ES3_N6thrust23THRUST_200600_302600_NS6detail15normal_iteratorINS9_10device_ptrIiEEEENSB_INSC_IjEEEESG_jNS9_4plusIvEENS9_8equal_toIvEEjEE10hipError_tPvRmT2_T3_T4_T5_mT6_T7_P12ihipStream_tbENKUlT_T0_E_clISt17integral_constantIbLb1EES10_IbLb0EEEEDaSW_SX_EUlSW_E_NS1_11comp_targetILNS1_3genE3ELNS1_11target_archE908ELNS1_3gpuE7ELNS1_3repE0EEENS1_30default_config_static_selectorELNS0_4arch9wavefront6targetE0EEEvT1_.uses_vcc, 0
	.set _ZN7rocprim17ROCPRIM_400000_NS6detail17trampoline_kernelINS0_14default_configENS1_27scan_by_key_config_selectorIijEEZZNS1_16scan_by_key_implILNS1_25lookback_scan_determinismE0ELb1ES3_N6thrust23THRUST_200600_302600_NS6detail15normal_iteratorINS9_10device_ptrIiEEEENSB_INSC_IjEEEESG_jNS9_4plusIvEENS9_8equal_toIvEEjEE10hipError_tPvRmT2_T3_T4_T5_mT6_T7_P12ihipStream_tbENKUlT_T0_E_clISt17integral_constantIbLb1EES10_IbLb0EEEEDaSW_SX_EUlSW_E_NS1_11comp_targetILNS1_3genE3ELNS1_11target_archE908ELNS1_3gpuE7ELNS1_3repE0EEENS1_30default_config_static_selectorELNS0_4arch9wavefront6targetE0EEEvT1_.uses_flat_scratch, 0
	.set _ZN7rocprim17ROCPRIM_400000_NS6detail17trampoline_kernelINS0_14default_configENS1_27scan_by_key_config_selectorIijEEZZNS1_16scan_by_key_implILNS1_25lookback_scan_determinismE0ELb1ES3_N6thrust23THRUST_200600_302600_NS6detail15normal_iteratorINS9_10device_ptrIiEEEENSB_INSC_IjEEEESG_jNS9_4plusIvEENS9_8equal_toIvEEjEE10hipError_tPvRmT2_T3_T4_T5_mT6_T7_P12ihipStream_tbENKUlT_T0_E_clISt17integral_constantIbLb1EES10_IbLb0EEEEDaSW_SX_EUlSW_E_NS1_11comp_targetILNS1_3genE3ELNS1_11target_archE908ELNS1_3gpuE7ELNS1_3repE0EEENS1_30default_config_static_selectorELNS0_4arch9wavefront6targetE0EEEvT1_.has_dyn_sized_stack, 0
	.set _ZN7rocprim17ROCPRIM_400000_NS6detail17trampoline_kernelINS0_14default_configENS1_27scan_by_key_config_selectorIijEEZZNS1_16scan_by_key_implILNS1_25lookback_scan_determinismE0ELb1ES3_N6thrust23THRUST_200600_302600_NS6detail15normal_iteratorINS9_10device_ptrIiEEEENSB_INSC_IjEEEESG_jNS9_4plusIvEENS9_8equal_toIvEEjEE10hipError_tPvRmT2_T3_T4_T5_mT6_T7_P12ihipStream_tbENKUlT_T0_E_clISt17integral_constantIbLb1EES10_IbLb0EEEEDaSW_SX_EUlSW_E_NS1_11comp_targetILNS1_3genE3ELNS1_11target_archE908ELNS1_3gpuE7ELNS1_3repE0EEENS1_30default_config_static_selectorELNS0_4arch9wavefront6targetE0EEEvT1_.has_recursion, 0
	.set _ZN7rocprim17ROCPRIM_400000_NS6detail17trampoline_kernelINS0_14default_configENS1_27scan_by_key_config_selectorIijEEZZNS1_16scan_by_key_implILNS1_25lookback_scan_determinismE0ELb1ES3_N6thrust23THRUST_200600_302600_NS6detail15normal_iteratorINS9_10device_ptrIiEEEENSB_INSC_IjEEEESG_jNS9_4plusIvEENS9_8equal_toIvEEjEE10hipError_tPvRmT2_T3_T4_T5_mT6_T7_P12ihipStream_tbENKUlT_T0_E_clISt17integral_constantIbLb1EES10_IbLb0EEEEDaSW_SX_EUlSW_E_NS1_11comp_targetILNS1_3genE3ELNS1_11target_archE908ELNS1_3gpuE7ELNS1_3repE0EEENS1_30default_config_static_selectorELNS0_4arch9wavefront6targetE0EEEvT1_.has_indirect_call, 0
	.section	.AMDGPU.csdata,"",@progbits
; Kernel info:
; codeLenInByte = 0
; TotalNumSgprs: 0
; NumVgprs: 0
; ScratchSize: 0
; MemoryBound: 0
; FloatMode: 240
; IeeeMode: 1
; LDSByteSize: 0 bytes/workgroup (compile time only)
; SGPRBlocks: 0
; VGPRBlocks: 0
; NumSGPRsForWavesPerEU: 1
; NumVGPRsForWavesPerEU: 1
; Occupancy: 16
; WaveLimiterHint : 0
; COMPUTE_PGM_RSRC2:SCRATCH_EN: 0
; COMPUTE_PGM_RSRC2:USER_SGPR: 6
; COMPUTE_PGM_RSRC2:TRAP_HANDLER: 0
; COMPUTE_PGM_RSRC2:TGID_X_EN: 1
; COMPUTE_PGM_RSRC2:TGID_Y_EN: 0
; COMPUTE_PGM_RSRC2:TGID_Z_EN: 0
; COMPUTE_PGM_RSRC2:TIDIG_COMP_CNT: 0
	.section	.text._ZN7rocprim17ROCPRIM_400000_NS6detail17trampoline_kernelINS0_14default_configENS1_27scan_by_key_config_selectorIijEEZZNS1_16scan_by_key_implILNS1_25lookback_scan_determinismE0ELb1ES3_N6thrust23THRUST_200600_302600_NS6detail15normal_iteratorINS9_10device_ptrIiEEEENSB_INSC_IjEEEESG_jNS9_4plusIvEENS9_8equal_toIvEEjEE10hipError_tPvRmT2_T3_T4_T5_mT6_T7_P12ihipStream_tbENKUlT_T0_E_clISt17integral_constantIbLb1EES10_IbLb0EEEEDaSW_SX_EUlSW_E_NS1_11comp_targetILNS1_3genE2ELNS1_11target_archE906ELNS1_3gpuE6ELNS1_3repE0EEENS1_30default_config_static_selectorELNS0_4arch9wavefront6targetE0EEEvT1_,"axG",@progbits,_ZN7rocprim17ROCPRIM_400000_NS6detail17trampoline_kernelINS0_14default_configENS1_27scan_by_key_config_selectorIijEEZZNS1_16scan_by_key_implILNS1_25lookback_scan_determinismE0ELb1ES3_N6thrust23THRUST_200600_302600_NS6detail15normal_iteratorINS9_10device_ptrIiEEEENSB_INSC_IjEEEESG_jNS9_4plusIvEENS9_8equal_toIvEEjEE10hipError_tPvRmT2_T3_T4_T5_mT6_T7_P12ihipStream_tbENKUlT_T0_E_clISt17integral_constantIbLb1EES10_IbLb0EEEEDaSW_SX_EUlSW_E_NS1_11comp_targetILNS1_3genE2ELNS1_11target_archE906ELNS1_3gpuE6ELNS1_3repE0EEENS1_30default_config_static_selectorELNS0_4arch9wavefront6targetE0EEEvT1_,comdat
	.protected	_ZN7rocprim17ROCPRIM_400000_NS6detail17trampoline_kernelINS0_14default_configENS1_27scan_by_key_config_selectorIijEEZZNS1_16scan_by_key_implILNS1_25lookback_scan_determinismE0ELb1ES3_N6thrust23THRUST_200600_302600_NS6detail15normal_iteratorINS9_10device_ptrIiEEEENSB_INSC_IjEEEESG_jNS9_4plusIvEENS9_8equal_toIvEEjEE10hipError_tPvRmT2_T3_T4_T5_mT6_T7_P12ihipStream_tbENKUlT_T0_E_clISt17integral_constantIbLb1EES10_IbLb0EEEEDaSW_SX_EUlSW_E_NS1_11comp_targetILNS1_3genE2ELNS1_11target_archE906ELNS1_3gpuE6ELNS1_3repE0EEENS1_30default_config_static_selectorELNS0_4arch9wavefront6targetE0EEEvT1_ ; -- Begin function _ZN7rocprim17ROCPRIM_400000_NS6detail17trampoline_kernelINS0_14default_configENS1_27scan_by_key_config_selectorIijEEZZNS1_16scan_by_key_implILNS1_25lookback_scan_determinismE0ELb1ES3_N6thrust23THRUST_200600_302600_NS6detail15normal_iteratorINS9_10device_ptrIiEEEENSB_INSC_IjEEEESG_jNS9_4plusIvEENS9_8equal_toIvEEjEE10hipError_tPvRmT2_T3_T4_T5_mT6_T7_P12ihipStream_tbENKUlT_T0_E_clISt17integral_constantIbLb1EES10_IbLb0EEEEDaSW_SX_EUlSW_E_NS1_11comp_targetILNS1_3genE2ELNS1_11target_archE906ELNS1_3gpuE6ELNS1_3repE0EEENS1_30default_config_static_selectorELNS0_4arch9wavefront6targetE0EEEvT1_
	.globl	_ZN7rocprim17ROCPRIM_400000_NS6detail17trampoline_kernelINS0_14default_configENS1_27scan_by_key_config_selectorIijEEZZNS1_16scan_by_key_implILNS1_25lookback_scan_determinismE0ELb1ES3_N6thrust23THRUST_200600_302600_NS6detail15normal_iteratorINS9_10device_ptrIiEEEENSB_INSC_IjEEEESG_jNS9_4plusIvEENS9_8equal_toIvEEjEE10hipError_tPvRmT2_T3_T4_T5_mT6_T7_P12ihipStream_tbENKUlT_T0_E_clISt17integral_constantIbLb1EES10_IbLb0EEEEDaSW_SX_EUlSW_E_NS1_11comp_targetILNS1_3genE2ELNS1_11target_archE906ELNS1_3gpuE6ELNS1_3repE0EEENS1_30default_config_static_selectorELNS0_4arch9wavefront6targetE0EEEvT1_
	.p2align	8
	.type	_ZN7rocprim17ROCPRIM_400000_NS6detail17trampoline_kernelINS0_14default_configENS1_27scan_by_key_config_selectorIijEEZZNS1_16scan_by_key_implILNS1_25lookback_scan_determinismE0ELb1ES3_N6thrust23THRUST_200600_302600_NS6detail15normal_iteratorINS9_10device_ptrIiEEEENSB_INSC_IjEEEESG_jNS9_4plusIvEENS9_8equal_toIvEEjEE10hipError_tPvRmT2_T3_T4_T5_mT6_T7_P12ihipStream_tbENKUlT_T0_E_clISt17integral_constantIbLb1EES10_IbLb0EEEEDaSW_SX_EUlSW_E_NS1_11comp_targetILNS1_3genE2ELNS1_11target_archE906ELNS1_3gpuE6ELNS1_3repE0EEENS1_30default_config_static_selectorELNS0_4arch9wavefront6targetE0EEEvT1_,@function
_ZN7rocprim17ROCPRIM_400000_NS6detail17trampoline_kernelINS0_14default_configENS1_27scan_by_key_config_selectorIijEEZZNS1_16scan_by_key_implILNS1_25lookback_scan_determinismE0ELb1ES3_N6thrust23THRUST_200600_302600_NS6detail15normal_iteratorINS9_10device_ptrIiEEEENSB_INSC_IjEEEESG_jNS9_4plusIvEENS9_8equal_toIvEEjEE10hipError_tPvRmT2_T3_T4_T5_mT6_T7_P12ihipStream_tbENKUlT_T0_E_clISt17integral_constantIbLb1EES10_IbLb0EEEEDaSW_SX_EUlSW_E_NS1_11comp_targetILNS1_3genE2ELNS1_11target_archE906ELNS1_3gpuE6ELNS1_3repE0EEENS1_30default_config_static_selectorELNS0_4arch9wavefront6targetE0EEEvT1_: ; @_ZN7rocprim17ROCPRIM_400000_NS6detail17trampoline_kernelINS0_14default_configENS1_27scan_by_key_config_selectorIijEEZZNS1_16scan_by_key_implILNS1_25lookback_scan_determinismE0ELb1ES3_N6thrust23THRUST_200600_302600_NS6detail15normal_iteratorINS9_10device_ptrIiEEEENSB_INSC_IjEEEESG_jNS9_4plusIvEENS9_8equal_toIvEEjEE10hipError_tPvRmT2_T3_T4_T5_mT6_T7_P12ihipStream_tbENKUlT_T0_E_clISt17integral_constantIbLb1EES10_IbLb0EEEEDaSW_SX_EUlSW_E_NS1_11comp_targetILNS1_3genE2ELNS1_11target_archE906ELNS1_3gpuE6ELNS1_3repE0EEENS1_30default_config_static_selectorELNS0_4arch9wavefront6targetE0EEEvT1_
; %bb.0:
	.section	.rodata,"a",@progbits
	.p2align	6, 0x0
	.amdhsa_kernel _ZN7rocprim17ROCPRIM_400000_NS6detail17trampoline_kernelINS0_14default_configENS1_27scan_by_key_config_selectorIijEEZZNS1_16scan_by_key_implILNS1_25lookback_scan_determinismE0ELb1ES3_N6thrust23THRUST_200600_302600_NS6detail15normal_iteratorINS9_10device_ptrIiEEEENSB_INSC_IjEEEESG_jNS9_4plusIvEENS9_8equal_toIvEEjEE10hipError_tPvRmT2_T3_T4_T5_mT6_T7_P12ihipStream_tbENKUlT_T0_E_clISt17integral_constantIbLb1EES10_IbLb0EEEEDaSW_SX_EUlSW_E_NS1_11comp_targetILNS1_3genE2ELNS1_11target_archE906ELNS1_3gpuE6ELNS1_3repE0EEENS1_30default_config_static_selectorELNS0_4arch9wavefront6targetE0EEEvT1_
		.amdhsa_group_segment_fixed_size 0
		.amdhsa_private_segment_fixed_size 0
		.amdhsa_kernarg_size 112
		.amdhsa_user_sgpr_count 6
		.amdhsa_user_sgpr_private_segment_buffer 1
		.amdhsa_user_sgpr_dispatch_ptr 0
		.amdhsa_user_sgpr_queue_ptr 0
		.amdhsa_user_sgpr_kernarg_segment_ptr 1
		.amdhsa_user_sgpr_dispatch_id 0
		.amdhsa_user_sgpr_flat_scratch_init 0
		.amdhsa_user_sgpr_private_segment_size 0
		.amdhsa_wavefront_size32 1
		.amdhsa_uses_dynamic_stack 0
		.amdhsa_system_sgpr_private_segment_wavefront_offset 0
		.amdhsa_system_sgpr_workgroup_id_x 1
		.amdhsa_system_sgpr_workgroup_id_y 0
		.amdhsa_system_sgpr_workgroup_id_z 0
		.amdhsa_system_sgpr_workgroup_info 0
		.amdhsa_system_vgpr_workitem_id 0
		.amdhsa_next_free_vgpr 1
		.amdhsa_next_free_sgpr 1
		.amdhsa_reserve_vcc 0
		.amdhsa_reserve_flat_scratch 0
		.amdhsa_float_round_mode_32 0
		.amdhsa_float_round_mode_16_64 0
		.amdhsa_float_denorm_mode_32 3
		.amdhsa_float_denorm_mode_16_64 3
		.amdhsa_dx10_clamp 1
		.amdhsa_ieee_mode 1
		.amdhsa_fp16_overflow 0
		.amdhsa_workgroup_processor_mode 1
		.amdhsa_memory_ordered 1
		.amdhsa_forward_progress 1
		.amdhsa_shared_vgpr_count 0
		.amdhsa_exception_fp_ieee_invalid_op 0
		.amdhsa_exception_fp_denorm_src 0
		.amdhsa_exception_fp_ieee_div_zero 0
		.amdhsa_exception_fp_ieee_overflow 0
		.amdhsa_exception_fp_ieee_underflow 0
		.amdhsa_exception_fp_ieee_inexact 0
		.amdhsa_exception_int_div_zero 0
	.end_amdhsa_kernel
	.section	.text._ZN7rocprim17ROCPRIM_400000_NS6detail17trampoline_kernelINS0_14default_configENS1_27scan_by_key_config_selectorIijEEZZNS1_16scan_by_key_implILNS1_25lookback_scan_determinismE0ELb1ES3_N6thrust23THRUST_200600_302600_NS6detail15normal_iteratorINS9_10device_ptrIiEEEENSB_INSC_IjEEEESG_jNS9_4plusIvEENS9_8equal_toIvEEjEE10hipError_tPvRmT2_T3_T4_T5_mT6_T7_P12ihipStream_tbENKUlT_T0_E_clISt17integral_constantIbLb1EES10_IbLb0EEEEDaSW_SX_EUlSW_E_NS1_11comp_targetILNS1_3genE2ELNS1_11target_archE906ELNS1_3gpuE6ELNS1_3repE0EEENS1_30default_config_static_selectorELNS0_4arch9wavefront6targetE0EEEvT1_,"axG",@progbits,_ZN7rocprim17ROCPRIM_400000_NS6detail17trampoline_kernelINS0_14default_configENS1_27scan_by_key_config_selectorIijEEZZNS1_16scan_by_key_implILNS1_25lookback_scan_determinismE0ELb1ES3_N6thrust23THRUST_200600_302600_NS6detail15normal_iteratorINS9_10device_ptrIiEEEENSB_INSC_IjEEEESG_jNS9_4plusIvEENS9_8equal_toIvEEjEE10hipError_tPvRmT2_T3_T4_T5_mT6_T7_P12ihipStream_tbENKUlT_T0_E_clISt17integral_constantIbLb1EES10_IbLb0EEEEDaSW_SX_EUlSW_E_NS1_11comp_targetILNS1_3genE2ELNS1_11target_archE906ELNS1_3gpuE6ELNS1_3repE0EEENS1_30default_config_static_selectorELNS0_4arch9wavefront6targetE0EEEvT1_,comdat
.Lfunc_end1522:
	.size	_ZN7rocprim17ROCPRIM_400000_NS6detail17trampoline_kernelINS0_14default_configENS1_27scan_by_key_config_selectorIijEEZZNS1_16scan_by_key_implILNS1_25lookback_scan_determinismE0ELb1ES3_N6thrust23THRUST_200600_302600_NS6detail15normal_iteratorINS9_10device_ptrIiEEEENSB_INSC_IjEEEESG_jNS9_4plusIvEENS9_8equal_toIvEEjEE10hipError_tPvRmT2_T3_T4_T5_mT6_T7_P12ihipStream_tbENKUlT_T0_E_clISt17integral_constantIbLb1EES10_IbLb0EEEEDaSW_SX_EUlSW_E_NS1_11comp_targetILNS1_3genE2ELNS1_11target_archE906ELNS1_3gpuE6ELNS1_3repE0EEENS1_30default_config_static_selectorELNS0_4arch9wavefront6targetE0EEEvT1_, .Lfunc_end1522-_ZN7rocprim17ROCPRIM_400000_NS6detail17trampoline_kernelINS0_14default_configENS1_27scan_by_key_config_selectorIijEEZZNS1_16scan_by_key_implILNS1_25lookback_scan_determinismE0ELb1ES3_N6thrust23THRUST_200600_302600_NS6detail15normal_iteratorINS9_10device_ptrIiEEEENSB_INSC_IjEEEESG_jNS9_4plusIvEENS9_8equal_toIvEEjEE10hipError_tPvRmT2_T3_T4_T5_mT6_T7_P12ihipStream_tbENKUlT_T0_E_clISt17integral_constantIbLb1EES10_IbLb0EEEEDaSW_SX_EUlSW_E_NS1_11comp_targetILNS1_3genE2ELNS1_11target_archE906ELNS1_3gpuE6ELNS1_3repE0EEENS1_30default_config_static_selectorELNS0_4arch9wavefront6targetE0EEEvT1_
                                        ; -- End function
	.set _ZN7rocprim17ROCPRIM_400000_NS6detail17trampoline_kernelINS0_14default_configENS1_27scan_by_key_config_selectorIijEEZZNS1_16scan_by_key_implILNS1_25lookback_scan_determinismE0ELb1ES3_N6thrust23THRUST_200600_302600_NS6detail15normal_iteratorINS9_10device_ptrIiEEEENSB_INSC_IjEEEESG_jNS9_4plusIvEENS9_8equal_toIvEEjEE10hipError_tPvRmT2_T3_T4_T5_mT6_T7_P12ihipStream_tbENKUlT_T0_E_clISt17integral_constantIbLb1EES10_IbLb0EEEEDaSW_SX_EUlSW_E_NS1_11comp_targetILNS1_3genE2ELNS1_11target_archE906ELNS1_3gpuE6ELNS1_3repE0EEENS1_30default_config_static_selectorELNS0_4arch9wavefront6targetE0EEEvT1_.num_vgpr, 0
	.set _ZN7rocprim17ROCPRIM_400000_NS6detail17trampoline_kernelINS0_14default_configENS1_27scan_by_key_config_selectorIijEEZZNS1_16scan_by_key_implILNS1_25lookback_scan_determinismE0ELb1ES3_N6thrust23THRUST_200600_302600_NS6detail15normal_iteratorINS9_10device_ptrIiEEEENSB_INSC_IjEEEESG_jNS9_4plusIvEENS9_8equal_toIvEEjEE10hipError_tPvRmT2_T3_T4_T5_mT6_T7_P12ihipStream_tbENKUlT_T0_E_clISt17integral_constantIbLb1EES10_IbLb0EEEEDaSW_SX_EUlSW_E_NS1_11comp_targetILNS1_3genE2ELNS1_11target_archE906ELNS1_3gpuE6ELNS1_3repE0EEENS1_30default_config_static_selectorELNS0_4arch9wavefront6targetE0EEEvT1_.num_agpr, 0
	.set _ZN7rocprim17ROCPRIM_400000_NS6detail17trampoline_kernelINS0_14default_configENS1_27scan_by_key_config_selectorIijEEZZNS1_16scan_by_key_implILNS1_25lookback_scan_determinismE0ELb1ES3_N6thrust23THRUST_200600_302600_NS6detail15normal_iteratorINS9_10device_ptrIiEEEENSB_INSC_IjEEEESG_jNS9_4plusIvEENS9_8equal_toIvEEjEE10hipError_tPvRmT2_T3_T4_T5_mT6_T7_P12ihipStream_tbENKUlT_T0_E_clISt17integral_constantIbLb1EES10_IbLb0EEEEDaSW_SX_EUlSW_E_NS1_11comp_targetILNS1_3genE2ELNS1_11target_archE906ELNS1_3gpuE6ELNS1_3repE0EEENS1_30default_config_static_selectorELNS0_4arch9wavefront6targetE0EEEvT1_.numbered_sgpr, 0
	.set _ZN7rocprim17ROCPRIM_400000_NS6detail17trampoline_kernelINS0_14default_configENS1_27scan_by_key_config_selectorIijEEZZNS1_16scan_by_key_implILNS1_25lookback_scan_determinismE0ELb1ES3_N6thrust23THRUST_200600_302600_NS6detail15normal_iteratorINS9_10device_ptrIiEEEENSB_INSC_IjEEEESG_jNS9_4plusIvEENS9_8equal_toIvEEjEE10hipError_tPvRmT2_T3_T4_T5_mT6_T7_P12ihipStream_tbENKUlT_T0_E_clISt17integral_constantIbLb1EES10_IbLb0EEEEDaSW_SX_EUlSW_E_NS1_11comp_targetILNS1_3genE2ELNS1_11target_archE906ELNS1_3gpuE6ELNS1_3repE0EEENS1_30default_config_static_selectorELNS0_4arch9wavefront6targetE0EEEvT1_.num_named_barrier, 0
	.set _ZN7rocprim17ROCPRIM_400000_NS6detail17trampoline_kernelINS0_14default_configENS1_27scan_by_key_config_selectorIijEEZZNS1_16scan_by_key_implILNS1_25lookback_scan_determinismE0ELb1ES3_N6thrust23THRUST_200600_302600_NS6detail15normal_iteratorINS9_10device_ptrIiEEEENSB_INSC_IjEEEESG_jNS9_4plusIvEENS9_8equal_toIvEEjEE10hipError_tPvRmT2_T3_T4_T5_mT6_T7_P12ihipStream_tbENKUlT_T0_E_clISt17integral_constantIbLb1EES10_IbLb0EEEEDaSW_SX_EUlSW_E_NS1_11comp_targetILNS1_3genE2ELNS1_11target_archE906ELNS1_3gpuE6ELNS1_3repE0EEENS1_30default_config_static_selectorELNS0_4arch9wavefront6targetE0EEEvT1_.private_seg_size, 0
	.set _ZN7rocprim17ROCPRIM_400000_NS6detail17trampoline_kernelINS0_14default_configENS1_27scan_by_key_config_selectorIijEEZZNS1_16scan_by_key_implILNS1_25lookback_scan_determinismE0ELb1ES3_N6thrust23THRUST_200600_302600_NS6detail15normal_iteratorINS9_10device_ptrIiEEEENSB_INSC_IjEEEESG_jNS9_4plusIvEENS9_8equal_toIvEEjEE10hipError_tPvRmT2_T3_T4_T5_mT6_T7_P12ihipStream_tbENKUlT_T0_E_clISt17integral_constantIbLb1EES10_IbLb0EEEEDaSW_SX_EUlSW_E_NS1_11comp_targetILNS1_3genE2ELNS1_11target_archE906ELNS1_3gpuE6ELNS1_3repE0EEENS1_30default_config_static_selectorELNS0_4arch9wavefront6targetE0EEEvT1_.uses_vcc, 0
	.set _ZN7rocprim17ROCPRIM_400000_NS6detail17trampoline_kernelINS0_14default_configENS1_27scan_by_key_config_selectorIijEEZZNS1_16scan_by_key_implILNS1_25lookback_scan_determinismE0ELb1ES3_N6thrust23THRUST_200600_302600_NS6detail15normal_iteratorINS9_10device_ptrIiEEEENSB_INSC_IjEEEESG_jNS9_4plusIvEENS9_8equal_toIvEEjEE10hipError_tPvRmT2_T3_T4_T5_mT6_T7_P12ihipStream_tbENKUlT_T0_E_clISt17integral_constantIbLb1EES10_IbLb0EEEEDaSW_SX_EUlSW_E_NS1_11comp_targetILNS1_3genE2ELNS1_11target_archE906ELNS1_3gpuE6ELNS1_3repE0EEENS1_30default_config_static_selectorELNS0_4arch9wavefront6targetE0EEEvT1_.uses_flat_scratch, 0
	.set _ZN7rocprim17ROCPRIM_400000_NS6detail17trampoline_kernelINS0_14default_configENS1_27scan_by_key_config_selectorIijEEZZNS1_16scan_by_key_implILNS1_25lookback_scan_determinismE0ELb1ES3_N6thrust23THRUST_200600_302600_NS6detail15normal_iteratorINS9_10device_ptrIiEEEENSB_INSC_IjEEEESG_jNS9_4plusIvEENS9_8equal_toIvEEjEE10hipError_tPvRmT2_T3_T4_T5_mT6_T7_P12ihipStream_tbENKUlT_T0_E_clISt17integral_constantIbLb1EES10_IbLb0EEEEDaSW_SX_EUlSW_E_NS1_11comp_targetILNS1_3genE2ELNS1_11target_archE906ELNS1_3gpuE6ELNS1_3repE0EEENS1_30default_config_static_selectorELNS0_4arch9wavefront6targetE0EEEvT1_.has_dyn_sized_stack, 0
	.set _ZN7rocprim17ROCPRIM_400000_NS6detail17trampoline_kernelINS0_14default_configENS1_27scan_by_key_config_selectorIijEEZZNS1_16scan_by_key_implILNS1_25lookback_scan_determinismE0ELb1ES3_N6thrust23THRUST_200600_302600_NS6detail15normal_iteratorINS9_10device_ptrIiEEEENSB_INSC_IjEEEESG_jNS9_4plusIvEENS9_8equal_toIvEEjEE10hipError_tPvRmT2_T3_T4_T5_mT6_T7_P12ihipStream_tbENKUlT_T0_E_clISt17integral_constantIbLb1EES10_IbLb0EEEEDaSW_SX_EUlSW_E_NS1_11comp_targetILNS1_3genE2ELNS1_11target_archE906ELNS1_3gpuE6ELNS1_3repE0EEENS1_30default_config_static_selectorELNS0_4arch9wavefront6targetE0EEEvT1_.has_recursion, 0
	.set _ZN7rocprim17ROCPRIM_400000_NS6detail17trampoline_kernelINS0_14default_configENS1_27scan_by_key_config_selectorIijEEZZNS1_16scan_by_key_implILNS1_25lookback_scan_determinismE0ELb1ES3_N6thrust23THRUST_200600_302600_NS6detail15normal_iteratorINS9_10device_ptrIiEEEENSB_INSC_IjEEEESG_jNS9_4plusIvEENS9_8equal_toIvEEjEE10hipError_tPvRmT2_T3_T4_T5_mT6_T7_P12ihipStream_tbENKUlT_T0_E_clISt17integral_constantIbLb1EES10_IbLb0EEEEDaSW_SX_EUlSW_E_NS1_11comp_targetILNS1_3genE2ELNS1_11target_archE906ELNS1_3gpuE6ELNS1_3repE0EEENS1_30default_config_static_selectorELNS0_4arch9wavefront6targetE0EEEvT1_.has_indirect_call, 0
	.section	.AMDGPU.csdata,"",@progbits
; Kernel info:
; codeLenInByte = 0
; TotalNumSgprs: 0
; NumVgprs: 0
; ScratchSize: 0
; MemoryBound: 0
; FloatMode: 240
; IeeeMode: 1
; LDSByteSize: 0 bytes/workgroup (compile time only)
; SGPRBlocks: 0
; VGPRBlocks: 0
; NumSGPRsForWavesPerEU: 1
; NumVGPRsForWavesPerEU: 1
; Occupancy: 16
; WaveLimiterHint : 0
; COMPUTE_PGM_RSRC2:SCRATCH_EN: 0
; COMPUTE_PGM_RSRC2:USER_SGPR: 6
; COMPUTE_PGM_RSRC2:TRAP_HANDLER: 0
; COMPUTE_PGM_RSRC2:TGID_X_EN: 1
; COMPUTE_PGM_RSRC2:TGID_Y_EN: 0
; COMPUTE_PGM_RSRC2:TGID_Z_EN: 0
; COMPUTE_PGM_RSRC2:TIDIG_COMP_CNT: 0
	.section	.text._ZN7rocprim17ROCPRIM_400000_NS6detail17trampoline_kernelINS0_14default_configENS1_27scan_by_key_config_selectorIijEEZZNS1_16scan_by_key_implILNS1_25lookback_scan_determinismE0ELb1ES3_N6thrust23THRUST_200600_302600_NS6detail15normal_iteratorINS9_10device_ptrIiEEEENSB_INSC_IjEEEESG_jNS9_4plusIvEENS9_8equal_toIvEEjEE10hipError_tPvRmT2_T3_T4_T5_mT6_T7_P12ihipStream_tbENKUlT_T0_E_clISt17integral_constantIbLb1EES10_IbLb0EEEEDaSW_SX_EUlSW_E_NS1_11comp_targetILNS1_3genE10ELNS1_11target_archE1200ELNS1_3gpuE4ELNS1_3repE0EEENS1_30default_config_static_selectorELNS0_4arch9wavefront6targetE0EEEvT1_,"axG",@progbits,_ZN7rocprim17ROCPRIM_400000_NS6detail17trampoline_kernelINS0_14default_configENS1_27scan_by_key_config_selectorIijEEZZNS1_16scan_by_key_implILNS1_25lookback_scan_determinismE0ELb1ES3_N6thrust23THRUST_200600_302600_NS6detail15normal_iteratorINS9_10device_ptrIiEEEENSB_INSC_IjEEEESG_jNS9_4plusIvEENS9_8equal_toIvEEjEE10hipError_tPvRmT2_T3_T4_T5_mT6_T7_P12ihipStream_tbENKUlT_T0_E_clISt17integral_constantIbLb1EES10_IbLb0EEEEDaSW_SX_EUlSW_E_NS1_11comp_targetILNS1_3genE10ELNS1_11target_archE1200ELNS1_3gpuE4ELNS1_3repE0EEENS1_30default_config_static_selectorELNS0_4arch9wavefront6targetE0EEEvT1_,comdat
	.protected	_ZN7rocprim17ROCPRIM_400000_NS6detail17trampoline_kernelINS0_14default_configENS1_27scan_by_key_config_selectorIijEEZZNS1_16scan_by_key_implILNS1_25lookback_scan_determinismE0ELb1ES3_N6thrust23THRUST_200600_302600_NS6detail15normal_iteratorINS9_10device_ptrIiEEEENSB_INSC_IjEEEESG_jNS9_4plusIvEENS9_8equal_toIvEEjEE10hipError_tPvRmT2_T3_T4_T5_mT6_T7_P12ihipStream_tbENKUlT_T0_E_clISt17integral_constantIbLb1EES10_IbLb0EEEEDaSW_SX_EUlSW_E_NS1_11comp_targetILNS1_3genE10ELNS1_11target_archE1200ELNS1_3gpuE4ELNS1_3repE0EEENS1_30default_config_static_selectorELNS0_4arch9wavefront6targetE0EEEvT1_ ; -- Begin function _ZN7rocprim17ROCPRIM_400000_NS6detail17trampoline_kernelINS0_14default_configENS1_27scan_by_key_config_selectorIijEEZZNS1_16scan_by_key_implILNS1_25lookback_scan_determinismE0ELb1ES3_N6thrust23THRUST_200600_302600_NS6detail15normal_iteratorINS9_10device_ptrIiEEEENSB_INSC_IjEEEESG_jNS9_4plusIvEENS9_8equal_toIvEEjEE10hipError_tPvRmT2_T3_T4_T5_mT6_T7_P12ihipStream_tbENKUlT_T0_E_clISt17integral_constantIbLb1EES10_IbLb0EEEEDaSW_SX_EUlSW_E_NS1_11comp_targetILNS1_3genE10ELNS1_11target_archE1200ELNS1_3gpuE4ELNS1_3repE0EEENS1_30default_config_static_selectorELNS0_4arch9wavefront6targetE0EEEvT1_
	.globl	_ZN7rocprim17ROCPRIM_400000_NS6detail17trampoline_kernelINS0_14default_configENS1_27scan_by_key_config_selectorIijEEZZNS1_16scan_by_key_implILNS1_25lookback_scan_determinismE0ELb1ES3_N6thrust23THRUST_200600_302600_NS6detail15normal_iteratorINS9_10device_ptrIiEEEENSB_INSC_IjEEEESG_jNS9_4plusIvEENS9_8equal_toIvEEjEE10hipError_tPvRmT2_T3_T4_T5_mT6_T7_P12ihipStream_tbENKUlT_T0_E_clISt17integral_constantIbLb1EES10_IbLb0EEEEDaSW_SX_EUlSW_E_NS1_11comp_targetILNS1_3genE10ELNS1_11target_archE1200ELNS1_3gpuE4ELNS1_3repE0EEENS1_30default_config_static_selectorELNS0_4arch9wavefront6targetE0EEEvT1_
	.p2align	8
	.type	_ZN7rocprim17ROCPRIM_400000_NS6detail17trampoline_kernelINS0_14default_configENS1_27scan_by_key_config_selectorIijEEZZNS1_16scan_by_key_implILNS1_25lookback_scan_determinismE0ELb1ES3_N6thrust23THRUST_200600_302600_NS6detail15normal_iteratorINS9_10device_ptrIiEEEENSB_INSC_IjEEEESG_jNS9_4plusIvEENS9_8equal_toIvEEjEE10hipError_tPvRmT2_T3_T4_T5_mT6_T7_P12ihipStream_tbENKUlT_T0_E_clISt17integral_constantIbLb1EES10_IbLb0EEEEDaSW_SX_EUlSW_E_NS1_11comp_targetILNS1_3genE10ELNS1_11target_archE1200ELNS1_3gpuE4ELNS1_3repE0EEENS1_30default_config_static_selectorELNS0_4arch9wavefront6targetE0EEEvT1_,@function
_ZN7rocprim17ROCPRIM_400000_NS6detail17trampoline_kernelINS0_14default_configENS1_27scan_by_key_config_selectorIijEEZZNS1_16scan_by_key_implILNS1_25lookback_scan_determinismE0ELb1ES3_N6thrust23THRUST_200600_302600_NS6detail15normal_iteratorINS9_10device_ptrIiEEEENSB_INSC_IjEEEESG_jNS9_4plusIvEENS9_8equal_toIvEEjEE10hipError_tPvRmT2_T3_T4_T5_mT6_T7_P12ihipStream_tbENKUlT_T0_E_clISt17integral_constantIbLb1EES10_IbLb0EEEEDaSW_SX_EUlSW_E_NS1_11comp_targetILNS1_3genE10ELNS1_11target_archE1200ELNS1_3gpuE4ELNS1_3repE0EEENS1_30default_config_static_selectorELNS0_4arch9wavefront6targetE0EEEvT1_: ; @_ZN7rocprim17ROCPRIM_400000_NS6detail17trampoline_kernelINS0_14default_configENS1_27scan_by_key_config_selectorIijEEZZNS1_16scan_by_key_implILNS1_25lookback_scan_determinismE0ELb1ES3_N6thrust23THRUST_200600_302600_NS6detail15normal_iteratorINS9_10device_ptrIiEEEENSB_INSC_IjEEEESG_jNS9_4plusIvEENS9_8equal_toIvEEjEE10hipError_tPvRmT2_T3_T4_T5_mT6_T7_P12ihipStream_tbENKUlT_T0_E_clISt17integral_constantIbLb1EES10_IbLb0EEEEDaSW_SX_EUlSW_E_NS1_11comp_targetILNS1_3genE10ELNS1_11target_archE1200ELNS1_3gpuE4ELNS1_3repE0EEENS1_30default_config_static_selectorELNS0_4arch9wavefront6targetE0EEEvT1_
; %bb.0:
	.section	.rodata,"a",@progbits
	.p2align	6, 0x0
	.amdhsa_kernel _ZN7rocprim17ROCPRIM_400000_NS6detail17trampoline_kernelINS0_14default_configENS1_27scan_by_key_config_selectorIijEEZZNS1_16scan_by_key_implILNS1_25lookback_scan_determinismE0ELb1ES3_N6thrust23THRUST_200600_302600_NS6detail15normal_iteratorINS9_10device_ptrIiEEEENSB_INSC_IjEEEESG_jNS9_4plusIvEENS9_8equal_toIvEEjEE10hipError_tPvRmT2_T3_T4_T5_mT6_T7_P12ihipStream_tbENKUlT_T0_E_clISt17integral_constantIbLb1EES10_IbLb0EEEEDaSW_SX_EUlSW_E_NS1_11comp_targetILNS1_3genE10ELNS1_11target_archE1200ELNS1_3gpuE4ELNS1_3repE0EEENS1_30default_config_static_selectorELNS0_4arch9wavefront6targetE0EEEvT1_
		.amdhsa_group_segment_fixed_size 0
		.amdhsa_private_segment_fixed_size 0
		.amdhsa_kernarg_size 112
		.amdhsa_user_sgpr_count 6
		.amdhsa_user_sgpr_private_segment_buffer 1
		.amdhsa_user_sgpr_dispatch_ptr 0
		.amdhsa_user_sgpr_queue_ptr 0
		.amdhsa_user_sgpr_kernarg_segment_ptr 1
		.amdhsa_user_sgpr_dispatch_id 0
		.amdhsa_user_sgpr_flat_scratch_init 0
		.amdhsa_user_sgpr_private_segment_size 0
		.amdhsa_wavefront_size32 1
		.amdhsa_uses_dynamic_stack 0
		.amdhsa_system_sgpr_private_segment_wavefront_offset 0
		.amdhsa_system_sgpr_workgroup_id_x 1
		.amdhsa_system_sgpr_workgroup_id_y 0
		.amdhsa_system_sgpr_workgroup_id_z 0
		.amdhsa_system_sgpr_workgroup_info 0
		.amdhsa_system_vgpr_workitem_id 0
		.amdhsa_next_free_vgpr 1
		.amdhsa_next_free_sgpr 1
		.amdhsa_reserve_vcc 0
		.amdhsa_reserve_flat_scratch 0
		.amdhsa_float_round_mode_32 0
		.amdhsa_float_round_mode_16_64 0
		.amdhsa_float_denorm_mode_32 3
		.amdhsa_float_denorm_mode_16_64 3
		.amdhsa_dx10_clamp 1
		.amdhsa_ieee_mode 1
		.amdhsa_fp16_overflow 0
		.amdhsa_workgroup_processor_mode 1
		.amdhsa_memory_ordered 1
		.amdhsa_forward_progress 1
		.amdhsa_shared_vgpr_count 0
		.amdhsa_exception_fp_ieee_invalid_op 0
		.amdhsa_exception_fp_denorm_src 0
		.amdhsa_exception_fp_ieee_div_zero 0
		.amdhsa_exception_fp_ieee_overflow 0
		.amdhsa_exception_fp_ieee_underflow 0
		.amdhsa_exception_fp_ieee_inexact 0
		.amdhsa_exception_int_div_zero 0
	.end_amdhsa_kernel
	.section	.text._ZN7rocprim17ROCPRIM_400000_NS6detail17trampoline_kernelINS0_14default_configENS1_27scan_by_key_config_selectorIijEEZZNS1_16scan_by_key_implILNS1_25lookback_scan_determinismE0ELb1ES3_N6thrust23THRUST_200600_302600_NS6detail15normal_iteratorINS9_10device_ptrIiEEEENSB_INSC_IjEEEESG_jNS9_4plusIvEENS9_8equal_toIvEEjEE10hipError_tPvRmT2_T3_T4_T5_mT6_T7_P12ihipStream_tbENKUlT_T0_E_clISt17integral_constantIbLb1EES10_IbLb0EEEEDaSW_SX_EUlSW_E_NS1_11comp_targetILNS1_3genE10ELNS1_11target_archE1200ELNS1_3gpuE4ELNS1_3repE0EEENS1_30default_config_static_selectorELNS0_4arch9wavefront6targetE0EEEvT1_,"axG",@progbits,_ZN7rocprim17ROCPRIM_400000_NS6detail17trampoline_kernelINS0_14default_configENS1_27scan_by_key_config_selectorIijEEZZNS1_16scan_by_key_implILNS1_25lookback_scan_determinismE0ELb1ES3_N6thrust23THRUST_200600_302600_NS6detail15normal_iteratorINS9_10device_ptrIiEEEENSB_INSC_IjEEEESG_jNS9_4plusIvEENS9_8equal_toIvEEjEE10hipError_tPvRmT2_T3_T4_T5_mT6_T7_P12ihipStream_tbENKUlT_T0_E_clISt17integral_constantIbLb1EES10_IbLb0EEEEDaSW_SX_EUlSW_E_NS1_11comp_targetILNS1_3genE10ELNS1_11target_archE1200ELNS1_3gpuE4ELNS1_3repE0EEENS1_30default_config_static_selectorELNS0_4arch9wavefront6targetE0EEEvT1_,comdat
.Lfunc_end1523:
	.size	_ZN7rocprim17ROCPRIM_400000_NS6detail17trampoline_kernelINS0_14default_configENS1_27scan_by_key_config_selectorIijEEZZNS1_16scan_by_key_implILNS1_25lookback_scan_determinismE0ELb1ES3_N6thrust23THRUST_200600_302600_NS6detail15normal_iteratorINS9_10device_ptrIiEEEENSB_INSC_IjEEEESG_jNS9_4plusIvEENS9_8equal_toIvEEjEE10hipError_tPvRmT2_T3_T4_T5_mT6_T7_P12ihipStream_tbENKUlT_T0_E_clISt17integral_constantIbLb1EES10_IbLb0EEEEDaSW_SX_EUlSW_E_NS1_11comp_targetILNS1_3genE10ELNS1_11target_archE1200ELNS1_3gpuE4ELNS1_3repE0EEENS1_30default_config_static_selectorELNS0_4arch9wavefront6targetE0EEEvT1_, .Lfunc_end1523-_ZN7rocprim17ROCPRIM_400000_NS6detail17trampoline_kernelINS0_14default_configENS1_27scan_by_key_config_selectorIijEEZZNS1_16scan_by_key_implILNS1_25lookback_scan_determinismE0ELb1ES3_N6thrust23THRUST_200600_302600_NS6detail15normal_iteratorINS9_10device_ptrIiEEEENSB_INSC_IjEEEESG_jNS9_4plusIvEENS9_8equal_toIvEEjEE10hipError_tPvRmT2_T3_T4_T5_mT6_T7_P12ihipStream_tbENKUlT_T0_E_clISt17integral_constantIbLb1EES10_IbLb0EEEEDaSW_SX_EUlSW_E_NS1_11comp_targetILNS1_3genE10ELNS1_11target_archE1200ELNS1_3gpuE4ELNS1_3repE0EEENS1_30default_config_static_selectorELNS0_4arch9wavefront6targetE0EEEvT1_
                                        ; -- End function
	.set _ZN7rocprim17ROCPRIM_400000_NS6detail17trampoline_kernelINS0_14default_configENS1_27scan_by_key_config_selectorIijEEZZNS1_16scan_by_key_implILNS1_25lookback_scan_determinismE0ELb1ES3_N6thrust23THRUST_200600_302600_NS6detail15normal_iteratorINS9_10device_ptrIiEEEENSB_INSC_IjEEEESG_jNS9_4plusIvEENS9_8equal_toIvEEjEE10hipError_tPvRmT2_T3_T4_T5_mT6_T7_P12ihipStream_tbENKUlT_T0_E_clISt17integral_constantIbLb1EES10_IbLb0EEEEDaSW_SX_EUlSW_E_NS1_11comp_targetILNS1_3genE10ELNS1_11target_archE1200ELNS1_3gpuE4ELNS1_3repE0EEENS1_30default_config_static_selectorELNS0_4arch9wavefront6targetE0EEEvT1_.num_vgpr, 0
	.set _ZN7rocprim17ROCPRIM_400000_NS6detail17trampoline_kernelINS0_14default_configENS1_27scan_by_key_config_selectorIijEEZZNS1_16scan_by_key_implILNS1_25lookback_scan_determinismE0ELb1ES3_N6thrust23THRUST_200600_302600_NS6detail15normal_iteratorINS9_10device_ptrIiEEEENSB_INSC_IjEEEESG_jNS9_4plusIvEENS9_8equal_toIvEEjEE10hipError_tPvRmT2_T3_T4_T5_mT6_T7_P12ihipStream_tbENKUlT_T0_E_clISt17integral_constantIbLb1EES10_IbLb0EEEEDaSW_SX_EUlSW_E_NS1_11comp_targetILNS1_3genE10ELNS1_11target_archE1200ELNS1_3gpuE4ELNS1_3repE0EEENS1_30default_config_static_selectorELNS0_4arch9wavefront6targetE0EEEvT1_.num_agpr, 0
	.set _ZN7rocprim17ROCPRIM_400000_NS6detail17trampoline_kernelINS0_14default_configENS1_27scan_by_key_config_selectorIijEEZZNS1_16scan_by_key_implILNS1_25lookback_scan_determinismE0ELb1ES3_N6thrust23THRUST_200600_302600_NS6detail15normal_iteratorINS9_10device_ptrIiEEEENSB_INSC_IjEEEESG_jNS9_4plusIvEENS9_8equal_toIvEEjEE10hipError_tPvRmT2_T3_T4_T5_mT6_T7_P12ihipStream_tbENKUlT_T0_E_clISt17integral_constantIbLb1EES10_IbLb0EEEEDaSW_SX_EUlSW_E_NS1_11comp_targetILNS1_3genE10ELNS1_11target_archE1200ELNS1_3gpuE4ELNS1_3repE0EEENS1_30default_config_static_selectorELNS0_4arch9wavefront6targetE0EEEvT1_.numbered_sgpr, 0
	.set _ZN7rocprim17ROCPRIM_400000_NS6detail17trampoline_kernelINS0_14default_configENS1_27scan_by_key_config_selectorIijEEZZNS1_16scan_by_key_implILNS1_25lookback_scan_determinismE0ELb1ES3_N6thrust23THRUST_200600_302600_NS6detail15normal_iteratorINS9_10device_ptrIiEEEENSB_INSC_IjEEEESG_jNS9_4plusIvEENS9_8equal_toIvEEjEE10hipError_tPvRmT2_T3_T4_T5_mT6_T7_P12ihipStream_tbENKUlT_T0_E_clISt17integral_constantIbLb1EES10_IbLb0EEEEDaSW_SX_EUlSW_E_NS1_11comp_targetILNS1_3genE10ELNS1_11target_archE1200ELNS1_3gpuE4ELNS1_3repE0EEENS1_30default_config_static_selectorELNS0_4arch9wavefront6targetE0EEEvT1_.num_named_barrier, 0
	.set _ZN7rocprim17ROCPRIM_400000_NS6detail17trampoline_kernelINS0_14default_configENS1_27scan_by_key_config_selectorIijEEZZNS1_16scan_by_key_implILNS1_25lookback_scan_determinismE0ELb1ES3_N6thrust23THRUST_200600_302600_NS6detail15normal_iteratorINS9_10device_ptrIiEEEENSB_INSC_IjEEEESG_jNS9_4plusIvEENS9_8equal_toIvEEjEE10hipError_tPvRmT2_T3_T4_T5_mT6_T7_P12ihipStream_tbENKUlT_T0_E_clISt17integral_constantIbLb1EES10_IbLb0EEEEDaSW_SX_EUlSW_E_NS1_11comp_targetILNS1_3genE10ELNS1_11target_archE1200ELNS1_3gpuE4ELNS1_3repE0EEENS1_30default_config_static_selectorELNS0_4arch9wavefront6targetE0EEEvT1_.private_seg_size, 0
	.set _ZN7rocprim17ROCPRIM_400000_NS6detail17trampoline_kernelINS0_14default_configENS1_27scan_by_key_config_selectorIijEEZZNS1_16scan_by_key_implILNS1_25lookback_scan_determinismE0ELb1ES3_N6thrust23THRUST_200600_302600_NS6detail15normal_iteratorINS9_10device_ptrIiEEEENSB_INSC_IjEEEESG_jNS9_4plusIvEENS9_8equal_toIvEEjEE10hipError_tPvRmT2_T3_T4_T5_mT6_T7_P12ihipStream_tbENKUlT_T0_E_clISt17integral_constantIbLb1EES10_IbLb0EEEEDaSW_SX_EUlSW_E_NS1_11comp_targetILNS1_3genE10ELNS1_11target_archE1200ELNS1_3gpuE4ELNS1_3repE0EEENS1_30default_config_static_selectorELNS0_4arch9wavefront6targetE0EEEvT1_.uses_vcc, 0
	.set _ZN7rocprim17ROCPRIM_400000_NS6detail17trampoline_kernelINS0_14default_configENS1_27scan_by_key_config_selectorIijEEZZNS1_16scan_by_key_implILNS1_25lookback_scan_determinismE0ELb1ES3_N6thrust23THRUST_200600_302600_NS6detail15normal_iteratorINS9_10device_ptrIiEEEENSB_INSC_IjEEEESG_jNS9_4plusIvEENS9_8equal_toIvEEjEE10hipError_tPvRmT2_T3_T4_T5_mT6_T7_P12ihipStream_tbENKUlT_T0_E_clISt17integral_constantIbLb1EES10_IbLb0EEEEDaSW_SX_EUlSW_E_NS1_11comp_targetILNS1_3genE10ELNS1_11target_archE1200ELNS1_3gpuE4ELNS1_3repE0EEENS1_30default_config_static_selectorELNS0_4arch9wavefront6targetE0EEEvT1_.uses_flat_scratch, 0
	.set _ZN7rocprim17ROCPRIM_400000_NS6detail17trampoline_kernelINS0_14default_configENS1_27scan_by_key_config_selectorIijEEZZNS1_16scan_by_key_implILNS1_25lookback_scan_determinismE0ELb1ES3_N6thrust23THRUST_200600_302600_NS6detail15normal_iteratorINS9_10device_ptrIiEEEENSB_INSC_IjEEEESG_jNS9_4plusIvEENS9_8equal_toIvEEjEE10hipError_tPvRmT2_T3_T4_T5_mT6_T7_P12ihipStream_tbENKUlT_T0_E_clISt17integral_constantIbLb1EES10_IbLb0EEEEDaSW_SX_EUlSW_E_NS1_11comp_targetILNS1_3genE10ELNS1_11target_archE1200ELNS1_3gpuE4ELNS1_3repE0EEENS1_30default_config_static_selectorELNS0_4arch9wavefront6targetE0EEEvT1_.has_dyn_sized_stack, 0
	.set _ZN7rocprim17ROCPRIM_400000_NS6detail17trampoline_kernelINS0_14default_configENS1_27scan_by_key_config_selectorIijEEZZNS1_16scan_by_key_implILNS1_25lookback_scan_determinismE0ELb1ES3_N6thrust23THRUST_200600_302600_NS6detail15normal_iteratorINS9_10device_ptrIiEEEENSB_INSC_IjEEEESG_jNS9_4plusIvEENS9_8equal_toIvEEjEE10hipError_tPvRmT2_T3_T4_T5_mT6_T7_P12ihipStream_tbENKUlT_T0_E_clISt17integral_constantIbLb1EES10_IbLb0EEEEDaSW_SX_EUlSW_E_NS1_11comp_targetILNS1_3genE10ELNS1_11target_archE1200ELNS1_3gpuE4ELNS1_3repE0EEENS1_30default_config_static_selectorELNS0_4arch9wavefront6targetE0EEEvT1_.has_recursion, 0
	.set _ZN7rocprim17ROCPRIM_400000_NS6detail17trampoline_kernelINS0_14default_configENS1_27scan_by_key_config_selectorIijEEZZNS1_16scan_by_key_implILNS1_25lookback_scan_determinismE0ELb1ES3_N6thrust23THRUST_200600_302600_NS6detail15normal_iteratorINS9_10device_ptrIiEEEENSB_INSC_IjEEEESG_jNS9_4plusIvEENS9_8equal_toIvEEjEE10hipError_tPvRmT2_T3_T4_T5_mT6_T7_P12ihipStream_tbENKUlT_T0_E_clISt17integral_constantIbLb1EES10_IbLb0EEEEDaSW_SX_EUlSW_E_NS1_11comp_targetILNS1_3genE10ELNS1_11target_archE1200ELNS1_3gpuE4ELNS1_3repE0EEENS1_30default_config_static_selectorELNS0_4arch9wavefront6targetE0EEEvT1_.has_indirect_call, 0
	.section	.AMDGPU.csdata,"",@progbits
; Kernel info:
; codeLenInByte = 0
; TotalNumSgprs: 0
; NumVgprs: 0
; ScratchSize: 0
; MemoryBound: 0
; FloatMode: 240
; IeeeMode: 1
; LDSByteSize: 0 bytes/workgroup (compile time only)
; SGPRBlocks: 0
; VGPRBlocks: 0
; NumSGPRsForWavesPerEU: 1
; NumVGPRsForWavesPerEU: 1
; Occupancy: 16
; WaveLimiterHint : 0
; COMPUTE_PGM_RSRC2:SCRATCH_EN: 0
; COMPUTE_PGM_RSRC2:USER_SGPR: 6
; COMPUTE_PGM_RSRC2:TRAP_HANDLER: 0
; COMPUTE_PGM_RSRC2:TGID_X_EN: 1
; COMPUTE_PGM_RSRC2:TGID_Y_EN: 0
; COMPUTE_PGM_RSRC2:TGID_Z_EN: 0
; COMPUTE_PGM_RSRC2:TIDIG_COMP_CNT: 0
	.section	.text._ZN7rocprim17ROCPRIM_400000_NS6detail17trampoline_kernelINS0_14default_configENS1_27scan_by_key_config_selectorIijEEZZNS1_16scan_by_key_implILNS1_25lookback_scan_determinismE0ELb1ES3_N6thrust23THRUST_200600_302600_NS6detail15normal_iteratorINS9_10device_ptrIiEEEENSB_INSC_IjEEEESG_jNS9_4plusIvEENS9_8equal_toIvEEjEE10hipError_tPvRmT2_T3_T4_T5_mT6_T7_P12ihipStream_tbENKUlT_T0_E_clISt17integral_constantIbLb1EES10_IbLb0EEEEDaSW_SX_EUlSW_E_NS1_11comp_targetILNS1_3genE9ELNS1_11target_archE1100ELNS1_3gpuE3ELNS1_3repE0EEENS1_30default_config_static_selectorELNS0_4arch9wavefront6targetE0EEEvT1_,"axG",@progbits,_ZN7rocprim17ROCPRIM_400000_NS6detail17trampoline_kernelINS0_14default_configENS1_27scan_by_key_config_selectorIijEEZZNS1_16scan_by_key_implILNS1_25lookback_scan_determinismE0ELb1ES3_N6thrust23THRUST_200600_302600_NS6detail15normal_iteratorINS9_10device_ptrIiEEEENSB_INSC_IjEEEESG_jNS9_4plusIvEENS9_8equal_toIvEEjEE10hipError_tPvRmT2_T3_T4_T5_mT6_T7_P12ihipStream_tbENKUlT_T0_E_clISt17integral_constantIbLb1EES10_IbLb0EEEEDaSW_SX_EUlSW_E_NS1_11comp_targetILNS1_3genE9ELNS1_11target_archE1100ELNS1_3gpuE3ELNS1_3repE0EEENS1_30default_config_static_selectorELNS0_4arch9wavefront6targetE0EEEvT1_,comdat
	.protected	_ZN7rocprim17ROCPRIM_400000_NS6detail17trampoline_kernelINS0_14default_configENS1_27scan_by_key_config_selectorIijEEZZNS1_16scan_by_key_implILNS1_25lookback_scan_determinismE0ELb1ES3_N6thrust23THRUST_200600_302600_NS6detail15normal_iteratorINS9_10device_ptrIiEEEENSB_INSC_IjEEEESG_jNS9_4plusIvEENS9_8equal_toIvEEjEE10hipError_tPvRmT2_T3_T4_T5_mT6_T7_P12ihipStream_tbENKUlT_T0_E_clISt17integral_constantIbLb1EES10_IbLb0EEEEDaSW_SX_EUlSW_E_NS1_11comp_targetILNS1_3genE9ELNS1_11target_archE1100ELNS1_3gpuE3ELNS1_3repE0EEENS1_30default_config_static_selectorELNS0_4arch9wavefront6targetE0EEEvT1_ ; -- Begin function _ZN7rocprim17ROCPRIM_400000_NS6detail17trampoline_kernelINS0_14default_configENS1_27scan_by_key_config_selectorIijEEZZNS1_16scan_by_key_implILNS1_25lookback_scan_determinismE0ELb1ES3_N6thrust23THRUST_200600_302600_NS6detail15normal_iteratorINS9_10device_ptrIiEEEENSB_INSC_IjEEEESG_jNS9_4plusIvEENS9_8equal_toIvEEjEE10hipError_tPvRmT2_T3_T4_T5_mT6_T7_P12ihipStream_tbENKUlT_T0_E_clISt17integral_constantIbLb1EES10_IbLb0EEEEDaSW_SX_EUlSW_E_NS1_11comp_targetILNS1_3genE9ELNS1_11target_archE1100ELNS1_3gpuE3ELNS1_3repE0EEENS1_30default_config_static_selectorELNS0_4arch9wavefront6targetE0EEEvT1_
	.globl	_ZN7rocprim17ROCPRIM_400000_NS6detail17trampoline_kernelINS0_14default_configENS1_27scan_by_key_config_selectorIijEEZZNS1_16scan_by_key_implILNS1_25lookback_scan_determinismE0ELb1ES3_N6thrust23THRUST_200600_302600_NS6detail15normal_iteratorINS9_10device_ptrIiEEEENSB_INSC_IjEEEESG_jNS9_4plusIvEENS9_8equal_toIvEEjEE10hipError_tPvRmT2_T3_T4_T5_mT6_T7_P12ihipStream_tbENKUlT_T0_E_clISt17integral_constantIbLb1EES10_IbLb0EEEEDaSW_SX_EUlSW_E_NS1_11comp_targetILNS1_3genE9ELNS1_11target_archE1100ELNS1_3gpuE3ELNS1_3repE0EEENS1_30default_config_static_selectorELNS0_4arch9wavefront6targetE0EEEvT1_
	.p2align	8
	.type	_ZN7rocprim17ROCPRIM_400000_NS6detail17trampoline_kernelINS0_14default_configENS1_27scan_by_key_config_selectorIijEEZZNS1_16scan_by_key_implILNS1_25lookback_scan_determinismE0ELb1ES3_N6thrust23THRUST_200600_302600_NS6detail15normal_iteratorINS9_10device_ptrIiEEEENSB_INSC_IjEEEESG_jNS9_4plusIvEENS9_8equal_toIvEEjEE10hipError_tPvRmT2_T3_T4_T5_mT6_T7_P12ihipStream_tbENKUlT_T0_E_clISt17integral_constantIbLb1EES10_IbLb0EEEEDaSW_SX_EUlSW_E_NS1_11comp_targetILNS1_3genE9ELNS1_11target_archE1100ELNS1_3gpuE3ELNS1_3repE0EEENS1_30default_config_static_selectorELNS0_4arch9wavefront6targetE0EEEvT1_,@function
_ZN7rocprim17ROCPRIM_400000_NS6detail17trampoline_kernelINS0_14default_configENS1_27scan_by_key_config_selectorIijEEZZNS1_16scan_by_key_implILNS1_25lookback_scan_determinismE0ELb1ES3_N6thrust23THRUST_200600_302600_NS6detail15normal_iteratorINS9_10device_ptrIiEEEENSB_INSC_IjEEEESG_jNS9_4plusIvEENS9_8equal_toIvEEjEE10hipError_tPvRmT2_T3_T4_T5_mT6_T7_P12ihipStream_tbENKUlT_T0_E_clISt17integral_constantIbLb1EES10_IbLb0EEEEDaSW_SX_EUlSW_E_NS1_11comp_targetILNS1_3genE9ELNS1_11target_archE1100ELNS1_3gpuE3ELNS1_3repE0EEENS1_30default_config_static_selectorELNS0_4arch9wavefront6targetE0EEEvT1_: ; @_ZN7rocprim17ROCPRIM_400000_NS6detail17trampoline_kernelINS0_14default_configENS1_27scan_by_key_config_selectorIijEEZZNS1_16scan_by_key_implILNS1_25lookback_scan_determinismE0ELb1ES3_N6thrust23THRUST_200600_302600_NS6detail15normal_iteratorINS9_10device_ptrIiEEEENSB_INSC_IjEEEESG_jNS9_4plusIvEENS9_8equal_toIvEEjEE10hipError_tPvRmT2_T3_T4_T5_mT6_T7_P12ihipStream_tbENKUlT_T0_E_clISt17integral_constantIbLb1EES10_IbLb0EEEEDaSW_SX_EUlSW_E_NS1_11comp_targetILNS1_3genE9ELNS1_11target_archE1100ELNS1_3gpuE3ELNS1_3repE0EEENS1_30default_config_static_selectorELNS0_4arch9wavefront6targetE0EEEvT1_
; %bb.0:
	.section	.rodata,"a",@progbits
	.p2align	6, 0x0
	.amdhsa_kernel _ZN7rocprim17ROCPRIM_400000_NS6detail17trampoline_kernelINS0_14default_configENS1_27scan_by_key_config_selectorIijEEZZNS1_16scan_by_key_implILNS1_25lookback_scan_determinismE0ELb1ES3_N6thrust23THRUST_200600_302600_NS6detail15normal_iteratorINS9_10device_ptrIiEEEENSB_INSC_IjEEEESG_jNS9_4plusIvEENS9_8equal_toIvEEjEE10hipError_tPvRmT2_T3_T4_T5_mT6_T7_P12ihipStream_tbENKUlT_T0_E_clISt17integral_constantIbLb1EES10_IbLb0EEEEDaSW_SX_EUlSW_E_NS1_11comp_targetILNS1_3genE9ELNS1_11target_archE1100ELNS1_3gpuE3ELNS1_3repE0EEENS1_30default_config_static_selectorELNS0_4arch9wavefront6targetE0EEEvT1_
		.amdhsa_group_segment_fixed_size 0
		.amdhsa_private_segment_fixed_size 0
		.amdhsa_kernarg_size 112
		.amdhsa_user_sgpr_count 6
		.amdhsa_user_sgpr_private_segment_buffer 1
		.amdhsa_user_sgpr_dispatch_ptr 0
		.amdhsa_user_sgpr_queue_ptr 0
		.amdhsa_user_sgpr_kernarg_segment_ptr 1
		.amdhsa_user_sgpr_dispatch_id 0
		.amdhsa_user_sgpr_flat_scratch_init 0
		.amdhsa_user_sgpr_private_segment_size 0
		.amdhsa_wavefront_size32 1
		.amdhsa_uses_dynamic_stack 0
		.amdhsa_system_sgpr_private_segment_wavefront_offset 0
		.amdhsa_system_sgpr_workgroup_id_x 1
		.amdhsa_system_sgpr_workgroup_id_y 0
		.amdhsa_system_sgpr_workgroup_id_z 0
		.amdhsa_system_sgpr_workgroup_info 0
		.amdhsa_system_vgpr_workitem_id 0
		.amdhsa_next_free_vgpr 1
		.amdhsa_next_free_sgpr 1
		.amdhsa_reserve_vcc 0
		.amdhsa_reserve_flat_scratch 0
		.amdhsa_float_round_mode_32 0
		.amdhsa_float_round_mode_16_64 0
		.amdhsa_float_denorm_mode_32 3
		.amdhsa_float_denorm_mode_16_64 3
		.amdhsa_dx10_clamp 1
		.amdhsa_ieee_mode 1
		.amdhsa_fp16_overflow 0
		.amdhsa_workgroup_processor_mode 1
		.amdhsa_memory_ordered 1
		.amdhsa_forward_progress 1
		.amdhsa_shared_vgpr_count 0
		.amdhsa_exception_fp_ieee_invalid_op 0
		.amdhsa_exception_fp_denorm_src 0
		.amdhsa_exception_fp_ieee_div_zero 0
		.amdhsa_exception_fp_ieee_overflow 0
		.amdhsa_exception_fp_ieee_underflow 0
		.amdhsa_exception_fp_ieee_inexact 0
		.amdhsa_exception_int_div_zero 0
	.end_amdhsa_kernel
	.section	.text._ZN7rocprim17ROCPRIM_400000_NS6detail17trampoline_kernelINS0_14default_configENS1_27scan_by_key_config_selectorIijEEZZNS1_16scan_by_key_implILNS1_25lookback_scan_determinismE0ELb1ES3_N6thrust23THRUST_200600_302600_NS6detail15normal_iteratorINS9_10device_ptrIiEEEENSB_INSC_IjEEEESG_jNS9_4plusIvEENS9_8equal_toIvEEjEE10hipError_tPvRmT2_T3_T4_T5_mT6_T7_P12ihipStream_tbENKUlT_T0_E_clISt17integral_constantIbLb1EES10_IbLb0EEEEDaSW_SX_EUlSW_E_NS1_11comp_targetILNS1_3genE9ELNS1_11target_archE1100ELNS1_3gpuE3ELNS1_3repE0EEENS1_30default_config_static_selectorELNS0_4arch9wavefront6targetE0EEEvT1_,"axG",@progbits,_ZN7rocprim17ROCPRIM_400000_NS6detail17trampoline_kernelINS0_14default_configENS1_27scan_by_key_config_selectorIijEEZZNS1_16scan_by_key_implILNS1_25lookback_scan_determinismE0ELb1ES3_N6thrust23THRUST_200600_302600_NS6detail15normal_iteratorINS9_10device_ptrIiEEEENSB_INSC_IjEEEESG_jNS9_4plusIvEENS9_8equal_toIvEEjEE10hipError_tPvRmT2_T3_T4_T5_mT6_T7_P12ihipStream_tbENKUlT_T0_E_clISt17integral_constantIbLb1EES10_IbLb0EEEEDaSW_SX_EUlSW_E_NS1_11comp_targetILNS1_3genE9ELNS1_11target_archE1100ELNS1_3gpuE3ELNS1_3repE0EEENS1_30default_config_static_selectorELNS0_4arch9wavefront6targetE0EEEvT1_,comdat
.Lfunc_end1524:
	.size	_ZN7rocprim17ROCPRIM_400000_NS6detail17trampoline_kernelINS0_14default_configENS1_27scan_by_key_config_selectorIijEEZZNS1_16scan_by_key_implILNS1_25lookback_scan_determinismE0ELb1ES3_N6thrust23THRUST_200600_302600_NS6detail15normal_iteratorINS9_10device_ptrIiEEEENSB_INSC_IjEEEESG_jNS9_4plusIvEENS9_8equal_toIvEEjEE10hipError_tPvRmT2_T3_T4_T5_mT6_T7_P12ihipStream_tbENKUlT_T0_E_clISt17integral_constantIbLb1EES10_IbLb0EEEEDaSW_SX_EUlSW_E_NS1_11comp_targetILNS1_3genE9ELNS1_11target_archE1100ELNS1_3gpuE3ELNS1_3repE0EEENS1_30default_config_static_selectorELNS0_4arch9wavefront6targetE0EEEvT1_, .Lfunc_end1524-_ZN7rocprim17ROCPRIM_400000_NS6detail17trampoline_kernelINS0_14default_configENS1_27scan_by_key_config_selectorIijEEZZNS1_16scan_by_key_implILNS1_25lookback_scan_determinismE0ELb1ES3_N6thrust23THRUST_200600_302600_NS6detail15normal_iteratorINS9_10device_ptrIiEEEENSB_INSC_IjEEEESG_jNS9_4plusIvEENS9_8equal_toIvEEjEE10hipError_tPvRmT2_T3_T4_T5_mT6_T7_P12ihipStream_tbENKUlT_T0_E_clISt17integral_constantIbLb1EES10_IbLb0EEEEDaSW_SX_EUlSW_E_NS1_11comp_targetILNS1_3genE9ELNS1_11target_archE1100ELNS1_3gpuE3ELNS1_3repE0EEENS1_30default_config_static_selectorELNS0_4arch9wavefront6targetE0EEEvT1_
                                        ; -- End function
	.set _ZN7rocprim17ROCPRIM_400000_NS6detail17trampoline_kernelINS0_14default_configENS1_27scan_by_key_config_selectorIijEEZZNS1_16scan_by_key_implILNS1_25lookback_scan_determinismE0ELb1ES3_N6thrust23THRUST_200600_302600_NS6detail15normal_iteratorINS9_10device_ptrIiEEEENSB_INSC_IjEEEESG_jNS9_4plusIvEENS9_8equal_toIvEEjEE10hipError_tPvRmT2_T3_T4_T5_mT6_T7_P12ihipStream_tbENKUlT_T0_E_clISt17integral_constantIbLb1EES10_IbLb0EEEEDaSW_SX_EUlSW_E_NS1_11comp_targetILNS1_3genE9ELNS1_11target_archE1100ELNS1_3gpuE3ELNS1_3repE0EEENS1_30default_config_static_selectorELNS0_4arch9wavefront6targetE0EEEvT1_.num_vgpr, 0
	.set _ZN7rocprim17ROCPRIM_400000_NS6detail17trampoline_kernelINS0_14default_configENS1_27scan_by_key_config_selectorIijEEZZNS1_16scan_by_key_implILNS1_25lookback_scan_determinismE0ELb1ES3_N6thrust23THRUST_200600_302600_NS6detail15normal_iteratorINS9_10device_ptrIiEEEENSB_INSC_IjEEEESG_jNS9_4plusIvEENS9_8equal_toIvEEjEE10hipError_tPvRmT2_T3_T4_T5_mT6_T7_P12ihipStream_tbENKUlT_T0_E_clISt17integral_constantIbLb1EES10_IbLb0EEEEDaSW_SX_EUlSW_E_NS1_11comp_targetILNS1_3genE9ELNS1_11target_archE1100ELNS1_3gpuE3ELNS1_3repE0EEENS1_30default_config_static_selectorELNS0_4arch9wavefront6targetE0EEEvT1_.num_agpr, 0
	.set _ZN7rocprim17ROCPRIM_400000_NS6detail17trampoline_kernelINS0_14default_configENS1_27scan_by_key_config_selectorIijEEZZNS1_16scan_by_key_implILNS1_25lookback_scan_determinismE0ELb1ES3_N6thrust23THRUST_200600_302600_NS6detail15normal_iteratorINS9_10device_ptrIiEEEENSB_INSC_IjEEEESG_jNS9_4plusIvEENS9_8equal_toIvEEjEE10hipError_tPvRmT2_T3_T4_T5_mT6_T7_P12ihipStream_tbENKUlT_T0_E_clISt17integral_constantIbLb1EES10_IbLb0EEEEDaSW_SX_EUlSW_E_NS1_11comp_targetILNS1_3genE9ELNS1_11target_archE1100ELNS1_3gpuE3ELNS1_3repE0EEENS1_30default_config_static_selectorELNS0_4arch9wavefront6targetE0EEEvT1_.numbered_sgpr, 0
	.set _ZN7rocprim17ROCPRIM_400000_NS6detail17trampoline_kernelINS0_14default_configENS1_27scan_by_key_config_selectorIijEEZZNS1_16scan_by_key_implILNS1_25lookback_scan_determinismE0ELb1ES3_N6thrust23THRUST_200600_302600_NS6detail15normal_iteratorINS9_10device_ptrIiEEEENSB_INSC_IjEEEESG_jNS9_4plusIvEENS9_8equal_toIvEEjEE10hipError_tPvRmT2_T3_T4_T5_mT6_T7_P12ihipStream_tbENKUlT_T0_E_clISt17integral_constantIbLb1EES10_IbLb0EEEEDaSW_SX_EUlSW_E_NS1_11comp_targetILNS1_3genE9ELNS1_11target_archE1100ELNS1_3gpuE3ELNS1_3repE0EEENS1_30default_config_static_selectorELNS0_4arch9wavefront6targetE0EEEvT1_.num_named_barrier, 0
	.set _ZN7rocprim17ROCPRIM_400000_NS6detail17trampoline_kernelINS0_14default_configENS1_27scan_by_key_config_selectorIijEEZZNS1_16scan_by_key_implILNS1_25lookback_scan_determinismE0ELb1ES3_N6thrust23THRUST_200600_302600_NS6detail15normal_iteratorINS9_10device_ptrIiEEEENSB_INSC_IjEEEESG_jNS9_4plusIvEENS9_8equal_toIvEEjEE10hipError_tPvRmT2_T3_T4_T5_mT6_T7_P12ihipStream_tbENKUlT_T0_E_clISt17integral_constantIbLb1EES10_IbLb0EEEEDaSW_SX_EUlSW_E_NS1_11comp_targetILNS1_3genE9ELNS1_11target_archE1100ELNS1_3gpuE3ELNS1_3repE0EEENS1_30default_config_static_selectorELNS0_4arch9wavefront6targetE0EEEvT1_.private_seg_size, 0
	.set _ZN7rocprim17ROCPRIM_400000_NS6detail17trampoline_kernelINS0_14default_configENS1_27scan_by_key_config_selectorIijEEZZNS1_16scan_by_key_implILNS1_25lookback_scan_determinismE0ELb1ES3_N6thrust23THRUST_200600_302600_NS6detail15normal_iteratorINS9_10device_ptrIiEEEENSB_INSC_IjEEEESG_jNS9_4plusIvEENS9_8equal_toIvEEjEE10hipError_tPvRmT2_T3_T4_T5_mT6_T7_P12ihipStream_tbENKUlT_T0_E_clISt17integral_constantIbLb1EES10_IbLb0EEEEDaSW_SX_EUlSW_E_NS1_11comp_targetILNS1_3genE9ELNS1_11target_archE1100ELNS1_3gpuE3ELNS1_3repE0EEENS1_30default_config_static_selectorELNS0_4arch9wavefront6targetE0EEEvT1_.uses_vcc, 0
	.set _ZN7rocprim17ROCPRIM_400000_NS6detail17trampoline_kernelINS0_14default_configENS1_27scan_by_key_config_selectorIijEEZZNS1_16scan_by_key_implILNS1_25lookback_scan_determinismE0ELb1ES3_N6thrust23THRUST_200600_302600_NS6detail15normal_iteratorINS9_10device_ptrIiEEEENSB_INSC_IjEEEESG_jNS9_4plusIvEENS9_8equal_toIvEEjEE10hipError_tPvRmT2_T3_T4_T5_mT6_T7_P12ihipStream_tbENKUlT_T0_E_clISt17integral_constantIbLb1EES10_IbLb0EEEEDaSW_SX_EUlSW_E_NS1_11comp_targetILNS1_3genE9ELNS1_11target_archE1100ELNS1_3gpuE3ELNS1_3repE0EEENS1_30default_config_static_selectorELNS0_4arch9wavefront6targetE0EEEvT1_.uses_flat_scratch, 0
	.set _ZN7rocprim17ROCPRIM_400000_NS6detail17trampoline_kernelINS0_14default_configENS1_27scan_by_key_config_selectorIijEEZZNS1_16scan_by_key_implILNS1_25lookback_scan_determinismE0ELb1ES3_N6thrust23THRUST_200600_302600_NS6detail15normal_iteratorINS9_10device_ptrIiEEEENSB_INSC_IjEEEESG_jNS9_4plusIvEENS9_8equal_toIvEEjEE10hipError_tPvRmT2_T3_T4_T5_mT6_T7_P12ihipStream_tbENKUlT_T0_E_clISt17integral_constantIbLb1EES10_IbLb0EEEEDaSW_SX_EUlSW_E_NS1_11comp_targetILNS1_3genE9ELNS1_11target_archE1100ELNS1_3gpuE3ELNS1_3repE0EEENS1_30default_config_static_selectorELNS0_4arch9wavefront6targetE0EEEvT1_.has_dyn_sized_stack, 0
	.set _ZN7rocprim17ROCPRIM_400000_NS6detail17trampoline_kernelINS0_14default_configENS1_27scan_by_key_config_selectorIijEEZZNS1_16scan_by_key_implILNS1_25lookback_scan_determinismE0ELb1ES3_N6thrust23THRUST_200600_302600_NS6detail15normal_iteratorINS9_10device_ptrIiEEEENSB_INSC_IjEEEESG_jNS9_4plusIvEENS9_8equal_toIvEEjEE10hipError_tPvRmT2_T3_T4_T5_mT6_T7_P12ihipStream_tbENKUlT_T0_E_clISt17integral_constantIbLb1EES10_IbLb0EEEEDaSW_SX_EUlSW_E_NS1_11comp_targetILNS1_3genE9ELNS1_11target_archE1100ELNS1_3gpuE3ELNS1_3repE0EEENS1_30default_config_static_selectorELNS0_4arch9wavefront6targetE0EEEvT1_.has_recursion, 0
	.set _ZN7rocprim17ROCPRIM_400000_NS6detail17trampoline_kernelINS0_14default_configENS1_27scan_by_key_config_selectorIijEEZZNS1_16scan_by_key_implILNS1_25lookback_scan_determinismE0ELb1ES3_N6thrust23THRUST_200600_302600_NS6detail15normal_iteratorINS9_10device_ptrIiEEEENSB_INSC_IjEEEESG_jNS9_4plusIvEENS9_8equal_toIvEEjEE10hipError_tPvRmT2_T3_T4_T5_mT6_T7_P12ihipStream_tbENKUlT_T0_E_clISt17integral_constantIbLb1EES10_IbLb0EEEEDaSW_SX_EUlSW_E_NS1_11comp_targetILNS1_3genE9ELNS1_11target_archE1100ELNS1_3gpuE3ELNS1_3repE0EEENS1_30default_config_static_selectorELNS0_4arch9wavefront6targetE0EEEvT1_.has_indirect_call, 0
	.section	.AMDGPU.csdata,"",@progbits
; Kernel info:
; codeLenInByte = 0
; TotalNumSgprs: 0
; NumVgprs: 0
; ScratchSize: 0
; MemoryBound: 0
; FloatMode: 240
; IeeeMode: 1
; LDSByteSize: 0 bytes/workgroup (compile time only)
; SGPRBlocks: 0
; VGPRBlocks: 0
; NumSGPRsForWavesPerEU: 1
; NumVGPRsForWavesPerEU: 1
; Occupancy: 16
; WaveLimiterHint : 0
; COMPUTE_PGM_RSRC2:SCRATCH_EN: 0
; COMPUTE_PGM_RSRC2:USER_SGPR: 6
; COMPUTE_PGM_RSRC2:TRAP_HANDLER: 0
; COMPUTE_PGM_RSRC2:TGID_X_EN: 1
; COMPUTE_PGM_RSRC2:TGID_Y_EN: 0
; COMPUTE_PGM_RSRC2:TGID_Z_EN: 0
; COMPUTE_PGM_RSRC2:TIDIG_COMP_CNT: 0
	.section	.text._ZN7rocprim17ROCPRIM_400000_NS6detail17trampoline_kernelINS0_14default_configENS1_27scan_by_key_config_selectorIijEEZZNS1_16scan_by_key_implILNS1_25lookback_scan_determinismE0ELb1ES3_N6thrust23THRUST_200600_302600_NS6detail15normal_iteratorINS9_10device_ptrIiEEEENSB_INSC_IjEEEESG_jNS9_4plusIvEENS9_8equal_toIvEEjEE10hipError_tPvRmT2_T3_T4_T5_mT6_T7_P12ihipStream_tbENKUlT_T0_E_clISt17integral_constantIbLb1EES10_IbLb0EEEEDaSW_SX_EUlSW_E_NS1_11comp_targetILNS1_3genE8ELNS1_11target_archE1030ELNS1_3gpuE2ELNS1_3repE0EEENS1_30default_config_static_selectorELNS0_4arch9wavefront6targetE0EEEvT1_,"axG",@progbits,_ZN7rocprim17ROCPRIM_400000_NS6detail17trampoline_kernelINS0_14default_configENS1_27scan_by_key_config_selectorIijEEZZNS1_16scan_by_key_implILNS1_25lookback_scan_determinismE0ELb1ES3_N6thrust23THRUST_200600_302600_NS6detail15normal_iteratorINS9_10device_ptrIiEEEENSB_INSC_IjEEEESG_jNS9_4plusIvEENS9_8equal_toIvEEjEE10hipError_tPvRmT2_T3_T4_T5_mT6_T7_P12ihipStream_tbENKUlT_T0_E_clISt17integral_constantIbLb1EES10_IbLb0EEEEDaSW_SX_EUlSW_E_NS1_11comp_targetILNS1_3genE8ELNS1_11target_archE1030ELNS1_3gpuE2ELNS1_3repE0EEENS1_30default_config_static_selectorELNS0_4arch9wavefront6targetE0EEEvT1_,comdat
	.protected	_ZN7rocprim17ROCPRIM_400000_NS6detail17trampoline_kernelINS0_14default_configENS1_27scan_by_key_config_selectorIijEEZZNS1_16scan_by_key_implILNS1_25lookback_scan_determinismE0ELb1ES3_N6thrust23THRUST_200600_302600_NS6detail15normal_iteratorINS9_10device_ptrIiEEEENSB_INSC_IjEEEESG_jNS9_4plusIvEENS9_8equal_toIvEEjEE10hipError_tPvRmT2_T3_T4_T5_mT6_T7_P12ihipStream_tbENKUlT_T0_E_clISt17integral_constantIbLb1EES10_IbLb0EEEEDaSW_SX_EUlSW_E_NS1_11comp_targetILNS1_3genE8ELNS1_11target_archE1030ELNS1_3gpuE2ELNS1_3repE0EEENS1_30default_config_static_selectorELNS0_4arch9wavefront6targetE0EEEvT1_ ; -- Begin function _ZN7rocprim17ROCPRIM_400000_NS6detail17trampoline_kernelINS0_14default_configENS1_27scan_by_key_config_selectorIijEEZZNS1_16scan_by_key_implILNS1_25lookback_scan_determinismE0ELb1ES3_N6thrust23THRUST_200600_302600_NS6detail15normal_iteratorINS9_10device_ptrIiEEEENSB_INSC_IjEEEESG_jNS9_4plusIvEENS9_8equal_toIvEEjEE10hipError_tPvRmT2_T3_T4_T5_mT6_T7_P12ihipStream_tbENKUlT_T0_E_clISt17integral_constantIbLb1EES10_IbLb0EEEEDaSW_SX_EUlSW_E_NS1_11comp_targetILNS1_3genE8ELNS1_11target_archE1030ELNS1_3gpuE2ELNS1_3repE0EEENS1_30default_config_static_selectorELNS0_4arch9wavefront6targetE0EEEvT1_
	.globl	_ZN7rocprim17ROCPRIM_400000_NS6detail17trampoline_kernelINS0_14default_configENS1_27scan_by_key_config_selectorIijEEZZNS1_16scan_by_key_implILNS1_25lookback_scan_determinismE0ELb1ES3_N6thrust23THRUST_200600_302600_NS6detail15normal_iteratorINS9_10device_ptrIiEEEENSB_INSC_IjEEEESG_jNS9_4plusIvEENS9_8equal_toIvEEjEE10hipError_tPvRmT2_T3_T4_T5_mT6_T7_P12ihipStream_tbENKUlT_T0_E_clISt17integral_constantIbLb1EES10_IbLb0EEEEDaSW_SX_EUlSW_E_NS1_11comp_targetILNS1_3genE8ELNS1_11target_archE1030ELNS1_3gpuE2ELNS1_3repE0EEENS1_30default_config_static_selectorELNS0_4arch9wavefront6targetE0EEEvT1_
	.p2align	8
	.type	_ZN7rocprim17ROCPRIM_400000_NS6detail17trampoline_kernelINS0_14default_configENS1_27scan_by_key_config_selectorIijEEZZNS1_16scan_by_key_implILNS1_25lookback_scan_determinismE0ELb1ES3_N6thrust23THRUST_200600_302600_NS6detail15normal_iteratorINS9_10device_ptrIiEEEENSB_INSC_IjEEEESG_jNS9_4plusIvEENS9_8equal_toIvEEjEE10hipError_tPvRmT2_T3_T4_T5_mT6_T7_P12ihipStream_tbENKUlT_T0_E_clISt17integral_constantIbLb1EES10_IbLb0EEEEDaSW_SX_EUlSW_E_NS1_11comp_targetILNS1_3genE8ELNS1_11target_archE1030ELNS1_3gpuE2ELNS1_3repE0EEENS1_30default_config_static_selectorELNS0_4arch9wavefront6targetE0EEEvT1_,@function
_ZN7rocprim17ROCPRIM_400000_NS6detail17trampoline_kernelINS0_14default_configENS1_27scan_by_key_config_selectorIijEEZZNS1_16scan_by_key_implILNS1_25lookback_scan_determinismE0ELb1ES3_N6thrust23THRUST_200600_302600_NS6detail15normal_iteratorINS9_10device_ptrIiEEEENSB_INSC_IjEEEESG_jNS9_4plusIvEENS9_8equal_toIvEEjEE10hipError_tPvRmT2_T3_T4_T5_mT6_T7_P12ihipStream_tbENKUlT_T0_E_clISt17integral_constantIbLb1EES10_IbLb0EEEEDaSW_SX_EUlSW_E_NS1_11comp_targetILNS1_3genE8ELNS1_11target_archE1030ELNS1_3gpuE2ELNS1_3repE0EEENS1_30default_config_static_selectorELNS0_4arch9wavefront6targetE0EEEvT1_: ; @_ZN7rocprim17ROCPRIM_400000_NS6detail17trampoline_kernelINS0_14default_configENS1_27scan_by_key_config_selectorIijEEZZNS1_16scan_by_key_implILNS1_25lookback_scan_determinismE0ELb1ES3_N6thrust23THRUST_200600_302600_NS6detail15normal_iteratorINS9_10device_ptrIiEEEENSB_INSC_IjEEEESG_jNS9_4plusIvEENS9_8equal_toIvEEjEE10hipError_tPvRmT2_T3_T4_T5_mT6_T7_P12ihipStream_tbENKUlT_T0_E_clISt17integral_constantIbLb1EES10_IbLb0EEEEDaSW_SX_EUlSW_E_NS1_11comp_targetILNS1_3genE8ELNS1_11target_archE1030ELNS1_3gpuE2ELNS1_3repE0EEENS1_30default_config_static_selectorELNS0_4arch9wavefront6targetE0EEEvT1_
; %bb.0:
	s_endpgm
	.section	.rodata,"a",@progbits
	.p2align	6, 0x0
	.amdhsa_kernel _ZN7rocprim17ROCPRIM_400000_NS6detail17trampoline_kernelINS0_14default_configENS1_27scan_by_key_config_selectorIijEEZZNS1_16scan_by_key_implILNS1_25lookback_scan_determinismE0ELb1ES3_N6thrust23THRUST_200600_302600_NS6detail15normal_iteratorINS9_10device_ptrIiEEEENSB_INSC_IjEEEESG_jNS9_4plusIvEENS9_8equal_toIvEEjEE10hipError_tPvRmT2_T3_T4_T5_mT6_T7_P12ihipStream_tbENKUlT_T0_E_clISt17integral_constantIbLb1EES10_IbLb0EEEEDaSW_SX_EUlSW_E_NS1_11comp_targetILNS1_3genE8ELNS1_11target_archE1030ELNS1_3gpuE2ELNS1_3repE0EEENS1_30default_config_static_selectorELNS0_4arch9wavefront6targetE0EEEvT1_
		.amdhsa_group_segment_fixed_size 0
		.amdhsa_private_segment_fixed_size 0
		.amdhsa_kernarg_size 112
		.amdhsa_user_sgpr_count 6
		.amdhsa_user_sgpr_private_segment_buffer 1
		.amdhsa_user_sgpr_dispatch_ptr 0
		.amdhsa_user_sgpr_queue_ptr 0
		.amdhsa_user_sgpr_kernarg_segment_ptr 1
		.amdhsa_user_sgpr_dispatch_id 0
		.amdhsa_user_sgpr_flat_scratch_init 0
		.amdhsa_user_sgpr_private_segment_size 0
		.amdhsa_wavefront_size32 1
		.amdhsa_uses_dynamic_stack 0
		.amdhsa_system_sgpr_private_segment_wavefront_offset 0
		.amdhsa_system_sgpr_workgroup_id_x 1
		.amdhsa_system_sgpr_workgroup_id_y 0
		.amdhsa_system_sgpr_workgroup_id_z 0
		.amdhsa_system_sgpr_workgroup_info 0
		.amdhsa_system_vgpr_workitem_id 0
		.amdhsa_next_free_vgpr 1
		.amdhsa_next_free_sgpr 1
		.amdhsa_reserve_vcc 0
		.amdhsa_reserve_flat_scratch 0
		.amdhsa_float_round_mode_32 0
		.amdhsa_float_round_mode_16_64 0
		.amdhsa_float_denorm_mode_32 3
		.amdhsa_float_denorm_mode_16_64 3
		.amdhsa_dx10_clamp 1
		.amdhsa_ieee_mode 1
		.amdhsa_fp16_overflow 0
		.amdhsa_workgroup_processor_mode 1
		.amdhsa_memory_ordered 1
		.amdhsa_forward_progress 1
		.amdhsa_shared_vgpr_count 0
		.amdhsa_exception_fp_ieee_invalid_op 0
		.amdhsa_exception_fp_denorm_src 0
		.amdhsa_exception_fp_ieee_div_zero 0
		.amdhsa_exception_fp_ieee_overflow 0
		.amdhsa_exception_fp_ieee_underflow 0
		.amdhsa_exception_fp_ieee_inexact 0
		.amdhsa_exception_int_div_zero 0
	.end_amdhsa_kernel
	.section	.text._ZN7rocprim17ROCPRIM_400000_NS6detail17trampoline_kernelINS0_14default_configENS1_27scan_by_key_config_selectorIijEEZZNS1_16scan_by_key_implILNS1_25lookback_scan_determinismE0ELb1ES3_N6thrust23THRUST_200600_302600_NS6detail15normal_iteratorINS9_10device_ptrIiEEEENSB_INSC_IjEEEESG_jNS9_4plusIvEENS9_8equal_toIvEEjEE10hipError_tPvRmT2_T3_T4_T5_mT6_T7_P12ihipStream_tbENKUlT_T0_E_clISt17integral_constantIbLb1EES10_IbLb0EEEEDaSW_SX_EUlSW_E_NS1_11comp_targetILNS1_3genE8ELNS1_11target_archE1030ELNS1_3gpuE2ELNS1_3repE0EEENS1_30default_config_static_selectorELNS0_4arch9wavefront6targetE0EEEvT1_,"axG",@progbits,_ZN7rocprim17ROCPRIM_400000_NS6detail17trampoline_kernelINS0_14default_configENS1_27scan_by_key_config_selectorIijEEZZNS1_16scan_by_key_implILNS1_25lookback_scan_determinismE0ELb1ES3_N6thrust23THRUST_200600_302600_NS6detail15normal_iteratorINS9_10device_ptrIiEEEENSB_INSC_IjEEEESG_jNS9_4plusIvEENS9_8equal_toIvEEjEE10hipError_tPvRmT2_T3_T4_T5_mT6_T7_P12ihipStream_tbENKUlT_T0_E_clISt17integral_constantIbLb1EES10_IbLb0EEEEDaSW_SX_EUlSW_E_NS1_11comp_targetILNS1_3genE8ELNS1_11target_archE1030ELNS1_3gpuE2ELNS1_3repE0EEENS1_30default_config_static_selectorELNS0_4arch9wavefront6targetE0EEEvT1_,comdat
.Lfunc_end1525:
	.size	_ZN7rocprim17ROCPRIM_400000_NS6detail17trampoline_kernelINS0_14default_configENS1_27scan_by_key_config_selectorIijEEZZNS1_16scan_by_key_implILNS1_25lookback_scan_determinismE0ELb1ES3_N6thrust23THRUST_200600_302600_NS6detail15normal_iteratorINS9_10device_ptrIiEEEENSB_INSC_IjEEEESG_jNS9_4plusIvEENS9_8equal_toIvEEjEE10hipError_tPvRmT2_T3_T4_T5_mT6_T7_P12ihipStream_tbENKUlT_T0_E_clISt17integral_constantIbLb1EES10_IbLb0EEEEDaSW_SX_EUlSW_E_NS1_11comp_targetILNS1_3genE8ELNS1_11target_archE1030ELNS1_3gpuE2ELNS1_3repE0EEENS1_30default_config_static_selectorELNS0_4arch9wavefront6targetE0EEEvT1_, .Lfunc_end1525-_ZN7rocprim17ROCPRIM_400000_NS6detail17trampoline_kernelINS0_14default_configENS1_27scan_by_key_config_selectorIijEEZZNS1_16scan_by_key_implILNS1_25lookback_scan_determinismE0ELb1ES3_N6thrust23THRUST_200600_302600_NS6detail15normal_iteratorINS9_10device_ptrIiEEEENSB_INSC_IjEEEESG_jNS9_4plusIvEENS9_8equal_toIvEEjEE10hipError_tPvRmT2_T3_T4_T5_mT6_T7_P12ihipStream_tbENKUlT_T0_E_clISt17integral_constantIbLb1EES10_IbLb0EEEEDaSW_SX_EUlSW_E_NS1_11comp_targetILNS1_3genE8ELNS1_11target_archE1030ELNS1_3gpuE2ELNS1_3repE0EEENS1_30default_config_static_selectorELNS0_4arch9wavefront6targetE0EEEvT1_
                                        ; -- End function
	.set _ZN7rocprim17ROCPRIM_400000_NS6detail17trampoline_kernelINS0_14default_configENS1_27scan_by_key_config_selectorIijEEZZNS1_16scan_by_key_implILNS1_25lookback_scan_determinismE0ELb1ES3_N6thrust23THRUST_200600_302600_NS6detail15normal_iteratorINS9_10device_ptrIiEEEENSB_INSC_IjEEEESG_jNS9_4plusIvEENS9_8equal_toIvEEjEE10hipError_tPvRmT2_T3_T4_T5_mT6_T7_P12ihipStream_tbENKUlT_T0_E_clISt17integral_constantIbLb1EES10_IbLb0EEEEDaSW_SX_EUlSW_E_NS1_11comp_targetILNS1_3genE8ELNS1_11target_archE1030ELNS1_3gpuE2ELNS1_3repE0EEENS1_30default_config_static_selectorELNS0_4arch9wavefront6targetE0EEEvT1_.num_vgpr, 0
	.set _ZN7rocprim17ROCPRIM_400000_NS6detail17trampoline_kernelINS0_14default_configENS1_27scan_by_key_config_selectorIijEEZZNS1_16scan_by_key_implILNS1_25lookback_scan_determinismE0ELb1ES3_N6thrust23THRUST_200600_302600_NS6detail15normal_iteratorINS9_10device_ptrIiEEEENSB_INSC_IjEEEESG_jNS9_4plusIvEENS9_8equal_toIvEEjEE10hipError_tPvRmT2_T3_T4_T5_mT6_T7_P12ihipStream_tbENKUlT_T0_E_clISt17integral_constantIbLb1EES10_IbLb0EEEEDaSW_SX_EUlSW_E_NS1_11comp_targetILNS1_3genE8ELNS1_11target_archE1030ELNS1_3gpuE2ELNS1_3repE0EEENS1_30default_config_static_selectorELNS0_4arch9wavefront6targetE0EEEvT1_.num_agpr, 0
	.set _ZN7rocprim17ROCPRIM_400000_NS6detail17trampoline_kernelINS0_14default_configENS1_27scan_by_key_config_selectorIijEEZZNS1_16scan_by_key_implILNS1_25lookback_scan_determinismE0ELb1ES3_N6thrust23THRUST_200600_302600_NS6detail15normal_iteratorINS9_10device_ptrIiEEEENSB_INSC_IjEEEESG_jNS9_4plusIvEENS9_8equal_toIvEEjEE10hipError_tPvRmT2_T3_T4_T5_mT6_T7_P12ihipStream_tbENKUlT_T0_E_clISt17integral_constantIbLb1EES10_IbLb0EEEEDaSW_SX_EUlSW_E_NS1_11comp_targetILNS1_3genE8ELNS1_11target_archE1030ELNS1_3gpuE2ELNS1_3repE0EEENS1_30default_config_static_selectorELNS0_4arch9wavefront6targetE0EEEvT1_.numbered_sgpr, 0
	.set _ZN7rocprim17ROCPRIM_400000_NS6detail17trampoline_kernelINS0_14default_configENS1_27scan_by_key_config_selectorIijEEZZNS1_16scan_by_key_implILNS1_25lookback_scan_determinismE0ELb1ES3_N6thrust23THRUST_200600_302600_NS6detail15normal_iteratorINS9_10device_ptrIiEEEENSB_INSC_IjEEEESG_jNS9_4plusIvEENS9_8equal_toIvEEjEE10hipError_tPvRmT2_T3_T4_T5_mT6_T7_P12ihipStream_tbENKUlT_T0_E_clISt17integral_constantIbLb1EES10_IbLb0EEEEDaSW_SX_EUlSW_E_NS1_11comp_targetILNS1_3genE8ELNS1_11target_archE1030ELNS1_3gpuE2ELNS1_3repE0EEENS1_30default_config_static_selectorELNS0_4arch9wavefront6targetE0EEEvT1_.num_named_barrier, 0
	.set _ZN7rocprim17ROCPRIM_400000_NS6detail17trampoline_kernelINS0_14default_configENS1_27scan_by_key_config_selectorIijEEZZNS1_16scan_by_key_implILNS1_25lookback_scan_determinismE0ELb1ES3_N6thrust23THRUST_200600_302600_NS6detail15normal_iteratorINS9_10device_ptrIiEEEENSB_INSC_IjEEEESG_jNS9_4plusIvEENS9_8equal_toIvEEjEE10hipError_tPvRmT2_T3_T4_T5_mT6_T7_P12ihipStream_tbENKUlT_T0_E_clISt17integral_constantIbLb1EES10_IbLb0EEEEDaSW_SX_EUlSW_E_NS1_11comp_targetILNS1_3genE8ELNS1_11target_archE1030ELNS1_3gpuE2ELNS1_3repE0EEENS1_30default_config_static_selectorELNS0_4arch9wavefront6targetE0EEEvT1_.private_seg_size, 0
	.set _ZN7rocprim17ROCPRIM_400000_NS6detail17trampoline_kernelINS0_14default_configENS1_27scan_by_key_config_selectorIijEEZZNS1_16scan_by_key_implILNS1_25lookback_scan_determinismE0ELb1ES3_N6thrust23THRUST_200600_302600_NS6detail15normal_iteratorINS9_10device_ptrIiEEEENSB_INSC_IjEEEESG_jNS9_4plusIvEENS9_8equal_toIvEEjEE10hipError_tPvRmT2_T3_T4_T5_mT6_T7_P12ihipStream_tbENKUlT_T0_E_clISt17integral_constantIbLb1EES10_IbLb0EEEEDaSW_SX_EUlSW_E_NS1_11comp_targetILNS1_3genE8ELNS1_11target_archE1030ELNS1_3gpuE2ELNS1_3repE0EEENS1_30default_config_static_selectorELNS0_4arch9wavefront6targetE0EEEvT1_.uses_vcc, 0
	.set _ZN7rocprim17ROCPRIM_400000_NS6detail17trampoline_kernelINS0_14default_configENS1_27scan_by_key_config_selectorIijEEZZNS1_16scan_by_key_implILNS1_25lookback_scan_determinismE0ELb1ES3_N6thrust23THRUST_200600_302600_NS6detail15normal_iteratorINS9_10device_ptrIiEEEENSB_INSC_IjEEEESG_jNS9_4plusIvEENS9_8equal_toIvEEjEE10hipError_tPvRmT2_T3_T4_T5_mT6_T7_P12ihipStream_tbENKUlT_T0_E_clISt17integral_constantIbLb1EES10_IbLb0EEEEDaSW_SX_EUlSW_E_NS1_11comp_targetILNS1_3genE8ELNS1_11target_archE1030ELNS1_3gpuE2ELNS1_3repE0EEENS1_30default_config_static_selectorELNS0_4arch9wavefront6targetE0EEEvT1_.uses_flat_scratch, 0
	.set _ZN7rocprim17ROCPRIM_400000_NS6detail17trampoline_kernelINS0_14default_configENS1_27scan_by_key_config_selectorIijEEZZNS1_16scan_by_key_implILNS1_25lookback_scan_determinismE0ELb1ES3_N6thrust23THRUST_200600_302600_NS6detail15normal_iteratorINS9_10device_ptrIiEEEENSB_INSC_IjEEEESG_jNS9_4plusIvEENS9_8equal_toIvEEjEE10hipError_tPvRmT2_T3_T4_T5_mT6_T7_P12ihipStream_tbENKUlT_T0_E_clISt17integral_constantIbLb1EES10_IbLb0EEEEDaSW_SX_EUlSW_E_NS1_11comp_targetILNS1_3genE8ELNS1_11target_archE1030ELNS1_3gpuE2ELNS1_3repE0EEENS1_30default_config_static_selectorELNS0_4arch9wavefront6targetE0EEEvT1_.has_dyn_sized_stack, 0
	.set _ZN7rocprim17ROCPRIM_400000_NS6detail17trampoline_kernelINS0_14default_configENS1_27scan_by_key_config_selectorIijEEZZNS1_16scan_by_key_implILNS1_25lookback_scan_determinismE0ELb1ES3_N6thrust23THRUST_200600_302600_NS6detail15normal_iteratorINS9_10device_ptrIiEEEENSB_INSC_IjEEEESG_jNS9_4plusIvEENS9_8equal_toIvEEjEE10hipError_tPvRmT2_T3_T4_T5_mT6_T7_P12ihipStream_tbENKUlT_T0_E_clISt17integral_constantIbLb1EES10_IbLb0EEEEDaSW_SX_EUlSW_E_NS1_11comp_targetILNS1_3genE8ELNS1_11target_archE1030ELNS1_3gpuE2ELNS1_3repE0EEENS1_30default_config_static_selectorELNS0_4arch9wavefront6targetE0EEEvT1_.has_recursion, 0
	.set _ZN7rocprim17ROCPRIM_400000_NS6detail17trampoline_kernelINS0_14default_configENS1_27scan_by_key_config_selectorIijEEZZNS1_16scan_by_key_implILNS1_25lookback_scan_determinismE0ELb1ES3_N6thrust23THRUST_200600_302600_NS6detail15normal_iteratorINS9_10device_ptrIiEEEENSB_INSC_IjEEEESG_jNS9_4plusIvEENS9_8equal_toIvEEjEE10hipError_tPvRmT2_T3_T4_T5_mT6_T7_P12ihipStream_tbENKUlT_T0_E_clISt17integral_constantIbLb1EES10_IbLb0EEEEDaSW_SX_EUlSW_E_NS1_11comp_targetILNS1_3genE8ELNS1_11target_archE1030ELNS1_3gpuE2ELNS1_3repE0EEENS1_30default_config_static_selectorELNS0_4arch9wavefront6targetE0EEEvT1_.has_indirect_call, 0
	.section	.AMDGPU.csdata,"",@progbits
; Kernel info:
; codeLenInByte = 4
; TotalNumSgprs: 0
; NumVgprs: 0
; ScratchSize: 0
; MemoryBound: 0
; FloatMode: 240
; IeeeMode: 1
; LDSByteSize: 0 bytes/workgroup (compile time only)
; SGPRBlocks: 0
; VGPRBlocks: 0
; NumSGPRsForWavesPerEU: 1
; NumVGPRsForWavesPerEU: 1
; Occupancy: 16
; WaveLimiterHint : 0
; COMPUTE_PGM_RSRC2:SCRATCH_EN: 0
; COMPUTE_PGM_RSRC2:USER_SGPR: 6
; COMPUTE_PGM_RSRC2:TRAP_HANDLER: 0
; COMPUTE_PGM_RSRC2:TGID_X_EN: 1
; COMPUTE_PGM_RSRC2:TGID_Y_EN: 0
; COMPUTE_PGM_RSRC2:TGID_Z_EN: 0
; COMPUTE_PGM_RSRC2:TIDIG_COMP_CNT: 0
	.section	.text._ZN7rocprim17ROCPRIM_400000_NS6detail17trampoline_kernelINS0_14default_configENS1_27scan_by_key_config_selectorIijEEZZNS1_16scan_by_key_implILNS1_25lookback_scan_determinismE0ELb1ES3_N6thrust23THRUST_200600_302600_NS6detail15normal_iteratorINS9_10device_ptrIiEEEENSB_INSC_IjEEEESG_jNS9_4plusIvEENS9_8equal_toIvEEjEE10hipError_tPvRmT2_T3_T4_T5_mT6_T7_P12ihipStream_tbENKUlT_T0_E_clISt17integral_constantIbLb0EES10_IbLb1EEEEDaSW_SX_EUlSW_E_NS1_11comp_targetILNS1_3genE0ELNS1_11target_archE4294967295ELNS1_3gpuE0ELNS1_3repE0EEENS1_30default_config_static_selectorELNS0_4arch9wavefront6targetE0EEEvT1_,"axG",@progbits,_ZN7rocprim17ROCPRIM_400000_NS6detail17trampoline_kernelINS0_14default_configENS1_27scan_by_key_config_selectorIijEEZZNS1_16scan_by_key_implILNS1_25lookback_scan_determinismE0ELb1ES3_N6thrust23THRUST_200600_302600_NS6detail15normal_iteratorINS9_10device_ptrIiEEEENSB_INSC_IjEEEESG_jNS9_4plusIvEENS9_8equal_toIvEEjEE10hipError_tPvRmT2_T3_T4_T5_mT6_T7_P12ihipStream_tbENKUlT_T0_E_clISt17integral_constantIbLb0EES10_IbLb1EEEEDaSW_SX_EUlSW_E_NS1_11comp_targetILNS1_3genE0ELNS1_11target_archE4294967295ELNS1_3gpuE0ELNS1_3repE0EEENS1_30default_config_static_selectorELNS0_4arch9wavefront6targetE0EEEvT1_,comdat
	.protected	_ZN7rocprim17ROCPRIM_400000_NS6detail17trampoline_kernelINS0_14default_configENS1_27scan_by_key_config_selectorIijEEZZNS1_16scan_by_key_implILNS1_25lookback_scan_determinismE0ELb1ES3_N6thrust23THRUST_200600_302600_NS6detail15normal_iteratorINS9_10device_ptrIiEEEENSB_INSC_IjEEEESG_jNS9_4plusIvEENS9_8equal_toIvEEjEE10hipError_tPvRmT2_T3_T4_T5_mT6_T7_P12ihipStream_tbENKUlT_T0_E_clISt17integral_constantIbLb0EES10_IbLb1EEEEDaSW_SX_EUlSW_E_NS1_11comp_targetILNS1_3genE0ELNS1_11target_archE4294967295ELNS1_3gpuE0ELNS1_3repE0EEENS1_30default_config_static_selectorELNS0_4arch9wavefront6targetE0EEEvT1_ ; -- Begin function _ZN7rocprim17ROCPRIM_400000_NS6detail17trampoline_kernelINS0_14default_configENS1_27scan_by_key_config_selectorIijEEZZNS1_16scan_by_key_implILNS1_25lookback_scan_determinismE0ELb1ES3_N6thrust23THRUST_200600_302600_NS6detail15normal_iteratorINS9_10device_ptrIiEEEENSB_INSC_IjEEEESG_jNS9_4plusIvEENS9_8equal_toIvEEjEE10hipError_tPvRmT2_T3_T4_T5_mT6_T7_P12ihipStream_tbENKUlT_T0_E_clISt17integral_constantIbLb0EES10_IbLb1EEEEDaSW_SX_EUlSW_E_NS1_11comp_targetILNS1_3genE0ELNS1_11target_archE4294967295ELNS1_3gpuE0ELNS1_3repE0EEENS1_30default_config_static_selectorELNS0_4arch9wavefront6targetE0EEEvT1_
	.globl	_ZN7rocprim17ROCPRIM_400000_NS6detail17trampoline_kernelINS0_14default_configENS1_27scan_by_key_config_selectorIijEEZZNS1_16scan_by_key_implILNS1_25lookback_scan_determinismE0ELb1ES3_N6thrust23THRUST_200600_302600_NS6detail15normal_iteratorINS9_10device_ptrIiEEEENSB_INSC_IjEEEESG_jNS9_4plusIvEENS9_8equal_toIvEEjEE10hipError_tPvRmT2_T3_T4_T5_mT6_T7_P12ihipStream_tbENKUlT_T0_E_clISt17integral_constantIbLb0EES10_IbLb1EEEEDaSW_SX_EUlSW_E_NS1_11comp_targetILNS1_3genE0ELNS1_11target_archE4294967295ELNS1_3gpuE0ELNS1_3repE0EEENS1_30default_config_static_selectorELNS0_4arch9wavefront6targetE0EEEvT1_
	.p2align	8
	.type	_ZN7rocprim17ROCPRIM_400000_NS6detail17trampoline_kernelINS0_14default_configENS1_27scan_by_key_config_selectorIijEEZZNS1_16scan_by_key_implILNS1_25lookback_scan_determinismE0ELb1ES3_N6thrust23THRUST_200600_302600_NS6detail15normal_iteratorINS9_10device_ptrIiEEEENSB_INSC_IjEEEESG_jNS9_4plusIvEENS9_8equal_toIvEEjEE10hipError_tPvRmT2_T3_T4_T5_mT6_T7_P12ihipStream_tbENKUlT_T0_E_clISt17integral_constantIbLb0EES10_IbLb1EEEEDaSW_SX_EUlSW_E_NS1_11comp_targetILNS1_3genE0ELNS1_11target_archE4294967295ELNS1_3gpuE0ELNS1_3repE0EEENS1_30default_config_static_selectorELNS0_4arch9wavefront6targetE0EEEvT1_,@function
_ZN7rocprim17ROCPRIM_400000_NS6detail17trampoline_kernelINS0_14default_configENS1_27scan_by_key_config_selectorIijEEZZNS1_16scan_by_key_implILNS1_25lookback_scan_determinismE0ELb1ES3_N6thrust23THRUST_200600_302600_NS6detail15normal_iteratorINS9_10device_ptrIiEEEENSB_INSC_IjEEEESG_jNS9_4plusIvEENS9_8equal_toIvEEjEE10hipError_tPvRmT2_T3_T4_T5_mT6_T7_P12ihipStream_tbENKUlT_T0_E_clISt17integral_constantIbLb0EES10_IbLb1EEEEDaSW_SX_EUlSW_E_NS1_11comp_targetILNS1_3genE0ELNS1_11target_archE4294967295ELNS1_3gpuE0ELNS1_3repE0EEENS1_30default_config_static_selectorELNS0_4arch9wavefront6targetE0EEEvT1_: ; @_ZN7rocprim17ROCPRIM_400000_NS6detail17trampoline_kernelINS0_14default_configENS1_27scan_by_key_config_selectorIijEEZZNS1_16scan_by_key_implILNS1_25lookback_scan_determinismE0ELb1ES3_N6thrust23THRUST_200600_302600_NS6detail15normal_iteratorINS9_10device_ptrIiEEEENSB_INSC_IjEEEESG_jNS9_4plusIvEENS9_8equal_toIvEEjEE10hipError_tPvRmT2_T3_T4_T5_mT6_T7_P12ihipStream_tbENKUlT_T0_E_clISt17integral_constantIbLb0EES10_IbLb1EEEEDaSW_SX_EUlSW_E_NS1_11comp_targetILNS1_3genE0ELNS1_11target_archE4294967295ELNS1_3gpuE0ELNS1_3repE0EEENS1_30default_config_static_selectorELNS0_4arch9wavefront6targetE0EEEvT1_
; %bb.0:
	.section	.rodata,"a",@progbits
	.p2align	6, 0x0
	.amdhsa_kernel _ZN7rocprim17ROCPRIM_400000_NS6detail17trampoline_kernelINS0_14default_configENS1_27scan_by_key_config_selectorIijEEZZNS1_16scan_by_key_implILNS1_25lookback_scan_determinismE0ELb1ES3_N6thrust23THRUST_200600_302600_NS6detail15normal_iteratorINS9_10device_ptrIiEEEENSB_INSC_IjEEEESG_jNS9_4plusIvEENS9_8equal_toIvEEjEE10hipError_tPvRmT2_T3_T4_T5_mT6_T7_P12ihipStream_tbENKUlT_T0_E_clISt17integral_constantIbLb0EES10_IbLb1EEEEDaSW_SX_EUlSW_E_NS1_11comp_targetILNS1_3genE0ELNS1_11target_archE4294967295ELNS1_3gpuE0ELNS1_3repE0EEENS1_30default_config_static_selectorELNS0_4arch9wavefront6targetE0EEEvT1_
		.amdhsa_group_segment_fixed_size 0
		.amdhsa_private_segment_fixed_size 0
		.amdhsa_kernarg_size 112
		.amdhsa_user_sgpr_count 6
		.amdhsa_user_sgpr_private_segment_buffer 1
		.amdhsa_user_sgpr_dispatch_ptr 0
		.amdhsa_user_sgpr_queue_ptr 0
		.amdhsa_user_sgpr_kernarg_segment_ptr 1
		.amdhsa_user_sgpr_dispatch_id 0
		.amdhsa_user_sgpr_flat_scratch_init 0
		.amdhsa_user_sgpr_private_segment_size 0
		.amdhsa_wavefront_size32 1
		.amdhsa_uses_dynamic_stack 0
		.amdhsa_system_sgpr_private_segment_wavefront_offset 0
		.amdhsa_system_sgpr_workgroup_id_x 1
		.amdhsa_system_sgpr_workgroup_id_y 0
		.amdhsa_system_sgpr_workgroup_id_z 0
		.amdhsa_system_sgpr_workgroup_info 0
		.amdhsa_system_vgpr_workitem_id 0
		.amdhsa_next_free_vgpr 1
		.amdhsa_next_free_sgpr 1
		.amdhsa_reserve_vcc 0
		.amdhsa_reserve_flat_scratch 0
		.amdhsa_float_round_mode_32 0
		.amdhsa_float_round_mode_16_64 0
		.amdhsa_float_denorm_mode_32 3
		.amdhsa_float_denorm_mode_16_64 3
		.amdhsa_dx10_clamp 1
		.amdhsa_ieee_mode 1
		.amdhsa_fp16_overflow 0
		.amdhsa_workgroup_processor_mode 1
		.amdhsa_memory_ordered 1
		.amdhsa_forward_progress 1
		.amdhsa_shared_vgpr_count 0
		.amdhsa_exception_fp_ieee_invalid_op 0
		.amdhsa_exception_fp_denorm_src 0
		.amdhsa_exception_fp_ieee_div_zero 0
		.amdhsa_exception_fp_ieee_overflow 0
		.amdhsa_exception_fp_ieee_underflow 0
		.amdhsa_exception_fp_ieee_inexact 0
		.amdhsa_exception_int_div_zero 0
	.end_amdhsa_kernel
	.section	.text._ZN7rocprim17ROCPRIM_400000_NS6detail17trampoline_kernelINS0_14default_configENS1_27scan_by_key_config_selectorIijEEZZNS1_16scan_by_key_implILNS1_25lookback_scan_determinismE0ELb1ES3_N6thrust23THRUST_200600_302600_NS6detail15normal_iteratorINS9_10device_ptrIiEEEENSB_INSC_IjEEEESG_jNS9_4plusIvEENS9_8equal_toIvEEjEE10hipError_tPvRmT2_T3_T4_T5_mT6_T7_P12ihipStream_tbENKUlT_T0_E_clISt17integral_constantIbLb0EES10_IbLb1EEEEDaSW_SX_EUlSW_E_NS1_11comp_targetILNS1_3genE0ELNS1_11target_archE4294967295ELNS1_3gpuE0ELNS1_3repE0EEENS1_30default_config_static_selectorELNS0_4arch9wavefront6targetE0EEEvT1_,"axG",@progbits,_ZN7rocprim17ROCPRIM_400000_NS6detail17trampoline_kernelINS0_14default_configENS1_27scan_by_key_config_selectorIijEEZZNS1_16scan_by_key_implILNS1_25lookback_scan_determinismE0ELb1ES3_N6thrust23THRUST_200600_302600_NS6detail15normal_iteratorINS9_10device_ptrIiEEEENSB_INSC_IjEEEESG_jNS9_4plusIvEENS9_8equal_toIvEEjEE10hipError_tPvRmT2_T3_T4_T5_mT6_T7_P12ihipStream_tbENKUlT_T0_E_clISt17integral_constantIbLb0EES10_IbLb1EEEEDaSW_SX_EUlSW_E_NS1_11comp_targetILNS1_3genE0ELNS1_11target_archE4294967295ELNS1_3gpuE0ELNS1_3repE0EEENS1_30default_config_static_selectorELNS0_4arch9wavefront6targetE0EEEvT1_,comdat
.Lfunc_end1526:
	.size	_ZN7rocprim17ROCPRIM_400000_NS6detail17trampoline_kernelINS0_14default_configENS1_27scan_by_key_config_selectorIijEEZZNS1_16scan_by_key_implILNS1_25lookback_scan_determinismE0ELb1ES3_N6thrust23THRUST_200600_302600_NS6detail15normal_iteratorINS9_10device_ptrIiEEEENSB_INSC_IjEEEESG_jNS9_4plusIvEENS9_8equal_toIvEEjEE10hipError_tPvRmT2_T3_T4_T5_mT6_T7_P12ihipStream_tbENKUlT_T0_E_clISt17integral_constantIbLb0EES10_IbLb1EEEEDaSW_SX_EUlSW_E_NS1_11comp_targetILNS1_3genE0ELNS1_11target_archE4294967295ELNS1_3gpuE0ELNS1_3repE0EEENS1_30default_config_static_selectorELNS0_4arch9wavefront6targetE0EEEvT1_, .Lfunc_end1526-_ZN7rocprim17ROCPRIM_400000_NS6detail17trampoline_kernelINS0_14default_configENS1_27scan_by_key_config_selectorIijEEZZNS1_16scan_by_key_implILNS1_25lookback_scan_determinismE0ELb1ES3_N6thrust23THRUST_200600_302600_NS6detail15normal_iteratorINS9_10device_ptrIiEEEENSB_INSC_IjEEEESG_jNS9_4plusIvEENS9_8equal_toIvEEjEE10hipError_tPvRmT2_T3_T4_T5_mT6_T7_P12ihipStream_tbENKUlT_T0_E_clISt17integral_constantIbLb0EES10_IbLb1EEEEDaSW_SX_EUlSW_E_NS1_11comp_targetILNS1_3genE0ELNS1_11target_archE4294967295ELNS1_3gpuE0ELNS1_3repE0EEENS1_30default_config_static_selectorELNS0_4arch9wavefront6targetE0EEEvT1_
                                        ; -- End function
	.set _ZN7rocprim17ROCPRIM_400000_NS6detail17trampoline_kernelINS0_14default_configENS1_27scan_by_key_config_selectorIijEEZZNS1_16scan_by_key_implILNS1_25lookback_scan_determinismE0ELb1ES3_N6thrust23THRUST_200600_302600_NS6detail15normal_iteratorINS9_10device_ptrIiEEEENSB_INSC_IjEEEESG_jNS9_4plusIvEENS9_8equal_toIvEEjEE10hipError_tPvRmT2_T3_T4_T5_mT6_T7_P12ihipStream_tbENKUlT_T0_E_clISt17integral_constantIbLb0EES10_IbLb1EEEEDaSW_SX_EUlSW_E_NS1_11comp_targetILNS1_3genE0ELNS1_11target_archE4294967295ELNS1_3gpuE0ELNS1_3repE0EEENS1_30default_config_static_selectorELNS0_4arch9wavefront6targetE0EEEvT1_.num_vgpr, 0
	.set _ZN7rocprim17ROCPRIM_400000_NS6detail17trampoline_kernelINS0_14default_configENS1_27scan_by_key_config_selectorIijEEZZNS1_16scan_by_key_implILNS1_25lookback_scan_determinismE0ELb1ES3_N6thrust23THRUST_200600_302600_NS6detail15normal_iteratorINS9_10device_ptrIiEEEENSB_INSC_IjEEEESG_jNS9_4plusIvEENS9_8equal_toIvEEjEE10hipError_tPvRmT2_T3_T4_T5_mT6_T7_P12ihipStream_tbENKUlT_T0_E_clISt17integral_constantIbLb0EES10_IbLb1EEEEDaSW_SX_EUlSW_E_NS1_11comp_targetILNS1_3genE0ELNS1_11target_archE4294967295ELNS1_3gpuE0ELNS1_3repE0EEENS1_30default_config_static_selectorELNS0_4arch9wavefront6targetE0EEEvT1_.num_agpr, 0
	.set _ZN7rocprim17ROCPRIM_400000_NS6detail17trampoline_kernelINS0_14default_configENS1_27scan_by_key_config_selectorIijEEZZNS1_16scan_by_key_implILNS1_25lookback_scan_determinismE0ELb1ES3_N6thrust23THRUST_200600_302600_NS6detail15normal_iteratorINS9_10device_ptrIiEEEENSB_INSC_IjEEEESG_jNS9_4plusIvEENS9_8equal_toIvEEjEE10hipError_tPvRmT2_T3_T4_T5_mT6_T7_P12ihipStream_tbENKUlT_T0_E_clISt17integral_constantIbLb0EES10_IbLb1EEEEDaSW_SX_EUlSW_E_NS1_11comp_targetILNS1_3genE0ELNS1_11target_archE4294967295ELNS1_3gpuE0ELNS1_3repE0EEENS1_30default_config_static_selectorELNS0_4arch9wavefront6targetE0EEEvT1_.numbered_sgpr, 0
	.set _ZN7rocprim17ROCPRIM_400000_NS6detail17trampoline_kernelINS0_14default_configENS1_27scan_by_key_config_selectorIijEEZZNS1_16scan_by_key_implILNS1_25lookback_scan_determinismE0ELb1ES3_N6thrust23THRUST_200600_302600_NS6detail15normal_iteratorINS9_10device_ptrIiEEEENSB_INSC_IjEEEESG_jNS9_4plusIvEENS9_8equal_toIvEEjEE10hipError_tPvRmT2_T3_T4_T5_mT6_T7_P12ihipStream_tbENKUlT_T0_E_clISt17integral_constantIbLb0EES10_IbLb1EEEEDaSW_SX_EUlSW_E_NS1_11comp_targetILNS1_3genE0ELNS1_11target_archE4294967295ELNS1_3gpuE0ELNS1_3repE0EEENS1_30default_config_static_selectorELNS0_4arch9wavefront6targetE0EEEvT1_.num_named_barrier, 0
	.set _ZN7rocprim17ROCPRIM_400000_NS6detail17trampoline_kernelINS0_14default_configENS1_27scan_by_key_config_selectorIijEEZZNS1_16scan_by_key_implILNS1_25lookback_scan_determinismE0ELb1ES3_N6thrust23THRUST_200600_302600_NS6detail15normal_iteratorINS9_10device_ptrIiEEEENSB_INSC_IjEEEESG_jNS9_4plusIvEENS9_8equal_toIvEEjEE10hipError_tPvRmT2_T3_T4_T5_mT6_T7_P12ihipStream_tbENKUlT_T0_E_clISt17integral_constantIbLb0EES10_IbLb1EEEEDaSW_SX_EUlSW_E_NS1_11comp_targetILNS1_3genE0ELNS1_11target_archE4294967295ELNS1_3gpuE0ELNS1_3repE0EEENS1_30default_config_static_selectorELNS0_4arch9wavefront6targetE0EEEvT1_.private_seg_size, 0
	.set _ZN7rocprim17ROCPRIM_400000_NS6detail17trampoline_kernelINS0_14default_configENS1_27scan_by_key_config_selectorIijEEZZNS1_16scan_by_key_implILNS1_25lookback_scan_determinismE0ELb1ES3_N6thrust23THRUST_200600_302600_NS6detail15normal_iteratorINS9_10device_ptrIiEEEENSB_INSC_IjEEEESG_jNS9_4plusIvEENS9_8equal_toIvEEjEE10hipError_tPvRmT2_T3_T4_T5_mT6_T7_P12ihipStream_tbENKUlT_T0_E_clISt17integral_constantIbLb0EES10_IbLb1EEEEDaSW_SX_EUlSW_E_NS1_11comp_targetILNS1_3genE0ELNS1_11target_archE4294967295ELNS1_3gpuE0ELNS1_3repE0EEENS1_30default_config_static_selectorELNS0_4arch9wavefront6targetE0EEEvT1_.uses_vcc, 0
	.set _ZN7rocprim17ROCPRIM_400000_NS6detail17trampoline_kernelINS0_14default_configENS1_27scan_by_key_config_selectorIijEEZZNS1_16scan_by_key_implILNS1_25lookback_scan_determinismE0ELb1ES3_N6thrust23THRUST_200600_302600_NS6detail15normal_iteratorINS9_10device_ptrIiEEEENSB_INSC_IjEEEESG_jNS9_4plusIvEENS9_8equal_toIvEEjEE10hipError_tPvRmT2_T3_T4_T5_mT6_T7_P12ihipStream_tbENKUlT_T0_E_clISt17integral_constantIbLb0EES10_IbLb1EEEEDaSW_SX_EUlSW_E_NS1_11comp_targetILNS1_3genE0ELNS1_11target_archE4294967295ELNS1_3gpuE0ELNS1_3repE0EEENS1_30default_config_static_selectorELNS0_4arch9wavefront6targetE0EEEvT1_.uses_flat_scratch, 0
	.set _ZN7rocprim17ROCPRIM_400000_NS6detail17trampoline_kernelINS0_14default_configENS1_27scan_by_key_config_selectorIijEEZZNS1_16scan_by_key_implILNS1_25lookback_scan_determinismE0ELb1ES3_N6thrust23THRUST_200600_302600_NS6detail15normal_iteratorINS9_10device_ptrIiEEEENSB_INSC_IjEEEESG_jNS9_4plusIvEENS9_8equal_toIvEEjEE10hipError_tPvRmT2_T3_T4_T5_mT6_T7_P12ihipStream_tbENKUlT_T0_E_clISt17integral_constantIbLb0EES10_IbLb1EEEEDaSW_SX_EUlSW_E_NS1_11comp_targetILNS1_3genE0ELNS1_11target_archE4294967295ELNS1_3gpuE0ELNS1_3repE0EEENS1_30default_config_static_selectorELNS0_4arch9wavefront6targetE0EEEvT1_.has_dyn_sized_stack, 0
	.set _ZN7rocprim17ROCPRIM_400000_NS6detail17trampoline_kernelINS0_14default_configENS1_27scan_by_key_config_selectorIijEEZZNS1_16scan_by_key_implILNS1_25lookback_scan_determinismE0ELb1ES3_N6thrust23THRUST_200600_302600_NS6detail15normal_iteratorINS9_10device_ptrIiEEEENSB_INSC_IjEEEESG_jNS9_4plusIvEENS9_8equal_toIvEEjEE10hipError_tPvRmT2_T3_T4_T5_mT6_T7_P12ihipStream_tbENKUlT_T0_E_clISt17integral_constantIbLb0EES10_IbLb1EEEEDaSW_SX_EUlSW_E_NS1_11comp_targetILNS1_3genE0ELNS1_11target_archE4294967295ELNS1_3gpuE0ELNS1_3repE0EEENS1_30default_config_static_selectorELNS0_4arch9wavefront6targetE0EEEvT1_.has_recursion, 0
	.set _ZN7rocprim17ROCPRIM_400000_NS6detail17trampoline_kernelINS0_14default_configENS1_27scan_by_key_config_selectorIijEEZZNS1_16scan_by_key_implILNS1_25lookback_scan_determinismE0ELb1ES3_N6thrust23THRUST_200600_302600_NS6detail15normal_iteratorINS9_10device_ptrIiEEEENSB_INSC_IjEEEESG_jNS9_4plusIvEENS9_8equal_toIvEEjEE10hipError_tPvRmT2_T3_T4_T5_mT6_T7_P12ihipStream_tbENKUlT_T0_E_clISt17integral_constantIbLb0EES10_IbLb1EEEEDaSW_SX_EUlSW_E_NS1_11comp_targetILNS1_3genE0ELNS1_11target_archE4294967295ELNS1_3gpuE0ELNS1_3repE0EEENS1_30default_config_static_selectorELNS0_4arch9wavefront6targetE0EEEvT1_.has_indirect_call, 0
	.section	.AMDGPU.csdata,"",@progbits
; Kernel info:
; codeLenInByte = 0
; TotalNumSgprs: 0
; NumVgprs: 0
; ScratchSize: 0
; MemoryBound: 0
; FloatMode: 240
; IeeeMode: 1
; LDSByteSize: 0 bytes/workgroup (compile time only)
; SGPRBlocks: 0
; VGPRBlocks: 0
; NumSGPRsForWavesPerEU: 1
; NumVGPRsForWavesPerEU: 1
; Occupancy: 16
; WaveLimiterHint : 0
; COMPUTE_PGM_RSRC2:SCRATCH_EN: 0
; COMPUTE_PGM_RSRC2:USER_SGPR: 6
; COMPUTE_PGM_RSRC2:TRAP_HANDLER: 0
; COMPUTE_PGM_RSRC2:TGID_X_EN: 1
; COMPUTE_PGM_RSRC2:TGID_Y_EN: 0
; COMPUTE_PGM_RSRC2:TGID_Z_EN: 0
; COMPUTE_PGM_RSRC2:TIDIG_COMP_CNT: 0
	.section	.text._ZN7rocprim17ROCPRIM_400000_NS6detail17trampoline_kernelINS0_14default_configENS1_27scan_by_key_config_selectorIijEEZZNS1_16scan_by_key_implILNS1_25lookback_scan_determinismE0ELb1ES3_N6thrust23THRUST_200600_302600_NS6detail15normal_iteratorINS9_10device_ptrIiEEEENSB_INSC_IjEEEESG_jNS9_4plusIvEENS9_8equal_toIvEEjEE10hipError_tPvRmT2_T3_T4_T5_mT6_T7_P12ihipStream_tbENKUlT_T0_E_clISt17integral_constantIbLb0EES10_IbLb1EEEEDaSW_SX_EUlSW_E_NS1_11comp_targetILNS1_3genE10ELNS1_11target_archE1201ELNS1_3gpuE5ELNS1_3repE0EEENS1_30default_config_static_selectorELNS0_4arch9wavefront6targetE0EEEvT1_,"axG",@progbits,_ZN7rocprim17ROCPRIM_400000_NS6detail17trampoline_kernelINS0_14default_configENS1_27scan_by_key_config_selectorIijEEZZNS1_16scan_by_key_implILNS1_25lookback_scan_determinismE0ELb1ES3_N6thrust23THRUST_200600_302600_NS6detail15normal_iteratorINS9_10device_ptrIiEEEENSB_INSC_IjEEEESG_jNS9_4plusIvEENS9_8equal_toIvEEjEE10hipError_tPvRmT2_T3_T4_T5_mT6_T7_P12ihipStream_tbENKUlT_T0_E_clISt17integral_constantIbLb0EES10_IbLb1EEEEDaSW_SX_EUlSW_E_NS1_11comp_targetILNS1_3genE10ELNS1_11target_archE1201ELNS1_3gpuE5ELNS1_3repE0EEENS1_30default_config_static_selectorELNS0_4arch9wavefront6targetE0EEEvT1_,comdat
	.protected	_ZN7rocprim17ROCPRIM_400000_NS6detail17trampoline_kernelINS0_14default_configENS1_27scan_by_key_config_selectorIijEEZZNS1_16scan_by_key_implILNS1_25lookback_scan_determinismE0ELb1ES3_N6thrust23THRUST_200600_302600_NS6detail15normal_iteratorINS9_10device_ptrIiEEEENSB_INSC_IjEEEESG_jNS9_4plusIvEENS9_8equal_toIvEEjEE10hipError_tPvRmT2_T3_T4_T5_mT6_T7_P12ihipStream_tbENKUlT_T0_E_clISt17integral_constantIbLb0EES10_IbLb1EEEEDaSW_SX_EUlSW_E_NS1_11comp_targetILNS1_3genE10ELNS1_11target_archE1201ELNS1_3gpuE5ELNS1_3repE0EEENS1_30default_config_static_selectorELNS0_4arch9wavefront6targetE0EEEvT1_ ; -- Begin function _ZN7rocprim17ROCPRIM_400000_NS6detail17trampoline_kernelINS0_14default_configENS1_27scan_by_key_config_selectorIijEEZZNS1_16scan_by_key_implILNS1_25lookback_scan_determinismE0ELb1ES3_N6thrust23THRUST_200600_302600_NS6detail15normal_iteratorINS9_10device_ptrIiEEEENSB_INSC_IjEEEESG_jNS9_4plusIvEENS9_8equal_toIvEEjEE10hipError_tPvRmT2_T3_T4_T5_mT6_T7_P12ihipStream_tbENKUlT_T0_E_clISt17integral_constantIbLb0EES10_IbLb1EEEEDaSW_SX_EUlSW_E_NS1_11comp_targetILNS1_3genE10ELNS1_11target_archE1201ELNS1_3gpuE5ELNS1_3repE0EEENS1_30default_config_static_selectorELNS0_4arch9wavefront6targetE0EEEvT1_
	.globl	_ZN7rocprim17ROCPRIM_400000_NS6detail17trampoline_kernelINS0_14default_configENS1_27scan_by_key_config_selectorIijEEZZNS1_16scan_by_key_implILNS1_25lookback_scan_determinismE0ELb1ES3_N6thrust23THRUST_200600_302600_NS6detail15normal_iteratorINS9_10device_ptrIiEEEENSB_INSC_IjEEEESG_jNS9_4plusIvEENS9_8equal_toIvEEjEE10hipError_tPvRmT2_T3_T4_T5_mT6_T7_P12ihipStream_tbENKUlT_T0_E_clISt17integral_constantIbLb0EES10_IbLb1EEEEDaSW_SX_EUlSW_E_NS1_11comp_targetILNS1_3genE10ELNS1_11target_archE1201ELNS1_3gpuE5ELNS1_3repE0EEENS1_30default_config_static_selectorELNS0_4arch9wavefront6targetE0EEEvT1_
	.p2align	8
	.type	_ZN7rocprim17ROCPRIM_400000_NS6detail17trampoline_kernelINS0_14default_configENS1_27scan_by_key_config_selectorIijEEZZNS1_16scan_by_key_implILNS1_25lookback_scan_determinismE0ELb1ES3_N6thrust23THRUST_200600_302600_NS6detail15normal_iteratorINS9_10device_ptrIiEEEENSB_INSC_IjEEEESG_jNS9_4plusIvEENS9_8equal_toIvEEjEE10hipError_tPvRmT2_T3_T4_T5_mT6_T7_P12ihipStream_tbENKUlT_T0_E_clISt17integral_constantIbLb0EES10_IbLb1EEEEDaSW_SX_EUlSW_E_NS1_11comp_targetILNS1_3genE10ELNS1_11target_archE1201ELNS1_3gpuE5ELNS1_3repE0EEENS1_30default_config_static_selectorELNS0_4arch9wavefront6targetE0EEEvT1_,@function
_ZN7rocprim17ROCPRIM_400000_NS6detail17trampoline_kernelINS0_14default_configENS1_27scan_by_key_config_selectorIijEEZZNS1_16scan_by_key_implILNS1_25lookback_scan_determinismE0ELb1ES3_N6thrust23THRUST_200600_302600_NS6detail15normal_iteratorINS9_10device_ptrIiEEEENSB_INSC_IjEEEESG_jNS9_4plusIvEENS9_8equal_toIvEEjEE10hipError_tPvRmT2_T3_T4_T5_mT6_T7_P12ihipStream_tbENKUlT_T0_E_clISt17integral_constantIbLb0EES10_IbLb1EEEEDaSW_SX_EUlSW_E_NS1_11comp_targetILNS1_3genE10ELNS1_11target_archE1201ELNS1_3gpuE5ELNS1_3repE0EEENS1_30default_config_static_selectorELNS0_4arch9wavefront6targetE0EEEvT1_: ; @_ZN7rocprim17ROCPRIM_400000_NS6detail17trampoline_kernelINS0_14default_configENS1_27scan_by_key_config_selectorIijEEZZNS1_16scan_by_key_implILNS1_25lookback_scan_determinismE0ELb1ES3_N6thrust23THRUST_200600_302600_NS6detail15normal_iteratorINS9_10device_ptrIiEEEENSB_INSC_IjEEEESG_jNS9_4plusIvEENS9_8equal_toIvEEjEE10hipError_tPvRmT2_T3_T4_T5_mT6_T7_P12ihipStream_tbENKUlT_T0_E_clISt17integral_constantIbLb0EES10_IbLb1EEEEDaSW_SX_EUlSW_E_NS1_11comp_targetILNS1_3genE10ELNS1_11target_archE1201ELNS1_3gpuE5ELNS1_3repE0EEENS1_30default_config_static_selectorELNS0_4arch9wavefront6targetE0EEEvT1_
; %bb.0:
	.section	.rodata,"a",@progbits
	.p2align	6, 0x0
	.amdhsa_kernel _ZN7rocprim17ROCPRIM_400000_NS6detail17trampoline_kernelINS0_14default_configENS1_27scan_by_key_config_selectorIijEEZZNS1_16scan_by_key_implILNS1_25lookback_scan_determinismE0ELb1ES3_N6thrust23THRUST_200600_302600_NS6detail15normal_iteratorINS9_10device_ptrIiEEEENSB_INSC_IjEEEESG_jNS9_4plusIvEENS9_8equal_toIvEEjEE10hipError_tPvRmT2_T3_T4_T5_mT6_T7_P12ihipStream_tbENKUlT_T0_E_clISt17integral_constantIbLb0EES10_IbLb1EEEEDaSW_SX_EUlSW_E_NS1_11comp_targetILNS1_3genE10ELNS1_11target_archE1201ELNS1_3gpuE5ELNS1_3repE0EEENS1_30default_config_static_selectorELNS0_4arch9wavefront6targetE0EEEvT1_
		.amdhsa_group_segment_fixed_size 0
		.amdhsa_private_segment_fixed_size 0
		.amdhsa_kernarg_size 112
		.amdhsa_user_sgpr_count 6
		.amdhsa_user_sgpr_private_segment_buffer 1
		.amdhsa_user_sgpr_dispatch_ptr 0
		.amdhsa_user_sgpr_queue_ptr 0
		.amdhsa_user_sgpr_kernarg_segment_ptr 1
		.amdhsa_user_sgpr_dispatch_id 0
		.amdhsa_user_sgpr_flat_scratch_init 0
		.amdhsa_user_sgpr_private_segment_size 0
		.amdhsa_wavefront_size32 1
		.amdhsa_uses_dynamic_stack 0
		.amdhsa_system_sgpr_private_segment_wavefront_offset 0
		.amdhsa_system_sgpr_workgroup_id_x 1
		.amdhsa_system_sgpr_workgroup_id_y 0
		.amdhsa_system_sgpr_workgroup_id_z 0
		.amdhsa_system_sgpr_workgroup_info 0
		.amdhsa_system_vgpr_workitem_id 0
		.amdhsa_next_free_vgpr 1
		.amdhsa_next_free_sgpr 1
		.amdhsa_reserve_vcc 0
		.amdhsa_reserve_flat_scratch 0
		.amdhsa_float_round_mode_32 0
		.amdhsa_float_round_mode_16_64 0
		.amdhsa_float_denorm_mode_32 3
		.amdhsa_float_denorm_mode_16_64 3
		.amdhsa_dx10_clamp 1
		.amdhsa_ieee_mode 1
		.amdhsa_fp16_overflow 0
		.amdhsa_workgroup_processor_mode 1
		.amdhsa_memory_ordered 1
		.amdhsa_forward_progress 1
		.amdhsa_shared_vgpr_count 0
		.amdhsa_exception_fp_ieee_invalid_op 0
		.amdhsa_exception_fp_denorm_src 0
		.amdhsa_exception_fp_ieee_div_zero 0
		.amdhsa_exception_fp_ieee_overflow 0
		.amdhsa_exception_fp_ieee_underflow 0
		.amdhsa_exception_fp_ieee_inexact 0
		.amdhsa_exception_int_div_zero 0
	.end_amdhsa_kernel
	.section	.text._ZN7rocprim17ROCPRIM_400000_NS6detail17trampoline_kernelINS0_14default_configENS1_27scan_by_key_config_selectorIijEEZZNS1_16scan_by_key_implILNS1_25lookback_scan_determinismE0ELb1ES3_N6thrust23THRUST_200600_302600_NS6detail15normal_iteratorINS9_10device_ptrIiEEEENSB_INSC_IjEEEESG_jNS9_4plusIvEENS9_8equal_toIvEEjEE10hipError_tPvRmT2_T3_T4_T5_mT6_T7_P12ihipStream_tbENKUlT_T0_E_clISt17integral_constantIbLb0EES10_IbLb1EEEEDaSW_SX_EUlSW_E_NS1_11comp_targetILNS1_3genE10ELNS1_11target_archE1201ELNS1_3gpuE5ELNS1_3repE0EEENS1_30default_config_static_selectorELNS0_4arch9wavefront6targetE0EEEvT1_,"axG",@progbits,_ZN7rocprim17ROCPRIM_400000_NS6detail17trampoline_kernelINS0_14default_configENS1_27scan_by_key_config_selectorIijEEZZNS1_16scan_by_key_implILNS1_25lookback_scan_determinismE0ELb1ES3_N6thrust23THRUST_200600_302600_NS6detail15normal_iteratorINS9_10device_ptrIiEEEENSB_INSC_IjEEEESG_jNS9_4plusIvEENS9_8equal_toIvEEjEE10hipError_tPvRmT2_T3_T4_T5_mT6_T7_P12ihipStream_tbENKUlT_T0_E_clISt17integral_constantIbLb0EES10_IbLb1EEEEDaSW_SX_EUlSW_E_NS1_11comp_targetILNS1_3genE10ELNS1_11target_archE1201ELNS1_3gpuE5ELNS1_3repE0EEENS1_30default_config_static_selectorELNS0_4arch9wavefront6targetE0EEEvT1_,comdat
.Lfunc_end1527:
	.size	_ZN7rocprim17ROCPRIM_400000_NS6detail17trampoline_kernelINS0_14default_configENS1_27scan_by_key_config_selectorIijEEZZNS1_16scan_by_key_implILNS1_25lookback_scan_determinismE0ELb1ES3_N6thrust23THRUST_200600_302600_NS6detail15normal_iteratorINS9_10device_ptrIiEEEENSB_INSC_IjEEEESG_jNS9_4plusIvEENS9_8equal_toIvEEjEE10hipError_tPvRmT2_T3_T4_T5_mT6_T7_P12ihipStream_tbENKUlT_T0_E_clISt17integral_constantIbLb0EES10_IbLb1EEEEDaSW_SX_EUlSW_E_NS1_11comp_targetILNS1_3genE10ELNS1_11target_archE1201ELNS1_3gpuE5ELNS1_3repE0EEENS1_30default_config_static_selectorELNS0_4arch9wavefront6targetE0EEEvT1_, .Lfunc_end1527-_ZN7rocprim17ROCPRIM_400000_NS6detail17trampoline_kernelINS0_14default_configENS1_27scan_by_key_config_selectorIijEEZZNS1_16scan_by_key_implILNS1_25lookback_scan_determinismE0ELb1ES3_N6thrust23THRUST_200600_302600_NS6detail15normal_iteratorINS9_10device_ptrIiEEEENSB_INSC_IjEEEESG_jNS9_4plusIvEENS9_8equal_toIvEEjEE10hipError_tPvRmT2_T3_T4_T5_mT6_T7_P12ihipStream_tbENKUlT_T0_E_clISt17integral_constantIbLb0EES10_IbLb1EEEEDaSW_SX_EUlSW_E_NS1_11comp_targetILNS1_3genE10ELNS1_11target_archE1201ELNS1_3gpuE5ELNS1_3repE0EEENS1_30default_config_static_selectorELNS0_4arch9wavefront6targetE0EEEvT1_
                                        ; -- End function
	.set _ZN7rocprim17ROCPRIM_400000_NS6detail17trampoline_kernelINS0_14default_configENS1_27scan_by_key_config_selectorIijEEZZNS1_16scan_by_key_implILNS1_25lookback_scan_determinismE0ELb1ES3_N6thrust23THRUST_200600_302600_NS6detail15normal_iteratorINS9_10device_ptrIiEEEENSB_INSC_IjEEEESG_jNS9_4plusIvEENS9_8equal_toIvEEjEE10hipError_tPvRmT2_T3_T4_T5_mT6_T7_P12ihipStream_tbENKUlT_T0_E_clISt17integral_constantIbLb0EES10_IbLb1EEEEDaSW_SX_EUlSW_E_NS1_11comp_targetILNS1_3genE10ELNS1_11target_archE1201ELNS1_3gpuE5ELNS1_3repE0EEENS1_30default_config_static_selectorELNS0_4arch9wavefront6targetE0EEEvT1_.num_vgpr, 0
	.set _ZN7rocprim17ROCPRIM_400000_NS6detail17trampoline_kernelINS0_14default_configENS1_27scan_by_key_config_selectorIijEEZZNS1_16scan_by_key_implILNS1_25lookback_scan_determinismE0ELb1ES3_N6thrust23THRUST_200600_302600_NS6detail15normal_iteratorINS9_10device_ptrIiEEEENSB_INSC_IjEEEESG_jNS9_4plusIvEENS9_8equal_toIvEEjEE10hipError_tPvRmT2_T3_T4_T5_mT6_T7_P12ihipStream_tbENKUlT_T0_E_clISt17integral_constantIbLb0EES10_IbLb1EEEEDaSW_SX_EUlSW_E_NS1_11comp_targetILNS1_3genE10ELNS1_11target_archE1201ELNS1_3gpuE5ELNS1_3repE0EEENS1_30default_config_static_selectorELNS0_4arch9wavefront6targetE0EEEvT1_.num_agpr, 0
	.set _ZN7rocprim17ROCPRIM_400000_NS6detail17trampoline_kernelINS0_14default_configENS1_27scan_by_key_config_selectorIijEEZZNS1_16scan_by_key_implILNS1_25lookback_scan_determinismE0ELb1ES3_N6thrust23THRUST_200600_302600_NS6detail15normal_iteratorINS9_10device_ptrIiEEEENSB_INSC_IjEEEESG_jNS9_4plusIvEENS9_8equal_toIvEEjEE10hipError_tPvRmT2_T3_T4_T5_mT6_T7_P12ihipStream_tbENKUlT_T0_E_clISt17integral_constantIbLb0EES10_IbLb1EEEEDaSW_SX_EUlSW_E_NS1_11comp_targetILNS1_3genE10ELNS1_11target_archE1201ELNS1_3gpuE5ELNS1_3repE0EEENS1_30default_config_static_selectorELNS0_4arch9wavefront6targetE0EEEvT1_.numbered_sgpr, 0
	.set _ZN7rocprim17ROCPRIM_400000_NS6detail17trampoline_kernelINS0_14default_configENS1_27scan_by_key_config_selectorIijEEZZNS1_16scan_by_key_implILNS1_25lookback_scan_determinismE0ELb1ES3_N6thrust23THRUST_200600_302600_NS6detail15normal_iteratorINS9_10device_ptrIiEEEENSB_INSC_IjEEEESG_jNS9_4plusIvEENS9_8equal_toIvEEjEE10hipError_tPvRmT2_T3_T4_T5_mT6_T7_P12ihipStream_tbENKUlT_T0_E_clISt17integral_constantIbLb0EES10_IbLb1EEEEDaSW_SX_EUlSW_E_NS1_11comp_targetILNS1_3genE10ELNS1_11target_archE1201ELNS1_3gpuE5ELNS1_3repE0EEENS1_30default_config_static_selectorELNS0_4arch9wavefront6targetE0EEEvT1_.num_named_barrier, 0
	.set _ZN7rocprim17ROCPRIM_400000_NS6detail17trampoline_kernelINS0_14default_configENS1_27scan_by_key_config_selectorIijEEZZNS1_16scan_by_key_implILNS1_25lookback_scan_determinismE0ELb1ES3_N6thrust23THRUST_200600_302600_NS6detail15normal_iteratorINS9_10device_ptrIiEEEENSB_INSC_IjEEEESG_jNS9_4plusIvEENS9_8equal_toIvEEjEE10hipError_tPvRmT2_T3_T4_T5_mT6_T7_P12ihipStream_tbENKUlT_T0_E_clISt17integral_constantIbLb0EES10_IbLb1EEEEDaSW_SX_EUlSW_E_NS1_11comp_targetILNS1_3genE10ELNS1_11target_archE1201ELNS1_3gpuE5ELNS1_3repE0EEENS1_30default_config_static_selectorELNS0_4arch9wavefront6targetE0EEEvT1_.private_seg_size, 0
	.set _ZN7rocprim17ROCPRIM_400000_NS6detail17trampoline_kernelINS0_14default_configENS1_27scan_by_key_config_selectorIijEEZZNS1_16scan_by_key_implILNS1_25lookback_scan_determinismE0ELb1ES3_N6thrust23THRUST_200600_302600_NS6detail15normal_iteratorINS9_10device_ptrIiEEEENSB_INSC_IjEEEESG_jNS9_4plusIvEENS9_8equal_toIvEEjEE10hipError_tPvRmT2_T3_T4_T5_mT6_T7_P12ihipStream_tbENKUlT_T0_E_clISt17integral_constantIbLb0EES10_IbLb1EEEEDaSW_SX_EUlSW_E_NS1_11comp_targetILNS1_3genE10ELNS1_11target_archE1201ELNS1_3gpuE5ELNS1_3repE0EEENS1_30default_config_static_selectorELNS0_4arch9wavefront6targetE0EEEvT1_.uses_vcc, 0
	.set _ZN7rocprim17ROCPRIM_400000_NS6detail17trampoline_kernelINS0_14default_configENS1_27scan_by_key_config_selectorIijEEZZNS1_16scan_by_key_implILNS1_25lookback_scan_determinismE0ELb1ES3_N6thrust23THRUST_200600_302600_NS6detail15normal_iteratorINS9_10device_ptrIiEEEENSB_INSC_IjEEEESG_jNS9_4plusIvEENS9_8equal_toIvEEjEE10hipError_tPvRmT2_T3_T4_T5_mT6_T7_P12ihipStream_tbENKUlT_T0_E_clISt17integral_constantIbLb0EES10_IbLb1EEEEDaSW_SX_EUlSW_E_NS1_11comp_targetILNS1_3genE10ELNS1_11target_archE1201ELNS1_3gpuE5ELNS1_3repE0EEENS1_30default_config_static_selectorELNS0_4arch9wavefront6targetE0EEEvT1_.uses_flat_scratch, 0
	.set _ZN7rocprim17ROCPRIM_400000_NS6detail17trampoline_kernelINS0_14default_configENS1_27scan_by_key_config_selectorIijEEZZNS1_16scan_by_key_implILNS1_25lookback_scan_determinismE0ELb1ES3_N6thrust23THRUST_200600_302600_NS6detail15normal_iteratorINS9_10device_ptrIiEEEENSB_INSC_IjEEEESG_jNS9_4plusIvEENS9_8equal_toIvEEjEE10hipError_tPvRmT2_T3_T4_T5_mT6_T7_P12ihipStream_tbENKUlT_T0_E_clISt17integral_constantIbLb0EES10_IbLb1EEEEDaSW_SX_EUlSW_E_NS1_11comp_targetILNS1_3genE10ELNS1_11target_archE1201ELNS1_3gpuE5ELNS1_3repE0EEENS1_30default_config_static_selectorELNS0_4arch9wavefront6targetE0EEEvT1_.has_dyn_sized_stack, 0
	.set _ZN7rocprim17ROCPRIM_400000_NS6detail17trampoline_kernelINS0_14default_configENS1_27scan_by_key_config_selectorIijEEZZNS1_16scan_by_key_implILNS1_25lookback_scan_determinismE0ELb1ES3_N6thrust23THRUST_200600_302600_NS6detail15normal_iteratorINS9_10device_ptrIiEEEENSB_INSC_IjEEEESG_jNS9_4plusIvEENS9_8equal_toIvEEjEE10hipError_tPvRmT2_T3_T4_T5_mT6_T7_P12ihipStream_tbENKUlT_T0_E_clISt17integral_constantIbLb0EES10_IbLb1EEEEDaSW_SX_EUlSW_E_NS1_11comp_targetILNS1_3genE10ELNS1_11target_archE1201ELNS1_3gpuE5ELNS1_3repE0EEENS1_30default_config_static_selectorELNS0_4arch9wavefront6targetE0EEEvT1_.has_recursion, 0
	.set _ZN7rocprim17ROCPRIM_400000_NS6detail17trampoline_kernelINS0_14default_configENS1_27scan_by_key_config_selectorIijEEZZNS1_16scan_by_key_implILNS1_25lookback_scan_determinismE0ELb1ES3_N6thrust23THRUST_200600_302600_NS6detail15normal_iteratorINS9_10device_ptrIiEEEENSB_INSC_IjEEEESG_jNS9_4plusIvEENS9_8equal_toIvEEjEE10hipError_tPvRmT2_T3_T4_T5_mT6_T7_P12ihipStream_tbENKUlT_T0_E_clISt17integral_constantIbLb0EES10_IbLb1EEEEDaSW_SX_EUlSW_E_NS1_11comp_targetILNS1_3genE10ELNS1_11target_archE1201ELNS1_3gpuE5ELNS1_3repE0EEENS1_30default_config_static_selectorELNS0_4arch9wavefront6targetE0EEEvT1_.has_indirect_call, 0
	.section	.AMDGPU.csdata,"",@progbits
; Kernel info:
; codeLenInByte = 0
; TotalNumSgprs: 0
; NumVgprs: 0
; ScratchSize: 0
; MemoryBound: 0
; FloatMode: 240
; IeeeMode: 1
; LDSByteSize: 0 bytes/workgroup (compile time only)
; SGPRBlocks: 0
; VGPRBlocks: 0
; NumSGPRsForWavesPerEU: 1
; NumVGPRsForWavesPerEU: 1
; Occupancy: 16
; WaveLimiterHint : 0
; COMPUTE_PGM_RSRC2:SCRATCH_EN: 0
; COMPUTE_PGM_RSRC2:USER_SGPR: 6
; COMPUTE_PGM_RSRC2:TRAP_HANDLER: 0
; COMPUTE_PGM_RSRC2:TGID_X_EN: 1
; COMPUTE_PGM_RSRC2:TGID_Y_EN: 0
; COMPUTE_PGM_RSRC2:TGID_Z_EN: 0
; COMPUTE_PGM_RSRC2:TIDIG_COMP_CNT: 0
	.section	.text._ZN7rocprim17ROCPRIM_400000_NS6detail17trampoline_kernelINS0_14default_configENS1_27scan_by_key_config_selectorIijEEZZNS1_16scan_by_key_implILNS1_25lookback_scan_determinismE0ELb1ES3_N6thrust23THRUST_200600_302600_NS6detail15normal_iteratorINS9_10device_ptrIiEEEENSB_INSC_IjEEEESG_jNS9_4plusIvEENS9_8equal_toIvEEjEE10hipError_tPvRmT2_T3_T4_T5_mT6_T7_P12ihipStream_tbENKUlT_T0_E_clISt17integral_constantIbLb0EES10_IbLb1EEEEDaSW_SX_EUlSW_E_NS1_11comp_targetILNS1_3genE5ELNS1_11target_archE942ELNS1_3gpuE9ELNS1_3repE0EEENS1_30default_config_static_selectorELNS0_4arch9wavefront6targetE0EEEvT1_,"axG",@progbits,_ZN7rocprim17ROCPRIM_400000_NS6detail17trampoline_kernelINS0_14default_configENS1_27scan_by_key_config_selectorIijEEZZNS1_16scan_by_key_implILNS1_25lookback_scan_determinismE0ELb1ES3_N6thrust23THRUST_200600_302600_NS6detail15normal_iteratorINS9_10device_ptrIiEEEENSB_INSC_IjEEEESG_jNS9_4plusIvEENS9_8equal_toIvEEjEE10hipError_tPvRmT2_T3_T4_T5_mT6_T7_P12ihipStream_tbENKUlT_T0_E_clISt17integral_constantIbLb0EES10_IbLb1EEEEDaSW_SX_EUlSW_E_NS1_11comp_targetILNS1_3genE5ELNS1_11target_archE942ELNS1_3gpuE9ELNS1_3repE0EEENS1_30default_config_static_selectorELNS0_4arch9wavefront6targetE0EEEvT1_,comdat
	.protected	_ZN7rocprim17ROCPRIM_400000_NS6detail17trampoline_kernelINS0_14default_configENS1_27scan_by_key_config_selectorIijEEZZNS1_16scan_by_key_implILNS1_25lookback_scan_determinismE0ELb1ES3_N6thrust23THRUST_200600_302600_NS6detail15normal_iteratorINS9_10device_ptrIiEEEENSB_INSC_IjEEEESG_jNS9_4plusIvEENS9_8equal_toIvEEjEE10hipError_tPvRmT2_T3_T4_T5_mT6_T7_P12ihipStream_tbENKUlT_T0_E_clISt17integral_constantIbLb0EES10_IbLb1EEEEDaSW_SX_EUlSW_E_NS1_11comp_targetILNS1_3genE5ELNS1_11target_archE942ELNS1_3gpuE9ELNS1_3repE0EEENS1_30default_config_static_selectorELNS0_4arch9wavefront6targetE0EEEvT1_ ; -- Begin function _ZN7rocprim17ROCPRIM_400000_NS6detail17trampoline_kernelINS0_14default_configENS1_27scan_by_key_config_selectorIijEEZZNS1_16scan_by_key_implILNS1_25lookback_scan_determinismE0ELb1ES3_N6thrust23THRUST_200600_302600_NS6detail15normal_iteratorINS9_10device_ptrIiEEEENSB_INSC_IjEEEESG_jNS9_4plusIvEENS9_8equal_toIvEEjEE10hipError_tPvRmT2_T3_T4_T5_mT6_T7_P12ihipStream_tbENKUlT_T0_E_clISt17integral_constantIbLb0EES10_IbLb1EEEEDaSW_SX_EUlSW_E_NS1_11comp_targetILNS1_3genE5ELNS1_11target_archE942ELNS1_3gpuE9ELNS1_3repE0EEENS1_30default_config_static_selectorELNS0_4arch9wavefront6targetE0EEEvT1_
	.globl	_ZN7rocprim17ROCPRIM_400000_NS6detail17trampoline_kernelINS0_14default_configENS1_27scan_by_key_config_selectorIijEEZZNS1_16scan_by_key_implILNS1_25lookback_scan_determinismE0ELb1ES3_N6thrust23THRUST_200600_302600_NS6detail15normal_iteratorINS9_10device_ptrIiEEEENSB_INSC_IjEEEESG_jNS9_4plusIvEENS9_8equal_toIvEEjEE10hipError_tPvRmT2_T3_T4_T5_mT6_T7_P12ihipStream_tbENKUlT_T0_E_clISt17integral_constantIbLb0EES10_IbLb1EEEEDaSW_SX_EUlSW_E_NS1_11comp_targetILNS1_3genE5ELNS1_11target_archE942ELNS1_3gpuE9ELNS1_3repE0EEENS1_30default_config_static_selectorELNS0_4arch9wavefront6targetE0EEEvT1_
	.p2align	8
	.type	_ZN7rocprim17ROCPRIM_400000_NS6detail17trampoline_kernelINS0_14default_configENS1_27scan_by_key_config_selectorIijEEZZNS1_16scan_by_key_implILNS1_25lookback_scan_determinismE0ELb1ES3_N6thrust23THRUST_200600_302600_NS6detail15normal_iteratorINS9_10device_ptrIiEEEENSB_INSC_IjEEEESG_jNS9_4plusIvEENS9_8equal_toIvEEjEE10hipError_tPvRmT2_T3_T4_T5_mT6_T7_P12ihipStream_tbENKUlT_T0_E_clISt17integral_constantIbLb0EES10_IbLb1EEEEDaSW_SX_EUlSW_E_NS1_11comp_targetILNS1_3genE5ELNS1_11target_archE942ELNS1_3gpuE9ELNS1_3repE0EEENS1_30default_config_static_selectorELNS0_4arch9wavefront6targetE0EEEvT1_,@function
_ZN7rocprim17ROCPRIM_400000_NS6detail17trampoline_kernelINS0_14default_configENS1_27scan_by_key_config_selectorIijEEZZNS1_16scan_by_key_implILNS1_25lookback_scan_determinismE0ELb1ES3_N6thrust23THRUST_200600_302600_NS6detail15normal_iteratorINS9_10device_ptrIiEEEENSB_INSC_IjEEEESG_jNS9_4plusIvEENS9_8equal_toIvEEjEE10hipError_tPvRmT2_T3_T4_T5_mT6_T7_P12ihipStream_tbENKUlT_T0_E_clISt17integral_constantIbLb0EES10_IbLb1EEEEDaSW_SX_EUlSW_E_NS1_11comp_targetILNS1_3genE5ELNS1_11target_archE942ELNS1_3gpuE9ELNS1_3repE0EEENS1_30default_config_static_selectorELNS0_4arch9wavefront6targetE0EEEvT1_: ; @_ZN7rocprim17ROCPRIM_400000_NS6detail17trampoline_kernelINS0_14default_configENS1_27scan_by_key_config_selectorIijEEZZNS1_16scan_by_key_implILNS1_25lookback_scan_determinismE0ELb1ES3_N6thrust23THRUST_200600_302600_NS6detail15normal_iteratorINS9_10device_ptrIiEEEENSB_INSC_IjEEEESG_jNS9_4plusIvEENS9_8equal_toIvEEjEE10hipError_tPvRmT2_T3_T4_T5_mT6_T7_P12ihipStream_tbENKUlT_T0_E_clISt17integral_constantIbLb0EES10_IbLb1EEEEDaSW_SX_EUlSW_E_NS1_11comp_targetILNS1_3genE5ELNS1_11target_archE942ELNS1_3gpuE9ELNS1_3repE0EEENS1_30default_config_static_selectorELNS0_4arch9wavefront6targetE0EEEvT1_
; %bb.0:
	.section	.rodata,"a",@progbits
	.p2align	6, 0x0
	.amdhsa_kernel _ZN7rocprim17ROCPRIM_400000_NS6detail17trampoline_kernelINS0_14default_configENS1_27scan_by_key_config_selectorIijEEZZNS1_16scan_by_key_implILNS1_25lookback_scan_determinismE0ELb1ES3_N6thrust23THRUST_200600_302600_NS6detail15normal_iteratorINS9_10device_ptrIiEEEENSB_INSC_IjEEEESG_jNS9_4plusIvEENS9_8equal_toIvEEjEE10hipError_tPvRmT2_T3_T4_T5_mT6_T7_P12ihipStream_tbENKUlT_T0_E_clISt17integral_constantIbLb0EES10_IbLb1EEEEDaSW_SX_EUlSW_E_NS1_11comp_targetILNS1_3genE5ELNS1_11target_archE942ELNS1_3gpuE9ELNS1_3repE0EEENS1_30default_config_static_selectorELNS0_4arch9wavefront6targetE0EEEvT1_
		.amdhsa_group_segment_fixed_size 0
		.amdhsa_private_segment_fixed_size 0
		.amdhsa_kernarg_size 112
		.amdhsa_user_sgpr_count 6
		.amdhsa_user_sgpr_private_segment_buffer 1
		.amdhsa_user_sgpr_dispatch_ptr 0
		.amdhsa_user_sgpr_queue_ptr 0
		.amdhsa_user_sgpr_kernarg_segment_ptr 1
		.amdhsa_user_sgpr_dispatch_id 0
		.amdhsa_user_sgpr_flat_scratch_init 0
		.amdhsa_user_sgpr_private_segment_size 0
		.amdhsa_wavefront_size32 1
		.amdhsa_uses_dynamic_stack 0
		.amdhsa_system_sgpr_private_segment_wavefront_offset 0
		.amdhsa_system_sgpr_workgroup_id_x 1
		.amdhsa_system_sgpr_workgroup_id_y 0
		.amdhsa_system_sgpr_workgroup_id_z 0
		.amdhsa_system_sgpr_workgroup_info 0
		.amdhsa_system_vgpr_workitem_id 0
		.amdhsa_next_free_vgpr 1
		.amdhsa_next_free_sgpr 1
		.amdhsa_reserve_vcc 0
		.amdhsa_reserve_flat_scratch 0
		.amdhsa_float_round_mode_32 0
		.amdhsa_float_round_mode_16_64 0
		.amdhsa_float_denorm_mode_32 3
		.amdhsa_float_denorm_mode_16_64 3
		.amdhsa_dx10_clamp 1
		.amdhsa_ieee_mode 1
		.amdhsa_fp16_overflow 0
		.amdhsa_workgroup_processor_mode 1
		.amdhsa_memory_ordered 1
		.amdhsa_forward_progress 1
		.amdhsa_shared_vgpr_count 0
		.amdhsa_exception_fp_ieee_invalid_op 0
		.amdhsa_exception_fp_denorm_src 0
		.amdhsa_exception_fp_ieee_div_zero 0
		.amdhsa_exception_fp_ieee_overflow 0
		.amdhsa_exception_fp_ieee_underflow 0
		.amdhsa_exception_fp_ieee_inexact 0
		.amdhsa_exception_int_div_zero 0
	.end_amdhsa_kernel
	.section	.text._ZN7rocprim17ROCPRIM_400000_NS6detail17trampoline_kernelINS0_14default_configENS1_27scan_by_key_config_selectorIijEEZZNS1_16scan_by_key_implILNS1_25lookback_scan_determinismE0ELb1ES3_N6thrust23THRUST_200600_302600_NS6detail15normal_iteratorINS9_10device_ptrIiEEEENSB_INSC_IjEEEESG_jNS9_4plusIvEENS9_8equal_toIvEEjEE10hipError_tPvRmT2_T3_T4_T5_mT6_T7_P12ihipStream_tbENKUlT_T0_E_clISt17integral_constantIbLb0EES10_IbLb1EEEEDaSW_SX_EUlSW_E_NS1_11comp_targetILNS1_3genE5ELNS1_11target_archE942ELNS1_3gpuE9ELNS1_3repE0EEENS1_30default_config_static_selectorELNS0_4arch9wavefront6targetE0EEEvT1_,"axG",@progbits,_ZN7rocprim17ROCPRIM_400000_NS6detail17trampoline_kernelINS0_14default_configENS1_27scan_by_key_config_selectorIijEEZZNS1_16scan_by_key_implILNS1_25lookback_scan_determinismE0ELb1ES3_N6thrust23THRUST_200600_302600_NS6detail15normal_iteratorINS9_10device_ptrIiEEEENSB_INSC_IjEEEESG_jNS9_4plusIvEENS9_8equal_toIvEEjEE10hipError_tPvRmT2_T3_T4_T5_mT6_T7_P12ihipStream_tbENKUlT_T0_E_clISt17integral_constantIbLb0EES10_IbLb1EEEEDaSW_SX_EUlSW_E_NS1_11comp_targetILNS1_3genE5ELNS1_11target_archE942ELNS1_3gpuE9ELNS1_3repE0EEENS1_30default_config_static_selectorELNS0_4arch9wavefront6targetE0EEEvT1_,comdat
.Lfunc_end1528:
	.size	_ZN7rocprim17ROCPRIM_400000_NS6detail17trampoline_kernelINS0_14default_configENS1_27scan_by_key_config_selectorIijEEZZNS1_16scan_by_key_implILNS1_25lookback_scan_determinismE0ELb1ES3_N6thrust23THRUST_200600_302600_NS6detail15normal_iteratorINS9_10device_ptrIiEEEENSB_INSC_IjEEEESG_jNS9_4plusIvEENS9_8equal_toIvEEjEE10hipError_tPvRmT2_T3_T4_T5_mT6_T7_P12ihipStream_tbENKUlT_T0_E_clISt17integral_constantIbLb0EES10_IbLb1EEEEDaSW_SX_EUlSW_E_NS1_11comp_targetILNS1_3genE5ELNS1_11target_archE942ELNS1_3gpuE9ELNS1_3repE0EEENS1_30default_config_static_selectorELNS0_4arch9wavefront6targetE0EEEvT1_, .Lfunc_end1528-_ZN7rocprim17ROCPRIM_400000_NS6detail17trampoline_kernelINS0_14default_configENS1_27scan_by_key_config_selectorIijEEZZNS1_16scan_by_key_implILNS1_25lookback_scan_determinismE0ELb1ES3_N6thrust23THRUST_200600_302600_NS6detail15normal_iteratorINS9_10device_ptrIiEEEENSB_INSC_IjEEEESG_jNS9_4plusIvEENS9_8equal_toIvEEjEE10hipError_tPvRmT2_T3_T4_T5_mT6_T7_P12ihipStream_tbENKUlT_T0_E_clISt17integral_constantIbLb0EES10_IbLb1EEEEDaSW_SX_EUlSW_E_NS1_11comp_targetILNS1_3genE5ELNS1_11target_archE942ELNS1_3gpuE9ELNS1_3repE0EEENS1_30default_config_static_selectorELNS0_4arch9wavefront6targetE0EEEvT1_
                                        ; -- End function
	.set _ZN7rocprim17ROCPRIM_400000_NS6detail17trampoline_kernelINS0_14default_configENS1_27scan_by_key_config_selectorIijEEZZNS1_16scan_by_key_implILNS1_25lookback_scan_determinismE0ELb1ES3_N6thrust23THRUST_200600_302600_NS6detail15normal_iteratorINS9_10device_ptrIiEEEENSB_INSC_IjEEEESG_jNS9_4plusIvEENS9_8equal_toIvEEjEE10hipError_tPvRmT2_T3_T4_T5_mT6_T7_P12ihipStream_tbENKUlT_T0_E_clISt17integral_constantIbLb0EES10_IbLb1EEEEDaSW_SX_EUlSW_E_NS1_11comp_targetILNS1_3genE5ELNS1_11target_archE942ELNS1_3gpuE9ELNS1_3repE0EEENS1_30default_config_static_selectorELNS0_4arch9wavefront6targetE0EEEvT1_.num_vgpr, 0
	.set _ZN7rocprim17ROCPRIM_400000_NS6detail17trampoline_kernelINS0_14default_configENS1_27scan_by_key_config_selectorIijEEZZNS1_16scan_by_key_implILNS1_25lookback_scan_determinismE0ELb1ES3_N6thrust23THRUST_200600_302600_NS6detail15normal_iteratorINS9_10device_ptrIiEEEENSB_INSC_IjEEEESG_jNS9_4plusIvEENS9_8equal_toIvEEjEE10hipError_tPvRmT2_T3_T4_T5_mT6_T7_P12ihipStream_tbENKUlT_T0_E_clISt17integral_constantIbLb0EES10_IbLb1EEEEDaSW_SX_EUlSW_E_NS1_11comp_targetILNS1_3genE5ELNS1_11target_archE942ELNS1_3gpuE9ELNS1_3repE0EEENS1_30default_config_static_selectorELNS0_4arch9wavefront6targetE0EEEvT1_.num_agpr, 0
	.set _ZN7rocprim17ROCPRIM_400000_NS6detail17trampoline_kernelINS0_14default_configENS1_27scan_by_key_config_selectorIijEEZZNS1_16scan_by_key_implILNS1_25lookback_scan_determinismE0ELb1ES3_N6thrust23THRUST_200600_302600_NS6detail15normal_iteratorINS9_10device_ptrIiEEEENSB_INSC_IjEEEESG_jNS9_4plusIvEENS9_8equal_toIvEEjEE10hipError_tPvRmT2_T3_T4_T5_mT6_T7_P12ihipStream_tbENKUlT_T0_E_clISt17integral_constantIbLb0EES10_IbLb1EEEEDaSW_SX_EUlSW_E_NS1_11comp_targetILNS1_3genE5ELNS1_11target_archE942ELNS1_3gpuE9ELNS1_3repE0EEENS1_30default_config_static_selectorELNS0_4arch9wavefront6targetE0EEEvT1_.numbered_sgpr, 0
	.set _ZN7rocprim17ROCPRIM_400000_NS6detail17trampoline_kernelINS0_14default_configENS1_27scan_by_key_config_selectorIijEEZZNS1_16scan_by_key_implILNS1_25lookback_scan_determinismE0ELb1ES3_N6thrust23THRUST_200600_302600_NS6detail15normal_iteratorINS9_10device_ptrIiEEEENSB_INSC_IjEEEESG_jNS9_4plusIvEENS9_8equal_toIvEEjEE10hipError_tPvRmT2_T3_T4_T5_mT6_T7_P12ihipStream_tbENKUlT_T0_E_clISt17integral_constantIbLb0EES10_IbLb1EEEEDaSW_SX_EUlSW_E_NS1_11comp_targetILNS1_3genE5ELNS1_11target_archE942ELNS1_3gpuE9ELNS1_3repE0EEENS1_30default_config_static_selectorELNS0_4arch9wavefront6targetE0EEEvT1_.num_named_barrier, 0
	.set _ZN7rocprim17ROCPRIM_400000_NS6detail17trampoline_kernelINS0_14default_configENS1_27scan_by_key_config_selectorIijEEZZNS1_16scan_by_key_implILNS1_25lookback_scan_determinismE0ELb1ES3_N6thrust23THRUST_200600_302600_NS6detail15normal_iteratorINS9_10device_ptrIiEEEENSB_INSC_IjEEEESG_jNS9_4plusIvEENS9_8equal_toIvEEjEE10hipError_tPvRmT2_T3_T4_T5_mT6_T7_P12ihipStream_tbENKUlT_T0_E_clISt17integral_constantIbLb0EES10_IbLb1EEEEDaSW_SX_EUlSW_E_NS1_11comp_targetILNS1_3genE5ELNS1_11target_archE942ELNS1_3gpuE9ELNS1_3repE0EEENS1_30default_config_static_selectorELNS0_4arch9wavefront6targetE0EEEvT1_.private_seg_size, 0
	.set _ZN7rocprim17ROCPRIM_400000_NS6detail17trampoline_kernelINS0_14default_configENS1_27scan_by_key_config_selectorIijEEZZNS1_16scan_by_key_implILNS1_25lookback_scan_determinismE0ELb1ES3_N6thrust23THRUST_200600_302600_NS6detail15normal_iteratorINS9_10device_ptrIiEEEENSB_INSC_IjEEEESG_jNS9_4plusIvEENS9_8equal_toIvEEjEE10hipError_tPvRmT2_T3_T4_T5_mT6_T7_P12ihipStream_tbENKUlT_T0_E_clISt17integral_constantIbLb0EES10_IbLb1EEEEDaSW_SX_EUlSW_E_NS1_11comp_targetILNS1_3genE5ELNS1_11target_archE942ELNS1_3gpuE9ELNS1_3repE0EEENS1_30default_config_static_selectorELNS0_4arch9wavefront6targetE0EEEvT1_.uses_vcc, 0
	.set _ZN7rocprim17ROCPRIM_400000_NS6detail17trampoline_kernelINS0_14default_configENS1_27scan_by_key_config_selectorIijEEZZNS1_16scan_by_key_implILNS1_25lookback_scan_determinismE0ELb1ES3_N6thrust23THRUST_200600_302600_NS6detail15normal_iteratorINS9_10device_ptrIiEEEENSB_INSC_IjEEEESG_jNS9_4plusIvEENS9_8equal_toIvEEjEE10hipError_tPvRmT2_T3_T4_T5_mT6_T7_P12ihipStream_tbENKUlT_T0_E_clISt17integral_constantIbLb0EES10_IbLb1EEEEDaSW_SX_EUlSW_E_NS1_11comp_targetILNS1_3genE5ELNS1_11target_archE942ELNS1_3gpuE9ELNS1_3repE0EEENS1_30default_config_static_selectorELNS0_4arch9wavefront6targetE0EEEvT1_.uses_flat_scratch, 0
	.set _ZN7rocprim17ROCPRIM_400000_NS6detail17trampoline_kernelINS0_14default_configENS1_27scan_by_key_config_selectorIijEEZZNS1_16scan_by_key_implILNS1_25lookback_scan_determinismE0ELb1ES3_N6thrust23THRUST_200600_302600_NS6detail15normal_iteratorINS9_10device_ptrIiEEEENSB_INSC_IjEEEESG_jNS9_4plusIvEENS9_8equal_toIvEEjEE10hipError_tPvRmT2_T3_T4_T5_mT6_T7_P12ihipStream_tbENKUlT_T0_E_clISt17integral_constantIbLb0EES10_IbLb1EEEEDaSW_SX_EUlSW_E_NS1_11comp_targetILNS1_3genE5ELNS1_11target_archE942ELNS1_3gpuE9ELNS1_3repE0EEENS1_30default_config_static_selectorELNS0_4arch9wavefront6targetE0EEEvT1_.has_dyn_sized_stack, 0
	.set _ZN7rocprim17ROCPRIM_400000_NS6detail17trampoline_kernelINS0_14default_configENS1_27scan_by_key_config_selectorIijEEZZNS1_16scan_by_key_implILNS1_25lookback_scan_determinismE0ELb1ES3_N6thrust23THRUST_200600_302600_NS6detail15normal_iteratorINS9_10device_ptrIiEEEENSB_INSC_IjEEEESG_jNS9_4plusIvEENS9_8equal_toIvEEjEE10hipError_tPvRmT2_T3_T4_T5_mT6_T7_P12ihipStream_tbENKUlT_T0_E_clISt17integral_constantIbLb0EES10_IbLb1EEEEDaSW_SX_EUlSW_E_NS1_11comp_targetILNS1_3genE5ELNS1_11target_archE942ELNS1_3gpuE9ELNS1_3repE0EEENS1_30default_config_static_selectorELNS0_4arch9wavefront6targetE0EEEvT1_.has_recursion, 0
	.set _ZN7rocprim17ROCPRIM_400000_NS6detail17trampoline_kernelINS0_14default_configENS1_27scan_by_key_config_selectorIijEEZZNS1_16scan_by_key_implILNS1_25lookback_scan_determinismE0ELb1ES3_N6thrust23THRUST_200600_302600_NS6detail15normal_iteratorINS9_10device_ptrIiEEEENSB_INSC_IjEEEESG_jNS9_4plusIvEENS9_8equal_toIvEEjEE10hipError_tPvRmT2_T3_T4_T5_mT6_T7_P12ihipStream_tbENKUlT_T0_E_clISt17integral_constantIbLb0EES10_IbLb1EEEEDaSW_SX_EUlSW_E_NS1_11comp_targetILNS1_3genE5ELNS1_11target_archE942ELNS1_3gpuE9ELNS1_3repE0EEENS1_30default_config_static_selectorELNS0_4arch9wavefront6targetE0EEEvT1_.has_indirect_call, 0
	.section	.AMDGPU.csdata,"",@progbits
; Kernel info:
; codeLenInByte = 0
; TotalNumSgprs: 0
; NumVgprs: 0
; ScratchSize: 0
; MemoryBound: 0
; FloatMode: 240
; IeeeMode: 1
; LDSByteSize: 0 bytes/workgroup (compile time only)
; SGPRBlocks: 0
; VGPRBlocks: 0
; NumSGPRsForWavesPerEU: 1
; NumVGPRsForWavesPerEU: 1
; Occupancy: 16
; WaveLimiterHint : 0
; COMPUTE_PGM_RSRC2:SCRATCH_EN: 0
; COMPUTE_PGM_RSRC2:USER_SGPR: 6
; COMPUTE_PGM_RSRC2:TRAP_HANDLER: 0
; COMPUTE_PGM_RSRC2:TGID_X_EN: 1
; COMPUTE_PGM_RSRC2:TGID_Y_EN: 0
; COMPUTE_PGM_RSRC2:TGID_Z_EN: 0
; COMPUTE_PGM_RSRC2:TIDIG_COMP_CNT: 0
	.section	.text._ZN7rocprim17ROCPRIM_400000_NS6detail17trampoline_kernelINS0_14default_configENS1_27scan_by_key_config_selectorIijEEZZNS1_16scan_by_key_implILNS1_25lookback_scan_determinismE0ELb1ES3_N6thrust23THRUST_200600_302600_NS6detail15normal_iteratorINS9_10device_ptrIiEEEENSB_INSC_IjEEEESG_jNS9_4plusIvEENS9_8equal_toIvEEjEE10hipError_tPvRmT2_T3_T4_T5_mT6_T7_P12ihipStream_tbENKUlT_T0_E_clISt17integral_constantIbLb0EES10_IbLb1EEEEDaSW_SX_EUlSW_E_NS1_11comp_targetILNS1_3genE4ELNS1_11target_archE910ELNS1_3gpuE8ELNS1_3repE0EEENS1_30default_config_static_selectorELNS0_4arch9wavefront6targetE0EEEvT1_,"axG",@progbits,_ZN7rocprim17ROCPRIM_400000_NS6detail17trampoline_kernelINS0_14default_configENS1_27scan_by_key_config_selectorIijEEZZNS1_16scan_by_key_implILNS1_25lookback_scan_determinismE0ELb1ES3_N6thrust23THRUST_200600_302600_NS6detail15normal_iteratorINS9_10device_ptrIiEEEENSB_INSC_IjEEEESG_jNS9_4plusIvEENS9_8equal_toIvEEjEE10hipError_tPvRmT2_T3_T4_T5_mT6_T7_P12ihipStream_tbENKUlT_T0_E_clISt17integral_constantIbLb0EES10_IbLb1EEEEDaSW_SX_EUlSW_E_NS1_11comp_targetILNS1_3genE4ELNS1_11target_archE910ELNS1_3gpuE8ELNS1_3repE0EEENS1_30default_config_static_selectorELNS0_4arch9wavefront6targetE0EEEvT1_,comdat
	.protected	_ZN7rocprim17ROCPRIM_400000_NS6detail17trampoline_kernelINS0_14default_configENS1_27scan_by_key_config_selectorIijEEZZNS1_16scan_by_key_implILNS1_25lookback_scan_determinismE0ELb1ES3_N6thrust23THRUST_200600_302600_NS6detail15normal_iteratorINS9_10device_ptrIiEEEENSB_INSC_IjEEEESG_jNS9_4plusIvEENS9_8equal_toIvEEjEE10hipError_tPvRmT2_T3_T4_T5_mT6_T7_P12ihipStream_tbENKUlT_T0_E_clISt17integral_constantIbLb0EES10_IbLb1EEEEDaSW_SX_EUlSW_E_NS1_11comp_targetILNS1_3genE4ELNS1_11target_archE910ELNS1_3gpuE8ELNS1_3repE0EEENS1_30default_config_static_selectorELNS0_4arch9wavefront6targetE0EEEvT1_ ; -- Begin function _ZN7rocprim17ROCPRIM_400000_NS6detail17trampoline_kernelINS0_14default_configENS1_27scan_by_key_config_selectorIijEEZZNS1_16scan_by_key_implILNS1_25lookback_scan_determinismE0ELb1ES3_N6thrust23THRUST_200600_302600_NS6detail15normal_iteratorINS9_10device_ptrIiEEEENSB_INSC_IjEEEESG_jNS9_4plusIvEENS9_8equal_toIvEEjEE10hipError_tPvRmT2_T3_T4_T5_mT6_T7_P12ihipStream_tbENKUlT_T0_E_clISt17integral_constantIbLb0EES10_IbLb1EEEEDaSW_SX_EUlSW_E_NS1_11comp_targetILNS1_3genE4ELNS1_11target_archE910ELNS1_3gpuE8ELNS1_3repE0EEENS1_30default_config_static_selectorELNS0_4arch9wavefront6targetE0EEEvT1_
	.globl	_ZN7rocprim17ROCPRIM_400000_NS6detail17trampoline_kernelINS0_14default_configENS1_27scan_by_key_config_selectorIijEEZZNS1_16scan_by_key_implILNS1_25lookback_scan_determinismE0ELb1ES3_N6thrust23THRUST_200600_302600_NS6detail15normal_iteratorINS9_10device_ptrIiEEEENSB_INSC_IjEEEESG_jNS9_4plusIvEENS9_8equal_toIvEEjEE10hipError_tPvRmT2_T3_T4_T5_mT6_T7_P12ihipStream_tbENKUlT_T0_E_clISt17integral_constantIbLb0EES10_IbLb1EEEEDaSW_SX_EUlSW_E_NS1_11comp_targetILNS1_3genE4ELNS1_11target_archE910ELNS1_3gpuE8ELNS1_3repE0EEENS1_30default_config_static_selectorELNS0_4arch9wavefront6targetE0EEEvT1_
	.p2align	8
	.type	_ZN7rocprim17ROCPRIM_400000_NS6detail17trampoline_kernelINS0_14default_configENS1_27scan_by_key_config_selectorIijEEZZNS1_16scan_by_key_implILNS1_25lookback_scan_determinismE0ELb1ES3_N6thrust23THRUST_200600_302600_NS6detail15normal_iteratorINS9_10device_ptrIiEEEENSB_INSC_IjEEEESG_jNS9_4plusIvEENS9_8equal_toIvEEjEE10hipError_tPvRmT2_T3_T4_T5_mT6_T7_P12ihipStream_tbENKUlT_T0_E_clISt17integral_constantIbLb0EES10_IbLb1EEEEDaSW_SX_EUlSW_E_NS1_11comp_targetILNS1_3genE4ELNS1_11target_archE910ELNS1_3gpuE8ELNS1_3repE0EEENS1_30default_config_static_selectorELNS0_4arch9wavefront6targetE0EEEvT1_,@function
_ZN7rocprim17ROCPRIM_400000_NS6detail17trampoline_kernelINS0_14default_configENS1_27scan_by_key_config_selectorIijEEZZNS1_16scan_by_key_implILNS1_25lookback_scan_determinismE0ELb1ES3_N6thrust23THRUST_200600_302600_NS6detail15normal_iteratorINS9_10device_ptrIiEEEENSB_INSC_IjEEEESG_jNS9_4plusIvEENS9_8equal_toIvEEjEE10hipError_tPvRmT2_T3_T4_T5_mT6_T7_P12ihipStream_tbENKUlT_T0_E_clISt17integral_constantIbLb0EES10_IbLb1EEEEDaSW_SX_EUlSW_E_NS1_11comp_targetILNS1_3genE4ELNS1_11target_archE910ELNS1_3gpuE8ELNS1_3repE0EEENS1_30default_config_static_selectorELNS0_4arch9wavefront6targetE0EEEvT1_: ; @_ZN7rocprim17ROCPRIM_400000_NS6detail17trampoline_kernelINS0_14default_configENS1_27scan_by_key_config_selectorIijEEZZNS1_16scan_by_key_implILNS1_25lookback_scan_determinismE0ELb1ES3_N6thrust23THRUST_200600_302600_NS6detail15normal_iteratorINS9_10device_ptrIiEEEENSB_INSC_IjEEEESG_jNS9_4plusIvEENS9_8equal_toIvEEjEE10hipError_tPvRmT2_T3_T4_T5_mT6_T7_P12ihipStream_tbENKUlT_T0_E_clISt17integral_constantIbLb0EES10_IbLb1EEEEDaSW_SX_EUlSW_E_NS1_11comp_targetILNS1_3genE4ELNS1_11target_archE910ELNS1_3gpuE8ELNS1_3repE0EEENS1_30default_config_static_selectorELNS0_4arch9wavefront6targetE0EEEvT1_
; %bb.0:
	.section	.rodata,"a",@progbits
	.p2align	6, 0x0
	.amdhsa_kernel _ZN7rocprim17ROCPRIM_400000_NS6detail17trampoline_kernelINS0_14default_configENS1_27scan_by_key_config_selectorIijEEZZNS1_16scan_by_key_implILNS1_25lookback_scan_determinismE0ELb1ES3_N6thrust23THRUST_200600_302600_NS6detail15normal_iteratorINS9_10device_ptrIiEEEENSB_INSC_IjEEEESG_jNS9_4plusIvEENS9_8equal_toIvEEjEE10hipError_tPvRmT2_T3_T4_T5_mT6_T7_P12ihipStream_tbENKUlT_T0_E_clISt17integral_constantIbLb0EES10_IbLb1EEEEDaSW_SX_EUlSW_E_NS1_11comp_targetILNS1_3genE4ELNS1_11target_archE910ELNS1_3gpuE8ELNS1_3repE0EEENS1_30default_config_static_selectorELNS0_4arch9wavefront6targetE0EEEvT1_
		.amdhsa_group_segment_fixed_size 0
		.amdhsa_private_segment_fixed_size 0
		.amdhsa_kernarg_size 112
		.amdhsa_user_sgpr_count 6
		.amdhsa_user_sgpr_private_segment_buffer 1
		.amdhsa_user_sgpr_dispatch_ptr 0
		.amdhsa_user_sgpr_queue_ptr 0
		.amdhsa_user_sgpr_kernarg_segment_ptr 1
		.amdhsa_user_sgpr_dispatch_id 0
		.amdhsa_user_sgpr_flat_scratch_init 0
		.amdhsa_user_sgpr_private_segment_size 0
		.amdhsa_wavefront_size32 1
		.amdhsa_uses_dynamic_stack 0
		.amdhsa_system_sgpr_private_segment_wavefront_offset 0
		.amdhsa_system_sgpr_workgroup_id_x 1
		.amdhsa_system_sgpr_workgroup_id_y 0
		.amdhsa_system_sgpr_workgroup_id_z 0
		.amdhsa_system_sgpr_workgroup_info 0
		.amdhsa_system_vgpr_workitem_id 0
		.amdhsa_next_free_vgpr 1
		.amdhsa_next_free_sgpr 1
		.amdhsa_reserve_vcc 0
		.amdhsa_reserve_flat_scratch 0
		.amdhsa_float_round_mode_32 0
		.amdhsa_float_round_mode_16_64 0
		.amdhsa_float_denorm_mode_32 3
		.amdhsa_float_denorm_mode_16_64 3
		.amdhsa_dx10_clamp 1
		.amdhsa_ieee_mode 1
		.amdhsa_fp16_overflow 0
		.amdhsa_workgroup_processor_mode 1
		.amdhsa_memory_ordered 1
		.amdhsa_forward_progress 1
		.amdhsa_shared_vgpr_count 0
		.amdhsa_exception_fp_ieee_invalid_op 0
		.amdhsa_exception_fp_denorm_src 0
		.amdhsa_exception_fp_ieee_div_zero 0
		.amdhsa_exception_fp_ieee_overflow 0
		.amdhsa_exception_fp_ieee_underflow 0
		.amdhsa_exception_fp_ieee_inexact 0
		.amdhsa_exception_int_div_zero 0
	.end_amdhsa_kernel
	.section	.text._ZN7rocprim17ROCPRIM_400000_NS6detail17trampoline_kernelINS0_14default_configENS1_27scan_by_key_config_selectorIijEEZZNS1_16scan_by_key_implILNS1_25lookback_scan_determinismE0ELb1ES3_N6thrust23THRUST_200600_302600_NS6detail15normal_iteratorINS9_10device_ptrIiEEEENSB_INSC_IjEEEESG_jNS9_4plusIvEENS9_8equal_toIvEEjEE10hipError_tPvRmT2_T3_T4_T5_mT6_T7_P12ihipStream_tbENKUlT_T0_E_clISt17integral_constantIbLb0EES10_IbLb1EEEEDaSW_SX_EUlSW_E_NS1_11comp_targetILNS1_3genE4ELNS1_11target_archE910ELNS1_3gpuE8ELNS1_3repE0EEENS1_30default_config_static_selectorELNS0_4arch9wavefront6targetE0EEEvT1_,"axG",@progbits,_ZN7rocprim17ROCPRIM_400000_NS6detail17trampoline_kernelINS0_14default_configENS1_27scan_by_key_config_selectorIijEEZZNS1_16scan_by_key_implILNS1_25lookback_scan_determinismE0ELb1ES3_N6thrust23THRUST_200600_302600_NS6detail15normal_iteratorINS9_10device_ptrIiEEEENSB_INSC_IjEEEESG_jNS9_4plusIvEENS9_8equal_toIvEEjEE10hipError_tPvRmT2_T3_T4_T5_mT6_T7_P12ihipStream_tbENKUlT_T0_E_clISt17integral_constantIbLb0EES10_IbLb1EEEEDaSW_SX_EUlSW_E_NS1_11comp_targetILNS1_3genE4ELNS1_11target_archE910ELNS1_3gpuE8ELNS1_3repE0EEENS1_30default_config_static_selectorELNS0_4arch9wavefront6targetE0EEEvT1_,comdat
.Lfunc_end1529:
	.size	_ZN7rocprim17ROCPRIM_400000_NS6detail17trampoline_kernelINS0_14default_configENS1_27scan_by_key_config_selectorIijEEZZNS1_16scan_by_key_implILNS1_25lookback_scan_determinismE0ELb1ES3_N6thrust23THRUST_200600_302600_NS6detail15normal_iteratorINS9_10device_ptrIiEEEENSB_INSC_IjEEEESG_jNS9_4plusIvEENS9_8equal_toIvEEjEE10hipError_tPvRmT2_T3_T4_T5_mT6_T7_P12ihipStream_tbENKUlT_T0_E_clISt17integral_constantIbLb0EES10_IbLb1EEEEDaSW_SX_EUlSW_E_NS1_11comp_targetILNS1_3genE4ELNS1_11target_archE910ELNS1_3gpuE8ELNS1_3repE0EEENS1_30default_config_static_selectorELNS0_4arch9wavefront6targetE0EEEvT1_, .Lfunc_end1529-_ZN7rocprim17ROCPRIM_400000_NS6detail17trampoline_kernelINS0_14default_configENS1_27scan_by_key_config_selectorIijEEZZNS1_16scan_by_key_implILNS1_25lookback_scan_determinismE0ELb1ES3_N6thrust23THRUST_200600_302600_NS6detail15normal_iteratorINS9_10device_ptrIiEEEENSB_INSC_IjEEEESG_jNS9_4plusIvEENS9_8equal_toIvEEjEE10hipError_tPvRmT2_T3_T4_T5_mT6_T7_P12ihipStream_tbENKUlT_T0_E_clISt17integral_constantIbLb0EES10_IbLb1EEEEDaSW_SX_EUlSW_E_NS1_11comp_targetILNS1_3genE4ELNS1_11target_archE910ELNS1_3gpuE8ELNS1_3repE0EEENS1_30default_config_static_selectorELNS0_4arch9wavefront6targetE0EEEvT1_
                                        ; -- End function
	.set _ZN7rocprim17ROCPRIM_400000_NS6detail17trampoline_kernelINS0_14default_configENS1_27scan_by_key_config_selectorIijEEZZNS1_16scan_by_key_implILNS1_25lookback_scan_determinismE0ELb1ES3_N6thrust23THRUST_200600_302600_NS6detail15normal_iteratorINS9_10device_ptrIiEEEENSB_INSC_IjEEEESG_jNS9_4plusIvEENS9_8equal_toIvEEjEE10hipError_tPvRmT2_T3_T4_T5_mT6_T7_P12ihipStream_tbENKUlT_T0_E_clISt17integral_constantIbLb0EES10_IbLb1EEEEDaSW_SX_EUlSW_E_NS1_11comp_targetILNS1_3genE4ELNS1_11target_archE910ELNS1_3gpuE8ELNS1_3repE0EEENS1_30default_config_static_selectorELNS0_4arch9wavefront6targetE0EEEvT1_.num_vgpr, 0
	.set _ZN7rocprim17ROCPRIM_400000_NS6detail17trampoline_kernelINS0_14default_configENS1_27scan_by_key_config_selectorIijEEZZNS1_16scan_by_key_implILNS1_25lookback_scan_determinismE0ELb1ES3_N6thrust23THRUST_200600_302600_NS6detail15normal_iteratorINS9_10device_ptrIiEEEENSB_INSC_IjEEEESG_jNS9_4plusIvEENS9_8equal_toIvEEjEE10hipError_tPvRmT2_T3_T4_T5_mT6_T7_P12ihipStream_tbENKUlT_T0_E_clISt17integral_constantIbLb0EES10_IbLb1EEEEDaSW_SX_EUlSW_E_NS1_11comp_targetILNS1_3genE4ELNS1_11target_archE910ELNS1_3gpuE8ELNS1_3repE0EEENS1_30default_config_static_selectorELNS0_4arch9wavefront6targetE0EEEvT1_.num_agpr, 0
	.set _ZN7rocprim17ROCPRIM_400000_NS6detail17trampoline_kernelINS0_14default_configENS1_27scan_by_key_config_selectorIijEEZZNS1_16scan_by_key_implILNS1_25lookback_scan_determinismE0ELb1ES3_N6thrust23THRUST_200600_302600_NS6detail15normal_iteratorINS9_10device_ptrIiEEEENSB_INSC_IjEEEESG_jNS9_4plusIvEENS9_8equal_toIvEEjEE10hipError_tPvRmT2_T3_T4_T5_mT6_T7_P12ihipStream_tbENKUlT_T0_E_clISt17integral_constantIbLb0EES10_IbLb1EEEEDaSW_SX_EUlSW_E_NS1_11comp_targetILNS1_3genE4ELNS1_11target_archE910ELNS1_3gpuE8ELNS1_3repE0EEENS1_30default_config_static_selectorELNS0_4arch9wavefront6targetE0EEEvT1_.numbered_sgpr, 0
	.set _ZN7rocprim17ROCPRIM_400000_NS6detail17trampoline_kernelINS0_14default_configENS1_27scan_by_key_config_selectorIijEEZZNS1_16scan_by_key_implILNS1_25lookback_scan_determinismE0ELb1ES3_N6thrust23THRUST_200600_302600_NS6detail15normal_iteratorINS9_10device_ptrIiEEEENSB_INSC_IjEEEESG_jNS9_4plusIvEENS9_8equal_toIvEEjEE10hipError_tPvRmT2_T3_T4_T5_mT6_T7_P12ihipStream_tbENKUlT_T0_E_clISt17integral_constantIbLb0EES10_IbLb1EEEEDaSW_SX_EUlSW_E_NS1_11comp_targetILNS1_3genE4ELNS1_11target_archE910ELNS1_3gpuE8ELNS1_3repE0EEENS1_30default_config_static_selectorELNS0_4arch9wavefront6targetE0EEEvT1_.num_named_barrier, 0
	.set _ZN7rocprim17ROCPRIM_400000_NS6detail17trampoline_kernelINS0_14default_configENS1_27scan_by_key_config_selectorIijEEZZNS1_16scan_by_key_implILNS1_25lookback_scan_determinismE0ELb1ES3_N6thrust23THRUST_200600_302600_NS6detail15normal_iteratorINS9_10device_ptrIiEEEENSB_INSC_IjEEEESG_jNS9_4plusIvEENS9_8equal_toIvEEjEE10hipError_tPvRmT2_T3_T4_T5_mT6_T7_P12ihipStream_tbENKUlT_T0_E_clISt17integral_constantIbLb0EES10_IbLb1EEEEDaSW_SX_EUlSW_E_NS1_11comp_targetILNS1_3genE4ELNS1_11target_archE910ELNS1_3gpuE8ELNS1_3repE0EEENS1_30default_config_static_selectorELNS0_4arch9wavefront6targetE0EEEvT1_.private_seg_size, 0
	.set _ZN7rocprim17ROCPRIM_400000_NS6detail17trampoline_kernelINS0_14default_configENS1_27scan_by_key_config_selectorIijEEZZNS1_16scan_by_key_implILNS1_25lookback_scan_determinismE0ELb1ES3_N6thrust23THRUST_200600_302600_NS6detail15normal_iteratorINS9_10device_ptrIiEEEENSB_INSC_IjEEEESG_jNS9_4plusIvEENS9_8equal_toIvEEjEE10hipError_tPvRmT2_T3_T4_T5_mT6_T7_P12ihipStream_tbENKUlT_T0_E_clISt17integral_constantIbLb0EES10_IbLb1EEEEDaSW_SX_EUlSW_E_NS1_11comp_targetILNS1_3genE4ELNS1_11target_archE910ELNS1_3gpuE8ELNS1_3repE0EEENS1_30default_config_static_selectorELNS0_4arch9wavefront6targetE0EEEvT1_.uses_vcc, 0
	.set _ZN7rocprim17ROCPRIM_400000_NS6detail17trampoline_kernelINS0_14default_configENS1_27scan_by_key_config_selectorIijEEZZNS1_16scan_by_key_implILNS1_25lookback_scan_determinismE0ELb1ES3_N6thrust23THRUST_200600_302600_NS6detail15normal_iteratorINS9_10device_ptrIiEEEENSB_INSC_IjEEEESG_jNS9_4plusIvEENS9_8equal_toIvEEjEE10hipError_tPvRmT2_T3_T4_T5_mT6_T7_P12ihipStream_tbENKUlT_T0_E_clISt17integral_constantIbLb0EES10_IbLb1EEEEDaSW_SX_EUlSW_E_NS1_11comp_targetILNS1_3genE4ELNS1_11target_archE910ELNS1_3gpuE8ELNS1_3repE0EEENS1_30default_config_static_selectorELNS0_4arch9wavefront6targetE0EEEvT1_.uses_flat_scratch, 0
	.set _ZN7rocprim17ROCPRIM_400000_NS6detail17trampoline_kernelINS0_14default_configENS1_27scan_by_key_config_selectorIijEEZZNS1_16scan_by_key_implILNS1_25lookback_scan_determinismE0ELb1ES3_N6thrust23THRUST_200600_302600_NS6detail15normal_iteratorINS9_10device_ptrIiEEEENSB_INSC_IjEEEESG_jNS9_4plusIvEENS9_8equal_toIvEEjEE10hipError_tPvRmT2_T3_T4_T5_mT6_T7_P12ihipStream_tbENKUlT_T0_E_clISt17integral_constantIbLb0EES10_IbLb1EEEEDaSW_SX_EUlSW_E_NS1_11comp_targetILNS1_3genE4ELNS1_11target_archE910ELNS1_3gpuE8ELNS1_3repE0EEENS1_30default_config_static_selectorELNS0_4arch9wavefront6targetE0EEEvT1_.has_dyn_sized_stack, 0
	.set _ZN7rocprim17ROCPRIM_400000_NS6detail17trampoline_kernelINS0_14default_configENS1_27scan_by_key_config_selectorIijEEZZNS1_16scan_by_key_implILNS1_25lookback_scan_determinismE0ELb1ES3_N6thrust23THRUST_200600_302600_NS6detail15normal_iteratorINS9_10device_ptrIiEEEENSB_INSC_IjEEEESG_jNS9_4plusIvEENS9_8equal_toIvEEjEE10hipError_tPvRmT2_T3_T4_T5_mT6_T7_P12ihipStream_tbENKUlT_T0_E_clISt17integral_constantIbLb0EES10_IbLb1EEEEDaSW_SX_EUlSW_E_NS1_11comp_targetILNS1_3genE4ELNS1_11target_archE910ELNS1_3gpuE8ELNS1_3repE0EEENS1_30default_config_static_selectorELNS0_4arch9wavefront6targetE0EEEvT1_.has_recursion, 0
	.set _ZN7rocprim17ROCPRIM_400000_NS6detail17trampoline_kernelINS0_14default_configENS1_27scan_by_key_config_selectorIijEEZZNS1_16scan_by_key_implILNS1_25lookback_scan_determinismE0ELb1ES3_N6thrust23THRUST_200600_302600_NS6detail15normal_iteratorINS9_10device_ptrIiEEEENSB_INSC_IjEEEESG_jNS9_4plusIvEENS9_8equal_toIvEEjEE10hipError_tPvRmT2_T3_T4_T5_mT6_T7_P12ihipStream_tbENKUlT_T0_E_clISt17integral_constantIbLb0EES10_IbLb1EEEEDaSW_SX_EUlSW_E_NS1_11comp_targetILNS1_3genE4ELNS1_11target_archE910ELNS1_3gpuE8ELNS1_3repE0EEENS1_30default_config_static_selectorELNS0_4arch9wavefront6targetE0EEEvT1_.has_indirect_call, 0
	.section	.AMDGPU.csdata,"",@progbits
; Kernel info:
; codeLenInByte = 0
; TotalNumSgprs: 0
; NumVgprs: 0
; ScratchSize: 0
; MemoryBound: 0
; FloatMode: 240
; IeeeMode: 1
; LDSByteSize: 0 bytes/workgroup (compile time only)
; SGPRBlocks: 0
; VGPRBlocks: 0
; NumSGPRsForWavesPerEU: 1
; NumVGPRsForWavesPerEU: 1
; Occupancy: 16
; WaveLimiterHint : 0
; COMPUTE_PGM_RSRC2:SCRATCH_EN: 0
; COMPUTE_PGM_RSRC2:USER_SGPR: 6
; COMPUTE_PGM_RSRC2:TRAP_HANDLER: 0
; COMPUTE_PGM_RSRC2:TGID_X_EN: 1
; COMPUTE_PGM_RSRC2:TGID_Y_EN: 0
; COMPUTE_PGM_RSRC2:TGID_Z_EN: 0
; COMPUTE_PGM_RSRC2:TIDIG_COMP_CNT: 0
	.section	.text._ZN7rocprim17ROCPRIM_400000_NS6detail17trampoline_kernelINS0_14default_configENS1_27scan_by_key_config_selectorIijEEZZNS1_16scan_by_key_implILNS1_25lookback_scan_determinismE0ELb1ES3_N6thrust23THRUST_200600_302600_NS6detail15normal_iteratorINS9_10device_ptrIiEEEENSB_INSC_IjEEEESG_jNS9_4plusIvEENS9_8equal_toIvEEjEE10hipError_tPvRmT2_T3_T4_T5_mT6_T7_P12ihipStream_tbENKUlT_T0_E_clISt17integral_constantIbLb0EES10_IbLb1EEEEDaSW_SX_EUlSW_E_NS1_11comp_targetILNS1_3genE3ELNS1_11target_archE908ELNS1_3gpuE7ELNS1_3repE0EEENS1_30default_config_static_selectorELNS0_4arch9wavefront6targetE0EEEvT1_,"axG",@progbits,_ZN7rocprim17ROCPRIM_400000_NS6detail17trampoline_kernelINS0_14default_configENS1_27scan_by_key_config_selectorIijEEZZNS1_16scan_by_key_implILNS1_25lookback_scan_determinismE0ELb1ES3_N6thrust23THRUST_200600_302600_NS6detail15normal_iteratorINS9_10device_ptrIiEEEENSB_INSC_IjEEEESG_jNS9_4plusIvEENS9_8equal_toIvEEjEE10hipError_tPvRmT2_T3_T4_T5_mT6_T7_P12ihipStream_tbENKUlT_T0_E_clISt17integral_constantIbLb0EES10_IbLb1EEEEDaSW_SX_EUlSW_E_NS1_11comp_targetILNS1_3genE3ELNS1_11target_archE908ELNS1_3gpuE7ELNS1_3repE0EEENS1_30default_config_static_selectorELNS0_4arch9wavefront6targetE0EEEvT1_,comdat
	.protected	_ZN7rocprim17ROCPRIM_400000_NS6detail17trampoline_kernelINS0_14default_configENS1_27scan_by_key_config_selectorIijEEZZNS1_16scan_by_key_implILNS1_25lookback_scan_determinismE0ELb1ES3_N6thrust23THRUST_200600_302600_NS6detail15normal_iteratorINS9_10device_ptrIiEEEENSB_INSC_IjEEEESG_jNS9_4plusIvEENS9_8equal_toIvEEjEE10hipError_tPvRmT2_T3_T4_T5_mT6_T7_P12ihipStream_tbENKUlT_T0_E_clISt17integral_constantIbLb0EES10_IbLb1EEEEDaSW_SX_EUlSW_E_NS1_11comp_targetILNS1_3genE3ELNS1_11target_archE908ELNS1_3gpuE7ELNS1_3repE0EEENS1_30default_config_static_selectorELNS0_4arch9wavefront6targetE0EEEvT1_ ; -- Begin function _ZN7rocprim17ROCPRIM_400000_NS6detail17trampoline_kernelINS0_14default_configENS1_27scan_by_key_config_selectorIijEEZZNS1_16scan_by_key_implILNS1_25lookback_scan_determinismE0ELb1ES3_N6thrust23THRUST_200600_302600_NS6detail15normal_iteratorINS9_10device_ptrIiEEEENSB_INSC_IjEEEESG_jNS9_4plusIvEENS9_8equal_toIvEEjEE10hipError_tPvRmT2_T3_T4_T5_mT6_T7_P12ihipStream_tbENKUlT_T0_E_clISt17integral_constantIbLb0EES10_IbLb1EEEEDaSW_SX_EUlSW_E_NS1_11comp_targetILNS1_3genE3ELNS1_11target_archE908ELNS1_3gpuE7ELNS1_3repE0EEENS1_30default_config_static_selectorELNS0_4arch9wavefront6targetE0EEEvT1_
	.globl	_ZN7rocprim17ROCPRIM_400000_NS6detail17trampoline_kernelINS0_14default_configENS1_27scan_by_key_config_selectorIijEEZZNS1_16scan_by_key_implILNS1_25lookback_scan_determinismE0ELb1ES3_N6thrust23THRUST_200600_302600_NS6detail15normal_iteratorINS9_10device_ptrIiEEEENSB_INSC_IjEEEESG_jNS9_4plusIvEENS9_8equal_toIvEEjEE10hipError_tPvRmT2_T3_T4_T5_mT6_T7_P12ihipStream_tbENKUlT_T0_E_clISt17integral_constantIbLb0EES10_IbLb1EEEEDaSW_SX_EUlSW_E_NS1_11comp_targetILNS1_3genE3ELNS1_11target_archE908ELNS1_3gpuE7ELNS1_3repE0EEENS1_30default_config_static_selectorELNS0_4arch9wavefront6targetE0EEEvT1_
	.p2align	8
	.type	_ZN7rocprim17ROCPRIM_400000_NS6detail17trampoline_kernelINS0_14default_configENS1_27scan_by_key_config_selectorIijEEZZNS1_16scan_by_key_implILNS1_25lookback_scan_determinismE0ELb1ES3_N6thrust23THRUST_200600_302600_NS6detail15normal_iteratorINS9_10device_ptrIiEEEENSB_INSC_IjEEEESG_jNS9_4plusIvEENS9_8equal_toIvEEjEE10hipError_tPvRmT2_T3_T4_T5_mT6_T7_P12ihipStream_tbENKUlT_T0_E_clISt17integral_constantIbLb0EES10_IbLb1EEEEDaSW_SX_EUlSW_E_NS1_11comp_targetILNS1_3genE3ELNS1_11target_archE908ELNS1_3gpuE7ELNS1_3repE0EEENS1_30default_config_static_selectorELNS0_4arch9wavefront6targetE0EEEvT1_,@function
_ZN7rocprim17ROCPRIM_400000_NS6detail17trampoline_kernelINS0_14default_configENS1_27scan_by_key_config_selectorIijEEZZNS1_16scan_by_key_implILNS1_25lookback_scan_determinismE0ELb1ES3_N6thrust23THRUST_200600_302600_NS6detail15normal_iteratorINS9_10device_ptrIiEEEENSB_INSC_IjEEEESG_jNS9_4plusIvEENS9_8equal_toIvEEjEE10hipError_tPvRmT2_T3_T4_T5_mT6_T7_P12ihipStream_tbENKUlT_T0_E_clISt17integral_constantIbLb0EES10_IbLb1EEEEDaSW_SX_EUlSW_E_NS1_11comp_targetILNS1_3genE3ELNS1_11target_archE908ELNS1_3gpuE7ELNS1_3repE0EEENS1_30default_config_static_selectorELNS0_4arch9wavefront6targetE0EEEvT1_: ; @_ZN7rocprim17ROCPRIM_400000_NS6detail17trampoline_kernelINS0_14default_configENS1_27scan_by_key_config_selectorIijEEZZNS1_16scan_by_key_implILNS1_25lookback_scan_determinismE0ELb1ES3_N6thrust23THRUST_200600_302600_NS6detail15normal_iteratorINS9_10device_ptrIiEEEENSB_INSC_IjEEEESG_jNS9_4plusIvEENS9_8equal_toIvEEjEE10hipError_tPvRmT2_T3_T4_T5_mT6_T7_P12ihipStream_tbENKUlT_T0_E_clISt17integral_constantIbLb0EES10_IbLb1EEEEDaSW_SX_EUlSW_E_NS1_11comp_targetILNS1_3genE3ELNS1_11target_archE908ELNS1_3gpuE7ELNS1_3repE0EEENS1_30default_config_static_selectorELNS0_4arch9wavefront6targetE0EEEvT1_
; %bb.0:
	.section	.rodata,"a",@progbits
	.p2align	6, 0x0
	.amdhsa_kernel _ZN7rocprim17ROCPRIM_400000_NS6detail17trampoline_kernelINS0_14default_configENS1_27scan_by_key_config_selectorIijEEZZNS1_16scan_by_key_implILNS1_25lookback_scan_determinismE0ELb1ES3_N6thrust23THRUST_200600_302600_NS6detail15normal_iteratorINS9_10device_ptrIiEEEENSB_INSC_IjEEEESG_jNS9_4plusIvEENS9_8equal_toIvEEjEE10hipError_tPvRmT2_T3_T4_T5_mT6_T7_P12ihipStream_tbENKUlT_T0_E_clISt17integral_constantIbLb0EES10_IbLb1EEEEDaSW_SX_EUlSW_E_NS1_11comp_targetILNS1_3genE3ELNS1_11target_archE908ELNS1_3gpuE7ELNS1_3repE0EEENS1_30default_config_static_selectorELNS0_4arch9wavefront6targetE0EEEvT1_
		.amdhsa_group_segment_fixed_size 0
		.amdhsa_private_segment_fixed_size 0
		.amdhsa_kernarg_size 112
		.amdhsa_user_sgpr_count 6
		.amdhsa_user_sgpr_private_segment_buffer 1
		.amdhsa_user_sgpr_dispatch_ptr 0
		.amdhsa_user_sgpr_queue_ptr 0
		.amdhsa_user_sgpr_kernarg_segment_ptr 1
		.amdhsa_user_sgpr_dispatch_id 0
		.amdhsa_user_sgpr_flat_scratch_init 0
		.amdhsa_user_sgpr_private_segment_size 0
		.amdhsa_wavefront_size32 1
		.amdhsa_uses_dynamic_stack 0
		.amdhsa_system_sgpr_private_segment_wavefront_offset 0
		.amdhsa_system_sgpr_workgroup_id_x 1
		.amdhsa_system_sgpr_workgroup_id_y 0
		.amdhsa_system_sgpr_workgroup_id_z 0
		.amdhsa_system_sgpr_workgroup_info 0
		.amdhsa_system_vgpr_workitem_id 0
		.amdhsa_next_free_vgpr 1
		.amdhsa_next_free_sgpr 1
		.amdhsa_reserve_vcc 0
		.amdhsa_reserve_flat_scratch 0
		.amdhsa_float_round_mode_32 0
		.amdhsa_float_round_mode_16_64 0
		.amdhsa_float_denorm_mode_32 3
		.amdhsa_float_denorm_mode_16_64 3
		.amdhsa_dx10_clamp 1
		.amdhsa_ieee_mode 1
		.amdhsa_fp16_overflow 0
		.amdhsa_workgroup_processor_mode 1
		.amdhsa_memory_ordered 1
		.amdhsa_forward_progress 1
		.amdhsa_shared_vgpr_count 0
		.amdhsa_exception_fp_ieee_invalid_op 0
		.amdhsa_exception_fp_denorm_src 0
		.amdhsa_exception_fp_ieee_div_zero 0
		.amdhsa_exception_fp_ieee_overflow 0
		.amdhsa_exception_fp_ieee_underflow 0
		.amdhsa_exception_fp_ieee_inexact 0
		.amdhsa_exception_int_div_zero 0
	.end_amdhsa_kernel
	.section	.text._ZN7rocprim17ROCPRIM_400000_NS6detail17trampoline_kernelINS0_14default_configENS1_27scan_by_key_config_selectorIijEEZZNS1_16scan_by_key_implILNS1_25lookback_scan_determinismE0ELb1ES3_N6thrust23THRUST_200600_302600_NS6detail15normal_iteratorINS9_10device_ptrIiEEEENSB_INSC_IjEEEESG_jNS9_4plusIvEENS9_8equal_toIvEEjEE10hipError_tPvRmT2_T3_T4_T5_mT6_T7_P12ihipStream_tbENKUlT_T0_E_clISt17integral_constantIbLb0EES10_IbLb1EEEEDaSW_SX_EUlSW_E_NS1_11comp_targetILNS1_3genE3ELNS1_11target_archE908ELNS1_3gpuE7ELNS1_3repE0EEENS1_30default_config_static_selectorELNS0_4arch9wavefront6targetE0EEEvT1_,"axG",@progbits,_ZN7rocprim17ROCPRIM_400000_NS6detail17trampoline_kernelINS0_14default_configENS1_27scan_by_key_config_selectorIijEEZZNS1_16scan_by_key_implILNS1_25lookback_scan_determinismE0ELb1ES3_N6thrust23THRUST_200600_302600_NS6detail15normal_iteratorINS9_10device_ptrIiEEEENSB_INSC_IjEEEESG_jNS9_4plusIvEENS9_8equal_toIvEEjEE10hipError_tPvRmT2_T3_T4_T5_mT6_T7_P12ihipStream_tbENKUlT_T0_E_clISt17integral_constantIbLb0EES10_IbLb1EEEEDaSW_SX_EUlSW_E_NS1_11comp_targetILNS1_3genE3ELNS1_11target_archE908ELNS1_3gpuE7ELNS1_3repE0EEENS1_30default_config_static_selectorELNS0_4arch9wavefront6targetE0EEEvT1_,comdat
.Lfunc_end1530:
	.size	_ZN7rocprim17ROCPRIM_400000_NS6detail17trampoline_kernelINS0_14default_configENS1_27scan_by_key_config_selectorIijEEZZNS1_16scan_by_key_implILNS1_25lookback_scan_determinismE0ELb1ES3_N6thrust23THRUST_200600_302600_NS6detail15normal_iteratorINS9_10device_ptrIiEEEENSB_INSC_IjEEEESG_jNS9_4plusIvEENS9_8equal_toIvEEjEE10hipError_tPvRmT2_T3_T4_T5_mT6_T7_P12ihipStream_tbENKUlT_T0_E_clISt17integral_constantIbLb0EES10_IbLb1EEEEDaSW_SX_EUlSW_E_NS1_11comp_targetILNS1_3genE3ELNS1_11target_archE908ELNS1_3gpuE7ELNS1_3repE0EEENS1_30default_config_static_selectorELNS0_4arch9wavefront6targetE0EEEvT1_, .Lfunc_end1530-_ZN7rocprim17ROCPRIM_400000_NS6detail17trampoline_kernelINS0_14default_configENS1_27scan_by_key_config_selectorIijEEZZNS1_16scan_by_key_implILNS1_25lookback_scan_determinismE0ELb1ES3_N6thrust23THRUST_200600_302600_NS6detail15normal_iteratorINS9_10device_ptrIiEEEENSB_INSC_IjEEEESG_jNS9_4plusIvEENS9_8equal_toIvEEjEE10hipError_tPvRmT2_T3_T4_T5_mT6_T7_P12ihipStream_tbENKUlT_T0_E_clISt17integral_constantIbLb0EES10_IbLb1EEEEDaSW_SX_EUlSW_E_NS1_11comp_targetILNS1_3genE3ELNS1_11target_archE908ELNS1_3gpuE7ELNS1_3repE0EEENS1_30default_config_static_selectorELNS0_4arch9wavefront6targetE0EEEvT1_
                                        ; -- End function
	.set _ZN7rocprim17ROCPRIM_400000_NS6detail17trampoline_kernelINS0_14default_configENS1_27scan_by_key_config_selectorIijEEZZNS1_16scan_by_key_implILNS1_25lookback_scan_determinismE0ELb1ES3_N6thrust23THRUST_200600_302600_NS6detail15normal_iteratorINS9_10device_ptrIiEEEENSB_INSC_IjEEEESG_jNS9_4plusIvEENS9_8equal_toIvEEjEE10hipError_tPvRmT2_T3_T4_T5_mT6_T7_P12ihipStream_tbENKUlT_T0_E_clISt17integral_constantIbLb0EES10_IbLb1EEEEDaSW_SX_EUlSW_E_NS1_11comp_targetILNS1_3genE3ELNS1_11target_archE908ELNS1_3gpuE7ELNS1_3repE0EEENS1_30default_config_static_selectorELNS0_4arch9wavefront6targetE0EEEvT1_.num_vgpr, 0
	.set _ZN7rocprim17ROCPRIM_400000_NS6detail17trampoline_kernelINS0_14default_configENS1_27scan_by_key_config_selectorIijEEZZNS1_16scan_by_key_implILNS1_25lookback_scan_determinismE0ELb1ES3_N6thrust23THRUST_200600_302600_NS6detail15normal_iteratorINS9_10device_ptrIiEEEENSB_INSC_IjEEEESG_jNS9_4plusIvEENS9_8equal_toIvEEjEE10hipError_tPvRmT2_T3_T4_T5_mT6_T7_P12ihipStream_tbENKUlT_T0_E_clISt17integral_constantIbLb0EES10_IbLb1EEEEDaSW_SX_EUlSW_E_NS1_11comp_targetILNS1_3genE3ELNS1_11target_archE908ELNS1_3gpuE7ELNS1_3repE0EEENS1_30default_config_static_selectorELNS0_4arch9wavefront6targetE0EEEvT1_.num_agpr, 0
	.set _ZN7rocprim17ROCPRIM_400000_NS6detail17trampoline_kernelINS0_14default_configENS1_27scan_by_key_config_selectorIijEEZZNS1_16scan_by_key_implILNS1_25lookback_scan_determinismE0ELb1ES3_N6thrust23THRUST_200600_302600_NS6detail15normal_iteratorINS9_10device_ptrIiEEEENSB_INSC_IjEEEESG_jNS9_4plusIvEENS9_8equal_toIvEEjEE10hipError_tPvRmT2_T3_T4_T5_mT6_T7_P12ihipStream_tbENKUlT_T0_E_clISt17integral_constantIbLb0EES10_IbLb1EEEEDaSW_SX_EUlSW_E_NS1_11comp_targetILNS1_3genE3ELNS1_11target_archE908ELNS1_3gpuE7ELNS1_3repE0EEENS1_30default_config_static_selectorELNS0_4arch9wavefront6targetE0EEEvT1_.numbered_sgpr, 0
	.set _ZN7rocprim17ROCPRIM_400000_NS6detail17trampoline_kernelINS0_14default_configENS1_27scan_by_key_config_selectorIijEEZZNS1_16scan_by_key_implILNS1_25lookback_scan_determinismE0ELb1ES3_N6thrust23THRUST_200600_302600_NS6detail15normal_iteratorINS9_10device_ptrIiEEEENSB_INSC_IjEEEESG_jNS9_4plusIvEENS9_8equal_toIvEEjEE10hipError_tPvRmT2_T3_T4_T5_mT6_T7_P12ihipStream_tbENKUlT_T0_E_clISt17integral_constantIbLb0EES10_IbLb1EEEEDaSW_SX_EUlSW_E_NS1_11comp_targetILNS1_3genE3ELNS1_11target_archE908ELNS1_3gpuE7ELNS1_3repE0EEENS1_30default_config_static_selectorELNS0_4arch9wavefront6targetE0EEEvT1_.num_named_barrier, 0
	.set _ZN7rocprim17ROCPRIM_400000_NS6detail17trampoline_kernelINS0_14default_configENS1_27scan_by_key_config_selectorIijEEZZNS1_16scan_by_key_implILNS1_25lookback_scan_determinismE0ELb1ES3_N6thrust23THRUST_200600_302600_NS6detail15normal_iteratorINS9_10device_ptrIiEEEENSB_INSC_IjEEEESG_jNS9_4plusIvEENS9_8equal_toIvEEjEE10hipError_tPvRmT2_T3_T4_T5_mT6_T7_P12ihipStream_tbENKUlT_T0_E_clISt17integral_constantIbLb0EES10_IbLb1EEEEDaSW_SX_EUlSW_E_NS1_11comp_targetILNS1_3genE3ELNS1_11target_archE908ELNS1_3gpuE7ELNS1_3repE0EEENS1_30default_config_static_selectorELNS0_4arch9wavefront6targetE0EEEvT1_.private_seg_size, 0
	.set _ZN7rocprim17ROCPRIM_400000_NS6detail17trampoline_kernelINS0_14default_configENS1_27scan_by_key_config_selectorIijEEZZNS1_16scan_by_key_implILNS1_25lookback_scan_determinismE0ELb1ES3_N6thrust23THRUST_200600_302600_NS6detail15normal_iteratorINS9_10device_ptrIiEEEENSB_INSC_IjEEEESG_jNS9_4plusIvEENS9_8equal_toIvEEjEE10hipError_tPvRmT2_T3_T4_T5_mT6_T7_P12ihipStream_tbENKUlT_T0_E_clISt17integral_constantIbLb0EES10_IbLb1EEEEDaSW_SX_EUlSW_E_NS1_11comp_targetILNS1_3genE3ELNS1_11target_archE908ELNS1_3gpuE7ELNS1_3repE0EEENS1_30default_config_static_selectorELNS0_4arch9wavefront6targetE0EEEvT1_.uses_vcc, 0
	.set _ZN7rocprim17ROCPRIM_400000_NS6detail17trampoline_kernelINS0_14default_configENS1_27scan_by_key_config_selectorIijEEZZNS1_16scan_by_key_implILNS1_25lookback_scan_determinismE0ELb1ES3_N6thrust23THRUST_200600_302600_NS6detail15normal_iteratorINS9_10device_ptrIiEEEENSB_INSC_IjEEEESG_jNS9_4plusIvEENS9_8equal_toIvEEjEE10hipError_tPvRmT2_T3_T4_T5_mT6_T7_P12ihipStream_tbENKUlT_T0_E_clISt17integral_constantIbLb0EES10_IbLb1EEEEDaSW_SX_EUlSW_E_NS1_11comp_targetILNS1_3genE3ELNS1_11target_archE908ELNS1_3gpuE7ELNS1_3repE0EEENS1_30default_config_static_selectorELNS0_4arch9wavefront6targetE0EEEvT1_.uses_flat_scratch, 0
	.set _ZN7rocprim17ROCPRIM_400000_NS6detail17trampoline_kernelINS0_14default_configENS1_27scan_by_key_config_selectorIijEEZZNS1_16scan_by_key_implILNS1_25lookback_scan_determinismE0ELb1ES3_N6thrust23THRUST_200600_302600_NS6detail15normal_iteratorINS9_10device_ptrIiEEEENSB_INSC_IjEEEESG_jNS9_4plusIvEENS9_8equal_toIvEEjEE10hipError_tPvRmT2_T3_T4_T5_mT6_T7_P12ihipStream_tbENKUlT_T0_E_clISt17integral_constantIbLb0EES10_IbLb1EEEEDaSW_SX_EUlSW_E_NS1_11comp_targetILNS1_3genE3ELNS1_11target_archE908ELNS1_3gpuE7ELNS1_3repE0EEENS1_30default_config_static_selectorELNS0_4arch9wavefront6targetE0EEEvT1_.has_dyn_sized_stack, 0
	.set _ZN7rocprim17ROCPRIM_400000_NS6detail17trampoline_kernelINS0_14default_configENS1_27scan_by_key_config_selectorIijEEZZNS1_16scan_by_key_implILNS1_25lookback_scan_determinismE0ELb1ES3_N6thrust23THRUST_200600_302600_NS6detail15normal_iteratorINS9_10device_ptrIiEEEENSB_INSC_IjEEEESG_jNS9_4plusIvEENS9_8equal_toIvEEjEE10hipError_tPvRmT2_T3_T4_T5_mT6_T7_P12ihipStream_tbENKUlT_T0_E_clISt17integral_constantIbLb0EES10_IbLb1EEEEDaSW_SX_EUlSW_E_NS1_11comp_targetILNS1_3genE3ELNS1_11target_archE908ELNS1_3gpuE7ELNS1_3repE0EEENS1_30default_config_static_selectorELNS0_4arch9wavefront6targetE0EEEvT1_.has_recursion, 0
	.set _ZN7rocprim17ROCPRIM_400000_NS6detail17trampoline_kernelINS0_14default_configENS1_27scan_by_key_config_selectorIijEEZZNS1_16scan_by_key_implILNS1_25lookback_scan_determinismE0ELb1ES3_N6thrust23THRUST_200600_302600_NS6detail15normal_iteratorINS9_10device_ptrIiEEEENSB_INSC_IjEEEESG_jNS9_4plusIvEENS9_8equal_toIvEEjEE10hipError_tPvRmT2_T3_T4_T5_mT6_T7_P12ihipStream_tbENKUlT_T0_E_clISt17integral_constantIbLb0EES10_IbLb1EEEEDaSW_SX_EUlSW_E_NS1_11comp_targetILNS1_3genE3ELNS1_11target_archE908ELNS1_3gpuE7ELNS1_3repE0EEENS1_30default_config_static_selectorELNS0_4arch9wavefront6targetE0EEEvT1_.has_indirect_call, 0
	.section	.AMDGPU.csdata,"",@progbits
; Kernel info:
; codeLenInByte = 0
; TotalNumSgprs: 0
; NumVgprs: 0
; ScratchSize: 0
; MemoryBound: 0
; FloatMode: 240
; IeeeMode: 1
; LDSByteSize: 0 bytes/workgroup (compile time only)
; SGPRBlocks: 0
; VGPRBlocks: 0
; NumSGPRsForWavesPerEU: 1
; NumVGPRsForWavesPerEU: 1
; Occupancy: 16
; WaveLimiterHint : 0
; COMPUTE_PGM_RSRC2:SCRATCH_EN: 0
; COMPUTE_PGM_RSRC2:USER_SGPR: 6
; COMPUTE_PGM_RSRC2:TRAP_HANDLER: 0
; COMPUTE_PGM_RSRC2:TGID_X_EN: 1
; COMPUTE_PGM_RSRC2:TGID_Y_EN: 0
; COMPUTE_PGM_RSRC2:TGID_Z_EN: 0
; COMPUTE_PGM_RSRC2:TIDIG_COMP_CNT: 0
	.section	.text._ZN7rocprim17ROCPRIM_400000_NS6detail17trampoline_kernelINS0_14default_configENS1_27scan_by_key_config_selectorIijEEZZNS1_16scan_by_key_implILNS1_25lookback_scan_determinismE0ELb1ES3_N6thrust23THRUST_200600_302600_NS6detail15normal_iteratorINS9_10device_ptrIiEEEENSB_INSC_IjEEEESG_jNS9_4plusIvEENS9_8equal_toIvEEjEE10hipError_tPvRmT2_T3_T4_T5_mT6_T7_P12ihipStream_tbENKUlT_T0_E_clISt17integral_constantIbLb0EES10_IbLb1EEEEDaSW_SX_EUlSW_E_NS1_11comp_targetILNS1_3genE2ELNS1_11target_archE906ELNS1_3gpuE6ELNS1_3repE0EEENS1_30default_config_static_selectorELNS0_4arch9wavefront6targetE0EEEvT1_,"axG",@progbits,_ZN7rocprim17ROCPRIM_400000_NS6detail17trampoline_kernelINS0_14default_configENS1_27scan_by_key_config_selectorIijEEZZNS1_16scan_by_key_implILNS1_25lookback_scan_determinismE0ELb1ES3_N6thrust23THRUST_200600_302600_NS6detail15normal_iteratorINS9_10device_ptrIiEEEENSB_INSC_IjEEEESG_jNS9_4plusIvEENS9_8equal_toIvEEjEE10hipError_tPvRmT2_T3_T4_T5_mT6_T7_P12ihipStream_tbENKUlT_T0_E_clISt17integral_constantIbLb0EES10_IbLb1EEEEDaSW_SX_EUlSW_E_NS1_11comp_targetILNS1_3genE2ELNS1_11target_archE906ELNS1_3gpuE6ELNS1_3repE0EEENS1_30default_config_static_selectorELNS0_4arch9wavefront6targetE0EEEvT1_,comdat
	.protected	_ZN7rocprim17ROCPRIM_400000_NS6detail17trampoline_kernelINS0_14default_configENS1_27scan_by_key_config_selectorIijEEZZNS1_16scan_by_key_implILNS1_25lookback_scan_determinismE0ELb1ES3_N6thrust23THRUST_200600_302600_NS6detail15normal_iteratorINS9_10device_ptrIiEEEENSB_INSC_IjEEEESG_jNS9_4plusIvEENS9_8equal_toIvEEjEE10hipError_tPvRmT2_T3_T4_T5_mT6_T7_P12ihipStream_tbENKUlT_T0_E_clISt17integral_constantIbLb0EES10_IbLb1EEEEDaSW_SX_EUlSW_E_NS1_11comp_targetILNS1_3genE2ELNS1_11target_archE906ELNS1_3gpuE6ELNS1_3repE0EEENS1_30default_config_static_selectorELNS0_4arch9wavefront6targetE0EEEvT1_ ; -- Begin function _ZN7rocprim17ROCPRIM_400000_NS6detail17trampoline_kernelINS0_14default_configENS1_27scan_by_key_config_selectorIijEEZZNS1_16scan_by_key_implILNS1_25lookback_scan_determinismE0ELb1ES3_N6thrust23THRUST_200600_302600_NS6detail15normal_iteratorINS9_10device_ptrIiEEEENSB_INSC_IjEEEESG_jNS9_4plusIvEENS9_8equal_toIvEEjEE10hipError_tPvRmT2_T3_T4_T5_mT6_T7_P12ihipStream_tbENKUlT_T0_E_clISt17integral_constantIbLb0EES10_IbLb1EEEEDaSW_SX_EUlSW_E_NS1_11comp_targetILNS1_3genE2ELNS1_11target_archE906ELNS1_3gpuE6ELNS1_3repE0EEENS1_30default_config_static_selectorELNS0_4arch9wavefront6targetE0EEEvT1_
	.globl	_ZN7rocprim17ROCPRIM_400000_NS6detail17trampoline_kernelINS0_14default_configENS1_27scan_by_key_config_selectorIijEEZZNS1_16scan_by_key_implILNS1_25lookback_scan_determinismE0ELb1ES3_N6thrust23THRUST_200600_302600_NS6detail15normal_iteratorINS9_10device_ptrIiEEEENSB_INSC_IjEEEESG_jNS9_4plusIvEENS9_8equal_toIvEEjEE10hipError_tPvRmT2_T3_T4_T5_mT6_T7_P12ihipStream_tbENKUlT_T0_E_clISt17integral_constantIbLb0EES10_IbLb1EEEEDaSW_SX_EUlSW_E_NS1_11comp_targetILNS1_3genE2ELNS1_11target_archE906ELNS1_3gpuE6ELNS1_3repE0EEENS1_30default_config_static_selectorELNS0_4arch9wavefront6targetE0EEEvT1_
	.p2align	8
	.type	_ZN7rocprim17ROCPRIM_400000_NS6detail17trampoline_kernelINS0_14default_configENS1_27scan_by_key_config_selectorIijEEZZNS1_16scan_by_key_implILNS1_25lookback_scan_determinismE0ELb1ES3_N6thrust23THRUST_200600_302600_NS6detail15normal_iteratorINS9_10device_ptrIiEEEENSB_INSC_IjEEEESG_jNS9_4plusIvEENS9_8equal_toIvEEjEE10hipError_tPvRmT2_T3_T4_T5_mT6_T7_P12ihipStream_tbENKUlT_T0_E_clISt17integral_constantIbLb0EES10_IbLb1EEEEDaSW_SX_EUlSW_E_NS1_11comp_targetILNS1_3genE2ELNS1_11target_archE906ELNS1_3gpuE6ELNS1_3repE0EEENS1_30default_config_static_selectorELNS0_4arch9wavefront6targetE0EEEvT1_,@function
_ZN7rocprim17ROCPRIM_400000_NS6detail17trampoline_kernelINS0_14default_configENS1_27scan_by_key_config_selectorIijEEZZNS1_16scan_by_key_implILNS1_25lookback_scan_determinismE0ELb1ES3_N6thrust23THRUST_200600_302600_NS6detail15normal_iteratorINS9_10device_ptrIiEEEENSB_INSC_IjEEEESG_jNS9_4plusIvEENS9_8equal_toIvEEjEE10hipError_tPvRmT2_T3_T4_T5_mT6_T7_P12ihipStream_tbENKUlT_T0_E_clISt17integral_constantIbLb0EES10_IbLb1EEEEDaSW_SX_EUlSW_E_NS1_11comp_targetILNS1_3genE2ELNS1_11target_archE906ELNS1_3gpuE6ELNS1_3repE0EEENS1_30default_config_static_selectorELNS0_4arch9wavefront6targetE0EEEvT1_: ; @_ZN7rocprim17ROCPRIM_400000_NS6detail17trampoline_kernelINS0_14default_configENS1_27scan_by_key_config_selectorIijEEZZNS1_16scan_by_key_implILNS1_25lookback_scan_determinismE0ELb1ES3_N6thrust23THRUST_200600_302600_NS6detail15normal_iteratorINS9_10device_ptrIiEEEENSB_INSC_IjEEEESG_jNS9_4plusIvEENS9_8equal_toIvEEjEE10hipError_tPvRmT2_T3_T4_T5_mT6_T7_P12ihipStream_tbENKUlT_T0_E_clISt17integral_constantIbLb0EES10_IbLb1EEEEDaSW_SX_EUlSW_E_NS1_11comp_targetILNS1_3genE2ELNS1_11target_archE906ELNS1_3gpuE6ELNS1_3repE0EEENS1_30default_config_static_selectorELNS0_4arch9wavefront6targetE0EEEvT1_
; %bb.0:
	.section	.rodata,"a",@progbits
	.p2align	6, 0x0
	.amdhsa_kernel _ZN7rocprim17ROCPRIM_400000_NS6detail17trampoline_kernelINS0_14default_configENS1_27scan_by_key_config_selectorIijEEZZNS1_16scan_by_key_implILNS1_25lookback_scan_determinismE0ELb1ES3_N6thrust23THRUST_200600_302600_NS6detail15normal_iteratorINS9_10device_ptrIiEEEENSB_INSC_IjEEEESG_jNS9_4plusIvEENS9_8equal_toIvEEjEE10hipError_tPvRmT2_T3_T4_T5_mT6_T7_P12ihipStream_tbENKUlT_T0_E_clISt17integral_constantIbLb0EES10_IbLb1EEEEDaSW_SX_EUlSW_E_NS1_11comp_targetILNS1_3genE2ELNS1_11target_archE906ELNS1_3gpuE6ELNS1_3repE0EEENS1_30default_config_static_selectorELNS0_4arch9wavefront6targetE0EEEvT1_
		.amdhsa_group_segment_fixed_size 0
		.amdhsa_private_segment_fixed_size 0
		.amdhsa_kernarg_size 112
		.amdhsa_user_sgpr_count 6
		.amdhsa_user_sgpr_private_segment_buffer 1
		.amdhsa_user_sgpr_dispatch_ptr 0
		.amdhsa_user_sgpr_queue_ptr 0
		.amdhsa_user_sgpr_kernarg_segment_ptr 1
		.amdhsa_user_sgpr_dispatch_id 0
		.amdhsa_user_sgpr_flat_scratch_init 0
		.amdhsa_user_sgpr_private_segment_size 0
		.amdhsa_wavefront_size32 1
		.amdhsa_uses_dynamic_stack 0
		.amdhsa_system_sgpr_private_segment_wavefront_offset 0
		.amdhsa_system_sgpr_workgroup_id_x 1
		.amdhsa_system_sgpr_workgroup_id_y 0
		.amdhsa_system_sgpr_workgroup_id_z 0
		.amdhsa_system_sgpr_workgroup_info 0
		.amdhsa_system_vgpr_workitem_id 0
		.amdhsa_next_free_vgpr 1
		.amdhsa_next_free_sgpr 1
		.amdhsa_reserve_vcc 0
		.amdhsa_reserve_flat_scratch 0
		.amdhsa_float_round_mode_32 0
		.amdhsa_float_round_mode_16_64 0
		.amdhsa_float_denorm_mode_32 3
		.amdhsa_float_denorm_mode_16_64 3
		.amdhsa_dx10_clamp 1
		.amdhsa_ieee_mode 1
		.amdhsa_fp16_overflow 0
		.amdhsa_workgroup_processor_mode 1
		.amdhsa_memory_ordered 1
		.amdhsa_forward_progress 1
		.amdhsa_shared_vgpr_count 0
		.amdhsa_exception_fp_ieee_invalid_op 0
		.amdhsa_exception_fp_denorm_src 0
		.amdhsa_exception_fp_ieee_div_zero 0
		.amdhsa_exception_fp_ieee_overflow 0
		.amdhsa_exception_fp_ieee_underflow 0
		.amdhsa_exception_fp_ieee_inexact 0
		.amdhsa_exception_int_div_zero 0
	.end_amdhsa_kernel
	.section	.text._ZN7rocprim17ROCPRIM_400000_NS6detail17trampoline_kernelINS0_14default_configENS1_27scan_by_key_config_selectorIijEEZZNS1_16scan_by_key_implILNS1_25lookback_scan_determinismE0ELb1ES3_N6thrust23THRUST_200600_302600_NS6detail15normal_iteratorINS9_10device_ptrIiEEEENSB_INSC_IjEEEESG_jNS9_4plusIvEENS9_8equal_toIvEEjEE10hipError_tPvRmT2_T3_T4_T5_mT6_T7_P12ihipStream_tbENKUlT_T0_E_clISt17integral_constantIbLb0EES10_IbLb1EEEEDaSW_SX_EUlSW_E_NS1_11comp_targetILNS1_3genE2ELNS1_11target_archE906ELNS1_3gpuE6ELNS1_3repE0EEENS1_30default_config_static_selectorELNS0_4arch9wavefront6targetE0EEEvT1_,"axG",@progbits,_ZN7rocprim17ROCPRIM_400000_NS6detail17trampoline_kernelINS0_14default_configENS1_27scan_by_key_config_selectorIijEEZZNS1_16scan_by_key_implILNS1_25lookback_scan_determinismE0ELb1ES3_N6thrust23THRUST_200600_302600_NS6detail15normal_iteratorINS9_10device_ptrIiEEEENSB_INSC_IjEEEESG_jNS9_4plusIvEENS9_8equal_toIvEEjEE10hipError_tPvRmT2_T3_T4_T5_mT6_T7_P12ihipStream_tbENKUlT_T0_E_clISt17integral_constantIbLb0EES10_IbLb1EEEEDaSW_SX_EUlSW_E_NS1_11comp_targetILNS1_3genE2ELNS1_11target_archE906ELNS1_3gpuE6ELNS1_3repE0EEENS1_30default_config_static_selectorELNS0_4arch9wavefront6targetE0EEEvT1_,comdat
.Lfunc_end1531:
	.size	_ZN7rocprim17ROCPRIM_400000_NS6detail17trampoline_kernelINS0_14default_configENS1_27scan_by_key_config_selectorIijEEZZNS1_16scan_by_key_implILNS1_25lookback_scan_determinismE0ELb1ES3_N6thrust23THRUST_200600_302600_NS6detail15normal_iteratorINS9_10device_ptrIiEEEENSB_INSC_IjEEEESG_jNS9_4plusIvEENS9_8equal_toIvEEjEE10hipError_tPvRmT2_T3_T4_T5_mT6_T7_P12ihipStream_tbENKUlT_T0_E_clISt17integral_constantIbLb0EES10_IbLb1EEEEDaSW_SX_EUlSW_E_NS1_11comp_targetILNS1_3genE2ELNS1_11target_archE906ELNS1_3gpuE6ELNS1_3repE0EEENS1_30default_config_static_selectorELNS0_4arch9wavefront6targetE0EEEvT1_, .Lfunc_end1531-_ZN7rocprim17ROCPRIM_400000_NS6detail17trampoline_kernelINS0_14default_configENS1_27scan_by_key_config_selectorIijEEZZNS1_16scan_by_key_implILNS1_25lookback_scan_determinismE0ELb1ES3_N6thrust23THRUST_200600_302600_NS6detail15normal_iteratorINS9_10device_ptrIiEEEENSB_INSC_IjEEEESG_jNS9_4plusIvEENS9_8equal_toIvEEjEE10hipError_tPvRmT2_T3_T4_T5_mT6_T7_P12ihipStream_tbENKUlT_T0_E_clISt17integral_constantIbLb0EES10_IbLb1EEEEDaSW_SX_EUlSW_E_NS1_11comp_targetILNS1_3genE2ELNS1_11target_archE906ELNS1_3gpuE6ELNS1_3repE0EEENS1_30default_config_static_selectorELNS0_4arch9wavefront6targetE0EEEvT1_
                                        ; -- End function
	.set _ZN7rocprim17ROCPRIM_400000_NS6detail17trampoline_kernelINS0_14default_configENS1_27scan_by_key_config_selectorIijEEZZNS1_16scan_by_key_implILNS1_25lookback_scan_determinismE0ELb1ES3_N6thrust23THRUST_200600_302600_NS6detail15normal_iteratorINS9_10device_ptrIiEEEENSB_INSC_IjEEEESG_jNS9_4plusIvEENS9_8equal_toIvEEjEE10hipError_tPvRmT2_T3_T4_T5_mT6_T7_P12ihipStream_tbENKUlT_T0_E_clISt17integral_constantIbLb0EES10_IbLb1EEEEDaSW_SX_EUlSW_E_NS1_11comp_targetILNS1_3genE2ELNS1_11target_archE906ELNS1_3gpuE6ELNS1_3repE0EEENS1_30default_config_static_selectorELNS0_4arch9wavefront6targetE0EEEvT1_.num_vgpr, 0
	.set _ZN7rocprim17ROCPRIM_400000_NS6detail17trampoline_kernelINS0_14default_configENS1_27scan_by_key_config_selectorIijEEZZNS1_16scan_by_key_implILNS1_25lookback_scan_determinismE0ELb1ES3_N6thrust23THRUST_200600_302600_NS6detail15normal_iteratorINS9_10device_ptrIiEEEENSB_INSC_IjEEEESG_jNS9_4plusIvEENS9_8equal_toIvEEjEE10hipError_tPvRmT2_T3_T4_T5_mT6_T7_P12ihipStream_tbENKUlT_T0_E_clISt17integral_constantIbLb0EES10_IbLb1EEEEDaSW_SX_EUlSW_E_NS1_11comp_targetILNS1_3genE2ELNS1_11target_archE906ELNS1_3gpuE6ELNS1_3repE0EEENS1_30default_config_static_selectorELNS0_4arch9wavefront6targetE0EEEvT1_.num_agpr, 0
	.set _ZN7rocprim17ROCPRIM_400000_NS6detail17trampoline_kernelINS0_14default_configENS1_27scan_by_key_config_selectorIijEEZZNS1_16scan_by_key_implILNS1_25lookback_scan_determinismE0ELb1ES3_N6thrust23THRUST_200600_302600_NS6detail15normal_iteratorINS9_10device_ptrIiEEEENSB_INSC_IjEEEESG_jNS9_4plusIvEENS9_8equal_toIvEEjEE10hipError_tPvRmT2_T3_T4_T5_mT6_T7_P12ihipStream_tbENKUlT_T0_E_clISt17integral_constantIbLb0EES10_IbLb1EEEEDaSW_SX_EUlSW_E_NS1_11comp_targetILNS1_3genE2ELNS1_11target_archE906ELNS1_3gpuE6ELNS1_3repE0EEENS1_30default_config_static_selectorELNS0_4arch9wavefront6targetE0EEEvT1_.numbered_sgpr, 0
	.set _ZN7rocprim17ROCPRIM_400000_NS6detail17trampoline_kernelINS0_14default_configENS1_27scan_by_key_config_selectorIijEEZZNS1_16scan_by_key_implILNS1_25lookback_scan_determinismE0ELb1ES3_N6thrust23THRUST_200600_302600_NS6detail15normal_iteratorINS9_10device_ptrIiEEEENSB_INSC_IjEEEESG_jNS9_4plusIvEENS9_8equal_toIvEEjEE10hipError_tPvRmT2_T3_T4_T5_mT6_T7_P12ihipStream_tbENKUlT_T0_E_clISt17integral_constantIbLb0EES10_IbLb1EEEEDaSW_SX_EUlSW_E_NS1_11comp_targetILNS1_3genE2ELNS1_11target_archE906ELNS1_3gpuE6ELNS1_3repE0EEENS1_30default_config_static_selectorELNS0_4arch9wavefront6targetE0EEEvT1_.num_named_barrier, 0
	.set _ZN7rocprim17ROCPRIM_400000_NS6detail17trampoline_kernelINS0_14default_configENS1_27scan_by_key_config_selectorIijEEZZNS1_16scan_by_key_implILNS1_25lookback_scan_determinismE0ELb1ES3_N6thrust23THRUST_200600_302600_NS6detail15normal_iteratorINS9_10device_ptrIiEEEENSB_INSC_IjEEEESG_jNS9_4plusIvEENS9_8equal_toIvEEjEE10hipError_tPvRmT2_T3_T4_T5_mT6_T7_P12ihipStream_tbENKUlT_T0_E_clISt17integral_constantIbLb0EES10_IbLb1EEEEDaSW_SX_EUlSW_E_NS1_11comp_targetILNS1_3genE2ELNS1_11target_archE906ELNS1_3gpuE6ELNS1_3repE0EEENS1_30default_config_static_selectorELNS0_4arch9wavefront6targetE0EEEvT1_.private_seg_size, 0
	.set _ZN7rocprim17ROCPRIM_400000_NS6detail17trampoline_kernelINS0_14default_configENS1_27scan_by_key_config_selectorIijEEZZNS1_16scan_by_key_implILNS1_25lookback_scan_determinismE0ELb1ES3_N6thrust23THRUST_200600_302600_NS6detail15normal_iteratorINS9_10device_ptrIiEEEENSB_INSC_IjEEEESG_jNS9_4plusIvEENS9_8equal_toIvEEjEE10hipError_tPvRmT2_T3_T4_T5_mT6_T7_P12ihipStream_tbENKUlT_T0_E_clISt17integral_constantIbLb0EES10_IbLb1EEEEDaSW_SX_EUlSW_E_NS1_11comp_targetILNS1_3genE2ELNS1_11target_archE906ELNS1_3gpuE6ELNS1_3repE0EEENS1_30default_config_static_selectorELNS0_4arch9wavefront6targetE0EEEvT1_.uses_vcc, 0
	.set _ZN7rocprim17ROCPRIM_400000_NS6detail17trampoline_kernelINS0_14default_configENS1_27scan_by_key_config_selectorIijEEZZNS1_16scan_by_key_implILNS1_25lookback_scan_determinismE0ELb1ES3_N6thrust23THRUST_200600_302600_NS6detail15normal_iteratorINS9_10device_ptrIiEEEENSB_INSC_IjEEEESG_jNS9_4plusIvEENS9_8equal_toIvEEjEE10hipError_tPvRmT2_T3_T4_T5_mT6_T7_P12ihipStream_tbENKUlT_T0_E_clISt17integral_constantIbLb0EES10_IbLb1EEEEDaSW_SX_EUlSW_E_NS1_11comp_targetILNS1_3genE2ELNS1_11target_archE906ELNS1_3gpuE6ELNS1_3repE0EEENS1_30default_config_static_selectorELNS0_4arch9wavefront6targetE0EEEvT1_.uses_flat_scratch, 0
	.set _ZN7rocprim17ROCPRIM_400000_NS6detail17trampoline_kernelINS0_14default_configENS1_27scan_by_key_config_selectorIijEEZZNS1_16scan_by_key_implILNS1_25lookback_scan_determinismE0ELb1ES3_N6thrust23THRUST_200600_302600_NS6detail15normal_iteratorINS9_10device_ptrIiEEEENSB_INSC_IjEEEESG_jNS9_4plusIvEENS9_8equal_toIvEEjEE10hipError_tPvRmT2_T3_T4_T5_mT6_T7_P12ihipStream_tbENKUlT_T0_E_clISt17integral_constantIbLb0EES10_IbLb1EEEEDaSW_SX_EUlSW_E_NS1_11comp_targetILNS1_3genE2ELNS1_11target_archE906ELNS1_3gpuE6ELNS1_3repE0EEENS1_30default_config_static_selectorELNS0_4arch9wavefront6targetE0EEEvT1_.has_dyn_sized_stack, 0
	.set _ZN7rocprim17ROCPRIM_400000_NS6detail17trampoline_kernelINS0_14default_configENS1_27scan_by_key_config_selectorIijEEZZNS1_16scan_by_key_implILNS1_25lookback_scan_determinismE0ELb1ES3_N6thrust23THRUST_200600_302600_NS6detail15normal_iteratorINS9_10device_ptrIiEEEENSB_INSC_IjEEEESG_jNS9_4plusIvEENS9_8equal_toIvEEjEE10hipError_tPvRmT2_T3_T4_T5_mT6_T7_P12ihipStream_tbENKUlT_T0_E_clISt17integral_constantIbLb0EES10_IbLb1EEEEDaSW_SX_EUlSW_E_NS1_11comp_targetILNS1_3genE2ELNS1_11target_archE906ELNS1_3gpuE6ELNS1_3repE0EEENS1_30default_config_static_selectorELNS0_4arch9wavefront6targetE0EEEvT1_.has_recursion, 0
	.set _ZN7rocprim17ROCPRIM_400000_NS6detail17trampoline_kernelINS0_14default_configENS1_27scan_by_key_config_selectorIijEEZZNS1_16scan_by_key_implILNS1_25lookback_scan_determinismE0ELb1ES3_N6thrust23THRUST_200600_302600_NS6detail15normal_iteratorINS9_10device_ptrIiEEEENSB_INSC_IjEEEESG_jNS9_4plusIvEENS9_8equal_toIvEEjEE10hipError_tPvRmT2_T3_T4_T5_mT6_T7_P12ihipStream_tbENKUlT_T0_E_clISt17integral_constantIbLb0EES10_IbLb1EEEEDaSW_SX_EUlSW_E_NS1_11comp_targetILNS1_3genE2ELNS1_11target_archE906ELNS1_3gpuE6ELNS1_3repE0EEENS1_30default_config_static_selectorELNS0_4arch9wavefront6targetE0EEEvT1_.has_indirect_call, 0
	.section	.AMDGPU.csdata,"",@progbits
; Kernel info:
; codeLenInByte = 0
; TotalNumSgprs: 0
; NumVgprs: 0
; ScratchSize: 0
; MemoryBound: 0
; FloatMode: 240
; IeeeMode: 1
; LDSByteSize: 0 bytes/workgroup (compile time only)
; SGPRBlocks: 0
; VGPRBlocks: 0
; NumSGPRsForWavesPerEU: 1
; NumVGPRsForWavesPerEU: 1
; Occupancy: 16
; WaveLimiterHint : 0
; COMPUTE_PGM_RSRC2:SCRATCH_EN: 0
; COMPUTE_PGM_RSRC2:USER_SGPR: 6
; COMPUTE_PGM_RSRC2:TRAP_HANDLER: 0
; COMPUTE_PGM_RSRC2:TGID_X_EN: 1
; COMPUTE_PGM_RSRC2:TGID_Y_EN: 0
; COMPUTE_PGM_RSRC2:TGID_Z_EN: 0
; COMPUTE_PGM_RSRC2:TIDIG_COMP_CNT: 0
	.section	.text._ZN7rocprim17ROCPRIM_400000_NS6detail17trampoline_kernelINS0_14default_configENS1_27scan_by_key_config_selectorIijEEZZNS1_16scan_by_key_implILNS1_25lookback_scan_determinismE0ELb1ES3_N6thrust23THRUST_200600_302600_NS6detail15normal_iteratorINS9_10device_ptrIiEEEENSB_INSC_IjEEEESG_jNS9_4plusIvEENS9_8equal_toIvEEjEE10hipError_tPvRmT2_T3_T4_T5_mT6_T7_P12ihipStream_tbENKUlT_T0_E_clISt17integral_constantIbLb0EES10_IbLb1EEEEDaSW_SX_EUlSW_E_NS1_11comp_targetILNS1_3genE10ELNS1_11target_archE1200ELNS1_3gpuE4ELNS1_3repE0EEENS1_30default_config_static_selectorELNS0_4arch9wavefront6targetE0EEEvT1_,"axG",@progbits,_ZN7rocprim17ROCPRIM_400000_NS6detail17trampoline_kernelINS0_14default_configENS1_27scan_by_key_config_selectorIijEEZZNS1_16scan_by_key_implILNS1_25lookback_scan_determinismE0ELb1ES3_N6thrust23THRUST_200600_302600_NS6detail15normal_iteratorINS9_10device_ptrIiEEEENSB_INSC_IjEEEESG_jNS9_4plusIvEENS9_8equal_toIvEEjEE10hipError_tPvRmT2_T3_T4_T5_mT6_T7_P12ihipStream_tbENKUlT_T0_E_clISt17integral_constantIbLb0EES10_IbLb1EEEEDaSW_SX_EUlSW_E_NS1_11comp_targetILNS1_3genE10ELNS1_11target_archE1200ELNS1_3gpuE4ELNS1_3repE0EEENS1_30default_config_static_selectorELNS0_4arch9wavefront6targetE0EEEvT1_,comdat
	.protected	_ZN7rocprim17ROCPRIM_400000_NS6detail17trampoline_kernelINS0_14default_configENS1_27scan_by_key_config_selectorIijEEZZNS1_16scan_by_key_implILNS1_25lookback_scan_determinismE0ELb1ES3_N6thrust23THRUST_200600_302600_NS6detail15normal_iteratorINS9_10device_ptrIiEEEENSB_INSC_IjEEEESG_jNS9_4plusIvEENS9_8equal_toIvEEjEE10hipError_tPvRmT2_T3_T4_T5_mT6_T7_P12ihipStream_tbENKUlT_T0_E_clISt17integral_constantIbLb0EES10_IbLb1EEEEDaSW_SX_EUlSW_E_NS1_11comp_targetILNS1_3genE10ELNS1_11target_archE1200ELNS1_3gpuE4ELNS1_3repE0EEENS1_30default_config_static_selectorELNS0_4arch9wavefront6targetE0EEEvT1_ ; -- Begin function _ZN7rocprim17ROCPRIM_400000_NS6detail17trampoline_kernelINS0_14default_configENS1_27scan_by_key_config_selectorIijEEZZNS1_16scan_by_key_implILNS1_25lookback_scan_determinismE0ELb1ES3_N6thrust23THRUST_200600_302600_NS6detail15normal_iteratorINS9_10device_ptrIiEEEENSB_INSC_IjEEEESG_jNS9_4plusIvEENS9_8equal_toIvEEjEE10hipError_tPvRmT2_T3_T4_T5_mT6_T7_P12ihipStream_tbENKUlT_T0_E_clISt17integral_constantIbLb0EES10_IbLb1EEEEDaSW_SX_EUlSW_E_NS1_11comp_targetILNS1_3genE10ELNS1_11target_archE1200ELNS1_3gpuE4ELNS1_3repE0EEENS1_30default_config_static_selectorELNS0_4arch9wavefront6targetE0EEEvT1_
	.globl	_ZN7rocprim17ROCPRIM_400000_NS6detail17trampoline_kernelINS0_14default_configENS1_27scan_by_key_config_selectorIijEEZZNS1_16scan_by_key_implILNS1_25lookback_scan_determinismE0ELb1ES3_N6thrust23THRUST_200600_302600_NS6detail15normal_iteratorINS9_10device_ptrIiEEEENSB_INSC_IjEEEESG_jNS9_4plusIvEENS9_8equal_toIvEEjEE10hipError_tPvRmT2_T3_T4_T5_mT6_T7_P12ihipStream_tbENKUlT_T0_E_clISt17integral_constantIbLb0EES10_IbLb1EEEEDaSW_SX_EUlSW_E_NS1_11comp_targetILNS1_3genE10ELNS1_11target_archE1200ELNS1_3gpuE4ELNS1_3repE0EEENS1_30default_config_static_selectorELNS0_4arch9wavefront6targetE0EEEvT1_
	.p2align	8
	.type	_ZN7rocprim17ROCPRIM_400000_NS6detail17trampoline_kernelINS0_14default_configENS1_27scan_by_key_config_selectorIijEEZZNS1_16scan_by_key_implILNS1_25lookback_scan_determinismE0ELb1ES3_N6thrust23THRUST_200600_302600_NS6detail15normal_iteratorINS9_10device_ptrIiEEEENSB_INSC_IjEEEESG_jNS9_4plusIvEENS9_8equal_toIvEEjEE10hipError_tPvRmT2_T3_T4_T5_mT6_T7_P12ihipStream_tbENKUlT_T0_E_clISt17integral_constantIbLb0EES10_IbLb1EEEEDaSW_SX_EUlSW_E_NS1_11comp_targetILNS1_3genE10ELNS1_11target_archE1200ELNS1_3gpuE4ELNS1_3repE0EEENS1_30default_config_static_selectorELNS0_4arch9wavefront6targetE0EEEvT1_,@function
_ZN7rocprim17ROCPRIM_400000_NS6detail17trampoline_kernelINS0_14default_configENS1_27scan_by_key_config_selectorIijEEZZNS1_16scan_by_key_implILNS1_25lookback_scan_determinismE0ELb1ES3_N6thrust23THRUST_200600_302600_NS6detail15normal_iteratorINS9_10device_ptrIiEEEENSB_INSC_IjEEEESG_jNS9_4plusIvEENS9_8equal_toIvEEjEE10hipError_tPvRmT2_T3_T4_T5_mT6_T7_P12ihipStream_tbENKUlT_T0_E_clISt17integral_constantIbLb0EES10_IbLb1EEEEDaSW_SX_EUlSW_E_NS1_11comp_targetILNS1_3genE10ELNS1_11target_archE1200ELNS1_3gpuE4ELNS1_3repE0EEENS1_30default_config_static_selectorELNS0_4arch9wavefront6targetE0EEEvT1_: ; @_ZN7rocprim17ROCPRIM_400000_NS6detail17trampoline_kernelINS0_14default_configENS1_27scan_by_key_config_selectorIijEEZZNS1_16scan_by_key_implILNS1_25lookback_scan_determinismE0ELb1ES3_N6thrust23THRUST_200600_302600_NS6detail15normal_iteratorINS9_10device_ptrIiEEEENSB_INSC_IjEEEESG_jNS9_4plusIvEENS9_8equal_toIvEEjEE10hipError_tPvRmT2_T3_T4_T5_mT6_T7_P12ihipStream_tbENKUlT_T0_E_clISt17integral_constantIbLb0EES10_IbLb1EEEEDaSW_SX_EUlSW_E_NS1_11comp_targetILNS1_3genE10ELNS1_11target_archE1200ELNS1_3gpuE4ELNS1_3repE0EEENS1_30default_config_static_selectorELNS0_4arch9wavefront6targetE0EEEvT1_
; %bb.0:
	.section	.rodata,"a",@progbits
	.p2align	6, 0x0
	.amdhsa_kernel _ZN7rocprim17ROCPRIM_400000_NS6detail17trampoline_kernelINS0_14default_configENS1_27scan_by_key_config_selectorIijEEZZNS1_16scan_by_key_implILNS1_25lookback_scan_determinismE0ELb1ES3_N6thrust23THRUST_200600_302600_NS6detail15normal_iteratorINS9_10device_ptrIiEEEENSB_INSC_IjEEEESG_jNS9_4plusIvEENS9_8equal_toIvEEjEE10hipError_tPvRmT2_T3_T4_T5_mT6_T7_P12ihipStream_tbENKUlT_T0_E_clISt17integral_constantIbLb0EES10_IbLb1EEEEDaSW_SX_EUlSW_E_NS1_11comp_targetILNS1_3genE10ELNS1_11target_archE1200ELNS1_3gpuE4ELNS1_3repE0EEENS1_30default_config_static_selectorELNS0_4arch9wavefront6targetE0EEEvT1_
		.amdhsa_group_segment_fixed_size 0
		.amdhsa_private_segment_fixed_size 0
		.amdhsa_kernarg_size 112
		.amdhsa_user_sgpr_count 6
		.amdhsa_user_sgpr_private_segment_buffer 1
		.amdhsa_user_sgpr_dispatch_ptr 0
		.amdhsa_user_sgpr_queue_ptr 0
		.amdhsa_user_sgpr_kernarg_segment_ptr 1
		.amdhsa_user_sgpr_dispatch_id 0
		.amdhsa_user_sgpr_flat_scratch_init 0
		.amdhsa_user_sgpr_private_segment_size 0
		.amdhsa_wavefront_size32 1
		.amdhsa_uses_dynamic_stack 0
		.amdhsa_system_sgpr_private_segment_wavefront_offset 0
		.amdhsa_system_sgpr_workgroup_id_x 1
		.amdhsa_system_sgpr_workgroup_id_y 0
		.amdhsa_system_sgpr_workgroup_id_z 0
		.amdhsa_system_sgpr_workgroup_info 0
		.amdhsa_system_vgpr_workitem_id 0
		.amdhsa_next_free_vgpr 1
		.amdhsa_next_free_sgpr 1
		.amdhsa_reserve_vcc 0
		.amdhsa_reserve_flat_scratch 0
		.amdhsa_float_round_mode_32 0
		.amdhsa_float_round_mode_16_64 0
		.amdhsa_float_denorm_mode_32 3
		.amdhsa_float_denorm_mode_16_64 3
		.amdhsa_dx10_clamp 1
		.amdhsa_ieee_mode 1
		.amdhsa_fp16_overflow 0
		.amdhsa_workgroup_processor_mode 1
		.amdhsa_memory_ordered 1
		.amdhsa_forward_progress 1
		.amdhsa_shared_vgpr_count 0
		.amdhsa_exception_fp_ieee_invalid_op 0
		.amdhsa_exception_fp_denorm_src 0
		.amdhsa_exception_fp_ieee_div_zero 0
		.amdhsa_exception_fp_ieee_overflow 0
		.amdhsa_exception_fp_ieee_underflow 0
		.amdhsa_exception_fp_ieee_inexact 0
		.amdhsa_exception_int_div_zero 0
	.end_amdhsa_kernel
	.section	.text._ZN7rocprim17ROCPRIM_400000_NS6detail17trampoline_kernelINS0_14default_configENS1_27scan_by_key_config_selectorIijEEZZNS1_16scan_by_key_implILNS1_25lookback_scan_determinismE0ELb1ES3_N6thrust23THRUST_200600_302600_NS6detail15normal_iteratorINS9_10device_ptrIiEEEENSB_INSC_IjEEEESG_jNS9_4plusIvEENS9_8equal_toIvEEjEE10hipError_tPvRmT2_T3_T4_T5_mT6_T7_P12ihipStream_tbENKUlT_T0_E_clISt17integral_constantIbLb0EES10_IbLb1EEEEDaSW_SX_EUlSW_E_NS1_11comp_targetILNS1_3genE10ELNS1_11target_archE1200ELNS1_3gpuE4ELNS1_3repE0EEENS1_30default_config_static_selectorELNS0_4arch9wavefront6targetE0EEEvT1_,"axG",@progbits,_ZN7rocprim17ROCPRIM_400000_NS6detail17trampoline_kernelINS0_14default_configENS1_27scan_by_key_config_selectorIijEEZZNS1_16scan_by_key_implILNS1_25lookback_scan_determinismE0ELb1ES3_N6thrust23THRUST_200600_302600_NS6detail15normal_iteratorINS9_10device_ptrIiEEEENSB_INSC_IjEEEESG_jNS9_4plusIvEENS9_8equal_toIvEEjEE10hipError_tPvRmT2_T3_T4_T5_mT6_T7_P12ihipStream_tbENKUlT_T0_E_clISt17integral_constantIbLb0EES10_IbLb1EEEEDaSW_SX_EUlSW_E_NS1_11comp_targetILNS1_3genE10ELNS1_11target_archE1200ELNS1_3gpuE4ELNS1_3repE0EEENS1_30default_config_static_selectorELNS0_4arch9wavefront6targetE0EEEvT1_,comdat
.Lfunc_end1532:
	.size	_ZN7rocprim17ROCPRIM_400000_NS6detail17trampoline_kernelINS0_14default_configENS1_27scan_by_key_config_selectorIijEEZZNS1_16scan_by_key_implILNS1_25lookback_scan_determinismE0ELb1ES3_N6thrust23THRUST_200600_302600_NS6detail15normal_iteratorINS9_10device_ptrIiEEEENSB_INSC_IjEEEESG_jNS9_4plusIvEENS9_8equal_toIvEEjEE10hipError_tPvRmT2_T3_T4_T5_mT6_T7_P12ihipStream_tbENKUlT_T0_E_clISt17integral_constantIbLb0EES10_IbLb1EEEEDaSW_SX_EUlSW_E_NS1_11comp_targetILNS1_3genE10ELNS1_11target_archE1200ELNS1_3gpuE4ELNS1_3repE0EEENS1_30default_config_static_selectorELNS0_4arch9wavefront6targetE0EEEvT1_, .Lfunc_end1532-_ZN7rocprim17ROCPRIM_400000_NS6detail17trampoline_kernelINS0_14default_configENS1_27scan_by_key_config_selectorIijEEZZNS1_16scan_by_key_implILNS1_25lookback_scan_determinismE0ELb1ES3_N6thrust23THRUST_200600_302600_NS6detail15normal_iteratorINS9_10device_ptrIiEEEENSB_INSC_IjEEEESG_jNS9_4plusIvEENS9_8equal_toIvEEjEE10hipError_tPvRmT2_T3_T4_T5_mT6_T7_P12ihipStream_tbENKUlT_T0_E_clISt17integral_constantIbLb0EES10_IbLb1EEEEDaSW_SX_EUlSW_E_NS1_11comp_targetILNS1_3genE10ELNS1_11target_archE1200ELNS1_3gpuE4ELNS1_3repE0EEENS1_30default_config_static_selectorELNS0_4arch9wavefront6targetE0EEEvT1_
                                        ; -- End function
	.set _ZN7rocprim17ROCPRIM_400000_NS6detail17trampoline_kernelINS0_14default_configENS1_27scan_by_key_config_selectorIijEEZZNS1_16scan_by_key_implILNS1_25lookback_scan_determinismE0ELb1ES3_N6thrust23THRUST_200600_302600_NS6detail15normal_iteratorINS9_10device_ptrIiEEEENSB_INSC_IjEEEESG_jNS9_4plusIvEENS9_8equal_toIvEEjEE10hipError_tPvRmT2_T3_T4_T5_mT6_T7_P12ihipStream_tbENKUlT_T0_E_clISt17integral_constantIbLb0EES10_IbLb1EEEEDaSW_SX_EUlSW_E_NS1_11comp_targetILNS1_3genE10ELNS1_11target_archE1200ELNS1_3gpuE4ELNS1_3repE0EEENS1_30default_config_static_selectorELNS0_4arch9wavefront6targetE0EEEvT1_.num_vgpr, 0
	.set _ZN7rocprim17ROCPRIM_400000_NS6detail17trampoline_kernelINS0_14default_configENS1_27scan_by_key_config_selectorIijEEZZNS1_16scan_by_key_implILNS1_25lookback_scan_determinismE0ELb1ES3_N6thrust23THRUST_200600_302600_NS6detail15normal_iteratorINS9_10device_ptrIiEEEENSB_INSC_IjEEEESG_jNS9_4plusIvEENS9_8equal_toIvEEjEE10hipError_tPvRmT2_T3_T4_T5_mT6_T7_P12ihipStream_tbENKUlT_T0_E_clISt17integral_constantIbLb0EES10_IbLb1EEEEDaSW_SX_EUlSW_E_NS1_11comp_targetILNS1_3genE10ELNS1_11target_archE1200ELNS1_3gpuE4ELNS1_3repE0EEENS1_30default_config_static_selectorELNS0_4arch9wavefront6targetE0EEEvT1_.num_agpr, 0
	.set _ZN7rocprim17ROCPRIM_400000_NS6detail17trampoline_kernelINS0_14default_configENS1_27scan_by_key_config_selectorIijEEZZNS1_16scan_by_key_implILNS1_25lookback_scan_determinismE0ELb1ES3_N6thrust23THRUST_200600_302600_NS6detail15normal_iteratorINS9_10device_ptrIiEEEENSB_INSC_IjEEEESG_jNS9_4plusIvEENS9_8equal_toIvEEjEE10hipError_tPvRmT2_T3_T4_T5_mT6_T7_P12ihipStream_tbENKUlT_T0_E_clISt17integral_constantIbLb0EES10_IbLb1EEEEDaSW_SX_EUlSW_E_NS1_11comp_targetILNS1_3genE10ELNS1_11target_archE1200ELNS1_3gpuE4ELNS1_3repE0EEENS1_30default_config_static_selectorELNS0_4arch9wavefront6targetE0EEEvT1_.numbered_sgpr, 0
	.set _ZN7rocprim17ROCPRIM_400000_NS6detail17trampoline_kernelINS0_14default_configENS1_27scan_by_key_config_selectorIijEEZZNS1_16scan_by_key_implILNS1_25lookback_scan_determinismE0ELb1ES3_N6thrust23THRUST_200600_302600_NS6detail15normal_iteratorINS9_10device_ptrIiEEEENSB_INSC_IjEEEESG_jNS9_4plusIvEENS9_8equal_toIvEEjEE10hipError_tPvRmT2_T3_T4_T5_mT6_T7_P12ihipStream_tbENKUlT_T0_E_clISt17integral_constantIbLb0EES10_IbLb1EEEEDaSW_SX_EUlSW_E_NS1_11comp_targetILNS1_3genE10ELNS1_11target_archE1200ELNS1_3gpuE4ELNS1_3repE0EEENS1_30default_config_static_selectorELNS0_4arch9wavefront6targetE0EEEvT1_.num_named_barrier, 0
	.set _ZN7rocprim17ROCPRIM_400000_NS6detail17trampoline_kernelINS0_14default_configENS1_27scan_by_key_config_selectorIijEEZZNS1_16scan_by_key_implILNS1_25lookback_scan_determinismE0ELb1ES3_N6thrust23THRUST_200600_302600_NS6detail15normal_iteratorINS9_10device_ptrIiEEEENSB_INSC_IjEEEESG_jNS9_4plusIvEENS9_8equal_toIvEEjEE10hipError_tPvRmT2_T3_T4_T5_mT6_T7_P12ihipStream_tbENKUlT_T0_E_clISt17integral_constantIbLb0EES10_IbLb1EEEEDaSW_SX_EUlSW_E_NS1_11comp_targetILNS1_3genE10ELNS1_11target_archE1200ELNS1_3gpuE4ELNS1_3repE0EEENS1_30default_config_static_selectorELNS0_4arch9wavefront6targetE0EEEvT1_.private_seg_size, 0
	.set _ZN7rocprim17ROCPRIM_400000_NS6detail17trampoline_kernelINS0_14default_configENS1_27scan_by_key_config_selectorIijEEZZNS1_16scan_by_key_implILNS1_25lookback_scan_determinismE0ELb1ES3_N6thrust23THRUST_200600_302600_NS6detail15normal_iteratorINS9_10device_ptrIiEEEENSB_INSC_IjEEEESG_jNS9_4plusIvEENS9_8equal_toIvEEjEE10hipError_tPvRmT2_T3_T4_T5_mT6_T7_P12ihipStream_tbENKUlT_T0_E_clISt17integral_constantIbLb0EES10_IbLb1EEEEDaSW_SX_EUlSW_E_NS1_11comp_targetILNS1_3genE10ELNS1_11target_archE1200ELNS1_3gpuE4ELNS1_3repE0EEENS1_30default_config_static_selectorELNS0_4arch9wavefront6targetE0EEEvT1_.uses_vcc, 0
	.set _ZN7rocprim17ROCPRIM_400000_NS6detail17trampoline_kernelINS0_14default_configENS1_27scan_by_key_config_selectorIijEEZZNS1_16scan_by_key_implILNS1_25lookback_scan_determinismE0ELb1ES3_N6thrust23THRUST_200600_302600_NS6detail15normal_iteratorINS9_10device_ptrIiEEEENSB_INSC_IjEEEESG_jNS9_4plusIvEENS9_8equal_toIvEEjEE10hipError_tPvRmT2_T3_T4_T5_mT6_T7_P12ihipStream_tbENKUlT_T0_E_clISt17integral_constantIbLb0EES10_IbLb1EEEEDaSW_SX_EUlSW_E_NS1_11comp_targetILNS1_3genE10ELNS1_11target_archE1200ELNS1_3gpuE4ELNS1_3repE0EEENS1_30default_config_static_selectorELNS0_4arch9wavefront6targetE0EEEvT1_.uses_flat_scratch, 0
	.set _ZN7rocprim17ROCPRIM_400000_NS6detail17trampoline_kernelINS0_14default_configENS1_27scan_by_key_config_selectorIijEEZZNS1_16scan_by_key_implILNS1_25lookback_scan_determinismE0ELb1ES3_N6thrust23THRUST_200600_302600_NS6detail15normal_iteratorINS9_10device_ptrIiEEEENSB_INSC_IjEEEESG_jNS9_4plusIvEENS9_8equal_toIvEEjEE10hipError_tPvRmT2_T3_T4_T5_mT6_T7_P12ihipStream_tbENKUlT_T0_E_clISt17integral_constantIbLb0EES10_IbLb1EEEEDaSW_SX_EUlSW_E_NS1_11comp_targetILNS1_3genE10ELNS1_11target_archE1200ELNS1_3gpuE4ELNS1_3repE0EEENS1_30default_config_static_selectorELNS0_4arch9wavefront6targetE0EEEvT1_.has_dyn_sized_stack, 0
	.set _ZN7rocprim17ROCPRIM_400000_NS6detail17trampoline_kernelINS0_14default_configENS1_27scan_by_key_config_selectorIijEEZZNS1_16scan_by_key_implILNS1_25lookback_scan_determinismE0ELb1ES3_N6thrust23THRUST_200600_302600_NS6detail15normal_iteratorINS9_10device_ptrIiEEEENSB_INSC_IjEEEESG_jNS9_4plusIvEENS9_8equal_toIvEEjEE10hipError_tPvRmT2_T3_T4_T5_mT6_T7_P12ihipStream_tbENKUlT_T0_E_clISt17integral_constantIbLb0EES10_IbLb1EEEEDaSW_SX_EUlSW_E_NS1_11comp_targetILNS1_3genE10ELNS1_11target_archE1200ELNS1_3gpuE4ELNS1_3repE0EEENS1_30default_config_static_selectorELNS0_4arch9wavefront6targetE0EEEvT1_.has_recursion, 0
	.set _ZN7rocprim17ROCPRIM_400000_NS6detail17trampoline_kernelINS0_14default_configENS1_27scan_by_key_config_selectorIijEEZZNS1_16scan_by_key_implILNS1_25lookback_scan_determinismE0ELb1ES3_N6thrust23THRUST_200600_302600_NS6detail15normal_iteratorINS9_10device_ptrIiEEEENSB_INSC_IjEEEESG_jNS9_4plusIvEENS9_8equal_toIvEEjEE10hipError_tPvRmT2_T3_T4_T5_mT6_T7_P12ihipStream_tbENKUlT_T0_E_clISt17integral_constantIbLb0EES10_IbLb1EEEEDaSW_SX_EUlSW_E_NS1_11comp_targetILNS1_3genE10ELNS1_11target_archE1200ELNS1_3gpuE4ELNS1_3repE0EEENS1_30default_config_static_selectorELNS0_4arch9wavefront6targetE0EEEvT1_.has_indirect_call, 0
	.section	.AMDGPU.csdata,"",@progbits
; Kernel info:
; codeLenInByte = 0
; TotalNumSgprs: 0
; NumVgprs: 0
; ScratchSize: 0
; MemoryBound: 0
; FloatMode: 240
; IeeeMode: 1
; LDSByteSize: 0 bytes/workgroup (compile time only)
; SGPRBlocks: 0
; VGPRBlocks: 0
; NumSGPRsForWavesPerEU: 1
; NumVGPRsForWavesPerEU: 1
; Occupancy: 16
; WaveLimiterHint : 0
; COMPUTE_PGM_RSRC2:SCRATCH_EN: 0
; COMPUTE_PGM_RSRC2:USER_SGPR: 6
; COMPUTE_PGM_RSRC2:TRAP_HANDLER: 0
; COMPUTE_PGM_RSRC2:TGID_X_EN: 1
; COMPUTE_PGM_RSRC2:TGID_Y_EN: 0
; COMPUTE_PGM_RSRC2:TGID_Z_EN: 0
; COMPUTE_PGM_RSRC2:TIDIG_COMP_CNT: 0
	.section	.text._ZN7rocprim17ROCPRIM_400000_NS6detail17trampoline_kernelINS0_14default_configENS1_27scan_by_key_config_selectorIijEEZZNS1_16scan_by_key_implILNS1_25lookback_scan_determinismE0ELb1ES3_N6thrust23THRUST_200600_302600_NS6detail15normal_iteratorINS9_10device_ptrIiEEEENSB_INSC_IjEEEESG_jNS9_4plusIvEENS9_8equal_toIvEEjEE10hipError_tPvRmT2_T3_T4_T5_mT6_T7_P12ihipStream_tbENKUlT_T0_E_clISt17integral_constantIbLb0EES10_IbLb1EEEEDaSW_SX_EUlSW_E_NS1_11comp_targetILNS1_3genE9ELNS1_11target_archE1100ELNS1_3gpuE3ELNS1_3repE0EEENS1_30default_config_static_selectorELNS0_4arch9wavefront6targetE0EEEvT1_,"axG",@progbits,_ZN7rocprim17ROCPRIM_400000_NS6detail17trampoline_kernelINS0_14default_configENS1_27scan_by_key_config_selectorIijEEZZNS1_16scan_by_key_implILNS1_25lookback_scan_determinismE0ELb1ES3_N6thrust23THRUST_200600_302600_NS6detail15normal_iteratorINS9_10device_ptrIiEEEENSB_INSC_IjEEEESG_jNS9_4plusIvEENS9_8equal_toIvEEjEE10hipError_tPvRmT2_T3_T4_T5_mT6_T7_P12ihipStream_tbENKUlT_T0_E_clISt17integral_constantIbLb0EES10_IbLb1EEEEDaSW_SX_EUlSW_E_NS1_11comp_targetILNS1_3genE9ELNS1_11target_archE1100ELNS1_3gpuE3ELNS1_3repE0EEENS1_30default_config_static_selectorELNS0_4arch9wavefront6targetE0EEEvT1_,comdat
	.protected	_ZN7rocprim17ROCPRIM_400000_NS6detail17trampoline_kernelINS0_14default_configENS1_27scan_by_key_config_selectorIijEEZZNS1_16scan_by_key_implILNS1_25lookback_scan_determinismE0ELb1ES3_N6thrust23THRUST_200600_302600_NS6detail15normal_iteratorINS9_10device_ptrIiEEEENSB_INSC_IjEEEESG_jNS9_4plusIvEENS9_8equal_toIvEEjEE10hipError_tPvRmT2_T3_T4_T5_mT6_T7_P12ihipStream_tbENKUlT_T0_E_clISt17integral_constantIbLb0EES10_IbLb1EEEEDaSW_SX_EUlSW_E_NS1_11comp_targetILNS1_3genE9ELNS1_11target_archE1100ELNS1_3gpuE3ELNS1_3repE0EEENS1_30default_config_static_selectorELNS0_4arch9wavefront6targetE0EEEvT1_ ; -- Begin function _ZN7rocprim17ROCPRIM_400000_NS6detail17trampoline_kernelINS0_14default_configENS1_27scan_by_key_config_selectorIijEEZZNS1_16scan_by_key_implILNS1_25lookback_scan_determinismE0ELb1ES3_N6thrust23THRUST_200600_302600_NS6detail15normal_iteratorINS9_10device_ptrIiEEEENSB_INSC_IjEEEESG_jNS9_4plusIvEENS9_8equal_toIvEEjEE10hipError_tPvRmT2_T3_T4_T5_mT6_T7_P12ihipStream_tbENKUlT_T0_E_clISt17integral_constantIbLb0EES10_IbLb1EEEEDaSW_SX_EUlSW_E_NS1_11comp_targetILNS1_3genE9ELNS1_11target_archE1100ELNS1_3gpuE3ELNS1_3repE0EEENS1_30default_config_static_selectorELNS0_4arch9wavefront6targetE0EEEvT1_
	.globl	_ZN7rocprim17ROCPRIM_400000_NS6detail17trampoline_kernelINS0_14default_configENS1_27scan_by_key_config_selectorIijEEZZNS1_16scan_by_key_implILNS1_25lookback_scan_determinismE0ELb1ES3_N6thrust23THRUST_200600_302600_NS6detail15normal_iteratorINS9_10device_ptrIiEEEENSB_INSC_IjEEEESG_jNS9_4plusIvEENS9_8equal_toIvEEjEE10hipError_tPvRmT2_T3_T4_T5_mT6_T7_P12ihipStream_tbENKUlT_T0_E_clISt17integral_constantIbLb0EES10_IbLb1EEEEDaSW_SX_EUlSW_E_NS1_11comp_targetILNS1_3genE9ELNS1_11target_archE1100ELNS1_3gpuE3ELNS1_3repE0EEENS1_30default_config_static_selectorELNS0_4arch9wavefront6targetE0EEEvT1_
	.p2align	8
	.type	_ZN7rocprim17ROCPRIM_400000_NS6detail17trampoline_kernelINS0_14default_configENS1_27scan_by_key_config_selectorIijEEZZNS1_16scan_by_key_implILNS1_25lookback_scan_determinismE0ELb1ES3_N6thrust23THRUST_200600_302600_NS6detail15normal_iteratorINS9_10device_ptrIiEEEENSB_INSC_IjEEEESG_jNS9_4plusIvEENS9_8equal_toIvEEjEE10hipError_tPvRmT2_T3_T4_T5_mT6_T7_P12ihipStream_tbENKUlT_T0_E_clISt17integral_constantIbLb0EES10_IbLb1EEEEDaSW_SX_EUlSW_E_NS1_11comp_targetILNS1_3genE9ELNS1_11target_archE1100ELNS1_3gpuE3ELNS1_3repE0EEENS1_30default_config_static_selectorELNS0_4arch9wavefront6targetE0EEEvT1_,@function
_ZN7rocprim17ROCPRIM_400000_NS6detail17trampoline_kernelINS0_14default_configENS1_27scan_by_key_config_selectorIijEEZZNS1_16scan_by_key_implILNS1_25lookback_scan_determinismE0ELb1ES3_N6thrust23THRUST_200600_302600_NS6detail15normal_iteratorINS9_10device_ptrIiEEEENSB_INSC_IjEEEESG_jNS9_4plusIvEENS9_8equal_toIvEEjEE10hipError_tPvRmT2_T3_T4_T5_mT6_T7_P12ihipStream_tbENKUlT_T0_E_clISt17integral_constantIbLb0EES10_IbLb1EEEEDaSW_SX_EUlSW_E_NS1_11comp_targetILNS1_3genE9ELNS1_11target_archE1100ELNS1_3gpuE3ELNS1_3repE0EEENS1_30default_config_static_selectorELNS0_4arch9wavefront6targetE0EEEvT1_: ; @_ZN7rocprim17ROCPRIM_400000_NS6detail17trampoline_kernelINS0_14default_configENS1_27scan_by_key_config_selectorIijEEZZNS1_16scan_by_key_implILNS1_25lookback_scan_determinismE0ELb1ES3_N6thrust23THRUST_200600_302600_NS6detail15normal_iteratorINS9_10device_ptrIiEEEENSB_INSC_IjEEEESG_jNS9_4plusIvEENS9_8equal_toIvEEjEE10hipError_tPvRmT2_T3_T4_T5_mT6_T7_P12ihipStream_tbENKUlT_T0_E_clISt17integral_constantIbLb0EES10_IbLb1EEEEDaSW_SX_EUlSW_E_NS1_11comp_targetILNS1_3genE9ELNS1_11target_archE1100ELNS1_3gpuE3ELNS1_3repE0EEENS1_30default_config_static_selectorELNS0_4arch9wavefront6targetE0EEEvT1_
; %bb.0:
	.section	.rodata,"a",@progbits
	.p2align	6, 0x0
	.amdhsa_kernel _ZN7rocprim17ROCPRIM_400000_NS6detail17trampoline_kernelINS0_14default_configENS1_27scan_by_key_config_selectorIijEEZZNS1_16scan_by_key_implILNS1_25lookback_scan_determinismE0ELb1ES3_N6thrust23THRUST_200600_302600_NS6detail15normal_iteratorINS9_10device_ptrIiEEEENSB_INSC_IjEEEESG_jNS9_4plusIvEENS9_8equal_toIvEEjEE10hipError_tPvRmT2_T3_T4_T5_mT6_T7_P12ihipStream_tbENKUlT_T0_E_clISt17integral_constantIbLb0EES10_IbLb1EEEEDaSW_SX_EUlSW_E_NS1_11comp_targetILNS1_3genE9ELNS1_11target_archE1100ELNS1_3gpuE3ELNS1_3repE0EEENS1_30default_config_static_selectorELNS0_4arch9wavefront6targetE0EEEvT1_
		.amdhsa_group_segment_fixed_size 0
		.amdhsa_private_segment_fixed_size 0
		.amdhsa_kernarg_size 112
		.amdhsa_user_sgpr_count 6
		.amdhsa_user_sgpr_private_segment_buffer 1
		.amdhsa_user_sgpr_dispatch_ptr 0
		.amdhsa_user_sgpr_queue_ptr 0
		.amdhsa_user_sgpr_kernarg_segment_ptr 1
		.amdhsa_user_sgpr_dispatch_id 0
		.amdhsa_user_sgpr_flat_scratch_init 0
		.amdhsa_user_sgpr_private_segment_size 0
		.amdhsa_wavefront_size32 1
		.amdhsa_uses_dynamic_stack 0
		.amdhsa_system_sgpr_private_segment_wavefront_offset 0
		.amdhsa_system_sgpr_workgroup_id_x 1
		.amdhsa_system_sgpr_workgroup_id_y 0
		.amdhsa_system_sgpr_workgroup_id_z 0
		.amdhsa_system_sgpr_workgroup_info 0
		.amdhsa_system_vgpr_workitem_id 0
		.amdhsa_next_free_vgpr 1
		.amdhsa_next_free_sgpr 1
		.amdhsa_reserve_vcc 0
		.amdhsa_reserve_flat_scratch 0
		.amdhsa_float_round_mode_32 0
		.amdhsa_float_round_mode_16_64 0
		.amdhsa_float_denorm_mode_32 3
		.amdhsa_float_denorm_mode_16_64 3
		.amdhsa_dx10_clamp 1
		.amdhsa_ieee_mode 1
		.amdhsa_fp16_overflow 0
		.amdhsa_workgroup_processor_mode 1
		.amdhsa_memory_ordered 1
		.amdhsa_forward_progress 1
		.amdhsa_shared_vgpr_count 0
		.amdhsa_exception_fp_ieee_invalid_op 0
		.amdhsa_exception_fp_denorm_src 0
		.amdhsa_exception_fp_ieee_div_zero 0
		.amdhsa_exception_fp_ieee_overflow 0
		.amdhsa_exception_fp_ieee_underflow 0
		.amdhsa_exception_fp_ieee_inexact 0
		.amdhsa_exception_int_div_zero 0
	.end_amdhsa_kernel
	.section	.text._ZN7rocprim17ROCPRIM_400000_NS6detail17trampoline_kernelINS0_14default_configENS1_27scan_by_key_config_selectorIijEEZZNS1_16scan_by_key_implILNS1_25lookback_scan_determinismE0ELb1ES3_N6thrust23THRUST_200600_302600_NS6detail15normal_iteratorINS9_10device_ptrIiEEEENSB_INSC_IjEEEESG_jNS9_4plusIvEENS9_8equal_toIvEEjEE10hipError_tPvRmT2_T3_T4_T5_mT6_T7_P12ihipStream_tbENKUlT_T0_E_clISt17integral_constantIbLb0EES10_IbLb1EEEEDaSW_SX_EUlSW_E_NS1_11comp_targetILNS1_3genE9ELNS1_11target_archE1100ELNS1_3gpuE3ELNS1_3repE0EEENS1_30default_config_static_selectorELNS0_4arch9wavefront6targetE0EEEvT1_,"axG",@progbits,_ZN7rocprim17ROCPRIM_400000_NS6detail17trampoline_kernelINS0_14default_configENS1_27scan_by_key_config_selectorIijEEZZNS1_16scan_by_key_implILNS1_25lookback_scan_determinismE0ELb1ES3_N6thrust23THRUST_200600_302600_NS6detail15normal_iteratorINS9_10device_ptrIiEEEENSB_INSC_IjEEEESG_jNS9_4plusIvEENS9_8equal_toIvEEjEE10hipError_tPvRmT2_T3_T4_T5_mT6_T7_P12ihipStream_tbENKUlT_T0_E_clISt17integral_constantIbLb0EES10_IbLb1EEEEDaSW_SX_EUlSW_E_NS1_11comp_targetILNS1_3genE9ELNS1_11target_archE1100ELNS1_3gpuE3ELNS1_3repE0EEENS1_30default_config_static_selectorELNS0_4arch9wavefront6targetE0EEEvT1_,comdat
.Lfunc_end1533:
	.size	_ZN7rocprim17ROCPRIM_400000_NS6detail17trampoline_kernelINS0_14default_configENS1_27scan_by_key_config_selectorIijEEZZNS1_16scan_by_key_implILNS1_25lookback_scan_determinismE0ELb1ES3_N6thrust23THRUST_200600_302600_NS6detail15normal_iteratorINS9_10device_ptrIiEEEENSB_INSC_IjEEEESG_jNS9_4plusIvEENS9_8equal_toIvEEjEE10hipError_tPvRmT2_T3_T4_T5_mT6_T7_P12ihipStream_tbENKUlT_T0_E_clISt17integral_constantIbLb0EES10_IbLb1EEEEDaSW_SX_EUlSW_E_NS1_11comp_targetILNS1_3genE9ELNS1_11target_archE1100ELNS1_3gpuE3ELNS1_3repE0EEENS1_30default_config_static_selectorELNS0_4arch9wavefront6targetE0EEEvT1_, .Lfunc_end1533-_ZN7rocprim17ROCPRIM_400000_NS6detail17trampoline_kernelINS0_14default_configENS1_27scan_by_key_config_selectorIijEEZZNS1_16scan_by_key_implILNS1_25lookback_scan_determinismE0ELb1ES3_N6thrust23THRUST_200600_302600_NS6detail15normal_iteratorINS9_10device_ptrIiEEEENSB_INSC_IjEEEESG_jNS9_4plusIvEENS9_8equal_toIvEEjEE10hipError_tPvRmT2_T3_T4_T5_mT6_T7_P12ihipStream_tbENKUlT_T0_E_clISt17integral_constantIbLb0EES10_IbLb1EEEEDaSW_SX_EUlSW_E_NS1_11comp_targetILNS1_3genE9ELNS1_11target_archE1100ELNS1_3gpuE3ELNS1_3repE0EEENS1_30default_config_static_selectorELNS0_4arch9wavefront6targetE0EEEvT1_
                                        ; -- End function
	.set _ZN7rocprim17ROCPRIM_400000_NS6detail17trampoline_kernelINS0_14default_configENS1_27scan_by_key_config_selectorIijEEZZNS1_16scan_by_key_implILNS1_25lookback_scan_determinismE0ELb1ES3_N6thrust23THRUST_200600_302600_NS6detail15normal_iteratorINS9_10device_ptrIiEEEENSB_INSC_IjEEEESG_jNS9_4plusIvEENS9_8equal_toIvEEjEE10hipError_tPvRmT2_T3_T4_T5_mT6_T7_P12ihipStream_tbENKUlT_T0_E_clISt17integral_constantIbLb0EES10_IbLb1EEEEDaSW_SX_EUlSW_E_NS1_11comp_targetILNS1_3genE9ELNS1_11target_archE1100ELNS1_3gpuE3ELNS1_3repE0EEENS1_30default_config_static_selectorELNS0_4arch9wavefront6targetE0EEEvT1_.num_vgpr, 0
	.set _ZN7rocprim17ROCPRIM_400000_NS6detail17trampoline_kernelINS0_14default_configENS1_27scan_by_key_config_selectorIijEEZZNS1_16scan_by_key_implILNS1_25lookback_scan_determinismE0ELb1ES3_N6thrust23THRUST_200600_302600_NS6detail15normal_iteratorINS9_10device_ptrIiEEEENSB_INSC_IjEEEESG_jNS9_4plusIvEENS9_8equal_toIvEEjEE10hipError_tPvRmT2_T3_T4_T5_mT6_T7_P12ihipStream_tbENKUlT_T0_E_clISt17integral_constantIbLb0EES10_IbLb1EEEEDaSW_SX_EUlSW_E_NS1_11comp_targetILNS1_3genE9ELNS1_11target_archE1100ELNS1_3gpuE3ELNS1_3repE0EEENS1_30default_config_static_selectorELNS0_4arch9wavefront6targetE0EEEvT1_.num_agpr, 0
	.set _ZN7rocprim17ROCPRIM_400000_NS6detail17trampoline_kernelINS0_14default_configENS1_27scan_by_key_config_selectorIijEEZZNS1_16scan_by_key_implILNS1_25lookback_scan_determinismE0ELb1ES3_N6thrust23THRUST_200600_302600_NS6detail15normal_iteratorINS9_10device_ptrIiEEEENSB_INSC_IjEEEESG_jNS9_4plusIvEENS9_8equal_toIvEEjEE10hipError_tPvRmT2_T3_T4_T5_mT6_T7_P12ihipStream_tbENKUlT_T0_E_clISt17integral_constantIbLb0EES10_IbLb1EEEEDaSW_SX_EUlSW_E_NS1_11comp_targetILNS1_3genE9ELNS1_11target_archE1100ELNS1_3gpuE3ELNS1_3repE0EEENS1_30default_config_static_selectorELNS0_4arch9wavefront6targetE0EEEvT1_.numbered_sgpr, 0
	.set _ZN7rocprim17ROCPRIM_400000_NS6detail17trampoline_kernelINS0_14default_configENS1_27scan_by_key_config_selectorIijEEZZNS1_16scan_by_key_implILNS1_25lookback_scan_determinismE0ELb1ES3_N6thrust23THRUST_200600_302600_NS6detail15normal_iteratorINS9_10device_ptrIiEEEENSB_INSC_IjEEEESG_jNS9_4plusIvEENS9_8equal_toIvEEjEE10hipError_tPvRmT2_T3_T4_T5_mT6_T7_P12ihipStream_tbENKUlT_T0_E_clISt17integral_constantIbLb0EES10_IbLb1EEEEDaSW_SX_EUlSW_E_NS1_11comp_targetILNS1_3genE9ELNS1_11target_archE1100ELNS1_3gpuE3ELNS1_3repE0EEENS1_30default_config_static_selectorELNS0_4arch9wavefront6targetE0EEEvT1_.num_named_barrier, 0
	.set _ZN7rocprim17ROCPRIM_400000_NS6detail17trampoline_kernelINS0_14default_configENS1_27scan_by_key_config_selectorIijEEZZNS1_16scan_by_key_implILNS1_25lookback_scan_determinismE0ELb1ES3_N6thrust23THRUST_200600_302600_NS6detail15normal_iteratorINS9_10device_ptrIiEEEENSB_INSC_IjEEEESG_jNS9_4plusIvEENS9_8equal_toIvEEjEE10hipError_tPvRmT2_T3_T4_T5_mT6_T7_P12ihipStream_tbENKUlT_T0_E_clISt17integral_constantIbLb0EES10_IbLb1EEEEDaSW_SX_EUlSW_E_NS1_11comp_targetILNS1_3genE9ELNS1_11target_archE1100ELNS1_3gpuE3ELNS1_3repE0EEENS1_30default_config_static_selectorELNS0_4arch9wavefront6targetE0EEEvT1_.private_seg_size, 0
	.set _ZN7rocprim17ROCPRIM_400000_NS6detail17trampoline_kernelINS0_14default_configENS1_27scan_by_key_config_selectorIijEEZZNS1_16scan_by_key_implILNS1_25lookback_scan_determinismE0ELb1ES3_N6thrust23THRUST_200600_302600_NS6detail15normal_iteratorINS9_10device_ptrIiEEEENSB_INSC_IjEEEESG_jNS9_4plusIvEENS9_8equal_toIvEEjEE10hipError_tPvRmT2_T3_T4_T5_mT6_T7_P12ihipStream_tbENKUlT_T0_E_clISt17integral_constantIbLb0EES10_IbLb1EEEEDaSW_SX_EUlSW_E_NS1_11comp_targetILNS1_3genE9ELNS1_11target_archE1100ELNS1_3gpuE3ELNS1_3repE0EEENS1_30default_config_static_selectorELNS0_4arch9wavefront6targetE0EEEvT1_.uses_vcc, 0
	.set _ZN7rocprim17ROCPRIM_400000_NS6detail17trampoline_kernelINS0_14default_configENS1_27scan_by_key_config_selectorIijEEZZNS1_16scan_by_key_implILNS1_25lookback_scan_determinismE0ELb1ES3_N6thrust23THRUST_200600_302600_NS6detail15normal_iteratorINS9_10device_ptrIiEEEENSB_INSC_IjEEEESG_jNS9_4plusIvEENS9_8equal_toIvEEjEE10hipError_tPvRmT2_T3_T4_T5_mT6_T7_P12ihipStream_tbENKUlT_T0_E_clISt17integral_constantIbLb0EES10_IbLb1EEEEDaSW_SX_EUlSW_E_NS1_11comp_targetILNS1_3genE9ELNS1_11target_archE1100ELNS1_3gpuE3ELNS1_3repE0EEENS1_30default_config_static_selectorELNS0_4arch9wavefront6targetE0EEEvT1_.uses_flat_scratch, 0
	.set _ZN7rocprim17ROCPRIM_400000_NS6detail17trampoline_kernelINS0_14default_configENS1_27scan_by_key_config_selectorIijEEZZNS1_16scan_by_key_implILNS1_25lookback_scan_determinismE0ELb1ES3_N6thrust23THRUST_200600_302600_NS6detail15normal_iteratorINS9_10device_ptrIiEEEENSB_INSC_IjEEEESG_jNS9_4plusIvEENS9_8equal_toIvEEjEE10hipError_tPvRmT2_T3_T4_T5_mT6_T7_P12ihipStream_tbENKUlT_T0_E_clISt17integral_constantIbLb0EES10_IbLb1EEEEDaSW_SX_EUlSW_E_NS1_11comp_targetILNS1_3genE9ELNS1_11target_archE1100ELNS1_3gpuE3ELNS1_3repE0EEENS1_30default_config_static_selectorELNS0_4arch9wavefront6targetE0EEEvT1_.has_dyn_sized_stack, 0
	.set _ZN7rocprim17ROCPRIM_400000_NS6detail17trampoline_kernelINS0_14default_configENS1_27scan_by_key_config_selectorIijEEZZNS1_16scan_by_key_implILNS1_25lookback_scan_determinismE0ELb1ES3_N6thrust23THRUST_200600_302600_NS6detail15normal_iteratorINS9_10device_ptrIiEEEENSB_INSC_IjEEEESG_jNS9_4plusIvEENS9_8equal_toIvEEjEE10hipError_tPvRmT2_T3_T4_T5_mT6_T7_P12ihipStream_tbENKUlT_T0_E_clISt17integral_constantIbLb0EES10_IbLb1EEEEDaSW_SX_EUlSW_E_NS1_11comp_targetILNS1_3genE9ELNS1_11target_archE1100ELNS1_3gpuE3ELNS1_3repE0EEENS1_30default_config_static_selectorELNS0_4arch9wavefront6targetE0EEEvT1_.has_recursion, 0
	.set _ZN7rocprim17ROCPRIM_400000_NS6detail17trampoline_kernelINS0_14default_configENS1_27scan_by_key_config_selectorIijEEZZNS1_16scan_by_key_implILNS1_25lookback_scan_determinismE0ELb1ES3_N6thrust23THRUST_200600_302600_NS6detail15normal_iteratorINS9_10device_ptrIiEEEENSB_INSC_IjEEEESG_jNS9_4plusIvEENS9_8equal_toIvEEjEE10hipError_tPvRmT2_T3_T4_T5_mT6_T7_P12ihipStream_tbENKUlT_T0_E_clISt17integral_constantIbLb0EES10_IbLb1EEEEDaSW_SX_EUlSW_E_NS1_11comp_targetILNS1_3genE9ELNS1_11target_archE1100ELNS1_3gpuE3ELNS1_3repE0EEENS1_30default_config_static_selectorELNS0_4arch9wavefront6targetE0EEEvT1_.has_indirect_call, 0
	.section	.AMDGPU.csdata,"",@progbits
; Kernel info:
; codeLenInByte = 0
; TotalNumSgprs: 0
; NumVgprs: 0
; ScratchSize: 0
; MemoryBound: 0
; FloatMode: 240
; IeeeMode: 1
; LDSByteSize: 0 bytes/workgroup (compile time only)
; SGPRBlocks: 0
; VGPRBlocks: 0
; NumSGPRsForWavesPerEU: 1
; NumVGPRsForWavesPerEU: 1
; Occupancy: 16
; WaveLimiterHint : 0
; COMPUTE_PGM_RSRC2:SCRATCH_EN: 0
; COMPUTE_PGM_RSRC2:USER_SGPR: 6
; COMPUTE_PGM_RSRC2:TRAP_HANDLER: 0
; COMPUTE_PGM_RSRC2:TGID_X_EN: 1
; COMPUTE_PGM_RSRC2:TGID_Y_EN: 0
; COMPUTE_PGM_RSRC2:TGID_Z_EN: 0
; COMPUTE_PGM_RSRC2:TIDIG_COMP_CNT: 0
	.section	.text._ZN7rocprim17ROCPRIM_400000_NS6detail17trampoline_kernelINS0_14default_configENS1_27scan_by_key_config_selectorIijEEZZNS1_16scan_by_key_implILNS1_25lookback_scan_determinismE0ELb1ES3_N6thrust23THRUST_200600_302600_NS6detail15normal_iteratorINS9_10device_ptrIiEEEENSB_INSC_IjEEEESG_jNS9_4plusIvEENS9_8equal_toIvEEjEE10hipError_tPvRmT2_T3_T4_T5_mT6_T7_P12ihipStream_tbENKUlT_T0_E_clISt17integral_constantIbLb0EES10_IbLb1EEEEDaSW_SX_EUlSW_E_NS1_11comp_targetILNS1_3genE8ELNS1_11target_archE1030ELNS1_3gpuE2ELNS1_3repE0EEENS1_30default_config_static_selectorELNS0_4arch9wavefront6targetE0EEEvT1_,"axG",@progbits,_ZN7rocprim17ROCPRIM_400000_NS6detail17trampoline_kernelINS0_14default_configENS1_27scan_by_key_config_selectorIijEEZZNS1_16scan_by_key_implILNS1_25lookback_scan_determinismE0ELb1ES3_N6thrust23THRUST_200600_302600_NS6detail15normal_iteratorINS9_10device_ptrIiEEEENSB_INSC_IjEEEESG_jNS9_4plusIvEENS9_8equal_toIvEEjEE10hipError_tPvRmT2_T3_T4_T5_mT6_T7_P12ihipStream_tbENKUlT_T0_E_clISt17integral_constantIbLb0EES10_IbLb1EEEEDaSW_SX_EUlSW_E_NS1_11comp_targetILNS1_3genE8ELNS1_11target_archE1030ELNS1_3gpuE2ELNS1_3repE0EEENS1_30default_config_static_selectorELNS0_4arch9wavefront6targetE0EEEvT1_,comdat
	.protected	_ZN7rocprim17ROCPRIM_400000_NS6detail17trampoline_kernelINS0_14default_configENS1_27scan_by_key_config_selectorIijEEZZNS1_16scan_by_key_implILNS1_25lookback_scan_determinismE0ELb1ES3_N6thrust23THRUST_200600_302600_NS6detail15normal_iteratorINS9_10device_ptrIiEEEENSB_INSC_IjEEEESG_jNS9_4plusIvEENS9_8equal_toIvEEjEE10hipError_tPvRmT2_T3_T4_T5_mT6_T7_P12ihipStream_tbENKUlT_T0_E_clISt17integral_constantIbLb0EES10_IbLb1EEEEDaSW_SX_EUlSW_E_NS1_11comp_targetILNS1_3genE8ELNS1_11target_archE1030ELNS1_3gpuE2ELNS1_3repE0EEENS1_30default_config_static_selectorELNS0_4arch9wavefront6targetE0EEEvT1_ ; -- Begin function _ZN7rocprim17ROCPRIM_400000_NS6detail17trampoline_kernelINS0_14default_configENS1_27scan_by_key_config_selectorIijEEZZNS1_16scan_by_key_implILNS1_25lookback_scan_determinismE0ELb1ES3_N6thrust23THRUST_200600_302600_NS6detail15normal_iteratorINS9_10device_ptrIiEEEENSB_INSC_IjEEEESG_jNS9_4plusIvEENS9_8equal_toIvEEjEE10hipError_tPvRmT2_T3_T4_T5_mT6_T7_P12ihipStream_tbENKUlT_T0_E_clISt17integral_constantIbLb0EES10_IbLb1EEEEDaSW_SX_EUlSW_E_NS1_11comp_targetILNS1_3genE8ELNS1_11target_archE1030ELNS1_3gpuE2ELNS1_3repE0EEENS1_30default_config_static_selectorELNS0_4arch9wavefront6targetE0EEEvT1_
	.globl	_ZN7rocprim17ROCPRIM_400000_NS6detail17trampoline_kernelINS0_14default_configENS1_27scan_by_key_config_selectorIijEEZZNS1_16scan_by_key_implILNS1_25lookback_scan_determinismE0ELb1ES3_N6thrust23THRUST_200600_302600_NS6detail15normal_iteratorINS9_10device_ptrIiEEEENSB_INSC_IjEEEESG_jNS9_4plusIvEENS9_8equal_toIvEEjEE10hipError_tPvRmT2_T3_T4_T5_mT6_T7_P12ihipStream_tbENKUlT_T0_E_clISt17integral_constantIbLb0EES10_IbLb1EEEEDaSW_SX_EUlSW_E_NS1_11comp_targetILNS1_3genE8ELNS1_11target_archE1030ELNS1_3gpuE2ELNS1_3repE0EEENS1_30default_config_static_selectorELNS0_4arch9wavefront6targetE0EEEvT1_
	.p2align	8
	.type	_ZN7rocprim17ROCPRIM_400000_NS6detail17trampoline_kernelINS0_14default_configENS1_27scan_by_key_config_selectorIijEEZZNS1_16scan_by_key_implILNS1_25lookback_scan_determinismE0ELb1ES3_N6thrust23THRUST_200600_302600_NS6detail15normal_iteratorINS9_10device_ptrIiEEEENSB_INSC_IjEEEESG_jNS9_4plusIvEENS9_8equal_toIvEEjEE10hipError_tPvRmT2_T3_T4_T5_mT6_T7_P12ihipStream_tbENKUlT_T0_E_clISt17integral_constantIbLb0EES10_IbLb1EEEEDaSW_SX_EUlSW_E_NS1_11comp_targetILNS1_3genE8ELNS1_11target_archE1030ELNS1_3gpuE2ELNS1_3repE0EEENS1_30default_config_static_selectorELNS0_4arch9wavefront6targetE0EEEvT1_,@function
_ZN7rocprim17ROCPRIM_400000_NS6detail17trampoline_kernelINS0_14default_configENS1_27scan_by_key_config_selectorIijEEZZNS1_16scan_by_key_implILNS1_25lookback_scan_determinismE0ELb1ES3_N6thrust23THRUST_200600_302600_NS6detail15normal_iteratorINS9_10device_ptrIiEEEENSB_INSC_IjEEEESG_jNS9_4plusIvEENS9_8equal_toIvEEjEE10hipError_tPvRmT2_T3_T4_T5_mT6_T7_P12ihipStream_tbENKUlT_T0_E_clISt17integral_constantIbLb0EES10_IbLb1EEEEDaSW_SX_EUlSW_E_NS1_11comp_targetILNS1_3genE8ELNS1_11target_archE1030ELNS1_3gpuE2ELNS1_3repE0EEENS1_30default_config_static_selectorELNS0_4arch9wavefront6targetE0EEEvT1_: ; @_ZN7rocprim17ROCPRIM_400000_NS6detail17trampoline_kernelINS0_14default_configENS1_27scan_by_key_config_selectorIijEEZZNS1_16scan_by_key_implILNS1_25lookback_scan_determinismE0ELb1ES3_N6thrust23THRUST_200600_302600_NS6detail15normal_iteratorINS9_10device_ptrIiEEEENSB_INSC_IjEEEESG_jNS9_4plusIvEENS9_8equal_toIvEEjEE10hipError_tPvRmT2_T3_T4_T5_mT6_T7_P12ihipStream_tbENKUlT_T0_E_clISt17integral_constantIbLb0EES10_IbLb1EEEEDaSW_SX_EUlSW_E_NS1_11comp_targetILNS1_3genE8ELNS1_11target_archE1030ELNS1_3gpuE2ELNS1_3repE0EEENS1_30default_config_static_selectorELNS0_4arch9wavefront6targetE0EEEvT1_
; %bb.0:
	s_clause 0x2
	s_load_dword s22, s[4:5], 0x20
	s_load_dwordx4 s[16:19], s[4:5], 0x28
	s_load_dwordx2 s[20:21], s[4:5], 0x38
	v_cmp_eq_u32_e64 s0, 0, v0
	s_and_saveexec_b32 s1, s0
	s_cbranch_execz .LBB1534_4
; %bb.1:
	s_mov_b32 s3, exec_lo
	s_mov_b32 s2, exec_lo
	v_mbcnt_lo_u32_b32 v1, s3, 0
                                        ; implicit-def: $vgpr2
	v_cmpx_eq_u32_e32 0, v1
	s_cbranch_execz .LBB1534_3
; %bb.2:
	s_load_dwordx2 s[6:7], s[4:5], 0x68
	s_bcnt1_i32_b32 s3, s3
	v_mov_b32_e32 v2, 0
	v_mov_b32_e32 v3, s3
	s_waitcnt lgkmcnt(0)
	global_atomic_add v2, v2, v3, s[6:7] glc
.LBB1534_3:
	s_or_b32 exec_lo, exec_lo, s2
	s_waitcnt vmcnt(0)
	v_readfirstlane_b32 s2, v2
	v_mov_b32_e32 v2, 0
	v_add_nc_u32_e32 v1, s2, v1
	ds_write_b32 v2, v1
.LBB1534_4:
	s_or_b32 exec_lo, exec_lo, s1
	v_mov_b32_e32 v2, 0
	s_clause 0x2
	s_load_dwordx8 s[8:15], s[4:5], 0x0
	s_load_dword s1, s[4:5], 0x40
	s_load_dwordx4 s[4:7], s[4:5], 0x48
	s_waitcnt lgkmcnt(0)
	s_barrier
	buffer_gl0_inv
	ds_read_b32 v5, v2
	s_waitcnt lgkmcnt(0)
	s_barrier
	buffer_gl0_inv
	s_barrier
	buffer_gl0_inv
	s_lshl_b64 s[10:11], s[10:11], 2
	s_mul_i32 s2, s21, s1
	s_add_u32 s8, s8, s10
	s_mul_hi_u32 s3, s20, s1
	s_mul_i32 s1, s20, s1
	s_addc_u32 s9, s9, s11
	v_mul_lo_u32 v1, 0x300, v5
	s_add_u32 s12, s12, s10
	s_addc_u32 s19, s13, s11
	s_add_i32 s3, s3, s2
	v_add_co_u32 v3, s1, s1, v5
	v_add_co_ci_u32_e64 v4, null, s3, 0, s1
	v_lshlrev_b64 v[9:10], 2, v[1:2]
	s_add_u32 s2, s4, -1
	s_addc_u32 s3, s5, -1
	v_readfirstlane_b32 s13, v5
	v_cmp_le_u64_e64 s1, s[2:3], v[3:4]
	v_add_co_u32 v4, vcc_lo, s8, v9
	v_add_co_ci_u32_e64 v5, null, s9, v10, vcc_lo
	v_add_co_u32 v8, vcc_lo, s12, v9
	v_add_co_ci_u32_e64 v15, null, s19, v10, vcc_lo
	s_and_b32 vcc_lo, exec_lo, s1
	s_mul_i32 s12, s2, 0xfffffd00
	s_cbranch_vccz .LBB1534_24
; %bb.5:
	flat_load_dword v1, v[4:5]
	s_add_i32 s5, s12, s18
	v_cmp_gt_u32_e32 vcc_lo, s5, v0
	s_waitcnt vmcnt(0) lgkmcnt(0)
	v_mov_b32_e32 v2, v1
	s_and_saveexec_b32 s3, vcc_lo
	s_cbranch_execz .LBB1534_7
; %bb.6:
	v_lshlrev_b32_e32 v2, 2, v0
	v_add_co_u32 v2, s2, v4, v2
	v_add_co_ci_u32_e64 v3, null, 0, v5, s2
	flat_load_dword v2, v[2:3]
.LBB1534_7:
	s_or_b32 exec_lo, exec_lo, s3
	v_or_b32_e32 v3, 0x100, v0
	v_cmp_gt_u32_e64 s2, s5, v3
	v_mov_b32_e32 v3, v1
	s_and_saveexec_b32 s4, s2
	s_cbranch_execz .LBB1534_9
; %bb.8:
	v_lshlrev_b32_e32 v3, 2, v0
	v_add_co_u32 v6, s3, v4, v3
	v_add_co_ci_u32_e64 v7, null, 0, v5, s3
	flat_load_dword v3, v[6:7] offset:1024
.LBB1534_9:
	s_or_b32 exec_lo, exec_lo, s4
	v_or_b32_e32 v6, 0x200, v0
	v_cmp_gt_u32_e64 s3, s5, v6
	v_lshlrev_b32_e32 v11, 2, v6
	s_and_saveexec_b32 s8, s3
	s_cbranch_execz .LBB1534_11
; %bb.10:
	v_add_co_u32 v6, s4, v4, v11
	v_add_co_ci_u32_e64 v7, null, 0, v5, s4
	flat_load_dword v1, v[6:7]
.LBB1534_11:
	s_or_b32 exec_lo, exec_lo, s8
	v_lshlrev_b32_e32 v12, 2, v0
	s_mov_b32 s8, exec_lo
	s_waitcnt vmcnt(0) lgkmcnt(0)
	ds_write2st64_b32 v12, v2, v3 offset1:4
	ds_write_b32 v12, v1 offset:2048
	s_waitcnt lgkmcnt(0)
	s_barrier
	buffer_gl0_inv
	flat_load_dword v16, v[4:5]
	v_lshlrev_b32_e32 v1, 3, v0
	v_add_nc_u32_e32 v17, v12, v1
	ds_read_b32 v18, v17
	ds_read2_b32 v[6:7], v17 offset0:1 offset1:2
	s_waitcnt lgkmcnt(1)
	ds_write_b32 v12, v18 offset:4096
	s_waitcnt vmcnt(0) lgkmcnt(0)
	s_barrier
	buffer_gl0_inv
	v_cmpx_ne_u32_e32 0xff, v0
; %bb.12:
	v_sub_nc_u32_e32 v1, 0, v1
	v_add_nc_u32_e32 v1, v17, v1
	ds_read_b32 v16, v1 offset:4100
; %bb.13:
	s_or_b32 exec_lo, exec_lo, s8
	v_mov_b32_e32 v1, 0
	s_waitcnt lgkmcnt(0)
	s_barrier
	buffer_gl0_inv
	v_mov_b32_e32 v2, v1
	v_mov_b32_e32 v3, v1
	s_and_saveexec_b32 s4, vcc_lo
	s_cbranch_execnz .LBB1534_94
; %bb.14:
	s_or_b32 exec_lo, exec_lo, s4
	s_and_saveexec_b32 s4, s2
	s_cbranch_execnz .LBB1534_95
.LBB1534_15:
	s_or_b32 exec_lo, exec_lo, s4
	v_mul_u32_u24_e32 v19, 3, v0
	s_and_saveexec_b32 s2, s3
	s_cbranch_execz .LBB1534_17
.LBB1534_16:
	v_add_co_u32 v13, vcc_lo, v8, v11
	v_add_co_ci_u32_e64 v14, null, 0, v15, vcc_lo
	flat_load_dword v3, v[13:14]
.LBB1534_17:
	s_or_b32 exec_lo, exec_lo, s2
	s_waitcnt vmcnt(0) lgkmcnt(0)
	ds_write2st64_b32 v12, v1, v2 offset1:4
	ds_write_b32 v12, v3 offset:2048
	v_mov_b32_e32 v11, 0
	v_mov_b32_e32 v1, 0
	;; [unrolled: 1-line block ×6, first 2 shown]
	s_mov_b32 s3, 0
	s_mov_b32 s8, 0
	s_mov_b32 s4, exec_lo
	s_waitcnt lgkmcnt(0)
	s_barrier
	buffer_gl0_inv
                                        ; implicit-def: $sgpr2
                                        ; implicit-def: $vgpr3
	v_cmpx_gt_u32_e64 s5, v19
	s_cbranch_execz .LBB1534_23
; %bb.18:
	ds_read_b32 v3, v17
	v_cmp_ne_u32_e32 vcc_lo, v18, v6
	v_mov_b32_e32 v1, 0
	v_add_nc_u32_e32 v13, 1, v19
	v_mov_b32_e32 v2, 0
	s_mov_b32 s9, 0
	v_cndmask_b32_e64 v12, 0, 1, vcc_lo
	v_cmp_eq_u32_e32 vcc_lo, v18, v6
	s_mov_b32 s8, exec_lo
                                        ; implicit-def: $sgpr2
	s_waitcnt lgkmcnt(0)
	v_cndmask_b32_e32 v11, s22, v3, vcc_lo
                                        ; implicit-def: $vgpr3
	v_cmpx_gt_u32_e64 s5, v13
	s_cbranch_execz .LBB1534_22
; %bb.19:
	ds_read2_b32 v[13:14], v17 offset0:1 offset1:2
	v_cmp_ne_u32_e32 vcc_lo, v6, v7
	v_add_nc_u32_e32 v3, 2, v19
                                        ; implicit-def: $sgpr2
	v_cndmask_b32_e64 v2, 0, 1, vcc_lo
	v_cmp_eq_u32_e32 vcc_lo, v6, v7
	s_waitcnt lgkmcnt(0)
	v_cndmask_b32_e32 v1, s22, v13, vcc_lo
	v_cmp_gt_u32_e32 vcc_lo, s5, v3
	s_mov_b32 s5, 0
                                        ; implicit-def: $vgpr3
	s_and_saveexec_b32 s9, vcc_lo
	s_xor_b32 s9, exec_lo, s9
; %bb.20:
	v_cmp_ne_u32_e64 s2, v7, v16
	s_mov_b32 s5, exec_lo
	v_cndmask_b32_e64 v3, v14, s22, s2
; %bb.21:
	s_or_b32 exec_lo, exec_lo, s9
	s_and_b32 s9, s5, exec_lo
.LBB1534_22:
	s_or_b32 exec_lo, exec_lo, s8
	v_mov_b32_e32 v14, v2
	v_mov_b32_e32 v13, v1
	s_and_b32 s8, s9, exec_lo
.LBB1534_23:
	s_or_b32 exec_lo, exec_lo, s4
	v_lshlrev_b32_e32 v20, 2, v0
	v_lshlrev_b32_e32 v21, 3, v0
	s_and_b32 vcc_lo, exec_lo, s3
	s_cbranch_vccnz .LBB1534_25
	s_branch .LBB1534_28
.LBB1534_24:
	s_mov_b32 s8, 0
                                        ; implicit-def: $sgpr2
                                        ; implicit-def: $vgpr3
                                        ; implicit-def: $vgpr11_vgpr12
                                        ; implicit-def: $vgpr1_vgpr2
                                        ; implicit-def: $vgpr13_vgpr14
	v_lshlrev_b32_e32 v20, 2, v0
	v_lshlrev_b32_e32 v21, 3, v0
	s_cbranch_execz .LBB1534_28
.LBB1534_25:
	v_add_co_u32 v1, vcc_lo, v4, v20
	v_add_co_ci_u32_e64 v2, null, 0, v5, vcc_lo
	s_mov_b32 s2, exec_lo
	v_add_co_u32 v6, vcc_lo, 0x800, v1
	v_add_co_ci_u32_e64 v7, null, 0, v2, vcc_lo
	s_clause 0x2
	flat_load_dword v3, v[1:2]
	flat_load_dword v11, v[1:2] offset:1024
	flat_load_dword v6, v[6:7]
	v_add_co_u32 v1, vcc_lo, 0x800, v4
	v_add_co_ci_u32_e64 v2, null, 0, v5, vcc_lo
	s_waitcnt vmcnt(1) lgkmcnt(1)
	ds_write2st64_b32 v20, v3, v11 offset1:4
	s_waitcnt vmcnt(0) lgkmcnt(1)
	ds_write_b32 v20, v6 offset:2048
	s_waitcnt lgkmcnt(0)
	s_barrier
	buffer_gl0_inv
	flat_load_dword v5, v[1:2] offset:1024
	v_add_nc_u32_e32 v1, v20, v21
	ds_read_b32 v6, v1
	ds_read2_b32 v[3:4], v1 offset0:1 offset1:2
	s_waitcnt lgkmcnt(1)
	ds_write_b32 v20, v6 offset:4096
	s_waitcnt vmcnt(0) lgkmcnt(0)
	s_barrier
	buffer_gl0_inv
	v_cmpx_ne_u32_e32 0xff, v0
; %bb.26:
	v_sub_nc_u32_e32 v2, 0, v21
	v_add_nc_u32_e32 v2, v1, v2
	ds_read_b32 v5, v2 offset:4100
; %bb.27:
	s_or_b32 exec_lo, exec_lo, s2
	v_add_co_u32 v7, vcc_lo, v8, v20
	v_add_co_ci_u32_e64 v8, null, 0, v15, vcc_lo
	s_waitcnt lgkmcnt(0)
	v_add_co_u32 v11, vcc_lo, 0x800, v7
	v_add_co_ci_u32_e64 v12, null, 0, v8, vcc_lo
	s_barrier
	buffer_gl0_inv
	s_clause 0x2
	flat_load_dword v2, v[7:8]
	flat_load_dword v7, v[7:8] offset:1024
	flat_load_dword v8, v[11:12]
	v_cmp_eq_u32_e32 vcc_lo, v6, v3
	v_cmp_ne_u32_e64 s2, v4, v5
	s_mov_b32 s8, -1
	s_waitcnt vmcnt(1) lgkmcnt(1)
	ds_write2st64_b32 v20, v2, v7 offset1:4
	s_waitcnt vmcnt(0) lgkmcnt(1)
	ds_write_b32 v20, v8 offset:2048
	s_waitcnt lgkmcnt(0)
	s_barrier
	buffer_gl0_inv
	ds_read2_b32 v[7:8], v1 offset1:1
	ds_read_b32 v13, v1 offset:8
	s_waitcnt lgkmcnt(1)
	v_cndmask_b32_e32 v11, s22, v7, vcc_lo
	v_cmp_eq_u32_e32 vcc_lo, v3, v4
	v_cndmask_b32_e32 v1, s22, v8, vcc_lo
	v_cmp_ne_u32_e32 vcc_lo, v3, v4
	v_cndmask_b32_e64 v2, 0, 1, vcc_lo
	v_cmp_ne_u32_e32 vcc_lo, v6, v3
	s_waitcnt lgkmcnt(0)
	v_cndmask_b32_e64 v3, v13, s22, s2
	v_mov_b32_e32 v14, v2
	v_cndmask_b32_e64 v12, 0, 1, vcc_lo
	v_mov_b32_e32 v13, v1
.LBB1534_28:
	v_mov_b32_e32 v15, 0
	v_mov_b32_e32 v16, 0
	s_and_saveexec_b32 s3, s8
; %bb.29:
	v_cndmask_b32_e64 v4, 0, 1, s2
	v_mov_b32_e32 v14, v2
	v_mov_b32_e32 v13, v1
	v_mov_b32_e32 v16, v4
	v_mov_b32_e32 v15, v3
; %bb.30:
	s_or_b32 exec_lo, exec_lo, s3
	v_or_b32_e32 v25, v14, v16
	v_mbcnt_lo_u32_b32 v22, -1, 0
	v_lshrrev_b32_e32 v23, 5, v0
	v_or_b32_e32 v24, 31, v0
	s_cmp_lg_u32 s13, 0
	s_mov_b32 s4, 0
	s_barrier
	buffer_gl0_inv
	s_cbranch_scc0 .LBB1534_56
; %bb.31:
	v_and_b32_e32 v2, 0xff, v25
	v_mov_b32_e32 v1, 0
	s_mov_b32 s5, 1
	v_cmp_gt_u64_e64 s2, s[4:5], v[13:14]
	v_cmp_eq_u64_e32 vcc_lo, 0, v[1:2]
	v_cndmask_b32_e64 v3, 0, v11, s2
	v_cndmask_b32_e32 v2, 1, v12, vcc_lo
	v_cmp_gt_u64_e32 vcc_lo, s[4:5], v[15:16]
	v_add_nc_u32_e32 v3, v3, v13
	v_and_b32_e32 v4, 0xff, v2
	v_and_b32_e32 v6, 1, v2
	v_cndmask_b32_e32 v3, 0, v3, vcc_lo
	v_mov_b32_dpp v5, v4 row_shr:1 row_mask:0xf bank_mask:0xf
	v_cmp_eq_u32_e32 vcc_lo, 1, v6
	v_and_b32_e32 v6, 15, v22
	v_add_nc_u32_e32 v3, v3, v15
	v_and_b32_e32 v5, 1, v5
	v_mov_b32_dpp v7, v3 row_shr:1 row_mask:0xf bank_mask:0xf
	v_cndmask_b32_e64 v5, v5, 1, vcc_lo
	v_cmp_eq_u16_e32 vcc_lo, 0, v4
	v_and_b32_e32 v8, 0xffff, v5
	v_cndmask_b32_e32 v7, 0, v7, vcc_lo
	v_cmp_eq_u32_e32 vcc_lo, 0, v6
	v_cndmask_b32_e32 v4, v8, v4, vcc_lo
	v_cndmask_b32_e32 v2, v5, v2, vcc_lo
	v_cndmask_b32_e64 v7, v7, 0, vcc_lo
	v_mov_b32_dpp v5, v4 row_shr:2 row_mask:0xf bank_mask:0xf
	v_and_b32_e32 v8, 1, v2
	v_add_nc_u32_e32 v3, v7, v3
	v_cmp_eq_u16_sdwa s4, v2, v1 src0_sel:BYTE_0 src1_sel:DWORD
	v_and_b32_e32 v5, 1, v5
	v_cmp_eq_u32_e32 vcc_lo, 1, v8
	v_cndmask_b32_e64 v5, v5, 1, vcc_lo
	v_cmp_lt_u32_e32 vcc_lo, 1, v6
	v_and_b32_e32 v8, 0xffff, v5
	v_cndmask_b32_e32 v5, v2, v5, vcc_lo
	v_mov_b32_dpp v2, v3 row_shr:2 row_mask:0xf bank_mask:0xf
	v_cndmask_b32_e32 v4, v4, v8, vcc_lo
	v_and_b32_e32 v7, 1, v5
	s_and_b32 vcc_lo, vcc_lo, s4
	v_cndmask_b32_e32 v2, 0, v2, vcc_lo
	v_mov_b32_dpp v8, v4 row_shr:4 row_mask:0xf bank_mask:0xf
	v_cmp_eq_u32_e64 s3, 1, v7
	v_cmp_lt_u32_e32 vcc_lo, 3, v6
	v_add_nc_u32_e32 v2, v2, v3
	v_and_b32_e32 v8, 1, v8
	v_cndmask_b32_e64 v7, v8, 1, s3
	v_cmp_eq_u16_sdwa s3, v5, v1 src0_sel:BYTE_0 src1_sel:DWORD
	v_and_b32_e32 v8, 0xffff, v7
	v_cndmask_b32_e32 v3, v5, v7, vcc_lo
	v_mov_b32_dpp v5, v2 row_shr:4 row_mask:0xf bank_mask:0xf
	v_cndmask_b32_e32 v4, v4, v8, vcc_lo
	s_and_b32 vcc_lo, vcc_lo, s3
	v_and_b32_e32 v8, 1, v3
	v_cndmask_b32_e32 v5, 0, v5, vcc_lo
	v_cmp_eq_u16_sdwa s3, v3, v1 src0_sel:BYTE_0 src1_sel:DWORD
	v_mov_b32_dpp v7, v4 row_shr:8 row_mask:0xf bank_mask:0xf
	v_cmp_eq_u32_e32 vcc_lo, 1, v8
	v_add_nc_u32_e32 v2, v5, v2
	v_and_b32_e32 v7, 1, v7
	v_cndmask_b32_e64 v5, v7, 1, vcc_lo
	v_cmp_lt_u32_e32 vcc_lo, 7, v6
	v_mov_b32_dpp v6, v2 row_shr:8 row_mask:0xf bank_mask:0xf
	s_and_b32 s3, vcc_lo, s3
	v_cndmask_b32_e32 v7, v3, v5, vcc_lo
	v_cndmask_b32_e64 v3, 0, v6, s3
	v_and_b32_e32 v5, 0xffff, v5
	v_and_b32_e32 v6, 16, v22
	v_add_nc_u32_e32 v2, v3, v2
	v_cndmask_b32_e32 v3, v4, v5, vcc_lo
	v_cmp_eq_u16_sdwa vcc_lo, v7, v1 src0_sel:BYTE_0 src1_sel:DWORD
	v_bfe_i32 v5, v22, 4, 1
	v_cmp_eq_u32_e64 s3, 0, v6
	ds_swizzle_b32 v4, v2 offset:swizzle(BROADCAST,32,15)
	ds_swizzle_b32 v3, v3 offset:swizzle(BROADCAST,32,15)
	s_waitcnt lgkmcnt(1)
	v_cndmask_b32_e32 v1, 0, v4, vcc_lo
	v_and_b32_e32 v4, 1, v7
	s_waitcnt lgkmcnt(0)
	v_and_b32_e32 v3, 1, v3
	v_and_b32_e32 v1, v5, v1
	v_cmp_eq_u32_e32 vcc_lo, 1, v4
	v_lshlrev_b32_e32 v5, 3, v23
	v_cndmask_b32_e64 v4, v3, 1, vcc_lo
	v_add_nc_u32_e32 v3, v1, v2
	v_cndmask_b32_e64 v4, v4, v7, s3
	s_mov_b32 s3, exec_lo
	v_cmpx_eq_u32_e64 v0, v24
	s_cbranch_execz .LBB1534_33
; %bb.32:
	ds_write_b32 v5, v3
	ds_write_b8 v5, v4 offset:4
.LBB1534_33:
	s_or_b32 exec_lo, exec_lo, s3
	s_mov_b32 s3, exec_lo
	s_waitcnt lgkmcnt(0)
	s_barrier
	buffer_gl0_inv
	v_cmpx_gt_u32_e32 8, v0
	s_cbranch_execz .LBB1534_39
; %bb.34:
	ds_read_b64 v[1:2], v21
	v_and_b32_e32 v6, 7, v22
	s_mov_b32 s4, exec_lo
	s_waitcnt lgkmcnt(0)
	v_and_b32_e32 v7, 0xffffff00, v2
	v_mov_b32_dpp v17, v1 row_shr:1 row_mask:0xf bank_mask:0xf
	v_mov_b32_dpp v18, v2 row_shr:1 row_mask:0xf bank_mask:0xf
	v_mov_b32_e32 v8, v2
	v_cmpx_ne_u32_e32 0, v6
	s_cbranch_execz .LBB1534_36
; %bb.35:
	v_mov_b32_e32 v8, 0
	v_and_b32_e32 v19, 1, v2
	v_and_b32_e32 v18, 1, v18
	v_cmp_eq_u16_sdwa vcc_lo, v2, v8 src0_sel:BYTE_0 src1_sel:DWORD
	v_cndmask_b32_e32 v2, 0, v17, vcc_lo
	v_cmp_eq_u32_e32 vcc_lo, 1, v19
	v_add_nc_u32_e32 v1, v2, v1
	v_cndmask_b32_e64 v17, v18, 1, vcc_lo
	v_or_b32_sdwa v8, v7, v17 dst_sel:DWORD dst_unused:UNUSED_PAD src0_sel:DWORD src1_sel:WORD_0
	v_mov_b32_e32 v2, v17
.LBB1534_36:
	s_or_b32 exec_lo, exec_lo, s4
	v_mov_b32_dpp v17, v1 row_shr:2 row_mask:0xf bank_mask:0xf
	v_mov_b32_dpp v18, v8 row_shr:2 row_mask:0xf bank_mask:0xf
	s_mov_b32 s4, exec_lo
	v_cmpx_lt_u32_e32 1, v6
	s_cbranch_execz .LBB1534_38
; %bb.37:
	v_mov_b32_e32 v8, 0
	v_and_b32_e32 v19, 1, v2
	v_and_b32_e32 v18, 1, v18
	v_cmp_eq_u16_sdwa vcc_lo, v2, v8 src0_sel:BYTE_0 src1_sel:DWORD
	v_cndmask_b32_e32 v2, 0, v17, vcc_lo
	v_cmp_eq_u32_e32 vcc_lo, 1, v19
	v_add_nc_u32_e32 v1, v2, v1
	v_cndmask_b32_e64 v17, v18, 1, vcc_lo
	v_or_b32_sdwa v8, v7, v17 dst_sel:DWORD dst_unused:UNUSED_PAD src0_sel:DWORD src1_sel:WORD_0
	v_mov_b32_e32 v2, v17
.LBB1534_38:
	s_or_b32 exec_lo, exec_lo, s4
	v_mov_b32_dpp v7, v8 row_shr:4 row_mask:0xf bank_mask:0xf
	v_and_b32_e32 v17, 1, v2
	v_mov_b32_e32 v8, 0
	v_and_b32_e32 v7, 1, v7
	v_cmp_eq_u32_e32 vcc_lo, 1, v17
	v_cmp_eq_u16_sdwa s4, v2, v8 src0_sel:BYTE_0 src1_sel:DWORD
	v_cndmask_b32_e64 v7, v7, 1, vcc_lo
	v_cmp_lt_u32_e32 vcc_lo, 3, v6
	v_mov_b32_dpp v6, v1 row_shr:4 row_mask:0xf bank_mask:0xf
	v_cndmask_b32_e32 v2, v2, v7, vcc_lo
	s_and_b32 vcc_lo, vcc_lo, s4
	v_cndmask_b32_e32 v6, 0, v6, vcc_lo
	v_add_nc_u32_e32 v1, v6, v1
	ds_write_b32 v21, v1
	ds_write_b8 v21, v2 offset:4
.LBB1534_39:
	s_or_b32 exec_lo, exec_lo, s3
	v_mov_b32_e32 v27, 0
	v_mov_b32_e32 v26, 0
	s_mov_b32 s4, exec_lo
	v_cmp_gt_u32_e32 vcc_lo, 32, v0
	s_waitcnt lgkmcnt(0)
	s_barrier
	buffer_gl0_inv
	v_cmpx_lt_u32_e32 31, v0
	s_cbranch_execz .LBB1534_41
; %bb.40:
	v_add_nc_u32_e32 v1, -8, v5
	v_and_b32_e32 v2, 1, v4
	ds_read_b32 v26, v1
	v_add_nc_u32_e32 v1, -4, v5
	ds_read_u8 v27, v1
	v_mov_b32_e32 v1, 0
	v_cmp_eq_u16_sdwa s3, v4, v1 src0_sel:BYTE_0 src1_sel:DWORD
	s_waitcnt lgkmcnt(1)
	v_cndmask_b32_e64 v1, 0, v26, s3
	v_cmp_eq_u32_e64 s3, 1, v2
	v_add_nc_u32_e32 v3, v1, v3
	s_waitcnt lgkmcnt(0)
	v_cndmask_b32_e64 v4, v27, 1, s3
.LBB1534_41:
	s_or_b32 exec_lo, exec_lo, s4
	v_sub_co_u32 v1, s3, v22, 1
	v_and_b32_e32 v2, 0xff, v4
	v_cmp_gt_i32_e64 s4, 0, v1
	v_cndmask_b32_e64 v1, v1, v22, s4
	v_lshlrev_b32_e32 v1, 2, v1
	ds_bpermute_b32 v28, v1, v3
	ds_bpermute_b32 v29, v1, v2
	s_and_saveexec_b32 s5, vcc_lo
	s_cbranch_execz .LBB1534_61
; %bb.42:
	v_mov_b32_e32 v4, 0
	ds_read_b64 v[1:2], v4 offset:56
	s_and_saveexec_b32 s4, s3
	s_cbranch_execz .LBB1534_44
; %bb.43:
	s_add_i32 s8, s13, 32
	s_mov_b32 s9, 0
	v_mov_b32_e32 v3, 1
	s_lshl_b64 s[8:9], s[8:9], 4
	s_add_u32 s8, s16, s8
	s_addc_u32 s9, s17, s9
	v_mov_b32_e32 v5, s8
	v_mov_b32_e32 v6, s9
	s_waitcnt lgkmcnt(0)
	;;#ASMSTART
	global_store_dwordx4 v[5:6], v[1:4] off	
s_waitcnt vmcnt(0)
	;;#ASMEND
.LBB1534_44:
	s_or_b32 exec_lo, exec_lo, s4
	v_xad_u32 v17, v22, -1, s13
	s_mov_b32 s8, 0
	v_add_nc_u32_e32 v3, 32, v17
	v_lshlrev_b64 v[5:6], 4, v[3:4]
	v_add_co_u32 v18, vcc_lo, s16, v5
	v_add_co_ci_u32_e64 v19, null, s17, v6, vcc_lo
	;;#ASMSTART
	global_load_dwordx4 v[5:8], v[18:19] off glc dlc	
s_waitcnt vmcnt(0)
	;;#ASMEND
	v_and_b32_e32 v6, 0xff, v6
	v_cmp_eq_u16_sdwa s9, v7, v4 src0_sel:BYTE_0 src1_sel:DWORD
	s_and_saveexec_b32 s4, s9
	s_cbranch_execz .LBB1534_48
; %bb.45:
	v_mov_b32_e32 v3, 0
.LBB1534_46:                            ; =>This Inner Loop Header: Depth=1
	;;#ASMSTART
	global_load_dwordx4 v[5:8], v[18:19] off glc dlc	
s_waitcnt vmcnt(0)
	;;#ASMEND
	v_cmp_ne_u16_sdwa s9, v7, v3 src0_sel:BYTE_0 src1_sel:DWORD
	s_or_b32 s8, s9, s8
	s_andn2_b32 exec_lo, exec_lo, s8
	s_cbranch_execnz .LBB1534_46
; %bb.47:
	s_or_b32 exec_lo, exec_lo, s8
	v_and_b32_e32 v6, 0xff, v6
.LBB1534_48:
	s_or_b32 exec_lo, exec_lo, s4
	v_cmp_ne_u32_e32 vcc_lo, 31, v22
	v_mov_b32_e32 v30, 2
	v_lshlrev_b32_e64 v31, v22, -1
	v_and_b32_e32 v8, 1, v6
	s_mov_b32 s8, 0
	v_add_co_ci_u32_e64 v3, null, 0, v22, vcc_lo
	v_cmp_eq_u16_sdwa s4, v7, v30 src0_sel:BYTE_0 src1_sel:DWORD
	v_cmp_eq_u32_e32 vcc_lo, 1, v8
	s_mov_b32 s9, 1
	v_lshlrev_b32_e32 v19, 2, v3
	v_add_nc_u32_e32 v39, 8, v22
	v_and_or_b32 v4, s4, v31, 0x80000000
	v_cmp_gt_u64_e64 s4, s[8:9], v[5:6]
	v_lshl_or_b32 v40, v22, 2, 64
	ds_bpermute_b32 v3, v19, v6
	ds_bpermute_b32 v18, v19, v5
	v_ffbl_b32_e32 v4, v4
	v_add_nc_u32_e32 v41, 16, v22
	s_waitcnt lgkmcnt(1)
	v_and_b32_e32 v3, 1, v3
	v_cndmask_b32_e64 v3, v3, 1, vcc_lo
	v_cmp_gt_u32_e32 vcc_lo, 30, v22
	v_and_b32_e32 v33, 0xffff, v3
	v_cndmask_b32_e64 v8, 0, 2, vcc_lo
	v_cmp_lt_u32_e32 vcc_lo, v22, v4
	v_add_lshl_u32 v32, v8, v22, 2
	v_cndmask_b32_e32 v8, v6, v33, vcc_lo
	v_cndmask_b32_e32 v3, v6, v3, vcc_lo
	s_and_b32 vcc_lo, vcc_lo, s4
	s_waitcnt lgkmcnt(0)
	v_cndmask_b32_e32 v6, 0, v18, vcc_lo
	ds_bpermute_b32 v33, v32, v8
	v_and_b32_e32 v18, 1, v3
	v_add_nc_u32_e32 v5, v6, v5
	v_cmp_eq_u32_e32 vcc_lo, 1, v18
	v_mov_b32_e32 v18, 0
	ds_bpermute_b32 v6, v32, v5
	v_cmp_eq_u16_sdwa s4, v3, v18 src0_sel:BYTE_0 src1_sel:DWORD
	s_waitcnt lgkmcnt(1)
	v_and_b32_e32 v34, 1, v33
	v_add_nc_u32_e32 v33, 2, v22
	v_cndmask_b32_e64 v35, v34, 1, vcc_lo
	v_cmp_gt_u32_e32 vcc_lo, 28, v22
	v_and_b32_e32 v36, 0xffff, v35
	v_cndmask_b32_e64 v34, 0, 4, vcc_lo
	v_cmp_gt_u32_e32 vcc_lo, v33, v4
	v_add_lshl_u32 v34, v34, v22, 2
	v_cndmask_b32_e32 v8, v36, v8, vcc_lo
	v_cndmask_b32_e32 v37, v35, v3, vcc_lo
	s_waitcnt lgkmcnt(0)
	v_cndmask_b32_e64 v3, 0, v6, s4
	v_add_nc_u32_e32 v35, 4, v22
	ds_bpermute_b32 v6, v34, v8
	v_and_b32_e32 v36, 1, v37
	v_cndmask_b32_e64 v3, v3, 0, vcc_lo
	v_cmp_eq_u16_sdwa s4, v37, v18 src0_sel:BYTE_0 src1_sel:DWORD
	v_cmp_eq_u32_e32 vcc_lo, 1, v36
	v_add_nc_u32_e32 v3, v3, v5
	ds_bpermute_b32 v5, v34, v3
	s_waitcnt lgkmcnt(1)
	v_and_b32_e32 v6, 1, v6
	v_cndmask_b32_e64 v6, v6, 1, vcc_lo
	v_cmp_gt_u32_e32 vcc_lo, 24, v22
	v_and_b32_e32 v38, 0xffff, v6
	v_cndmask_b32_e64 v36, 0, 8, vcc_lo
	v_cmp_gt_u32_e32 vcc_lo, v35, v4
	s_waitcnt lgkmcnt(0)
	v_cndmask_b32_e64 v5, 0, v5, s4
	v_add_lshl_u32 v36, v36, v22, 2
	v_cndmask_b32_e32 v8, v38, v8, vcc_lo
	v_cndmask_b32_e32 v6, v6, v37, vcc_lo
	v_cndmask_b32_e64 v5, v5, 0, vcc_lo
	ds_bpermute_b32 v37, v36, v8
	v_and_b32_e32 v38, 1, v6
	v_add_nc_u32_e32 v3, v5, v3
	v_cmp_eq_u32_e32 vcc_lo, 1, v38
	ds_bpermute_b32 v5, v36, v3
	s_waitcnt lgkmcnt(1)
	v_and_b32_e32 v37, 1, v37
	v_cndmask_b32_e64 v37, v37, 1, vcc_lo
	v_cmp_eq_u16_sdwa vcc_lo, v6, v18 src0_sel:BYTE_0 src1_sel:DWORD
	v_and_b32_e32 v38, 0xffff, v37
	s_waitcnt lgkmcnt(0)
	v_cndmask_b32_e32 v5, 0, v5, vcc_lo
	v_cmp_gt_u32_e32 vcc_lo, v39, v4
	v_cndmask_b32_e64 v5, v5, 0, vcc_lo
	v_cndmask_b32_e32 v8, v38, v8, vcc_lo
	v_cndmask_b32_e32 v6, v37, v6, vcc_lo
	v_add_nc_u32_e32 v3, v5, v3
	ds_bpermute_b32 v5, v40, v8
	v_and_b32_e32 v37, 1, v6
	v_cmp_eq_u16_sdwa vcc_lo, v6, v18 src0_sel:BYTE_0 src1_sel:DWORD
	ds_bpermute_b32 v8, v40, v3
	s_waitcnt lgkmcnt(1)
	v_and_b32_e32 v5, 1, v5
	s_waitcnt lgkmcnt(0)
	v_cndmask_b32_e32 v8, 0, v8, vcc_lo
	v_cmp_eq_u32_e32 vcc_lo, 1, v37
	v_cndmask_b32_e64 v5, v5, 1, vcc_lo
	v_cmp_gt_u32_e32 vcc_lo, v41, v4
	v_cndmask_b32_e32 v4, v5, v6, vcc_lo
	v_cndmask_b32_e64 v5, v8, 0, vcc_lo
	v_add_nc_u32_e32 v3, v5, v3
	s_branch .LBB1534_52
.LBB1534_49:                            ;   in Loop: Header=BB1534_52 Depth=1
	s_or_b32 exec_lo, exec_lo, s19
	v_and_b32_e32 v6, 0xff, v6
.LBB1534_50:                            ;   in Loop: Header=BB1534_52 Depth=1
	s_or_b32 exec_lo, exec_lo, s4
	ds_bpermute_b32 v3, v19, v6
	v_cmp_eq_u16_sdwa s4, v7, v30 src0_sel:BYTE_0 src1_sel:DWORD
	v_and_b32_e32 v4, 1, v6
	v_subrev_nc_u32_e32 v17, 32, v17
	v_and_or_b32 v8, s4, v31, 0x80000000
	v_cmp_eq_u32_e32 vcc_lo, 1, v4
	v_cmp_gt_u64_e64 s4, s[8:9], v[5:6]
	v_ffbl_b32_e32 v4, v8
	ds_bpermute_b32 v8, v19, v5
	s_waitcnt lgkmcnt(1)
	v_and_b32_e32 v3, 1, v3
	v_cndmask_b32_e64 v3, v3, 1, vcc_lo
	v_cmp_lt_u32_e32 vcc_lo, v22, v4
	v_and_b32_e32 v42, 0xffff, v3
	v_cndmask_b32_e32 v3, v6, v3, vcc_lo
	v_cndmask_b32_e32 v42, v6, v42, vcc_lo
	s_and_b32 vcc_lo, vcc_lo, s4
	v_cmp_eq_u16_sdwa s4, v3, v18 src0_sel:BYTE_0 src1_sel:DWORD
	s_waitcnt lgkmcnt(0)
	v_cndmask_b32_e32 v6, 0, v8, vcc_lo
	v_and_b32_e32 v8, 1, v3
	ds_bpermute_b32 v43, v32, v42
	v_add_nc_u32_e32 v5, v6, v5
	v_cmp_eq_u32_e32 vcc_lo, 1, v8
	ds_bpermute_b32 v6, v32, v5
	s_waitcnt lgkmcnt(1)
	v_and_b32_e32 v43, 1, v43
	v_cndmask_b32_e64 v8, v43, 1, vcc_lo
	v_cmp_gt_u32_e32 vcc_lo, v33, v4
	v_and_b32_e32 v43, 0xffff, v8
	v_cndmask_b32_e32 v8, v8, v3, vcc_lo
	s_waitcnt lgkmcnt(0)
	v_cndmask_b32_e64 v3, 0, v6, s4
	v_cndmask_b32_e32 v42, v43, v42, vcc_lo
	v_and_b32_e32 v43, 1, v8
	v_cndmask_b32_e64 v3, v3, 0, vcc_lo
	v_cmp_eq_u16_sdwa s4, v8, v18 src0_sel:BYTE_0 src1_sel:DWORD
	ds_bpermute_b32 v6, v34, v42
	v_cmp_eq_u32_e32 vcc_lo, 1, v43
	v_add_nc_u32_e32 v3, v3, v5
	ds_bpermute_b32 v5, v34, v3
	s_waitcnt lgkmcnt(1)
	v_and_b32_e32 v6, 1, v6
	v_cndmask_b32_e64 v6, v6, 1, vcc_lo
	v_cmp_gt_u32_e32 vcc_lo, v35, v4
	s_waitcnt lgkmcnt(0)
	v_cndmask_b32_e64 v5, 0, v5, s4
	s_mov_b32 s4, 0
	v_and_b32_e32 v43, 0xffff, v6
	v_cndmask_b32_e32 v6, v6, v8, vcc_lo
	v_cndmask_b32_e64 v5, v5, 0, vcc_lo
	v_cndmask_b32_e32 v8, v43, v42, vcc_lo
	v_and_b32_e32 v43, 1, v6
	v_add_nc_u32_e32 v3, v5, v3
	ds_bpermute_b32 v42, v36, v8
	v_cmp_eq_u32_e32 vcc_lo, 1, v43
	ds_bpermute_b32 v5, v36, v3
	s_waitcnt lgkmcnt(1)
	v_and_b32_e32 v42, 1, v42
	v_cndmask_b32_e64 v42, v42, 1, vcc_lo
	v_cmp_eq_u16_sdwa vcc_lo, v6, v18 src0_sel:BYTE_0 src1_sel:DWORD
	v_and_b32_e32 v43, 0xffff, v42
	s_waitcnt lgkmcnt(0)
	v_cndmask_b32_e32 v5, 0, v5, vcc_lo
	v_cmp_gt_u32_e32 vcc_lo, v39, v4
	v_cndmask_b32_e64 v5, v5, 0, vcc_lo
	v_cndmask_b32_e32 v8, v43, v8, vcc_lo
	v_cndmask_b32_e32 v6, v42, v6, vcc_lo
	v_add_nc_u32_e32 v3, v5, v3
	ds_bpermute_b32 v5, v40, v8
	v_and_b32_e32 v42, 1, v6
	ds_bpermute_b32 v8, v40, v3
	v_cmp_eq_u32_e32 vcc_lo, 1, v42
	s_waitcnt lgkmcnt(1)
	v_cndmask_b32_e64 v5, v5, 1, vcc_lo
	v_cmp_eq_u16_sdwa vcc_lo, v6, v18 src0_sel:BYTE_0 src1_sel:DWORD
	s_waitcnt lgkmcnt(0)
	v_cndmask_b32_e32 v8, 0, v8, vcc_lo
	v_cmp_gt_u32_e32 vcc_lo, v41, v4
	v_cndmask_b32_e32 v4, v5, v6, vcc_lo
	v_cndmask_b32_e64 v5, v8, 0, vcc_lo
	v_cmp_eq_u16_sdwa vcc_lo, v37, v18 src0_sel:BYTE_0 src1_sel:DWORD
	v_and_b32_e32 v4, 1, v4
	v_add_nc_u32_e32 v3, v5, v3
	v_and_b32_e32 v5, 1, v37
	v_cndmask_b32_e32 v3, 0, v3, vcc_lo
	v_cmp_eq_u32_e32 vcc_lo, 1, v5
	v_add_nc_u32_e32 v3, v3, v38
	v_cndmask_b32_e64 v4, v4, 1, vcc_lo
.LBB1534_51:                            ;   in Loop: Header=BB1534_52 Depth=1
	s_and_b32 vcc_lo, exec_lo, s4
	s_cbranch_vccnz .LBB1534_57
.LBB1534_52:                            ; =>This Loop Header: Depth=1
                                        ;     Child Loop BB1534_55 Depth 2
	v_cmp_ne_u16_sdwa s4, v7, v30 src0_sel:BYTE_0 src1_sel:DWORD
	v_mov_b32_e32 v37, v4
	v_mov_b32_e32 v38, v3
                                        ; implicit-def: $vgpr4
                                        ; implicit-def: $vgpr3
                                        ; implicit-def: $vgpr7
	s_cmp_lg_u32 s4, exec_lo
	s_mov_b32 s4, -1
	s_cbranch_scc1 .LBB1534_51
; %bb.53:                               ;   in Loop: Header=BB1534_52 Depth=1
	v_lshlrev_b64 v[3:4], 4, v[17:18]
	v_add_co_u32 v3, vcc_lo, s16, v3
	v_add_co_ci_u32_e64 v4, null, s17, v4, vcc_lo
	;;#ASMSTART
	global_load_dwordx4 v[5:8], v[3:4] off glc dlc	
s_waitcnt vmcnt(0)
	;;#ASMEND
	v_and_b32_e32 v6, 0xff, v6
	v_cmp_eq_u16_sdwa s19, v7, v18 src0_sel:BYTE_0 src1_sel:DWORD
	s_and_saveexec_b32 s4, s19
	s_cbranch_execz .LBB1534_50
; %bb.54:                               ;   in Loop: Header=BB1534_52 Depth=1
	s_mov_b32 s19, 0
.LBB1534_55:                            ;   Parent Loop BB1534_52 Depth=1
                                        ; =>  This Inner Loop Header: Depth=2
	;;#ASMSTART
	global_load_dwordx4 v[5:8], v[3:4] off glc dlc	
s_waitcnt vmcnt(0)
	;;#ASMEND
	v_cmp_ne_u16_sdwa s23, v7, v18 src0_sel:BYTE_0 src1_sel:DWORD
	s_or_b32 s19, s23, s19
	s_andn2_b32 exec_lo, exec_lo, s19
	s_cbranch_execnz .LBB1534_55
	s_branch .LBB1534_49
.LBB1534_56:
                                        ; implicit-def: $vgpr6
                                        ; implicit-def: $vgpr5
                                        ; implicit-def: $vgpr7
	s_cbranch_execnz .LBB1534_62
	s_branch .LBB1534_77
.LBB1534_57:
	s_and_saveexec_b32 s4, s3
	s_cbranch_execz .LBB1534_59
; %bb.58:
	v_mov_b32_e32 v4, 0
	v_and_b32_e32 v3, 1, v2
	s_mov_b32 s9, 0
	s_add_i32 s8, s13, 32
	v_and_b32_e32 v5, 1, v37
	v_cmp_eq_u32_sdwa vcc_lo, v2, v4 src0_sel:BYTE_0 src1_sel:DWORD
	s_lshl_b64 s[8:9], s[8:9], 4
	s_add_u32 s8, s16, s8
	s_addc_u32 s9, s17, s9
	v_cndmask_b32_e32 v2, 0, v38, vcc_lo
	v_cmp_eq_u32_e32 vcc_lo, 1, v3
	v_mov_b32_e32 v3, 2
	v_add_nc_u32_e32 v1, v2, v1
	v_cndmask_b32_e64 v2, v5, 1, vcc_lo
	v_mov_b32_e32 v5, s8
	v_mov_b32_e32 v6, s9
	;;#ASMSTART
	global_store_dwordx4 v[5:6], v[1:4] off	
s_waitcnt vmcnt(0)
	;;#ASMEND
.LBB1534_59:
	s_or_b32 exec_lo, exec_lo, s4
	s_and_b32 exec_lo, exec_lo, s0
	s_cbranch_execz .LBB1534_61
; %bb.60:
	v_mov_b32_e32 v1, 0
	ds_write_b32 v1, v38 offset:56
	ds_write_b8 v1, v37 offset:60
.LBB1534_61:
	s_or_b32 exec_lo, exec_lo, s5
	v_mov_b32_e32 v1, 0
	s_waitcnt lgkmcnt(0)
	s_barrier
	buffer_gl0_inv
	v_cndmask_b32_e64 v2, v29, v27, s3
	ds_read_b32 v3, v1 offset:56
	v_cndmask_b32_e64 v4, v28, v26, s3
	v_cmp_eq_u16_sdwa vcc_lo, v2, v1 src0_sel:BYTE_0 src1_sel:DWORD
	s_waitcnt lgkmcnt(0)
	v_cndmask_b32_e32 v2, 0, v3, vcc_lo
	v_add_nc_u32_e32 v4, v2, v4
	v_and_b32_e32 v2, 0xff, v12
	v_cndmask_b32_e64 v6, v4, v3, s0
	v_cmp_eq_u64_e32 vcc_lo, 0, v[1:2]
	v_cndmask_b32_e32 v1, 0, v6, vcc_lo
	v_add_nc_u32_e32 v5, v1, v11
	v_cndmask_b32_e64 v1, 0, v5, s2
	v_add_nc_u32_e32 v7, v1, v13
	s_branch .LBB1534_77
.LBB1534_62:
	s_cmp_eq_u64 s[20:21], 0
	v_mov_b32_e32 v3, s22
	s_cselect_b32 s2, -1, 0
	s_cmp_eq_u64 s[6:7], 0
	s_cselect_b32 s3, -1, 0
	s_or_b32 s2, s2, s3
	s_and_b32 vcc_lo, exec_lo, s2
	s_cbranch_vccnz .LBB1534_64
; %bb.63:
	v_mov_b32_e32 v1, 0
	global_load_dword v3, v1, s[6:7]
.LBB1534_64:
	v_and_b32_e32 v2, 0xff, v25
	v_mov_b32_e32 v1, 0
	s_mov_b32 s4, 0
	s_mov_b32 s5, 1
	v_cmp_gt_u64_e32 vcc_lo, s[4:5], v[13:14]
	v_cmp_eq_u64_e64 s2, 0, v[1:2]
	v_cndmask_b32_e32 v4, 0, v11, vcc_lo
	v_cndmask_b32_e64 v2, 1, v12, s2
	v_cmp_gt_u64_e64 s2, s[4:5], v[15:16]
	v_add_nc_u32_e32 v4, v4, v13
	v_and_b32_e32 v5, 0xff, v2
	v_and_b32_e32 v7, 1, v2
	v_cndmask_b32_e64 v4, 0, v4, s2
	v_mov_b32_dpp v6, v5 row_shr:1 row_mask:0xf bank_mask:0xf
	v_cmp_eq_u32_e64 s2, 1, v7
	v_and_b32_e32 v7, 15, v22
	v_add_nc_u32_e32 v4, v4, v15
	v_and_b32_e32 v6, 1, v6
	v_mov_b32_dpp v8, v4 row_shr:1 row_mask:0xf bank_mask:0xf
	v_cndmask_b32_e64 v6, v6, 1, s2
	v_cmp_eq_u16_e64 s2, 0, v5
	v_and_b32_e32 v14, 0xffff, v6
	v_cndmask_b32_e64 v8, 0, v8, s2
	v_cmp_eq_u32_e64 s2, 0, v7
	v_cndmask_b32_e64 v5, v14, v5, s2
	v_cndmask_b32_e64 v2, v6, v2, s2
	;; [unrolled: 1-line block ×3, first 2 shown]
	v_mov_b32_dpp v6, v5 row_shr:2 row_mask:0xf bank_mask:0xf
	v_and_b32_e32 v14, 1, v2
	v_add_nc_u32_e32 v4, v8, v4
	v_cmp_eq_u16_sdwa s4, v2, v1 src0_sel:BYTE_0 src1_sel:DWORD
	v_and_b32_e32 v6, 1, v6
	v_cmp_eq_u32_e64 s2, 1, v14
	v_cndmask_b32_e64 v6, v6, 1, s2
	v_cmp_lt_u32_e64 s2, 1, v7
	v_and_b32_e32 v14, 0xffff, v6
	v_cndmask_b32_e64 v6, v2, v6, s2
	v_mov_b32_dpp v2, v4 row_shr:2 row_mask:0xf bank_mask:0xf
	v_cndmask_b32_e64 v5, v5, v14, s2
	v_and_b32_e32 v8, 1, v6
	s_and_b32 s2, s2, s4
	v_cndmask_b32_e64 v2, 0, v2, s2
	v_mov_b32_dpp v14, v5 row_shr:4 row_mask:0xf bank_mask:0xf
	v_cmp_eq_u32_e64 s3, 1, v8
	v_cmp_lt_u32_e64 s2, 3, v7
	v_add_nc_u32_e32 v2, v2, v4
	v_and_b32_e32 v14, 1, v14
	v_cndmask_b32_e64 v8, v14, 1, s3
	v_cmp_eq_u16_sdwa s3, v6, v1 src0_sel:BYTE_0 src1_sel:DWORD
	v_and_b32_e32 v14, 0xffff, v8
	v_cndmask_b32_e64 v4, v6, v8, s2
	v_mov_b32_dpp v6, v2 row_shr:4 row_mask:0xf bank_mask:0xf
	v_cndmask_b32_e64 v5, v5, v14, s2
	s_and_b32 s2, s2, s3
	v_and_b32_e32 v14, 1, v4
	v_cndmask_b32_e64 v6, 0, v6, s2
	v_cmp_eq_u16_sdwa s3, v4, v1 src0_sel:BYTE_0 src1_sel:DWORD
	v_mov_b32_dpp v8, v5 row_shr:8 row_mask:0xf bank_mask:0xf
	v_cmp_eq_u32_e64 s2, 1, v14
	v_add_nc_u32_e32 v2, v6, v2
	v_and_b32_e32 v8, 1, v8
	v_cndmask_b32_e64 v6, v8, 1, s2
	v_cmp_lt_u32_e64 s2, 7, v7
	v_mov_b32_dpp v7, v2 row_shr:8 row_mask:0xf bank_mask:0xf
	s_and_b32 s3, s2, s3
	v_cndmask_b32_e64 v8, v4, v6, s2
	v_cndmask_b32_e64 v4, 0, v7, s3
	v_and_b32_e32 v6, 0xffff, v6
	v_and_b32_e32 v7, 16, v22
	v_add_nc_u32_e32 v2, v4, v2
	v_cndmask_b32_e64 v4, v5, v6, s2
	v_cmp_eq_u16_sdwa s2, v8, v1 src0_sel:BYTE_0 src1_sel:DWORD
	v_bfe_i32 v6, v22, 4, 1
	v_cmp_eq_u32_e64 s3, 0, v7
	ds_swizzle_b32 v5, v2 offset:swizzle(BROADCAST,32,15)
	ds_swizzle_b32 v4, v4 offset:swizzle(BROADCAST,32,15)
	s_waitcnt lgkmcnt(1)
	v_cndmask_b32_e64 v1, 0, v5, s2
	v_and_b32_e32 v5, 1, v8
	s_waitcnt lgkmcnt(0)
	v_and_b32_e32 v4, 1, v4
	v_and_b32_e32 v1, v6, v1
	v_cmp_eq_u32_e64 s2, 1, v5
	v_lshlrev_b32_e32 v6, 3, v23
	v_cndmask_b32_e64 v5, v4, 1, s2
	v_add_nc_u32_e32 v4, v1, v2
	v_cndmask_b32_e64 v5, v5, v8, s3
	s_mov_b32 s3, exec_lo
	v_cmpx_eq_u32_e64 v0, v24
	s_cbranch_execz .LBB1534_66
; %bb.65:
	ds_write_b32 v6, v4
	ds_write_b8 v6, v5 offset:4
.LBB1534_66:
	s_or_b32 exec_lo, exec_lo, s3
	s_mov_b32 s3, exec_lo
	s_waitcnt vmcnt(0) lgkmcnt(0)
	s_barrier
	buffer_gl0_inv
	v_cmpx_gt_u32_e32 8, v0
	s_cbranch_execz .LBB1534_72
; %bb.67:
	ds_read_b64 v[1:2], v21
	v_and_b32_e32 v7, 7, v22
	s_mov_b32 s4, exec_lo
	s_waitcnt lgkmcnt(0)
	v_and_b32_e32 v8, 0xffffff00, v2
	v_mov_b32_dpp v15, v1 row_shr:1 row_mask:0xf bank_mask:0xf
	v_mov_b32_dpp v16, v2 row_shr:1 row_mask:0xf bank_mask:0xf
	v_mov_b32_e32 v14, v2
	v_cmpx_ne_u32_e32 0, v7
	s_cbranch_execz .LBB1534_69
; %bb.68:
	v_mov_b32_e32 v14, 0
	v_and_b32_e32 v17, 1, v2
	v_and_b32_e32 v16, 1, v16
	v_cmp_eq_u16_sdwa s2, v2, v14 src0_sel:BYTE_0 src1_sel:DWORD
	v_cndmask_b32_e64 v2, 0, v15, s2
	v_cmp_eq_u32_e64 s2, 1, v17
	v_add_nc_u32_e32 v1, v2, v1
	v_cndmask_b32_e64 v15, v16, 1, s2
	v_or_b32_sdwa v14, v8, v15 dst_sel:DWORD dst_unused:UNUSED_PAD src0_sel:DWORD src1_sel:WORD_0
	v_mov_b32_e32 v2, v15
.LBB1534_69:
	s_or_b32 exec_lo, exec_lo, s4
	v_mov_b32_dpp v15, v1 row_shr:2 row_mask:0xf bank_mask:0xf
	v_mov_b32_dpp v16, v14 row_shr:2 row_mask:0xf bank_mask:0xf
	s_mov_b32 s4, exec_lo
	v_cmpx_lt_u32_e32 1, v7
	s_cbranch_execz .LBB1534_71
; %bb.70:
	v_mov_b32_e32 v14, 0
	v_and_b32_e32 v17, 1, v2
	v_and_b32_e32 v16, 1, v16
	v_cmp_eq_u16_sdwa s2, v2, v14 src0_sel:BYTE_0 src1_sel:DWORD
	v_cndmask_b32_e64 v2, 0, v15, s2
	v_cmp_eq_u32_e64 s2, 1, v17
	v_add_nc_u32_e32 v1, v2, v1
	v_cndmask_b32_e64 v15, v16, 1, s2
	v_or_b32_sdwa v14, v8, v15 dst_sel:DWORD dst_unused:UNUSED_PAD src0_sel:DWORD src1_sel:WORD_0
	v_mov_b32_e32 v2, v15
.LBB1534_71:
	s_or_b32 exec_lo, exec_lo, s4
	v_mov_b32_dpp v8, v14 row_shr:4 row_mask:0xf bank_mask:0xf
	v_and_b32_e32 v15, 1, v2
	v_mov_b32_e32 v14, 0
	v_and_b32_e32 v8, 1, v8
	v_cmp_eq_u32_e64 s2, 1, v15
	v_cmp_eq_u16_sdwa s4, v2, v14 src0_sel:BYTE_0 src1_sel:DWORD
	v_cndmask_b32_e64 v8, v8, 1, s2
	v_cmp_lt_u32_e64 s2, 3, v7
	v_mov_b32_dpp v7, v1 row_shr:4 row_mask:0xf bank_mask:0xf
	v_cndmask_b32_e64 v2, v2, v8, s2
	s_and_b32 s2, s2, s4
	v_cndmask_b32_e64 v7, 0, v7, s2
	v_add_nc_u32_e32 v1, v7, v1
	ds_write_b32 v21, v1
	ds_write_b8 v21, v2 offset:4
.LBB1534_72:
	s_or_b32 exec_lo, exec_lo, s3
	v_mov_b32_e32 v2, v3
	s_mov_b32 s3, exec_lo
	s_waitcnt lgkmcnt(0)
	s_barrier
	buffer_gl0_inv
	v_cmpx_lt_u32_e32 31, v0
	s_cbranch_execz .LBB1534_74
; %bb.73:
	v_add_nc_u32_e32 v1, -4, v6
	v_add_nc_u32_e32 v2, -8, v6
	ds_read_u8 v1, v1
	ds_read_b32 v2, v2
	s_waitcnt lgkmcnt(1)
	v_cmp_eq_u16_e64 s2, 0, v1
	v_cndmask_b32_e64 v1, 0, v3, s2
	s_waitcnt lgkmcnt(0)
	v_add_nc_u32_e32 v2, v1, v2
.LBB1534_74:
	s_or_b32 exec_lo, exec_lo, s3
	v_mov_b32_e32 v1, 0
	v_sub_co_u32 v6, s2, v22, 1
	v_cmp_eq_u16_sdwa s3, v5, v1 src0_sel:BYTE_0 src1_sel:DWORD
	v_cndmask_b32_e64 v5, 0, v2, s3
	v_cmp_gt_i32_e64 s3, 0, v6
	v_add_nc_u32_e32 v4, v5, v4
	v_cndmask_b32_e64 v6, v6, v22, s3
	v_lshlrev_b32_e32 v5, 2, v6
	ds_bpermute_b32 v4, v5, v4
	s_waitcnt lgkmcnt(0)
	v_cndmask_b32_e64 v6, v4, v2, s2
	v_and_b32_e32 v2, 0xff, v12
	v_cndmask_b32_e64 v4, v6, v3, s0
	v_cmp_eq_u64_e64 s2, 0, v[1:2]
	v_cndmask_b32_e64 v2, 0, v4, s2
	v_add_nc_u32_e32 v5, v2, v11
	v_cndmask_b32_e32 v2, 0, v5, vcc_lo
	s_and_saveexec_b32 s2, s0
	s_cbranch_execz .LBB1534_76
; %bb.75:
	ds_read_u8 v4, v1 offset:60
	ds_read_b32 v6, v1 offset:56
	v_mov_b32_e32 v16, v1
	s_add_u32 s4, s16, 0x200
	s_addc_u32 s5, s17, 0
	v_mov_b32_e32 v17, v1
	v_mov_b32_e32 v8, s5
	;; [unrolled: 1-line block ×3, first 2 shown]
	s_waitcnt lgkmcnt(1)
	v_and_b32_e32 v15, 0xffff, v4
	v_cmp_eq_u64_e32 vcc_lo, 0, v[15:16]
	v_mov_b32_e32 v16, 2
	v_cndmask_b32_e32 v4, 0, v3, vcc_lo
	s_waitcnt lgkmcnt(0)
	v_add_nc_u32_e32 v14, v4, v6
	v_mov_b32_e32 v6, v3
	;;#ASMSTART
	global_store_dwordx4 v[7:8], v[14:17] off	
s_waitcnt vmcnt(0)
	;;#ASMEND
.LBB1534_76:
	s_or_b32 exec_lo, exec_lo, s2
	v_add_nc_u32_e32 v7, v2, v13
.LBB1534_77:
	s_add_u32 s0, s14, s10
	s_addc_u32 s2, s15, s11
	v_add_co_u32 v8, vcc_lo, s0, v9
	v_add_co_ci_u32_e64 v9, null, s2, v10, vcc_lo
	v_mov_b32_e32 v3, 0
	s_and_b32 vcc_lo, exec_lo, s1
	s_cbranch_vccz .LBB1534_89
; %bb.78:
	v_mul_u32_u24_e32 v1, 3, v0
	v_mov_b32_e32 v4, 0
	v_mov_b32_e32 v2, 0
	s_add_i32 s12, s12, s18
	s_mov_b32 s0, exec_lo
	v_cmpx_gt_u32_e64 s12, v1
	s_cbranch_execz .LBB1534_84
; %bb.79:
	v_add_nc_u32_e32 v3, 1, v1
	v_mov_b32_e32 v2, 0
	v_mov_b32_e32 v4, 0
	s_mov_b32 s1, exec_lo
	v_cmpx_gt_u32_e64 s12, v3
	s_cbranch_execz .LBB1534_83
; %bb.80:
	v_add_nc_u32_e32 v2, 2, v1
	v_cmp_gt_u32_e32 vcc_lo, s12, v2
	v_mov_b32_e32 v2, 0
	s_and_saveexec_b32 s2, vcc_lo
; %bb.81:
	v_mov_b32_e32 v2, v7
; %bb.82:
	s_or_b32 exec_lo, exec_lo, s2
	v_mov_b32_e32 v4, v5
.LBB1534_83:
	s_or_b32 exec_lo, exec_lo, s1
	v_mov_b32_e32 v3, v6
.LBB1534_84:
	s_or_b32 exec_lo, exec_lo, s0
	v_lshlrev_b32_e32 v10, 2, v1
	s_barrier
	buffer_gl0_inv
	s_mov_b32 s0, exec_lo
	v_sub_nc_u32_e32 v1, v10, v21
	ds_write2_b32 v10, v3, v4 offset1:1
	ds_write_b32 v10, v2 offset:8
	s_waitcnt lgkmcnt(0)
	s_barrier
	buffer_gl0_inv
	ds_read2st64_b32 v[1:2], v1 offset0:4 offset1:8
	v_add_co_u32 v3, vcc_lo, v8, v20
	v_add_co_ci_u32_e64 v4, null, 0, v9, vcc_lo
	v_cmpx_gt_u32_e64 s12, v0
	s_cbranch_execz .LBB1534_86
; %bb.85:
	v_sub_nc_u32_e32 v11, 0, v21
	v_add_nc_u32_e32 v10, v10, v11
	ds_read_b32 v10, v10
	s_waitcnt lgkmcnt(0)
	flat_store_dword v[3:4], v10
.LBB1534_86:
	s_or_b32 exec_lo, exec_lo, s0
	v_or_b32_e32 v10, 0x100, v0
	s_mov_b32 s0, exec_lo
	v_cmpx_gt_u32_e64 s12, v10
	s_cbranch_execz .LBB1534_88
; %bb.87:
	s_waitcnt lgkmcnt(0)
	flat_store_dword v[3:4], v1 offset:1024
.LBB1534_88:
	s_or_b32 exec_lo, exec_lo, s0
	s_waitcnt lgkmcnt(0)
	v_or_b32_e32 v1, 0x200, v0
	v_cmp_gt_u32_e64 s0, s12, v1
	s_branch .LBB1534_91
.LBB1534_89:
	s_mov_b32 s0, 0
                                        ; implicit-def: $vgpr2
	s_cbranch_execz .LBB1534_91
; %bb.90:
	v_mul_u32_u24_e32 v1, 12, v0
	s_waitcnt_vscnt null, 0x0
	s_barrier
	buffer_gl0_inv
	s_or_b32 s0, s0, exec_lo
	v_sub_nc_u32_e32 v2, v1, v21
	ds_write2_b32 v1, v6, v5 offset1:1
	ds_write_b32 v1, v7 offset:8
	s_waitcnt lgkmcnt(0)
	s_barrier
	buffer_gl0_inv
	ds_read2st64_b32 v[3:4], v2 offset1:4
	ds_read_b32 v2, v2 offset:2048
	v_add_co_u32 v5, vcc_lo, v8, v20
	v_add_co_ci_u32_e64 v6, null, 0, v9, vcc_lo
	s_waitcnt lgkmcnt(1)
	flat_store_dword v[5:6], v3
	flat_store_dword v[5:6], v4 offset:1024
.LBB1534_91:
	s_and_saveexec_b32 s1, s0
	s_cbranch_execnz .LBB1534_93
; %bb.92:
	s_endpgm
.LBB1534_93:
	v_lshlrev_b32_e32 v0, 2, v0
	v_add_co_u32 v0, vcc_lo, v8, v0
	v_add_co_ci_u32_e64 v1, null, 0, v9, vcc_lo
	v_add_co_u32 v0, vcc_lo, 0x800, v0
	v_add_co_ci_u32_e64 v1, null, 0, v1, vcc_lo
	s_waitcnt lgkmcnt(2)
	flat_store_dword v[0:1], v2
	s_endpgm
.LBB1534_94:
	v_add_co_u32 v2, vcc_lo, v8, v12
	v_add_co_ci_u32_e64 v3, null, 0, v15, vcc_lo
	v_mov_b32_e32 v20, v1
	v_mov_b32_e32 v21, v1
	flat_load_dword v19, v[2:3]
	s_waitcnt vmcnt(0) lgkmcnt(0)
	v_mov_b32_e32 v1, v19
	v_mov_b32_e32 v2, v20
	;; [unrolled: 1-line block ×3, first 2 shown]
	s_or_b32 exec_lo, exec_lo, s4
	s_and_saveexec_b32 s4, s2
	s_cbranch_execz .LBB1534_15
.LBB1534_95:
	v_add_co_u32 v13, vcc_lo, v8, v12
	v_add_co_ci_u32_e64 v14, null, 0, v15, vcc_lo
	flat_load_dword v2, v[13:14] offset:1024
	s_or_b32 exec_lo, exec_lo, s4
	v_mul_u32_u24_e32 v19, 3, v0
	s_and_saveexec_b32 s2, s3
	s_cbranch_execnz .LBB1534_16
	s_branch .LBB1534_17
	.section	.rodata,"a",@progbits
	.p2align	6, 0x0
	.amdhsa_kernel _ZN7rocprim17ROCPRIM_400000_NS6detail17trampoline_kernelINS0_14default_configENS1_27scan_by_key_config_selectorIijEEZZNS1_16scan_by_key_implILNS1_25lookback_scan_determinismE0ELb1ES3_N6thrust23THRUST_200600_302600_NS6detail15normal_iteratorINS9_10device_ptrIiEEEENSB_INSC_IjEEEESG_jNS9_4plusIvEENS9_8equal_toIvEEjEE10hipError_tPvRmT2_T3_T4_T5_mT6_T7_P12ihipStream_tbENKUlT_T0_E_clISt17integral_constantIbLb0EES10_IbLb1EEEEDaSW_SX_EUlSW_E_NS1_11comp_targetILNS1_3genE8ELNS1_11target_archE1030ELNS1_3gpuE2ELNS1_3repE0EEENS1_30default_config_static_selectorELNS0_4arch9wavefront6targetE0EEEvT1_
		.amdhsa_group_segment_fixed_size 5120
		.amdhsa_private_segment_fixed_size 0
		.amdhsa_kernarg_size 112
		.amdhsa_user_sgpr_count 6
		.amdhsa_user_sgpr_private_segment_buffer 1
		.amdhsa_user_sgpr_dispatch_ptr 0
		.amdhsa_user_sgpr_queue_ptr 0
		.amdhsa_user_sgpr_kernarg_segment_ptr 1
		.amdhsa_user_sgpr_dispatch_id 0
		.amdhsa_user_sgpr_flat_scratch_init 0
		.amdhsa_user_sgpr_private_segment_size 0
		.amdhsa_wavefront_size32 1
		.amdhsa_uses_dynamic_stack 0
		.amdhsa_system_sgpr_private_segment_wavefront_offset 0
		.amdhsa_system_sgpr_workgroup_id_x 1
		.amdhsa_system_sgpr_workgroup_id_y 0
		.amdhsa_system_sgpr_workgroup_id_z 0
		.amdhsa_system_sgpr_workgroup_info 0
		.amdhsa_system_vgpr_workitem_id 0
		.amdhsa_next_free_vgpr 44
		.amdhsa_next_free_sgpr 24
		.amdhsa_reserve_vcc 1
		.amdhsa_reserve_flat_scratch 1
		.amdhsa_float_round_mode_32 0
		.amdhsa_float_round_mode_16_64 0
		.amdhsa_float_denorm_mode_32 3
		.amdhsa_float_denorm_mode_16_64 3
		.amdhsa_dx10_clamp 1
		.amdhsa_ieee_mode 1
		.amdhsa_fp16_overflow 0
		.amdhsa_workgroup_processor_mode 1
		.amdhsa_memory_ordered 1
		.amdhsa_forward_progress 1
		.amdhsa_shared_vgpr_count 0
		.amdhsa_exception_fp_ieee_invalid_op 0
		.amdhsa_exception_fp_denorm_src 0
		.amdhsa_exception_fp_ieee_div_zero 0
		.amdhsa_exception_fp_ieee_overflow 0
		.amdhsa_exception_fp_ieee_underflow 0
		.amdhsa_exception_fp_ieee_inexact 0
		.amdhsa_exception_int_div_zero 0
	.end_amdhsa_kernel
	.section	.text._ZN7rocprim17ROCPRIM_400000_NS6detail17trampoline_kernelINS0_14default_configENS1_27scan_by_key_config_selectorIijEEZZNS1_16scan_by_key_implILNS1_25lookback_scan_determinismE0ELb1ES3_N6thrust23THRUST_200600_302600_NS6detail15normal_iteratorINS9_10device_ptrIiEEEENSB_INSC_IjEEEESG_jNS9_4plusIvEENS9_8equal_toIvEEjEE10hipError_tPvRmT2_T3_T4_T5_mT6_T7_P12ihipStream_tbENKUlT_T0_E_clISt17integral_constantIbLb0EES10_IbLb1EEEEDaSW_SX_EUlSW_E_NS1_11comp_targetILNS1_3genE8ELNS1_11target_archE1030ELNS1_3gpuE2ELNS1_3repE0EEENS1_30default_config_static_selectorELNS0_4arch9wavefront6targetE0EEEvT1_,"axG",@progbits,_ZN7rocprim17ROCPRIM_400000_NS6detail17trampoline_kernelINS0_14default_configENS1_27scan_by_key_config_selectorIijEEZZNS1_16scan_by_key_implILNS1_25lookback_scan_determinismE0ELb1ES3_N6thrust23THRUST_200600_302600_NS6detail15normal_iteratorINS9_10device_ptrIiEEEENSB_INSC_IjEEEESG_jNS9_4plusIvEENS9_8equal_toIvEEjEE10hipError_tPvRmT2_T3_T4_T5_mT6_T7_P12ihipStream_tbENKUlT_T0_E_clISt17integral_constantIbLb0EES10_IbLb1EEEEDaSW_SX_EUlSW_E_NS1_11comp_targetILNS1_3genE8ELNS1_11target_archE1030ELNS1_3gpuE2ELNS1_3repE0EEENS1_30default_config_static_selectorELNS0_4arch9wavefront6targetE0EEEvT1_,comdat
.Lfunc_end1534:
	.size	_ZN7rocprim17ROCPRIM_400000_NS6detail17trampoline_kernelINS0_14default_configENS1_27scan_by_key_config_selectorIijEEZZNS1_16scan_by_key_implILNS1_25lookback_scan_determinismE0ELb1ES3_N6thrust23THRUST_200600_302600_NS6detail15normal_iteratorINS9_10device_ptrIiEEEENSB_INSC_IjEEEESG_jNS9_4plusIvEENS9_8equal_toIvEEjEE10hipError_tPvRmT2_T3_T4_T5_mT6_T7_P12ihipStream_tbENKUlT_T0_E_clISt17integral_constantIbLb0EES10_IbLb1EEEEDaSW_SX_EUlSW_E_NS1_11comp_targetILNS1_3genE8ELNS1_11target_archE1030ELNS1_3gpuE2ELNS1_3repE0EEENS1_30default_config_static_selectorELNS0_4arch9wavefront6targetE0EEEvT1_, .Lfunc_end1534-_ZN7rocprim17ROCPRIM_400000_NS6detail17trampoline_kernelINS0_14default_configENS1_27scan_by_key_config_selectorIijEEZZNS1_16scan_by_key_implILNS1_25lookback_scan_determinismE0ELb1ES3_N6thrust23THRUST_200600_302600_NS6detail15normal_iteratorINS9_10device_ptrIiEEEENSB_INSC_IjEEEESG_jNS9_4plusIvEENS9_8equal_toIvEEjEE10hipError_tPvRmT2_T3_T4_T5_mT6_T7_P12ihipStream_tbENKUlT_T0_E_clISt17integral_constantIbLb0EES10_IbLb1EEEEDaSW_SX_EUlSW_E_NS1_11comp_targetILNS1_3genE8ELNS1_11target_archE1030ELNS1_3gpuE2ELNS1_3repE0EEENS1_30default_config_static_selectorELNS0_4arch9wavefront6targetE0EEEvT1_
                                        ; -- End function
	.set _ZN7rocprim17ROCPRIM_400000_NS6detail17trampoline_kernelINS0_14default_configENS1_27scan_by_key_config_selectorIijEEZZNS1_16scan_by_key_implILNS1_25lookback_scan_determinismE0ELb1ES3_N6thrust23THRUST_200600_302600_NS6detail15normal_iteratorINS9_10device_ptrIiEEEENSB_INSC_IjEEEESG_jNS9_4plusIvEENS9_8equal_toIvEEjEE10hipError_tPvRmT2_T3_T4_T5_mT6_T7_P12ihipStream_tbENKUlT_T0_E_clISt17integral_constantIbLb0EES10_IbLb1EEEEDaSW_SX_EUlSW_E_NS1_11comp_targetILNS1_3genE8ELNS1_11target_archE1030ELNS1_3gpuE2ELNS1_3repE0EEENS1_30default_config_static_selectorELNS0_4arch9wavefront6targetE0EEEvT1_.num_vgpr, 44
	.set _ZN7rocprim17ROCPRIM_400000_NS6detail17trampoline_kernelINS0_14default_configENS1_27scan_by_key_config_selectorIijEEZZNS1_16scan_by_key_implILNS1_25lookback_scan_determinismE0ELb1ES3_N6thrust23THRUST_200600_302600_NS6detail15normal_iteratorINS9_10device_ptrIiEEEENSB_INSC_IjEEEESG_jNS9_4plusIvEENS9_8equal_toIvEEjEE10hipError_tPvRmT2_T3_T4_T5_mT6_T7_P12ihipStream_tbENKUlT_T0_E_clISt17integral_constantIbLb0EES10_IbLb1EEEEDaSW_SX_EUlSW_E_NS1_11comp_targetILNS1_3genE8ELNS1_11target_archE1030ELNS1_3gpuE2ELNS1_3repE0EEENS1_30default_config_static_selectorELNS0_4arch9wavefront6targetE0EEEvT1_.num_agpr, 0
	.set _ZN7rocprim17ROCPRIM_400000_NS6detail17trampoline_kernelINS0_14default_configENS1_27scan_by_key_config_selectorIijEEZZNS1_16scan_by_key_implILNS1_25lookback_scan_determinismE0ELb1ES3_N6thrust23THRUST_200600_302600_NS6detail15normal_iteratorINS9_10device_ptrIiEEEENSB_INSC_IjEEEESG_jNS9_4plusIvEENS9_8equal_toIvEEjEE10hipError_tPvRmT2_T3_T4_T5_mT6_T7_P12ihipStream_tbENKUlT_T0_E_clISt17integral_constantIbLb0EES10_IbLb1EEEEDaSW_SX_EUlSW_E_NS1_11comp_targetILNS1_3genE8ELNS1_11target_archE1030ELNS1_3gpuE2ELNS1_3repE0EEENS1_30default_config_static_selectorELNS0_4arch9wavefront6targetE0EEEvT1_.numbered_sgpr, 24
	.set _ZN7rocprim17ROCPRIM_400000_NS6detail17trampoline_kernelINS0_14default_configENS1_27scan_by_key_config_selectorIijEEZZNS1_16scan_by_key_implILNS1_25lookback_scan_determinismE0ELb1ES3_N6thrust23THRUST_200600_302600_NS6detail15normal_iteratorINS9_10device_ptrIiEEEENSB_INSC_IjEEEESG_jNS9_4plusIvEENS9_8equal_toIvEEjEE10hipError_tPvRmT2_T3_T4_T5_mT6_T7_P12ihipStream_tbENKUlT_T0_E_clISt17integral_constantIbLb0EES10_IbLb1EEEEDaSW_SX_EUlSW_E_NS1_11comp_targetILNS1_3genE8ELNS1_11target_archE1030ELNS1_3gpuE2ELNS1_3repE0EEENS1_30default_config_static_selectorELNS0_4arch9wavefront6targetE0EEEvT1_.num_named_barrier, 0
	.set _ZN7rocprim17ROCPRIM_400000_NS6detail17trampoline_kernelINS0_14default_configENS1_27scan_by_key_config_selectorIijEEZZNS1_16scan_by_key_implILNS1_25lookback_scan_determinismE0ELb1ES3_N6thrust23THRUST_200600_302600_NS6detail15normal_iteratorINS9_10device_ptrIiEEEENSB_INSC_IjEEEESG_jNS9_4plusIvEENS9_8equal_toIvEEjEE10hipError_tPvRmT2_T3_T4_T5_mT6_T7_P12ihipStream_tbENKUlT_T0_E_clISt17integral_constantIbLb0EES10_IbLb1EEEEDaSW_SX_EUlSW_E_NS1_11comp_targetILNS1_3genE8ELNS1_11target_archE1030ELNS1_3gpuE2ELNS1_3repE0EEENS1_30default_config_static_selectorELNS0_4arch9wavefront6targetE0EEEvT1_.private_seg_size, 0
	.set _ZN7rocprim17ROCPRIM_400000_NS6detail17trampoline_kernelINS0_14default_configENS1_27scan_by_key_config_selectorIijEEZZNS1_16scan_by_key_implILNS1_25lookback_scan_determinismE0ELb1ES3_N6thrust23THRUST_200600_302600_NS6detail15normal_iteratorINS9_10device_ptrIiEEEENSB_INSC_IjEEEESG_jNS9_4plusIvEENS9_8equal_toIvEEjEE10hipError_tPvRmT2_T3_T4_T5_mT6_T7_P12ihipStream_tbENKUlT_T0_E_clISt17integral_constantIbLb0EES10_IbLb1EEEEDaSW_SX_EUlSW_E_NS1_11comp_targetILNS1_3genE8ELNS1_11target_archE1030ELNS1_3gpuE2ELNS1_3repE0EEENS1_30default_config_static_selectorELNS0_4arch9wavefront6targetE0EEEvT1_.uses_vcc, 1
	.set _ZN7rocprim17ROCPRIM_400000_NS6detail17trampoline_kernelINS0_14default_configENS1_27scan_by_key_config_selectorIijEEZZNS1_16scan_by_key_implILNS1_25lookback_scan_determinismE0ELb1ES3_N6thrust23THRUST_200600_302600_NS6detail15normal_iteratorINS9_10device_ptrIiEEEENSB_INSC_IjEEEESG_jNS9_4plusIvEENS9_8equal_toIvEEjEE10hipError_tPvRmT2_T3_T4_T5_mT6_T7_P12ihipStream_tbENKUlT_T0_E_clISt17integral_constantIbLb0EES10_IbLb1EEEEDaSW_SX_EUlSW_E_NS1_11comp_targetILNS1_3genE8ELNS1_11target_archE1030ELNS1_3gpuE2ELNS1_3repE0EEENS1_30default_config_static_selectorELNS0_4arch9wavefront6targetE0EEEvT1_.uses_flat_scratch, 1
	.set _ZN7rocprim17ROCPRIM_400000_NS6detail17trampoline_kernelINS0_14default_configENS1_27scan_by_key_config_selectorIijEEZZNS1_16scan_by_key_implILNS1_25lookback_scan_determinismE0ELb1ES3_N6thrust23THRUST_200600_302600_NS6detail15normal_iteratorINS9_10device_ptrIiEEEENSB_INSC_IjEEEESG_jNS9_4plusIvEENS9_8equal_toIvEEjEE10hipError_tPvRmT2_T3_T4_T5_mT6_T7_P12ihipStream_tbENKUlT_T0_E_clISt17integral_constantIbLb0EES10_IbLb1EEEEDaSW_SX_EUlSW_E_NS1_11comp_targetILNS1_3genE8ELNS1_11target_archE1030ELNS1_3gpuE2ELNS1_3repE0EEENS1_30default_config_static_selectorELNS0_4arch9wavefront6targetE0EEEvT1_.has_dyn_sized_stack, 0
	.set _ZN7rocprim17ROCPRIM_400000_NS6detail17trampoline_kernelINS0_14default_configENS1_27scan_by_key_config_selectorIijEEZZNS1_16scan_by_key_implILNS1_25lookback_scan_determinismE0ELb1ES3_N6thrust23THRUST_200600_302600_NS6detail15normal_iteratorINS9_10device_ptrIiEEEENSB_INSC_IjEEEESG_jNS9_4plusIvEENS9_8equal_toIvEEjEE10hipError_tPvRmT2_T3_T4_T5_mT6_T7_P12ihipStream_tbENKUlT_T0_E_clISt17integral_constantIbLb0EES10_IbLb1EEEEDaSW_SX_EUlSW_E_NS1_11comp_targetILNS1_3genE8ELNS1_11target_archE1030ELNS1_3gpuE2ELNS1_3repE0EEENS1_30default_config_static_selectorELNS0_4arch9wavefront6targetE0EEEvT1_.has_recursion, 0
	.set _ZN7rocprim17ROCPRIM_400000_NS6detail17trampoline_kernelINS0_14default_configENS1_27scan_by_key_config_selectorIijEEZZNS1_16scan_by_key_implILNS1_25lookback_scan_determinismE0ELb1ES3_N6thrust23THRUST_200600_302600_NS6detail15normal_iteratorINS9_10device_ptrIiEEEENSB_INSC_IjEEEESG_jNS9_4plusIvEENS9_8equal_toIvEEjEE10hipError_tPvRmT2_T3_T4_T5_mT6_T7_P12ihipStream_tbENKUlT_T0_E_clISt17integral_constantIbLb0EES10_IbLb1EEEEDaSW_SX_EUlSW_E_NS1_11comp_targetILNS1_3genE8ELNS1_11target_archE1030ELNS1_3gpuE2ELNS1_3repE0EEENS1_30default_config_static_selectorELNS0_4arch9wavefront6targetE0EEEvT1_.has_indirect_call, 0
	.section	.AMDGPU.csdata,"",@progbits
; Kernel info:
; codeLenInByte = 6348
; TotalNumSgprs: 26
; NumVgprs: 44
; ScratchSize: 0
; MemoryBound: 0
; FloatMode: 240
; IeeeMode: 1
; LDSByteSize: 5120 bytes/workgroup (compile time only)
; SGPRBlocks: 0
; VGPRBlocks: 5
; NumSGPRsForWavesPerEU: 26
; NumVGPRsForWavesPerEU: 44
; Occupancy: 16
; WaveLimiterHint : 1
; COMPUTE_PGM_RSRC2:SCRATCH_EN: 0
; COMPUTE_PGM_RSRC2:USER_SGPR: 6
; COMPUTE_PGM_RSRC2:TRAP_HANDLER: 0
; COMPUTE_PGM_RSRC2:TGID_X_EN: 1
; COMPUTE_PGM_RSRC2:TGID_Y_EN: 0
; COMPUTE_PGM_RSRC2:TGID_Z_EN: 0
; COMPUTE_PGM_RSRC2:TIDIG_COMP_CNT: 0
	.section	.text._ZN7rocprim17ROCPRIM_400000_NS6detail17trampoline_kernelINS0_14default_configENS1_27scan_by_key_config_selectorIitEEZZNS1_16scan_by_key_implILNS1_25lookback_scan_determinismE0ELb1ES3_N6thrust23THRUST_200600_302600_NS6detail15normal_iteratorINS9_10device_ptrIiEEEENSB_INSC_ItEEEESG_tNS9_4plusIvEENS9_8equal_toIvEEtEE10hipError_tPvRmT2_T3_T4_T5_mT6_T7_P12ihipStream_tbENKUlT_T0_E_clISt17integral_constantIbLb0EES11_EEDaSW_SX_EUlSW_E_NS1_11comp_targetILNS1_3genE0ELNS1_11target_archE4294967295ELNS1_3gpuE0ELNS1_3repE0EEENS1_30default_config_static_selectorELNS0_4arch9wavefront6targetE0EEEvT1_,"axG",@progbits,_ZN7rocprim17ROCPRIM_400000_NS6detail17trampoline_kernelINS0_14default_configENS1_27scan_by_key_config_selectorIitEEZZNS1_16scan_by_key_implILNS1_25lookback_scan_determinismE0ELb1ES3_N6thrust23THRUST_200600_302600_NS6detail15normal_iteratorINS9_10device_ptrIiEEEENSB_INSC_ItEEEESG_tNS9_4plusIvEENS9_8equal_toIvEEtEE10hipError_tPvRmT2_T3_T4_T5_mT6_T7_P12ihipStream_tbENKUlT_T0_E_clISt17integral_constantIbLb0EES11_EEDaSW_SX_EUlSW_E_NS1_11comp_targetILNS1_3genE0ELNS1_11target_archE4294967295ELNS1_3gpuE0ELNS1_3repE0EEENS1_30default_config_static_selectorELNS0_4arch9wavefront6targetE0EEEvT1_,comdat
	.protected	_ZN7rocprim17ROCPRIM_400000_NS6detail17trampoline_kernelINS0_14default_configENS1_27scan_by_key_config_selectorIitEEZZNS1_16scan_by_key_implILNS1_25lookback_scan_determinismE0ELb1ES3_N6thrust23THRUST_200600_302600_NS6detail15normal_iteratorINS9_10device_ptrIiEEEENSB_INSC_ItEEEESG_tNS9_4plusIvEENS9_8equal_toIvEEtEE10hipError_tPvRmT2_T3_T4_T5_mT6_T7_P12ihipStream_tbENKUlT_T0_E_clISt17integral_constantIbLb0EES11_EEDaSW_SX_EUlSW_E_NS1_11comp_targetILNS1_3genE0ELNS1_11target_archE4294967295ELNS1_3gpuE0ELNS1_3repE0EEENS1_30default_config_static_selectorELNS0_4arch9wavefront6targetE0EEEvT1_ ; -- Begin function _ZN7rocprim17ROCPRIM_400000_NS6detail17trampoline_kernelINS0_14default_configENS1_27scan_by_key_config_selectorIitEEZZNS1_16scan_by_key_implILNS1_25lookback_scan_determinismE0ELb1ES3_N6thrust23THRUST_200600_302600_NS6detail15normal_iteratorINS9_10device_ptrIiEEEENSB_INSC_ItEEEESG_tNS9_4plusIvEENS9_8equal_toIvEEtEE10hipError_tPvRmT2_T3_T4_T5_mT6_T7_P12ihipStream_tbENKUlT_T0_E_clISt17integral_constantIbLb0EES11_EEDaSW_SX_EUlSW_E_NS1_11comp_targetILNS1_3genE0ELNS1_11target_archE4294967295ELNS1_3gpuE0ELNS1_3repE0EEENS1_30default_config_static_selectorELNS0_4arch9wavefront6targetE0EEEvT1_
	.globl	_ZN7rocprim17ROCPRIM_400000_NS6detail17trampoline_kernelINS0_14default_configENS1_27scan_by_key_config_selectorIitEEZZNS1_16scan_by_key_implILNS1_25lookback_scan_determinismE0ELb1ES3_N6thrust23THRUST_200600_302600_NS6detail15normal_iteratorINS9_10device_ptrIiEEEENSB_INSC_ItEEEESG_tNS9_4plusIvEENS9_8equal_toIvEEtEE10hipError_tPvRmT2_T3_T4_T5_mT6_T7_P12ihipStream_tbENKUlT_T0_E_clISt17integral_constantIbLb0EES11_EEDaSW_SX_EUlSW_E_NS1_11comp_targetILNS1_3genE0ELNS1_11target_archE4294967295ELNS1_3gpuE0ELNS1_3repE0EEENS1_30default_config_static_selectorELNS0_4arch9wavefront6targetE0EEEvT1_
	.p2align	8
	.type	_ZN7rocprim17ROCPRIM_400000_NS6detail17trampoline_kernelINS0_14default_configENS1_27scan_by_key_config_selectorIitEEZZNS1_16scan_by_key_implILNS1_25lookback_scan_determinismE0ELb1ES3_N6thrust23THRUST_200600_302600_NS6detail15normal_iteratorINS9_10device_ptrIiEEEENSB_INSC_ItEEEESG_tNS9_4plusIvEENS9_8equal_toIvEEtEE10hipError_tPvRmT2_T3_T4_T5_mT6_T7_P12ihipStream_tbENKUlT_T0_E_clISt17integral_constantIbLb0EES11_EEDaSW_SX_EUlSW_E_NS1_11comp_targetILNS1_3genE0ELNS1_11target_archE4294967295ELNS1_3gpuE0ELNS1_3repE0EEENS1_30default_config_static_selectorELNS0_4arch9wavefront6targetE0EEEvT1_,@function
_ZN7rocprim17ROCPRIM_400000_NS6detail17trampoline_kernelINS0_14default_configENS1_27scan_by_key_config_selectorIitEEZZNS1_16scan_by_key_implILNS1_25lookback_scan_determinismE0ELb1ES3_N6thrust23THRUST_200600_302600_NS6detail15normal_iteratorINS9_10device_ptrIiEEEENSB_INSC_ItEEEESG_tNS9_4plusIvEENS9_8equal_toIvEEtEE10hipError_tPvRmT2_T3_T4_T5_mT6_T7_P12ihipStream_tbENKUlT_T0_E_clISt17integral_constantIbLb0EES11_EEDaSW_SX_EUlSW_E_NS1_11comp_targetILNS1_3genE0ELNS1_11target_archE4294967295ELNS1_3gpuE0ELNS1_3repE0EEENS1_30default_config_static_selectorELNS0_4arch9wavefront6targetE0EEEvT1_: ; @_ZN7rocprim17ROCPRIM_400000_NS6detail17trampoline_kernelINS0_14default_configENS1_27scan_by_key_config_selectorIitEEZZNS1_16scan_by_key_implILNS1_25lookback_scan_determinismE0ELb1ES3_N6thrust23THRUST_200600_302600_NS6detail15normal_iteratorINS9_10device_ptrIiEEEENSB_INSC_ItEEEESG_tNS9_4plusIvEENS9_8equal_toIvEEtEE10hipError_tPvRmT2_T3_T4_T5_mT6_T7_P12ihipStream_tbENKUlT_T0_E_clISt17integral_constantIbLb0EES11_EEDaSW_SX_EUlSW_E_NS1_11comp_targetILNS1_3genE0ELNS1_11target_archE4294967295ELNS1_3gpuE0ELNS1_3repE0EEENS1_30default_config_static_selectorELNS0_4arch9wavefront6targetE0EEEvT1_
; %bb.0:
	.section	.rodata,"a",@progbits
	.p2align	6, 0x0
	.amdhsa_kernel _ZN7rocprim17ROCPRIM_400000_NS6detail17trampoline_kernelINS0_14default_configENS1_27scan_by_key_config_selectorIitEEZZNS1_16scan_by_key_implILNS1_25lookback_scan_determinismE0ELb1ES3_N6thrust23THRUST_200600_302600_NS6detail15normal_iteratorINS9_10device_ptrIiEEEENSB_INSC_ItEEEESG_tNS9_4plusIvEENS9_8equal_toIvEEtEE10hipError_tPvRmT2_T3_T4_T5_mT6_T7_P12ihipStream_tbENKUlT_T0_E_clISt17integral_constantIbLb0EES11_EEDaSW_SX_EUlSW_E_NS1_11comp_targetILNS1_3genE0ELNS1_11target_archE4294967295ELNS1_3gpuE0ELNS1_3repE0EEENS1_30default_config_static_selectorELNS0_4arch9wavefront6targetE0EEEvT1_
		.amdhsa_group_segment_fixed_size 0
		.amdhsa_private_segment_fixed_size 0
		.amdhsa_kernarg_size 112
		.amdhsa_user_sgpr_count 6
		.amdhsa_user_sgpr_private_segment_buffer 1
		.amdhsa_user_sgpr_dispatch_ptr 0
		.amdhsa_user_sgpr_queue_ptr 0
		.amdhsa_user_sgpr_kernarg_segment_ptr 1
		.amdhsa_user_sgpr_dispatch_id 0
		.amdhsa_user_sgpr_flat_scratch_init 0
		.amdhsa_user_sgpr_private_segment_size 0
		.amdhsa_wavefront_size32 1
		.amdhsa_uses_dynamic_stack 0
		.amdhsa_system_sgpr_private_segment_wavefront_offset 0
		.amdhsa_system_sgpr_workgroup_id_x 1
		.amdhsa_system_sgpr_workgroup_id_y 0
		.amdhsa_system_sgpr_workgroup_id_z 0
		.amdhsa_system_sgpr_workgroup_info 0
		.amdhsa_system_vgpr_workitem_id 0
		.amdhsa_next_free_vgpr 1
		.amdhsa_next_free_sgpr 1
		.amdhsa_reserve_vcc 0
		.amdhsa_reserve_flat_scratch 0
		.amdhsa_float_round_mode_32 0
		.amdhsa_float_round_mode_16_64 0
		.amdhsa_float_denorm_mode_32 3
		.amdhsa_float_denorm_mode_16_64 3
		.amdhsa_dx10_clamp 1
		.amdhsa_ieee_mode 1
		.amdhsa_fp16_overflow 0
		.amdhsa_workgroup_processor_mode 1
		.amdhsa_memory_ordered 1
		.amdhsa_forward_progress 1
		.amdhsa_shared_vgpr_count 0
		.amdhsa_exception_fp_ieee_invalid_op 0
		.amdhsa_exception_fp_denorm_src 0
		.amdhsa_exception_fp_ieee_div_zero 0
		.amdhsa_exception_fp_ieee_overflow 0
		.amdhsa_exception_fp_ieee_underflow 0
		.amdhsa_exception_fp_ieee_inexact 0
		.amdhsa_exception_int_div_zero 0
	.end_amdhsa_kernel
	.section	.text._ZN7rocprim17ROCPRIM_400000_NS6detail17trampoline_kernelINS0_14default_configENS1_27scan_by_key_config_selectorIitEEZZNS1_16scan_by_key_implILNS1_25lookback_scan_determinismE0ELb1ES3_N6thrust23THRUST_200600_302600_NS6detail15normal_iteratorINS9_10device_ptrIiEEEENSB_INSC_ItEEEESG_tNS9_4plusIvEENS9_8equal_toIvEEtEE10hipError_tPvRmT2_T3_T4_T5_mT6_T7_P12ihipStream_tbENKUlT_T0_E_clISt17integral_constantIbLb0EES11_EEDaSW_SX_EUlSW_E_NS1_11comp_targetILNS1_3genE0ELNS1_11target_archE4294967295ELNS1_3gpuE0ELNS1_3repE0EEENS1_30default_config_static_selectorELNS0_4arch9wavefront6targetE0EEEvT1_,"axG",@progbits,_ZN7rocprim17ROCPRIM_400000_NS6detail17trampoline_kernelINS0_14default_configENS1_27scan_by_key_config_selectorIitEEZZNS1_16scan_by_key_implILNS1_25lookback_scan_determinismE0ELb1ES3_N6thrust23THRUST_200600_302600_NS6detail15normal_iteratorINS9_10device_ptrIiEEEENSB_INSC_ItEEEESG_tNS9_4plusIvEENS9_8equal_toIvEEtEE10hipError_tPvRmT2_T3_T4_T5_mT6_T7_P12ihipStream_tbENKUlT_T0_E_clISt17integral_constantIbLb0EES11_EEDaSW_SX_EUlSW_E_NS1_11comp_targetILNS1_3genE0ELNS1_11target_archE4294967295ELNS1_3gpuE0ELNS1_3repE0EEENS1_30default_config_static_selectorELNS0_4arch9wavefront6targetE0EEEvT1_,comdat
.Lfunc_end1535:
	.size	_ZN7rocprim17ROCPRIM_400000_NS6detail17trampoline_kernelINS0_14default_configENS1_27scan_by_key_config_selectorIitEEZZNS1_16scan_by_key_implILNS1_25lookback_scan_determinismE0ELb1ES3_N6thrust23THRUST_200600_302600_NS6detail15normal_iteratorINS9_10device_ptrIiEEEENSB_INSC_ItEEEESG_tNS9_4plusIvEENS9_8equal_toIvEEtEE10hipError_tPvRmT2_T3_T4_T5_mT6_T7_P12ihipStream_tbENKUlT_T0_E_clISt17integral_constantIbLb0EES11_EEDaSW_SX_EUlSW_E_NS1_11comp_targetILNS1_3genE0ELNS1_11target_archE4294967295ELNS1_3gpuE0ELNS1_3repE0EEENS1_30default_config_static_selectorELNS0_4arch9wavefront6targetE0EEEvT1_, .Lfunc_end1535-_ZN7rocprim17ROCPRIM_400000_NS6detail17trampoline_kernelINS0_14default_configENS1_27scan_by_key_config_selectorIitEEZZNS1_16scan_by_key_implILNS1_25lookback_scan_determinismE0ELb1ES3_N6thrust23THRUST_200600_302600_NS6detail15normal_iteratorINS9_10device_ptrIiEEEENSB_INSC_ItEEEESG_tNS9_4plusIvEENS9_8equal_toIvEEtEE10hipError_tPvRmT2_T3_T4_T5_mT6_T7_P12ihipStream_tbENKUlT_T0_E_clISt17integral_constantIbLb0EES11_EEDaSW_SX_EUlSW_E_NS1_11comp_targetILNS1_3genE0ELNS1_11target_archE4294967295ELNS1_3gpuE0ELNS1_3repE0EEENS1_30default_config_static_selectorELNS0_4arch9wavefront6targetE0EEEvT1_
                                        ; -- End function
	.set _ZN7rocprim17ROCPRIM_400000_NS6detail17trampoline_kernelINS0_14default_configENS1_27scan_by_key_config_selectorIitEEZZNS1_16scan_by_key_implILNS1_25lookback_scan_determinismE0ELb1ES3_N6thrust23THRUST_200600_302600_NS6detail15normal_iteratorINS9_10device_ptrIiEEEENSB_INSC_ItEEEESG_tNS9_4plusIvEENS9_8equal_toIvEEtEE10hipError_tPvRmT2_T3_T4_T5_mT6_T7_P12ihipStream_tbENKUlT_T0_E_clISt17integral_constantIbLb0EES11_EEDaSW_SX_EUlSW_E_NS1_11comp_targetILNS1_3genE0ELNS1_11target_archE4294967295ELNS1_3gpuE0ELNS1_3repE0EEENS1_30default_config_static_selectorELNS0_4arch9wavefront6targetE0EEEvT1_.num_vgpr, 0
	.set _ZN7rocprim17ROCPRIM_400000_NS6detail17trampoline_kernelINS0_14default_configENS1_27scan_by_key_config_selectorIitEEZZNS1_16scan_by_key_implILNS1_25lookback_scan_determinismE0ELb1ES3_N6thrust23THRUST_200600_302600_NS6detail15normal_iteratorINS9_10device_ptrIiEEEENSB_INSC_ItEEEESG_tNS9_4plusIvEENS9_8equal_toIvEEtEE10hipError_tPvRmT2_T3_T4_T5_mT6_T7_P12ihipStream_tbENKUlT_T0_E_clISt17integral_constantIbLb0EES11_EEDaSW_SX_EUlSW_E_NS1_11comp_targetILNS1_3genE0ELNS1_11target_archE4294967295ELNS1_3gpuE0ELNS1_3repE0EEENS1_30default_config_static_selectorELNS0_4arch9wavefront6targetE0EEEvT1_.num_agpr, 0
	.set _ZN7rocprim17ROCPRIM_400000_NS6detail17trampoline_kernelINS0_14default_configENS1_27scan_by_key_config_selectorIitEEZZNS1_16scan_by_key_implILNS1_25lookback_scan_determinismE0ELb1ES3_N6thrust23THRUST_200600_302600_NS6detail15normal_iteratorINS9_10device_ptrIiEEEENSB_INSC_ItEEEESG_tNS9_4plusIvEENS9_8equal_toIvEEtEE10hipError_tPvRmT2_T3_T4_T5_mT6_T7_P12ihipStream_tbENKUlT_T0_E_clISt17integral_constantIbLb0EES11_EEDaSW_SX_EUlSW_E_NS1_11comp_targetILNS1_3genE0ELNS1_11target_archE4294967295ELNS1_3gpuE0ELNS1_3repE0EEENS1_30default_config_static_selectorELNS0_4arch9wavefront6targetE0EEEvT1_.numbered_sgpr, 0
	.set _ZN7rocprim17ROCPRIM_400000_NS6detail17trampoline_kernelINS0_14default_configENS1_27scan_by_key_config_selectorIitEEZZNS1_16scan_by_key_implILNS1_25lookback_scan_determinismE0ELb1ES3_N6thrust23THRUST_200600_302600_NS6detail15normal_iteratorINS9_10device_ptrIiEEEENSB_INSC_ItEEEESG_tNS9_4plusIvEENS9_8equal_toIvEEtEE10hipError_tPvRmT2_T3_T4_T5_mT6_T7_P12ihipStream_tbENKUlT_T0_E_clISt17integral_constantIbLb0EES11_EEDaSW_SX_EUlSW_E_NS1_11comp_targetILNS1_3genE0ELNS1_11target_archE4294967295ELNS1_3gpuE0ELNS1_3repE0EEENS1_30default_config_static_selectorELNS0_4arch9wavefront6targetE0EEEvT1_.num_named_barrier, 0
	.set _ZN7rocprim17ROCPRIM_400000_NS6detail17trampoline_kernelINS0_14default_configENS1_27scan_by_key_config_selectorIitEEZZNS1_16scan_by_key_implILNS1_25lookback_scan_determinismE0ELb1ES3_N6thrust23THRUST_200600_302600_NS6detail15normal_iteratorINS9_10device_ptrIiEEEENSB_INSC_ItEEEESG_tNS9_4plusIvEENS9_8equal_toIvEEtEE10hipError_tPvRmT2_T3_T4_T5_mT6_T7_P12ihipStream_tbENKUlT_T0_E_clISt17integral_constantIbLb0EES11_EEDaSW_SX_EUlSW_E_NS1_11comp_targetILNS1_3genE0ELNS1_11target_archE4294967295ELNS1_3gpuE0ELNS1_3repE0EEENS1_30default_config_static_selectorELNS0_4arch9wavefront6targetE0EEEvT1_.private_seg_size, 0
	.set _ZN7rocprim17ROCPRIM_400000_NS6detail17trampoline_kernelINS0_14default_configENS1_27scan_by_key_config_selectorIitEEZZNS1_16scan_by_key_implILNS1_25lookback_scan_determinismE0ELb1ES3_N6thrust23THRUST_200600_302600_NS6detail15normal_iteratorINS9_10device_ptrIiEEEENSB_INSC_ItEEEESG_tNS9_4plusIvEENS9_8equal_toIvEEtEE10hipError_tPvRmT2_T3_T4_T5_mT6_T7_P12ihipStream_tbENKUlT_T0_E_clISt17integral_constantIbLb0EES11_EEDaSW_SX_EUlSW_E_NS1_11comp_targetILNS1_3genE0ELNS1_11target_archE4294967295ELNS1_3gpuE0ELNS1_3repE0EEENS1_30default_config_static_selectorELNS0_4arch9wavefront6targetE0EEEvT1_.uses_vcc, 0
	.set _ZN7rocprim17ROCPRIM_400000_NS6detail17trampoline_kernelINS0_14default_configENS1_27scan_by_key_config_selectorIitEEZZNS1_16scan_by_key_implILNS1_25lookback_scan_determinismE0ELb1ES3_N6thrust23THRUST_200600_302600_NS6detail15normal_iteratorINS9_10device_ptrIiEEEENSB_INSC_ItEEEESG_tNS9_4plusIvEENS9_8equal_toIvEEtEE10hipError_tPvRmT2_T3_T4_T5_mT6_T7_P12ihipStream_tbENKUlT_T0_E_clISt17integral_constantIbLb0EES11_EEDaSW_SX_EUlSW_E_NS1_11comp_targetILNS1_3genE0ELNS1_11target_archE4294967295ELNS1_3gpuE0ELNS1_3repE0EEENS1_30default_config_static_selectorELNS0_4arch9wavefront6targetE0EEEvT1_.uses_flat_scratch, 0
	.set _ZN7rocprim17ROCPRIM_400000_NS6detail17trampoline_kernelINS0_14default_configENS1_27scan_by_key_config_selectorIitEEZZNS1_16scan_by_key_implILNS1_25lookback_scan_determinismE0ELb1ES3_N6thrust23THRUST_200600_302600_NS6detail15normal_iteratorINS9_10device_ptrIiEEEENSB_INSC_ItEEEESG_tNS9_4plusIvEENS9_8equal_toIvEEtEE10hipError_tPvRmT2_T3_T4_T5_mT6_T7_P12ihipStream_tbENKUlT_T0_E_clISt17integral_constantIbLb0EES11_EEDaSW_SX_EUlSW_E_NS1_11comp_targetILNS1_3genE0ELNS1_11target_archE4294967295ELNS1_3gpuE0ELNS1_3repE0EEENS1_30default_config_static_selectorELNS0_4arch9wavefront6targetE0EEEvT1_.has_dyn_sized_stack, 0
	.set _ZN7rocprim17ROCPRIM_400000_NS6detail17trampoline_kernelINS0_14default_configENS1_27scan_by_key_config_selectorIitEEZZNS1_16scan_by_key_implILNS1_25lookback_scan_determinismE0ELb1ES3_N6thrust23THRUST_200600_302600_NS6detail15normal_iteratorINS9_10device_ptrIiEEEENSB_INSC_ItEEEESG_tNS9_4plusIvEENS9_8equal_toIvEEtEE10hipError_tPvRmT2_T3_T4_T5_mT6_T7_P12ihipStream_tbENKUlT_T0_E_clISt17integral_constantIbLb0EES11_EEDaSW_SX_EUlSW_E_NS1_11comp_targetILNS1_3genE0ELNS1_11target_archE4294967295ELNS1_3gpuE0ELNS1_3repE0EEENS1_30default_config_static_selectorELNS0_4arch9wavefront6targetE0EEEvT1_.has_recursion, 0
	.set _ZN7rocprim17ROCPRIM_400000_NS6detail17trampoline_kernelINS0_14default_configENS1_27scan_by_key_config_selectorIitEEZZNS1_16scan_by_key_implILNS1_25lookback_scan_determinismE0ELb1ES3_N6thrust23THRUST_200600_302600_NS6detail15normal_iteratorINS9_10device_ptrIiEEEENSB_INSC_ItEEEESG_tNS9_4plusIvEENS9_8equal_toIvEEtEE10hipError_tPvRmT2_T3_T4_T5_mT6_T7_P12ihipStream_tbENKUlT_T0_E_clISt17integral_constantIbLb0EES11_EEDaSW_SX_EUlSW_E_NS1_11comp_targetILNS1_3genE0ELNS1_11target_archE4294967295ELNS1_3gpuE0ELNS1_3repE0EEENS1_30default_config_static_selectorELNS0_4arch9wavefront6targetE0EEEvT1_.has_indirect_call, 0
	.section	.AMDGPU.csdata,"",@progbits
; Kernel info:
; codeLenInByte = 0
; TotalNumSgprs: 0
; NumVgprs: 0
; ScratchSize: 0
; MemoryBound: 0
; FloatMode: 240
; IeeeMode: 1
; LDSByteSize: 0 bytes/workgroup (compile time only)
; SGPRBlocks: 0
; VGPRBlocks: 0
; NumSGPRsForWavesPerEU: 1
; NumVGPRsForWavesPerEU: 1
; Occupancy: 16
; WaveLimiterHint : 0
; COMPUTE_PGM_RSRC2:SCRATCH_EN: 0
; COMPUTE_PGM_RSRC2:USER_SGPR: 6
; COMPUTE_PGM_RSRC2:TRAP_HANDLER: 0
; COMPUTE_PGM_RSRC2:TGID_X_EN: 1
; COMPUTE_PGM_RSRC2:TGID_Y_EN: 0
; COMPUTE_PGM_RSRC2:TGID_Z_EN: 0
; COMPUTE_PGM_RSRC2:TIDIG_COMP_CNT: 0
	.section	.text._ZN7rocprim17ROCPRIM_400000_NS6detail17trampoline_kernelINS0_14default_configENS1_27scan_by_key_config_selectorIitEEZZNS1_16scan_by_key_implILNS1_25lookback_scan_determinismE0ELb1ES3_N6thrust23THRUST_200600_302600_NS6detail15normal_iteratorINS9_10device_ptrIiEEEENSB_INSC_ItEEEESG_tNS9_4plusIvEENS9_8equal_toIvEEtEE10hipError_tPvRmT2_T3_T4_T5_mT6_T7_P12ihipStream_tbENKUlT_T0_E_clISt17integral_constantIbLb0EES11_EEDaSW_SX_EUlSW_E_NS1_11comp_targetILNS1_3genE10ELNS1_11target_archE1201ELNS1_3gpuE5ELNS1_3repE0EEENS1_30default_config_static_selectorELNS0_4arch9wavefront6targetE0EEEvT1_,"axG",@progbits,_ZN7rocprim17ROCPRIM_400000_NS6detail17trampoline_kernelINS0_14default_configENS1_27scan_by_key_config_selectorIitEEZZNS1_16scan_by_key_implILNS1_25lookback_scan_determinismE0ELb1ES3_N6thrust23THRUST_200600_302600_NS6detail15normal_iteratorINS9_10device_ptrIiEEEENSB_INSC_ItEEEESG_tNS9_4plusIvEENS9_8equal_toIvEEtEE10hipError_tPvRmT2_T3_T4_T5_mT6_T7_P12ihipStream_tbENKUlT_T0_E_clISt17integral_constantIbLb0EES11_EEDaSW_SX_EUlSW_E_NS1_11comp_targetILNS1_3genE10ELNS1_11target_archE1201ELNS1_3gpuE5ELNS1_3repE0EEENS1_30default_config_static_selectorELNS0_4arch9wavefront6targetE0EEEvT1_,comdat
	.protected	_ZN7rocprim17ROCPRIM_400000_NS6detail17trampoline_kernelINS0_14default_configENS1_27scan_by_key_config_selectorIitEEZZNS1_16scan_by_key_implILNS1_25lookback_scan_determinismE0ELb1ES3_N6thrust23THRUST_200600_302600_NS6detail15normal_iteratorINS9_10device_ptrIiEEEENSB_INSC_ItEEEESG_tNS9_4plusIvEENS9_8equal_toIvEEtEE10hipError_tPvRmT2_T3_T4_T5_mT6_T7_P12ihipStream_tbENKUlT_T0_E_clISt17integral_constantIbLb0EES11_EEDaSW_SX_EUlSW_E_NS1_11comp_targetILNS1_3genE10ELNS1_11target_archE1201ELNS1_3gpuE5ELNS1_3repE0EEENS1_30default_config_static_selectorELNS0_4arch9wavefront6targetE0EEEvT1_ ; -- Begin function _ZN7rocprim17ROCPRIM_400000_NS6detail17trampoline_kernelINS0_14default_configENS1_27scan_by_key_config_selectorIitEEZZNS1_16scan_by_key_implILNS1_25lookback_scan_determinismE0ELb1ES3_N6thrust23THRUST_200600_302600_NS6detail15normal_iteratorINS9_10device_ptrIiEEEENSB_INSC_ItEEEESG_tNS9_4plusIvEENS9_8equal_toIvEEtEE10hipError_tPvRmT2_T3_T4_T5_mT6_T7_P12ihipStream_tbENKUlT_T0_E_clISt17integral_constantIbLb0EES11_EEDaSW_SX_EUlSW_E_NS1_11comp_targetILNS1_3genE10ELNS1_11target_archE1201ELNS1_3gpuE5ELNS1_3repE0EEENS1_30default_config_static_selectorELNS0_4arch9wavefront6targetE0EEEvT1_
	.globl	_ZN7rocprim17ROCPRIM_400000_NS6detail17trampoline_kernelINS0_14default_configENS1_27scan_by_key_config_selectorIitEEZZNS1_16scan_by_key_implILNS1_25lookback_scan_determinismE0ELb1ES3_N6thrust23THRUST_200600_302600_NS6detail15normal_iteratorINS9_10device_ptrIiEEEENSB_INSC_ItEEEESG_tNS9_4plusIvEENS9_8equal_toIvEEtEE10hipError_tPvRmT2_T3_T4_T5_mT6_T7_P12ihipStream_tbENKUlT_T0_E_clISt17integral_constantIbLb0EES11_EEDaSW_SX_EUlSW_E_NS1_11comp_targetILNS1_3genE10ELNS1_11target_archE1201ELNS1_3gpuE5ELNS1_3repE0EEENS1_30default_config_static_selectorELNS0_4arch9wavefront6targetE0EEEvT1_
	.p2align	8
	.type	_ZN7rocprim17ROCPRIM_400000_NS6detail17trampoline_kernelINS0_14default_configENS1_27scan_by_key_config_selectorIitEEZZNS1_16scan_by_key_implILNS1_25lookback_scan_determinismE0ELb1ES3_N6thrust23THRUST_200600_302600_NS6detail15normal_iteratorINS9_10device_ptrIiEEEENSB_INSC_ItEEEESG_tNS9_4plusIvEENS9_8equal_toIvEEtEE10hipError_tPvRmT2_T3_T4_T5_mT6_T7_P12ihipStream_tbENKUlT_T0_E_clISt17integral_constantIbLb0EES11_EEDaSW_SX_EUlSW_E_NS1_11comp_targetILNS1_3genE10ELNS1_11target_archE1201ELNS1_3gpuE5ELNS1_3repE0EEENS1_30default_config_static_selectorELNS0_4arch9wavefront6targetE0EEEvT1_,@function
_ZN7rocprim17ROCPRIM_400000_NS6detail17trampoline_kernelINS0_14default_configENS1_27scan_by_key_config_selectorIitEEZZNS1_16scan_by_key_implILNS1_25lookback_scan_determinismE0ELb1ES3_N6thrust23THRUST_200600_302600_NS6detail15normal_iteratorINS9_10device_ptrIiEEEENSB_INSC_ItEEEESG_tNS9_4plusIvEENS9_8equal_toIvEEtEE10hipError_tPvRmT2_T3_T4_T5_mT6_T7_P12ihipStream_tbENKUlT_T0_E_clISt17integral_constantIbLb0EES11_EEDaSW_SX_EUlSW_E_NS1_11comp_targetILNS1_3genE10ELNS1_11target_archE1201ELNS1_3gpuE5ELNS1_3repE0EEENS1_30default_config_static_selectorELNS0_4arch9wavefront6targetE0EEEvT1_: ; @_ZN7rocprim17ROCPRIM_400000_NS6detail17trampoline_kernelINS0_14default_configENS1_27scan_by_key_config_selectorIitEEZZNS1_16scan_by_key_implILNS1_25lookback_scan_determinismE0ELb1ES3_N6thrust23THRUST_200600_302600_NS6detail15normal_iteratorINS9_10device_ptrIiEEEENSB_INSC_ItEEEESG_tNS9_4plusIvEENS9_8equal_toIvEEtEE10hipError_tPvRmT2_T3_T4_T5_mT6_T7_P12ihipStream_tbENKUlT_T0_E_clISt17integral_constantIbLb0EES11_EEDaSW_SX_EUlSW_E_NS1_11comp_targetILNS1_3genE10ELNS1_11target_archE1201ELNS1_3gpuE5ELNS1_3repE0EEENS1_30default_config_static_selectorELNS0_4arch9wavefront6targetE0EEEvT1_
; %bb.0:
	.section	.rodata,"a",@progbits
	.p2align	6, 0x0
	.amdhsa_kernel _ZN7rocprim17ROCPRIM_400000_NS6detail17trampoline_kernelINS0_14default_configENS1_27scan_by_key_config_selectorIitEEZZNS1_16scan_by_key_implILNS1_25lookback_scan_determinismE0ELb1ES3_N6thrust23THRUST_200600_302600_NS6detail15normal_iteratorINS9_10device_ptrIiEEEENSB_INSC_ItEEEESG_tNS9_4plusIvEENS9_8equal_toIvEEtEE10hipError_tPvRmT2_T3_T4_T5_mT6_T7_P12ihipStream_tbENKUlT_T0_E_clISt17integral_constantIbLb0EES11_EEDaSW_SX_EUlSW_E_NS1_11comp_targetILNS1_3genE10ELNS1_11target_archE1201ELNS1_3gpuE5ELNS1_3repE0EEENS1_30default_config_static_selectorELNS0_4arch9wavefront6targetE0EEEvT1_
		.amdhsa_group_segment_fixed_size 0
		.amdhsa_private_segment_fixed_size 0
		.amdhsa_kernarg_size 112
		.amdhsa_user_sgpr_count 6
		.amdhsa_user_sgpr_private_segment_buffer 1
		.amdhsa_user_sgpr_dispatch_ptr 0
		.amdhsa_user_sgpr_queue_ptr 0
		.amdhsa_user_sgpr_kernarg_segment_ptr 1
		.amdhsa_user_sgpr_dispatch_id 0
		.amdhsa_user_sgpr_flat_scratch_init 0
		.amdhsa_user_sgpr_private_segment_size 0
		.amdhsa_wavefront_size32 1
		.amdhsa_uses_dynamic_stack 0
		.amdhsa_system_sgpr_private_segment_wavefront_offset 0
		.amdhsa_system_sgpr_workgroup_id_x 1
		.amdhsa_system_sgpr_workgroup_id_y 0
		.amdhsa_system_sgpr_workgroup_id_z 0
		.amdhsa_system_sgpr_workgroup_info 0
		.amdhsa_system_vgpr_workitem_id 0
		.amdhsa_next_free_vgpr 1
		.amdhsa_next_free_sgpr 1
		.amdhsa_reserve_vcc 0
		.amdhsa_reserve_flat_scratch 0
		.amdhsa_float_round_mode_32 0
		.amdhsa_float_round_mode_16_64 0
		.amdhsa_float_denorm_mode_32 3
		.amdhsa_float_denorm_mode_16_64 3
		.amdhsa_dx10_clamp 1
		.amdhsa_ieee_mode 1
		.amdhsa_fp16_overflow 0
		.amdhsa_workgroup_processor_mode 1
		.amdhsa_memory_ordered 1
		.amdhsa_forward_progress 1
		.amdhsa_shared_vgpr_count 0
		.amdhsa_exception_fp_ieee_invalid_op 0
		.amdhsa_exception_fp_denorm_src 0
		.amdhsa_exception_fp_ieee_div_zero 0
		.amdhsa_exception_fp_ieee_overflow 0
		.amdhsa_exception_fp_ieee_underflow 0
		.amdhsa_exception_fp_ieee_inexact 0
		.amdhsa_exception_int_div_zero 0
	.end_amdhsa_kernel
	.section	.text._ZN7rocprim17ROCPRIM_400000_NS6detail17trampoline_kernelINS0_14default_configENS1_27scan_by_key_config_selectorIitEEZZNS1_16scan_by_key_implILNS1_25lookback_scan_determinismE0ELb1ES3_N6thrust23THRUST_200600_302600_NS6detail15normal_iteratorINS9_10device_ptrIiEEEENSB_INSC_ItEEEESG_tNS9_4plusIvEENS9_8equal_toIvEEtEE10hipError_tPvRmT2_T3_T4_T5_mT6_T7_P12ihipStream_tbENKUlT_T0_E_clISt17integral_constantIbLb0EES11_EEDaSW_SX_EUlSW_E_NS1_11comp_targetILNS1_3genE10ELNS1_11target_archE1201ELNS1_3gpuE5ELNS1_3repE0EEENS1_30default_config_static_selectorELNS0_4arch9wavefront6targetE0EEEvT1_,"axG",@progbits,_ZN7rocprim17ROCPRIM_400000_NS6detail17trampoline_kernelINS0_14default_configENS1_27scan_by_key_config_selectorIitEEZZNS1_16scan_by_key_implILNS1_25lookback_scan_determinismE0ELb1ES3_N6thrust23THRUST_200600_302600_NS6detail15normal_iteratorINS9_10device_ptrIiEEEENSB_INSC_ItEEEESG_tNS9_4plusIvEENS9_8equal_toIvEEtEE10hipError_tPvRmT2_T3_T4_T5_mT6_T7_P12ihipStream_tbENKUlT_T0_E_clISt17integral_constantIbLb0EES11_EEDaSW_SX_EUlSW_E_NS1_11comp_targetILNS1_3genE10ELNS1_11target_archE1201ELNS1_3gpuE5ELNS1_3repE0EEENS1_30default_config_static_selectorELNS0_4arch9wavefront6targetE0EEEvT1_,comdat
.Lfunc_end1536:
	.size	_ZN7rocprim17ROCPRIM_400000_NS6detail17trampoline_kernelINS0_14default_configENS1_27scan_by_key_config_selectorIitEEZZNS1_16scan_by_key_implILNS1_25lookback_scan_determinismE0ELb1ES3_N6thrust23THRUST_200600_302600_NS6detail15normal_iteratorINS9_10device_ptrIiEEEENSB_INSC_ItEEEESG_tNS9_4plusIvEENS9_8equal_toIvEEtEE10hipError_tPvRmT2_T3_T4_T5_mT6_T7_P12ihipStream_tbENKUlT_T0_E_clISt17integral_constantIbLb0EES11_EEDaSW_SX_EUlSW_E_NS1_11comp_targetILNS1_3genE10ELNS1_11target_archE1201ELNS1_3gpuE5ELNS1_3repE0EEENS1_30default_config_static_selectorELNS0_4arch9wavefront6targetE0EEEvT1_, .Lfunc_end1536-_ZN7rocprim17ROCPRIM_400000_NS6detail17trampoline_kernelINS0_14default_configENS1_27scan_by_key_config_selectorIitEEZZNS1_16scan_by_key_implILNS1_25lookback_scan_determinismE0ELb1ES3_N6thrust23THRUST_200600_302600_NS6detail15normal_iteratorINS9_10device_ptrIiEEEENSB_INSC_ItEEEESG_tNS9_4plusIvEENS9_8equal_toIvEEtEE10hipError_tPvRmT2_T3_T4_T5_mT6_T7_P12ihipStream_tbENKUlT_T0_E_clISt17integral_constantIbLb0EES11_EEDaSW_SX_EUlSW_E_NS1_11comp_targetILNS1_3genE10ELNS1_11target_archE1201ELNS1_3gpuE5ELNS1_3repE0EEENS1_30default_config_static_selectorELNS0_4arch9wavefront6targetE0EEEvT1_
                                        ; -- End function
	.set _ZN7rocprim17ROCPRIM_400000_NS6detail17trampoline_kernelINS0_14default_configENS1_27scan_by_key_config_selectorIitEEZZNS1_16scan_by_key_implILNS1_25lookback_scan_determinismE0ELb1ES3_N6thrust23THRUST_200600_302600_NS6detail15normal_iteratorINS9_10device_ptrIiEEEENSB_INSC_ItEEEESG_tNS9_4plusIvEENS9_8equal_toIvEEtEE10hipError_tPvRmT2_T3_T4_T5_mT6_T7_P12ihipStream_tbENKUlT_T0_E_clISt17integral_constantIbLb0EES11_EEDaSW_SX_EUlSW_E_NS1_11comp_targetILNS1_3genE10ELNS1_11target_archE1201ELNS1_3gpuE5ELNS1_3repE0EEENS1_30default_config_static_selectorELNS0_4arch9wavefront6targetE0EEEvT1_.num_vgpr, 0
	.set _ZN7rocprim17ROCPRIM_400000_NS6detail17trampoline_kernelINS0_14default_configENS1_27scan_by_key_config_selectorIitEEZZNS1_16scan_by_key_implILNS1_25lookback_scan_determinismE0ELb1ES3_N6thrust23THRUST_200600_302600_NS6detail15normal_iteratorINS9_10device_ptrIiEEEENSB_INSC_ItEEEESG_tNS9_4plusIvEENS9_8equal_toIvEEtEE10hipError_tPvRmT2_T3_T4_T5_mT6_T7_P12ihipStream_tbENKUlT_T0_E_clISt17integral_constantIbLb0EES11_EEDaSW_SX_EUlSW_E_NS1_11comp_targetILNS1_3genE10ELNS1_11target_archE1201ELNS1_3gpuE5ELNS1_3repE0EEENS1_30default_config_static_selectorELNS0_4arch9wavefront6targetE0EEEvT1_.num_agpr, 0
	.set _ZN7rocprim17ROCPRIM_400000_NS6detail17trampoline_kernelINS0_14default_configENS1_27scan_by_key_config_selectorIitEEZZNS1_16scan_by_key_implILNS1_25lookback_scan_determinismE0ELb1ES3_N6thrust23THRUST_200600_302600_NS6detail15normal_iteratorINS9_10device_ptrIiEEEENSB_INSC_ItEEEESG_tNS9_4plusIvEENS9_8equal_toIvEEtEE10hipError_tPvRmT2_T3_T4_T5_mT6_T7_P12ihipStream_tbENKUlT_T0_E_clISt17integral_constantIbLb0EES11_EEDaSW_SX_EUlSW_E_NS1_11comp_targetILNS1_3genE10ELNS1_11target_archE1201ELNS1_3gpuE5ELNS1_3repE0EEENS1_30default_config_static_selectorELNS0_4arch9wavefront6targetE0EEEvT1_.numbered_sgpr, 0
	.set _ZN7rocprim17ROCPRIM_400000_NS6detail17trampoline_kernelINS0_14default_configENS1_27scan_by_key_config_selectorIitEEZZNS1_16scan_by_key_implILNS1_25lookback_scan_determinismE0ELb1ES3_N6thrust23THRUST_200600_302600_NS6detail15normal_iteratorINS9_10device_ptrIiEEEENSB_INSC_ItEEEESG_tNS9_4plusIvEENS9_8equal_toIvEEtEE10hipError_tPvRmT2_T3_T4_T5_mT6_T7_P12ihipStream_tbENKUlT_T0_E_clISt17integral_constantIbLb0EES11_EEDaSW_SX_EUlSW_E_NS1_11comp_targetILNS1_3genE10ELNS1_11target_archE1201ELNS1_3gpuE5ELNS1_3repE0EEENS1_30default_config_static_selectorELNS0_4arch9wavefront6targetE0EEEvT1_.num_named_barrier, 0
	.set _ZN7rocprim17ROCPRIM_400000_NS6detail17trampoline_kernelINS0_14default_configENS1_27scan_by_key_config_selectorIitEEZZNS1_16scan_by_key_implILNS1_25lookback_scan_determinismE0ELb1ES3_N6thrust23THRUST_200600_302600_NS6detail15normal_iteratorINS9_10device_ptrIiEEEENSB_INSC_ItEEEESG_tNS9_4plusIvEENS9_8equal_toIvEEtEE10hipError_tPvRmT2_T3_T4_T5_mT6_T7_P12ihipStream_tbENKUlT_T0_E_clISt17integral_constantIbLb0EES11_EEDaSW_SX_EUlSW_E_NS1_11comp_targetILNS1_3genE10ELNS1_11target_archE1201ELNS1_3gpuE5ELNS1_3repE0EEENS1_30default_config_static_selectorELNS0_4arch9wavefront6targetE0EEEvT1_.private_seg_size, 0
	.set _ZN7rocprim17ROCPRIM_400000_NS6detail17trampoline_kernelINS0_14default_configENS1_27scan_by_key_config_selectorIitEEZZNS1_16scan_by_key_implILNS1_25lookback_scan_determinismE0ELb1ES3_N6thrust23THRUST_200600_302600_NS6detail15normal_iteratorINS9_10device_ptrIiEEEENSB_INSC_ItEEEESG_tNS9_4plusIvEENS9_8equal_toIvEEtEE10hipError_tPvRmT2_T3_T4_T5_mT6_T7_P12ihipStream_tbENKUlT_T0_E_clISt17integral_constantIbLb0EES11_EEDaSW_SX_EUlSW_E_NS1_11comp_targetILNS1_3genE10ELNS1_11target_archE1201ELNS1_3gpuE5ELNS1_3repE0EEENS1_30default_config_static_selectorELNS0_4arch9wavefront6targetE0EEEvT1_.uses_vcc, 0
	.set _ZN7rocprim17ROCPRIM_400000_NS6detail17trampoline_kernelINS0_14default_configENS1_27scan_by_key_config_selectorIitEEZZNS1_16scan_by_key_implILNS1_25lookback_scan_determinismE0ELb1ES3_N6thrust23THRUST_200600_302600_NS6detail15normal_iteratorINS9_10device_ptrIiEEEENSB_INSC_ItEEEESG_tNS9_4plusIvEENS9_8equal_toIvEEtEE10hipError_tPvRmT2_T3_T4_T5_mT6_T7_P12ihipStream_tbENKUlT_T0_E_clISt17integral_constantIbLb0EES11_EEDaSW_SX_EUlSW_E_NS1_11comp_targetILNS1_3genE10ELNS1_11target_archE1201ELNS1_3gpuE5ELNS1_3repE0EEENS1_30default_config_static_selectorELNS0_4arch9wavefront6targetE0EEEvT1_.uses_flat_scratch, 0
	.set _ZN7rocprim17ROCPRIM_400000_NS6detail17trampoline_kernelINS0_14default_configENS1_27scan_by_key_config_selectorIitEEZZNS1_16scan_by_key_implILNS1_25lookback_scan_determinismE0ELb1ES3_N6thrust23THRUST_200600_302600_NS6detail15normal_iteratorINS9_10device_ptrIiEEEENSB_INSC_ItEEEESG_tNS9_4plusIvEENS9_8equal_toIvEEtEE10hipError_tPvRmT2_T3_T4_T5_mT6_T7_P12ihipStream_tbENKUlT_T0_E_clISt17integral_constantIbLb0EES11_EEDaSW_SX_EUlSW_E_NS1_11comp_targetILNS1_3genE10ELNS1_11target_archE1201ELNS1_3gpuE5ELNS1_3repE0EEENS1_30default_config_static_selectorELNS0_4arch9wavefront6targetE0EEEvT1_.has_dyn_sized_stack, 0
	.set _ZN7rocprim17ROCPRIM_400000_NS6detail17trampoline_kernelINS0_14default_configENS1_27scan_by_key_config_selectorIitEEZZNS1_16scan_by_key_implILNS1_25lookback_scan_determinismE0ELb1ES3_N6thrust23THRUST_200600_302600_NS6detail15normal_iteratorINS9_10device_ptrIiEEEENSB_INSC_ItEEEESG_tNS9_4plusIvEENS9_8equal_toIvEEtEE10hipError_tPvRmT2_T3_T4_T5_mT6_T7_P12ihipStream_tbENKUlT_T0_E_clISt17integral_constantIbLb0EES11_EEDaSW_SX_EUlSW_E_NS1_11comp_targetILNS1_3genE10ELNS1_11target_archE1201ELNS1_3gpuE5ELNS1_3repE0EEENS1_30default_config_static_selectorELNS0_4arch9wavefront6targetE0EEEvT1_.has_recursion, 0
	.set _ZN7rocprim17ROCPRIM_400000_NS6detail17trampoline_kernelINS0_14default_configENS1_27scan_by_key_config_selectorIitEEZZNS1_16scan_by_key_implILNS1_25lookback_scan_determinismE0ELb1ES3_N6thrust23THRUST_200600_302600_NS6detail15normal_iteratorINS9_10device_ptrIiEEEENSB_INSC_ItEEEESG_tNS9_4plusIvEENS9_8equal_toIvEEtEE10hipError_tPvRmT2_T3_T4_T5_mT6_T7_P12ihipStream_tbENKUlT_T0_E_clISt17integral_constantIbLb0EES11_EEDaSW_SX_EUlSW_E_NS1_11comp_targetILNS1_3genE10ELNS1_11target_archE1201ELNS1_3gpuE5ELNS1_3repE0EEENS1_30default_config_static_selectorELNS0_4arch9wavefront6targetE0EEEvT1_.has_indirect_call, 0
	.section	.AMDGPU.csdata,"",@progbits
; Kernel info:
; codeLenInByte = 0
; TotalNumSgprs: 0
; NumVgprs: 0
; ScratchSize: 0
; MemoryBound: 0
; FloatMode: 240
; IeeeMode: 1
; LDSByteSize: 0 bytes/workgroup (compile time only)
; SGPRBlocks: 0
; VGPRBlocks: 0
; NumSGPRsForWavesPerEU: 1
; NumVGPRsForWavesPerEU: 1
; Occupancy: 16
; WaveLimiterHint : 0
; COMPUTE_PGM_RSRC2:SCRATCH_EN: 0
; COMPUTE_PGM_RSRC2:USER_SGPR: 6
; COMPUTE_PGM_RSRC2:TRAP_HANDLER: 0
; COMPUTE_PGM_RSRC2:TGID_X_EN: 1
; COMPUTE_PGM_RSRC2:TGID_Y_EN: 0
; COMPUTE_PGM_RSRC2:TGID_Z_EN: 0
; COMPUTE_PGM_RSRC2:TIDIG_COMP_CNT: 0
	.section	.text._ZN7rocprim17ROCPRIM_400000_NS6detail17trampoline_kernelINS0_14default_configENS1_27scan_by_key_config_selectorIitEEZZNS1_16scan_by_key_implILNS1_25lookback_scan_determinismE0ELb1ES3_N6thrust23THRUST_200600_302600_NS6detail15normal_iteratorINS9_10device_ptrIiEEEENSB_INSC_ItEEEESG_tNS9_4plusIvEENS9_8equal_toIvEEtEE10hipError_tPvRmT2_T3_T4_T5_mT6_T7_P12ihipStream_tbENKUlT_T0_E_clISt17integral_constantIbLb0EES11_EEDaSW_SX_EUlSW_E_NS1_11comp_targetILNS1_3genE5ELNS1_11target_archE942ELNS1_3gpuE9ELNS1_3repE0EEENS1_30default_config_static_selectorELNS0_4arch9wavefront6targetE0EEEvT1_,"axG",@progbits,_ZN7rocprim17ROCPRIM_400000_NS6detail17trampoline_kernelINS0_14default_configENS1_27scan_by_key_config_selectorIitEEZZNS1_16scan_by_key_implILNS1_25lookback_scan_determinismE0ELb1ES3_N6thrust23THRUST_200600_302600_NS6detail15normal_iteratorINS9_10device_ptrIiEEEENSB_INSC_ItEEEESG_tNS9_4plusIvEENS9_8equal_toIvEEtEE10hipError_tPvRmT2_T3_T4_T5_mT6_T7_P12ihipStream_tbENKUlT_T0_E_clISt17integral_constantIbLb0EES11_EEDaSW_SX_EUlSW_E_NS1_11comp_targetILNS1_3genE5ELNS1_11target_archE942ELNS1_3gpuE9ELNS1_3repE0EEENS1_30default_config_static_selectorELNS0_4arch9wavefront6targetE0EEEvT1_,comdat
	.protected	_ZN7rocprim17ROCPRIM_400000_NS6detail17trampoline_kernelINS0_14default_configENS1_27scan_by_key_config_selectorIitEEZZNS1_16scan_by_key_implILNS1_25lookback_scan_determinismE0ELb1ES3_N6thrust23THRUST_200600_302600_NS6detail15normal_iteratorINS9_10device_ptrIiEEEENSB_INSC_ItEEEESG_tNS9_4plusIvEENS9_8equal_toIvEEtEE10hipError_tPvRmT2_T3_T4_T5_mT6_T7_P12ihipStream_tbENKUlT_T0_E_clISt17integral_constantIbLb0EES11_EEDaSW_SX_EUlSW_E_NS1_11comp_targetILNS1_3genE5ELNS1_11target_archE942ELNS1_3gpuE9ELNS1_3repE0EEENS1_30default_config_static_selectorELNS0_4arch9wavefront6targetE0EEEvT1_ ; -- Begin function _ZN7rocprim17ROCPRIM_400000_NS6detail17trampoline_kernelINS0_14default_configENS1_27scan_by_key_config_selectorIitEEZZNS1_16scan_by_key_implILNS1_25lookback_scan_determinismE0ELb1ES3_N6thrust23THRUST_200600_302600_NS6detail15normal_iteratorINS9_10device_ptrIiEEEENSB_INSC_ItEEEESG_tNS9_4plusIvEENS9_8equal_toIvEEtEE10hipError_tPvRmT2_T3_T4_T5_mT6_T7_P12ihipStream_tbENKUlT_T0_E_clISt17integral_constantIbLb0EES11_EEDaSW_SX_EUlSW_E_NS1_11comp_targetILNS1_3genE5ELNS1_11target_archE942ELNS1_3gpuE9ELNS1_3repE0EEENS1_30default_config_static_selectorELNS0_4arch9wavefront6targetE0EEEvT1_
	.globl	_ZN7rocprim17ROCPRIM_400000_NS6detail17trampoline_kernelINS0_14default_configENS1_27scan_by_key_config_selectorIitEEZZNS1_16scan_by_key_implILNS1_25lookback_scan_determinismE0ELb1ES3_N6thrust23THRUST_200600_302600_NS6detail15normal_iteratorINS9_10device_ptrIiEEEENSB_INSC_ItEEEESG_tNS9_4plusIvEENS9_8equal_toIvEEtEE10hipError_tPvRmT2_T3_T4_T5_mT6_T7_P12ihipStream_tbENKUlT_T0_E_clISt17integral_constantIbLb0EES11_EEDaSW_SX_EUlSW_E_NS1_11comp_targetILNS1_3genE5ELNS1_11target_archE942ELNS1_3gpuE9ELNS1_3repE0EEENS1_30default_config_static_selectorELNS0_4arch9wavefront6targetE0EEEvT1_
	.p2align	8
	.type	_ZN7rocprim17ROCPRIM_400000_NS6detail17trampoline_kernelINS0_14default_configENS1_27scan_by_key_config_selectorIitEEZZNS1_16scan_by_key_implILNS1_25lookback_scan_determinismE0ELb1ES3_N6thrust23THRUST_200600_302600_NS6detail15normal_iteratorINS9_10device_ptrIiEEEENSB_INSC_ItEEEESG_tNS9_4plusIvEENS9_8equal_toIvEEtEE10hipError_tPvRmT2_T3_T4_T5_mT6_T7_P12ihipStream_tbENKUlT_T0_E_clISt17integral_constantIbLb0EES11_EEDaSW_SX_EUlSW_E_NS1_11comp_targetILNS1_3genE5ELNS1_11target_archE942ELNS1_3gpuE9ELNS1_3repE0EEENS1_30default_config_static_selectorELNS0_4arch9wavefront6targetE0EEEvT1_,@function
_ZN7rocprim17ROCPRIM_400000_NS6detail17trampoline_kernelINS0_14default_configENS1_27scan_by_key_config_selectorIitEEZZNS1_16scan_by_key_implILNS1_25lookback_scan_determinismE0ELb1ES3_N6thrust23THRUST_200600_302600_NS6detail15normal_iteratorINS9_10device_ptrIiEEEENSB_INSC_ItEEEESG_tNS9_4plusIvEENS9_8equal_toIvEEtEE10hipError_tPvRmT2_T3_T4_T5_mT6_T7_P12ihipStream_tbENKUlT_T0_E_clISt17integral_constantIbLb0EES11_EEDaSW_SX_EUlSW_E_NS1_11comp_targetILNS1_3genE5ELNS1_11target_archE942ELNS1_3gpuE9ELNS1_3repE0EEENS1_30default_config_static_selectorELNS0_4arch9wavefront6targetE0EEEvT1_: ; @_ZN7rocprim17ROCPRIM_400000_NS6detail17trampoline_kernelINS0_14default_configENS1_27scan_by_key_config_selectorIitEEZZNS1_16scan_by_key_implILNS1_25lookback_scan_determinismE0ELb1ES3_N6thrust23THRUST_200600_302600_NS6detail15normal_iteratorINS9_10device_ptrIiEEEENSB_INSC_ItEEEESG_tNS9_4plusIvEENS9_8equal_toIvEEtEE10hipError_tPvRmT2_T3_T4_T5_mT6_T7_P12ihipStream_tbENKUlT_T0_E_clISt17integral_constantIbLb0EES11_EEDaSW_SX_EUlSW_E_NS1_11comp_targetILNS1_3genE5ELNS1_11target_archE942ELNS1_3gpuE9ELNS1_3repE0EEENS1_30default_config_static_selectorELNS0_4arch9wavefront6targetE0EEEvT1_
; %bb.0:
	.section	.rodata,"a",@progbits
	.p2align	6, 0x0
	.amdhsa_kernel _ZN7rocprim17ROCPRIM_400000_NS6detail17trampoline_kernelINS0_14default_configENS1_27scan_by_key_config_selectorIitEEZZNS1_16scan_by_key_implILNS1_25lookback_scan_determinismE0ELb1ES3_N6thrust23THRUST_200600_302600_NS6detail15normal_iteratorINS9_10device_ptrIiEEEENSB_INSC_ItEEEESG_tNS9_4plusIvEENS9_8equal_toIvEEtEE10hipError_tPvRmT2_T3_T4_T5_mT6_T7_P12ihipStream_tbENKUlT_T0_E_clISt17integral_constantIbLb0EES11_EEDaSW_SX_EUlSW_E_NS1_11comp_targetILNS1_3genE5ELNS1_11target_archE942ELNS1_3gpuE9ELNS1_3repE0EEENS1_30default_config_static_selectorELNS0_4arch9wavefront6targetE0EEEvT1_
		.amdhsa_group_segment_fixed_size 0
		.amdhsa_private_segment_fixed_size 0
		.amdhsa_kernarg_size 112
		.amdhsa_user_sgpr_count 6
		.amdhsa_user_sgpr_private_segment_buffer 1
		.amdhsa_user_sgpr_dispatch_ptr 0
		.amdhsa_user_sgpr_queue_ptr 0
		.amdhsa_user_sgpr_kernarg_segment_ptr 1
		.amdhsa_user_sgpr_dispatch_id 0
		.amdhsa_user_sgpr_flat_scratch_init 0
		.amdhsa_user_sgpr_private_segment_size 0
		.amdhsa_wavefront_size32 1
		.amdhsa_uses_dynamic_stack 0
		.amdhsa_system_sgpr_private_segment_wavefront_offset 0
		.amdhsa_system_sgpr_workgroup_id_x 1
		.amdhsa_system_sgpr_workgroup_id_y 0
		.amdhsa_system_sgpr_workgroup_id_z 0
		.amdhsa_system_sgpr_workgroup_info 0
		.amdhsa_system_vgpr_workitem_id 0
		.amdhsa_next_free_vgpr 1
		.amdhsa_next_free_sgpr 1
		.amdhsa_reserve_vcc 0
		.amdhsa_reserve_flat_scratch 0
		.amdhsa_float_round_mode_32 0
		.amdhsa_float_round_mode_16_64 0
		.amdhsa_float_denorm_mode_32 3
		.amdhsa_float_denorm_mode_16_64 3
		.amdhsa_dx10_clamp 1
		.amdhsa_ieee_mode 1
		.amdhsa_fp16_overflow 0
		.amdhsa_workgroup_processor_mode 1
		.amdhsa_memory_ordered 1
		.amdhsa_forward_progress 1
		.amdhsa_shared_vgpr_count 0
		.amdhsa_exception_fp_ieee_invalid_op 0
		.amdhsa_exception_fp_denorm_src 0
		.amdhsa_exception_fp_ieee_div_zero 0
		.amdhsa_exception_fp_ieee_overflow 0
		.amdhsa_exception_fp_ieee_underflow 0
		.amdhsa_exception_fp_ieee_inexact 0
		.amdhsa_exception_int_div_zero 0
	.end_amdhsa_kernel
	.section	.text._ZN7rocprim17ROCPRIM_400000_NS6detail17trampoline_kernelINS0_14default_configENS1_27scan_by_key_config_selectorIitEEZZNS1_16scan_by_key_implILNS1_25lookback_scan_determinismE0ELb1ES3_N6thrust23THRUST_200600_302600_NS6detail15normal_iteratorINS9_10device_ptrIiEEEENSB_INSC_ItEEEESG_tNS9_4plusIvEENS9_8equal_toIvEEtEE10hipError_tPvRmT2_T3_T4_T5_mT6_T7_P12ihipStream_tbENKUlT_T0_E_clISt17integral_constantIbLb0EES11_EEDaSW_SX_EUlSW_E_NS1_11comp_targetILNS1_3genE5ELNS1_11target_archE942ELNS1_3gpuE9ELNS1_3repE0EEENS1_30default_config_static_selectorELNS0_4arch9wavefront6targetE0EEEvT1_,"axG",@progbits,_ZN7rocprim17ROCPRIM_400000_NS6detail17trampoline_kernelINS0_14default_configENS1_27scan_by_key_config_selectorIitEEZZNS1_16scan_by_key_implILNS1_25lookback_scan_determinismE0ELb1ES3_N6thrust23THRUST_200600_302600_NS6detail15normal_iteratorINS9_10device_ptrIiEEEENSB_INSC_ItEEEESG_tNS9_4plusIvEENS9_8equal_toIvEEtEE10hipError_tPvRmT2_T3_T4_T5_mT6_T7_P12ihipStream_tbENKUlT_T0_E_clISt17integral_constantIbLb0EES11_EEDaSW_SX_EUlSW_E_NS1_11comp_targetILNS1_3genE5ELNS1_11target_archE942ELNS1_3gpuE9ELNS1_3repE0EEENS1_30default_config_static_selectorELNS0_4arch9wavefront6targetE0EEEvT1_,comdat
.Lfunc_end1537:
	.size	_ZN7rocprim17ROCPRIM_400000_NS6detail17trampoline_kernelINS0_14default_configENS1_27scan_by_key_config_selectorIitEEZZNS1_16scan_by_key_implILNS1_25lookback_scan_determinismE0ELb1ES3_N6thrust23THRUST_200600_302600_NS6detail15normal_iteratorINS9_10device_ptrIiEEEENSB_INSC_ItEEEESG_tNS9_4plusIvEENS9_8equal_toIvEEtEE10hipError_tPvRmT2_T3_T4_T5_mT6_T7_P12ihipStream_tbENKUlT_T0_E_clISt17integral_constantIbLb0EES11_EEDaSW_SX_EUlSW_E_NS1_11comp_targetILNS1_3genE5ELNS1_11target_archE942ELNS1_3gpuE9ELNS1_3repE0EEENS1_30default_config_static_selectorELNS0_4arch9wavefront6targetE0EEEvT1_, .Lfunc_end1537-_ZN7rocprim17ROCPRIM_400000_NS6detail17trampoline_kernelINS0_14default_configENS1_27scan_by_key_config_selectorIitEEZZNS1_16scan_by_key_implILNS1_25lookback_scan_determinismE0ELb1ES3_N6thrust23THRUST_200600_302600_NS6detail15normal_iteratorINS9_10device_ptrIiEEEENSB_INSC_ItEEEESG_tNS9_4plusIvEENS9_8equal_toIvEEtEE10hipError_tPvRmT2_T3_T4_T5_mT6_T7_P12ihipStream_tbENKUlT_T0_E_clISt17integral_constantIbLb0EES11_EEDaSW_SX_EUlSW_E_NS1_11comp_targetILNS1_3genE5ELNS1_11target_archE942ELNS1_3gpuE9ELNS1_3repE0EEENS1_30default_config_static_selectorELNS0_4arch9wavefront6targetE0EEEvT1_
                                        ; -- End function
	.set _ZN7rocprim17ROCPRIM_400000_NS6detail17trampoline_kernelINS0_14default_configENS1_27scan_by_key_config_selectorIitEEZZNS1_16scan_by_key_implILNS1_25lookback_scan_determinismE0ELb1ES3_N6thrust23THRUST_200600_302600_NS6detail15normal_iteratorINS9_10device_ptrIiEEEENSB_INSC_ItEEEESG_tNS9_4plusIvEENS9_8equal_toIvEEtEE10hipError_tPvRmT2_T3_T4_T5_mT6_T7_P12ihipStream_tbENKUlT_T0_E_clISt17integral_constantIbLb0EES11_EEDaSW_SX_EUlSW_E_NS1_11comp_targetILNS1_3genE5ELNS1_11target_archE942ELNS1_3gpuE9ELNS1_3repE0EEENS1_30default_config_static_selectorELNS0_4arch9wavefront6targetE0EEEvT1_.num_vgpr, 0
	.set _ZN7rocprim17ROCPRIM_400000_NS6detail17trampoline_kernelINS0_14default_configENS1_27scan_by_key_config_selectorIitEEZZNS1_16scan_by_key_implILNS1_25lookback_scan_determinismE0ELb1ES3_N6thrust23THRUST_200600_302600_NS6detail15normal_iteratorINS9_10device_ptrIiEEEENSB_INSC_ItEEEESG_tNS9_4plusIvEENS9_8equal_toIvEEtEE10hipError_tPvRmT2_T3_T4_T5_mT6_T7_P12ihipStream_tbENKUlT_T0_E_clISt17integral_constantIbLb0EES11_EEDaSW_SX_EUlSW_E_NS1_11comp_targetILNS1_3genE5ELNS1_11target_archE942ELNS1_3gpuE9ELNS1_3repE0EEENS1_30default_config_static_selectorELNS0_4arch9wavefront6targetE0EEEvT1_.num_agpr, 0
	.set _ZN7rocprim17ROCPRIM_400000_NS6detail17trampoline_kernelINS0_14default_configENS1_27scan_by_key_config_selectorIitEEZZNS1_16scan_by_key_implILNS1_25lookback_scan_determinismE0ELb1ES3_N6thrust23THRUST_200600_302600_NS6detail15normal_iteratorINS9_10device_ptrIiEEEENSB_INSC_ItEEEESG_tNS9_4plusIvEENS9_8equal_toIvEEtEE10hipError_tPvRmT2_T3_T4_T5_mT6_T7_P12ihipStream_tbENKUlT_T0_E_clISt17integral_constantIbLb0EES11_EEDaSW_SX_EUlSW_E_NS1_11comp_targetILNS1_3genE5ELNS1_11target_archE942ELNS1_3gpuE9ELNS1_3repE0EEENS1_30default_config_static_selectorELNS0_4arch9wavefront6targetE0EEEvT1_.numbered_sgpr, 0
	.set _ZN7rocprim17ROCPRIM_400000_NS6detail17trampoline_kernelINS0_14default_configENS1_27scan_by_key_config_selectorIitEEZZNS1_16scan_by_key_implILNS1_25lookback_scan_determinismE0ELb1ES3_N6thrust23THRUST_200600_302600_NS6detail15normal_iteratorINS9_10device_ptrIiEEEENSB_INSC_ItEEEESG_tNS9_4plusIvEENS9_8equal_toIvEEtEE10hipError_tPvRmT2_T3_T4_T5_mT6_T7_P12ihipStream_tbENKUlT_T0_E_clISt17integral_constantIbLb0EES11_EEDaSW_SX_EUlSW_E_NS1_11comp_targetILNS1_3genE5ELNS1_11target_archE942ELNS1_3gpuE9ELNS1_3repE0EEENS1_30default_config_static_selectorELNS0_4arch9wavefront6targetE0EEEvT1_.num_named_barrier, 0
	.set _ZN7rocprim17ROCPRIM_400000_NS6detail17trampoline_kernelINS0_14default_configENS1_27scan_by_key_config_selectorIitEEZZNS1_16scan_by_key_implILNS1_25lookback_scan_determinismE0ELb1ES3_N6thrust23THRUST_200600_302600_NS6detail15normal_iteratorINS9_10device_ptrIiEEEENSB_INSC_ItEEEESG_tNS9_4plusIvEENS9_8equal_toIvEEtEE10hipError_tPvRmT2_T3_T4_T5_mT6_T7_P12ihipStream_tbENKUlT_T0_E_clISt17integral_constantIbLb0EES11_EEDaSW_SX_EUlSW_E_NS1_11comp_targetILNS1_3genE5ELNS1_11target_archE942ELNS1_3gpuE9ELNS1_3repE0EEENS1_30default_config_static_selectorELNS0_4arch9wavefront6targetE0EEEvT1_.private_seg_size, 0
	.set _ZN7rocprim17ROCPRIM_400000_NS6detail17trampoline_kernelINS0_14default_configENS1_27scan_by_key_config_selectorIitEEZZNS1_16scan_by_key_implILNS1_25lookback_scan_determinismE0ELb1ES3_N6thrust23THRUST_200600_302600_NS6detail15normal_iteratorINS9_10device_ptrIiEEEENSB_INSC_ItEEEESG_tNS9_4plusIvEENS9_8equal_toIvEEtEE10hipError_tPvRmT2_T3_T4_T5_mT6_T7_P12ihipStream_tbENKUlT_T0_E_clISt17integral_constantIbLb0EES11_EEDaSW_SX_EUlSW_E_NS1_11comp_targetILNS1_3genE5ELNS1_11target_archE942ELNS1_3gpuE9ELNS1_3repE0EEENS1_30default_config_static_selectorELNS0_4arch9wavefront6targetE0EEEvT1_.uses_vcc, 0
	.set _ZN7rocprim17ROCPRIM_400000_NS6detail17trampoline_kernelINS0_14default_configENS1_27scan_by_key_config_selectorIitEEZZNS1_16scan_by_key_implILNS1_25lookback_scan_determinismE0ELb1ES3_N6thrust23THRUST_200600_302600_NS6detail15normal_iteratorINS9_10device_ptrIiEEEENSB_INSC_ItEEEESG_tNS9_4plusIvEENS9_8equal_toIvEEtEE10hipError_tPvRmT2_T3_T4_T5_mT6_T7_P12ihipStream_tbENKUlT_T0_E_clISt17integral_constantIbLb0EES11_EEDaSW_SX_EUlSW_E_NS1_11comp_targetILNS1_3genE5ELNS1_11target_archE942ELNS1_3gpuE9ELNS1_3repE0EEENS1_30default_config_static_selectorELNS0_4arch9wavefront6targetE0EEEvT1_.uses_flat_scratch, 0
	.set _ZN7rocprim17ROCPRIM_400000_NS6detail17trampoline_kernelINS0_14default_configENS1_27scan_by_key_config_selectorIitEEZZNS1_16scan_by_key_implILNS1_25lookback_scan_determinismE0ELb1ES3_N6thrust23THRUST_200600_302600_NS6detail15normal_iteratorINS9_10device_ptrIiEEEENSB_INSC_ItEEEESG_tNS9_4plusIvEENS9_8equal_toIvEEtEE10hipError_tPvRmT2_T3_T4_T5_mT6_T7_P12ihipStream_tbENKUlT_T0_E_clISt17integral_constantIbLb0EES11_EEDaSW_SX_EUlSW_E_NS1_11comp_targetILNS1_3genE5ELNS1_11target_archE942ELNS1_3gpuE9ELNS1_3repE0EEENS1_30default_config_static_selectorELNS0_4arch9wavefront6targetE0EEEvT1_.has_dyn_sized_stack, 0
	.set _ZN7rocprim17ROCPRIM_400000_NS6detail17trampoline_kernelINS0_14default_configENS1_27scan_by_key_config_selectorIitEEZZNS1_16scan_by_key_implILNS1_25lookback_scan_determinismE0ELb1ES3_N6thrust23THRUST_200600_302600_NS6detail15normal_iteratorINS9_10device_ptrIiEEEENSB_INSC_ItEEEESG_tNS9_4plusIvEENS9_8equal_toIvEEtEE10hipError_tPvRmT2_T3_T4_T5_mT6_T7_P12ihipStream_tbENKUlT_T0_E_clISt17integral_constantIbLb0EES11_EEDaSW_SX_EUlSW_E_NS1_11comp_targetILNS1_3genE5ELNS1_11target_archE942ELNS1_3gpuE9ELNS1_3repE0EEENS1_30default_config_static_selectorELNS0_4arch9wavefront6targetE0EEEvT1_.has_recursion, 0
	.set _ZN7rocprim17ROCPRIM_400000_NS6detail17trampoline_kernelINS0_14default_configENS1_27scan_by_key_config_selectorIitEEZZNS1_16scan_by_key_implILNS1_25lookback_scan_determinismE0ELb1ES3_N6thrust23THRUST_200600_302600_NS6detail15normal_iteratorINS9_10device_ptrIiEEEENSB_INSC_ItEEEESG_tNS9_4plusIvEENS9_8equal_toIvEEtEE10hipError_tPvRmT2_T3_T4_T5_mT6_T7_P12ihipStream_tbENKUlT_T0_E_clISt17integral_constantIbLb0EES11_EEDaSW_SX_EUlSW_E_NS1_11comp_targetILNS1_3genE5ELNS1_11target_archE942ELNS1_3gpuE9ELNS1_3repE0EEENS1_30default_config_static_selectorELNS0_4arch9wavefront6targetE0EEEvT1_.has_indirect_call, 0
	.section	.AMDGPU.csdata,"",@progbits
; Kernel info:
; codeLenInByte = 0
; TotalNumSgprs: 0
; NumVgprs: 0
; ScratchSize: 0
; MemoryBound: 0
; FloatMode: 240
; IeeeMode: 1
; LDSByteSize: 0 bytes/workgroup (compile time only)
; SGPRBlocks: 0
; VGPRBlocks: 0
; NumSGPRsForWavesPerEU: 1
; NumVGPRsForWavesPerEU: 1
; Occupancy: 16
; WaveLimiterHint : 0
; COMPUTE_PGM_RSRC2:SCRATCH_EN: 0
; COMPUTE_PGM_RSRC2:USER_SGPR: 6
; COMPUTE_PGM_RSRC2:TRAP_HANDLER: 0
; COMPUTE_PGM_RSRC2:TGID_X_EN: 1
; COMPUTE_PGM_RSRC2:TGID_Y_EN: 0
; COMPUTE_PGM_RSRC2:TGID_Z_EN: 0
; COMPUTE_PGM_RSRC2:TIDIG_COMP_CNT: 0
	.section	.text._ZN7rocprim17ROCPRIM_400000_NS6detail17trampoline_kernelINS0_14default_configENS1_27scan_by_key_config_selectorIitEEZZNS1_16scan_by_key_implILNS1_25lookback_scan_determinismE0ELb1ES3_N6thrust23THRUST_200600_302600_NS6detail15normal_iteratorINS9_10device_ptrIiEEEENSB_INSC_ItEEEESG_tNS9_4plusIvEENS9_8equal_toIvEEtEE10hipError_tPvRmT2_T3_T4_T5_mT6_T7_P12ihipStream_tbENKUlT_T0_E_clISt17integral_constantIbLb0EES11_EEDaSW_SX_EUlSW_E_NS1_11comp_targetILNS1_3genE4ELNS1_11target_archE910ELNS1_3gpuE8ELNS1_3repE0EEENS1_30default_config_static_selectorELNS0_4arch9wavefront6targetE0EEEvT1_,"axG",@progbits,_ZN7rocprim17ROCPRIM_400000_NS6detail17trampoline_kernelINS0_14default_configENS1_27scan_by_key_config_selectorIitEEZZNS1_16scan_by_key_implILNS1_25lookback_scan_determinismE0ELb1ES3_N6thrust23THRUST_200600_302600_NS6detail15normal_iteratorINS9_10device_ptrIiEEEENSB_INSC_ItEEEESG_tNS9_4plusIvEENS9_8equal_toIvEEtEE10hipError_tPvRmT2_T3_T4_T5_mT6_T7_P12ihipStream_tbENKUlT_T0_E_clISt17integral_constantIbLb0EES11_EEDaSW_SX_EUlSW_E_NS1_11comp_targetILNS1_3genE4ELNS1_11target_archE910ELNS1_3gpuE8ELNS1_3repE0EEENS1_30default_config_static_selectorELNS0_4arch9wavefront6targetE0EEEvT1_,comdat
	.protected	_ZN7rocprim17ROCPRIM_400000_NS6detail17trampoline_kernelINS0_14default_configENS1_27scan_by_key_config_selectorIitEEZZNS1_16scan_by_key_implILNS1_25lookback_scan_determinismE0ELb1ES3_N6thrust23THRUST_200600_302600_NS6detail15normal_iteratorINS9_10device_ptrIiEEEENSB_INSC_ItEEEESG_tNS9_4plusIvEENS9_8equal_toIvEEtEE10hipError_tPvRmT2_T3_T4_T5_mT6_T7_P12ihipStream_tbENKUlT_T0_E_clISt17integral_constantIbLb0EES11_EEDaSW_SX_EUlSW_E_NS1_11comp_targetILNS1_3genE4ELNS1_11target_archE910ELNS1_3gpuE8ELNS1_3repE0EEENS1_30default_config_static_selectorELNS0_4arch9wavefront6targetE0EEEvT1_ ; -- Begin function _ZN7rocprim17ROCPRIM_400000_NS6detail17trampoline_kernelINS0_14default_configENS1_27scan_by_key_config_selectorIitEEZZNS1_16scan_by_key_implILNS1_25lookback_scan_determinismE0ELb1ES3_N6thrust23THRUST_200600_302600_NS6detail15normal_iteratorINS9_10device_ptrIiEEEENSB_INSC_ItEEEESG_tNS9_4plusIvEENS9_8equal_toIvEEtEE10hipError_tPvRmT2_T3_T4_T5_mT6_T7_P12ihipStream_tbENKUlT_T0_E_clISt17integral_constantIbLb0EES11_EEDaSW_SX_EUlSW_E_NS1_11comp_targetILNS1_3genE4ELNS1_11target_archE910ELNS1_3gpuE8ELNS1_3repE0EEENS1_30default_config_static_selectorELNS0_4arch9wavefront6targetE0EEEvT1_
	.globl	_ZN7rocprim17ROCPRIM_400000_NS6detail17trampoline_kernelINS0_14default_configENS1_27scan_by_key_config_selectorIitEEZZNS1_16scan_by_key_implILNS1_25lookback_scan_determinismE0ELb1ES3_N6thrust23THRUST_200600_302600_NS6detail15normal_iteratorINS9_10device_ptrIiEEEENSB_INSC_ItEEEESG_tNS9_4plusIvEENS9_8equal_toIvEEtEE10hipError_tPvRmT2_T3_T4_T5_mT6_T7_P12ihipStream_tbENKUlT_T0_E_clISt17integral_constantIbLb0EES11_EEDaSW_SX_EUlSW_E_NS1_11comp_targetILNS1_3genE4ELNS1_11target_archE910ELNS1_3gpuE8ELNS1_3repE0EEENS1_30default_config_static_selectorELNS0_4arch9wavefront6targetE0EEEvT1_
	.p2align	8
	.type	_ZN7rocprim17ROCPRIM_400000_NS6detail17trampoline_kernelINS0_14default_configENS1_27scan_by_key_config_selectorIitEEZZNS1_16scan_by_key_implILNS1_25lookback_scan_determinismE0ELb1ES3_N6thrust23THRUST_200600_302600_NS6detail15normal_iteratorINS9_10device_ptrIiEEEENSB_INSC_ItEEEESG_tNS9_4plusIvEENS9_8equal_toIvEEtEE10hipError_tPvRmT2_T3_T4_T5_mT6_T7_P12ihipStream_tbENKUlT_T0_E_clISt17integral_constantIbLb0EES11_EEDaSW_SX_EUlSW_E_NS1_11comp_targetILNS1_3genE4ELNS1_11target_archE910ELNS1_3gpuE8ELNS1_3repE0EEENS1_30default_config_static_selectorELNS0_4arch9wavefront6targetE0EEEvT1_,@function
_ZN7rocprim17ROCPRIM_400000_NS6detail17trampoline_kernelINS0_14default_configENS1_27scan_by_key_config_selectorIitEEZZNS1_16scan_by_key_implILNS1_25lookback_scan_determinismE0ELb1ES3_N6thrust23THRUST_200600_302600_NS6detail15normal_iteratorINS9_10device_ptrIiEEEENSB_INSC_ItEEEESG_tNS9_4plusIvEENS9_8equal_toIvEEtEE10hipError_tPvRmT2_T3_T4_T5_mT6_T7_P12ihipStream_tbENKUlT_T0_E_clISt17integral_constantIbLb0EES11_EEDaSW_SX_EUlSW_E_NS1_11comp_targetILNS1_3genE4ELNS1_11target_archE910ELNS1_3gpuE8ELNS1_3repE0EEENS1_30default_config_static_selectorELNS0_4arch9wavefront6targetE0EEEvT1_: ; @_ZN7rocprim17ROCPRIM_400000_NS6detail17trampoline_kernelINS0_14default_configENS1_27scan_by_key_config_selectorIitEEZZNS1_16scan_by_key_implILNS1_25lookback_scan_determinismE0ELb1ES3_N6thrust23THRUST_200600_302600_NS6detail15normal_iteratorINS9_10device_ptrIiEEEENSB_INSC_ItEEEESG_tNS9_4plusIvEENS9_8equal_toIvEEtEE10hipError_tPvRmT2_T3_T4_T5_mT6_T7_P12ihipStream_tbENKUlT_T0_E_clISt17integral_constantIbLb0EES11_EEDaSW_SX_EUlSW_E_NS1_11comp_targetILNS1_3genE4ELNS1_11target_archE910ELNS1_3gpuE8ELNS1_3repE0EEENS1_30default_config_static_selectorELNS0_4arch9wavefront6targetE0EEEvT1_
; %bb.0:
	.section	.rodata,"a",@progbits
	.p2align	6, 0x0
	.amdhsa_kernel _ZN7rocprim17ROCPRIM_400000_NS6detail17trampoline_kernelINS0_14default_configENS1_27scan_by_key_config_selectorIitEEZZNS1_16scan_by_key_implILNS1_25lookback_scan_determinismE0ELb1ES3_N6thrust23THRUST_200600_302600_NS6detail15normal_iteratorINS9_10device_ptrIiEEEENSB_INSC_ItEEEESG_tNS9_4plusIvEENS9_8equal_toIvEEtEE10hipError_tPvRmT2_T3_T4_T5_mT6_T7_P12ihipStream_tbENKUlT_T0_E_clISt17integral_constantIbLb0EES11_EEDaSW_SX_EUlSW_E_NS1_11comp_targetILNS1_3genE4ELNS1_11target_archE910ELNS1_3gpuE8ELNS1_3repE0EEENS1_30default_config_static_selectorELNS0_4arch9wavefront6targetE0EEEvT1_
		.amdhsa_group_segment_fixed_size 0
		.amdhsa_private_segment_fixed_size 0
		.amdhsa_kernarg_size 112
		.amdhsa_user_sgpr_count 6
		.amdhsa_user_sgpr_private_segment_buffer 1
		.amdhsa_user_sgpr_dispatch_ptr 0
		.amdhsa_user_sgpr_queue_ptr 0
		.amdhsa_user_sgpr_kernarg_segment_ptr 1
		.amdhsa_user_sgpr_dispatch_id 0
		.amdhsa_user_sgpr_flat_scratch_init 0
		.amdhsa_user_sgpr_private_segment_size 0
		.amdhsa_wavefront_size32 1
		.amdhsa_uses_dynamic_stack 0
		.amdhsa_system_sgpr_private_segment_wavefront_offset 0
		.amdhsa_system_sgpr_workgroup_id_x 1
		.amdhsa_system_sgpr_workgroup_id_y 0
		.amdhsa_system_sgpr_workgroup_id_z 0
		.amdhsa_system_sgpr_workgroup_info 0
		.amdhsa_system_vgpr_workitem_id 0
		.amdhsa_next_free_vgpr 1
		.amdhsa_next_free_sgpr 1
		.amdhsa_reserve_vcc 0
		.amdhsa_reserve_flat_scratch 0
		.amdhsa_float_round_mode_32 0
		.amdhsa_float_round_mode_16_64 0
		.amdhsa_float_denorm_mode_32 3
		.amdhsa_float_denorm_mode_16_64 3
		.amdhsa_dx10_clamp 1
		.amdhsa_ieee_mode 1
		.amdhsa_fp16_overflow 0
		.amdhsa_workgroup_processor_mode 1
		.amdhsa_memory_ordered 1
		.amdhsa_forward_progress 1
		.amdhsa_shared_vgpr_count 0
		.amdhsa_exception_fp_ieee_invalid_op 0
		.amdhsa_exception_fp_denorm_src 0
		.amdhsa_exception_fp_ieee_div_zero 0
		.amdhsa_exception_fp_ieee_overflow 0
		.amdhsa_exception_fp_ieee_underflow 0
		.amdhsa_exception_fp_ieee_inexact 0
		.amdhsa_exception_int_div_zero 0
	.end_amdhsa_kernel
	.section	.text._ZN7rocprim17ROCPRIM_400000_NS6detail17trampoline_kernelINS0_14default_configENS1_27scan_by_key_config_selectorIitEEZZNS1_16scan_by_key_implILNS1_25lookback_scan_determinismE0ELb1ES3_N6thrust23THRUST_200600_302600_NS6detail15normal_iteratorINS9_10device_ptrIiEEEENSB_INSC_ItEEEESG_tNS9_4plusIvEENS9_8equal_toIvEEtEE10hipError_tPvRmT2_T3_T4_T5_mT6_T7_P12ihipStream_tbENKUlT_T0_E_clISt17integral_constantIbLb0EES11_EEDaSW_SX_EUlSW_E_NS1_11comp_targetILNS1_3genE4ELNS1_11target_archE910ELNS1_3gpuE8ELNS1_3repE0EEENS1_30default_config_static_selectorELNS0_4arch9wavefront6targetE0EEEvT1_,"axG",@progbits,_ZN7rocprim17ROCPRIM_400000_NS6detail17trampoline_kernelINS0_14default_configENS1_27scan_by_key_config_selectorIitEEZZNS1_16scan_by_key_implILNS1_25lookback_scan_determinismE0ELb1ES3_N6thrust23THRUST_200600_302600_NS6detail15normal_iteratorINS9_10device_ptrIiEEEENSB_INSC_ItEEEESG_tNS9_4plusIvEENS9_8equal_toIvEEtEE10hipError_tPvRmT2_T3_T4_T5_mT6_T7_P12ihipStream_tbENKUlT_T0_E_clISt17integral_constantIbLb0EES11_EEDaSW_SX_EUlSW_E_NS1_11comp_targetILNS1_3genE4ELNS1_11target_archE910ELNS1_3gpuE8ELNS1_3repE0EEENS1_30default_config_static_selectorELNS0_4arch9wavefront6targetE0EEEvT1_,comdat
.Lfunc_end1538:
	.size	_ZN7rocprim17ROCPRIM_400000_NS6detail17trampoline_kernelINS0_14default_configENS1_27scan_by_key_config_selectorIitEEZZNS1_16scan_by_key_implILNS1_25lookback_scan_determinismE0ELb1ES3_N6thrust23THRUST_200600_302600_NS6detail15normal_iteratorINS9_10device_ptrIiEEEENSB_INSC_ItEEEESG_tNS9_4plusIvEENS9_8equal_toIvEEtEE10hipError_tPvRmT2_T3_T4_T5_mT6_T7_P12ihipStream_tbENKUlT_T0_E_clISt17integral_constantIbLb0EES11_EEDaSW_SX_EUlSW_E_NS1_11comp_targetILNS1_3genE4ELNS1_11target_archE910ELNS1_3gpuE8ELNS1_3repE0EEENS1_30default_config_static_selectorELNS0_4arch9wavefront6targetE0EEEvT1_, .Lfunc_end1538-_ZN7rocprim17ROCPRIM_400000_NS6detail17trampoline_kernelINS0_14default_configENS1_27scan_by_key_config_selectorIitEEZZNS1_16scan_by_key_implILNS1_25lookback_scan_determinismE0ELb1ES3_N6thrust23THRUST_200600_302600_NS6detail15normal_iteratorINS9_10device_ptrIiEEEENSB_INSC_ItEEEESG_tNS9_4plusIvEENS9_8equal_toIvEEtEE10hipError_tPvRmT2_T3_T4_T5_mT6_T7_P12ihipStream_tbENKUlT_T0_E_clISt17integral_constantIbLb0EES11_EEDaSW_SX_EUlSW_E_NS1_11comp_targetILNS1_3genE4ELNS1_11target_archE910ELNS1_3gpuE8ELNS1_3repE0EEENS1_30default_config_static_selectorELNS0_4arch9wavefront6targetE0EEEvT1_
                                        ; -- End function
	.set _ZN7rocprim17ROCPRIM_400000_NS6detail17trampoline_kernelINS0_14default_configENS1_27scan_by_key_config_selectorIitEEZZNS1_16scan_by_key_implILNS1_25lookback_scan_determinismE0ELb1ES3_N6thrust23THRUST_200600_302600_NS6detail15normal_iteratorINS9_10device_ptrIiEEEENSB_INSC_ItEEEESG_tNS9_4plusIvEENS9_8equal_toIvEEtEE10hipError_tPvRmT2_T3_T4_T5_mT6_T7_P12ihipStream_tbENKUlT_T0_E_clISt17integral_constantIbLb0EES11_EEDaSW_SX_EUlSW_E_NS1_11comp_targetILNS1_3genE4ELNS1_11target_archE910ELNS1_3gpuE8ELNS1_3repE0EEENS1_30default_config_static_selectorELNS0_4arch9wavefront6targetE0EEEvT1_.num_vgpr, 0
	.set _ZN7rocprim17ROCPRIM_400000_NS6detail17trampoline_kernelINS0_14default_configENS1_27scan_by_key_config_selectorIitEEZZNS1_16scan_by_key_implILNS1_25lookback_scan_determinismE0ELb1ES3_N6thrust23THRUST_200600_302600_NS6detail15normal_iteratorINS9_10device_ptrIiEEEENSB_INSC_ItEEEESG_tNS9_4plusIvEENS9_8equal_toIvEEtEE10hipError_tPvRmT2_T3_T4_T5_mT6_T7_P12ihipStream_tbENKUlT_T0_E_clISt17integral_constantIbLb0EES11_EEDaSW_SX_EUlSW_E_NS1_11comp_targetILNS1_3genE4ELNS1_11target_archE910ELNS1_3gpuE8ELNS1_3repE0EEENS1_30default_config_static_selectorELNS0_4arch9wavefront6targetE0EEEvT1_.num_agpr, 0
	.set _ZN7rocprim17ROCPRIM_400000_NS6detail17trampoline_kernelINS0_14default_configENS1_27scan_by_key_config_selectorIitEEZZNS1_16scan_by_key_implILNS1_25lookback_scan_determinismE0ELb1ES3_N6thrust23THRUST_200600_302600_NS6detail15normal_iteratorINS9_10device_ptrIiEEEENSB_INSC_ItEEEESG_tNS9_4plusIvEENS9_8equal_toIvEEtEE10hipError_tPvRmT2_T3_T4_T5_mT6_T7_P12ihipStream_tbENKUlT_T0_E_clISt17integral_constantIbLb0EES11_EEDaSW_SX_EUlSW_E_NS1_11comp_targetILNS1_3genE4ELNS1_11target_archE910ELNS1_3gpuE8ELNS1_3repE0EEENS1_30default_config_static_selectorELNS0_4arch9wavefront6targetE0EEEvT1_.numbered_sgpr, 0
	.set _ZN7rocprim17ROCPRIM_400000_NS6detail17trampoline_kernelINS0_14default_configENS1_27scan_by_key_config_selectorIitEEZZNS1_16scan_by_key_implILNS1_25lookback_scan_determinismE0ELb1ES3_N6thrust23THRUST_200600_302600_NS6detail15normal_iteratorINS9_10device_ptrIiEEEENSB_INSC_ItEEEESG_tNS9_4plusIvEENS9_8equal_toIvEEtEE10hipError_tPvRmT2_T3_T4_T5_mT6_T7_P12ihipStream_tbENKUlT_T0_E_clISt17integral_constantIbLb0EES11_EEDaSW_SX_EUlSW_E_NS1_11comp_targetILNS1_3genE4ELNS1_11target_archE910ELNS1_3gpuE8ELNS1_3repE0EEENS1_30default_config_static_selectorELNS0_4arch9wavefront6targetE0EEEvT1_.num_named_barrier, 0
	.set _ZN7rocprim17ROCPRIM_400000_NS6detail17trampoline_kernelINS0_14default_configENS1_27scan_by_key_config_selectorIitEEZZNS1_16scan_by_key_implILNS1_25lookback_scan_determinismE0ELb1ES3_N6thrust23THRUST_200600_302600_NS6detail15normal_iteratorINS9_10device_ptrIiEEEENSB_INSC_ItEEEESG_tNS9_4plusIvEENS9_8equal_toIvEEtEE10hipError_tPvRmT2_T3_T4_T5_mT6_T7_P12ihipStream_tbENKUlT_T0_E_clISt17integral_constantIbLb0EES11_EEDaSW_SX_EUlSW_E_NS1_11comp_targetILNS1_3genE4ELNS1_11target_archE910ELNS1_3gpuE8ELNS1_3repE0EEENS1_30default_config_static_selectorELNS0_4arch9wavefront6targetE0EEEvT1_.private_seg_size, 0
	.set _ZN7rocprim17ROCPRIM_400000_NS6detail17trampoline_kernelINS0_14default_configENS1_27scan_by_key_config_selectorIitEEZZNS1_16scan_by_key_implILNS1_25lookback_scan_determinismE0ELb1ES3_N6thrust23THRUST_200600_302600_NS6detail15normal_iteratorINS9_10device_ptrIiEEEENSB_INSC_ItEEEESG_tNS9_4plusIvEENS9_8equal_toIvEEtEE10hipError_tPvRmT2_T3_T4_T5_mT6_T7_P12ihipStream_tbENKUlT_T0_E_clISt17integral_constantIbLb0EES11_EEDaSW_SX_EUlSW_E_NS1_11comp_targetILNS1_3genE4ELNS1_11target_archE910ELNS1_3gpuE8ELNS1_3repE0EEENS1_30default_config_static_selectorELNS0_4arch9wavefront6targetE0EEEvT1_.uses_vcc, 0
	.set _ZN7rocprim17ROCPRIM_400000_NS6detail17trampoline_kernelINS0_14default_configENS1_27scan_by_key_config_selectorIitEEZZNS1_16scan_by_key_implILNS1_25lookback_scan_determinismE0ELb1ES3_N6thrust23THRUST_200600_302600_NS6detail15normal_iteratorINS9_10device_ptrIiEEEENSB_INSC_ItEEEESG_tNS9_4plusIvEENS9_8equal_toIvEEtEE10hipError_tPvRmT2_T3_T4_T5_mT6_T7_P12ihipStream_tbENKUlT_T0_E_clISt17integral_constantIbLb0EES11_EEDaSW_SX_EUlSW_E_NS1_11comp_targetILNS1_3genE4ELNS1_11target_archE910ELNS1_3gpuE8ELNS1_3repE0EEENS1_30default_config_static_selectorELNS0_4arch9wavefront6targetE0EEEvT1_.uses_flat_scratch, 0
	.set _ZN7rocprim17ROCPRIM_400000_NS6detail17trampoline_kernelINS0_14default_configENS1_27scan_by_key_config_selectorIitEEZZNS1_16scan_by_key_implILNS1_25lookback_scan_determinismE0ELb1ES3_N6thrust23THRUST_200600_302600_NS6detail15normal_iteratorINS9_10device_ptrIiEEEENSB_INSC_ItEEEESG_tNS9_4plusIvEENS9_8equal_toIvEEtEE10hipError_tPvRmT2_T3_T4_T5_mT6_T7_P12ihipStream_tbENKUlT_T0_E_clISt17integral_constantIbLb0EES11_EEDaSW_SX_EUlSW_E_NS1_11comp_targetILNS1_3genE4ELNS1_11target_archE910ELNS1_3gpuE8ELNS1_3repE0EEENS1_30default_config_static_selectorELNS0_4arch9wavefront6targetE0EEEvT1_.has_dyn_sized_stack, 0
	.set _ZN7rocprim17ROCPRIM_400000_NS6detail17trampoline_kernelINS0_14default_configENS1_27scan_by_key_config_selectorIitEEZZNS1_16scan_by_key_implILNS1_25lookback_scan_determinismE0ELb1ES3_N6thrust23THRUST_200600_302600_NS6detail15normal_iteratorINS9_10device_ptrIiEEEENSB_INSC_ItEEEESG_tNS9_4plusIvEENS9_8equal_toIvEEtEE10hipError_tPvRmT2_T3_T4_T5_mT6_T7_P12ihipStream_tbENKUlT_T0_E_clISt17integral_constantIbLb0EES11_EEDaSW_SX_EUlSW_E_NS1_11comp_targetILNS1_3genE4ELNS1_11target_archE910ELNS1_3gpuE8ELNS1_3repE0EEENS1_30default_config_static_selectorELNS0_4arch9wavefront6targetE0EEEvT1_.has_recursion, 0
	.set _ZN7rocprim17ROCPRIM_400000_NS6detail17trampoline_kernelINS0_14default_configENS1_27scan_by_key_config_selectorIitEEZZNS1_16scan_by_key_implILNS1_25lookback_scan_determinismE0ELb1ES3_N6thrust23THRUST_200600_302600_NS6detail15normal_iteratorINS9_10device_ptrIiEEEENSB_INSC_ItEEEESG_tNS9_4plusIvEENS9_8equal_toIvEEtEE10hipError_tPvRmT2_T3_T4_T5_mT6_T7_P12ihipStream_tbENKUlT_T0_E_clISt17integral_constantIbLb0EES11_EEDaSW_SX_EUlSW_E_NS1_11comp_targetILNS1_3genE4ELNS1_11target_archE910ELNS1_3gpuE8ELNS1_3repE0EEENS1_30default_config_static_selectorELNS0_4arch9wavefront6targetE0EEEvT1_.has_indirect_call, 0
	.section	.AMDGPU.csdata,"",@progbits
; Kernel info:
; codeLenInByte = 0
; TotalNumSgprs: 0
; NumVgprs: 0
; ScratchSize: 0
; MemoryBound: 0
; FloatMode: 240
; IeeeMode: 1
; LDSByteSize: 0 bytes/workgroup (compile time only)
; SGPRBlocks: 0
; VGPRBlocks: 0
; NumSGPRsForWavesPerEU: 1
; NumVGPRsForWavesPerEU: 1
; Occupancy: 16
; WaveLimiterHint : 0
; COMPUTE_PGM_RSRC2:SCRATCH_EN: 0
; COMPUTE_PGM_RSRC2:USER_SGPR: 6
; COMPUTE_PGM_RSRC2:TRAP_HANDLER: 0
; COMPUTE_PGM_RSRC2:TGID_X_EN: 1
; COMPUTE_PGM_RSRC2:TGID_Y_EN: 0
; COMPUTE_PGM_RSRC2:TGID_Z_EN: 0
; COMPUTE_PGM_RSRC2:TIDIG_COMP_CNT: 0
	.section	.text._ZN7rocprim17ROCPRIM_400000_NS6detail17trampoline_kernelINS0_14default_configENS1_27scan_by_key_config_selectorIitEEZZNS1_16scan_by_key_implILNS1_25lookback_scan_determinismE0ELb1ES3_N6thrust23THRUST_200600_302600_NS6detail15normal_iteratorINS9_10device_ptrIiEEEENSB_INSC_ItEEEESG_tNS9_4plusIvEENS9_8equal_toIvEEtEE10hipError_tPvRmT2_T3_T4_T5_mT6_T7_P12ihipStream_tbENKUlT_T0_E_clISt17integral_constantIbLb0EES11_EEDaSW_SX_EUlSW_E_NS1_11comp_targetILNS1_3genE3ELNS1_11target_archE908ELNS1_3gpuE7ELNS1_3repE0EEENS1_30default_config_static_selectorELNS0_4arch9wavefront6targetE0EEEvT1_,"axG",@progbits,_ZN7rocprim17ROCPRIM_400000_NS6detail17trampoline_kernelINS0_14default_configENS1_27scan_by_key_config_selectorIitEEZZNS1_16scan_by_key_implILNS1_25lookback_scan_determinismE0ELb1ES3_N6thrust23THRUST_200600_302600_NS6detail15normal_iteratorINS9_10device_ptrIiEEEENSB_INSC_ItEEEESG_tNS9_4plusIvEENS9_8equal_toIvEEtEE10hipError_tPvRmT2_T3_T4_T5_mT6_T7_P12ihipStream_tbENKUlT_T0_E_clISt17integral_constantIbLb0EES11_EEDaSW_SX_EUlSW_E_NS1_11comp_targetILNS1_3genE3ELNS1_11target_archE908ELNS1_3gpuE7ELNS1_3repE0EEENS1_30default_config_static_selectorELNS0_4arch9wavefront6targetE0EEEvT1_,comdat
	.protected	_ZN7rocprim17ROCPRIM_400000_NS6detail17trampoline_kernelINS0_14default_configENS1_27scan_by_key_config_selectorIitEEZZNS1_16scan_by_key_implILNS1_25lookback_scan_determinismE0ELb1ES3_N6thrust23THRUST_200600_302600_NS6detail15normal_iteratorINS9_10device_ptrIiEEEENSB_INSC_ItEEEESG_tNS9_4plusIvEENS9_8equal_toIvEEtEE10hipError_tPvRmT2_T3_T4_T5_mT6_T7_P12ihipStream_tbENKUlT_T0_E_clISt17integral_constantIbLb0EES11_EEDaSW_SX_EUlSW_E_NS1_11comp_targetILNS1_3genE3ELNS1_11target_archE908ELNS1_3gpuE7ELNS1_3repE0EEENS1_30default_config_static_selectorELNS0_4arch9wavefront6targetE0EEEvT1_ ; -- Begin function _ZN7rocprim17ROCPRIM_400000_NS6detail17trampoline_kernelINS0_14default_configENS1_27scan_by_key_config_selectorIitEEZZNS1_16scan_by_key_implILNS1_25lookback_scan_determinismE0ELb1ES3_N6thrust23THRUST_200600_302600_NS6detail15normal_iteratorINS9_10device_ptrIiEEEENSB_INSC_ItEEEESG_tNS9_4plusIvEENS9_8equal_toIvEEtEE10hipError_tPvRmT2_T3_T4_T5_mT6_T7_P12ihipStream_tbENKUlT_T0_E_clISt17integral_constantIbLb0EES11_EEDaSW_SX_EUlSW_E_NS1_11comp_targetILNS1_3genE3ELNS1_11target_archE908ELNS1_3gpuE7ELNS1_3repE0EEENS1_30default_config_static_selectorELNS0_4arch9wavefront6targetE0EEEvT1_
	.globl	_ZN7rocprim17ROCPRIM_400000_NS6detail17trampoline_kernelINS0_14default_configENS1_27scan_by_key_config_selectorIitEEZZNS1_16scan_by_key_implILNS1_25lookback_scan_determinismE0ELb1ES3_N6thrust23THRUST_200600_302600_NS6detail15normal_iteratorINS9_10device_ptrIiEEEENSB_INSC_ItEEEESG_tNS9_4plusIvEENS9_8equal_toIvEEtEE10hipError_tPvRmT2_T3_T4_T5_mT6_T7_P12ihipStream_tbENKUlT_T0_E_clISt17integral_constantIbLb0EES11_EEDaSW_SX_EUlSW_E_NS1_11comp_targetILNS1_3genE3ELNS1_11target_archE908ELNS1_3gpuE7ELNS1_3repE0EEENS1_30default_config_static_selectorELNS0_4arch9wavefront6targetE0EEEvT1_
	.p2align	8
	.type	_ZN7rocprim17ROCPRIM_400000_NS6detail17trampoline_kernelINS0_14default_configENS1_27scan_by_key_config_selectorIitEEZZNS1_16scan_by_key_implILNS1_25lookback_scan_determinismE0ELb1ES3_N6thrust23THRUST_200600_302600_NS6detail15normal_iteratorINS9_10device_ptrIiEEEENSB_INSC_ItEEEESG_tNS9_4plusIvEENS9_8equal_toIvEEtEE10hipError_tPvRmT2_T3_T4_T5_mT6_T7_P12ihipStream_tbENKUlT_T0_E_clISt17integral_constantIbLb0EES11_EEDaSW_SX_EUlSW_E_NS1_11comp_targetILNS1_3genE3ELNS1_11target_archE908ELNS1_3gpuE7ELNS1_3repE0EEENS1_30default_config_static_selectorELNS0_4arch9wavefront6targetE0EEEvT1_,@function
_ZN7rocprim17ROCPRIM_400000_NS6detail17trampoline_kernelINS0_14default_configENS1_27scan_by_key_config_selectorIitEEZZNS1_16scan_by_key_implILNS1_25lookback_scan_determinismE0ELb1ES3_N6thrust23THRUST_200600_302600_NS6detail15normal_iteratorINS9_10device_ptrIiEEEENSB_INSC_ItEEEESG_tNS9_4plusIvEENS9_8equal_toIvEEtEE10hipError_tPvRmT2_T3_T4_T5_mT6_T7_P12ihipStream_tbENKUlT_T0_E_clISt17integral_constantIbLb0EES11_EEDaSW_SX_EUlSW_E_NS1_11comp_targetILNS1_3genE3ELNS1_11target_archE908ELNS1_3gpuE7ELNS1_3repE0EEENS1_30default_config_static_selectorELNS0_4arch9wavefront6targetE0EEEvT1_: ; @_ZN7rocprim17ROCPRIM_400000_NS6detail17trampoline_kernelINS0_14default_configENS1_27scan_by_key_config_selectorIitEEZZNS1_16scan_by_key_implILNS1_25lookback_scan_determinismE0ELb1ES3_N6thrust23THRUST_200600_302600_NS6detail15normal_iteratorINS9_10device_ptrIiEEEENSB_INSC_ItEEEESG_tNS9_4plusIvEENS9_8equal_toIvEEtEE10hipError_tPvRmT2_T3_T4_T5_mT6_T7_P12ihipStream_tbENKUlT_T0_E_clISt17integral_constantIbLb0EES11_EEDaSW_SX_EUlSW_E_NS1_11comp_targetILNS1_3genE3ELNS1_11target_archE908ELNS1_3gpuE7ELNS1_3repE0EEENS1_30default_config_static_selectorELNS0_4arch9wavefront6targetE0EEEvT1_
; %bb.0:
	.section	.rodata,"a",@progbits
	.p2align	6, 0x0
	.amdhsa_kernel _ZN7rocprim17ROCPRIM_400000_NS6detail17trampoline_kernelINS0_14default_configENS1_27scan_by_key_config_selectorIitEEZZNS1_16scan_by_key_implILNS1_25lookback_scan_determinismE0ELb1ES3_N6thrust23THRUST_200600_302600_NS6detail15normal_iteratorINS9_10device_ptrIiEEEENSB_INSC_ItEEEESG_tNS9_4plusIvEENS9_8equal_toIvEEtEE10hipError_tPvRmT2_T3_T4_T5_mT6_T7_P12ihipStream_tbENKUlT_T0_E_clISt17integral_constantIbLb0EES11_EEDaSW_SX_EUlSW_E_NS1_11comp_targetILNS1_3genE3ELNS1_11target_archE908ELNS1_3gpuE7ELNS1_3repE0EEENS1_30default_config_static_selectorELNS0_4arch9wavefront6targetE0EEEvT1_
		.amdhsa_group_segment_fixed_size 0
		.amdhsa_private_segment_fixed_size 0
		.amdhsa_kernarg_size 112
		.amdhsa_user_sgpr_count 6
		.amdhsa_user_sgpr_private_segment_buffer 1
		.amdhsa_user_sgpr_dispatch_ptr 0
		.amdhsa_user_sgpr_queue_ptr 0
		.amdhsa_user_sgpr_kernarg_segment_ptr 1
		.amdhsa_user_sgpr_dispatch_id 0
		.amdhsa_user_sgpr_flat_scratch_init 0
		.amdhsa_user_sgpr_private_segment_size 0
		.amdhsa_wavefront_size32 1
		.amdhsa_uses_dynamic_stack 0
		.amdhsa_system_sgpr_private_segment_wavefront_offset 0
		.amdhsa_system_sgpr_workgroup_id_x 1
		.amdhsa_system_sgpr_workgroup_id_y 0
		.amdhsa_system_sgpr_workgroup_id_z 0
		.amdhsa_system_sgpr_workgroup_info 0
		.amdhsa_system_vgpr_workitem_id 0
		.amdhsa_next_free_vgpr 1
		.amdhsa_next_free_sgpr 1
		.amdhsa_reserve_vcc 0
		.amdhsa_reserve_flat_scratch 0
		.amdhsa_float_round_mode_32 0
		.amdhsa_float_round_mode_16_64 0
		.amdhsa_float_denorm_mode_32 3
		.amdhsa_float_denorm_mode_16_64 3
		.amdhsa_dx10_clamp 1
		.amdhsa_ieee_mode 1
		.amdhsa_fp16_overflow 0
		.amdhsa_workgroup_processor_mode 1
		.amdhsa_memory_ordered 1
		.amdhsa_forward_progress 1
		.amdhsa_shared_vgpr_count 0
		.amdhsa_exception_fp_ieee_invalid_op 0
		.amdhsa_exception_fp_denorm_src 0
		.amdhsa_exception_fp_ieee_div_zero 0
		.amdhsa_exception_fp_ieee_overflow 0
		.amdhsa_exception_fp_ieee_underflow 0
		.amdhsa_exception_fp_ieee_inexact 0
		.amdhsa_exception_int_div_zero 0
	.end_amdhsa_kernel
	.section	.text._ZN7rocprim17ROCPRIM_400000_NS6detail17trampoline_kernelINS0_14default_configENS1_27scan_by_key_config_selectorIitEEZZNS1_16scan_by_key_implILNS1_25lookback_scan_determinismE0ELb1ES3_N6thrust23THRUST_200600_302600_NS6detail15normal_iteratorINS9_10device_ptrIiEEEENSB_INSC_ItEEEESG_tNS9_4plusIvEENS9_8equal_toIvEEtEE10hipError_tPvRmT2_T3_T4_T5_mT6_T7_P12ihipStream_tbENKUlT_T0_E_clISt17integral_constantIbLb0EES11_EEDaSW_SX_EUlSW_E_NS1_11comp_targetILNS1_3genE3ELNS1_11target_archE908ELNS1_3gpuE7ELNS1_3repE0EEENS1_30default_config_static_selectorELNS0_4arch9wavefront6targetE0EEEvT1_,"axG",@progbits,_ZN7rocprim17ROCPRIM_400000_NS6detail17trampoline_kernelINS0_14default_configENS1_27scan_by_key_config_selectorIitEEZZNS1_16scan_by_key_implILNS1_25lookback_scan_determinismE0ELb1ES3_N6thrust23THRUST_200600_302600_NS6detail15normal_iteratorINS9_10device_ptrIiEEEENSB_INSC_ItEEEESG_tNS9_4plusIvEENS9_8equal_toIvEEtEE10hipError_tPvRmT2_T3_T4_T5_mT6_T7_P12ihipStream_tbENKUlT_T0_E_clISt17integral_constantIbLb0EES11_EEDaSW_SX_EUlSW_E_NS1_11comp_targetILNS1_3genE3ELNS1_11target_archE908ELNS1_3gpuE7ELNS1_3repE0EEENS1_30default_config_static_selectorELNS0_4arch9wavefront6targetE0EEEvT1_,comdat
.Lfunc_end1539:
	.size	_ZN7rocprim17ROCPRIM_400000_NS6detail17trampoline_kernelINS0_14default_configENS1_27scan_by_key_config_selectorIitEEZZNS1_16scan_by_key_implILNS1_25lookback_scan_determinismE0ELb1ES3_N6thrust23THRUST_200600_302600_NS6detail15normal_iteratorINS9_10device_ptrIiEEEENSB_INSC_ItEEEESG_tNS9_4plusIvEENS9_8equal_toIvEEtEE10hipError_tPvRmT2_T3_T4_T5_mT6_T7_P12ihipStream_tbENKUlT_T0_E_clISt17integral_constantIbLb0EES11_EEDaSW_SX_EUlSW_E_NS1_11comp_targetILNS1_3genE3ELNS1_11target_archE908ELNS1_3gpuE7ELNS1_3repE0EEENS1_30default_config_static_selectorELNS0_4arch9wavefront6targetE0EEEvT1_, .Lfunc_end1539-_ZN7rocprim17ROCPRIM_400000_NS6detail17trampoline_kernelINS0_14default_configENS1_27scan_by_key_config_selectorIitEEZZNS1_16scan_by_key_implILNS1_25lookback_scan_determinismE0ELb1ES3_N6thrust23THRUST_200600_302600_NS6detail15normal_iteratorINS9_10device_ptrIiEEEENSB_INSC_ItEEEESG_tNS9_4plusIvEENS9_8equal_toIvEEtEE10hipError_tPvRmT2_T3_T4_T5_mT6_T7_P12ihipStream_tbENKUlT_T0_E_clISt17integral_constantIbLb0EES11_EEDaSW_SX_EUlSW_E_NS1_11comp_targetILNS1_3genE3ELNS1_11target_archE908ELNS1_3gpuE7ELNS1_3repE0EEENS1_30default_config_static_selectorELNS0_4arch9wavefront6targetE0EEEvT1_
                                        ; -- End function
	.set _ZN7rocprim17ROCPRIM_400000_NS6detail17trampoline_kernelINS0_14default_configENS1_27scan_by_key_config_selectorIitEEZZNS1_16scan_by_key_implILNS1_25lookback_scan_determinismE0ELb1ES3_N6thrust23THRUST_200600_302600_NS6detail15normal_iteratorINS9_10device_ptrIiEEEENSB_INSC_ItEEEESG_tNS9_4plusIvEENS9_8equal_toIvEEtEE10hipError_tPvRmT2_T3_T4_T5_mT6_T7_P12ihipStream_tbENKUlT_T0_E_clISt17integral_constantIbLb0EES11_EEDaSW_SX_EUlSW_E_NS1_11comp_targetILNS1_3genE3ELNS1_11target_archE908ELNS1_3gpuE7ELNS1_3repE0EEENS1_30default_config_static_selectorELNS0_4arch9wavefront6targetE0EEEvT1_.num_vgpr, 0
	.set _ZN7rocprim17ROCPRIM_400000_NS6detail17trampoline_kernelINS0_14default_configENS1_27scan_by_key_config_selectorIitEEZZNS1_16scan_by_key_implILNS1_25lookback_scan_determinismE0ELb1ES3_N6thrust23THRUST_200600_302600_NS6detail15normal_iteratorINS9_10device_ptrIiEEEENSB_INSC_ItEEEESG_tNS9_4plusIvEENS9_8equal_toIvEEtEE10hipError_tPvRmT2_T3_T4_T5_mT6_T7_P12ihipStream_tbENKUlT_T0_E_clISt17integral_constantIbLb0EES11_EEDaSW_SX_EUlSW_E_NS1_11comp_targetILNS1_3genE3ELNS1_11target_archE908ELNS1_3gpuE7ELNS1_3repE0EEENS1_30default_config_static_selectorELNS0_4arch9wavefront6targetE0EEEvT1_.num_agpr, 0
	.set _ZN7rocprim17ROCPRIM_400000_NS6detail17trampoline_kernelINS0_14default_configENS1_27scan_by_key_config_selectorIitEEZZNS1_16scan_by_key_implILNS1_25lookback_scan_determinismE0ELb1ES3_N6thrust23THRUST_200600_302600_NS6detail15normal_iteratorINS9_10device_ptrIiEEEENSB_INSC_ItEEEESG_tNS9_4plusIvEENS9_8equal_toIvEEtEE10hipError_tPvRmT2_T3_T4_T5_mT6_T7_P12ihipStream_tbENKUlT_T0_E_clISt17integral_constantIbLb0EES11_EEDaSW_SX_EUlSW_E_NS1_11comp_targetILNS1_3genE3ELNS1_11target_archE908ELNS1_3gpuE7ELNS1_3repE0EEENS1_30default_config_static_selectorELNS0_4arch9wavefront6targetE0EEEvT1_.numbered_sgpr, 0
	.set _ZN7rocprim17ROCPRIM_400000_NS6detail17trampoline_kernelINS0_14default_configENS1_27scan_by_key_config_selectorIitEEZZNS1_16scan_by_key_implILNS1_25lookback_scan_determinismE0ELb1ES3_N6thrust23THRUST_200600_302600_NS6detail15normal_iteratorINS9_10device_ptrIiEEEENSB_INSC_ItEEEESG_tNS9_4plusIvEENS9_8equal_toIvEEtEE10hipError_tPvRmT2_T3_T4_T5_mT6_T7_P12ihipStream_tbENKUlT_T0_E_clISt17integral_constantIbLb0EES11_EEDaSW_SX_EUlSW_E_NS1_11comp_targetILNS1_3genE3ELNS1_11target_archE908ELNS1_3gpuE7ELNS1_3repE0EEENS1_30default_config_static_selectorELNS0_4arch9wavefront6targetE0EEEvT1_.num_named_barrier, 0
	.set _ZN7rocprim17ROCPRIM_400000_NS6detail17trampoline_kernelINS0_14default_configENS1_27scan_by_key_config_selectorIitEEZZNS1_16scan_by_key_implILNS1_25lookback_scan_determinismE0ELb1ES3_N6thrust23THRUST_200600_302600_NS6detail15normal_iteratorINS9_10device_ptrIiEEEENSB_INSC_ItEEEESG_tNS9_4plusIvEENS9_8equal_toIvEEtEE10hipError_tPvRmT2_T3_T4_T5_mT6_T7_P12ihipStream_tbENKUlT_T0_E_clISt17integral_constantIbLb0EES11_EEDaSW_SX_EUlSW_E_NS1_11comp_targetILNS1_3genE3ELNS1_11target_archE908ELNS1_3gpuE7ELNS1_3repE0EEENS1_30default_config_static_selectorELNS0_4arch9wavefront6targetE0EEEvT1_.private_seg_size, 0
	.set _ZN7rocprim17ROCPRIM_400000_NS6detail17trampoline_kernelINS0_14default_configENS1_27scan_by_key_config_selectorIitEEZZNS1_16scan_by_key_implILNS1_25lookback_scan_determinismE0ELb1ES3_N6thrust23THRUST_200600_302600_NS6detail15normal_iteratorINS9_10device_ptrIiEEEENSB_INSC_ItEEEESG_tNS9_4plusIvEENS9_8equal_toIvEEtEE10hipError_tPvRmT2_T3_T4_T5_mT6_T7_P12ihipStream_tbENKUlT_T0_E_clISt17integral_constantIbLb0EES11_EEDaSW_SX_EUlSW_E_NS1_11comp_targetILNS1_3genE3ELNS1_11target_archE908ELNS1_3gpuE7ELNS1_3repE0EEENS1_30default_config_static_selectorELNS0_4arch9wavefront6targetE0EEEvT1_.uses_vcc, 0
	.set _ZN7rocprim17ROCPRIM_400000_NS6detail17trampoline_kernelINS0_14default_configENS1_27scan_by_key_config_selectorIitEEZZNS1_16scan_by_key_implILNS1_25lookback_scan_determinismE0ELb1ES3_N6thrust23THRUST_200600_302600_NS6detail15normal_iteratorINS9_10device_ptrIiEEEENSB_INSC_ItEEEESG_tNS9_4plusIvEENS9_8equal_toIvEEtEE10hipError_tPvRmT2_T3_T4_T5_mT6_T7_P12ihipStream_tbENKUlT_T0_E_clISt17integral_constantIbLb0EES11_EEDaSW_SX_EUlSW_E_NS1_11comp_targetILNS1_3genE3ELNS1_11target_archE908ELNS1_3gpuE7ELNS1_3repE0EEENS1_30default_config_static_selectorELNS0_4arch9wavefront6targetE0EEEvT1_.uses_flat_scratch, 0
	.set _ZN7rocprim17ROCPRIM_400000_NS6detail17trampoline_kernelINS0_14default_configENS1_27scan_by_key_config_selectorIitEEZZNS1_16scan_by_key_implILNS1_25lookback_scan_determinismE0ELb1ES3_N6thrust23THRUST_200600_302600_NS6detail15normal_iteratorINS9_10device_ptrIiEEEENSB_INSC_ItEEEESG_tNS9_4plusIvEENS9_8equal_toIvEEtEE10hipError_tPvRmT2_T3_T4_T5_mT6_T7_P12ihipStream_tbENKUlT_T0_E_clISt17integral_constantIbLb0EES11_EEDaSW_SX_EUlSW_E_NS1_11comp_targetILNS1_3genE3ELNS1_11target_archE908ELNS1_3gpuE7ELNS1_3repE0EEENS1_30default_config_static_selectorELNS0_4arch9wavefront6targetE0EEEvT1_.has_dyn_sized_stack, 0
	.set _ZN7rocprim17ROCPRIM_400000_NS6detail17trampoline_kernelINS0_14default_configENS1_27scan_by_key_config_selectorIitEEZZNS1_16scan_by_key_implILNS1_25lookback_scan_determinismE0ELb1ES3_N6thrust23THRUST_200600_302600_NS6detail15normal_iteratorINS9_10device_ptrIiEEEENSB_INSC_ItEEEESG_tNS9_4plusIvEENS9_8equal_toIvEEtEE10hipError_tPvRmT2_T3_T4_T5_mT6_T7_P12ihipStream_tbENKUlT_T0_E_clISt17integral_constantIbLb0EES11_EEDaSW_SX_EUlSW_E_NS1_11comp_targetILNS1_3genE3ELNS1_11target_archE908ELNS1_3gpuE7ELNS1_3repE0EEENS1_30default_config_static_selectorELNS0_4arch9wavefront6targetE0EEEvT1_.has_recursion, 0
	.set _ZN7rocprim17ROCPRIM_400000_NS6detail17trampoline_kernelINS0_14default_configENS1_27scan_by_key_config_selectorIitEEZZNS1_16scan_by_key_implILNS1_25lookback_scan_determinismE0ELb1ES3_N6thrust23THRUST_200600_302600_NS6detail15normal_iteratorINS9_10device_ptrIiEEEENSB_INSC_ItEEEESG_tNS9_4plusIvEENS9_8equal_toIvEEtEE10hipError_tPvRmT2_T3_T4_T5_mT6_T7_P12ihipStream_tbENKUlT_T0_E_clISt17integral_constantIbLb0EES11_EEDaSW_SX_EUlSW_E_NS1_11comp_targetILNS1_3genE3ELNS1_11target_archE908ELNS1_3gpuE7ELNS1_3repE0EEENS1_30default_config_static_selectorELNS0_4arch9wavefront6targetE0EEEvT1_.has_indirect_call, 0
	.section	.AMDGPU.csdata,"",@progbits
; Kernel info:
; codeLenInByte = 0
; TotalNumSgprs: 0
; NumVgprs: 0
; ScratchSize: 0
; MemoryBound: 0
; FloatMode: 240
; IeeeMode: 1
; LDSByteSize: 0 bytes/workgroup (compile time only)
; SGPRBlocks: 0
; VGPRBlocks: 0
; NumSGPRsForWavesPerEU: 1
; NumVGPRsForWavesPerEU: 1
; Occupancy: 16
; WaveLimiterHint : 0
; COMPUTE_PGM_RSRC2:SCRATCH_EN: 0
; COMPUTE_PGM_RSRC2:USER_SGPR: 6
; COMPUTE_PGM_RSRC2:TRAP_HANDLER: 0
; COMPUTE_PGM_RSRC2:TGID_X_EN: 1
; COMPUTE_PGM_RSRC2:TGID_Y_EN: 0
; COMPUTE_PGM_RSRC2:TGID_Z_EN: 0
; COMPUTE_PGM_RSRC2:TIDIG_COMP_CNT: 0
	.section	.text._ZN7rocprim17ROCPRIM_400000_NS6detail17trampoline_kernelINS0_14default_configENS1_27scan_by_key_config_selectorIitEEZZNS1_16scan_by_key_implILNS1_25lookback_scan_determinismE0ELb1ES3_N6thrust23THRUST_200600_302600_NS6detail15normal_iteratorINS9_10device_ptrIiEEEENSB_INSC_ItEEEESG_tNS9_4plusIvEENS9_8equal_toIvEEtEE10hipError_tPvRmT2_T3_T4_T5_mT6_T7_P12ihipStream_tbENKUlT_T0_E_clISt17integral_constantIbLb0EES11_EEDaSW_SX_EUlSW_E_NS1_11comp_targetILNS1_3genE2ELNS1_11target_archE906ELNS1_3gpuE6ELNS1_3repE0EEENS1_30default_config_static_selectorELNS0_4arch9wavefront6targetE0EEEvT1_,"axG",@progbits,_ZN7rocprim17ROCPRIM_400000_NS6detail17trampoline_kernelINS0_14default_configENS1_27scan_by_key_config_selectorIitEEZZNS1_16scan_by_key_implILNS1_25lookback_scan_determinismE0ELb1ES3_N6thrust23THRUST_200600_302600_NS6detail15normal_iteratorINS9_10device_ptrIiEEEENSB_INSC_ItEEEESG_tNS9_4plusIvEENS9_8equal_toIvEEtEE10hipError_tPvRmT2_T3_T4_T5_mT6_T7_P12ihipStream_tbENKUlT_T0_E_clISt17integral_constantIbLb0EES11_EEDaSW_SX_EUlSW_E_NS1_11comp_targetILNS1_3genE2ELNS1_11target_archE906ELNS1_3gpuE6ELNS1_3repE0EEENS1_30default_config_static_selectorELNS0_4arch9wavefront6targetE0EEEvT1_,comdat
	.protected	_ZN7rocprim17ROCPRIM_400000_NS6detail17trampoline_kernelINS0_14default_configENS1_27scan_by_key_config_selectorIitEEZZNS1_16scan_by_key_implILNS1_25lookback_scan_determinismE0ELb1ES3_N6thrust23THRUST_200600_302600_NS6detail15normal_iteratorINS9_10device_ptrIiEEEENSB_INSC_ItEEEESG_tNS9_4plusIvEENS9_8equal_toIvEEtEE10hipError_tPvRmT2_T3_T4_T5_mT6_T7_P12ihipStream_tbENKUlT_T0_E_clISt17integral_constantIbLb0EES11_EEDaSW_SX_EUlSW_E_NS1_11comp_targetILNS1_3genE2ELNS1_11target_archE906ELNS1_3gpuE6ELNS1_3repE0EEENS1_30default_config_static_selectorELNS0_4arch9wavefront6targetE0EEEvT1_ ; -- Begin function _ZN7rocprim17ROCPRIM_400000_NS6detail17trampoline_kernelINS0_14default_configENS1_27scan_by_key_config_selectorIitEEZZNS1_16scan_by_key_implILNS1_25lookback_scan_determinismE0ELb1ES3_N6thrust23THRUST_200600_302600_NS6detail15normal_iteratorINS9_10device_ptrIiEEEENSB_INSC_ItEEEESG_tNS9_4plusIvEENS9_8equal_toIvEEtEE10hipError_tPvRmT2_T3_T4_T5_mT6_T7_P12ihipStream_tbENKUlT_T0_E_clISt17integral_constantIbLb0EES11_EEDaSW_SX_EUlSW_E_NS1_11comp_targetILNS1_3genE2ELNS1_11target_archE906ELNS1_3gpuE6ELNS1_3repE0EEENS1_30default_config_static_selectorELNS0_4arch9wavefront6targetE0EEEvT1_
	.globl	_ZN7rocprim17ROCPRIM_400000_NS6detail17trampoline_kernelINS0_14default_configENS1_27scan_by_key_config_selectorIitEEZZNS1_16scan_by_key_implILNS1_25lookback_scan_determinismE0ELb1ES3_N6thrust23THRUST_200600_302600_NS6detail15normal_iteratorINS9_10device_ptrIiEEEENSB_INSC_ItEEEESG_tNS9_4plusIvEENS9_8equal_toIvEEtEE10hipError_tPvRmT2_T3_T4_T5_mT6_T7_P12ihipStream_tbENKUlT_T0_E_clISt17integral_constantIbLb0EES11_EEDaSW_SX_EUlSW_E_NS1_11comp_targetILNS1_3genE2ELNS1_11target_archE906ELNS1_3gpuE6ELNS1_3repE0EEENS1_30default_config_static_selectorELNS0_4arch9wavefront6targetE0EEEvT1_
	.p2align	8
	.type	_ZN7rocprim17ROCPRIM_400000_NS6detail17trampoline_kernelINS0_14default_configENS1_27scan_by_key_config_selectorIitEEZZNS1_16scan_by_key_implILNS1_25lookback_scan_determinismE0ELb1ES3_N6thrust23THRUST_200600_302600_NS6detail15normal_iteratorINS9_10device_ptrIiEEEENSB_INSC_ItEEEESG_tNS9_4plusIvEENS9_8equal_toIvEEtEE10hipError_tPvRmT2_T3_T4_T5_mT6_T7_P12ihipStream_tbENKUlT_T0_E_clISt17integral_constantIbLb0EES11_EEDaSW_SX_EUlSW_E_NS1_11comp_targetILNS1_3genE2ELNS1_11target_archE906ELNS1_3gpuE6ELNS1_3repE0EEENS1_30default_config_static_selectorELNS0_4arch9wavefront6targetE0EEEvT1_,@function
_ZN7rocprim17ROCPRIM_400000_NS6detail17trampoline_kernelINS0_14default_configENS1_27scan_by_key_config_selectorIitEEZZNS1_16scan_by_key_implILNS1_25lookback_scan_determinismE0ELb1ES3_N6thrust23THRUST_200600_302600_NS6detail15normal_iteratorINS9_10device_ptrIiEEEENSB_INSC_ItEEEESG_tNS9_4plusIvEENS9_8equal_toIvEEtEE10hipError_tPvRmT2_T3_T4_T5_mT6_T7_P12ihipStream_tbENKUlT_T0_E_clISt17integral_constantIbLb0EES11_EEDaSW_SX_EUlSW_E_NS1_11comp_targetILNS1_3genE2ELNS1_11target_archE906ELNS1_3gpuE6ELNS1_3repE0EEENS1_30default_config_static_selectorELNS0_4arch9wavefront6targetE0EEEvT1_: ; @_ZN7rocprim17ROCPRIM_400000_NS6detail17trampoline_kernelINS0_14default_configENS1_27scan_by_key_config_selectorIitEEZZNS1_16scan_by_key_implILNS1_25lookback_scan_determinismE0ELb1ES3_N6thrust23THRUST_200600_302600_NS6detail15normal_iteratorINS9_10device_ptrIiEEEENSB_INSC_ItEEEESG_tNS9_4plusIvEENS9_8equal_toIvEEtEE10hipError_tPvRmT2_T3_T4_T5_mT6_T7_P12ihipStream_tbENKUlT_T0_E_clISt17integral_constantIbLb0EES11_EEDaSW_SX_EUlSW_E_NS1_11comp_targetILNS1_3genE2ELNS1_11target_archE906ELNS1_3gpuE6ELNS1_3repE0EEENS1_30default_config_static_selectorELNS0_4arch9wavefront6targetE0EEEvT1_
; %bb.0:
	.section	.rodata,"a",@progbits
	.p2align	6, 0x0
	.amdhsa_kernel _ZN7rocprim17ROCPRIM_400000_NS6detail17trampoline_kernelINS0_14default_configENS1_27scan_by_key_config_selectorIitEEZZNS1_16scan_by_key_implILNS1_25lookback_scan_determinismE0ELb1ES3_N6thrust23THRUST_200600_302600_NS6detail15normal_iteratorINS9_10device_ptrIiEEEENSB_INSC_ItEEEESG_tNS9_4plusIvEENS9_8equal_toIvEEtEE10hipError_tPvRmT2_T3_T4_T5_mT6_T7_P12ihipStream_tbENKUlT_T0_E_clISt17integral_constantIbLb0EES11_EEDaSW_SX_EUlSW_E_NS1_11comp_targetILNS1_3genE2ELNS1_11target_archE906ELNS1_3gpuE6ELNS1_3repE0EEENS1_30default_config_static_selectorELNS0_4arch9wavefront6targetE0EEEvT1_
		.amdhsa_group_segment_fixed_size 0
		.amdhsa_private_segment_fixed_size 0
		.amdhsa_kernarg_size 112
		.amdhsa_user_sgpr_count 6
		.amdhsa_user_sgpr_private_segment_buffer 1
		.amdhsa_user_sgpr_dispatch_ptr 0
		.amdhsa_user_sgpr_queue_ptr 0
		.amdhsa_user_sgpr_kernarg_segment_ptr 1
		.amdhsa_user_sgpr_dispatch_id 0
		.amdhsa_user_sgpr_flat_scratch_init 0
		.amdhsa_user_sgpr_private_segment_size 0
		.amdhsa_wavefront_size32 1
		.amdhsa_uses_dynamic_stack 0
		.amdhsa_system_sgpr_private_segment_wavefront_offset 0
		.amdhsa_system_sgpr_workgroup_id_x 1
		.amdhsa_system_sgpr_workgroup_id_y 0
		.amdhsa_system_sgpr_workgroup_id_z 0
		.amdhsa_system_sgpr_workgroup_info 0
		.amdhsa_system_vgpr_workitem_id 0
		.amdhsa_next_free_vgpr 1
		.amdhsa_next_free_sgpr 1
		.amdhsa_reserve_vcc 0
		.amdhsa_reserve_flat_scratch 0
		.amdhsa_float_round_mode_32 0
		.amdhsa_float_round_mode_16_64 0
		.amdhsa_float_denorm_mode_32 3
		.amdhsa_float_denorm_mode_16_64 3
		.amdhsa_dx10_clamp 1
		.amdhsa_ieee_mode 1
		.amdhsa_fp16_overflow 0
		.amdhsa_workgroup_processor_mode 1
		.amdhsa_memory_ordered 1
		.amdhsa_forward_progress 1
		.amdhsa_shared_vgpr_count 0
		.amdhsa_exception_fp_ieee_invalid_op 0
		.amdhsa_exception_fp_denorm_src 0
		.amdhsa_exception_fp_ieee_div_zero 0
		.amdhsa_exception_fp_ieee_overflow 0
		.amdhsa_exception_fp_ieee_underflow 0
		.amdhsa_exception_fp_ieee_inexact 0
		.amdhsa_exception_int_div_zero 0
	.end_amdhsa_kernel
	.section	.text._ZN7rocprim17ROCPRIM_400000_NS6detail17trampoline_kernelINS0_14default_configENS1_27scan_by_key_config_selectorIitEEZZNS1_16scan_by_key_implILNS1_25lookback_scan_determinismE0ELb1ES3_N6thrust23THRUST_200600_302600_NS6detail15normal_iteratorINS9_10device_ptrIiEEEENSB_INSC_ItEEEESG_tNS9_4plusIvEENS9_8equal_toIvEEtEE10hipError_tPvRmT2_T3_T4_T5_mT6_T7_P12ihipStream_tbENKUlT_T0_E_clISt17integral_constantIbLb0EES11_EEDaSW_SX_EUlSW_E_NS1_11comp_targetILNS1_3genE2ELNS1_11target_archE906ELNS1_3gpuE6ELNS1_3repE0EEENS1_30default_config_static_selectorELNS0_4arch9wavefront6targetE0EEEvT1_,"axG",@progbits,_ZN7rocprim17ROCPRIM_400000_NS6detail17trampoline_kernelINS0_14default_configENS1_27scan_by_key_config_selectorIitEEZZNS1_16scan_by_key_implILNS1_25lookback_scan_determinismE0ELb1ES3_N6thrust23THRUST_200600_302600_NS6detail15normal_iteratorINS9_10device_ptrIiEEEENSB_INSC_ItEEEESG_tNS9_4plusIvEENS9_8equal_toIvEEtEE10hipError_tPvRmT2_T3_T4_T5_mT6_T7_P12ihipStream_tbENKUlT_T0_E_clISt17integral_constantIbLb0EES11_EEDaSW_SX_EUlSW_E_NS1_11comp_targetILNS1_3genE2ELNS1_11target_archE906ELNS1_3gpuE6ELNS1_3repE0EEENS1_30default_config_static_selectorELNS0_4arch9wavefront6targetE0EEEvT1_,comdat
.Lfunc_end1540:
	.size	_ZN7rocprim17ROCPRIM_400000_NS6detail17trampoline_kernelINS0_14default_configENS1_27scan_by_key_config_selectorIitEEZZNS1_16scan_by_key_implILNS1_25lookback_scan_determinismE0ELb1ES3_N6thrust23THRUST_200600_302600_NS6detail15normal_iteratorINS9_10device_ptrIiEEEENSB_INSC_ItEEEESG_tNS9_4plusIvEENS9_8equal_toIvEEtEE10hipError_tPvRmT2_T3_T4_T5_mT6_T7_P12ihipStream_tbENKUlT_T0_E_clISt17integral_constantIbLb0EES11_EEDaSW_SX_EUlSW_E_NS1_11comp_targetILNS1_3genE2ELNS1_11target_archE906ELNS1_3gpuE6ELNS1_3repE0EEENS1_30default_config_static_selectorELNS0_4arch9wavefront6targetE0EEEvT1_, .Lfunc_end1540-_ZN7rocprim17ROCPRIM_400000_NS6detail17trampoline_kernelINS0_14default_configENS1_27scan_by_key_config_selectorIitEEZZNS1_16scan_by_key_implILNS1_25lookback_scan_determinismE0ELb1ES3_N6thrust23THRUST_200600_302600_NS6detail15normal_iteratorINS9_10device_ptrIiEEEENSB_INSC_ItEEEESG_tNS9_4plusIvEENS9_8equal_toIvEEtEE10hipError_tPvRmT2_T3_T4_T5_mT6_T7_P12ihipStream_tbENKUlT_T0_E_clISt17integral_constantIbLb0EES11_EEDaSW_SX_EUlSW_E_NS1_11comp_targetILNS1_3genE2ELNS1_11target_archE906ELNS1_3gpuE6ELNS1_3repE0EEENS1_30default_config_static_selectorELNS0_4arch9wavefront6targetE0EEEvT1_
                                        ; -- End function
	.set _ZN7rocprim17ROCPRIM_400000_NS6detail17trampoline_kernelINS0_14default_configENS1_27scan_by_key_config_selectorIitEEZZNS1_16scan_by_key_implILNS1_25lookback_scan_determinismE0ELb1ES3_N6thrust23THRUST_200600_302600_NS6detail15normal_iteratorINS9_10device_ptrIiEEEENSB_INSC_ItEEEESG_tNS9_4plusIvEENS9_8equal_toIvEEtEE10hipError_tPvRmT2_T3_T4_T5_mT6_T7_P12ihipStream_tbENKUlT_T0_E_clISt17integral_constantIbLb0EES11_EEDaSW_SX_EUlSW_E_NS1_11comp_targetILNS1_3genE2ELNS1_11target_archE906ELNS1_3gpuE6ELNS1_3repE0EEENS1_30default_config_static_selectorELNS0_4arch9wavefront6targetE0EEEvT1_.num_vgpr, 0
	.set _ZN7rocprim17ROCPRIM_400000_NS6detail17trampoline_kernelINS0_14default_configENS1_27scan_by_key_config_selectorIitEEZZNS1_16scan_by_key_implILNS1_25lookback_scan_determinismE0ELb1ES3_N6thrust23THRUST_200600_302600_NS6detail15normal_iteratorINS9_10device_ptrIiEEEENSB_INSC_ItEEEESG_tNS9_4plusIvEENS9_8equal_toIvEEtEE10hipError_tPvRmT2_T3_T4_T5_mT6_T7_P12ihipStream_tbENKUlT_T0_E_clISt17integral_constantIbLb0EES11_EEDaSW_SX_EUlSW_E_NS1_11comp_targetILNS1_3genE2ELNS1_11target_archE906ELNS1_3gpuE6ELNS1_3repE0EEENS1_30default_config_static_selectorELNS0_4arch9wavefront6targetE0EEEvT1_.num_agpr, 0
	.set _ZN7rocprim17ROCPRIM_400000_NS6detail17trampoline_kernelINS0_14default_configENS1_27scan_by_key_config_selectorIitEEZZNS1_16scan_by_key_implILNS1_25lookback_scan_determinismE0ELb1ES3_N6thrust23THRUST_200600_302600_NS6detail15normal_iteratorINS9_10device_ptrIiEEEENSB_INSC_ItEEEESG_tNS9_4plusIvEENS9_8equal_toIvEEtEE10hipError_tPvRmT2_T3_T4_T5_mT6_T7_P12ihipStream_tbENKUlT_T0_E_clISt17integral_constantIbLb0EES11_EEDaSW_SX_EUlSW_E_NS1_11comp_targetILNS1_3genE2ELNS1_11target_archE906ELNS1_3gpuE6ELNS1_3repE0EEENS1_30default_config_static_selectorELNS0_4arch9wavefront6targetE0EEEvT1_.numbered_sgpr, 0
	.set _ZN7rocprim17ROCPRIM_400000_NS6detail17trampoline_kernelINS0_14default_configENS1_27scan_by_key_config_selectorIitEEZZNS1_16scan_by_key_implILNS1_25lookback_scan_determinismE0ELb1ES3_N6thrust23THRUST_200600_302600_NS6detail15normal_iteratorINS9_10device_ptrIiEEEENSB_INSC_ItEEEESG_tNS9_4plusIvEENS9_8equal_toIvEEtEE10hipError_tPvRmT2_T3_T4_T5_mT6_T7_P12ihipStream_tbENKUlT_T0_E_clISt17integral_constantIbLb0EES11_EEDaSW_SX_EUlSW_E_NS1_11comp_targetILNS1_3genE2ELNS1_11target_archE906ELNS1_3gpuE6ELNS1_3repE0EEENS1_30default_config_static_selectorELNS0_4arch9wavefront6targetE0EEEvT1_.num_named_barrier, 0
	.set _ZN7rocprim17ROCPRIM_400000_NS6detail17trampoline_kernelINS0_14default_configENS1_27scan_by_key_config_selectorIitEEZZNS1_16scan_by_key_implILNS1_25lookback_scan_determinismE0ELb1ES3_N6thrust23THRUST_200600_302600_NS6detail15normal_iteratorINS9_10device_ptrIiEEEENSB_INSC_ItEEEESG_tNS9_4plusIvEENS9_8equal_toIvEEtEE10hipError_tPvRmT2_T3_T4_T5_mT6_T7_P12ihipStream_tbENKUlT_T0_E_clISt17integral_constantIbLb0EES11_EEDaSW_SX_EUlSW_E_NS1_11comp_targetILNS1_3genE2ELNS1_11target_archE906ELNS1_3gpuE6ELNS1_3repE0EEENS1_30default_config_static_selectorELNS0_4arch9wavefront6targetE0EEEvT1_.private_seg_size, 0
	.set _ZN7rocprim17ROCPRIM_400000_NS6detail17trampoline_kernelINS0_14default_configENS1_27scan_by_key_config_selectorIitEEZZNS1_16scan_by_key_implILNS1_25lookback_scan_determinismE0ELb1ES3_N6thrust23THRUST_200600_302600_NS6detail15normal_iteratorINS9_10device_ptrIiEEEENSB_INSC_ItEEEESG_tNS9_4plusIvEENS9_8equal_toIvEEtEE10hipError_tPvRmT2_T3_T4_T5_mT6_T7_P12ihipStream_tbENKUlT_T0_E_clISt17integral_constantIbLb0EES11_EEDaSW_SX_EUlSW_E_NS1_11comp_targetILNS1_3genE2ELNS1_11target_archE906ELNS1_3gpuE6ELNS1_3repE0EEENS1_30default_config_static_selectorELNS0_4arch9wavefront6targetE0EEEvT1_.uses_vcc, 0
	.set _ZN7rocprim17ROCPRIM_400000_NS6detail17trampoline_kernelINS0_14default_configENS1_27scan_by_key_config_selectorIitEEZZNS1_16scan_by_key_implILNS1_25lookback_scan_determinismE0ELb1ES3_N6thrust23THRUST_200600_302600_NS6detail15normal_iteratorINS9_10device_ptrIiEEEENSB_INSC_ItEEEESG_tNS9_4plusIvEENS9_8equal_toIvEEtEE10hipError_tPvRmT2_T3_T4_T5_mT6_T7_P12ihipStream_tbENKUlT_T0_E_clISt17integral_constantIbLb0EES11_EEDaSW_SX_EUlSW_E_NS1_11comp_targetILNS1_3genE2ELNS1_11target_archE906ELNS1_3gpuE6ELNS1_3repE0EEENS1_30default_config_static_selectorELNS0_4arch9wavefront6targetE0EEEvT1_.uses_flat_scratch, 0
	.set _ZN7rocprim17ROCPRIM_400000_NS6detail17trampoline_kernelINS0_14default_configENS1_27scan_by_key_config_selectorIitEEZZNS1_16scan_by_key_implILNS1_25lookback_scan_determinismE0ELb1ES3_N6thrust23THRUST_200600_302600_NS6detail15normal_iteratorINS9_10device_ptrIiEEEENSB_INSC_ItEEEESG_tNS9_4plusIvEENS9_8equal_toIvEEtEE10hipError_tPvRmT2_T3_T4_T5_mT6_T7_P12ihipStream_tbENKUlT_T0_E_clISt17integral_constantIbLb0EES11_EEDaSW_SX_EUlSW_E_NS1_11comp_targetILNS1_3genE2ELNS1_11target_archE906ELNS1_3gpuE6ELNS1_3repE0EEENS1_30default_config_static_selectorELNS0_4arch9wavefront6targetE0EEEvT1_.has_dyn_sized_stack, 0
	.set _ZN7rocprim17ROCPRIM_400000_NS6detail17trampoline_kernelINS0_14default_configENS1_27scan_by_key_config_selectorIitEEZZNS1_16scan_by_key_implILNS1_25lookback_scan_determinismE0ELb1ES3_N6thrust23THRUST_200600_302600_NS6detail15normal_iteratorINS9_10device_ptrIiEEEENSB_INSC_ItEEEESG_tNS9_4plusIvEENS9_8equal_toIvEEtEE10hipError_tPvRmT2_T3_T4_T5_mT6_T7_P12ihipStream_tbENKUlT_T0_E_clISt17integral_constantIbLb0EES11_EEDaSW_SX_EUlSW_E_NS1_11comp_targetILNS1_3genE2ELNS1_11target_archE906ELNS1_3gpuE6ELNS1_3repE0EEENS1_30default_config_static_selectorELNS0_4arch9wavefront6targetE0EEEvT1_.has_recursion, 0
	.set _ZN7rocprim17ROCPRIM_400000_NS6detail17trampoline_kernelINS0_14default_configENS1_27scan_by_key_config_selectorIitEEZZNS1_16scan_by_key_implILNS1_25lookback_scan_determinismE0ELb1ES3_N6thrust23THRUST_200600_302600_NS6detail15normal_iteratorINS9_10device_ptrIiEEEENSB_INSC_ItEEEESG_tNS9_4plusIvEENS9_8equal_toIvEEtEE10hipError_tPvRmT2_T3_T4_T5_mT6_T7_P12ihipStream_tbENKUlT_T0_E_clISt17integral_constantIbLb0EES11_EEDaSW_SX_EUlSW_E_NS1_11comp_targetILNS1_3genE2ELNS1_11target_archE906ELNS1_3gpuE6ELNS1_3repE0EEENS1_30default_config_static_selectorELNS0_4arch9wavefront6targetE0EEEvT1_.has_indirect_call, 0
	.section	.AMDGPU.csdata,"",@progbits
; Kernel info:
; codeLenInByte = 0
; TotalNumSgprs: 0
; NumVgprs: 0
; ScratchSize: 0
; MemoryBound: 0
; FloatMode: 240
; IeeeMode: 1
; LDSByteSize: 0 bytes/workgroup (compile time only)
; SGPRBlocks: 0
; VGPRBlocks: 0
; NumSGPRsForWavesPerEU: 1
; NumVGPRsForWavesPerEU: 1
; Occupancy: 16
; WaveLimiterHint : 0
; COMPUTE_PGM_RSRC2:SCRATCH_EN: 0
; COMPUTE_PGM_RSRC2:USER_SGPR: 6
; COMPUTE_PGM_RSRC2:TRAP_HANDLER: 0
; COMPUTE_PGM_RSRC2:TGID_X_EN: 1
; COMPUTE_PGM_RSRC2:TGID_Y_EN: 0
; COMPUTE_PGM_RSRC2:TGID_Z_EN: 0
; COMPUTE_PGM_RSRC2:TIDIG_COMP_CNT: 0
	.section	.text._ZN7rocprim17ROCPRIM_400000_NS6detail17trampoline_kernelINS0_14default_configENS1_27scan_by_key_config_selectorIitEEZZNS1_16scan_by_key_implILNS1_25lookback_scan_determinismE0ELb1ES3_N6thrust23THRUST_200600_302600_NS6detail15normal_iteratorINS9_10device_ptrIiEEEENSB_INSC_ItEEEESG_tNS9_4plusIvEENS9_8equal_toIvEEtEE10hipError_tPvRmT2_T3_T4_T5_mT6_T7_P12ihipStream_tbENKUlT_T0_E_clISt17integral_constantIbLb0EES11_EEDaSW_SX_EUlSW_E_NS1_11comp_targetILNS1_3genE10ELNS1_11target_archE1200ELNS1_3gpuE4ELNS1_3repE0EEENS1_30default_config_static_selectorELNS0_4arch9wavefront6targetE0EEEvT1_,"axG",@progbits,_ZN7rocprim17ROCPRIM_400000_NS6detail17trampoline_kernelINS0_14default_configENS1_27scan_by_key_config_selectorIitEEZZNS1_16scan_by_key_implILNS1_25lookback_scan_determinismE0ELb1ES3_N6thrust23THRUST_200600_302600_NS6detail15normal_iteratorINS9_10device_ptrIiEEEENSB_INSC_ItEEEESG_tNS9_4plusIvEENS9_8equal_toIvEEtEE10hipError_tPvRmT2_T3_T4_T5_mT6_T7_P12ihipStream_tbENKUlT_T0_E_clISt17integral_constantIbLb0EES11_EEDaSW_SX_EUlSW_E_NS1_11comp_targetILNS1_3genE10ELNS1_11target_archE1200ELNS1_3gpuE4ELNS1_3repE0EEENS1_30default_config_static_selectorELNS0_4arch9wavefront6targetE0EEEvT1_,comdat
	.protected	_ZN7rocprim17ROCPRIM_400000_NS6detail17trampoline_kernelINS0_14default_configENS1_27scan_by_key_config_selectorIitEEZZNS1_16scan_by_key_implILNS1_25lookback_scan_determinismE0ELb1ES3_N6thrust23THRUST_200600_302600_NS6detail15normal_iteratorINS9_10device_ptrIiEEEENSB_INSC_ItEEEESG_tNS9_4plusIvEENS9_8equal_toIvEEtEE10hipError_tPvRmT2_T3_T4_T5_mT6_T7_P12ihipStream_tbENKUlT_T0_E_clISt17integral_constantIbLb0EES11_EEDaSW_SX_EUlSW_E_NS1_11comp_targetILNS1_3genE10ELNS1_11target_archE1200ELNS1_3gpuE4ELNS1_3repE0EEENS1_30default_config_static_selectorELNS0_4arch9wavefront6targetE0EEEvT1_ ; -- Begin function _ZN7rocprim17ROCPRIM_400000_NS6detail17trampoline_kernelINS0_14default_configENS1_27scan_by_key_config_selectorIitEEZZNS1_16scan_by_key_implILNS1_25lookback_scan_determinismE0ELb1ES3_N6thrust23THRUST_200600_302600_NS6detail15normal_iteratorINS9_10device_ptrIiEEEENSB_INSC_ItEEEESG_tNS9_4plusIvEENS9_8equal_toIvEEtEE10hipError_tPvRmT2_T3_T4_T5_mT6_T7_P12ihipStream_tbENKUlT_T0_E_clISt17integral_constantIbLb0EES11_EEDaSW_SX_EUlSW_E_NS1_11comp_targetILNS1_3genE10ELNS1_11target_archE1200ELNS1_3gpuE4ELNS1_3repE0EEENS1_30default_config_static_selectorELNS0_4arch9wavefront6targetE0EEEvT1_
	.globl	_ZN7rocprim17ROCPRIM_400000_NS6detail17trampoline_kernelINS0_14default_configENS1_27scan_by_key_config_selectorIitEEZZNS1_16scan_by_key_implILNS1_25lookback_scan_determinismE0ELb1ES3_N6thrust23THRUST_200600_302600_NS6detail15normal_iteratorINS9_10device_ptrIiEEEENSB_INSC_ItEEEESG_tNS9_4plusIvEENS9_8equal_toIvEEtEE10hipError_tPvRmT2_T3_T4_T5_mT6_T7_P12ihipStream_tbENKUlT_T0_E_clISt17integral_constantIbLb0EES11_EEDaSW_SX_EUlSW_E_NS1_11comp_targetILNS1_3genE10ELNS1_11target_archE1200ELNS1_3gpuE4ELNS1_3repE0EEENS1_30default_config_static_selectorELNS0_4arch9wavefront6targetE0EEEvT1_
	.p2align	8
	.type	_ZN7rocprim17ROCPRIM_400000_NS6detail17trampoline_kernelINS0_14default_configENS1_27scan_by_key_config_selectorIitEEZZNS1_16scan_by_key_implILNS1_25lookback_scan_determinismE0ELb1ES3_N6thrust23THRUST_200600_302600_NS6detail15normal_iteratorINS9_10device_ptrIiEEEENSB_INSC_ItEEEESG_tNS9_4plusIvEENS9_8equal_toIvEEtEE10hipError_tPvRmT2_T3_T4_T5_mT6_T7_P12ihipStream_tbENKUlT_T0_E_clISt17integral_constantIbLb0EES11_EEDaSW_SX_EUlSW_E_NS1_11comp_targetILNS1_3genE10ELNS1_11target_archE1200ELNS1_3gpuE4ELNS1_3repE0EEENS1_30default_config_static_selectorELNS0_4arch9wavefront6targetE0EEEvT1_,@function
_ZN7rocprim17ROCPRIM_400000_NS6detail17trampoline_kernelINS0_14default_configENS1_27scan_by_key_config_selectorIitEEZZNS1_16scan_by_key_implILNS1_25lookback_scan_determinismE0ELb1ES3_N6thrust23THRUST_200600_302600_NS6detail15normal_iteratorINS9_10device_ptrIiEEEENSB_INSC_ItEEEESG_tNS9_4plusIvEENS9_8equal_toIvEEtEE10hipError_tPvRmT2_T3_T4_T5_mT6_T7_P12ihipStream_tbENKUlT_T0_E_clISt17integral_constantIbLb0EES11_EEDaSW_SX_EUlSW_E_NS1_11comp_targetILNS1_3genE10ELNS1_11target_archE1200ELNS1_3gpuE4ELNS1_3repE0EEENS1_30default_config_static_selectorELNS0_4arch9wavefront6targetE0EEEvT1_: ; @_ZN7rocprim17ROCPRIM_400000_NS6detail17trampoline_kernelINS0_14default_configENS1_27scan_by_key_config_selectorIitEEZZNS1_16scan_by_key_implILNS1_25lookback_scan_determinismE0ELb1ES3_N6thrust23THRUST_200600_302600_NS6detail15normal_iteratorINS9_10device_ptrIiEEEENSB_INSC_ItEEEESG_tNS9_4plusIvEENS9_8equal_toIvEEtEE10hipError_tPvRmT2_T3_T4_T5_mT6_T7_P12ihipStream_tbENKUlT_T0_E_clISt17integral_constantIbLb0EES11_EEDaSW_SX_EUlSW_E_NS1_11comp_targetILNS1_3genE10ELNS1_11target_archE1200ELNS1_3gpuE4ELNS1_3repE0EEENS1_30default_config_static_selectorELNS0_4arch9wavefront6targetE0EEEvT1_
; %bb.0:
	.section	.rodata,"a",@progbits
	.p2align	6, 0x0
	.amdhsa_kernel _ZN7rocprim17ROCPRIM_400000_NS6detail17trampoline_kernelINS0_14default_configENS1_27scan_by_key_config_selectorIitEEZZNS1_16scan_by_key_implILNS1_25lookback_scan_determinismE0ELb1ES3_N6thrust23THRUST_200600_302600_NS6detail15normal_iteratorINS9_10device_ptrIiEEEENSB_INSC_ItEEEESG_tNS9_4plusIvEENS9_8equal_toIvEEtEE10hipError_tPvRmT2_T3_T4_T5_mT6_T7_P12ihipStream_tbENKUlT_T0_E_clISt17integral_constantIbLb0EES11_EEDaSW_SX_EUlSW_E_NS1_11comp_targetILNS1_3genE10ELNS1_11target_archE1200ELNS1_3gpuE4ELNS1_3repE0EEENS1_30default_config_static_selectorELNS0_4arch9wavefront6targetE0EEEvT1_
		.amdhsa_group_segment_fixed_size 0
		.amdhsa_private_segment_fixed_size 0
		.amdhsa_kernarg_size 112
		.amdhsa_user_sgpr_count 6
		.amdhsa_user_sgpr_private_segment_buffer 1
		.amdhsa_user_sgpr_dispatch_ptr 0
		.amdhsa_user_sgpr_queue_ptr 0
		.amdhsa_user_sgpr_kernarg_segment_ptr 1
		.amdhsa_user_sgpr_dispatch_id 0
		.amdhsa_user_sgpr_flat_scratch_init 0
		.amdhsa_user_sgpr_private_segment_size 0
		.amdhsa_wavefront_size32 1
		.amdhsa_uses_dynamic_stack 0
		.amdhsa_system_sgpr_private_segment_wavefront_offset 0
		.amdhsa_system_sgpr_workgroup_id_x 1
		.amdhsa_system_sgpr_workgroup_id_y 0
		.amdhsa_system_sgpr_workgroup_id_z 0
		.amdhsa_system_sgpr_workgroup_info 0
		.amdhsa_system_vgpr_workitem_id 0
		.amdhsa_next_free_vgpr 1
		.amdhsa_next_free_sgpr 1
		.amdhsa_reserve_vcc 0
		.amdhsa_reserve_flat_scratch 0
		.amdhsa_float_round_mode_32 0
		.amdhsa_float_round_mode_16_64 0
		.amdhsa_float_denorm_mode_32 3
		.amdhsa_float_denorm_mode_16_64 3
		.amdhsa_dx10_clamp 1
		.amdhsa_ieee_mode 1
		.amdhsa_fp16_overflow 0
		.amdhsa_workgroup_processor_mode 1
		.amdhsa_memory_ordered 1
		.amdhsa_forward_progress 1
		.amdhsa_shared_vgpr_count 0
		.amdhsa_exception_fp_ieee_invalid_op 0
		.amdhsa_exception_fp_denorm_src 0
		.amdhsa_exception_fp_ieee_div_zero 0
		.amdhsa_exception_fp_ieee_overflow 0
		.amdhsa_exception_fp_ieee_underflow 0
		.amdhsa_exception_fp_ieee_inexact 0
		.amdhsa_exception_int_div_zero 0
	.end_amdhsa_kernel
	.section	.text._ZN7rocprim17ROCPRIM_400000_NS6detail17trampoline_kernelINS0_14default_configENS1_27scan_by_key_config_selectorIitEEZZNS1_16scan_by_key_implILNS1_25lookback_scan_determinismE0ELb1ES3_N6thrust23THRUST_200600_302600_NS6detail15normal_iteratorINS9_10device_ptrIiEEEENSB_INSC_ItEEEESG_tNS9_4plusIvEENS9_8equal_toIvEEtEE10hipError_tPvRmT2_T3_T4_T5_mT6_T7_P12ihipStream_tbENKUlT_T0_E_clISt17integral_constantIbLb0EES11_EEDaSW_SX_EUlSW_E_NS1_11comp_targetILNS1_3genE10ELNS1_11target_archE1200ELNS1_3gpuE4ELNS1_3repE0EEENS1_30default_config_static_selectorELNS0_4arch9wavefront6targetE0EEEvT1_,"axG",@progbits,_ZN7rocprim17ROCPRIM_400000_NS6detail17trampoline_kernelINS0_14default_configENS1_27scan_by_key_config_selectorIitEEZZNS1_16scan_by_key_implILNS1_25lookback_scan_determinismE0ELb1ES3_N6thrust23THRUST_200600_302600_NS6detail15normal_iteratorINS9_10device_ptrIiEEEENSB_INSC_ItEEEESG_tNS9_4plusIvEENS9_8equal_toIvEEtEE10hipError_tPvRmT2_T3_T4_T5_mT6_T7_P12ihipStream_tbENKUlT_T0_E_clISt17integral_constantIbLb0EES11_EEDaSW_SX_EUlSW_E_NS1_11comp_targetILNS1_3genE10ELNS1_11target_archE1200ELNS1_3gpuE4ELNS1_3repE0EEENS1_30default_config_static_selectorELNS0_4arch9wavefront6targetE0EEEvT1_,comdat
.Lfunc_end1541:
	.size	_ZN7rocprim17ROCPRIM_400000_NS6detail17trampoline_kernelINS0_14default_configENS1_27scan_by_key_config_selectorIitEEZZNS1_16scan_by_key_implILNS1_25lookback_scan_determinismE0ELb1ES3_N6thrust23THRUST_200600_302600_NS6detail15normal_iteratorINS9_10device_ptrIiEEEENSB_INSC_ItEEEESG_tNS9_4plusIvEENS9_8equal_toIvEEtEE10hipError_tPvRmT2_T3_T4_T5_mT6_T7_P12ihipStream_tbENKUlT_T0_E_clISt17integral_constantIbLb0EES11_EEDaSW_SX_EUlSW_E_NS1_11comp_targetILNS1_3genE10ELNS1_11target_archE1200ELNS1_3gpuE4ELNS1_3repE0EEENS1_30default_config_static_selectorELNS0_4arch9wavefront6targetE0EEEvT1_, .Lfunc_end1541-_ZN7rocprim17ROCPRIM_400000_NS6detail17trampoline_kernelINS0_14default_configENS1_27scan_by_key_config_selectorIitEEZZNS1_16scan_by_key_implILNS1_25lookback_scan_determinismE0ELb1ES3_N6thrust23THRUST_200600_302600_NS6detail15normal_iteratorINS9_10device_ptrIiEEEENSB_INSC_ItEEEESG_tNS9_4plusIvEENS9_8equal_toIvEEtEE10hipError_tPvRmT2_T3_T4_T5_mT6_T7_P12ihipStream_tbENKUlT_T0_E_clISt17integral_constantIbLb0EES11_EEDaSW_SX_EUlSW_E_NS1_11comp_targetILNS1_3genE10ELNS1_11target_archE1200ELNS1_3gpuE4ELNS1_3repE0EEENS1_30default_config_static_selectorELNS0_4arch9wavefront6targetE0EEEvT1_
                                        ; -- End function
	.set _ZN7rocprim17ROCPRIM_400000_NS6detail17trampoline_kernelINS0_14default_configENS1_27scan_by_key_config_selectorIitEEZZNS1_16scan_by_key_implILNS1_25lookback_scan_determinismE0ELb1ES3_N6thrust23THRUST_200600_302600_NS6detail15normal_iteratorINS9_10device_ptrIiEEEENSB_INSC_ItEEEESG_tNS9_4plusIvEENS9_8equal_toIvEEtEE10hipError_tPvRmT2_T3_T4_T5_mT6_T7_P12ihipStream_tbENKUlT_T0_E_clISt17integral_constantIbLb0EES11_EEDaSW_SX_EUlSW_E_NS1_11comp_targetILNS1_3genE10ELNS1_11target_archE1200ELNS1_3gpuE4ELNS1_3repE0EEENS1_30default_config_static_selectorELNS0_4arch9wavefront6targetE0EEEvT1_.num_vgpr, 0
	.set _ZN7rocprim17ROCPRIM_400000_NS6detail17trampoline_kernelINS0_14default_configENS1_27scan_by_key_config_selectorIitEEZZNS1_16scan_by_key_implILNS1_25lookback_scan_determinismE0ELb1ES3_N6thrust23THRUST_200600_302600_NS6detail15normal_iteratorINS9_10device_ptrIiEEEENSB_INSC_ItEEEESG_tNS9_4plusIvEENS9_8equal_toIvEEtEE10hipError_tPvRmT2_T3_T4_T5_mT6_T7_P12ihipStream_tbENKUlT_T0_E_clISt17integral_constantIbLb0EES11_EEDaSW_SX_EUlSW_E_NS1_11comp_targetILNS1_3genE10ELNS1_11target_archE1200ELNS1_3gpuE4ELNS1_3repE0EEENS1_30default_config_static_selectorELNS0_4arch9wavefront6targetE0EEEvT1_.num_agpr, 0
	.set _ZN7rocprim17ROCPRIM_400000_NS6detail17trampoline_kernelINS0_14default_configENS1_27scan_by_key_config_selectorIitEEZZNS1_16scan_by_key_implILNS1_25lookback_scan_determinismE0ELb1ES3_N6thrust23THRUST_200600_302600_NS6detail15normal_iteratorINS9_10device_ptrIiEEEENSB_INSC_ItEEEESG_tNS9_4plusIvEENS9_8equal_toIvEEtEE10hipError_tPvRmT2_T3_T4_T5_mT6_T7_P12ihipStream_tbENKUlT_T0_E_clISt17integral_constantIbLb0EES11_EEDaSW_SX_EUlSW_E_NS1_11comp_targetILNS1_3genE10ELNS1_11target_archE1200ELNS1_3gpuE4ELNS1_3repE0EEENS1_30default_config_static_selectorELNS0_4arch9wavefront6targetE0EEEvT1_.numbered_sgpr, 0
	.set _ZN7rocprim17ROCPRIM_400000_NS6detail17trampoline_kernelINS0_14default_configENS1_27scan_by_key_config_selectorIitEEZZNS1_16scan_by_key_implILNS1_25lookback_scan_determinismE0ELb1ES3_N6thrust23THRUST_200600_302600_NS6detail15normal_iteratorINS9_10device_ptrIiEEEENSB_INSC_ItEEEESG_tNS9_4plusIvEENS9_8equal_toIvEEtEE10hipError_tPvRmT2_T3_T4_T5_mT6_T7_P12ihipStream_tbENKUlT_T0_E_clISt17integral_constantIbLb0EES11_EEDaSW_SX_EUlSW_E_NS1_11comp_targetILNS1_3genE10ELNS1_11target_archE1200ELNS1_3gpuE4ELNS1_3repE0EEENS1_30default_config_static_selectorELNS0_4arch9wavefront6targetE0EEEvT1_.num_named_barrier, 0
	.set _ZN7rocprim17ROCPRIM_400000_NS6detail17trampoline_kernelINS0_14default_configENS1_27scan_by_key_config_selectorIitEEZZNS1_16scan_by_key_implILNS1_25lookback_scan_determinismE0ELb1ES3_N6thrust23THRUST_200600_302600_NS6detail15normal_iteratorINS9_10device_ptrIiEEEENSB_INSC_ItEEEESG_tNS9_4plusIvEENS9_8equal_toIvEEtEE10hipError_tPvRmT2_T3_T4_T5_mT6_T7_P12ihipStream_tbENKUlT_T0_E_clISt17integral_constantIbLb0EES11_EEDaSW_SX_EUlSW_E_NS1_11comp_targetILNS1_3genE10ELNS1_11target_archE1200ELNS1_3gpuE4ELNS1_3repE0EEENS1_30default_config_static_selectorELNS0_4arch9wavefront6targetE0EEEvT1_.private_seg_size, 0
	.set _ZN7rocprim17ROCPRIM_400000_NS6detail17trampoline_kernelINS0_14default_configENS1_27scan_by_key_config_selectorIitEEZZNS1_16scan_by_key_implILNS1_25lookback_scan_determinismE0ELb1ES3_N6thrust23THRUST_200600_302600_NS6detail15normal_iteratorINS9_10device_ptrIiEEEENSB_INSC_ItEEEESG_tNS9_4plusIvEENS9_8equal_toIvEEtEE10hipError_tPvRmT2_T3_T4_T5_mT6_T7_P12ihipStream_tbENKUlT_T0_E_clISt17integral_constantIbLb0EES11_EEDaSW_SX_EUlSW_E_NS1_11comp_targetILNS1_3genE10ELNS1_11target_archE1200ELNS1_3gpuE4ELNS1_3repE0EEENS1_30default_config_static_selectorELNS0_4arch9wavefront6targetE0EEEvT1_.uses_vcc, 0
	.set _ZN7rocprim17ROCPRIM_400000_NS6detail17trampoline_kernelINS0_14default_configENS1_27scan_by_key_config_selectorIitEEZZNS1_16scan_by_key_implILNS1_25lookback_scan_determinismE0ELb1ES3_N6thrust23THRUST_200600_302600_NS6detail15normal_iteratorINS9_10device_ptrIiEEEENSB_INSC_ItEEEESG_tNS9_4plusIvEENS9_8equal_toIvEEtEE10hipError_tPvRmT2_T3_T4_T5_mT6_T7_P12ihipStream_tbENKUlT_T0_E_clISt17integral_constantIbLb0EES11_EEDaSW_SX_EUlSW_E_NS1_11comp_targetILNS1_3genE10ELNS1_11target_archE1200ELNS1_3gpuE4ELNS1_3repE0EEENS1_30default_config_static_selectorELNS0_4arch9wavefront6targetE0EEEvT1_.uses_flat_scratch, 0
	.set _ZN7rocprim17ROCPRIM_400000_NS6detail17trampoline_kernelINS0_14default_configENS1_27scan_by_key_config_selectorIitEEZZNS1_16scan_by_key_implILNS1_25lookback_scan_determinismE0ELb1ES3_N6thrust23THRUST_200600_302600_NS6detail15normal_iteratorINS9_10device_ptrIiEEEENSB_INSC_ItEEEESG_tNS9_4plusIvEENS9_8equal_toIvEEtEE10hipError_tPvRmT2_T3_T4_T5_mT6_T7_P12ihipStream_tbENKUlT_T0_E_clISt17integral_constantIbLb0EES11_EEDaSW_SX_EUlSW_E_NS1_11comp_targetILNS1_3genE10ELNS1_11target_archE1200ELNS1_3gpuE4ELNS1_3repE0EEENS1_30default_config_static_selectorELNS0_4arch9wavefront6targetE0EEEvT1_.has_dyn_sized_stack, 0
	.set _ZN7rocprim17ROCPRIM_400000_NS6detail17trampoline_kernelINS0_14default_configENS1_27scan_by_key_config_selectorIitEEZZNS1_16scan_by_key_implILNS1_25lookback_scan_determinismE0ELb1ES3_N6thrust23THRUST_200600_302600_NS6detail15normal_iteratorINS9_10device_ptrIiEEEENSB_INSC_ItEEEESG_tNS9_4plusIvEENS9_8equal_toIvEEtEE10hipError_tPvRmT2_T3_T4_T5_mT6_T7_P12ihipStream_tbENKUlT_T0_E_clISt17integral_constantIbLb0EES11_EEDaSW_SX_EUlSW_E_NS1_11comp_targetILNS1_3genE10ELNS1_11target_archE1200ELNS1_3gpuE4ELNS1_3repE0EEENS1_30default_config_static_selectorELNS0_4arch9wavefront6targetE0EEEvT1_.has_recursion, 0
	.set _ZN7rocprim17ROCPRIM_400000_NS6detail17trampoline_kernelINS0_14default_configENS1_27scan_by_key_config_selectorIitEEZZNS1_16scan_by_key_implILNS1_25lookback_scan_determinismE0ELb1ES3_N6thrust23THRUST_200600_302600_NS6detail15normal_iteratorINS9_10device_ptrIiEEEENSB_INSC_ItEEEESG_tNS9_4plusIvEENS9_8equal_toIvEEtEE10hipError_tPvRmT2_T3_T4_T5_mT6_T7_P12ihipStream_tbENKUlT_T0_E_clISt17integral_constantIbLb0EES11_EEDaSW_SX_EUlSW_E_NS1_11comp_targetILNS1_3genE10ELNS1_11target_archE1200ELNS1_3gpuE4ELNS1_3repE0EEENS1_30default_config_static_selectorELNS0_4arch9wavefront6targetE0EEEvT1_.has_indirect_call, 0
	.section	.AMDGPU.csdata,"",@progbits
; Kernel info:
; codeLenInByte = 0
; TotalNumSgprs: 0
; NumVgprs: 0
; ScratchSize: 0
; MemoryBound: 0
; FloatMode: 240
; IeeeMode: 1
; LDSByteSize: 0 bytes/workgroup (compile time only)
; SGPRBlocks: 0
; VGPRBlocks: 0
; NumSGPRsForWavesPerEU: 1
; NumVGPRsForWavesPerEU: 1
; Occupancy: 16
; WaveLimiterHint : 0
; COMPUTE_PGM_RSRC2:SCRATCH_EN: 0
; COMPUTE_PGM_RSRC2:USER_SGPR: 6
; COMPUTE_PGM_RSRC2:TRAP_HANDLER: 0
; COMPUTE_PGM_RSRC2:TGID_X_EN: 1
; COMPUTE_PGM_RSRC2:TGID_Y_EN: 0
; COMPUTE_PGM_RSRC2:TGID_Z_EN: 0
; COMPUTE_PGM_RSRC2:TIDIG_COMP_CNT: 0
	.section	.text._ZN7rocprim17ROCPRIM_400000_NS6detail17trampoline_kernelINS0_14default_configENS1_27scan_by_key_config_selectorIitEEZZNS1_16scan_by_key_implILNS1_25lookback_scan_determinismE0ELb1ES3_N6thrust23THRUST_200600_302600_NS6detail15normal_iteratorINS9_10device_ptrIiEEEENSB_INSC_ItEEEESG_tNS9_4plusIvEENS9_8equal_toIvEEtEE10hipError_tPvRmT2_T3_T4_T5_mT6_T7_P12ihipStream_tbENKUlT_T0_E_clISt17integral_constantIbLb0EES11_EEDaSW_SX_EUlSW_E_NS1_11comp_targetILNS1_3genE9ELNS1_11target_archE1100ELNS1_3gpuE3ELNS1_3repE0EEENS1_30default_config_static_selectorELNS0_4arch9wavefront6targetE0EEEvT1_,"axG",@progbits,_ZN7rocprim17ROCPRIM_400000_NS6detail17trampoline_kernelINS0_14default_configENS1_27scan_by_key_config_selectorIitEEZZNS1_16scan_by_key_implILNS1_25lookback_scan_determinismE0ELb1ES3_N6thrust23THRUST_200600_302600_NS6detail15normal_iteratorINS9_10device_ptrIiEEEENSB_INSC_ItEEEESG_tNS9_4plusIvEENS9_8equal_toIvEEtEE10hipError_tPvRmT2_T3_T4_T5_mT6_T7_P12ihipStream_tbENKUlT_T0_E_clISt17integral_constantIbLb0EES11_EEDaSW_SX_EUlSW_E_NS1_11comp_targetILNS1_3genE9ELNS1_11target_archE1100ELNS1_3gpuE3ELNS1_3repE0EEENS1_30default_config_static_selectorELNS0_4arch9wavefront6targetE0EEEvT1_,comdat
	.protected	_ZN7rocprim17ROCPRIM_400000_NS6detail17trampoline_kernelINS0_14default_configENS1_27scan_by_key_config_selectorIitEEZZNS1_16scan_by_key_implILNS1_25lookback_scan_determinismE0ELb1ES3_N6thrust23THRUST_200600_302600_NS6detail15normal_iteratorINS9_10device_ptrIiEEEENSB_INSC_ItEEEESG_tNS9_4plusIvEENS9_8equal_toIvEEtEE10hipError_tPvRmT2_T3_T4_T5_mT6_T7_P12ihipStream_tbENKUlT_T0_E_clISt17integral_constantIbLb0EES11_EEDaSW_SX_EUlSW_E_NS1_11comp_targetILNS1_3genE9ELNS1_11target_archE1100ELNS1_3gpuE3ELNS1_3repE0EEENS1_30default_config_static_selectorELNS0_4arch9wavefront6targetE0EEEvT1_ ; -- Begin function _ZN7rocprim17ROCPRIM_400000_NS6detail17trampoline_kernelINS0_14default_configENS1_27scan_by_key_config_selectorIitEEZZNS1_16scan_by_key_implILNS1_25lookback_scan_determinismE0ELb1ES3_N6thrust23THRUST_200600_302600_NS6detail15normal_iteratorINS9_10device_ptrIiEEEENSB_INSC_ItEEEESG_tNS9_4plusIvEENS9_8equal_toIvEEtEE10hipError_tPvRmT2_T3_T4_T5_mT6_T7_P12ihipStream_tbENKUlT_T0_E_clISt17integral_constantIbLb0EES11_EEDaSW_SX_EUlSW_E_NS1_11comp_targetILNS1_3genE9ELNS1_11target_archE1100ELNS1_3gpuE3ELNS1_3repE0EEENS1_30default_config_static_selectorELNS0_4arch9wavefront6targetE0EEEvT1_
	.globl	_ZN7rocprim17ROCPRIM_400000_NS6detail17trampoline_kernelINS0_14default_configENS1_27scan_by_key_config_selectorIitEEZZNS1_16scan_by_key_implILNS1_25lookback_scan_determinismE0ELb1ES3_N6thrust23THRUST_200600_302600_NS6detail15normal_iteratorINS9_10device_ptrIiEEEENSB_INSC_ItEEEESG_tNS9_4plusIvEENS9_8equal_toIvEEtEE10hipError_tPvRmT2_T3_T4_T5_mT6_T7_P12ihipStream_tbENKUlT_T0_E_clISt17integral_constantIbLb0EES11_EEDaSW_SX_EUlSW_E_NS1_11comp_targetILNS1_3genE9ELNS1_11target_archE1100ELNS1_3gpuE3ELNS1_3repE0EEENS1_30default_config_static_selectorELNS0_4arch9wavefront6targetE0EEEvT1_
	.p2align	8
	.type	_ZN7rocprim17ROCPRIM_400000_NS6detail17trampoline_kernelINS0_14default_configENS1_27scan_by_key_config_selectorIitEEZZNS1_16scan_by_key_implILNS1_25lookback_scan_determinismE0ELb1ES3_N6thrust23THRUST_200600_302600_NS6detail15normal_iteratorINS9_10device_ptrIiEEEENSB_INSC_ItEEEESG_tNS9_4plusIvEENS9_8equal_toIvEEtEE10hipError_tPvRmT2_T3_T4_T5_mT6_T7_P12ihipStream_tbENKUlT_T0_E_clISt17integral_constantIbLb0EES11_EEDaSW_SX_EUlSW_E_NS1_11comp_targetILNS1_3genE9ELNS1_11target_archE1100ELNS1_3gpuE3ELNS1_3repE0EEENS1_30default_config_static_selectorELNS0_4arch9wavefront6targetE0EEEvT1_,@function
_ZN7rocprim17ROCPRIM_400000_NS6detail17trampoline_kernelINS0_14default_configENS1_27scan_by_key_config_selectorIitEEZZNS1_16scan_by_key_implILNS1_25lookback_scan_determinismE0ELb1ES3_N6thrust23THRUST_200600_302600_NS6detail15normal_iteratorINS9_10device_ptrIiEEEENSB_INSC_ItEEEESG_tNS9_4plusIvEENS9_8equal_toIvEEtEE10hipError_tPvRmT2_T3_T4_T5_mT6_T7_P12ihipStream_tbENKUlT_T0_E_clISt17integral_constantIbLb0EES11_EEDaSW_SX_EUlSW_E_NS1_11comp_targetILNS1_3genE9ELNS1_11target_archE1100ELNS1_3gpuE3ELNS1_3repE0EEENS1_30default_config_static_selectorELNS0_4arch9wavefront6targetE0EEEvT1_: ; @_ZN7rocprim17ROCPRIM_400000_NS6detail17trampoline_kernelINS0_14default_configENS1_27scan_by_key_config_selectorIitEEZZNS1_16scan_by_key_implILNS1_25lookback_scan_determinismE0ELb1ES3_N6thrust23THRUST_200600_302600_NS6detail15normal_iteratorINS9_10device_ptrIiEEEENSB_INSC_ItEEEESG_tNS9_4plusIvEENS9_8equal_toIvEEtEE10hipError_tPvRmT2_T3_T4_T5_mT6_T7_P12ihipStream_tbENKUlT_T0_E_clISt17integral_constantIbLb0EES11_EEDaSW_SX_EUlSW_E_NS1_11comp_targetILNS1_3genE9ELNS1_11target_archE1100ELNS1_3gpuE3ELNS1_3repE0EEENS1_30default_config_static_selectorELNS0_4arch9wavefront6targetE0EEEvT1_
; %bb.0:
	.section	.rodata,"a",@progbits
	.p2align	6, 0x0
	.amdhsa_kernel _ZN7rocprim17ROCPRIM_400000_NS6detail17trampoline_kernelINS0_14default_configENS1_27scan_by_key_config_selectorIitEEZZNS1_16scan_by_key_implILNS1_25lookback_scan_determinismE0ELb1ES3_N6thrust23THRUST_200600_302600_NS6detail15normal_iteratorINS9_10device_ptrIiEEEENSB_INSC_ItEEEESG_tNS9_4plusIvEENS9_8equal_toIvEEtEE10hipError_tPvRmT2_T3_T4_T5_mT6_T7_P12ihipStream_tbENKUlT_T0_E_clISt17integral_constantIbLb0EES11_EEDaSW_SX_EUlSW_E_NS1_11comp_targetILNS1_3genE9ELNS1_11target_archE1100ELNS1_3gpuE3ELNS1_3repE0EEENS1_30default_config_static_selectorELNS0_4arch9wavefront6targetE0EEEvT1_
		.amdhsa_group_segment_fixed_size 0
		.amdhsa_private_segment_fixed_size 0
		.amdhsa_kernarg_size 112
		.amdhsa_user_sgpr_count 6
		.amdhsa_user_sgpr_private_segment_buffer 1
		.amdhsa_user_sgpr_dispatch_ptr 0
		.amdhsa_user_sgpr_queue_ptr 0
		.amdhsa_user_sgpr_kernarg_segment_ptr 1
		.amdhsa_user_sgpr_dispatch_id 0
		.amdhsa_user_sgpr_flat_scratch_init 0
		.amdhsa_user_sgpr_private_segment_size 0
		.amdhsa_wavefront_size32 1
		.amdhsa_uses_dynamic_stack 0
		.amdhsa_system_sgpr_private_segment_wavefront_offset 0
		.amdhsa_system_sgpr_workgroup_id_x 1
		.amdhsa_system_sgpr_workgroup_id_y 0
		.amdhsa_system_sgpr_workgroup_id_z 0
		.amdhsa_system_sgpr_workgroup_info 0
		.amdhsa_system_vgpr_workitem_id 0
		.amdhsa_next_free_vgpr 1
		.amdhsa_next_free_sgpr 1
		.amdhsa_reserve_vcc 0
		.amdhsa_reserve_flat_scratch 0
		.amdhsa_float_round_mode_32 0
		.amdhsa_float_round_mode_16_64 0
		.amdhsa_float_denorm_mode_32 3
		.amdhsa_float_denorm_mode_16_64 3
		.amdhsa_dx10_clamp 1
		.amdhsa_ieee_mode 1
		.amdhsa_fp16_overflow 0
		.amdhsa_workgroup_processor_mode 1
		.amdhsa_memory_ordered 1
		.amdhsa_forward_progress 1
		.amdhsa_shared_vgpr_count 0
		.amdhsa_exception_fp_ieee_invalid_op 0
		.amdhsa_exception_fp_denorm_src 0
		.amdhsa_exception_fp_ieee_div_zero 0
		.amdhsa_exception_fp_ieee_overflow 0
		.amdhsa_exception_fp_ieee_underflow 0
		.amdhsa_exception_fp_ieee_inexact 0
		.amdhsa_exception_int_div_zero 0
	.end_amdhsa_kernel
	.section	.text._ZN7rocprim17ROCPRIM_400000_NS6detail17trampoline_kernelINS0_14default_configENS1_27scan_by_key_config_selectorIitEEZZNS1_16scan_by_key_implILNS1_25lookback_scan_determinismE0ELb1ES3_N6thrust23THRUST_200600_302600_NS6detail15normal_iteratorINS9_10device_ptrIiEEEENSB_INSC_ItEEEESG_tNS9_4plusIvEENS9_8equal_toIvEEtEE10hipError_tPvRmT2_T3_T4_T5_mT6_T7_P12ihipStream_tbENKUlT_T0_E_clISt17integral_constantIbLb0EES11_EEDaSW_SX_EUlSW_E_NS1_11comp_targetILNS1_3genE9ELNS1_11target_archE1100ELNS1_3gpuE3ELNS1_3repE0EEENS1_30default_config_static_selectorELNS0_4arch9wavefront6targetE0EEEvT1_,"axG",@progbits,_ZN7rocprim17ROCPRIM_400000_NS6detail17trampoline_kernelINS0_14default_configENS1_27scan_by_key_config_selectorIitEEZZNS1_16scan_by_key_implILNS1_25lookback_scan_determinismE0ELb1ES3_N6thrust23THRUST_200600_302600_NS6detail15normal_iteratorINS9_10device_ptrIiEEEENSB_INSC_ItEEEESG_tNS9_4plusIvEENS9_8equal_toIvEEtEE10hipError_tPvRmT2_T3_T4_T5_mT6_T7_P12ihipStream_tbENKUlT_T0_E_clISt17integral_constantIbLb0EES11_EEDaSW_SX_EUlSW_E_NS1_11comp_targetILNS1_3genE9ELNS1_11target_archE1100ELNS1_3gpuE3ELNS1_3repE0EEENS1_30default_config_static_selectorELNS0_4arch9wavefront6targetE0EEEvT1_,comdat
.Lfunc_end1542:
	.size	_ZN7rocprim17ROCPRIM_400000_NS6detail17trampoline_kernelINS0_14default_configENS1_27scan_by_key_config_selectorIitEEZZNS1_16scan_by_key_implILNS1_25lookback_scan_determinismE0ELb1ES3_N6thrust23THRUST_200600_302600_NS6detail15normal_iteratorINS9_10device_ptrIiEEEENSB_INSC_ItEEEESG_tNS9_4plusIvEENS9_8equal_toIvEEtEE10hipError_tPvRmT2_T3_T4_T5_mT6_T7_P12ihipStream_tbENKUlT_T0_E_clISt17integral_constantIbLb0EES11_EEDaSW_SX_EUlSW_E_NS1_11comp_targetILNS1_3genE9ELNS1_11target_archE1100ELNS1_3gpuE3ELNS1_3repE0EEENS1_30default_config_static_selectorELNS0_4arch9wavefront6targetE0EEEvT1_, .Lfunc_end1542-_ZN7rocprim17ROCPRIM_400000_NS6detail17trampoline_kernelINS0_14default_configENS1_27scan_by_key_config_selectorIitEEZZNS1_16scan_by_key_implILNS1_25lookback_scan_determinismE0ELb1ES3_N6thrust23THRUST_200600_302600_NS6detail15normal_iteratorINS9_10device_ptrIiEEEENSB_INSC_ItEEEESG_tNS9_4plusIvEENS9_8equal_toIvEEtEE10hipError_tPvRmT2_T3_T4_T5_mT6_T7_P12ihipStream_tbENKUlT_T0_E_clISt17integral_constantIbLb0EES11_EEDaSW_SX_EUlSW_E_NS1_11comp_targetILNS1_3genE9ELNS1_11target_archE1100ELNS1_3gpuE3ELNS1_3repE0EEENS1_30default_config_static_selectorELNS0_4arch9wavefront6targetE0EEEvT1_
                                        ; -- End function
	.set _ZN7rocprim17ROCPRIM_400000_NS6detail17trampoline_kernelINS0_14default_configENS1_27scan_by_key_config_selectorIitEEZZNS1_16scan_by_key_implILNS1_25lookback_scan_determinismE0ELb1ES3_N6thrust23THRUST_200600_302600_NS6detail15normal_iteratorINS9_10device_ptrIiEEEENSB_INSC_ItEEEESG_tNS9_4plusIvEENS9_8equal_toIvEEtEE10hipError_tPvRmT2_T3_T4_T5_mT6_T7_P12ihipStream_tbENKUlT_T0_E_clISt17integral_constantIbLb0EES11_EEDaSW_SX_EUlSW_E_NS1_11comp_targetILNS1_3genE9ELNS1_11target_archE1100ELNS1_3gpuE3ELNS1_3repE0EEENS1_30default_config_static_selectorELNS0_4arch9wavefront6targetE0EEEvT1_.num_vgpr, 0
	.set _ZN7rocprim17ROCPRIM_400000_NS6detail17trampoline_kernelINS0_14default_configENS1_27scan_by_key_config_selectorIitEEZZNS1_16scan_by_key_implILNS1_25lookback_scan_determinismE0ELb1ES3_N6thrust23THRUST_200600_302600_NS6detail15normal_iteratorINS9_10device_ptrIiEEEENSB_INSC_ItEEEESG_tNS9_4plusIvEENS9_8equal_toIvEEtEE10hipError_tPvRmT2_T3_T4_T5_mT6_T7_P12ihipStream_tbENKUlT_T0_E_clISt17integral_constantIbLb0EES11_EEDaSW_SX_EUlSW_E_NS1_11comp_targetILNS1_3genE9ELNS1_11target_archE1100ELNS1_3gpuE3ELNS1_3repE0EEENS1_30default_config_static_selectorELNS0_4arch9wavefront6targetE0EEEvT1_.num_agpr, 0
	.set _ZN7rocprim17ROCPRIM_400000_NS6detail17trampoline_kernelINS0_14default_configENS1_27scan_by_key_config_selectorIitEEZZNS1_16scan_by_key_implILNS1_25lookback_scan_determinismE0ELb1ES3_N6thrust23THRUST_200600_302600_NS6detail15normal_iteratorINS9_10device_ptrIiEEEENSB_INSC_ItEEEESG_tNS9_4plusIvEENS9_8equal_toIvEEtEE10hipError_tPvRmT2_T3_T4_T5_mT6_T7_P12ihipStream_tbENKUlT_T0_E_clISt17integral_constantIbLb0EES11_EEDaSW_SX_EUlSW_E_NS1_11comp_targetILNS1_3genE9ELNS1_11target_archE1100ELNS1_3gpuE3ELNS1_3repE0EEENS1_30default_config_static_selectorELNS0_4arch9wavefront6targetE0EEEvT1_.numbered_sgpr, 0
	.set _ZN7rocprim17ROCPRIM_400000_NS6detail17trampoline_kernelINS0_14default_configENS1_27scan_by_key_config_selectorIitEEZZNS1_16scan_by_key_implILNS1_25lookback_scan_determinismE0ELb1ES3_N6thrust23THRUST_200600_302600_NS6detail15normal_iteratorINS9_10device_ptrIiEEEENSB_INSC_ItEEEESG_tNS9_4plusIvEENS9_8equal_toIvEEtEE10hipError_tPvRmT2_T3_T4_T5_mT6_T7_P12ihipStream_tbENKUlT_T0_E_clISt17integral_constantIbLb0EES11_EEDaSW_SX_EUlSW_E_NS1_11comp_targetILNS1_3genE9ELNS1_11target_archE1100ELNS1_3gpuE3ELNS1_3repE0EEENS1_30default_config_static_selectorELNS0_4arch9wavefront6targetE0EEEvT1_.num_named_barrier, 0
	.set _ZN7rocprim17ROCPRIM_400000_NS6detail17trampoline_kernelINS0_14default_configENS1_27scan_by_key_config_selectorIitEEZZNS1_16scan_by_key_implILNS1_25lookback_scan_determinismE0ELb1ES3_N6thrust23THRUST_200600_302600_NS6detail15normal_iteratorINS9_10device_ptrIiEEEENSB_INSC_ItEEEESG_tNS9_4plusIvEENS9_8equal_toIvEEtEE10hipError_tPvRmT2_T3_T4_T5_mT6_T7_P12ihipStream_tbENKUlT_T0_E_clISt17integral_constantIbLb0EES11_EEDaSW_SX_EUlSW_E_NS1_11comp_targetILNS1_3genE9ELNS1_11target_archE1100ELNS1_3gpuE3ELNS1_3repE0EEENS1_30default_config_static_selectorELNS0_4arch9wavefront6targetE0EEEvT1_.private_seg_size, 0
	.set _ZN7rocprim17ROCPRIM_400000_NS6detail17trampoline_kernelINS0_14default_configENS1_27scan_by_key_config_selectorIitEEZZNS1_16scan_by_key_implILNS1_25lookback_scan_determinismE0ELb1ES3_N6thrust23THRUST_200600_302600_NS6detail15normal_iteratorINS9_10device_ptrIiEEEENSB_INSC_ItEEEESG_tNS9_4plusIvEENS9_8equal_toIvEEtEE10hipError_tPvRmT2_T3_T4_T5_mT6_T7_P12ihipStream_tbENKUlT_T0_E_clISt17integral_constantIbLb0EES11_EEDaSW_SX_EUlSW_E_NS1_11comp_targetILNS1_3genE9ELNS1_11target_archE1100ELNS1_3gpuE3ELNS1_3repE0EEENS1_30default_config_static_selectorELNS0_4arch9wavefront6targetE0EEEvT1_.uses_vcc, 0
	.set _ZN7rocprim17ROCPRIM_400000_NS6detail17trampoline_kernelINS0_14default_configENS1_27scan_by_key_config_selectorIitEEZZNS1_16scan_by_key_implILNS1_25lookback_scan_determinismE0ELb1ES3_N6thrust23THRUST_200600_302600_NS6detail15normal_iteratorINS9_10device_ptrIiEEEENSB_INSC_ItEEEESG_tNS9_4plusIvEENS9_8equal_toIvEEtEE10hipError_tPvRmT2_T3_T4_T5_mT6_T7_P12ihipStream_tbENKUlT_T0_E_clISt17integral_constantIbLb0EES11_EEDaSW_SX_EUlSW_E_NS1_11comp_targetILNS1_3genE9ELNS1_11target_archE1100ELNS1_3gpuE3ELNS1_3repE0EEENS1_30default_config_static_selectorELNS0_4arch9wavefront6targetE0EEEvT1_.uses_flat_scratch, 0
	.set _ZN7rocprim17ROCPRIM_400000_NS6detail17trampoline_kernelINS0_14default_configENS1_27scan_by_key_config_selectorIitEEZZNS1_16scan_by_key_implILNS1_25lookback_scan_determinismE0ELb1ES3_N6thrust23THRUST_200600_302600_NS6detail15normal_iteratorINS9_10device_ptrIiEEEENSB_INSC_ItEEEESG_tNS9_4plusIvEENS9_8equal_toIvEEtEE10hipError_tPvRmT2_T3_T4_T5_mT6_T7_P12ihipStream_tbENKUlT_T0_E_clISt17integral_constantIbLb0EES11_EEDaSW_SX_EUlSW_E_NS1_11comp_targetILNS1_3genE9ELNS1_11target_archE1100ELNS1_3gpuE3ELNS1_3repE0EEENS1_30default_config_static_selectorELNS0_4arch9wavefront6targetE0EEEvT1_.has_dyn_sized_stack, 0
	.set _ZN7rocprim17ROCPRIM_400000_NS6detail17trampoline_kernelINS0_14default_configENS1_27scan_by_key_config_selectorIitEEZZNS1_16scan_by_key_implILNS1_25lookback_scan_determinismE0ELb1ES3_N6thrust23THRUST_200600_302600_NS6detail15normal_iteratorINS9_10device_ptrIiEEEENSB_INSC_ItEEEESG_tNS9_4plusIvEENS9_8equal_toIvEEtEE10hipError_tPvRmT2_T3_T4_T5_mT6_T7_P12ihipStream_tbENKUlT_T0_E_clISt17integral_constantIbLb0EES11_EEDaSW_SX_EUlSW_E_NS1_11comp_targetILNS1_3genE9ELNS1_11target_archE1100ELNS1_3gpuE3ELNS1_3repE0EEENS1_30default_config_static_selectorELNS0_4arch9wavefront6targetE0EEEvT1_.has_recursion, 0
	.set _ZN7rocprim17ROCPRIM_400000_NS6detail17trampoline_kernelINS0_14default_configENS1_27scan_by_key_config_selectorIitEEZZNS1_16scan_by_key_implILNS1_25lookback_scan_determinismE0ELb1ES3_N6thrust23THRUST_200600_302600_NS6detail15normal_iteratorINS9_10device_ptrIiEEEENSB_INSC_ItEEEESG_tNS9_4plusIvEENS9_8equal_toIvEEtEE10hipError_tPvRmT2_T3_T4_T5_mT6_T7_P12ihipStream_tbENKUlT_T0_E_clISt17integral_constantIbLb0EES11_EEDaSW_SX_EUlSW_E_NS1_11comp_targetILNS1_3genE9ELNS1_11target_archE1100ELNS1_3gpuE3ELNS1_3repE0EEENS1_30default_config_static_selectorELNS0_4arch9wavefront6targetE0EEEvT1_.has_indirect_call, 0
	.section	.AMDGPU.csdata,"",@progbits
; Kernel info:
; codeLenInByte = 0
; TotalNumSgprs: 0
; NumVgprs: 0
; ScratchSize: 0
; MemoryBound: 0
; FloatMode: 240
; IeeeMode: 1
; LDSByteSize: 0 bytes/workgroup (compile time only)
; SGPRBlocks: 0
; VGPRBlocks: 0
; NumSGPRsForWavesPerEU: 1
; NumVGPRsForWavesPerEU: 1
; Occupancy: 16
; WaveLimiterHint : 0
; COMPUTE_PGM_RSRC2:SCRATCH_EN: 0
; COMPUTE_PGM_RSRC2:USER_SGPR: 6
; COMPUTE_PGM_RSRC2:TRAP_HANDLER: 0
; COMPUTE_PGM_RSRC2:TGID_X_EN: 1
; COMPUTE_PGM_RSRC2:TGID_Y_EN: 0
; COMPUTE_PGM_RSRC2:TGID_Z_EN: 0
; COMPUTE_PGM_RSRC2:TIDIG_COMP_CNT: 0
	.section	.text._ZN7rocprim17ROCPRIM_400000_NS6detail17trampoline_kernelINS0_14default_configENS1_27scan_by_key_config_selectorIitEEZZNS1_16scan_by_key_implILNS1_25lookback_scan_determinismE0ELb1ES3_N6thrust23THRUST_200600_302600_NS6detail15normal_iteratorINS9_10device_ptrIiEEEENSB_INSC_ItEEEESG_tNS9_4plusIvEENS9_8equal_toIvEEtEE10hipError_tPvRmT2_T3_T4_T5_mT6_T7_P12ihipStream_tbENKUlT_T0_E_clISt17integral_constantIbLb0EES11_EEDaSW_SX_EUlSW_E_NS1_11comp_targetILNS1_3genE8ELNS1_11target_archE1030ELNS1_3gpuE2ELNS1_3repE0EEENS1_30default_config_static_selectorELNS0_4arch9wavefront6targetE0EEEvT1_,"axG",@progbits,_ZN7rocprim17ROCPRIM_400000_NS6detail17trampoline_kernelINS0_14default_configENS1_27scan_by_key_config_selectorIitEEZZNS1_16scan_by_key_implILNS1_25lookback_scan_determinismE0ELb1ES3_N6thrust23THRUST_200600_302600_NS6detail15normal_iteratorINS9_10device_ptrIiEEEENSB_INSC_ItEEEESG_tNS9_4plusIvEENS9_8equal_toIvEEtEE10hipError_tPvRmT2_T3_T4_T5_mT6_T7_P12ihipStream_tbENKUlT_T0_E_clISt17integral_constantIbLb0EES11_EEDaSW_SX_EUlSW_E_NS1_11comp_targetILNS1_3genE8ELNS1_11target_archE1030ELNS1_3gpuE2ELNS1_3repE0EEENS1_30default_config_static_selectorELNS0_4arch9wavefront6targetE0EEEvT1_,comdat
	.protected	_ZN7rocprim17ROCPRIM_400000_NS6detail17trampoline_kernelINS0_14default_configENS1_27scan_by_key_config_selectorIitEEZZNS1_16scan_by_key_implILNS1_25lookback_scan_determinismE0ELb1ES3_N6thrust23THRUST_200600_302600_NS6detail15normal_iteratorINS9_10device_ptrIiEEEENSB_INSC_ItEEEESG_tNS9_4plusIvEENS9_8equal_toIvEEtEE10hipError_tPvRmT2_T3_T4_T5_mT6_T7_P12ihipStream_tbENKUlT_T0_E_clISt17integral_constantIbLb0EES11_EEDaSW_SX_EUlSW_E_NS1_11comp_targetILNS1_3genE8ELNS1_11target_archE1030ELNS1_3gpuE2ELNS1_3repE0EEENS1_30default_config_static_selectorELNS0_4arch9wavefront6targetE0EEEvT1_ ; -- Begin function _ZN7rocprim17ROCPRIM_400000_NS6detail17trampoline_kernelINS0_14default_configENS1_27scan_by_key_config_selectorIitEEZZNS1_16scan_by_key_implILNS1_25lookback_scan_determinismE0ELb1ES3_N6thrust23THRUST_200600_302600_NS6detail15normal_iteratorINS9_10device_ptrIiEEEENSB_INSC_ItEEEESG_tNS9_4plusIvEENS9_8equal_toIvEEtEE10hipError_tPvRmT2_T3_T4_T5_mT6_T7_P12ihipStream_tbENKUlT_T0_E_clISt17integral_constantIbLb0EES11_EEDaSW_SX_EUlSW_E_NS1_11comp_targetILNS1_3genE8ELNS1_11target_archE1030ELNS1_3gpuE2ELNS1_3repE0EEENS1_30default_config_static_selectorELNS0_4arch9wavefront6targetE0EEEvT1_
	.globl	_ZN7rocprim17ROCPRIM_400000_NS6detail17trampoline_kernelINS0_14default_configENS1_27scan_by_key_config_selectorIitEEZZNS1_16scan_by_key_implILNS1_25lookback_scan_determinismE0ELb1ES3_N6thrust23THRUST_200600_302600_NS6detail15normal_iteratorINS9_10device_ptrIiEEEENSB_INSC_ItEEEESG_tNS9_4plusIvEENS9_8equal_toIvEEtEE10hipError_tPvRmT2_T3_T4_T5_mT6_T7_P12ihipStream_tbENKUlT_T0_E_clISt17integral_constantIbLb0EES11_EEDaSW_SX_EUlSW_E_NS1_11comp_targetILNS1_3genE8ELNS1_11target_archE1030ELNS1_3gpuE2ELNS1_3repE0EEENS1_30default_config_static_selectorELNS0_4arch9wavefront6targetE0EEEvT1_
	.p2align	8
	.type	_ZN7rocprim17ROCPRIM_400000_NS6detail17trampoline_kernelINS0_14default_configENS1_27scan_by_key_config_selectorIitEEZZNS1_16scan_by_key_implILNS1_25lookback_scan_determinismE0ELb1ES3_N6thrust23THRUST_200600_302600_NS6detail15normal_iteratorINS9_10device_ptrIiEEEENSB_INSC_ItEEEESG_tNS9_4plusIvEENS9_8equal_toIvEEtEE10hipError_tPvRmT2_T3_T4_T5_mT6_T7_P12ihipStream_tbENKUlT_T0_E_clISt17integral_constantIbLb0EES11_EEDaSW_SX_EUlSW_E_NS1_11comp_targetILNS1_3genE8ELNS1_11target_archE1030ELNS1_3gpuE2ELNS1_3repE0EEENS1_30default_config_static_selectorELNS0_4arch9wavefront6targetE0EEEvT1_,@function
_ZN7rocprim17ROCPRIM_400000_NS6detail17trampoline_kernelINS0_14default_configENS1_27scan_by_key_config_selectorIitEEZZNS1_16scan_by_key_implILNS1_25lookback_scan_determinismE0ELb1ES3_N6thrust23THRUST_200600_302600_NS6detail15normal_iteratorINS9_10device_ptrIiEEEENSB_INSC_ItEEEESG_tNS9_4plusIvEENS9_8equal_toIvEEtEE10hipError_tPvRmT2_T3_T4_T5_mT6_T7_P12ihipStream_tbENKUlT_T0_E_clISt17integral_constantIbLb0EES11_EEDaSW_SX_EUlSW_E_NS1_11comp_targetILNS1_3genE8ELNS1_11target_archE1030ELNS1_3gpuE2ELNS1_3repE0EEENS1_30default_config_static_selectorELNS0_4arch9wavefront6targetE0EEEvT1_: ; @_ZN7rocprim17ROCPRIM_400000_NS6detail17trampoline_kernelINS0_14default_configENS1_27scan_by_key_config_selectorIitEEZZNS1_16scan_by_key_implILNS1_25lookback_scan_determinismE0ELb1ES3_N6thrust23THRUST_200600_302600_NS6detail15normal_iteratorINS9_10device_ptrIiEEEENSB_INSC_ItEEEESG_tNS9_4plusIvEENS9_8equal_toIvEEtEE10hipError_tPvRmT2_T3_T4_T5_mT6_T7_P12ihipStream_tbENKUlT_T0_E_clISt17integral_constantIbLb0EES11_EEDaSW_SX_EUlSW_E_NS1_11comp_targetILNS1_3genE8ELNS1_11target_archE1030ELNS1_3gpuE2ELNS1_3repE0EEENS1_30default_config_static_selectorELNS0_4arch9wavefront6targetE0EEEvT1_
; %bb.0:
	s_clause 0x5
	s_load_dwordx8 s[8:15], s[4:5], 0x0
	s_load_dwordx2 s[24:25], s[4:5], 0x38
	s_load_dword s7, s[4:5], 0x40
	s_load_dword s26, s[4:5], 0x20
	s_load_dwordx4 s[16:19], s[4:5], 0x28
	s_load_dwordx4 s[20:23], s[4:5], 0x48
	s_mov_b32 s1, 0
	s_mul_i32 s0, s6, 0x1c0
	s_waitcnt lgkmcnt(0)
	s_barrier
	buffer_gl0_inv
	s_lshl_b64 s[2:3], s[10:11], 2
	s_add_u32 s5, s8, s2
	s_addc_u32 s19, s9, s3
	s_lshl_b64 s[8:9], s[10:11], 1
	s_mul_i32 s4, s25, s7
	s_mul_hi_u32 s10, s24, s7
	s_add_u32 s27, s12, s8
	s_addc_u32 s28, s13, s9
	s_lshl_b64 s[2:3], s[0:1], 2
	s_add_i32 s4, s10, s4
	s_add_u32 s12, s5, s2
	s_addc_u32 s13, s19, s3
	s_lshl_b64 s[10:11], s[0:1], 1
	s_mul_i32 s0, s24, s7
	s_add_u32 s27, s27, s10
	s_addc_u32 s28, s28, s11
	s_add_u32 s2, s0, s6
	s_addc_u32 s3, s4, 0
	s_add_u32 s4, s20, -1
	s_addc_u32 s5, s21, -1
	s_mul_i32 s19, s4, 0xfffffe40
	v_cmp_ge_u64_e64 s20, s[2:3], s[4:5]
	s_and_b32 vcc_lo, exec_lo, s20
	s_cbranch_vccz .LBB1543_40
; %bb.1:
	v_mov_b32_e32 v1, s12
	v_mov_b32_e32 v2, s13
	s_add_i32 s21, s19, s18
	v_cmp_gt_u32_e64 s5, s21, v0
	flat_load_dword v1, v[1:2]
	s_waitcnt vmcnt(0) lgkmcnt(0)
	v_mov_b32_e32 v2, v1
	s_and_saveexec_b32 s0, s5
	s_cbranch_execz .LBB1543_3
; %bb.2:
	v_lshlrev_b32_e32 v2, 2, v0
	v_add_co_u32 v2, s1, s12, v2
	v_add_co_ci_u32_e64 v3, null, s13, 0, s1
	flat_load_dword v2, v[2:3]
.LBB1543_3:
	s_or_b32 exec_lo, exec_lo, s0
	v_or_b32_e32 v3, 64, v0
	v_cmp_gt_u32_e64 s4, s21, v3
	v_mov_b32_e32 v3, v1
	s_and_saveexec_b32 s0, s4
	s_cbranch_execz .LBB1543_5
; %bb.4:
	v_lshlrev_b32_e32 v3, 2, v0
	v_add_co_u32 v3, s1, s12, v3
	v_add_co_ci_u32_e64 v4, null, s13, 0, s1
	flat_load_dword v3, v[3:4] offset:256
.LBB1543_5:
	s_or_b32 exec_lo, exec_lo, s0
	v_or_b32_e32 v4, 0x80, v0
	v_cmp_gt_u32_e64 s3, s21, v4
	v_mov_b32_e32 v4, v1
	s_and_saveexec_b32 s0, s3
	s_cbranch_execz .LBB1543_7
; %bb.6:
	v_lshlrev_b32_e32 v4, 2, v0
	v_add_co_u32 v4, s1, s12, v4
	v_add_co_ci_u32_e64 v5, null, s13, 0, s1
	flat_load_dword v4, v[4:5] offset:512
.LBB1543_7:
	;; [unrolled: 12-line block ×5, first 2 shown]
	s_or_b32 exec_lo, exec_lo, s7
	v_or_b32_e32 v8, 0x180, v0
	v_cmp_le_u32_e64 s7, s21, v8
	v_cmp_gt_u32_e32 vcc_lo, s21, v8
	s_and_saveexec_b32 s29, s7
	s_xor_b32 s7, exec_lo, s29
	s_andn2_saveexec_b32 s7, s7
	s_cbranch_execz .LBB1543_15
; %bb.14:
	v_lshlrev_b32_e32 v1, 2, v0
	v_add_co_u32 v8, s29, s12, v1
	v_add_co_ci_u32_e64 v9, null, s13, 0, s29
	flat_load_dword v1, v[8:9] offset:1536
.LBB1543_15:
	s_or_b32 exec_lo, exec_lo, s7
	v_mov_b32_e32 v8, s12
	v_lshlrev_b32_e32 v10, 2, v0
	v_mov_b32_e32 v9, s13
	s_mov_b32 s29, exec_lo
	s_waitcnt vmcnt(0) lgkmcnt(0)
	ds_write2st64_b32 v10, v2, v3 offset1:1
	ds_write2st64_b32 v10, v4, v5 offset0:2 offset1:3
	ds_write2st64_b32 v10, v6, v7 offset0:4 offset1:5
	ds_write_b32 v10, v1 offset:1536
	s_waitcnt lgkmcnt(0)
	s_barrier
	buffer_gl0_inv
	flat_load_dword v17, v[8:9]
	v_mad_u32_u24 v1, v0, 24, v10
	ds_read_b32 v22, v1
	ds_read2_b32 v[9:10], v1 offset0:1 offset1:2
	ds_read2_b32 v[7:8], v1 offset0:3 offset1:4
	;; [unrolled: 1-line block ×3, first 2 shown]
	v_mad_i32_i24 v11, 0xffffffe8, v0, v1
	s_waitcnt lgkmcnt(3)
	ds_write_b32 v11, v22 offset:2048
	s_waitcnt vmcnt(0) lgkmcnt(0)
	s_barrier
	buffer_gl0_inv
	v_cmpx_ne_u32_e32 63, v0
; %bb.16:
	ds_read_b32 v17, v11 offset:2052
; %bb.17:
	s_or_b32 exec_lo, exec_lo, s29
	v_mov_b32_e32 v1, 0
	v_lshlrev_b32_e32 v12, 1, v0
	s_waitcnt lgkmcnt(0)
	s_barrier
	buffer_gl0_inv
	v_mov_b32_e32 v2, v1
	v_mov_b32_e32 v3, v1
	;; [unrolled: 1-line block ×3, first 2 shown]
	s_and_saveexec_b32 s7, s5
	s_cbranch_execnz .LBB1543_162
; %bb.18:
	s_or_b32 exec_lo, exec_lo, s7
	s_and_saveexec_b32 s5, s4
	s_cbranch_execnz .LBB1543_163
.LBB1543_19:
	s_or_b32 exec_lo, exec_lo, s5
	s_and_saveexec_b32 s4, s3
	s_cbranch_execnz .LBB1543_164
.LBB1543_20:
	s_or_b32 exec_lo, exec_lo, s4
	s_and_saveexec_b32 s3, s2
	s_cbranch_execnz .LBB1543_165
.LBB1543_21:
	s_or_b32 exec_lo, exec_lo, s3
	s_and_saveexec_b32 s2, s1
	s_cbranch_execnz .LBB1543_166
.LBB1543_22:
	s_or_b32 exec_lo, exec_lo, s2
	s_and_saveexec_b32 s1, s0
	s_cbranch_execnz .LBB1543_167
.LBB1543_23:
	s_or_b32 exec_lo, exec_lo, s1
	v_mul_u32_u24_e32 v23, 7, v0
	s_and_saveexec_b32 s0, vcc_lo
	s_cbranch_execz .LBB1543_25
.LBB1543_24:
	v_add_co_u32 v12, s1, s27, v12
	v_add_co_ci_u32_e64 v13, null, s28, 0, s1
	flat_load_short_d16 v4, v[12:13] offset:768
.LBB1543_25:
	s_or_b32 exec_lo, exec_lo, s0
	v_lshlrev_b32_e32 v12, 1, v0
	v_cmp_gt_u32_e32 vcc_lo, s21, v23
	v_mov_b32_e32 v14, 0
	v_mov_b32_e32 v21, 0
	;; [unrolled: 1-line block ×3, first 2 shown]
	v_sub_nc_u32_e32 v24, v11, v12
	v_mov_b32_e32 v18, 0
	v_mov_b32_e32 v16, 0
	;; [unrolled: 1-line block ×4, first 2 shown]
	s_waitcnt vmcnt(0) lgkmcnt(0)
	ds_write_b16 v24, v1
	ds_write_b16_d16_hi v24, v1 offset:128
	ds_write_b16 v24, v2 offset:256
	ds_write_b16_d16_hi v24, v2 offset:384
	ds_write_b16 v24, v3 offset:512
	;; [unrolled: 2-line block ×3, first 2 shown]
	v_mov_b32_e32 v1, 0
	v_mov_b32_e32 v4, 0
	;; [unrolled: 1-line block ×4, first 2 shown]
	s_mov_b32 s2, 0
	s_mov_b32 s1, 0
	s_waitcnt lgkmcnt(0)
	s_barrier
	buffer_gl0_inv
                                        ; implicit-def: $sgpr3
                                        ; implicit-def: $vgpr19
	s_and_saveexec_b32 s4, vcc_lo
	s_cbranch_execz .LBB1543_39
; %bb.26:
	v_mad_u32_u24 v1, v0, 12, v24
	v_cmp_eq_u32_e32 vcc_lo, v22, v9
	v_add_nc_u32_e32 v3, 1, v23
	v_mov_b32_e32 v21, 0
	v_mov_b32_e32 v20, 0
	ds_read_u16 v2, v1
	v_mov_b32_e32 v1, 0
	v_mov_b32_e32 v18, 0
	;; [unrolled: 1-line block ×6, first 2 shown]
	v_cndmask_b32_e64 v16, 0x10000, 0, vcc_lo
	v_mov_b32_e32 v11, 0
	s_mov_b32 s5, 0
	s_mov_b32 s1, exec_lo
                                        ; implicit-def: $sgpr3
                                        ; implicit-def: $vgpr19
	s_waitcnt lgkmcnt(0)
	v_cndmask_b32_e32 v14, s26, v2, vcc_lo
	v_cmpx_gt_u32_e64 s21, v3
	s_cbranch_execz .LBB1543_38
; %bb.27:
	v_mul_u32_u24_e32 v1, 12, v0
	v_add_nc_u32_e32 v11, 2, v23
	v_cmp_eq_u32_e32 vcc_lo, v9, v10
	v_mov_b32_e32 v21, 0
	v_mov_b32_e32 v20, 0
	v_add_nc_u32_e32 v1, v24, v1
	v_mov_b32_e32 v18, 0
	v_mov_b32_e32 v4, 0
	;; [unrolled: 1-line block ×4, first 2 shown]
	ds_read_b96 v[1:3], v1 offset:2
	v_cmp_gt_u32_e64 s0, s21, v11
	v_cndmask_b32_e64 v15, 0x10000, 0, vcc_lo
	v_mov_b32_e32 v11, 0
	s_mov_b32 s7, 0
                                        ; implicit-def: $sgpr3
                                        ; implicit-def: $vgpr19
	s_waitcnt lgkmcnt(0)
	v_cndmask_b32_e32 v9, s26, v1, vcc_lo
	s_and_saveexec_b32 s5, s0
	s_cbranch_execz .LBB1543_37
; %bb.28:
	v_add_nc_u32_e32 v4, 3, v23
	v_cmp_eq_u32_e32 vcc_lo, v10, v7
	v_mov_b32_e32 v20, 0
	v_mov_b32_e32 v18, 0
	;; [unrolled: 1-line block ×3, first 2 shown]
	v_cmp_gt_u32_e64 s0, s21, v4
	v_cndmask_b32_e64 v10, 0x10000, 0, vcc_lo
	v_cndmask_b32_sdwa v1, s26, v1, vcc_lo dst_sel:DWORD dst_unused:UNUSED_PAD src0_sel:DWORD src1_sel:WORD_1
	v_mov_b32_e32 v4, 0
	v_mov_b32_e32 v11, 0
	s_mov_b32 s29, 0
                                        ; implicit-def: $sgpr3
                                        ; implicit-def: $vgpr19
	s_and_saveexec_b32 s7, s0
	s_cbranch_execz .LBB1543_36
; %bb.29:
	v_cmp_eq_u32_e32 vcc_lo, v7, v8
	v_add_nc_u32_e32 v4, 4, v23
	v_mov_b32_e32 v18, 0
	v_mov_b32_e32 v11, 0
                                        ; implicit-def: $sgpr3
                                        ; implicit-def: $vgpr19
	v_cndmask_b32_e32 v7, s26, v2, vcc_lo
	v_cndmask_b32_e64 v12, 0x10000, 0, vcc_lo
	v_cmp_gt_u32_e32 vcc_lo, s21, v4
	v_mov_b32_e32 v4, 0
	s_and_saveexec_b32 s0, vcc_lo
	s_cbranch_execz .LBB1543_35
; %bb.30:
	v_cmp_eq_u32_e32 vcc_lo, v8, v5
	v_mov_b32_e32 v4, 0
	v_add_nc_u32_e32 v11, 5, v23
	s_mov_b32 s30, 0
	s_mov_b32 s29, exec_lo
	v_cndmask_b32_e64 v8, 0x10000, 0, vcc_lo
	v_cndmask_b32_sdwa v2, s26, v2, vcc_lo dst_sel:DWORD dst_unused:UNUSED_PAD src0_sel:DWORD src1_sel:WORD_1
                                        ; implicit-def: $sgpr3
                                        ; implicit-def: $vgpr19
	v_cmpx_gt_u32_e64 s21, v11
	s_cbranch_execz .LBB1543_34
; %bb.31:
	v_cmp_eq_u32_e32 vcc_lo, v5, v6
	v_add_nc_u32_e32 v11, 6, v23
                                        ; implicit-def: $sgpr3
                                        ; implicit-def: $vgpr19
	v_cndmask_b32_e32 v4, s26, v3, vcc_lo
	v_cndmask_b32_e64 v5, 0x10000, 0, vcc_lo
	v_cmp_gt_u32_e32 vcc_lo, s21, v11
	s_mov_b32 s21, 0
	s_and_saveexec_b32 s30, vcc_lo
	s_xor_b32 s30, exec_lo, s30
; %bb.32:
	v_lshrrev_b32_e32 v3, 16, v3
	v_cmp_ne_u32_e64 s3, v6, v17
	s_mov_b32 s21, exec_lo
	v_cndmask_b32_e64 v19, v3, s26, s3
; %bb.33:
	s_or_b32 exec_lo, exec_lo, s30
	v_or_b32_sdwa v4, v5, v4 dst_sel:DWORD dst_unused:UNUSED_PAD src0_sel:DWORD src1_sel:WORD_0
	s_and_b32 s30, s21, exec_lo
.LBB1543_34:
	s_or_b32 exec_lo, exec_lo, s29
	v_or_b32_sdwa v18, v8, v2 dst_sel:DWORD dst_unused:UNUSED_PAD src0_sel:DWORD src1_sel:WORD_0
	v_mov_b32_e32 v11, v4
	s_and_b32 s29, s30, exec_lo
.LBB1543_35:
	s_or_b32 exec_lo, exec_lo, s0
	v_or_b32_sdwa v20, v12, v7 dst_sel:DWORD dst_unused:UNUSED_PAD src0_sel:DWORD src1_sel:WORD_0
	v_mov_b32_e32 v12, v18
	s_and_b32 s29, s29, exec_lo
.LBB1543_36:
	s_or_b32 exec_lo, exec_lo, s7
	v_or_b32_sdwa v21, v10, v1 dst_sel:DWORD dst_unused:UNUSED_PAD src0_sel:DWORD src1_sel:WORD_0
	v_mov_b32_e32 v13, v20
	s_and_b32 s7, s29, exec_lo
.LBB1543_37:
	s_or_b32 exec_lo, exec_lo, s5
	v_or_b32_sdwa v1, v15, v9 dst_sel:DWORD dst_unused:UNUSED_PAD src0_sel:DWORD src1_sel:WORD_0
	v_mov_b32_e32 v15, v21
	s_and_b32 s5, s7, exec_lo
.LBB1543_38:
	s_or_b32 exec_lo, exec_lo, s1
	v_or_b32_sdwa v14, v16, v14 dst_sel:DWORD dst_unused:UNUSED_PAD src0_sel:DWORD src1_sel:WORD_0
	v_mov_b32_e32 v16, v1
	s_and_b32 s1, s5, exec_lo
.LBB1543_39:
	s_or_b32 exec_lo, exec_lo, s4
	s_and_b32 vcc_lo, exec_lo, s2
	s_cbranch_vccnz .LBB1543_41
	s_branch .LBB1543_44
.LBB1543_40:
                                        ; implicit-def: $sgpr3
                                        ; implicit-def: $vgpr19
                                        ; implicit-def: $vgpr14
                                        ; implicit-def: $vgpr1
                                        ; implicit-def: $vgpr21
                                        ; implicit-def: $vgpr20
                                        ; implicit-def: $vgpr18
                                        ; implicit-def: $vgpr4
                                        ; implicit-def: $vgpr16
                                        ; implicit-def: $vgpr15
                                        ; implicit-def: $vgpr13
                                        ; implicit-def: $vgpr12
                                        ; implicit-def: $vgpr11
	s_cbranch_execz .LBB1543_44
.LBB1543_41:
	v_lshlrev_b32_e32 v3, 2, v0
	v_add_co_u32 v1, s0, s12, v3
	v_add_co_ci_u32_e64 v2, null, s13, 0, s0
	s_mov_b32 s0, exec_lo
	s_clause 0x6
	flat_load_dword v4, v[1:2]
	flat_load_dword v5, v[1:2] offset:256
	flat_load_dword v6, v[1:2] offset:512
	;; [unrolled: 1-line block ×6, first 2 shown]
	v_mov_b32_e32 v1, s12
	v_mov_b32_e32 v2, s13
	s_waitcnt vmcnt(5) lgkmcnt(5)
	ds_write2st64_b32 v3, v4, v5 offset1:1
	s_waitcnt vmcnt(3) lgkmcnt(4)
	ds_write2st64_b32 v3, v6, v7 offset0:2 offset1:3
	s_waitcnt vmcnt(1) lgkmcnt(3)
	ds_write2st64_b32 v3, v8, v9 offset0:4 offset1:5
	s_waitcnt vmcnt(0) lgkmcnt(3)
	ds_write_b32 v3, v10 offset:1536
	s_waitcnt lgkmcnt(0)
	s_barrier
	buffer_gl0_inv
	flat_load_dword v7, v[1:2] offset:1792
	v_mad_u32_u24 v9, v0, 24, v3
	ds_read_b32 v8, v9
	ds_read2_b32 v[3:4], v9 offset0:1 offset1:2
	ds_read2_b32 v[5:6], v9 offset0:3 offset1:4
	;; [unrolled: 1-line block ×3, first 2 shown]
	v_mad_i32_i24 v9, 0xffffffe8, v0, v9
	s_waitcnt lgkmcnt(3)
	ds_write_b32 v9, v8 offset:2048
	s_waitcnt vmcnt(0) lgkmcnt(0)
	s_barrier
	buffer_gl0_inv
	v_cmpx_ne_u32_e32 63, v0
; %bb.42:
	ds_read_b32 v7, v9 offset:2052
; %bb.43:
	s_or_b32 exec_lo, exec_lo, s0
	v_lshlrev_b32_e32 v12, 1, v0
	s_waitcnt lgkmcnt(0)
	s_barrier
	buffer_gl0_inv
	v_cmp_eq_u32_e32 vcc_lo, v3, v4
	v_add_co_u32 v10, s0, s27, v12
	v_add_co_ci_u32_e64 v11, null, s28, 0, s0
	v_sub_nc_u32_e32 v9, v9, v12
	v_cmp_eq_u32_e64 s0, v5, v6
	v_cmp_eq_u32_e64 s2, v1, v2
	s_clause 0x6
	flat_load_ushort v13, v[10:11]
	flat_load_ushort v14, v[10:11] offset:128
	flat_load_ushort v15, v[10:11] offset:256
	;; [unrolled: 1-line block ×6, first 2 shown]
	v_cmp_eq_u32_e64 s3, v4, v5
	v_mad_u32_u24 v12, v0, 12, v9
	v_cmp_eq_u32_e64 s1, v8, v3
	v_cmp_eq_u32_e64 s4, v6, v1
	v_cndmask_b32_e64 v3, 0x10000, 0, s2
	v_cndmask_b32_e64 v8, 0x10000, 0, s3
	s_waitcnt vmcnt(6) lgkmcnt(6)
	ds_write_b16 v9, v13
	s_waitcnt vmcnt(5) lgkmcnt(6)
	ds_write_b16 v9, v14 offset:128
	s_waitcnt vmcnt(4) lgkmcnt(6)
	ds_write_b16 v9, v15 offset:256
	;; [unrolled: 2-line block ×6, first 2 shown]
	s_waitcnt lgkmcnt(0)
	s_barrier
	buffer_gl0_inv
	ds_read_b96 v[9:11], v12
	ds_read_u16 v12, v12 offset:12
	v_cndmask_b32_e64 v13, 0x10000, 0, vcc_lo
	v_cndmask_b32_e64 v15, 0x10000, 0, s0
	v_cndmask_b32_e64 v4, 0x10000, 0, s1
	;; [unrolled: 1-line block ×3, first 2 shown]
	s_waitcnt lgkmcnt(1)
	v_cndmask_b32_sdwa v5, s26, v9, vcc_lo dst_sel:DWORD dst_unused:UNUSED_PAD src0_sel:DWORD src1_sel:WORD_1
	s_mov_b32 vcc_lo, s0
	v_cndmask_b32_e64 v6, s26, v10, s3
	v_cndmask_b32_sdwa v10, s26, v10, vcc_lo dst_sel:DWORD dst_unused:UNUSED_PAD src0_sel:DWORD src1_sel:WORD_1
	s_mov_b32 vcc_lo, s2
	v_cndmask_b32_e64 v1, s26, v9, s1
	v_cndmask_b32_e64 v9, s26, v11, s4
	v_cndmask_b32_sdwa v11, s26, v11, vcc_lo dst_sel:DWORD dst_unused:UNUSED_PAD src0_sel:DWORD src1_sel:WORD_1
	v_or_b32_sdwa v21, v8, v6 dst_sel:DWORD dst_unused:UNUSED_PAD src0_sel:DWORD src1_sel:WORD_0
	v_or_b32_sdwa v20, v15, v10 dst_sel:DWORD dst_unused:UNUSED_PAD src0_sel:DWORD src1_sel:WORD_0
	;; [unrolled: 1-line block ×6, first 2 shown]
	v_cmp_ne_u32_e64 s3, v2, v7
	v_mov_b32_e32 v15, v21
	v_mov_b32_e32 v16, v1
	;; [unrolled: 1-line block ×4, first 2 shown]
	s_waitcnt lgkmcnt(0)
	v_cndmask_b32_e64 v19, v12, s26, s3
	v_mov_b32_e32 v12, v18
	s_mov_b32 s1, -1
.LBB1543_44:
	v_mov_b32_e32 v10, 0
	s_and_saveexec_b32 s0, s1
	s_cbranch_execz .LBB1543_46
; %bb.45:
	v_cndmask_b32_e64 v2, 0, 0x10000, s3
	v_mov_b32_e32 v11, v4
	v_mov_b32_e32 v12, v18
	;; [unrolled: 1-line block ×4, first 2 shown]
	v_or_b32_sdwa v10, v2, v19 dst_sel:DWORD dst_unused:UNUSED_PAD src0_sel:DWORD src1_sel:WORD_0
	v_mov_b32_e32 v16, v1
.LBB1543_46:
	s_or_b32 exec_lo, exec_lo, s0
	v_or_b32_e32 v1, v11, v10
	v_cmp_gt_u32_e64 s3, 0x10000, v16
	v_and_b32_e32 v17, 0x10000, v14
	v_cmp_gt_u32_e64 s4, 0x10000, v15
	v_cmp_gt_u32_e64 s2, 0x10000, v13
	;; [unrolled: 1-line block ×4, first 2 shown]
	v_or3_b32 v18, v1, v12, v13
	v_mbcnt_lo_u32_b32 v9, -1, 0
	s_cmp_lg_u32 s6, 0
	v_cmp_gt_u32_e32 vcc_lo, 0x10000, v10
	s_barrier
	buffer_gl0_inv
	s_cbranch_scc0 .LBB1543_100
; %bb.47:
	v_cndmask_b32_e64 v1, 0, v14, s3
	v_or3_b32 v2, v18, v15, v16
	v_and_b32_e32 v3, 15, v9
	s_mov_b32 s5, exec_lo
	v_add_nc_u16 v1, v1, v16
	v_and_b32_e32 v2, 0xff0000, v2
	v_cndmask_b32_e64 v1, 0, v1, s4
	v_add_nc_u16 v1, v1, v15
	v_cndmask_b32_e64 v1, 0, v1, s2
	v_add_nc_u16 v1, v1, v13
	;; [unrolled: 2-line block ×4, first 2 shown]
	v_cndmask_b32_e32 v1, 0, v1, vcc_lo
	v_cmp_eq_u32_e32 vcc_lo, 0, v2
	v_add_nc_u16 v1, v1, v10
	v_cndmask_b32_e32 v5, 0x10000, v17, vcc_lo
	v_or_b32_sdwa v4, v5, v1 dst_sel:DWORD dst_unused:UNUSED_PAD src0_sel:DWORD src1_sel:WORD_0
	v_lshrrev_b32_e32 v2, 16, v5
	v_mov_b32_dpp v6, v4 row_shr:1 row_mask:0xf bank_mask:0xf
	v_cmpx_ne_u32_e32 0, v3
	s_cbranch_execz .LBB1543_49
; %bb.48:
	v_mov_b32_e32 v2, 1
	v_and_b32_e32 v4, 0x10000, v5
	v_cmp_eq_u32_e32 vcc_lo, 0, v5
	v_and_b32_sdwa v2, v6, v2 dst_sel:DWORD dst_unused:UNUSED_PAD src0_sel:WORD_1 src1_sel:DWORD
	v_cndmask_b32_e32 v5, 0, v6, vcc_lo
	v_cmp_ne_u32_e32 vcc_lo, 0, v4
	v_add_nc_u16 v1, v5, v1
	v_cndmask_b32_e64 v2, v2, 1, vcc_lo
	v_lshlrev_b32_e32 v4, 16, v2
	v_or_b32_sdwa v4, v4, v1 dst_sel:DWORD dst_unused:UNUSED_PAD src0_sel:DWORD src1_sel:WORD_0
.LBB1543_49:
	s_or_b32 exec_lo, exec_lo, s5
	v_lshrrev_b32_e32 v5, 16, v4
	v_mov_b32_dpp v6, v4 row_shr:2 row_mask:0xf bank_mask:0xf
	s_mov_b32 s5, exec_lo
	v_cmpx_lt_u32_e32 1, v3
	s_cbranch_execz .LBB1543_51
; %bb.50:
	v_mov_b32_e32 v2, 1
	v_and_b32_e32 v5, 0x10000, v4
	v_cmp_gt_u32_e32 vcc_lo, 0x10000, v4
	v_and_b32_sdwa v2, v6, v2 dst_sel:DWORD dst_unused:UNUSED_PAD src0_sel:WORD_1 src1_sel:DWORD
	v_cndmask_b32_e32 v4, 0, v6, vcc_lo
	v_cmp_ne_u32_e32 vcc_lo, 0, v5
	v_add_nc_u16 v1, v4, v1
	v_cndmask_b32_e64 v2, v2, 1, vcc_lo
	v_lshlrev_b32_e32 v4, 16, v2
	v_mov_b32_e32 v5, v2
	v_or_b32_sdwa v4, v4, v1 dst_sel:DWORD dst_unused:UNUSED_PAD src0_sel:DWORD src1_sel:WORD_0
.LBB1543_51:
	s_or_b32 exec_lo, exec_lo, s5
	v_mov_b32_dpp v6, v4 row_shr:4 row_mask:0xf bank_mask:0xf
	s_mov_b32 s5, exec_lo
	v_cmpx_lt_u32_e32 3, v3
	s_cbranch_execz .LBB1543_53
; %bb.52:
	v_mov_b32_e32 v2, 1
	v_and_b32_e32 v4, 1, v5
	v_cmp_eq_u16_e32 vcc_lo, 0, v5
	v_and_b32_sdwa v2, v6, v2 dst_sel:DWORD dst_unused:UNUSED_PAD src0_sel:WORD_1 src1_sel:DWORD
	v_cndmask_b32_e32 v5, 0, v6, vcc_lo
	v_cmp_eq_u32_e32 vcc_lo, 1, v4
	v_add_nc_u16 v1, v5, v1
	v_cndmask_b32_e64 v2, v2, 1, vcc_lo
	v_lshlrev_b32_e32 v4, 16, v2
	v_mov_b32_e32 v5, v2
	v_or_b32_sdwa v4, v4, v1 dst_sel:DWORD dst_unused:UNUSED_PAD src0_sel:DWORD src1_sel:WORD_0
.LBB1543_53:
	s_or_b32 exec_lo, exec_lo, s5
	v_mov_b32_dpp v6, v4 row_shr:8 row_mask:0xf bank_mask:0xf
	s_mov_b32 s5, exec_lo
	v_cmpx_lt_u32_e32 7, v3
	s_cbranch_execz .LBB1543_55
; %bb.54:
	v_mov_b32_e32 v2, 1
	v_and_b32_e32 v3, 1, v5
	v_cmp_eq_u16_e32 vcc_lo, 0, v5
	v_and_b32_sdwa v2, v6, v2 dst_sel:DWORD dst_unused:UNUSED_PAD src0_sel:WORD_1 src1_sel:DWORD
	v_cndmask_b32_e32 v4, 0, v6, vcc_lo
	v_cmp_eq_u32_e32 vcc_lo, 1, v3
	v_add_nc_u16 v1, v4, v1
	v_cndmask_b32_e64 v2, v2, 1, vcc_lo
	v_lshlrev_b32_e32 v3, 16, v2
	v_mov_b32_e32 v5, v2
	v_or_b32_sdwa v4, v3, v1 dst_sel:DWORD dst_unused:UNUSED_PAD src0_sel:DWORD src1_sel:WORD_0
.LBB1543_55:
	s_or_b32 exec_lo, exec_lo, s5
	ds_swizzle_b32 v3, v4 offset:swizzle(BROADCAST,32,15)
	v_and_b32_e32 v4, 16, v9
	s_mov_b32 s5, exec_lo
	v_cmpx_ne_u32_e32 0, v4
	s_cbranch_execz .LBB1543_57
; %bb.56:
	v_mov_b32_e32 v2, 1
	v_cmp_eq_u16_e32 vcc_lo, 0, v5
	v_and_b32_e32 v5, 1, v5
	s_waitcnt lgkmcnt(0)
	v_and_b32_sdwa v2, v3, v2 dst_sel:DWORD dst_unused:UNUSED_PAD src0_sel:WORD_1 src1_sel:DWORD
	v_cndmask_b32_e32 v4, 0, v3, vcc_lo
	v_cmp_eq_u32_e32 vcc_lo, 1, v5
	v_add_nc_u16 v1, v4, v1
	v_cndmask_b32_e64 v2, v2, 1, vcc_lo
.LBB1543_57:
	s_or_b32 exec_lo, exec_lo, s5
	s_waitcnt lgkmcnt(0)
	v_or_b32_e32 v3, 31, v0
	v_lshrrev_b32_e32 v4, 5, v0
	v_cmp_eq_u32_e32 vcc_lo, v0, v3
	v_lshlrev_b32_e32 v3, 2, v4
	s_and_saveexec_b32 s5, vcc_lo
	s_cbranch_execz .LBB1543_59
; %bb.58:
	ds_write_b16 v3, v1
	ds_write_b8 v3, v2 offset:2
.LBB1543_59:
	s_or_b32 exec_lo, exec_lo, s5
	s_mov_b32 s5, exec_lo
	s_waitcnt lgkmcnt(0)
	s_barrier
	buffer_gl0_inv
	v_cmpx_gt_u32_e32 2, v0
	s_cbranch_execz .LBB1543_63
; %bb.60:
	v_lshlrev_b32_e32 v4, 2, v0
	v_and_b32_e32 v8, 1, v9
	s_mov_b32 s7, exec_lo
	ds_read_b32 v5, v4
	s_waitcnt lgkmcnt(0)
	v_lshrrev_b32_e32 v6, 16, v5
	v_mov_b32_dpp v7, v5 row_shr:1 row_mask:0xf bank_mask:0xf
	v_cmpx_eq_u32_e32 1, v8
	s_cbranch_execz .LBB1543_62
; %bb.61:
	v_mov_b32_e32 v8, 0
	v_mov_b32_e32 v19, 1
	v_cmp_eq_u16_sdwa vcc_lo, v6, v8 src0_sel:BYTE_0 src1_sel:DWORD
	v_and_b32_e32 v8, 0x10000, v5
	v_cndmask_b32_e32 v6, 0, v7, vcc_lo
	v_and_b32_sdwa v7, v7, v19 dst_sel:DWORD dst_unused:UNUSED_PAD src0_sel:WORD_1 src1_sel:DWORD
	v_cmp_ne_u32_e32 vcc_lo, 0, v8
	v_add_nc_u16 v5, v6, v5
	v_cndmask_b32_e64 v6, v7, 1, vcc_lo
.LBB1543_62:
	s_or_b32 exec_lo, exec_lo, s7
	ds_write_b16 v4, v5
	ds_write_b8 v4, v6 offset:2
.LBB1543_63:
	s_or_b32 exec_lo, exec_lo, s5
	v_mov_b32_e32 v19, 0
	v_mov_b32_e32 v20, 0
	s_mov_b32 s7, exec_lo
	v_cmp_gt_u32_e32 vcc_lo, 32, v0
	s_waitcnt lgkmcnt(0)
	s_barrier
	buffer_gl0_inv
	v_cmpx_lt_u32_e32 31, v0
	s_cbranch_execz .LBB1543_65
; %bb.64:
	v_add_nc_u32_e32 v4, -4, v3
	v_add_nc_u32_e32 v3, -2, v3
	v_cmp_eq_u16_e64 s5, 0, v2
	v_and_b32_e32 v2, 1, v2
	ds_read_u16 v19, v4
	ds_read_u8 v20, v3
	s_waitcnt lgkmcnt(1)
	v_cndmask_b32_e64 v3, 0, v19, s5
	v_cmp_eq_u32_e64 s5, 1, v2
	v_add_nc_u16 v1, v3, v1
	s_waitcnt lgkmcnt(0)
	v_cndmask_b32_e64 v2, v20, 1, s5
.LBB1543_65:
	s_or_b32 exec_lo, exec_lo, s7
	v_sub_co_u32 v3, s5, v9, 1
	v_and_b32_e32 v2, 0xff, v2
	v_and_b32_e32 v1, 0xffff, v1
	v_cmp_gt_i32_e64 s7, 0, v3
	v_lshl_or_b32 v1, v2, 16, v1
	v_cndmask_b32_e64 v3, v3, v9, s7
	v_lshlrev_b32_e32 v2, 2, v3
	ds_bpermute_b32 v21, v2, v1
	s_and_saveexec_b32 s7, vcc_lo
	s_cbranch_execz .LBB1543_105
; %bb.66:
	v_mov_b32_e32 v6, 0
	ds_read_b32 v1, v6 offset:4
	s_and_saveexec_b32 s12, s5
	s_cbranch_execz .LBB1543_68
; %bb.67:
	s_add_i32 s28, s6, 32
	s_mov_b32 s29, 0
	v_mov_b32_e32 v2, 1
	s_lshl_b64 s[28:29], s[28:29], 3
	s_add_u32 s28, s16, s28
	s_addc_u32 s29, s17, s29
	s_waitcnt lgkmcnt(0)
	global_store_dwordx2 v6, v[1:2], s[28:29]
.LBB1543_68:
	s_or_b32 exec_lo, exec_lo, s12
	v_xad_u32 v2, v9, -1, s6
	s_mov_b32 s13, 0
	v_add_nc_u32_e32 v5, 32, v2
	v_lshlrev_b64 v[3:4], 3, v[5:6]
	v_add_co_u32 v7, vcc_lo, s16, v3
	v_add_co_ci_u32_e64 v8, null, s17, v4, vcc_lo
	global_load_dwordx2 v[4:5], v[7:8], off glc dlc
	s_waitcnt vmcnt(0)
	v_cmp_eq_u16_sdwa s21, v5, v6 src0_sel:BYTE_0 src1_sel:DWORD
	s_and_saveexec_b32 s12, s21
	s_cbranch_execz .LBB1543_72
; %bb.69:
	v_mov_b32_e32 v3, 0
.LBB1543_70:                            ; =>This Inner Loop Header: Depth=1
	global_load_dwordx2 v[4:5], v[7:8], off glc dlc
	s_waitcnt vmcnt(0)
	v_cmp_ne_u16_sdwa s21, v5, v3 src0_sel:BYTE_0 src1_sel:DWORD
	s_or_b32 s13, s21, s13
	s_andn2_b32 exec_lo, exec_lo, s13
	s_cbranch_execnz .LBB1543_70
; %bb.71:
	s_or_b32 exec_lo, exec_lo, s13
.LBB1543_72:
	s_or_b32 exec_lo, exec_lo, s12
	v_cmp_ne_u32_e32 vcc_lo, 31, v9
	v_and_b32_e32 v29, 0xffffff, v4
	v_mov_b32_e32 v6, 2
	v_lshlrev_b32_e64 v22, v9, -1
	v_bfe_u32 v7, v4, 16, 8
	v_add_co_ci_u32_e64 v3, null, 0, v9, vcc_lo
	v_cmp_eq_u16_sdwa s12, v5, v6 src0_sel:BYTE_0 src1_sel:DWORD
	v_lshrrev_b32_e32 v6, 16, v4
	v_lshlrev_b32_e32 v8, 2, v3
	v_and_or_b32 v3, s12, v22, 0x80000000
	s_mov_b32 s12, exec_lo
	ds_bpermute_b32 v23, v8, v29
	v_ffbl_b32_e32 v3, v3
	v_cmpx_lt_u32_e64 v9, v3
	s_cbranch_execz .LBB1543_74
; %bb.73:
	v_and_b32_e32 v6, 0xff0000, v4
	v_mov_b32_e32 v7, 1
	v_and_b32_e32 v24, 0x10000, v6
	v_cmp_eq_u32_e32 vcc_lo, 0, v6
	s_waitcnt lgkmcnt(0)
	v_and_b32_sdwa v7, v23, v7 dst_sel:DWORD dst_unused:UNUSED_PAD src0_sel:WORD_1 src1_sel:DWORD
	v_cndmask_b32_e32 v23, 0, v23, vcc_lo
	v_cmp_ne_u32_e32 vcc_lo, 0, v24
	v_add_nc_u16 v4, v23, v4
	v_cndmask_b32_e64 v6, v7, 1, vcc_lo
	v_lshlrev_b32_e32 v7, 16, v6
	v_or_b32_sdwa v29, v7, v4 dst_sel:DWORD dst_unused:UNUSED_PAD src0_sel:DWORD src1_sel:WORD_0
	v_mov_b32_e32 v7, v6
.LBB1543_74:
	s_or_b32 exec_lo, exec_lo, s12
	v_cmp_gt_u32_e32 vcc_lo, 30, v9
	v_add_nc_u32_e32 v24, 2, v9
	s_mov_b32 s12, exec_lo
	s_waitcnt lgkmcnt(0)
	v_cndmask_b32_e64 v23, 0, 2, vcc_lo
	v_add_lshl_u32 v23, v23, v9, 2
	ds_bpermute_b32 v25, v23, v29
	v_cmpx_le_u32_e64 v24, v3
	s_cbranch_execz .LBB1543_76
; %bb.75:
	v_mov_b32_e32 v6, 1
	v_and_b32_e32 v26, 1, v7
	v_cmp_eq_u16_e32 vcc_lo, 0, v7
	s_waitcnt lgkmcnt(0)
	v_and_b32_sdwa v6, v25, v6 dst_sel:DWORD dst_unused:UNUSED_PAD src0_sel:WORD_1 src1_sel:DWORD
	v_cndmask_b32_e32 v7, 0, v25, vcc_lo
	v_cmp_eq_u32_e32 vcc_lo, 1, v26
	v_add_nc_u16 v4, v7, v4
	v_cndmask_b32_e64 v6, v6, 1, vcc_lo
	v_lshlrev_b32_e32 v7, 16, v6
	v_or_b32_sdwa v29, v7, v4 dst_sel:DWORD dst_unused:UNUSED_PAD src0_sel:DWORD src1_sel:WORD_0
	v_mov_b32_e32 v7, v6
.LBB1543_76:
	s_or_b32 exec_lo, exec_lo, s12
	v_cmp_gt_u32_e32 vcc_lo, 28, v9
	v_add_nc_u32_e32 v26, 4, v9
	s_mov_b32 s12, exec_lo
	s_waitcnt lgkmcnt(0)
	v_cndmask_b32_e64 v25, 0, 4, vcc_lo
	v_add_lshl_u32 v25, v25, v9, 2
	ds_bpermute_b32 v27, v25, v29
	v_cmpx_le_u32_e64 v26, v3
	s_cbranch_execz .LBB1543_78
; %bb.77:
	v_mov_b32_e32 v6, 1
	v_and_b32_e32 v28, 1, v7
	v_cmp_eq_u16_e32 vcc_lo, 0, v7
	s_waitcnt lgkmcnt(0)
	v_and_b32_sdwa v6, v27, v6 dst_sel:DWORD dst_unused:UNUSED_PAD src0_sel:WORD_1 src1_sel:DWORD
	v_cndmask_b32_e32 v7, 0, v27, vcc_lo
	v_cmp_eq_u32_e32 vcc_lo, 1, v28
	v_add_nc_u16 v4, v7, v4
	v_cndmask_b32_e64 v6, v6, 1, vcc_lo
	v_lshlrev_b32_e32 v7, 16, v6
	v_or_b32_sdwa v29, v7, v4 dst_sel:DWORD dst_unused:UNUSED_PAD src0_sel:DWORD src1_sel:WORD_0
	v_mov_b32_e32 v7, v6
.LBB1543_78:
	;; [unrolled: 24-line block ×3, first 2 shown]
	s_or_b32 exec_lo, exec_lo, s12
	v_lshl_or_b32 v31, v9, 2, 64
	v_add_nc_u32_e32 v32, 16, v9
	s_mov_b32 s12, exec_lo
	ds_bpermute_b32 v29, v31, v29
	v_cmpx_le_u32_e64 v32, v3
	s_cbranch_execz .LBB1543_82
; %bb.81:
	v_mov_b32_e32 v3, 1
	v_cmp_eq_u16_e32 vcc_lo, 0, v7
	v_and_b32_e32 v7, 1, v7
	s_waitcnt lgkmcnt(0)
	v_and_b32_sdwa v3, v29, v3 dst_sel:DWORD dst_unused:UNUSED_PAD src0_sel:WORD_1 src1_sel:DWORD
	v_cndmask_b32_e32 v6, 0, v29, vcc_lo
	v_cmp_eq_u32_e32 vcc_lo, 1, v7
	v_add_nc_u16 v4, v6, v4
	v_cndmask_b32_e64 v6, v3, 1, vcc_lo
.LBB1543_82:
	s_or_b32 exec_lo, exec_lo, s12
	v_mov_b32_e32 v3, 0
	v_mov_b32_e32 v33, 2
	;; [unrolled: 1-line block ×3, first 2 shown]
	s_branch .LBB1543_85
.LBB1543_83:                            ;   in Loop: Header=BB1543_85 Depth=1
	s_or_b32 exec_lo, exec_lo, s12
	v_cmp_eq_u16_sdwa vcc_lo, v29, v3 src0_sel:BYTE_0 src1_sel:DWORD
	v_and_b32_e32 v6, 1, v29
	v_and_b32_e32 v7, 1, v7
	v_subrev_nc_u32_e32 v2, 32, v2
	s_mov_b32 s12, 0
	v_cndmask_b32_e32 v4, 0, v4, vcc_lo
	v_cmp_eq_u32_e32 vcc_lo, 1, v6
	v_add_nc_u16 v4, v4, v30
	v_cndmask_b32_e64 v6, v7, 1, vcc_lo
.LBB1543_84:                            ;   in Loop: Header=BB1543_85 Depth=1
	s_and_b32 vcc_lo, exec_lo, s12
	s_cbranch_vccnz .LBB1543_101
.LBB1543_85:                            ; =>This Loop Header: Depth=1
                                        ;     Child Loop BB1543_88 Depth 2
	v_cmp_ne_u16_sdwa s12, v5, v33 src0_sel:BYTE_0 src1_sel:DWORD
	s_waitcnt lgkmcnt(0)
	v_mov_b32_e32 v29, v6
	v_mov_b32_e32 v30, v4
                                        ; implicit-def: $vgpr6
                                        ; implicit-def: $vgpr4
	s_cmp_lg_u32 s12, exec_lo
	s_mov_b32 s12, -1
	s_cbranch_scc1 .LBB1543_84
; %bb.86:                               ;   in Loop: Header=BB1543_85 Depth=1
	v_lshlrev_b64 v[4:5], 3, v[2:3]
	v_add_co_u32 v6, vcc_lo, s16, v4
	v_add_co_ci_u32_e64 v7, null, s17, v5, vcc_lo
	global_load_dwordx2 v[4:5], v[6:7], off glc dlc
	s_waitcnt vmcnt(0)
	v_cmp_eq_u16_sdwa s13, v5, v3 src0_sel:BYTE_0 src1_sel:DWORD
	s_and_saveexec_b32 s12, s13
	s_cbranch_execz .LBB1543_90
; %bb.87:                               ;   in Loop: Header=BB1543_85 Depth=1
	s_mov_b32 s13, 0
.LBB1543_88:                            ;   Parent Loop BB1543_85 Depth=1
                                        ; =>  This Inner Loop Header: Depth=2
	global_load_dwordx2 v[4:5], v[6:7], off glc dlc
	s_waitcnt vmcnt(0)
	v_cmp_ne_u16_sdwa s21, v5, v3 src0_sel:BYTE_0 src1_sel:DWORD
	s_or_b32 s13, s21, s13
	s_andn2_b32 exec_lo, exec_lo, s13
	s_cbranch_execnz .LBB1543_88
; %bb.89:                               ;   in Loop: Header=BB1543_85 Depth=1
	s_or_b32 exec_lo, exec_lo, s13
.LBB1543_90:                            ;   in Loop: Header=BB1543_85 Depth=1
	s_or_b32 exec_lo, exec_lo, s12
	v_and_b32_e32 v36, 0xffffff, v4
	v_cmp_eq_u16_sdwa s12, v5, v33 src0_sel:BYTE_0 src1_sel:DWORD
	v_lshrrev_b32_e32 v7, 16, v4
	v_bfe_u32 v35, v4, 16, 8
	ds_bpermute_b32 v37, v8, v36
	v_and_or_b32 v6, s12, v22, 0x80000000
	s_mov_b32 s12, exec_lo
	v_ffbl_b32_e32 v6, v6
	v_cmpx_lt_u32_e64 v9, v6
	s_cbranch_execz .LBB1543_92
; %bb.91:                               ;   in Loop: Header=BB1543_85 Depth=1
	v_and_b32_e32 v7, 0xff0000, v4
	s_waitcnt lgkmcnt(0)
	v_and_b32_sdwa v36, v37, v34 dst_sel:DWORD dst_unused:UNUSED_PAD src0_sel:WORD_1 src1_sel:DWORD
	v_and_b32_e32 v35, 0x10000, v7
	v_cmp_eq_u32_e32 vcc_lo, 0, v7
	v_cndmask_b32_e32 v37, 0, v37, vcc_lo
	v_cmp_ne_u32_e32 vcc_lo, 0, v35
	v_add_nc_u16 v4, v37, v4
	v_cndmask_b32_e64 v7, v36, 1, vcc_lo
	v_lshlrev_b32_e32 v35, 16, v7
	v_or_b32_sdwa v36, v35, v4 dst_sel:DWORD dst_unused:UNUSED_PAD src0_sel:DWORD src1_sel:WORD_0
	v_mov_b32_e32 v35, v7
.LBB1543_92:                            ;   in Loop: Header=BB1543_85 Depth=1
	s_or_b32 exec_lo, exec_lo, s12
	s_waitcnt lgkmcnt(0)
	ds_bpermute_b32 v37, v23, v36
	s_mov_b32 s12, exec_lo
	v_cmpx_le_u32_e64 v24, v6
	s_cbranch_execz .LBB1543_94
; %bb.93:                               ;   in Loop: Header=BB1543_85 Depth=1
	v_and_b32_e32 v7, 1, v35
	v_cmp_eq_u16_e32 vcc_lo, 0, v35
	s_waitcnt lgkmcnt(0)
	v_and_b32_sdwa v36, v37, v34 dst_sel:DWORD dst_unused:UNUSED_PAD src0_sel:WORD_1 src1_sel:DWORD
	v_cndmask_b32_e32 v35, 0, v37, vcc_lo
	v_cmp_eq_u32_e32 vcc_lo, 1, v7
	v_add_nc_u16 v4, v35, v4
	v_cndmask_b32_e64 v7, v36, 1, vcc_lo
	v_lshlrev_b32_e32 v35, 16, v7
	v_or_b32_sdwa v36, v35, v4 dst_sel:DWORD dst_unused:UNUSED_PAD src0_sel:DWORD src1_sel:WORD_0
	v_mov_b32_e32 v35, v7
.LBB1543_94:                            ;   in Loop: Header=BB1543_85 Depth=1
	s_or_b32 exec_lo, exec_lo, s12
	s_waitcnt lgkmcnt(0)
	ds_bpermute_b32 v37, v25, v36
	s_mov_b32 s12, exec_lo
	v_cmpx_le_u32_e64 v26, v6
	s_cbranch_execz .LBB1543_96
; %bb.95:                               ;   in Loop: Header=BB1543_85 Depth=1
	v_and_b32_e32 v7, 1, v35
	v_cmp_eq_u16_e32 vcc_lo, 0, v35
	s_waitcnt lgkmcnt(0)
	v_and_b32_sdwa v36, v37, v34 dst_sel:DWORD dst_unused:UNUSED_PAD src0_sel:WORD_1 src1_sel:DWORD
	v_cndmask_b32_e32 v35, 0, v37, vcc_lo
	v_cmp_eq_u32_e32 vcc_lo, 1, v7
	v_add_nc_u16 v4, v35, v4
	v_cndmask_b32_e64 v7, v36, 1, vcc_lo
	v_lshlrev_b32_e32 v35, 16, v7
	v_or_b32_sdwa v36, v35, v4 dst_sel:DWORD dst_unused:UNUSED_PAD src0_sel:DWORD src1_sel:WORD_0
	v_mov_b32_e32 v35, v7
.LBB1543_96:                            ;   in Loop: Header=BB1543_85 Depth=1
	;; [unrolled: 19-line block ×3, first 2 shown]
	s_or_b32 exec_lo, exec_lo, s12
	ds_bpermute_b32 v36, v31, v36
	s_mov_b32 s12, exec_lo
	v_cmpx_le_u32_e64 v32, v6
	s_cbranch_execz .LBB1543_83
; %bb.99:                               ;   in Loop: Header=BB1543_85 Depth=1
	v_cmp_eq_u16_e32 vcc_lo, 0, v35
	v_and_b32_e32 v7, 1, v35
	s_waitcnt lgkmcnt(0)
	v_lshrrev_b32_e32 v35, 16, v36
	v_cndmask_b32_e32 v6, 0, v36, vcc_lo
	v_cmp_eq_u32_e32 vcc_lo, 1, v7
	v_add_nc_u16 v4, v6, v4
	v_cndmask_b32_e64 v7, v35, 1, vcc_lo
	s_branch .LBB1543_83
.LBB1543_100:
                                        ; implicit-def: $vgpr5
                                        ; implicit-def: $vgpr4
                                        ; implicit-def: $vgpr6
                                        ; implicit-def: $vgpr7
                                        ; implicit-def: $vgpr8
                                        ; implicit-def: $vgpr19
                                        ; implicit-def: $vgpr20
	s_cbranch_execnz .LBB1543_106
	s_branch .LBB1543_129
.LBB1543_101:
	s_and_saveexec_b32 s12, s5
	s_cbranch_execz .LBB1543_103
; %bb.102:
	v_and_b32_e32 v2, 0xff0000, v1
	v_mov_b32_e32 v3, 1
	v_and_b32_e32 v4, 0x10000, v1
	s_mov_b32 s29, 0
	s_add_i32 s28, s6, 32
	v_cmp_eq_u32_e32 vcc_lo, 0, v2
	v_and_b32_sdwa v3, v29, v3 dst_sel:WORD_1 dst_unused:UNUSED_PAD src0_sel:DWORD src1_sel:DWORD
	s_lshl_b64 s[28:29], s[28:29], 3
	s_add_u32 s28, s16, s28
	v_cndmask_b32_e32 v2, 0, v30, vcc_lo
	v_cmp_eq_u32_e32 vcc_lo, 0, v4
	s_addc_u32 s29, s17, s29
	v_add_nc_u16 v1, v2, v1
	v_cndmask_b32_e32 v2, 0x10000, v3, vcc_lo
	v_mov_b32_e32 v3, 0
	v_or_b32_sdwa v1, v2, v1 dst_sel:DWORD dst_unused:UNUSED_PAD src0_sel:DWORD src1_sel:WORD_0
	v_mov_b32_e32 v2, 2
	global_store_dwordx2 v3, v[1:2], s[28:29]
.LBB1543_103:
	s_or_b32 exec_lo, exec_lo, s12
	v_cmp_eq_u32_e32 vcc_lo, 0, v0
	s_and_b32 exec_lo, exec_lo, vcc_lo
	s_cbranch_execz .LBB1543_105
; %bb.104:
	v_mov_b32_e32 v1, 0
	ds_write_b16 v1, v30 offset:4
	ds_write_b8 v1, v29 offset:6
.LBB1543_105:
	s_or_b32 exec_lo, exec_lo, s7
	v_mov_b32_e32 v1, 0
	s_waitcnt lgkmcnt(0)
	s_waitcnt_vscnt null, 0x0
	s_barrier
	buffer_gl0_inv
	s_mov_b32 vcc_lo, s5
	ds_read_b32 v2, v1 offset:4
	v_cndmask_b32_sdwa v3, v21, v20, vcc_lo dst_sel:DWORD dst_unused:UNUSED_PAD src0_sel:WORD_1 src1_sel:DWORD
	v_cndmask_b32_e64 v4, v21, v19, s5
	v_cmp_eq_u16_sdwa vcc_lo, v3, v1 src0_sel:BYTE_0 src1_sel:DWORD
	v_and_b32_e32 v3, 0xff0000, v14
	s_waitcnt lgkmcnt(0)
	v_cndmask_b32_e32 v1, 0, v2, vcc_lo
	v_cmp_eq_u32_e32 vcc_lo, 0, v0
	v_add_nc_u16 v1, v1, v4
	v_cndmask_b32_e32 v5, v1, v2, vcc_lo
	v_cmp_eq_u32_e32 vcc_lo, 0, v3
	v_cndmask_b32_e32 v1, 0, v5, vcc_lo
	v_add_nc_u16 v4, v1, v14
	v_cndmask_b32_e64 v1, 0, v4, s3
	v_add_nc_u16 v6, v1, v16
	v_cndmask_b32_e64 v1, 0, v6, s4
	;; [unrolled: 2-line block ×5, first 2 shown]
	v_add_nc_u16 v20, v1, v11
	s_branch .LBB1543_129
.LBB1543_106:
	s_cmp_eq_u64 s[24:25], 0
	v_mov_b32_e32 v1, s26
	s_cselect_b32 s0, -1, 0
	s_cmp_eq_u64 s[22:23], 0
	s_cselect_b32 s1, -1, 0
	s_or_b32 s0, s0, s1
	s_and_b32 vcc_lo, exec_lo, s0
	s_cbranch_vccnz .LBB1543_108
; %bb.107:
	v_mov_b32_e32 v1, 0
	global_load_ushort v1, v1, s[22:23]
.LBB1543_108:
	v_cmp_gt_u32_e32 vcc_lo, 0x10000, v16
	v_cmp_gt_u32_e64 s0, 0x10000, v15
	v_cmp_gt_u32_e64 s1, 0x10000, v13
	;; [unrolled: 1-line block ×4, first 2 shown]
	v_cndmask_b32_e32 v2, 0, v14, vcc_lo
	v_or3_b32 v3, v18, v15, v16
	v_cmp_gt_u32_e64 s4, 0x10000, v10
	v_and_b32_e32 v4, 15, v9
	s_mov_b32 s5, exec_lo
	v_add_nc_u16 v2, v2, v16
	v_and_b32_e32 v3, 0xff0000, v3
	v_cndmask_b32_e64 v2, 0, v2, s0
	v_add_nc_u16 v2, v2, v15
	v_cndmask_b32_e64 v2, 0, v2, s1
	v_add_nc_u16 v2, v2, v13
	v_cndmask_b32_e64 v2, 0, v2, s2
	v_add_nc_u16 v2, v2, v12
	v_cndmask_b32_e64 v2, 0, v2, s3
	v_add_nc_u16 v2, v2, v11
	v_cndmask_b32_e64 v2, 0, v2, s4
	v_cmp_eq_u32_e64 s4, 0, v3
	v_add_nc_u16 v2, v2, v10
	v_cndmask_b32_e64 v5, 0x10000, v17, s4
	v_or_b32_sdwa v6, v5, v2 dst_sel:DWORD dst_unused:UNUSED_PAD src0_sel:DWORD src1_sel:WORD_0
	v_lshrrev_b32_e32 v3, 16, v5
	v_mov_b32_dpp v7, v6 row_shr:1 row_mask:0xf bank_mask:0xf
	v_cmpx_ne_u32_e32 0, v4
	s_cbranch_execz .LBB1543_110
; %bb.109:
	v_mov_b32_e32 v3, 1
	v_and_b32_e32 v6, 0x10000, v5
	v_cmp_eq_u32_e64 s4, 0, v5
	v_and_b32_sdwa v3, v7, v3 dst_sel:DWORD dst_unused:UNUSED_PAD src0_sel:WORD_1 src1_sel:DWORD
	v_cndmask_b32_e64 v5, 0, v7, s4
	v_cmp_ne_u32_e64 s4, 0, v6
	v_add_nc_u16 v2, v5, v2
	v_cndmask_b32_e64 v3, v3, 1, s4
	v_lshlrev_b32_e32 v5, 16, v3
	v_or_b32_sdwa v6, v5, v2 dst_sel:DWORD dst_unused:UNUSED_PAD src0_sel:DWORD src1_sel:WORD_0
.LBB1543_110:
	s_or_b32 exec_lo, exec_lo, s5
	v_lshrrev_b32_e32 v5, 16, v6
	v_mov_b32_dpp v7, v6 row_shr:2 row_mask:0xf bank_mask:0xf
	s_mov_b32 s5, exec_lo
	v_cmpx_lt_u32_e32 1, v4
	s_cbranch_execz .LBB1543_112
; %bb.111:
	v_mov_b32_e32 v3, 1
	v_and_b32_e32 v5, 0x10000, v6
	v_cmp_gt_u32_e64 s4, 0x10000, v6
	v_and_b32_sdwa v3, v7, v3 dst_sel:DWORD dst_unused:UNUSED_PAD src0_sel:WORD_1 src1_sel:DWORD
	v_cndmask_b32_e64 v6, 0, v7, s4
	v_cmp_ne_u32_e64 s4, 0, v5
	v_add_nc_u16 v2, v6, v2
	v_cndmask_b32_e64 v3, v3, 1, s4
	v_lshlrev_b32_e32 v5, 16, v3
	v_or_b32_sdwa v6, v5, v2 dst_sel:DWORD dst_unused:UNUSED_PAD src0_sel:DWORD src1_sel:WORD_0
	v_mov_b32_e32 v5, v3
.LBB1543_112:
	s_or_b32 exec_lo, exec_lo, s5
	v_mov_b32_dpp v7, v6 row_shr:4 row_mask:0xf bank_mask:0xf
	s_mov_b32 s5, exec_lo
	v_cmpx_lt_u32_e32 3, v4
	s_cbranch_execz .LBB1543_114
; %bb.113:
	v_mov_b32_e32 v3, 1
	v_and_b32_e32 v6, 1, v5
	v_cmp_eq_u16_e64 s4, 0, v5
	v_and_b32_sdwa v3, v7, v3 dst_sel:DWORD dst_unused:UNUSED_PAD src0_sel:WORD_1 src1_sel:DWORD
	v_cndmask_b32_e64 v5, 0, v7, s4
	v_cmp_eq_u32_e64 s4, 1, v6
	v_add_nc_u16 v2, v5, v2
	v_cndmask_b32_e64 v3, v3, 1, s4
	v_lshlrev_b32_e32 v5, 16, v3
	v_or_b32_sdwa v6, v5, v2 dst_sel:DWORD dst_unused:UNUSED_PAD src0_sel:DWORD src1_sel:WORD_0
	v_mov_b32_e32 v5, v3
.LBB1543_114:
	s_or_b32 exec_lo, exec_lo, s5
	v_mov_b32_dpp v7, v6 row_shr:8 row_mask:0xf bank_mask:0xf
	s_mov_b32 s5, exec_lo
	v_cmpx_lt_u32_e32 7, v4
	s_cbranch_execz .LBB1543_116
; %bb.115:
	v_mov_b32_e32 v3, 1
	v_and_b32_e32 v4, 1, v5
	v_cmp_eq_u16_e64 s4, 0, v5
	v_and_b32_sdwa v3, v7, v3 dst_sel:DWORD dst_unused:UNUSED_PAD src0_sel:WORD_1 src1_sel:DWORD
	v_cndmask_b32_e64 v5, 0, v7, s4
	v_cmp_eq_u32_e64 s4, 1, v4
	v_add_nc_u16 v2, v5, v2
	v_cndmask_b32_e64 v3, v3, 1, s4
	v_lshlrev_b32_e32 v4, 16, v3
	v_mov_b32_e32 v5, v3
	v_or_b32_sdwa v6, v4, v2 dst_sel:DWORD dst_unused:UNUSED_PAD src0_sel:DWORD src1_sel:WORD_0
.LBB1543_116:
	s_or_b32 exec_lo, exec_lo, s5
	ds_swizzle_b32 v4, v6 offset:swizzle(BROADCAST,32,15)
	v_and_b32_e32 v6, 16, v9
	s_mov_b32 s5, exec_lo
	v_cmpx_ne_u32_e32 0, v6
	s_cbranch_execz .LBB1543_118
; %bb.117:
	v_mov_b32_e32 v3, 1
	v_cmp_eq_u16_e64 s4, 0, v5
	v_and_b32_e32 v5, 1, v5
	s_waitcnt lgkmcnt(0)
	v_and_b32_sdwa v3, v4, v3 dst_sel:DWORD dst_unused:UNUSED_PAD src0_sel:WORD_1 src1_sel:DWORD
	v_cndmask_b32_e64 v6, 0, v4, s4
	v_cmp_eq_u32_e64 s4, 1, v5
	v_add_nc_u16 v2, v6, v2
	v_cndmask_b32_e64 v3, v3, 1, s4
.LBB1543_118:
	s_or_b32 exec_lo, exec_lo, s5
	s_waitcnt lgkmcnt(0)
	v_or_b32_e32 v4, 31, v0
	v_lshrrev_b32_e32 v5, 5, v0
	v_cmp_eq_u32_e64 s4, v0, v4
	v_lshlrev_b32_e32 v4, 2, v5
	s_and_saveexec_b32 s5, s4
	s_cbranch_execz .LBB1543_120
; %bb.119:
	ds_write_b16 v4, v2
	ds_write_b8 v4, v3 offset:2
.LBB1543_120:
	s_or_b32 exec_lo, exec_lo, s5
	s_mov_b32 s5, exec_lo
	s_waitcnt vmcnt(0) lgkmcnt(0)
	s_barrier
	buffer_gl0_inv
	v_cmpx_gt_u32_e32 2, v0
	s_cbranch_execz .LBB1543_124
; %bb.121:
	v_lshlrev_b32_e32 v5, 2, v0
	v_and_b32_e32 v10, 1, v9
	s_mov_b32 s6, exec_lo
	ds_read_b32 v6, v5
	s_waitcnt lgkmcnt(0)
	v_lshrrev_b32_e32 v7, 16, v6
	v_mov_b32_dpp v8, v6 row_shr:1 row_mask:0xf bank_mask:0xf
	v_cmpx_eq_u32_e32 1, v10
	s_cbranch_execz .LBB1543_123
; %bb.122:
	v_mov_b32_e32 v10, 0
	v_mov_b32_e32 v17, 1
	v_cmp_eq_u16_sdwa s4, v7, v10 src0_sel:BYTE_0 src1_sel:DWORD
	v_and_b32_e32 v10, 0x10000, v6
	v_cndmask_b32_e64 v7, 0, v8, s4
	v_and_b32_sdwa v8, v8, v17 dst_sel:DWORD dst_unused:UNUSED_PAD src0_sel:WORD_1 src1_sel:DWORD
	v_cmp_ne_u32_e64 s4, 0, v10
	v_add_nc_u16 v6, v7, v6
	v_cndmask_b32_e64 v7, v8, 1, s4
.LBB1543_123:
	s_or_b32 exec_lo, exec_lo, s6
	ds_write_b16 v5, v6
	ds_write_b8 v5, v7 offset:2
.LBB1543_124:
	s_or_b32 exec_lo, exec_lo, s5
	v_mov_b32_e32 v6, 0
	v_mov_b32_e32 v5, v1
	s_mov_b32 s5, exec_lo
	s_waitcnt lgkmcnt(0)
	s_barrier
	buffer_gl0_inv
	v_cmpx_lt_u32_e32 31, v0
	s_cbranch_execz .LBB1543_126
; %bb.125:
	v_add_nc_u32_e32 v5, -2, v4
	v_add_nc_u32_e32 v4, -4, v4
	ds_read_u8 v6, v5
	ds_read_u16 v4, v4
	s_waitcnt lgkmcnt(1)
	v_cmp_eq_u32_e64 s4, 0, v6
	v_lshlrev_b32_e32 v6, 16, v6
	v_cndmask_b32_e64 v5, 0, v1, s4
	s_waitcnt lgkmcnt(0)
	v_add_nc_u16 v5, v5, v4
.LBB1543_126:
	s_or_b32 exec_lo, exec_lo, s5
	v_cmp_eq_u16_e64 s4, 0, v3
	v_and_b32_e32 v3, 1, v3
	v_cndmask_b32_e64 v4, 0, v5, s4
	v_sub_co_u32 v7, s4, v9, 1
	v_cmp_eq_u32_e64 s5, 1, v3
	v_add_nc_u16 v2, v4, v2
	v_cndmask_b32_e64 v3, v6, 0x10000, s5
	v_cmp_gt_i32_e64 s5, 0, v7
	v_or_b32_sdwa v2, v3, v2 dst_sel:DWORD dst_unused:UNUSED_PAD src0_sel:DWORD src1_sel:WORD_0
	v_cndmask_b32_e64 v4, v7, v9, s5
	v_lshlrev_b32_e32 v3, 2, v4
	ds_bpermute_b32 v2, v3, v2
	s_waitcnt lgkmcnt(0)
	v_cndmask_b32_e64 v5, v2, v5, s4
	v_and_b32_e32 v2, 0xff0000, v14
	v_cmp_eq_u32_e64 s4, 0, v0
	v_cmp_eq_u32_e64 s5, 0, v2
	v_cndmask_b32_e64 v3, v5, v1, s4
	v_cndmask_b32_e64 v2, 0, v3, s5
	v_add_nc_u16 v4, v2, v14
	v_cndmask_b32_e32 v2, 0, v4, vcc_lo
	v_add_nc_u16 v6, v2, v16
	v_cndmask_b32_e64 v2, 0, v6, s0
	v_add_nc_u16 v7, v2, v15
	v_cndmask_b32_e64 v2, 0, v7, s1
	;; [unrolled: 2-line block ×4, first 2 shown]
	s_and_saveexec_b32 s0, s4
	s_cbranch_execz .LBB1543_128
; %bb.127:
	v_mov_b32_e32 v3, 0
	ds_read_u8 v5, v3 offset:6
	ds_read_u16 v9, v3 offset:4
	s_waitcnt lgkmcnt(1)
	v_cmp_eq_u32_e32 vcc_lo, 0, v5
	v_lshlrev_b32_e32 v5, 16, v5
	v_cndmask_b32_e32 v10, 0, v1, vcc_lo
	s_waitcnt lgkmcnt(0)
	v_add_nc_u32_e32 v9, v10, v9
	v_mov_b32_e32 v10, 2
	v_or_b32_sdwa v9, v5, v9 dst_sel:DWORD dst_unused:UNUSED_PAD src0_sel:DWORD src1_sel:WORD_0
	v_mov_b32_e32 v5, v1
	global_store_dwordx2 v3, v[9:10], s[16:17] offset:256
.LBB1543_128:
	s_or_b32 exec_lo, exec_lo, s0
	v_add_nc_u16 v20, v2, v11
.LBB1543_129:
	s_add_u32 s0, s14, s8
	v_mov_b32_e32 v10, 0
	s_addc_u32 s1, s15, s9
	s_add_u32 s0, s0, s10
	s_addc_u32 s1, s1, s11
	s_and_b32 vcc_lo, exec_lo, s20
	s_cbranch_vccz .LBB1543_157
; %bb.130:
	v_mov_b32_e32 v1, 0
	v_mul_u32_u24_e32 v9, 7, v0
	s_add_i32 s19, s19, s18
	s_mov_b32 s2, exec_lo
	v_mov_b32_e32 v2, v1
	v_mov_b32_e32 v3, v1
	v_cmpx_gt_u32_e64 s19, v9
	s_cbranch_execz .LBB1543_144
; %bb.131:
	v_add_nc_u32_e32 v3, 1, v9
	v_and_b32_e32 v1, 0xffff, v5
	v_mov_b32_e32 v10, 0
	v_mov_b32_e32 v2, 0
	v_cmp_gt_u32_e32 vcc_lo, s19, v3
	v_mov_b32_e32 v3, 0
	s_and_saveexec_b32 s3, vcc_lo
	s_cbranch_execz .LBB1543_143
; %bb.132:
	v_add_nc_u32_e32 v10, 2, v9
	v_perm_b32 v1, v4, v1, 0x5040100
	v_mov_b32_e32 v3, 0
	v_mov_b32_e32 v2, 0
	v_cmp_gt_u32_e32 vcc_lo, s19, v10
	v_mov_b32_e32 v10, 0
	s_and_saveexec_b32 s4, vcc_lo
	s_cbranch_execz .LBB1543_142
; %bb.133:
	v_add_nc_u32_e32 v10, 3, v9
	v_bfi_b32 v2, 0xffff, v6, 0
	v_mov_b32_e32 v3, 0
	v_cmp_gt_u32_e32 vcc_lo, s19, v10
	v_mov_b32_e32 v10, 0
	s_and_saveexec_b32 s5, vcc_lo
	s_cbranch_execz .LBB1543_141
; %bb.134:
	v_add_nc_u32_e32 v10, 4, v9
	v_perm_b32 v2, v7, v2, 0x5040100
	v_mov_b32_e32 v3, 0
	v_cmp_gt_u32_e32 vcc_lo, s19, v10
	v_mov_b32_e32 v10, 0
	s_and_saveexec_b32 s6, vcc_lo
	s_cbranch_execz .LBB1543_140
; %bb.135:
	v_add_nc_u32_e32 v10, 5, v9
	v_bfi_b32 v3, 0xffff, v8, 0
	v_cmp_gt_u32_e32 vcc_lo, s19, v10
	v_mov_b32_e32 v10, 0
	s_and_saveexec_b32 s7, vcc_lo
	s_cbranch_execz .LBB1543_139
; %bb.136:
	v_add_nc_u32_e32 v10, 6, v9
	v_perm_b32 v3, v19, v3, 0x5040100
	v_cmp_gt_u32_e32 vcc_lo, s19, v10
	v_mov_b32_e32 v10, 0
	s_and_saveexec_b32 s8, vcc_lo
; %bb.137:
	v_mov_b32_e32 v10, v20
; %bb.138:
	s_or_b32 exec_lo, exec_lo, s8
.LBB1543_139:
	s_or_b32 exec_lo, exec_lo, s7
.LBB1543_140:
	s_or_b32 exec_lo, exec_lo, s6
.LBB1543_141:
	s_or_b32 exec_lo, exec_lo, s5
.LBB1543_142:
	s_or_b32 exec_lo, exec_lo, s4
.LBB1543_143:
	s_or_b32 exec_lo, exec_lo, s3
.LBB1543_144:
	s_or_b32 exec_lo, exec_lo, s2
	v_lshlrev_b32_e32 v13, 1, v9
	s_waitcnt_vscnt null, 0x0
	s_barrier
	buffer_gl0_inv
	ds_write_b96 v13, v[1:3]
	v_mad_i32_i24 v1, v0, -12, v13
	ds_write_b16 v13, v10 offset:12
	s_waitcnt lgkmcnt(0)
	s_barrier
	buffer_gl0_inv
	ds_read_u16 v14, v1 offset:128
	ds_read_u16 v12, v1 offset:256
	;; [unrolled: 1-line block ×6, first 2 shown]
	v_lshlrev_b32_e32 v1, 1, v0
	v_add_co_u32 v1, s2, s0, v1
	v_add_co_ci_u32_e64 v2, null, s1, 0, s2
	s_mov_b32 s2, exec_lo
	v_cmpx_gt_u32_e64 s19, v0
	s_cbranch_execz .LBB1543_146
; %bb.145:
	v_mul_i32_i24_e32 v15, -12, v0
	v_add_nc_u32_e32 v13, v13, v15
	ds_read_u16 v13, v13
	s_waitcnt lgkmcnt(0)
	flat_store_short v[1:2], v13
.LBB1543_146:
	s_or_b32 exec_lo, exec_lo, s2
	v_or_b32_e32 v13, 64, v0
	s_mov_b32 s2, exec_lo
	v_cmpx_gt_u32_e64 s19, v13
	s_cbranch_execz .LBB1543_148
; %bb.147:
	s_waitcnt lgkmcnt(5)
	flat_store_short v[1:2], v14 offset:128
.LBB1543_148:
	s_or_b32 exec_lo, exec_lo, s2
	v_or_b32_e32 v13, 0x80, v0
	s_mov_b32 s2, exec_lo
	v_cmpx_gt_u32_e64 s19, v13
	s_cbranch_execz .LBB1543_150
; %bb.149:
	s_waitcnt lgkmcnt(4)
	flat_store_short v[1:2], v12 offset:256
.LBB1543_150:
	s_or_b32 exec_lo, exec_lo, s2
	s_waitcnt lgkmcnt(4)
	v_or_b32_e32 v12, 0xc0, v0
	s_mov_b32 s2, exec_lo
	v_cmpx_gt_u32_e64 s19, v12
	s_cbranch_execz .LBB1543_152
; %bb.151:
	s_waitcnt lgkmcnt(3)
	flat_store_short v[1:2], v11 offset:384
.LBB1543_152:
	s_or_b32 exec_lo, exec_lo, s2
	s_waitcnt lgkmcnt(3)
	;; [unrolled: 10-line block ×3, first 2 shown]
	v_or_b32_e32 v10, 0x140, v0
	s_mov_b32 s2, exec_lo
	v_cmpx_gt_u32_e64 s19, v10
	s_cbranch_execz .LBB1543_156
; %bb.155:
	s_waitcnt lgkmcnt(1)
	flat_store_short v[1:2], v9 offset:640
.LBB1543_156:
	s_or_b32 exec_lo, exec_lo, s2
	v_or_b32_e32 v1, 0x180, v0
	v_cmp_gt_u32_e64 s2, s19, v1
	s_branch .LBB1543_159
.LBB1543_157:
	s_mov_b32 s2, 0
                                        ; implicit-def: $vgpr3
	s_cbranch_execz .LBB1543_159
; %bb.158:
	s_waitcnt lgkmcnt(1)
	v_mul_u32_u24_e32 v9, 14, v0
	s_waitcnt lgkmcnt(0)
	v_perm_b32 v3, v19, v8, 0x5040100
	v_perm_b32 v2, v7, v6, 0x5040100
	;; [unrolled: 1-line block ×3, first 2 shown]
	v_mul_i32_i24_e32 v4, -12, v0
	s_waitcnt_vscnt null, 0x0
	s_barrier
	buffer_gl0_inv
	ds_write_b96 v9, v[1:3]
	v_mad_u32_u24 v1, v0, 14, v4
	ds_write_b16 v9, v20 offset:12
	s_waitcnt lgkmcnt(0)
	s_barrier
	buffer_gl0_inv
	ds_read_u16 v4, v1
	ds_read_u16 v5, v1 offset:128
	ds_read_u16 v6, v1 offset:256
	;; [unrolled: 1-line block ×6, first 2 shown]
	v_lshlrev_b32_e32 v1, 1, v0
	s_or_b32 s2, s2, exec_lo
	v_add_co_u32 v1, s3, s0, v1
	v_add_co_ci_u32_e64 v2, null, s1, 0, s3
	s_waitcnt lgkmcnt(6)
	flat_store_short v[1:2], v4
	s_waitcnt lgkmcnt(6)
	flat_store_short v[1:2], v5 offset:128
	s_waitcnt lgkmcnt(6)
	flat_store_short v[1:2], v6 offset:256
	;; [unrolled: 2-line block ×5, first 2 shown]
.LBB1543_159:
	s_and_saveexec_b32 s3, s2
	s_cbranch_execnz .LBB1543_161
; %bb.160:
	s_endpgm
.LBB1543_161:
	v_lshlrev_b32_e32 v0, 1, v0
	v_add_co_u32 v0, s0, s0, v0
	v_add_co_ci_u32_e64 v1, null, s1, 0, s0
	s_waitcnt lgkmcnt(0)
	flat_store_short v[0:1], v3 offset:768
	s_endpgm
.LBB1543_162:
	v_add_co_u32 v2, s5, s27, v12
	v_add_co_ci_u32_e64 v3, null, s28, 0, s5
	v_mov_b32_e32 v13, v1
	v_mov_b32_e32 v14, v1
	v_mov_b32_e32 v15, v1
	v_mov_b32_e32 v16, v1
	flat_load_short_d16 v13, v[2:3]
	s_waitcnt vmcnt(0) lgkmcnt(0)
	v_mov_b32_e32 v1, v13
	v_mov_b32_e32 v2, v14
	;; [unrolled: 1-line block ×4, first 2 shown]
	s_or_b32 exec_lo, exec_lo, s7
	s_and_saveexec_b32 s5, s4
	s_cbranch_execz .LBB1543_19
.LBB1543_163:
	v_add_co_u32 v13, s4, s27, v12
	v_add_co_ci_u32_e64 v14, null, s28, 0, s4
	flat_load_short_d16_hi v1, v[13:14] offset:128
	s_or_b32 exec_lo, exec_lo, s5
	s_and_saveexec_b32 s4, s3
	s_cbranch_execz .LBB1543_20
.LBB1543_164:
	v_add_co_u32 v13, s3, s27, v12
	v_add_co_ci_u32_e64 v14, null, s28, 0, s3
	flat_load_short_d16 v2, v[13:14] offset:256
	s_or_b32 exec_lo, exec_lo, s4
	s_and_saveexec_b32 s3, s2
	s_cbranch_execz .LBB1543_21
.LBB1543_165:
	v_add_co_u32 v13, s2, s27, v12
	v_add_co_ci_u32_e64 v14, null, s28, 0, s2
	s_waitcnt vmcnt(0) lgkmcnt(0)
	flat_load_short_d16_hi v2, v[13:14] offset:384
	s_or_b32 exec_lo, exec_lo, s3
	s_and_saveexec_b32 s2, s1
	s_cbranch_execz .LBB1543_22
.LBB1543_166:
	v_add_co_u32 v13, s1, s27, v12
	v_add_co_ci_u32_e64 v14, null, s28, 0, s1
	flat_load_short_d16 v3, v[13:14] offset:512
	s_or_b32 exec_lo, exec_lo, s2
	s_and_saveexec_b32 s1, s0
	s_cbranch_execz .LBB1543_23
.LBB1543_167:
	v_add_co_u32 v13, s0, s27, v12
	v_add_co_ci_u32_e64 v14, null, s28, 0, s0
	s_waitcnt vmcnt(0) lgkmcnt(0)
	flat_load_short_d16_hi v3, v[13:14] offset:640
	s_or_b32 exec_lo, exec_lo, s1
	v_mul_u32_u24_e32 v23, 7, v0
	s_and_saveexec_b32 s0, vcc_lo
	s_cbranch_execnz .LBB1543_24
	s_branch .LBB1543_25
	.section	.rodata,"a",@progbits
	.p2align	6, 0x0
	.amdhsa_kernel _ZN7rocprim17ROCPRIM_400000_NS6detail17trampoline_kernelINS0_14default_configENS1_27scan_by_key_config_selectorIitEEZZNS1_16scan_by_key_implILNS1_25lookback_scan_determinismE0ELb1ES3_N6thrust23THRUST_200600_302600_NS6detail15normal_iteratorINS9_10device_ptrIiEEEENSB_INSC_ItEEEESG_tNS9_4plusIvEENS9_8equal_toIvEEtEE10hipError_tPvRmT2_T3_T4_T5_mT6_T7_P12ihipStream_tbENKUlT_T0_E_clISt17integral_constantIbLb0EES11_EEDaSW_SX_EUlSW_E_NS1_11comp_targetILNS1_3genE8ELNS1_11target_archE1030ELNS1_3gpuE2ELNS1_3repE0EEENS1_30default_config_static_selectorELNS0_4arch9wavefront6targetE0EEEvT1_
		.amdhsa_group_segment_fixed_size 2304
		.amdhsa_private_segment_fixed_size 0
		.amdhsa_kernarg_size 112
		.amdhsa_user_sgpr_count 6
		.amdhsa_user_sgpr_private_segment_buffer 1
		.amdhsa_user_sgpr_dispatch_ptr 0
		.amdhsa_user_sgpr_queue_ptr 0
		.amdhsa_user_sgpr_kernarg_segment_ptr 1
		.amdhsa_user_sgpr_dispatch_id 0
		.amdhsa_user_sgpr_flat_scratch_init 0
		.amdhsa_user_sgpr_private_segment_size 0
		.amdhsa_wavefront_size32 1
		.amdhsa_uses_dynamic_stack 0
		.amdhsa_system_sgpr_private_segment_wavefront_offset 0
		.amdhsa_system_sgpr_workgroup_id_x 1
		.amdhsa_system_sgpr_workgroup_id_y 0
		.amdhsa_system_sgpr_workgroup_id_z 0
		.amdhsa_system_sgpr_workgroup_info 0
		.amdhsa_system_vgpr_workitem_id 0
		.amdhsa_next_free_vgpr 38
		.amdhsa_next_free_sgpr 31
		.amdhsa_reserve_vcc 1
		.amdhsa_reserve_flat_scratch 1
		.amdhsa_float_round_mode_32 0
		.amdhsa_float_round_mode_16_64 0
		.amdhsa_float_denorm_mode_32 3
		.amdhsa_float_denorm_mode_16_64 3
		.amdhsa_dx10_clamp 1
		.amdhsa_ieee_mode 1
		.amdhsa_fp16_overflow 0
		.amdhsa_workgroup_processor_mode 1
		.amdhsa_memory_ordered 1
		.amdhsa_forward_progress 1
		.amdhsa_shared_vgpr_count 0
		.amdhsa_exception_fp_ieee_invalid_op 0
		.amdhsa_exception_fp_denorm_src 0
		.amdhsa_exception_fp_ieee_div_zero 0
		.amdhsa_exception_fp_ieee_overflow 0
		.amdhsa_exception_fp_ieee_underflow 0
		.amdhsa_exception_fp_ieee_inexact 0
		.amdhsa_exception_int_div_zero 0
	.end_amdhsa_kernel
	.section	.text._ZN7rocprim17ROCPRIM_400000_NS6detail17trampoline_kernelINS0_14default_configENS1_27scan_by_key_config_selectorIitEEZZNS1_16scan_by_key_implILNS1_25lookback_scan_determinismE0ELb1ES3_N6thrust23THRUST_200600_302600_NS6detail15normal_iteratorINS9_10device_ptrIiEEEENSB_INSC_ItEEEESG_tNS9_4plusIvEENS9_8equal_toIvEEtEE10hipError_tPvRmT2_T3_T4_T5_mT6_T7_P12ihipStream_tbENKUlT_T0_E_clISt17integral_constantIbLb0EES11_EEDaSW_SX_EUlSW_E_NS1_11comp_targetILNS1_3genE8ELNS1_11target_archE1030ELNS1_3gpuE2ELNS1_3repE0EEENS1_30default_config_static_selectorELNS0_4arch9wavefront6targetE0EEEvT1_,"axG",@progbits,_ZN7rocprim17ROCPRIM_400000_NS6detail17trampoline_kernelINS0_14default_configENS1_27scan_by_key_config_selectorIitEEZZNS1_16scan_by_key_implILNS1_25lookback_scan_determinismE0ELb1ES3_N6thrust23THRUST_200600_302600_NS6detail15normal_iteratorINS9_10device_ptrIiEEEENSB_INSC_ItEEEESG_tNS9_4plusIvEENS9_8equal_toIvEEtEE10hipError_tPvRmT2_T3_T4_T5_mT6_T7_P12ihipStream_tbENKUlT_T0_E_clISt17integral_constantIbLb0EES11_EEDaSW_SX_EUlSW_E_NS1_11comp_targetILNS1_3genE8ELNS1_11target_archE1030ELNS1_3gpuE2ELNS1_3repE0EEENS1_30default_config_static_selectorELNS0_4arch9wavefront6targetE0EEEvT1_,comdat
.Lfunc_end1543:
	.size	_ZN7rocprim17ROCPRIM_400000_NS6detail17trampoline_kernelINS0_14default_configENS1_27scan_by_key_config_selectorIitEEZZNS1_16scan_by_key_implILNS1_25lookback_scan_determinismE0ELb1ES3_N6thrust23THRUST_200600_302600_NS6detail15normal_iteratorINS9_10device_ptrIiEEEENSB_INSC_ItEEEESG_tNS9_4plusIvEENS9_8equal_toIvEEtEE10hipError_tPvRmT2_T3_T4_T5_mT6_T7_P12ihipStream_tbENKUlT_T0_E_clISt17integral_constantIbLb0EES11_EEDaSW_SX_EUlSW_E_NS1_11comp_targetILNS1_3genE8ELNS1_11target_archE1030ELNS1_3gpuE2ELNS1_3repE0EEENS1_30default_config_static_selectorELNS0_4arch9wavefront6targetE0EEEvT1_, .Lfunc_end1543-_ZN7rocprim17ROCPRIM_400000_NS6detail17trampoline_kernelINS0_14default_configENS1_27scan_by_key_config_selectorIitEEZZNS1_16scan_by_key_implILNS1_25lookback_scan_determinismE0ELb1ES3_N6thrust23THRUST_200600_302600_NS6detail15normal_iteratorINS9_10device_ptrIiEEEENSB_INSC_ItEEEESG_tNS9_4plusIvEENS9_8equal_toIvEEtEE10hipError_tPvRmT2_T3_T4_T5_mT6_T7_P12ihipStream_tbENKUlT_T0_E_clISt17integral_constantIbLb0EES11_EEDaSW_SX_EUlSW_E_NS1_11comp_targetILNS1_3genE8ELNS1_11target_archE1030ELNS1_3gpuE2ELNS1_3repE0EEENS1_30default_config_static_selectorELNS0_4arch9wavefront6targetE0EEEvT1_
                                        ; -- End function
	.set _ZN7rocprim17ROCPRIM_400000_NS6detail17trampoline_kernelINS0_14default_configENS1_27scan_by_key_config_selectorIitEEZZNS1_16scan_by_key_implILNS1_25lookback_scan_determinismE0ELb1ES3_N6thrust23THRUST_200600_302600_NS6detail15normal_iteratorINS9_10device_ptrIiEEEENSB_INSC_ItEEEESG_tNS9_4plusIvEENS9_8equal_toIvEEtEE10hipError_tPvRmT2_T3_T4_T5_mT6_T7_P12ihipStream_tbENKUlT_T0_E_clISt17integral_constantIbLb0EES11_EEDaSW_SX_EUlSW_E_NS1_11comp_targetILNS1_3genE8ELNS1_11target_archE1030ELNS1_3gpuE2ELNS1_3repE0EEENS1_30default_config_static_selectorELNS0_4arch9wavefront6targetE0EEEvT1_.num_vgpr, 38
	.set _ZN7rocprim17ROCPRIM_400000_NS6detail17trampoline_kernelINS0_14default_configENS1_27scan_by_key_config_selectorIitEEZZNS1_16scan_by_key_implILNS1_25lookback_scan_determinismE0ELb1ES3_N6thrust23THRUST_200600_302600_NS6detail15normal_iteratorINS9_10device_ptrIiEEEENSB_INSC_ItEEEESG_tNS9_4plusIvEENS9_8equal_toIvEEtEE10hipError_tPvRmT2_T3_T4_T5_mT6_T7_P12ihipStream_tbENKUlT_T0_E_clISt17integral_constantIbLb0EES11_EEDaSW_SX_EUlSW_E_NS1_11comp_targetILNS1_3genE8ELNS1_11target_archE1030ELNS1_3gpuE2ELNS1_3repE0EEENS1_30default_config_static_selectorELNS0_4arch9wavefront6targetE0EEEvT1_.num_agpr, 0
	.set _ZN7rocprim17ROCPRIM_400000_NS6detail17trampoline_kernelINS0_14default_configENS1_27scan_by_key_config_selectorIitEEZZNS1_16scan_by_key_implILNS1_25lookback_scan_determinismE0ELb1ES3_N6thrust23THRUST_200600_302600_NS6detail15normal_iteratorINS9_10device_ptrIiEEEENSB_INSC_ItEEEESG_tNS9_4plusIvEENS9_8equal_toIvEEtEE10hipError_tPvRmT2_T3_T4_T5_mT6_T7_P12ihipStream_tbENKUlT_T0_E_clISt17integral_constantIbLb0EES11_EEDaSW_SX_EUlSW_E_NS1_11comp_targetILNS1_3genE8ELNS1_11target_archE1030ELNS1_3gpuE2ELNS1_3repE0EEENS1_30default_config_static_selectorELNS0_4arch9wavefront6targetE0EEEvT1_.numbered_sgpr, 31
	.set _ZN7rocprim17ROCPRIM_400000_NS6detail17trampoline_kernelINS0_14default_configENS1_27scan_by_key_config_selectorIitEEZZNS1_16scan_by_key_implILNS1_25lookback_scan_determinismE0ELb1ES3_N6thrust23THRUST_200600_302600_NS6detail15normal_iteratorINS9_10device_ptrIiEEEENSB_INSC_ItEEEESG_tNS9_4plusIvEENS9_8equal_toIvEEtEE10hipError_tPvRmT2_T3_T4_T5_mT6_T7_P12ihipStream_tbENKUlT_T0_E_clISt17integral_constantIbLb0EES11_EEDaSW_SX_EUlSW_E_NS1_11comp_targetILNS1_3genE8ELNS1_11target_archE1030ELNS1_3gpuE2ELNS1_3repE0EEENS1_30default_config_static_selectorELNS0_4arch9wavefront6targetE0EEEvT1_.num_named_barrier, 0
	.set _ZN7rocprim17ROCPRIM_400000_NS6detail17trampoline_kernelINS0_14default_configENS1_27scan_by_key_config_selectorIitEEZZNS1_16scan_by_key_implILNS1_25lookback_scan_determinismE0ELb1ES3_N6thrust23THRUST_200600_302600_NS6detail15normal_iteratorINS9_10device_ptrIiEEEENSB_INSC_ItEEEESG_tNS9_4plusIvEENS9_8equal_toIvEEtEE10hipError_tPvRmT2_T3_T4_T5_mT6_T7_P12ihipStream_tbENKUlT_T0_E_clISt17integral_constantIbLb0EES11_EEDaSW_SX_EUlSW_E_NS1_11comp_targetILNS1_3genE8ELNS1_11target_archE1030ELNS1_3gpuE2ELNS1_3repE0EEENS1_30default_config_static_selectorELNS0_4arch9wavefront6targetE0EEEvT1_.private_seg_size, 0
	.set _ZN7rocprim17ROCPRIM_400000_NS6detail17trampoline_kernelINS0_14default_configENS1_27scan_by_key_config_selectorIitEEZZNS1_16scan_by_key_implILNS1_25lookback_scan_determinismE0ELb1ES3_N6thrust23THRUST_200600_302600_NS6detail15normal_iteratorINS9_10device_ptrIiEEEENSB_INSC_ItEEEESG_tNS9_4plusIvEENS9_8equal_toIvEEtEE10hipError_tPvRmT2_T3_T4_T5_mT6_T7_P12ihipStream_tbENKUlT_T0_E_clISt17integral_constantIbLb0EES11_EEDaSW_SX_EUlSW_E_NS1_11comp_targetILNS1_3genE8ELNS1_11target_archE1030ELNS1_3gpuE2ELNS1_3repE0EEENS1_30default_config_static_selectorELNS0_4arch9wavefront6targetE0EEEvT1_.uses_vcc, 1
	.set _ZN7rocprim17ROCPRIM_400000_NS6detail17trampoline_kernelINS0_14default_configENS1_27scan_by_key_config_selectorIitEEZZNS1_16scan_by_key_implILNS1_25lookback_scan_determinismE0ELb1ES3_N6thrust23THRUST_200600_302600_NS6detail15normal_iteratorINS9_10device_ptrIiEEEENSB_INSC_ItEEEESG_tNS9_4plusIvEENS9_8equal_toIvEEtEE10hipError_tPvRmT2_T3_T4_T5_mT6_T7_P12ihipStream_tbENKUlT_T0_E_clISt17integral_constantIbLb0EES11_EEDaSW_SX_EUlSW_E_NS1_11comp_targetILNS1_3genE8ELNS1_11target_archE1030ELNS1_3gpuE2ELNS1_3repE0EEENS1_30default_config_static_selectorELNS0_4arch9wavefront6targetE0EEEvT1_.uses_flat_scratch, 1
	.set _ZN7rocprim17ROCPRIM_400000_NS6detail17trampoline_kernelINS0_14default_configENS1_27scan_by_key_config_selectorIitEEZZNS1_16scan_by_key_implILNS1_25lookback_scan_determinismE0ELb1ES3_N6thrust23THRUST_200600_302600_NS6detail15normal_iteratorINS9_10device_ptrIiEEEENSB_INSC_ItEEEESG_tNS9_4plusIvEENS9_8equal_toIvEEtEE10hipError_tPvRmT2_T3_T4_T5_mT6_T7_P12ihipStream_tbENKUlT_T0_E_clISt17integral_constantIbLb0EES11_EEDaSW_SX_EUlSW_E_NS1_11comp_targetILNS1_3genE8ELNS1_11target_archE1030ELNS1_3gpuE2ELNS1_3repE0EEENS1_30default_config_static_selectorELNS0_4arch9wavefront6targetE0EEEvT1_.has_dyn_sized_stack, 0
	.set _ZN7rocprim17ROCPRIM_400000_NS6detail17trampoline_kernelINS0_14default_configENS1_27scan_by_key_config_selectorIitEEZZNS1_16scan_by_key_implILNS1_25lookback_scan_determinismE0ELb1ES3_N6thrust23THRUST_200600_302600_NS6detail15normal_iteratorINS9_10device_ptrIiEEEENSB_INSC_ItEEEESG_tNS9_4plusIvEENS9_8equal_toIvEEtEE10hipError_tPvRmT2_T3_T4_T5_mT6_T7_P12ihipStream_tbENKUlT_T0_E_clISt17integral_constantIbLb0EES11_EEDaSW_SX_EUlSW_E_NS1_11comp_targetILNS1_3genE8ELNS1_11target_archE1030ELNS1_3gpuE2ELNS1_3repE0EEENS1_30default_config_static_selectorELNS0_4arch9wavefront6targetE0EEEvT1_.has_recursion, 0
	.set _ZN7rocprim17ROCPRIM_400000_NS6detail17trampoline_kernelINS0_14default_configENS1_27scan_by_key_config_selectorIitEEZZNS1_16scan_by_key_implILNS1_25lookback_scan_determinismE0ELb1ES3_N6thrust23THRUST_200600_302600_NS6detail15normal_iteratorINS9_10device_ptrIiEEEENSB_INSC_ItEEEESG_tNS9_4plusIvEENS9_8equal_toIvEEtEE10hipError_tPvRmT2_T3_T4_T5_mT6_T7_P12ihipStream_tbENKUlT_T0_E_clISt17integral_constantIbLb0EES11_EEDaSW_SX_EUlSW_E_NS1_11comp_targetILNS1_3genE8ELNS1_11target_archE1030ELNS1_3gpuE2ELNS1_3repE0EEENS1_30default_config_static_selectorELNS0_4arch9wavefront6targetE0EEEvT1_.has_indirect_call, 0
	.section	.AMDGPU.csdata,"",@progbits
; Kernel info:
; codeLenInByte = 8012
; TotalNumSgprs: 33
; NumVgprs: 38
; ScratchSize: 0
; MemoryBound: 0
; FloatMode: 240
; IeeeMode: 1
; LDSByteSize: 2304 bytes/workgroup (compile time only)
; SGPRBlocks: 0
; VGPRBlocks: 4
; NumSGPRsForWavesPerEU: 33
; NumVGPRsForWavesPerEU: 38
; Occupancy: 16
; WaveLimiterHint : 1
; COMPUTE_PGM_RSRC2:SCRATCH_EN: 0
; COMPUTE_PGM_RSRC2:USER_SGPR: 6
; COMPUTE_PGM_RSRC2:TRAP_HANDLER: 0
; COMPUTE_PGM_RSRC2:TGID_X_EN: 1
; COMPUTE_PGM_RSRC2:TGID_Y_EN: 0
; COMPUTE_PGM_RSRC2:TGID_Z_EN: 0
; COMPUTE_PGM_RSRC2:TIDIG_COMP_CNT: 0
	.section	.text._ZN7rocprim17ROCPRIM_400000_NS6detail17trampoline_kernelINS0_14default_configENS1_27scan_by_key_config_selectorIitEEZZNS1_16scan_by_key_implILNS1_25lookback_scan_determinismE0ELb1ES3_N6thrust23THRUST_200600_302600_NS6detail15normal_iteratorINS9_10device_ptrIiEEEENSB_INSC_ItEEEESG_tNS9_4plusIvEENS9_8equal_toIvEEtEE10hipError_tPvRmT2_T3_T4_T5_mT6_T7_P12ihipStream_tbENKUlT_T0_E_clISt17integral_constantIbLb1EES11_EEDaSW_SX_EUlSW_E_NS1_11comp_targetILNS1_3genE0ELNS1_11target_archE4294967295ELNS1_3gpuE0ELNS1_3repE0EEENS1_30default_config_static_selectorELNS0_4arch9wavefront6targetE0EEEvT1_,"axG",@progbits,_ZN7rocprim17ROCPRIM_400000_NS6detail17trampoline_kernelINS0_14default_configENS1_27scan_by_key_config_selectorIitEEZZNS1_16scan_by_key_implILNS1_25lookback_scan_determinismE0ELb1ES3_N6thrust23THRUST_200600_302600_NS6detail15normal_iteratorINS9_10device_ptrIiEEEENSB_INSC_ItEEEESG_tNS9_4plusIvEENS9_8equal_toIvEEtEE10hipError_tPvRmT2_T3_T4_T5_mT6_T7_P12ihipStream_tbENKUlT_T0_E_clISt17integral_constantIbLb1EES11_EEDaSW_SX_EUlSW_E_NS1_11comp_targetILNS1_3genE0ELNS1_11target_archE4294967295ELNS1_3gpuE0ELNS1_3repE0EEENS1_30default_config_static_selectorELNS0_4arch9wavefront6targetE0EEEvT1_,comdat
	.protected	_ZN7rocprim17ROCPRIM_400000_NS6detail17trampoline_kernelINS0_14default_configENS1_27scan_by_key_config_selectorIitEEZZNS1_16scan_by_key_implILNS1_25lookback_scan_determinismE0ELb1ES3_N6thrust23THRUST_200600_302600_NS6detail15normal_iteratorINS9_10device_ptrIiEEEENSB_INSC_ItEEEESG_tNS9_4plusIvEENS9_8equal_toIvEEtEE10hipError_tPvRmT2_T3_T4_T5_mT6_T7_P12ihipStream_tbENKUlT_T0_E_clISt17integral_constantIbLb1EES11_EEDaSW_SX_EUlSW_E_NS1_11comp_targetILNS1_3genE0ELNS1_11target_archE4294967295ELNS1_3gpuE0ELNS1_3repE0EEENS1_30default_config_static_selectorELNS0_4arch9wavefront6targetE0EEEvT1_ ; -- Begin function _ZN7rocprim17ROCPRIM_400000_NS6detail17trampoline_kernelINS0_14default_configENS1_27scan_by_key_config_selectorIitEEZZNS1_16scan_by_key_implILNS1_25lookback_scan_determinismE0ELb1ES3_N6thrust23THRUST_200600_302600_NS6detail15normal_iteratorINS9_10device_ptrIiEEEENSB_INSC_ItEEEESG_tNS9_4plusIvEENS9_8equal_toIvEEtEE10hipError_tPvRmT2_T3_T4_T5_mT6_T7_P12ihipStream_tbENKUlT_T0_E_clISt17integral_constantIbLb1EES11_EEDaSW_SX_EUlSW_E_NS1_11comp_targetILNS1_3genE0ELNS1_11target_archE4294967295ELNS1_3gpuE0ELNS1_3repE0EEENS1_30default_config_static_selectorELNS0_4arch9wavefront6targetE0EEEvT1_
	.globl	_ZN7rocprim17ROCPRIM_400000_NS6detail17trampoline_kernelINS0_14default_configENS1_27scan_by_key_config_selectorIitEEZZNS1_16scan_by_key_implILNS1_25lookback_scan_determinismE0ELb1ES3_N6thrust23THRUST_200600_302600_NS6detail15normal_iteratorINS9_10device_ptrIiEEEENSB_INSC_ItEEEESG_tNS9_4plusIvEENS9_8equal_toIvEEtEE10hipError_tPvRmT2_T3_T4_T5_mT6_T7_P12ihipStream_tbENKUlT_T0_E_clISt17integral_constantIbLb1EES11_EEDaSW_SX_EUlSW_E_NS1_11comp_targetILNS1_3genE0ELNS1_11target_archE4294967295ELNS1_3gpuE0ELNS1_3repE0EEENS1_30default_config_static_selectorELNS0_4arch9wavefront6targetE0EEEvT1_
	.p2align	8
	.type	_ZN7rocprim17ROCPRIM_400000_NS6detail17trampoline_kernelINS0_14default_configENS1_27scan_by_key_config_selectorIitEEZZNS1_16scan_by_key_implILNS1_25lookback_scan_determinismE0ELb1ES3_N6thrust23THRUST_200600_302600_NS6detail15normal_iteratorINS9_10device_ptrIiEEEENSB_INSC_ItEEEESG_tNS9_4plusIvEENS9_8equal_toIvEEtEE10hipError_tPvRmT2_T3_T4_T5_mT6_T7_P12ihipStream_tbENKUlT_T0_E_clISt17integral_constantIbLb1EES11_EEDaSW_SX_EUlSW_E_NS1_11comp_targetILNS1_3genE0ELNS1_11target_archE4294967295ELNS1_3gpuE0ELNS1_3repE0EEENS1_30default_config_static_selectorELNS0_4arch9wavefront6targetE0EEEvT1_,@function
_ZN7rocprim17ROCPRIM_400000_NS6detail17trampoline_kernelINS0_14default_configENS1_27scan_by_key_config_selectorIitEEZZNS1_16scan_by_key_implILNS1_25lookback_scan_determinismE0ELb1ES3_N6thrust23THRUST_200600_302600_NS6detail15normal_iteratorINS9_10device_ptrIiEEEENSB_INSC_ItEEEESG_tNS9_4plusIvEENS9_8equal_toIvEEtEE10hipError_tPvRmT2_T3_T4_T5_mT6_T7_P12ihipStream_tbENKUlT_T0_E_clISt17integral_constantIbLb1EES11_EEDaSW_SX_EUlSW_E_NS1_11comp_targetILNS1_3genE0ELNS1_11target_archE4294967295ELNS1_3gpuE0ELNS1_3repE0EEENS1_30default_config_static_selectorELNS0_4arch9wavefront6targetE0EEEvT1_: ; @_ZN7rocprim17ROCPRIM_400000_NS6detail17trampoline_kernelINS0_14default_configENS1_27scan_by_key_config_selectorIitEEZZNS1_16scan_by_key_implILNS1_25lookback_scan_determinismE0ELb1ES3_N6thrust23THRUST_200600_302600_NS6detail15normal_iteratorINS9_10device_ptrIiEEEENSB_INSC_ItEEEESG_tNS9_4plusIvEENS9_8equal_toIvEEtEE10hipError_tPvRmT2_T3_T4_T5_mT6_T7_P12ihipStream_tbENKUlT_T0_E_clISt17integral_constantIbLb1EES11_EEDaSW_SX_EUlSW_E_NS1_11comp_targetILNS1_3genE0ELNS1_11target_archE4294967295ELNS1_3gpuE0ELNS1_3repE0EEENS1_30default_config_static_selectorELNS0_4arch9wavefront6targetE0EEEvT1_
; %bb.0:
	.section	.rodata,"a",@progbits
	.p2align	6, 0x0
	.amdhsa_kernel _ZN7rocprim17ROCPRIM_400000_NS6detail17trampoline_kernelINS0_14default_configENS1_27scan_by_key_config_selectorIitEEZZNS1_16scan_by_key_implILNS1_25lookback_scan_determinismE0ELb1ES3_N6thrust23THRUST_200600_302600_NS6detail15normal_iteratorINS9_10device_ptrIiEEEENSB_INSC_ItEEEESG_tNS9_4plusIvEENS9_8equal_toIvEEtEE10hipError_tPvRmT2_T3_T4_T5_mT6_T7_P12ihipStream_tbENKUlT_T0_E_clISt17integral_constantIbLb1EES11_EEDaSW_SX_EUlSW_E_NS1_11comp_targetILNS1_3genE0ELNS1_11target_archE4294967295ELNS1_3gpuE0ELNS1_3repE0EEENS1_30default_config_static_selectorELNS0_4arch9wavefront6targetE0EEEvT1_
		.amdhsa_group_segment_fixed_size 0
		.amdhsa_private_segment_fixed_size 0
		.amdhsa_kernarg_size 112
		.amdhsa_user_sgpr_count 6
		.amdhsa_user_sgpr_private_segment_buffer 1
		.amdhsa_user_sgpr_dispatch_ptr 0
		.amdhsa_user_sgpr_queue_ptr 0
		.amdhsa_user_sgpr_kernarg_segment_ptr 1
		.amdhsa_user_sgpr_dispatch_id 0
		.amdhsa_user_sgpr_flat_scratch_init 0
		.amdhsa_user_sgpr_private_segment_size 0
		.amdhsa_wavefront_size32 1
		.amdhsa_uses_dynamic_stack 0
		.amdhsa_system_sgpr_private_segment_wavefront_offset 0
		.amdhsa_system_sgpr_workgroup_id_x 1
		.amdhsa_system_sgpr_workgroup_id_y 0
		.amdhsa_system_sgpr_workgroup_id_z 0
		.amdhsa_system_sgpr_workgroup_info 0
		.amdhsa_system_vgpr_workitem_id 0
		.amdhsa_next_free_vgpr 1
		.amdhsa_next_free_sgpr 1
		.amdhsa_reserve_vcc 0
		.amdhsa_reserve_flat_scratch 0
		.amdhsa_float_round_mode_32 0
		.amdhsa_float_round_mode_16_64 0
		.amdhsa_float_denorm_mode_32 3
		.amdhsa_float_denorm_mode_16_64 3
		.amdhsa_dx10_clamp 1
		.amdhsa_ieee_mode 1
		.amdhsa_fp16_overflow 0
		.amdhsa_workgroup_processor_mode 1
		.amdhsa_memory_ordered 1
		.amdhsa_forward_progress 1
		.amdhsa_shared_vgpr_count 0
		.amdhsa_exception_fp_ieee_invalid_op 0
		.amdhsa_exception_fp_denorm_src 0
		.amdhsa_exception_fp_ieee_div_zero 0
		.amdhsa_exception_fp_ieee_overflow 0
		.amdhsa_exception_fp_ieee_underflow 0
		.amdhsa_exception_fp_ieee_inexact 0
		.amdhsa_exception_int_div_zero 0
	.end_amdhsa_kernel
	.section	.text._ZN7rocprim17ROCPRIM_400000_NS6detail17trampoline_kernelINS0_14default_configENS1_27scan_by_key_config_selectorIitEEZZNS1_16scan_by_key_implILNS1_25lookback_scan_determinismE0ELb1ES3_N6thrust23THRUST_200600_302600_NS6detail15normal_iteratorINS9_10device_ptrIiEEEENSB_INSC_ItEEEESG_tNS9_4plusIvEENS9_8equal_toIvEEtEE10hipError_tPvRmT2_T3_T4_T5_mT6_T7_P12ihipStream_tbENKUlT_T0_E_clISt17integral_constantIbLb1EES11_EEDaSW_SX_EUlSW_E_NS1_11comp_targetILNS1_3genE0ELNS1_11target_archE4294967295ELNS1_3gpuE0ELNS1_3repE0EEENS1_30default_config_static_selectorELNS0_4arch9wavefront6targetE0EEEvT1_,"axG",@progbits,_ZN7rocprim17ROCPRIM_400000_NS6detail17trampoline_kernelINS0_14default_configENS1_27scan_by_key_config_selectorIitEEZZNS1_16scan_by_key_implILNS1_25lookback_scan_determinismE0ELb1ES3_N6thrust23THRUST_200600_302600_NS6detail15normal_iteratorINS9_10device_ptrIiEEEENSB_INSC_ItEEEESG_tNS9_4plusIvEENS9_8equal_toIvEEtEE10hipError_tPvRmT2_T3_T4_T5_mT6_T7_P12ihipStream_tbENKUlT_T0_E_clISt17integral_constantIbLb1EES11_EEDaSW_SX_EUlSW_E_NS1_11comp_targetILNS1_3genE0ELNS1_11target_archE4294967295ELNS1_3gpuE0ELNS1_3repE0EEENS1_30default_config_static_selectorELNS0_4arch9wavefront6targetE0EEEvT1_,comdat
.Lfunc_end1544:
	.size	_ZN7rocprim17ROCPRIM_400000_NS6detail17trampoline_kernelINS0_14default_configENS1_27scan_by_key_config_selectorIitEEZZNS1_16scan_by_key_implILNS1_25lookback_scan_determinismE0ELb1ES3_N6thrust23THRUST_200600_302600_NS6detail15normal_iteratorINS9_10device_ptrIiEEEENSB_INSC_ItEEEESG_tNS9_4plusIvEENS9_8equal_toIvEEtEE10hipError_tPvRmT2_T3_T4_T5_mT6_T7_P12ihipStream_tbENKUlT_T0_E_clISt17integral_constantIbLb1EES11_EEDaSW_SX_EUlSW_E_NS1_11comp_targetILNS1_3genE0ELNS1_11target_archE4294967295ELNS1_3gpuE0ELNS1_3repE0EEENS1_30default_config_static_selectorELNS0_4arch9wavefront6targetE0EEEvT1_, .Lfunc_end1544-_ZN7rocprim17ROCPRIM_400000_NS6detail17trampoline_kernelINS0_14default_configENS1_27scan_by_key_config_selectorIitEEZZNS1_16scan_by_key_implILNS1_25lookback_scan_determinismE0ELb1ES3_N6thrust23THRUST_200600_302600_NS6detail15normal_iteratorINS9_10device_ptrIiEEEENSB_INSC_ItEEEESG_tNS9_4plusIvEENS9_8equal_toIvEEtEE10hipError_tPvRmT2_T3_T4_T5_mT6_T7_P12ihipStream_tbENKUlT_T0_E_clISt17integral_constantIbLb1EES11_EEDaSW_SX_EUlSW_E_NS1_11comp_targetILNS1_3genE0ELNS1_11target_archE4294967295ELNS1_3gpuE0ELNS1_3repE0EEENS1_30default_config_static_selectorELNS0_4arch9wavefront6targetE0EEEvT1_
                                        ; -- End function
	.set _ZN7rocprim17ROCPRIM_400000_NS6detail17trampoline_kernelINS0_14default_configENS1_27scan_by_key_config_selectorIitEEZZNS1_16scan_by_key_implILNS1_25lookback_scan_determinismE0ELb1ES3_N6thrust23THRUST_200600_302600_NS6detail15normal_iteratorINS9_10device_ptrIiEEEENSB_INSC_ItEEEESG_tNS9_4plusIvEENS9_8equal_toIvEEtEE10hipError_tPvRmT2_T3_T4_T5_mT6_T7_P12ihipStream_tbENKUlT_T0_E_clISt17integral_constantIbLb1EES11_EEDaSW_SX_EUlSW_E_NS1_11comp_targetILNS1_3genE0ELNS1_11target_archE4294967295ELNS1_3gpuE0ELNS1_3repE0EEENS1_30default_config_static_selectorELNS0_4arch9wavefront6targetE0EEEvT1_.num_vgpr, 0
	.set _ZN7rocprim17ROCPRIM_400000_NS6detail17trampoline_kernelINS0_14default_configENS1_27scan_by_key_config_selectorIitEEZZNS1_16scan_by_key_implILNS1_25lookback_scan_determinismE0ELb1ES3_N6thrust23THRUST_200600_302600_NS6detail15normal_iteratorINS9_10device_ptrIiEEEENSB_INSC_ItEEEESG_tNS9_4plusIvEENS9_8equal_toIvEEtEE10hipError_tPvRmT2_T3_T4_T5_mT6_T7_P12ihipStream_tbENKUlT_T0_E_clISt17integral_constantIbLb1EES11_EEDaSW_SX_EUlSW_E_NS1_11comp_targetILNS1_3genE0ELNS1_11target_archE4294967295ELNS1_3gpuE0ELNS1_3repE0EEENS1_30default_config_static_selectorELNS0_4arch9wavefront6targetE0EEEvT1_.num_agpr, 0
	.set _ZN7rocprim17ROCPRIM_400000_NS6detail17trampoline_kernelINS0_14default_configENS1_27scan_by_key_config_selectorIitEEZZNS1_16scan_by_key_implILNS1_25lookback_scan_determinismE0ELb1ES3_N6thrust23THRUST_200600_302600_NS6detail15normal_iteratorINS9_10device_ptrIiEEEENSB_INSC_ItEEEESG_tNS9_4plusIvEENS9_8equal_toIvEEtEE10hipError_tPvRmT2_T3_T4_T5_mT6_T7_P12ihipStream_tbENKUlT_T0_E_clISt17integral_constantIbLb1EES11_EEDaSW_SX_EUlSW_E_NS1_11comp_targetILNS1_3genE0ELNS1_11target_archE4294967295ELNS1_3gpuE0ELNS1_3repE0EEENS1_30default_config_static_selectorELNS0_4arch9wavefront6targetE0EEEvT1_.numbered_sgpr, 0
	.set _ZN7rocprim17ROCPRIM_400000_NS6detail17trampoline_kernelINS0_14default_configENS1_27scan_by_key_config_selectorIitEEZZNS1_16scan_by_key_implILNS1_25lookback_scan_determinismE0ELb1ES3_N6thrust23THRUST_200600_302600_NS6detail15normal_iteratorINS9_10device_ptrIiEEEENSB_INSC_ItEEEESG_tNS9_4plusIvEENS9_8equal_toIvEEtEE10hipError_tPvRmT2_T3_T4_T5_mT6_T7_P12ihipStream_tbENKUlT_T0_E_clISt17integral_constantIbLb1EES11_EEDaSW_SX_EUlSW_E_NS1_11comp_targetILNS1_3genE0ELNS1_11target_archE4294967295ELNS1_3gpuE0ELNS1_3repE0EEENS1_30default_config_static_selectorELNS0_4arch9wavefront6targetE0EEEvT1_.num_named_barrier, 0
	.set _ZN7rocprim17ROCPRIM_400000_NS6detail17trampoline_kernelINS0_14default_configENS1_27scan_by_key_config_selectorIitEEZZNS1_16scan_by_key_implILNS1_25lookback_scan_determinismE0ELb1ES3_N6thrust23THRUST_200600_302600_NS6detail15normal_iteratorINS9_10device_ptrIiEEEENSB_INSC_ItEEEESG_tNS9_4plusIvEENS9_8equal_toIvEEtEE10hipError_tPvRmT2_T3_T4_T5_mT6_T7_P12ihipStream_tbENKUlT_T0_E_clISt17integral_constantIbLb1EES11_EEDaSW_SX_EUlSW_E_NS1_11comp_targetILNS1_3genE0ELNS1_11target_archE4294967295ELNS1_3gpuE0ELNS1_3repE0EEENS1_30default_config_static_selectorELNS0_4arch9wavefront6targetE0EEEvT1_.private_seg_size, 0
	.set _ZN7rocprim17ROCPRIM_400000_NS6detail17trampoline_kernelINS0_14default_configENS1_27scan_by_key_config_selectorIitEEZZNS1_16scan_by_key_implILNS1_25lookback_scan_determinismE0ELb1ES3_N6thrust23THRUST_200600_302600_NS6detail15normal_iteratorINS9_10device_ptrIiEEEENSB_INSC_ItEEEESG_tNS9_4plusIvEENS9_8equal_toIvEEtEE10hipError_tPvRmT2_T3_T4_T5_mT6_T7_P12ihipStream_tbENKUlT_T0_E_clISt17integral_constantIbLb1EES11_EEDaSW_SX_EUlSW_E_NS1_11comp_targetILNS1_3genE0ELNS1_11target_archE4294967295ELNS1_3gpuE0ELNS1_3repE0EEENS1_30default_config_static_selectorELNS0_4arch9wavefront6targetE0EEEvT1_.uses_vcc, 0
	.set _ZN7rocprim17ROCPRIM_400000_NS6detail17trampoline_kernelINS0_14default_configENS1_27scan_by_key_config_selectorIitEEZZNS1_16scan_by_key_implILNS1_25lookback_scan_determinismE0ELb1ES3_N6thrust23THRUST_200600_302600_NS6detail15normal_iteratorINS9_10device_ptrIiEEEENSB_INSC_ItEEEESG_tNS9_4plusIvEENS9_8equal_toIvEEtEE10hipError_tPvRmT2_T3_T4_T5_mT6_T7_P12ihipStream_tbENKUlT_T0_E_clISt17integral_constantIbLb1EES11_EEDaSW_SX_EUlSW_E_NS1_11comp_targetILNS1_3genE0ELNS1_11target_archE4294967295ELNS1_3gpuE0ELNS1_3repE0EEENS1_30default_config_static_selectorELNS0_4arch9wavefront6targetE0EEEvT1_.uses_flat_scratch, 0
	.set _ZN7rocprim17ROCPRIM_400000_NS6detail17trampoline_kernelINS0_14default_configENS1_27scan_by_key_config_selectorIitEEZZNS1_16scan_by_key_implILNS1_25lookback_scan_determinismE0ELb1ES3_N6thrust23THRUST_200600_302600_NS6detail15normal_iteratorINS9_10device_ptrIiEEEENSB_INSC_ItEEEESG_tNS9_4plusIvEENS9_8equal_toIvEEtEE10hipError_tPvRmT2_T3_T4_T5_mT6_T7_P12ihipStream_tbENKUlT_T0_E_clISt17integral_constantIbLb1EES11_EEDaSW_SX_EUlSW_E_NS1_11comp_targetILNS1_3genE0ELNS1_11target_archE4294967295ELNS1_3gpuE0ELNS1_3repE0EEENS1_30default_config_static_selectorELNS0_4arch9wavefront6targetE0EEEvT1_.has_dyn_sized_stack, 0
	.set _ZN7rocprim17ROCPRIM_400000_NS6detail17trampoline_kernelINS0_14default_configENS1_27scan_by_key_config_selectorIitEEZZNS1_16scan_by_key_implILNS1_25lookback_scan_determinismE0ELb1ES3_N6thrust23THRUST_200600_302600_NS6detail15normal_iteratorINS9_10device_ptrIiEEEENSB_INSC_ItEEEESG_tNS9_4plusIvEENS9_8equal_toIvEEtEE10hipError_tPvRmT2_T3_T4_T5_mT6_T7_P12ihipStream_tbENKUlT_T0_E_clISt17integral_constantIbLb1EES11_EEDaSW_SX_EUlSW_E_NS1_11comp_targetILNS1_3genE0ELNS1_11target_archE4294967295ELNS1_3gpuE0ELNS1_3repE0EEENS1_30default_config_static_selectorELNS0_4arch9wavefront6targetE0EEEvT1_.has_recursion, 0
	.set _ZN7rocprim17ROCPRIM_400000_NS6detail17trampoline_kernelINS0_14default_configENS1_27scan_by_key_config_selectorIitEEZZNS1_16scan_by_key_implILNS1_25lookback_scan_determinismE0ELb1ES3_N6thrust23THRUST_200600_302600_NS6detail15normal_iteratorINS9_10device_ptrIiEEEENSB_INSC_ItEEEESG_tNS9_4plusIvEENS9_8equal_toIvEEtEE10hipError_tPvRmT2_T3_T4_T5_mT6_T7_P12ihipStream_tbENKUlT_T0_E_clISt17integral_constantIbLb1EES11_EEDaSW_SX_EUlSW_E_NS1_11comp_targetILNS1_3genE0ELNS1_11target_archE4294967295ELNS1_3gpuE0ELNS1_3repE0EEENS1_30default_config_static_selectorELNS0_4arch9wavefront6targetE0EEEvT1_.has_indirect_call, 0
	.section	.AMDGPU.csdata,"",@progbits
; Kernel info:
; codeLenInByte = 0
; TotalNumSgprs: 0
; NumVgprs: 0
; ScratchSize: 0
; MemoryBound: 0
; FloatMode: 240
; IeeeMode: 1
; LDSByteSize: 0 bytes/workgroup (compile time only)
; SGPRBlocks: 0
; VGPRBlocks: 0
; NumSGPRsForWavesPerEU: 1
; NumVGPRsForWavesPerEU: 1
; Occupancy: 16
; WaveLimiterHint : 0
; COMPUTE_PGM_RSRC2:SCRATCH_EN: 0
; COMPUTE_PGM_RSRC2:USER_SGPR: 6
; COMPUTE_PGM_RSRC2:TRAP_HANDLER: 0
; COMPUTE_PGM_RSRC2:TGID_X_EN: 1
; COMPUTE_PGM_RSRC2:TGID_Y_EN: 0
; COMPUTE_PGM_RSRC2:TGID_Z_EN: 0
; COMPUTE_PGM_RSRC2:TIDIG_COMP_CNT: 0
	.section	.text._ZN7rocprim17ROCPRIM_400000_NS6detail17trampoline_kernelINS0_14default_configENS1_27scan_by_key_config_selectorIitEEZZNS1_16scan_by_key_implILNS1_25lookback_scan_determinismE0ELb1ES3_N6thrust23THRUST_200600_302600_NS6detail15normal_iteratorINS9_10device_ptrIiEEEENSB_INSC_ItEEEESG_tNS9_4plusIvEENS9_8equal_toIvEEtEE10hipError_tPvRmT2_T3_T4_T5_mT6_T7_P12ihipStream_tbENKUlT_T0_E_clISt17integral_constantIbLb1EES11_EEDaSW_SX_EUlSW_E_NS1_11comp_targetILNS1_3genE10ELNS1_11target_archE1201ELNS1_3gpuE5ELNS1_3repE0EEENS1_30default_config_static_selectorELNS0_4arch9wavefront6targetE0EEEvT1_,"axG",@progbits,_ZN7rocprim17ROCPRIM_400000_NS6detail17trampoline_kernelINS0_14default_configENS1_27scan_by_key_config_selectorIitEEZZNS1_16scan_by_key_implILNS1_25lookback_scan_determinismE0ELb1ES3_N6thrust23THRUST_200600_302600_NS6detail15normal_iteratorINS9_10device_ptrIiEEEENSB_INSC_ItEEEESG_tNS9_4plusIvEENS9_8equal_toIvEEtEE10hipError_tPvRmT2_T3_T4_T5_mT6_T7_P12ihipStream_tbENKUlT_T0_E_clISt17integral_constantIbLb1EES11_EEDaSW_SX_EUlSW_E_NS1_11comp_targetILNS1_3genE10ELNS1_11target_archE1201ELNS1_3gpuE5ELNS1_3repE0EEENS1_30default_config_static_selectorELNS0_4arch9wavefront6targetE0EEEvT1_,comdat
	.protected	_ZN7rocprim17ROCPRIM_400000_NS6detail17trampoline_kernelINS0_14default_configENS1_27scan_by_key_config_selectorIitEEZZNS1_16scan_by_key_implILNS1_25lookback_scan_determinismE0ELb1ES3_N6thrust23THRUST_200600_302600_NS6detail15normal_iteratorINS9_10device_ptrIiEEEENSB_INSC_ItEEEESG_tNS9_4plusIvEENS9_8equal_toIvEEtEE10hipError_tPvRmT2_T3_T4_T5_mT6_T7_P12ihipStream_tbENKUlT_T0_E_clISt17integral_constantIbLb1EES11_EEDaSW_SX_EUlSW_E_NS1_11comp_targetILNS1_3genE10ELNS1_11target_archE1201ELNS1_3gpuE5ELNS1_3repE0EEENS1_30default_config_static_selectorELNS0_4arch9wavefront6targetE0EEEvT1_ ; -- Begin function _ZN7rocprim17ROCPRIM_400000_NS6detail17trampoline_kernelINS0_14default_configENS1_27scan_by_key_config_selectorIitEEZZNS1_16scan_by_key_implILNS1_25lookback_scan_determinismE0ELb1ES3_N6thrust23THRUST_200600_302600_NS6detail15normal_iteratorINS9_10device_ptrIiEEEENSB_INSC_ItEEEESG_tNS9_4plusIvEENS9_8equal_toIvEEtEE10hipError_tPvRmT2_T3_T4_T5_mT6_T7_P12ihipStream_tbENKUlT_T0_E_clISt17integral_constantIbLb1EES11_EEDaSW_SX_EUlSW_E_NS1_11comp_targetILNS1_3genE10ELNS1_11target_archE1201ELNS1_3gpuE5ELNS1_3repE0EEENS1_30default_config_static_selectorELNS0_4arch9wavefront6targetE0EEEvT1_
	.globl	_ZN7rocprim17ROCPRIM_400000_NS6detail17trampoline_kernelINS0_14default_configENS1_27scan_by_key_config_selectorIitEEZZNS1_16scan_by_key_implILNS1_25lookback_scan_determinismE0ELb1ES3_N6thrust23THRUST_200600_302600_NS6detail15normal_iteratorINS9_10device_ptrIiEEEENSB_INSC_ItEEEESG_tNS9_4plusIvEENS9_8equal_toIvEEtEE10hipError_tPvRmT2_T3_T4_T5_mT6_T7_P12ihipStream_tbENKUlT_T0_E_clISt17integral_constantIbLb1EES11_EEDaSW_SX_EUlSW_E_NS1_11comp_targetILNS1_3genE10ELNS1_11target_archE1201ELNS1_3gpuE5ELNS1_3repE0EEENS1_30default_config_static_selectorELNS0_4arch9wavefront6targetE0EEEvT1_
	.p2align	8
	.type	_ZN7rocprim17ROCPRIM_400000_NS6detail17trampoline_kernelINS0_14default_configENS1_27scan_by_key_config_selectorIitEEZZNS1_16scan_by_key_implILNS1_25lookback_scan_determinismE0ELb1ES3_N6thrust23THRUST_200600_302600_NS6detail15normal_iteratorINS9_10device_ptrIiEEEENSB_INSC_ItEEEESG_tNS9_4plusIvEENS9_8equal_toIvEEtEE10hipError_tPvRmT2_T3_T4_T5_mT6_T7_P12ihipStream_tbENKUlT_T0_E_clISt17integral_constantIbLb1EES11_EEDaSW_SX_EUlSW_E_NS1_11comp_targetILNS1_3genE10ELNS1_11target_archE1201ELNS1_3gpuE5ELNS1_3repE0EEENS1_30default_config_static_selectorELNS0_4arch9wavefront6targetE0EEEvT1_,@function
_ZN7rocprim17ROCPRIM_400000_NS6detail17trampoline_kernelINS0_14default_configENS1_27scan_by_key_config_selectorIitEEZZNS1_16scan_by_key_implILNS1_25lookback_scan_determinismE0ELb1ES3_N6thrust23THRUST_200600_302600_NS6detail15normal_iteratorINS9_10device_ptrIiEEEENSB_INSC_ItEEEESG_tNS9_4plusIvEENS9_8equal_toIvEEtEE10hipError_tPvRmT2_T3_T4_T5_mT6_T7_P12ihipStream_tbENKUlT_T0_E_clISt17integral_constantIbLb1EES11_EEDaSW_SX_EUlSW_E_NS1_11comp_targetILNS1_3genE10ELNS1_11target_archE1201ELNS1_3gpuE5ELNS1_3repE0EEENS1_30default_config_static_selectorELNS0_4arch9wavefront6targetE0EEEvT1_: ; @_ZN7rocprim17ROCPRIM_400000_NS6detail17trampoline_kernelINS0_14default_configENS1_27scan_by_key_config_selectorIitEEZZNS1_16scan_by_key_implILNS1_25lookback_scan_determinismE0ELb1ES3_N6thrust23THRUST_200600_302600_NS6detail15normal_iteratorINS9_10device_ptrIiEEEENSB_INSC_ItEEEESG_tNS9_4plusIvEENS9_8equal_toIvEEtEE10hipError_tPvRmT2_T3_T4_T5_mT6_T7_P12ihipStream_tbENKUlT_T0_E_clISt17integral_constantIbLb1EES11_EEDaSW_SX_EUlSW_E_NS1_11comp_targetILNS1_3genE10ELNS1_11target_archE1201ELNS1_3gpuE5ELNS1_3repE0EEENS1_30default_config_static_selectorELNS0_4arch9wavefront6targetE0EEEvT1_
; %bb.0:
	.section	.rodata,"a",@progbits
	.p2align	6, 0x0
	.amdhsa_kernel _ZN7rocprim17ROCPRIM_400000_NS6detail17trampoline_kernelINS0_14default_configENS1_27scan_by_key_config_selectorIitEEZZNS1_16scan_by_key_implILNS1_25lookback_scan_determinismE0ELb1ES3_N6thrust23THRUST_200600_302600_NS6detail15normal_iteratorINS9_10device_ptrIiEEEENSB_INSC_ItEEEESG_tNS9_4plusIvEENS9_8equal_toIvEEtEE10hipError_tPvRmT2_T3_T4_T5_mT6_T7_P12ihipStream_tbENKUlT_T0_E_clISt17integral_constantIbLb1EES11_EEDaSW_SX_EUlSW_E_NS1_11comp_targetILNS1_3genE10ELNS1_11target_archE1201ELNS1_3gpuE5ELNS1_3repE0EEENS1_30default_config_static_selectorELNS0_4arch9wavefront6targetE0EEEvT1_
		.amdhsa_group_segment_fixed_size 0
		.amdhsa_private_segment_fixed_size 0
		.amdhsa_kernarg_size 112
		.amdhsa_user_sgpr_count 6
		.amdhsa_user_sgpr_private_segment_buffer 1
		.amdhsa_user_sgpr_dispatch_ptr 0
		.amdhsa_user_sgpr_queue_ptr 0
		.amdhsa_user_sgpr_kernarg_segment_ptr 1
		.amdhsa_user_sgpr_dispatch_id 0
		.amdhsa_user_sgpr_flat_scratch_init 0
		.amdhsa_user_sgpr_private_segment_size 0
		.amdhsa_wavefront_size32 1
		.amdhsa_uses_dynamic_stack 0
		.amdhsa_system_sgpr_private_segment_wavefront_offset 0
		.amdhsa_system_sgpr_workgroup_id_x 1
		.amdhsa_system_sgpr_workgroup_id_y 0
		.amdhsa_system_sgpr_workgroup_id_z 0
		.amdhsa_system_sgpr_workgroup_info 0
		.amdhsa_system_vgpr_workitem_id 0
		.amdhsa_next_free_vgpr 1
		.amdhsa_next_free_sgpr 1
		.amdhsa_reserve_vcc 0
		.amdhsa_reserve_flat_scratch 0
		.amdhsa_float_round_mode_32 0
		.amdhsa_float_round_mode_16_64 0
		.amdhsa_float_denorm_mode_32 3
		.amdhsa_float_denorm_mode_16_64 3
		.amdhsa_dx10_clamp 1
		.amdhsa_ieee_mode 1
		.amdhsa_fp16_overflow 0
		.amdhsa_workgroup_processor_mode 1
		.amdhsa_memory_ordered 1
		.amdhsa_forward_progress 1
		.amdhsa_shared_vgpr_count 0
		.amdhsa_exception_fp_ieee_invalid_op 0
		.amdhsa_exception_fp_denorm_src 0
		.amdhsa_exception_fp_ieee_div_zero 0
		.amdhsa_exception_fp_ieee_overflow 0
		.amdhsa_exception_fp_ieee_underflow 0
		.amdhsa_exception_fp_ieee_inexact 0
		.amdhsa_exception_int_div_zero 0
	.end_amdhsa_kernel
	.section	.text._ZN7rocprim17ROCPRIM_400000_NS6detail17trampoline_kernelINS0_14default_configENS1_27scan_by_key_config_selectorIitEEZZNS1_16scan_by_key_implILNS1_25lookback_scan_determinismE0ELb1ES3_N6thrust23THRUST_200600_302600_NS6detail15normal_iteratorINS9_10device_ptrIiEEEENSB_INSC_ItEEEESG_tNS9_4plusIvEENS9_8equal_toIvEEtEE10hipError_tPvRmT2_T3_T4_T5_mT6_T7_P12ihipStream_tbENKUlT_T0_E_clISt17integral_constantIbLb1EES11_EEDaSW_SX_EUlSW_E_NS1_11comp_targetILNS1_3genE10ELNS1_11target_archE1201ELNS1_3gpuE5ELNS1_3repE0EEENS1_30default_config_static_selectorELNS0_4arch9wavefront6targetE0EEEvT1_,"axG",@progbits,_ZN7rocprim17ROCPRIM_400000_NS6detail17trampoline_kernelINS0_14default_configENS1_27scan_by_key_config_selectorIitEEZZNS1_16scan_by_key_implILNS1_25lookback_scan_determinismE0ELb1ES3_N6thrust23THRUST_200600_302600_NS6detail15normal_iteratorINS9_10device_ptrIiEEEENSB_INSC_ItEEEESG_tNS9_4plusIvEENS9_8equal_toIvEEtEE10hipError_tPvRmT2_T3_T4_T5_mT6_T7_P12ihipStream_tbENKUlT_T0_E_clISt17integral_constantIbLb1EES11_EEDaSW_SX_EUlSW_E_NS1_11comp_targetILNS1_3genE10ELNS1_11target_archE1201ELNS1_3gpuE5ELNS1_3repE0EEENS1_30default_config_static_selectorELNS0_4arch9wavefront6targetE0EEEvT1_,comdat
.Lfunc_end1545:
	.size	_ZN7rocprim17ROCPRIM_400000_NS6detail17trampoline_kernelINS0_14default_configENS1_27scan_by_key_config_selectorIitEEZZNS1_16scan_by_key_implILNS1_25lookback_scan_determinismE0ELb1ES3_N6thrust23THRUST_200600_302600_NS6detail15normal_iteratorINS9_10device_ptrIiEEEENSB_INSC_ItEEEESG_tNS9_4plusIvEENS9_8equal_toIvEEtEE10hipError_tPvRmT2_T3_T4_T5_mT6_T7_P12ihipStream_tbENKUlT_T0_E_clISt17integral_constantIbLb1EES11_EEDaSW_SX_EUlSW_E_NS1_11comp_targetILNS1_3genE10ELNS1_11target_archE1201ELNS1_3gpuE5ELNS1_3repE0EEENS1_30default_config_static_selectorELNS0_4arch9wavefront6targetE0EEEvT1_, .Lfunc_end1545-_ZN7rocprim17ROCPRIM_400000_NS6detail17trampoline_kernelINS0_14default_configENS1_27scan_by_key_config_selectorIitEEZZNS1_16scan_by_key_implILNS1_25lookback_scan_determinismE0ELb1ES3_N6thrust23THRUST_200600_302600_NS6detail15normal_iteratorINS9_10device_ptrIiEEEENSB_INSC_ItEEEESG_tNS9_4plusIvEENS9_8equal_toIvEEtEE10hipError_tPvRmT2_T3_T4_T5_mT6_T7_P12ihipStream_tbENKUlT_T0_E_clISt17integral_constantIbLb1EES11_EEDaSW_SX_EUlSW_E_NS1_11comp_targetILNS1_3genE10ELNS1_11target_archE1201ELNS1_3gpuE5ELNS1_3repE0EEENS1_30default_config_static_selectorELNS0_4arch9wavefront6targetE0EEEvT1_
                                        ; -- End function
	.set _ZN7rocprim17ROCPRIM_400000_NS6detail17trampoline_kernelINS0_14default_configENS1_27scan_by_key_config_selectorIitEEZZNS1_16scan_by_key_implILNS1_25lookback_scan_determinismE0ELb1ES3_N6thrust23THRUST_200600_302600_NS6detail15normal_iteratorINS9_10device_ptrIiEEEENSB_INSC_ItEEEESG_tNS9_4plusIvEENS9_8equal_toIvEEtEE10hipError_tPvRmT2_T3_T4_T5_mT6_T7_P12ihipStream_tbENKUlT_T0_E_clISt17integral_constantIbLb1EES11_EEDaSW_SX_EUlSW_E_NS1_11comp_targetILNS1_3genE10ELNS1_11target_archE1201ELNS1_3gpuE5ELNS1_3repE0EEENS1_30default_config_static_selectorELNS0_4arch9wavefront6targetE0EEEvT1_.num_vgpr, 0
	.set _ZN7rocprim17ROCPRIM_400000_NS6detail17trampoline_kernelINS0_14default_configENS1_27scan_by_key_config_selectorIitEEZZNS1_16scan_by_key_implILNS1_25lookback_scan_determinismE0ELb1ES3_N6thrust23THRUST_200600_302600_NS6detail15normal_iteratorINS9_10device_ptrIiEEEENSB_INSC_ItEEEESG_tNS9_4plusIvEENS9_8equal_toIvEEtEE10hipError_tPvRmT2_T3_T4_T5_mT6_T7_P12ihipStream_tbENKUlT_T0_E_clISt17integral_constantIbLb1EES11_EEDaSW_SX_EUlSW_E_NS1_11comp_targetILNS1_3genE10ELNS1_11target_archE1201ELNS1_3gpuE5ELNS1_3repE0EEENS1_30default_config_static_selectorELNS0_4arch9wavefront6targetE0EEEvT1_.num_agpr, 0
	.set _ZN7rocprim17ROCPRIM_400000_NS6detail17trampoline_kernelINS0_14default_configENS1_27scan_by_key_config_selectorIitEEZZNS1_16scan_by_key_implILNS1_25lookback_scan_determinismE0ELb1ES3_N6thrust23THRUST_200600_302600_NS6detail15normal_iteratorINS9_10device_ptrIiEEEENSB_INSC_ItEEEESG_tNS9_4plusIvEENS9_8equal_toIvEEtEE10hipError_tPvRmT2_T3_T4_T5_mT6_T7_P12ihipStream_tbENKUlT_T0_E_clISt17integral_constantIbLb1EES11_EEDaSW_SX_EUlSW_E_NS1_11comp_targetILNS1_3genE10ELNS1_11target_archE1201ELNS1_3gpuE5ELNS1_3repE0EEENS1_30default_config_static_selectorELNS0_4arch9wavefront6targetE0EEEvT1_.numbered_sgpr, 0
	.set _ZN7rocprim17ROCPRIM_400000_NS6detail17trampoline_kernelINS0_14default_configENS1_27scan_by_key_config_selectorIitEEZZNS1_16scan_by_key_implILNS1_25lookback_scan_determinismE0ELb1ES3_N6thrust23THRUST_200600_302600_NS6detail15normal_iteratorINS9_10device_ptrIiEEEENSB_INSC_ItEEEESG_tNS9_4plusIvEENS9_8equal_toIvEEtEE10hipError_tPvRmT2_T3_T4_T5_mT6_T7_P12ihipStream_tbENKUlT_T0_E_clISt17integral_constantIbLb1EES11_EEDaSW_SX_EUlSW_E_NS1_11comp_targetILNS1_3genE10ELNS1_11target_archE1201ELNS1_3gpuE5ELNS1_3repE0EEENS1_30default_config_static_selectorELNS0_4arch9wavefront6targetE0EEEvT1_.num_named_barrier, 0
	.set _ZN7rocprim17ROCPRIM_400000_NS6detail17trampoline_kernelINS0_14default_configENS1_27scan_by_key_config_selectorIitEEZZNS1_16scan_by_key_implILNS1_25lookback_scan_determinismE0ELb1ES3_N6thrust23THRUST_200600_302600_NS6detail15normal_iteratorINS9_10device_ptrIiEEEENSB_INSC_ItEEEESG_tNS9_4plusIvEENS9_8equal_toIvEEtEE10hipError_tPvRmT2_T3_T4_T5_mT6_T7_P12ihipStream_tbENKUlT_T0_E_clISt17integral_constantIbLb1EES11_EEDaSW_SX_EUlSW_E_NS1_11comp_targetILNS1_3genE10ELNS1_11target_archE1201ELNS1_3gpuE5ELNS1_3repE0EEENS1_30default_config_static_selectorELNS0_4arch9wavefront6targetE0EEEvT1_.private_seg_size, 0
	.set _ZN7rocprim17ROCPRIM_400000_NS6detail17trampoline_kernelINS0_14default_configENS1_27scan_by_key_config_selectorIitEEZZNS1_16scan_by_key_implILNS1_25lookback_scan_determinismE0ELb1ES3_N6thrust23THRUST_200600_302600_NS6detail15normal_iteratorINS9_10device_ptrIiEEEENSB_INSC_ItEEEESG_tNS9_4plusIvEENS9_8equal_toIvEEtEE10hipError_tPvRmT2_T3_T4_T5_mT6_T7_P12ihipStream_tbENKUlT_T0_E_clISt17integral_constantIbLb1EES11_EEDaSW_SX_EUlSW_E_NS1_11comp_targetILNS1_3genE10ELNS1_11target_archE1201ELNS1_3gpuE5ELNS1_3repE0EEENS1_30default_config_static_selectorELNS0_4arch9wavefront6targetE0EEEvT1_.uses_vcc, 0
	.set _ZN7rocprim17ROCPRIM_400000_NS6detail17trampoline_kernelINS0_14default_configENS1_27scan_by_key_config_selectorIitEEZZNS1_16scan_by_key_implILNS1_25lookback_scan_determinismE0ELb1ES3_N6thrust23THRUST_200600_302600_NS6detail15normal_iteratorINS9_10device_ptrIiEEEENSB_INSC_ItEEEESG_tNS9_4plusIvEENS9_8equal_toIvEEtEE10hipError_tPvRmT2_T3_T4_T5_mT6_T7_P12ihipStream_tbENKUlT_T0_E_clISt17integral_constantIbLb1EES11_EEDaSW_SX_EUlSW_E_NS1_11comp_targetILNS1_3genE10ELNS1_11target_archE1201ELNS1_3gpuE5ELNS1_3repE0EEENS1_30default_config_static_selectorELNS0_4arch9wavefront6targetE0EEEvT1_.uses_flat_scratch, 0
	.set _ZN7rocprim17ROCPRIM_400000_NS6detail17trampoline_kernelINS0_14default_configENS1_27scan_by_key_config_selectorIitEEZZNS1_16scan_by_key_implILNS1_25lookback_scan_determinismE0ELb1ES3_N6thrust23THRUST_200600_302600_NS6detail15normal_iteratorINS9_10device_ptrIiEEEENSB_INSC_ItEEEESG_tNS9_4plusIvEENS9_8equal_toIvEEtEE10hipError_tPvRmT2_T3_T4_T5_mT6_T7_P12ihipStream_tbENKUlT_T0_E_clISt17integral_constantIbLb1EES11_EEDaSW_SX_EUlSW_E_NS1_11comp_targetILNS1_3genE10ELNS1_11target_archE1201ELNS1_3gpuE5ELNS1_3repE0EEENS1_30default_config_static_selectorELNS0_4arch9wavefront6targetE0EEEvT1_.has_dyn_sized_stack, 0
	.set _ZN7rocprim17ROCPRIM_400000_NS6detail17trampoline_kernelINS0_14default_configENS1_27scan_by_key_config_selectorIitEEZZNS1_16scan_by_key_implILNS1_25lookback_scan_determinismE0ELb1ES3_N6thrust23THRUST_200600_302600_NS6detail15normal_iteratorINS9_10device_ptrIiEEEENSB_INSC_ItEEEESG_tNS9_4plusIvEENS9_8equal_toIvEEtEE10hipError_tPvRmT2_T3_T4_T5_mT6_T7_P12ihipStream_tbENKUlT_T0_E_clISt17integral_constantIbLb1EES11_EEDaSW_SX_EUlSW_E_NS1_11comp_targetILNS1_3genE10ELNS1_11target_archE1201ELNS1_3gpuE5ELNS1_3repE0EEENS1_30default_config_static_selectorELNS0_4arch9wavefront6targetE0EEEvT1_.has_recursion, 0
	.set _ZN7rocprim17ROCPRIM_400000_NS6detail17trampoline_kernelINS0_14default_configENS1_27scan_by_key_config_selectorIitEEZZNS1_16scan_by_key_implILNS1_25lookback_scan_determinismE0ELb1ES3_N6thrust23THRUST_200600_302600_NS6detail15normal_iteratorINS9_10device_ptrIiEEEENSB_INSC_ItEEEESG_tNS9_4plusIvEENS9_8equal_toIvEEtEE10hipError_tPvRmT2_T3_T4_T5_mT6_T7_P12ihipStream_tbENKUlT_T0_E_clISt17integral_constantIbLb1EES11_EEDaSW_SX_EUlSW_E_NS1_11comp_targetILNS1_3genE10ELNS1_11target_archE1201ELNS1_3gpuE5ELNS1_3repE0EEENS1_30default_config_static_selectorELNS0_4arch9wavefront6targetE0EEEvT1_.has_indirect_call, 0
	.section	.AMDGPU.csdata,"",@progbits
; Kernel info:
; codeLenInByte = 0
; TotalNumSgprs: 0
; NumVgprs: 0
; ScratchSize: 0
; MemoryBound: 0
; FloatMode: 240
; IeeeMode: 1
; LDSByteSize: 0 bytes/workgroup (compile time only)
; SGPRBlocks: 0
; VGPRBlocks: 0
; NumSGPRsForWavesPerEU: 1
; NumVGPRsForWavesPerEU: 1
; Occupancy: 16
; WaveLimiterHint : 0
; COMPUTE_PGM_RSRC2:SCRATCH_EN: 0
; COMPUTE_PGM_RSRC2:USER_SGPR: 6
; COMPUTE_PGM_RSRC2:TRAP_HANDLER: 0
; COMPUTE_PGM_RSRC2:TGID_X_EN: 1
; COMPUTE_PGM_RSRC2:TGID_Y_EN: 0
; COMPUTE_PGM_RSRC2:TGID_Z_EN: 0
; COMPUTE_PGM_RSRC2:TIDIG_COMP_CNT: 0
	.section	.text._ZN7rocprim17ROCPRIM_400000_NS6detail17trampoline_kernelINS0_14default_configENS1_27scan_by_key_config_selectorIitEEZZNS1_16scan_by_key_implILNS1_25lookback_scan_determinismE0ELb1ES3_N6thrust23THRUST_200600_302600_NS6detail15normal_iteratorINS9_10device_ptrIiEEEENSB_INSC_ItEEEESG_tNS9_4plusIvEENS9_8equal_toIvEEtEE10hipError_tPvRmT2_T3_T4_T5_mT6_T7_P12ihipStream_tbENKUlT_T0_E_clISt17integral_constantIbLb1EES11_EEDaSW_SX_EUlSW_E_NS1_11comp_targetILNS1_3genE5ELNS1_11target_archE942ELNS1_3gpuE9ELNS1_3repE0EEENS1_30default_config_static_selectorELNS0_4arch9wavefront6targetE0EEEvT1_,"axG",@progbits,_ZN7rocprim17ROCPRIM_400000_NS6detail17trampoline_kernelINS0_14default_configENS1_27scan_by_key_config_selectorIitEEZZNS1_16scan_by_key_implILNS1_25lookback_scan_determinismE0ELb1ES3_N6thrust23THRUST_200600_302600_NS6detail15normal_iteratorINS9_10device_ptrIiEEEENSB_INSC_ItEEEESG_tNS9_4plusIvEENS9_8equal_toIvEEtEE10hipError_tPvRmT2_T3_T4_T5_mT6_T7_P12ihipStream_tbENKUlT_T0_E_clISt17integral_constantIbLb1EES11_EEDaSW_SX_EUlSW_E_NS1_11comp_targetILNS1_3genE5ELNS1_11target_archE942ELNS1_3gpuE9ELNS1_3repE0EEENS1_30default_config_static_selectorELNS0_4arch9wavefront6targetE0EEEvT1_,comdat
	.protected	_ZN7rocprim17ROCPRIM_400000_NS6detail17trampoline_kernelINS0_14default_configENS1_27scan_by_key_config_selectorIitEEZZNS1_16scan_by_key_implILNS1_25lookback_scan_determinismE0ELb1ES3_N6thrust23THRUST_200600_302600_NS6detail15normal_iteratorINS9_10device_ptrIiEEEENSB_INSC_ItEEEESG_tNS9_4plusIvEENS9_8equal_toIvEEtEE10hipError_tPvRmT2_T3_T4_T5_mT6_T7_P12ihipStream_tbENKUlT_T0_E_clISt17integral_constantIbLb1EES11_EEDaSW_SX_EUlSW_E_NS1_11comp_targetILNS1_3genE5ELNS1_11target_archE942ELNS1_3gpuE9ELNS1_3repE0EEENS1_30default_config_static_selectorELNS0_4arch9wavefront6targetE0EEEvT1_ ; -- Begin function _ZN7rocprim17ROCPRIM_400000_NS6detail17trampoline_kernelINS0_14default_configENS1_27scan_by_key_config_selectorIitEEZZNS1_16scan_by_key_implILNS1_25lookback_scan_determinismE0ELb1ES3_N6thrust23THRUST_200600_302600_NS6detail15normal_iteratorINS9_10device_ptrIiEEEENSB_INSC_ItEEEESG_tNS9_4plusIvEENS9_8equal_toIvEEtEE10hipError_tPvRmT2_T3_T4_T5_mT6_T7_P12ihipStream_tbENKUlT_T0_E_clISt17integral_constantIbLb1EES11_EEDaSW_SX_EUlSW_E_NS1_11comp_targetILNS1_3genE5ELNS1_11target_archE942ELNS1_3gpuE9ELNS1_3repE0EEENS1_30default_config_static_selectorELNS0_4arch9wavefront6targetE0EEEvT1_
	.globl	_ZN7rocprim17ROCPRIM_400000_NS6detail17trampoline_kernelINS0_14default_configENS1_27scan_by_key_config_selectorIitEEZZNS1_16scan_by_key_implILNS1_25lookback_scan_determinismE0ELb1ES3_N6thrust23THRUST_200600_302600_NS6detail15normal_iteratorINS9_10device_ptrIiEEEENSB_INSC_ItEEEESG_tNS9_4plusIvEENS9_8equal_toIvEEtEE10hipError_tPvRmT2_T3_T4_T5_mT6_T7_P12ihipStream_tbENKUlT_T0_E_clISt17integral_constantIbLb1EES11_EEDaSW_SX_EUlSW_E_NS1_11comp_targetILNS1_3genE5ELNS1_11target_archE942ELNS1_3gpuE9ELNS1_3repE0EEENS1_30default_config_static_selectorELNS0_4arch9wavefront6targetE0EEEvT1_
	.p2align	8
	.type	_ZN7rocprim17ROCPRIM_400000_NS6detail17trampoline_kernelINS0_14default_configENS1_27scan_by_key_config_selectorIitEEZZNS1_16scan_by_key_implILNS1_25lookback_scan_determinismE0ELb1ES3_N6thrust23THRUST_200600_302600_NS6detail15normal_iteratorINS9_10device_ptrIiEEEENSB_INSC_ItEEEESG_tNS9_4plusIvEENS9_8equal_toIvEEtEE10hipError_tPvRmT2_T3_T4_T5_mT6_T7_P12ihipStream_tbENKUlT_T0_E_clISt17integral_constantIbLb1EES11_EEDaSW_SX_EUlSW_E_NS1_11comp_targetILNS1_3genE5ELNS1_11target_archE942ELNS1_3gpuE9ELNS1_3repE0EEENS1_30default_config_static_selectorELNS0_4arch9wavefront6targetE0EEEvT1_,@function
_ZN7rocprim17ROCPRIM_400000_NS6detail17trampoline_kernelINS0_14default_configENS1_27scan_by_key_config_selectorIitEEZZNS1_16scan_by_key_implILNS1_25lookback_scan_determinismE0ELb1ES3_N6thrust23THRUST_200600_302600_NS6detail15normal_iteratorINS9_10device_ptrIiEEEENSB_INSC_ItEEEESG_tNS9_4plusIvEENS9_8equal_toIvEEtEE10hipError_tPvRmT2_T3_T4_T5_mT6_T7_P12ihipStream_tbENKUlT_T0_E_clISt17integral_constantIbLb1EES11_EEDaSW_SX_EUlSW_E_NS1_11comp_targetILNS1_3genE5ELNS1_11target_archE942ELNS1_3gpuE9ELNS1_3repE0EEENS1_30default_config_static_selectorELNS0_4arch9wavefront6targetE0EEEvT1_: ; @_ZN7rocprim17ROCPRIM_400000_NS6detail17trampoline_kernelINS0_14default_configENS1_27scan_by_key_config_selectorIitEEZZNS1_16scan_by_key_implILNS1_25lookback_scan_determinismE0ELb1ES3_N6thrust23THRUST_200600_302600_NS6detail15normal_iteratorINS9_10device_ptrIiEEEENSB_INSC_ItEEEESG_tNS9_4plusIvEENS9_8equal_toIvEEtEE10hipError_tPvRmT2_T3_T4_T5_mT6_T7_P12ihipStream_tbENKUlT_T0_E_clISt17integral_constantIbLb1EES11_EEDaSW_SX_EUlSW_E_NS1_11comp_targetILNS1_3genE5ELNS1_11target_archE942ELNS1_3gpuE9ELNS1_3repE0EEENS1_30default_config_static_selectorELNS0_4arch9wavefront6targetE0EEEvT1_
; %bb.0:
	.section	.rodata,"a",@progbits
	.p2align	6, 0x0
	.amdhsa_kernel _ZN7rocprim17ROCPRIM_400000_NS6detail17trampoline_kernelINS0_14default_configENS1_27scan_by_key_config_selectorIitEEZZNS1_16scan_by_key_implILNS1_25lookback_scan_determinismE0ELb1ES3_N6thrust23THRUST_200600_302600_NS6detail15normal_iteratorINS9_10device_ptrIiEEEENSB_INSC_ItEEEESG_tNS9_4plusIvEENS9_8equal_toIvEEtEE10hipError_tPvRmT2_T3_T4_T5_mT6_T7_P12ihipStream_tbENKUlT_T0_E_clISt17integral_constantIbLb1EES11_EEDaSW_SX_EUlSW_E_NS1_11comp_targetILNS1_3genE5ELNS1_11target_archE942ELNS1_3gpuE9ELNS1_3repE0EEENS1_30default_config_static_selectorELNS0_4arch9wavefront6targetE0EEEvT1_
		.amdhsa_group_segment_fixed_size 0
		.amdhsa_private_segment_fixed_size 0
		.amdhsa_kernarg_size 112
		.amdhsa_user_sgpr_count 6
		.amdhsa_user_sgpr_private_segment_buffer 1
		.amdhsa_user_sgpr_dispatch_ptr 0
		.amdhsa_user_sgpr_queue_ptr 0
		.amdhsa_user_sgpr_kernarg_segment_ptr 1
		.amdhsa_user_sgpr_dispatch_id 0
		.amdhsa_user_sgpr_flat_scratch_init 0
		.amdhsa_user_sgpr_private_segment_size 0
		.amdhsa_wavefront_size32 1
		.amdhsa_uses_dynamic_stack 0
		.amdhsa_system_sgpr_private_segment_wavefront_offset 0
		.amdhsa_system_sgpr_workgroup_id_x 1
		.amdhsa_system_sgpr_workgroup_id_y 0
		.amdhsa_system_sgpr_workgroup_id_z 0
		.amdhsa_system_sgpr_workgroup_info 0
		.amdhsa_system_vgpr_workitem_id 0
		.amdhsa_next_free_vgpr 1
		.amdhsa_next_free_sgpr 1
		.amdhsa_reserve_vcc 0
		.amdhsa_reserve_flat_scratch 0
		.amdhsa_float_round_mode_32 0
		.amdhsa_float_round_mode_16_64 0
		.amdhsa_float_denorm_mode_32 3
		.amdhsa_float_denorm_mode_16_64 3
		.amdhsa_dx10_clamp 1
		.amdhsa_ieee_mode 1
		.amdhsa_fp16_overflow 0
		.amdhsa_workgroup_processor_mode 1
		.amdhsa_memory_ordered 1
		.amdhsa_forward_progress 1
		.amdhsa_shared_vgpr_count 0
		.amdhsa_exception_fp_ieee_invalid_op 0
		.amdhsa_exception_fp_denorm_src 0
		.amdhsa_exception_fp_ieee_div_zero 0
		.amdhsa_exception_fp_ieee_overflow 0
		.amdhsa_exception_fp_ieee_underflow 0
		.amdhsa_exception_fp_ieee_inexact 0
		.amdhsa_exception_int_div_zero 0
	.end_amdhsa_kernel
	.section	.text._ZN7rocprim17ROCPRIM_400000_NS6detail17trampoline_kernelINS0_14default_configENS1_27scan_by_key_config_selectorIitEEZZNS1_16scan_by_key_implILNS1_25lookback_scan_determinismE0ELb1ES3_N6thrust23THRUST_200600_302600_NS6detail15normal_iteratorINS9_10device_ptrIiEEEENSB_INSC_ItEEEESG_tNS9_4plusIvEENS9_8equal_toIvEEtEE10hipError_tPvRmT2_T3_T4_T5_mT6_T7_P12ihipStream_tbENKUlT_T0_E_clISt17integral_constantIbLb1EES11_EEDaSW_SX_EUlSW_E_NS1_11comp_targetILNS1_3genE5ELNS1_11target_archE942ELNS1_3gpuE9ELNS1_3repE0EEENS1_30default_config_static_selectorELNS0_4arch9wavefront6targetE0EEEvT1_,"axG",@progbits,_ZN7rocprim17ROCPRIM_400000_NS6detail17trampoline_kernelINS0_14default_configENS1_27scan_by_key_config_selectorIitEEZZNS1_16scan_by_key_implILNS1_25lookback_scan_determinismE0ELb1ES3_N6thrust23THRUST_200600_302600_NS6detail15normal_iteratorINS9_10device_ptrIiEEEENSB_INSC_ItEEEESG_tNS9_4plusIvEENS9_8equal_toIvEEtEE10hipError_tPvRmT2_T3_T4_T5_mT6_T7_P12ihipStream_tbENKUlT_T0_E_clISt17integral_constantIbLb1EES11_EEDaSW_SX_EUlSW_E_NS1_11comp_targetILNS1_3genE5ELNS1_11target_archE942ELNS1_3gpuE9ELNS1_3repE0EEENS1_30default_config_static_selectorELNS0_4arch9wavefront6targetE0EEEvT1_,comdat
.Lfunc_end1546:
	.size	_ZN7rocprim17ROCPRIM_400000_NS6detail17trampoline_kernelINS0_14default_configENS1_27scan_by_key_config_selectorIitEEZZNS1_16scan_by_key_implILNS1_25lookback_scan_determinismE0ELb1ES3_N6thrust23THRUST_200600_302600_NS6detail15normal_iteratorINS9_10device_ptrIiEEEENSB_INSC_ItEEEESG_tNS9_4plusIvEENS9_8equal_toIvEEtEE10hipError_tPvRmT2_T3_T4_T5_mT6_T7_P12ihipStream_tbENKUlT_T0_E_clISt17integral_constantIbLb1EES11_EEDaSW_SX_EUlSW_E_NS1_11comp_targetILNS1_3genE5ELNS1_11target_archE942ELNS1_3gpuE9ELNS1_3repE0EEENS1_30default_config_static_selectorELNS0_4arch9wavefront6targetE0EEEvT1_, .Lfunc_end1546-_ZN7rocprim17ROCPRIM_400000_NS6detail17trampoline_kernelINS0_14default_configENS1_27scan_by_key_config_selectorIitEEZZNS1_16scan_by_key_implILNS1_25lookback_scan_determinismE0ELb1ES3_N6thrust23THRUST_200600_302600_NS6detail15normal_iteratorINS9_10device_ptrIiEEEENSB_INSC_ItEEEESG_tNS9_4plusIvEENS9_8equal_toIvEEtEE10hipError_tPvRmT2_T3_T4_T5_mT6_T7_P12ihipStream_tbENKUlT_T0_E_clISt17integral_constantIbLb1EES11_EEDaSW_SX_EUlSW_E_NS1_11comp_targetILNS1_3genE5ELNS1_11target_archE942ELNS1_3gpuE9ELNS1_3repE0EEENS1_30default_config_static_selectorELNS0_4arch9wavefront6targetE0EEEvT1_
                                        ; -- End function
	.set _ZN7rocprim17ROCPRIM_400000_NS6detail17trampoline_kernelINS0_14default_configENS1_27scan_by_key_config_selectorIitEEZZNS1_16scan_by_key_implILNS1_25lookback_scan_determinismE0ELb1ES3_N6thrust23THRUST_200600_302600_NS6detail15normal_iteratorINS9_10device_ptrIiEEEENSB_INSC_ItEEEESG_tNS9_4plusIvEENS9_8equal_toIvEEtEE10hipError_tPvRmT2_T3_T4_T5_mT6_T7_P12ihipStream_tbENKUlT_T0_E_clISt17integral_constantIbLb1EES11_EEDaSW_SX_EUlSW_E_NS1_11comp_targetILNS1_3genE5ELNS1_11target_archE942ELNS1_3gpuE9ELNS1_3repE0EEENS1_30default_config_static_selectorELNS0_4arch9wavefront6targetE0EEEvT1_.num_vgpr, 0
	.set _ZN7rocprim17ROCPRIM_400000_NS6detail17trampoline_kernelINS0_14default_configENS1_27scan_by_key_config_selectorIitEEZZNS1_16scan_by_key_implILNS1_25lookback_scan_determinismE0ELb1ES3_N6thrust23THRUST_200600_302600_NS6detail15normal_iteratorINS9_10device_ptrIiEEEENSB_INSC_ItEEEESG_tNS9_4plusIvEENS9_8equal_toIvEEtEE10hipError_tPvRmT2_T3_T4_T5_mT6_T7_P12ihipStream_tbENKUlT_T0_E_clISt17integral_constantIbLb1EES11_EEDaSW_SX_EUlSW_E_NS1_11comp_targetILNS1_3genE5ELNS1_11target_archE942ELNS1_3gpuE9ELNS1_3repE0EEENS1_30default_config_static_selectorELNS0_4arch9wavefront6targetE0EEEvT1_.num_agpr, 0
	.set _ZN7rocprim17ROCPRIM_400000_NS6detail17trampoline_kernelINS0_14default_configENS1_27scan_by_key_config_selectorIitEEZZNS1_16scan_by_key_implILNS1_25lookback_scan_determinismE0ELb1ES3_N6thrust23THRUST_200600_302600_NS6detail15normal_iteratorINS9_10device_ptrIiEEEENSB_INSC_ItEEEESG_tNS9_4plusIvEENS9_8equal_toIvEEtEE10hipError_tPvRmT2_T3_T4_T5_mT6_T7_P12ihipStream_tbENKUlT_T0_E_clISt17integral_constantIbLb1EES11_EEDaSW_SX_EUlSW_E_NS1_11comp_targetILNS1_3genE5ELNS1_11target_archE942ELNS1_3gpuE9ELNS1_3repE0EEENS1_30default_config_static_selectorELNS0_4arch9wavefront6targetE0EEEvT1_.numbered_sgpr, 0
	.set _ZN7rocprim17ROCPRIM_400000_NS6detail17trampoline_kernelINS0_14default_configENS1_27scan_by_key_config_selectorIitEEZZNS1_16scan_by_key_implILNS1_25lookback_scan_determinismE0ELb1ES3_N6thrust23THRUST_200600_302600_NS6detail15normal_iteratorINS9_10device_ptrIiEEEENSB_INSC_ItEEEESG_tNS9_4plusIvEENS9_8equal_toIvEEtEE10hipError_tPvRmT2_T3_T4_T5_mT6_T7_P12ihipStream_tbENKUlT_T0_E_clISt17integral_constantIbLb1EES11_EEDaSW_SX_EUlSW_E_NS1_11comp_targetILNS1_3genE5ELNS1_11target_archE942ELNS1_3gpuE9ELNS1_3repE0EEENS1_30default_config_static_selectorELNS0_4arch9wavefront6targetE0EEEvT1_.num_named_barrier, 0
	.set _ZN7rocprim17ROCPRIM_400000_NS6detail17trampoline_kernelINS0_14default_configENS1_27scan_by_key_config_selectorIitEEZZNS1_16scan_by_key_implILNS1_25lookback_scan_determinismE0ELb1ES3_N6thrust23THRUST_200600_302600_NS6detail15normal_iteratorINS9_10device_ptrIiEEEENSB_INSC_ItEEEESG_tNS9_4plusIvEENS9_8equal_toIvEEtEE10hipError_tPvRmT2_T3_T4_T5_mT6_T7_P12ihipStream_tbENKUlT_T0_E_clISt17integral_constantIbLb1EES11_EEDaSW_SX_EUlSW_E_NS1_11comp_targetILNS1_3genE5ELNS1_11target_archE942ELNS1_3gpuE9ELNS1_3repE0EEENS1_30default_config_static_selectorELNS0_4arch9wavefront6targetE0EEEvT1_.private_seg_size, 0
	.set _ZN7rocprim17ROCPRIM_400000_NS6detail17trampoline_kernelINS0_14default_configENS1_27scan_by_key_config_selectorIitEEZZNS1_16scan_by_key_implILNS1_25lookback_scan_determinismE0ELb1ES3_N6thrust23THRUST_200600_302600_NS6detail15normal_iteratorINS9_10device_ptrIiEEEENSB_INSC_ItEEEESG_tNS9_4plusIvEENS9_8equal_toIvEEtEE10hipError_tPvRmT2_T3_T4_T5_mT6_T7_P12ihipStream_tbENKUlT_T0_E_clISt17integral_constantIbLb1EES11_EEDaSW_SX_EUlSW_E_NS1_11comp_targetILNS1_3genE5ELNS1_11target_archE942ELNS1_3gpuE9ELNS1_3repE0EEENS1_30default_config_static_selectorELNS0_4arch9wavefront6targetE0EEEvT1_.uses_vcc, 0
	.set _ZN7rocprim17ROCPRIM_400000_NS6detail17trampoline_kernelINS0_14default_configENS1_27scan_by_key_config_selectorIitEEZZNS1_16scan_by_key_implILNS1_25lookback_scan_determinismE0ELb1ES3_N6thrust23THRUST_200600_302600_NS6detail15normal_iteratorINS9_10device_ptrIiEEEENSB_INSC_ItEEEESG_tNS9_4plusIvEENS9_8equal_toIvEEtEE10hipError_tPvRmT2_T3_T4_T5_mT6_T7_P12ihipStream_tbENKUlT_T0_E_clISt17integral_constantIbLb1EES11_EEDaSW_SX_EUlSW_E_NS1_11comp_targetILNS1_3genE5ELNS1_11target_archE942ELNS1_3gpuE9ELNS1_3repE0EEENS1_30default_config_static_selectorELNS0_4arch9wavefront6targetE0EEEvT1_.uses_flat_scratch, 0
	.set _ZN7rocprim17ROCPRIM_400000_NS6detail17trampoline_kernelINS0_14default_configENS1_27scan_by_key_config_selectorIitEEZZNS1_16scan_by_key_implILNS1_25lookback_scan_determinismE0ELb1ES3_N6thrust23THRUST_200600_302600_NS6detail15normal_iteratorINS9_10device_ptrIiEEEENSB_INSC_ItEEEESG_tNS9_4plusIvEENS9_8equal_toIvEEtEE10hipError_tPvRmT2_T3_T4_T5_mT6_T7_P12ihipStream_tbENKUlT_T0_E_clISt17integral_constantIbLb1EES11_EEDaSW_SX_EUlSW_E_NS1_11comp_targetILNS1_3genE5ELNS1_11target_archE942ELNS1_3gpuE9ELNS1_3repE0EEENS1_30default_config_static_selectorELNS0_4arch9wavefront6targetE0EEEvT1_.has_dyn_sized_stack, 0
	.set _ZN7rocprim17ROCPRIM_400000_NS6detail17trampoline_kernelINS0_14default_configENS1_27scan_by_key_config_selectorIitEEZZNS1_16scan_by_key_implILNS1_25lookback_scan_determinismE0ELb1ES3_N6thrust23THRUST_200600_302600_NS6detail15normal_iteratorINS9_10device_ptrIiEEEENSB_INSC_ItEEEESG_tNS9_4plusIvEENS9_8equal_toIvEEtEE10hipError_tPvRmT2_T3_T4_T5_mT6_T7_P12ihipStream_tbENKUlT_T0_E_clISt17integral_constantIbLb1EES11_EEDaSW_SX_EUlSW_E_NS1_11comp_targetILNS1_3genE5ELNS1_11target_archE942ELNS1_3gpuE9ELNS1_3repE0EEENS1_30default_config_static_selectorELNS0_4arch9wavefront6targetE0EEEvT1_.has_recursion, 0
	.set _ZN7rocprim17ROCPRIM_400000_NS6detail17trampoline_kernelINS0_14default_configENS1_27scan_by_key_config_selectorIitEEZZNS1_16scan_by_key_implILNS1_25lookback_scan_determinismE0ELb1ES3_N6thrust23THRUST_200600_302600_NS6detail15normal_iteratorINS9_10device_ptrIiEEEENSB_INSC_ItEEEESG_tNS9_4plusIvEENS9_8equal_toIvEEtEE10hipError_tPvRmT2_T3_T4_T5_mT6_T7_P12ihipStream_tbENKUlT_T0_E_clISt17integral_constantIbLb1EES11_EEDaSW_SX_EUlSW_E_NS1_11comp_targetILNS1_3genE5ELNS1_11target_archE942ELNS1_3gpuE9ELNS1_3repE0EEENS1_30default_config_static_selectorELNS0_4arch9wavefront6targetE0EEEvT1_.has_indirect_call, 0
	.section	.AMDGPU.csdata,"",@progbits
; Kernel info:
; codeLenInByte = 0
; TotalNumSgprs: 0
; NumVgprs: 0
; ScratchSize: 0
; MemoryBound: 0
; FloatMode: 240
; IeeeMode: 1
; LDSByteSize: 0 bytes/workgroup (compile time only)
; SGPRBlocks: 0
; VGPRBlocks: 0
; NumSGPRsForWavesPerEU: 1
; NumVGPRsForWavesPerEU: 1
; Occupancy: 16
; WaveLimiterHint : 0
; COMPUTE_PGM_RSRC2:SCRATCH_EN: 0
; COMPUTE_PGM_RSRC2:USER_SGPR: 6
; COMPUTE_PGM_RSRC2:TRAP_HANDLER: 0
; COMPUTE_PGM_RSRC2:TGID_X_EN: 1
; COMPUTE_PGM_RSRC2:TGID_Y_EN: 0
; COMPUTE_PGM_RSRC2:TGID_Z_EN: 0
; COMPUTE_PGM_RSRC2:TIDIG_COMP_CNT: 0
	.section	.text._ZN7rocprim17ROCPRIM_400000_NS6detail17trampoline_kernelINS0_14default_configENS1_27scan_by_key_config_selectorIitEEZZNS1_16scan_by_key_implILNS1_25lookback_scan_determinismE0ELb1ES3_N6thrust23THRUST_200600_302600_NS6detail15normal_iteratorINS9_10device_ptrIiEEEENSB_INSC_ItEEEESG_tNS9_4plusIvEENS9_8equal_toIvEEtEE10hipError_tPvRmT2_T3_T4_T5_mT6_T7_P12ihipStream_tbENKUlT_T0_E_clISt17integral_constantIbLb1EES11_EEDaSW_SX_EUlSW_E_NS1_11comp_targetILNS1_3genE4ELNS1_11target_archE910ELNS1_3gpuE8ELNS1_3repE0EEENS1_30default_config_static_selectorELNS0_4arch9wavefront6targetE0EEEvT1_,"axG",@progbits,_ZN7rocprim17ROCPRIM_400000_NS6detail17trampoline_kernelINS0_14default_configENS1_27scan_by_key_config_selectorIitEEZZNS1_16scan_by_key_implILNS1_25lookback_scan_determinismE0ELb1ES3_N6thrust23THRUST_200600_302600_NS6detail15normal_iteratorINS9_10device_ptrIiEEEENSB_INSC_ItEEEESG_tNS9_4plusIvEENS9_8equal_toIvEEtEE10hipError_tPvRmT2_T3_T4_T5_mT6_T7_P12ihipStream_tbENKUlT_T0_E_clISt17integral_constantIbLb1EES11_EEDaSW_SX_EUlSW_E_NS1_11comp_targetILNS1_3genE4ELNS1_11target_archE910ELNS1_3gpuE8ELNS1_3repE0EEENS1_30default_config_static_selectorELNS0_4arch9wavefront6targetE0EEEvT1_,comdat
	.protected	_ZN7rocprim17ROCPRIM_400000_NS6detail17trampoline_kernelINS0_14default_configENS1_27scan_by_key_config_selectorIitEEZZNS1_16scan_by_key_implILNS1_25lookback_scan_determinismE0ELb1ES3_N6thrust23THRUST_200600_302600_NS6detail15normal_iteratorINS9_10device_ptrIiEEEENSB_INSC_ItEEEESG_tNS9_4plusIvEENS9_8equal_toIvEEtEE10hipError_tPvRmT2_T3_T4_T5_mT6_T7_P12ihipStream_tbENKUlT_T0_E_clISt17integral_constantIbLb1EES11_EEDaSW_SX_EUlSW_E_NS1_11comp_targetILNS1_3genE4ELNS1_11target_archE910ELNS1_3gpuE8ELNS1_3repE0EEENS1_30default_config_static_selectorELNS0_4arch9wavefront6targetE0EEEvT1_ ; -- Begin function _ZN7rocprim17ROCPRIM_400000_NS6detail17trampoline_kernelINS0_14default_configENS1_27scan_by_key_config_selectorIitEEZZNS1_16scan_by_key_implILNS1_25lookback_scan_determinismE0ELb1ES3_N6thrust23THRUST_200600_302600_NS6detail15normal_iteratorINS9_10device_ptrIiEEEENSB_INSC_ItEEEESG_tNS9_4plusIvEENS9_8equal_toIvEEtEE10hipError_tPvRmT2_T3_T4_T5_mT6_T7_P12ihipStream_tbENKUlT_T0_E_clISt17integral_constantIbLb1EES11_EEDaSW_SX_EUlSW_E_NS1_11comp_targetILNS1_3genE4ELNS1_11target_archE910ELNS1_3gpuE8ELNS1_3repE0EEENS1_30default_config_static_selectorELNS0_4arch9wavefront6targetE0EEEvT1_
	.globl	_ZN7rocprim17ROCPRIM_400000_NS6detail17trampoline_kernelINS0_14default_configENS1_27scan_by_key_config_selectorIitEEZZNS1_16scan_by_key_implILNS1_25lookback_scan_determinismE0ELb1ES3_N6thrust23THRUST_200600_302600_NS6detail15normal_iteratorINS9_10device_ptrIiEEEENSB_INSC_ItEEEESG_tNS9_4plusIvEENS9_8equal_toIvEEtEE10hipError_tPvRmT2_T3_T4_T5_mT6_T7_P12ihipStream_tbENKUlT_T0_E_clISt17integral_constantIbLb1EES11_EEDaSW_SX_EUlSW_E_NS1_11comp_targetILNS1_3genE4ELNS1_11target_archE910ELNS1_3gpuE8ELNS1_3repE0EEENS1_30default_config_static_selectorELNS0_4arch9wavefront6targetE0EEEvT1_
	.p2align	8
	.type	_ZN7rocprim17ROCPRIM_400000_NS6detail17trampoline_kernelINS0_14default_configENS1_27scan_by_key_config_selectorIitEEZZNS1_16scan_by_key_implILNS1_25lookback_scan_determinismE0ELb1ES3_N6thrust23THRUST_200600_302600_NS6detail15normal_iteratorINS9_10device_ptrIiEEEENSB_INSC_ItEEEESG_tNS9_4plusIvEENS9_8equal_toIvEEtEE10hipError_tPvRmT2_T3_T4_T5_mT6_T7_P12ihipStream_tbENKUlT_T0_E_clISt17integral_constantIbLb1EES11_EEDaSW_SX_EUlSW_E_NS1_11comp_targetILNS1_3genE4ELNS1_11target_archE910ELNS1_3gpuE8ELNS1_3repE0EEENS1_30default_config_static_selectorELNS0_4arch9wavefront6targetE0EEEvT1_,@function
_ZN7rocprim17ROCPRIM_400000_NS6detail17trampoline_kernelINS0_14default_configENS1_27scan_by_key_config_selectorIitEEZZNS1_16scan_by_key_implILNS1_25lookback_scan_determinismE0ELb1ES3_N6thrust23THRUST_200600_302600_NS6detail15normal_iteratorINS9_10device_ptrIiEEEENSB_INSC_ItEEEESG_tNS9_4plusIvEENS9_8equal_toIvEEtEE10hipError_tPvRmT2_T3_T4_T5_mT6_T7_P12ihipStream_tbENKUlT_T0_E_clISt17integral_constantIbLb1EES11_EEDaSW_SX_EUlSW_E_NS1_11comp_targetILNS1_3genE4ELNS1_11target_archE910ELNS1_3gpuE8ELNS1_3repE0EEENS1_30default_config_static_selectorELNS0_4arch9wavefront6targetE0EEEvT1_: ; @_ZN7rocprim17ROCPRIM_400000_NS6detail17trampoline_kernelINS0_14default_configENS1_27scan_by_key_config_selectorIitEEZZNS1_16scan_by_key_implILNS1_25lookback_scan_determinismE0ELb1ES3_N6thrust23THRUST_200600_302600_NS6detail15normal_iteratorINS9_10device_ptrIiEEEENSB_INSC_ItEEEESG_tNS9_4plusIvEENS9_8equal_toIvEEtEE10hipError_tPvRmT2_T3_T4_T5_mT6_T7_P12ihipStream_tbENKUlT_T0_E_clISt17integral_constantIbLb1EES11_EEDaSW_SX_EUlSW_E_NS1_11comp_targetILNS1_3genE4ELNS1_11target_archE910ELNS1_3gpuE8ELNS1_3repE0EEENS1_30default_config_static_selectorELNS0_4arch9wavefront6targetE0EEEvT1_
; %bb.0:
	.section	.rodata,"a",@progbits
	.p2align	6, 0x0
	.amdhsa_kernel _ZN7rocprim17ROCPRIM_400000_NS6detail17trampoline_kernelINS0_14default_configENS1_27scan_by_key_config_selectorIitEEZZNS1_16scan_by_key_implILNS1_25lookback_scan_determinismE0ELb1ES3_N6thrust23THRUST_200600_302600_NS6detail15normal_iteratorINS9_10device_ptrIiEEEENSB_INSC_ItEEEESG_tNS9_4plusIvEENS9_8equal_toIvEEtEE10hipError_tPvRmT2_T3_T4_T5_mT6_T7_P12ihipStream_tbENKUlT_T0_E_clISt17integral_constantIbLb1EES11_EEDaSW_SX_EUlSW_E_NS1_11comp_targetILNS1_3genE4ELNS1_11target_archE910ELNS1_3gpuE8ELNS1_3repE0EEENS1_30default_config_static_selectorELNS0_4arch9wavefront6targetE0EEEvT1_
		.amdhsa_group_segment_fixed_size 0
		.amdhsa_private_segment_fixed_size 0
		.amdhsa_kernarg_size 112
		.amdhsa_user_sgpr_count 6
		.amdhsa_user_sgpr_private_segment_buffer 1
		.amdhsa_user_sgpr_dispatch_ptr 0
		.amdhsa_user_sgpr_queue_ptr 0
		.amdhsa_user_sgpr_kernarg_segment_ptr 1
		.amdhsa_user_sgpr_dispatch_id 0
		.amdhsa_user_sgpr_flat_scratch_init 0
		.amdhsa_user_sgpr_private_segment_size 0
		.amdhsa_wavefront_size32 1
		.amdhsa_uses_dynamic_stack 0
		.amdhsa_system_sgpr_private_segment_wavefront_offset 0
		.amdhsa_system_sgpr_workgroup_id_x 1
		.amdhsa_system_sgpr_workgroup_id_y 0
		.amdhsa_system_sgpr_workgroup_id_z 0
		.amdhsa_system_sgpr_workgroup_info 0
		.amdhsa_system_vgpr_workitem_id 0
		.amdhsa_next_free_vgpr 1
		.amdhsa_next_free_sgpr 1
		.amdhsa_reserve_vcc 0
		.amdhsa_reserve_flat_scratch 0
		.amdhsa_float_round_mode_32 0
		.amdhsa_float_round_mode_16_64 0
		.amdhsa_float_denorm_mode_32 3
		.amdhsa_float_denorm_mode_16_64 3
		.amdhsa_dx10_clamp 1
		.amdhsa_ieee_mode 1
		.amdhsa_fp16_overflow 0
		.amdhsa_workgroup_processor_mode 1
		.amdhsa_memory_ordered 1
		.amdhsa_forward_progress 1
		.amdhsa_shared_vgpr_count 0
		.amdhsa_exception_fp_ieee_invalid_op 0
		.amdhsa_exception_fp_denorm_src 0
		.amdhsa_exception_fp_ieee_div_zero 0
		.amdhsa_exception_fp_ieee_overflow 0
		.amdhsa_exception_fp_ieee_underflow 0
		.amdhsa_exception_fp_ieee_inexact 0
		.amdhsa_exception_int_div_zero 0
	.end_amdhsa_kernel
	.section	.text._ZN7rocprim17ROCPRIM_400000_NS6detail17trampoline_kernelINS0_14default_configENS1_27scan_by_key_config_selectorIitEEZZNS1_16scan_by_key_implILNS1_25lookback_scan_determinismE0ELb1ES3_N6thrust23THRUST_200600_302600_NS6detail15normal_iteratorINS9_10device_ptrIiEEEENSB_INSC_ItEEEESG_tNS9_4plusIvEENS9_8equal_toIvEEtEE10hipError_tPvRmT2_T3_T4_T5_mT6_T7_P12ihipStream_tbENKUlT_T0_E_clISt17integral_constantIbLb1EES11_EEDaSW_SX_EUlSW_E_NS1_11comp_targetILNS1_3genE4ELNS1_11target_archE910ELNS1_3gpuE8ELNS1_3repE0EEENS1_30default_config_static_selectorELNS0_4arch9wavefront6targetE0EEEvT1_,"axG",@progbits,_ZN7rocprim17ROCPRIM_400000_NS6detail17trampoline_kernelINS0_14default_configENS1_27scan_by_key_config_selectorIitEEZZNS1_16scan_by_key_implILNS1_25lookback_scan_determinismE0ELb1ES3_N6thrust23THRUST_200600_302600_NS6detail15normal_iteratorINS9_10device_ptrIiEEEENSB_INSC_ItEEEESG_tNS9_4plusIvEENS9_8equal_toIvEEtEE10hipError_tPvRmT2_T3_T4_T5_mT6_T7_P12ihipStream_tbENKUlT_T0_E_clISt17integral_constantIbLb1EES11_EEDaSW_SX_EUlSW_E_NS1_11comp_targetILNS1_3genE4ELNS1_11target_archE910ELNS1_3gpuE8ELNS1_3repE0EEENS1_30default_config_static_selectorELNS0_4arch9wavefront6targetE0EEEvT1_,comdat
.Lfunc_end1547:
	.size	_ZN7rocprim17ROCPRIM_400000_NS6detail17trampoline_kernelINS0_14default_configENS1_27scan_by_key_config_selectorIitEEZZNS1_16scan_by_key_implILNS1_25lookback_scan_determinismE0ELb1ES3_N6thrust23THRUST_200600_302600_NS6detail15normal_iteratorINS9_10device_ptrIiEEEENSB_INSC_ItEEEESG_tNS9_4plusIvEENS9_8equal_toIvEEtEE10hipError_tPvRmT2_T3_T4_T5_mT6_T7_P12ihipStream_tbENKUlT_T0_E_clISt17integral_constantIbLb1EES11_EEDaSW_SX_EUlSW_E_NS1_11comp_targetILNS1_3genE4ELNS1_11target_archE910ELNS1_3gpuE8ELNS1_3repE0EEENS1_30default_config_static_selectorELNS0_4arch9wavefront6targetE0EEEvT1_, .Lfunc_end1547-_ZN7rocprim17ROCPRIM_400000_NS6detail17trampoline_kernelINS0_14default_configENS1_27scan_by_key_config_selectorIitEEZZNS1_16scan_by_key_implILNS1_25lookback_scan_determinismE0ELb1ES3_N6thrust23THRUST_200600_302600_NS6detail15normal_iteratorINS9_10device_ptrIiEEEENSB_INSC_ItEEEESG_tNS9_4plusIvEENS9_8equal_toIvEEtEE10hipError_tPvRmT2_T3_T4_T5_mT6_T7_P12ihipStream_tbENKUlT_T0_E_clISt17integral_constantIbLb1EES11_EEDaSW_SX_EUlSW_E_NS1_11comp_targetILNS1_3genE4ELNS1_11target_archE910ELNS1_3gpuE8ELNS1_3repE0EEENS1_30default_config_static_selectorELNS0_4arch9wavefront6targetE0EEEvT1_
                                        ; -- End function
	.set _ZN7rocprim17ROCPRIM_400000_NS6detail17trampoline_kernelINS0_14default_configENS1_27scan_by_key_config_selectorIitEEZZNS1_16scan_by_key_implILNS1_25lookback_scan_determinismE0ELb1ES3_N6thrust23THRUST_200600_302600_NS6detail15normal_iteratorINS9_10device_ptrIiEEEENSB_INSC_ItEEEESG_tNS9_4plusIvEENS9_8equal_toIvEEtEE10hipError_tPvRmT2_T3_T4_T5_mT6_T7_P12ihipStream_tbENKUlT_T0_E_clISt17integral_constantIbLb1EES11_EEDaSW_SX_EUlSW_E_NS1_11comp_targetILNS1_3genE4ELNS1_11target_archE910ELNS1_3gpuE8ELNS1_3repE0EEENS1_30default_config_static_selectorELNS0_4arch9wavefront6targetE0EEEvT1_.num_vgpr, 0
	.set _ZN7rocprim17ROCPRIM_400000_NS6detail17trampoline_kernelINS0_14default_configENS1_27scan_by_key_config_selectorIitEEZZNS1_16scan_by_key_implILNS1_25lookback_scan_determinismE0ELb1ES3_N6thrust23THRUST_200600_302600_NS6detail15normal_iteratorINS9_10device_ptrIiEEEENSB_INSC_ItEEEESG_tNS9_4plusIvEENS9_8equal_toIvEEtEE10hipError_tPvRmT2_T3_T4_T5_mT6_T7_P12ihipStream_tbENKUlT_T0_E_clISt17integral_constantIbLb1EES11_EEDaSW_SX_EUlSW_E_NS1_11comp_targetILNS1_3genE4ELNS1_11target_archE910ELNS1_3gpuE8ELNS1_3repE0EEENS1_30default_config_static_selectorELNS0_4arch9wavefront6targetE0EEEvT1_.num_agpr, 0
	.set _ZN7rocprim17ROCPRIM_400000_NS6detail17trampoline_kernelINS0_14default_configENS1_27scan_by_key_config_selectorIitEEZZNS1_16scan_by_key_implILNS1_25lookback_scan_determinismE0ELb1ES3_N6thrust23THRUST_200600_302600_NS6detail15normal_iteratorINS9_10device_ptrIiEEEENSB_INSC_ItEEEESG_tNS9_4plusIvEENS9_8equal_toIvEEtEE10hipError_tPvRmT2_T3_T4_T5_mT6_T7_P12ihipStream_tbENKUlT_T0_E_clISt17integral_constantIbLb1EES11_EEDaSW_SX_EUlSW_E_NS1_11comp_targetILNS1_3genE4ELNS1_11target_archE910ELNS1_3gpuE8ELNS1_3repE0EEENS1_30default_config_static_selectorELNS0_4arch9wavefront6targetE0EEEvT1_.numbered_sgpr, 0
	.set _ZN7rocprim17ROCPRIM_400000_NS6detail17trampoline_kernelINS0_14default_configENS1_27scan_by_key_config_selectorIitEEZZNS1_16scan_by_key_implILNS1_25lookback_scan_determinismE0ELb1ES3_N6thrust23THRUST_200600_302600_NS6detail15normal_iteratorINS9_10device_ptrIiEEEENSB_INSC_ItEEEESG_tNS9_4plusIvEENS9_8equal_toIvEEtEE10hipError_tPvRmT2_T3_T4_T5_mT6_T7_P12ihipStream_tbENKUlT_T0_E_clISt17integral_constantIbLb1EES11_EEDaSW_SX_EUlSW_E_NS1_11comp_targetILNS1_3genE4ELNS1_11target_archE910ELNS1_3gpuE8ELNS1_3repE0EEENS1_30default_config_static_selectorELNS0_4arch9wavefront6targetE0EEEvT1_.num_named_barrier, 0
	.set _ZN7rocprim17ROCPRIM_400000_NS6detail17trampoline_kernelINS0_14default_configENS1_27scan_by_key_config_selectorIitEEZZNS1_16scan_by_key_implILNS1_25lookback_scan_determinismE0ELb1ES3_N6thrust23THRUST_200600_302600_NS6detail15normal_iteratorINS9_10device_ptrIiEEEENSB_INSC_ItEEEESG_tNS9_4plusIvEENS9_8equal_toIvEEtEE10hipError_tPvRmT2_T3_T4_T5_mT6_T7_P12ihipStream_tbENKUlT_T0_E_clISt17integral_constantIbLb1EES11_EEDaSW_SX_EUlSW_E_NS1_11comp_targetILNS1_3genE4ELNS1_11target_archE910ELNS1_3gpuE8ELNS1_3repE0EEENS1_30default_config_static_selectorELNS0_4arch9wavefront6targetE0EEEvT1_.private_seg_size, 0
	.set _ZN7rocprim17ROCPRIM_400000_NS6detail17trampoline_kernelINS0_14default_configENS1_27scan_by_key_config_selectorIitEEZZNS1_16scan_by_key_implILNS1_25lookback_scan_determinismE0ELb1ES3_N6thrust23THRUST_200600_302600_NS6detail15normal_iteratorINS9_10device_ptrIiEEEENSB_INSC_ItEEEESG_tNS9_4plusIvEENS9_8equal_toIvEEtEE10hipError_tPvRmT2_T3_T4_T5_mT6_T7_P12ihipStream_tbENKUlT_T0_E_clISt17integral_constantIbLb1EES11_EEDaSW_SX_EUlSW_E_NS1_11comp_targetILNS1_3genE4ELNS1_11target_archE910ELNS1_3gpuE8ELNS1_3repE0EEENS1_30default_config_static_selectorELNS0_4arch9wavefront6targetE0EEEvT1_.uses_vcc, 0
	.set _ZN7rocprim17ROCPRIM_400000_NS6detail17trampoline_kernelINS0_14default_configENS1_27scan_by_key_config_selectorIitEEZZNS1_16scan_by_key_implILNS1_25lookback_scan_determinismE0ELb1ES3_N6thrust23THRUST_200600_302600_NS6detail15normal_iteratorINS9_10device_ptrIiEEEENSB_INSC_ItEEEESG_tNS9_4plusIvEENS9_8equal_toIvEEtEE10hipError_tPvRmT2_T3_T4_T5_mT6_T7_P12ihipStream_tbENKUlT_T0_E_clISt17integral_constantIbLb1EES11_EEDaSW_SX_EUlSW_E_NS1_11comp_targetILNS1_3genE4ELNS1_11target_archE910ELNS1_3gpuE8ELNS1_3repE0EEENS1_30default_config_static_selectorELNS0_4arch9wavefront6targetE0EEEvT1_.uses_flat_scratch, 0
	.set _ZN7rocprim17ROCPRIM_400000_NS6detail17trampoline_kernelINS0_14default_configENS1_27scan_by_key_config_selectorIitEEZZNS1_16scan_by_key_implILNS1_25lookback_scan_determinismE0ELb1ES3_N6thrust23THRUST_200600_302600_NS6detail15normal_iteratorINS9_10device_ptrIiEEEENSB_INSC_ItEEEESG_tNS9_4plusIvEENS9_8equal_toIvEEtEE10hipError_tPvRmT2_T3_T4_T5_mT6_T7_P12ihipStream_tbENKUlT_T0_E_clISt17integral_constantIbLb1EES11_EEDaSW_SX_EUlSW_E_NS1_11comp_targetILNS1_3genE4ELNS1_11target_archE910ELNS1_3gpuE8ELNS1_3repE0EEENS1_30default_config_static_selectorELNS0_4arch9wavefront6targetE0EEEvT1_.has_dyn_sized_stack, 0
	.set _ZN7rocprim17ROCPRIM_400000_NS6detail17trampoline_kernelINS0_14default_configENS1_27scan_by_key_config_selectorIitEEZZNS1_16scan_by_key_implILNS1_25lookback_scan_determinismE0ELb1ES3_N6thrust23THRUST_200600_302600_NS6detail15normal_iteratorINS9_10device_ptrIiEEEENSB_INSC_ItEEEESG_tNS9_4plusIvEENS9_8equal_toIvEEtEE10hipError_tPvRmT2_T3_T4_T5_mT6_T7_P12ihipStream_tbENKUlT_T0_E_clISt17integral_constantIbLb1EES11_EEDaSW_SX_EUlSW_E_NS1_11comp_targetILNS1_3genE4ELNS1_11target_archE910ELNS1_3gpuE8ELNS1_3repE0EEENS1_30default_config_static_selectorELNS0_4arch9wavefront6targetE0EEEvT1_.has_recursion, 0
	.set _ZN7rocprim17ROCPRIM_400000_NS6detail17trampoline_kernelINS0_14default_configENS1_27scan_by_key_config_selectorIitEEZZNS1_16scan_by_key_implILNS1_25lookback_scan_determinismE0ELb1ES3_N6thrust23THRUST_200600_302600_NS6detail15normal_iteratorINS9_10device_ptrIiEEEENSB_INSC_ItEEEESG_tNS9_4plusIvEENS9_8equal_toIvEEtEE10hipError_tPvRmT2_T3_T4_T5_mT6_T7_P12ihipStream_tbENKUlT_T0_E_clISt17integral_constantIbLb1EES11_EEDaSW_SX_EUlSW_E_NS1_11comp_targetILNS1_3genE4ELNS1_11target_archE910ELNS1_3gpuE8ELNS1_3repE0EEENS1_30default_config_static_selectorELNS0_4arch9wavefront6targetE0EEEvT1_.has_indirect_call, 0
	.section	.AMDGPU.csdata,"",@progbits
; Kernel info:
; codeLenInByte = 0
; TotalNumSgprs: 0
; NumVgprs: 0
; ScratchSize: 0
; MemoryBound: 0
; FloatMode: 240
; IeeeMode: 1
; LDSByteSize: 0 bytes/workgroup (compile time only)
; SGPRBlocks: 0
; VGPRBlocks: 0
; NumSGPRsForWavesPerEU: 1
; NumVGPRsForWavesPerEU: 1
; Occupancy: 16
; WaveLimiterHint : 0
; COMPUTE_PGM_RSRC2:SCRATCH_EN: 0
; COMPUTE_PGM_RSRC2:USER_SGPR: 6
; COMPUTE_PGM_RSRC2:TRAP_HANDLER: 0
; COMPUTE_PGM_RSRC2:TGID_X_EN: 1
; COMPUTE_PGM_RSRC2:TGID_Y_EN: 0
; COMPUTE_PGM_RSRC2:TGID_Z_EN: 0
; COMPUTE_PGM_RSRC2:TIDIG_COMP_CNT: 0
	.section	.text._ZN7rocprim17ROCPRIM_400000_NS6detail17trampoline_kernelINS0_14default_configENS1_27scan_by_key_config_selectorIitEEZZNS1_16scan_by_key_implILNS1_25lookback_scan_determinismE0ELb1ES3_N6thrust23THRUST_200600_302600_NS6detail15normal_iteratorINS9_10device_ptrIiEEEENSB_INSC_ItEEEESG_tNS9_4plusIvEENS9_8equal_toIvEEtEE10hipError_tPvRmT2_T3_T4_T5_mT6_T7_P12ihipStream_tbENKUlT_T0_E_clISt17integral_constantIbLb1EES11_EEDaSW_SX_EUlSW_E_NS1_11comp_targetILNS1_3genE3ELNS1_11target_archE908ELNS1_3gpuE7ELNS1_3repE0EEENS1_30default_config_static_selectorELNS0_4arch9wavefront6targetE0EEEvT1_,"axG",@progbits,_ZN7rocprim17ROCPRIM_400000_NS6detail17trampoline_kernelINS0_14default_configENS1_27scan_by_key_config_selectorIitEEZZNS1_16scan_by_key_implILNS1_25lookback_scan_determinismE0ELb1ES3_N6thrust23THRUST_200600_302600_NS6detail15normal_iteratorINS9_10device_ptrIiEEEENSB_INSC_ItEEEESG_tNS9_4plusIvEENS9_8equal_toIvEEtEE10hipError_tPvRmT2_T3_T4_T5_mT6_T7_P12ihipStream_tbENKUlT_T0_E_clISt17integral_constantIbLb1EES11_EEDaSW_SX_EUlSW_E_NS1_11comp_targetILNS1_3genE3ELNS1_11target_archE908ELNS1_3gpuE7ELNS1_3repE0EEENS1_30default_config_static_selectorELNS0_4arch9wavefront6targetE0EEEvT1_,comdat
	.protected	_ZN7rocprim17ROCPRIM_400000_NS6detail17trampoline_kernelINS0_14default_configENS1_27scan_by_key_config_selectorIitEEZZNS1_16scan_by_key_implILNS1_25lookback_scan_determinismE0ELb1ES3_N6thrust23THRUST_200600_302600_NS6detail15normal_iteratorINS9_10device_ptrIiEEEENSB_INSC_ItEEEESG_tNS9_4plusIvEENS9_8equal_toIvEEtEE10hipError_tPvRmT2_T3_T4_T5_mT6_T7_P12ihipStream_tbENKUlT_T0_E_clISt17integral_constantIbLb1EES11_EEDaSW_SX_EUlSW_E_NS1_11comp_targetILNS1_3genE3ELNS1_11target_archE908ELNS1_3gpuE7ELNS1_3repE0EEENS1_30default_config_static_selectorELNS0_4arch9wavefront6targetE0EEEvT1_ ; -- Begin function _ZN7rocprim17ROCPRIM_400000_NS6detail17trampoline_kernelINS0_14default_configENS1_27scan_by_key_config_selectorIitEEZZNS1_16scan_by_key_implILNS1_25lookback_scan_determinismE0ELb1ES3_N6thrust23THRUST_200600_302600_NS6detail15normal_iteratorINS9_10device_ptrIiEEEENSB_INSC_ItEEEESG_tNS9_4plusIvEENS9_8equal_toIvEEtEE10hipError_tPvRmT2_T3_T4_T5_mT6_T7_P12ihipStream_tbENKUlT_T0_E_clISt17integral_constantIbLb1EES11_EEDaSW_SX_EUlSW_E_NS1_11comp_targetILNS1_3genE3ELNS1_11target_archE908ELNS1_3gpuE7ELNS1_3repE0EEENS1_30default_config_static_selectorELNS0_4arch9wavefront6targetE0EEEvT1_
	.globl	_ZN7rocprim17ROCPRIM_400000_NS6detail17trampoline_kernelINS0_14default_configENS1_27scan_by_key_config_selectorIitEEZZNS1_16scan_by_key_implILNS1_25lookback_scan_determinismE0ELb1ES3_N6thrust23THRUST_200600_302600_NS6detail15normal_iteratorINS9_10device_ptrIiEEEENSB_INSC_ItEEEESG_tNS9_4plusIvEENS9_8equal_toIvEEtEE10hipError_tPvRmT2_T3_T4_T5_mT6_T7_P12ihipStream_tbENKUlT_T0_E_clISt17integral_constantIbLb1EES11_EEDaSW_SX_EUlSW_E_NS1_11comp_targetILNS1_3genE3ELNS1_11target_archE908ELNS1_3gpuE7ELNS1_3repE0EEENS1_30default_config_static_selectorELNS0_4arch9wavefront6targetE0EEEvT1_
	.p2align	8
	.type	_ZN7rocprim17ROCPRIM_400000_NS6detail17trampoline_kernelINS0_14default_configENS1_27scan_by_key_config_selectorIitEEZZNS1_16scan_by_key_implILNS1_25lookback_scan_determinismE0ELb1ES3_N6thrust23THRUST_200600_302600_NS6detail15normal_iteratorINS9_10device_ptrIiEEEENSB_INSC_ItEEEESG_tNS9_4plusIvEENS9_8equal_toIvEEtEE10hipError_tPvRmT2_T3_T4_T5_mT6_T7_P12ihipStream_tbENKUlT_T0_E_clISt17integral_constantIbLb1EES11_EEDaSW_SX_EUlSW_E_NS1_11comp_targetILNS1_3genE3ELNS1_11target_archE908ELNS1_3gpuE7ELNS1_3repE0EEENS1_30default_config_static_selectorELNS0_4arch9wavefront6targetE0EEEvT1_,@function
_ZN7rocprim17ROCPRIM_400000_NS6detail17trampoline_kernelINS0_14default_configENS1_27scan_by_key_config_selectorIitEEZZNS1_16scan_by_key_implILNS1_25lookback_scan_determinismE0ELb1ES3_N6thrust23THRUST_200600_302600_NS6detail15normal_iteratorINS9_10device_ptrIiEEEENSB_INSC_ItEEEESG_tNS9_4plusIvEENS9_8equal_toIvEEtEE10hipError_tPvRmT2_T3_T4_T5_mT6_T7_P12ihipStream_tbENKUlT_T0_E_clISt17integral_constantIbLb1EES11_EEDaSW_SX_EUlSW_E_NS1_11comp_targetILNS1_3genE3ELNS1_11target_archE908ELNS1_3gpuE7ELNS1_3repE0EEENS1_30default_config_static_selectorELNS0_4arch9wavefront6targetE0EEEvT1_: ; @_ZN7rocprim17ROCPRIM_400000_NS6detail17trampoline_kernelINS0_14default_configENS1_27scan_by_key_config_selectorIitEEZZNS1_16scan_by_key_implILNS1_25lookback_scan_determinismE0ELb1ES3_N6thrust23THRUST_200600_302600_NS6detail15normal_iteratorINS9_10device_ptrIiEEEENSB_INSC_ItEEEESG_tNS9_4plusIvEENS9_8equal_toIvEEtEE10hipError_tPvRmT2_T3_T4_T5_mT6_T7_P12ihipStream_tbENKUlT_T0_E_clISt17integral_constantIbLb1EES11_EEDaSW_SX_EUlSW_E_NS1_11comp_targetILNS1_3genE3ELNS1_11target_archE908ELNS1_3gpuE7ELNS1_3repE0EEENS1_30default_config_static_selectorELNS0_4arch9wavefront6targetE0EEEvT1_
; %bb.0:
	.section	.rodata,"a",@progbits
	.p2align	6, 0x0
	.amdhsa_kernel _ZN7rocprim17ROCPRIM_400000_NS6detail17trampoline_kernelINS0_14default_configENS1_27scan_by_key_config_selectorIitEEZZNS1_16scan_by_key_implILNS1_25lookback_scan_determinismE0ELb1ES3_N6thrust23THRUST_200600_302600_NS6detail15normal_iteratorINS9_10device_ptrIiEEEENSB_INSC_ItEEEESG_tNS9_4plusIvEENS9_8equal_toIvEEtEE10hipError_tPvRmT2_T3_T4_T5_mT6_T7_P12ihipStream_tbENKUlT_T0_E_clISt17integral_constantIbLb1EES11_EEDaSW_SX_EUlSW_E_NS1_11comp_targetILNS1_3genE3ELNS1_11target_archE908ELNS1_3gpuE7ELNS1_3repE0EEENS1_30default_config_static_selectorELNS0_4arch9wavefront6targetE0EEEvT1_
		.amdhsa_group_segment_fixed_size 0
		.amdhsa_private_segment_fixed_size 0
		.amdhsa_kernarg_size 112
		.amdhsa_user_sgpr_count 6
		.amdhsa_user_sgpr_private_segment_buffer 1
		.amdhsa_user_sgpr_dispatch_ptr 0
		.amdhsa_user_sgpr_queue_ptr 0
		.amdhsa_user_sgpr_kernarg_segment_ptr 1
		.amdhsa_user_sgpr_dispatch_id 0
		.amdhsa_user_sgpr_flat_scratch_init 0
		.amdhsa_user_sgpr_private_segment_size 0
		.amdhsa_wavefront_size32 1
		.amdhsa_uses_dynamic_stack 0
		.amdhsa_system_sgpr_private_segment_wavefront_offset 0
		.amdhsa_system_sgpr_workgroup_id_x 1
		.amdhsa_system_sgpr_workgroup_id_y 0
		.amdhsa_system_sgpr_workgroup_id_z 0
		.amdhsa_system_sgpr_workgroup_info 0
		.amdhsa_system_vgpr_workitem_id 0
		.amdhsa_next_free_vgpr 1
		.amdhsa_next_free_sgpr 1
		.amdhsa_reserve_vcc 0
		.amdhsa_reserve_flat_scratch 0
		.amdhsa_float_round_mode_32 0
		.amdhsa_float_round_mode_16_64 0
		.amdhsa_float_denorm_mode_32 3
		.amdhsa_float_denorm_mode_16_64 3
		.amdhsa_dx10_clamp 1
		.amdhsa_ieee_mode 1
		.amdhsa_fp16_overflow 0
		.amdhsa_workgroup_processor_mode 1
		.amdhsa_memory_ordered 1
		.amdhsa_forward_progress 1
		.amdhsa_shared_vgpr_count 0
		.amdhsa_exception_fp_ieee_invalid_op 0
		.amdhsa_exception_fp_denorm_src 0
		.amdhsa_exception_fp_ieee_div_zero 0
		.amdhsa_exception_fp_ieee_overflow 0
		.amdhsa_exception_fp_ieee_underflow 0
		.amdhsa_exception_fp_ieee_inexact 0
		.amdhsa_exception_int_div_zero 0
	.end_amdhsa_kernel
	.section	.text._ZN7rocprim17ROCPRIM_400000_NS6detail17trampoline_kernelINS0_14default_configENS1_27scan_by_key_config_selectorIitEEZZNS1_16scan_by_key_implILNS1_25lookback_scan_determinismE0ELb1ES3_N6thrust23THRUST_200600_302600_NS6detail15normal_iteratorINS9_10device_ptrIiEEEENSB_INSC_ItEEEESG_tNS9_4plusIvEENS9_8equal_toIvEEtEE10hipError_tPvRmT2_T3_T4_T5_mT6_T7_P12ihipStream_tbENKUlT_T0_E_clISt17integral_constantIbLb1EES11_EEDaSW_SX_EUlSW_E_NS1_11comp_targetILNS1_3genE3ELNS1_11target_archE908ELNS1_3gpuE7ELNS1_3repE0EEENS1_30default_config_static_selectorELNS0_4arch9wavefront6targetE0EEEvT1_,"axG",@progbits,_ZN7rocprim17ROCPRIM_400000_NS6detail17trampoline_kernelINS0_14default_configENS1_27scan_by_key_config_selectorIitEEZZNS1_16scan_by_key_implILNS1_25lookback_scan_determinismE0ELb1ES3_N6thrust23THRUST_200600_302600_NS6detail15normal_iteratorINS9_10device_ptrIiEEEENSB_INSC_ItEEEESG_tNS9_4plusIvEENS9_8equal_toIvEEtEE10hipError_tPvRmT2_T3_T4_T5_mT6_T7_P12ihipStream_tbENKUlT_T0_E_clISt17integral_constantIbLb1EES11_EEDaSW_SX_EUlSW_E_NS1_11comp_targetILNS1_3genE3ELNS1_11target_archE908ELNS1_3gpuE7ELNS1_3repE0EEENS1_30default_config_static_selectorELNS0_4arch9wavefront6targetE0EEEvT1_,comdat
.Lfunc_end1548:
	.size	_ZN7rocprim17ROCPRIM_400000_NS6detail17trampoline_kernelINS0_14default_configENS1_27scan_by_key_config_selectorIitEEZZNS1_16scan_by_key_implILNS1_25lookback_scan_determinismE0ELb1ES3_N6thrust23THRUST_200600_302600_NS6detail15normal_iteratorINS9_10device_ptrIiEEEENSB_INSC_ItEEEESG_tNS9_4plusIvEENS9_8equal_toIvEEtEE10hipError_tPvRmT2_T3_T4_T5_mT6_T7_P12ihipStream_tbENKUlT_T0_E_clISt17integral_constantIbLb1EES11_EEDaSW_SX_EUlSW_E_NS1_11comp_targetILNS1_3genE3ELNS1_11target_archE908ELNS1_3gpuE7ELNS1_3repE0EEENS1_30default_config_static_selectorELNS0_4arch9wavefront6targetE0EEEvT1_, .Lfunc_end1548-_ZN7rocprim17ROCPRIM_400000_NS6detail17trampoline_kernelINS0_14default_configENS1_27scan_by_key_config_selectorIitEEZZNS1_16scan_by_key_implILNS1_25lookback_scan_determinismE0ELb1ES3_N6thrust23THRUST_200600_302600_NS6detail15normal_iteratorINS9_10device_ptrIiEEEENSB_INSC_ItEEEESG_tNS9_4plusIvEENS9_8equal_toIvEEtEE10hipError_tPvRmT2_T3_T4_T5_mT6_T7_P12ihipStream_tbENKUlT_T0_E_clISt17integral_constantIbLb1EES11_EEDaSW_SX_EUlSW_E_NS1_11comp_targetILNS1_3genE3ELNS1_11target_archE908ELNS1_3gpuE7ELNS1_3repE0EEENS1_30default_config_static_selectorELNS0_4arch9wavefront6targetE0EEEvT1_
                                        ; -- End function
	.set _ZN7rocprim17ROCPRIM_400000_NS6detail17trampoline_kernelINS0_14default_configENS1_27scan_by_key_config_selectorIitEEZZNS1_16scan_by_key_implILNS1_25lookback_scan_determinismE0ELb1ES3_N6thrust23THRUST_200600_302600_NS6detail15normal_iteratorINS9_10device_ptrIiEEEENSB_INSC_ItEEEESG_tNS9_4plusIvEENS9_8equal_toIvEEtEE10hipError_tPvRmT2_T3_T4_T5_mT6_T7_P12ihipStream_tbENKUlT_T0_E_clISt17integral_constantIbLb1EES11_EEDaSW_SX_EUlSW_E_NS1_11comp_targetILNS1_3genE3ELNS1_11target_archE908ELNS1_3gpuE7ELNS1_3repE0EEENS1_30default_config_static_selectorELNS0_4arch9wavefront6targetE0EEEvT1_.num_vgpr, 0
	.set _ZN7rocprim17ROCPRIM_400000_NS6detail17trampoline_kernelINS0_14default_configENS1_27scan_by_key_config_selectorIitEEZZNS1_16scan_by_key_implILNS1_25lookback_scan_determinismE0ELb1ES3_N6thrust23THRUST_200600_302600_NS6detail15normal_iteratorINS9_10device_ptrIiEEEENSB_INSC_ItEEEESG_tNS9_4plusIvEENS9_8equal_toIvEEtEE10hipError_tPvRmT2_T3_T4_T5_mT6_T7_P12ihipStream_tbENKUlT_T0_E_clISt17integral_constantIbLb1EES11_EEDaSW_SX_EUlSW_E_NS1_11comp_targetILNS1_3genE3ELNS1_11target_archE908ELNS1_3gpuE7ELNS1_3repE0EEENS1_30default_config_static_selectorELNS0_4arch9wavefront6targetE0EEEvT1_.num_agpr, 0
	.set _ZN7rocprim17ROCPRIM_400000_NS6detail17trampoline_kernelINS0_14default_configENS1_27scan_by_key_config_selectorIitEEZZNS1_16scan_by_key_implILNS1_25lookback_scan_determinismE0ELb1ES3_N6thrust23THRUST_200600_302600_NS6detail15normal_iteratorINS9_10device_ptrIiEEEENSB_INSC_ItEEEESG_tNS9_4plusIvEENS9_8equal_toIvEEtEE10hipError_tPvRmT2_T3_T4_T5_mT6_T7_P12ihipStream_tbENKUlT_T0_E_clISt17integral_constantIbLb1EES11_EEDaSW_SX_EUlSW_E_NS1_11comp_targetILNS1_3genE3ELNS1_11target_archE908ELNS1_3gpuE7ELNS1_3repE0EEENS1_30default_config_static_selectorELNS0_4arch9wavefront6targetE0EEEvT1_.numbered_sgpr, 0
	.set _ZN7rocprim17ROCPRIM_400000_NS6detail17trampoline_kernelINS0_14default_configENS1_27scan_by_key_config_selectorIitEEZZNS1_16scan_by_key_implILNS1_25lookback_scan_determinismE0ELb1ES3_N6thrust23THRUST_200600_302600_NS6detail15normal_iteratorINS9_10device_ptrIiEEEENSB_INSC_ItEEEESG_tNS9_4plusIvEENS9_8equal_toIvEEtEE10hipError_tPvRmT2_T3_T4_T5_mT6_T7_P12ihipStream_tbENKUlT_T0_E_clISt17integral_constantIbLb1EES11_EEDaSW_SX_EUlSW_E_NS1_11comp_targetILNS1_3genE3ELNS1_11target_archE908ELNS1_3gpuE7ELNS1_3repE0EEENS1_30default_config_static_selectorELNS0_4arch9wavefront6targetE0EEEvT1_.num_named_barrier, 0
	.set _ZN7rocprim17ROCPRIM_400000_NS6detail17trampoline_kernelINS0_14default_configENS1_27scan_by_key_config_selectorIitEEZZNS1_16scan_by_key_implILNS1_25lookback_scan_determinismE0ELb1ES3_N6thrust23THRUST_200600_302600_NS6detail15normal_iteratorINS9_10device_ptrIiEEEENSB_INSC_ItEEEESG_tNS9_4plusIvEENS9_8equal_toIvEEtEE10hipError_tPvRmT2_T3_T4_T5_mT6_T7_P12ihipStream_tbENKUlT_T0_E_clISt17integral_constantIbLb1EES11_EEDaSW_SX_EUlSW_E_NS1_11comp_targetILNS1_3genE3ELNS1_11target_archE908ELNS1_3gpuE7ELNS1_3repE0EEENS1_30default_config_static_selectorELNS0_4arch9wavefront6targetE0EEEvT1_.private_seg_size, 0
	.set _ZN7rocprim17ROCPRIM_400000_NS6detail17trampoline_kernelINS0_14default_configENS1_27scan_by_key_config_selectorIitEEZZNS1_16scan_by_key_implILNS1_25lookback_scan_determinismE0ELb1ES3_N6thrust23THRUST_200600_302600_NS6detail15normal_iteratorINS9_10device_ptrIiEEEENSB_INSC_ItEEEESG_tNS9_4plusIvEENS9_8equal_toIvEEtEE10hipError_tPvRmT2_T3_T4_T5_mT6_T7_P12ihipStream_tbENKUlT_T0_E_clISt17integral_constantIbLb1EES11_EEDaSW_SX_EUlSW_E_NS1_11comp_targetILNS1_3genE3ELNS1_11target_archE908ELNS1_3gpuE7ELNS1_3repE0EEENS1_30default_config_static_selectorELNS0_4arch9wavefront6targetE0EEEvT1_.uses_vcc, 0
	.set _ZN7rocprim17ROCPRIM_400000_NS6detail17trampoline_kernelINS0_14default_configENS1_27scan_by_key_config_selectorIitEEZZNS1_16scan_by_key_implILNS1_25lookback_scan_determinismE0ELb1ES3_N6thrust23THRUST_200600_302600_NS6detail15normal_iteratorINS9_10device_ptrIiEEEENSB_INSC_ItEEEESG_tNS9_4plusIvEENS9_8equal_toIvEEtEE10hipError_tPvRmT2_T3_T4_T5_mT6_T7_P12ihipStream_tbENKUlT_T0_E_clISt17integral_constantIbLb1EES11_EEDaSW_SX_EUlSW_E_NS1_11comp_targetILNS1_3genE3ELNS1_11target_archE908ELNS1_3gpuE7ELNS1_3repE0EEENS1_30default_config_static_selectorELNS0_4arch9wavefront6targetE0EEEvT1_.uses_flat_scratch, 0
	.set _ZN7rocprim17ROCPRIM_400000_NS6detail17trampoline_kernelINS0_14default_configENS1_27scan_by_key_config_selectorIitEEZZNS1_16scan_by_key_implILNS1_25lookback_scan_determinismE0ELb1ES3_N6thrust23THRUST_200600_302600_NS6detail15normal_iteratorINS9_10device_ptrIiEEEENSB_INSC_ItEEEESG_tNS9_4plusIvEENS9_8equal_toIvEEtEE10hipError_tPvRmT2_T3_T4_T5_mT6_T7_P12ihipStream_tbENKUlT_T0_E_clISt17integral_constantIbLb1EES11_EEDaSW_SX_EUlSW_E_NS1_11comp_targetILNS1_3genE3ELNS1_11target_archE908ELNS1_3gpuE7ELNS1_3repE0EEENS1_30default_config_static_selectorELNS0_4arch9wavefront6targetE0EEEvT1_.has_dyn_sized_stack, 0
	.set _ZN7rocprim17ROCPRIM_400000_NS6detail17trampoline_kernelINS0_14default_configENS1_27scan_by_key_config_selectorIitEEZZNS1_16scan_by_key_implILNS1_25lookback_scan_determinismE0ELb1ES3_N6thrust23THRUST_200600_302600_NS6detail15normal_iteratorINS9_10device_ptrIiEEEENSB_INSC_ItEEEESG_tNS9_4plusIvEENS9_8equal_toIvEEtEE10hipError_tPvRmT2_T3_T4_T5_mT6_T7_P12ihipStream_tbENKUlT_T0_E_clISt17integral_constantIbLb1EES11_EEDaSW_SX_EUlSW_E_NS1_11comp_targetILNS1_3genE3ELNS1_11target_archE908ELNS1_3gpuE7ELNS1_3repE0EEENS1_30default_config_static_selectorELNS0_4arch9wavefront6targetE0EEEvT1_.has_recursion, 0
	.set _ZN7rocprim17ROCPRIM_400000_NS6detail17trampoline_kernelINS0_14default_configENS1_27scan_by_key_config_selectorIitEEZZNS1_16scan_by_key_implILNS1_25lookback_scan_determinismE0ELb1ES3_N6thrust23THRUST_200600_302600_NS6detail15normal_iteratorINS9_10device_ptrIiEEEENSB_INSC_ItEEEESG_tNS9_4plusIvEENS9_8equal_toIvEEtEE10hipError_tPvRmT2_T3_T4_T5_mT6_T7_P12ihipStream_tbENKUlT_T0_E_clISt17integral_constantIbLb1EES11_EEDaSW_SX_EUlSW_E_NS1_11comp_targetILNS1_3genE3ELNS1_11target_archE908ELNS1_3gpuE7ELNS1_3repE0EEENS1_30default_config_static_selectorELNS0_4arch9wavefront6targetE0EEEvT1_.has_indirect_call, 0
	.section	.AMDGPU.csdata,"",@progbits
; Kernel info:
; codeLenInByte = 0
; TotalNumSgprs: 0
; NumVgprs: 0
; ScratchSize: 0
; MemoryBound: 0
; FloatMode: 240
; IeeeMode: 1
; LDSByteSize: 0 bytes/workgroup (compile time only)
; SGPRBlocks: 0
; VGPRBlocks: 0
; NumSGPRsForWavesPerEU: 1
; NumVGPRsForWavesPerEU: 1
; Occupancy: 16
; WaveLimiterHint : 0
; COMPUTE_PGM_RSRC2:SCRATCH_EN: 0
; COMPUTE_PGM_RSRC2:USER_SGPR: 6
; COMPUTE_PGM_RSRC2:TRAP_HANDLER: 0
; COMPUTE_PGM_RSRC2:TGID_X_EN: 1
; COMPUTE_PGM_RSRC2:TGID_Y_EN: 0
; COMPUTE_PGM_RSRC2:TGID_Z_EN: 0
; COMPUTE_PGM_RSRC2:TIDIG_COMP_CNT: 0
	.section	.text._ZN7rocprim17ROCPRIM_400000_NS6detail17trampoline_kernelINS0_14default_configENS1_27scan_by_key_config_selectorIitEEZZNS1_16scan_by_key_implILNS1_25lookback_scan_determinismE0ELb1ES3_N6thrust23THRUST_200600_302600_NS6detail15normal_iteratorINS9_10device_ptrIiEEEENSB_INSC_ItEEEESG_tNS9_4plusIvEENS9_8equal_toIvEEtEE10hipError_tPvRmT2_T3_T4_T5_mT6_T7_P12ihipStream_tbENKUlT_T0_E_clISt17integral_constantIbLb1EES11_EEDaSW_SX_EUlSW_E_NS1_11comp_targetILNS1_3genE2ELNS1_11target_archE906ELNS1_3gpuE6ELNS1_3repE0EEENS1_30default_config_static_selectorELNS0_4arch9wavefront6targetE0EEEvT1_,"axG",@progbits,_ZN7rocprim17ROCPRIM_400000_NS6detail17trampoline_kernelINS0_14default_configENS1_27scan_by_key_config_selectorIitEEZZNS1_16scan_by_key_implILNS1_25lookback_scan_determinismE0ELb1ES3_N6thrust23THRUST_200600_302600_NS6detail15normal_iteratorINS9_10device_ptrIiEEEENSB_INSC_ItEEEESG_tNS9_4plusIvEENS9_8equal_toIvEEtEE10hipError_tPvRmT2_T3_T4_T5_mT6_T7_P12ihipStream_tbENKUlT_T0_E_clISt17integral_constantIbLb1EES11_EEDaSW_SX_EUlSW_E_NS1_11comp_targetILNS1_3genE2ELNS1_11target_archE906ELNS1_3gpuE6ELNS1_3repE0EEENS1_30default_config_static_selectorELNS0_4arch9wavefront6targetE0EEEvT1_,comdat
	.protected	_ZN7rocprim17ROCPRIM_400000_NS6detail17trampoline_kernelINS0_14default_configENS1_27scan_by_key_config_selectorIitEEZZNS1_16scan_by_key_implILNS1_25lookback_scan_determinismE0ELb1ES3_N6thrust23THRUST_200600_302600_NS6detail15normal_iteratorINS9_10device_ptrIiEEEENSB_INSC_ItEEEESG_tNS9_4plusIvEENS9_8equal_toIvEEtEE10hipError_tPvRmT2_T3_T4_T5_mT6_T7_P12ihipStream_tbENKUlT_T0_E_clISt17integral_constantIbLb1EES11_EEDaSW_SX_EUlSW_E_NS1_11comp_targetILNS1_3genE2ELNS1_11target_archE906ELNS1_3gpuE6ELNS1_3repE0EEENS1_30default_config_static_selectorELNS0_4arch9wavefront6targetE0EEEvT1_ ; -- Begin function _ZN7rocprim17ROCPRIM_400000_NS6detail17trampoline_kernelINS0_14default_configENS1_27scan_by_key_config_selectorIitEEZZNS1_16scan_by_key_implILNS1_25lookback_scan_determinismE0ELb1ES3_N6thrust23THRUST_200600_302600_NS6detail15normal_iteratorINS9_10device_ptrIiEEEENSB_INSC_ItEEEESG_tNS9_4plusIvEENS9_8equal_toIvEEtEE10hipError_tPvRmT2_T3_T4_T5_mT6_T7_P12ihipStream_tbENKUlT_T0_E_clISt17integral_constantIbLb1EES11_EEDaSW_SX_EUlSW_E_NS1_11comp_targetILNS1_3genE2ELNS1_11target_archE906ELNS1_3gpuE6ELNS1_3repE0EEENS1_30default_config_static_selectorELNS0_4arch9wavefront6targetE0EEEvT1_
	.globl	_ZN7rocprim17ROCPRIM_400000_NS6detail17trampoline_kernelINS0_14default_configENS1_27scan_by_key_config_selectorIitEEZZNS1_16scan_by_key_implILNS1_25lookback_scan_determinismE0ELb1ES3_N6thrust23THRUST_200600_302600_NS6detail15normal_iteratorINS9_10device_ptrIiEEEENSB_INSC_ItEEEESG_tNS9_4plusIvEENS9_8equal_toIvEEtEE10hipError_tPvRmT2_T3_T4_T5_mT6_T7_P12ihipStream_tbENKUlT_T0_E_clISt17integral_constantIbLb1EES11_EEDaSW_SX_EUlSW_E_NS1_11comp_targetILNS1_3genE2ELNS1_11target_archE906ELNS1_3gpuE6ELNS1_3repE0EEENS1_30default_config_static_selectorELNS0_4arch9wavefront6targetE0EEEvT1_
	.p2align	8
	.type	_ZN7rocprim17ROCPRIM_400000_NS6detail17trampoline_kernelINS0_14default_configENS1_27scan_by_key_config_selectorIitEEZZNS1_16scan_by_key_implILNS1_25lookback_scan_determinismE0ELb1ES3_N6thrust23THRUST_200600_302600_NS6detail15normal_iteratorINS9_10device_ptrIiEEEENSB_INSC_ItEEEESG_tNS9_4plusIvEENS9_8equal_toIvEEtEE10hipError_tPvRmT2_T3_T4_T5_mT6_T7_P12ihipStream_tbENKUlT_T0_E_clISt17integral_constantIbLb1EES11_EEDaSW_SX_EUlSW_E_NS1_11comp_targetILNS1_3genE2ELNS1_11target_archE906ELNS1_3gpuE6ELNS1_3repE0EEENS1_30default_config_static_selectorELNS0_4arch9wavefront6targetE0EEEvT1_,@function
_ZN7rocprim17ROCPRIM_400000_NS6detail17trampoline_kernelINS0_14default_configENS1_27scan_by_key_config_selectorIitEEZZNS1_16scan_by_key_implILNS1_25lookback_scan_determinismE0ELb1ES3_N6thrust23THRUST_200600_302600_NS6detail15normal_iteratorINS9_10device_ptrIiEEEENSB_INSC_ItEEEESG_tNS9_4plusIvEENS9_8equal_toIvEEtEE10hipError_tPvRmT2_T3_T4_T5_mT6_T7_P12ihipStream_tbENKUlT_T0_E_clISt17integral_constantIbLb1EES11_EEDaSW_SX_EUlSW_E_NS1_11comp_targetILNS1_3genE2ELNS1_11target_archE906ELNS1_3gpuE6ELNS1_3repE0EEENS1_30default_config_static_selectorELNS0_4arch9wavefront6targetE0EEEvT1_: ; @_ZN7rocprim17ROCPRIM_400000_NS6detail17trampoline_kernelINS0_14default_configENS1_27scan_by_key_config_selectorIitEEZZNS1_16scan_by_key_implILNS1_25lookback_scan_determinismE0ELb1ES3_N6thrust23THRUST_200600_302600_NS6detail15normal_iteratorINS9_10device_ptrIiEEEENSB_INSC_ItEEEESG_tNS9_4plusIvEENS9_8equal_toIvEEtEE10hipError_tPvRmT2_T3_T4_T5_mT6_T7_P12ihipStream_tbENKUlT_T0_E_clISt17integral_constantIbLb1EES11_EEDaSW_SX_EUlSW_E_NS1_11comp_targetILNS1_3genE2ELNS1_11target_archE906ELNS1_3gpuE6ELNS1_3repE0EEENS1_30default_config_static_selectorELNS0_4arch9wavefront6targetE0EEEvT1_
; %bb.0:
	.section	.rodata,"a",@progbits
	.p2align	6, 0x0
	.amdhsa_kernel _ZN7rocprim17ROCPRIM_400000_NS6detail17trampoline_kernelINS0_14default_configENS1_27scan_by_key_config_selectorIitEEZZNS1_16scan_by_key_implILNS1_25lookback_scan_determinismE0ELb1ES3_N6thrust23THRUST_200600_302600_NS6detail15normal_iteratorINS9_10device_ptrIiEEEENSB_INSC_ItEEEESG_tNS9_4plusIvEENS9_8equal_toIvEEtEE10hipError_tPvRmT2_T3_T4_T5_mT6_T7_P12ihipStream_tbENKUlT_T0_E_clISt17integral_constantIbLb1EES11_EEDaSW_SX_EUlSW_E_NS1_11comp_targetILNS1_3genE2ELNS1_11target_archE906ELNS1_3gpuE6ELNS1_3repE0EEENS1_30default_config_static_selectorELNS0_4arch9wavefront6targetE0EEEvT1_
		.amdhsa_group_segment_fixed_size 0
		.amdhsa_private_segment_fixed_size 0
		.amdhsa_kernarg_size 112
		.amdhsa_user_sgpr_count 6
		.amdhsa_user_sgpr_private_segment_buffer 1
		.amdhsa_user_sgpr_dispatch_ptr 0
		.amdhsa_user_sgpr_queue_ptr 0
		.amdhsa_user_sgpr_kernarg_segment_ptr 1
		.amdhsa_user_sgpr_dispatch_id 0
		.amdhsa_user_sgpr_flat_scratch_init 0
		.amdhsa_user_sgpr_private_segment_size 0
		.amdhsa_wavefront_size32 1
		.amdhsa_uses_dynamic_stack 0
		.amdhsa_system_sgpr_private_segment_wavefront_offset 0
		.amdhsa_system_sgpr_workgroup_id_x 1
		.amdhsa_system_sgpr_workgroup_id_y 0
		.amdhsa_system_sgpr_workgroup_id_z 0
		.amdhsa_system_sgpr_workgroup_info 0
		.amdhsa_system_vgpr_workitem_id 0
		.amdhsa_next_free_vgpr 1
		.amdhsa_next_free_sgpr 1
		.amdhsa_reserve_vcc 0
		.amdhsa_reserve_flat_scratch 0
		.amdhsa_float_round_mode_32 0
		.amdhsa_float_round_mode_16_64 0
		.amdhsa_float_denorm_mode_32 3
		.amdhsa_float_denorm_mode_16_64 3
		.amdhsa_dx10_clamp 1
		.amdhsa_ieee_mode 1
		.amdhsa_fp16_overflow 0
		.amdhsa_workgroup_processor_mode 1
		.amdhsa_memory_ordered 1
		.amdhsa_forward_progress 1
		.amdhsa_shared_vgpr_count 0
		.amdhsa_exception_fp_ieee_invalid_op 0
		.amdhsa_exception_fp_denorm_src 0
		.amdhsa_exception_fp_ieee_div_zero 0
		.amdhsa_exception_fp_ieee_overflow 0
		.amdhsa_exception_fp_ieee_underflow 0
		.amdhsa_exception_fp_ieee_inexact 0
		.amdhsa_exception_int_div_zero 0
	.end_amdhsa_kernel
	.section	.text._ZN7rocprim17ROCPRIM_400000_NS6detail17trampoline_kernelINS0_14default_configENS1_27scan_by_key_config_selectorIitEEZZNS1_16scan_by_key_implILNS1_25lookback_scan_determinismE0ELb1ES3_N6thrust23THRUST_200600_302600_NS6detail15normal_iteratorINS9_10device_ptrIiEEEENSB_INSC_ItEEEESG_tNS9_4plusIvEENS9_8equal_toIvEEtEE10hipError_tPvRmT2_T3_T4_T5_mT6_T7_P12ihipStream_tbENKUlT_T0_E_clISt17integral_constantIbLb1EES11_EEDaSW_SX_EUlSW_E_NS1_11comp_targetILNS1_3genE2ELNS1_11target_archE906ELNS1_3gpuE6ELNS1_3repE0EEENS1_30default_config_static_selectorELNS0_4arch9wavefront6targetE0EEEvT1_,"axG",@progbits,_ZN7rocprim17ROCPRIM_400000_NS6detail17trampoline_kernelINS0_14default_configENS1_27scan_by_key_config_selectorIitEEZZNS1_16scan_by_key_implILNS1_25lookback_scan_determinismE0ELb1ES3_N6thrust23THRUST_200600_302600_NS6detail15normal_iteratorINS9_10device_ptrIiEEEENSB_INSC_ItEEEESG_tNS9_4plusIvEENS9_8equal_toIvEEtEE10hipError_tPvRmT2_T3_T4_T5_mT6_T7_P12ihipStream_tbENKUlT_T0_E_clISt17integral_constantIbLb1EES11_EEDaSW_SX_EUlSW_E_NS1_11comp_targetILNS1_3genE2ELNS1_11target_archE906ELNS1_3gpuE6ELNS1_3repE0EEENS1_30default_config_static_selectorELNS0_4arch9wavefront6targetE0EEEvT1_,comdat
.Lfunc_end1549:
	.size	_ZN7rocprim17ROCPRIM_400000_NS6detail17trampoline_kernelINS0_14default_configENS1_27scan_by_key_config_selectorIitEEZZNS1_16scan_by_key_implILNS1_25lookback_scan_determinismE0ELb1ES3_N6thrust23THRUST_200600_302600_NS6detail15normal_iteratorINS9_10device_ptrIiEEEENSB_INSC_ItEEEESG_tNS9_4plusIvEENS9_8equal_toIvEEtEE10hipError_tPvRmT2_T3_T4_T5_mT6_T7_P12ihipStream_tbENKUlT_T0_E_clISt17integral_constantIbLb1EES11_EEDaSW_SX_EUlSW_E_NS1_11comp_targetILNS1_3genE2ELNS1_11target_archE906ELNS1_3gpuE6ELNS1_3repE0EEENS1_30default_config_static_selectorELNS0_4arch9wavefront6targetE0EEEvT1_, .Lfunc_end1549-_ZN7rocprim17ROCPRIM_400000_NS6detail17trampoline_kernelINS0_14default_configENS1_27scan_by_key_config_selectorIitEEZZNS1_16scan_by_key_implILNS1_25lookback_scan_determinismE0ELb1ES3_N6thrust23THRUST_200600_302600_NS6detail15normal_iteratorINS9_10device_ptrIiEEEENSB_INSC_ItEEEESG_tNS9_4plusIvEENS9_8equal_toIvEEtEE10hipError_tPvRmT2_T3_T4_T5_mT6_T7_P12ihipStream_tbENKUlT_T0_E_clISt17integral_constantIbLb1EES11_EEDaSW_SX_EUlSW_E_NS1_11comp_targetILNS1_3genE2ELNS1_11target_archE906ELNS1_3gpuE6ELNS1_3repE0EEENS1_30default_config_static_selectorELNS0_4arch9wavefront6targetE0EEEvT1_
                                        ; -- End function
	.set _ZN7rocprim17ROCPRIM_400000_NS6detail17trampoline_kernelINS0_14default_configENS1_27scan_by_key_config_selectorIitEEZZNS1_16scan_by_key_implILNS1_25lookback_scan_determinismE0ELb1ES3_N6thrust23THRUST_200600_302600_NS6detail15normal_iteratorINS9_10device_ptrIiEEEENSB_INSC_ItEEEESG_tNS9_4plusIvEENS9_8equal_toIvEEtEE10hipError_tPvRmT2_T3_T4_T5_mT6_T7_P12ihipStream_tbENKUlT_T0_E_clISt17integral_constantIbLb1EES11_EEDaSW_SX_EUlSW_E_NS1_11comp_targetILNS1_3genE2ELNS1_11target_archE906ELNS1_3gpuE6ELNS1_3repE0EEENS1_30default_config_static_selectorELNS0_4arch9wavefront6targetE0EEEvT1_.num_vgpr, 0
	.set _ZN7rocprim17ROCPRIM_400000_NS6detail17trampoline_kernelINS0_14default_configENS1_27scan_by_key_config_selectorIitEEZZNS1_16scan_by_key_implILNS1_25lookback_scan_determinismE0ELb1ES3_N6thrust23THRUST_200600_302600_NS6detail15normal_iteratorINS9_10device_ptrIiEEEENSB_INSC_ItEEEESG_tNS9_4plusIvEENS9_8equal_toIvEEtEE10hipError_tPvRmT2_T3_T4_T5_mT6_T7_P12ihipStream_tbENKUlT_T0_E_clISt17integral_constantIbLb1EES11_EEDaSW_SX_EUlSW_E_NS1_11comp_targetILNS1_3genE2ELNS1_11target_archE906ELNS1_3gpuE6ELNS1_3repE0EEENS1_30default_config_static_selectorELNS0_4arch9wavefront6targetE0EEEvT1_.num_agpr, 0
	.set _ZN7rocprim17ROCPRIM_400000_NS6detail17trampoline_kernelINS0_14default_configENS1_27scan_by_key_config_selectorIitEEZZNS1_16scan_by_key_implILNS1_25lookback_scan_determinismE0ELb1ES3_N6thrust23THRUST_200600_302600_NS6detail15normal_iteratorINS9_10device_ptrIiEEEENSB_INSC_ItEEEESG_tNS9_4plusIvEENS9_8equal_toIvEEtEE10hipError_tPvRmT2_T3_T4_T5_mT6_T7_P12ihipStream_tbENKUlT_T0_E_clISt17integral_constantIbLb1EES11_EEDaSW_SX_EUlSW_E_NS1_11comp_targetILNS1_3genE2ELNS1_11target_archE906ELNS1_3gpuE6ELNS1_3repE0EEENS1_30default_config_static_selectorELNS0_4arch9wavefront6targetE0EEEvT1_.numbered_sgpr, 0
	.set _ZN7rocprim17ROCPRIM_400000_NS6detail17trampoline_kernelINS0_14default_configENS1_27scan_by_key_config_selectorIitEEZZNS1_16scan_by_key_implILNS1_25lookback_scan_determinismE0ELb1ES3_N6thrust23THRUST_200600_302600_NS6detail15normal_iteratorINS9_10device_ptrIiEEEENSB_INSC_ItEEEESG_tNS9_4plusIvEENS9_8equal_toIvEEtEE10hipError_tPvRmT2_T3_T4_T5_mT6_T7_P12ihipStream_tbENKUlT_T0_E_clISt17integral_constantIbLb1EES11_EEDaSW_SX_EUlSW_E_NS1_11comp_targetILNS1_3genE2ELNS1_11target_archE906ELNS1_3gpuE6ELNS1_3repE0EEENS1_30default_config_static_selectorELNS0_4arch9wavefront6targetE0EEEvT1_.num_named_barrier, 0
	.set _ZN7rocprim17ROCPRIM_400000_NS6detail17trampoline_kernelINS0_14default_configENS1_27scan_by_key_config_selectorIitEEZZNS1_16scan_by_key_implILNS1_25lookback_scan_determinismE0ELb1ES3_N6thrust23THRUST_200600_302600_NS6detail15normal_iteratorINS9_10device_ptrIiEEEENSB_INSC_ItEEEESG_tNS9_4plusIvEENS9_8equal_toIvEEtEE10hipError_tPvRmT2_T3_T4_T5_mT6_T7_P12ihipStream_tbENKUlT_T0_E_clISt17integral_constantIbLb1EES11_EEDaSW_SX_EUlSW_E_NS1_11comp_targetILNS1_3genE2ELNS1_11target_archE906ELNS1_3gpuE6ELNS1_3repE0EEENS1_30default_config_static_selectorELNS0_4arch9wavefront6targetE0EEEvT1_.private_seg_size, 0
	.set _ZN7rocprim17ROCPRIM_400000_NS6detail17trampoline_kernelINS0_14default_configENS1_27scan_by_key_config_selectorIitEEZZNS1_16scan_by_key_implILNS1_25lookback_scan_determinismE0ELb1ES3_N6thrust23THRUST_200600_302600_NS6detail15normal_iteratorINS9_10device_ptrIiEEEENSB_INSC_ItEEEESG_tNS9_4plusIvEENS9_8equal_toIvEEtEE10hipError_tPvRmT2_T3_T4_T5_mT6_T7_P12ihipStream_tbENKUlT_T0_E_clISt17integral_constantIbLb1EES11_EEDaSW_SX_EUlSW_E_NS1_11comp_targetILNS1_3genE2ELNS1_11target_archE906ELNS1_3gpuE6ELNS1_3repE0EEENS1_30default_config_static_selectorELNS0_4arch9wavefront6targetE0EEEvT1_.uses_vcc, 0
	.set _ZN7rocprim17ROCPRIM_400000_NS6detail17trampoline_kernelINS0_14default_configENS1_27scan_by_key_config_selectorIitEEZZNS1_16scan_by_key_implILNS1_25lookback_scan_determinismE0ELb1ES3_N6thrust23THRUST_200600_302600_NS6detail15normal_iteratorINS9_10device_ptrIiEEEENSB_INSC_ItEEEESG_tNS9_4plusIvEENS9_8equal_toIvEEtEE10hipError_tPvRmT2_T3_T4_T5_mT6_T7_P12ihipStream_tbENKUlT_T0_E_clISt17integral_constantIbLb1EES11_EEDaSW_SX_EUlSW_E_NS1_11comp_targetILNS1_3genE2ELNS1_11target_archE906ELNS1_3gpuE6ELNS1_3repE0EEENS1_30default_config_static_selectorELNS0_4arch9wavefront6targetE0EEEvT1_.uses_flat_scratch, 0
	.set _ZN7rocprim17ROCPRIM_400000_NS6detail17trampoline_kernelINS0_14default_configENS1_27scan_by_key_config_selectorIitEEZZNS1_16scan_by_key_implILNS1_25lookback_scan_determinismE0ELb1ES3_N6thrust23THRUST_200600_302600_NS6detail15normal_iteratorINS9_10device_ptrIiEEEENSB_INSC_ItEEEESG_tNS9_4plusIvEENS9_8equal_toIvEEtEE10hipError_tPvRmT2_T3_T4_T5_mT6_T7_P12ihipStream_tbENKUlT_T0_E_clISt17integral_constantIbLb1EES11_EEDaSW_SX_EUlSW_E_NS1_11comp_targetILNS1_3genE2ELNS1_11target_archE906ELNS1_3gpuE6ELNS1_3repE0EEENS1_30default_config_static_selectorELNS0_4arch9wavefront6targetE0EEEvT1_.has_dyn_sized_stack, 0
	.set _ZN7rocprim17ROCPRIM_400000_NS6detail17trampoline_kernelINS0_14default_configENS1_27scan_by_key_config_selectorIitEEZZNS1_16scan_by_key_implILNS1_25lookback_scan_determinismE0ELb1ES3_N6thrust23THRUST_200600_302600_NS6detail15normal_iteratorINS9_10device_ptrIiEEEENSB_INSC_ItEEEESG_tNS9_4plusIvEENS9_8equal_toIvEEtEE10hipError_tPvRmT2_T3_T4_T5_mT6_T7_P12ihipStream_tbENKUlT_T0_E_clISt17integral_constantIbLb1EES11_EEDaSW_SX_EUlSW_E_NS1_11comp_targetILNS1_3genE2ELNS1_11target_archE906ELNS1_3gpuE6ELNS1_3repE0EEENS1_30default_config_static_selectorELNS0_4arch9wavefront6targetE0EEEvT1_.has_recursion, 0
	.set _ZN7rocprim17ROCPRIM_400000_NS6detail17trampoline_kernelINS0_14default_configENS1_27scan_by_key_config_selectorIitEEZZNS1_16scan_by_key_implILNS1_25lookback_scan_determinismE0ELb1ES3_N6thrust23THRUST_200600_302600_NS6detail15normal_iteratorINS9_10device_ptrIiEEEENSB_INSC_ItEEEESG_tNS9_4plusIvEENS9_8equal_toIvEEtEE10hipError_tPvRmT2_T3_T4_T5_mT6_T7_P12ihipStream_tbENKUlT_T0_E_clISt17integral_constantIbLb1EES11_EEDaSW_SX_EUlSW_E_NS1_11comp_targetILNS1_3genE2ELNS1_11target_archE906ELNS1_3gpuE6ELNS1_3repE0EEENS1_30default_config_static_selectorELNS0_4arch9wavefront6targetE0EEEvT1_.has_indirect_call, 0
	.section	.AMDGPU.csdata,"",@progbits
; Kernel info:
; codeLenInByte = 0
; TotalNumSgprs: 0
; NumVgprs: 0
; ScratchSize: 0
; MemoryBound: 0
; FloatMode: 240
; IeeeMode: 1
; LDSByteSize: 0 bytes/workgroup (compile time only)
; SGPRBlocks: 0
; VGPRBlocks: 0
; NumSGPRsForWavesPerEU: 1
; NumVGPRsForWavesPerEU: 1
; Occupancy: 16
; WaveLimiterHint : 0
; COMPUTE_PGM_RSRC2:SCRATCH_EN: 0
; COMPUTE_PGM_RSRC2:USER_SGPR: 6
; COMPUTE_PGM_RSRC2:TRAP_HANDLER: 0
; COMPUTE_PGM_RSRC2:TGID_X_EN: 1
; COMPUTE_PGM_RSRC2:TGID_Y_EN: 0
; COMPUTE_PGM_RSRC2:TGID_Z_EN: 0
; COMPUTE_PGM_RSRC2:TIDIG_COMP_CNT: 0
	.section	.text._ZN7rocprim17ROCPRIM_400000_NS6detail17trampoline_kernelINS0_14default_configENS1_27scan_by_key_config_selectorIitEEZZNS1_16scan_by_key_implILNS1_25lookback_scan_determinismE0ELb1ES3_N6thrust23THRUST_200600_302600_NS6detail15normal_iteratorINS9_10device_ptrIiEEEENSB_INSC_ItEEEESG_tNS9_4plusIvEENS9_8equal_toIvEEtEE10hipError_tPvRmT2_T3_T4_T5_mT6_T7_P12ihipStream_tbENKUlT_T0_E_clISt17integral_constantIbLb1EES11_EEDaSW_SX_EUlSW_E_NS1_11comp_targetILNS1_3genE10ELNS1_11target_archE1200ELNS1_3gpuE4ELNS1_3repE0EEENS1_30default_config_static_selectorELNS0_4arch9wavefront6targetE0EEEvT1_,"axG",@progbits,_ZN7rocprim17ROCPRIM_400000_NS6detail17trampoline_kernelINS0_14default_configENS1_27scan_by_key_config_selectorIitEEZZNS1_16scan_by_key_implILNS1_25lookback_scan_determinismE0ELb1ES3_N6thrust23THRUST_200600_302600_NS6detail15normal_iteratorINS9_10device_ptrIiEEEENSB_INSC_ItEEEESG_tNS9_4plusIvEENS9_8equal_toIvEEtEE10hipError_tPvRmT2_T3_T4_T5_mT6_T7_P12ihipStream_tbENKUlT_T0_E_clISt17integral_constantIbLb1EES11_EEDaSW_SX_EUlSW_E_NS1_11comp_targetILNS1_3genE10ELNS1_11target_archE1200ELNS1_3gpuE4ELNS1_3repE0EEENS1_30default_config_static_selectorELNS0_4arch9wavefront6targetE0EEEvT1_,comdat
	.protected	_ZN7rocprim17ROCPRIM_400000_NS6detail17trampoline_kernelINS0_14default_configENS1_27scan_by_key_config_selectorIitEEZZNS1_16scan_by_key_implILNS1_25lookback_scan_determinismE0ELb1ES3_N6thrust23THRUST_200600_302600_NS6detail15normal_iteratorINS9_10device_ptrIiEEEENSB_INSC_ItEEEESG_tNS9_4plusIvEENS9_8equal_toIvEEtEE10hipError_tPvRmT2_T3_T4_T5_mT6_T7_P12ihipStream_tbENKUlT_T0_E_clISt17integral_constantIbLb1EES11_EEDaSW_SX_EUlSW_E_NS1_11comp_targetILNS1_3genE10ELNS1_11target_archE1200ELNS1_3gpuE4ELNS1_3repE0EEENS1_30default_config_static_selectorELNS0_4arch9wavefront6targetE0EEEvT1_ ; -- Begin function _ZN7rocprim17ROCPRIM_400000_NS6detail17trampoline_kernelINS0_14default_configENS1_27scan_by_key_config_selectorIitEEZZNS1_16scan_by_key_implILNS1_25lookback_scan_determinismE0ELb1ES3_N6thrust23THRUST_200600_302600_NS6detail15normal_iteratorINS9_10device_ptrIiEEEENSB_INSC_ItEEEESG_tNS9_4plusIvEENS9_8equal_toIvEEtEE10hipError_tPvRmT2_T3_T4_T5_mT6_T7_P12ihipStream_tbENKUlT_T0_E_clISt17integral_constantIbLb1EES11_EEDaSW_SX_EUlSW_E_NS1_11comp_targetILNS1_3genE10ELNS1_11target_archE1200ELNS1_3gpuE4ELNS1_3repE0EEENS1_30default_config_static_selectorELNS0_4arch9wavefront6targetE0EEEvT1_
	.globl	_ZN7rocprim17ROCPRIM_400000_NS6detail17trampoline_kernelINS0_14default_configENS1_27scan_by_key_config_selectorIitEEZZNS1_16scan_by_key_implILNS1_25lookback_scan_determinismE0ELb1ES3_N6thrust23THRUST_200600_302600_NS6detail15normal_iteratorINS9_10device_ptrIiEEEENSB_INSC_ItEEEESG_tNS9_4plusIvEENS9_8equal_toIvEEtEE10hipError_tPvRmT2_T3_T4_T5_mT6_T7_P12ihipStream_tbENKUlT_T0_E_clISt17integral_constantIbLb1EES11_EEDaSW_SX_EUlSW_E_NS1_11comp_targetILNS1_3genE10ELNS1_11target_archE1200ELNS1_3gpuE4ELNS1_3repE0EEENS1_30default_config_static_selectorELNS0_4arch9wavefront6targetE0EEEvT1_
	.p2align	8
	.type	_ZN7rocprim17ROCPRIM_400000_NS6detail17trampoline_kernelINS0_14default_configENS1_27scan_by_key_config_selectorIitEEZZNS1_16scan_by_key_implILNS1_25lookback_scan_determinismE0ELb1ES3_N6thrust23THRUST_200600_302600_NS6detail15normal_iteratorINS9_10device_ptrIiEEEENSB_INSC_ItEEEESG_tNS9_4plusIvEENS9_8equal_toIvEEtEE10hipError_tPvRmT2_T3_T4_T5_mT6_T7_P12ihipStream_tbENKUlT_T0_E_clISt17integral_constantIbLb1EES11_EEDaSW_SX_EUlSW_E_NS1_11comp_targetILNS1_3genE10ELNS1_11target_archE1200ELNS1_3gpuE4ELNS1_3repE0EEENS1_30default_config_static_selectorELNS0_4arch9wavefront6targetE0EEEvT1_,@function
_ZN7rocprim17ROCPRIM_400000_NS6detail17trampoline_kernelINS0_14default_configENS1_27scan_by_key_config_selectorIitEEZZNS1_16scan_by_key_implILNS1_25lookback_scan_determinismE0ELb1ES3_N6thrust23THRUST_200600_302600_NS6detail15normal_iteratorINS9_10device_ptrIiEEEENSB_INSC_ItEEEESG_tNS9_4plusIvEENS9_8equal_toIvEEtEE10hipError_tPvRmT2_T3_T4_T5_mT6_T7_P12ihipStream_tbENKUlT_T0_E_clISt17integral_constantIbLb1EES11_EEDaSW_SX_EUlSW_E_NS1_11comp_targetILNS1_3genE10ELNS1_11target_archE1200ELNS1_3gpuE4ELNS1_3repE0EEENS1_30default_config_static_selectorELNS0_4arch9wavefront6targetE0EEEvT1_: ; @_ZN7rocprim17ROCPRIM_400000_NS6detail17trampoline_kernelINS0_14default_configENS1_27scan_by_key_config_selectorIitEEZZNS1_16scan_by_key_implILNS1_25lookback_scan_determinismE0ELb1ES3_N6thrust23THRUST_200600_302600_NS6detail15normal_iteratorINS9_10device_ptrIiEEEENSB_INSC_ItEEEESG_tNS9_4plusIvEENS9_8equal_toIvEEtEE10hipError_tPvRmT2_T3_T4_T5_mT6_T7_P12ihipStream_tbENKUlT_T0_E_clISt17integral_constantIbLb1EES11_EEDaSW_SX_EUlSW_E_NS1_11comp_targetILNS1_3genE10ELNS1_11target_archE1200ELNS1_3gpuE4ELNS1_3repE0EEENS1_30default_config_static_selectorELNS0_4arch9wavefront6targetE0EEEvT1_
; %bb.0:
	.section	.rodata,"a",@progbits
	.p2align	6, 0x0
	.amdhsa_kernel _ZN7rocprim17ROCPRIM_400000_NS6detail17trampoline_kernelINS0_14default_configENS1_27scan_by_key_config_selectorIitEEZZNS1_16scan_by_key_implILNS1_25lookback_scan_determinismE0ELb1ES3_N6thrust23THRUST_200600_302600_NS6detail15normal_iteratorINS9_10device_ptrIiEEEENSB_INSC_ItEEEESG_tNS9_4plusIvEENS9_8equal_toIvEEtEE10hipError_tPvRmT2_T3_T4_T5_mT6_T7_P12ihipStream_tbENKUlT_T0_E_clISt17integral_constantIbLb1EES11_EEDaSW_SX_EUlSW_E_NS1_11comp_targetILNS1_3genE10ELNS1_11target_archE1200ELNS1_3gpuE4ELNS1_3repE0EEENS1_30default_config_static_selectorELNS0_4arch9wavefront6targetE0EEEvT1_
		.amdhsa_group_segment_fixed_size 0
		.amdhsa_private_segment_fixed_size 0
		.amdhsa_kernarg_size 112
		.amdhsa_user_sgpr_count 6
		.amdhsa_user_sgpr_private_segment_buffer 1
		.amdhsa_user_sgpr_dispatch_ptr 0
		.amdhsa_user_sgpr_queue_ptr 0
		.amdhsa_user_sgpr_kernarg_segment_ptr 1
		.amdhsa_user_sgpr_dispatch_id 0
		.amdhsa_user_sgpr_flat_scratch_init 0
		.amdhsa_user_sgpr_private_segment_size 0
		.amdhsa_wavefront_size32 1
		.amdhsa_uses_dynamic_stack 0
		.amdhsa_system_sgpr_private_segment_wavefront_offset 0
		.amdhsa_system_sgpr_workgroup_id_x 1
		.amdhsa_system_sgpr_workgroup_id_y 0
		.amdhsa_system_sgpr_workgroup_id_z 0
		.amdhsa_system_sgpr_workgroup_info 0
		.amdhsa_system_vgpr_workitem_id 0
		.amdhsa_next_free_vgpr 1
		.amdhsa_next_free_sgpr 1
		.amdhsa_reserve_vcc 0
		.amdhsa_reserve_flat_scratch 0
		.amdhsa_float_round_mode_32 0
		.amdhsa_float_round_mode_16_64 0
		.amdhsa_float_denorm_mode_32 3
		.amdhsa_float_denorm_mode_16_64 3
		.amdhsa_dx10_clamp 1
		.amdhsa_ieee_mode 1
		.amdhsa_fp16_overflow 0
		.amdhsa_workgroup_processor_mode 1
		.amdhsa_memory_ordered 1
		.amdhsa_forward_progress 1
		.amdhsa_shared_vgpr_count 0
		.amdhsa_exception_fp_ieee_invalid_op 0
		.amdhsa_exception_fp_denorm_src 0
		.amdhsa_exception_fp_ieee_div_zero 0
		.amdhsa_exception_fp_ieee_overflow 0
		.amdhsa_exception_fp_ieee_underflow 0
		.amdhsa_exception_fp_ieee_inexact 0
		.amdhsa_exception_int_div_zero 0
	.end_amdhsa_kernel
	.section	.text._ZN7rocprim17ROCPRIM_400000_NS6detail17trampoline_kernelINS0_14default_configENS1_27scan_by_key_config_selectorIitEEZZNS1_16scan_by_key_implILNS1_25lookback_scan_determinismE0ELb1ES3_N6thrust23THRUST_200600_302600_NS6detail15normal_iteratorINS9_10device_ptrIiEEEENSB_INSC_ItEEEESG_tNS9_4plusIvEENS9_8equal_toIvEEtEE10hipError_tPvRmT2_T3_T4_T5_mT6_T7_P12ihipStream_tbENKUlT_T0_E_clISt17integral_constantIbLb1EES11_EEDaSW_SX_EUlSW_E_NS1_11comp_targetILNS1_3genE10ELNS1_11target_archE1200ELNS1_3gpuE4ELNS1_3repE0EEENS1_30default_config_static_selectorELNS0_4arch9wavefront6targetE0EEEvT1_,"axG",@progbits,_ZN7rocprim17ROCPRIM_400000_NS6detail17trampoline_kernelINS0_14default_configENS1_27scan_by_key_config_selectorIitEEZZNS1_16scan_by_key_implILNS1_25lookback_scan_determinismE0ELb1ES3_N6thrust23THRUST_200600_302600_NS6detail15normal_iteratorINS9_10device_ptrIiEEEENSB_INSC_ItEEEESG_tNS9_4plusIvEENS9_8equal_toIvEEtEE10hipError_tPvRmT2_T3_T4_T5_mT6_T7_P12ihipStream_tbENKUlT_T0_E_clISt17integral_constantIbLb1EES11_EEDaSW_SX_EUlSW_E_NS1_11comp_targetILNS1_3genE10ELNS1_11target_archE1200ELNS1_3gpuE4ELNS1_3repE0EEENS1_30default_config_static_selectorELNS0_4arch9wavefront6targetE0EEEvT1_,comdat
.Lfunc_end1550:
	.size	_ZN7rocprim17ROCPRIM_400000_NS6detail17trampoline_kernelINS0_14default_configENS1_27scan_by_key_config_selectorIitEEZZNS1_16scan_by_key_implILNS1_25lookback_scan_determinismE0ELb1ES3_N6thrust23THRUST_200600_302600_NS6detail15normal_iteratorINS9_10device_ptrIiEEEENSB_INSC_ItEEEESG_tNS9_4plusIvEENS9_8equal_toIvEEtEE10hipError_tPvRmT2_T3_T4_T5_mT6_T7_P12ihipStream_tbENKUlT_T0_E_clISt17integral_constantIbLb1EES11_EEDaSW_SX_EUlSW_E_NS1_11comp_targetILNS1_3genE10ELNS1_11target_archE1200ELNS1_3gpuE4ELNS1_3repE0EEENS1_30default_config_static_selectorELNS0_4arch9wavefront6targetE0EEEvT1_, .Lfunc_end1550-_ZN7rocprim17ROCPRIM_400000_NS6detail17trampoline_kernelINS0_14default_configENS1_27scan_by_key_config_selectorIitEEZZNS1_16scan_by_key_implILNS1_25lookback_scan_determinismE0ELb1ES3_N6thrust23THRUST_200600_302600_NS6detail15normal_iteratorINS9_10device_ptrIiEEEENSB_INSC_ItEEEESG_tNS9_4plusIvEENS9_8equal_toIvEEtEE10hipError_tPvRmT2_T3_T4_T5_mT6_T7_P12ihipStream_tbENKUlT_T0_E_clISt17integral_constantIbLb1EES11_EEDaSW_SX_EUlSW_E_NS1_11comp_targetILNS1_3genE10ELNS1_11target_archE1200ELNS1_3gpuE4ELNS1_3repE0EEENS1_30default_config_static_selectorELNS0_4arch9wavefront6targetE0EEEvT1_
                                        ; -- End function
	.set _ZN7rocprim17ROCPRIM_400000_NS6detail17trampoline_kernelINS0_14default_configENS1_27scan_by_key_config_selectorIitEEZZNS1_16scan_by_key_implILNS1_25lookback_scan_determinismE0ELb1ES3_N6thrust23THRUST_200600_302600_NS6detail15normal_iteratorINS9_10device_ptrIiEEEENSB_INSC_ItEEEESG_tNS9_4plusIvEENS9_8equal_toIvEEtEE10hipError_tPvRmT2_T3_T4_T5_mT6_T7_P12ihipStream_tbENKUlT_T0_E_clISt17integral_constantIbLb1EES11_EEDaSW_SX_EUlSW_E_NS1_11comp_targetILNS1_3genE10ELNS1_11target_archE1200ELNS1_3gpuE4ELNS1_3repE0EEENS1_30default_config_static_selectorELNS0_4arch9wavefront6targetE0EEEvT1_.num_vgpr, 0
	.set _ZN7rocprim17ROCPRIM_400000_NS6detail17trampoline_kernelINS0_14default_configENS1_27scan_by_key_config_selectorIitEEZZNS1_16scan_by_key_implILNS1_25lookback_scan_determinismE0ELb1ES3_N6thrust23THRUST_200600_302600_NS6detail15normal_iteratorINS9_10device_ptrIiEEEENSB_INSC_ItEEEESG_tNS9_4plusIvEENS9_8equal_toIvEEtEE10hipError_tPvRmT2_T3_T4_T5_mT6_T7_P12ihipStream_tbENKUlT_T0_E_clISt17integral_constantIbLb1EES11_EEDaSW_SX_EUlSW_E_NS1_11comp_targetILNS1_3genE10ELNS1_11target_archE1200ELNS1_3gpuE4ELNS1_3repE0EEENS1_30default_config_static_selectorELNS0_4arch9wavefront6targetE0EEEvT1_.num_agpr, 0
	.set _ZN7rocprim17ROCPRIM_400000_NS6detail17trampoline_kernelINS0_14default_configENS1_27scan_by_key_config_selectorIitEEZZNS1_16scan_by_key_implILNS1_25lookback_scan_determinismE0ELb1ES3_N6thrust23THRUST_200600_302600_NS6detail15normal_iteratorINS9_10device_ptrIiEEEENSB_INSC_ItEEEESG_tNS9_4plusIvEENS9_8equal_toIvEEtEE10hipError_tPvRmT2_T3_T4_T5_mT6_T7_P12ihipStream_tbENKUlT_T0_E_clISt17integral_constantIbLb1EES11_EEDaSW_SX_EUlSW_E_NS1_11comp_targetILNS1_3genE10ELNS1_11target_archE1200ELNS1_3gpuE4ELNS1_3repE0EEENS1_30default_config_static_selectorELNS0_4arch9wavefront6targetE0EEEvT1_.numbered_sgpr, 0
	.set _ZN7rocprim17ROCPRIM_400000_NS6detail17trampoline_kernelINS0_14default_configENS1_27scan_by_key_config_selectorIitEEZZNS1_16scan_by_key_implILNS1_25lookback_scan_determinismE0ELb1ES3_N6thrust23THRUST_200600_302600_NS6detail15normal_iteratorINS9_10device_ptrIiEEEENSB_INSC_ItEEEESG_tNS9_4plusIvEENS9_8equal_toIvEEtEE10hipError_tPvRmT2_T3_T4_T5_mT6_T7_P12ihipStream_tbENKUlT_T0_E_clISt17integral_constantIbLb1EES11_EEDaSW_SX_EUlSW_E_NS1_11comp_targetILNS1_3genE10ELNS1_11target_archE1200ELNS1_3gpuE4ELNS1_3repE0EEENS1_30default_config_static_selectorELNS0_4arch9wavefront6targetE0EEEvT1_.num_named_barrier, 0
	.set _ZN7rocprim17ROCPRIM_400000_NS6detail17trampoline_kernelINS0_14default_configENS1_27scan_by_key_config_selectorIitEEZZNS1_16scan_by_key_implILNS1_25lookback_scan_determinismE0ELb1ES3_N6thrust23THRUST_200600_302600_NS6detail15normal_iteratorINS9_10device_ptrIiEEEENSB_INSC_ItEEEESG_tNS9_4plusIvEENS9_8equal_toIvEEtEE10hipError_tPvRmT2_T3_T4_T5_mT6_T7_P12ihipStream_tbENKUlT_T0_E_clISt17integral_constantIbLb1EES11_EEDaSW_SX_EUlSW_E_NS1_11comp_targetILNS1_3genE10ELNS1_11target_archE1200ELNS1_3gpuE4ELNS1_3repE0EEENS1_30default_config_static_selectorELNS0_4arch9wavefront6targetE0EEEvT1_.private_seg_size, 0
	.set _ZN7rocprim17ROCPRIM_400000_NS6detail17trampoline_kernelINS0_14default_configENS1_27scan_by_key_config_selectorIitEEZZNS1_16scan_by_key_implILNS1_25lookback_scan_determinismE0ELb1ES3_N6thrust23THRUST_200600_302600_NS6detail15normal_iteratorINS9_10device_ptrIiEEEENSB_INSC_ItEEEESG_tNS9_4plusIvEENS9_8equal_toIvEEtEE10hipError_tPvRmT2_T3_T4_T5_mT6_T7_P12ihipStream_tbENKUlT_T0_E_clISt17integral_constantIbLb1EES11_EEDaSW_SX_EUlSW_E_NS1_11comp_targetILNS1_3genE10ELNS1_11target_archE1200ELNS1_3gpuE4ELNS1_3repE0EEENS1_30default_config_static_selectorELNS0_4arch9wavefront6targetE0EEEvT1_.uses_vcc, 0
	.set _ZN7rocprim17ROCPRIM_400000_NS6detail17trampoline_kernelINS0_14default_configENS1_27scan_by_key_config_selectorIitEEZZNS1_16scan_by_key_implILNS1_25lookback_scan_determinismE0ELb1ES3_N6thrust23THRUST_200600_302600_NS6detail15normal_iteratorINS9_10device_ptrIiEEEENSB_INSC_ItEEEESG_tNS9_4plusIvEENS9_8equal_toIvEEtEE10hipError_tPvRmT2_T3_T4_T5_mT6_T7_P12ihipStream_tbENKUlT_T0_E_clISt17integral_constantIbLb1EES11_EEDaSW_SX_EUlSW_E_NS1_11comp_targetILNS1_3genE10ELNS1_11target_archE1200ELNS1_3gpuE4ELNS1_3repE0EEENS1_30default_config_static_selectorELNS0_4arch9wavefront6targetE0EEEvT1_.uses_flat_scratch, 0
	.set _ZN7rocprim17ROCPRIM_400000_NS6detail17trampoline_kernelINS0_14default_configENS1_27scan_by_key_config_selectorIitEEZZNS1_16scan_by_key_implILNS1_25lookback_scan_determinismE0ELb1ES3_N6thrust23THRUST_200600_302600_NS6detail15normal_iteratorINS9_10device_ptrIiEEEENSB_INSC_ItEEEESG_tNS9_4plusIvEENS9_8equal_toIvEEtEE10hipError_tPvRmT2_T3_T4_T5_mT6_T7_P12ihipStream_tbENKUlT_T0_E_clISt17integral_constantIbLb1EES11_EEDaSW_SX_EUlSW_E_NS1_11comp_targetILNS1_3genE10ELNS1_11target_archE1200ELNS1_3gpuE4ELNS1_3repE0EEENS1_30default_config_static_selectorELNS0_4arch9wavefront6targetE0EEEvT1_.has_dyn_sized_stack, 0
	.set _ZN7rocprim17ROCPRIM_400000_NS6detail17trampoline_kernelINS0_14default_configENS1_27scan_by_key_config_selectorIitEEZZNS1_16scan_by_key_implILNS1_25lookback_scan_determinismE0ELb1ES3_N6thrust23THRUST_200600_302600_NS6detail15normal_iteratorINS9_10device_ptrIiEEEENSB_INSC_ItEEEESG_tNS9_4plusIvEENS9_8equal_toIvEEtEE10hipError_tPvRmT2_T3_T4_T5_mT6_T7_P12ihipStream_tbENKUlT_T0_E_clISt17integral_constantIbLb1EES11_EEDaSW_SX_EUlSW_E_NS1_11comp_targetILNS1_3genE10ELNS1_11target_archE1200ELNS1_3gpuE4ELNS1_3repE0EEENS1_30default_config_static_selectorELNS0_4arch9wavefront6targetE0EEEvT1_.has_recursion, 0
	.set _ZN7rocprim17ROCPRIM_400000_NS6detail17trampoline_kernelINS0_14default_configENS1_27scan_by_key_config_selectorIitEEZZNS1_16scan_by_key_implILNS1_25lookback_scan_determinismE0ELb1ES3_N6thrust23THRUST_200600_302600_NS6detail15normal_iteratorINS9_10device_ptrIiEEEENSB_INSC_ItEEEESG_tNS9_4plusIvEENS9_8equal_toIvEEtEE10hipError_tPvRmT2_T3_T4_T5_mT6_T7_P12ihipStream_tbENKUlT_T0_E_clISt17integral_constantIbLb1EES11_EEDaSW_SX_EUlSW_E_NS1_11comp_targetILNS1_3genE10ELNS1_11target_archE1200ELNS1_3gpuE4ELNS1_3repE0EEENS1_30default_config_static_selectorELNS0_4arch9wavefront6targetE0EEEvT1_.has_indirect_call, 0
	.section	.AMDGPU.csdata,"",@progbits
; Kernel info:
; codeLenInByte = 0
; TotalNumSgprs: 0
; NumVgprs: 0
; ScratchSize: 0
; MemoryBound: 0
; FloatMode: 240
; IeeeMode: 1
; LDSByteSize: 0 bytes/workgroup (compile time only)
; SGPRBlocks: 0
; VGPRBlocks: 0
; NumSGPRsForWavesPerEU: 1
; NumVGPRsForWavesPerEU: 1
; Occupancy: 16
; WaveLimiterHint : 0
; COMPUTE_PGM_RSRC2:SCRATCH_EN: 0
; COMPUTE_PGM_RSRC2:USER_SGPR: 6
; COMPUTE_PGM_RSRC2:TRAP_HANDLER: 0
; COMPUTE_PGM_RSRC2:TGID_X_EN: 1
; COMPUTE_PGM_RSRC2:TGID_Y_EN: 0
; COMPUTE_PGM_RSRC2:TGID_Z_EN: 0
; COMPUTE_PGM_RSRC2:TIDIG_COMP_CNT: 0
	.section	.text._ZN7rocprim17ROCPRIM_400000_NS6detail17trampoline_kernelINS0_14default_configENS1_27scan_by_key_config_selectorIitEEZZNS1_16scan_by_key_implILNS1_25lookback_scan_determinismE0ELb1ES3_N6thrust23THRUST_200600_302600_NS6detail15normal_iteratorINS9_10device_ptrIiEEEENSB_INSC_ItEEEESG_tNS9_4plusIvEENS9_8equal_toIvEEtEE10hipError_tPvRmT2_T3_T4_T5_mT6_T7_P12ihipStream_tbENKUlT_T0_E_clISt17integral_constantIbLb1EES11_EEDaSW_SX_EUlSW_E_NS1_11comp_targetILNS1_3genE9ELNS1_11target_archE1100ELNS1_3gpuE3ELNS1_3repE0EEENS1_30default_config_static_selectorELNS0_4arch9wavefront6targetE0EEEvT1_,"axG",@progbits,_ZN7rocprim17ROCPRIM_400000_NS6detail17trampoline_kernelINS0_14default_configENS1_27scan_by_key_config_selectorIitEEZZNS1_16scan_by_key_implILNS1_25lookback_scan_determinismE0ELb1ES3_N6thrust23THRUST_200600_302600_NS6detail15normal_iteratorINS9_10device_ptrIiEEEENSB_INSC_ItEEEESG_tNS9_4plusIvEENS9_8equal_toIvEEtEE10hipError_tPvRmT2_T3_T4_T5_mT6_T7_P12ihipStream_tbENKUlT_T0_E_clISt17integral_constantIbLb1EES11_EEDaSW_SX_EUlSW_E_NS1_11comp_targetILNS1_3genE9ELNS1_11target_archE1100ELNS1_3gpuE3ELNS1_3repE0EEENS1_30default_config_static_selectorELNS0_4arch9wavefront6targetE0EEEvT1_,comdat
	.protected	_ZN7rocprim17ROCPRIM_400000_NS6detail17trampoline_kernelINS0_14default_configENS1_27scan_by_key_config_selectorIitEEZZNS1_16scan_by_key_implILNS1_25lookback_scan_determinismE0ELb1ES3_N6thrust23THRUST_200600_302600_NS6detail15normal_iteratorINS9_10device_ptrIiEEEENSB_INSC_ItEEEESG_tNS9_4plusIvEENS9_8equal_toIvEEtEE10hipError_tPvRmT2_T3_T4_T5_mT6_T7_P12ihipStream_tbENKUlT_T0_E_clISt17integral_constantIbLb1EES11_EEDaSW_SX_EUlSW_E_NS1_11comp_targetILNS1_3genE9ELNS1_11target_archE1100ELNS1_3gpuE3ELNS1_3repE0EEENS1_30default_config_static_selectorELNS0_4arch9wavefront6targetE0EEEvT1_ ; -- Begin function _ZN7rocprim17ROCPRIM_400000_NS6detail17trampoline_kernelINS0_14default_configENS1_27scan_by_key_config_selectorIitEEZZNS1_16scan_by_key_implILNS1_25lookback_scan_determinismE0ELb1ES3_N6thrust23THRUST_200600_302600_NS6detail15normal_iteratorINS9_10device_ptrIiEEEENSB_INSC_ItEEEESG_tNS9_4plusIvEENS9_8equal_toIvEEtEE10hipError_tPvRmT2_T3_T4_T5_mT6_T7_P12ihipStream_tbENKUlT_T0_E_clISt17integral_constantIbLb1EES11_EEDaSW_SX_EUlSW_E_NS1_11comp_targetILNS1_3genE9ELNS1_11target_archE1100ELNS1_3gpuE3ELNS1_3repE0EEENS1_30default_config_static_selectorELNS0_4arch9wavefront6targetE0EEEvT1_
	.globl	_ZN7rocprim17ROCPRIM_400000_NS6detail17trampoline_kernelINS0_14default_configENS1_27scan_by_key_config_selectorIitEEZZNS1_16scan_by_key_implILNS1_25lookback_scan_determinismE0ELb1ES3_N6thrust23THRUST_200600_302600_NS6detail15normal_iteratorINS9_10device_ptrIiEEEENSB_INSC_ItEEEESG_tNS9_4plusIvEENS9_8equal_toIvEEtEE10hipError_tPvRmT2_T3_T4_T5_mT6_T7_P12ihipStream_tbENKUlT_T0_E_clISt17integral_constantIbLb1EES11_EEDaSW_SX_EUlSW_E_NS1_11comp_targetILNS1_3genE9ELNS1_11target_archE1100ELNS1_3gpuE3ELNS1_3repE0EEENS1_30default_config_static_selectorELNS0_4arch9wavefront6targetE0EEEvT1_
	.p2align	8
	.type	_ZN7rocprim17ROCPRIM_400000_NS6detail17trampoline_kernelINS0_14default_configENS1_27scan_by_key_config_selectorIitEEZZNS1_16scan_by_key_implILNS1_25lookback_scan_determinismE0ELb1ES3_N6thrust23THRUST_200600_302600_NS6detail15normal_iteratorINS9_10device_ptrIiEEEENSB_INSC_ItEEEESG_tNS9_4plusIvEENS9_8equal_toIvEEtEE10hipError_tPvRmT2_T3_T4_T5_mT6_T7_P12ihipStream_tbENKUlT_T0_E_clISt17integral_constantIbLb1EES11_EEDaSW_SX_EUlSW_E_NS1_11comp_targetILNS1_3genE9ELNS1_11target_archE1100ELNS1_3gpuE3ELNS1_3repE0EEENS1_30default_config_static_selectorELNS0_4arch9wavefront6targetE0EEEvT1_,@function
_ZN7rocprim17ROCPRIM_400000_NS6detail17trampoline_kernelINS0_14default_configENS1_27scan_by_key_config_selectorIitEEZZNS1_16scan_by_key_implILNS1_25lookback_scan_determinismE0ELb1ES3_N6thrust23THRUST_200600_302600_NS6detail15normal_iteratorINS9_10device_ptrIiEEEENSB_INSC_ItEEEESG_tNS9_4plusIvEENS9_8equal_toIvEEtEE10hipError_tPvRmT2_T3_T4_T5_mT6_T7_P12ihipStream_tbENKUlT_T0_E_clISt17integral_constantIbLb1EES11_EEDaSW_SX_EUlSW_E_NS1_11comp_targetILNS1_3genE9ELNS1_11target_archE1100ELNS1_3gpuE3ELNS1_3repE0EEENS1_30default_config_static_selectorELNS0_4arch9wavefront6targetE0EEEvT1_: ; @_ZN7rocprim17ROCPRIM_400000_NS6detail17trampoline_kernelINS0_14default_configENS1_27scan_by_key_config_selectorIitEEZZNS1_16scan_by_key_implILNS1_25lookback_scan_determinismE0ELb1ES3_N6thrust23THRUST_200600_302600_NS6detail15normal_iteratorINS9_10device_ptrIiEEEENSB_INSC_ItEEEESG_tNS9_4plusIvEENS9_8equal_toIvEEtEE10hipError_tPvRmT2_T3_T4_T5_mT6_T7_P12ihipStream_tbENKUlT_T0_E_clISt17integral_constantIbLb1EES11_EEDaSW_SX_EUlSW_E_NS1_11comp_targetILNS1_3genE9ELNS1_11target_archE1100ELNS1_3gpuE3ELNS1_3repE0EEENS1_30default_config_static_selectorELNS0_4arch9wavefront6targetE0EEEvT1_
; %bb.0:
	.section	.rodata,"a",@progbits
	.p2align	6, 0x0
	.amdhsa_kernel _ZN7rocprim17ROCPRIM_400000_NS6detail17trampoline_kernelINS0_14default_configENS1_27scan_by_key_config_selectorIitEEZZNS1_16scan_by_key_implILNS1_25lookback_scan_determinismE0ELb1ES3_N6thrust23THRUST_200600_302600_NS6detail15normal_iteratorINS9_10device_ptrIiEEEENSB_INSC_ItEEEESG_tNS9_4plusIvEENS9_8equal_toIvEEtEE10hipError_tPvRmT2_T3_T4_T5_mT6_T7_P12ihipStream_tbENKUlT_T0_E_clISt17integral_constantIbLb1EES11_EEDaSW_SX_EUlSW_E_NS1_11comp_targetILNS1_3genE9ELNS1_11target_archE1100ELNS1_3gpuE3ELNS1_3repE0EEENS1_30default_config_static_selectorELNS0_4arch9wavefront6targetE0EEEvT1_
		.amdhsa_group_segment_fixed_size 0
		.amdhsa_private_segment_fixed_size 0
		.amdhsa_kernarg_size 112
		.amdhsa_user_sgpr_count 6
		.amdhsa_user_sgpr_private_segment_buffer 1
		.amdhsa_user_sgpr_dispatch_ptr 0
		.amdhsa_user_sgpr_queue_ptr 0
		.amdhsa_user_sgpr_kernarg_segment_ptr 1
		.amdhsa_user_sgpr_dispatch_id 0
		.amdhsa_user_sgpr_flat_scratch_init 0
		.amdhsa_user_sgpr_private_segment_size 0
		.amdhsa_wavefront_size32 1
		.amdhsa_uses_dynamic_stack 0
		.amdhsa_system_sgpr_private_segment_wavefront_offset 0
		.amdhsa_system_sgpr_workgroup_id_x 1
		.amdhsa_system_sgpr_workgroup_id_y 0
		.amdhsa_system_sgpr_workgroup_id_z 0
		.amdhsa_system_sgpr_workgroup_info 0
		.amdhsa_system_vgpr_workitem_id 0
		.amdhsa_next_free_vgpr 1
		.amdhsa_next_free_sgpr 1
		.amdhsa_reserve_vcc 0
		.amdhsa_reserve_flat_scratch 0
		.amdhsa_float_round_mode_32 0
		.amdhsa_float_round_mode_16_64 0
		.amdhsa_float_denorm_mode_32 3
		.amdhsa_float_denorm_mode_16_64 3
		.amdhsa_dx10_clamp 1
		.amdhsa_ieee_mode 1
		.amdhsa_fp16_overflow 0
		.amdhsa_workgroup_processor_mode 1
		.amdhsa_memory_ordered 1
		.amdhsa_forward_progress 1
		.amdhsa_shared_vgpr_count 0
		.amdhsa_exception_fp_ieee_invalid_op 0
		.amdhsa_exception_fp_denorm_src 0
		.amdhsa_exception_fp_ieee_div_zero 0
		.amdhsa_exception_fp_ieee_overflow 0
		.amdhsa_exception_fp_ieee_underflow 0
		.amdhsa_exception_fp_ieee_inexact 0
		.amdhsa_exception_int_div_zero 0
	.end_amdhsa_kernel
	.section	.text._ZN7rocprim17ROCPRIM_400000_NS6detail17trampoline_kernelINS0_14default_configENS1_27scan_by_key_config_selectorIitEEZZNS1_16scan_by_key_implILNS1_25lookback_scan_determinismE0ELb1ES3_N6thrust23THRUST_200600_302600_NS6detail15normal_iteratorINS9_10device_ptrIiEEEENSB_INSC_ItEEEESG_tNS9_4plusIvEENS9_8equal_toIvEEtEE10hipError_tPvRmT2_T3_T4_T5_mT6_T7_P12ihipStream_tbENKUlT_T0_E_clISt17integral_constantIbLb1EES11_EEDaSW_SX_EUlSW_E_NS1_11comp_targetILNS1_3genE9ELNS1_11target_archE1100ELNS1_3gpuE3ELNS1_3repE0EEENS1_30default_config_static_selectorELNS0_4arch9wavefront6targetE0EEEvT1_,"axG",@progbits,_ZN7rocprim17ROCPRIM_400000_NS6detail17trampoline_kernelINS0_14default_configENS1_27scan_by_key_config_selectorIitEEZZNS1_16scan_by_key_implILNS1_25lookback_scan_determinismE0ELb1ES3_N6thrust23THRUST_200600_302600_NS6detail15normal_iteratorINS9_10device_ptrIiEEEENSB_INSC_ItEEEESG_tNS9_4plusIvEENS9_8equal_toIvEEtEE10hipError_tPvRmT2_T3_T4_T5_mT6_T7_P12ihipStream_tbENKUlT_T0_E_clISt17integral_constantIbLb1EES11_EEDaSW_SX_EUlSW_E_NS1_11comp_targetILNS1_3genE9ELNS1_11target_archE1100ELNS1_3gpuE3ELNS1_3repE0EEENS1_30default_config_static_selectorELNS0_4arch9wavefront6targetE0EEEvT1_,comdat
.Lfunc_end1551:
	.size	_ZN7rocprim17ROCPRIM_400000_NS6detail17trampoline_kernelINS0_14default_configENS1_27scan_by_key_config_selectorIitEEZZNS1_16scan_by_key_implILNS1_25lookback_scan_determinismE0ELb1ES3_N6thrust23THRUST_200600_302600_NS6detail15normal_iteratorINS9_10device_ptrIiEEEENSB_INSC_ItEEEESG_tNS9_4plusIvEENS9_8equal_toIvEEtEE10hipError_tPvRmT2_T3_T4_T5_mT6_T7_P12ihipStream_tbENKUlT_T0_E_clISt17integral_constantIbLb1EES11_EEDaSW_SX_EUlSW_E_NS1_11comp_targetILNS1_3genE9ELNS1_11target_archE1100ELNS1_3gpuE3ELNS1_3repE0EEENS1_30default_config_static_selectorELNS0_4arch9wavefront6targetE0EEEvT1_, .Lfunc_end1551-_ZN7rocprim17ROCPRIM_400000_NS6detail17trampoline_kernelINS0_14default_configENS1_27scan_by_key_config_selectorIitEEZZNS1_16scan_by_key_implILNS1_25lookback_scan_determinismE0ELb1ES3_N6thrust23THRUST_200600_302600_NS6detail15normal_iteratorINS9_10device_ptrIiEEEENSB_INSC_ItEEEESG_tNS9_4plusIvEENS9_8equal_toIvEEtEE10hipError_tPvRmT2_T3_T4_T5_mT6_T7_P12ihipStream_tbENKUlT_T0_E_clISt17integral_constantIbLb1EES11_EEDaSW_SX_EUlSW_E_NS1_11comp_targetILNS1_3genE9ELNS1_11target_archE1100ELNS1_3gpuE3ELNS1_3repE0EEENS1_30default_config_static_selectorELNS0_4arch9wavefront6targetE0EEEvT1_
                                        ; -- End function
	.set _ZN7rocprim17ROCPRIM_400000_NS6detail17trampoline_kernelINS0_14default_configENS1_27scan_by_key_config_selectorIitEEZZNS1_16scan_by_key_implILNS1_25lookback_scan_determinismE0ELb1ES3_N6thrust23THRUST_200600_302600_NS6detail15normal_iteratorINS9_10device_ptrIiEEEENSB_INSC_ItEEEESG_tNS9_4plusIvEENS9_8equal_toIvEEtEE10hipError_tPvRmT2_T3_T4_T5_mT6_T7_P12ihipStream_tbENKUlT_T0_E_clISt17integral_constantIbLb1EES11_EEDaSW_SX_EUlSW_E_NS1_11comp_targetILNS1_3genE9ELNS1_11target_archE1100ELNS1_3gpuE3ELNS1_3repE0EEENS1_30default_config_static_selectorELNS0_4arch9wavefront6targetE0EEEvT1_.num_vgpr, 0
	.set _ZN7rocprim17ROCPRIM_400000_NS6detail17trampoline_kernelINS0_14default_configENS1_27scan_by_key_config_selectorIitEEZZNS1_16scan_by_key_implILNS1_25lookback_scan_determinismE0ELb1ES3_N6thrust23THRUST_200600_302600_NS6detail15normal_iteratorINS9_10device_ptrIiEEEENSB_INSC_ItEEEESG_tNS9_4plusIvEENS9_8equal_toIvEEtEE10hipError_tPvRmT2_T3_T4_T5_mT6_T7_P12ihipStream_tbENKUlT_T0_E_clISt17integral_constantIbLb1EES11_EEDaSW_SX_EUlSW_E_NS1_11comp_targetILNS1_3genE9ELNS1_11target_archE1100ELNS1_3gpuE3ELNS1_3repE0EEENS1_30default_config_static_selectorELNS0_4arch9wavefront6targetE0EEEvT1_.num_agpr, 0
	.set _ZN7rocprim17ROCPRIM_400000_NS6detail17trampoline_kernelINS0_14default_configENS1_27scan_by_key_config_selectorIitEEZZNS1_16scan_by_key_implILNS1_25lookback_scan_determinismE0ELb1ES3_N6thrust23THRUST_200600_302600_NS6detail15normal_iteratorINS9_10device_ptrIiEEEENSB_INSC_ItEEEESG_tNS9_4plusIvEENS9_8equal_toIvEEtEE10hipError_tPvRmT2_T3_T4_T5_mT6_T7_P12ihipStream_tbENKUlT_T0_E_clISt17integral_constantIbLb1EES11_EEDaSW_SX_EUlSW_E_NS1_11comp_targetILNS1_3genE9ELNS1_11target_archE1100ELNS1_3gpuE3ELNS1_3repE0EEENS1_30default_config_static_selectorELNS0_4arch9wavefront6targetE0EEEvT1_.numbered_sgpr, 0
	.set _ZN7rocprim17ROCPRIM_400000_NS6detail17trampoline_kernelINS0_14default_configENS1_27scan_by_key_config_selectorIitEEZZNS1_16scan_by_key_implILNS1_25lookback_scan_determinismE0ELb1ES3_N6thrust23THRUST_200600_302600_NS6detail15normal_iteratorINS9_10device_ptrIiEEEENSB_INSC_ItEEEESG_tNS9_4plusIvEENS9_8equal_toIvEEtEE10hipError_tPvRmT2_T3_T4_T5_mT6_T7_P12ihipStream_tbENKUlT_T0_E_clISt17integral_constantIbLb1EES11_EEDaSW_SX_EUlSW_E_NS1_11comp_targetILNS1_3genE9ELNS1_11target_archE1100ELNS1_3gpuE3ELNS1_3repE0EEENS1_30default_config_static_selectorELNS0_4arch9wavefront6targetE0EEEvT1_.num_named_barrier, 0
	.set _ZN7rocprim17ROCPRIM_400000_NS6detail17trampoline_kernelINS0_14default_configENS1_27scan_by_key_config_selectorIitEEZZNS1_16scan_by_key_implILNS1_25lookback_scan_determinismE0ELb1ES3_N6thrust23THRUST_200600_302600_NS6detail15normal_iteratorINS9_10device_ptrIiEEEENSB_INSC_ItEEEESG_tNS9_4plusIvEENS9_8equal_toIvEEtEE10hipError_tPvRmT2_T3_T4_T5_mT6_T7_P12ihipStream_tbENKUlT_T0_E_clISt17integral_constantIbLb1EES11_EEDaSW_SX_EUlSW_E_NS1_11comp_targetILNS1_3genE9ELNS1_11target_archE1100ELNS1_3gpuE3ELNS1_3repE0EEENS1_30default_config_static_selectorELNS0_4arch9wavefront6targetE0EEEvT1_.private_seg_size, 0
	.set _ZN7rocprim17ROCPRIM_400000_NS6detail17trampoline_kernelINS0_14default_configENS1_27scan_by_key_config_selectorIitEEZZNS1_16scan_by_key_implILNS1_25lookback_scan_determinismE0ELb1ES3_N6thrust23THRUST_200600_302600_NS6detail15normal_iteratorINS9_10device_ptrIiEEEENSB_INSC_ItEEEESG_tNS9_4plusIvEENS9_8equal_toIvEEtEE10hipError_tPvRmT2_T3_T4_T5_mT6_T7_P12ihipStream_tbENKUlT_T0_E_clISt17integral_constantIbLb1EES11_EEDaSW_SX_EUlSW_E_NS1_11comp_targetILNS1_3genE9ELNS1_11target_archE1100ELNS1_3gpuE3ELNS1_3repE0EEENS1_30default_config_static_selectorELNS0_4arch9wavefront6targetE0EEEvT1_.uses_vcc, 0
	.set _ZN7rocprim17ROCPRIM_400000_NS6detail17trampoline_kernelINS0_14default_configENS1_27scan_by_key_config_selectorIitEEZZNS1_16scan_by_key_implILNS1_25lookback_scan_determinismE0ELb1ES3_N6thrust23THRUST_200600_302600_NS6detail15normal_iteratorINS9_10device_ptrIiEEEENSB_INSC_ItEEEESG_tNS9_4plusIvEENS9_8equal_toIvEEtEE10hipError_tPvRmT2_T3_T4_T5_mT6_T7_P12ihipStream_tbENKUlT_T0_E_clISt17integral_constantIbLb1EES11_EEDaSW_SX_EUlSW_E_NS1_11comp_targetILNS1_3genE9ELNS1_11target_archE1100ELNS1_3gpuE3ELNS1_3repE0EEENS1_30default_config_static_selectorELNS0_4arch9wavefront6targetE0EEEvT1_.uses_flat_scratch, 0
	.set _ZN7rocprim17ROCPRIM_400000_NS6detail17trampoline_kernelINS0_14default_configENS1_27scan_by_key_config_selectorIitEEZZNS1_16scan_by_key_implILNS1_25lookback_scan_determinismE0ELb1ES3_N6thrust23THRUST_200600_302600_NS6detail15normal_iteratorINS9_10device_ptrIiEEEENSB_INSC_ItEEEESG_tNS9_4plusIvEENS9_8equal_toIvEEtEE10hipError_tPvRmT2_T3_T4_T5_mT6_T7_P12ihipStream_tbENKUlT_T0_E_clISt17integral_constantIbLb1EES11_EEDaSW_SX_EUlSW_E_NS1_11comp_targetILNS1_3genE9ELNS1_11target_archE1100ELNS1_3gpuE3ELNS1_3repE0EEENS1_30default_config_static_selectorELNS0_4arch9wavefront6targetE0EEEvT1_.has_dyn_sized_stack, 0
	.set _ZN7rocprim17ROCPRIM_400000_NS6detail17trampoline_kernelINS0_14default_configENS1_27scan_by_key_config_selectorIitEEZZNS1_16scan_by_key_implILNS1_25lookback_scan_determinismE0ELb1ES3_N6thrust23THRUST_200600_302600_NS6detail15normal_iteratorINS9_10device_ptrIiEEEENSB_INSC_ItEEEESG_tNS9_4plusIvEENS9_8equal_toIvEEtEE10hipError_tPvRmT2_T3_T4_T5_mT6_T7_P12ihipStream_tbENKUlT_T0_E_clISt17integral_constantIbLb1EES11_EEDaSW_SX_EUlSW_E_NS1_11comp_targetILNS1_3genE9ELNS1_11target_archE1100ELNS1_3gpuE3ELNS1_3repE0EEENS1_30default_config_static_selectorELNS0_4arch9wavefront6targetE0EEEvT1_.has_recursion, 0
	.set _ZN7rocprim17ROCPRIM_400000_NS6detail17trampoline_kernelINS0_14default_configENS1_27scan_by_key_config_selectorIitEEZZNS1_16scan_by_key_implILNS1_25lookback_scan_determinismE0ELb1ES3_N6thrust23THRUST_200600_302600_NS6detail15normal_iteratorINS9_10device_ptrIiEEEENSB_INSC_ItEEEESG_tNS9_4plusIvEENS9_8equal_toIvEEtEE10hipError_tPvRmT2_T3_T4_T5_mT6_T7_P12ihipStream_tbENKUlT_T0_E_clISt17integral_constantIbLb1EES11_EEDaSW_SX_EUlSW_E_NS1_11comp_targetILNS1_3genE9ELNS1_11target_archE1100ELNS1_3gpuE3ELNS1_3repE0EEENS1_30default_config_static_selectorELNS0_4arch9wavefront6targetE0EEEvT1_.has_indirect_call, 0
	.section	.AMDGPU.csdata,"",@progbits
; Kernel info:
; codeLenInByte = 0
; TotalNumSgprs: 0
; NumVgprs: 0
; ScratchSize: 0
; MemoryBound: 0
; FloatMode: 240
; IeeeMode: 1
; LDSByteSize: 0 bytes/workgroup (compile time only)
; SGPRBlocks: 0
; VGPRBlocks: 0
; NumSGPRsForWavesPerEU: 1
; NumVGPRsForWavesPerEU: 1
; Occupancy: 16
; WaveLimiterHint : 0
; COMPUTE_PGM_RSRC2:SCRATCH_EN: 0
; COMPUTE_PGM_RSRC2:USER_SGPR: 6
; COMPUTE_PGM_RSRC2:TRAP_HANDLER: 0
; COMPUTE_PGM_RSRC2:TGID_X_EN: 1
; COMPUTE_PGM_RSRC2:TGID_Y_EN: 0
; COMPUTE_PGM_RSRC2:TGID_Z_EN: 0
; COMPUTE_PGM_RSRC2:TIDIG_COMP_CNT: 0
	.section	.text._ZN7rocprim17ROCPRIM_400000_NS6detail17trampoline_kernelINS0_14default_configENS1_27scan_by_key_config_selectorIitEEZZNS1_16scan_by_key_implILNS1_25lookback_scan_determinismE0ELb1ES3_N6thrust23THRUST_200600_302600_NS6detail15normal_iteratorINS9_10device_ptrIiEEEENSB_INSC_ItEEEESG_tNS9_4plusIvEENS9_8equal_toIvEEtEE10hipError_tPvRmT2_T3_T4_T5_mT6_T7_P12ihipStream_tbENKUlT_T0_E_clISt17integral_constantIbLb1EES11_EEDaSW_SX_EUlSW_E_NS1_11comp_targetILNS1_3genE8ELNS1_11target_archE1030ELNS1_3gpuE2ELNS1_3repE0EEENS1_30default_config_static_selectorELNS0_4arch9wavefront6targetE0EEEvT1_,"axG",@progbits,_ZN7rocprim17ROCPRIM_400000_NS6detail17trampoline_kernelINS0_14default_configENS1_27scan_by_key_config_selectorIitEEZZNS1_16scan_by_key_implILNS1_25lookback_scan_determinismE0ELb1ES3_N6thrust23THRUST_200600_302600_NS6detail15normal_iteratorINS9_10device_ptrIiEEEENSB_INSC_ItEEEESG_tNS9_4plusIvEENS9_8equal_toIvEEtEE10hipError_tPvRmT2_T3_T4_T5_mT6_T7_P12ihipStream_tbENKUlT_T0_E_clISt17integral_constantIbLb1EES11_EEDaSW_SX_EUlSW_E_NS1_11comp_targetILNS1_3genE8ELNS1_11target_archE1030ELNS1_3gpuE2ELNS1_3repE0EEENS1_30default_config_static_selectorELNS0_4arch9wavefront6targetE0EEEvT1_,comdat
	.protected	_ZN7rocprim17ROCPRIM_400000_NS6detail17trampoline_kernelINS0_14default_configENS1_27scan_by_key_config_selectorIitEEZZNS1_16scan_by_key_implILNS1_25lookback_scan_determinismE0ELb1ES3_N6thrust23THRUST_200600_302600_NS6detail15normal_iteratorINS9_10device_ptrIiEEEENSB_INSC_ItEEEESG_tNS9_4plusIvEENS9_8equal_toIvEEtEE10hipError_tPvRmT2_T3_T4_T5_mT6_T7_P12ihipStream_tbENKUlT_T0_E_clISt17integral_constantIbLb1EES11_EEDaSW_SX_EUlSW_E_NS1_11comp_targetILNS1_3genE8ELNS1_11target_archE1030ELNS1_3gpuE2ELNS1_3repE0EEENS1_30default_config_static_selectorELNS0_4arch9wavefront6targetE0EEEvT1_ ; -- Begin function _ZN7rocprim17ROCPRIM_400000_NS6detail17trampoline_kernelINS0_14default_configENS1_27scan_by_key_config_selectorIitEEZZNS1_16scan_by_key_implILNS1_25lookback_scan_determinismE0ELb1ES3_N6thrust23THRUST_200600_302600_NS6detail15normal_iteratorINS9_10device_ptrIiEEEENSB_INSC_ItEEEESG_tNS9_4plusIvEENS9_8equal_toIvEEtEE10hipError_tPvRmT2_T3_T4_T5_mT6_T7_P12ihipStream_tbENKUlT_T0_E_clISt17integral_constantIbLb1EES11_EEDaSW_SX_EUlSW_E_NS1_11comp_targetILNS1_3genE8ELNS1_11target_archE1030ELNS1_3gpuE2ELNS1_3repE0EEENS1_30default_config_static_selectorELNS0_4arch9wavefront6targetE0EEEvT1_
	.globl	_ZN7rocprim17ROCPRIM_400000_NS6detail17trampoline_kernelINS0_14default_configENS1_27scan_by_key_config_selectorIitEEZZNS1_16scan_by_key_implILNS1_25lookback_scan_determinismE0ELb1ES3_N6thrust23THRUST_200600_302600_NS6detail15normal_iteratorINS9_10device_ptrIiEEEENSB_INSC_ItEEEESG_tNS9_4plusIvEENS9_8equal_toIvEEtEE10hipError_tPvRmT2_T3_T4_T5_mT6_T7_P12ihipStream_tbENKUlT_T0_E_clISt17integral_constantIbLb1EES11_EEDaSW_SX_EUlSW_E_NS1_11comp_targetILNS1_3genE8ELNS1_11target_archE1030ELNS1_3gpuE2ELNS1_3repE0EEENS1_30default_config_static_selectorELNS0_4arch9wavefront6targetE0EEEvT1_
	.p2align	8
	.type	_ZN7rocprim17ROCPRIM_400000_NS6detail17trampoline_kernelINS0_14default_configENS1_27scan_by_key_config_selectorIitEEZZNS1_16scan_by_key_implILNS1_25lookback_scan_determinismE0ELb1ES3_N6thrust23THRUST_200600_302600_NS6detail15normal_iteratorINS9_10device_ptrIiEEEENSB_INSC_ItEEEESG_tNS9_4plusIvEENS9_8equal_toIvEEtEE10hipError_tPvRmT2_T3_T4_T5_mT6_T7_P12ihipStream_tbENKUlT_T0_E_clISt17integral_constantIbLb1EES11_EEDaSW_SX_EUlSW_E_NS1_11comp_targetILNS1_3genE8ELNS1_11target_archE1030ELNS1_3gpuE2ELNS1_3repE0EEENS1_30default_config_static_selectorELNS0_4arch9wavefront6targetE0EEEvT1_,@function
_ZN7rocprim17ROCPRIM_400000_NS6detail17trampoline_kernelINS0_14default_configENS1_27scan_by_key_config_selectorIitEEZZNS1_16scan_by_key_implILNS1_25lookback_scan_determinismE0ELb1ES3_N6thrust23THRUST_200600_302600_NS6detail15normal_iteratorINS9_10device_ptrIiEEEENSB_INSC_ItEEEESG_tNS9_4plusIvEENS9_8equal_toIvEEtEE10hipError_tPvRmT2_T3_T4_T5_mT6_T7_P12ihipStream_tbENKUlT_T0_E_clISt17integral_constantIbLb1EES11_EEDaSW_SX_EUlSW_E_NS1_11comp_targetILNS1_3genE8ELNS1_11target_archE1030ELNS1_3gpuE2ELNS1_3repE0EEENS1_30default_config_static_selectorELNS0_4arch9wavefront6targetE0EEEvT1_: ; @_ZN7rocprim17ROCPRIM_400000_NS6detail17trampoline_kernelINS0_14default_configENS1_27scan_by_key_config_selectorIitEEZZNS1_16scan_by_key_implILNS1_25lookback_scan_determinismE0ELb1ES3_N6thrust23THRUST_200600_302600_NS6detail15normal_iteratorINS9_10device_ptrIiEEEENSB_INSC_ItEEEESG_tNS9_4plusIvEENS9_8equal_toIvEEtEE10hipError_tPvRmT2_T3_T4_T5_mT6_T7_P12ihipStream_tbENKUlT_T0_E_clISt17integral_constantIbLb1EES11_EEDaSW_SX_EUlSW_E_NS1_11comp_targetILNS1_3genE8ELNS1_11target_archE1030ELNS1_3gpuE2ELNS1_3repE0EEENS1_30default_config_static_selectorELNS0_4arch9wavefront6targetE0EEEvT1_
; %bb.0:
	s_endpgm
	.section	.rodata,"a",@progbits
	.p2align	6, 0x0
	.amdhsa_kernel _ZN7rocprim17ROCPRIM_400000_NS6detail17trampoline_kernelINS0_14default_configENS1_27scan_by_key_config_selectorIitEEZZNS1_16scan_by_key_implILNS1_25lookback_scan_determinismE0ELb1ES3_N6thrust23THRUST_200600_302600_NS6detail15normal_iteratorINS9_10device_ptrIiEEEENSB_INSC_ItEEEESG_tNS9_4plusIvEENS9_8equal_toIvEEtEE10hipError_tPvRmT2_T3_T4_T5_mT6_T7_P12ihipStream_tbENKUlT_T0_E_clISt17integral_constantIbLb1EES11_EEDaSW_SX_EUlSW_E_NS1_11comp_targetILNS1_3genE8ELNS1_11target_archE1030ELNS1_3gpuE2ELNS1_3repE0EEENS1_30default_config_static_selectorELNS0_4arch9wavefront6targetE0EEEvT1_
		.amdhsa_group_segment_fixed_size 0
		.amdhsa_private_segment_fixed_size 0
		.amdhsa_kernarg_size 112
		.amdhsa_user_sgpr_count 6
		.amdhsa_user_sgpr_private_segment_buffer 1
		.amdhsa_user_sgpr_dispatch_ptr 0
		.amdhsa_user_sgpr_queue_ptr 0
		.amdhsa_user_sgpr_kernarg_segment_ptr 1
		.amdhsa_user_sgpr_dispatch_id 0
		.amdhsa_user_sgpr_flat_scratch_init 0
		.amdhsa_user_sgpr_private_segment_size 0
		.amdhsa_wavefront_size32 1
		.amdhsa_uses_dynamic_stack 0
		.amdhsa_system_sgpr_private_segment_wavefront_offset 0
		.amdhsa_system_sgpr_workgroup_id_x 1
		.amdhsa_system_sgpr_workgroup_id_y 0
		.amdhsa_system_sgpr_workgroup_id_z 0
		.amdhsa_system_sgpr_workgroup_info 0
		.amdhsa_system_vgpr_workitem_id 0
		.amdhsa_next_free_vgpr 1
		.amdhsa_next_free_sgpr 1
		.amdhsa_reserve_vcc 0
		.amdhsa_reserve_flat_scratch 0
		.amdhsa_float_round_mode_32 0
		.amdhsa_float_round_mode_16_64 0
		.amdhsa_float_denorm_mode_32 3
		.amdhsa_float_denorm_mode_16_64 3
		.amdhsa_dx10_clamp 1
		.amdhsa_ieee_mode 1
		.amdhsa_fp16_overflow 0
		.amdhsa_workgroup_processor_mode 1
		.amdhsa_memory_ordered 1
		.amdhsa_forward_progress 1
		.amdhsa_shared_vgpr_count 0
		.amdhsa_exception_fp_ieee_invalid_op 0
		.amdhsa_exception_fp_denorm_src 0
		.amdhsa_exception_fp_ieee_div_zero 0
		.amdhsa_exception_fp_ieee_overflow 0
		.amdhsa_exception_fp_ieee_underflow 0
		.amdhsa_exception_fp_ieee_inexact 0
		.amdhsa_exception_int_div_zero 0
	.end_amdhsa_kernel
	.section	.text._ZN7rocprim17ROCPRIM_400000_NS6detail17trampoline_kernelINS0_14default_configENS1_27scan_by_key_config_selectorIitEEZZNS1_16scan_by_key_implILNS1_25lookback_scan_determinismE0ELb1ES3_N6thrust23THRUST_200600_302600_NS6detail15normal_iteratorINS9_10device_ptrIiEEEENSB_INSC_ItEEEESG_tNS9_4plusIvEENS9_8equal_toIvEEtEE10hipError_tPvRmT2_T3_T4_T5_mT6_T7_P12ihipStream_tbENKUlT_T0_E_clISt17integral_constantIbLb1EES11_EEDaSW_SX_EUlSW_E_NS1_11comp_targetILNS1_3genE8ELNS1_11target_archE1030ELNS1_3gpuE2ELNS1_3repE0EEENS1_30default_config_static_selectorELNS0_4arch9wavefront6targetE0EEEvT1_,"axG",@progbits,_ZN7rocprim17ROCPRIM_400000_NS6detail17trampoline_kernelINS0_14default_configENS1_27scan_by_key_config_selectorIitEEZZNS1_16scan_by_key_implILNS1_25lookback_scan_determinismE0ELb1ES3_N6thrust23THRUST_200600_302600_NS6detail15normal_iteratorINS9_10device_ptrIiEEEENSB_INSC_ItEEEESG_tNS9_4plusIvEENS9_8equal_toIvEEtEE10hipError_tPvRmT2_T3_T4_T5_mT6_T7_P12ihipStream_tbENKUlT_T0_E_clISt17integral_constantIbLb1EES11_EEDaSW_SX_EUlSW_E_NS1_11comp_targetILNS1_3genE8ELNS1_11target_archE1030ELNS1_3gpuE2ELNS1_3repE0EEENS1_30default_config_static_selectorELNS0_4arch9wavefront6targetE0EEEvT1_,comdat
.Lfunc_end1552:
	.size	_ZN7rocprim17ROCPRIM_400000_NS6detail17trampoline_kernelINS0_14default_configENS1_27scan_by_key_config_selectorIitEEZZNS1_16scan_by_key_implILNS1_25lookback_scan_determinismE0ELb1ES3_N6thrust23THRUST_200600_302600_NS6detail15normal_iteratorINS9_10device_ptrIiEEEENSB_INSC_ItEEEESG_tNS9_4plusIvEENS9_8equal_toIvEEtEE10hipError_tPvRmT2_T3_T4_T5_mT6_T7_P12ihipStream_tbENKUlT_T0_E_clISt17integral_constantIbLb1EES11_EEDaSW_SX_EUlSW_E_NS1_11comp_targetILNS1_3genE8ELNS1_11target_archE1030ELNS1_3gpuE2ELNS1_3repE0EEENS1_30default_config_static_selectorELNS0_4arch9wavefront6targetE0EEEvT1_, .Lfunc_end1552-_ZN7rocprim17ROCPRIM_400000_NS6detail17trampoline_kernelINS0_14default_configENS1_27scan_by_key_config_selectorIitEEZZNS1_16scan_by_key_implILNS1_25lookback_scan_determinismE0ELb1ES3_N6thrust23THRUST_200600_302600_NS6detail15normal_iteratorINS9_10device_ptrIiEEEENSB_INSC_ItEEEESG_tNS9_4plusIvEENS9_8equal_toIvEEtEE10hipError_tPvRmT2_T3_T4_T5_mT6_T7_P12ihipStream_tbENKUlT_T0_E_clISt17integral_constantIbLb1EES11_EEDaSW_SX_EUlSW_E_NS1_11comp_targetILNS1_3genE8ELNS1_11target_archE1030ELNS1_3gpuE2ELNS1_3repE0EEENS1_30default_config_static_selectorELNS0_4arch9wavefront6targetE0EEEvT1_
                                        ; -- End function
	.set _ZN7rocprim17ROCPRIM_400000_NS6detail17trampoline_kernelINS0_14default_configENS1_27scan_by_key_config_selectorIitEEZZNS1_16scan_by_key_implILNS1_25lookback_scan_determinismE0ELb1ES3_N6thrust23THRUST_200600_302600_NS6detail15normal_iteratorINS9_10device_ptrIiEEEENSB_INSC_ItEEEESG_tNS9_4plusIvEENS9_8equal_toIvEEtEE10hipError_tPvRmT2_T3_T4_T5_mT6_T7_P12ihipStream_tbENKUlT_T0_E_clISt17integral_constantIbLb1EES11_EEDaSW_SX_EUlSW_E_NS1_11comp_targetILNS1_3genE8ELNS1_11target_archE1030ELNS1_3gpuE2ELNS1_3repE0EEENS1_30default_config_static_selectorELNS0_4arch9wavefront6targetE0EEEvT1_.num_vgpr, 0
	.set _ZN7rocprim17ROCPRIM_400000_NS6detail17trampoline_kernelINS0_14default_configENS1_27scan_by_key_config_selectorIitEEZZNS1_16scan_by_key_implILNS1_25lookback_scan_determinismE0ELb1ES3_N6thrust23THRUST_200600_302600_NS6detail15normal_iteratorINS9_10device_ptrIiEEEENSB_INSC_ItEEEESG_tNS9_4plusIvEENS9_8equal_toIvEEtEE10hipError_tPvRmT2_T3_T4_T5_mT6_T7_P12ihipStream_tbENKUlT_T0_E_clISt17integral_constantIbLb1EES11_EEDaSW_SX_EUlSW_E_NS1_11comp_targetILNS1_3genE8ELNS1_11target_archE1030ELNS1_3gpuE2ELNS1_3repE0EEENS1_30default_config_static_selectorELNS0_4arch9wavefront6targetE0EEEvT1_.num_agpr, 0
	.set _ZN7rocprim17ROCPRIM_400000_NS6detail17trampoline_kernelINS0_14default_configENS1_27scan_by_key_config_selectorIitEEZZNS1_16scan_by_key_implILNS1_25lookback_scan_determinismE0ELb1ES3_N6thrust23THRUST_200600_302600_NS6detail15normal_iteratorINS9_10device_ptrIiEEEENSB_INSC_ItEEEESG_tNS9_4plusIvEENS9_8equal_toIvEEtEE10hipError_tPvRmT2_T3_T4_T5_mT6_T7_P12ihipStream_tbENKUlT_T0_E_clISt17integral_constantIbLb1EES11_EEDaSW_SX_EUlSW_E_NS1_11comp_targetILNS1_3genE8ELNS1_11target_archE1030ELNS1_3gpuE2ELNS1_3repE0EEENS1_30default_config_static_selectorELNS0_4arch9wavefront6targetE0EEEvT1_.numbered_sgpr, 0
	.set _ZN7rocprim17ROCPRIM_400000_NS6detail17trampoline_kernelINS0_14default_configENS1_27scan_by_key_config_selectorIitEEZZNS1_16scan_by_key_implILNS1_25lookback_scan_determinismE0ELb1ES3_N6thrust23THRUST_200600_302600_NS6detail15normal_iteratorINS9_10device_ptrIiEEEENSB_INSC_ItEEEESG_tNS9_4plusIvEENS9_8equal_toIvEEtEE10hipError_tPvRmT2_T3_T4_T5_mT6_T7_P12ihipStream_tbENKUlT_T0_E_clISt17integral_constantIbLb1EES11_EEDaSW_SX_EUlSW_E_NS1_11comp_targetILNS1_3genE8ELNS1_11target_archE1030ELNS1_3gpuE2ELNS1_3repE0EEENS1_30default_config_static_selectorELNS0_4arch9wavefront6targetE0EEEvT1_.num_named_barrier, 0
	.set _ZN7rocprim17ROCPRIM_400000_NS6detail17trampoline_kernelINS0_14default_configENS1_27scan_by_key_config_selectorIitEEZZNS1_16scan_by_key_implILNS1_25lookback_scan_determinismE0ELb1ES3_N6thrust23THRUST_200600_302600_NS6detail15normal_iteratorINS9_10device_ptrIiEEEENSB_INSC_ItEEEESG_tNS9_4plusIvEENS9_8equal_toIvEEtEE10hipError_tPvRmT2_T3_T4_T5_mT6_T7_P12ihipStream_tbENKUlT_T0_E_clISt17integral_constantIbLb1EES11_EEDaSW_SX_EUlSW_E_NS1_11comp_targetILNS1_3genE8ELNS1_11target_archE1030ELNS1_3gpuE2ELNS1_3repE0EEENS1_30default_config_static_selectorELNS0_4arch9wavefront6targetE0EEEvT1_.private_seg_size, 0
	.set _ZN7rocprim17ROCPRIM_400000_NS6detail17trampoline_kernelINS0_14default_configENS1_27scan_by_key_config_selectorIitEEZZNS1_16scan_by_key_implILNS1_25lookback_scan_determinismE0ELb1ES3_N6thrust23THRUST_200600_302600_NS6detail15normal_iteratorINS9_10device_ptrIiEEEENSB_INSC_ItEEEESG_tNS9_4plusIvEENS9_8equal_toIvEEtEE10hipError_tPvRmT2_T3_T4_T5_mT6_T7_P12ihipStream_tbENKUlT_T0_E_clISt17integral_constantIbLb1EES11_EEDaSW_SX_EUlSW_E_NS1_11comp_targetILNS1_3genE8ELNS1_11target_archE1030ELNS1_3gpuE2ELNS1_3repE0EEENS1_30default_config_static_selectorELNS0_4arch9wavefront6targetE0EEEvT1_.uses_vcc, 0
	.set _ZN7rocprim17ROCPRIM_400000_NS6detail17trampoline_kernelINS0_14default_configENS1_27scan_by_key_config_selectorIitEEZZNS1_16scan_by_key_implILNS1_25lookback_scan_determinismE0ELb1ES3_N6thrust23THRUST_200600_302600_NS6detail15normal_iteratorINS9_10device_ptrIiEEEENSB_INSC_ItEEEESG_tNS9_4plusIvEENS9_8equal_toIvEEtEE10hipError_tPvRmT2_T3_T4_T5_mT6_T7_P12ihipStream_tbENKUlT_T0_E_clISt17integral_constantIbLb1EES11_EEDaSW_SX_EUlSW_E_NS1_11comp_targetILNS1_3genE8ELNS1_11target_archE1030ELNS1_3gpuE2ELNS1_3repE0EEENS1_30default_config_static_selectorELNS0_4arch9wavefront6targetE0EEEvT1_.uses_flat_scratch, 0
	.set _ZN7rocprim17ROCPRIM_400000_NS6detail17trampoline_kernelINS0_14default_configENS1_27scan_by_key_config_selectorIitEEZZNS1_16scan_by_key_implILNS1_25lookback_scan_determinismE0ELb1ES3_N6thrust23THRUST_200600_302600_NS6detail15normal_iteratorINS9_10device_ptrIiEEEENSB_INSC_ItEEEESG_tNS9_4plusIvEENS9_8equal_toIvEEtEE10hipError_tPvRmT2_T3_T4_T5_mT6_T7_P12ihipStream_tbENKUlT_T0_E_clISt17integral_constantIbLb1EES11_EEDaSW_SX_EUlSW_E_NS1_11comp_targetILNS1_3genE8ELNS1_11target_archE1030ELNS1_3gpuE2ELNS1_3repE0EEENS1_30default_config_static_selectorELNS0_4arch9wavefront6targetE0EEEvT1_.has_dyn_sized_stack, 0
	.set _ZN7rocprim17ROCPRIM_400000_NS6detail17trampoline_kernelINS0_14default_configENS1_27scan_by_key_config_selectorIitEEZZNS1_16scan_by_key_implILNS1_25lookback_scan_determinismE0ELb1ES3_N6thrust23THRUST_200600_302600_NS6detail15normal_iteratorINS9_10device_ptrIiEEEENSB_INSC_ItEEEESG_tNS9_4plusIvEENS9_8equal_toIvEEtEE10hipError_tPvRmT2_T3_T4_T5_mT6_T7_P12ihipStream_tbENKUlT_T0_E_clISt17integral_constantIbLb1EES11_EEDaSW_SX_EUlSW_E_NS1_11comp_targetILNS1_3genE8ELNS1_11target_archE1030ELNS1_3gpuE2ELNS1_3repE0EEENS1_30default_config_static_selectorELNS0_4arch9wavefront6targetE0EEEvT1_.has_recursion, 0
	.set _ZN7rocprim17ROCPRIM_400000_NS6detail17trampoline_kernelINS0_14default_configENS1_27scan_by_key_config_selectorIitEEZZNS1_16scan_by_key_implILNS1_25lookback_scan_determinismE0ELb1ES3_N6thrust23THRUST_200600_302600_NS6detail15normal_iteratorINS9_10device_ptrIiEEEENSB_INSC_ItEEEESG_tNS9_4plusIvEENS9_8equal_toIvEEtEE10hipError_tPvRmT2_T3_T4_T5_mT6_T7_P12ihipStream_tbENKUlT_T0_E_clISt17integral_constantIbLb1EES11_EEDaSW_SX_EUlSW_E_NS1_11comp_targetILNS1_3genE8ELNS1_11target_archE1030ELNS1_3gpuE2ELNS1_3repE0EEENS1_30default_config_static_selectorELNS0_4arch9wavefront6targetE0EEEvT1_.has_indirect_call, 0
	.section	.AMDGPU.csdata,"",@progbits
; Kernel info:
; codeLenInByte = 4
; TotalNumSgprs: 0
; NumVgprs: 0
; ScratchSize: 0
; MemoryBound: 0
; FloatMode: 240
; IeeeMode: 1
; LDSByteSize: 0 bytes/workgroup (compile time only)
; SGPRBlocks: 0
; VGPRBlocks: 0
; NumSGPRsForWavesPerEU: 1
; NumVGPRsForWavesPerEU: 1
; Occupancy: 16
; WaveLimiterHint : 0
; COMPUTE_PGM_RSRC2:SCRATCH_EN: 0
; COMPUTE_PGM_RSRC2:USER_SGPR: 6
; COMPUTE_PGM_RSRC2:TRAP_HANDLER: 0
; COMPUTE_PGM_RSRC2:TGID_X_EN: 1
; COMPUTE_PGM_RSRC2:TGID_Y_EN: 0
; COMPUTE_PGM_RSRC2:TGID_Z_EN: 0
; COMPUTE_PGM_RSRC2:TIDIG_COMP_CNT: 0
	.section	.text._ZN7rocprim17ROCPRIM_400000_NS6detail17trampoline_kernelINS0_14default_configENS1_27scan_by_key_config_selectorIitEEZZNS1_16scan_by_key_implILNS1_25lookback_scan_determinismE0ELb1ES3_N6thrust23THRUST_200600_302600_NS6detail15normal_iteratorINS9_10device_ptrIiEEEENSB_INSC_ItEEEESG_tNS9_4plusIvEENS9_8equal_toIvEEtEE10hipError_tPvRmT2_T3_T4_T5_mT6_T7_P12ihipStream_tbENKUlT_T0_E_clISt17integral_constantIbLb1EES10_IbLb0EEEEDaSW_SX_EUlSW_E_NS1_11comp_targetILNS1_3genE0ELNS1_11target_archE4294967295ELNS1_3gpuE0ELNS1_3repE0EEENS1_30default_config_static_selectorELNS0_4arch9wavefront6targetE0EEEvT1_,"axG",@progbits,_ZN7rocprim17ROCPRIM_400000_NS6detail17trampoline_kernelINS0_14default_configENS1_27scan_by_key_config_selectorIitEEZZNS1_16scan_by_key_implILNS1_25lookback_scan_determinismE0ELb1ES3_N6thrust23THRUST_200600_302600_NS6detail15normal_iteratorINS9_10device_ptrIiEEEENSB_INSC_ItEEEESG_tNS9_4plusIvEENS9_8equal_toIvEEtEE10hipError_tPvRmT2_T3_T4_T5_mT6_T7_P12ihipStream_tbENKUlT_T0_E_clISt17integral_constantIbLb1EES10_IbLb0EEEEDaSW_SX_EUlSW_E_NS1_11comp_targetILNS1_3genE0ELNS1_11target_archE4294967295ELNS1_3gpuE0ELNS1_3repE0EEENS1_30default_config_static_selectorELNS0_4arch9wavefront6targetE0EEEvT1_,comdat
	.protected	_ZN7rocprim17ROCPRIM_400000_NS6detail17trampoline_kernelINS0_14default_configENS1_27scan_by_key_config_selectorIitEEZZNS1_16scan_by_key_implILNS1_25lookback_scan_determinismE0ELb1ES3_N6thrust23THRUST_200600_302600_NS6detail15normal_iteratorINS9_10device_ptrIiEEEENSB_INSC_ItEEEESG_tNS9_4plusIvEENS9_8equal_toIvEEtEE10hipError_tPvRmT2_T3_T4_T5_mT6_T7_P12ihipStream_tbENKUlT_T0_E_clISt17integral_constantIbLb1EES10_IbLb0EEEEDaSW_SX_EUlSW_E_NS1_11comp_targetILNS1_3genE0ELNS1_11target_archE4294967295ELNS1_3gpuE0ELNS1_3repE0EEENS1_30default_config_static_selectorELNS0_4arch9wavefront6targetE0EEEvT1_ ; -- Begin function _ZN7rocprim17ROCPRIM_400000_NS6detail17trampoline_kernelINS0_14default_configENS1_27scan_by_key_config_selectorIitEEZZNS1_16scan_by_key_implILNS1_25lookback_scan_determinismE0ELb1ES3_N6thrust23THRUST_200600_302600_NS6detail15normal_iteratorINS9_10device_ptrIiEEEENSB_INSC_ItEEEESG_tNS9_4plusIvEENS9_8equal_toIvEEtEE10hipError_tPvRmT2_T3_T4_T5_mT6_T7_P12ihipStream_tbENKUlT_T0_E_clISt17integral_constantIbLb1EES10_IbLb0EEEEDaSW_SX_EUlSW_E_NS1_11comp_targetILNS1_3genE0ELNS1_11target_archE4294967295ELNS1_3gpuE0ELNS1_3repE0EEENS1_30default_config_static_selectorELNS0_4arch9wavefront6targetE0EEEvT1_
	.globl	_ZN7rocprim17ROCPRIM_400000_NS6detail17trampoline_kernelINS0_14default_configENS1_27scan_by_key_config_selectorIitEEZZNS1_16scan_by_key_implILNS1_25lookback_scan_determinismE0ELb1ES3_N6thrust23THRUST_200600_302600_NS6detail15normal_iteratorINS9_10device_ptrIiEEEENSB_INSC_ItEEEESG_tNS9_4plusIvEENS9_8equal_toIvEEtEE10hipError_tPvRmT2_T3_T4_T5_mT6_T7_P12ihipStream_tbENKUlT_T0_E_clISt17integral_constantIbLb1EES10_IbLb0EEEEDaSW_SX_EUlSW_E_NS1_11comp_targetILNS1_3genE0ELNS1_11target_archE4294967295ELNS1_3gpuE0ELNS1_3repE0EEENS1_30default_config_static_selectorELNS0_4arch9wavefront6targetE0EEEvT1_
	.p2align	8
	.type	_ZN7rocprim17ROCPRIM_400000_NS6detail17trampoline_kernelINS0_14default_configENS1_27scan_by_key_config_selectorIitEEZZNS1_16scan_by_key_implILNS1_25lookback_scan_determinismE0ELb1ES3_N6thrust23THRUST_200600_302600_NS6detail15normal_iteratorINS9_10device_ptrIiEEEENSB_INSC_ItEEEESG_tNS9_4plusIvEENS9_8equal_toIvEEtEE10hipError_tPvRmT2_T3_T4_T5_mT6_T7_P12ihipStream_tbENKUlT_T0_E_clISt17integral_constantIbLb1EES10_IbLb0EEEEDaSW_SX_EUlSW_E_NS1_11comp_targetILNS1_3genE0ELNS1_11target_archE4294967295ELNS1_3gpuE0ELNS1_3repE0EEENS1_30default_config_static_selectorELNS0_4arch9wavefront6targetE0EEEvT1_,@function
_ZN7rocprim17ROCPRIM_400000_NS6detail17trampoline_kernelINS0_14default_configENS1_27scan_by_key_config_selectorIitEEZZNS1_16scan_by_key_implILNS1_25lookback_scan_determinismE0ELb1ES3_N6thrust23THRUST_200600_302600_NS6detail15normal_iteratorINS9_10device_ptrIiEEEENSB_INSC_ItEEEESG_tNS9_4plusIvEENS9_8equal_toIvEEtEE10hipError_tPvRmT2_T3_T4_T5_mT6_T7_P12ihipStream_tbENKUlT_T0_E_clISt17integral_constantIbLb1EES10_IbLb0EEEEDaSW_SX_EUlSW_E_NS1_11comp_targetILNS1_3genE0ELNS1_11target_archE4294967295ELNS1_3gpuE0ELNS1_3repE0EEENS1_30default_config_static_selectorELNS0_4arch9wavefront6targetE0EEEvT1_: ; @_ZN7rocprim17ROCPRIM_400000_NS6detail17trampoline_kernelINS0_14default_configENS1_27scan_by_key_config_selectorIitEEZZNS1_16scan_by_key_implILNS1_25lookback_scan_determinismE0ELb1ES3_N6thrust23THRUST_200600_302600_NS6detail15normal_iteratorINS9_10device_ptrIiEEEENSB_INSC_ItEEEESG_tNS9_4plusIvEENS9_8equal_toIvEEtEE10hipError_tPvRmT2_T3_T4_T5_mT6_T7_P12ihipStream_tbENKUlT_T0_E_clISt17integral_constantIbLb1EES10_IbLb0EEEEDaSW_SX_EUlSW_E_NS1_11comp_targetILNS1_3genE0ELNS1_11target_archE4294967295ELNS1_3gpuE0ELNS1_3repE0EEENS1_30default_config_static_selectorELNS0_4arch9wavefront6targetE0EEEvT1_
; %bb.0:
	.section	.rodata,"a",@progbits
	.p2align	6, 0x0
	.amdhsa_kernel _ZN7rocprim17ROCPRIM_400000_NS6detail17trampoline_kernelINS0_14default_configENS1_27scan_by_key_config_selectorIitEEZZNS1_16scan_by_key_implILNS1_25lookback_scan_determinismE0ELb1ES3_N6thrust23THRUST_200600_302600_NS6detail15normal_iteratorINS9_10device_ptrIiEEEENSB_INSC_ItEEEESG_tNS9_4plusIvEENS9_8equal_toIvEEtEE10hipError_tPvRmT2_T3_T4_T5_mT6_T7_P12ihipStream_tbENKUlT_T0_E_clISt17integral_constantIbLb1EES10_IbLb0EEEEDaSW_SX_EUlSW_E_NS1_11comp_targetILNS1_3genE0ELNS1_11target_archE4294967295ELNS1_3gpuE0ELNS1_3repE0EEENS1_30default_config_static_selectorELNS0_4arch9wavefront6targetE0EEEvT1_
		.amdhsa_group_segment_fixed_size 0
		.amdhsa_private_segment_fixed_size 0
		.amdhsa_kernarg_size 112
		.amdhsa_user_sgpr_count 6
		.amdhsa_user_sgpr_private_segment_buffer 1
		.amdhsa_user_sgpr_dispatch_ptr 0
		.amdhsa_user_sgpr_queue_ptr 0
		.amdhsa_user_sgpr_kernarg_segment_ptr 1
		.amdhsa_user_sgpr_dispatch_id 0
		.amdhsa_user_sgpr_flat_scratch_init 0
		.amdhsa_user_sgpr_private_segment_size 0
		.amdhsa_wavefront_size32 1
		.amdhsa_uses_dynamic_stack 0
		.amdhsa_system_sgpr_private_segment_wavefront_offset 0
		.amdhsa_system_sgpr_workgroup_id_x 1
		.amdhsa_system_sgpr_workgroup_id_y 0
		.amdhsa_system_sgpr_workgroup_id_z 0
		.amdhsa_system_sgpr_workgroup_info 0
		.amdhsa_system_vgpr_workitem_id 0
		.amdhsa_next_free_vgpr 1
		.amdhsa_next_free_sgpr 1
		.amdhsa_reserve_vcc 0
		.amdhsa_reserve_flat_scratch 0
		.amdhsa_float_round_mode_32 0
		.amdhsa_float_round_mode_16_64 0
		.amdhsa_float_denorm_mode_32 3
		.amdhsa_float_denorm_mode_16_64 3
		.amdhsa_dx10_clamp 1
		.amdhsa_ieee_mode 1
		.amdhsa_fp16_overflow 0
		.amdhsa_workgroup_processor_mode 1
		.amdhsa_memory_ordered 1
		.amdhsa_forward_progress 1
		.amdhsa_shared_vgpr_count 0
		.amdhsa_exception_fp_ieee_invalid_op 0
		.amdhsa_exception_fp_denorm_src 0
		.amdhsa_exception_fp_ieee_div_zero 0
		.amdhsa_exception_fp_ieee_overflow 0
		.amdhsa_exception_fp_ieee_underflow 0
		.amdhsa_exception_fp_ieee_inexact 0
		.amdhsa_exception_int_div_zero 0
	.end_amdhsa_kernel
	.section	.text._ZN7rocprim17ROCPRIM_400000_NS6detail17trampoline_kernelINS0_14default_configENS1_27scan_by_key_config_selectorIitEEZZNS1_16scan_by_key_implILNS1_25lookback_scan_determinismE0ELb1ES3_N6thrust23THRUST_200600_302600_NS6detail15normal_iteratorINS9_10device_ptrIiEEEENSB_INSC_ItEEEESG_tNS9_4plusIvEENS9_8equal_toIvEEtEE10hipError_tPvRmT2_T3_T4_T5_mT6_T7_P12ihipStream_tbENKUlT_T0_E_clISt17integral_constantIbLb1EES10_IbLb0EEEEDaSW_SX_EUlSW_E_NS1_11comp_targetILNS1_3genE0ELNS1_11target_archE4294967295ELNS1_3gpuE0ELNS1_3repE0EEENS1_30default_config_static_selectorELNS0_4arch9wavefront6targetE0EEEvT1_,"axG",@progbits,_ZN7rocprim17ROCPRIM_400000_NS6detail17trampoline_kernelINS0_14default_configENS1_27scan_by_key_config_selectorIitEEZZNS1_16scan_by_key_implILNS1_25lookback_scan_determinismE0ELb1ES3_N6thrust23THRUST_200600_302600_NS6detail15normal_iteratorINS9_10device_ptrIiEEEENSB_INSC_ItEEEESG_tNS9_4plusIvEENS9_8equal_toIvEEtEE10hipError_tPvRmT2_T3_T4_T5_mT6_T7_P12ihipStream_tbENKUlT_T0_E_clISt17integral_constantIbLb1EES10_IbLb0EEEEDaSW_SX_EUlSW_E_NS1_11comp_targetILNS1_3genE0ELNS1_11target_archE4294967295ELNS1_3gpuE0ELNS1_3repE0EEENS1_30default_config_static_selectorELNS0_4arch9wavefront6targetE0EEEvT1_,comdat
.Lfunc_end1553:
	.size	_ZN7rocprim17ROCPRIM_400000_NS6detail17trampoline_kernelINS0_14default_configENS1_27scan_by_key_config_selectorIitEEZZNS1_16scan_by_key_implILNS1_25lookback_scan_determinismE0ELb1ES3_N6thrust23THRUST_200600_302600_NS6detail15normal_iteratorINS9_10device_ptrIiEEEENSB_INSC_ItEEEESG_tNS9_4plusIvEENS9_8equal_toIvEEtEE10hipError_tPvRmT2_T3_T4_T5_mT6_T7_P12ihipStream_tbENKUlT_T0_E_clISt17integral_constantIbLb1EES10_IbLb0EEEEDaSW_SX_EUlSW_E_NS1_11comp_targetILNS1_3genE0ELNS1_11target_archE4294967295ELNS1_3gpuE0ELNS1_3repE0EEENS1_30default_config_static_selectorELNS0_4arch9wavefront6targetE0EEEvT1_, .Lfunc_end1553-_ZN7rocprim17ROCPRIM_400000_NS6detail17trampoline_kernelINS0_14default_configENS1_27scan_by_key_config_selectorIitEEZZNS1_16scan_by_key_implILNS1_25lookback_scan_determinismE0ELb1ES3_N6thrust23THRUST_200600_302600_NS6detail15normal_iteratorINS9_10device_ptrIiEEEENSB_INSC_ItEEEESG_tNS9_4plusIvEENS9_8equal_toIvEEtEE10hipError_tPvRmT2_T3_T4_T5_mT6_T7_P12ihipStream_tbENKUlT_T0_E_clISt17integral_constantIbLb1EES10_IbLb0EEEEDaSW_SX_EUlSW_E_NS1_11comp_targetILNS1_3genE0ELNS1_11target_archE4294967295ELNS1_3gpuE0ELNS1_3repE0EEENS1_30default_config_static_selectorELNS0_4arch9wavefront6targetE0EEEvT1_
                                        ; -- End function
	.set _ZN7rocprim17ROCPRIM_400000_NS6detail17trampoline_kernelINS0_14default_configENS1_27scan_by_key_config_selectorIitEEZZNS1_16scan_by_key_implILNS1_25lookback_scan_determinismE0ELb1ES3_N6thrust23THRUST_200600_302600_NS6detail15normal_iteratorINS9_10device_ptrIiEEEENSB_INSC_ItEEEESG_tNS9_4plusIvEENS9_8equal_toIvEEtEE10hipError_tPvRmT2_T3_T4_T5_mT6_T7_P12ihipStream_tbENKUlT_T0_E_clISt17integral_constantIbLb1EES10_IbLb0EEEEDaSW_SX_EUlSW_E_NS1_11comp_targetILNS1_3genE0ELNS1_11target_archE4294967295ELNS1_3gpuE0ELNS1_3repE0EEENS1_30default_config_static_selectorELNS0_4arch9wavefront6targetE0EEEvT1_.num_vgpr, 0
	.set _ZN7rocprim17ROCPRIM_400000_NS6detail17trampoline_kernelINS0_14default_configENS1_27scan_by_key_config_selectorIitEEZZNS1_16scan_by_key_implILNS1_25lookback_scan_determinismE0ELb1ES3_N6thrust23THRUST_200600_302600_NS6detail15normal_iteratorINS9_10device_ptrIiEEEENSB_INSC_ItEEEESG_tNS9_4plusIvEENS9_8equal_toIvEEtEE10hipError_tPvRmT2_T3_T4_T5_mT6_T7_P12ihipStream_tbENKUlT_T0_E_clISt17integral_constantIbLb1EES10_IbLb0EEEEDaSW_SX_EUlSW_E_NS1_11comp_targetILNS1_3genE0ELNS1_11target_archE4294967295ELNS1_3gpuE0ELNS1_3repE0EEENS1_30default_config_static_selectorELNS0_4arch9wavefront6targetE0EEEvT1_.num_agpr, 0
	.set _ZN7rocprim17ROCPRIM_400000_NS6detail17trampoline_kernelINS0_14default_configENS1_27scan_by_key_config_selectorIitEEZZNS1_16scan_by_key_implILNS1_25lookback_scan_determinismE0ELb1ES3_N6thrust23THRUST_200600_302600_NS6detail15normal_iteratorINS9_10device_ptrIiEEEENSB_INSC_ItEEEESG_tNS9_4plusIvEENS9_8equal_toIvEEtEE10hipError_tPvRmT2_T3_T4_T5_mT6_T7_P12ihipStream_tbENKUlT_T0_E_clISt17integral_constantIbLb1EES10_IbLb0EEEEDaSW_SX_EUlSW_E_NS1_11comp_targetILNS1_3genE0ELNS1_11target_archE4294967295ELNS1_3gpuE0ELNS1_3repE0EEENS1_30default_config_static_selectorELNS0_4arch9wavefront6targetE0EEEvT1_.numbered_sgpr, 0
	.set _ZN7rocprim17ROCPRIM_400000_NS6detail17trampoline_kernelINS0_14default_configENS1_27scan_by_key_config_selectorIitEEZZNS1_16scan_by_key_implILNS1_25lookback_scan_determinismE0ELb1ES3_N6thrust23THRUST_200600_302600_NS6detail15normal_iteratorINS9_10device_ptrIiEEEENSB_INSC_ItEEEESG_tNS9_4plusIvEENS9_8equal_toIvEEtEE10hipError_tPvRmT2_T3_T4_T5_mT6_T7_P12ihipStream_tbENKUlT_T0_E_clISt17integral_constantIbLb1EES10_IbLb0EEEEDaSW_SX_EUlSW_E_NS1_11comp_targetILNS1_3genE0ELNS1_11target_archE4294967295ELNS1_3gpuE0ELNS1_3repE0EEENS1_30default_config_static_selectorELNS0_4arch9wavefront6targetE0EEEvT1_.num_named_barrier, 0
	.set _ZN7rocprim17ROCPRIM_400000_NS6detail17trampoline_kernelINS0_14default_configENS1_27scan_by_key_config_selectorIitEEZZNS1_16scan_by_key_implILNS1_25lookback_scan_determinismE0ELb1ES3_N6thrust23THRUST_200600_302600_NS6detail15normal_iteratorINS9_10device_ptrIiEEEENSB_INSC_ItEEEESG_tNS9_4plusIvEENS9_8equal_toIvEEtEE10hipError_tPvRmT2_T3_T4_T5_mT6_T7_P12ihipStream_tbENKUlT_T0_E_clISt17integral_constantIbLb1EES10_IbLb0EEEEDaSW_SX_EUlSW_E_NS1_11comp_targetILNS1_3genE0ELNS1_11target_archE4294967295ELNS1_3gpuE0ELNS1_3repE0EEENS1_30default_config_static_selectorELNS0_4arch9wavefront6targetE0EEEvT1_.private_seg_size, 0
	.set _ZN7rocprim17ROCPRIM_400000_NS6detail17trampoline_kernelINS0_14default_configENS1_27scan_by_key_config_selectorIitEEZZNS1_16scan_by_key_implILNS1_25lookback_scan_determinismE0ELb1ES3_N6thrust23THRUST_200600_302600_NS6detail15normal_iteratorINS9_10device_ptrIiEEEENSB_INSC_ItEEEESG_tNS9_4plusIvEENS9_8equal_toIvEEtEE10hipError_tPvRmT2_T3_T4_T5_mT6_T7_P12ihipStream_tbENKUlT_T0_E_clISt17integral_constantIbLb1EES10_IbLb0EEEEDaSW_SX_EUlSW_E_NS1_11comp_targetILNS1_3genE0ELNS1_11target_archE4294967295ELNS1_3gpuE0ELNS1_3repE0EEENS1_30default_config_static_selectorELNS0_4arch9wavefront6targetE0EEEvT1_.uses_vcc, 0
	.set _ZN7rocprim17ROCPRIM_400000_NS6detail17trampoline_kernelINS0_14default_configENS1_27scan_by_key_config_selectorIitEEZZNS1_16scan_by_key_implILNS1_25lookback_scan_determinismE0ELb1ES3_N6thrust23THRUST_200600_302600_NS6detail15normal_iteratorINS9_10device_ptrIiEEEENSB_INSC_ItEEEESG_tNS9_4plusIvEENS9_8equal_toIvEEtEE10hipError_tPvRmT2_T3_T4_T5_mT6_T7_P12ihipStream_tbENKUlT_T0_E_clISt17integral_constantIbLb1EES10_IbLb0EEEEDaSW_SX_EUlSW_E_NS1_11comp_targetILNS1_3genE0ELNS1_11target_archE4294967295ELNS1_3gpuE0ELNS1_3repE0EEENS1_30default_config_static_selectorELNS0_4arch9wavefront6targetE0EEEvT1_.uses_flat_scratch, 0
	.set _ZN7rocprim17ROCPRIM_400000_NS6detail17trampoline_kernelINS0_14default_configENS1_27scan_by_key_config_selectorIitEEZZNS1_16scan_by_key_implILNS1_25lookback_scan_determinismE0ELb1ES3_N6thrust23THRUST_200600_302600_NS6detail15normal_iteratorINS9_10device_ptrIiEEEENSB_INSC_ItEEEESG_tNS9_4plusIvEENS9_8equal_toIvEEtEE10hipError_tPvRmT2_T3_T4_T5_mT6_T7_P12ihipStream_tbENKUlT_T0_E_clISt17integral_constantIbLb1EES10_IbLb0EEEEDaSW_SX_EUlSW_E_NS1_11comp_targetILNS1_3genE0ELNS1_11target_archE4294967295ELNS1_3gpuE0ELNS1_3repE0EEENS1_30default_config_static_selectorELNS0_4arch9wavefront6targetE0EEEvT1_.has_dyn_sized_stack, 0
	.set _ZN7rocprim17ROCPRIM_400000_NS6detail17trampoline_kernelINS0_14default_configENS1_27scan_by_key_config_selectorIitEEZZNS1_16scan_by_key_implILNS1_25lookback_scan_determinismE0ELb1ES3_N6thrust23THRUST_200600_302600_NS6detail15normal_iteratorINS9_10device_ptrIiEEEENSB_INSC_ItEEEESG_tNS9_4plusIvEENS9_8equal_toIvEEtEE10hipError_tPvRmT2_T3_T4_T5_mT6_T7_P12ihipStream_tbENKUlT_T0_E_clISt17integral_constantIbLb1EES10_IbLb0EEEEDaSW_SX_EUlSW_E_NS1_11comp_targetILNS1_3genE0ELNS1_11target_archE4294967295ELNS1_3gpuE0ELNS1_3repE0EEENS1_30default_config_static_selectorELNS0_4arch9wavefront6targetE0EEEvT1_.has_recursion, 0
	.set _ZN7rocprim17ROCPRIM_400000_NS6detail17trampoline_kernelINS0_14default_configENS1_27scan_by_key_config_selectorIitEEZZNS1_16scan_by_key_implILNS1_25lookback_scan_determinismE0ELb1ES3_N6thrust23THRUST_200600_302600_NS6detail15normal_iteratorINS9_10device_ptrIiEEEENSB_INSC_ItEEEESG_tNS9_4plusIvEENS9_8equal_toIvEEtEE10hipError_tPvRmT2_T3_T4_T5_mT6_T7_P12ihipStream_tbENKUlT_T0_E_clISt17integral_constantIbLb1EES10_IbLb0EEEEDaSW_SX_EUlSW_E_NS1_11comp_targetILNS1_3genE0ELNS1_11target_archE4294967295ELNS1_3gpuE0ELNS1_3repE0EEENS1_30default_config_static_selectorELNS0_4arch9wavefront6targetE0EEEvT1_.has_indirect_call, 0
	.section	.AMDGPU.csdata,"",@progbits
; Kernel info:
; codeLenInByte = 0
; TotalNumSgprs: 0
; NumVgprs: 0
; ScratchSize: 0
; MemoryBound: 0
; FloatMode: 240
; IeeeMode: 1
; LDSByteSize: 0 bytes/workgroup (compile time only)
; SGPRBlocks: 0
; VGPRBlocks: 0
; NumSGPRsForWavesPerEU: 1
; NumVGPRsForWavesPerEU: 1
; Occupancy: 16
; WaveLimiterHint : 0
; COMPUTE_PGM_RSRC2:SCRATCH_EN: 0
; COMPUTE_PGM_RSRC2:USER_SGPR: 6
; COMPUTE_PGM_RSRC2:TRAP_HANDLER: 0
; COMPUTE_PGM_RSRC2:TGID_X_EN: 1
; COMPUTE_PGM_RSRC2:TGID_Y_EN: 0
; COMPUTE_PGM_RSRC2:TGID_Z_EN: 0
; COMPUTE_PGM_RSRC2:TIDIG_COMP_CNT: 0
	.section	.text._ZN7rocprim17ROCPRIM_400000_NS6detail17trampoline_kernelINS0_14default_configENS1_27scan_by_key_config_selectorIitEEZZNS1_16scan_by_key_implILNS1_25lookback_scan_determinismE0ELb1ES3_N6thrust23THRUST_200600_302600_NS6detail15normal_iteratorINS9_10device_ptrIiEEEENSB_INSC_ItEEEESG_tNS9_4plusIvEENS9_8equal_toIvEEtEE10hipError_tPvRmT2_T3_T4_T5_mT6_T7_P12ihipStream_tbENKUlT_T0_E_clISt17integral_constantIbLb1EES10_IbLb0EEEEDaSW_SX_EUlSW_E_NS1_11comp_targetILNS1_3genE10ELNS1_11target_archE1201ELNS1_3gpuE5ELNS1_3repE0EEENS1_30default_config_static_selectorELNS0_4arch9wavefront6targetE0EEEvT1_,"axG",@progbits,_ZN7rocprim17ROCPRIM_400000_NS6detail17trampoline_kernelINS0_14default_configENS1_27scan_by_key_config_selectorIitEEZZNS1_16scan_by_key_implILNS1_25lookback_scan_determinismE0ELb1ES3_N6thrust23THRUST_200600_302600_NS6detail15normal_iteratorINS9_10device_ptrIiEEEENSB_INSC_ItEEEESG_tNS9_4plusIvEENS9_8equal_toIvEEtEE10hipError_tPvRmT2_T3_T4_T5_mT6_T7_P12ihipStream_tbENKUlT_T0_E_clISt17integral_constantIbLb1EES10_IbLb0EEEEDaSW_SX_EUlSW_E_NS1_11comp_targetILNS1_3genE10ELNS1_11target_archE1201ELNS1_3gpuE5ELNS1_3repE0EEENS1_30default_config_static_selectorELNS0_4arch9wavefront6targetE0EEEvT1_,comdat
	.protected	_ZN7rocprim17ROCPRIM_400000_NS6detail17trampoline_kernelINS0_14default_configENS1_27scan_by_key_config_selectorIitEEZZNS1_16scan_by_key_implILNS1_25lookback_scan_determinismE0ELb1ES3_N6thrust23THRUST_200600_302600_NS6detail15normal_iteratorINS9_10device_ptrIiEEEENSB_INSC_ItEEEESG_tNS9_4plusIvEENS9_8equal_toIvEEtEE10hipError_tPvRmT2_T3_T4_T5_mT6_T7_P12ihipStream_tbENKUlT_T0_E_clISt17integral_constantIbLb1EES10_IbLb0EEEEDaSW_SX_EUlSW_E_NS1_11comp_targetILNS1_3genE10ELNS1_11target_archE1201ELNS1_3gpuE5ELNS1_3repE0EEENS1_30default_config_static_selectorELNS0_4arch9wavefront6targetE0EEEvT1_ ; -- Begin function _ZN7rocprim17ROCPRIM_400000_NS6detail17trampoline_kernelINS0_14default_configENS1_27scan_by_key_config_selectorIitEEZZNS1_16scan_by_key_implILNS1_25lookback_scan_determinismE0ELb1ES3_N6thrust23THRUST_200600_302600_NS6detail15normal_iteratorINS9_10device_ptrIiEEEENSB_INSC_ItEEEESG_tNS9_4plusIvEENS9_8equal_toIvEEtEE10hipError_tPvRmT2_T3_T4_T5_mT6_T7_P12ihipStream_tbENKUlT_T0_E_clISt17integral_constantIbLb1EES10_IbLb0EEEEDaSW_SX_EUlSW_E_NS1_11comp_targetILNS1_3genE10ELNS1_11target_archE1201ELNS1_3gpuE5ELNS1_3repE0EEENS1_30default_config_static_selectorELNS0_4arch9wavefront6targetE0EEEvT1_
	.globl	_ZN7rocprim17ROCPRIM_400000_NS6detail17trampoline_kernelINS0_14default_configENS1_27scan_by_key_config_selectorIitEEZZNS1_16scan_by_key_implILNS1_25lookback_scan_determinismE0ELb1ES3_N6thrust23THRUST_200600_302600_NS6detail15normal_iteratorINS9_10device_ptrIiEEEENSB_INSC_ItEEEESG_tNS9_4plusIvEENS9_8equal_toIvEEtEE10hipError_tPvRmT2_T3_T4_T5_mT6_T7_P12ihipStream_tbENKUlT_T0_E_clISt17integral_constantIbLb1EES10_IbLb0EEEEDaSW_SX_EUlSW_E_NS1_11comp_targetILNS1_3genE10ELNS1_11target_archE1201ELNS1_3gpuE5ELNS1_3repE0EEENS1_30default_config_static_selectorELNS0_4arch9wavefront6targetE0EEEvT1_
	.p2align	8
	.type	_ZN7rocprim17ROCPRIM_400000_NS6detail17trampoline_kernelINS0_14default_configENS1_27scan_by_key_config_selectorIitEEZZNS1_16scan_by_key_implILNS1_25lookback_scan_determinismE0ELb1ES3_N6thrust23THRUST_200600_302600_NS6detail15normal_iteratorINS9_10device_ptrIiEEEENSB_INSC_ItEEEESG_tNS9_4plusIvEENS9_8equal_toIvEEtEE10hipError_tPvRmT2_T3_T4_T5_mT6_T7_P12ihipStream_tbENKUlT_T0_E_clISt17integral_constantIbLb1EES10_IbLb0EEEEDaSW_SX_EUlSW_E_NS1_11comp_targetILNS1_3genE10ELNS1_11target_archE1201ELNS1_3gpuE5ELNS1_3repE0EEENS1_30default_config_static_selectorELNS0_4arch9wavefront6targetE0EEEvT1_,@function
_ZN7rocprim17ROCPRIM_400000_NS6detail17trampoline_kernelINS0_14default_configENS1_27scan_by_key_config_selectorIitEEZZNS1_16scan_by_key_implILNS1_25lookback_scan_determinismE0ELb1ES3_N6thrust23THRUST_200600_302600_NS6detail15normal_iteratorINS9_10device_ptrIiEEEENSB_INSC_ItEEEESG_tNS9_4plusIvEENS9_8equal_toIvEEtEE10hipError_tPvRmT2_T3_T4_T5_mT6_T7_P12ihipStream_tbENKUlT_T0_E_clISt17integral_constantIbLb1EES10_IbLb0EEEEDaSW_SX_EUlSW_E_NS1_11comp_targetILNS1_3genE10ELNS1_11target_archE1201ELNS1_3gpuE5ELNS1_3repE0EEENS1_30default_config_static_selectorELNS0_4arch9wavefront6targetE0EEEvT1_: ; @_ZN7rocprim17ROCPRIM_400000_NS6detail17trampoline_kernelINS0_14default_configENS1_27scan_by_key_config_selectorIitEEZZNS1_16scan_by_key_implILNS1_25lookback_scan_determinismE0ELb1ES3_N6thrust23THRUST_200600_302600_NS6detail15normal_iteratorINS9_10device_ptrIiEEEENSB_INSC_ItEEEESG_tNS9_4plusIvEENS9_8equal_toIvEEtEE10hipError_tPvRmT2_T3_T4_T5_mT6_T7_P12ihipStream_tbENKUlT_T0_E_clISt17integral_constantIbLb1EES10_IbLb0EEEEDaSW_SX_EUlSW_E_NS1_11comp_targetILNS1_3genE10ELNS1_11target_archE1201ELNS1_3gpuE5ELNS1_3repE0EEENS1_30default_config_static_selectorELNS0_4arch9wavefront6targetE0EEEvT1_
; %bb.0:
	.section	.rodata,"a",@progbits
	.p2align	6, 0x0
	.amdhsa_kernel _ZN7rocprim17ROCPRIM_400000_NS6detail17trampoline_kernelINS0_14default_configENS1_27scan_by_key_config_selectorIitEEZZNS1_16scan_by_key_implILNS1_25lookback_scan_determinismE0ELb1ES3_N6thrust23THRUST_200600_302600_NS6detail15normal_iteratorINS9_10device_ptrIiEEEENSB_INSC_ItEEEESG_tNS9_4plusIvEENS9_8equal_toIvEEtEE10hipError_tPvRmT2_T3_T4_T5_mT6_T7_P12ihipStream_tbENKUlT_T0_E_clISt17integral_constantIbLb1EES10_IbLb0EEEEDaSW_SX_EUlSW_E_NS1_11comp_targetILNS1_3genE10ELNS1_11target_archE1201ELNS1_3gpuE5ELNS1_3repE0EEENS1_30default_config_static_selectorELNS0_4arch9wavefront6targetE0EEEvT1_
		.amdhsa_group_segment_fixed_size 0
		.amdhsa_private_segment_fixed_size 0
		.amdhsa_kernarg_size 112
		.amdhsa_user_sgpr_count 6
		.amdhsa_user_sgpr_private_segment_buffer 1
		.amdhsa_user_sgpr_dispatch_ptr 0
		.amdhsa_user_sgpr_queue_ptr 0
		.amdhsa_user_sgpr_kernarg_segment_ptr 1
		.amdhsa_user_sgpr_dispatch_id 0
		.amdhsa_user_sgpr_flat_scratch_init 0
		.amdhsa_user_sgpr_private_segment_size 0
		.amdhsa_wavefront_size32 1
		.amdhsa_uses_dynamic_stack 0
		.amdhsa_system_sgpr_private_segment_wavefront_offset 0
		.amdhsa_system_sgpr_workgroup_id_x 1
		.amdhsa_system_sgpr_workgroup_id_y 0
		.amdhsa_system_sgpr_workgroup_id_z 0
		.amdhsa_system_sgpr_workgroup_info 0
		.amdhsa_system_vgpr_workitem_id 0
		.amdhsa_next_free_vgpr 1
		.amdhsa_next_free_sgpr 1
		.amdhsa_reserve_vcc 0
		.amdhsa_reserve_flat_scratch 0
		.amdhsa_float_round_mode_32 0
		.amdhsa_float_round_mode_16_64 0
		.amdhsa_float_denorm_mode_32 3
		.amdhsa_float_denorm_mode_16_64 3
		.amdhsa_dx10_clamp 1
		.amdhsa_ieee_mode 1
		.amdhsa_fp16_overflow 0
		.amdhsa_workgroup_processor_mode 1
		.amdhsa_memory_ordered 1
		.amdhsa_forward_progress 1
		.amdhsa_shared_vgpr_count 0
		.amdhsa_exception_fp_ieee_invalid_op 0
		.amdhsa_exception_fp_denorm_src 0
		.amdhsa_exception_fp_ieee_div_zero 0
		.amdhsa_exception_fp_ieee_overflow 0
		.amdhsa_exception_fp_ieee_underflow 0
		.amdhsa_exception_fp_ieee_inexact 0
		.amdhsa_exception_int_div_zero 0
	.end_amdhsa_kernel
	.section	.text._ZN7rocprim17ROCPRIM_400000_NS6detail17trampoline_kernelINS0_14default_configENS1_27scan_by_key_config_selectorIitEEZZNS1_16scan_by_key_implILNS1_25lookback_scan_determinismE0ELb1ES3_N6thrust23THRUST_200600_302600_NS6detail15normal_iteratorINS9_10device_ptrIiEEEENSB_INSC_ItEEEESG_tNS9_4plusIvEENS9_8equal_toIvEEtEE10hipError_tPvRmT2_T3_T4_T5_mT6_T7_P12ihipStream_tbENKUlT_T0_E_clISt17integral_constantIbLb1EES10_IbLb0EEEEDaSW_SX_EUlSW_E_NS1_11comp_targetILNS1_3genE10ELNS1_11target_archE1201ELNS1_3gpuE5ELNS1_3repE0EEENS1_30default_config_static_selectorELNS0_4arch9wavefront6targetE0EEEvT1_,"axG",@progbits,_ZN7rocprim17ROCPRIM_400000_NS6detail17trampoline_kernelINS0_14default_configENS1_27scan_by_key_config_selectorIitEEZZNS1_16scan_by_key_implILNS1_25lookback_scan_determinismE0ELb1ES3_N6thrust23THRUST_200600_302600_NS6detail15normal_iteratorINS9_10device_ptrIiEEEENSB_INSC_ItEEEESG_tNS9_4plusIvEENS9_8equal_toIvEEtEE10hipError_tPvRmT2_T3_T4_T5_mT6_T7_P12ihipStream_tbENKUlT_T0_E_clISt17integral_constantIbLb1EES10_IbLb0EEEEDaSW_SX_EUlSW_E_NS1_11comp_targetILNS1_3genE10ELNS1_11target_archE1201ELNS1_3gpuE5ELNS1_3repE0EEENS1_30default_config_static_selectorELNS0_4arch9wavefront6targetE0EEEvT1_,comdat
.Lfunc_end1554:
	.size	_ZN7rocprim17ROCPRIM_400000_NS6detail17trampoline_kernelINS0_14default_configENS1_27scan_by_key_config_selectorIitEEZZNS1_16scan_by_key_implILNS1_25lookback_scan_determinismE0ELb1ES3_N6thrust23THRUST_200600_302600_NS6detail15normal_iteratorINS9_10device_ptrIiEEEENSB_INSC_ItEEEESG_tNS9_4plusIvEENS9_8equal_toIvEEtEE10hipError_tPvRmT2_T3_T4_T5_mT6_T7_P12ihipStream_tbENKUlT_T0_E_clISt17integral_constantIbLb1EES10_IbLb0EEEEDaSW_SX_EUlSW_E_NS1_11comp_targetILNS1_3genE10ELNS1_11target_archE1201ELNS1_3gpuE5ELNS1_3repE0EEENS1_30default_config_static_selectorELNS0_4arch9wavefront6targetE0EEEvT1_, .Lfunc_end1554-_ZN7rocprim17ROCPRIM_400000_NS6detail17trampoline_kernelINS0_14default_configENS1_27scan_by_key_config_selectorIitEEZZNS1_16scan_by_key_implILNS1_25lookback_scan_determinismE0ELb1ES3_N6thrust23THRUST_200600_302600_NS6detail15normal_iteratorINS9_10device_ptrIiEEEENSB_INSC_ItEEEESG_tNS9_4plusIvEENS9_8equal_toIvEEtEE10hipError_tPvRmT2_T3_T4_T5_mT6_T7_P12ihipStream_tbENKUlT_T0_E_clISt17integral_constantIbLb1EES10_IbLb0EEEEDaSW_SX_EUlSW_E_NS1_11comp_targetILNS1_3genE10ELNS1_11target_archE1201ELNS1_3gpuE5ELNS1_3repE0EEENS1_30default_config_static_selectorELNS0_4arch9wavefront6targetE0EEEvT1_
                                        ; -- End function
	.set _ZN7rocprim17ROCPRIM_400000_NS6detail17trampoline_kernelINS0_14default_configENS1_27scan_by_key_config_selectorIitEEZZNS1_16scan_by_key_implILNS1_25lookback_scan_determinismE0ELb1ES3_N6thrust23THRUST_200600_302600_NS6detail15normal_iteratorINS9_10device_ptrIiEEEENSB_INSC_ItEEEESG_tNS9_4plusIvEENS9_8equal_toIvEEtEE10hipError_tPvRmT2_T3_T4_T5_mT6_T7_P12ihipStream_tbENKUlT_T0_E_clISt17integral_constantIbLb1EES10_IbLb0EEEEDaSW_SX_EUlSW_E_NS1_11comp_targetILNS1_3genE10ELNS1_11target_archE1201ELNS1_3gpuE5ELNS1_3repE0EEENS1_30default_config_static_selectorELNS0_4arch9wavefront6targetE0EEEvT1_.num_vgpr, 0
	.set _ZN7rocprim17ROCPRIM_400000_NS6detail17trampoline_kernelINS0_14default_configENS1_27scan_by_key_config_selectorIitEEZZNS1_16scan_by_key_implILNS1_25lookback_scan_determinismE0ELb1ES3_N6thrust23THRUST_200600_302600_NS6detail15normal_iteratorINS9_10device_ptrIiEEEENSB_INSC_ItEEEESG_tNS9_4plusIvEENS9_8equal_toIvEEtEE10hipError_tPvRmT2_T3_T4_T5_mT6_T7_P12ihipStream_tbENKUlT_T0_E_clISt17integral_constantIbLb1EES10_IbLb0EEEEDaSW_SX_EUlSW_E_NS1_11comp_targetILNS1_3genE10ELNS1_11target_archE1201ELNS1_3gpuE5ELNS1_3repE0EEENS1_30default_config_static_selectorELNS0_4arch9wavefront6targetE0EEEvT1_.num_agpr, 0
	.set _ZN7rocprim17ROCPRIM_400000_NS6detail17trampoline_kernelINS0_14default_configENS1_27scan_by_key_config_selectorIitEEZZNS1_16scan_by_key_implILNS1_25lookback_scan_determinismE0ELb1ES3_N6thrust23THRUST_200600_302600_NS6detail15normal_iteratorINS9_10device_ptrIiEEEENSB_INSC_ItEEEESG_tNS9_4plusIvEENS9_8equal_toIvEEtEE10hipError_tPvRmT2_T3_T4_T5_mT6_T7_P12ihipStream_tbENKUlT_T0_E_clISt17integral_constantIbLb1EES10_IbLb0EEEEDaSW_SX_EUlSW_E_NS1_11comp_targetILNS1_3genE10ELNS1_11target_archE1201ELNS1_3gpuE5ELNS1_3repE0EEENS1_30default_config_static_selectorELNS0_4arch9wavefront6targetE0EEEvT1_.numbered_sgpr, 0
	.set _ZN7rocprim17ROCPRIM_400000_NS6detail17trampoline_kernelINS0_14default_configENS1_27scan_by_key_config_selectorIitEEZZNS1_16scan_by_key_implILNS1_25lookback_scan_determinismE0ELb1ES3_N6thrust23THRUST_200600_302600_NS6detail15normal_iteratorINS9_10device_ptrIiEEEENSB_INSC_ItEEEESG_tNS9_4plusIvEENS9_8equal_toIvEEtEE10hipError_tPvRmT2_T3_T4_T5_mT6_T7_P12ihipStream_tbENKUlT_T0_E_clISt17integral_constantIbLb1EES10_IbLb0EEEEDaSW_SX_EUlSW_E_NS1_11comp_targetILNS1_3genE10ELNS1_11target_archE1201ELNS1_3gpuE5ELNS1_3repE0EEENS1_30default_config_static_selectorELNS0_4arch9wavefront6targetE0EEEvT1_.num_named_barrier, 0
	.set _ZN7rocprim17ROCPRIM_400000_NS6detail17trampoline_kernelINS0_14default_configENS1_27scan_by_key_config_selectorIitEEZZNS1_16scan_by_key_implILNS1_25lookback_scan_determinismE0ELb1ES3_N6thrust23THRUST_200600_302600_NS6detail15normal_iteratorINS9_10device_ptrIiEEEENSB_INSC_ItEEEESG_tNS9_4plusIvEENS9_8equal_toIvEEtEE10hipError_tPvRmT2_T3_T4_T5_mT6_T7_P12ihipStream_tbENKUlT_T0_E_clISt17integral_constantIbLb1EES10_IbLb0EEEEDaSW_SX_EUlSW_E_NS1_11comp_targetILNS1_3genE10ELNS1_11target_archE1201ELNS1_3gpuE5ELNS1_3repE0EEENS1_30default_config_static_selectorELNS0_4arch9wavefront6targetE0EEEvT1_.private_seg_size, 0
	.set _ZN7rocprim17ROCPRIM_400000_NS6detail17trampoline_kernelINS0_14default_configENS1_27scan_by_key_config_selectorIitEEZZNS1_16scan_by_key_implILNS1_25lookback_scan_determinismE0ELb1ES3_N6thrust23THRUST_200600_302600_NS6detail15normal_iteratorINS9_10device_ptrIiEEEENSB_INSC_ItEEEESG_tNS9_4plusIvEENS9_8equal_toIvEEtEE10hipError_tPvRmT2_T3_T4_T5_mT6_T7_P12ihipStream_tbENKUlT_T0_E_clISt17integral_constantIbLb1EES10_IbLb0EEEEDaSW_SX_EUlSW_E_NS1_11comp_targetILNS1_3genE10ELNS1_11target_archE1201ELNS1_3gpuE5ELNS1_3repE0EEENS1_30default_config_static_selectorELNS0_4arch9wavefront6targetE0EEEvT1_.uses_vcc, 0
	.set _ZN7rocprim17ROCPRIM_400000_NS6detail17trampoline_kernelINS0_14default_configENS1_27scan_by_key_config_selectorIitEEZZNS1_16scan_by_key_implILNS1_25lookback_scan_determinismE0ELb1ES3_N6thrust23THRUST_200600_302600_NS6detail15normal_iteratorINS9_10device_ptrIiEEEENSB_INSC_ItEEEESG_tNS9_4plusIvEENS9_8equal_toIvEEtEE10hipError_tPvRmT2_T3_T4_T5_mT6_T7_P12ihipStream_tbENKUlT_T0_E_clISt17integral_constantIbLb1EES10_IbLb0EEEEDaSW_SX_EUlSW_E_NS1_11comp_targetILNS1_3genE10ELNS1_11target_archE1201ELNS1_3gpuE5ELNS1_3repE0EEENS1_30default_config_static_selectorELNS0_4arch9wavefront6targetE0EEEvT1_.uses_flat_scratch, 0
	.set _ZN7rocprim17ROCPRIM_400000_NS6detail17trampoline_kernelINS0_14default_configENS1_27scan_by_key_config_selectorIitEEZZNS1_16scan_by_key_implILNS1_25lookback_scan_determinismE0ELb1ES3_N6thrust23THRUST_200600_302600_NS6detail15normal_iteratorINS9_10device_ptrIiEEEENSB_INSC_ItEEEESG_tNS9_4plusIvEENS9_8equal_toIvEEtEE10hipError_tPvRmT2_T3_T4_T5_mT6_T7_P12ihipStream_tbENKUlT_T0_E_clISt17integral_constantIbLb1EES10_IbLb0EEEEDaSW_SX_EUlSW_E_NS1_11comp_targetILNS1_3genE10ELNS1_11target_archE1201ELNS1_3gpuE5ELNS1_3repE0EEENS1_30default_config_static_selectorELNS0_4arch9wavefront6targetE0EEEvT1_.has_dyn_sized_stack, 0
	.set _ZN7rocprim17ROCPRIM_400000_NS6detail17trampoline_kernelINS0_14default_configENS1_27scan_by_key_config_selectorIitEEZZNS1_16scan_by_key_implILNS1_25lookback_scan_determinismE0ELb1ES3_N6thrust23THRUST_200600_302600_NS6detail15normal_iteratorINS9_10device_ptrIiEEEENSB_INSC_ItEEEESG_tNS9_4plusIvEENS9_8equal_toIvEEtEE10hipError_tPvRmT2_T3_T4_T5_mT6_T7_P12ihipStream_tbENKUlT_T0_E_clISt17integral_constantIbLb1EES10_IbLb0EEEEDaSW_SX_EUlSW_E_NS1_11comp_targetILNS1_3genE10ELNS1_11target_archE1201ELNS1_3gpuE5ELNS1_3repE0EEENS1_30default_config_static_selectorELNS0_4arch9wavefront6targetE0EEEvT1_.has_recursion, 0
	.set _ZN7rocprim17ROCPRIM_400000_NS6detail17trampoline_kernelINS0_14default_configENS1_27scan_by_key_config_selectorIitEEZZNS1_16scan_by_key_implILNS1_25lookback_scan_determinismE0ELb1ES3_N6thrust23THRUST_200600_302600_NS6detail15normal_iteratorINS9_10device_ptrIiEEEENSB_INSC_ItEEEESG_tNS9_4plusIvEENS9_8equal_toIvEEtEE10hipError_tPvRmT2_T3_T4_T5_mT6_T7_P12ihipStream_tbENKUlT_T0_E_clISt17integral_constantIbLb1EES10_IbLb0EEEEDaSW_SX_EUlSW_E_NS1_11comp_targetILNS1_3genE10ELNS1_11target_archE1201ELNS1_3gpuE5ELNS1_3repE0EEENS1_30default_config_static_selectorELNS0_4arch9wavefront6targetE0EEEvT1_.has_indirect_call, 0
	.section	.AMDGPU.csdata,"",@progbits
; Kernel info:
; codeLenInByte = 0
; TotalNumSgprs: 0
; NumVgprs: 0
; ScratchSize: 0
; MemoryBound: 0
; FloatMode: 240
; IeeeMode: 1
; LDSByteSize: 0 bytes/workgroup (compile time only)
; SGPRBlocks: 0
; VGPRBlocks: 0
; NumSGPRsForWavesPerEU: 1
; NumVGPRsForWavesPerEU: 1
; Occupancy: 16
; WaveLimiterHint : 0
; COMPUTE_PGM_RSRC2:SCRATCH_EN: 0
; COMPUTE_PGM_RSRC2:USER_SGPR: 6
; COMPUTE_PGM_RSRC2:TRAP_HANDLER: 0
; COMPUTE_PGM_RSRC2:TGID_X_EN: 1
; COMPUTE_PGM_RSRC2:TGID_Y_EN: 0
; COMPUTE_PGM_RSRC2:TGID_Z_EN: 0
; COMPUTE_PGM_RSRC2:TIDIG_COMP_CNT: 0
	.section	.text._ZN7rocprim17ROCPRIM_400000_NS6detail17trampoline_kernelINS0_14default_configENS1_27scan_by_key_config_selectorIitEEZZNS1_16scan_by_key_implILNS1_25lookback_scan_determinismE0ELb1ES3_N6thrust23THRUST_200600_302600_NS6detail15normal_iteratorINS9_10device_ptrIiEEEENSB_INSC_ItEEEESG_tNS9_4plusIvEENS9_8equal_toIvEEtEE10hipError_tPvRmT2_T3_T4_T5_mT6_T7_P12ihipStream_tbENKUlT_T0_E_clISt17integral_constantIbLb1EES10_IbLb0EEEEDaSW_SX_EUlSW_E_NS1_11comp_targetILNS1_3genE5ELNS1_11target_archE942ELNS1_3gpuE9ELNS1_3repE0EEENS1_30default_config_static_selectorELNS0_4arch9wavefront6targetE0EEEvT1_,"axG",@progbits,_ZN7rocprim17ROCPRIM_400000_NS6detail17trampoline_kernelINS0_14default_configENS1_27scan_by_key_config_selectorIitEEZZNS1_16scan_by_key_implILNS1_25lookback_scan_determinismE0ELb1ES3_N6thrust23THRUST_200600_302600_NS6detail15normal_iteratorINS9_10device_ptrIiEEEENSB_INSC_ItEEEESG_tNS9_4plusIvEENS9_8equal_toIvEEtEE10hipError_tPvRmT2_T3_T4_T5_mT6_T7_P12ihipStream_tbENKUlT_T0_E_clISt17integral_constantIbLb1EES10_IbLb0EEEEDaSW_SX_EUlSW_E_NS1_11comp_targetILNS1_3genE5ELNS1_11target_archE942ELNS1_3gpuE9ELNS1_3repE0EEENS1_30default_config_static_selectorELNS0_4arch9wavefront6targetE0EEEvT1_,comdat
	.protected	_ZN7rocprim17ROCPRIM_400000_NS6detail17trampoline_kernelINS0_14default_configENS1_27scan_by_key_config_selectorIitEEZZNS1_16scan_by_key_implILNS1_25lookback_scan_determinismE0ELb1ES3_N6thrust23THRUST_200600_302600_NS6detail15normal_iteratorINS9_10device_ptrIiEEEENSB_INSC_ItEEEESG_tNS9_4plusIvEENS9_8equal_toIvEEtEE10hipError_tPvRmT2_T3_T4_T5_mT6_T7_P12ihipStream_tbENKUlT_T0_E_clISt17integral_constantIbLb1EES10_IbLb0EEEEDaSW_SX_EUlSW_E_NS1_11comp_targetILNS1_3genE5ELNS1_11target_archE942ELNS1_3gpuE9ELNS1_3repE0EEENS1_30default_config_static_selectorELNS0_4arch9wavefront6targetE0EEEvT1_ ; -- Begin function _ZN7rocprim17ROCPRIM_400000_NS6detail17trampoline_kernelINS0_14default_configENS1_27scan_by_key_config_selectorIitEEZZNS1_16scan_by_key_implILNS1_25lookback_scan_determinismE0ELb1ES3_N6thrust23THRUST_200600_302600_NS6detail15normal_iteratorINS9_10device_ptrIiEEEENSB_INSC_ItEEEESG_tNS9_4plusIvEENS9_8equal_toIvEEtEE10hipError_tPvRmT2_T3_T4_T5_mT6_T7_P12ihipStream_tbENKUlT_T0_E_clISt17integral_constantIbLb1EES10_IbLb0EEEEDaSW_SX_EUlSW_E_NS1_11comp_targetILNS1_3genE5ELNS1_11target_archE942ELNS1_3gpuE9ELNS1_3repE0EEENS1_30default_config_static_selectorELNS0_4arch9wavefront6targetE0EEEvT1_
	.globl	_ZN7rocprim17ROCPRIM_400000_NS6detail17trampoline_kernelINS0_14default_configENS1_27scan_by_key_config_selectorIitEEZZNS1_16scan_by_key_implILNS1_25lookback_scan_determinismE0ELb1ES3_N6thrust23THRUST_200600_302600_NS6detail15normal_iteratorINS9_10device_ptrIiEEEENSB_INSC_ItEEEESG_tNS9_4plusIvEENS9_8equal_toIvEEtEE10hipError_tPvRmT2_T3_T4_T5_mT6_T7_P12ihipStream_tbENKUlT_T0_E_clISt17integral_constantIbLb1EES10_IbLb0EEEEDaSW_SX_EUlSW_E_NS1_11comp_targetILNS1_3genE5ELNS1_11target_archE942ELNS1_3gpuE9ELNS1_3repE0EEENS1_30default_config_static_selectorELNS0_4arch9wavefront6targetE0EEEvT1_
	.p2align	8
	.type	_ZN7rocprim17ROCPRIM_400000_NS6detail17trampoline_kernelINS0_14default_configENS1_27scan_by_key_config_selectorIitEEZZNS1_16scan_by_key_implILNS1_25lookback_scan_determinismE0ELb1ES3_N6thrust23THRUST_200600_302600_NS6detail15normal_iteratorINS9_10device_ptrIiEEEENSB_INSC_ItEEEESG_tNS9_4plusIvEENS9_8equal_toIvEEtEE10hipError_tPvRmT2_T3_T4_T5_mT6_T7_P12ihipStream_tbENKUlT_T0_E_clISt17integral_constantIbLb1EES10_IbLb0EEEEDaSW_SX_EUlSW_E_NS1_11comp_targetILNS1_3genE5ELNS1_11target_archE942ELNS1_3gpuE9ELNS1_3repE0EEENS1_30default_config_static_selectorELNS0_4arch9wavefront6targetE0EEEvT1_,@function
_ZN7rocprim17ROCPRIM_400000_NS6detail17trampoline_kernelINS0_14default_configENS1_27scan_by_key_config_selectorIitEEZZNS1_16scan_by_key_implILNS1_25lookback_scan_determinismE0ELb1ES3_N6thrust23THRUST_200600_302600_NS6detail15normal_iteratorINS9_10device_ptrIiEEEENSB_INSC_ItEEEESG_tNS9_4plusIvEENS9_8equal_toIvEEtEE10hipError_tPvRmT2_T3_T4_T5_mT6_T7_P12ihipStream_tbENKUlT_T0_E_clISt17integral_constantIbLb1EES10_IbLb0EEEEDaSW_SX_EUlSW_E_NS1_11comp_targetILNS1_3genE5ELNS1_11target_archE942ELNS1_3gpuE9ELNS1_3repE0EEENS1_30default_config_static_selectorELNS0_4arch9wavefront6targetE0EEEvT1_: ; @_ZN7rocprim17ROCPRIM_400000_NS6detail17trampoline_kernelINS0_14default_configENS1_27scan_by_key_config_selectorIitEEZZNS1_16scan_by_key_implILNS1_25lookback_scan_determinismE0ELb1ES3_N6thrust23THRUST_200600_302600_NS6detail15normal_iteratorINS9_10device_ptrIiEEEENSB_INSC_ItEEEESG_tNS9_4plusIvEENS9_8equal_toIvEEtEE10hipError_tPvRmT2_T3_T4_T5_mT6_T7_P12ihipStream_tbENKUlT_T0_E_clISt17integral_constantIbLb1EES10_IbLb0EEEEDaSW_SX_EUlSW_E_NS1_11comp_targetILNS1_3genE5ELNS1_11target_archE942ELNS1_3gpuE9ELNS1_3repE0EEENS1_30default_config_static_selectorELNS0_4arch9wavefront6targetE0EEEvT1_
; %bb.0:
	.section	.rodata,"a",@progbits
	.p2align	6, 0x0
	.amdhsa_kernel _ZN7rocprim17ROCPRIM_400000_NS6detail17trampoline_kernelINS0_14default_configENS1_27scan_by_key_config_selectorIitEEZZNS1_16scan_by_key_implILNS1_25lookback_scan_determinismE0ELb1ES3_N6thrust23THRUST_200600_302600_NS6detail15normal_iteratorINS9_10device_ptrIiEEEENSB_INSC_ItEEEESG_tNS9_4plusIvEENS9_8equal_toIvEEtEE10hipError_tPvRmT2_T3_T4_T5_mT6_T7_P12ihipStream_tbENKUlT_T0_E_clISt17integral_constantIbLb1EES10_IbLb0EEEEDaSW_SX_EUlSW_E_NS1_11comp_targetILNS1_3genE5ELNS1_11target_archE942ELNS1_3gpuE9ELNS1_3repE0EEENS1_30default_config_static_selectorELNS0_4arch9wavefront6targetE0EEEvT1_
		.amdhsa_group_segment_fixed_size 0
		.amdhsa_private_segment_fixed_size 0
		.amdhsa_kernarg_size 112
		.amdhsa_user_sgpr_count 6
		.amdhsa_user_sgpr_private_segment_buffer 1
		.amdhsa_user_sgpr_dispatch_ptr 0
		.amdhsa_user_sgpr_queue_ptr 0
		.amdhsa_user_sgpr_kernarg_segment_ptr 1
		.amdhsa_user_sgpr_dispatch_id 0
		.amdhsa_user_sgpr_flat_scratch_init 0
		.amdhsa_user_sgpr_private_segment_size 0
		.amdhsa_wavefront_size32 1
		.amdhsa_uses_dynamic_stack 0
		.amdhsa_system_sgpr_private_segment_wavefront_offset 0
		.amdhsa_system_sgpr_workgroup_id_x 1
		.amdhsa_system_sgpr_workgroup_id_y 0
		.amdhsa_system_sgpr_workgroup_id_z 0
		.amdhsa_system_sgpr_workgroup_info 0
		.amdhsa_system_vgpr_workitem_id 0
		.amdhsa_next_free_vgpr 1
		.amdhsa_next_free_sgpr 1
		.amdhsa_reserve_vcc 0
		.amdhsa_reserve_flat_scratch 0
		.amdhsa_float_round_mode_32 0
		.amdhsa_float_round_mode_16_64 0
		.amdhsa_float_denorm_mode_32 3
		.amdhsa_float_denorm_mode_16_64 3
		.amdhsa_dx10_clamp 1
		.amdhsa_ieee_mode 1
		.amdhsa_fp16_overflow 0
		.amdhsa_workgroup_processor_mode 1
		.amdhsa_memory_ordered 1
		.amdhsa_forward_progress 1
		.amdhsa_shared_vgpr_count 0
		.amdhsa_exception_fp_ieee_invalid_op 0
		.amdhsa_exception_fp_denorm_src 0
		.amdhsa_exception_fp_ieee_div_zero 0
		.amdhsa_exception_fp_ieee_overflow 0
		.amdhsa_exception_fp_ieee_underflow 0
		.amdhsa_exception_fp_ieee_inexact 0
		.amdhsa_exception_int_div_zero 0
	.end_amdhsa_kernel
	.section	.text._ZN7rocprim17ROCPRIM_400000_NS6detail17trampoline_kernelINS0_14default_configENS1_27scan_by_key_config_selectorIitEEZZNS1_16scan_by_key_implILNS1_25lookback_scan_determinismE0ELb1ES3_N6thrust23THRUST_200600_302600_NS6detail15normal_iteratorINS9_10device_ptrIiEEEENSB_INSC_ItEEEESG_tNS9_4plusIvEENS9_8equal_toIvEEtEE10hipError_tPvRmT2_T3_T4_T5_mT6_T7_P12ihipStream_tbENKUlT_T0_E_clISt17integral_constantIbLb1EES10_IbLb0EEEEDaSW_SX_EUlSW_E_NS1_11comp_targetILNS1_3genE5ELNS1_11target_archE942ELNS1_3gpuE9ELNS1_3repE0EEENS1_30default_config_static_selectorELNS0_4arch9wavefront6targetE0EEEvT1_,"axG",@progbits,_ZN7rocprim17ROCPRIM_400000_NS6detail17trampoline_kernelINS0_14default_configENS1_27scan_by_key_config_selectorIitEEZZNS1_16scan_by_key_implILNS1_25lookback_scan_determinismE0ELb1ES3_N6thrust23THRUST_200600_302600_NS6detail15normal_iteratorINS9_10device_ptrIiEEEENSB_INSC_ItEEEESG_tNS9_4plusIvEENS9_8equal_toIvEEtEE10hipError_tPvRmT2_T3_T4_T5_mT6_T7_P12ihipStream_tbENKUlT_T0_E_clISt17integral_constantIbLb1EES10_IbLb0EEEEDaSW_SX_EUlSW_E_NS1_11comp_targetILNS1_3genE5ELNS1_11target_archE942ELNS1_3gpuE9ELNS1_3repE0EEENS1_30default_config_static_selectorELNS0_4arch9wavefront6targetE0EEEvT1_,comdat
.Lfunc_end1555:
	.size	_ZN7rocprim17ROCPRIM_400000_NS6detail17trampoline_kernelINS0_14default_configENS1_27scan_by_key_config_selectorIitEEZZNS1_16scan_by_key_implILNS1_25lookback_scan_determinismE0ELb1ES3_N6thrust23THRUST_200600_302600_NS6detail15normal_iteratorINS9_10device_ptrIiEEEENSB_INSC_ItEEEESG_tNS9_4plusIvEENS9_8equal_toIvEEtEE10hipError_tPvRmT2_T3_T4_T5_mT6_T7_P12ihipStream_tbENKUlT_T0_E_clISt17integral_constantIbLb1EES10_IbLb0EEEEDaSW_SX_EUlSW_E_NS1_11comp_targetILNS1_3genE5ELNS1_11target_archE942ELNS1_3gpuE9ELNS1_3repE0EEENS1_30default_config_static_selectorELNS0_4arch9wavefront6targetE0EEEvT1_, .Lfunc_end1555-_ZN7rocprim17ROCPRIM_400000_NS6detail17trampoline_kernelINS0_14default_configENS1_27scan_by_key_config_selectorIitEEZZNS1_16scan_by_key_implILNS1_25lookback_scan_determinismE0ELb1ES3_N6thrust23THRUST_200600_302600_NS6detail15normal_iteratorINS9_10device_ptrIiEEEENSB_INSC_ItEEEESG_tNS9_4plusIvEENS9_8equal_toIvEEtEE10hipError_tPvRmT2_T3_T4_T5_mT6_T7_P12ihipStream_tbENKUlT_T0_E_clISt17integral_constantIbLb1EES10_IbLb0EEEEDaSW_SX_EUlSW_E_NS1_11comp_targetILNS1_3genE5ELNS1_11target_archE942ELNS1_3gpuE9ELNS1_3repE0EEENS1_30default_config_static_selectorELNS0_4arch9wavefront6targetE0EEEvT1_
                                        ; -- End function
	.set _ZN7rocprim17ROCPRIM_400000_NS6detail17trampoline_kernelINS0_14default_configENS1_27scan_by_key_config_selectorIitEEZZNS1_16scan_by_key_implILNS1_25lookback_scan_determinismE0ELb1ES3_N6thrust23THRUST_200600_302600_NS6detail15normal_iteratorINS9_10device_ptrIiEEEENSB_INSC_ItEEEESG_tNS9_4plusIvEENS9_8equal_toIvEEtEE10hipError_tPvRmT2_T3_T4_T5_mT6_T7_P12ihipStream_tbENKUlT_T0_E_clISt17integral_constantIbLb1EES10_IbLb0EEEEDaSW_SX_EUlSW_E_NS1_11comp_targetILNS1_3genE5ELNS1_11target_archE942ELNS1_3gpuE9ELNS1_3repE0EEENS1_30default_config_static_selectorELNS0_4arch9wavefront6targetE0EEEvT1_.num_vgpr, 0
	.set _ZN7rocprim17ROCPRIM_400000_NS6detail17trampoline_kernelINS0_14default_configENS1_27scan_by_key_config_selectorIitEEZZNS1_16scan_by_key_implILNS1_25lookback_scan_determinismE0ELb1ES3_N6thrust23THRUST_200600_302600_NS6detail15normal_iteratorINS9_10device_ptrIiEEEENSB_INSC_ItEEEESG_tNS9_4plusIvEENS9_8equal_toIvEEtEE10hipError_tPvRmT2_T3_T4_T5_mT6_T7_P12ihipStream_tbENKUlT_T0_E_clISt17integral_constantIbLb1EES10_IbLb0EEEEDaSW_SX_EUlSW_E_NS1_11comp_targetILNS1_3genE5ELNS1_11target_archE942ELNS1_3gpuE9ELNS1_3repE0EEENS1_30default_config_static_selectorELNS0_4arch9wavefront6targetE0EEEvT1_.num_agpr, 0
	.set _ZN7rocprim17ROCPRIM_400000_NS6detail17trampoline_kernelINS0_14default_configENS1_27scan_by_key_config_selectorIitEEZZNS1_16scan_by_key_implILNS1_25lookback_scan_determinismE0ELb1ES3_N6thrust23THRUST_200600_302600_NS6detail15normal_iteratorINS9_10device_ptrIiEEEENSB_INSC_ItEEEESG_tNS9_4plusIvEENS9_8equal_toIvEEtEE10hipError_tPvRmT2_T3_T4_T5_mT6_T7_P12ihipStream_tbENKUlT_T0_E_clISt17integral_constantIbLb1EES10_IbLb0EEEEDaSW_SX_EUlSW_E_NS1_11comp_targetILNS1_3genE5ELNS1_11target_archE942ELNS1_3gpuE9ELNS1_3repE0EEENS1_30default_config_static_selectorELNS0_4arch9wavefront6targetE0EEEvT1_.numbered_sgpr, 0
	.set _ZN7rocprim17ROCPRIM_400000_NS6detail17trampoline_kernelINS0_14default_configENS1_27scan_by_key_config_selectorIitEEZZNS1_16scan_by_key_implILNS1_25lookback_scan_determinismE0ELb1ES3_N6thrust23THRUST_200600_302600_NS6detail15normal_iteratorINS9_10device_ptrIiEEEENSB_INSC_ItEEEESG_tNS9_4plusIvEENS9_8equal_toIvEEtEE10hipError_tPvRmT2_T3_T4_T5_mT6_T7_P12ihipStream_tbENKUlT_T0_E_clISt17integral_constantIbLb1EES10_IbLb0EEEEDaSW_SX_EUlSW_E_NS1_11comp_targetILNS1_3genE5ELNS1_11target_archE942ELNS1_3gpuE9ELNS1_3repE0EEENS1_30default_config_static_selectorELNS0_4arch9wavefront6targetE0EEEvT1_.num_named_barrier, 0
	.set _ZN7rocprim17ROCPRIM_400000_NS6detail17trampoline_kernelINS0_14default_configENS1_27scan_by_key_config_selectorIitEEZZNS1_16scan_by_key_implILNS1_25lookback_scan_determinismE0ELb1ES3_N6thrust23THRUST_200600_302600_NS6detail15normal_iteratorINS9_10device_ptrIiEEEENSB_INSC_ItEEEESG_tNS9_4plusIvEENS9_8equal_toIvEEtEE10hipError_tPvRmT2_T3_T4_T5_mT6_T7_P12ihipStream_tbENKUlT_T0_E_clISt17integral_constantIbLb1EES10_IbLb0EEEEDaSW_SX_EUlSW_E_NS1_11comp_targetILNS1_3genE5ELNS1_11target_archE942ELNS1_3gpuE9ELNS1_3repE0EEENS1_30default_config_static_selectorELNS0_4arch9wavefront6targetE0EEEvT1_.private_seg_size, 0
	.set _ZN7rocprim17ROCPRIM_400000_NS6detail17trampoline_kernelINS0_14default_configENS1_27scan_by_key_config_selectorIitEEZZNS1_16scan_by_key_implILNS1_25lookback_scan_determinismE0ELb1ES3_N6thrust23THRUST_200600_302600_NS6detail15normal_iteratorINS9_10device_ptrIiEEEENSB_INSC_ItEEEESG_tNS9_4plusIvEENS9_8equal_toIvEEtEE10hipError_tPvRmT2_T3_T4_T5_mT6_T7_P12ihipStream_tbENKUlT_T0_E_clISt17integral_constantIbLb1EES10_IbLb0EEEEDaSW_SX_EUlSW_E_NS1_11comp_targetILNS1_3genE5ELNS1_11target_archE942ELNS1_3gpuE9ELNS1_3repE0EEENS1_30default_config_static_selectorELNS0_4arch9wavefront6targetE0EEEvT1_.uses_vcc, 0
	.set _ZN7rocprim17ROCPRIM_400000_NS6detail17trampoline_kernelINS0_14default_configENS1_27scan_by_key_config_selectorIitEEZZNS1_16scan_by_key_implILNS1_25lookback_scan_determinismE0ELb1ES3_N6thrust23THRUST_200600_302600_NS6detail15normal_iteratorINS9_10device_ptrIiEEEENSB_INSC_ItEEEESG_tNS9_4plusIvEENS9_8equal_toIvEEtEE10hipError_tPvRmT2_T3_T4_T5_mT6_T7_P12ihipStream_tbENKUlT_T0_E_clISt17integral_constantIbLb1EES10_IbLb0EEEEDaSW_SX_EUlSW_E_NS1_11comp_targetILNS1_3genE5ELNS1_11target_archE942ELNS1_3gpuE9ELNS1_3repE0EEENS1_30default_config_static_selectorELNS0_4arch9wavefront6targetE0EEEvT1_.uses_flat_scratch, 0
	.set _ZN7rocprim17ROCPRIM_400000_NS6detail17trampoline_kernelINS0_14default_configENS1_27scan_by_key_config_selectorIitEEZZNS1_16scan_by_key_implILNS1_25lookback_scan_determinismE0ELb1ES3_N6thrust23THRUST_200600_302600_NS6detail15normal_iteratorINS9_10device_ptrIiEEEENSB_INSC_ItEEEESG_tNS9_4plusIvEENS9_8equal_toIvEEtEE10hipError_tPvRmT2_T3_T4_T5_mT6_T7_P12ihipStream_tbENKUlT_T0_E_clISt17integral_constantIbLb1EES10_IbLb0EEEEDaSW_SX_EUlSW_E_NS1_11comp_targetILNS1_3genE5ELNS1_11target_archE942ELNS1_3gpuE9ELNS1_3repE0EEENS1_30default_config_static_selectorELNS0_4arch9wavefront6targetE0EEEvT1_.has_dyn_sized_stack, 0
	.set _ZN7rocprim17ROCPRIM_400000_NS6detail17trampoline_kernelINS0_14default_configENS1_27scan_by_key_config_selectorIitEEZZNS1_16scan_by_key_implILNS1_25lookback_scan_determinismE0ELb1ES3_N6thrust23THRUST_200600_302600_NS6detail15normal_iteratorINS9_10device_ptrIiEEEENSB_INSC_ItEEEESG_tNS9_4plusIvEENS9_8equal_toIvEEtEE10hipError_tPvRmT2_T3_T4_T5_mT6_T7_P12ihipStream_tbENKUlT_T0_E_clISt17integral_constantIbLb1EES10_IbLb0EEEEDaSW_SX_EUlSW_E_NS1_11comp_targetILNS1_3genE5ELNS1_11target_archE942ELNS1_3gpuE9ELNS1_3repE0EEENS1_30default_config_static_selectorELNS0_4arch9wavefront6targetE0EEEvT1_.has_recursion, 0
	.set _ZN7rocprim17ROCPRIM_400000_NS6detail17trampoline_kernelINS0_14default_configENS1_27scan_by_key_config_selectorIitEEZZNS1_16scan_by_key_implILNS1_25lookback_scan_determinismE0ELb1ES3_N6thrust23THRUST_200600_302600_NS6detail15normal_iteratorINS9_10device_ptrIiEEEENSB_INSC_ItEEEESG_tNS9_4plusIvEENS9_8equal_toIvEEtEE10hipError_tPvRmT2_T3_T4_T5_mT6_T7_P12ihipStream_tbENKUlT_T0_E_clISt17integral_constantIbLb1EES10_IbLb0EEEEDaSW_SX_EUlSW_E_NS1_11comp_targetILNS1_3genE5ELNS1_11target_archE942ELNS1_3gpuE9ELNS1_3repE0EEENS1_30default_config_static_selectorELNS0_4arch9wavefront6targetE0EEEvT1_.has_indirect_call, 0
	.section	.AMDGPU.csdata,"",@progbits
; Kernel info:
; codeLenInByte = 0
; TotalNumSgprs: 0
; NumVgprs: 0
; ScratchSize: 0
; MemoryBound: 0
; FloatMode: 240
; IeeeMode: 1
; LDSByteSize: 0 bytes/workgroup (compile time only)
; SGPRBlocks: 0
; VGPRBlocks: 0
; NumSGPRsForWavesPerEU: 1
; NumVGPRsForWavesPerEU: 1
; Occupancy: 16
; WaveLimiterHint : 0
; COMPUTE_PGM_RSRC2:SCRATCH_EN: 0
; COMPUTE_PGM_RSRC2:USER_SGPR: 6
; COMPUTE_PGM_RSRC2:TRAP_HANDLER: 0
; COMPUTE_PGM_RSRC2:TGID_X_EN: 1
; COMPUTE_PGM_RSRC2:TGID_Y_EN: 0
; COMPUTE_PGM_RSRC2:TGID_Z_EN: 0
; COMPUTE_PGM_RSRC2:TIDIG_COMP_CNT: 0
	.section	.text._ZN7rocprim17ROCPRIM_400000_NS6detail17trampoline_kernelINS0_14default_configENS1_27scan_by_key_config_selectorIitEEZZNS1_16scan_by_key_implILNS1_25lookback_scan_determinismE0ELb1ES3_N6thrust23THRUST_200600_302600_NS6detail15normal_iteratorINS9_10device_ptrIiEEEENSB_INSC_ItEEEESG_tNS9_4plusIvEENS9_8equal_toIvEEtEE10hipError_tPvRmT2_T3_T4_T5_mT6_T7_P12ihipStream_tbENKUlT_T0_E_clISt17integral_constantIbLb1EES10_IbLb0EEEEDaSW_SX_EUlSW_E_NS1_11comp_targetILNS1_3genE4ELNS1_11target_archE910ELNS1_3gpuE8ELNS1_3repE0EEENS1_30default_config_static_selectorELNS0_4arch9wavefront6targetE0EEEvT1_,"axG",@progbits,_ZN7rocprim17ROCPRIM_400000_NS6detail17trampoline_kernelINS0_14default_configENS1_27scan_by_key_config_selectorIitEEZZNS1_16scan_by_key_implILNS1_25lookback_scan_determinismE0ELb1ES3_N6thrust23THRUST_200600_302600_NS6detail15normal_iteratorINS9_10device_ptrIiEEEENSB_INSC_ItEEEESG_tNS9_4plusIvEENS9_8equal_toIvEEtEE10hipError_tPvRmT2_T3_T4_T5_mT6_T7_P12ihipStream_tbENKUlT_T0_E_clISt17integral_constantIbLb1EES10_IbLb0EEEEDaSW_SX_EUlSW_E_NS1_11comp_targetILNS1_3genE4ELNS1_11target_archE910ELNS1_3gpuE8ELNS1_3repE0EEENS1_30default_config_static_selectorELNS0_4arch9wavefront6targetE0EEEvT1_,comdat
	.protected	_ZN7rocprim17ROCPRIM_400000_NS6detail17trampoline_kernelINS0_14default_configENS1_27scan_by_key_config_selectorIitEEZZNS1_16scan_by_key_implILNS1_25lookback_scan_determinismE0ELb1ES3_N6thrust23THRUST_200600_302600_NS6detail15normal_iteratorINS9_10device_ptrIiEEEENSB_INSC_ItEEEESG_tNS9_4plusIvEENS9_8equal_toIvEEtEE10hipError_tPvRmT2_T3_T4_T5_mT6_T7_P12ihipStream_tbENKUlT_T0_E_clISt17integral_constantIbLb1EES10_IbLb0EEEEDaSW_SX_EUlSW_E_NS1_11comp_targetILNS1_3genE4ELNS1_11target_archE910ELNS1_3gpuE8ELNS1_3repE0EEENS1_30default_config_static_selectorELNS0_4arch9wavefront6targetE0EEEvT1_ ; -- Begin function _ZN7rocprim17ROCPRIM_400000_NS6detail17trampoline_kernelINS0_14default_configENS1_27scan_by_key_config_selectorIitEEZZNS1_16scan_by_key_implILNS1_25lookback_scan_determinismE0ELb1ES3_N6thrust23THRUST_200600_302600_NS6detail15normal_iteratorINS9_10device_ptrIiEEEENSB_INSC_ItEEEESG_tNS9_4plusIvEENS9_8equal_toIvEEtEE10hipError_tPvRmT2_T3_T4_T5_mT6_T7_P12ihipStream_tbENKUlT_T0_E_clISt17integral_constantIbLb1EES10_IbLb0EEEEDaSW_SX_EUlSW_E_NS1_11comp_targetILNS1_3genE4ELNS1_11target_archE910ELNS1_3gpuE8ELNS1_3repE0EEENS1_30default_config_static_selectorELNS0_4arch9wavefront6targetE0EEEvT1_
	.globl	_ZN7rocprim17ROCPRIM_400000_NS6detail17trampoline_kernelINS0_14default_configENS1_27scan_by_key_config_selectorIitEEZZNS1_16scan_by_key_implILNS1_25lookback_scan_determinismE0ELb1ES3_N6thrust23THRUST_200600_302600_NS6detail15normal_iteratorINS9_10device_ptrIiEEEENSB_INSC_ItEEEESG_tNS9_4plusIvEENS9_8equal_toIvEEtEE10hipError_tPvRmT2_T3_T4_T5_mT6_T7_P12ihipStream_tbENKUlT_T0_E_clISt17integral_constantIbLb1EES10_IbLb0EEEEDaSW_SX_EUlSW_E_NS1_11comp_targetILNS1_3genE4ELNS1_11target_archE910ELNS1_3gpuE8ELNS1_3repE0EEENS1_30default_config_static_selectorELNS0_4arch9wavefront6targetE0EEEvT1_
	.p2align	8
	.type	_ZN7rocprim17ROCPRIM_400000_NS6detail17trampoline_kernelINS0_14default_configENS1_27scan_by_key_config_selectorIitEEZZNS1_16scan_by_key_implILNS1_25lookback_scan_determinismE0ELb1ES3_N6thrust23THRUST_200600_302600_NS6detail15normal_iteratorINS9_10device_ptrIiEEEENSB_INSC_ItEEEESG_tNS9_4plusIvEENS9_8equal_toIvEEtEE10hipError_tPvRmT2_T3_T4_T5_mT6_T7_P12ihipStream_tbENKUlT_T0_E_clISt17integral_constantIbLb1EES10_IbLb0EEEEDaSW_SX_EUlSW_E_NS1_11comp_targetILNS1_3genE4ELNS1_11target_archE910ELNS1_3gpuE8ELNS1_3repE0EEENS1_30default_config_static_selectorELNS0_4arch9wavefront6targetE0EEEvT1_,@function
_ZN7rocprim17ROCPRIM_400000_NS6detail17trampoline_kernelINS0_14default_configENS1_27scan_by_key_config_selectorIitEEZZNS1_16scan_by_key_implILNS1_25lookback_scan_determinismE0ELb1ES3_N6thrust23THRUST_200600_302600_NS6detail15normal_iteratorINS9_10device_ptrIiEEEENSB_INSC_ItEEEESG_tNS9_4plusIvEENS9_8equal_toIvEEtEE10hipError_tPvRmT2_T3_T4_T5_mT6_T7_P12ihipStream_tbENKUlT_T0_E_clISt17integral_constantIbLb1EES10_IbLb0EEEEDaSW_SX_EUlSW_E_NS1_11comp_targetILNS1_3genE4ELNS1_11target_archE910ELNS1_3gpuE8ELNS1_3repE0EEENS1_30default_config_static_selectorELNS0_4arch9wavefront6targetE0EEEvT1_: ; @_ZN7rocprim17ROCPRIM_400000_NS6detail17trampoline_kernelINS0_14default_configENS1_27scan_by_key_config_selectorIitEEZZNS1_16scan_by_key_implILNS1_25lookback_scan_determinismE0ELb1ES3_N6thrust23THRUST_200600_302600_NS6detail15normal_iteratorINS9_10device_ptrIiEEEENSB_INSC_ItEEEESG_tNS9_4plusIvEENS9_8equal_toIvEEtEE10hipError_tPvRmT2_T3_T4_T5_mT6_T7_P12ihipStream_tbENKUlT_T0_E_clISt17integral_constantIbLb1EES10_IbLb0EEEEDaSW_SX_EUlSW_E_NS1_11comp_targetILNS1_3genE4ELNS1_11target_archE910ELNS1_3gpuE8ELNS1_3repE0EEENS1_30default_config_static_selectorELNS0_4arch9wavefront6targetE0EEEvT1_
; %bb.0:
	.section	.rodata,"a",@progbits
	.p2align	6, 0x0
	.amdhsa_kernel _ZN7rocprim17ROCPRIM_400000_NS6detail17trampoline_kernelINS0_14default_configENS1_27scan_by_key_config_selectorIitEEZZNS1_16scan_by_key_implILNS1_25lookback_scan_determinismE0ELb1ES3_N6thrust23THRUST_200600_302600_NS6detail15normal_iteratorINS9_10device_ptrIiEEEENSB_INSC_ItEEEESG_tNS9_4plusIvEENS9_8equal_toIvEEtEE10hipError_tPvRmT2_T3_T4_T5_mT6_T7_P12ihipStream_tbENKUlT_T0_E_clISt17integral_constantIbLb1EES10_IbLb0EEEEDaSW_SX_EUlSW_E_NS1_11comp_targetILNS1_3genE4ELNS1_11target_archE910ELNS1_3gpuE8ELNS1_3repE0EEENS1_30default_config_static_selectorELNS0_4arch9wavefront6targetE0EEEvT1_
		.amdhsa_group_segment_fixed_size 0
		.amdhsa_private_segment_fixed_size 0
		.amdhsa_kernarg_size 112
		.amdhsa_user_sgpr_count 6
		.amdhsa_user_sgpr_private_segment_buffer 1
		.amdhsa_user_sgpr_dispatch_ptr 0
		.amdhsa_user_sgpr_queue_ptr 0
		.amdhsa_user_sgpr_kernarg_segment_ptr 1
		.amdhsa_user_sgpr_dispatch_id 0
		.amdhsa_user_sgpr_flat_scratch_init 0
		.amdhsa_user_sgpr_private_segment_size 0
		.amdhsa_wavefront_size32 1
		.amdhsa_uses_dynamic_stack 0
		.amdhsa_system_sgpr_private_segment_wavefront_offset 0
		.amdhsa_system_sgpr_workgroup_id_x 1
		.amdhsa_system_sgpr_workgroup_id_y 0
		.amdhsa_system_sgpr_workgroup_id_z 0
		.amdhsa_system_sgpr_workgroup_info 0
		.amdhsa_system_vgpr_workitem_id 0
		.amdhsa_next_free_vgpr 1
		.amdhsa_next_free_sgpr 1
		.amdhsa_reserve_vcc 0
		.amdhsa_reserve_flat_scratch 0
		.amdhsa_float_round_mode_32 0
		.amdhsa_float_round_mode_16_64 0
		.amdhsa_float_denorm_mode_32 3
		.amdhsa_float_denorm_mode_16_64 3
		.amdhsa_dx10_clamp 1
		.amdhsa_ieee_mode 1
		.amdhsa_fp16_overflow 0
		.amdhsa_workgroup_processor_mode 1
		.amdhsa_memory_ordered 1
		.amdhsa_forward_progress 1
		.amdhsa_shared_vgpr_count 0
		.amdhsa_exception_fp_ieee_invalid_op 0
		.amdhsa_exception_fp_denorm_src 0
		.amdhsa_exception_fp_ieee_div_zero 0
		.amdhsa_exception_fp_ieee_overflow 0
		.amdhsa_exception_fp_ieee_underflow 0
		.amdhsa_exception_fp_ieee_inexact 0
		.amdhsa_exception_int_div_zero 0
	.end_amdhsa_kernel
	.section	.text._ZN7rocprim17ROCPRIM_400000_NS6detail17trampoline_kernelINS0_14default_configENS1_27scan_by_key_config_selectorIitEEZZNS1_16scan_by_key_implILNS1_25lookback_scan_determinismE0ELb1ES3_N6thrust23THRUST_200600_302600_NS6detail15normal_iteratorINS9_10device_ptrIiEEEENSB_INSC_ItEEEESG_tNS9_4plusIvEENS9_8equal_toIvEEtEE10hipError_tPvRmT2_T3_T4_T5_mT6_T7_P12ihipStream_tbENKUlT_T0_E_clISt17integral_constantIbLb1EES10_IbLb0EEEEDaSW_SX_EUlSW_E_NS1_11comp_targetILNS1_3genE4ELNS1_11target_archE910ELNS1_3gpuE8ELNS1_3repE0EEENS1_30default_config_static_selectorELNS0_4arch9wavefront6targetE0EEEvT1_,"axG",@progbits,_ZN7rocprim17ROCPRIM_400000_NS6detail17trampoline_kernelINS0_14default_configENS1_27scan_by_key_config_selectorIitEEZZNS1_16scan_by_key_implILNS1_25lookback_scan_determinismE0ELb1ES3_N6thrust23THRUST_200600_302600_NS6detail15normal_iteratorINS9_10device_ptrIiEEEENSB_INSC_ItEEEESG_tNS9_4plusIvEENS9_8equal_toIvEEtEE10hipError_tPvRmT2_T3_T4_T5_mT6_T7_P12ihipStream_tbENKUlT_T0_E_clISt17integral_constantIbLb1EES10_IbLb0EEEEDaSW_SX_EUlSW_E_NS1_11comp_targetILNS1_3genE4ELNS1_11target_archE910ELNS1_3gpuE8ELNS1_3repE0EEENS1_30default_config_static_selectorELNS0_4arch9wavefront6targetE0EEEvT1_,comdat
.Lfunc_end1556:
	.size	_ZN7rocprim17ROCPRIM_400000_NS6detail17trampoline_kernelINS0_14default_configENS1_27scan_by_key_config_selectorIitEEZZNS1_16scan_by_key_implILNS1_25lookback_scan_determinismE0ELb1ES3_N6thrust23THRUST_200600_302600_NS6detail15normal_iteratorINS9_10device_ptrIiEEEENSB_INSC_ItEEEESG_tNS9_4plusIvEENS9_8equal_toIvEEtEE10hipError_tPvRmT2_T3_T4_T5_mT6_T7_P12ihipStream_tbENKUlT_T0_E_clISt17integral_constantIbLb1EES10_IbLb0EEEEDaSW_SX_EUlSW_E_NS1_11comp_targetILNS1_3genE4ELNS1_11target_archE910ELNS1_3gpuE8ELNS1_3repE0EEENS1_30default_config_static_selectorELNS0_4arch9wavefront6targetE0EEEvT1_, .Lfunc_end1556-_ZN7rocprim17ROCPRIM_400000_NS6detail17trampoline_kernelINS0_14default_configENS1_27scan_by_key_config_selectorIitEEZZNS1_16scan_by_key_implILNS1_25lookback_scan_determinismE0ELb1ES3_N6thrust23THRUST_200600_302600_NS6detail15normal_iteratorINS9_10device_ptrIiEEEENSB_INSC_ItEEEESG_tNS9_4plusIvEENS9_8equal_toIvEEtEE10hipError_tPvRmT2_T3_T4_T5_mT6_T7_P12ihipStream_tbENKUlT_T0_E_clISt17integral_constantIbLb1EES10_IbLb0EEEEDaSW_SX_EUlSW_E_NS1_11comp_targetILNS1_3genE4ELNS1_11target_archE910ELNS1_3gpuE8ELNS1_3repE0EEENS1_30default_config_static_selectorELNS0_4arch9wavefront6targetE0EEEvT1_
                                        ; -- End function
	.set _ZN7rocprim17ROCPRIM_400000_NS6detail17trampoline_kernelINS0_14default_configENS1_27scan_by_key_config_selectorIitEEZZNS1_16scan_by_key_implILNS1_25lookback_scan_determinismE0ELb1ES3_N6thrust23THRUST_200600_302600_NS6detail15normal_iteratorINS9_10device_ptrIiEEEENSB_INSC_ItEEEESG_tNS9_4plusIvEENS9_8equal_toIvEEtEE10hipError_tPvRmT2_T3_T4_T5_mT6_T7_P12ihipStream_tbENKUlT_T0_E_clISt17integral_constantIbLb1EES10_IbLb0EEEEDaSW_SX_EUlSW_E_NS1_11comp_targetILNS1_3genE4ELNS1_11target_archE910ELNS1_3gpuE8ELNS1_3repE0EEENS1_30default_config_static_selectorELNS0_4arch9wavefront6targetE0EEEvT1_.num_vgpr, 0
	.set _ZN7rocprim17ROCPRIM_400000_NS6detail17trampoline_kernelINS0_14default_configENS1_27scan_by_key_config_selectorIitEEZZNS1_16scan_by_key_implILNS1_25lookback_scan_determinismE0ELb1ES3_N6thrust23THRUST_200600_302600_NS6detail15normal_iteratorINS9_10device_ptrIiEEEENSB_INSC_ItEEEESG_tNS9_4plusIvEENS9_8equal_toIvEEtEE10hipError_tPvRmT2_T3_T4_T5_mT6_T7_P12ihipStream_tbENKUlT_T0_E_clISt17integral_constantIbLb1EES10_IbLb0EEEEDaSW_SX_EUlSW_E_NS1_11comp_targetILNS1_3genE4ELNS1_11target_archE910ELNS1_3gpuE8ELNS1_3repE0EEENS1_30default_config_static_selectorELNS0_4arch9wavefront6targetE0EEEvT1_.num_agpr, 0
	.set _ZN7rocprim17ROCPRIM_400000_NS6detail17trampoline_kernelINS0_14default_configENS1_27scan_by_key_config_selectorIitEEZZNS1_16scan_by_key_implILNS1_25lookback_scan_determinismE0ELb1ES3_N6thrust23THRUST_200600_302600_NS6detail15normal_iteratorINS9_10device_ptrIiEEEENSB_INSC_ItEEEESG_tNS9_4plusIvEENS9_8equal_toIvEEtEE10hipError_tPvRmT2_T3_T4_T5_mT6_T7_P12ihipStream_tbENKUlT_T0_E_clISt17integral_constantIbLb1EES10_IbLb0EEEEDaSW_SX_EUlSW_E_NS1_11comp_targetILNS1_3genE4ELNS1_11target_archE910ELNS1_3gpuE8ELNS1_3repE0EEENS1_30default_config_static_selectorELNS0_4arch9wavefront6targetE0EEEvT1_.numbered_sgpr, 0
	.set _ZN7rocprim17ROCPRIM_400000_NS6detail17trampoline_kernelINS0_14default_configENS1_27scan_by_key_config_selectorIitEEZZNS1_16scan_by_key_implILNS1_25lookback_scan_determinismE0ELb1ES3_N6thrust23THRUST_200600_302600_NS6detail15normal_iteratorINS9_10device_ptrIiEEEENSB_INSC_ItEEEESG_tNS9_4plusIvEENS9_8equal_toIvEEtEE10hipError_tPvRmT2_T3_T4_T5_mT6_T7_P12ihipStream_tbENKUlT_T0_E_clISt17integral_constantIbLb1EES10_IbLb0EEEEDaSW_SX_EUlSW_E_NS1_11comp_targetILNS1_3genE4ELNS1_11target_archE910ELNS1_3gpuE8ELNS1_3repE0EEENS1_30default_config_static_selectorELNS0_4arch9wavefront6targetE0EEEvT1_.num_named_barrier, 0
	.set _ZN7rocprim17ROCPRIM_400000_NS6detail17trampoline_kernelINS0_14default_configENS1_27scan_by_key_config_selectorIitEEZZNS1_16scan_by_key_implILNS1_25lookback_scan_determinismE0ELb1ES3_N6thrust23THRUST_200600_302600_NS6detail15normal_iteratorINS9_10device_ptrIiEEEENSB_INSC_ItEEEESG_tNS9_4plusIvEENS9_8equal_toIvEEtEE10hipError_tPvRmT2_T3_T4_T5_mT6_T7_P12ihipStream_tbENKUlT_T0_E_clISt17integral_constantIbLb1EES10_IbLb0EEEEDaSW_SX_EUlSW_E_NS1_11comp_targetILNS1_3genE4ELNS1_11target_archE910ELNS1_3gpuE8ELNS1_3repE0EEENS1_30default_config_static_selectorELNS0_4arch9wavefront6targetE0EEEvT1_.private_seg_size, 0
	.set _ZN7rocprim17ROCPRIM_400000_NS6detail17trampoline_kernelINS0_14default_configENS1_27scan_by_key_config_selectorIitEEZZNS1_16scan_by_key_implILNS1_25lookback_scan_determinismE0ELb1ES3_N6thrust23THRUST_200600_302600_NS6detail15normal_iteratorINS9_10device_ptrIiEEEENSB_INSC_ItEEEESG_tNS9_4plusIvEENS9_8equal_toIvEEtEE10hipError_tPvRmT2_T3_T4_T5_mT6_T7_P12ihipStream_tbENKUlT_T0_E_clISt17integral_constantIbLb1EES10_IbLb0EEEEDaSW_SX_EUlSW_E_NS1_11comp_targetILNS1_3genE4ELNS1_11target_archE910ELNS1_3gpuE8ELNS1_3repE0EEENS1_30default_config_static_selectorELNS0_4arch9wavefront6targetE0EEEvT1_.uses_vcc, 0
	.set _ZN7rocprim17ROCPRIM_400000_NS6detail17trampoline_kernelINS0_14default_configENS1_27scan_by_key_config_selectorIitEEZZNS1_16scan_by_key_implILNS1_25lookback_scan_determinismE0ELb1ES3_N6thrust23THRUST_200600_302600_NS6detail15normal_iteratorINS9_10device_ptrIiEEEENSB_INSC_ItEEEESG_tNS9_4plusIvEENS9_8equal_toIvEEtEE10hipError_tPvRmT2_T3_T4_T5_mT6_T7_P12ihipStream_tbENKUlT_T0_E_clISt17integral_constantIbLb1EES10_IbLb0EEEEDaSW_SX_EUlSW_E_NS1_11comp_targetILNS1_3genE4ELNS1_11target_archE910ELNS1_3gpuE8ELNS1_3repE0EEENS1_30default_config_static_selectorELNS0_4arch9wavefront6targetE0EEEvT1_.uses_flat_scratch, 0
	.set _ZN7rocprim17ROCPRIM_400000_NS6detail17trampoline_kernelINS0_14default_configENS1_27scan_by_key_config_selectorIitEEZZNS1_16scan_by_key_implILNS1_25lookback_scan_determinismE0ELb1ES3_N6thrust23THRUST_200600_302600_NS6detail15normal_iteratorINS9_10device_ptrIiEEEENSB_INSC_ItEEEESG_tNS9_4plusIvEENS9_8equal_toIvEEtEE10hipError_tPvRmT2_T3_T4_T5_mT6_T7_P12ihipStream_tbENKUlT_T0_E_clISt17integral_constantIbLb1EES10_IbLb0EEEEDaSW_SX_EUlSW_E_NS1_11comp_targetILNS1_3genE4ELNS1_11target_archE910ELNS1_3gpuE8ELNS1_3repE0EEENS1_30default_config_static_selectorELNS0_4arch9wavefront6targetE0EEEvT1_.has_dyn_sized_stack, 0
	.set _ZN7rocprim17ROCPRIM_400000_NS6detail17trampoline_kernelINS0_14default_configENS1_27scan_by_key_config_selectorIitEEZZNS1_16scan_by_key_implILNS1_25lookback_scan_determinismE0ELb1ES3_N6thrust23THRUST_200600_302600_NS6detail15normal_iteratorINS9_10device_ptrIiEEEENSB_INSC_ItEEEESG_tNS9_4plusIvEENS9_8equal_toIvEEtEE10hipError_tPvRmT2_T3_T4_T5_mT6_T7_P12ihipStream_tbENKUlT_T0_E_clISt17integral_constantIbLb1EES10_IbLb0EEEEDaSW_SX_EUlSW_E_NS1_11comp_targetILNS1_3genE4ELNS1_11target_archE910ELNS1_3gpuE8ELNS1_3repE0EEENS1_30default_config_static_selectorELNS0_4arch9wavefront6targetE0EEEvT1_.has_recursion, 0
	.set _ZN7rocprim17ROCPRIM_400000_NS6detail17trampoline_kernelINS0_14default_configENS1_27scan_by_key_config_selectorIitEEZZNS1_16scan_by_key_implILNS1_25lookback_scan_determinismE0ELb1ES3_N6thrust23THRUST_200600_302600_NS6detail15normal_iteratorINS9_10device_ptrIiEEEENSB_INSC_ItEEEESG_tNS9_4plusIvEENS9_8equal_toIvEEtEE10hipError_tPvRmT2_T3_T4_T5_mT6_T7_P12ihipStream_tbENKUlT_T0_E_clISt17integral_constantIbLb1EES10_IbLb0EEEEDaSW_SX_EUlSW_E_NS1_11comp_targetILNS1_3genE4ELNS1_11target_archE910ELNS1_3gpuE8ELNS1_3repE0EEENS1_30default_config_static_selectorELNS0_4arch9wavefront6targetE0EEEvT1_.has_indirect_call, 0
	.section	.AMDGPU.csdata,"",@progbits
; Kernel info:
; codeLenInByte = 0
; TotalNumSgprs: 0
; NumVgprs: 0
; ScratchSize: 0
; MemoryBound: 0
; FloatMode: 240
; IeeeMode: 1
; LDSByteSize: 0 bytes/workgroup (compile time only)
; SGPRBlocks: 0
; VGPRBlocks: 0
; NumSGPRsForWavesPerEU: 1
; NumVGPRsForWavesPerEU: 1
; Occupancy: 16
; WaveLimiterHint : 0
; COMPUTE_PGM_RSRC2:SCRATCH_EN: 0
; COMPUTE_PGM_RSRC2:USER_SGPR: 6
; COMPUTE_PGM_RSRC2:TRAP_HANDLER: 0
; COMPUTE_PGM_RSRC2:TGID_X_EN: 1
; COMPUTE_PGM_RSRC2:TGID_Y_EN: 0
; COMPUTE_PGM_RSRC2:TGID_Z_EN: 0
; COMPUTE_PGM_RSRC2:TIDIG_COMP_CNT: 0
	.section	.text._ZN7rocprim17ROCPRIM_400000_NS6detail17trampoline_kernelINS0_14default_configENS1_27scan_by_key_config_selectorIitEEZZNS1_16scan_by_key_implILNS1_25lookback_scan_determinismE0ELb1ES3_N6thrust23THRUST_200600_302600_NS6detail15normal_iteratorINS9_10device_ptrIiEEEENSB_INSC_ItEEEESG_tNS9_4plusIvEENS9_8equal_toIvEEtEE10hipError_tPvRmT2_T3_T4_T5_mT6_T7_P12ihipStream_tbENKUlT_T0_E_clISt17integral_constantIbLb1EES10_IbLb0EEEEDaSW_SX_EUlSW_E_NS1_11comp_targetILNS1_3genE3ELNS1_11target_archE908ELNS1_3gpuE7ELNS1_3repE0EEENS1_30default_config_static_selectorELNS0_4arch9wavefront6targetE0EEEvT1_,"axG",@progbits,_ZN7rocprim17ROCPRIM_400000_NS6detail17trampoline_kernelINS0_14default_configENS1_27scan_by_key_config_selectorIitEEZZNS1_16scan_by_key_implILNS1_25lookback_scan_determinismE0ELb1ES3_N6thrust23THRUST_200600_302600_NS6detail15normal_iteratorINS9_10device_ptrIiEEEENSB_INSC_ItEEEESG_tNS9_4plusIvEENS9_8equal_toIvEEtEE10hipError_tPvRmT2_T3_T4_T5_mT6_T7_P12ihipStream_tbENKUlT_T0_E_clISt17integral_constantIbLb1EES10_IbLb0EEEEDaSW_SX_EUlSW_E_NS1_11comp_targetILNS1_3genE3ELNS1_11target_archE908ELNS1_3gpuE7ELNS1_3repE0EEENS1_30default_config_static_selectorELNS0_4arch9wavefront6targetE0EEEvT1_,comdat
	.protected	_ZN7rocprim17ROCPRIM_400000_NS6detail17trampoline_kernelINS0_14default_configENS1_27scan_by_key_config_selectorIitEEZZNS1_16scan_by_key_implILNS1_25lookback_scan_determinismE0ELb1ES3_N6thrust23THRUST_200600_302600_NS6detail15normal_iteratorINS9_10device_ptrIiEEEENSB_INSC_ItEEEESG_tNS9_4plusIvEENS9_8equal_toIvEEtEE10hipError_tPvRmT2_T3_T4_T5_mT6_T7_P12ihipStream_tbENKUlT_T0_E_clISt17integral_constantIbLb1EES10_IbLb0EEEEDaSW_SX_EUlSW_E_NS1_11comp_targetILNS1_3genE3ELNS1_11target_archE908ELNS1_3gpuE7ELNS1_3repE0EEENS1_30default_config_static_selectorELNS0_4arch9wavefront6targetE0EEEvT1_ ; -- Begin function _ZN7rocprim17ROCPRIM_400000_NS6detail17trampoline_kernelINS0_14default_configENS1_27scan_by_key_config_selectorIitEEZZNS1_16scan_by_key_implILNS1_25lookback_scan_determinismE0ELb1ES3_N6thrust23THRUST_200600_302600_NS6detail15normal_iteratorINS9_10device_ptrIiEEEENSB_INSC_ItEEEESG_tNS9_4plusIvEENS9_8equal_toIvEEtEE10hipError_tPvRmT2_T3_T4_T5_mT6_T7_P12ihipStream_tbENKUlT_T0_E_clISt17integral_constantIbLb1EES10_IbLb0EEEEDaSW_SX_EUlSW_E_NS1_11comp_targetILNS1_3genE3ELNS1_11target_archE908ELNS1_3gpuE7ELNS1_3repE0EEENS1_30default_config_static_selectorELNS0_4arch9wavefront6targetE0EEEvT1_
	.globl	_ZN7rocprim17ROCPRIM_400000_NS6detail17trampoline_kernelINS0_14default_configENS1_27scan_by_key_config_selectorIitEEZZNS1_16scan_by_key_implILNS1_25lookback_scan_determinismE0ELb1ES3_N6thrust23THRUST_200600_302600_NS6detail15normal_iteratorINS9_10device_ptrIiEEEENSB_INSC_ItEEEESG_tNS9_4plusIvEENS9_8equal_toIvEEtEE10hipError_tPvRmT2_T3_T4_T5_mT6_T7_P12ihipStream_tbENKUlT_T0_E_clISt17integral_constantIbLb1EES10_IbLb0EEEEDaSW_SX_EUlSW_E_NS1_11comp_targetILNS1_3genE3ELNS1_11target_archE908ELNS1_3gpuE7ELNS1_3repE0EEENS1_30default_config_static_selectorELNS0_4arch9wavefront6targetE0EEEvT1_
	.p2align	8
	.type	_ZN7rocprim17ROCPRIM_400000_NS6detail17trampoline_kernelINS0_14default_configENS1_27scan_by_key_config_selectorIitEEZZNS1_16scan_by_key_implILNS1_25lookback_scan_determinismE0ELb1ES3_N6thrust23THRUST_200600_302600_NS6detail15normal_iteratorINS9_10device_ptrIiEEEENSB_INSC_ItEEEESG_tNS9_4plusIvEENS9_8equal_toIvEEtEE10hipError_tPvRmT2_T3_T4_T5_mT6_T7_P12ihipStream_tbENKUlT_T0_E_clISt17integral_constantIbLb1EES10_IbLb0EEEEDaSW_SX_EUlSW_E_NS1_11comp_targetILNS1_3genE3ELNS1_11target_archE908ELNS1_3gpuE7ELNS1_3repE0EEENS1_30default_config_static_selectorELNS0_4arch9wavefront6targetE0EEEvT1_,@function
_ZN7rocprim17ROCPRIM_400000_NS6detail17trampoline_kernelINS0_14default_configENS1_27scan_by_key_config_selectorIitEEZZNS1_16scan_by_key_implILNS1_25lookback_scan_determinismE0ELb1ES3_N6thrust23THRUST_200600_302600_NS6detail15normal_iteratorINS9_10device_ptrIiEEEENSB_INSC_ItEEEESG_tNS9_4plusIvEENS9_8equal_toIvEEtEE10hipError_tPvRmT2_T3_T4_T5_mT6_T7_P12ihipStream_tbENKUlT_T0_E_clISt17integral_constantIbLb1EES10_IbLb0EEEEDaSW_SX_EUlSW_E_NS1_11comp_targetILNS1_3genE3ELNS1_11target_archE908ELNS1_3gpuE7ELNS1_3repE0EEENS1_30default_config_static_selectorELNS0_4arch9wavefront6targetE0EEEvT1_: ; @_ZN7rocprim17ROCPRIM_400000_NS6detail17trampoline_kernelINS0_14default_configENS1_27scan_by_key_config_selectorIitEEZZNS1_16scan_by_key_implILNS1_25lookback_scan_determinismE0ELb1ES3_N6thrust23THRUST_200600_302600_NS6detail15normal_iteratorINS9_10device_ptrIiEEEENSB_INSC_ItEEEESG_tNS9_4plusIvEENS9_8equal_toIvEEtEE10hipError_tPvRmT2_T3_T4_T5_mT6_T7_P12ihipStream_tbENKUlT_T0_E_clISt17integral_constantIbLb1EES10_IbLb0EEEEDaSW_SX_EUlSW_E_NS1_11comp_targetILNS1_3genE3ELNS1_11target_archE908ELNS1_3gpuE7ELNS1_3repE0EEENS1_30default_config_static_selectorELNS0_4arch9wavefront6targetE0EEEvT1_
; %bb.0:
	.section	.rodata,"a",@progbits
	.p2align	6, 0x0
	.amdhsa_kernel _ZN7rocprim17ROCPRIM_400000_NS6detail17trampoline_kernelINS0_14default_configENS1_27scan_by_key_config_selectorIitEEZZNS1_16scan_by_key_implILNS1_25lookback_scan_determinismE0ELb1ES3_N6thrust23THRUST_200600_302600_NS6detail15normal_iteratorINS9_10device_ptrIiEEEENSB_INSC_ItEEEESG_tNS9_4plusIvEENS9_8equal_toIvEEtEE10hipError_tPvRmT2_T3_T4_T5_mT6_T7_P12ihipStream_tbENKUlT_T0_E_clISt17integral_constantIbLb1EES10_IbLb0EEEEDaSW_SX_EUlSW_E_NS1_11comp_targetILNS1_3genE3ELNS1_11target_archE908ELNS1_3gpuE7ELNS1_3repE0EEENS1_30default_config_static_selectorELNS0_4arch9wavefront6targetE0EEEvT1_
		.amdhsa_group_segment_fixed_size 0
		.amdhsa_private_segment_fixed_size 0
		.amdhsa_kernarg_size 112
		.amdhsa_user_sgpr_count 6
		.amdhsa_user_sgpr_private_segment_buffer 1
		.amdhsa_user_sgpr_dispatch_ptr 0
		.amdhsa_user_sgpr_queue_ptr 0
		.amdhsa_user_sgpr_kernarg_segment_ptr 1
		.amdhsa_user_sgpr_dispatch_id 0
		.amdhsa_user_sgpr_flat_scratch_init 0
		.amdhsa_user_sgpr_private_segment_size 0
		.amdhsa_wavefront_size32 1
		.amdhsa_uses_dynamic_stack 0
		.amdhsa_system_sgpr_private_segment_wavefront_offset 0
		.amdhsa_system_sgpr_workgroup_id_x 1
		.amdhsa_system_sgpr_workgroup_id_y 0
		.amdhsa_system_sgpr_workgroup_id_z 0
		.amdhsa_system_sgpr_workgroup_info 0
		.amdhsa_system_vgpr_workitem_id 0
		.amdhsa_next_free_vgpr 1
		.amdhsa_next_free_sgpr 1
		.amdhsa_reserve_vcc 0
		.amdhsa_reserve_flat_scratch 0
		.amdhsa_float_round_mode_32 0
		.amdhsa_float_round_mode_16_64 0
		.amdhsa_float_denorm_mode_32 3
		.amdhsa_float_denorm_mode_16_64 3
		.amdhsa_dx10_clamp 1
		.amdhsa_ieee_mode 1
		.amdhsa_fp16_overflow 0
		.amdhsa_workgroup_processor_mode 1
		.amdhsa_memory_ordered 1
		.amdhsa_forward_progress 1
		.amdhsa_shared_vgpr_count 0
		.amdhsa_exception_fp_ieee_invalid_op 0
		.amdhsa_exception_fp_denorm_src 0
		.amdhsa_exception_fp_ieee_div_zero 0
		.amdhsa_exception_fp_ieee_overflow 0
		.amdhsa_exception_fp_ieee_underflow 0
		.amdhsa_exception_fp_ieee_inexact 0
		.amdhsa_exception_int_div_zero 0
	.end_amdhsa_kernel
	.section	.text._ZN7rocprim17ROCPRIM_400000_NS6detail17trampoline_kernelINS0_14default_configENS1_27scan_by_key_config_selectorIitEEZZNS1_16scan_by_key_implILNS1_25lookback_scan_determinismE0ELb1ES3_N6thrust23THRUST_200600_302600_NS6detail15normal_iteratorINS9_10device_ptrIiEEEENSB_INSC_ItEEEESG_tNS9_4plusIvEENS9_8equal_toIvEEtEE10hipError_tPvRmT2_T3_T4_T5_mT6_T7_P12ihipStream_tbENKUlT_T0_E_clISt17integral_constantIbLb1EES10_IbLb0EEEEDaSW_SX_EUlSW_E_NS1_11comp_targetILNS1_3genE3ELNS1_11target_archE908ELNS1_3gpuE7ELNS1_3repE0EEENS1_30default_config_static_selectorELNS0_4arch9wavefront6targetE0EEEvT1_,"axG",@progbits,_ZN7rocprim17ROCPRIM_400000_NS6detail17trampoline_kernelINS0_14default_configENS1_27scan_by_key_config_selectorIitEEZZNS1_16scan_by_key_implILNS1_25lookback_scan_determinismE0ELb1ES3_N6thrust23THRUST_200600_302600_NS6detail15normal_iteratorINS9_10device_ptrIiEEEENSB_INSC_ItEEEESG_tNS9_4plusIvEENS9_8equal_toIvEEtEE10hipError_tPvRmT2_T3_T4_T5_mT6_T7_P12ihipStream_tbENKUlT_T0_E_clISt17integral_constantIbLb1EES10_IbLb0EEEEDaSW_SX_EUlSW_E_NS1_11comp_targetILNS1_3genE3ELNS1_11target_archE908ELNS1_3gpuE7ELNS1_3repE0EEENS1_30default_config_static_selectorELNS0_4arch9wavefront6targetE0EEEvT1_,comdat
.Lfunc_end1557:
	.size	_ZN7rocprim17ROCPRIM_400000_NS6detail17trampoline_kernelINS0_14default_configENS1_27scan_by_key_config_selectorIitEEZZNS1_16scan_by_key_implILNS1_25lookback_scan_determinismE0ELb1ES3_N6thrust23THRUST_200600_302600_NS6detail15normal_iteratorINS9_10device_ptrIiEEEENSB_INSC_ItEEEESG_tNS9_4plusIvEENS9_8equal_toIvEEtEE10hipError_tPvRmT2_T3_T4_T5_mT6_T7_P12ihipStream_tbENKUlT_T0_E_clISt17integral_constantIbLb1EES10_IbLb0EEEEDaSW_SX_EUlSW_E_NS1_11comp_targetILNS1_3genE3ELNS1_11target_archE908ELNS1_3gpuE7ELNS1_3repE0EEENS1_30default_config_static_selectorELNS0_4arch9wavefront6targetE0EEEvT1_, .Lfunc_end1557-_ZN7rocprim17ROCPRIM_400000_NS6detail17trampoline_kernelINS0_14default_configENS1_27scan_by_key_config_selectorIitEEZZNS1_16scan_by_key_implILNS1_25lookback_scan_determinismE0ELb1ES3_N6thrust23THRUST_200600_302600_NS6detail15normal_iteratorINS9_10device_ptrIiEEEENSB_INSC_ItEEEESG_tNS9_4plusIvEENS9_8equal_toIvEEtEE10hipError_tPvRmT2_T3_T4_T5_mT6_T7_P12ihipStream_tbENKUlT_T0_E_clISt17integral_constantIbLb1EES10_IbLb0EEEEDaSW_SX_EUlSW_E_NS1_11comp_targetILNS1_3genE3ELNS1_11target_archE908ELNS1_3gpuE7ELNS1_3repE0EEENS1_30default_config_static_selectorELNS0_4arch9wavefront6targetE0EEEvT1_
                                        ; -- End function
	.set _ZN7rocprim17ROCPRIM_400000_NS6detail17trampoline_kernelINS0_14default_configENS1_27scan_by_key_config_selectorIitEEZZNS1_16scan_by_key_implILNS1_25lookback_scan_determinismE0ELb1ES3_N6thrust23THRUST_200600_302600_NS6detail15normal_iteratorINS9_10device_ptrIiEEEENSB_INSC_ItEEEESG_tNS9_4plusIvEENS9_8equal_toIvEEtEE10hipError_tPvRmT2_T3_T4_T5_mT6_T7_P12ihipStream_tbENKUlT_T0_E_clISt17integral_constantIbLb1EES10_IbLb0EEEEDaSW_SX_EUlSW_E_NS1_11comp_targetILNS1_3genE3ELNS1_11target_archE908ELNS1_3gpuE7ELNS1_3repE0EEENS1_30default_config_static_selectorELNS0_4arch9wavefront6targetE0EEEvT1_.num_vgpr, 0
	.set _ZN7rocprim17ROCPRIM_400000_NS6detail17trampoline_kernelINS0_14default_configENS1_27scan_by_key_config_selectorIitEEZZNS1_16scan_by_key_implILNS1_25lookback_scan_determinismE0ELb1ES3_N6thrust23THRUST_200600_302600_NS6detail15normal_iteratorINS9_10device_ptrIiEEEENSB_INSC_ItEEEESG_tNS9_4plusIvEENS9_8equal_toIvEEtEE10hipError_tPvRmT2_T3_T4_T5_mT6_T7_P12ihipStream_tbENKUlT_T0_E_clISt17integral_constantIbLb1EES10_IbLb0EEEEDaSW_SX_EUlSW_E_NS1_11comp_targetILNS1_3genE3ELNS1_11target_archE908ELNS1_3gpuE7ELNS1_3repE0EEENS1_30default_config_static_selectorELNS0_4arch9wavefront6targetE0EEEvT1_.num_agpr, 0
	.set _ZN7rocprim17ROCPRIM_400000_NS6detail17trampoline_kernelINS0_14default_configENS1_27scan_by_key_config_selectorIitEEZZNS1_16scan_by_key_implILNS1_25lookback_scan_determinismE0ELb1ES3_N6thrust23THRUST_200600_302600_NS6detail15normal_iteratorINS9_10device_ptrIiEEEENSB_INSC_ItEEEESG_tNS9_4plusIvEENS9_8equal_toIvEEtEE10hipError_tPvRmT2_T3_T4_T5_mT6_T7_P12ihipStream_tbENKUlT_T0_E_clISt17integral_constantIbLb1EES10_IbLb0EEEEDaSW_SX_EUlSW_E_NS1_11comp_targetILNS1_3genE3ELNS1_11target_archE908ELNS1_3gpuE7ELNS1_3repE0EEENS1_30default_config_static_selectorELNS0_4arch9wavefront6targetE0EEEvT1_.numbered_sgpr, 0
	.set _ZN7rocprim17ROCPRIM_400000_NS6detail17trampoline_kernelINS0_14default_configENS1_27scan_by_key_config_selectorIitEEZZNS1_16scan_by_key_implILNS1_25lookback_scan_determinismE0ELb1ES3_N6thrust23THRUST_200600_302600_NS6detail15normal_iteratorINS9_10device_ptrIiEEEENSB_INSC_ItEEEESG_tNS9_4plusIvEENS9_8equal_toIvEEtEE10hipError_tPvRmT2_T3_T4_T5_mT6_T7_P12ihipStream_tbENKUlT_T0_E_clISt17integral_constantIbLb1EES10_IbLb0EEEEDaSW_SX_EUlSW_E_NS1_11comp_targetILNS1_3genE3ELNS1_11target_archE908ELNS1_3gpuE7ELNS1_3repE0EEENS1_30default_config_static_selectorELNS0_4arch9wavefront6targetE0EEEvT1_.num_named_barrier, 0
	.set _ZN7rocprim17ROCPRIM_400000_NS6detail17trampoline_kernelINS0_14default_configENS1_27scan_by_key_config_selectorIitEEZZNS1_16scan_by_key_implILNS1_25lookback_scan_determinismE0ELb1ES3_N6thrust23THRUST_200600_302600_NS6detail15normal_iteratorINS9_10device_ptrIiEEEENSB_INSC_ItEEEESG_tNS9_4plusIvEENS9_8equal_toIvEEtEE10hipError_tPvRmT2_T3_T4_T5_mT6_T7_P12ihipStream_tbENKUlT_T0_E_clISt17integral_constantIbLb1EES10_IbLb0EEEEDaSW_SX_EUlSW_E_NS1_11comp_targetILNS1_3genE3ELNS1_11target_archE908ELNS1_3gpuE7ELNS1_3repE0EEENS1_30default_config_static_selectorELNS0_4arch9wavefront6targetE0EEEvT1_.private_seg_size, 0
	.set _ZN7rocprim17ROCPRIM_400000_NS6detail17trampoline_kernelINS0_14default_configENS1_27scan_by_key_config_selectorIitEEZZNS1_16scan_by_key_implILNS1_25lookback_scan_determinismE0ELb1ES3_N6thrust23THRUST_200600_302600_NS6detail15normal_iteratorINS9_10device_ptrIiEEEENSB_INSC_ItEEEESG_tNS9_4plusIvEENS9_8equal_toIvEEtEE10hipError_tPvRmT2_T3_T4_T5_mT6_T7_P12ihipStream_tbENKUlT_T0_E_clISt17integral_constantIbLb1EES10_IbLb0EEEEDaSW_SX_EUlSW_E_NS1_11comp_targetILNS1_3genE3ELNS1_11target_archE908ELNS1_3gpuE7ELNS1_3repE0EEENS1_30default_config_static_selectorELNS0_4arch9wavefront6targetE0EEEvT1_.uses_vcc, 0
	.set _ZN7rocprim17ROCPRIM_400000_NS6detail17trampoline_kernelINS0_14default_configENS1_27scan_by_key_config_selectorIitEEZZNS1_16scan_by_key_implILNS1_25lookback_scan_determinismE0ELb1ES3_N6thrust23THRUST_200600_302600_NS6detail15normal_iteratorINS9_10device_ptrIiEEEENSB_INSC_ItEEEESG_tNS9_4plusIvEENS9_8equal_toIvEEtEE10hipError_tPvRmT2_T3_T4_T5_mT6_T7_P12ihipStream_tbENKUlT_T0_E_clISt17integral_constantIbLb1EES10_IbLb0EEEEDaSW_SX_EUlSW_E_NS1_11comp_targetILNS1_3genE3ELNS1_11target_archE908ELNS1_3gpuE7ELNS1_3repE0EEENS1_30default_config_static_selectorELNS0_4arch9wavefront6targetE0EEEvT1_.uses_flat_scratch, 0
	.set _ZN7rocprim17ROCPRIM_400000_NS6detail17trampoline_kernelINS0_14default_configENS1_27scan_by_key_config_selectorIitEEZZNS1_16scan_by_key_implILNS1_25lookback_scan_determinismE0ELb1ES3_N6thrust23THRUST_200600_302600_NS6detail15normal_iteratorINS9_10device_ptrIiEEEENSB_INSC_ItEEEESG_tNS9_4plusIvEENS9_8equal_toIvEEtEE10hipError_tPvRmT2_T3_T4_T5_mT6_T7_P12ihipStream_tbENKUlT_T0_E_clISt17integral_constantIbLb1EES10_IbLb0EEEEDaSW_SX_EUlSW_E_NS1_11comp_targetILNS1_3genE3ELNS1_11target_archE908ELNS1_3gpuE7ELNS1_3repE0EEENS1_30default_config_static_selectorELNS0_4arch9wavefront6targetE0EEEvT1_.has_dyn_sized_stack, 0
	.set _ZN7rocprim17ROCPRIM_400000_NS6detail17trampoline_kernelINS0_14default_configENS1_27scan_by_key_config_selectorIitEEZZNS1_16scan_by_key_implILNS1_25lookback_scan_determinismE0ELb1ES3_N6thrust23THRUST_200600_302600_NS6detail15normal_iteratorINS9_10device_ptrIiEEEENSB_INSC_ItEEEESG_tNS9_4plusIvEENS9_8equal_toIvEEtEE10hipError_tPvRmT2_T3_T4_T5_mT6_T7_P12ihipStream_tbENKUlT_T0_E_clISt17integral_constantIbLb1EES10_IbLb0EEEEDaSW_SX_EUlSW_E_NS1_11comp_targetILNS1_3genE3ELNS1_11target_archE908ELNS1_3gpuE7ELNS1_3repE0EEENS1_30default_config_static_selectorELNS0_4arch9wavefront6targetE0EEEvT1_.has_recursion, 0
	.set _ZN7rocprim17ROCPRIM_400000_NS6detail17trampoline_kernelINS0_14default_configENS1_27scan_by_key_config_selectorIitEEZZNS1_16scan_by_key_implILNS1_25lookback_scan_determinismE0ELb1ES3_N6thrust23THRUST_200600_302600_NS6detail15normal_iteratorINS9_10device_ptrIiEEEENSB_INSC_ItEEEESG_tNS9_4plusIvEENS9_8equal_toIvEEtEE10hipError_tPvRmT2_T3_T4_T5_mT6_T7_P12ihipStream_tbENKUlT_T0_E_clISt17integral_constantIbLb1EES10_IbLb0EEEEDaSW_SX_EUlSW_E_NS1_11comp_targetILNS1_3genE3ELNS1_11target_archE908ELNS1_3gpuE7ELNS1_3repE0EEENS1_30default_config_static_selectorELNS0_4arch9wavefront6targetE0EEEvT1_.has_indirect_call, 0
	.section	.AMDGPU.csdata,"",@progbits
; Kernel info:
; codeLenInByte = 0
; TotalNumSgprs: 0
; NumVgprs: 0
; ScratchSize: 0
; MemoryBound: 0
; FloatMode: 240
; IeeeMode: 1
; LDSByteSize: 0 bytes/workgroup (compile time only)
; SGPRBlocks: 0
; VGPRBlocks: 0
; NumSGPRsForWavesPerEU: 1
; NumVGPRsForWavesPerEU: 1
; Occupancy: 16
; WaveLimiterHint : 0
; COMPUTE_PGM_RSRC2:SCRATCH_EN: 0
; COMPUTE_PGM_RSRC2:USER_SGPR: 6
; COMPUTE_PGM_RSRC2:TRAP_HANDLER: 0
; COMPUTE_PGM_RSRC2:TGID_X_EN: 1
; COMPUTE_PGM_RSRC2:TGID_Y_EN: 0
; COMPUTE_PGM_RSRC2:TGID_Z_EN: 0
; COMPUTE_PGM_RSRC2:TIDIG_COMP_CNT: 0
	.section	.text._ZN7rocprim17ROCPRIM_400000_NS6detail17trampoline_kernelINS0_14default_configENS1_27scan_by_key_config_selectorIitEEZZNS1_16scan_by_key_implILNS1_25lookback_scan_determinismE0ELb1ES3_N6thrust23THRUST_200600_302600_NS6detail15normal_iteratorINS9_10device_ptrIiEEEENSB_INSC_ItEEEESG_tNS9_4plusIvEENS9_8equal_toIvEEtEE10hipError_tPvRmT2_T3_T4_T5_mT6_T7_P12ihipStream_tbENKUlT_T0_E_clISt17integral_constantIbLb1EES10_IbLb0EEEEDaSW_SX_EUlSW_E_NS1_11comp_targetILNS1_3genE2ELNS1_11target_archE906ELNS1_3gpuE6ELNS1_3repE0EEENS1_30default_config_static_selectorELNS0_4arch9wavefront6targetE0EEEvT1_,"axG",@progbits,_ZN7rocprim17ROCPRIM_400000_NS6detail17trampoline_kernelINS0_14default_configENS1_27scan_by_key_config_selectorIitEEZZNS1_16scan_by_key_implILNS1_25lookback_scan_determinismE0ELb1ES3_N6thrust23THRUST_200600_302600_NS6detail15normal_iteratorINS9_10device_ptrIiEEEENSB_INSC_ItEEEESG_tNS9_4plusIvEENS9_8equal_toIvEEtEE10hipError_tPvRmT2_T3_T4_T5_mT6_T7_P12ihipStream_tbENKUlT_T0_E_clISt17integral_constantIbLb1EES10_IbLb0EEEEDaSW_SX_EUlSW_E_NS1_11comp_targetILNS1_3genE2ELNS1_11target_archE906ELNS1_3gpuE6ELNS1_3repE0EEENS1_30default_config_static_selectorELNS0_4arch9wavefront6targetE0EEEvT1_,comdat
	.protected	_ZN7rocprim17ROCPRIM_400000_NS6detail17trampoline_kernelINS0_14default_configENS1_27scan_by_key_config_selectorIitEEZZNS1_16scan_by_key_implILNS1_25lookback_scan_determinismE0ELb1ES3_N6thrust23THRUST_200600_302600_NS6detail15normal_iteratorINS9_10device_ptrIiEEEENSB_INSC_ItEEEESG_tNS9_4plusIvEENS9_8equal_toIvEEtEE10hipError_tPvRmT2_T3_T4_T5_mT6_T7_P12ihipStream_tbENKUlT_T0_E_clISt17integral_constantIbLb1EES10_IbLb0EEEEDaSW_SX_EUlSW_E_NS1_11comp_targetILNS1_3genE2ELNS1_11target_archE906ELNS1_3gpuE6ELNS1_3repE0EEENS1_30default_config_static_selectorELNS0_4arch9wavefront6targetE0EEEvT1_ ; -- Begin function _ZN7rocprim17ROCPRIM_400000_NS6detail17trampoline_kernelINS0_14default_configENS1_27scan_by_key_config_selectorIitEEZZNS1_16scan_by_key_implILNS1_25lookback_scan_determinismE0ELb1ES3_N6thrust23THRUST_200600_302600_NS6detail15normal_iteratorINS9_10device_ptrIiEEEENSB_INSC_ItEEEESG_tNS9_4plusIvEENS9_8equal_toIvEEtEE10hipError_tPvRmT2_T3_T4_T5_mT6_T7_P12ihipStream_tbENKUlT_T0_E_clISt17integral_constantIbLb1EES10_IbLb0EEEEDaSW_SX_EUlSW_E_NS1_11comp_targetILNS1_3genE2ELNS1_11target_archE906ELNS1_3gpuE6ELNS1_3repE0EEENS1_30default_config_static_selectorELNS0_4arch9wavefront6targetE0EEEvT1_
	.globl	_ZN7rocprim17ROCPRIM_400000_NS6detail17trampoline_kernelINS0_14default_configENS1_27scan_by_key_config_selectorIitEEZZNS1_16scan_by_key_implILNS1_25lookback_scan_determinismE0ELb1ES3_N6thrust23THRUST_200600_302600_NS6detail15normal_iteratorINS9_10device_ptrIiEEEENSB_INSC_ItEEEESG_tNS9_4plusIvEENS9_8equal_toIvEEtEE10hipError_tPvRmT2_T3_T4_T5_mT6_T7_P12ihipStream_tbENKUlT_T0_E_clISt17integral_constantIbLb1EES10_IbLb0EEEEDaSW_SX_EUlSW_E_NS1_11comp_targetILNS1_3genE2ELNS1_11target_archE906ELNS1_3gpuE6ELNS1_3repE0EEENS1_30default_config_static_selectorELNS0_4arch9wavefront6targetE0EEEvT1_
	.p2align	8
	.type	_ZN7rocprim17ROCPRIM_400000_NS6detail17trampoline_kernelINS0_14default_configENS1_27scan_by_key_config_selectorIitEEZZNS1_16scan_by_key_implILNS1_25lookback_scan_determinismE0ELb1ES3_N6thrust23THRUST_200600_302600_NS6detail15normal_iteratorINS9_10device_ptrIiEEEENSB_INSC_ItEEEESG_tNS9_4plusIvEENS9_8equal_toIvEEtEE10hipError_tPvRmT2_T3_T4_T5_mT6_T7_P12ihipStream_tbENKUlT_T0_E_clISt17integral_constantIbLb1EES10_IbLb0EEEEDaSW_SX_EUlSW_E_NS1_11comp_targetILNS1_3genE2ELNS1_11target_archE906ELNS1_3gpuE6ELNS1_3repE0EEENS1_30default_config_static_selectorELNS0_4arch9wavefront6targetE0EEEvT1_,@function
_ZN7rocprim17ROCPRIM_400000_NS6detail17trampoline_kernelINS0_14default_configENS1_27scan_by_key_config_selectorIitEEZZNS1_16scan_by_key_implILNS1_25lookback_scan_determinismE0ELb1ES3_N6thrust23THRUST_200600_302600_NS6detail15normal_iteratorINS9_10device_ptrIiEEEENSB_INSC_ItEEEESG_tNS9_4plusIvEENS9_8equal_toIvEEtEE10hipError_tPvRmT2_T3_T4_T5_mT6_T7_P12ihipStream_tbENKUlT_T0_E_clISt17integral_constantIbLb1EES10_IbLb0EEEEDaSW_SX_EUlSW_E_NS1_11comp_targetILNS1_3genE2ELNS1_11target_archE906ELNS1_3gpuE6ELNS1_3repE0EEENS1_30default_config_static_selectorELNS0_4arch9wavefront6targetE0EEEvT1_: ; @_ZN7rocprim17ROCPRIM_400000_NS6detail17trampoline_kernelINS0_14default_configENS1_27scan_by_key_config_selectorIitEEZZNS1_16scan_by_key_implILNS1_25lookback_scan_determinismE0ELb1ES3_N6thrust23THRUST_200600_302600_NS6detail15normal_iteratorINS9_10device_ptrIiEEEENSB_INSC_ItEEEESG_tNS9_4plusIvEENS9_8equal_toIvEEtEE10hipError_tPvRmT2_T3_T4_T5_mT6_T7_P12ihipStream_tbENKUlT_T0_E_clISt17integral_constantIbLb1EES10_IbLb0EEEEDaSW_SX_EUlSW_E_NS1_11comp_targetILNS1_3genE2ELNS1_11target_archE906ELNS1_3gpuE6ELNS1_3repE0EEENS1_30default_config_static_selectorELNS0_4arch9wavefront6targetE0EEEvT1_
; %bb.0:
	.section	.rodata,"a",@progbits
	.p2align	6, 0x0
	.amdhsa_kernel _ZN7rocprim17ROCPRIM_400000_NS6detail17trampoline_kernelINS0_14default_configENS1_27scan_by_key_config_selectorIitEEZZNS1_16scan_by_key_implILNS1_25lookback_scan_determinismE0ELb1ES3_N6thrust23THRUST_200600_302600_NS6detail15normal_iteratorINS9_10device_ptrIiEEEENSB_INSC_ItEEEESG_tNS9_4plusIvEENS9_8equal_toIvEEtEE10hipError_tPvRmT2_T3_T4_T5_mT6_T7_P12ihipStream_tbENKUlT_T0_E_clISt17integral_constantIbLb1EES10_IbLb0EEEEDaSW_SX_EUlSW_E_NS1_11comp_targetILNS1_3genE2ELNS1_11target_archE906ELNS1_3gpuE6ELNS1_3repE0EEENS1_30default_config_static_selectorELNS0_4arch9wavefront6targetE0EEEvT1_
		.amdhsa_group_segment_fixed_size 0
		.amdhsa_private_segment_fixed_size 0
		.amdhsa_kernarg_size 112
		.amdhsa_user_sgpr_count 6
		.amdhsa_user_sgpr_private_segment_buffer 1
		.amdhsa_user_sgpr_dispatch_ptr 0
		.amdhsa_user_sgpr_queue_ptr 0
		.amdhsa_user_sgpr_kernarg_segment_ptr 1
		.amdhsa_user_sgpr_dispatch_id 0
		.amdhsa_user_sgpr_flat_scratch_init 0
		.amdhsa_user_sgpr_private_segment_size 0
		.amdhsa_wavefront_size32 1
		.amdhsa_uses_dynamic_stack 0
		.amdhsa_system_sgpr_private_segment_wavefront_offset 0
		.amdhsa_system_sgpr_workgroup_id_x 1
		.amdhsa_system_sgpr_workgroup_id_y 0
		.amdhsa_system_sgpr_workgroup_id_z 0
		.amdhsa_system_sgpr_workgroup_info 0
		.amdhsa_system_vgpr_workitem_id 0
		.amdhsa_next_free_vgpr 1
		.amdhsa_next_free_sgpr 1
		.amdhsa_reserve_vcc 0
		.amdhsa_reserve_flat_scratch 0
		.amdhsa_float_round_mode_32 0
		.amdhsa_float_round_mode_16_64 0
		.amdhsa_float_denorm_mode_32 3
		.amdhsa_float_denorm_mode_16_64 3
		.amdhsa_dx10_clamp 1
		.amdhsa_ieee_mode 1
		.amdhsa_fp16_overflow 0
		.amdhsa_workgroup_processor_mode 1
		.amdhsa_memory_ordered 1
		.amdhsa_forward_progress 1
		.amdhsa_shared_vgpr_count 0
		.amdhsa_exception_fp_ieee_invalid_op 0
		.amdhsa_exception_fp_denorm_src 0
		.amdhsa_exception_fp_ieee_div_zero 0
		.amdhsa_exception_fp_ieee_overflow 0
		.amdhsa_exception_fp_ieee_underflow 0
		.amdhsa_exception_fp_ieee_inexact 0
		.amdhsa_exception_int_div_zero 0
	.end_amdhsa_kernel
	.section	.text._ZN7rocprim17ROCPRIM_400000_NS6detail17trampoline_kernelINS0_14default_configENS1_27scan_by_key_config_selectorIitEEZZNS1_16scan_by_key_implILNS1_25lookback_scan_determinismE0ELb1ES3_N6thrust23THRUST_200600_302600_NS6detail15normal_iteratorINS9_10device_ptrIiEEEENSB_INSC_ItEEEESG_tNS9_4plusIvEENS9_8equal_toIvEEtEE10hipError_tPvRmT2_T3_T4_T5_mT6_T7_P12ihipStream_tbENKUlT_T0_E_clISt17integral_constantIbLb1EES10_IbLb0EEEEDaSW_SX_EUlSW_E_NS1_11comp_targetILNS1_3genE2ELNS1_11target_archE906ELNS1_3gpuE6ELNS1_3repE0EEENS1_30default_config_static_selectorELNS0_4arch9wavefront6targetE0EEEvT1_,"axG",@progbits,_ZN7rocprim17ROCPRIM_400000_NS6detail17trampoline_kernelINS0_14default_configENS1_27scan_by_key_config_selectorIitEEZZNS1_16scan_by_key_implILNS1_25lookback_scan_determinismE0ELb1ES3_N6thrust23THRUST_200600_302600_NS6detail15normal_iteratorINS9_10device_ptrIiEEEENSB_INSC_ItEEEESG_tNS9_4plusIvEENS9_8equal_toIvEEtEE10hipError_tPvRmT2_T3_T4_T5_mT6_T7_P12ihipStream_tbENKUlT_T0_E_clISt17integral_constantIbLb1EES10_IbLb0EEEEDaSW_SX_EUlSW_E_NS1_11comp_targetILNS1_3genE2ELNS1_11target_archE906ELNS1_3gpuE6ELNS1_3repE0EEENS1_30default_config_static_selectorELNS0_4arch9wavefront6targetE0EEEvT1_,comdat
.Lfunc_end1558:
	.size	_ZN7rocprim17ROCPRIM_400000_NS6detail17trampoline_kernelINS0_14default_configENS1_27scan_by_key_config_selectorIitEEZZNS1_16scan_by_key_implILNS1_25lookback_scan_determinismE0ELb1ES3_N6thrust23THRUST_200600_302600_NS6detail15normal_iteratorINS9_10device_ptrIiEEEENSB_INSC_ItEEEESG_tNS9_4plusIvEENS9_8equal_toIvEEtEE10hipError_tPvRmT2_T3_T4_T5_mT6_T7_P12ihipStream_tbENKUlT_T0_E_clISt17integral_constantIbLb1EES10_IbLb0EEEEDaSW_SX_EUlSW_E_NS1_11comp_targetILNS1_3genE2ELNS1_11target_archE906ELNS1_3gpuE6ELNS1_3repE0EEENS1_30default_config_static_selectorELNS0_4arch9wavefront6targetE0EEEvT1_, .Lfunc_end1558-_ZN7rocprim17ROCPRIM_400000_NS6detail17trampoline_kernelINS0_14default_configENS1_27scan_by_key_config_selectorIitEEZZNS1_16scan_by_key_implILNS1_25lookback_scan_determinismE0ELb1ES3_N6thrust23THRUST_200600_302600_NS6detail15normal_iteratorINS9_10device_ptrIiEEEENSB_INSC_ItEEEESG_tNS9_4plusIvEENS9_8equal_toIvEEtEE10hipError_tPvRmT2_T3_T4_T5_mT6_T7_P12ihipStream_tbENKUlT_T0_E_clISt17integral_constantIbLb1EES10_IbLb0EEEEDaSW_SX_EUlSW_E_NS1_11comp_targetILNS1_3genE2ELNS1_11target_archE906ELNS1_3gpuE6ELNS1_3repE0EEENS1_30default_config_static_selectorELNS0_4arch9wavefront6targetE0EEEvT1_
                                        ; -- End function
	.set _ZN7rocprim17ROCPRIM_400000_NS6detail17trampoline_kernelINS0_14default_configENS1_27scan_by_key_config_selectorIitEEZZNS1_16scan_by_key_implILNS1_25lookback_scan_determinismE0ELb1ES3_N6thrust23THRUST_200600_302600_NS6detail15normal_iteratorINS9_10device_ptrIiEEEENSB_INSC_ItEEEESG_tNS9_4plusIvEENS9_8equal_toIvEEtEE10hipError_tPvRmT2_T3_T4_T5_mT6_T7_P12ihipStream_tbENKUlT_T0_E_clISt17integral_constantIbLb1EES10_IbLb0EEEEDaSW_SX_EUlSW_E_NS1_11comp_targetILNS1_3genE2ELNS1_11target_archE906ELNS1_3gpuE6ELNS1_3repE0EEENS1_30default_config_static_selectorELNS0_4arch9wavefront6targetE0EEEvT1_.num_vgpr, 0
	.set _ZN7rocprim17ROCPRIM_400000_NS6detail17trampoline_kernelINS0_14default_configENS1_27scan_by_key_config_selectorIitEEZZNS1_16scan_by_key_implILNS1_25lookback_scan_determinismE0ELb1ES3_N6thrust23THRUST_200600_302600_NS6detail15normal_iteratorINS9_10device_ptrIiEEEENSB_INSC_ItEEEESG_tNS9_4plusIvEENS9_8equal_toIvEEtEE10hipError_tPvRmT2_T3_T4_T5_mT6_T7_P12ihipStream_tbENKUlT_T0_E_clISt17integral_constantIbLb1EES10_IbLb0EEEEDaSW_SX_EUlSW_E_NS1_11comp_targetILNS1_3genE2ELNS1_11target_archE906ELNS1_3gpuE6ELNS1_3repE0EEENS1_30default_config_static_selectorELNS0_4arch9wavefront6targetE0EEEvT1_.num_agpr, 0
	.set _ZN7rocprim17ROCPRIM_400000_NS6detail17trampoline_kernelINS0_14default_configENS1_27scan_by_key_config_selectorIitEEZZNS1_16scan_by_key_implILNS1_25lookback_scan_determinismE0ELb1ES3_N6thrust23THRUST_200600_302600_NS6detail15normal_iteratorINS9_10device_ptrIiEEEENSB_INSC_ItEEEESG_tNS9_4plusIvEENS9_8equal_toIvEEtEE10hipError_tPvRmT2_T3_T4_T5_mT6_T7_P12ihipStream_tbENKUlT_T0_E_clISt17integral_constantIbLb1EES10_IbLb0EEEEDaSW_SX_EUlSW_E_NS1_11comp_targetILNS1_3genE2ELNS1_11target_archE906ELNS1_3gpuE6ELNS1_3repE0EEENS1_30default_config_static_selectorELNS0_4arch9wavefront6targetE0EEEvT1_.numbered_sgpr, 0
	.set _ZN7rocprim17ROCPRIM_400000_NS6detail17trampoline_kernelINS0_14default_configENS1_27scan_by_key_config_selectorIitEEZZNS1_16scan_by_key_implILNS1_25lookback_scan_determinismE0ELb1ES3_N6thrust23THRUST_200600_302600_NS6detail15normal_iteratorINS9_10device_ptrIiEEEENSB_INSC_ItEEEESG_tNS9_4plusIvEENS9_8equal_toIvEEtEE10hipError_tPvRmT2_T3_T4_T5_mT6_T7_P12ihipStream_tbENKUlT_T0_E_clISt17integral_constantIbLb1EES10_IbLb0EEEEDaSW_SX_EUlSW_E_NS1_11comp_targetILNS1_3genE2ELNS1_11target_archE906ELNS1_3gpuE6ELNS1_3repE0EEENS1_30default_config_static_selectorELNS0_4arch9wavefront6targetE0EEEvT1_.num_named_barrier, 0
	.set _ZN7rocprim17ROCPRIM_400000_NS6detail17trampoline_kernelINS0_14default_configENS1_27scan_by_key_config_selectorIitEEZZNS1_16scan_by_key_implILNS1_25lookback_scan_determinismE0ELb1ES3_N6thrust23THRUST_200600_302600_NS6detail15normal_iteratorINS9_10device_ptrIiEEEENSB_INSC_ItEEEESG_tNS9_4plusIvEENS9_8equal_toIvEEtEE10hipError_tPvRmT2_T3_T4_T5_mT6_T7_P12ihipStream_tbENKUlT_T0_E_clISt17integral_constantIbLb1EES10_IbLb0EEEEDaSW_SX_EUlSW_E_NS1_11comp_targetILNS1_3genE2ELNS1_11target_archE906ELNS1_3gpuE6ELNS1_3repE0EEENS1_30default_config_static_selectorELNS0_4arch9wavefront6targetE0EEEvT1_.private_seg_size, 0
	.set _ZN7rocprim17ROCPRIM_400000_NS6detail17trampoline_kernelINS0_14default_configENS1_27scan_by_key_config_selectorIitEEZZNS1_16scan_by_key_implILNS1_25lookback_scan_determinismE0ELb1ES3_N6thrust23THRUST_200600_302600_NS6detail15normal_iteratorINS9_10device_ptrIiEEEENSB_INSC_ItEEEESG_tNS9_4plusIvEENS9_8equal_toIvEEtEE10hipError_tPvRmT2_T3_T4_T5_mT6_T7_P12ihipStream_tbENKUlT_T0_E_clISt17integral_constantIbLb1EES10_IbLb0EEEEDaSW_SX_EUlSW_E_NS1_11comp_targetILNS1_3genE2ELNS1_11target_archE906ELNS1_3gpuE6ELNS1_3repE0EEENS1_30default_config_static_selectorELNS0_4arch9wavefront6targetE0EEEvT1_.uses_vcc, 0
	.set _ZN7rocprim17ROCPRIM_400000_NS6detail17trampoline_kernelINS0_14default_configENS1_27scan_by_key_config_selectorIitEEZZNS1_16scan_by_key_implILNS1_25lookback_scan_determinismE0ELb1ES3_N6thrust23THRUST_200600_302600_NS6detail15normal_iteratorINS9_10device_ptrIiEEEENSB_INSC_ItEEEESG_tNS9_4plusIvEENS9_8equal_toIvEEtEE10hipError_tPvRmT2_T3_T4_T5_mT6_T7_P12ihipStream_tbENKUlT_T0_E_clISt17integral_constantIbLb1EES10_IbLb0EEEEDaSW_SX_EUlSW_E_NS1_11comp_targetILNS1_3genE2ELNS1_11target_archE906ELNS1_3gpuE6ELNS1_3repE0EEENS1_30default_config_static_selectorELNS0_4arch9wavefront6targetE0EEEvT1_.uses_flat_scratch, 0
	.set _ZN7rocprim17ROCPRIM_400000_NS6detail17trampoline_kernelINS0_14default_configENS1_27scan_by_key_config_selectorIitEEZZNS1_16scan_by_key_implILNS1_25lookback_scan_determinismE0ELb1ES3_N6thrust23THRUST_200600_302600_NS6detail15normal_iteratorINS9_10device_ptrIiEEEENSB_INSC_ItEEEESG_tNS9_4plusIvEENS9_8equal_toIvEEtEE10hipError_tPvRmT2_T3_T4_T5_mT6_T7_P12ihipStream_tbENKUlT_T0_E_clISt17integral_constantIbLb1EES10_IbLb0EEEEDaSW_SX_EUlSW_E_NS1_11comp_targetILNS1_3genE2ELNS1_11target_archE906ELNS1_3gpuE6ELNS1_3repE0EEENS1_30default_config_static_selectorELNS0_4arch9wavefront6targetE0EEEvT1_.has_dyn_sized_stack, 0
	.set _ZN7rocprim17ROCPRIM_400000_NS6detail17trampoline_kernelINS0_14default_configENS1_27scan_by_key_config_selectorIitEEZZNS1_16scan_by_key_implILNS1_25lookback_scan_determinismE0ELb1ES3_N6thrust23THRUST_200600_302600_NS6detail15normal_iteratorINS9_10device_ptrIiEEEENSB_INSC_ItEEEESG_tNS9_4plusIvEENS9_8equal_toIvEEtEE10hipError_tPvRmT2_T3_T4_T5_mT6_T7_P12ihipStream_tbENKUlT_T0_E_clISt17integral_constantIbLb1EES10_IbLb0EEEEDaSW_SX_EUlSW_E_NS1_11comp_targetILNS1_3genE2ELNS1_11target_archE906ELNS1_3gpuE6ELNS1_3repE0EEENS1_30default_config_static_selectorELNS0_4arch9wavefront6targetE0EEEvT1_.has_recursion, 0
	.set _ZN7rocprim17ROCPRIM_400000_NS6detail17trampoline_kernelINS0_14default_configENS1_27scan_by_key_config_selectorIitEEZZNS1_16scan_by_key_implILNS1_25lookback_scan_determinismE0ELb1ES3_N6thrust23THRUST_200600_302600_NS6detail15normal_iteratorINS9_10device_ptrIiEEEENSB_INSC_ItEEEESG_tNS9_4plusIvEENS9_8equal_toIvEEtEE10hipError_tPvRmT2_T3_T4_T5_mT6_T7_P12ihipStream_tbENKUlT_T0_E_clISt17integral_constantIbLb1EES10_IbLb0EEEEDaSW_SX_EUlSW_E_NS1_11comp_targetILNS1_3genE2ELNS1_11target_archE906ELNS1_3gpuE6ELNS1_3repE0EEENS1_30default_config_static_selectorELNS0_4arch9wavefront6targetE0EEEvT1_.has_indirect_call, 0
	.section	.AMDGPU.csdata,"",@progbits
; Kernel info:
; codeLenInByte = 0
; TotalNumSgprs: 0
; NumVgprs: 0
; ScratchSize: 0
; MemoryBound: 0
; FloatMode: 240
; IeeeMode: 1
; LDSByteSize: 0 bytes/workgroup (compile time only)
; SGPRBlocks: 0
; VGPRBlocks: 0
; NumSGPRsForWavesPerEU: 1
; NumVGPRsForWavesPerEU: 1
; Occupancy: 16
; WaveLimiterHint : 0
; COMPUTE_PGM_RSRC2:SCRATCH_EN: 0
; COMPUTE_PGM_RSRC2:USER_SGPR: 6
; COMPUTE_PGM_RSRC2:TRAP_HANDLER: 0
; COMPUTE_PGM_RSRC2:TGID_X_EN: 1
; COMPUTE_PGM_RSRC2:TGID_Y_EN: 0
; COMPUTE_PGM_RSRC2:TGID_Z_EN: 0
; COMPUTE_PGM_RSRC2:TIDIG_COMP_CNT: 0
	.section	.text._ZN7rocprim17ROCPRIM_400000_NS6detail17trampoline_kernelINS0_14default_configENS1_27scan_by_key_config_selectorIitEEZZNS1_16scan_by_key_implILNS1_25lookback_scan_determinismE0ELb1ES3_N6thrust23THRUST_200600_302600_NS6detail15normal_iteratorINS9_10device_ptrIiEEEENSB_INSC_ItEEEESG_tNS9_4plusIvEENS9_8equal_toIvEEtEE10hipError_tPvRmT2_T3_T4_T5_mT6_T7_P12ihipStream_tbENKUlT_T0_E_clISt17integral_constantIbLb1EES10_IbLb0EEEEDaSW_SX_EUlSW_E_NS1_11comp_targetILNS1_3genE10ELNS1_11target_archE1200ELNS1_3gpuE4ELNS1_3repE0EEENS1_30default_config_static_selectorELNS0_4arch9wavefront6targetE0EEEvT1_,"axG",@progbits,_ZN7rocprim17ROCPRIM_400000_NS6detail17trampoline_kernelINS0_14default_configENS1_27scan_by_key_config_selectorIitEEZZNS1_16scan_by_key_implILNS1_25lookback_scan_determinismE0ELb1ES3_N6thrust23THRUST_200600_302600_NS6detail15normal_iteratorINS9_10device_ptrIiEEEENSB_INSC_ItEEEESG_tNS9_4plusIvEENS9_8equal_toIvEEtEE10hipError_tPvRmT2_T3_T4_T5_mT6_T7_P12ihipStream_tbENKUlT_T0_E_clISt17integral_constantIbLb1EES10_IbLb0EEEEDaSW_SX_EUlSW_E_NS1_11comp_targetILNS1_3genE10ELNS1_11target_archE1200ELNS1_3gpuE4ELNS1_3repE0EEENS1_30default_config_static_selectorELNS0_4arch9wavefront6targetE0EEEvT1_,comdat
	.protected	_ZN7rocprim17ROCPRIM_400000_NS6detail17trampoline_kernelINS0_14default_configENS1_27scan_by_key_config_selectorIitEEZZNS1_16scan_by_key_implILNS1_25lookback_scan_determinismE0ELb1ES3_N6thrust23THRUST_200600_302600_NS6detail15normal_iteratorINS9_10device_ptrIiEEEENSB_INSC_ItEEEESG_tNS9_4plusIvEENS9_8equal_toIvEEtEE10hipError_tPvRmT2_T3_T4_T5_mT6_T7_P12ihipStream_tbENKUlT_T0_E_clISt17integral_constantIbLb1EES10_IbLb0EEEEDaSW_SX_EUlSW_E_NS1_11comp_targetILNS1_3genE10ELNS1_11target_archE1200ELNS1_3gpuE4ELNS1_3repE0EEENS1_30default_config_static_selectorELNS0_4arch9wavefront6targetE0EEEvT1_ ; -- Begin function _ZN7rocprim17ROCPRIM_400000_NS6detail17trampoline_kernelINS0_14default_configENS1_27scan_by_key_config_selectorIitEEZZNS1_16scan_by_key_implILNS1_25lookback_scan_determinismE0ELb1ES3_N6thrust23THRUST_200600_302600_NS6detail15normal_iteratorINS9_10device_ptrIiEEEENSB_INSC_ItEEEESG_tNS9_4plusIvEENS9_8equal_toIvEEtEE10hipError_tPvRmT2_T3_T4_T5_mT6_T7_P12ihipStream_tbENKUlT_T0_E_clISt17integral_constantIbLb1EES10_IbLb0EEEEDaSW_SX_EUlSW_E_NS1_11comp_targetILNS1_3genE10ELNS1_11target_archE1200ELNS1_3gpuE4ELNS1_3repE0EEENS1_30default_config_static_selectorELNS0_4arch9wavefront6targetE0EEEvT1_
	.globl	_ZN7rocprim17ROCPRIM_400000_NS6detail17trampoline_kernelINS0_14default_configENS1_27scan_by_key_config_selectorIitEEZZNS1_16scan_by_key_implILNS1_25lookback_scan_determinismE0ELb1ES3_N6thrust23THRUST_200600_302600_NS6detail15normal_iteratorINS9_10device_ptrIiEEEENSB_INSC_ItEEEESG_tNS9_4plusIvEENS9_8equal_toIvEEtEE10hipError_tPvRmT2_T3_T4_T5_mT6_T7_P12ihipStream_tbENKUlT_T0_E_clISt17integral_constantIbLb1EES10_IbLb0EEEEDaSW_SX_EUlSW_E_NS1_11comp_targetILNS1_3genE10ELNS1_11target_archE1200ELNS1_3gpuE4ELNS1_3repE0EEENS1_30default_config_static_selectorELNS0_4arch9wavefront6targetE0EEEvT1_
	.p2align	8
	.type	_ZN7rocprim17ROCPRIM_400000_NS6detail17trampoline_kernelINS0_14default_configENS1_27scan_by_key_config_selectorIitEEZZNS1_16scan_by_key_implILNS1_25lookback_scan_determinismE0ELb1ES3_N6thrust23THRUST_200600_302600_NS6detail15normal_iteratorINS9_10device_ptrIiEEEENSB_INSC_ItEEEESG_tNS9_4plusIvEENS9_8equal_toIvEEtEE10hipError_tPvRmT2_T3_T4_T5_mT6_T7_P12ihipStream_tbENKUlT_T0_E_clISt17integral_constantIbLb1EES10_IbLb0EEEEDaSW_SX_EUlSW_E_NS1_11comp_targetILNS1_3genE10ELNS1_11target_archE1200ELNS1_3gpuE4ELNS1_3repE0EEENS1_30default_config_static_selectorELNS0_4arch9wavefront6targetE0EEEvT1_,@function
_ZN7rocprim17ROCPRIM_400000_NS6detail17trampoline_kernelINS0_14default_configENS1_27scan_by_key_config_selectorIitEEZZNS1_16scan_by_key_implILNS1_25lookback_scan_determinismE0ELb1ES3_N6thrust23THRUST_200600_302600_NS6detail15normal_iteratorINS9_10device_ptrIiEEEENSB_INSC_ItEEEESG_tNS9_4plusIvEENS9_8equal_toIvEEtEE10hipError_tPvRmT2_T3_T4_T5_mT6_T7_P12ihipStream_tbENKUlT_T0_E_clISt17integral_constantIbLb1EES10_IbLb0EEEEDaSW_SX_EUlSW_E_NS1_11comp_targetILNS1_3genE10ELNS1_11target_archE1200ELNS1_3gpuE4ELNS1_3repE0EEENS1_30default_config_static_selectorELNS0_4arch9wavefront6targetE0EEEvT1_: ; @_ZN7rocprim17ROCPRIM_400000_NS6detail17trampoline_kernelINS0_14default_configENS1_27scan_by_key_config_selectorIitEEZZNS1_16scan_by_key_implILNS1_25lookback_scan_determinismE0ELb1ES3_N6thrust23THRUST_200600_302600_NS6detail15normal_iteratorINS9_10device_ptrIiEEEENSB_INSC_ItEEEESG_tNS9_4plusIvEENS9_8equal_toIvEEtEE10hipError_tPvRmT2_T3_T4_T5_mT6_T7_P12ihipStream_tbENKUlT_T0_E_clISt17integral_constantIbLb1EES10_IbLb0EEEEDaSW_SX_EUlSW_E_NS1_11comp_targetILNS1_3genE10ELNS1_11target_archE1200ELNS1_3gpuE4ELNS1_3repE0EEENS1_30default_config_static_selectorELNS0_4arch9wavefront6targetE0EEEvT1_
; %bb.0:
	.section	.rodata,"a",@progbits
	.p2align	6, 0x0
	.amdhsa_kernel _ZN7rocprim17ROCPRIM_400000_NS6detail17trampoline_kernelINS0_14default_configENS1_27scan_by_key_config_selectorIitEEZZNS1_16scan_by_key_implILNS1_25lookback_scan_determinismE0ELb1ES3_N6thrust23THRUST_200600_302600_NS6detail15normal_iteratorINS9_10device_ptrIiEEEENSB_INSC_ItEEEESG_tNS9_4plusIvEENS9_8equal_toIvEEtEE10hipError_tPvRmT2_T3_T4_T5_mT6_T7_P12ihipStream_tbENKUlT_T0_E_clISt17integral_constantIbLb1EES10_IbLb0EEEEDaSW_SX_EUlSW_E_NS1_11comp_targetILNS1_3genE10ELNS1_11target_archE1200ELNS1_3gpuE4ELNS1_3repE0EEENS1_30default_config_static_selectorELNS0_4arch9wavefront6targetE0EEEvT1_
		.amdhsa_group_segment_fixed_size 0
		.amdhsa_private_segment_fixed_size 0
		.amdhsa_kernarg_size 112
		.amdhsa_user_sgpr_count 6
		.amdhsa_user_sgpr_private_segment_buffer 1
		.amdhsa_user_sgpr_dispatch_ptr 0
		.amdhsa_user_sgpr_queue_ptr 0
		.amdhsa_user_sgpr_kernarg_segment_ptr 1
		.amdhsa_user_sgpr_dispatch_id 0
		.amdhsa_user_sgpr_flat_scratch_init 0
		.amdhsa_user_sgpr_private_segment_size 0
		.amdhsa_wavefront_size32 1
		.amdhsa_uses_dynamic_stack 0
		.amdhsa_system_sgpr_private_segment_wavefront_offset 0
		.amdhsa_system_sgpr_workgroup_id_x 1
		.amdhsa_system_sgpr_workgroup_id_y 0
		.amdhsa_system_sgpr_workgroup_id_z 0
		.amdhsa_system_sgpr_workgroup_info 0
		.amdhsa_system_vgpr_workitem_id 0
		.amdhsa_next_free_vgpr 1
		.amdhsa_next_free_sgpr 1
		.amdhsa_reserve_vcc 0
		.amdhsa_reserve_flat_scratch 0
		.amdhsa_float_round_mode_32 0
		.amdhsa_float_round_mode_16_64 0
		.amdhsa_float_denorm_mode_32 3
		.amdhsa_float_denorm_mode_16_64 3
		.amdhsa_dx10_clamp 1
		.amdhsa_ieee_mode 1
		.amdhsa_fp16_overflow 0
		.amdhsa_workgroup_processor_mode 1
		.amdhsa_memory_ordered 1
		.amdhsa_forward_progress 1
		.amdhsa_shared_vgpr_count 0
		.amdhsa_exception_fp_ieee_invalid_op 0
		.amdhsa_exception_fp_denorm_src 0
		.amdhsa_exception_fp_ieee_div_zero 0
		.amdhsa_exception_fp_ieee_overflow 0
		.amdhsa_exception_fp_ieee_underflow 0
		.amdhsa_exception_fp_ieee_inexact 0
		.amdhsa_exception_int_div_zero 0
	.end_amdhsa_kernel
	.section	.text._ZN7rocprim17ROCPRIM_400000_NS6detail17trampoline_kernelINS0_14default_configENS1_27scan_by_key_config_selectorIitEEZZNS1_16scan_by_key_implILNS1_25lookback_scan_determinismE0ELb1ES3_N6thrust23THRUST_200600_302600_NS6detail15normal_iteratorINS9_10device_ptrIiEEEENSB_INSC_ItEEEESG_tNS9_4plusIvEENS9_8equal_toIvEEtEE10hipError_tPvRmT2_T3_T4_T5_mT6_T7_P12ihipStream_tbENKUlT_T0_E_clISt17integral_constantIbLb1EES10_IbLb0EEEEDaSW_SX_EUlSW_E_NS1_11comp_targetILNS1_3genE10ELNS1_11target_archE1200ELNS1_3gpuE4ELNS1_3repE0EEENS1_30default_config_static_selectorELNS0_4arch9wavefront6targetE0EEEvT1_,"axG",@progbits,_ZN7rocprim17ROCPRIM_400000_NS6detail17trampoline_kernelINS0_14default_configENS1_27scan_by_key_config_selectorIitEEZZNS1_16scan_by_key_implILNS1_25lookback_scan_determinismE0ELb1ES3_N6thrust23THRUST_200600_302600_NS6detail15normal_iteratorINS9_10device_ptrIiEEEENSB_INSC_ItEEEESG_tNS9_4plusIvEENS9_8equal_toIvEEtEE10hipError_tPvRmT2_T3_T4_T5_mT6_T7_P12ihipStream_tbENKUlT_T0_E_clISt17integral_constantIbLb1EES10_IbLb0EEEEDaSW_SX_EUlSW_E_NS1_11comp_targetILNS1_3genE10ELNS1_11target_archE1200ELNS1_3gpuE4ELNS1_3repE0EEENS1_30default_config_static_selectorELNS0_4arch9wavefront6targetE0EEEvT1_,comdat
.Lfunc_end1559:
	.size	_ZN7rocprim17ROCPRIM_400000_NS6detail17trampoline_kernelINS0_14default_configENS1_27scan_by_key_config_selectorIitEEZZNS1_16scan_by_key_implILNS1_25lookback_scan_determinismE0ELb1ES3_N6thrust23THRUST_200600_302600_NS6detail15normal_iteratorINS9_10device_ptrIiEEEENSB_INSC_ItEEEESG_tNS9_4plusIvEENS9_8equal_toIvEEtEE10hipError_tPvRmT2_T3_T4_T5_mT6_T7_P12ihipStream_tbENKUlT_T0_E_clISt17integral_constantIbLb1EES10_IbLb0EEEEDaSW_SX_EUlSW_E_NS1_11comp_targetILNS1_3genE10ELNS1_11target_archE1200ELNS1_3gpuE4ELNS1_3repE0EEENS1_30default_config_static_selectorELNS0_4arch9wavefront6targetE0EEEvT1_, .Lfunc_end1559-_ZN7rocprim17ROCPRIM_400000_NS6detail17trampoline_kernelINS0_14default_configENS1_27scan_by_key_config_selectorIitEEZZNS1_16scan_by_key_implILNS1_25lookback_scan_determinismE0ELb1ES3_N6thrust23THRUST_200600_302600_NS6detail15normal_iteratorINS9_10device_ptrIiEEEENSB_INSC_ItEEEESG_tNS9_4plusIvEENS9_8equal_toIvEEtEE10hipError_tPvRmT2_T3_T4_T5_mT6_T7_P12ihipStream_tbENKUlT_T0_E_clISt17integral_constantIbLb1EES10_IbLb0EEEEDaSW_SX_EUlSW_E_NS1_11comp_targetILNS1_3genE10ELNS1_11target_archE1200ELNS1_3gpuE4ELNS1_3repE0EEENS1_30default_config_static_selectorELNS0_4arch9wavefront6targetE0EEEvT1_
                                        ; -- End function
	.set _ZN7rocprim17ROCPRIM_400000_NS6detail17trampoline_kernelINS0_14default_configENS1_27scan_by_key_config_selectorIitEEZZNS1_16scan_by_key_implILNS1_25lookback_scan_determinismE0ELb1ES3_N6thrust23THRUST_200600_302600_NS6detail15normal_iteratorINS9_10device_ptrIiEEEENSB_INSC_ItEEEESG_tNS9_4plusIvEENS9_8equal_toIvEEtEE10hipError_tPvRmT2_T3_T4_T5_mT6_T7_P12ihipStream_tbENKUlT_T0_E_clISt17integral_constantIbLb1EES10_IbLb0EEEEDaSW_SX_EUlSW_E_NS1_11comp_targetILNS1_3genE10ELNS1_11target_archE1200ELNS1_3gpuE4ELNS1_3repE0EEENS1_30default_config_static_selectorELNS0_4arch9wavefront6targetE0EEEvT1_.num_vgpr, 0
	.set _ZN7rocprim17ROCPRIM_400000_NS6detail17trampoline_kernelINS0_14default_configENS1_27scan_by_key_config_selectorIitEEZZNS1_16scan_by_key_implILNS1_25lookback_scan_determinismE0ELb1ES3_N6thrust23THRUST_200600_302600_NS6detail15normal_iteratorINS9_10device_ptrIiEEEENSB_INSC_ItEEEESG_tNS9_4plusIvEENS9_8equal_toIvEEtEE10hipError_tPvRmT2_T3_T4_T5_mT6_T7_P12ihipStream_tbENKUlT_T0_E_clISt17integral_constantIbLb1EES10_IbLb0EEEEDaSW_SX_EUlSW_E_NS1_11comp_targetILNS1_3genE10ELNS1_11target_archE1200ELNS1_3gpuE4ELNS1_3repE0EEENS1_30default_config_static_selectorELNS0_4arch9wavefront6targetE0EEEvT1_.num_agpr, 0
	.set _ZN7rocprim17ROCPRIM_400000_NS6detail17trampoline_kernelINS0_14default_configENS1_27scan_by_key_config_selectorIitEEZZNS1_16scan_by_key_implILNS1_25lookback_scan_determinismE0ELb1ES3_N6thrust23THRUST_200600_302600_NS6detail15normal_iteratorINS9_10device_ptrIiEEEENSB_INSC_ItEEEESG_tNS9_4plusIvEENS9_8equal_toIvEEtEE10hipError_tPvRmT2_T3_T4_T5_mT6_T7_P12ihipStream_tbENKUlT_T0_E_clISt17integral_constantIbLb1EES10_IbLb0EEEEDaSW_SX_EUlSW_E_NS1_11comp_targetILNS1_3genE10ELNS1_11target_archE1200ELNS1_3gpuE4ELNS1_3repE0EEENS1_30default_config_static_selectorELNS0_4arch9wavefront6targetE0EEEvT1_.numbered_sgpr, 0
	.set _ZN7rocprim17ROCPRIM_400000_NS6detail17trampoline_kernelINS0_14default_configENS1_27scan_by_key_config_selectorIitEEZZNS1_16scan_by_key_implILNS1_25lookback_scan_determinismE0ELb1ES3_N6thrust23THRUST_200600_302600_NS6detail15normal_iteratorINS9_10device_ptrIiEEEENSB_INSC_ItEEEESG_tNS9_4plusIvEENS9_8equal_toIvEEtEE10hipError_tPvRmT2_T3_T4_T5_mT6_T7_P12ihipStream_tbENKUlT_T0_E_clISt17integral_constantIbLb1EES10_IbLb0EEEEDaSW_SX_EUlSW_E_NS1_11comp_targetILNS1_3genE10ELNS1_11target_archE1200ELNS1_3gpuE4ELNS1_3repE0EEENS1_30default_config_static_selectorELNS0_4arch9wavefront6targetE0EEEvT1_.num_named_barrier, 0
	.set _ZN7rocprim17ROCPRIM_400000_NS6detail17trampoline_kernelINS0_14default_configENS1_27scan_by_key_config_selectorIitEEZZNS1_16scan_by_key_implILNS1_25lookback_scan_determinismE0ELb1ES3_N6thrust23THRUST_200600_302600_NS6detail15normal_iteratorINS9_10device_ptrIiEEEENSB_INSC_ItEEEESG_tNS9_4plusIvEENS9_8equal_toIvEEtEE10hipError_tPvRmT2_T3_T4_T5_mT6_T7_P12ihipStream_tbENKUlT_T0_E_clISt17integral_constantIbLb1EES10_IbLb0EEEEDaSW_SX_EUlSW_E_NS1_11comp_targetILNS1_3genE10ELNS1_11target_archE1200ELNS1_3gpuE4ELNS1_3repE0EEENS1_30default_config_static_selectorELNS0_4arch9wavefront6targetE0EEEvT1_.private_seg_size, 0
	.set _ZN7rocprim17ROCPRIM_400000_NS6detail17trampoline_kernelINS0_14default_configENS1_27scan_by_key_config_selectorIitEEZZNS1_16scan_by_key_implILNS1_25lookback_scan_determinismE0ELb1ES3_N6thrust23THRUST_200600_302600_NS6detail15normal_iteratorINS9_10device_ptrIiEEEENSB_INSC_ItEEEESG_tNS9_4plusIvEENS9_8equal_toIvEEtEE10hipError_tPvRmT2_T3_T4_T5_mT6_T7_P12ihipStream_tbENKUlT_T0_E_clISt17integral_constantIbLb1EES10_IbLb0EEEEDaSW_SX_EUlSW_E_NS1_11comp_targetILNS1_3genE10ELNS1_11target_archE1200ELNS1_3gpuE4ELNS1_3repE0EEENS1_30default_config_static_selectorELNS0_4arch9wavefront6targetE0EEEvT1_.uses_vcc, 0
	.set _ZN7rocprim17ROCPRIM_400000_NS6detail17trampoline_kernelINS0_14default_configENS1_27scan_by_key_config_selectorIitEEZZNS1_16scan_by_key_implILNS1_25lookback_scan_determinismE0ELb1ES3_N6thrust23THRUST_200600_302600_NS6detail15normal_iteratorINS9_10device_ptrIiEEEENSB_INSC_ItEEEESG_tNS9_4plusIvEENS9_8equal_toIvEEtEE10hipError_tPvRmT2_T3_T4_T5_mT6_T7_P12ihipStream_tbENKUlT_T0_E_clISt17integral_constantIbLb1EES10_IbLb0EEEEDaSW_SX_EUlSW_E_NS1_11comp_targetILNS1_3genE10ELNS1_11target_archE1200ELNS1_3gpuE4ELNS1_3repE0EEENS1_30default_config_static_selectorELNS0_4arch9wavefront6targetE0EEEvT1_.uses_flat_scratch, 0
	.set _ZN7rocprim17ROCPRIM_400000_NS6detail17trampoline_kernelINS0_14default_configENS1_27scan_by_key_config_selectorIitEEZZNS1_16scan_by_key_implILNS1_25lookback_scan_determinismE0ELb1ES3_N6thrust23THRUST_200600_302600_NS6detail15normal_iteratorINS9_10device_ptrIiEEEENSB_INSC_ItEEEESG_tNS9_4plusIvEENS9_8equal_toIvEEtEE10hipError_tPvRmT2_T3_T4_T5_mT6_T7_P12ihipStream_tbENKUlT_T0_E_clISt17integral_constantIbLb1EES10_IbLb0EEEEDaSW_SX_EUlSW_E_NS1_11comp_targetILNS1_3genE10ELNS1_11target_archE1200ELNS1_3gpuE4ELNS1_3repE0EEENS1_30default_config_static_selectorELNS0_4arch9wavefront6targetE0EEEvT1_.has_dyn_sized_stack, 0
	.set _ZN7rocprim17ROCPRIM_400000_NS6detail17trampoline_kernelINS0_14default_configENS1_27scan_by_key_config_selectorIitEEZZNS1_16scan_by_key_implILNS1_25lookback_scan_determinismE0ELb1ES3_N6thrust23THRUST_200600_302600_NS6detail15normal_iteratorINS9_10device_ptrIiEEEENSB_INSC_ItEEEESG_tNS9_4plusIvEENS9_8equal_toIvEEtEE10hipError_tPvRmT2_T3_T4_T5_mT6_T7_P12ihipStream_tbENKUlT_T0_E_clISt17integral_constantIbLb1EES10_IbLb0EEEEDaSW_SX_EUlSW_E_NS1_11comp_targetILNS1_3genE10ELNS1_11target_archE1200ELNS1_3gpuE4ELNS1_3repE0EEENS1_30default_config_static_selectorELNS0_4arch9wavefront6targetE0EEEvT1_.has_recursion, 0
	.set _ZN7rocprim17ROCPRIM_400000_NS6detail17trampoline_kernelINS0_14default_configENS1_27scan_by_key_config_selectorIitEEZZNS1_16scan_by_key_implILNS1_25lookback_scan_determinismE0ELb1ES3_N6thrust23THRUST_200600_302600_NS6detail15normal_iteratorINS9_10device_ptrIiEEEENSB_INSC_ItEEEESG_tNS9_4plusIvEENS9_8equal_toIvEEtEE10hipError_tPvRmT2_T3_T4_T5_mT6_T7_P12ihipStream_tbENKUlT_T0_E_clISt17integral_constantIbLb1EES10_IbLb0EEEEDaSW_SX_EUlSW_E_NS1_11comp_targetILNS1_3genE10ELNS1_11target_archE1200ELNS1_3gpuE4ELNS1_3repE0EEENS1_30default_config_static_selectorELNS0_4arch9wavefront6targetE0EEEvT1_.has_indirect_call, 0
	.section	.AMDGPU.csdata,"",@progbits
; Kernel info:
; codeLenInByte = 0
; TotalNumSgprs: 0
; NumVgprs: 0
; ScratchSize: 0
; MemoryBound: 0
; FloatMode: 240
; IeeeMode: 1
; LDSByteSize: 0 bytes/workgroup (compile time only)
; SGPRBlocks: 0
; VGPRBlocks: 0
; NumSGPRsForWavesPerEU: 1
; NumVGPRsForWavesPerEU: 1
; Occupancy: 16
; WaveLimiterHint : 0
; COMPUTE_PGM_RSRC2:SCRATCH_EN: 0
; COMPUTE_PGM_RSRC2:USER_SGPR: 6
; COMPUTE_PGM_RSRC2:TRAP_HANDLER: 0
; COMPUTE_PGM_RSRC2:TGID_X_EN: 1
; COMPUTE_PGM_RSRC2:TGID_Y_EN: 0
; COMPUTE_PGM_RSRC2:TGID_Z_EN: 0
; COMPUTE_PGM_RSRC2:TIDIG_COMP_CNT: 0
	.section	.text._ZN7rocprim17ROCPRIM_400000_NS6detail17trampoline_kernelINS0_14default_configENS1_27scan_by_key_config_selectorIitEEZZNS1_16scan_by_key_implILNS1_25lookback_scan_determinismE0ELb1ES3_N6thrust23THRUST_200600_302600_NS6detail15normal_iteratorINS9_10device_ptrIiEEEENSB_INSC_ItEEEESG_tNS9_4plusIvEENS9_8equal_toIvEEtEE10hipError_tPvRmT2_T3_T4_T5_mT6_T7_P12ihipStream_tbENKUlT_T0_E_clISt17integral_constantIbLb1EES10_IbLb0EEEEDaSW_SX_EUlSW_E_NS1_11comp_targetILNS1_3genE9ELNS1_11target_archE1100ELNS1_3gpuE3ELNS1_3repE0EEENS1_30default_config_static_selectorELNS0_4arch9wavefront6targetE0EEEvT1_,"axG",@progbits,_ZN7rocprim17ROCPRIM_400000_NS6detail17trampoline_kernelINS0_14default_configENS1_27scan_by_key_config_selectorIitEEZZNS1_16scan_by_key_implILNS1_25lookback_scan_determinismE0ELb1ES3_N6thrust23THRUST_200600_302600_NS6detail15normal_iteratorINS9_10device_ptrIiEEEENSB_INSC_ItEEEESG_tNS9_4plusIvEENS9_8equal_toIvEEtEE10hipError_tPvRmT2_T3_T4_T5_mT6_T7_P12ihipStream_tbENKUlT_T0_E_clISt17integral_constantIbLb1EES10_IbLb0EEEEDaSW_SX_EUlSW_E_NS1_11comp_targetILNS1_3genE9ELNS1_11target_archE1100ELNS1_3gpuE3ELNS1_3repE0EEENS1_30default_config_static_selectorELNS0_4arch9wavefront6targetE0EEEvT1_,comdat
	.protected	_ZN7rocprim17ROCPRIM_400000_NS6detail17trampoline_kernelINS0_14default_configENS1_27scan_by_key_config_selectorIitEEZZNS1_16scan_by_key_implILNS1_25lookback_scan_determinismE0ELb1ES3_N6thrust23THRUST_200600_302600_NS6detail15normal_iteratorINS9_10device_ptrIiEEEENSB_INSC_ItEEEESG_tNS9_4plusIvEENS9_8equal_toIvEEtEE10hipError_tPvRmT2_T3_T4_T5_mT6_T7_P12ihipStream_tbENKUlT_T0_E_clISt17integral_constantIbLb1EES10_IbLb0EEEEDaSW_SX_EUlSW_E_NS1_11comp_targetILNS1_3genE9ELNS1_11target_archE1100ELNS1_3gpuE3ELNS1_3repE0EEENS1_30default_config_static_selectorELNS0_4arch9wavefront6targetE0EEEvT1_ ; -- Begin function _ZN7rocprim17ROCPRIM_400000_NS6detail17trampoline_kernelINS0_14default_configENS1_27scan_by_key_config_selectorIitEEZZNS1_16scan_by_key_implILNS1_25lookback_scan_determinismE0ELb1ES3_N6thrust23THRUST_200600_302600_NS6detail15normal_iteratorINS9_10device_ptrIiEEEENSB_INSC_ItEEEESG_tNS9_4plusIvEENS9_8equal_toIvEEtEE10hipError_tPvRmT2_T3_T4_T5_mT6_T7_P12ihipStream_tbENKUlT_T0_E_clISt17integral_constantIbLb1EES10_IbLb0EEEEDaSW_SX_EUlSW_E_NS1_11comp_targetILNS1_3genE9ELNS1_11target_archE1100ELNS1_3gpuE3ELNS1_3repE0EEENS1_30default_config_static_selectorELNS0_4arch9wavefront6targetE0EEEvT1_
	.globl	_ZN7rocprim17ROCPRIM_400000_NS6detail17trampoline_kernelINS0_14default_configENS1_27scan_by_key_config_selectorIitEEZZNS1_16scan_by_key_implILNS1_25lookback_scan_determinismE0ELb1ES3_N6thrust23THRUST_200600_302600_NS6detail15normal_iteratorINS9_10device_ptrIiEEEENSB_INSC_ItEEEESG_tNS9_4plusIvEENS9_8equal_toIvEEtEE10hipError_tPvRmT2_T3_T4_T5_mT6_T7_P12ihipStream_tbENKUlT_T0_E_clISt17integral_constantIbLb1EES10_IbLb0EEEEDaSW_SX_EUlSW_E_NS1_11comp_targetILNS1_3genE9ELNS1_11target_archE1100ELNS1_3gpuE3ELNS1_3repE0EEENS1_30default_config_static_selectorELNS0_4arch9wavefront6targetE0EEEvT1_
	.p2align	8
	.type	_ZN7rocprim17ROCPRIM_400000_NS6detail17trampoline_kernelINS0_14default_configENS1_27scan_by_key_config_selectorIitEEZZNS1_16scan_by_key_implILNS1_25lookback_scan_determinismE0ELb1ES3_N6thrust23THRUST_200600_302600_NS6detail15normal_iteratorINS9_10device_ptrIiEEEENSB_INSC_ItEEEESG_tNS9_4plusIvEENS9_8equal_toIvEEtEE10hipError_tPvRmT2_T3_T4_T5_mT6_T7_P12ihipStream_tbENKUlT_T0_E_clISt17integral_constantIbLb1EES10_IbLb0EEEEDaSW_SX_EUlSW_E_NS1_11comp_targetILNS1_3genE9ELNS1_11target_archE1100ELNS1_3gpuE3ELNS1_3repE0EEENS1_30default_config_static_selectorELNS0_4arch9wavefront6targetE0EEEvT1_,@function
_ZN7rocprim17ROCPRIM_400000_NS6detail17trampoline_kernelINS0_14default_configENS1_27scan_by_key_config_selectorIitEEZZNS1_16scan_by_key_implILNS1_25lookback_scan_determinismE0ELb1ES3_N6thrust23THRUST_200600_302600_NS6detail15normal_iteratorINS9_10device_ptrIiEEEENSB_INSC_ItEEEESG_tNS9_4plusIvEENS9_8equal_toIvEEtEE10hipError_tPvRmT2_T3_T4_T5_mT6_T7_P12ihipStream_tbENKUlT_T0_E_clISt17integral_constantIbLb1EES10_IbLb0EEEEDaSW_SX_EUlSW_E_NS1_11comp_targetILNS1_3genE9ELNS1_11target_archE1100ELNS1_3gpuE3ELNS1_3repE0EEENS1_30default_config_static_selectorELNS0_4arch9wavefront6targetE0EEEvT1_: ; @_ZN7rocprim17ROCPRIM_400000_NS6detail17trampoline_kernelINS0_14default_configENS1_27scan_by_key_config_selectorIitEEZZNS1_16scan_by_key_implILNS1_25lookback_scan_determinismE0ELb1ES3_N6thrust23THRUST_200600_302600_NS6detail15normal_iteratorINS9_10device_ptrIiEEEENSB_INSC_ItEEEESG_tNS9_4plusIvEENS9_8equal_toIvEEtEE10hipError_tPvRmT2_T3_T4_T5_mT6_T7_P12ihipStream_tbENKUlT_T0_E_clISt17integral_constantIbLb1EES10_IbLb0EEEEDaSW_SX_EUlSW_E_NS1_11comp_targetILNS1_3genE9ELNS1_11target_archE1100ELNS1_3gpuE3ELNS1_3repE0EEENS1_30default_config_static_selectorELNS0_4arch9wavefront6targetE0EEEvT1_
; %bb.0:
	.section	.rodata,"a",@progbits
	.p2align	6, 0x0
	.amdhsa_kernel _ZN7rocprim17ROCPRIM_400000_NS6detail17trampoline_kernelINS0_14default_configENS1_27scan_by_key_config_selectorIitEEZZNS1_16scan_by_key_implILNS1_25lookback_scan_determinismE0ELb1ES3_N6thrust23THRUST_200600_302600_NS6detail15normal_iteratorINS9_10device_ptrIiEEEENSB_INSC_ItEEEESG_tNS9_4plusIvEENS9_8equal_toIvEEtEE10hipError_tPvRmT2_T3_T4_T5_mT6_T7_P12ihipStream_tbENKUlT_T0_E_clISt17integral_constantIbLb1EES10_IbLb0EEEEDaSW_SX_EUlSW_E_NS1_11comp_targetILNS1_3genE9ELNS1_11target_archE1100ELNS1_3gpuE3ELNS1_3repE0EEENS1_30default_config_static_selectorELNS0_4arch9wavefront6targetE0EEEvT1_
		.amdhsa_group_segment_fixed_size 0
		.amdhsa_private_segment_fixed_size 0
		.amdhsa_kernarg_size 112
		.amdhsa_user_sgpr_count 6
		.amdhsa_user_sgpr_private_segment_buffer 1
		.amdhsa_user_sgpr_dispatch_ptr 0
		.amdhsa_user_sgpr_queue_ptr 0
		.amdhsa_user_sgpr_kernarg_segment_ptr 1
		.amdhsa_user_sgpr_dispatch_id 0
		.amdhsa_user_sgpr_flat_scratch_init 0
		.amdhsa_user_sgpr_private_segment_size 0
		.amdhsa_wavefront_size32 1
		.amdhsa_uses_dynamic_stack 0
		.amdhsa_system_sgpr_private_segment_wavefront_offset 0
		.amdhsa_system_sgpr_workgroup_id_x 1
		.amdhsa_system_sgpr_workgroup_id_y 0
		.amdhsa_system_sgpr_workgroup_id_z 0
		.amdhsa_system_sgpr_workgroup_info 0
		.amdhsa_system_vgpr_workitem_id 0
		.amdhsa_next_free_vgpr 1
		.amdhsa_next_free_sgpr 1
		.amdhsa_reserve_vcc 0
		.amdhsa_reserve_flat_scratch 0
		.amdhsa_float_round_mode_32 0
		.amdhsa_float_round_mode_16_64 0
		.amdhsa_float_denorm_mode_32 3
		.amdhsa_float_denorm_mode_16_64 3
		.amdhsa_dx10_clamp 1
		.amdhsa_ieee_mode 1
		.amdhsa_fp16_overflow 0
		.amdhsa_workgroup_processor_mode 1
		.amdhsa_memory_ordered 1
		.amdhsa_forward_progress 1
		.amdhsa_shared_vgpr_count 0
		.amdhsa_exception_fp_ieee_invalid_op 0
		.amdhsa_exception_fp_denorm_src 0
		.amdhsa_exception_fp_ieee_div_zero 0
		.amdhsa_exception_fp_ieee_overflow 0
		.amdhsa_exception_fp_ieee_underflow 0
		.amdhsa_exception_fp_ieee_inexact 0
		.amdhsa_exception_int_div_zero 0
	.end_amdhsa_kernel
	.section	.text._ZN7rocprim17ROCPRIM_400000_NS6detail17trampoline_kernelINS0_14default_configENS1_27scan_by_key_config_selectorIitEEZZNS1_16scan_by_key_implILNS1_25lookback_scan_determinismE0ELb1ES3_N6thrust23THRUST_200600_302600_NS6detail15normal_iteratorINS9_10device_ptrIiEEEENSB_INSC_ItEEEESG_tNS9_4plusIvEENS9_8equal_toIvEEtEE10hipError_tPvRmT2_T3_T4_T5_mT6_T7_P12ihipStream_tbENKUlT_T0_E_clISt17integral_constantIbLb1EES10_IbLb0EEEEDaSW_SX_EUlSW_E_NS1_11comp_targetILNS1_3genE9ELNS1_11target_archE1100ELNS1_3gpuE3ELNS1_3repE0EEENS1_30default_config_static_selectorELNS0_4arch9wavefront6targetE0EEEvT1_,"axG",@progbits,_ZN7rocprim17ROCPRIM_400000_NS6detail17trampoline_kernelINS0_14default_configENS1_27scan_by_key_config_selectorIitEEZZNS1_16scan_by_key_implILNS1_25lookback_scan_determinismE0ELb1ES3_N6thrust23THRUST_200600_302600_NS6detail15normal_iteratorINS9_10device_ptrIiEEEENSB_INSC_ItEEEESG_tNS9_4plusIvEENS9_8equal_toIvEEtEE10hipError_tPvRmT2_T3_T4_T5_mT6_T7_P12ihipStream_tbENKUlT_T0_E_clISt17integral_constantIbLb1EES10_IbLb0EEEEDaSW_SX_EUlSW_E_NS1_11comp_targetILNS1_3genE9ELNS1_11target_archE1100ELNS1_3gpuE3ELNS1_3repE0EEENS1_30default_config_static_selectorELNS0_4arch9wavefront6targetE0EEEvT1_,comdat
.Lfunc_end1560:
	.size	_ZN7rocprim17ROCPRIM_400000_NS6detail17trampoline_kernelINS0_14default_configENS1_27scan_by_key_config_selectorIitEEZZNS1_16scan_by_key_implILNS1_25lookback_scan_determinismE0ELb1ES3_N6thrust23THRUST_200600_302600_NS6detail15normal_iteratorINS9_10device_ptrIiEEEENSB_INSC_ItEEEESG_tNS9_4plusIvEENS9_8equal_toIvEEtEE10hipError_tPvRmT2_T3_T4_T5_mT6_T7_P12ihipStream_tbENKUlT_T0_E_clISt17integral_constantIbLb1EES10_IbLb0EEEEDaSW_SX_EUlSW_E_NS1_11comp_targetILNS1_3genE9ELNS1_11target_archE1100ELNS1_3gpuE3ELNS1_3repE0EEENS1_30default_config_static_selectorELNS0_4arch9wavefront6targetE0EEEvT1_, .Lfunc_end1560-_ZN7rocprim17ROCPRIM_400000_NS6detail17trampoline_kernelINS0_14default_configENS1_27scan_by_key_config_selectorIitEEZZNS1_16scan_by_key_implILNS1_25lookback_scan_determinismE0ELb1ES3_N6thrust23THRUST_200600_302600_NS6detail15normal_iteratorINS9_10device_ptrIiEEEENSB_INSC_ItEEEESG_tNS9_4plusIvEENS9_8equal_toIvEEtEE10hipError_tPvRmT2_T3_T4_T5_mT6_T7_P12ihipStream_tbENKUlT_T0_E_clISt17integral_constantIbLb1EES10_IbLb0EEEEDaSW_SX_EUlSW_E_NS1_11comp_targetILNS1_3genE9ELNS1_11target_archE1100ELNS1_3gpuE3ELNS1_3repE0EEENS1_30default_config_static_selectorELNS0_4arch9wavefront6targetE0EEEvT1_
                                        ; -- End function
	.set _ZN7rocprim17ROCPRIM_400000_NS6detail17trampoline_kernelINS0_14default_configENS1_27scan_by_key_config_selectorIitEEZZNS1_16scan_by_key_implILNS1_25lookback_scan_determinismE0ELb1ES3_N6thrust23THRUST_200600_302600_NS6detail15normal_iteratorINS9_10device_ptrIiEEEENSB_INSC_ItEEEESG_tNS9_4plusIvEENS9_8equal_toIvEEtEE10hipError_tPvRmT2_T3_T4_T5_mT6_T7_P12ihipStream_tbENKUlT_T0_E_clISt17integral_constantIbLb1EES10_IbLb0EEEEDaSW_SX_EUlSW_E_NS1_11comp_targetILNS1_3genE9ELNS1_11target_archE1100ELNS1_3gpuE3ELNS1_3repE0EEENS1_30default_config_static_selectorELNS0_4arch9wavefront6targetE0EEEvT1_.num_vgpr, 0
	.set _ZN7rocprim17ROCPRIM_400000_NS6detail17trampoline_kernelINS0_14default_configENS1_27scan_by_key_config_selectorIitEEZZNS1_16scan_by_key_implILNS1_25lookback_scan_determinismE0ELb1ES3_N6thrust23THRUST_200600_302600_NS6detail15normal_iteratorINS9_10device_ptrIiEEEENSB_INSC_ItEEEESG_tNS9_4plusIvEENS9_8equal_toIvEEtEE10hipError_tPvRmT2_T3_T4_T5_mT6_T7_P12ihipStream_tbENKUlT_T0_E_clISt17integral_constantIbLb1EES10_IbLb0EEEEDaSW_SX_EUlSW_E_NS1_11comp_targetILNS1_3genE9ELNS1_11target_archE1100ELNS1_3gpuE3ELNS1_3repE0EEENS1_30default_config_static_selectorELNS0_4arch9wavefront6targetE0EEEvT1_.num_agpr, 0
	.set _ZN7rocprim17ROCPRIM_400000_NS6detail17trampoline_kernelINS0_14default_configENS1_27scan_by_key_config_selectorIitEEZZNS1_16scan_by_key_implILNS1_25lookback_scan_determinismE0ELb1ES3_N6thrust23THRUST_200600_302600_NS6detail15normal_iteratorINS9_10device_ptrIiEEEENSB_INSC_ItEEEESG_tNS9_4plusIvEENS9_8equal_toIvEEtEE10hipError_tPvRmT2_T3_T4_T5_mT6_T7_P12ihipStream_tbENKUlT_T0_E_clISt17integral_constantIbLb1EES10_IbLb0EEEEDaSW_SX_EUlSW_E_NS1_11comp_targetILNS1_3genE9ELNS1_11target_archE1100ELNS1_3gpuE3ELNS1_3repE0EEENS1_30default_config_static_selectorELNS0_4arch9wavefront6targetE0EEEvT1_.numbered_sgpr, 0
	.set _ZN7rocprim17ROCPRIM_400000_NS6detail17trampoline_kernelINS0_14default_configENS1_27scan_by_key_config_selectorIitEEZZNS1_16scan_by_key_implILNS1_25lookback_scan_determinismE0ELb1ES3_N6thrust23THRUST_200600_302600_NS6detail15normal_iteratorINS9_10device_ptrIiEEEENSB_INSC_ItEEEESG_tNS9_4plusIvEENS9_8equal_toIvEEtEE10hipError_tPvRmT2_T3_T4_T5_mT6_T7_P12ihipStream_tbENKUlT_T0_E_clISt17integral_constantIbLb1EES10_IbLb0EEEEDaSW_SX_EUlSW_E_NS1_11comp_targetILNS1_3genE9ELNS1_11target_archE1100ELNS1_3gpuE3ELNS1_3repE0EEENS1_30default_config_static_selectorELNS0_4arch9wavefront6targetE0EEEvT1_.num_named_barrier, 0
	.set _ZN7rocprim17ROCPRIM_400000_NS6detail17trampoline_kernelINS0_14default_configENS1_27scan_by_key_config_selectorIitEEZZNS1_16scan_by_key_implILNS1_25lookback_scan_determinismE0ELb1ES3_N6thrust23THRUST_200600_302600_NS6detail15normal_iteratorINS9_10device_ptrIiEEEENSB_INSC_ItEEEESG_tNS9_4plusIvEENS9_8equal_toIvEEtEE10hipError_tPvRmT2_T3_T4_T5_mT6_T7_P12ihipStream_tbENKUlT_T0_E_clISt17integral_constantIbLb1EES10_IbLb0EEEEDaSW_SX_EUlSW_E_NS1_11comp_targetILNS1_3genE9ELNS1_11target_archE1100ELNS1_3gpuE3ELNS1_3repE0EEENS1_30default_config_static_selectorELNS0_4arch9wavefront6targetE0EEEvT1_.private_seg_size, 0
	.set _ZN7rocprim17ROCPRIM_400000_NS6detail17trampoline_kernelINS0_14default_configENS1_27scan_by_key_config_selectorIitEEZZNS1_16scan_by_key_implILNS1_25lookback_scan_determinismE0ELb1ES3_N6thrust23THRUST_200600_302600_NS6detail15normal_iteratorINS9_10device_ptrIiEEEENSB_INSC_ItEEEESG_tNS9_4plusIvEENS9_8equal_toIvEEtEE10hipError_tPvRmT2_T3_T4_T5_mT6_T7_P12ihipStream_tbENKUlT_T0_E_clISt17integral_constantIbLb1EES10_IbLb0EEEEDaSW_SX_EUlSW_E_NS1_11comp_targetILNS1_3genE9ELNS1_11target_archE1100ELNS1_3gpuE3ELNS1_3repE0EEENS1_30default_config_static_selectorELNS0_4arch9wavefront6targetE0EEEvT1_.uses_vcc, 0
	.set _ZN7rocprim17ROCPRIM_400000_NS6detail17trampoline_kernelINS0_14default_configENS1_27scan_by_key_config_selectorIitEEZZNS1_16scan_by_key_implILNS1_25lookback_scan_determinismE0ELb1ES3_N6thrust23THRUST_200600_302600_NS6detail15normal_iteratorINS9_10device_ptrIiEEEENSB_INSC_ItEEEESG_tNS9_4plusIvEENS9_8equal_toIvEEtEE10hipError_tPvRmT2_T3_T4_T5_mT6_T7_P12ihipStream_tbENKUlT_T0_E_clISt17integral_constantIbLb1EES10_IbLb0EEEEDaSW_SX_EUlSW_E_NS1_11comp_targetILNS1_3genE9ELNS1_11target_archE1100ELNS1_3gpuE3ELNS1_3repE0EEENS1_30default_config_static_selectorELNS0_4arch9wavefront6targetE0EEEvT1_.uses_flat_scratch, 0
	.set _ZN7rocprim17ROCPRIM_400000_NS6detail17trampoline_kernelINS0_14default_configENS1_27scan_by_key_config_selectorIitEEZZNS1_16scan_by_key_implILNS1_25lookback_scan_determinismE0ELb1ES3_N6thrust23THRUST_200600_302600_NS6detail15normal_iteratorINS9_10device_ptrIiEEEENSB_INSC_ItEEEESG_tNS9_4plusIvEENS9_8equal_toIvEEtEE10hipError_tPvRmT2_T3_T4_T5_mT6_T7_P12ihipStream_tbENKUlT_T0_E_clISt17integral_constantIbLb1EES10_IbLb0EEEEDaSW_SX_EUlSW_E_NS1_11comp_targetILNS1_3genE9ELNS1_11target_archE1100ELNS1_3gpuE3ELNS1_3repE0EEENS1_30default_config_static_selectorELNS0_4arch9wavefront6targetE0EEEvT1_.has_dyn_sized_stack, 0
	.set _ZN7rocprim17ROCPRIM_400000_NS6detail17trampoline_kernelINS0_14default_configENS1_27scan_by_key_config_selectorIitEEZZNS1_16scan_by_key_implILNS1_25lookback_scan_determinismE0ELb1ES3_N6thrust23THRUST_200600_302600_NS6detail15normal_iteratorINS9_10device_ptrIiEEEENSB_INSC_ItEEEESG_tNS9_4plusIvEENS9_8equal_toIvEEtEE10hipError_tPvRmT2_T3_T4_T5_mT6_T7_P12ihipStream_tbENKUlT_T0_E_clISt17integral_constantIbLb1EES10_IbLb0EEEEDaSW_SX_EUlSW_E_NS1_11comp_targetILNS1_3genE9ELNS1_11target_archE1100ELNS1_3gpuE3ELNS1_3repE0EEENS1_30default_config_static_selectorELNS0_4arch9wavefront6targetE0EEEvT1_.has_recursion, 0
	.set _ZN7rocprim17ROCPRIM_400000_NS6detail17trampoline_kernelINS0_14default_configENS1_27scan_by_key_config_selectorIitEEZZNS1_16scan_by_key_implILNS1_25lookback_scan_determinismE0ELb1ES3_N6thrust23THRUST_200600_302600_NS6detail15normal_iteratorINS9_10device_ptrIiEEEENSB_INSC_ItEEEESG_tNS9_4plusIvEENS9_8equal_toIvEEtEE10hipError_tPvRmT2_T3_T4_T5_mT6_T7_P12ihipStream_tbENKUlT_T0_E_clISt17integral_constantIbLb1EES10_IbLb0EEEEDaSW_SX_EUlSW_E_NS1_11comp_targetILNS1_3genE9ELNS1_11target_archE1100ELNS1_3gpuE3ELNS1_3repE0EEENS1_30default_config_static_selectorELNS0_4arch9wavefront6targetE0EEEvT1_.has_indirect_call, 0
	.section	.AMDGPU.csdata,"",@progbits
; Kernel info:
; codeLenInByte = 0
; TotalNumSgprs: 0
; NumVgprs: 0
; ScratchSize: 0
; MemoryBound: 0
; FloatMode: 240
; IeeeMode: 1
; LDSByteSize: 0 bytes/workgroup (compile time only)
; SGPRBlocks: 0
; VGPRBlocks: 0
; NumSGPRsForWavesPerEU: 1
; NumVGPRsForWavesPerEU: 1
; Occupancy: 16
; WaveLimiterHint : 0
; COMPUTE_PGM_RSRC2:SCRATCH_EN: 0
; COMPUTE_PGM_RSRC2:USER_SGPR: 6
; COMPUTE_PGM_RSRC2:TRAP_HANDLER: 0
; COMPUTE_PGM_RSRC2:TGID_X_EN: 1
; COMPUTE_PGM_RSRC2:TGID_Y_EN: 0
; COMPUTE_PGM_RSRC2:TGID_Z_EN: 0
; COMPUTE_PGM_RSRC2:TIDIG_COMP_CNT: 0
	.section	.text._ZN7rocprim17ROCPRIM_400000_NS6detail17trampoline_kernelINS0_14default_configENS1_27scan_by_key_config_selectorIitEEZZNS1_16scan_by_key_implILNS1_25lookback_scan_determinismE0ELb1ES3_N6thrust23THRUST_200600_302600_NS6detail15normal_iteratorINS9_10device_ptrIiEEEENSB_INSC_ItEEEESG_tNS9_4plusIvEENS9_8equal_toIvEEtEE10hipError_tPvRmT2_T3_T4_T5_mT6_T7_P12ihipStream_tbENKUlT_T0_E_clISt17integral_constantIbLb1EES10_IbLb0EEEEDaSW_SX_EUlSW_E_NS1_11comp_targetILNS1_3genE8ELNS1_11target_archE1030ELNS1_3gpuE2ELNS1_3repE0EEENS1_30default_config_static_selectorELNS0_4arch9wavefront6targetE0EEEvT1_,"axG",@progbits,_ZN7rocprim17ROCPRIM_400000_NS6detail17trampoline_kernelINS0_14default_configENS1_27scan_by_key_config_selectorIitEEZZNS1_16scan_by_key_implILNS1_25lookback_scan_determinismE0ELb1ES3_N6thrust23THRUST_200600_302600_NS6detail15normal_iteratorINS9_10device_ptrIiEEEENSB_INSC_ItEEEESG_tNS9_4plusIvEENS9_8equal_toIvEEtEE10hipError_tPvRmT2_T3_T4_T5_mT6_T7_P12ihipStream_tbENKUlT_T0_E_clISt17integral_constantIbLb1EES10_IbLb0EEEEDaSW_SX_EUlSW_E_NS1_11comp_targetILNS1_3genE8ELNS1_11target_archE1030ELNS1_3gpuE2ELNS1_3repE0EEENS1_30default_config_static_selectorELNS0_4arch9wavefront6targetE0EEEvT1_,comdat
	.protected	_ZN7rocprim17ROCPRIM_400000_NS6detail17trampoline_kernelINS0_14default_configENS1_27scan_by_key_config_selectorIitEEZZNS1_16scan_by_key_implILNS1_25lookback_scan_determinismE0ELb1ES3_N6thrust23THRUST_200600_302600_NS6detail15normal_iteratorINS9_10device_ptrIiEEEENSB_INSC_ItEEEESG_tNS9_4plusIvEENS9_8equal_toIvEEtEE10hipError_tPvRmT2_T3_T4_T5_mT6_T7_P12ihipStream_tbENKUlT_T0_E_clISt17integral_constantIbLb1EES10_IbLb0EEEEDaSW_SX_EUlSW_E_NS1_11comp_targetILNS1_3genE8ELNS1_11target_archE1030ELNS1_3gpuE2ELNS1_3repE0EEENS1_30default_config_static_selectorELNS0_4arch9wavefront6targetE0EEEvT1_ ; -- Begin function _ZN7rocprim17ROCPRIM_400000_NS6detail17trampoline_kernelINS0_14default_configENS1_27scan_by_key_config_selectorIitEEZZNS1_16scan_by_key_implILNS1_25lookback_scan_determinismE0ELb1ES3_N6thrust23THRUST_200600_302600_NS6detail15normal_iteratorINS9_10device_ptrIiEEEENSB_INSC_ItEEEESG_tNS9_4plusIvEENS9_8equal_toIvEEtEE10hipError_tPvRmT2_T3_T4_T5_mT6_T7_P12ihipStream_tbENKUlT_T0_E_clISt17integral_constantIbLb1EES10_IbLb0EEEEDaSW_SX_EUlSW_E_NS1_11comp_targetILNS1_3genE8ELNS1_11target_archE1030ELNS1_3gpuE2ELNS1_3repE0EEENS1_30default_config_static_selectorELNS0_4arch9wavefront6targetE0EEEvT1_
	.globl	_ZN7rocprim17ROCPRIM_400000_NS6detail17trampoline_kernelINS0_14default_configENS1_27scan_by_key_config_selectorIitEEZZNS1_16scan_by_key_implILNS1_25lookback_scan_determinismE0ELb1ES3_N6thrust23THRUST_200600_302600_NS6detail15normal_iteratorINS9_10device_ptrIiEEEENSB_INSC_ItEEEESG_tNS9_4plusIvEENS9_8equal_toIvEEtEE10hipError_tPvRmT2_T3_T4_T5_mT6_T7_P12ihipStream_tbENKUlT_T0_E_clISt17integral_constantIbLb1EES10_IbLb0EEEEDaSW_SX_EUlSW_E_NS1_11comp_targetILNS1_3genE8ELNS1_11target_archE1030ELNS1_3gpuE2ELNS1_3repE0EEENS1_30default_config_static_selectorELNS0_4arch9wavefront6targetE0EEEvT1_
	.p2align	8
	.type	_ZN7rocprim17ROCPRIM_400000_NS6detail17trampoline_kernelINS0_14default_configENS1_27scan_by_key_config_selectorIitEEZZNS1_16scan_by_key_implILNS1_25lookback_scan_determinismE0ELb1ES3_N6thrust23THRUST_200600_302600_NS6detail15normal_iteratorINS9_10device_ptrIiEEEENSB_INSC_ItEEEESG_tNS9_4plusIvEENS9_8equal_toIvEEtEE10hipError_tPvRmT2_T3_T4_T5_mT6_T7_P12ihipStream_tbENKUlT_T0_E_clISt17integral_constantIbLb1EES10_IbLb0EEEEDaSW_SX_EUlSW_E_NS1_11comp_targetILNS1_3genE8ELNS1_11target_archE1030ELNS1_3gpuE2ELNS1_3repE0EEENS1_30default_config_static_selectorELNS0_4arch9wavefront6targetE0EEEvT1_,@function
_ZN7rocprim17ROCPRIM_400000_NS6detail17trampoline_kernelINS0_14default_configENS1_27scan_by_key_config_selectorIitEEZZNS1_16scan_by_key_implILNS1_25lookback_scan_determinismE0ELb1ES3_N6thrust23THRUST_200600_302600_NS6detail15normal_iteratorINS9_10device_ptrIiEEEENSB_INSC_ItEEEESG_tNS9_4plusIvEENS9_8equal_toIvEEtEE10hipError_tPvRmT2_T3_T4_T5_mT6_T7_P12ihipStream_tbENKUlT_T0_E_clISt17integral_constantIbLb1EES10_IbLb0EEEEDaSW_SX_EUlSW_E_NS1_11comp_targetILNS1_3genE8ELNS1_11target_archE1030ELNS1_3gpuE2ELNS1_3repE0EEENS1_30default_config_static_selectorELNS0_4arch9wavefront6targetE0EEEvT1_: ; @_ZN7rocprim17ROCPRIM_400000_NS6detail17trampoline_kernelINS0_14default_configENS1_27scan_by_key_config_selectorIitEEZZNS1_16scan_by_key_implILNS1_25lookback_scan_determinismE0ELb1ES3_N6thrust23THRUST_200600_302600_NS6detail15normal_iteratorINS9_10device_ptrIiEEEENSB_INSC_ItEEEESG_tNS9_4plusIvEENS9_8equal_toIvEEtEE10hipError_tPvRmT2_T3_T4_T5_mT6_T7_P12ihipStream_tbENKUlT_T0_E_clISt17integral_constantIbLb1EES10_IbLb0EEEEDaSW_SX_EUlSW_E_NS1_11comp_targetILNS1_3genE8ELNS1_11target_archE1030ELNS1_3gpuE2ELNS1_3repE0EEENS1_30default_config_static_selectorELNS0_4arch9wavefront6targetE0EEEvT1_
; %bb.0:
	s_endpgm
	.section	.rodata,"a",@progbits
	.p2align	6, 0x0
	.amdhsa_kernel _ZN7rocprim17ROCPRIM_400000_NS6detail17trampoline_kernelINS0_14default_configENS1_27scan_by_key_config_selectorIitEEZZNS1_16scan_by_key_implILNS1_25lookback_scan_determinismE0ELb1ES3_N6thrust23THRUST_200600_302600_NS6detail15normal_iteratorINS9_10device_ptrIiEEEENSB_INSC_ItEEEESG_tNS9_4plusIvEENS9_8equal_toIvEEtEE10hipError_tPvRmT2_T3_T4_T5_mT6_T7_P12ihipStream_tbENKUlT_T0_E_clISt17integral_constantIbLb1EES10_IbLb0EEEEDaSW_SX_EUlSW_E_NS1_11comp_targetILNS1_3genE8ELNS1_11target_archE1030ELNS1_3gpuE2ELNS1_3repE0EEENS1_30default_config_static_selectorELNS0_4arch9wavefront6targetE0EEEvT1_
		.amdhsa_group_segment_fixed_size 0
		.amdhsa_private_segment_fixed_size 0
		.amdhsa_kernarg_size 112
		.amdhsa_user_sgpr_count 6
		.amdhsa_user_sgpr_private_segment_buffer 1
		.amdhsa_user_sgpr_dispatch_ptr 0
		.amdhsa_user_sgpr_queue_ptr 0
		.amdhsa_user_sgpr_kernarg_segment_ptr 1
		.amdhsa_user_sgpr_dispatch_id 0
		.amdhsa_user_sgpr_flat_scratch_init 0
		.amdhsa_user_sgpr_private_segment_size 0
		.amdhsa_wavefront_size32 1
		.amdhsa_uses_dynamic_stack 0
		.amdhsa_system_sgpr_private_segment_wavefront_offset 0
		.amdhsa_system_sgpr_workgroup_id_x 1
		.amdhsa_system_sgpr_workgroup_id_y 0
		.amdhsa_system_sgpr_workgroup_id_z 0
		.amdhsa_system_sgpr_workgroup_info 0
		.amdhsa_system_vgpr_workitem_id 0
		.amdhsa_next_free_vgpr 1
		.amdhsa_next_free_sgpr 1
		.amdhsa_reserve_vcc 0
		.amdhsa_reserve_flat_scratch 0
		.amdhsa_float_round_mode_32 0
		.amdhsa_float_round_mode_16_64 0
		.amdhsa_float_denorm_mode_32 3
		.amdhsa_float_denorm_mode_16_64 3
		.amdhsa_dx10_clamp 1
		.amdhsa_ieee_mode 1
		.amdhsa_fp16_overflow 0
		.amdhsa_workgroup_processor_mode 1
		.amdhsa_memory_ordered 1
		.amdhsa_forward_progress 1
		.amdhsa_shared_vgpr_count 0
		.amdhsa_exception_fp_ieee_invalid_op 0
		.amdhsa_exception_fp_denorm_src 0
		.amdhsa_exception_fp_ieee_div_zero 0
		.amdhsa_exception_fp_ieee_overflow 0
		.amdhsa_exception_fp_ieee_underflow 0
		.amdhsa_exception_fp_ieee_inexact 0
		.amdhsa_exception_int_div_zero 0
	.end_amdhsa_kernel
	.section	.text._ZN7rocprim17ROCPRIM_400000_NS6detail17trampoline_kernelINS0_14default_configENS1_27scan_by_key_config_selectorIitEEZZNS1_16scan_by_key_implILNS1_25lookback_scan_determinismE0ELb1ES3_N6thrust23THRUST_200600_302600_NS6detail15normal_iteratorINS9_10device_ptrIiEEEENSB_INSC_ItEEEESG_tNS9_4plusIvEENS9_8equal_toIvEEtEE10hipError_tPvRmT2_T3_T4_T5_mT6_T7_P12ihipStream_tbENKUlT_T0_E_clISt17integral_constantIbLb1EES10_IbLb0EEEEDaSW_SX_EUlSW_E_NS1_11comp_targetILNS1_3genE8ELNS1_11target_archE1030ELNS1_3gpuE2ELNS1_3repE0EEENS1_30default_config_static_selectorELNS0_4arch9wavefront6targetE0EEEvT1_,"axG",@progbits,_ZN7rocprim17ROCPRIM_400000_NS6detail17trampoline_kernelINS0_14default_configENS1_27scan_by_key_config_selectorIitEEZZNS1_16scan_by_key_implILNS1_25lookback_scan_determinismE0ELb1ES3_N6thrust23THRUST_200600_302600_NS6detail15normal_iteratorINS9_10device_ptrIiEEEENSB_INSC_ItEEEESG_tNS9_4plusIvEENS9_8equal_toIvEEtEE10hipError_tPvRmT2_T3_T4_T5_mT6_T7_P12ihipStream_tbENKUlT_T0_E_clISt17integral_constantIbLb1EES10_IbLb0EEEEDaSW_SX_EUlSW_E_NS1_11comp_targetILNS1_3genE8ELNS1_11target_archE1030ELNS1_3gpuE2ELNS1_3repE0EEENS1_30default_config_static_selectorELNS0_4arch9wavefront6targetE0EEEvT1_,comdat
.Lfunc_end1561:
	.size	_ZN7rocprim17ROCPRIM_400000_NS6detail17trampoline_kernelINS0_14default_configENS1_27scan_by_key_config_selectorIitEEZZNS1_16scan_by_key_implILNS1_25lookback_scan_determinismE0ELb1ES3_N6thrust23THRUST_200600_302600_NS6detail15normal_iteratorINS9_10device_ptrIiEEEENSB_INSC_ItEEEESG_tNS9_4plusIvEENS9_8equal_toIvEEtEE10hipError_tPvRmT2_T3_T4_T5_mT6_T7_P12ihipStream_tbENKUlT_T0_E_clISt17integral_constantIbLb1EES10_IbLb0EEEEDaSW_SX_EUlSW_E_NS1_11comp_targetILNS1_3genE8ELNS1_11target_archE1030ELNS1_3gpuE2ELNS1_3repE0EEENS1_30default_config_static_selectorELNS0_4arch9wavefront6targetE0EEEvT1_, .Lfunc_end1561-_ZN7rocprim17ROCPRIM_400000_NS6detail17trampoline_kernelINS0_14default_configENS1_27scan_by_key_config_selectorIitEEZZNS1_16scan_by_key_implILNS1_25lookback_scan_determinismE0ELb1ES3_N6thrust23THRUST_200600_302600_NS6detail15normal_iteratorINS9_10device_ptrIiEEEENSB_INSC_ItEEEESG_tNS9_4plusIvEENS9_8equal_toIvEEtEE10hipError_tPvRmT2_T3_T4_T5_mT6_T7_P12ihipStream_tbENKUlT_T0_E_clISt17integral_constantIbLb1EES10_IbLb0EEEEDaSW_SX_EUlSW_E_NS1_11comp_targetILNS1_3genE8ELNS1_11target_archE1030ELNS1_3gpuE2ELNS1_3repE0EEENS1_30default_config_static_selectorELNS0_4arch9wavefront6targetE0EEEvT1_
                                        ; -- End function
	.set _ZN7rocprim17ROCPRIM_400000_NS6detail17trampoline_kernelINS0_14default_configENS1_27scan_by_key_config_selectorIitEEZZNS1_16scan_by_key_implILNS1_25lookback_scan_determinismE0ELb1ES3_N6thrust23THRUST_200600_302600_NS6detail15normal_iteratorINS9_10device_ptrIiEEEENSB_INSC_ItEEEESG_tNS9_4plusIvEENS9_8equal_toIvEEtEE10hipError_tPvRmT2_T3_T4_T5_mT6_T7_P12ihipStream_tbENKUlT_T0_E_clISt17integral_constantIbLb1EES10_IbLb0EEEEDaSW_SX_EUlSW_E_NS1_11comp_targetILNS1_3genE8ELNS1_11target_archE1030ELNS1_3gpuE2ELNS1_3repE0EEENS1_30default_config_static_selectorELNS0_4arch9wavefront6targetE0EEEvT1_.num_vgpr, 0
	.set _ZN7rocprim17ROCPRIM_400000_NS6detail17trampoline_kernelINS0_14default_configENS1_27scan_by_key_config_selectorIitEEZZNS1_16scan_by_key_implILNS1_25lookback_scan_determinismE0ELb1ES3_N6thrust23THRUST_200600_302600_NS6detail15normal_iteratorINS9_10device_ptrIiEEEENSB_INSC_ItEEEESG_tNS9_4plusIvEENS9_8equal_toIvEEtEE10hipError_tPvRmT2_T3_T4_T5_mT6_T7_P12ihipStream_tbENKUlT_T0_E_clISt17integral_constantIbLb1EES10_IbLb0EEEEDaSW_SX_EUlSW_E_NS1_11comp_targetILNS1_3genE8ELNS1_11target_archE1030ELNS1_3gpuE2ELNS1_3repE0EEENS1_30default_config_static_selectorELNS0_4arch9wavefront6targetE0EEEvT1_.num_agpr, 0
	.set _ZN7rocprim17ROCPRIM_400000_NS6detail17trampoline_kernelINS0_14default_configENS1_27scan_by_key_config_selectorIitEEZZNS1_16scan_by_key_implILNS1_25lookback_scan_determinismE0ELb1ES3_N6thrust23THRUST_200600_302600_NS6detail15normal_iteratorINS9_10device_ptrIiEEEENSB_INSC_ItEEEESG_tNS9_4plusIvEENS9_8equal_toIvEEtEE10hipError_tPvRmT2_T3_T4_T5_mT6_T7_P12ihipStream_tbENKUlT_T0_E_clISt17integral_constantIbLb1EES10_IbLb0EEEEDaSW_SX_EUlSW_E_NS1_11comp_targetILNS1_3genE8ELNS1_11target_archE1030ELNS1_3gpuE2ELNS1_3repE0EEENS1_30default_config_static_selectorELNS0_4arch9wavefront6targetE0EEEvT1_.numbered_sgpr, 0
	.set _ZN7rocprim17ROCPRIM_400000_NS6detail17trampoline_kernelINS0_14default_configENS1_27scan_by_key_config_selectorIitEEZZNS1_16scan_by_key_implILNS1_25lookback_scan_determinismE0ELb1ES3_N6thrust23THRUST_200600_302600_NS6detail15normal_iteratorINS9_10device_ptrIiEEEENSB_INSC_ItEEEESG_tNS9_4plusIvEENS9_8equal_toIvEEtEE10hipError_tPvRmT2_T3_T4_T5_mT6_T7_P12ihipStream_tbENKUlT_T0_E_clISt17integral_constantIbLb1EES10_IbLb0EEEEDaSW_SX_EUlSW_E_NS1_11comp_targetILNS1_3genE8ELNS1_11target_archE1030ELNS1_3gpuE2ELNS1_3repE0EEENS1_30default_config_static_selectorELNS0_4arch9wavefront6targetE0EEEvT1_.num_named_barrier, 0
	.set _ZN7rocprim17ROCPRIM_400000_NS6detail17trampoline_kernelINS0_14default_configENS1_27scan_by_key_config_selectorIitEEZZNS1_16scan_by_key_implILNS1_25lookback_scan_determinismE0ELb1ES3_N6thrust23THRUST_200600_302600_NS6detail15normal_iteratorINS9_10device_ptrIiEEEENSB_INSC_ItEEEESG_tNS9_4plusIvEENS9_8equal_toIvEEtEE10hipError_tPvRmT2_T3_T4_T5_mT6_T7_P12ihipStream_tbENKUlT_T0_E_clISt17integral_constantIbLb1EES10_IbLb0EEEEDaSW_SX_EUlSW_E_NS1_11comp_targetILNS1_3genE8ELNS1_11target_archE1030ELNS1_3gpuE2ELNS1_3repE0EEENS1_30default_config_static_selectorELNS0_4arch9wavefront6targetE0EEEvT1_.private_seg_size, 0
	.set _ZN7rocprim17ROCPRIM_400000_NS6detail17trampoline_kernelINS0_14default_configENS1_27scan_by_key_config_selectorIitEEZZNS1_16scan_by_key_implILNS1_25lookback_scan_determinismE0ELb1ES3_N6thrust23THRUST_200600_302600_NS6detail15normal_iteratorINS9_10device_ptrIiEEEENSB_INSC_ItEEEESG_tNS9_4plusIvEENS9_8equal_toIvEEtEE10hipError_tPvRmT2_T3_T4_T5_mT6_T7_P12ihipStream_tbENKUlT_T0_E_clISt17integral_constantIbLb1EES10_IbLb0EEEEDaSW_SX_EUlSW_E_NS1_11comp_targetILNS1_3genE8ELNS1_11target_archE1030ELNS1_3gpuE2ELNS1_3repE0EEENS1_30default_config_static_selectorELNS0_4arch9wavefront6targetE0EEEvT1_.uses_vcc, 0
	.set _ZN7rocprim17ROCPRIM_400000_NS6detail17trampoline_kernelINS0_14default_configENS1_27scan_by_key_config_selectorIitEEZZNS1_16scan_by_key_implILNS1_25lookback_scan_determinismE0ELb1ES3_N6thrust23THRUST_200600_302600_NS6detail15normal_iteratorINS9_10device_ptrIiEEEENSB_INSC_ItEEEESG_tNS9_4plusIvEENS9_8equal_toIvEEtEE10hipError_tPvRmT2_T3_T4_T5_mT6_T7_P12ihipStream_tbENKUlT_T0_E_clISt17integral_constantIbLb1EES10_IbLb0EEEEDaSW_SX_EUlSW_E_NS1_11comp_targetILNS1_3genE8ELNS1_11target_archE1030ELNS1_3gpuE2ELNS1_3repE0EEENS1_30default_config_static_selectorELNS0_4arch9wavefront6targetE0EEEvT1_.uses_flat_scratch, 0
	.set _ZN7rocprim17ROCPRIM_400000_NS6detail17trampoline_kernelINS0_14default_configENS1_27scan_by_key_config_selectorIitEEZZNS1_16scan_by_key_implILNS1_25lookback_scan_determinismE0ELb1ES3_N6thrust23THRUST_200600_302600_NS6detail15normal_iteratorINS9_10device_ptrIiEEEENSB_INSC_ItEEEESG_tNS9_4plusIvEENS9_8equal_toIvEEtEE10hipError_tPvRmT2_T3_T4_T5_mT6_T7_P12ihipStream_tbENKUlT_T0_E_clISt17integral_constantIbLb1EES10_IbLb0EEEEDaSW_SX_EUlSW_E_NS1_11comp_targetILNS1_3genE8ELNS1_11target_archE1030ELNS1_3gpuE2ELNS1_3repE0EEENS1_30default_config_static_selectorELNS0_4arch9wavefront6targetE0EEEvT1_.has_dyn_sized_stack, 0
	.set _ZN7rocprim17ROCPRIM_400000_NS6detail17trampoline_kernelINS0_14default_configENS1_27scan_by_key_config_selectorIitEEZZNS1_16scan_by_key_implILNS1_25lookback_scan_determinismE0ELb1ES3_N6thrust23THRUST_200600_302600_NS6detail15normal_iteratorINS9_10device_ptrIiEEEENSB_INSC_ItEEEESG_tNS9_4plusIvEENS9_8equal_toIvEEtEE10hipError_tPvRmT2_T3_T4_T5_mT6_T7_P12ihipStream_tbENKUlT_T0_E_clISt17integral_constantIbLb1EES10_IbLb0EEEEDaSW_SX_EUlSW_E_NS1_11comp_targetILNS1_3genE8ELNS1_11target_archE1030ELNS1_3gpuE2ELNS1_3repE0EEENS1_30default_config_static_selectorELNS0_4arch9wavefront6targetE0EEEvT1_.has_recursion, 0
	.set _ZN7rocprim17ROCPRIM_400000_NS6detail17trampoline_kernelINS0_14default_configENS1_27scan_by_key_config_selectorIitEEZZNS1_16scan_by_key_implILNS1_25lookback_scan_determinismE0ELb1ES3_N6thrust23THRUST_200600_302600_NS6detail15normal_iteratorINS9_10device_ptrIiEEEENSB_INSC_ItEEEESG_tNS9_4plusIvEENS9_8equal_toIvEEtEE10hipError_tPvRmT2_T3_T4_T5_mT6_T7_P12ihipStream_tbENKUlT_T0_E_clISt17integral_constantIbLb1EES10_IbLb0EEEEDaSW_SX_EUlSW_E_NS1_11comp_targetILNS1_3genE8ELNS1_11target_archE1030ELNS1_3gpuE2ELNS1_3repE0EEENS1_30default_config_static_selectorELNS0_4arch9wavefront6targetE0EEEvT1_.has_indirect_call, 0
	.section	.AMDGPU.csdata,"",@progbits
; Kernel info:
; codeLenInByte = 4
; TotalNumSgprs: 0
; NumVgprs: 0
; ScratchSize: 0
; MemoryBound: 0
; FloatMode: 240
; IeeeMode: 1
; LDSByteSize: 0 bytes/workgroup (compile time only)
; SGPRBlocks: 0
; VGPRBlocks: 0
; NumSGPRsForWavesPerEU: 1
; NumVGPRsForWavesPerEU: 1
; Occupancy: 16
; WaveLimiterHint : 0
; COMPUTE_PGM_RSRC2:SCRATCH_EN: 0
; COMPUTE_PGM_RSRC2:USER_SGPR: 6
; COMPUTE_PGM_RSRC2:TRAP_HANDLER: 0
; COMPUTE_PGM_RSRC2:TGID_X_EN: 1
; COMPUTE_PGM_RSRC2:TGID_Y_EN: 0
; COMPUTE_PGM_RSRC2:TGID_Z_EN: 0
; COMPUTE_PGM_RSRC2:TIDIG_COMP_CNT: 0
	.section	.text._ZN7rocprim17ROCPRIM_400000_NS6detail17trampoline_kernelINS0_14default_configENS1_27scan_by_key_config_selectorIitEEZZNS1_16scan_by_key_implILNS1_25lookback_scan_determinismE0ELb1ES3_N6thrust23THRUST_200600_302600_NS6detail15normal_iteratorINS9_10device_ptrIiEEEENSB_INSC_ItEEEESG_tNS9_4plusIvEENS9_8equal_toIvEEtEE10hipError_tPvRmT2_T3_T4_T5_mT6_T7_P12ihipStream_tbENKUlT_T0_E_clISt17integral_constantIbLb0EES10_IbLb1EEEEDaSW_SX_EUlSW_E_NS1_11comp_targetILNS1_3genE0ELNS1_11target_archE4294967295ELNS1_3gpuE0ELNS1_3repE0EEENS1_30default_config_static_selectorELNS0_4arch9wavefront6targetE0EEEvT1_,"axG",@progbits,_ZN7rocprim17ROCPRIM_400000_NS6detail17trampoline_kernelINS0_14default_configENS1_27scan_by_key_config_selectorIitEEZZNS1_16scan_by_key_implILNS1_25lookback_scan_determinismE0ELb1ES3_N6thrust23THRUST_200600_302600_NS6detail15normal_iteratorINS9_10device_ptrIiEEEENSB_INSC_ItEEEESG_tNS9_4plusIvEENS9_8equal_toIvEEtEE10hipError_tPvRmT2_T3_T4_T5_mT6_T7_P12ihipStream_tbENKUlT_T0_E_clISt17integral_constantIbLb0EES10_IbLb1EEEEDaSW_SX_EUlSW_E_NS1_11comp_targetILNS1_3genE0ELNS1_11target_archE4294967295ELNS1_3gpuE0ELNS1_3repE0EEENS1_30default_config_static_selectorELNS0_4arch9wavefront6targetE0EEEvT1_,comdat
	.protected	_ZN7rocprim17ROCPRIM_400000_NS6detail17trampoline_kernelINS0_14default_configENS1_27scan_by_key_config_selectorIitEEZZNS1_16scan_by_key_implILNS1_25lookback_scan_determinismE0ELb1ES3_N6thrust23THRUST_200600_302600_NS6detail15normal_iteratorINS9_10device_ptrIiEEEENSB_INSC_ItEEEESG_tNS9_4plusIvEENS9_8equal_toIvEEtEE10hipError_tPvRmT2_T3_T4_T5_mT6_T7_P12ihipStream_tbENKUlT_T0_E_clISt17integral_constantIbLb0EES10_IbLb1EEEEDaSW_SX_EUlSW_E_NS1_11comp_targetILNS1_3genE0ELNS1_11target_archE4294967295ELNS1_3gpuE0ELNS1_3repE0EEENS1_30default_config_static_selectorELNS0_4arch9wavefront6targetE0EEEvT1_ ; -- Begin function _ZN7rocprim17ROCPRIM_400000_NS6detail17trampoline_kernelINS0_14default_configENS1_27scan_by_key_config_selectorIitEEZZNS1_16scan_by_key_implILNS1_25lookback_scan_determinismE0ELb1ES3_N6thrust23THRUST_200600_302600_NS6detail15normal_iteratorINS9_10device_ptrIiEEEENSB_INSC_ItEEEESG_tNS9_4plusIvEENS9_8equal_toIvEEtEE10hipError_tPvRmT2_T3_T4_T5_mT6_T7_P12ihipStream_tbENKUlT_T0_E_clISt17integral_constantIbLb0EES10_IbLb1EEEEDaSW_SX_EUlSW_E_NS1_11comp_targetILNS1_3genE0ELNS1_11target_archE4294967295ELNS1_3gpuE0ELNS1_3repE0EEENS1_30default_config_static_selectorELNS0_4arch9wavefront6targetE0EEEvT1_
	.globl	_ZN7rocprim17ROCPRIM_400000_NS6detail17trampoline_kernelINS0_14default_configENS1_27scan_by_key_config_selectorIitEEZZNS1_16scan_by_key_implILNS1_25lookback_scan_determinismE0ELb1ES3_N6thrust23THRUST_200600_302600_NS6detail15normal_iteratorINS9_10device_ptrIiEEEENSB_INSC_ItEEEESG_tNS9_4plusIvEENS9_8equal_toIvEEtEE10hipError_tPvRmT2_T3_T4_T5_mT6_T7_P12ihipStream_tbENKUlT_T0_E_clISt17integral_constantIbLb0EES10_IbLb1EEEEDaSW_SX_EUlSW_E_NS1_11comp_targetILNS1_3genE0ELNS1_11target_archE4294967295ELNS1_3gpuE0ELNS1_3repE0EEENS1_30default_config_static_selectorELNS0_4arch9wavefront6targetE0EEEvT1_
	.p2align	8
	.type	_ZN7rocprim17ROCPRIM_400000_NS6detail17trampoline_kernelINS0_14default_configENS1_27scan_by_key_config_selectorIitEEZZNS1_16scan_by_key_implILNS1_25lookback_scan_determinismE0ELb1ES3_N6thrust23THRUST_200600_302600_NS6detail15normal_iteratorINS9_10device_ptrIiEEEENSB_INSC_ItEEEESG_tNS9_4plusIvEENS9_8equal_toIvEEtEE10hipError_tPvRmT2_T3_T4_T5_mT6_T7_P12ihipStream_tbENKUlT_T0_E_clISt17integral_constantIbLb0EES10_IbLb1EEEEDaSW_SX_EUlSW_E_NS1_11comp_targetILNS1_3genE0ELNS1_11target_archE4294967295ELNS1_3gpuE0ELNS1_3repE0EEENS1_30default_config_static_selectorELNS0_4arch9wavefront6targetE0EEEvT1_,@function
_ZN7rocprim17ROCPRIM_400000_NS6detail17trampoline_kernelINS0_14default_configENS1_27scan_by_key_config_selectorIitEEZZNS1_16scan_by_key_implILNS1_25lookback_scan_determinismE0ELb1ES3_N6thrust23THRUST_200600_302600_NS6detail15normal_iteratorINS9_10device_ptrIiEEEENSB_INSC_ItEEEESG_tNS9_4plusIvEENS9_8equal_toIvEEtEE10hipError_tPvRmT2_T3_T4_T5_mT6_T7_P12ihipStream_tbENKUlT_T0_E_clISt17integral_constantIbLb0EES10_IbLb1EEEEDaSW_SX_EUlSW_E_NS1_11comp_targetILNS1_3genE0ELNS1_11target_archE4294967295ELNS1_3gpuE0ELNS1_3repE0EEENS1_30default_config_static_selectorELNS0_4arch9wavefront6targetE0EEEvT1_: ; @_ZN7rocprim17ROCPRIM_400000_NS6detail17trampoline_kernelINS0_14default_configENS1_27scan_by_key_config_selectorIitEEZZNS1_16scan_by_key_implILNS1_25lookback_scan_determinismE0ELb1ES3_N6thrust23THRUST_200600_302600_NS6detail15normal_iteratorINS9_10device_ptrIiEEEENSB_INSC_ItEEEESG_tNS9_4plusIvEENS9_8equal_toIvEEtEE10hipError_tPvRmT2_T3_T4_T5_mT6_T7_P12ihipStream_tbENKUlT_T0_E_clISt17integral_constantIbLb0EES10_IbLb1EEEEDaSW_SX_EUlSW_E_NS1_11comp_targetILNS1_3genE0ELNS1_11target_archE4294967295ELNS1_3gpuE0ELNS1_3repE0EEENS1_30default_config_static_selectorELNS0_4arch9wavefront6targetE0EEEvT1_
; %bb.0:
	.section	.rodata,"a",@progbits
	.p2align	6, 0x0
	.amdhsa_kernel _ZN7rocprim17ROCPRIM_400000_NS6detail17trampoline_kernelINS0_14default_configENS1_27scan_by_key_config_selectorIitEEZZNS1_16scan_by_key_implILNS1_25lookback_scan_determinismE0ELb1ES3_N6thrust23THRUST_200600_302600_NS6detail15normal_iteratorINS9_10device_ptrIiEEEENSB_INSC_ItEEEESG_tNS9_4plusIvEENS9_8equal_toIvEEtEE10hipError_tPvRmT2_T3_T4_T5_mT6_T7_P12ihipStream_tbENKUlT_T0_E_clISt17integral_constantIbLb0EES10_IbLb1EEEEDaSW_SX_EUlSW_E_NS1_11comp_targetILNS1_3genE0ELNS1_11target_archE4294967295ELNS1_3gpuE0ELNS1_3repE0EEENS1_30default_config_static_selectorELNS0_4arch9wavefront6targetE0EEEvT1_
		.amdhsa_group_segment_fixed_size 0
		.amdhsa_private_segment_fixed_size 0
		.amdhsa_kernarg_size 112
		.amdhsa_user_sgpr_count 6
		.amdhsa_user_sgpr_private_segment_buffer 1
		.amdhsa_user_sgpr_dispatch_ptr 0
		.amdhsa_user_sgpr_queue_ptr 0
		.amdhsa_user_sgpr_kernarg_segment_ptr 1
		.amdhsa_user_sgpr_dispatch_id 0
		.amdhsa_user_sgpr_flat_scratch_init 0
		.amdhsa_user_sgpr_private_segment_size 0
		.amdhsa_wavefront_size32 1
		.amdhsa_uses_dynamic_stack 0
		.amdhsa_system_sgpr_private_segment_wavefront_offset 0
		.amdhsa_system_sgpr_workgroup_id_x 1
		.amdhsa_system_sgpr_workgroup_id_y 0
		.amdhsa_system_sgpr_workgroup_id_z 0
		.amdhsa_system_sgpr_workgroup_info 0
		.amdhsa_system_vgpr_workitem_id 0
		.amdhsa_next_free_vgpr 1
		.amdhsa_next_free_sgpr 1
		.amdhsa_reserve_vcc 0
		.amdhsa_reserve_flat_scratch 0
		.amdhsa_float_round_mode_32 0
		.amdhsa_float_round_mode_16_64 0
		.amdhsa_float_denorm_mode_32 3
		.amdhsa_float_denorm_mode_16_64 3
		.amdhsa_dx10_clamp 1
		.amdhsa_ieee_mode 1
		.amdhsa_fp16_overflow 0
		.amdhsa_workgroup_processor_mode 1
		.amdhsa_memory_ordered 1
		.amdhsa_forward_progress 1
		.amdhsa_shared_vgpr_count 0
		.amdhsa_exception_fp_ieee_invalid_op 0
		.amdhsa_exception_fp_denorm_src 0
		.amdhsa_exception_fp_ieee_div_zero 0
		.amdhsa_exception_fp_ieee_overflow 0
		.amdhsa_exception_fp_ieee_underflow 0
		.amdhsa_exception_fp_ieee_inexact 0
		.amdhsa_exception_int_div_zero 0
	.end_amdhsa_kernel
	.section	.text._ZN7rocprim17ROCPRIM_400000_NS6detail17trampoline_kernelINS0_14default_configENS1_27scan_by_key_config_selectorIitEEZZNS1_16scan_by_key_implILNS1_25lookback_scan_determinismE0ELb1ES3_N6thrust23THRUST_200600_302600_NS6detail15normal_iteratorINS9_10device_ptrIiEEEENSB_INSC_ItEEEESG_tNS9_4plusIvEENS9_8equal_toIvEEtEE10hipError_tPvRmT2_T3_T4_T5_mT6_T7_P12ihipStream_tbENKUlT_T0_E_clISt17integral_constantIbLb0EES10_IbLb1EEEEDaSW_SX_EUlSW_E_NS1_11comp_targetILNS1_3genE0ELNS1_11target_archE4294967295ELNS1_3gpuE0ELNS1_3repE0EEENS1_30default_config_static_selectorELNS0_4arch9wavefront6targetE0EEEvT1_,"axG",@progbits,_ZN7rocprim17ROCPRIM_400000_NS6detail17trampoline_kernelINS0_14default_configENS1_27scan_by_key_config_selectorIitEEZZNS1_16scan_by_key_implILNS1_25lookback_scan_determinismE0ELb1ES3_N6thrust23THRUST_200600_302600_NS6detail15normal_iteratorINS9_10device_ptrIiEEEENSB_INSC_ItEEEESG_tNS9_4plusIvEENS9_8equal_toIvEEtEE10hipError_tPvRmT2_T3_T4_T5_mT6_T7_P12ihipStream_tbENKUlT_T0_E_clISt17integral_constantIbLb0EES10_IbLb1EEEEDaSW_SX_EUlSW_E_NS1_11comp_targetILNS1_3genE0ELNS1_11target_archE4294967295ELNS1_3gpuE0ELNS1_3repE0EEENS1_30default_config_static_selectorELNS0_4arch9wavefront6targetE0EEEvT1_,comdat
.Lfunc_end1562:
	.size	_ZN7rocprim17ROCPRIM_400000_NS6detail17trampoline_kernelINS0_14default_configENS1_27scan_by_key_config_selectorIitEEZZNS1_16scan_by_key_implILNS1_25lookback_scan_determinismE0ELb1ES3_N6thrust23THRUST_200600_302600_NS6detail15normal_iteratorINS9_10device_ptrIiEEEENSB_INSC_ItEEEESG_tNS9_4plusIvEENS9_8equal_toIvEEtEE10hipError_tPvRmT2_T3_T4_T5_mT6_T7_P12ihipStream_tbENKUlT_T0_E_clISt17integral_constantIbLb0EES10_IbLb1EEEEDaSW_SX_EUlSW_E_NS1_11comp_targetILNS1_3genE0ELNS1_11target_archE4294967295ELNS1_3gpuE0ELNS1_3repE0EEENS1_30default_config_static_selectorELNS0_4arch9wavefront6targetE0EEEvT1_, .Lfunc_end1562-_ZN7rocprim17ROCPRIM_400000_NS6detail17trampoline_kernelINS0_14default_configENS1_27scan_by_key_config_selectorIitEEZZNS1_16scan_by_key_implILNS1_25lookback_scan_determinismE0ELb1ES3_N6thrust23THRUST_200600_302600_NS6detail15normal_iteratorINS9_10device_ptrIiEEEENSB_INSC_ItEEEESG_tNS9_4plusIvEENS9_8equal_toIvEEtEE10hipError_tPvRmT2_T3_T4_T5_mT6_T7_P12ihipStream_tbENKUlT_T0_E_clISt17integral_constantIbLb0EES10_IbLb1EEEEDaSW_SX_EUlSW_E_NS1_11comp_targetILNS1_3genE0ELNS1_11target_archE4294967295ELNS1_3gpuE0ELNS1_3repE0EEENS1_30default_config_static_selectorELNS0_4arch9wavefront6targetE0EEEvT1_
                                        ; -- End function
	.set _ZN7rocprim17ROCPRIM_400000_NS6detail17trampoline_kernelINS0_14default_configENS1_27scan_by_key_config_selectorIitEEZZNS1_16scan_by_key_implILNS1_25lookback_scan_determinismE0ELb1ES3_N6thrust23THRUST_200600_302600_NS6detail15normal_iteratorINS9_10device_ptrIiEEEENSB_INSC_ItEEEESG_tNS9_4plusIvEENS9_8equal_toIvEEtEE10hipError_tPvRmT2_T3_T4_T5_mT6_T7_P12ihipStream_tbENKUlT_T0_E_clISt17integral_constantIbLb0EES10_IbLb1EEEEDaSW_SX_EUlSW_E_NS1_11comp_targetILNS1_3genE0ELNS1_11target_archE4294967295ELNS1_3gpuE0ELNS1_3repE0EEENS1_30default_config_static_selectorELNS0_4arch9wavefront6targetE0EEEvT1_.num_vgpr, 0
	.set _ZN7rocprim17ROCPRIM_400000_NS6detail17trampoline_kernelINS0_14default_configENS1_27scan_by_key_config_selectorIitEEZZNS1_16scan_by_key_implILNS1_25lookback_scan_determinismE0ELb1ES3_N6thrust23THRUST_200600_302600_NS6detail15normal_iteratorINS9_10device_ptrIiEEEENSB_INSC_ItEEEESG_tNS9_4plusIvEENS9_8equal_toIvEEtEE10hipError_tPvRmT2_T3_T4_T5_mT6_T7_P12ihipStream_tbENKUlT_T0_E_clISt17integral_constantIbLb0EES10_IbLb1EEEEDaSW_SX_EUlSW_E_NS1_11comp_targetILNS1_3genE0ELNS1_11target_archE4294967295ELNS1_3gpuE0ELNS1_3repE0EEENS1_30default_config_static_selectorELNS0_4arch9wavefront6targetE0EEEvT1_.num_agpr, 0
	.set _ZN7rocprim17ROCPRIM_400000_NS6detail17trampoline_kernelINS0_14default_configENS1_27scan_by_key_config_selectorIitEEZZNS1_16scan_by_key_implILNS1_25lookback_scan_determinismE0ELb1ES3_N6thrust23THRUST_200600_302600_NS6detail15normal_iteratorINS9_10device_ptrIiEEEENSB_INSC_ItEEEESG_tNS9_4plusIvEENS9_8equal_toIvEEtEE10hipError_tPvRmT2_T3_T4_T5_mT6_T7_P12ihipStream_tbENKUlT_T0_E_clISt17integral_constantIbLb0EES10_IbLb1EEEEDaSW_SX_EUlSW_E_NS1_11comp_targetILNS1_3genE0ELNS1_11target_archE4294967295ELNS1_3gpuE0ELNS1_3repE0EEENS1_30default_config_static_selectorELNS0_4arch9wavefront6targetE0EEEvT1_.numbered_sgpr, 0
	.set _ZN7rocprim17ROCPRIM_400000_NS6detail17trampoline_kernelINS0_14default_configENS1_27scan_by_key_config_selectorIitEEZZNS1_16scan_by_key_implILNS1_25lookback_scan_determinismE0ELb1ES3_N6thrust23THRUST_200600_302600_NS6detail15normal_iteratorINS9_10device_ptrIiEEEENSB_INSC_ItEEEESG_tNS9_4plusIvEENS9_8equal_toIvEEtEE10hipError_tPvRmT2_T3_T4_T5_mT6_T7_P12ihipStream_tbENKUlT_T0_E_clISt17integral_constantIbLb0EES10_IbLb1EEEEDaSW_SX_EUlSW_E_NS1_11comp_targetILNS1_3genE0ELNS1_11target_archE4294967295ELNS1_3gpuE0ELNS1_3repE0EEENS1_30default_config_static_selectorELNS0_4arch9wavefront6targetE0EEEvT1_.num_named_barrier, 0
	.set _ZN7rocprim17ROCPRIM_400000_NS6detail17trampoline_kernelINS0_14default_configENS1_27scan_by_key_config_selectorIitEEZZNS1_16scan_by_key_implILNS1_25lookback_scan_determinismE0ELb1ES3_N6thrust23THRUST_200600_302600_NS6detail15normal_iteratorINS9_10device_ptrIiEEEENSB_INSC_ItEEEESG_tNS9_4plusIvEENS9_8equal_toIvEEtEE10hipError_tPvRmT2_T3_T4_T5_mT6_T7_P12ihipStream_tbENKUlT_T0_E_clISt17integral_constantIbLb0EES10_IbLb1EEEEDaSW_SX_EUlSW_E_NS1_11comp_targetILNS1_3genE0ELNS1_11target_archE4294967295ELNS1_3gpuE0ELNS1_3repE0EEENS1_30default_config_static_selectorELNS0_4arch9wavefront6targetE0EEEvT1_.private_seg_size, 0
	.set _ZN7rocprim17ROCPRIM_400000_NS6detail17trampoline_kernelINS0_14default_configENS1_27scan_by_key_config_selectorIitEEZZNS1_16scan_by_key_implILNS1_25lookback_scan_determinismE0ELb1ES3_N6thrust23THRUST_200600_302600_NS6detail15normal_iteratorINS9_10device_ptrIiEEEENSB_INSC_ItEEEESG_tNS9_4plusIvEENS9_8equal_toIvEEtEE10hipError_tPvRmT2_T3_T4_T5_mT6_T7_P12ihipStream_tbENKUlT_T0_E_clISt17integral_constantIbLb0EES10_IbLb1EEEEDaSW_SX_EUlSW_E_NS1_11comp_targetILNS1_3genE0ELNS1_11target_archE4294967295ELNS1_3gpuE0ELNS1_3repE0EEENS1_30default_config_static_selectorELNS0_4arch9wavefront6targetE0EEEvT1_.uses_vcc, 0
	.set _ZN7rocprim17ROCPRIM_400000_NS6detail17trampoline_kernelINS0_14default_configENS1_27scan_by_key_config_selectorIitEEZZNS1_16scan_by_key_implILNS1_25lookback_scan_determinismE0ELb1ES3_N6thrust23THRUST_200600_302600_NS6detail15normal_iteratorINS9_10device_ptrIiEEEENSB_INSC_ItEEEESG_tNS9_4plusIvEENS9_8equal_toIvEEtEE10hipError_tPvRmT2_T3_T4_T5_mT6_T7_P12ihipStream_tbENKUlT_T0_E_clISt17integral_constantIbLb0EES10_IbLb1EEEEDaSW_SX_EUlSW_E_NS1_11comp_targetILNS1_3genE0ELNS1_11target_archE4294967295ELNS1_3gpuE0ELNS1_3repE0EEENS1_30default_config_static_selectorELNS0_4arch9wavefront6targetE0EEEvT1_.uses_flat_scratch, 0
	.set _ZN7rocprim17ROCPRIM_400000_NS6detail17trampoline_kernelINS0_14default_configENS1_27scan_by_key_config_selectorIitEEZZNS1_16scan_by_key_implILNS1_25lookback_scan_determinismE0ELb1ES3_N6thrust23THRUST_200600_302600_NS6detail15normal_iteratorINS9_10device_ptrIiEEEENSB_INSC_ItEEEESG_tNS9_4plusIvEENS9_8equal_toIvEEtEE10hipError_tPvRmT2_T3_T4_T5_mT6_T7_P12ihipStream_tbENKUlT_T0_E_clISt17integral_constantIbLb0EES10_IbLb1EEEEDaSW_SX_EUlSW_E_NS1_11comp_targetILNS1_3genE0ELNS1_11target_archE4294967295ELNS1_3gpuE0ELNS1_3repE0EEENS1_30default_config_static_selectorELNS0_4arch9wavefront6targetE0EEEvT1_.has_dyn_sized_stack, 0
	.set _ZN7rocprim17ROCPRIM_400000_NS6detail17trampoline_kernelINS0_14default_configENS1_27scan_by_key_config_selectorIitEEZZNS1_16scan_by_key_implILNS1_25lookback_scan_determinismE0ELb1ES3_N6thrust23THRUST_200600_302600_NS6detail15normal_iteratorINS9_10device_ptrIiEEEENSB_INSC_ItEEEESG_tNS9_4plusIvEENS9_8equal_toIvEEtEE10hipError_tPvRmT2_T3_T4_T5_mT6_T7_P12ihipStream_tbENKUlT_T0_E_clISt17integral_constantIbLb0EES10_IbLb1EEEEDaSW_SX_EUlSW_E_NS1_11comp_targetILNS1_3genE0ELNS1_11target_archE4294967295ELNS1_3gpuE0ELNS1_3repE0EEENS1_30default_config_static_selectorELNS0_4arch9wavefront6targetE0EEEvT1_.has_recursion, 0
	.set _ZN7rocprim17ROCPRIM_400000_NS6detail17trampoline_kernelINS0_14default_configENS1_27scan_by_key_config_selectorIitEEZZNS1_16scan_by_key_implILNS1_25lookback_scan_determinismE0ELb1ES3_N6thrust23THRUST_200600_302600_NS6detail15normal_iteratorINS9_10device_ptrIiEEEENSB_INSC_ItEEEESG_tNS9_4plusIvEENS9_8equal_toIvEEtEE10hipError_tPvRmT2_T3_T4_T5_mT6_T7_P12ihipStream_tbENKUlT_T0_E_clISt17integral_constantIbLb0EES10_IbLb1EEEEDaSW_SX_EUlSW_E_NS1_11comp_targetILNS1_3genE0ELNS1_11target_archE4294967295ELNS1_3gpuE0ELNS1_3repE0EEENS1_30default_config_static_selectorELNS0_4arch9wavefront6targetE0EEEvT1_.has_indirect_call, 0
	.section	.AMDGPU.csdata,"",@progbits
; Kernel info:
; codeLenInByte = 0
; TotalNumSgprs: 0
; NumVgprs: 0
; ScratchSize: 0
; MemoryBound: 0
; FloatMode: 240
; IeeeMode: 1
; LDSByteSize: 0 bytes/workgroup (compile time only)
; SGPRBlocks: 0
; VGPRBlocks: 0
; NumSGPRsForWavesPerEU: 1
; NumVGPRsForWavesPerEU: 1
; Occupancy: 16
; WaveLimiterHint : 0
; COMPUTE_PGM_RSRC2:SCRATCH_EN: 0
; COMPUTE_PGM_RSRC2:USER_SGPR: 6
; COMPUTE_PGM_RSRC2:TRAP_HANDLER: 0
; COMPUTE_PGM_RSRC2:TGID_X_EN: 1
; COMPUTE_PGM_RSRC2:TGID_Y_EN: 0
; COMPUTE_PGM_RSRC2:TGID_Z_EN: 0
; COMPUTE_PGM_RSRC2:TIDIG_COMP_CNT: 0
	.section	.text._ZN7rocprim17ROCPRIM_400000_NS6detail17trampoline_kernelINS0_14default_configENS1_27scan_by_key_config_selectorIitEEZZNS1_16scan_by_key_implILNS1_25lookback_scan_determinismE0ELb1ES3_N6thrust23THRUST_200600_302600_NS6detail15normal_iteratorINS9_10device_ptrIiEEEENSB_INSC_ItEEEESG_tNS9_4plusIvEENS9_8equal_toIvEEtEE10hipError_tPvRmT2_T3_T4_T5_mT6_T7_P12ihipStream_tbENKUlT_T0_E_clISt17integral_constantIbLb0EES10_IbLb1EEEEDaSW_SX_EUlSW_E_NS1_11comp_targetILNS1_3genE10ELNS1_11target_archE1201ELNS1_3gpuE5ELNS1_3repE0EEENS1_30default_config_static_selectorELNS0_4arch9wavefront6targetE0EEEvT1_,"axG",@progbits,_ZN7rocprim17ROCPRIM_400000_NS6detail17trampoline_kernelINS0_14default_configENS1_27scan_by_key_config_selectorIitEEZZNS1_16scan_by_key_implILNS1_25lookback_scan_determinismE0ELb1ES3_N6thrust23THRUST_200600_302600_NS6detail15normal_iteratorINS9_10device_ptrIiEEEENSB_INSC_ItEEEESG_tNS9_4plusIvEENS9_8equal_toIvEEtEE10hipError_tPvRmT2_T3_T4_T5_mT6_T7_P12ihipStream_tbENKUlT_T0_E_clISt17integral_constantIbLb0EES10_IbLb1EEEEDaSW_SX_EUlSW_E_NS1_11comp_targetILNS1_3genE10ELNS1_11target_archE1201ELNS1_3gpuE5ELNS1_3repE0EEENS1_30default_config_static_selectorELNS0_4arch9wavefront6targetE0EEEvT1_,comdat
	.protected	_ZN7rocprim17ROCPRIM_400000_NS6detail17trampoline_kernelINS0_14default_configENS1_27scan_by_key_config_selectorIitEEZZNS1_16scan_by_key_implILNS1_25lookback_scan_determinismE0ELb1ES3_N6thrust23THRUST_200600_302600_NS6detail15normal_iteratorINS9_10device_ptrIiEEEENSB_INSC_ItEEEESG_tNS9_4plusIvEENS9_8equal_toIvEEtEE10hipError_tPvRmT2_T3_T4_T5_mT6_T7_P12ihipStream_tbENKUlT_T0_E_clISt17integral_constantIbLb0EES10_IbLb1EEEEDaSW_SX_EUlSW_E_NS1_11comp_targetILNS1_3genE10ELNS1_11target_archE1201ELNS1_3gpuE5ELNS1_3repE0EEENS1_30default_config_static_selectorELNS0_4arch9wavefront6targetE0EEEvT1_ ; -- Begin function _ZN7rocprim17ROCPRIM_400000_NS6detail17trampoline_kernelINS0_14default_configENS1_27scan_by_key_config_selectorIitEEZZNS1_16scan_by_key_implILNS1_25lookback_scan_determinismE0ELb1ES3_N6thrust23THRUST_200600_302600_NS6detail15normal_iteratorINS9_10device_ptrIiEEEENSB_INSC_ItEEEESG_tNS9_4plusIvEENS9_8equal_toIvEEtEE10hipError_tPvRmT2_T3_T4_T5_mT6_T7_P12ihipStream_tbENKUlT_T0_E_clISt17integral_constantIbLb0EES10_IbLb1EEEEDaSW_SX_EUlSW_E_NS1_11comp_targetILNS1_3genE10ELNS1_11target_archE1201ELNS1_3gpuE5ELNS1_3repE0EEENS1_30default_config_static_selectorELNS0_4arch9wavefront6targetE0EEEvT1_
	.globl	_ZN7rocprim17ROCPRIM_400000_NS6detail17trampoline_kernelINS0_14default_configENS1_27scan_by_key_config_selectorIitEEZZNS1_16scan_by_key_implILNS1_25lookback_scan_determinismE0ELb1ES3_N6thrust23THRUST_200600_302600_NS6detail15normal_iteratorINS9_10device_ptrIiEEEENSB_INSC_ItEEEESG_tNS9_4plusIvEENS9_8equal_toIvEEtEE10hipError_tPvRmT2_T3_T4_T5_mT6_T7_P12ihipStream_tbENKUlT_T0_E_clISt17integral_constantIbLb0EES10_IbLb1EEEEDaSW_SX_EUlSW_E_NS1_11comp_targetILNS1_3genE10ELNS1_11target_archE1201ELNS1_3gpuE5ELNS1_3repE0EEENS1_30default_config_static_selectorELNS0_4arch9wavefront6targetE0EEEvT1_
	.p2align	8
	.type	_ZN7rocprim17ROCPRIM_400000_NS6detail17trampoline_kernelINS0_14default_configENS1_27scan_by_key_config_selectorIitEEZZNS1_16scan_by_key_implILNS1_25lookback_scan_determinismE0ELb1ES3_N6thrust23THRUST_200600_302600_NS6detail15normal_iteratorINS9_10device_ptrIiEEEENSB_INSC_ItEEEESG_tNS9_4plusIvEENS9_8equal_toIvEEtEE10hipError_tPvRmT2_T3_T4_T5_mT6_T7_P12ihipStream_tbENKUlT_T0_E_clISt17integral_constantIbLb0EES10_IbLb1EEEEDaSW_SX_EUlSW_E_NS1_11comp_targetILNS1_3genE10ELNS1_11target_archE1201ELNS1_3gpuE5ELNS1_3repE0EEENS1_30default_config_static_selectorELNS0_4arch9wavefront6targetE0EEEvT1_,@function
_ZN7rocprim17ROCPRIM_400000_NS6detail17trampoline_kernelINS0_14default_configENS1_27scan_by_key_config_selectorIitEEZZNS1_16scan_by_key_implILNS1_25lookback_scan_determinismE0ELb1ES3_N6thrust23THRUST_200600_302600_NS6detail15normal_iteratorINS9_10device_ptrIiEEEENSB_INSC_ItEEEESG_tNS9_4plusIvEENS9_8equal_toIvEEtEE10hipError_tPvRmT2_T3_T4_T5_mT6_T7_P12ihipStream_tbENKUlT_T0_E_clISt17integral_constantIbLb0EES10_IbLb1EEEEDaSW_SX_EUlSW_E_NS1_11comp_targetILNS1_3genE10ELNS1_11target_archE1201ELNS1_3gpuE5ELNS1_3repE0EEENS1_30default_config_static_selectorELNS0_4arch9wavefront6targetE0EEEvT1_: ; @_ZN7rocprim17ROCPRIM_400000_NS6detail17trampoline_kernelINS0_14default_configENS1_27scan_by_key_config_selectorIitEEZZNS1_16scan_by_key_implILNS1_25lookback_scan_determinismE0ELb1ES3_N6thrust23THRUST_200600_302600_NS6detail15normal_iteratorINS9_10device_ptrIiEEEENSB_INSC_ItEEEESG_tNS9_4plusIvEENS9_8equal_toIvEEtEE10hipError_tPvRmT2_T3_T4_T5_mT6_T7_P12ihipStream_tbENKUlT_T0_E_clISt17integral_constantIbLb0EES10_IbLb1EEEEDaSW_SX_EUlSW_E_NS1_11comp_targetILNS1_3genE10ELNS1_11target_archE1201ELNS1_3gpuE5ELNS1_3repE0EEENS1_30default_config_static_selectorELNS0_4arch9wavefront6targetE0EEEvT1_
; %bb.0:
	.section	.rodata,"a",@progbits
	.p2align	6, 0x0
	.amdhsa_kernel _ZN7rocprim17ROCPRIM_400000_NS6detail17trampoline_kernelINS0_14default_configENS1_27scan_by_key_config_selectorIitEEZZNS1_16scan_by_key_implILNS1_25lookback_scan_determinismE0ELb1ES3_N6thrust23THRUST_200600_302600_NS6detail15normal_iteratorINS9_10device_ptrIiEEEENSB_INSC_ItEEEESG_tNS9_4plusIvEENS9_8equal_toIvEEtEE10hipError_tPvRmT2_T3_T4_T5_mT6_T7_P12ihipStream_tbENKUlT_T0_E_clISt17integral_constantIbLb0EES10_IbLb1EEEEDaSW_SX_EUlSW_E_NS1_11comp_targetILNS1_3genE10ELNS1_11target_archE1201ELNS1_3gpuE5ELNS1_3repE0EEENS1_30default_config_static_selectorELNS0_4arch9wavefront6targetE0EEEvT1_
		.amdhsa_group_segment_fixed_size 0
		.amdhsa_private_segment_fixed_size 0
		.amdhsa_kernarg_size 112
		.amdhsa_user_sgpr_count 6
		.amdhsa_user_sgpr_private_segment_buffer 1
		.amdhsa_user_sgpr_dispatch_ptr 0
		.amdhsa_user_sgpr_queue_ptr 0
		.amdhsa_user_sgpr_kernarg_segment_ptr 1
		.amdhsa_user_sgpr_dispatch_id 0
		.amdhsa_user_sgpr_flat_scratch_init 0
		.amdhsa_user_sgpr_private_segment_size 0
		.amdhsa_wavefront_size32 1
		.amdhsa_uses_dynamic_stack 0
		.amdhsa_system_sgpr_private_segment_wavefront_offset 0
		.amdhsa_system_sgpr_workgroup_id_x 1
		.amdhsa_system_sgpr_workgroup_id_y 0
		.amdhsa_system_sgpr_workgroup_id_z 0
		.amdhsa_system_sgpr_workgroup_info 0
		.amdhsa_system_vgpr_workitem_id 0
		.amdhsa_next_free_vgpr 1
		.amdhsa_next_free_sgpr 1
		.amdhsa_reserve_vcc 0
		.amdhsa_reserve_flat_scratch 0
		.amdhsa_float_round_mode_32 0
		.amdhsa_float_round_mode_16_64 0
		.amdhsa_float_denorm_mode_32 3
		.amdhsa_float_denorm_mode_16_64 3
		.amdhsa_dx10_clamp 1
		.amdhsa_ieee_mode 1
		.amdhsa_fp16_overflow 0
		.amdhsa_workgroup_processor_mode 1
		.amdhsa_memory_ordered 1
		.amdhsa_forward_progress 1
		.amdhsa_shared_vgpr_count 0
		.amdhsa_exception_fp_ieee_invalid_op 0
		.amdhsa_exception_fp_denorm_src 0
		.amdhsa_exception_fp_ieee_div_zero 0
		.amdhsa_exception_fp_ieee_overflow 0
		.amdhsa_exception_fp_ieee_underflow 0
		.amdhsa_exception_fp_ieee_inexact 0
		.amdhsa_exception_int_div_zero 0
	.end_amdhsa_kernel
	.section	.text._ZN7rocprim17ROCPRIM_400000_NS6detail17trampoline_kernelINS0_14default_configENS1_27scan_by_key_config_selectorIitEEZZNS1_16scan_by_key_implILNS1_25lookback_scan_determinismE0ELb1ES3_N6thrust23THRUST_200600_302600_NS6detail15normal_iteratorINS9_10device_ptrIiEEEENSB_INSC_ItEEEESG_tNS9_4plusIvEENS9_8equal_toIvEEtEE10hipError_tPvRmT2_T3_T4_T5_mT6_T7_P12ihipStream_tbENKUlT_T0_E_clISt17integral_constantIbLb0EES10_IbLb1EEEEDaSW_SX_EUlSW_E_NS1_11comp_targetILNS1_3genE10ELNS1_11target_archE1201ELNS1_3gpuE5ELNS1_3repE0EEENS1_30default_config_static_selectorELNS0_4arch9wavefront6targetE0EEEvT1_,"axG",@progbits,_ZN7rocprim17ROCPRIM_400000_NS6detail17trampoline_kernelINS0_14default_configENS1_27scan_by_key_config_selectorIitEEZZNS1_16scan_by_key_implILNS1_25lookback_scan_determinismE0ELb1ES3_N6thrust23THRUST_200600_302600_NS6detail15normal_iteratorINS9_10device_ptrIiEEEENSB_INSC_ItEEEESG_tNS9_4plusIvEENS9_8equal_toIvEEtEE10hipError_tPvRmT2_T3_T4_T5_mT6_T7_P12ihipStream_tbENKUlT_T0_E_clISt17integral_constantIbLb0EES10_IbLb1EEEEDaSW_SX_EUlSW_E_NS1_11comp_targetILNS1_3genE10ELNS1_11target_archE1201ELNS1_3gpuE5ELNS1_3repE0EEENS1_30default_config_static_selectorELNS0_4arch9wavefront6targetE0EEEvT1_,comdat
.Lfunc_end1563:
	.size	_ZN7rocprim17ROCPRIM_400000_NS6detail17trampoline_kernelINS0_14default_configENS1_27scan_by_key_config_selectorIitEEZZNS1_16scan_by_key_implILNS1_25lookback_scan_determinismE0ELb1ES3_N6thrust23THRUST_200600_302600_NS6detail15normal_iteratorINS9_10device_ptrIiEEEENSB_INSC_ItEEEESG_tNS9_4plusIvEENS9_8equal_toIvEEtEE10hipError_tPvRmT2_T3_T4_T5_mT6_T7_P12ihipStream_tbENKUlT_T0_E_clISt17integral_constantIbLb0EES10_IbLb1EEEEDaSW_SX_EUlSW_E_NS1_11comp_targetILNS1_3genE10ELNS1_11target_archE1201ELNS1_3gpuE5ELNS1_3repE0EEENS1_30default_config_static_selectorELNS0_4arch9wavefront6targetE0EEEvT1_, .Lfunc_end1563-_ZN7rocprim17ROCPRIM_400000_NS6detail17trampoline_kernelINS0_14default_configENS1_27scan_by_key_config_selectorIitEEZZNS1_16scan_by_key_implILNS1_25lookback_scan_determinismE0ELb1ES3_N6thrust23THRUST_200600_302600_NS6detail15normal_iteratorINS9_10device_ptrIiEEEENSB_INSC_ItEEEESG_tNS9_4plusIvEENS9_8equal_toIvEEtEE10hipError_tPvRmT2_T3_T4_T5_mT6_T7_P12ihipStream_tbENKUlT_T0_E_clISt17integral_constantIbLb0EES10_IbLb1EEEEDaSW_SX_EUlSW_E_NS1_11comp_targetILNS1_3genE10ELNS1_11target_archE1201ELNS1_3gpuE5ELNS1_3repE0EEENS1_30default_config_static_selectorELNS0_4arch9wavefront6targetE0EEEvT1_
                                        ; -- End function
	.set _ZN7rocprim17ROCPRIM_400000_NS6detail17trampoline_kernelINS0_14default_configENS1_27scan_by_key_config_selectorIitEEZZNS1_16scan_by_key_implILNS1_25lookback_scan_determinismE0ELb1ES3_N6thrust23THRUST_200600_302600_NS6detail15normal_iteratorINS9_10device_ptrIiEEEENSB_INSC_ItEEEESG_tNS9_4plusIvEENS9_8equal_toIvEEtEE10hipError_tPvRmT2_T3_T4_T5_mT6_T7_P12ihipStream_tbENKUlT_T0_E_clISt17integral_constantIbLb0EES10_IbLb1EEEEDaSW_SX_EUlSW_E_NS1_11comp_targetILNS1_3genE10ELNS1_11target_archE1201ELNS1_3gpuE5ELNS1_3repE0EEENS1_30default_config_static_selectorELNS0_4arch9wavefront6targetE0EEEvT1_.num_vgpr, 0
	.set _ZN7rocprim17ROCPRIM_400000_NS6detail17trampoline_kernelINS0_14default_configENS1_27scan_by_key_config_selectorIitEEZZNS1_16scan_by_key_implILNS1_25lookback_scan_determinismE0ELb1ES3_N6thrust23THRUST_200600_302600_NS6detail15normal_iteratorINS9_10device_ptrIiEEEENSB_INSC_ItEEEESG_tNS9_4plusIvEENS9_8equal_toIvEEtEE10hipError_tPvRmT2_T3_T4_T5_mT6_T7_P12ihipStream_tbENKUlT_T0_E_clISt17integral_constantIbLb0EES10_IbLb1EEEEDaSW_SX_EUlSW_E_NS1_11comp_targetILNS1_3genE10ELNS1_11target_archE1201ELNS1_3gpuE5ELNS1_3repE0EEENS1_30default_config_static_selectorELNS0_4arch9wavefront6targetE0EEEvT1_.num_agpr, 0
	.set _ZN7rocprim17ROCPRIM_400000_NS6detail17trampoline_kernelINS0_14default_configENS1_27scan_by_key_config_selectorIitEEZZNS1_16scan_by_key_implILNS1_25lookback_scan_determinismE0ELb1ES3_N6thrust23THRUST_200600_302600_NS6detail15normal_iteratorINS9_10device_ptrIiEEEENSB_INSC_ItEEEESG_tNS9_4plusIvEENS9_8equal_toIvEEtEE10hipError_tPvRmT2_T3_T4_T5_mT6_T7_P12ihipStream_tbENKUlT_T0_E_clISt17integral_constantIbLb0EES10_IbLb1EEEEDaSW_SX_EUlSW_E_NS1_11comp_targetILNS1_3genE10ELNS1_11target_archE1201ELNS1_3gpuE5ELNS1_3repE0EEENS1_30default_config_static_selectorELNS0_4arch9wavefront6targetE0EEEvT1_.numbered_sgpr, 0
	.set _ZN7rocprim17ROCPRIM_400000_NS6detail17trampoline_kernelINS0_14default_configENS1_27scan_by_key_config_selectorIitEEZZNS1_16scan_by_key_implILNS1_25lookback_scan_determinismE0ELb1ES3_N6thrust23THRUST_200600_302600_NS6detail15normal_iteratorINS9_10device_ptrIiEEEENSB_INSC_ItEEEESG_tNS9_4plusIvEENS9_8equal_toIvEEtEE10hipError_tPvRmT2_T3_T4_T5_mT6_T7_P12ihipStream_tbENKUlT_T0_E_clISt17integral_constantIbLb0EES10_IbLb1EEEEDaSW_SX_EUlSW_E_NS1_11comp_targetILNS1_3genE10ELNS1_11target_archE1201ELNS1_3gpuE5ELNS1_3repE0EEENS1_30default_config_static_selectorELNS0_4arch9wavefront6targetE0EEEvT1_.num_named_barrier, 0
	.set _ZN7rocprim17ROCPRIM_400000_NS6detail17trampoline_kernelINS0_14default_configENS1_27scan_by_key_config_selectorIitEEZZNS1_16scan_by_key_implILNS1_25lookback_scan_determinismE0ELb1ES3_N6thrust23THRUST_200600_302600_NS6detail15normal_iteratorINS9_10device_ptrIiEEEENSB_INSC_ItEEEESG_tNS9_4plusIvEENS9_8equal_toIvEEtEE10hipError_tPvRmT2_T3_T4_T5_mT6_T7_P12ihipStream_tbENKUlT_T0_E_clISt17integral_constantIbLb0EES10_IbLb1EEEEDaSW_SX_EUlSW_E_NS1_11comp_targetILNS1_3genE10ELNS1_11target_archE1201ELNS1_3gpuE5ELNS1_3repE0EEENS1_30default_config_static_selectorELNS0_4arch9wavefront6targetE0EEEvT1_.private_seg_size, 0
	.set _ZN7rocprim17ROCPRIM_400000_NS6detail17trampoline_kernelINS0_14default_configENS1_27scan_by_key_config_selectorIitEEZZNS1_16scan_by_key_implILNS1_25lookback_scan_determinismE0ELb1ES3_N6thrust23THRUST_200600_302600_NS6detail15normal_iteratorINS9_10device_ptrIiEEEENSB_INSC_ItEEEESG_tNS9_4plusIvEENS9_8equal_toIvEEtEE10hipError_tPvRmT2_T3_T4_T5_mT6_T7_P12ihipStream_tbENKUlT_T0_E_clISt17integral_constantIbLb0EES10_IbLb1EEEEDaSW_SX_EUlSW_E_NS1_11comp_targetILNS1_3genE10ELNS1_11target_archE1201ELNS1_3gpuE5ELNS1_3repE0EEENS1_30default_config_static_selectorELNS0_4arch9wavefront6targetE0EEEvT1_.uses_vcc, 0
	.set _ZN7rocprim17ROCPRIM_400000_NS6detail17trampoline_kernelINS0_14default_configENS1_27scan_by_key_config_selectorIitEEZZNS1_16scan_by_key_implILNS1_25lookback_scan_determinismE0ELb1ES3_N6thrust23THRUST_200600_302600_NS6detail15normal_iteratorINS9_10device_ptrIiEEEENSB_INSC_ItEEEESG_tNS9_4plusIvEENS9_8equal_toIvEEtEE10hipError_tPvRmT2_T3_T4_T5_mT6_T7_P12ihipStream_tbENKUlT_T0_E_clISt17integral_constantIbLb0EES10_IbLb1EEEEDaSW_SX_EUlSW_E_NS1_11comp_targetILNS1_3genE10ELNS1_11target_archE1201ELNS1_3gpuE5ELNS1_3repE0EEENS1_30default_config_static_selectorELNS0_4arch9wavefront6targetE0EEEvT1_.uses_flat_scratch, 0
	.set _ZN7rocprim17ROCPRIM_400000_NS6detail17trampoline_kernelINS0_14default_configENS1_27scan_by_key_config_selectorIitEEZZNS1_16scan_by_key_implILNS1_25lookback_scan_determinismE0ELb1ES3_N6thrust23THRUST_200600_302600_NS6detail15normal_iteratorINS9_10device_ptrIiEEEENSB_INSC_ItEEEESG_tNS9_4plusIvEENS9_8equal_toIvEEtEE10hipError_tPvRmT2_T3_T4_T5_mT6_T7_P12ihipStream_tbENKUlT_T0_E_clISt17integral_constantIbLb0EES10_IbLb1EEEEDaSW_SX_EUlSW_E_NS1_11comp_targetILNS1_3genE10ELNS1_11target_archE1201ELNS1_3gpuE5ELNS1_3repE0EEENS1_30default_config_static_selectorELNS0_4arch9wavefront6targetE0EEEvT1_.has_dyn_sized_stack, 0
	.set _ZN7rocprim17ROCPRIM_400000_NS6detail17trampoline_kernelINS0_14default_configENS1_27scan_by_key_config_selectorIitEEZZNS1_16scan_by_key_implILNS1_25lookback_scan_determinismE0ELb1ES3_N6thrust23THRUST_200600_302600_NS6detail15normal_iteratorINS9_10device_ptrIiEEEENSB_INSC_ItEEEESG_tNS9_4plusIvEENS9_8equal_toIvEEtEE10hipError_tPvRmT2_T3_T4_T5_mT6_T7_P12ihipStream_tbENKUlT_T0_E_clISt17integral_constantIbLb0EES10_IbLb1EEEEDaSW_SX_EUlSW_E_NS1_11comp_targetILNS1_3genE10ELNS1_11target_archE1201ELNS1_3gpuE5ELNS1_3repE0EEENS1_30default_config_static_selectorELNS0_4arch9wavefront6targetE0EEEvT1_.has_recursion, 0
	.set _ZN7rocprim17ROCPRIM_400000_NS6detail17trampoline_kernelINS0_14default_configENS1_27scan_by_key_config_selectorIitEEZZNS1_16scan_by_key_implILNS1_25lookback_scan_determinismE0ELb1ES3_N6thrust23THRUST_200600_302600_NS6detail15normal_iteratorINS9_10device_ptrIiEEEENSB_INSC_ItEEEESG_tNS9_4plusIvEENS9_8equal_toIvEEtEE10hipError_tPvRmT2_T3_T4_T5_mT6_T7_P12ihipStream_tbENKUlT_T0_E_clISt17integral_constantIbLb0EES10_IbLb1EEEEDaSW_SX_EUlSW_E_NS1_11comp_targetILNS1_3genE10ELNS1_11target_archE1201ELNS1_3gpuE5ELNS1_3repE0EEENS1_30default_config_static_selectorELNS0_4arch9wavefront6targetE0EEEvT1_.has_indirect_call, 0
	.section	.AMDGPU.csdata,"",@progbits
; Kernel info:
; codeLenInByte = 0
; TotalNumSgprs: 0
; NumVgprs: 0
; ScratchSize: 0
; MemoryBound: 0
; FloatMode: 240
; IeeeMode: 1
; LDSByteSize: 0 bytes/workgroup (compile time only)
; SGPRBlocks: 0
; VGPRBlocks: 0
; NumSGPRsForWavesPerEU: 1
; NumVGPRsForWavesPerEU: 1
; Occupancy: 16
; WaveLimiterHint : 0
; COMPUTE_PGM_RSRC2:SCRATCH_EN: 0
; COMPUTE_PGM_RSRC2:USER_SGPR: 6
; COMPUTE_PGM_RSRC2:TRAP_HANDLER: 0
; COMPUTE_PGM_RSRC2:TGID_X_EN: 1
; COMPUTE_PGM_RSRC2:TGID_Y_EN: 0
; COMPUTE_PGM_RSRC2:TGID_Z_EN: 0
; COMPUTE_PGM_RSRC2:TIDIG_COMP_CNT: 0
	.section	.text._ZN7rocprim17ROCPRIM_400000_NS6detail17trampoline_kernelINS0_14default_configENS1_27scan_by_key_config_selectorIitEEZZNS1_16scan_by_key_implILNS1_25lookback_scan_determinismE0ELb1ES3_N6thrust23THRUST_200600_302600_NS6detail15normal_iteratorINS9_10device_ptrIiEEEENSB_INSC_ItEEEESG_tNS9_4plusIvEENS9_8equal_toIvEEtEE10hipError_tPvRmT2_T3_T4_T5_mT6_T7_P12ihipStream_tbENKUlT_T0_E_clISt17integral_constantIbLb0EES10_IbLb1EEEEDaSW_SX_EUlSW_E_NS1_11comp_targetILNS1_3genE5ELNS1_11target_archE942ELNS1_3gpuE9ELNS1_3repE0EEENS1_30default_config_static_selectorELNS0_4arch9wavefront6targetE0EEEvT1_,"axG",@progbits,_ZN7rocprim17ROCPRIM_400000_NS6detail17trampoline_kernelINS0_14default_configENS1_27scan_by_key_config_selectorIitEEZZNS1_16scan_by_key_implILNS1_25lookback_scan_determinismE0ELb1ES3_N6thrust23THRUST_200600_302600_NS6detail15normal_iteratorINS9_10device_ptrIiEEEENSB_INSC_ItEEEESG_tNS9_4plusIvEENS9_8equal_toIvEEtEE10hipError_tPvRmT2_T3_T4_T5_mT6_T7_P12ihipStream_tbENKUlT_T0_E_clISt17integral_constantIbLb0EES10_IbLb1EEEEDaSW_SX_EUlSW_E_NS1_11comp_targetILNS1_3genE5ELNS1_11target_archE942ELNS1_3gpuE9ELNS1_3repE0EEENS1_30default_config_static_selectorELNS0_4arch9wavefront6targetE0EEEvT1_,comdat
	.protected	_ZN7rocprim17ROCPRIM_400000_NS6detail17trampoline_kernelINS0_14default_configENS1_27scan_by_key_config_selectorIitEEZZNS1_16scan_by_key_implILNS1_25lookback_scan_determinismE0ELb1ES3_N6thrust23THRUST_200600_302600_NS6detail15normal_iteratorINS9_10device_ptrIiEEEENSB_INSC_ItEEEESG_tNS9_4plusIvEENS9_8equal_toIvEEtEE10hipError_tPvRmT2_T3_T4_T5_mT6_T7_P12ihipStream_tbENKUlT_T0_E_clISt17integral_constantIbLb0EES10_IbLb1EEEEDaSW_SX_EUlSW_E_NS1_11comp_targetILNS1_3genE5ELNS1_11target_archE942ELNS1_3gpuE9ELNS1_3repE0EEENS1_30default_config_static_selectorELNS0_4arch9wavefront6targetE0EEEvT1_ ; -- Begin function _ZN7rocprim17ROCPRIM_400000_NS6detail17trampoline_kernelINS0_14default_configENS1_27scan_by_key_config_selectorIitEEZZNS1_16scan_by_key_implILNS1_25lookback_scan_determinismE0ELb1ES3_N6thrust23THRUST_200600_302600_NS6detail15normal_iteratorINS9_10device_ptrIiEEEENSB_INSC_ItEEEESG_tNS9_4plusIvEENS9_8equal_toIvEEtEE10hipError_tPvRmT2_T3_T4_T5_mT6_T7_P12ihipStream_tbENKUlT_T0_E_clISt17integral_constantIbLb0EES10_IbLb1EEEEDaSW_SX_EUlSW_E_NS1_11comp_targetILNS1_3genE5ELNS1_11target_archE942ELNS1_3gpuE9ELNS1_3repE0EEENS1_30default_config_static_selectorELNS0_4arch9wavefront6targetE0EEEvT1_
	.globl	_ZN7rocprim17ROCPRIM_400000_NS6detail17trampoline_kernelINS0_14default_configENS1_27scan_by_key_config_selectorIitEEZZNS1_16scan_by_key_implILNS1_25lookback_scan_determinismE0ELb1ES3_N6thrust23THRUST_200600_302600_NS6detail15normal_iteratorINS9_10device_ptrIiEEEENSB_INSC_ItEEEESG_tNS9_4plusIvEENS9_8equal_toIvEEtEE10hipError_tPvRmT2_T3_T4_T5_mT6_T7_P12ihipStream_tbENKUlT_T0_E_clISt17integral_constantIbLb0EES10_IbLb1EEEEDaSW_SX_EUlSW_E_NS1_11comp_targetILNS1_3genE5ELNS1_11target_archE942ELNS1_3gpuE9ELNS1_3repE0EEENS1_30default_config_static_selectorELNS0_4arch9wavefront6targetE0EEEvT1_
	.p2align	8
	.type	_ZN7rocprim17ROCPRIM_400000_NS6detail17trampoline_kernelINS0_14default_configENS1_27scan_by_key_config_selectorIitEEZZNS1_16scan_by_key_implILNS1_25lookback_scan_determinismE0ELb1ES3_N6thrust23THRUST_200600_302600_NS6detail15normal_iteratorINS9_10device_ptrIiEEEENSB_INSC_ItEEEESG_tNS9_4plusIvEENS9_8equal_toIvEEtEE10hipError_tPvRmT2_T3_T4_T5_mT6_T7_P12ihipStream_tbENKUlT_T0_E_clISt17integral_constantIbLb0EES10_IbLb1EEEEDaSW_SX_EUlSW_E_NS1_11comp_targetILNS1_3genE5ELNS1_11target_archE942ELNS1_3gpuE9ELNS1_3repE0EEENS1_30default_config_static_selectorELNS0_4arch9wavefront6targetE0EEEvT1_,@function
_ZN7rocprim17ROCPRIM_400000_NS6detail17trampoline_kernelINS0_14default_configENS1_27scan_by_key_config_selectorIitEEZZNS1_16scan_by_key_implILNS1_25lookback_scan_determinismE0ELb1ES3_N6thrust23THRUST_200600_302600_NS6detail15normal_iteratorINS9_10device_ptrIiEEEENSB_INSC_ItEEEESG_tNS9_4plusIvEENS9_8equal_toIvEEtEE10hipError_tPvRmT2_T3_T4_T5_mT6_T7_P12ihipStream_tbENKUlT_T0_E_clISt17integral_constantIbLb0EES10_IbLb1EEEEDaSW_SX_EUlSW_E_NS1_11comp_targetILNS1_3genE5ELNS1_11target_archE942ELNS1_3gpuE9ELNS1_3repE0EEENS1_30default_config_static_selectorELNS0_4arch9wavefront6targetE0EEEvT1_: ; @_ZN7rocprim17ROCPRIM_400000_NS6detail17trampoline_kernelINS0_14default_configENS1_27scan_by_key_config_selectorIitEEZZNS1_16scan_by_key_implILNS1_25lookback_scan_determinismE0ELb1ES3_N6thrust23THRUST_200600_302600_NS6detail15normal_iteratorINS9_10device_ptrIiEEEENSB_INSC_ItEEEESG_tNS9_4plusIvEENS9_8equal_toIvEEtEE10hipError_tPvRmT2_T3_T4_T5_mT6_T7_P12ihipStream_tbENKUlT_T0_E_clISt17integral_constantIbLb0EES10_IbLb1EEEEDaSW_SX_EUlSW_E_NS1_11comp_targetILNS1_3genE5ELNS1_11target_archE942ELNS1_3gpuE9ELNS1_3repE0EEENS1_30default_config_static_selectorELNS0_4arch9wavefront6targetE0EEEvT1_
; %bb.0:
	.section	.rodata,"a",@progbits
	.p2align	6, 0x0
	.amdhsa_kernel _ZN7rocprim17ROCPRIM_400000_NS6detail17trampoline_kernelINS0_14default_configENS1_27scan_by_key_config_selectorIitEEZZNS1_16scan_by_key_implILNS1_25lookback_scan_determinismE0ELb1ES3_N6thrust23THRUST_200600_302600_NS6detail15normal_iteratorINS9_10device_ptrIiEEEENSB_INSC_ItEEEESG_tNS9_4plusIvEENS9_8equal_toIvEEtEE10hipError_tPvRmT2_T3_T4_T5_mT6_T7_P12ihipStream_tbENKUlT_T0_E_clISt17integral_constantIbLb0EES10_IbLb1EEEEDaSW_SX_EUlSW_E_NS1_11comp_targetILNS1_3genE5ELNS1_11target_archE942ELNS1_3gpuE9ELNS1_3repE0EEENS1_30default_config_static_selectorELNS0_4arch9wavefront6targetE0EEEvT1_
		.amdhsa_group_segment_fixed_size 0
		.amdhsa_private_segment_fixed_size 0
		.amdhsa_kernarg_size 112
		.amdhsa_user_sgpr_count 6
		.amdhsa_user_sgpr_private_segment_buffer 1
		.amdhsa_user_sgpr_dispatch_ptr 0
		.amdhsa_user_sgpr_queue_ptr 0
		.amdhsa_user_sgpr_kernarg_segment_ptr 1
		.amdhsa_user_sgpr_dispatch_id 0
		.amdhsa_user_sgpr_flat_scratch_init 0
		.amdhsa_user_sgpr_private_segment_size 0
		.amdhsa_wavefront_size32 1
		.amdhsa_uses_dynamic_stack 0
		.amdhsa_system_sgpr_private_segment_wavefront_offset 0
		.amdhsa_system_sgpr_workgroup_id_x 1
		.amdhsa_system_sgpr_workgroup_id_y 0
		.amdhsa_system_sgpr_workgroup_id_z 0
		.amdhsa_system_sgpr_workgroup_info 0
		.amdhsa_system_vgpr_workitem_id 0
		.amdhsa_next_free_vgpr 1
		.amdhsa_next_free_sgpr 1
		.amdhsa_reserve_vcc 0
		.amdhsa_reserve_flat_scratch 0
		.amdhsa_float_round_mode_32 0
		.amdhsa_float_round_mode_16_64 0
		.amdhsa_float_denorm_mode_32 3
		.amdhsa_float_denorm_mode_16_64 3
		.amdhsa_dx10_clamp 1
		.amdhsa_ieee_mode 1
		.amdhsa_fp16_overflow 0
		.amdhsa_workgroup_processor_mode 1
		.amdhsa_memory_ordered 1
		.amdhsa_forward_progress 1
		.amdhsa_shared_vgpr_count 0
		.amdhsa_exception_fp_ieee_invalid_op 0
		.amdhsa_exception_fp_denorm_src 0
		.amdhsa_exception_fp_ieee_div_zero 0
		.amdhsa_exception_fp_ieee_overflow 0
		.amdhsa_exception_fp_ieee_underflow 0
		.amdhsa_exception_fp_ieee_inexact 0
		.amdhsa_exception_int_div_zero 0
	.end_amdhsa_kernel
	.section	.text._ZN7rocprim17ROCPRIM_400000_NS6detail17trampoline_kernelINS0_14default_configENS1_27scan_by_key_config_selectorIitEEZZNS1_16scan_by_key_implILNS1_25lookback_scan_determinismE0ELb1ES3_N6thrust23THRUST_200600_302600_NS6detail15normal_iteratorINS9_10device_ptrIiEEEENSB_INSC_ItEEEESG_tNS9_4plusIvEENS9_8equal_toIvEEtEE10hipError_tPvRmT2_T3_T4_T5_mT6_T7_P12ihipStream_tbENKUlT_T0_E_clISt17integral_constantIbLb0EES10_IbLb1EEEEDaSW_SX_EUlSW_E_NS1_11comp_targetILNS1_3genE5ELNS1_11target_archE942ELNS1_3gpuE9ELNS1_3repE0EEENS1_30default_config_static_selectorELNS0_4arch9wavefront6targetE0EEEvT1_,"axG",@progbits,_ZN7rocprim17ROCPRIM_400000_NS6detail17trampoline_kernelINS0_14default_configENS1_27scan_by_key_config_selectorIitEEZZNS1_16scan_by_key_implILNS1_25lookback_scan_determinismE0ELb1ES3_N6thrust23THRUST_200600_302600_NS6detail15normal_iteratorINS9_10device_ptrIiEEEENSB_INSC_ItEEEESG_tNS9_4plusIvEENS9_8equal_toIvEEtEE10hipError_tPvRmT2_T3_T4_T5_mT6_T7_P12ihipStream_tbENKUlT_T0_E_clISt17integral_constantIbLb0EES10_IbLb1EEEEDaSW_SX_EUlSW_E_NS1_11comp_targetILNS1_3genE5ELNS1_11target_archE942ELNS1_3gpuE9ELNS1_3repE0EEENS1_30default_config_static_selectorELNS0_4arch9wavefront6targetE0EEEvT1_,comdat
.Lfunc_end1564:
	.size	_ZN7rocprim17ROCPRIM_400000_NS6detail17trampoline_kernelINS0_14default_configENS1_27scan_by_key_config_selectorIitEEZZNS1_16scan_by_key_implILNS1_25lookback_scan_determinismE0ELb1ES3_N6thrust23THRUST_200600_302600_NS6detail15normal_iteratorINS9_10device_ptrIiEEEENSB_INSC_ItEEEESG_tNS9_4plusIvEENS9_8equal_toIvEEtEE10hipError_tPvRmT2_T3_T4_T5_mT6_T7_P12ihipStream_tbENKUlT_T0_E_clISt17integral_constantIbLb0EES10_IbLb1EEEEDaSW_SX_EUlSW_E_NS1_11comp_targetILNS1_3genE5ELNS1_11target_archE942ELNS1_3gpuE9ELNS1_3repE0EEENS1_30default_config_static_selectorELNS0_4arch9wavefront6targetE0EEEvT1_, .Lfunc_end1564-_ZN7rocprim17ROCPRIM_400000_NS6detail17trampoline_kernelINS0_14default_configENS1_27scan_by_key_config_selectorIitEEZZNS1_16scan_by_key_implILNS1_25lookback_scan_determinismE0ELb1ES3_N6thrust23THRUST_200600_302600_NS6detail15normal_iteratorINS9_10device_ptrIiEEEENSB_INSC_ItEEEESG_tNS9_4plusIvEENS9_8equal_toIvEEtEE10hipError_tPvRmT2_T3_T4_T5_mT6_T7_P12ihipStream_tbENKUlT_T0_E_clISt17integral_constantIbLb0EES10_IbLb1EEEEDaSW_SX_EUlSW_E_NS1_11comp_targetILNS1_3genE5ELNS1_11target_archE942ELNS1_3gpuE9ELNS1_3repE0EEENS1_30default_config_static_selectorELNS0_4arch9wavefront6targetE0EEEvT1_
                                        ; -- End function
	.set _ZN7rocprim17ROCPRIM_400000_NS6detail17trampoline_kernelINS0_14default_configENS1_27scan_by_key_config_selectorIitEEZZNS1_16scan_by_key_implILNS1_25lookback_scan_determinismE0ELb1ES3_N6thrust23THRUST_200600_302600_NS6detail15normal_iteratorINS9_10device_ptrIiEEEENSB_INSC_ItEEEESG_tNS9_4plusIvEENS9_8equal_toIvEEtEE10hipError_tPvRmT2_T3_T4_T5_mT6_T7_P12ihipStream_tbENKUlT_T0_E_clISt17integral_constantIbLb0EES10_IbLb1EEEEDaSW_SX_EUlSW_E_NS1_11comp_targetILNS1_3genE5ELNS1_11target_archE942ELNS1_3gpuE9ELNS1_3repE0EEENS1_30default_config_static_selectorELNS0_4arch9wavefront6targetE0EEEvT1_.num_vgpr, 0
	.set _ZN7rocprim17ROCPRIM_400000_NS6detail17trampoline_kernelINS0_14default_configENS1_27scan_by_key_config_selectorIitEEZZNS1_16scan_by_key_implILNS1_25lookback_scan_determinismE0ELb1ES3_N6thrust23THRUST_200600_302600_NS6detail15normal_iteratorINS9_10device_ptrIiEEEENSB_INSC_ItEEEESG_tNS9_4plusIvEENS9_8equal_toIvEEtEE10hipError_tPvRmT2_T3_T4_T5_mT6_T7_P12ihipStream_tbENKUlT_T0_E_clISt17integral_constantIbLb0EES10_IbLb1EEEEDaSW_SX_EUlSW_E_NS1_11comp_targetILNS1_3genE5ELNS1_11target_archE942ELNS1_3gpuE9ELNS1_3repE0EEENS1_30default_config_static_selectorELNS0_4arch9wavefront6targetE0EEEvT1_.num_agpr, 0
	.set _ZN7rocprim17ROCPRIM_400000_NS6detail17trampoline_kernelINS0_14default_configENS1_27scan_by_key_config_selectorIitEEZZNS1_16scan_by_key_implILNS1_25lookback_scan_determinismE0ELb1ES3_N6thrust23THRUST_200600_302600_NS6detail15normal_iteratorINS9_10device_ptrIiEEEENSB_INSC_ItEEEESG_tNS9_4plusIvEENS9_8equal_toIvEEtEE10hipError_tPvRmT2_T3_T4_T5_mT6_T7_P12ihipStream_tbENKUlT_T0_E_clISt17integral_constantIbLb0EES10_IbLb1EEEEDaSW_SX_EUlSW_E_NS1_11comp_targetILNS1_3genE5ELNS1_11target_archE942ELNS1_3gpuE9ELNS1_3repE0EEENS1_30default_config_static_selectorELNS0_4arch9wavefront6targetE0EEEvT1_.numbered_sgpr, 0
	.set _ZN7rocprim17ROCPRIM_400000_NS6detail17trampoline_kernelINS0_14default_configENS1_27scan_by_key_config_selectorIitEEZZNS1_16scan_by_key_implILNS1_25lookback_scan_determinismE0ELb1ES3_N6thrust23THRUST_200600_302600_NS6detail15normal_iteratorINS9_10device_ptrIiEEEENSB_INSC_ItEEEESG_tNS9_4plusIvEENS9_8equal_toIvEEtEE10hipError_tPvRmT2_T3_T4_T5_mT6_T7_P12ihipStream_tbENKUlT_T0_E_clISt17integral_constantIbLb0EES10_IbLb1EEEEDaSW_SX_EUlSW_E_NS1_11comp_targetILNS1_3genE5ELNS1_11target_archE942ELNS1_3gpuE9ELNS1_3repE0EEENS1_30default_config_static_selectorELNS0_4arch9wavefront6targetE0EEEvT1_.num_named_barrier, 0
	.set _ZN7rocprim17ROCPRIM_400000_NS6detail17trampoline_kernelINS0_14default_configENS1_27scan_by_key_config_selectorIitEEZZNS1_16scan_by_key_implILNS1_25lookback_scan_determinismE0ELb1ES3_N6thrust23THRUST_200600_302600_NS6detail15normal_iteratorINS9_10device_ptrIiEEEENSB_INSC_ItEEEESG_tNS9_4plusIvEENS9_8equal_toIvEEtEE10hipError_tPvRmT2_T3_T4_T5_mT6_T7_P12ihipStream_tbENKUlT_T0_E_clISt17integral_constantIbLb0EES10_IbLb1EEEEDaSW_SX_EUlSW_E_NS1_11comp_targetILNS1_3genE5ELNS1_11target_archE942ELNS1_3gpuE9ELNS1_3repE0EEENS1_30default_config_static_selectorELNS0_4arch9wavefront6targetE0EEEvT1_.private_seg_size, 0
	.set _ZN7rocprim17ROCPRIM_400000_NS6detail17trampoline_kernelINS0_14default_configENS1_27scan_by_key_config_selectorIitEEZZNS1_16scan_by_key_implILNS1_25lookback_scan_determinismE0ELb1ES3_N6thrust23THRUST_200600_302600_NS6detail15normal_iteratorINS9_10device_ptrIiEEEENSB_INSC_ItEEEESG_tNS9_4plusIvEENS9_8equal_toIvEEtEE10hipError_tPvRmT2_T3_T4_T5_mT6_T7_P12ihipStream_tbENKUlT_T0_E_clISt17integral_constantIbLb0EES10_IbLb1EEEEDaSW_SX_EUlSW_E_NS1_11comp_targetILNS1_3genE5ELNS1_11target_archE942ELNS1_3gpuE9ELNS1_3repE0EEENS1_30default_config_static_selectorELNS0_4arch9wavefront6targetE0EEEvT1_.uses_vcc, 0
	.set _ZN7rocprim17ROCPRIM_400000_NS6detail17trampoline_kernelINS0_14default_configENS1_27scan_by_key_config_selectorIitEEZZNS1_16scan_by_key_implILNS1_25lookback_scan_determinismE0ELb1ES3_N6thrust23THRUST_200600_302600_NS6detail15normal_iteratorINS9_10device_ptrIiEEEENSB_INSC_ItEEEESG_tNS9_4plusIvEENS9_8equal_toIvEEtEE10hipError_tPvRmT2_T3_T4_T5_mT6_T7_P12ihipStream_tbENKUlT_T0_E_clISt17integral_constantIbLb0EES10_IbLb1EEEEDaSW_SX_EUlSW_E_NS1_11comp_targetILNS1_3genE5ELNS1_11target_archE942ELNS1_3gpuE9ELNS1_3repE0EEENS1_30default_config_static_selectorELNS0_4arch9wavefront6targetE0EEEvT1_.uses_flat_scratch, 0
	.set _ZN7rocprim17ROCPRIM_400000_NS6detail17trampoline_kernelINS0_14default_configENS1_27scan_by_key_config_selectorIitEEZZNS1_16scan_by_key_implILNS1_25lookback_scan_determinismE0ELb1ES3_N6thrust23THRUST_200600_302600_NS6detail15normal_iteratorINS9_10device_ptrIiEEEENSB_INSC_ItEEEESG_tNS9_4plusIvEENS9_8equal_toIvEEtEE10hipError_tPvRmT2_T3_T4_T5_mT6_T7_P12ihipStream_tbENKUlT_T0_E_clISt17integral_constantIbLb0EES10_IbLb1EEEEDaSW_SX_EUlSW_E_NS1_11comp_targetILNS1_3genE5ELNS1_11target_archE942ELNS1_3gpuE9ELNS1_3repE0EEENS1_30default_config_static_selectorELNS0_4arch9wavefront6targetE0EEEvT1_.has_dyn_sized_stack, 0
	.set _ZN7rocprim17ROCPRIM_400000_NS6detail17trampoline_kernelINS0_14default_configENS1_27scan_by_key_config_selectorIitEEZZNS1_16scan_by_key_implILNS1_25lookback_scan_determinismE0ELb1ES3_N6thrust23THRUST_200600_302600_NS6detail15normal_iteratorINS9_10device_ptrIiEEEENSB_INSC_ItEEEESG_tNS9_4plusIvEENS9_8equal_toIvEEtEE10hipError_tPvRmT2_T3_T4_T5_mT6_T7_P12ihipStream_tbENKUlT_T0_E_clISt17integral_constantIbLb0EES10_IbLb1EEEEDaSW_SX_EUlSW_E_NS1_11comp_targetILNS1_3genE5ELNS1_11target_archE942ELNS1_3gpuE9ELNS1_3repE0EEENS1_30default_config_static_selectorELNS0_4arch9wavefront6targetE0EEEvT1_.has_recursion, 0
	.set _ZN7rocprim17ROCPRIM_400000_NS6detail17trampoline_kernelINS0_14default_configENS1_27scan_by_key_config_selectorIitEEZZNS1_16scan_by_key_implILNS1_25lookback_scan_determinismE0ELb1ES3_N6thrust23THRUST_200600_302600_NS6detail15normal_iteratorINS9_10device_ptrIiEEEENSB_INSC_ItEEEESG_tNS9_4plusIvEENS9_8equal_toIvEEtEE10hipError_tPvRmT2_T3_T4_T5_mT6_T7_P12ihipStream_tbENKUlT_T0_E_clISt17integral_constantIbLb0EES10_IbLb1EEEEDaSW_SX_EUlSW_E_NS1_11comp_targetILNS1_3genE5ELNS1_11target_archE942ELNS1_3gpuE9ELNS1_3repE0EEENS1_30default_config_static_selectorELNS0_4arch9wavefront6targetE0EEEvT1_.has_indirect_call, 0
	.section	.AMDGPU.csdata,"",@progbits
; Kernel info:
; codeLenInByte = 0
; TotalNumSgprs: 0
; NumVgprs: 0
; ScratchSize: 0
; MemoryBound: 0
; FloatMode: 240
; IeeeMode: 1
; LDSByteSize: 0 bytes/workgroup (compile time only)
; SGPRBlocks: 0
; VGPRBlocks: 0
; NumSGPRsForWavesPerEU: 1
; NumVGPRsForWavesPerEU: 1
; Occupancy: 16
; WaveLimiterHint : 0
; COMPUTE_PGM_RSRC2:SCRATCH_EN: 0
; COMPUTE_PGM_RSRC2:USER_SGPR: 6
; COMPUTE_PGM_RSRC2:TRAP_HANDLER: 0
; COMPUTE_PGM_RSRC2:TGID_X_EN: 1
; COMPUTE_PGM_RSRC2:TGID_Y_EN: 0
; COMPUTE_PGM_RSRC2:TGID_Z_EN: 0
; COMPUTE_PGM_RSRC2:TIDIG_COMP_CNT: 0
	.section	.text._ZN7rocprim17ROCPRIM_400000_NS6detail17trampoline_kernelINS0_14default_configENS1_27scan_by_key_config_selectorIitEEZZNS1_16scan_by_key_implILNS1_25lookback_scan_determinismE0ELb1ES3_N6thrust23THRUST_200600_302600_NS6detail15normal_iteratorINS9_10device_ptrIiEEEENSB_INSC_ItEEEESG_tNS9_4plusIvEENS9_8equal_toIvEEtEE10hipError_tPvRmT2_T3_T4_T5_mT6_T7_P12ihipStream_tbENKUlT_T0_E_clISt17integral_constantIbLb0EES10_IbLb1EEEEDaSW_SX_EUlSW_E_NS1_11comp_targetILNS1_3genE4ELNS1_11target_archE910ELNS1_3gpuE8ELNS1_3repE0EEENS1_30default_config_static_selectorELNS0_4arch9wavefront6targetE0EEEvT1_,"axG",@progbits,_ZN7rocprim17ROCPRIM_400000_NS6detail17trampoline_kernelINS0_14default_configENS1_27scan_by_key_config_selectorIitEEZZNS1_16scan_by_key_implILNS1_25lookback_scan_determinismE0ELb1ES3_N6thrust23THRUST_200600_302600_NS6detail15normal_iteratorINS9_10device_ptrIiEEEENSB_INSC_ItEEEESG_tNS9_4plusIvEENS9_8equal_toIvEEtEE10hipError_tPvRmT2_T3_T4_T5_mT6_T7_P12ihipStream_tbENKUlT_T0_E_clISt17integral_constantIbLb0EES10_IbLb1EEEEDaSW_SX_EUlSW_E_NS1_11comp_targetILNS1_3genE4ELNS1_11target_archE910ELNS1_3gpuE8ELNS1_3repE0EEENS1_30default_config_static_selectorELNS0_4arch9wavefront6targetE0EEEvT1_,comdat
	.protected	_ZN7rocprim17ROCPRIM_400000_NS6detail17trampoline_kernelINS0_14default_configENS1_27scan_by_key_config_selectorIitEEZZNS1_16scan_by_key_implILNS1_25lookback_scan_determinismE0ELb1ES3_N6thrust23THRUST_200600_302600_NS6detail15normal_iteratorINS9_10device_ptrIiEEEENSB_INSC_ItEEEESG_tNS9_4plusIvEENS9_8equal_toIvEEtEE10hipError_tPvRmT2_T3_T4_T5_mT6_T7_P12ihipStream_tbENKUlT_T0_E_clISt17integral_constantIbLb0EES10_IbLb1EEEEDaSW_SX_EUlSW_E_NS1_11comp_targetILNS1_3genE4ELNS1_11target_archE910ELNS1_3gpuE8ELNS1_3repE0EEENS1_30default_config_static_selectorELNS0_4arch9wavefront6targetE0EEEvT1_ ; -- Begin function _ZN7rocprim17ROCPRIM_400000_NS6detail17trampoline_kernelINS0_14default_configENS1_27scan_by_key_config_selectorIitEEZZNS1_16scan_by_key_implILNS1_25lookback_scan_determinismE0ELb1ES3_N6thrust23THRUST_200600_302600_NS6detail15normal_iteratorINS9_10device_ptrIiEEEENSB_INSC_ItEEEESG_tNS9_4plusIvEENS9_8equal_toIvEEtEE10hipError_tPvRmT2_T3_T4_T5_mT6_T7_P12ihipStream_tbENKUlT_T0_E_clISt17integral_constantIbLb0EES10_IbLb1EEEEDaSW_SX_EUlSW_E_NS1_11comp_targetILNS1_3genE4ELNS1_11target_archE910ELNS1_3gpuE8ELNS1_3repE0EEENS1_30default_config_static_selectorELNS0_4arch9wavefront6targetE0EEEvT1_
	.globl	_ZN7rocprim17ROCPRIM_400000_NS6detail17trampoline_kernelINS0_14default_configENS1_27scan_by_key_config_selectorIitEEZZNS1_16scan_by_key_implILNS1_25lookback_scan_determinismE0ELb1ES3_N6thrust23THRUST_200600_302600_NS6detail15normal_iteratorINS9_10device_ptrIiEEEENSB_INSC_ItEEEESG_tNS9_4plusIvEENS9_8equal_toIvEEtEE10hipError_tPvRmT2_T3_T4_T5_mT6_T7_P12ihipStream_tbENKUlT_T0_E_clISt17integral_constantIbLb0EES10_IbLb1EEEEDaSW_SX_EUlSW_E_NS1_11comp_targetILNS1_3genE4ELNS1_11target_archE910ELNS1_3gpuE8ELNS1_3repE0EEENS1_30default_config_static_selectorELNS0_4arch9wavefront6targetE0EEEvT1_
	.p2align	8
	.type	_ZN7rocprim17ROCPRIM_400000_NS6detail17trampoline_kernelINS0_14default_configENS1_27scan_by_key_config_selectorIitEEZZNS1_16scan_by_key_implILNS1_25lookback_scan_determinismE0ELb1ES3_N6thrust23THRUST_200600_302600_NS6detail15normal_iteratorINS9_10device_ptrIiEEEENSB_INSC_ItEEEESG_tNS9_4plusIvEENS9_8equal_toIvEEtEE10hipError_tPvRmT2_T3_T4_T5_mT6_T7_P12ihipStream_tbENKUlT_T0_E_clISt17integral_constantIbLb0EES10_IbLb1EEEEDaSW_SX_EUlSW_E_NS1_11comp_targetILNS1_3genE4ELNS1_11target_archE910ELNS1_3gpuE8ELNS1_3repE0EEENS1_30default_config_static_selectorELNS0_4arch9wavefront6targetE0EEEvT1_,@function
_ZN7rocprim17ROCPRIM_400000_NS6detail17trampoline_kernelINS0_14default_configENS1_27scan_by_key_config_selectorIitEEZZNS1_16scan_by_key_implILNS1_25lookback_scan_determinismE0ELb1ES3_N6thrust23THRUST_200600_302600_NS6detail15normal_iteratorINS9_10device_ptrIiEEEENSB_INSC_ItEEEESG_tNS9_4plusIvEENS9_8equal_toIvEEtEE10hipError_tPvRmT2_T3_T4_T5_mT6_T7_P12ihipStream_tbENKUlT_T0_E_clISt17integral_constantIbLb0EES10_IbLb1EEEEDaSW_SX_EUlSW_E_NS1_11comp_targetILNS1_3genE4ELNS1_11target_archE910ELNS1_3gpuE8ELNS1_3repE0EEENS1_30default_config_static_selectorELNS0_4arch9wavefront6targetE0EEEvT1_: ; @_ZN7rocprim17ROCPRIM_400000_NS6detail17trampoline_kernelINS0_14default_configENS1_27scan_by_key_config_selectorIitEEZZNS1_16scan_by_key_implILNS1_25lookback_scan_determinismE0ELb1ES3_N6thrust23THRUST_200600_302600_NS6detail15normal_iteratorINS9_10device_ptrIiEEEENSB_INSC_ItEEEESG_tNS9_4plusIvEENS9_8equal_toIvEEtEE10hipError_tPvRmT2_T3_T4_T5_mT6_T7_P12ihipStream_tbENKUlT_T0_E_clISt17integral_constantIbLb0EES10_IbLb1EEEEDaSW_SX_EUlSW_E_NS1_11comp_targetILNS1_3genE4ELNS1_11target_archE910ELNS1_3gpuE8ELNS1_3repE0EEENS1_30default_config_static_selectorELNS0_4arch9wavefront6targetE0EEEvT1_
; %bb.0:
	.section	.rodata,"a",@progbits
	.p2align	6, 0x0
	.amdhsa_kernel _ZN7rocprim17ROCPRIM_400000_NS6detail17trampoline_kernelINS0_14default_configENS1_27scan_by_key_config_selectorIitEEZZNS1_16scan_by_key_implILNS1_25lookback_scan_determinismE0ELb1ES3_N6thrust23THRUST_200600_302600_NS6detail15normal_iteratorINS9_10device_ptrIiEEEENSB_INSC_ItEEEESG_tNS9_4plusIvEENS9_8equal_toIvEEtEE10hipError_tPvRmT2_T3_T4_T5_mT6_T7_P12ihipStream_tbENKUlT_T0_E_clISt17integral_constantIbLb0EES10_IbLb1EEEEDaSW_SX_EUlSW_E_NS1_11comp_targetILNS1_3genE4ELNS1_11target_archE910ELNS1_3gpuE8ELNS1_3repE0EEENS1_30default_config_static_selectorELNS0_4arch9wavefront6targetE0EEEvT1_
		.amdhsa_group_segment_fixed_size 0
		.amdhsa_private_segment_fixed_size 0
		.amdhsa_kernarg_size 112
		.amdhsa_user_sgpr_count 6
		.amdhsa_user_sgpr_private_segment_buffer 1
		.amdhsa_user_sgpr_dispatch_ptr 0
		.amdhsa_user_sgpr_queue_ptr 0
		.amdhsa_user_sgpr_kernarg_segment_ptr 1
		.amdhsa_user_sgpr_dispatch_id 0
		.amdhsa_user_sgpr_flat_scratch_init 0
		.amdhsa_user_sgpr_private_segment_size 0
		.amdhsa_wavefront_size32 1
		.amdhsa_uses_dynamic_stack 0
		.amdhsa_system_sgpr_private_segment_wavefront_offset 0
		.amdhsa_system_sgpr_workgroup_id_x 1
		.amdhsa_system_sgpr_workgroup_id_y 0
		.amdhsa_system_sgpr_workgroup_id_z 0
		.amdhsa_system_sgpr_workgroup_info 0
		.amdhsa_system_vgpr_workitem_id 0
		.amdhsa_next_free_vgpr 1
		.amdhsa_next_free_sgpr 1
		.amdhsa_reserve_vcc 0
		.amdhsa_reserve_flat_scratch 0
		.amdhsa_float_round_mode_32 0
		.amdhsa_float_round_mode_16_64 0
		.amdhsa_float_denorm_mode_32 3
		.amdhsa_float_denorm_mode_16_64 3
		.amdhsa_dx10_clamp 1
		.amdhsa_ieee_mode 1
		.amdhsa_fp16_overflow 0
		.amdhsa_workgroup_processor_mode 1
		.amdhsa_memory_ordered 1
		.amdhsa_forward_progress 1
		.amdhsa_shared_vgpr_count 0
		.amdhsa_exception_fp_ieee_invalid_op 0
		.amdhsa_exception_fp_denorm_src 0
		.amdhsa_exception_fp_ieee_div_zero 0
		.amdhsa_exception_fp_ieee_overflow 0
		.amdhsa_exception_fp_ieee_underflow 0
		.amdhsa_exception_fp_ieee_inexact 0
		.amdhsa_exception_int_div_zero 0
	.end_amdhsa_kernel
	.section	.text._ZN7rocprim17ROCPRIM_400000_NS6detail17trampoline_kernelINS0_14default_configENS1_27scan_by_key_config_selectorIitEEZZNS1_16scan_by_key_implILNS1_25lookback_scan_determinismE0ELb1ES3_N6thrust23THRUST_200600_302600_NS6detail15normal_iteratorINS9_10device_ptrIiEEEENSB_INSC_ItEEEESG_tNS9_4plusIvEENS9_8equal_toIvEEtEE10hipError_tPvRmT2_T3_T4_T5_mT6_T7_P12ihipStream_tbENKUlT_T0_E_clISt17integral_constantIbLb0EES10_IbLb1EEEEDaSW_SX_EUlSW_E_NS1_11comp_targetILNS1_3genE4ELNS1_11target_archE910ELNS1_3gpuE8ELNS1_3repE0EEENS1_30default_config_static_selectorELNS0_4arch9wavefront6targetE0EEEvT1_,"axG",@progbits,_ZN7rocprim17ROCPRIM_400000_NS6detail17trampoline_kernelINS0_14default_configENS1_27scan_by_key_config_selectorIitEEZZNS1_16scan_by_key_implILNS1_25lookback_scan_determinismE0ELb1ES3_N6thrust23THRUST_200600_302600_NS6detail15normal_iteratorINS9_10device_ptrIiEEEENSB_INSC_ItEEEESG_tNS9_4plusIvEENS9_8equal_toIvEEtEE10hipError_tPvRmT2_T3_T4_T5_mT6_T7_P12ihipStream_tbENKUlT_T0_E_clISt17integral_constantIbLb0EES10_IbLb1EEEEDaSW_SX_EUlSW_E_NS1_11comp_targetILNS1_3genE4ELNS1_11target_archE910ELNS1_3gpuE8ELNS1_3repE0EEENS1_30default_config_static_selectorELNS0_4arch9wavefront6targetE0EEEvT1_,comdat
.Lfunc_end1565:
	.size	_ZN7rocprim17ROCPRIM_400000_NS6detail17trampoline_kernelINS0_14default_configENS1_27scan_by_key_config_selectorIitEEZZNS1_16scan_by_key_implILNS1_25lookback_scan_determinismE0ELb1ES3_N6thrust23THRUST_200600_302600_NS6detail15normal_iteratorINS9_10device_ptrIiEEEENSB_INSC_ItEEEESG_tNS9_4plusIvEENS9_8equal_toIvEEtEE10hipError_tPvRmT2_T3_T4_T5_mT6_T7_P12ihipStream_tbENKUlT_T0_E_clISt17integral_constantIbLb0EES10_IbLb1EEEEDaSW_SX_EUlSW_E_NS1_11comp_targetILNS1_3genE4ELNS1_11target_archE910ELNS1_3gpuE8ELNS1_3repE0EEENS1_30default_config_static_selectorELNS0_4arch9wavefront6targetE0EEEvT1_, .Lfunc_end1565-_ZN7rocprim17ROCPRIM_400000_NS6detail17trampoline_kernelINS0_14default_configENS1_27scan_by_key_config_selectorIitEEZZNS1_16scan_by_key_implILNS1_25lookback_scan_determinismE0ELb1ES3_N6thrust23THRUST_200600_302600_NS6detail15normal_iteratorINS9_10device_ptrIiEEEENSB_INSC_ItEEEESG_tNS9_4plusIvEENS9_8equal_toIvEEtEE10hipError_tPvRmT2_T3_T4_T5_mT6_T7_P12ihipStream_tbENKUlT_T0_E_clISt17integral_constantIbLb0EES10_IbLb1EEEEDaSW_SX_EUlSW_E_NS1_11comp_targetILNS1_3genE4ELNS1_11target_archE910ELNS1_3gpuE8ELNS1_3repE0EEENS1_30default_config_static_selectorELNS0_4arch9wavefront6targetE0EEEvT1_
                                        ; -- End function
	.set _ZN7rocprim17ROCPRIM_400000_NS6detail17trampoline_kernelINS0_14default_configENS1_27scan_by_key_config_selectorIitEEZZNS1_16scan_by_key_implILNS1_25lookback_scan_determinismE0ELb1ES3_N6thrust23THRUST_200600_302600_NS6detail15normal_iteratorINS9_10device_ptrIiEEEENSB_INSC_ItEEEESG_tNS9_4plusIvEENS9_8equal_toIvEEtEE10hipError_tPvRmT2_T3_T4_T5_mT6_T7_P12ihipStream_tbENKUlT_T0_E_clISt17integral_constantIbLb0EES10_IbLb1EEEEDaSW_SX_EUlSW_E_NS1_11comp_targetILNS1_3genE4ELNS1_11target_archE910ELNS1_3gpuE8ELNS1_3repE0EEENS1_30default_config_static_selectorELNS0_4arch9wavefront6targetE0EEEvT1_.num_vgpr, 0
	.set _ZN7rocprim17ROCPRIM_400000_NS6detail17trampoline_kernelINS0_14default_configENS1_27scan_by_key_config_selectorIitEEZZNS1_16scan_by_key_implILNS1_25lookback_scan_determinismE0ELb1ES3_N6thrust23THRUST_200600_302600_NS6detail15normal_iteratorINS9_10device_ptrIiEEEENSB_INSC_ItEEEESG_tNS9_4plusIvEENS9_8equal_toIvEEtEE10hipError_tPvRmT2_T3_T4_T5_mT6_T7_P12ihipStream_tbENKUlT_T0_E_clISt17integral_constantIbLb0EES10_IbLb1EEEEDaSW_SX_EUlSW_E_NS1_11comp_targetILNS1_3genE4ELNS1_11target_archE910ELNS1_3gpuE8ELNS1_3repE0EEENS1_30default_config_static_selectorELNS0_4arch9wavefront6targetE0EEEvT1_.num_agpr, 0
	.set _ZN7rocprim17ROCPRIM_400000_NS6detail17trampoline_kernelINS0_14default_configENS1_27scan_by_key_config_selectorIitEEZZNS1_16scan_by_key_implILNS1_25lookback_scan_determinismE0ELb1ES3_N6thrust23THRUST_200600_302600_NS6detail15normal_iteratorINS9_10device_ptrIiEEEENSB_INSC_ItEEEESG_tNS9_4plusIvEENS9_8equal_toIvEEtEE10hipError_tPvRmT2_T3_T4_T5_mT6_T7_P12ihipStream_tbENKUlT_T0_E_clISt17integral_constantIbLb0EES10_IbLb1EEEEDaSW_SX_EUlSW_E_NS1_11comp_targetILNS1_3genE4ELNS1_11target_archE910ELNS1_3gpuE8ELNS1_3repE0EEENS1_30default_config_static_selectorELNS0_4arch9wavefront6targetE0EEEvT1_.numbered_sgpr, 0
	.set _ZN7rocprim17ROCPRIM_400000_NS6detail17trampoline_kernelINS0_14default_configENS1_27scan_by_key_config_selectorIitEEZZNS1_16scan_by_key_implILNS1_25lookback_scan_determinismE0ELb1ES3_N6thrust23THRUST_200600_302600_NS6detail15normal_iteratorINS9_10device_ptrIiEEEENSB_INSC_ItEEEESG_tNS9_4plusIvEENS9_8equal_toIvEEtEE10hipError_tPvRmT2_T3_T4_T5_mT6_T7_P12ihipStream_tbENKUlT_T0_E_clISt17integral_constantIbLb0EES10_IbLb1EEEEDaSW_SX_EUlSW_E_NS1_11comp_targetILNS1_3genE4ELNS1_11target_archE910ELNS1_3gpuE8ELNS1_3repE0EEENS1_30default_config_static_selectorELNS0_4arch9wavefront6targetE0EEEvT1_.num_named_barrier, 0
	.set _ZN7rocprim17ROCPRIM_400000_NS6detail17trampoline_kernelINS0_14default_configENS1_27scan_by_key_config_selectorIitEEZZNS1_16scan_by_key_implILNS1_25lookback_scan_determinismE0ELb1ES3_N6thrust23THRUST_200600_302600_NS6detail15normal_iteratorINS9_10device_ptrIiEEEENSB_INSC_ItEEEESG_tNS9_4plusIvEENS9_8equal_toIvEEtEE10hipError_tPvRmT2_T3_T4_T5_mT6_T7_P12ihipStream_tbENKUlT_T0_E_clISt17integral_constantIbLb0EES10_IbLb1EEEEDaSW_SX_EUlSW_E_NS1_11comp_targetILNS1_3genE4ELNS1_11target_archE910ELNS1_3gpuE8ELNS1_3repE0EEENS1_30default_config_static_selectorELNS0_4arch9wavefront6targetE0EEEvT1_.private_seg_size, 0
	.set _ZN7rocprim17ROCPRIM_400000_NS6detail17trampoline_kernelINS0_14default_configENS1_27scan_by_key_config_selectorIitEEZZNS1_16scan_by_key_implILNS1_25lookback_scan_determinismE0ELb1ES3_N6thrust23THRUST_200600_302600_NS6detail15normal_iteratorINS9_10device_ptrIiEEEENSB_INSC_ItEEEESG_tNS9_4plusIvEENS9_8equal_toIvEEtEE10hipError_tPvRmT2_T3_T4_T5_mT6_T7_P12ihipStream_tbENKUlT_T0_E_clISt17integral_constantIbLb0EES10_IbLb1EEEEDaSW_SX_EUlSW_E_NS1_11comp_targetILNS1_3genE4ELNS1_11target_archE910ELNS1_3gpuE8ELNS1_3repE0EEENS1_30default_config_static_selectorELNS0_4arch9wavefront6targetE0EEEvT1_.uses_vcc, 0
	.set _ZN7rocprim17ROCPRIM_400000_NS6detail17trampoline_kernelINS0_14default_configENS1_27scan_by_key_config_selectorIitEEZZNS1_16scan_by_key_implILNS1_25lookback_scan_determinismE0ELb1ES3_N6thrust23THRUST_200600_302600_NS6detail15normal_iteratorINS9_10device_ptrIiEEEENSB_INSC_ItEEEESG_tNS9_4plusIvEENS9_8equal_toIvEEtEE10hipError_tPvRmT2_T3_T4_T5_mT6_T7_P12ihipStream_tbENKUlT_T0_E_clISt17integral_constantIbLb0EES10_IbLb1EEEEDaSW_SX_EUlSW_E_NS1_11comp_targetILNS1_3genE4ELNS1_11target_archE910ELNS1_3gpuE8ELNS1_3repE0EEENS1_30default_config_static_selectorELNS0_4arch9wavefront6targetE0EEEvT1_.uses_flat_scratch, 0
	.set _ZN7rocprim17ROCPRIM_400000_NS6detail17trampoline_kernelINS0_14default_configENS1_27scan_by_key_config_selectorIitEEZZNS1_16scan_by_key_implILNS1_25lookback_scan_determinismE0ELb1ES3_N6thrust23THRUST_200600_302600_NS6detail15normal_iteratorINS9_10device_ptrIiEEEENSB_INSC_ItEEEESG_tNS9_4plusIvEENS9_8equal_toIvEEtEE10hipError_tPvRmT2_T3_T4_T5_mT6_T7_P12ihipStream_tbENKUlT_T0_E_clISt17integral_constantIbLb0EES10_IbLb1EEEEDaSW_SX_EUlSW_E_NS1_11comp_targetILNS1_3genE4ELNS1_11target_archE910ELNS1_3gpuE8ELNS1_3repE0EEENS1_30default_config_static_selectorELNS0_4arch9wavefront6targetE0EEEvT1_.has_dyn_sized_stack, 0
	.set _ZN7rocprim17ROCPRIM_400000_NS6detail17trampoline_kernelINS0_14default_configENS1_27scan_by_key_config_selectorIitEEZZNS1_16scan_by_key_implILNS1_25lookback_scan_determinismE0ELb1ES3_N6thrust23THRUST_200600_302600_NS6detail15normal_iteratorINS9_10device_ptrIiEEEENSB_INSC_ItEEEESG_tNS9_4plusIvEENS9_8equal_toIvEEtEE10hipError_tPvRmT2_T3_T4_T5_mT6_T7_P12ihipStream_tbENKUlT_T0_E_clISt17integral_constantIbLb0EES10_IbLb1EEEEDaSW_SX_EUlSW_E_NS1_11comp_targetILNS1_3genE4ELNS1_11target_archE910ELNS1_3gpuE8ELNS1_3repE0EEENS1_30default_config_static_selectorELNS0_4arch9wavefront6targetE0EEEvT1_.has_recursion, 0
	.set _ZN7rocprim17ROCPRIM_400000_NS6detail17trampoline_kernelINS0_14default_configENS1_27scan_by_key_config_selectorIitEEZZNS1_16scan_by_key_implILNS1_25lookback_scan_determinismE0ELb1ES3_N6thrust23THRUST_200600_302600_NS6detail15normal_iteratorINS9_10device_ptrIiEEEENSB_INSC_ItEEEESG_tNS9_4plusIvEENS9_8equal_toIvEEtEE10hipError_tPvRmT2_T3_T4_T5_mT6_T7_P12ihipStream_tbENKUlT_T0_E_clISt17integral_constantIbLb0EES10_IbLb1EEEEDaSW_SX_EUlSW_E_NS1_11comp_targetILNS1_3genE4ELNS1_11target_archE910ELNS1_3gpuE8ELNS1_3repE0EEENS1_30default_config_static_selectorELNS0_4arch9wavefront6targetE0EEEvT1_.has_indirect_call, 0
	.section	.AMDGPU.csdata,"",@progbits
; Kernel info:
; codeLenInByte = 0
; TotalNumSgprs: 0
; NumVgprs: 0
; ScratchSize: 0
; MemoryBound: 0
; FloatMode: 240
; IeeeMode: 1
; LDSByteSize: 0 bytes/workgroup (compile time only)
; SGPRBlocks: 0
; VGPRBlocks: 0
; NumSGPRsForWavesPerEU: 1
; NumVGPRsForWavesPerEU: 1
; Occupancy: 16
; WaveLimiterHint : 0
; COMPUTE_PGM_RSRC2:SCRATCH_EN: 0
; COMPUTE_PGM_RSRC2:USER_SGPR: 6
; COMPUTE_PGM_RSRC2:TRAP_HANDLER: 0
; COMPUTE_PGM_RSRC2:TGID_X_EN: 1
; COMPUTE_PGM_RSRC2:TGID_Y_EN: 0
; COMPUTE_PGM_RSRC2:TGID_Z_EN: 0
; COMPUTE_PGM_RSRC2:TIDIG_COMP_CNT: 0
	.section	.text._ZN7rocprim17ROCPRIM_400000_NS6detail17trampoline_kernelINS0_14default_configENS1_27scan_by_key_config_selectorIitEEZZNS1_16scan_by_key_implILNS1_25lookback_scan_determinismE0ELb1ES3_N6thrust23THRUST_200600_302600_NS6detail15normal_iteratorINS9_10device_ptrIiEEEENSB_INSC_ItEEEESG_tNS9_4plusIvEENS9_8equal_toIvEEtEE10hipError_tPvRmT2_T3_T4_T5_mT6_T7_P12ihipStream_tbENKUlT_T0_E_clISt17integral_constantIbLb0EES10_IbLb1EEEEDaSW_SX_EUlSW_E_NS1_11comp_targetILNS1_3genE3ELNS1_11target_archE908ELNS1_3gpuE7ELNS1_3repE0EEENS1_30default_config_static_selectorELNS0_4arch9wavefront6targetE0EEEvT1_,"axG",@progbits,_ZN7rocprim17ROCPRIM_400000_NS6detail17trampoline_kernelINS0_14default_configENS1_27scan_by_key_config_selectorIitEEZZNS1_16scan_by_key_implILNS1_25lookback_scan_determinismE0ELb1ES3_N6thrust23THRUST_200600_302600_NS6detail15normal_iteratorINS9_10device_ptrIiEEEENSB_INSC_ItEEEESG_tNS9_4plusIvEENS9_8equal_toIvEEtEE10hipError_tPvRmT2_T3_T4_T5_mT6_T7_P12ihipStream_tbENKUlT_T0_E_clISt17integral_constantIbLb0EES10_IbLb1EEEEDaSW_SX_EUlSW_E_NS1_11comp_targetILNS1_3genE3ELNS1_11target_archE908ELNS1_3gpuE7ELNS1_3repE0EEENS1_30default_config_static_selectorELNS0_4arch9wavefront6targetE0EEEvT1_,comdat
	.protected	_ZN7rocprim17ROCPRIM_400000_NS6detail17trampoline_kernelINS0_14default_configENS1_27scan_by_key_config_selectorIitEEZZNS1_16scan_by_key_implILNS1_25lookback_scan_determinismE0ELb1ES3_N6thrust23THRUST_200600_302600_NS6detail15normal_iteratorINS9_10device_ptrIiEEEENSB_INSC_ItEEEESG_tNS9_4plusIvEENS9_8equal_toIvEEtEE10hipError_tPvRmT2_T3_T4_T5_mT6_T7_P12ihipStream_tbENKUlT_T0_E_clISt17integral_constantIbLb0EES10_IbLb1EEEEDaSW_SX_EUlSW_E_NS1_11comp_targetILNS1_3genE3ELNS1_11target_archE908ELNS1_3gpuE7ELNS1_3repE0EEENS1_30default_config_static_selectorELNS0_4arch9wavefront6targetE0EEEvT1_ ; -- Begin function _ZN7rocprim17ROCPRIM_400000_NS6detail17trampoline_kernelINS0_14default_configENS1_27scan_by_key_config_selectorIitEEZZNS1_16scan_by_key_implILNS1_25lookback_scan_determinismE0ELb1ES3_N6thrust23THRUST_200600_302600_NS6detail15normal_iteratorINS9_10device_ptrIiEEEENSB_INSC_ItEEEESG_tNS9_4plusIvEENS9_8equal_toIvEEtEE10hipError_tPvRmT2_T3_T4_T5_mT6_T7_P12ihipStream_tbENKUlT_T0_E_clISt17integral_constantIbLb0EES10_IbLb1EEEEDaSW_SX_EUlSW_E_NS1_11comp_targetILNS1_3genE3ELNS1_11target_archE908ELNS1_3gpuE7ELNS1_3repE0EEENS1_30default_config_static_selectorELNS0_4arch9wavefront6targetE0EEEvT1_
	.globl	_ZN7rocprim17ROCPRIM_400000_NS6detail17trampoline_kernelINS0_14default_configENS1_27scan_by_key_config_selectorIitEEZZNS1_16scan_by_key_implILNS1_25lookback_scan_determinismE0ELb1ES3_N6thrust23THRUST_200600_302600_NS6detail15normal_iteratorINS9_10device_ptrIiEEEENSB_INSC_ItEEEESG_tNS9_4plusIvEENS9_8equal_toIvEEtEE10hipError_tPvRmT2_T3_T4_T5_mT6_T7_P12ihipStream_tbENKUlT_T0_E_clISt17integral_constantIbLb0EES10_IbLb1EEEEDaSW_SX_EUlSW_E_NS1_11comp_targetILNS1_3genE3ELNS1_11target_archE908ELNS1_3gpuE7ELNS1_3repE0EEENS1_30default_config_static_selectorELNS0_4arch9wavefront6targetE0EEEvT1_
	.p2align	8
	.type	_ZN7rocprim17ROCPRIM_400000_NS6detail17trampoline_kernelINS0_14default_configENS1_27scan_by_key_config_selectorIitEEZZNS1_16scan_by_key_implILNS1_25lookback_scan_determinismE0ELb1ES3_N6thrust23THRUST_200600_302600_NS6detail15normal_iteratorINS9_10device_ptrIiEEEENSB_INSC_ItEEEESG_tNS9_4plusIvEENS9_8equal_toIvEEtEE10hipError_tPvRmT2_T3_T4_T5_mT6_T7_P12ihipStream_tbENKUlT_T0_E_clISt17integral_constantIbLb0EES10_IbLb1EEEEDaSW_SX_EUlSW_E_NS1_11comp_targetILNS1_3genE3ELNS1_11target_archE908ELNS1_3gpuE7ELNS1_3repE0EEENS1_30default_config_static_selectorELNS0_4arch9wavefront6targetE0EEEvT1_,@function
_ZN7rocprim17ROCPRIM_400000_NS6detail17trampoline_kernelINS0_14default_configENS1_27scan_by_key_config_selectorIitEEZZNS1_16scan_by_key_implILNS1_25lookback_scan_determinismE0ELb1ES3_N6thrust23THRUST_200600_302600_NS6detail15normal_iteratorINS9_10device_ptrIiEEEENSB_INSC_ItEEEESG_tNS9_4plusIvEENS9_8equal_toIvEEtEE10hipError_tPvRmT2_T3_T4_T5_mT6_T7_P12ihipStream_tbENKUlT_T0_E_clISt17integral_constantIbLb0EES10_IbLb1EEEEDaSW_SX_EUlSW_E_NS1_11comp_targetILNS1_3genE3ELNS1_11target_archE908ELNS1_3gpuE7ELNS1_3repE0EEENS1_30default_config_static_selectorELNS0_4arch9wavefront6targetE0EEEvT1_: ; @_ZN7rocprim17ROCPRIM_400000_NS6detail17trampoline_kernelINS0_14default_configENS1_27scan_by_key_config_selectorIitEEZZNS1_16scan_by_key_implILNS1_25lookback_scan_determinismE0ELb1ES3_N6thrust23THRUST_200600_302600_NS6detail15normal_iteratorINS9_10device_ptrIiEEEENSB_INSC_ItEEEESG_tNS9_4plusIvEENS9_8equal_toIvEEtEE10hipError_tPvRmT2_T3_T4_T5_mT6_T7_P12ihipStream_tbENKUlT_T0_E_clISt17integral_constantIbLb0EES10_IbLb1EEEEDaSW_SX_EUlSW_E_NS1_11comp_targetILNS1_3genE3ELNS1_11target_archE908ELNS1_3gpuE7ELNS1_3repE0EEENS1_30default_config_static_selectorELNS0_4arch9wavefront6targetE0EEEvT1_
; %bb.0:
	.section	.rodata,"a",@progbits
	.p2align	6, 0x0
	.amdhsa_kernel _ZN7rocprim17ROCPRIM_400000_NS6detail17trampoline_kernelINS0_14default_configENS1_27scan_by_key_config_selectorIitEEZZNS1_16scan_by_key_implILNS1_25lookback_scan_determinismE0ELb1ES3_N6thrust23THRUST_200600_302600_NS6detail15normal_iteratorINS9_10device_ptrIiEEEENSB_INSC_ItEEEESG_tNS9_4plusIvEENS9_8equal_toIvEEtEE10hipError_tPvRmT2_T3_T4_T5_mT6_T7_P12ihipStream_tbENKUlT_T0_E_clISt17integral_constantIbLb0EES10_IbLb1EEEEDaSW_SX_EUlSW_E_NS1_11comp_targetILNS1_3genE3ELNS1_11target_archE908ELNS1_3gpuE7ELNS1_3repE0EEENS1_30default_config_static_selectorELNS0_4arch9wavefront6targetE0EEEvT1_
		.amdhsa_group_segment_fixed_size 0
		.amdhsa_private_segment_fixed_size 0
		.amdhsa_kernarg_size 112
		.amdhsa_user_sgpr_count 6
		.amdhsa_user_sgpr_private_segment_buffer 1
		.amdhsa_user_sgpr_dispatch_ptr 0
		.amdhsa_user_sgpr_queue_ptr 0
		.amdhsa_user_sgpr_kernarg_segment_ptr 1
		.amdhsa_user_sgpr_dispatch_id 0
		.amdhsa_user_sgpr_flat_scratch_init 0
		.amdhsa_user_sgpr_private_segment_size 0
		.amdhsa_wavefront_size32 1
		.amdhsa_uses_dynamic_stack 0
		.amdhsa_system_sgpr_private_segment_wavefront_offset 0
		.amdhsa_system_sgpr_workgroup_id_x 1
		.amdhsa_system_sgpr_workgroup_id_y 0
		.amdhsa_system_sgpr_workgroup_id_z 0
		.amdhsa_system_sgpr_workgroup_info 0
		.amdhsa_system_vgpr_workitem_id 0
		.amdhsa_next_free_vgpr 1
		.amdhsa_next_free_sgpr 1
		.amdhsa_reserve_vcc 0
		.amdhsa_reserve_flat_scratch 0
		.amdhsa_float_round_mode_32 0
		.amdhsa_float_round_mode_16_64 0
		.amdhsa_float_denorm_mode_32 3
		.amdhsa_float_denorm_mode_16_64 3
		.amdhsa_dx10_clamp 1
		.amdhsa_ieee_mode 1
		.amdhsa_fp16_overflow 0
		.amdhsa_workgroup_processor_mode 1
		.amdhsa_memory_ordered 1
		.amdhsa_forward_progress 1
		.amdhsa_shared_vgpr_count 0
		.amdhsa_exception_fp_ieee_invalid_op 0
		.amdhsa_exception_fp_denorm_src 0
		.amdhsa_exception_fp_ieee_div_zero 0
		.amdhsa_exception_fp_ieee_overflow 0
		.amdhsa_exception_fp_ieee_underflow 0
		.amdhsa_exception_fp_ieee_inexact 0
		.amdhsa_exception_int_div_zero 0
	.end_amdhsa_kernel
	.section	.text._ZN7rocprim17ROCPRIM_400000_NS6detail17trampoline_kernelINS0_14default_configENS1_27scan_by_key_config_selectorIitEEZZNS1_16scan_by_key_implILNS1_25lookback_scan_determinismE0ELb1ES3_N6thrust23THRUST_200600_302600_NS6detail15normal_iteratorINS9_10device_ptrIiEEEENSB_INSC_ItEEEESG_tNS9_4plusIvEENS9_8equal_toIvEEtEE10hipError_tPvRmT2_T3_T4_T5_mT6_T7_P12ihipStream_tbENKUlT_T0_E_clISt17integral_constantIbLb0EES10_IbLb1EEEEDaSW_SX_EUlSW_E_NS1_11comp_targetILNS1_3genE3ELNS1_11target_archE908ELNS1_3gpuE7ELNS1_3repE0EEENS1_30default_config_static_selectorELNS0_4arch9wavefront6targetE0EEEvT1_,"axG",@progbits,_ZN7rocprim17ROCPRIM_400000_NS6detail17trampoline_kernelINS0_14default_configENS1_27scan_by_key_config_selectorIitEEZZNS1_16scan_by_key_implILNS1_25lookback_scan_determinismE0ELb1ES3_N6thrust23THRUST_200600_302600_NS6detail15normal_iteratorINS9_10device_ptrIiEEEENSB_INSC_ItEEEESG_tNS9_4plusIvEENS9_8equal_toIvEEtEE10hipError_tPvRmT2_T3_T4_T5_mT6_T7_P12ihipStream_tbENKUlT_T0_E_clISt17integral_constantIbLb0EES10_IbLb1EEEEDaSW_SX_EUlSW_E_NS1_11comp_targetILNS1_3genE3ELNS1_11target_archE908ELNS1_3gpuE7ELNS1_3repE0EEENS1_30default_config_static_selectorELNS0_4arch9wavefront6targetE0EEEvT1_,comdat
.Lfunc_end1566:
	.size	_ZN7rocprim17ROCPRIM_400000_NS6detail17trampoline_kernelINS0_14default_configENS1_27scan_by_key_config_selectorIitEEZZNS1_16scan_by_key_implILNS1_25lookback_scan_determinismE0ELb1ES3_N6thrust23THRUST_200600_302600_NS6detail15normal_iteratorINS9_10device_ptrIiEEEENSB_INSC_ItEEEESG_tNS9_4plusIvEENS9_8equal_toIvEEtEE10hipError_tPvRmT2_T3_T4_T5_mT6_T7_P12ihipStream_tbENKUlT_T0_E_clISt17integral_constantIbLb0EES10_IbLb1EEEEDaSW_SX_EUlSW_E_NS1_11comp_targetILNS1_3genE3ELNS1_11target_archE908ELNS1_3gpuE7ELNS1_3repE0EEENS1_30default_config_static_selectorELNS0_4arch9wavefront6targetE0EEEvT1_, .Lfunc_end1566-_ZN7rocprim17ROCPRIM_400000_NS6detail17trampoline_kernelINS0_14default_configENS1_27scan_by_key_config_selectorIitEEZZNS1_16scan_by_key_implILNS1_25lookback_scan_determinismE0ELb1ES3_N6thrust23THRUST_200600_302600_NS6detail15normal_iteratorINS9_10device_ptrIiEEEENSB_INSC_ItEEEESG_tNS9_4plusIvEENS9_8equal_toIvEEtEE10hipError_tPvRmT2_T3_T4_T5_mT6_T7_P12ihipStream_tbENKUlT_T0_E_clISt17integral_constantIbLb0EES10_IbLb1EEEEDaSW_SX_EUlSW_E_NS1_11comp_targetILNS1_3genE3ELNS1_11target_archE908ELNS1_3gpuE7ELNS1_3repE0EEENS1_30default_config_static_selectorELNS0_4arch9wavefront6targetE0EEEvT1_
                                        ; -- End function
	.set _ZN7rocprim17ROCPRIM_400000_NS6detail17trampoline_kernelINS0_14default_configENS1_27scan_by_key_config_selectorIitEEZZNS1_16scan_by_key_implILNS1_25lookback_scan_determinismE0ELb1ES3_N6thrust23THRUST_200600_302600_NS6detail15normal_iteratorINS9_10device_ptrIiEEEENSB_INSC_ItEEEESG_tNS9_4plusIvEENS9_8equal_toIvEEtEE10hipError_tPvRmT2_T3_T4_T5_mT6_T7_P12ihipStream_tbENKUlT_T0_E_clISt17integral_constantIbLb0EES10_IbLb1EEEEDaSW_SX_EUlSW_E_NS1_11comp_targetILNS1_3genE3ELNS1_11target_archE908ELNS1_3gpuE7ELNS1_3repE0EEENS1_30default_config_static_selectorELNS0_4arch9wavefront6targetE0EEEvT1_.num_vgpr, 0
	.set _ZN7rocprim17ROCPRIM_400000_NS6detail17trampoline_kernelINS0_14default_configENS1_27scan_by_key_config_selectorIitEEZZNS1_16scan_by_key_implILNS1_25lookback_scan_determinismE0ELb1ES3_N6thrust23THRUST_200600_302600_NS6detail15normal_iteratorINS9_10device_ptrIiEEEENSB_INSC_ItEEEESG_tNS9_4plusIvEENS9_8equal_toIvEEtEE10hipError_tPvRmT2_T3_T4_T5_mT6_T7_P12ihipStream_tbENKUlT_T0_E_clISt17integral_constantIbLb0EES10_IbLb1EEEEDaSW_SX_EUlSW_E_NS1_11comp_targetILNS1_3genE3ELNS1_11target_archE908ELNS1_3gpuE7ELNS1_3repE0EEENS1_30default_config_static_selectorELNS0_4arch9wavefront6targetE0EEEvT1_.num_agpr, 0
	.set _ZN7rocprim17ROCPRIM_400000_NS6detail17trampoline_kernelINS0_14default_configENS1_27scan_by_key_config_selectorIitEEZZNS1_16scan_by_key_implILNS1_25lookback_scan_determinismE0ELb1ES3_N6thrust23THRUST_200600_302600_NS6detail15normal_iteratorINS9_10device_ptrIiEEEENSB_INSC_ItEEEESG_tNS9_4plusIvEENS9_8equal_toIvEEtEE10hipError_tPvRmT2_T3_T4_T5_mT6_T7_P12ihipStream_tbENKUlT_T0_E_clISt17integral_constantIbLb0EES10_IbLb1EEEEDaSW_SX_EUlSW_E_NS1_11comp_targetILNS1_3genE3ELNS1_11target_archE908ELNS1_3gpuE7ELNS1_3repE0EEENS1_30default_config_static_selectorELNS0_4arch9wavefront6targetE0EEEvT1_.numbered_sgpr, 0
	.set _ZN7rocprim17ROCPRIM_400000_NS6detail17trampoline_kernelINS0_14default_configENS1_27scan_by_key_config_selectorIitEEZZNS1_16scan_by_key_implILNS1_25lookback_scan_determinismE0ELb1ES3_N6thrust23THRUST_200600_302600_NS6detail15normal_iteratorINS9_10device_ptrIiEEEENSB_INSC_ItEEEESG_tNS9_4plusIvEENS9_8equal_toIvEEtEE10hipError_tPvRmT2_T3_T4_T5_mT6_T7_P12ihipStream_tbENKUlT_T0_E_clISt17integral_constantIbLb0EES10_IbLb1EEEEDaSW_SX_EUlSW_E_NS1_11comp_targetILNS1_3genE3ELNS1_11target_archE908ELNS1_3gpuE7ELNS1_3repE0EEENS1_30default_config_static_selectorELNS0_4arch9wavefront6targetE0EEEvT1_.num_named_barrier, 0
	.set _ZN7rocprim17ROCPRIM_400000_NS6detail17trampoline_kernelINS0_14default_configENS1_27scan_by_key_config_selectorIitEEZZNS1_16scan_by_key_implILNS1_25lookback_scan_determinismE0ELb1ES3_N6thrust23THRUST_200600_302600_NS6detail15normal_iteratorINS9_10device_ptrIiEEEENSB_INSC_ItEEEESG_tNS9_4plusIvEENS9_8equal_toIvEEtEE10hipError_tPvRmT2_T3_T4_T5_mT6_T7_P12ihipStream_tbENKUlT_T0_E_clISt17integral_constantIbLb0EES10_IbLb1EEEEDaSW_SX_EUlSW_E_NS1_11comp_targetILNS1_3genE3ELNS1_11target_archE908ELNS1_3gpuE7ELNS1_3repE0EEENS1_30default_config_static_selectorELNS0_4arch9wavefront6targetE0EEEvT1_.private_seg_size, 0
	.set _ZN7rocprim17ROCPRIM_400000_NS6detail17trampoline_kernelINS0_14default_configENS1_27scan_by_key_config_selectorIitEEZZNS1_16scan_by_key_implILNS1_25lookback_scan_determinismE0ELb1ES3_N6thrust23THRUST_200600_302600_NS6detail15normal_iteratorINS9_10device_ptrIiEEEENSB_INSC_ItEEEESG_tNS9_4plusIvEENS9_8equal_toIvEEtEE10hipError_tPvRmT2_T3_T4_T5_mT6_T7_P12ihipStream_tbENKUlT_T0_E_clISt17integral_constantIbLb0EES10_IbLb1EEEEDaSW_SX_EUlSW_E_NS1_11comp_targetILNS1_3genE3ELNS1_11target_archE908ELNS1_3gpuE7ELNS1_3repE0EEENS1_30default_config_static_selectorELNS0_4arch9wavefront6targetE0EEEvT1_.uses_vcc, 0
	.set _ZN7rocprim17ROCPRIM_400000_NS6detail17trampoline_kernelINS0_14default_configENS1_27scan_by_key_config_selectorIitEEZZNS1_16scan_by_key_implILNS1_25lookback_scan_determinismE0ELb1ES3_N6thrust23THRUST_200600_302600_NS6detail15normal_iteratorINS9_10device_ptrIiEEEENSB_INSC_ItEEEESG_tNS9_4plusIvEENS9_8equal_toIvEEtEE10hipError_tPvRmT2_T3_T4_T5_mT6_T7_P12ihipStream_tbENKUlT_T0_E_clISt17integral_constantIbLb0EES10_IbLb1EEEEDaSW_SX_EUlSW_E_NS1_11comp_targetILNS1_3genE3ELNS1_11target_archE908ELNS1_3gpuE7ELNS1_3repE0EEENS1_30default_config_static_selectorELNS0_4arch9wavefront6targetE0EEEvT1_.uses_flat_scratch, 0
	.set _ZN7rocprim17ROCPRIM_400000_NS6detail17trampoline_kernelINS0_14default_configENS1_27scan_by_key_config_selectorIitEEZZNS1_16scan_by_key_implILNS1_25lookback_scan_determinismE0ELb1ES3_N6thrust23THRUST_200600_302600_NS6detail15normal_iteratorINS9_10device_ptrIiEEEENSB_INSC_ItEEEESG_tNS9_4plusIvEENS9_8equal_toIvEEtEE10hipError_tPvRmT2_T3_T4_T5_mT6_T7_P12ihipStream_tbENKUlT_T0_E_clISt17integral_constantIbLb0EES10_IbLb1EEEEDaSW_SX_EUlSW_E_NS1_11comp_targetILNS1_3genE3ELNS1_11target_archE908ELNS1_3gpuE7ELNS1_3repE0EEENS1_30default_config_static_selectorELNS0_4arch9wavefront6targetE0EEEvT1_.has_dyn_sized_stack, 0
	.set _ZN7rocprim17ROCPRIM_400000_NS6detail17trampoline_kernelINS0_14default_configENS1_27scan_by_key_config_selectorIitEEZZNS1_16scan_by_key_implILNS1_25lookback_scan_determinismE0ELb1ES3_N6thrust23THRUST_200600_302600_NS6detail15normal_iteratorINS9_10device_ptrIiEEEENSB_INSC_ItEEEESG_tNS9_4plusIvEENS9_8equal_toIvEEtEE10hipError_tPvRmT2_T3_T4_T5_mT6_T7_P12ihipStream_tbENKUlT_T0_E_clISt17integral_constantIbLb0EES10_IbLb1EEEEDaSW_SX_EUlSW_E_NS1_11comp_targetILNS1_3genE3ELNS1_11target_archE908ELNS1_3gpuE7ELNS1_3repE0EEENS1_30default_config_static_selectorELNS0_4arch9wavefront6targetE0EEEvT1_.has_recursion, 0
	.set _ZN7rocprim17ROCPRIM_400000_NS6detail17trampoline_kernelINS0_14default_configENS1_27scan_by_key_config_selectorIitEEZZNS1_16scan_by_key_implILNS1_25lookback_scan_determinismE0ELb1ES3_N6thrust23THRUST_200600_302600_NS6detail15normal_iteratorINS9_10device_ptrIiEEEENSB_INSC_ItEEEESG_tNS9_4plusIvEENS9_8equal_toIvEEtEE10hipError_tPvRmT2_T3_T4_T5_mT6_T7_P12ihipStream_tbENKUlT_T0_E_clISt17integral_constantIbLb0EES10_IbLb1EEEEDaSW_SX_EUlSW_E_NS1_11comp_targetILNS1_3genE3ELNS1_11target_archE908ELNS1_3gpuE7ELNS1_3repE0EEENS1_30default_config_static_selectorELNS0_4arch9wavefront6targetE0EEEvT1_.has_indirect_call, 0
	.section	.AMDGPU.csdata,"",@progbits
; Kernel info:
; codeLenInByte = 0
; TotalNumSgprs: 0
; NumVgprs: 0
; ScratchSize: 0
; MemoryBound: 0
; FloatMode: 240
; IeeeMode: 1
; LDSByteSize: 0 bytes/workgroup (compile time only)
; SGPRBlocks: 0
; VGPRBlocks: 0
; NumSGPRsForWavesPerEU: 1
; NumVGPRsForWavesPerEU: 1
; Occupancy: 16
; WaveLimiterHint : 0
; COMPUTE_PGM_RSRC2:SCRATCH_EN: 0
; COMPUTE_PGM_RSRC2:USER_SGPR: 6
; COMPUTE_PGM_RSRC2:TRAP_HANDLER: 0
; COMPUTE_PGM_RSRC2:TGID_X_EN: 1
; COMPUTE_PGM_RSRC2:TGID_Y_EN: 0
; COMPUTE_PGM_RSRC2:TGID_Z_EN: 0
; COMPUTE_PGM_RSRC2:TIDIG_COMP_CNT: 0
	.section	.text._ZN7rocprim17ROCPRIM_400000_NS6detail17trampoline_kernelINS0_14default_configENS1_27scan_by_key_config_selectorIitEEZZNS1_16scan_by_key_implILNS1_25lookback_scan_determinismE0ELb1ES3_N6thrust23THRUST_200600_302600_NS6detail15normal_iteratorINS9_10device_ptrIiEEEENSB_INSC_ItEEEESG_tNS9_4plusIvEENS9_8equal_toIvEEtEE10hipError_tPvRmT2_T3_T4_T5_mT6_T7_P12ihipStream_tbENKUlT_T0_E_clISt17integral_constantIbLb0EES10_IbLb1EEEEDaSW_SX_EUlSW_E_NS1_11comp_targetILNS1_3genE2ELNS1_11target_archE906ELNS1_3gpuE6ELNS1_3repE0EEENS1_30default_config_static_selectorELNS0_4arch9wavefront6targetE0EEEvT1_,"axG",@progbits,_ZN7rocprim17ROCPRIM_400000_NS6detail17trampoline_kernelINS0_14default_configENS1_27scan_by_key_config_selectorIitEEZZNS1_16scan_by_key_implILNS1_25lookback_scan_determinismE0ELb1ES3_N6thrust23THRUST_200600_302600_NS6detail15normal_iteratorINS9_10device_ptrIiEEEENSB_INSC_ItEEEESG_tNS9_4plusIvEENS9_8equal_toIvEEtEE10hipError_tPvRmT2_T3_T4_T5_mT6_T7_P12ihipStream_tbENKUlT_T0_E_clISt17integral_constantIbLb0EES10_IbLb1EEEEDaSW_SX_EUlSW_E_NS1_11comp_targetILNS1_3genE2ELNS1_11target_archE906ELNS1_3gpuE6ELNS1_3repE0EEENS1_30default_config_static_selectorELNS0_4arch9wavefront6targetE0EEEvT1_,comdat
	.protected	_ZN7rocprim17ROCPRIM_400000_NS6detail17trampoline_kernelINS0_14default_configENS1_27scan_by_key_config_selectorIitEEZZNS1_16scan_by_key_implILNS1_25lookback_scan_determinismE0ELb1ES3_N6thrust23THRUST_200600_302600_NS6detail15normal_iteratorINS9_10device_ptrIiEEEENSB_INSC_ItEEEESG_tNS9_4plusIvEENS9_8equal_toIvEEtEE10hipError_tPvRmT2_T3_T4_T5_mT6_T7_P12ihipStream_tbENKUlT_T0_E_clISt17integral_constantIbLb0EES10_IbLb1EEEEDaSW_SX_EUlSW_E_NS1_11comp_targetILNS1_3genE2ELNS1_11target_archE906ELNS1_3gpuE6ELNS1_3repE0EEENS1_30default_config_static_selectorELNS0_4arch9wavefront6targetE0EEEvT1_ ; -- Begin function _ZN7rocprim17ROCPRIM_400000_NS6detail17trampoline_kernelINS0_14default_configENS1_27scan_by_key_config_selectorIitEEZZNS1_16scan_by_key_implILNS1_25lookback_scan_determinismE0ELb1ES3_N6thrust23THRUST_200600_302600_NS6detail15normal_iteratorINS9_10device_ptrIiEEEENSB_INSC_ItEEEESG_tNS9_4plusIvEENS9_8equal_toIvEEtEE10hipError_tPvRmT2_T3_T4_T5_mT6_T7_P12ihipStream_tbENKUlT_T0_E_clISt17integral_constantIbLb0EES10_IbLb1EEEEDaSW_SX_EUlSW_E_NS1_11comp_targetILNS1_3genE2ELNS1_11target_archE906ELNS1_3gpuE6ELNS1_3repE0EEENS1_30default_config_static_selectorELNS0_4arch9wavefront6targetE0EEEvT1_
	.globl	_ZN7rocprim17ROCPRIM_400000_NS6detail17trampoline_kernelINS0_14default_configENS1_27scan_by_key_config_selectorIitEEZZNS1_16scan_by_key_implILNS1_25lookback_scan_determinismE0ELb1ES3_N6thrust23THRUST_200600_302600_NS6detail15normal_iteratorINS9_10device_ptrIiEEEENSB_INSC_ItEEEESG_tNS9_4plusIvEENS9_8equal_toIvEEtEE10hipError_tPvRmT2_T3_T4_T5_mT6_T7_P12ihipStream_tbENKUlT_T0_E_clISt17integral_constantIbLb0EES10_IbLb1EEEEDaSW_SX_EUlSW_E_NS1_11comp_targetILNS1_3genE2ELNS1_11target_archE906ELNS1_3gpuE6ELNS1_3repE0EEENS1_30default_config_static_selectorELNS0_4arch9wavefront6targetE0EEEvT1_
	.p2align	8
	.type	_ZN7rocprim17ROCPRIM_400000_NS6detail17trampoline_kernelINS0_14default_configENS1_27scan_by_key_config_selectorIitEEZZNS1_16scan_by_key_implILNS1_25lookback_scan_determinismE0ELb1ES3_N6thrust23THRUST_200600_302600_NS6detail15normal_iteratorINS9_10device_ptrIiEEEENSB_INSC_ItEEEESG_tNS9_4plusIvEENS9_8equal_toIvEEtEE10hipError_tPvRmT2_T3_T4_T5_mT6_T7_P12ihipStream_tbENKUlT_T0_E_clISt17integral_constantIbLb0EES10_IbLb1EEEEDaSW_SX_EUlSW_E_NS1_11comp_targetILNS1_3genE2ELNS1_11target_archE906ELNS1_3gpuE6ELNS1_3repE0EEENS1_30default_config_static_selectorELNS0_4arch9wavefront6targetE0EEEvT1_,@function
_ZN7rocprim17ROCPRIM_400000_NS6detail17trampoline_kernelINS0_14default_configENS1_27scan_by_key_config_selectorIitEEZZNS1_16scan_by_key_implILNS1_25lookback_scan_determinismE0ELb1ES3_N6thrust23THRUST_200600_302600_NS6detail15normal_iteratorINS9_10device_ptrIiEEEENSB_INSC_ItEEEESG_tNS9_4plusIvEENS9_8equal_toIvEEtEE10hipError_tPvRmT2_T3_T4_T5_mT6_T7_P12ihipStream_tbENKUlT_T0_E_clISt17integral_constantIbLb0EES10_IbLb1EEEEDaSW_SX_EUlSW_E_NS1_11comp_targetILNS1_3genE2ELNS1_11target_archE906ELNS1_3gpuE6ELNS1_3repE0EEENS1_30default_config_static_selectorELNS0_4arch9wavefront6targetE0EEEvT1_: ; @_ZN7rocprim17ROCPRIM_400000_NS6detail17trampoline_kernelINS0_14default_configENS1_27scan_by_key_config_selectorIitEEZZNS1_16scan_by_key_implILNS1_25lookback_scan_determinismE0ELb1ES3_N6thrust23THRUST_200600_302600_NS6detail15normal_iteratorINS9_10device_ptrIiEEEENSB_INSC_ItEEEESG_tNS9_4plusIvEENS9_8equal_toIvEEtEE10hipError_tPvRmT2_T3_T4_T5_mT6_T7_P12ihipStream_tbENKUlT_T0_E_clISt17integral_constantIbLb0EES10_IbLb1EEEEDaSW_SX_EUlSW_E_NS1_11comp_targetILNS1_3genE2ELNS1_11target_archE906ELNS1_3gpuE6ELNS1_3repE0EEENS1_30default_config_static_selectorELNS0_4arch9wavefront6targetE0EEEvT1_
; %bb.0:
	.section	.rodata,"a",@progbits
	.p2align	6, 0x0
	.amdhsa_kernel _ZN7rocprim17ROCPRIM_400000_NS6detail17trampoline_kernelINS0_14default_configENS1_27scan_by_key_config_selectorIitEEZZNS1_16scan_by_key_implILNS1_25lookback_scan_determinismE0ELb1ES3_N6thrust23THRUST_200600_302600_NS6detail15normal_iteratorINS9_10device_ptrIiEEEENSB_INSC_ItEEEESG_tNS9_4plusIvEENS9_8equal_toIvEEtEE10hipError_tPvRmT2_T3_T4_T5_mT6_T7_P12ihipStream_tbENKUlT_T0_E_clISt17integral_constantIbLb0EES10_IbLb1EEEEDaSW_SX_EUlSW_E_NS1_11comp_targetILNS1_3genE2ELNS1_11target_archE906ELNS1_3gpuE6ELNS1_3repE0EEENS1_30default_config_static_selectorELNS0_4arch9wavefront6targetE0EEEvT1_
		.amdhsa_group_segment_fixed_size 0
		.amdhsa_private_segment_fixed_size 0
		.amdhsa_kernarg_size 112
		.amdhsa_user_sgpr_count 6
		.amdhsa_user_sgpr_private_segment_buffer 1
		.amdhsa_user_sgpr_dispatch_ptr 0
		.amdhsa_user_sgpr_queue_ptr 0
		.amdhsa_user_sgpr_kernarg_segment_ptr 1
		.amdhsa_user_sgpr_dispatch_id 0
		.amdhsa_user_sgpr_flat_scratch_init 0
		.amdhsa_user_sgpr_private_segment_size 0
		.amdhsa_wavefront_size32 1
		.amdhsa_uses_dynamic_stack 0
		.amdhsa_system_sgpr_private_segment_wavefront_offset 0
		.amdhsa_system_sgpr_workgroup_id_x 1
		.amdhsa_system_sgpr_workgroup_id_y 0
		.amdhsa_system_sgpr_workgroup_id_z 0
		.amdhsa_system_sgpr_workgroup_info 0
		.amdhsa_system_vgpr_workitem_id 0
		.amdhsa_next_free_vgpr 1
		.amdhsa_next_free_sgpr 1
		.amdhsa_reserve_vcc 0
		.amdhsa_reserve_flat_scratch 0
		.amdhsa_float_round_mode_32 0
		.amdhsa_float_round_mode_16_64 0
		.amdhsa_float_denorm_mode_32 3
		.amdhsa_float_denorm_mode_16_64 3
		.amdhsa_dx10_clamp 1
		.amdhsa_ieee_mode 1
		.amdhsa_fp16_overflow 0
		.amdhsa_workgroup_processor_mode 1
		.amdhsa_memory_ordered 1
		.amdhsa_forward_progress 1
		.amdhsa_shared_vgpr_count 0
		.amdhsa_exception_fp_ieee_invalid_op 0
		.amdhsa_exception_fp_denorm_src 0
		.amdhsa_exception_fp_ieee_div_zero 0
		.amdhsa_exception_fp_ieee_overflow 0
		.amdhsa_exception_fp_ieee_underflow 0
		.amdhsa_exception_fp_ieee_inexact 0
		.amdhsa_exception_int_div_zero 0
	.end_amdhsa_kernel
	.section	.text._ZN7rocprim17ROCPRIM_400000_NS6detail17trampoline_kernelINS0_14default_configENS1_27scan_by_key_config_selectorIitEEZZNS1_16scan_by_key_implILNS1_25lookback_scan_determinismE0ELb1ES3_N6thrust23THRUST_200600_302600_NS6detail15normal_iteratorINS9_10device_ptrIiEEEENSB_INSC_ItEEEESG_tNS9_4plusIvEENS9_8equal_toIvEEtEE10hipError_tPvRmT2_T3_T4_T5_mT6_T7_P12ihipStream_tbENKUlT_T0_E_clISt17integral_constantIbLb0EES10_IbLb1EEEEDaSW_SX_EUlSW_E_NS1_11comp_targetILNS1_3genE2ELNS1_11target_archE906ELNS1_3gpuE6ELNS1_3repE0EEENS1_30default_config_static_selectorELNS0_4arch9wavefront6targetE0EEEvT1_,"axG",@progbits,_ZN7rocprim17ROCPRIM_400000_NS6detail17trampoline_kernelINS0_14default_configENS1_27scan_by_key_config_selectorIitEEZZNS1_16scan_by_key_implILNS1_25lookback_scan_determinismE0ELb1ES3_N6thrust23THRUST_200600_302600_NS6detail15normal_iteratorINS9_10device_ptrIiEEEENSB_INSC_ItEEEESG_tNS9_4plusIvEENS9_8equal_toIvEEtEE10hipError_tPvRmT2_T3_T4_T5_mT6_T7_P12ihipStream_tbENKUlT_T0_E_clISt17integral_constantIbLb0EES10_IbLb1EEEEDaSW_SX_EUlSW_E_NS1_11comp_targetILNS1_3genE2ELNS1_11target_archE906ELNS1_3gpuE6ELNS1_3repE0EEENS1_30default_config_static_selectorELNS0_4arch9wavefront6targetE0EEEvT1_,comdat
.Lfunc_end1567:
	.size	_ZN7rocprim17ROCPRIM_400000_NS6detail17trampoline_kernelINS0_14default_configENS1_27scan_by_key_config_selectorIitEEZZNS1_16scan_by_key_implILNS1_25lookback_scan_determinismE0ELb1ES3_N6thrust23THRUST_200600_302600_NS6detail15normal_iteratorINS9_10device_ptrIiEEEENSB_INSC_ItEEEESG_tNS9_4plusIvEENS9_8equal_toIvEEtEE10hipError_tPvRmT2_T3_T4_T5_mT6_T7_P12ihipStream_tbENKUlT_T0_E_clISt17integral_constantIbLb0EES10_IbLb1EEEEDaSW_SX_EUlSW_E_NS1_11comp_targetILNS1_3genE2ELNS1_11target_archE906ELNS1_3gpuE6ELNS1_3repE0EEENS1_30default_config_static_selectorELNS0_4arch9wavefront6targetE0EEEvT1_, .Lfunc_end1567-_ZN7rocprim17ROCPRIM_400000_NS6detail17trampoline_kernelINS0_14default_configENS1_27scan_by_key_config_selectorIitEEZZNS1_16scan_by_key_implILNS1_25lookback_scan_determinismE0ELb1ES3_N6thrust23THRUST_200600_302600_NS6detail15normal_iteratorINS9_10device_ptrIiEEEENSB_INSC_ItEEEESG_tNS9_4plusIvEENS9_8equal_toIvEEtEE10hipError_tPvRmT2_T3_T4_T5_mT6_T7_P12ihipStream_tbENKUlT_T0_E_clISt17integral_constantIbLb0EES10_IbLb1EEEEDaSW_SX_EUlSW_E_NS1_11comp_targetILNS1_3genE2ELNS1_11target_archE906ELNS1_3gpuE6ELNS1_3repE0EEENS1_30default_config_static_selectorELNS0_4arch9wavefront6targetE0EEEvT1_
                                        ; -- End function
	.set _ZN7rocprim17ROCPRIM_400000_NS6detail17trampoline_kernelINS0_14default_configENS1_27scan_by_key_config_selectorIitEEZZNS1_16scan_by_key_implILNS1_25lookback_scan_determinismE0ELb1ES3_N6thrust23THRUST_200600_302600_NS6detail15normal_iteratorINS9_10device_ptrIiEEEENSB_INSC_ItEEEESG_tNS9_4plusIvEENS9_8equal_toIvEEtEE10hipError_tPvRmT2_T3_T4_T5_mT6_T7_P12ihipStream_tbENKUlT_T0_E_clISt17integral_constantIbLb0EES10_IbLb1EEEEDaSW_SX_EUlSW_E_NS1_11comp_targetILNS1_3genE2ELNS1_11target_archE906ELNS1_3gpuE6ELNS1_3repE0EEENS1_30default_config_static_selectorELNS0_4arch9wavefront6targetE0EEEvT1_.num_vgpr, 0
	.set _ZN7rocprim17ROCPRIM_400000_NS6detail17trampoline_kernelINS0_14default_configENS1_27scan_by_key_config_selectorIitEEZZNS1_16scan_by_key_implILNS1_25lookback_scan_determinismE0ELb1ES3_N6thrust23THRUST_200600_302600_NS6detail15normal_iteratorINS9_10device_ptrIiEEEENSB_INSC_ItEEEESG_tNS9_4plusIvEENS9_8equal_toIvEEtEE10hipError_tPvRmT2_T3_T4_T5_mT6_T7_P12ihipStream_tbENKUlT_T0_E_clISt17integral_constantIbLb0EES10_IbLb1EEEEDaSW_SX_EUlSW_E_NS1_11comp_targetILNS1_3genE2ELNS1_11target_archE906ELNS1_3gpuE6ELNS1_3repE0EEENS1_30default_config_static_selectorELNS0_4arch9wavefront6targetE0EEEvT1_.num_agpr, 0
	.set _ZN7rocprim17ROCPRIM_400000_NS6detail17trampoline_kernelINS0_14default_configENS1_27scan_by_key_config_selectorIitEEZZNS1_16scan_by_key_implILNS1_25lookback_scan_determinismE0ELb1ES3_N6thrust23THRUST_200600_302600_NS6detail15normal_iteratorINS9_10device_ptrIiEEEENSB_INSC_ItEEEESG_tNS9_4plusIvEENS9_8equal_toIvEEtEE10hipError_tPvRmT2_T3_T4_T5_mT6_T7_P12ihipStream_tbENKUlT_T0_E_clISt17integral_constantIbLb0EES10_IbLb1EEEEDaSW_SX_EUlSW_E_NS1_11comp_targetILNS1_3genE2ELNS1_11target_archE906ELNS1_3gpuE6ELNS1_3repE0EEENS1_30default_config_static_selectorELNS0_4arch9wavefront6targetE0EEEvT1_.numbered_sgpr, 0
	.set _ZN7rocprim17ROCPRIM_400000_NS6detail17trampoline_kernelINS0_14default_configENS1_27scan_by_key_config_selectorIitEEZZNS1_16scan_by_key_implILNS1_25lookback_scan_determinismE0ELb1ES3_N6thrust23THRUST_200600_302600_NS6detail15normal_iteratorINS9_10device_ptrIiEEEENSB_INSC_ItEEEESG_tNS9_4plusIvEENS9_8equal_toIvEEtEE10hipError_tPvRmT2_T3_T4_T5_mT6_T7_P12ihipStream_tbENKUlT_T0_E_clISt17integral_constantIbLb0EES10_IbLb1EEEEDaSW_SX_EUlSW_E_NS1_11comp_targetILNS1_3genE2ELNS1_11target_archE906ELNS1_3gpuE6ELNS1_3repE0EEENS1_30default_config_static_selectorELNS0_4arch9wavefront6targetE0EEEvT1_.num_named_barrier, 0
	.set _ZN7rocprim17ROCPRIM_400000_NS6detail17trampoline_kernelINS0_14default_configENS1_27scan_by_key_config_selectorIitEEZZNS1_16scan_by_key_implILNS1_25lookback_scan_determinismE0ELb1ES3_N6thrust23THRUST_200600_302600_NS6detail15normal_iteratorINS9_10device_ptrIiEEEENSB_INSC_ItEEEESG_tNS9_4plusIvEENS9_8equal_toIvEEtEE10hipError_tPvRmT2_T3_T4_T5_mT6_T7_P12ihipStream_tbENKUlT_T0_E_clISt17integral_constantIbLb0EES10_IbLb1EEEEDaSW_SX_EUlSW_E_NS1_11comp_targetILNS1_3genE2ELNS1_11target_archE906ELNS1_3gpuE6ELNS1_3repE0EEENS1_30default_config_static_selectorELNS0_4arch9wavefront6targetE0EEEvT1_.private_seg_size, 0
	.set _ZN7rocprim17ROCPRIM_400000_NS6detail17trampoline_kernelINS0_14default_configENS1_27scan_by_key_config_selectorIitEEZZNS1_16scan_by_key_implILNS1_25lookback_scan_determinismE0ELb1ES3_N6thrust23THRUST_200600_302600_NS6detail15normal_iteratorINS9_10device_ptrIiEEEENSB_INSC_ItEEEESG_tNS9_4plusIvEENS9_8equal_toIvEEtEE10hipError_tPvRmT2_T3_T4_T5_mT6_T7_P12ihipStream_tbENKUlT_T0_E_clISt17integral_constantIbLb0EES10_IbLb1EEEEDaSW_SX_EUlSW_E_NS1_11comp_targetILNS1_3genE2ELNS1_11target_archE906ELNS1_3gpuE6ELNS1_3repE0EEENS1_30default_config_static_selectorELNS0_4arch9wavefront6targetE0EEEvT1_.uses_vcc, 0
	.set _ZN7rocprim17ROCPRIM_400000_NS6detail17trampoline_kernelINS0_14default_configENS1_27scan_by_key_config_selectorIitEEZZNS1_16scan_by_key_implILNS1_25lookback_scan_determinismE0ELb1ES3_N6thrust23THRUST_200600_302600_NS6detail15normal_iteratorINS9_10device_ptrIiEEEENSB_INSC_ItEEEESG_tNS9_4plusIvEENS9_8equal_toIvEEtEE10hipError_tPvRmT2_T3_T4_T5_mT6_T7_P12ihipStream_tbENKUlT_T0_E_clISt17integral_constantIbLb0EES10_IbLb1EEEEDaSW_SX_EUlSW_E_NS1_11comp_targetILNS1_3genE2ELNS1_11target_archE906ELNS1_3gpuE6ELNS1_3repE0EEENS1_30default_config_static_selectorELNS0_4arch9wavefront6targetE0EEEvT1_.uses_flat_scratch, 0
	.set _ZN7rocprim17ROCPRIM_400000_NS6detail17trampoline_kernelINS0_14default_configENS1_27scan_by_key_config_selectorIitEEZZNS1_16scan_by_key_implILNS1_25lookback_scan_determinismE0ELb1ES3_N6thrust23THRUST_200600_302600_NS6detail15normal_iteratorINS9_10device_ptrIiEEEENSB_INSC_ItEEEESG_tNS9_4plusIvEENS9_8equal_toIvEEtEE10hipError_tPvRmT2_T3_T4_T5_mT6_T7_P12ihipStream_tbENKUlT_T0_E_clISt17integral_constantIbLb0EES10_IbLb1EEEEDaSW_SX_EUlSW_E_NS1_11comp_targetILNS1_3genE2ELNS1_11target_archE906ELNS1_3gpuE6ELNS1_3repE0EEENS1_30default_config_static_selectorELNS0_4arch9wavefront6targetE0EEEvT1_.has_dyn_sized_stack, 0
	.set _ZN7rocprim17ROCPRIM_400000_NS6detail17trampoline_kernelINS0_14default_configENS1_27scan_by_key_config_selectorIitEEZZNS1_16scan_by_key_implILNS1_25lookback_scan_determinismE0ELb1ES3_N6thrust23THRUST_200600_302600_NS6detail15normal_iteratorINS9_10device_ptrIiEEEENSB_INSC_ItEEEESG_tNS9_4plusIvEENS9_8equal_toIvEEtEE10hipError_tPvRmT2_T3_T4_T5_mT6_T7_P12ihipStream_tbENKUlT_T0_E_clISt17integral_constantIbLb0EES10_IbLb1EEEEDaSW_SX_EUlSW_E_NS1_11comp_targetILNS1_3genE2ELNS1_11target_archE906ELNS1_3gpuE6ELNS1_3repE0EEENS1_30default_config_static_selectorELNS0_4arch9wavefront6targetE0EEEvT1_.has_recursion, 0
	.set _ZN7rocprim17ROCPRIM_400000_NS6detail17trampoline_kernelINS0_14default_configENS1_27scan_by_key_config_selectorIitEEZZNS1_16scan_by_key_implILNS1_25lookback_scan_determinismE0ELb1ES3_N6thrust23THRUST_200600_302600_NS6detail15normal_iteratorINS9_10device_ptrIiEEEENSB_INSC_ItEEEESG_tNS9_4plusIvEENS9_8equal_toIvEEtEE10hipError_tPvRmT2_T3_T4_T5_mT6_T7_P12ihipStream_tbENKUlT_T0_E_clISt17integral_constantIbLb0EES10_IbLb1EEEEDaSW_SX_EUlSW_E_NS1_11comp_targetILNS1_3genE2ELNS1_11target_archE906ELNS1_3gpuE6ELNS1_3repE0EEENS1_30default_config_static_selectorELNS0_4arch9wavefront6targetE0EEEvT1_.has_indirect_call, 0
	.section	.AMDGPU.csdata,"",@progbits
; Kernel info:
; codeLenInByte = 0
; TotalNumSgprs: 0
; NumVgprs: 0
; ScratchSize: 0
; MemoryBound: 0
; FloatMode: 240
; IeeeMode: 1
; LDSByteSize: 0 bytes/workgroup (compile time only)
; SGPRBlocks: 0
; VGPRBlocks: 0
; NumSGPRsForWavesPerEU: 1
; NumVGPRsForWavesPerEU: 1
; Occupancy: 16
; WaveLimiterHint : 0
; COMPUTE_PGM_RSRC2:SCRATCH_EN: 0
; COMPUTE_PGM_RSRC2:USER_SGPR: 6
; COMPUTE_PGM_RSRC2:TRAP_HANDLER: 0
; COMPUTE_PGM_RSRC2:TGID_X_EN: 1
; COMPUTE_PGM_RSRC2:TGID_Y_EN: 0
; COMPUTE_PGM_RSRC2:TGID_Z_EN: 0
; COMPUTE_PGM_RSRC2:TIDIG_COMP_CNT: 0
	.section	.text._ZN7rocprim17ROCPRIM_400000_NS6detail17trampoline_kernelINS0_14default_configENS1_27scan_by_key_config_selectorIitEEZZNS1_16scan_by_key_implILNS1_25lookback_scan_determinismE0ELb1ES3_N6thrust23THRUST_200600_302600_NS6detail15normal_iteratorINS9_10device_ptrIiEEEENSB_INSC_ItEEEESG_tNS9_4plusIvEENS9_8equal_toIvEEtEE10hipError_tPvRmT2_T3_T4_T5_mT6_T7_P12ihipStream_tbENKUlT_T0_E_clISt17integral_constantIbLb0EES10_IbLb1EEEEDaSW_SX_EUlSW_E_NS1_11comp_targetILNS1_3genE10ELNS1_11target_archE1200ELNS1_3gpuE4ELNS1_3repE0EEENS1_30default_config_static_selectorELNS0_4arch9wavefront6targetE0EEEvT1_,"axG",@progbits,_ZN7rocprim17ROCPRIM_400000_NS6detail17trampoline_kernelINS0_14default_configENS1_27scan_by_key_config_selectorIitEEZZNS1_16scan_by_key_implILNS1_25lookback_scan_determinismE0ELb1ES3_N6thrust23THRUST_200600_302600_NS6detail15normal_iteratorINS9_10device_ptrIiEEEENSB_INSC_ItEEEESG_tNS9_4plusIvEENS9_8equal_toIvEEtEE10hipError_tPvRmT2_T3_T4_T5_mT6_T7_P12ihipStream_tbENKUlT_T0_E_clISt17integral_constantIbLb0EES10_IbLb1EEEEDaSW_SX_EUlSW_E_NS1_11comp_targetILNS1_3genE10ELNS1_11target_archE1200ELNS1_3gpuE4ELNS1_3repE0EEENS1_30default_config_static_selectorELNS0_4arch9wavefront6targetE0EEEvT1_,comdat
	.protected	_ZN7rocprim17ROCPRIM_400000_NS6detail17trampoline_kernelINS0_14default_configENS1_27scan_by_key_config_selectorIitEEZZNS1_16scan_by_key_implILNS1_25lookback_scan_determinismE0ELb1ES3_N6thrust23THRUST_200600_302600_NS6detail15normal_iteratorINS9_10device_ptrIiEEEENSB_INSC_ItEEEESG_tNS9_4plusIvEENS9_8equal_toIvEEtEE10hipError_tPvRmT2_T3_T4_T5_mT6_T7_P12ihipStream_tbENKUlT_T0_E_clISt17integral_constantIbLb0EES10_IbLb1EEEEDaSW_SX_EUlSW_E_NS1_11comp_targetILNS1_3genE10ELNS1_11target_archE1200ELNS1_3gpuE4ELNS1_3repE0EEENS1_30default_config_static_selectorELNS0_4arch9wavefront6targetE0EEEvT1_ ; -- Begin function _ZN7rocprim17ROCPRIM_400000_NS6detail17trampoline_kernelINS0_14default_configENS1_27scan_by_key_config_selectorIitEEZZNS1_16scan_by_key_implILNS1_25lookback_scan_determinismE0ELb1ES3_N6thrust23THRUST_200600_302600_NS6detail15normal_iteratorINS9_10device_ptrIiEEEENSB_INSC_ItEEEESG_tNS9_4plusIvEENS9_8equal_toIvEEtEE10hipError_tPvRmT2_T3_T4_T5_mT6_T7_P12ihipStream_tbENKUlT_T0_E_clISt17integral_constantIbLb0EES10_IbLb1EEEEDaSW_SX_EUlSW_E_NS1_11comp_targetILNS1_3genE10ELNS1_11target_archE1200ELNS1_3gpuE4ELNS1_3repE0EEENS1_30default_config_static_selectorELNS0_4arch9wavefront6targetE0EEEvT1_
	.globl	_ZN7rocprim17ROCPRIM_400000_NS6detail17trampoline_kernelINS0_14default_configENS1_27scan_by_key_config_selectorIitEEZZNS1_16scan_by_key_implILNS1_25lookback_scan_determinismE0ELb1ES3_N6thrust23THRUST_200600_302600_NS6detail15normal_iteratorINS9_10device_ptrIiEEEENSB_INSC_ItEEEESG_tNS9_4plusIvEENS9_8equal_toIvEEtEE10hipError_tPvRmT2_T3_T4_T5_mT6_T7_P12ihipStream_tbENKUlT_T0_E_clISt17integral_constantIbLb0EES10_IbLb1EEEEDaSW_SX_EUlSW_E_NS1_11comp_targetILNS1_3genE10ELNS1_11target_archE1200ELNS1_3gpuE4ELNS1_3repE0EEENS1_30default_config_static_selectorELNS0_4arch9wavefront6targetE0EEEvT1_
	.p2align	8
	.type	_ZN7rocprim17ROCPRIM_400000_NS6detail17trampoline_kernelINS0_14default_configENS1_27scan_by_key_config_selectorIitEEZZNS1_16scan_by_key_implILNS1_25lookback_scan_determinismE0ELb1ES3_N6thrust23THRUST_200600_302600_NS6detail15normal_iteratorINS9_10device_ptrIiEEEENSB_INSC_ItEEEESG_tNS9_4plusIvEENS9_8equal_toIvEEtEE10hipError_tPvRmT2_T3_T4_T5_mT6_T7_P12ihipStream_tbENKUlT_T0_E_clISt17integral_constantIbLb0EES10_IbLb1EEEEDaSW_SX_EUlSW_E_NS1_11comp_targetILNS1_3genE10ELNS1_11target_archE1200ELNS1_3gpuE4ELNS1_3repE0EEENS1_30default_config_static_selectorELNS0_4arch9wavefront6targetE0EEEvT1_,@function
_ZN7rocprim17ROCPRIM_400000_NS6detail17trampoline_kernelINS0_14default_configENS1_27scan_by_key_config_selectorIitEEZZNS1_16scan_by_key_implILNS1_25lookback_scan_determinismE0ELb1ES3_N6thrust23THRUST_200600_302600_NS6detail15normal_iteratorINS9_10device_ptrIiEEEENSB_INSC_ItEEEESG_tNS9_4plusIvEENS9_8equal_toIvEEtEE10hipError_tPvRmT2_T3_T4_T5_mT6_T7_P12ihipStream_tbENKUlT_T0_E_clISt17integral_constantIbLb0EES10_IbLb1EEEEDaSW_SX_EUlSW_E_NS1_11comp_targetILNS1_3genE10ELNS1_11target_archE1200ELNS1_3gpuE4ELNS1_3repE0EEENS1_30default_config_static_selectorELNS0_4arch9wavefront6targetE0EEEvT1_: ; @_ZN7rocprim17ROCPRIM_400000_NS6detail17trampoline_kernelINS0_14default_configENS1_27scan_by_key_config_selectorIitEEZZNS1_16scan_by_key_implILNS1_25lookback_scan_determinismE0ELb1ES3_N6thrust23THRUST_200600_302600_NS6detail15normal_iteratorINS9_10device_ptrIiEEEENSB_INSC_ItEEEESG_tNS9_4plusIvEENS9_8equal_toIvEEtEE10hipError_tPvRmT2_T3_T4_T5_mT6_T7_P12ihipStream_tbENKUlT_T0_E_clISt17integral_constantIbLb0EES10_IbLb1EEEEDaSW_SX_EUlSW_E_NS1_11comp_targetILNS1_3genE10ELNS1_11target_archE1200ELNS1_3gpuE4ELNS1_3repE0EEENS1_30default_config_static_selectorELNS0_4arch9wavefront6targetE0EEEvT1_
; %bb.0:
	.section	.rodata,"a",@progbits
	.p2align	6, 0x0
	.amdhsa_kernel _ZN7rocprim17ROCPRIM_400000_NS6detail17trampoline_kernelINS0_14default_configENS1_27scan_by_key_config_selectorIitEEZZNS1_16scan_by_key_implILNS1_25lookback_scan_determinismE0ELb1ES3_N6thrust23THRUST_200600_302600_NS6detail15normal_iteratorINS9_10device_ptrIiEEEENSB_INSC_ItEEEESG_tNS9_4plusIvEENS9_8equal_toIvEEtEE10hipError_tPvRmT2_T3_T4_T5_mT6_T7_P12ihipStream_tbENKUlT_T0_E_clISt17integral_constantIbLb0EES10_IbLb1EEEEDaSW_SX_EUlSW_E_NS1_11comp_targetILNS1_3genE10ELNS1_11target_archE1200ELNS1_3gpuE4ELNS1_3repE0EEENS1_30default_config_static_selectorELNS0_4arch9wavefront6targetE0EEEvT1_
		.amdhsa_group_segment_fixed_size 0
		.amdhsa_private_segment_fixed_size 0
		.amdhsa_kernarg_size 112
		.amdhsa_user_sgpr_count 6
		.amdhsa_user_sgpr_private_segment_buffer 1
		.amdhsa_user_sgpr_dispatch_ptr 0
		.amdhsa_user_sgpr_queue_ptr 0
		.amdhsa_user_sgpr_kernarg_segment_ptr 1
		.amdhsa_user_sgpr_dispatch_id 0
		.amdhsa_user_sgpr_flat_scratch_init 0
		.amdhsa_user_sgpr_private_segment_size 0
		.amdhsa_wavefront_size32 1
		.amdhsa_uses_dynamic_stack 0
		.amdhsa_system_sgpr_private_segment_wavefront_offset 0
		.amdhsa_system_sgpr_workgroup_id_x 1
		.amdhsa_system_sgpr_workgroup_id_y 0
		.amdhsa_system_sgpr_workgroup_id_z 0
		.amdhsa_system_sgpr_workgroup_info 0
		.amdhsa_system_vgpr_workitem_id 0
		.amdhsa_next_free_vgpr 1
		.amdhsa_next_free_sgpr 1
		.amdhsa_reserve_vcc 0
		.amdhsa_reserve_flat_scratch 0
		.amdhsa_float_round_mode_32 0
		.amdhsa_float_round_mode_16_64 0
		.amdhsa_float_denorm_mode_32 3
		.amdhsa_float_denorm_mode_16_64 3
		.amdhsa_dx10_clamp 1
		.amdhsa_ieee_mode 1
		.amdhsa_fp16_overflow 0
		.amdhsa_workgroup_processor_mode 1
		.amdhsa_memory_ordered 1
		.amdhsa_forward_progress 1
		.amdhsa_shared_vgpr_count 0
		.amdhsa_exception_fp_ieee_invalid_op 0
		.amdhsa_exception_fp_denorm_src 0
		.amdhsa_exception_fp_ieee_div_zero 0
		.amdhsa_exception_fp_ieee_overflow 0
		.amdhsa_exception_fp_ieee_underflow 0
		.amdhsa_exception_fp_ieee_inexact 0
		.amdhsa_exception_int_div_zero 0
	.end_amdhsa_kernel
	.section	.text._ZN7rocprim17ROCPRIM_400000_NS6detail17trampoline_kernelINS0_14default_configENS1_27scan_by_key_config_selectorIitEEZZNS1_16scan_by_key_implILNS1_25lookback_scan_determinismE0ELb1ES3_N6thrust23THRUST_200600_302600_NS6detail15normal_iteratorINS9_10device_ptrIiEEEENSB_INSC_ItEEEESG_tNS9_4plusIvEENS9_8equal_toIvEEtEE10hipError_tPvRmT2_T3_T4_T5_mT6_T7_P12ihipStream_tbENKUlT_T0_E_clISt17integral_constantIbLb0EES10_IbLb1EEEEDaSW_SX_EUlSW_E_NS1_11comp_targetILNS1_3genE10ELNS1_11target_archE1200ELNS1_3gpuE4ELNS1_3repE0EEENS1_30default_config_static_selectorELNS0_4arch9wavefront6targetE0EEEvT1_,"axG",@progbits,_ZN7rocprim17ROCPRIM_400000_NS6detail17trampoline_kernelINS0_14default_configENS1_27scan_by_key_config_selectorIitEEZZNS1_16scan_by_key_implILNS1_25lookback_scan_determinismE0ELb1ES3_N6thrust23THRUST_200600_302600_NS6detail15normal_iteratorINS9_10device_ptrIiEEEENSB_INSC_ItEEEESG_tNS9_4plusIvEENS9_8equal_toIvEEtEE10hipError_tPvRmT2_T3_T4_T5_mT6_T7_P12ihipStream_tbENKUlT_T0_E_clISt17integral_constantIbLb0EES10_IbLb1EEEEDaSW_SX_EUlSW_E_NS1_11comp_targetILNS1_3genE10ELNS1_11target_archE1200ELNS1_3gpuE4ELNS1_3repE0EEENS1_30default_config_static_selectorELNS0_4arch9wavefront6targetE0EEEvT1_,comdat
.Lfunc_end1568:
	.size	_ZN7rocprim17ROCPRIM_400000_NS6detail17trampoline_kernelINS0_14default_configENS1_27scan_by_key_config_selectorIitEEZZNS1_16scan_by_key_implILNS1_25lookback_scan_determinismE0ELb1ES3_N6thrust23THRUST_200600_302600_NS6detail15normal_iteratorINS9_10device_ptrIiEEEENSB_INSC_ItEEEESG_tNS9_4plusIvEENS9_8equal_toIvEEtEE10hipError_tPvRmT2_T3_T4_T5_mT6_T7_P12ihipStream_tbENKUlT_T0_E_clISt17integral_constantIbLb0EES10_IbLb1EEEEDaSW_SX_EUlSW_E_NS1_11comp_targetILNS1_3genE10ELNS1_11target_archE1200ELNS1_3gpuE4ELNS1_3repE0EEENS1_30default_config_static_selectorELNS0_4arch9wavefront6targetE0EEEvT1_, .Lfunc_end1568-_ZN7rocprim17ROCPRIM_400000_NS6detail17trampoline_kernelINS0_14default_configENS1_27scan_by_key_config_selectorIitEEZZNS1_16scan_by_key_implILNS1_25lookback_scan_determinismE0ELb1ES3_N6thrust23THRUST_200600_302600_NS6detail15normal_iteratorINS9_10device_ptrIiEEEENSB_INSC_ItEEEESG_tNS9_4plusIvEENS9_8equal_toIvEEtEE10hipError_tPvRmT2_T3_T4_T5_mT6_T7_P12ihipStream_tbENKUlT_T0_E_clISt17integral_constantIbLb0EES10_IbLb1EEEEDaSW_SX_EUlSW_E_NS1_11comp_targetILNS1_3genE10ELNS1_11target_archE1200ELNS1_3gpuE4ELNS1_3repE0EEENS1_30default_config_static_selectorELNS0_4arch9wavefront6targetE0EEEvT1_
                                        ; -- End function
	.set _ZN7rocprim17ROCPRIM_400000_NS6detail17trampoline_kernelINS0_14default_configENS1_27scan_by_key_config_selectorIitEEZZNS1_16scan_by_key_implILNS1_25lookback_scan_determinismE0ELb1ES3_N6thrust23THRUST_200600_302600_NS6detail15normal_iteratorINS9_10device_ptrIiEEEENSB_INSC_ItEEEESG_tNS9_4plusIvEENS9_8equal_toIvEEtEE10hipError_tPvRmT2_T3_T4_T5_mT6_T7_P12ihipStream_tbENKUlT_T0_E_clISt17integral_constantIbLb0EES10_IbLb1EEEEDaSW_SX_EUlSW_E_NS1_11comp_targetILNS1_3genE10ELNS1_11target_archE1200ELNS1_3gpuE4ELNS1_3repE0EEENS1_30default_config_static_selectorELNS0_4arch9wavefront6targetE0EEEvT1_.num_vgpr, 0
	.set _ZN7rocprim17ROCPRIM_400000_NS6detail17trampoline_kernelINS0_14default_configENS1_27scan_by_key_config_selectorIitEEZZNS1_16scan_by_key_implILNS1_25lookback_scan_determinismE0ELb1ES3_N6thrust23THRUST_200600_302600_NS6detail15normal_iteratorINS9_10device_ptrIiEEEENSB_INSC_ItEEEESG_tNS9_4plusIvEENS9_8equal_toIvEEtEE10hipError_tPvRmT2_T3_T4_T5_mT6_T7_P12ihipStream_tbENKUlT_T0_E_clISt17integral_constantIbLb0EES10_IbLb1EEEEDaSW_SX_EUlSW_E_NS1_11comp_targetILNS1_3genE10ELNS1_11target_archE1200ELNS1_3gpuE4ELNS1_3repE0EEENS1_30default_config_static_selectorELNS0_4arch9wavefront6targetE0EEEvT1_.num_agpr, 0
	.set _ZN7rocprim17ROCPRIM_400000_NS6detail17trampoline_kernelINS0_14default_configENS1_27scan_by_key_config_selectorIitEEZZNS1_16scan_by_key_implILNS1_25lookback_scan_determinismE0ELb1ES3_N6thrust23THRUST_200600_302600_NS6detail15normal_iteratorINS9_10device_ptrIiEEEENSB_INSC_ItEEEESG_tNS9_4plusIvEENS9_8equal_toIvEEtEE10hipError_tPvRmT2_T3_T4_T5_mT6_T7_P12ihipStream_tbENKUlT_T0_E_clISt17integral_constantIbLb0EES10_IbLb1EEEEDaSW_SX_EUlSW_E_NS1_11comp_targetILNS1_3genE10ELNS1_11target_archE1200ELNS1_3gpuE4ELNS1_3repE0EEENS1_30default_config_static_selectorELNS0_4arch9wavefront6targetE0EEEvT1_.numbered_sgpr, 0
	.set _ZN7rocprim17ROCPRIM_400000_NS6detail17trampoline_kernelINS0_14default_configENS1_27scan_by_key_config_selectorIitEEZZNS1_16scan_by_key_implILNS1_25lookback_scan_determinismE0ELb1ES3_N6thrust23THRUST_200600_302600_NS6detail15normal_iteratorINS9_10device_ptrIiEEEENSB_INSC_ItEEEESG_tNS9_4plusIvEENS9_8equal_toIvEEtEE10hipError_tPvRmT2_T3_T4_T5_mT6_T7_P12ihipStream_tbENKUlT_T0_E_clISt17integral_constantIbLb0EES10_IbLb1EEEEDaSW_SX_EUlSW_E_NS1_11comp_targetILNS1_3genE10ELNS1_11target_archE1200ELNS1_3gpuE4ELNS1_3repE0EEENS1_30default_config_static_selectorELNS0_4arch9wavefront6targetE0EEEvT1_.num_named_barrier, 0
	.set _ZN7rocprim17ROCPRIM_400000_NS6detail17trampoline_kernelINS0_14default_configENS1_27scan_by_key_config_selectorIitEEZZNS1_16scan_by_key_implILNS1_25lookback_scan_determinismE0ELb1ES3_N6thrust23THRUST_200600_302600_NS6detail15normal_iteratorINS9_10device_ptrIiEEEENSB_INSC_ItEEEESG_tNS9_4plusIvEENS9_8equal_toIvEEtEE10hipError_tPvRmT2_T3_T4_T5_mT6_T7_P12ihipStream_tbENKUlT_T0_E_clISt17integral_constantIbLb0EES10_IbLb1EEEEDaSW_SX_EUlSW_E_NS1_11comp_targetILNS1_3genE10ELNS1_11target_archE1200ELNS1_3gpuE4ELNS1_3repE0EEENS1_30default_config_static_selectorELNS0_4arch9wavefront6targetE0EEEvT1_.private_seg_size, 0
	.set _ZN7rocprim17ROCPRIM_400000_NS6detail17trampoline_kernelINS0_14default_configENS1_27scan_by_key_config_selectorIitEEZZNS1_16scan_by_key_implILNS1_25lookback_scan_determinismE0ELb1ES3_N6thrust23THRUST_200600_302600_NS6detail15normal_iteratorINS9_10device_ptrIiEEEENSB_INSC_ItEEEESG_tNS9_4plusIvEENS9_8equal_toIvEEtEE10hipError_tPvRmT2_T3_T4_T5_mT6_T7_P12ihipStream_tbENKUlT_T0_E_clISt17integral_constantIbLb0EES10_IbLb1EEEEDaSW_SX_EUlSW_E_NS1_11comp_targetILNS1_3genE10ELNS1_11target_archE1200ELNS1_3gpuE4ELNS1_3repE0EEENS1_30default_config_static_selectorELNS0_4arch9wavefront6targetE0EEEvT1_.uses_vcc, 0
	.set _ZN7rocprim17ROCPRIM_400000_NS6detail17trampoline_kernelINS0_14default_configENS1_27scan_by_key_config_selectorIitEEZZNS1_16scan_by_key_implILNS1_25lookback_scan_determinismE0ELb1ES3_N6thrust23THRUST_200600_302600_NS6detail15normal_iteratorINS9_10device_ptrIiEEEENSB_INSC_ItEEEESG_tNS9_4plusIvEENS9_8equal_toIvEEtEE10hipError_tPvRmT2_T3_T4_T5_mT6_T7_P12ihipStream_tbENKUlT_T0_E_clISt17integral_constantIbLb0EES10_IbLb1EEEEDaSW_SX_EUlSW_E_NS1_11comp_targetILNS1_3genE10ELNS1_11target_archE1200ELNS1_3gpuE4ELNS1_3repE0EEENS1_30default_config_static_selectorELNS0_4arch9wavefront6targetE0EEEvT1_.uses_flat_scratch, 0
	.set _ZN7rocprim17ROCPRIM_400000_NS6detail17trampoline_kernelINS0_14default_configENS1_27scan_by_key_config_selectorIitEEZZNS1_16scan_by_key_implILNS1_25lookback_scan_determinismE0ELb1ES3_N6thrust23THRUST_200600_302600_NS6detail15normal_iteratorINS9_10device_ptrIiEEEENSB_INSC_ItEEEESG_tNS9_4plusIvEENS9_8equal_toIvEEtEE10hipError_tPvRmT2_T3_T4_T5_mT6_T7_P12ihipStream_tbENKUlT_T0_E_clISt17integral_constantIbLb0EES10_IbLb1EEEEDaSW_SX_EUlSW_E_NS1_11comp_targetILNS1_3genE10ELNS1_11target_archE1200ELNS1_3gpuE4ELNS1_3repE0EEENS1_30default_config_static_selectorELNS0_4arch9wavefront6targetE0EEEvT1_.has_dyn_sized_stack, 0
	.set _ZN7rocprim17ROCPRIM_400000_NS6detail17trampoline_kernelINS0_14default_configENS1_27scan_by_key_config_selectorIitEEZZNS1_16scan_by_key_implILNS1_25lookback_scan_determinismE0ELb1ES3_N6thrust23THRUST_200600_302600_NS6detail15normal_iteratorINS9_10device_ptrIiEEEENSB_INSC_ItEEEESG_tNS9_4plusIvEENS9_8equal_toIvEEtEE10hipError_tPvRmT2_T3_T4_T5_mT6_T7_P12ihipStream_tbENKUlT_T0_E_clISt17integral_constantIbLb0EES10_IbLb1EEEEDaSW_SX_EUlSW_E_NS1_11comp_targetILNS1_3genE10ELNS1_11target_archE1200ELNS1_3gpuE4ELNS1_3repE0EEENS1_30default_config_static_selectorELNS0_4arch9wavefront6targetE0EEEvT1_.has_recursion, 0
	.set _ZN7rocprim17ROCPRIM_400000_NS6detail17trampoline_kernelINS0_14default_configENS1_27scan_by_key_config_selectorIitEEZZNS1_16scan_by_key_implILNS1_25lookback_scan_determinismE0ELb1ES3_N6thrust23THRUST_200600_302600_NS6detail15normal_iteratorINS9_10device_ptrIiEEEENSB_INSC_ItEEEESG_tNS9_4plusIvEENS9_8equal_toIvEEtEE10hipError_tPvRmT2_T3_T4_T5_mT6_T7_P12ihipStream_tbENKUlT_T0_E_clISt17integral_constantIbLb0EES10_IbLb1EEEEDaSW_SX_EUlSW_E_NS1_11comp_targetILNS1_3genE10ELNS1_11target_archE1200ELNS1_3gpuE4ELNS1_3repE0EEENS1_30default_config_static_selectorELNS0_4arch9wavefront6targetE0EEEvT1_.has_indirect_call, 0
	.section	.AMDGPU.csdata,"",@progbits
; Kernel info:
; codeLenInByte = 0
; TotalNumSgprs: 0
; NumVgprs: 0
; ScratchSize: 0
; MemoryBound: 0
; FloatMode: 240
; IeeeMode: 1
; LDSByteSize: 0 bytes/workgroup (compile time only)
; SGPRBlocks: 0
; VGPRBlocks: 0
; NumSGPRsForWavesPerEU: 1
; NumVGPRsForWavesPerEU: 1
; Occupancy: 16
; WaveLimiterHint : 0
; COMPUTE_PGM_RSRC2:SCRATCH_EN: 0
; COMPUTE_PGM_RSRC2:USER_SGPR: 6
; COMPUTE_PGM_RSRC2:TRAP_HANDLER: 0
; COMPUTE_PGM_RSRC2:TGID_X_EN: 1
; COMPUTE_PGM_RSRC2:TGID_Y_EN: 0
; COMPUTE_PGM_RSRC2:TGID_Z_EN: 0
; COMPUTE_PGM_RSRC2:TIDIG_COMP_CNT: 0
	.section	.text._ZN7rocprim17ROCPRIM_400000_NS6detail17trampoline_kernelINS0_14default_configENS1_27scan_by_key_config_selectorIitEEZZNS1_16scan_by_key_implILNS1_25lookback_scan_determinismE0ELb1ES3_N6thrust23THRUST_200600_302600_NS6detail15normal_iteratorINS9_10device_ptrIiEEEENSB_INSC_ItEEEESG_tNS9_4plusIvEENS9_8equal_toIvEEtEE10hipError_tPvRmT2_T3_T4_T5_mT6_T7_P12ihipStream_tbENKUlT_T0_E_clISt17integral_constantIbLb0EES10_IbLb1EEEEDaSW_SX_EUlSW_E_NS1_11comp_targetILNS1_3genE9ELNS1_11target_archE1100ELNS1_3gpuE3ELNS1_3repE0EEENS1_30default_config_static_selectorELNS0_4arch9wavefront6targetE0EEEvT1_,"axG",@progbits,_ZN7rocprim17ROCPRIM_400000_NS6detail17trampoline_kernelINS0_14default_configENS1_27scan_by_key_config_selectorIitEEZZNS1_16scan_by_key_implILNS1_25lookback_scan_determinismE0ELb1ES3_N6thrust23THRUST_200600_302600_NS6detail15normal_iteratorINS9_10device_ptrIiEEEENSB_INSC_ItEEEESG_tNS9_4plusIvEENS9_8equal_toIvEEtEE10hipError_tPvRmT2_T3_T4_T5_mT6_T7_P12ihipStream_tbENKUlT_T0_E_clISt17integral_constantIbLb0EES10_IbLb1EEEEDaSW_SX_EUlSW_E_NS1_11comp_targetILNS1_3genE9ELNS1_11target_archE1100ELNS1_3gpuE3ELNS1_3repE0EEENS1_30default_config_static_selectorELNS0_4arch9wavefront6targetE0EEEvT1_,comdat
	.protected	_ZN7rocprim17ROCPRIM_400000_NS6detail17trampoline_kernelINS0_14default_configENS1_27scan_by_key_config_selectorIitEEZZNS1_16scan_by_key_implILNS1_25lookback_scan_determinismE0ELb1ES3_N6thrust23THRUST_200600_302600_NS6detail15normal_iteratorINS9_10device_ptrIiEEEENSB_INSC_ItEEEESG_tNS9_4plusIvEENS9_8equal_toIvEEtEE10hipError_tPvRmT2_T3_T4_T5_mT6_T7_P12ihipStream_tbENKUlT_T0_E_clISt17integral_constantIbLb0EES10_IbLb1EEEEDaSW_SX_EUlSW_E_NS1_11comp_targetILNS1_3genE9ELNS1_11target_archE1100ELNS1_3gpuE3ELNS1_3repE0EEENS1_30default_config_static_selectorELNS0_4arch9wavefront6targetE0EEEvT1_ ; -- Begin function _ZN7rocprim17ROCPRIM_400000_NS6detail17trampoline_kernelINS0_14default_configENS1_27scan_by_key_config_selectorIitEEZZNS1_16scan_by_key_implILNS1_25lookback_scan_determinismE0ELb1ES3_N6thrust23THRUST_200600_302600_NS6detail15normal_iteratorINS9_10device_ptrIiEEEENSB_INSC_ItEEEESG_tNS9_4plusIvEENS9_8equal_toIvEEtEE10hipError_tPvRmT2_T3_T4_T5_mT6_T7_P12ihipStream_tbENKUlT_T0_E_clISt17integral_constantIbLb0EES10_IbLb1EEEEDaSW_SX_EUlSW_E_NS1_11comp_targetILNS1_3genE9ELNS1_11target_archE1100ELNS1_3gpuE3ELNS1_3repE0EEENS1_30default_config_static_selectorELNS0_4arch9wavefront6targetE0EEEvT1_
	.globl	_ZN7rocprim17ROCPRIM_400000_NS6detail17trampoline_kernelINS0_14default_configENS1_27scan_by_key_config_selectorIitEEZZNS1_16scan_by_key_implILNS1_25lookback_scan_determinismE0ELb1ES3_N6thrust23THRUST_200600_302600_NS6detail15normal_iteratorINS9_10device_ptrIiEEEENSB_INSC_ItEEEESG_tNS9_4plusIvEENS9_8equal_toIvEEtEE10hipError_tPvRmT2_T3_T4_T5_mT6_T7_P12ihipStream_tbENKUlT_T0_E_clISt17integral_constantIbLb0EES10_IbLb1EEEEDaSW_SX_EUlSW_E_NS1_11comp_targetILNS1_3genE9ELNS1_11target_archE1100ELNS1_3gpuE3ELNS1_3repE0EEENS1_30default_config_static_selectorELNS0_4arch9wavefront6targetE0EEEvT1_
	.p2align	8
	.type	_ZN7rocprim17ROCPRIM_400000_NS6detail17trampoline_kernelINS0_14default_configENS1_27scan_by_key_config_selectorIitEEZZNS1_16scan_by_key_implILNS1_25lookback_scan_determinismE0ELb1ES3_N6thrust23THRUST_200600_302600_NS6detail15normal_iteratorINS9_10device_ptrIiEEEENSB_INSC_ItEEEESG_tNS9_4plusIvEENS9_8equal_toIvEEtEE10hipError_tPvRmT2_T3_T4_T5_mT6_T7_P12ihipStream_tbENKUlT_T0_E_clISt17integral_constantIbLb0EES10_IbLb1EEEEDaSW_SX_EUlSW_E_NS1_11comp_targetILNS1_3genE9ELNS1_11target_archE1100ELNS1_3gpuE3ELNS1_3repE0EEENS1_30default_config_static_selectorELNS0_4arch9wavefront6targetE0EEEvT1_,@function
_ZN7rocprim17ROCPRIM_400000_NS6detail17trampoline_kernelINS0_14default_configENS1_27scan_by_key_config_selectorIitEEZZNS1_16scan_by_key_implILNS1_25lookback_scan_determinismE0ELb1ES3_N6thrust23THRUST_200600_302600_NS6detail15normal_iteratorINS9_10device_ptrIiEEEENSB_INSC_ItEEEESG_tNS9_4plusIvEENS9_8equal_toIvEEtEE10hipError_tPvRmT2_T3_T4_T5_mT6_T7_P12ihipStream_tbENKUlT_T0_E_clISt17integral_constantIbLb0EES10_IbLb1EEEEDaSW_SX_EUlSW_E_NS1_11comp_targetILNS1_3genE9ELNS1_11target_archE1100ELNS1_3gpuE3ELNS1_3repE0EEENS1_30default_config_static_selectorELNS0_4arch9wavefront6targetE0EEEvT1_: ; @_ZN7rocprim17ROCPRIM_400000_NS6detail17trampoline_kernelINS0_14default_configENS1_27scan_by_key_config_selectorIitEEZZNS1_16scan_by_key_implILNS1_25lookback_scan_determinismE0ELb1ES3_N6thrust23THRUST_200600_302600_NS6detail15normal_iteratorINS9_10device_ptrIiEEEENSB_INSC_ItEEEESG_tNS9_4plusIvEENS9_8equal_toIvEEtEE10hipError_tPvRmT2_T3_T4_T5_mT6_T7_P12ihipStream_tbENKUlT_T0_E_clISt17integral_constantIbLb0EES10_IbLb1EEEEDaSW_SX_EUlSW_E_NS1_11comp_targetILNS1_3genE9ELNS1_11target_archE1100ELNS1_3gpuE3ELNS1_3repE0EEENS1_30default_config_static_selectorELNS0_4arch9wavefront6targetE0EEEvT1_
; %bb.0:
	.section	.rodata,"a",@progbits
	.p2align	6, 0x0
	.amdhsa_kernel _ZN7rocprim17ROCPRIM_400000_NS6detail17trampoline_kernelINS0_14default_configENS1_27scan_by_key_config_selectorIitEEZZNS1_16scan_by_key_implILNS1_25lookback_scan_determinismE0ELb1ES3_N6thrust23THRUST_200600_302600_NS6detail15normal_iteratorINS9_10device_ptrIiEEEENSB_INSC_ItEEEESG_tNS9_4plusIvEENS9_8equal_toIvEEtEE10hipError_tPvRmT2_T3_T4_T5_mT6_T7_P12ihipStream_tbENKUlT_T0_E_clISt17integral_constantIbLb0EES10_IbLb1EEEEDaSW_SX_EUlSW_E_NS1_11comp_targetILNS1_3genE9ELNS1_11target_archE1100ELNS1_3gpuE3ELNS1_3repE0EEENS1_30default_config_static_selectorELNS0_4arch9wavefront6targetE0EEEvT1_
		.amdhsa_group_segment_fixed_size 0
		.amdhsa_private_segment_fixed_size 0
		.amdhsa_kernarg_size 112
		.amdhsa_user_sgpr_count 6
		.amdhsa_user_sgpr_private_segment_buffer 1
		.amdhsa_user_sgpr_dispatch_ptr 0
		.amdhsa_user_sgpr_queue_ptr 0
		.amdhsa_user_sgpr_kernarg_segment_ptr 1
		.amdhsa_user_sgpr_dispatch_id 0
		.amdhsa_user_sgpr_flat_scratch_init 0
		.amdhsa_user_sgpr_private_segment_size 0
		.amdhsa_wavefront_size32 1
		.amdhsa_uses_dynamic_stack 0
		.amdhsa_system_sgpr_private_segment_wavefront_offset 0
		.amdhsa_system_sgpr_workgroup_id_x 1
		.amdhsa_system_sgpr_workgroup_id_y 0
		.amdhsa_system_sgpr_workgroup_id_z 0
		.amdhsa_system_sgpr_workgroup_info 0
		.amdhsa_system_vgpr_workitem_id 0
		.amdhsa_next_free_vgpr 1
		.amdhsa_next_free_sgpr 1
		.amdhsa_reserve_vcc 0
		.amdhsa_reserve_flat_scratch 0
		.amdhsa_float_round_mode_32 0
		.amdhsa_float_round_mode_16_64 0
		.amdhsa_float_denorm_mode_32 3
		.amdhsa_float_denorm_mode_16_64 3
		.amdhsa_dx10_clamp 1
		.amdhsa_ieee_mode 1
		.amdhsa_fp16_overflow 0
		.amdhsa_workgroup_processor_mode 1
		.amdhsa_memory_ordered 1
		.amdhsa_forward_progress 1
		.amdhsa_shared_vgpr_count 0
		.amdhsa_exception_fp_ieee_invalid_op 0
		.amdhsa_exception_fp_denorm_src 0
		.amdhsa_exception_fp_ieee_div_zero 0
		.amdhsa_exception_fp_ieee_overflow 0
		.amdhsa_exception_fp_ieee_underflow 0
		.amdhsa_exception_fp_ieee_inexact 0
		.amdhsa_exception_int_div_zero 0
	.end_amdhsa_kernel
	.section	.text._ZN7rocprim17ROCPRIM_400000_NS6detail17trampoline_kernelINS0_14default_configENS1_27scan_by_key_config_selectorIitEEZZNS1_16scan_by_key_implILNS1_25lookback_scan_determinismE0ELb1ES3_N6thrust23THRUST_200600_302600_NS6detail15normal_iteratorINS9_10device_ptrIiEEEENSB_INSC_ItEEEESG_tNS9_4plusIvEENS9_8equal_toIvEEtEE10hipError_tPvRmT2_T3_T4_T5_mT6_T7_P12ihipStream_tbENKUlT_T0_E_clISt17integral_constantIbLb0EES10_IbLb1EEEEDaSW_SX_EUlSW_E_NS1_11comp_targetILNS1_3genE9ELNS1_11target_archE1100ELNS1_3gpuE3ELNS1_3repE0EEENS1_30default_config_static_selectorELNS0_4arch9wavefront6targetE0EEEvT1_,"axG",@progbits,_ZN7rocprim17ROCPRIM_400000_NS6detail17trampoline_kernelINS0_14default_configENS1_27scan_by_key_config_selectorIitEEZZNS1_16scan_by_key_implILNS1_25lookback_scan_determinismE0ELb1ES3_N6thrust23THRUST_200600_302600_NS6detail15normal_iteratorINS9_10device_ptrIiEEEENSB_INSC_ItEEEESG_tNS9_4plusIvEENS9_8equal_toIvEEtEE10hipError_tPvRmT2_T3_T4_T5_mT6_T7_P12ihipStream_tbENKUlT_T0_E_clISt17integral_constantIbLb0EES10_IbLb1EEEEDaSW_SX_EUlSW_E_NS1_11comp_targetILNS1_3genE9ELNS1_11target_archE1100ELNS1_3gpuE3ELNS1_3repE0EEENS1_30default_config_static_selectorELNS0_4arch9wavefront6targetE0EEEvT1_,comdat
.Lfunc_end1569:
	.size	_ZN7rocprim17ROCPRIM_400000_NS6detail17trampoline_kernelINS0_14default_configENS1_27scan_by_key_config_selectorIitEEZZNS1_16scan_by_key_implILNS1_25lookback_scan_determinismE0ELb1ES3_N6thrust23THRUST_200600_302600_NS6detail15normal_iteratorINS9_10device_ptrIiEEEENSB_INSC_ItEEEESG_tNS9_4plusIvEENS9_8equal_toIvEEtEE10hipError_tPvRmT2_T3_T4_T5_mT6_T7_P12ihipStream_tbENKUlT_T0_E_clISt17integral_constantIbLb0EES10_IbLb1EEEEDaSW_SX_EUlSW_E_NS1_11comp_targetILNS1_3genE9ELNS1_11target_archE1100ELNS1_3gpuE3ELNS1_3repE0EEENS1_30default_config_static_selectorELNS0_4arch9wavefront6targetE0EEEvT1_, .Lfunc_end1569-_ZN7rocprim17ROCPRIM_400000_NS6detail17trampoline_kernelINS0_14default_configENS1_27scan_by_key_config_selectorIitEEZZNS1_16scan_by_key_implILNS1_25lookback_scan_determinismE0ELb1ES3_N6thrust23THRUST_200600_302600_NS6detail15normal_iteratorINS9_10device_ptrIiEEEENSB_INSC_ItEEEESG_tNS9_4plusIvEENS9_8equal_toIvEEtEE10hipError_tPvRmT2_T3_T4_T5_mT6_T7_P12ihipStream_tbENKUlT_T0_E_clISt17integral_constantIbLb0EES10_IbLb1EEEEDaSW_SX_EUlSW_E_NS1_11comp_targetILNS1_3genE9ELNS1_11target_archE1100ELNS1_3gpuE3ELNS1_3repE0EEENS1_30default_config_static_selectorELNS0_4arch9wavefront6targetE0EEEvT1_
                                        ; -- End function
	.set _ZN7rocprim17ROCPRIM_400000_NS6detail17trampoline_kernelINS0_14default_configENS1_27scan_by_key_config_selectorIitEEZZNS1_16scan_by_key_implILNS1_25lookback_scan_determinismE0ELb1ES3_N6thrust23THRUST_200600_302600_NS6detail15normal_iteratorINS9_10device_ptrIiEEEENSB_INSC_ItEEEESG_tNS9_4plusIvEENS9_8equal_toIvEEtEE10hipError_tPvRmT2_T3_T4_T5_mT6_T7_P12ihipStream_tbENKUlT_T0_E_clISt17integral_constantIbLb0EES10_IbLb1EEEEDaSW_SX_EUlSW_E_NS1_11comp_targetILNS1_3genE9ELNS1_11target_archE1100ELNS1_3gpuE3ELNS1_3repE0EEENS1_30default_config_static_selectorELNS0_4arch9wavefront6targetE0EEEvT1_.num_vgpr, 0
	.set _ZN7rocprim17ROCPRIM_400000_NS6detail17trampoline_kernelINS0_14default_configENS1_27scan_by_key_config_selectorIitEEZZNS1_16scan_by_key_implILNS1_25lookback_scan_determinismE0ELb1ES3_N6thrust23THRUST_200600_302600_NS6detail15normal_iteratorINS9_10device_ptrIiEEEENSB_INSC_ItEEEESG_tNS9_4plusIvEENS9_8equal_toIvEEtEE10hipError_tPvRmT2_T3_T4_T5_mT6_T7_P12ihipStream_tbENKUlT_T0_E_clISt17integral_constantIbLb0EES10_IbLb1EEEEDaSW_SX_EUlSW_E_NS1_11comp_targetILNS1_3genE9ELNS1_11target_archE1100ELNS1_3gpuE3ELNS1_3repE0EEENS1_30default_config_static_selectorELNS0_4arch9wavefront6targetE0EEEvT1_.num_agpr, 0
	.set _ZN7rocprim17ROCPRIM_400000_NS6detail17trampoline_kernelINS0_14default_configENS1_27scan_by_key_config_selectorIitEEZZNS1_16scan_by_key_implILNS1_25lookback_scan_determinismE0ELb1ES3_N6thrust23THRUST_200600_302600_NS6detail15normal_iteratorINS9_10device_ptrIiEEEENSB_INSC_ItEEEESG_tNS9_4plusIvEENS9_8equal_toIvEEtEE10hipError_tPvRmT2_T3_T4_T5_mT6_T7_P12ihipStream_tbENKUlT_T0_E_clISt17integral_constantIbLb0EES10_IbLb1EEEEDaSW_SX_EUlSW_E_NS1_11comp_targetILNS1_3genE9ELNS1_11target_archE1100ELNS1_3gpuE3ELNS1_3repE0EEENS1_30default_config_static_selectorELNS0_4arch9wavefront6targetE0EEEvT1_.numbered_sgpr, 0
	.set _ZN7rocprim17ROCPRIM_400000_NS6detail17trampoline_kernelINS0_14default_configENS1_27scan_by_key_config_selectorIitEEZZNS1_16scan_by_key_implILNS1_25lookback_scan_determinismE0ELb1ES3_N6thrust23THRUST_200600_302600_NS6detail15normal_iteratorINS9_10device_ptrIiEEEENSB_INSC_ItEEEESG_tNS9_4plusIvEENS9_8equal_toIvEEtEE10hipError_tPvRmT2_T3_T4_T5_mT6_T7_P12ihipStream_tbENKUlT_T0_E_clISt17integral_constantIbLb0EES10_IbLb1EEEEDaSW_SX_EUlSW_E_NS1_11comp_targetILNS1_3genE9ELNS1_11target_archE1100ELNS1_3gpuE3ELNS1_3repE0EEENS1_30default_config_static_selectorELNS0_4arch9wavefront6targetE0EEEvT1_.num_named_barrier, 0
	.set _ZN7rocprim17ROCPRIM_400000_NS6detail17trampoline_kernelINS0_14default_configENS1_27scan_by_key_config_selectorIitEEZZNS1_16scan_by_key_implILNS1_25lookback_scan_determinismE0ELb1ES3_N6thrust23THRUST_200600_302600_NS6detail15normal_iteratorINS9_10device_ptrIiEEEENSB_INSC_ItEEEESG_tNS9_4plusIvEENS9_8equal_toIvEEtEE10hipError_tPvRmT2_T3_T4_T5_mT6_T7_P12ihipStream_tbENKUlT_T0_E_clISt17integral_constantIbLb0EES10_IbLb1EEEEDaSW_SX_EUlSW_E_NS1_11comp_targetILNS1_3genE9ELNS1_11target_archE1100ELNS1_3gpuE3ELNS1_3repE0EEENS1_30default_config_static_selectorELNS0_4arch9wavefront6targetE0EEEvT1_.private_seg_size, 0
	.set _ZN7rocprim17ROCPRIM_400000_NS6detail17trampoline_kernelINS0_14default_configENS1_27scan_by_key_config_selectorIitEEZZNS1_16scan_by_key_implILNS1_25lookback_scan_determinismE0ELb1ES3_N6thrust23THRUST_200600_302600_NS6detail15normal_iteratorINS9_10device_ptrIiEEEENSB_INSC_ItEEEESG_tNS9_4plusIvEENS9_8equal_toIvEEtEE10hipError_tPvRmT2_T3_T4_T5_mT6_T7_P12ihipStream_tbENKUlT_T0_E_clISt17integral_constantIbLb0EES10_IbLb1EEEEDaSW_SX_EUlSW_E_NS1_11comp_targetILNS1_3genE9ELNS1_11target_archE1100ELNS1_3gpuE3ELNS1_3repE0EEENS1_30default_config_static_selectorELNS0_4arch9wavefront6targetE0EEEvT1_.uses_vcc, 0
	.set _ZN7rocprim17ROCPRIM_400000_NS6detail17trampoline_kernelINS0_14default_configENS1_27scan_by_key_config_selectorIitEEZZNS1_16scan_by_key_implILNS1_25lookback_scan_determinismE0ELb1ES3_N6thrust23THRUST_200600_302600_NS6detail15normal_iteratorINS9_10device_ptrIiEEEENSB_INSC_ItEEEESG_tNS9_4plusIvEENS9_8equal_toIvEEtEE10hipError_tPvRmT2_T3_T4_T5_mT6_T7_P12ihipStream_tbENKUlT_T0_E_clISt17integral_constantIbLb0EES10_IbLb1EEEEDaSW_SX_EUlSW_E_NS1_11comp_targetILNS1_3genE9ELNS1_11target_archE1100ELNS1_3gpuE3ELNS1_3repE0EEENS1_30default_config_static_selectorELNS0_4arch9wavefront6targetE0EEEvT1_.uses_flat_scratch, 0
	.set _ZN7rocprim17ROCPRIM_400000_NS6detail17trampoline_kernelINS0_14default_configENS1_27scan_by_key_config_selectorIitEEZZNS1_16scan_by_key_implILNS1_25lookback_scan_determinismE0ELb1ES3_N6thrust23THRUST_200600_302600_NS6detail15normal_iteratorINS9_10device_ptrIiEEEENSB_INSC_ItEEEESG_tNS9_4plusIvEENS9_8equal_toIvEEtEE10hipError_tPvRmT2_T3_T4_T5_mT6_T7_P12ihipStream_tbENKUlT_T0_E_clISt17integral_constantIbLb0EES10_IbLb1EEEEDaSW_SX_EUlSW_E_NS1_11comp_targetILNS1_3genE9ELNS1_11target_archE1100ELNS1_3gpuE3ELNS1_3repE0EEENS1_30default_config_static_selectorELNS0_4arch9wavefront6targetE0EEEvT1_.has_dyn_sized_stack, 0
	.set _ZN7rocprim17ROCPRIM_400000_NS6detail17trampoline_kernelINS0_14default_configENS1_27scan_by_key_config_selectorIitEEZZNS1_16scan_by_key_implILNS1_25lookback_scan_determinismE0ELb1ES3_N6thrust23THRUST_200600_302600_NS6detail15normal_iteratorINS9_10device_ptrIiEEEENSB_INSC_ItEEEESG_tNS9_4plusIvEENS9_8equal_toIvEEtEE10hipError_tPvRmT2_T3_T4_T5_mT6_T7_P12ihipStream_tbENKUlT_T0_E_clISt17integral_constantIbLb0EES10_IbLb1EEEEDaSW_SX_EUlSW_E_NS1_11comp_targetILNS1_3genE9ELNS1_11target_archE1100ELNS1_3gpuE3ELNS1_3repE0EEENS1_30default_config_static_selectorELNS0_4arch9wavefront6targetE0EEEvT1_.has_recursion, 0
	.set _ZN7rocprim17ROCPRIM_400000_NS6detail17trampoline_kernelINS0_14default_configENS1_27scan_by_key_config_selectorIitEEZZNS1_16scan_by_key_implILNS1_25lookback_scan_determinismE0ELb1ES3_N6thrust23THRUST_200600_302600_NS6detail15normal_iteratorINS9_10device_ptrIiEEEENSB_INSC_ItEEEESG_tNS9_4plusIvEENS9_8equal_toIvEEtEE10hipError_tPvRmT2_T3_T4_T5_mT6_T7_P12ihipStream_tbENKUlT_T0_E_clISt17integral_constantIbLb0EES10_IbLb1EEEEDaSW_SX_EUlSW_E_NS1_11comp_targetILNS1_3genE9ELNS1_11target_archE1100ELNS1_3gpuE3ELNS1_3repE0EEENS1_30default_config_static_selectorELNS0_4arch9wavefront6targetE0EEEvT1_.has_indirect_call, 0
	.section	.AMDGPU.csdata,"",@progbits
; Kernel info:
; codeLenInByte = 0
; TotalNumSgprs: 0
; NumVgprs: 0
; ScratchSize: 0
; MemoryBound: 0
; FloatMode: 240
; IeeeMode: 1
; LDSByteSize: 0 bytes/workgroup (compile time only)
; SGPRBlocks: 0
; VGPRBlocks: 0
; NumSGPRsForWavesPerEU: 1
; NumVGPRsForWavesPerEU: 1
; Occupancy: 16
; WaveLimiterHint : 0
; COMPUTE_PGM_RSRC2:SCRATCH_EN: 0
; COMPUTE_PGM_RSRC2:USER_SGPR: 6
; COMPUTE_PGM_RSRC2:TRAP_HANDLER: 0
; COMPUTE_PGM_RSRC2:TGID_X_EN: 1
; COMPUTE_PGM_RSRC2:TGID_Y_EN: 0
; COMPUTE_PGM_RSRC2:TGID_Z_EN: 0
; COMPUTE_PGM_RSRC2:TIDIG_COMP_CNT: 0
	.section	.text._ZN7rocprim17ROCPRIM_400000_NS6detail17trampoline_kernelINS0_14default_configENS1_27scan_by_key_config_selectorIitEEZZNS1_16scan_by_key_implILNS1_25lookback_scan_determinismE0ELb1ES3_N6thrust23THRUST_200600_302600_NS6detail15normal_iteratorINS9_10device_ptrIiEEEENSB_INSC_ItEEEESG_tNS9_4plusIvEENS9_8equal_toIvEEtEE10hipError_tPvRmT2_T3_T4_T5_mT6_T7_P12ihipStream_tbENKUlT_T0_E_clISt17integral_constantIbLb0EES10_IbLb1EEEEDaSW_SX_EUlSW_E_NS1_11comp_targetILNS1_3genE8ELNS1_11target_archE1030ELNS1_3gpuE2ELNS1_3repE0EEENS1_30default_config_static_selectorELNS0_4arch9wavefront6targetE0EEEvT1_,"axG",@progbits,_ZN7rocprim17ROCPRIM_400000_NS6detail17trampoline_kernelINS0_14default_configENS1_27scan_by_key_config_selectorIitEEZZNS1_16scan_by_key_implILNS1_25lookback_scan_determinismE0ELb1ES3_N6thrust23THRUST_200600_302600_NS6detail15normal_iteratorINS9_10device_ptrIiEEEENSB_INSC_ItEEEESG_tNS9_4plusIvEENS9_8equal_toIvEEtEE10hipError_tPvRmT2_T3_T4_T5_mT6_T7_P12ihipStream_tbENKUlT_T0_E_clISt17integral_constantIbLb0EES10_IbLb1EEEEDaSW_SX_EUlSW_E_NS1_11comp_targetILNS1_3genE8ELNS1_11target_archE1030ELNS1_3gpuE2ELNS1_3repE0EEENS1_30default_config_static_selectorELNS0_4arch9wavefront6targetE0EEEvT1_,comdat
	.protected	_ZN7rocprim17ROCPRIM_400000_NS6detail17trampoline_kernelINS0_14default_configENS1_27scan_by_key_config_selectorIitEEZZNS1_16scan_by_key_implILNS1_25lookback_scan_determinismE0ELb1ES3_N6thrust23THRUST_200600_302600_NS6detail15normal_iteratorINS9_10device_ptrIiEEEENSB_INSC_ItEEEESG_tNS9_4plusIvEENS9_8equal_toIvEEtEE10hipError_tPvRmT2_T3_T4_T5_mT6_T7_P12ihipStream_tbENKUlT_T0_E_clISt17integral_constantIbLb0EES10_IbLb1EEEEDaSW_SX_EUlSW_E_NS1_11comp_targetILNS1_3genE8ELNS1_11target_archE1030ELNS1_3gpuE2ELNS1_3repE0EEENS1_30default_config_static_selectorELNS0_4arch9wavefront6targetE0EEEvT1_ ; -- Begin function _ZN7rocprim17ROCPRIM_400000_NS6detail17trampoline_kernelINS0_14default_configENS1_27scan_by_key_config_selectorIitEEZZNS1_16scan_by_key_implILNS1_25lookback_scan_determinismE0ELb1ES3_N6thrust23THRUST_200600_302600_NS6detail15normal_iteratorINS9_10device_ptrIiEEEENSB_INSC_ItEEEESG_tNS9_4plusIvEENS9_8equal_toIvEEtEE10hipError_tPvRmT2_T3_T4_T5_mT6_T7_P12ihipStream_tbENKUlT_T0_E_clISt17integral_constantIbLb0EES10_IbLb1EEEEDaSW_SX_EUlSW_E_NS1_11comp_targetILNS1_3genE8ELNS1_11target_archE1030ELNS1_3gpuE2ELNS1_3repE0EEENS1_30default_config_static_selectorELNS0_4arch9wavefront6targetE0EEEvT1_
	.globl	_ZN7rocprim17ROCPRIM_400000_NS6detail17trampoline_kernelINS0_14default_configENS1_27scan_by_key_config_selectorIitEEZZNS1_16scan_by_key_implILNS1_25lookback_scan_determinismE0ELb1ES3_N6thrust23THRUST_200600_302600_NS6detail15normal_iteratorINS9_10device_ptrIiEEEENSB_INSC_ItEEEESG_tNS9_4plusIvEENS9_8equal_toIvEEtEE10hipError_tPvRmT2_T3_T4_T5_mT6_T7_P12ihipStream_tbENKUlT_T0_E_clISt17integral_constantIbLb0EES10_IbLb1EEEEDaSW_SX_EUlSW_E_NS1_11comp_targetILNS1_3genE8ELNS1_11target_archE1030ELNS1_3gpuE2ELNS1_3repE0EEENS1_30default_config_static_selectorELNS0_4arch9wavefront6targetE0EEEvT1_
	.p2align	8
	.type	_ZN7rocprim17ROCPRIM_400000_NS6detail17trampoline_kernelINS0_14default_configENS1_27scan_by_key_config_selectorIitEEZZNS1_16scan_by_key_implILNS1_25lookback_scan_determinismE0ELb1ES3_N6thrust23THRUST_200600_302600_NS6detail15normal_iteratorINS9_10device_ptrIiEEEENSB_INSC_ItEEEESG_tNS9_4plusIvEENS9_8equal_toIvEEtEE10hipError_tPvRmT2_T3_T4_T5_mT6_T7_P12ihipStream_tbENKUlT_T0_E_clISt17integral_constantIbLb0EES10_IbLb1EEEEDaSW_SX_EUlSW_E_NS1_11comp_targetILNS1_3genE8ELNS1_11target_archE1030ELNS1_3gpuE2ELNS1_3repE0EEENS1_30default_config_static_selectorELNS0_4arch9wavefront6targetE0EEEvT1_,@function
_ZN7rocprim17ROCPRIM_400000_NS6detail17trampoline_kernelINS0_14default_configENS1_27scan_by_key_config_selectorIitEEZZNS1_16scan_by_key_implILNS1_25lookback_scan_determinismE0ELb1ES3_N6thrust23THRUST_200600_302600_NS6detail15normal_iteratorINS9_10device_ptrIiEEEENSB_INSC_ItEEEESG_tNS9_4plusIvEENS9_8equal_toIvEEtEE10hipError_tPvRmT2_T3_T4_T5_mT6_T7_P12ihipStream_tbENKUlT_T0_E_clISt17integral_constantIbLb0EES10_IbLb1EEEEDaSW_SX_EUlSW_E_NS1_11comp_targetILNS1_3genE8ELNS1_11target_archE1030ELNS1_3gpuE2ELNS1_3repE0EEENS1_30default_config_static_selectorELNS0_4arch9wavefront6targetE0EEEvT1_: ; @_ZN7rocprim17ROCPRIM_400000_NS6detail17trampoline_kernelINS0_14default_configENS1_27scan_by_key_config_selectorIitEEZZNS1_16scan_by_key_implILNS1_25lookback_scan_determinismE0ELb1ES3_N6thrust23THRUST_200600_302600_NS6detail15normal_iteratorINS9_10device_ptrIiEEEENSB_INSC_ItEEEESG_tNS9_4plusIvEENS9_8equal_toIvEEtEE10hipError_tPvRmT2_T3_T4_T5_mT6_T7_P12ihipStream_tbENKUlT_T0_E_clISt17integral_constantIbLb0EES10_IbLb1EEEEDaSW_SX_EUlSW_E_NS1_11comp_targetILNS1_3genE8ELNS1_11target_archE1030ELNS1_3gpuE2ELNS1_3repE0EEENS1_30default_config_static_selectorELNS0_4arch9wavefront6targetE0EEEvT1_
; %bb.0:
	s_clause 0x2
	s_load_dword s28, s[4:5], 0x20
	s_load_dwordx4 s[16:19], s[4:5], 0x28
	s_load_dwordx2 s[24:25], s[4:5], 0x38
	v_cmp_eq_u32_e64 s0, 0, v0
	s_and_saveexec_b32 s1, s0
	s_cbranch_execz .LBB1570_4
; %bb.1:
	s_mov_b32 s3, exec_lo
	s_mov_b32 s2, exec_lo
	v_mbcnt_lo_u32_b32 v1, s3, 0
                                        ; implicit-def: $vgpr2
	v_cmpx_eq_u32_e32 0, v1
	s_cbranch_execz .LBB1570_3
; %bb.2:
	s_load_dwordx2 s[6:7], s[4:5], 0x68
	s_bcnt1_i32_b32 s3, s3
	v_mov_b32_e32 v2, 0
	v_mov_b32_e32 v3, s3
	s_waitcnt lgkmcnt(0)
	global_atomic_add v2, v2, v3, s[6:7] glc
.LBB1570_3:
	s_or_b32 exec_lo, exec_lo, s2
	s_waitcnt vmcnt(0)
	v_readfirstlane_b32 s2, v2
	v_mov_b32_e32 v2, 0
	v_add_nc_u32_e32 v1, s2, v1
	ds_write_b32 v2, v1
.LBB1570_4:
	s_or_b32 exec_lo, exec_lo, s1
	v_mov_b32_e32 v1, 0
	s_clause 0x2
	s_load_dwordx8 s[8:15], s[4:5], 0x0
	s_load_dword s1, s[4:5], 0x40
	s_load_dwordx4 s[20:23], s[4:5], 0x48
	s_waitcnt lgkmcnt(0)
	s_barrier
	buffer_gl0_inv
	ds_read_b32 v1, v1
	s_waitcnt lgkmcnt(0)
	s_barrier
	buffer_gl0_inv
	s_barrier
	buffer_gl0_inv
	s_lshl_b64 s[2:3], s[10:11], 2
	s_mul_i32 s6, s25, s1
	s_add_u32 s8, s8, s2
	s_addc_u32 s9, s9, s3
	s_lshl_b64 s[10:11], s[10:11], 1
	s_mov_b32 s3, 0
	v_readfirstlane_b32 s19, v1
	s_mul_hi_u32 s7, s24, s1
	s_add_u32 s29, s12, s10
	s_addc_u32 s30, s13, s11
	s_add_i32 s7, s7, s6
	s_mul_i32 s2, s19, 0x1c0
	s_mul_i32 s1, s24, s1
	s_lshl_b64 s[4:5], s[2:3], 2
	v_add_co_u32 v1, s1, s1, v1
	s_add_u32 s26, s8, s4
	s_addc_u32 s27, s9, s5
	s_lshl_b64 s[12:13], s[2:3], 1
	v_add_co_ci_u32_e64 v2, null, s7, 0, s1
	s_add_u32 s29, s29, s12
	s_addc_u32 s30, s30, s13
	s_add_u32 s4, s20, -1
	s_addc_u32 s5, s21, -1
	s_mul_i32 s9, s4, 0xfffffe40
	v_cmp_le_u64_e64 s1, s[4:5], v[1:2]
	s_and_b32 vcc_lo, exec_lo, s1
	s_cbranch_vccz .LBB1570_44
; %bb.5:
	v_mov_b32_e32 v1, s26
	v_mov_b32_e32 v2, s27
	s_add_i32 s20, s9, s18
	v_cmp_gt_u32_e64 s7, s20, v0
	flat_load_dword v1, v[1:2]
	s_waitcnt vmcnt(0) lgkmcnt(0)
	v_mov_b32_e32 v2, v1
	s_and_saveexec_b32 s2, s7
	s_cbranch_execz .LBB1570_7
; %bb.6:
	v_lshlrev_b32_e32 v2, 2, v0
	v_add_co_u32 v2, s3, s26, v2
	v_add_co_ci_u32_e64 v3, null, s27, 0, s3
	flat_load_dword v2, v[2:3]
.LBB1570_7:
	s_or_b32 exec_lo, exec_lo, s2
	v_or_b32_e32 v3, 64, v0
	v_cmp_gt_u32_e64 s6, s20, v3
	v_mov_b32_e32 v3, v1
	s_and_saveexec_b32 s2, s6
	s_cbranch_execz .LBB1570_9
; %bb.8:
	v_lshlrev_b32_e32 v3, 2, v0
	v_add_co_u32 v3, s3, s26, v3
	v_add_co_ci_u32_e64 v4, null, s27, 0, s3
	flat_load_dword v3, v[3:4] offset:256
.LBB1570_9:
	s_or_b32 exec_lo, exec_lo, s2
	v_or_b32_e32 v4, 0x80, v0
	v_cmp_gt_u32_e64 s5, s20, v4
	v_mov_b32_e32 v4, v1
	s_and_saveexec_b32 s2, s5
	s_cbranch_execz .LBB1570_11
; %bb.10:
	v_lshlrev_b32_e32 v4, 2, v0
	v_add_co_u32 v4, s3, s26, v4
	v_add_co_ci_u32_e64 v5, null, s27, 0, s3
	flat_load_dword v4, v[4:5] offset:512
.LBB1570_11:
	;; [unrolled: 12-line block ×5, first 2 shown]
	s_or_b32 exec_lo, exec_lo, s8
	v_or_b32_e32 v8, 0x180, v0
	v_cmp_le_u32_e64 s8, s20, v8
	v_cmp_gt_u32_e32 vcc_lo, s20, v8
	s_and_saveexec_b32 s21, s8
	s_xor_b32 s8, exec_lo, s21
	s_andn2_saveexec_b32 s8, s8
	s_cbranch_execz .LBB1570_19
; %bb.18:
	v_lshlrev_b32_e32 v1, 2, v0
	v_add_co_u32 v8, s21, s26, v1
	v_add_co_ci_u32_e64 v9, null, s27, 0, s21
	flat_load_dword v1, v[8:9] offset:1536
.LBB1570_19:
	s_or_b32 exec_lo, exec_lo, s8
	v_mov_b32_e32 v8, s26
	v_lshlrev_b32_e32 v10, 2, v0
	v_mov_b32_e32 v9, s27
	s_mov_b32 s21, exec_lo
	s_waitcnt vmcnt(0) lgkmcnt(0)
	ds_write2st64_b32 v10, v2, v3 offset1:1
	ds_write2st64_b32 v10, v4, v5 offset0:2 offset1:3
	ds_write2st64_b32 v10, v6, v7 offset0:4 offset1:5
	ds_write_b32 v10, v1 offset:1536
	s_waitcnt lgkmcnt(0)
	s_barrier
	buffer_gl0_inv
	flat_load_dword v17, v[8:9]
	v_mad_u32_u24 v1, v0, 24, v10
	ds_read_b32 v22, v1
	ds_read2_b32 v[9:10], v1 offset0:1 offset1:2
	ds_read2_b32 v[7:8], v1 offset0:3 offset1:4
	;; [unrolled: 1-line block ×3, first 2 shown]
	v_mad_i32_i24 v11, 0xffffffe8, v0, v1
	s_waitcnt lgkmcnt(3)
	ds_write_b32 v11, v22 offset:2048
	s_waitcnt vmcnt(0) lgkmcnt(0)
	s_barrier
	buffer_gl0_inv
	v_cmpx_ne_u32_e32 63, v0
; %bb.20:
	ds_read_b32 v17, v11 offset:2052
; %bb.21:
	s_or_b32 exec_lo, exec_lo, s21
	v_mov_b32_e32 v1, 0
	v_lshlrev_b32_e32 v12, 1, v0
	s_waitcnt lgkmcnt(0)
	s_barrier
	buffer_gl0_inv
	v_mov_b32_e32 v2, v1
	v_mov_b32_e32 v3, v1
	;; [unrolled: 1-line block ×3, first 2 shown]
	s_and_saveexec_b32 s8, s7
	s_cbranch_execnz .LBB1570_166
; %bb.22:
	s_or_b32 exec_lo, exec_lo, s8
	s_and_saveexec_b32 s7, s6
	s_cbranch_execnz .LBB1570_167
.LBB1570_23:
	s_or_b32 exec_lo, exec_lo, s7
	s_and_saveexec_b32 s6, s5
	s_cbranch_execnz .LBB1570_168
.LBB1570_24:
	s_or_b32 exec_lo, exec_lo, s6
	s_and_saveexec_b32 s5, s4
	s_cbranch_execnz .LBB1570_169
.LBB1570_25:
	s_or_b32 exec_lo, exec_lo, s5
	s_and_saveexec_b32 s4, s3
	s_cbranch_execnz .LBB1570_170
.LBB1570_26:
	s_or_b32 exec_lo, exec_lo, s4
	s_and_saveexec_b32 s3, s2
	s_cbranch_execnz .LBB1570_171
.LBB1570_27:
	s_or_b32 exec_lo, exec_lo, s3
	v_mul_u32_u24_e32 v23, 7, v0
	s_and_saveexec_b32 s2, vcc_lo
	s_cbranch_execz .LBB1570_29
.LBB1570_28:
	v_add_co_u32 v12, s3, s29, v12
	v_add_co_ci_u32_e64 v13, null, s30, 0, s3
	flat_load_short_d16 v4, v[12:13] offset:768
.LBB1570_29:
	s_or_b32 exec_lo, exec_lo, s2
	v_lshlrev_b32_e32 v12, 1, v0
	v_cmp_gt_u32_e32 vcc_lo, s20, v23
	v_mov_b32_e32 v14, 0
	v_mov_b32_e32 v21, 0
	;; [unrolled: 1-line block ×3, first 2 shown]
	v_sub_nc_u32_e32 v24, v11, v12
	v_mov_b32_e32 v18, 0
	v_mov_b32_e32 v16, 0
	;; [unrolled: 1-line block ×4, first 2 shown]
	s_waitcnt vmcnt(0) lgkmcnt(0)
	ds_write_b16 v24, v1
	ds_write_b16_d16_hi v24, v1 offset:128
	ds_write_b16 v24, v2 offset:256
	ds_write_b16_d16_hi v24, v2 offset:384
	ds_write_b16 v24, v3 offset:512
	;; [unrolled: 2-line block ×3, first 2 shown]
	v_mov_b32_e32 v1, 0
	v_mov_b32_e32 v4, 0
	;; [unrolled: 1-line block ×4, first 2 shown]
	s_mov_b32 s4, 0
	s_mov_b32 s3, 0
	s_waitcnt lgkmcnt(0)
	s_barrier
	buffer_gl0_inv
                                        ; implicit-def: $sgpr5
                                        ; implicit-def: $vgpr19
	s_and_saveexec_b32 s6, vcc_lo
	s_cbranch_execz .LBB1570_43
; %bb.30:
	v_mad_u32_u24 v1, v0, 12, v24
	v_cmp_eq_u32_e32 vcc_lo, v22, v9
	v_add_nc_u32_e32 v3, 1, v23
	v_mov_b32_e32 v21, 0
	v_mov_b32_e32 v20, 0
	ds_read_u16 v2, v1
	v_mov_b32_e32 v1, 0
	v_mov_b32_e32 v18, 0
	;; [unrolled: 1-line block ×6, first 2 shown]
	v_cndmask_b32_e64 v16, 0x10000, 0, vcc_lo
	v_mov_b32_e32 v11, 0
	s_mov_b32 s7, 0
	s_mov_b32 s3, exec_lo
                                        ; implicit-def: $sgpr5
                                        ; implicit-def: $vgpr19
	s_waitcnt lgkmcnt(0)
	v_cndmask_b32_e32 v14, s28, v2, vcc_lo
	v_cmpx_gt_u32_e64 s20, v3
	s_cbranch_execz .LBB1570_42
; %bb.31:
	v_mul_u32_u24_e32 v1, 12, v0
	v_add_nc_u32_e32 v11, 2, v23
	v_cmp_eq_u32_e32 vcc_lo, v9, v10
	v_mov_b32_e32 v21, 0
	v_mov_b32_e32 v20, 0
	v_add_nc_u32_e32 v1, v24, v1
	v_mov_b32_e32 v18, 0
	v_mov_b32_e32 v4, 0
	;; [unrolled: 1-line block ×4, first 2 shown]
	ds_read_b96 v[1:3], v1 offset:2
	v_cmp_gt_u32_e64 s2, s20, v11
	v_cndmask_b32_e64 v15, 0x10000, 0, vcc_lo
	v_mov_b32_e32 v11, 0
	s_mov_b32 s8, 0
                                        ; implicit-def: $sgpr5
                                        ; implicit-def: $vgpr19
	s_waitcnt lgkmcnt(0)
	v_cndmask_b32_e32 v9, s28, v1, vcc_lo
	s_and_saveexec_b32 s7, s2
	s_cbranch_execz .LBB1570_41
; %bb.32:
	v_add_nc_u32_e32 v4, 3, v23
	v_cmp_eq_u32_e32 vcc_lo, v10, v7
	v_mov_b32_e32 v20, 0
	v_mov_b32_e32 v18, 0
	;; [unrolled: 1-line block ×3, first 2 shown]
	v_cmp_gt_u32_e64 s2, s20, v4
	v_cndmask_b32_e64 v10, 0x10000, 0, vcc_lo
	v_cndmask_b32_sdwa v1, s28, v1, vcc_lo dst_sel:DWORD dst_unused:UNUSED_PAD src0_sel:DWORD src1_sel:WORD_1
	v_mov_b32_e32 v4, 0
	v_mov_b32_e32 v11, 0
	s_mov_b32 s21, 0
                                        ; implicit-def: $sgpr5
                                        ; implicit-def: $vgpr19
	s_and_saveexec_b32 s8, s2
	s_cbranch_execz .LBB1570_40
; %bb.33:
	v_cmp_eq_u32_e32 vcc_lo, v7, v8
	v_add_nc_u32_e32 v4, 4, v23
	v_mov_b32_e32 v18, 0
	v_mov_b32_e32 v11, 0
                                        ; implicit-def: $sgpr5
                                        ; implicit-def: $vgpr19
	v_cndmask_b32_e32 v7, s28, v2, vcc_lo
	v_cndmask_b32_e64 v12, 0x10000, 0, vcc_lo
	v_cmp_gt_u32_e32 vcc_lo, s20, v4
	v_mov_b32_e32 v4, 0
	s_and_saveexec_b32 s2, vcc_lo
	s_cbranch_execz .LBB1570_39
; %bb.34:
	v_cmp_eq_u32_e32 vcc_lo, v8, v5
	v_mov_b32_e32 v4, 0
	v_add_nc_u32_e32 v11, 5, v23
	s_mov_b32 s31, 0
	s_mov_b32 s21, exec_lo
	v_cndmask_b32_e64 v8, 0x10000, 0, vcc_lo
	v_cndmask_b32_sdwa v2, s28, v2, vcc_lo dst_sel:DWORD dst_unused:UNUSED_PAD src0_sel:DWORD src1_sel:WORD_1
                                        ; implicit-def: $sgpr5
                                        ; implicit-def: $vgpr19
	v_cmpx_gt_u32_e64 s20, v11
	s_cbranch_execz .LBB1570_38
; %bb.35:
	v_cmp_eq_u32_e32 vcc_lo, v5, v6
	v_add_nc_u32_e32 v11, 6, v23
                                        ; implicit-def: $sgpr5
                                        ; implicit-def: $vgpr19
	v_cndmask_b32_e32 v4, s28, v3, vcc_lo
	v_cndmask_b32_e64 v5, 0x10000, 0, vcc_lo
	v_cmp_gt_u32_e32 vcc_lo, s20, v11
	s_mov_b32 s20, 0
	s_and_saveexec_b32 s31, vcc_lo
	s_xor_b32 s31, exec_lo, s31
; %bb.36:
	v_lshrrev_b32_e32 v3, 16, v3
	v_cmp_ne_u32_e64 s5, v6, v17
	s_mov_b32 s20, exec_lo
	v_cndmask_b32_e64 v19, v3, s28, s5
; %bb.37:
	s_or_b32 exec_lo, exec_lo, s31
	v_or_b32_sdwa v4, v5, v4 dst_sel:DWORD dst_unused:UNUSED_PAD src0_sel:DWORD src1_sel:WORD_0
	s_and_b32 s31, s20, exec_lo
.LBB1570_38:
	s_or_b32 exec_lo, exec_lo, s21
	v_or_b32_sdwa v18, v8, v2 dst_sel:DWORD dst_unused:UNUSED_PAD src0_sel:DWORD src1_sel:WORD_0
	v_mov_b32_e32 v11, v4
	s_and_b32 s21, s31, exec_lo
.LBB1570_39:
	s_or_b32 exec_lo, exec_lo, s2
	v_or_b32_sdwa v20, v12, v7 dst_sel:DWORD dst_unused:UNUSED_PAD src0_sel:DWORD src1_sel:WORD_0
	v_mov_b32_e32 v12, v18
	s_and_b32 s21, s21, exec_lo
.LBB1570_40:
	s_or_b32 exec_lo, exec_lo, s8
	v_or_b32_sdwa v21, v10, v1 dst_sel:DWORD dst_unused:UNUSED_PAD src0_sel:DWORD src1_sel:WORD_0
	v_mov_b32_e32 v13, v20
	s_and_b32 s8, s21, exec_lo
.LBB1570_41:
	s_or_b32 exec_lo, exec_lo, s7
	v_or_b32_sdwa v1, v15, v9 dst_sel:DWORD dst_unused:UNUSED_PAD src0_sel:DWORD src1_sel:WORD_0
	v_mov_b32_e32 v15, v21
	s_and_b32 s7, s8, exec_lo
.LBB1570_42:
	s_or_b32 exec_lo, exec_lo, s3
	v_or_b32_sdwa v14, v16, v14 dst_sel:DWORD dst_unused:UNUSED_PAD src0_sel:DWORD src1_sel:WORD_0
	v_mov_b32_e32 v16, v1
	s_and_b32 s3, s7, exec_lo
.LBB1570_43:
	s_or_b32 exec_lo, exec_lo, s6
	s_and_b32 vcc_lo, exec_lo, s4
	s_cbranch_vccnz .LBB1570_45
	s_branch .LBB1570_48
.LBB1570_44:
                                        ; implicit-def: $sgpr5
                                        ; implicit-def: $vgpr19
                                        ; implicit-def: $vgpr14
                                        ; implicit-def: $vgpr1
                                        ; implicit-def: $vgpr21
                                        ; implicit-def: $vgpr20
                                        ; implicit-def: $vgpr18
                                        ; implicit-def: $vgpr4
                                        ; implicit-def: $vgpr16
                                        ; implicit-def: $vgpr15
                                        ; implicit-def: $vgpr13
                                        ; implicit-def: $vgpr12
                                        ; implicit-def: $vgpr11
	s_cbranch_execz .LBB1570_48
.LBB1570_45:
	v_lshlrev_b32_e32 v3, 2, v0
	v_add_co_u32 v1, s2, s26, v3
	v_add_co_ci_u32_e64 v2, null, s27, 0, s2
	s_mov_b32 s2, exec_lo
	s_clause 0x6
	flat_load_dword v4, v[1:2]
	flat_load_dword v5, v[1:2] offset:256
	flat_load_dword v6, v[1:2] offset:512
	;; [unrolled: 1-line block ×6, first 2 shown]
	v_mov_b32_e32 v1, s26
	v_mov_b32_e32 v2, s27
	s_waitcnt vmcnt(5) lgkmcnt(5)
	ds_write2st64_b32 v3, v4, v5 offset1:1
	s_waitcnt vmcnt(3) lgkmcnt(4)
	ds_write2st64_b32 v3, v6, v7 offset0:2 offset1:3
	s_waitcnt vmcnt(1) lgkmcnt(3)
	ds_write2st64_b32 v3, v8, v9 offset0:4 offset1:5
	s_waitcnt vmcnt(0) lgkmcnt(3)
	ds_write_b32 v3, v10 offset:1536
	s_waitcnt lgkmcnt(0)
	s_barrier
	buffer_gl0_inv
	flat_load_dword v7, v[1:2] offset:1792
	v_mad_u32_u24 v9, v0, 24, v3
	ds_read_b32 v8, v9
	ds_read2_b32 v[3:4], v9 offset0:1 offset1:2
	ds_read2_b32 v[5:6], v9 offset0:3 offset1:4
	;; [unrolled: 1-line block ×3, first 2 shown]
	v_mad_i32_i24 v9, 0xffffffe8, v0, v9
	s_waitcnt lgkmcnt(3)
	ds_write_b32 v9, v8 offset:2048
	s_waitcnt vmcnt(0) lgkmcnt(0)
	s_barrier
	buffer_gl0_inv
	v_cmpx_ne_u32_e32 63, v0
; %bb.46:
	ds_read_b32 v7, v9 offset:2052
; %bb.47:
	s_or_b32 exec_lo, exec_lo, s2
	v_lshlrev_b32_e32 v12, 1, v0
	s_waitcnt lgkmcnt(0)
	s_barrier
	buffer_gl0_inv
	v_cmp_eq_u32_e32 vcc_lo, v3, v4
	v_add_co_u32 v10, s2, s29, v12
	v_add_co_ci_u32_e64 v11, null, s30, 0, s2
	v_sub_nc_u32_e32 v9, v9, v12
	v_cmp_eq_u32_e64 s2, v5, v6
	v_cmp_eq_u32_e64 s4, v1, v2
	s_clause 0x6
	flat_load_ushort v13, v[10:11]
	flat_load_ushort v14, v[10:11] offset:128
	flat_load_ushort v15, v[10:11] offset:256
	;; [unrolled: 1-line block ×6, first 2 shown]
	v_cmp_eq_u32_e64 s5, v4, v5
	v_mad_u32_u24 v12, v0, 12, v9
	v_cmp_eq_u32_e64 s3, v8, v3
	v_cmp_eq_u32_e64 s6, v6, v1
	v_cndmask_b32_e64 v3, 0x10000, 0, s4
	v_cndmask_b32_e64 v8, 0x10000, 0, s5
	s_waitcnt vmcnt(6) lgkmcnt(6)
	ds_write_b16 v9, v13
	s_waitcnt vmcnt(5) lgkmcnt(6)
	ds_write_b16 v9, v14 offset:128
	s_waitcnt vmcnt(4) lgkmcnt(6)
	ds_write_b16 v9, v15 offset:256
	;; [unrolled: 2-line block ×6, first 2 shown]
	s_waitcnt lgkmcnt(0)
	s_barrier
	buffer_gl0_inv
	ds_read_b96 v[9:11], v12
	ds_read_u16 v12, v12 offset:12
	v_cndmask_b32_e64 v13, 0x10000, 0, vcc_lo
	v_cndmask_b32_e64 v15, 0x10000, 0, s2
	v_cndmask_b32_e64 v4, 0x10000, 0, s3
	;; [unrolled: 1-line block ×3, first 2 shown]
	s_waitcnt lgkmcnt(1)
	v_cndmask_b32_sdwa v5, s28, v9, vcc_lo dst_sel:DWORD dst_unused:UNUSED_PAD src0_sel:DWORD src1_sel:WORD_1
	s_mov_b32 vcc_lo, s2
	v_cndmask_b32_e64 v6, s28, v10, s5
	v_cndmask_b32_sdwa v10, s28, v10, vcc_lo dst_sel:DWORD dst_unused:UNUSED_PAD src0_sel:DWORD src1_sel:WORD_1
	s_mov_b32 vcc_lo, s4
	v_cndmask_b32_e64 v1, s28, v9, s3
	v_cndmask_b32_e64 v9, s28, v11, s6
	v_cndmask_b32_sdwa v11, s28, v11, vcc_lo dst_sel:DWORD dst_unused:UNUSED_PAD src0_sel:DWORD src1_sel:WORD_1
	v_or_b32_sdwa v21, v8, v6 dst_sel:DWORD dst_unused:UNUSED_PAD src0_sel:DWORD src1_sel:WORD_0
	v_or_b32_sdwa v20, v15, v10 dst_sel:DWORD dst_unused:UNUSED_PAD src0_sel:DWORD src1_sel:WORD_0
	;; [unrolled: 1-line block ×6, first 2 shown]
	v_cmp_ne_u32_e64 s5, v2, v7
	v_mov_b32_e32 v15, v21
	v_mov_b32_e32 v16, v1
	;; [unrolled: 1-line block ×4, first 2 shown]
	s_waitcnt lgkmcnt(0)
	v_cndmask_b32_e64 v19, v12, s28, s5
	v_mov_b32_e32 v12, v18
	s_mov_b32 s3, -1
.LBB1570_48:
	v_mov_b32_e32 v10, 0
	s_and_saveexec_b32 s2, s3
	s_cbranch_execz .LBB1570_50
; %bb.49:
	v_cndmask_b32_e64 v2, 0, 0x10000, s5
	v_mov_b32_e32 v11, v4
	v_mov_b32_e32 v12, v18
	;; [unrolled: 1-line block ×4, first 2 shown]
	v_or_b32_sdwa v10, v2, v19 dst_sel:DWORD dst_unused:UNUSED_PAD src0_sel:DWORD src1_sel:WORD_0
	v_mov_b32_e32 v16, v1
.LBB1570_50:
	s_or_b32 exec_lo, exec_lo, s2
	v_or_b32_e32 v1, v11, v10
	v_cmp_gt_u32_e64 s5, 0x10000, v16
	v_and_b32_e32 v17, 0x10000, v14
	v_cmp_gt_u32_e64 s6, 0x10000, v15
	v_cmp_gt_u32_e64 s4, 0x10000, v13
	;; [unrolled: 1-line block ×4, first 2 shown]
	v_or3_b32 v18, v1, v12, v13
	v_mbcnt_lo_u32_b32 v9, -1, 0
	s_cmp_lg_u32 s19, 0
	v_cmp_gt_u32_e32 vcc_lo, 0x10000, v10
	s_barrier
	buffer_gl0_inv
	s_cbranch_scc0 .LBB1570_104
; %bb.51:
	v_cndmask_b32_e64 v1, 0, v14, s5
	v_or3_b32 v2, v18, v15, v16
	v_and_b32_e32 v3, 15, v9
	s_mov_b32 s7, exec_lo
	v_add_nc_u16 v1, v1, v16
	v_and_b32_e32 v2, 0xff0000, v2
	v_cndmask_b32_e64 v1, 0, v1, s6
	v_add_nc_u16 v1, v1, v15
	v_cndmask_b32_e64 v1, 0, v1, s4
	v_add_nc_u16 v1, v1, v13
	;; [unrolled: 2-line block ×4, first 2 shown]
	v_cndmask_b32_e32 v1, 0, v1, vcc_lo
	v_cmp_eq_u32_e32 vcc_lo, 0, v2
	v_add_nc_u16 v1, v1, v10
	v_cndmask_b32_e32 v5, 0x10000, v17, vcc_lo
	v_or_b32_sdwa v4, v5, v1 dst_sel:DWORD dst_unused:UNUSED_PAD src0_sel:DWORD src1_sel:WORD_0
	v_lshrrev_b32_e32 v2, 16, v5
	v_mov_b32_dpp v6, v4 row_shr:1 row_mask:0xf bank_mask:0xf
	v_cmpx_ne_u32_e32 0, v3
	s_cbranch_execz .LBB1570_53
; %bb.52:
	v_mov_b32_e32 v2, 1
	v_and_b32_e32 v4, 0x10000, v5
	v_cmp_eq_u32_e32 vcc_lo, 0, v5
	v_and_b32_sdwa v2, v6, v2 dst_sel:DWORD dst_unused:UNUSED_PAD src0_sel:WORD_1 src1_sel:DWORD
	v_cndmask_b32_e32 v5, 0, v6, vcc_lo
	v_cmp_ne_u32_e32 vcc_lo, 0, v4
	v_add_nc_u16 v1, v5, v1
	v_cndmask_b32_e64 v2, v2, 1, vcc_lo
	v_lshlrev_b32_e32 v4, 16, v2
	v_or_b32_sdwa v4, v4, v1 dst_sel:DWORD dst_unused:UNUSED_PAD src0_sel:DWORD src1_sel:WORD_0
.LBB1570_53:
	s_or_b32 exec_lo, exec_lo, s7
	v_lshrrev_b32_e32 v5, 16, v4
	v_mov_b32_dpp v6, v4 row_shr:2 row_mask:0xf bank_mask:0xf
	s_mov_b32 s7, exec_lo
	v_cmpx_lt_u32_e32 1, v3
	s_cbranch_execz .LBB1570_55
; %bb.54:
	v_mov_b32_e32 v2, 1
	v_and_b32_e32 v5, 0x10000, v4
	v_cmp_gt_u32_e32 vcc_lo, 0x10000, v4
	v_and_b32_sdwa v2, v6, v2 dst_sel:DWORD dst_unused:UNUSED_PAD src0_sel:WORD_1 src1_sel:DWORD
	v_cndmask_b32_e32 v4, 0, v6, vcc_lo
	v_cmp_ne_u32_e32 vcc_lo, 0, v5
	v_add_nc_u16 v1, v4, v1
	v_cndmask_b32_e64 v2, v2, 1, vcc_lo
	v_lshlrev_b32_e32 v4, 16, v2
	v_mov_b32_e32 v5, v2
	v_or_b32_sdwa v4, v4, v1 dst_sel:DWORD dst_unused:UNUSED_PAD src0_sel:DWORD src1_sel:WORD_0
.LBB1570_55:
	s_or_b32 exec_lo, exec_lo, s7
	v_mov_b32_dpp v6, v4 row_shr:4 row_mask:0xf bank_mask:0xf
	s_mov_b32 s7, exec_lo
	v_cmpx_lt_u32_e32 3, v3
	s_cbranch_execz .LBB1570_57
; %bb.56:
	v_mov_b32_e32 v2, 1
	v_and_b32_e32 v4, 1, v5
	v_cmp_eq_u16_e32 vcc_lo, 0, v5
	v_and_b32_sdwa v2, v6, v2 dst_sel:DWORD dst_unused:UNUSED_PAD src0_sel:WORD_1 src1_sel:DWORD
	v_cndmask_b32_e32 v5, 0, v6, vcc_lo
	v_cmp_eq_u32_e32 vcc_lo, 1, v4
	v_add_nc_u16 v1, v5, v1
	v_cndmask_b32_e64 v2, v2, 1, vcc_lo
	v_lshlrev_b32_e32 v4, 16, v2
	v_mov_b32_e32 v5, v2
	v_or_b32_sdwa v4, v4, v1 dst_sel:DWORD dst_unused:UNUSED_PAD src0_sel:DWORD src1_sel:WORD_0
.LBB1570_57:
	s_or_b32 exec_lo, exec_lo, s7
	v_mov_b32_dpp v6, v4 row_shr:8 row_mask:0xf bank_mask:0xf
	s_mov_b32 s7, exec_lo
	v_cmpx_lt_u32_e32 7, v3
	s_cbranch_execz .LBB1570_59
; %bb.58:
	v_mov_b32_e32 v2, 1
	v_and_b32_e32 v3, 1, v5
	v_cmp_eq_u16_e32 vcc_lo, 0, v5
	v_and_b32_sdwa v2, v6, v2 dst_sel:DWORD dst_unused:UNUSED_PAD src0_sel:WORD_1 src1_sel:DWORD
	v_cndmask_b32_e32 v4, 0, v6, vcc_lo
	v_cmp_eq_u32_e32 vcc_lo, 1, v3
	v_add_nc_u16 v1, v4, v1
	v_cndmask_b32_e64 v2, v2, 1, vcc_lo
	v_lshlrev_b32_e32 v3, 16, v2
	v_mov_b32_e32 v5, v2
	v_or_b32_sdwa v4, v3, v1 dst_sel:DWORD dst_unused:UNUSED_PAD src0_sel:DWORD src1_sel:WORD_0
.LBB1570_59:
	s_or_b32 exec_lo, exec_lo, s7
	ds_swizzle_b32 v3, v4 offset:swizzle(BROADCAST,32,15)
	v_and_b32_e32 v4, 16, v9
	s_mov_b32 s7, exec_lo
	v_cmpx_ne_u32_e32 0, v4
	s_cbranch_execz .LBB1570_61
; %bb.60:
	v_mov_b32_e32 v2, 1
	v_cmp_eq_u16_e32 vcc_lo, 0, v5
	v_and_b32_e32 v5, 1, v5
	s_waitcnt lgkmcnt(0)
	v_and_b32_sdwa v2, v3, v2 dst_sel:DWORD dst_unused:UNUSED_PAD src0_sel:WORD_1 src1_sel:DWORD
	v_cndmask_b32_e32 v4, 0, v3, vcc_lo
	v_cmp_eq_u32_e32 vcc_lo, 1, v5
	v_add_nc_u16 v1, v4, v1
	v_cndmask_b32_e64 v2, v2, 1, vcc_lo
.LBB1570_61:
	s_or_b32 exec_lo, exec_lo, s7
	s_waitcnt lgkmcnt(0)
	v_or_b32_e32 v3, 31, v0
	v_lshrrev_b32_e32 v4, 5, v0
	v_cmp_eq_u32_e32 vcc_lo, v0, v3
	v_lshlrev_b32_e32 v3, 2, v4
	s_and_saveexec_b32 s7, vcc_lo
	s_cbranch_execz .LBB1570_63
; %bb.62:
	ds_write_b16 v3, v1
	ds_write_b8 v3, v2 offset:2
.LBB1570_63:
	s_or_b32 exec_lo, exec_lo, s7
	s_mov_b32 s7, exec_lo
	s_waitcnt lgkmcnt(0)
	s_barrier
	buffer_gl0_inv
	v_cmpx_gt_u32_e32 2, v0
	s_cbranch_execz .LBB1570_67
; %bb.64:
	v_lshlrev_b32_e32 v4, 2, v0
	v_and_b32_e32 v8, 1, v9
	s_mov_b32 s8, exec_lo
	ds_read_b32 v5, v4
	s_waitcnt lgkmcnt(0)
	v_lshrrev_b32_e32 v6, 16, v5
	v_mov_b32_dpp v7, v5 row_shr:1 row_mask:0xf bank_mask:0xf
	v_cmpx_eq_u32_e32 1, v8
	s_cbranch_execz .LBB1570_66
; %bb.65:
	v_mov_b32_e32 v8, 0
	v_mov_b32_e32 v19, 1
	v_cmp_eq_u16_sdwa vcc_lo, v6, v8 src0_sel:BYTE_0 src1_sel:DWORD
	v_and_b32_e32 v8, 0x10000, v5
	v_cndmask_b32_e32 v6, 0, v7, vcc_lo
	v_and_b32_sdwa v7, v7, v19 dst_sel:DWORD dst_unused:UNUSED_PAD src0_sel:WORD_1 src1_sel:DWORD
	v_cmp_ne_u32_e32 vcc_lo, 0, v8
	v_add_nc_u16 v5, v6, v5
	v_cndmask_b32_e64 v6, v7, 1, vcc_lo
.LBB1570_66:
	s_or_b32 exec_lo, exec_lo, s8
	ds_write_b16 v4, v5
	ds_write_b8 v4, v6 offset:2
.LBB1570_67:
	s_or_b32 exec_lo, exec_lo, s7
	v_mov_b32_e32 v19, 0
	v_mov_b32_e32 v20, 0
	s_mov_b32 s8, exec_lo
	v_cmp_gt_u32_e32 vcc_lo, 32, v0
	s_waitcnt lgkmcnt(0)
	s_barrier
	buffer_gl0_inv
	v_cmpx_lt_u32_e32 31, v0
	s_cbranch_execz .LBB1570_69
; %bb.68:
	v_add_nc_u32_e32 v4, -4, v3
	v_add_nc_u32_e32 v3, -2, v3
	v_cmp_eq_u16_e64 s7, 0, v2
	v_and_b32_e32 v2, 1, v2
	ds_read_u16 v19, v4
	ds_read_u8 v20, v3
	s_waitcnt lgkmcnt(1)
	v_cndmask_b32_e64 v3, 0, v19, s7
	v_cmp_eq_u32_e64 s7, 1, v2
	v_add_nc_u16 v1, v3, v1
	s_waitcnt lgkmcnt(0)
	v_cndmask_b32_e64 v2, v20, 1, s7
.LBB1570_69:
	s_or_b32 exec_lo, exec_lo, s8
	v_sub_co_u32 v3, s7, v9, 1
	v_and_b32_e32 v2, 0xff, v2
	v_and_b32_e32 v1, 0xffff, v1
	v_cmp_gt_i32_e64 s8, 0, v3
	v_lshl_or_b32 v1, v2, 16, v1
	v_cndmask_b32_e64 v3, v3, v9, s8
	v_lshlrev_b32_e32 v2, 2, v3
	ds_bpermute_b32 v21, v2, v1
	s_and_saveexec_b32 s8, vcc_lo
	s_cbranch_execz .LBB1570_109
; %bb.70:
	v_mov_b32_e32 v6, 0
	ds_read_b32 v1, v6 offset:4
	s_and_saveexec_b32 s20, s7
	s_cbranch_execz .LBB1570_72
; %bb.71:
	s_add_i32 s26, s19, 32
	s_mov_b32 s27, 0
	v_mov_b32_e32 v2, 1
	s_lshl_b64 s[26:27], s[26:27], 3
	s_add_u32 s26, s16, s26
	s_addc_u32 s27, s17, s27
	s_waitcnt lgkmcnt(0)
	global_store_dwordx2 v6, v[1:2], s[26:27]
.LBB1570_72:
	s_or_b32 exec_lo, exec_lo, s20
	v_xad_u32 v2, v9, -1, s19
	s_mov_b32 s21, 0
	v_add_nc_u32_e32 v5, 32, v2
	v_lshlrev_b64 v[3:4], 3, v[5:6]
	v_add_co_u32 v7, vcc_lo, s16, v3
	v_add_co_ci_u32_e64 v8, null, s17, v4, vcc_lo
	global_load_dwordx2 v[4:5], v[7:8], off glc dlc
	s_waitcnt vmcnt(0)
	v_cmp_eq_u16_sdwa s26, v5, v6 src0_sel:BYTE_0 src1_sel:DWORD
	s_and_saveexec_b32 s20, s26
	s_cbranch_execz .LBB1570_76
; %bb.73:
	v_mov_b32_e32 v3, 0
.LBB1570_74:                            ; =>This Inner Loop Header: Depth=1
	global_load_dwordx2 v[4:5], v[7:8], off glc dlc
	s_waitcnt vmcnt(0)
	v_cmp_ne_u16_sdwa s26, v5, v3 src0_sel:BYTE_0 src1_sel:DWORD
	s_or_b32 s21, s26, s21
	s_andn2_b32 exec_lo, exec_lo, s21
	s_cbranch_execnz .LBB1570_74
; %bb.75:
	s_or_b32 exec_lo, exec_lo, s21
.LBB1570_76:
	s_or_b32 exec_lo, exec_lo, s20
	v_cmp_ne_u32_e32 vcc_lo, 31, v9
	v_and_b32_e32 v29, 0xffffff, v4
	v_mov_b32_e32 v6, 2
	v_lshlrev_b32_e64 v22, v9, -1
	v_bfe_u32 v7, v4, 16, 8
	v_add_co_ci_u32_e64 v3, null, 0, v9, vcc_lo
	v_cmp_eq_u16_sdwa s20, v5, v6 src0_sel:BYTE_0 src1_sel:DWORD
	v_lshrrev_b32_e32 v6, 16, v4
	v_lshlrev_b32_e32 v8, 2, v3
	v_and_or_b32 v3, s20, v22, 0x80000000
	s_mov_b32 s20, exec_lo
	ds_bpermute_b32 v23, v8, v29
	v_ffbl_b32_e32 v3, v3
	v_cmpx_lt_u32_e64 v9, v3
	s_cbranch_execz .LBB1570_78
; %bb.77:
	v_and_b32_e32 v6, 0xff0000, v4
	v_mov_b32_e32 v7, 1
	v_and_b32_e32 v24, 0x10000, v6
	v_cmp_eq_u32_e32 vcc_lo, 0, v6
	s_waitcnt lgkmcnt(0)
	v_and_b32_sdwa v7, v23, v7 dst_sel:DWORD dst_unused:UNUSED_PAD src0_sel:WORD_1 src1_sel:DWORD
	v_cndmask_b32_e32 v23, 0, v23, vcc_lo
	v_cmp_ne_u32_e32 vcc_lo, 0, v24
	v_add_nc_u16 v4, v23, v4
	v_cndmask_b32_e64 v6, v7, 1, vcc_lo
	v_lshlrev_b32_e32 v7, 16, v6
	v_or_b32_sdwa v29, v7, v4 dst_sel:DWORD dst_unused:UNUSED_PAD src0_sel:DWORD src1_sel:WORD_0
	v_mov_b32_e32 v7, v6
.LBB1570_78:
	s_or_b32 exec_lo, exec_lo, s20
	v_cmp_gt_u32_e32 vcc_lo, 30, v9
	v_add_nc_u32_e32 v24, 2, v9
	s_mov_b32 s20, exec_lo
	s_waitcnt lgkmcnt(0)
	v_cndmask_b32_e64 v23, 0, 2, vcc_lo
	v_add_lshl_u32 v23, v23, v9, 2
	ds_bpermute_b32 v25, v23, v29
	v_cmpx_le_u32_e64 v24, v3
	s_cbranch_execz .LBB1570_80
; %bb.79:
	v_mov_b32_e32 v6, 1
	v_and_b32_e32 v26, 1, v7
	v_cmp_eq_u16_e32 vcc_lo, 0, v7
	s_waitcnt lgkmcnt(0)
	v_and_b32_sdwa v6, v25, v6 dst_sel:DWORD dst_unused:UNUSED_PAD src0_sel:WORD_1 src1_sel:DWORD
	v_cndmask_b32_e32 v7, 0, v25, vcc_lo
	v_cmp_eq_u32_e32 vcc_lo, 1, v26
	v_add_nc_u16 v4, v7, v4
	v_cndmask_b32_e64 v6, v6, 1, vcc_lo
	v_lshlrev_b32_e32 v7, 16, v6
	v_or_b32_sdwa v29, v7, v4 dst_sel:DWORD dst_unused:UNUSED_PAD src0_sel:DWORD src1_sel:WORD_0
	v_mov_b32_e32 v7, v6
.LBB1570_80:
	s_or_b32 exec_lo, exec_lo, s20
	v_cmp_gt_u32_e32 vcc_lo, 28, v9
	v_add_nc_u32_e32 v26, 4, v9
	s_mov_b32 s20, exec_lo
	s_waitcnt lgkmcnt(0)
	v_cndmask_b32_e64 v25, 0, 4, vcc_lo
	v_add_lshl_u32 v25, v25, v9, 2
	ds_bpermute_b32 v27, v25, v29
	v_cmpx_le_u32_e64 v26, v3
	s_cbranch_execz .LBB1570_82
; %bb.81:
	v_mov_b32_e32 v6, 1
	v_and_b32_e32 v28, 1, v7
	v_cmp_eq_u16_e32 vcc_lo, 0, v7
	s_waitcnt lgkmcnt(0)
	v_and_b32_sdwa v6, v27, v6 dst_sel:DWORD dst_unused:UNUSED_PAD src0_sel:WORD_1 src1_sel:DWORD
	v_cndmask_b32_e32 v7, 0, v27, vcc_lo
	v_cmp_eq_u32_e32 vcc_lo, 1, v28
	v_add_nc_u16 v4, v7, v4
	v_cndmask_b32_e64 v6, v6, 1, vcc_lo
	v_lshlrev_b32_e32 v7, 16, v6
	v_or_b32_sdwa v29, v7, v4 dst_sel:DWORD dst_unused:UNUSED_PAD src0_sel:DWORD src1_sel:WORD_0
	v_mov_b32_e32 v7, v6
.LBB1570_82:
	;; [unrolled: 24-line block ×3, first 2 shown]
	s_or_b32 exec_lo, exec_lo, s20
	v_lshl_or_b32 v31, v9, 2, 64
	v_add_nc_u32_e32 v32, 16, v9
	s_mov_b32 s20, exec_lo
	ds_bpermute_b32 v29, v31, v29
	v_cmpx_le_u32_e64 v32, v3
	s_cbranch_execz .LBB1570_86
; %bb.85:
	v_mov_b32_e32 v3, 1
	v_cmp_eq_u16_e32 vcc_lo, 0, v7
	v_and_b32_e32 v7, 1, v7
	s_waitcnt lgkmcnt(0)
	v_and_b32_sdwa v3, v29, v3 dst_sel:DWORD dst_unused:UNUSED_PAD src0_sel:WORD_1 src1_sel:DWORD
	v_cndmask_b32_e32 v6, 0, v29, vcc_lo
	v_cmp_eq_u32_e32 vcc_lo, 1, v7
	v_add_nc_u16 v4, v6, v4
	v_cndmask_b32_e64 v6, v3, 1, vcc_lo
.LBB1570_86:
	s_or_b32 exec_lo, exec_lo, s20
	v_mov_b32_e32 v3, 0
	v_mov_b32_e32 v33, 2
	;; [unrolled: 1-line block ×3, first 2 shown]
	s_branch .LBB1570_89
.LBB1570_87:                            ;   in Loop: Header=BB1570_89 Depth=1
	s_or_b32 exec_lo, exec_lo, s20
	v_cmp_eq_u16_sdwa vcc_lo, v29, v3 src0_sel:BYTE_0 src1_sel:DWORD
	v_and_b32_e32 v6, 1, v29
	v_and_b32_e32 v7, 1, v7
	v_subrev_nc_u32_e32 v2, 32, v2
	s_mov_b32 s20, 0
	v_cndmask_b32_e32 v4, 0, v4, vcc_lo
	v_cmp_eq_u32_e32 vcc_lo, 1, v6
	v_add_nc_u16 v4, v4, v30
	v_cndmask_b32_e64 v6, v7, 1, vcc_lo
.LBB1570_88:                            ;   in Loop: Header=BB1570_89 Depth=1
	s_and_b32 vcc_lo, exec_lo, s20
	s_cbranch_vccnz .LBB1570_105
.LBB1570_89:                            ; =>This Loop Header: Depth=1
                                        ;     Child Loop BB1570_92 Depth 2
	v_cmp_ne_u16_sdwa s20, v5, v33 src0_sel:BYTE_0 src1_sel:DWORD
	s_waitcnt lgkmcnt(0)
	v_mov_b32_e32 v29, v6
	v_mov_b32_e32 v30, v4
                                        ; implicit-def: $vgpr6
                                        ; implicit-def: $vgpr4
	s_cmp_lg_u32 s20, exec_lo
	s_mov_b32 s20, -1
	s_cbranch_scc1 .LBB1570_88
; %bb.90:                               ;   in Loop: Header=BB1570_89 Depth=1
	v_lshlrev_b64 v[4:5], 3, v[2:3]
	v_add_co_u32 v6, vcc_lo, s16, v4
	v_add_co_ci_u32_e64 v7, null, s17, v5, vcc_lo
	global_load_dwordx2 v[4:5], v[6:7], off glc dlc
	s_waitcnt vmcnt(0)
	v_cmp_eq_u16_sdwa s21, v5, v3 src0_sel:BYTE_0 src1_sel:DWORD
	s_and_saveexec_b32 s20, s21
	s_cbranch_execz .LBB1570_94
; %bb.91:                               ;   in Loop: Header=BB1570_89 Depth=1
	s_mov_b32 s21, 0
.LBB1570_92:                            ;   Parent Loop BB1570_89 Depth=1
                                        ; =>  This Inner Loop Header: Depth=2
	global_load_dwordx2 v[4:5], v[6:7], off glc dlc
	s_waitcnt vmcnt(0)
	v_cmp_ne_u16_sdwa s26, v5, v3 src0_sel:BYTE_0 src1_sel:DWORD
	s_or_b32 s21, s26, s21
	s_andn2_b32 exec_lo, exec_lo, s21
	s_cbranch_execnz .LBB1570_92
; %bb.93:                               ;   in Loop: Header=BB1570_89 Depth=1
	s_or_b32 exec_lo, exec_lo, s21
.LBB1570_94:                            ;   in Loop: Header=BB1570_89 Depth=1
	s_or_b32 exec_lo, exec_lo, s20
	v_and_b32_e32 v36, 0xffffff, v4
	v_cmp_eq_u16_sdwa s20, v5, v33 src0_sel:BYTE_0 src1_sel:DWORD
	v_lshrrev_b32_e32 v7, 16, v4
	v_bfe_u32 v35, v4, 16, 8
	ds_bpermute_b32 v37, v8, v36
	v_and_or_b32 v6, s20, v22, 0x80000000
	s_mov_b32 s20, exec_lo
	v_ffbl_b32_e32 v6, v6
	v_cmpx_lt_u32_e64 v9, v6
	s_cbranch_execz .LBB1570_96
; %bb.95:                               ;   in Loop: Header=BB1570_89 Depth=1
	v_and_b32_e32 v7, 0xff0000, v4
	s_waitcnt lgkmcnt(0)
	v_and_b32_sdwa v36, v37, v34 dst_sel:DWORD dst_unused:UNUSED_PAD src0_sel:WORD_1 src1_sel:DWORD
	v_and_b32_e32 v35, 0x10000, v7
	v_cmp_eq_u32_e32 vcc_lo, 0, v7
	v_cndmask_b32_e32 v37, 0, v37, vcc_lo
	v_cmp_ne_u32_e32 vcc_lo, 0, v35
	v_add_nc_u16 v4, v37, v4
	v_cndmask_b32_e64 v7, v36, 1, vcc_lo
	v_lshlrev_b32_e32 v35, 16, v7
	v_or_b32_sdwa v36, v35, v4 dst_sel:DWORD dst_unused:UNUSED_PAD src0_sel:DWORD src1_sel:WORD_0
	v_mov_b32_e32 v35, v7
.LBB1570_96:                            ;   in Loop: Header=BB1570_89 Depth=1
	s_or_b32 exec_lo, exec_lo, s20
	s_waitcnt lgkmcnt(0)
	ds_bpermute_b32 v37, v23, v36
	s_mov_b32 s20, exec_lo
	v_cmpx_le_u32_e64 v24, v6
	s_cbranch_execz .LBB1570_98
; %bb.97:                               ;   in Loop: Header=BB1570_89 Depth=1
	v_and_b32_e32 v7, 1, v35
	v_cmp_eq_u16_e32 vcc_lo, 0, v35
	s_waitcnt lgkmcnt(0)
	v_and_b32_sdwa v36, v37, v34 dst_sel:DWORD dst_unused:UNUSED_PAD src0_sel:WORD_1 src1_sel:DWORD
	v_cndmask_b32_e32 v35, 0, v37, vcc_lo
	v_cmp_eq_u32_e32 vcc_lo, 1, v7
	v_add_nc_u16 v4, v35, v4
	v_cndmask_b32_e64 v7, v36, 1, vcc_lo
	v_lshlrev_b32_e32 v35, 16, v7
	v_or_b32_sdwa v36, v35, v4 dst_sel:DWORD dst_unused:UNUSED_PAD src0_sel:DWORD src1_sel:WORD_0
	v_mov_b32_e32 v35, v7
.LBB1570_98:                            ;   in Loop: Header=BB1570_89 Depth=1
	s_or_b32 exec_lo, exec_lo, s20
	s_waitcnt lgkmcnt(0)
	ds_bpermute_b32 v37, v25, v36
	s_mov_b32 s20, exec_lo
	v_cmpx_le_u32_e64 v26, v6
	s_cbranch_execz .LBB1570_100
; %bb.99:                               ;   in Loop: Header=BB1570_89 Depth=1
	v_and_b32_e32 v7, 1, v35
	v_cmp_eq_u16_e32 vcc_lo, 0, v35
	s_waitcnt lgkmcnt(0)
	v_and_b32_sdwa v36, v37, v34 dst_sel:DWORD dst_unused:UNUSED_PAD src0_sel:WORD_1 src1_sel:DWORD
	v_cndmask_b32_e32 v35, 0, v37, vcc_lo
	v_cmp_eq_u32_e32 vcc_lo, 1, v7
	v_add_nc_u16 v4, v35, v4
	v_cndmask_b32_e64 v7, v36, 1, vcc_lo
	v_lshlrev_b32_e32 v35, 16, v7
	v_or_b32_sdwa v36, v35, v4 dst_sel:DWORD dst_unused:UNUSED_PAD src0_sel:DWORD src1_sel:WORD_0
	v_mov_b32_e32 v35, v7
.LBB1570_100:                           ;   in Loop: Header=BB1570_89 Depth=1
	s_or_b32 exec_lo, exec_lo, s20
	s_waitcnt lgkmcnt(0)
	ds_bpermute_b32 v37, v27, v36
	s_mov_b32 s20, exec_lo
	v_cmpx_le_u32_e64 v28, v6
	s_cbranch_execz .LBB1570_102
; %bb.101:                              ;   in Loop: Header=BB1570_89 Depth=1
	v_and_b32_e32 v7, 1, v35
	v_cmp_eq_u16_e32 vcc_lo, 0, v35
	s_waitcnt lgkmcnt(0)
	v_and_b32_sdwa v36, v37, v34 dst_sel:DWORD dst_unused:UNUSED_PAD src0_sel:WORD_1 src1_sel:DWORD
	v_cndmask_b32_e32 v35, 0, v37, vcc_lo
	v_cmp_eq_u32_e32 vcc_lo, 1, v7
	v_add_nc_u16 v4, v35, v4
	v_cndmask_b32_e64 v7, v36, 1, vcc_lo
	v_lshlrev_b32_e32 v35, 16, v7
	v_or_b32_sdwa v36, v35, v4 dst_sel:DWORD dst_unused:UNUSED_PAD src0_sel:DWORD src1_sel:WORD_0
	v_mov_b32_e32 v35, v7
.LBB1570_102:                           ;   in Loop: Header=BB1570_89 Depth=1
	s_or_b32 exec_lo, exec_lo, s20
	ds_bpermute_b32 v36, v31, v36
	s_mov_b32 s20, exec_lo
	v_cmpx_le_u32_e64 v32, v6
	s_cbranch_execz .LBB1570_87
; %bb.103:                              ;   in Loop: Header=BB1570_89 Depth=1
	v_cmp_eq_u16_e32 vcc_lo, 0, v35
	v_and_b32_e32 v7, 1, v35
	s_waitcnt lgkmcnt(0)
	v_lshrrev_b32_e32 v35, 16, v36
	v_cndmask_b32_e32 v6, 0, v36, vcc_lo
	v_cmp_eq_u32_e32 vcc_lo, 1, v7
	v_add_nc_u16 v4, v6, v4
	v_cndmask_b32_e64 v7, v35, 1, vcc_lo
	s_branch .LBB1570_87
.LBB1570_104:
                                        ; implicit-def: $vgpr5
                                        ; implicit-def: $vgpr4
                                        ; implicit-def: $vgpr6
                                        ; implicit-def: $vgpr7
                                        ; implicit-def: $vgpr8
                                        ; implicit-def: $vgpr19
                                        ; implicit-def: $vgpr20
	s_cbranch_execnz .LBB1570_110
	s_branch .LBB1570_133
.LBB1570_105:
	s_and_saveexec_b32 s20, s7
	s_cbranch_execz .LBB1570_107
; %bb.106:
	v_and_b32_e32 v2, 0xff0000, v1
	v_mov_b32_e32 v3, 1
	v_and_b32_e32 v4, 0x10000, v1
	s_mov_b32 s27, 0
	s_add_i32 s26, s19, 32
	v_cmp_eq_u32_e32 vcc_lo, 0, v2
	v_and_b32_sdwa v3, v29, v3 dst_sel:WORD_1 dst_unused:UNUSED_PAD src0_sel:DWORD src1_sel:DWORD
	s_lshl_b64 s[26:27], s[26:27], 3
	s_add_u32 s26, s16, s26
	v_cndmask_b32_e32 v2, 0, v30, vcc_lo
	v_cmp_eq_u32_e32 vcc_lo, 0, v4
	s_addc_u32 s27, s17, s27
	v_add_nc_u16 v1, v2, v1
	v_cndmask_b32_e32 v2, 0x10000, v3, vcc_lo
	v_mov_b32_e32 v3, 0
	v_or_b32_sdwa v1, v2, v1 dst_sel:DWORD dst_unused:UNUSED_PAD src0_sel:DWORD src1_sel:WORD_0
	v_mov_b32_e32 v2, 2
	global_store_dwordx2 v3, v[1:2], s[26:27]
.LBB1570_107:
	s_or_b32 exec_lo, exec_lo, s20
	s_and_b32 exec_lo, exec_lo, s0
	s_cbranch_execz .LBB1570_109
; %bb.108:
	v_mov_b32_e32 v1, 0
	ds_write_b16 v1, v30 offset:4
	ds_write_b8 v1, v29 offset:6
.LBB1570_109:
	s_or_b32 exec_lo, exec_lo, s8
	v_mov_b32_e32 v1, 0
	s_waitcnt lgkmcnt(0)
	s_waitcnt_vscnt null, 0x0
	s_barrier
	buffer_gl0_inv
	s_mov_b32 vcc_lo, s7
	ds_read_b32 v2, v1 offset:4
	v_cndmask_b32_sdwa v3, v21, v20, vcc_lo dst_sel:DWORD dst_unused:UNUSED_PAD src0_sel:WORD_1 src1_sel:DWORD
	v_cndmask_b32_e64 v4, v21, v19, s7
	v_cmp_eq_u16_sdwa vcc_lo, v3, v1 src0_sel:BYTE_0 src1_sel:DWORD
	v_and_b32_e32 v3, 0xff0000, v14
	s_waitcnt lgkmcnt(0)
	v_cndmask_b32_e32 v1, 0, v2, vcc_lo
	v_cmp_eq_u32_e32 vcc_lo, 0, v3
	v_add_nc_u16 v1, v1, v4
	v_cndmask_b32_e64 v5, v1, v2, s0
	v_cndmask_b32_e32 v1, 0, v5, vcc_lo
	v_add_nc_u16 v4, v1, v14
	v_cndmask_b32_e64 v1, 0, v4, s5
	v_add_nc_u16 v6, v1, v16
	v_cndmask_b32_e64 v1, 0, v6, s6
	;; [unrolled: 2-line block ×5, first 2 shown]
	v_add_nc_u16 v20, v1, v11
	s_branch .LBB1570_133
.LBB1570_110:
	s_cmp_eq_u64 s[24:25], 0
	v_mov_b32_e32 v1, s28
	s_cselect_b32 s2, -1, 0
	s_cmp_eq_u64 s[22:23], 0
	s_cselect_b32 s3, -1, 0
	s_or_b32 s2, s2, s3
	s_and_b32 vcc_lo, exec_lo, s2
	s_cbranch_vccnz .LBB1570_112
; %bb.111:
	v_mov_b32_e32 v1, 0
	global_load_ushort v1, v1, s[22:23]
.LBB1570_112:
	v_cmp_gt_u32_e32 vcc_lo, 0x10000, v16
	v_cmp_gt_u32_e64 s2, 0x10000, v15
	v_cmp_gt_u32_e64 s3, 0x10000, v13
	;; [unrolled: 1-line block ×4, first 2 shown]
	v_cndmask_b32_e32 v2, 0, v14, vcc_lo
	v_or3_b32 v3, v18, v15, v16
	v_cmp_gt_u32_e64 s6, 0x10000, v10
	v_and_b32_e32 v4, 15, v9
	s_mov_b32 s7, exec_lo
	v_add_nc_u16 v2, v2, v16
	v_and_b32_e32 v3, 0xff0000, v3
	v_cndmask_b32_e64 v2, 0, v2, s2
	v_add_nc_u16 v2, v2, v15
	v_cndmask_b32_e64 v2, 0, v2, s3
	v_add_nc_u16 v2, v2, v13
	;; [unrolled: 2-line block ×4, first 2 shown]
	v_cndmask_b32_e64 v2, 0, v2, s6
	v_cmp_eq_u32_e64 s6, 0, v3
	v_add_nc_u16 v2, v2, v10
	v_cndmask_b32_e64 v5, 0x10000, v17, s6
	v_or_b32_sdwa v6, v5, v2 dst_sel:DWORD dst_unused:UNUSED_PAD src0_sel:DWORD src1_sel:WORD_0
	v_lshrrev_b32_e32 v3, 16, v5
	v_mov_b32_dpp v7, v6 row_shr:1 row_mask:0xf bank_mask:0xf
	v_cmpx_ne_u32_e32 0, v4
	s_cbranch_execz .LBB1570_114
; %bb.113:
	v_mov_b32_e32 v3, 1
	v_and_b32_e32 v6, 0x10000, v5
	v_cmp_eq_u32_e64 s6, 0, v5
	v_and_b32_sdwa v3, v7, v3 dst_sel:DWORD dst_unused:UNUSED_PAD src0_sel:WORD_1 src1_sel:DWORD
	v_cndmask_b32_e64 v5, 0, v7, s6
	v_cmp_ne_u32_e64 s6, 0, v6
	v_add_nc_u16 v2, v5, v2
	v_cndmask_b32_e64 v3, v3, 1, s6
	v_lshlrev_b32_e32 v5, 16, v3
	v_or_b32_sdwa v6, v5, v2 dst_sel:DWORD dst_unused:UNUSED_PAD src0_sel:DWORD src1_sel:WORD_0
.LBB1570_114:
	s_or_b32 exec_lo, exec_lo, s7
	v_lshrrev_b32_e32 v5, 16, v6
	v_mov_b32_dpp v7, v6 row_shr:2 row_mask:0xf bank_mask:0xf
	s_mov_b32 s7, exec_lo
	v_cmpx_lt_u32_e32 1, v4
	s_cbranch_execz .LBB1570_116
; %bb.115:
	v_mov_b32_e32 v3, 1
	v_and_b32_e32 v5, 0x10000, v6
	v_cmp_gt_u32_e64 s6, 0x10000, v6
	v_and_b32_sdwa v3, v7, v3 dst_sel:DWORD dst_unused:UNUSED_PAD src0_sel:WORD_1 src1_sel:DWORD
	v_cndmask_b32_e64 v6, 0, v7, s6
	v_cmp_ne_u32_e64 s6, 0, v5
	v_add_nc_u16 v2, v6, v2
	v_cndmask_b32_e64 v3, v3, 1, s6
	v_lshlrev_b32_e32 v5, 16, v3
	v_or_b32_sdwa v6, v5, v2 dst_sel:DWORD dst_unused:UNUSED_PAD src0_sel:DWORD src1_sel:WORD_0
	v_mov_b32_e32 v5, v3
.LBB1570_116:
	s_or_b32 exec_lo, exec_lo, s7
	v_mov_b32_dpp v7, v6 row_shr:4 row_mask:0xf bank_mask:0xf
	s_mov_b32 s7, exec_lo
	v_cmpx_lt_u32_e32 3, v4
	s_cbranch_execz .LBB1570_118
; %bb.117:
	v_mov_b32_e32 v3, 1
	v_and_b32_e32 v6, 1, v5
	v_cmp_eq_u16_e64 s6, 0, v5
	v_and_b32_sdwa v3, v7, v3 dst_sel:DWORD dst_unused:UNUSED_PAD src0_sel:WORD_1 src1_sel:DWORD
	v_cndmask_b32_e64 v5, 0, v7, s6
	v_cmp_eq_u32_e64 s6, 1, v6
	v_add_nc_u16 v2, v5, v2
	v_cndmask_b32_e64 v3, v3, 1, s6
	v_lshlrev_b32_e32 v5, 16, v3
	v_or_b32_sdwa v6, v5, v2 dst_sel:DWORD dst_unused:UNUSED_PAD src0_sel:DWORD src1_sel:WORD_0
	v_mov_b32_e32 v5, v3
.LBB1570_118:
	s_or_b32 exec_lo, exec_lo, s7
	v_mov_b32_dpp v7, v6 row_shr:8 row_mask:0xf bank_mask:0xf
	s_mov_b32 s7, exec_lo
	v_cmpx_lt_u32_e32 7, v4
	s_cbranch_execz .LBB1570_120
; %bb.119:
	v_mov_b32_e32 v3, 1
	v_and_b32_e32 v4, 1, v5
	v_cmp_eq_u16_e64 s6, 0, v5
	v_and_b32_sdwa v3, v7, v3 dst_sel:DWORD dst_unused:UNUSED_PAD src0_sel:WORD_1 src1_sel:DWORD
	v_cndmask_b32_e64 v5, 0, v7, s6
	v_cmp_eq_u32_e64 s6, 1, v4
	v_add_nc_u16 v2, v5, v2
	v_cndmask_b32_e64 v3, v3, 1, s6
	v_lshlrev_b32_e32 v4, 16, v3
	v_mov_b32_e32 v5, v3
	v_or_b32_sdwa v6, v4, v2 dst_sel:DWORD dst_unused:UNUSED_PAD src0_sel:DWORD src1_sel:WORD_0
.LBB1570_120:
	s_or_b32 exec_lo, exec_lo, s7
	ds_swizzle_b32 v4, v6 offset:swizzle(BROADCAST,32,15)
	v_and_b32_e32 v6, 16, v9
	s_mov_b32 s7, exec_lo
	v_cmpx_ne_u32_e32 0, v6
	s_cbranch_execz .LBB1570_122
; %bb.121:
	v_mov_b32_e32 v3, 1
	v_cmp_eq_u16_e64 s6, 0, v5
	v_and_b32_e32 v5, 1, v5
	s_waitcnt lgkmcnt(0)
	v_and_b32_sdwa v3, v4, v3 dst_sel:DWORD dst_unused:UNUSED_PAD src0_sel:WORD_1 src1_sel:DWORD
	v_cndmask_b32_e64 v6, 0, v4, s6
	v_cmp_eq_u32_e64 s6, 1, v5
	v_add_nc_u16 v2, v6, v2
	v_cndmask_b32_e64 v3, v3, 1, s6
.LBB1570_122:
	s_or_b32 exec_lo, exec_lo, s7
	s_waitcnt lgkmcnt(0)
	v_or_b32_e32 v4, 31, v0
	v_lshrrev_b32_e32 v5, 5, v0
	v_cmp_eq_u32_e64 s6, v0, v4
	v_lshlrev_b32_e32 v4, 2, v5
	s_and_saveexec_b32 s7, s6
	s_cbranch_execz .LBB1570_124
; %bb.123:
	ds_write_b16 v4, v2
	ds_write_b8 v4, v3 offset:2
.LBB1570_124:
	s_or_b32 exec_lo, exec_lo, s7
	s_mov_b32 s7, exec_lo
	s_waitcnt vmcnt(0) lgkmcnt(0)
	s_barrier
	buffer_gl0_inv
	v_cmpx_gt_u32_e32 2, v0
	s_cbranch_execz .LBB1570_128
; %bb.125:
	v_lshlrev_b32_e32 v5, 2, v0
	v_and_b32_e32 v10, 1, v9
	s_mov_b32 s8, exec_lo
	ds_read_b32 v6, v5
	s_waitcnt lgkmcnt(0)
	v_lshrrev_b32_e32 v7, 16, v6
	v_mov_b32_dpp v8, v6 row_shr:1 row_mask:0xf bank_mask:0xf
	v_cmpx_eq_u32_e32 1, v10
	s_cbranch_execz .LBB1570_127
; %bb.126:
	v_mov_b32_e32 v10, 0
	v_mov_b32_e32 v17, 1
	v_cmp_eq_u16_sdwa s6, v7, v10 src0_sel:BYTE_0 src1_sel:DWORD
	v_and_b32_e32 v10, 0x10000, v6
	v_cndmask_b32_e64 v7, 0, v8, s6
	v_and_b32_sdwa v8, v8, v17 dst_sel:DWORD dst_unused:UNUSED_PAD src0_sel:WORD_1 src1_sel:DWORD
	v_cmp_ne_u32_e64 s6, 0, v10
	v_add_nc_u16 v6, v7, v6
	v_cndmask_b32_e64 v7, v8, 1, s6
.LBB1570_127:
	s_or_b32 exec_lo, exec_lo, s8
	ds_write_b16 v5, v6
	ds_write_b8 v5, v7 offset:2
.LBB1570_128:
	s_or_b32 exec_lo, exec_lo, s7
	v_mov_b32_e32 v6, 0
	v_mov_b32_e32 v5, v1
	s_mov_b32 s7, exec_lo
	s_waitcnt lgkmcnt(0)
	s_barrier
	buffer_gl0_inv
	v_cmpx_lt_u32_e32 31, v0
	s_cbranch_execz .LBB1570_130
; %bb.129:
	v_add_nc_u32_e32 v5, -2, v4
	v_add_nc_u32_e32 v4, -4, v4
	ds_read_u8 v6, v5
	ds_read_u16 v4, v4
	s_waitcnt lgkmcnt(1)
	v_cmp_eq_u32_e64 s6, 0, v6
	v_lshlrev_b32_e32 v6, 16, v6
	v_cndmask_b32_e64 v5, 0, v1, s6
	s_waitcnt lgkmcnt(0)
	v_add_nc_u16 v5, v5, v4
.LBB1570_130:
	s_or_b32 exec_lo, exec_lo, s7
	v_cmp_eq_u16_e64 s6, 0, v3
	v_and_b32_e32 v3, 1, v3
	v_cndmask_b32_e64 v4, 0, v5, s6
	v_sub_co_u32 v7, s6, v9, 1
	v_cmp_eq_u32_e64 s7, 1, v3
	v_add_nc_u16 v2, v4, v2
	v_cndmask_b32_e64 v3, v6, 0x10000, s7
	v_cmp_gt_i32_e64 s7, 0, v7
	v_or_b32_sdwa v2, v3, v2 dst_sel:DWORD dst_unused:UNUSED_PAD src0_sel:DWORD src1_sel:WORD_0
	v_cndmask_b32_e64 v4, v7, v9, s7
	v_lshlrev_b32_e32 v3, 2, v4
	ds_bpermute_b32 v2, v3, v2
	s_waitcnt lgkmcnt(0)
	v_cndmask_b32_e64 v5, v2, v5, s6
	v_and_b32_e32 v2, 0xff0000, v14
	v_cndmask_b32_e64 v3, v5, v1, s0
	v_cmp_eq_u32_e64 s6, 0, v2
	v_cndmask_b32_e64 v2, 0, v3, s6
	v_add_nc_u16 v4, v2, v14
	v_cndmask_b32_e32 v2, 0, v4, vcc_lo
	v_add_nc_u16 v6, v2, v16
	v_cndmask_b32_e64 v2, 0, v6, s2
	v_add_nc_u16 v7, v2, v15
	v_cndmask_b32_e64 v2, 0, v7, s3
	;; [unrolled: 2-line block ×4, first 2 shown]
	s_and_saveexec_b32 s2, s0
	s_cbranch_execz .LBB1570_132
; %bb.131:
	v_mov_b32_e32 v3, 0
	ds_read_u8 v5, v3 offset:6
	ds_read_u16 v9, v3 offset:4
	s_waitcnt lgkmcnt(1)
	v_cmp_eq_u32_e32 vcc_lo, 0, v5
	v_lshlrev_b32_e32 v5, 16, v5
	v_cndmask_b32_e32 v10, 0, v1, vcc_lo
	s_waitcnt lgkmcnt(0)
	v_add_nc_u32_e32 v9, v10, v9
	v_mov_b32_e32 v10, 2
	v_or_b32_sdwa v9, v5, v9 dst_sel:DWORD dst_unused:UNUSED_PAD src0_sel:DWORD src1_sel:WORD_0
	v_mov_b32_e32 v5, v1
	global_store_dwordx2 v3, v[9:10], s[16:17] offset:256
.LBB1570_132:
	s_or_b32 exec_lo, exec_lo, s2
	v_add_nc_u16 v20, v2, v11
.LBB1570_133:
	s_add_u32 s0, s14, s10
	v_mov_b32_e32 v10, 0
	s_addc_u32 s2, s15, s11
	s_add_u32 s0, s0, s12
	s_addc_u32 s2, s2, s13
	s_and_b32 vcc_lo, exec_lo, s1
	s_cbranch_vccz .LBB1570_161
; %bb.134:
	v_mov_b32_e32 v1, 0
	v_mul_u32_u24_e32 v9, 7, v0
	s_add_i32 s9, s9, s18
	s_mov_b32 s1, exec_lo
	v_mov_b32_e32 v2, v1
	v_mov_b32_e32 v3, v1
	v_cmpx_gt_u32_e64 s9, v9
	s_cbranch_execz .LBB1570_148
; %bb.135:
	v_add_nc_u32_e32 v3, 1, v9
	v_and_b32_e32 v1, 0xffff, v5
	v_mov_b32_e32 v10, 0
	v_mov_b32_e32 v2, 0
	v_cmp_gt_u32_e32 vcc_lo, s9, v3
	v_mov_b32_e32 v3, 0
	s_and_saveexec_b32 s3, vcc_lo
	s_cbranch_execz .LBB1570_147
; %bb.136:
	v_add_nc_u32_e32 v10, 2, v9
	v_perm_b32 v1, v4, v1, 0x5040100
	v_mov_b32_e32 v3, 0
	v_mov_b32_e32 v2, 0
	v_cmp_gt_u32_e32 vcc_lo, s9, v10
	v_mov_b32_e32 v10, 0
	s_and_saveexec_b32 s4, vcc_lo
	s_cbranch_execz .LBB1570_146
; %bb.137:
	v_add_nc_u32_e32 v10, 3, v9
	v_bfi_b32 v2, 0xffff, v6, 0
	v_mov_b32_e32 v3, 0
	v_cmp_gt_u32_e32 vcc_lo, s9, v10
	v_mov_b32_e32 v10, 0
	s_and_saveexec_b32 s5, vcc_lo
	s_cbranch_execz .LBB1570_145
; %bb.138:
	v_add_nc_u32_e32 v10, 4, v9
	v_perm_b32 v2, v7, v2, 0x5040100
	v_mov_b32_e32 v3, 0
	v_cmp_gt_u32_e32 vcc_lo, s9, v10
	v_mov_b32_e32 v10, 0
	s_and_saveexec_b32 s6, vcc_lo
	s_cbranch_execz .LBB1570_144
; %bb.139:
	v_add_nc_u32_e32 v10, 5, v9
	v_bfi_b32 v3, 0xffff, v8, 0
	v_cmp_gt_u32_e32 vcc_lo, s9, v10
	v_mov_b32_e32 v10, 0
	s_and_saveexec_b32 s7, vcc_lo
	s_cbranch_execz .LBB1570_143
; %bb.140:
	v_add_nc_u32_e32 v10, 6, v9
	v_perm_b32 v3, v19, v3, 0x5040100
	v_cmp_gt_u32_e32 vcc_lo, s9, v10
	v_mov_b32_e32 v10, 0
	s_and_saveexec_b32 s8, vcc_lo
; %bb.141:
	v_mov_b32_e32 v10, v20
; %bb.142:
	s_or_b32 exec_lo, exec_lo, s8
.LBB1570_143:
	s_or_b32 exec_lo, exec_lo, s7
.LBB1570_144:
	s_or_b32 exec_lo, exec_lo, s6
.LBB1570_145:
	s_or_b32 exec_lo, exec_lo, s5
.LBB1570_146:
	s_or_b32 exec_lo, exec_lo, s4
.LBB1570_147:
	s_or_b32 exec_lo, exec_lo, s3
.LBB1570_148:
	s_or_b32 exec_lo, exec_lo, s1
	v_lshlrev_b32_e32 v13, 1, v9
	s_waitcnt_vscnt null, 0x0
	s_barrier
	buffer_gl0_inv
	ds_write_b96 v13, v[1:3]
	v_mad_i32_i24 v1, v0, -12, v13
	ds_write_b16 v13, v10 offset:12
	s_waitcnt lgkmcnt(0)
	s_barrier
	buffer_gl0_inv
	ds_read_u16 v14, v1 offset:128
	ds_read_u16 v12, v1 offset:256
	;; [unrolled: 1-line block ×6, first 2 shown]
	v_lshlrev_b32_e32 v1, 1, v0
	v_add_co_u32 v1, s1, s0, v1
	v_add_co_ci_u32_e64 v2, null, s2, 0, s1
	s_mov_b32 s1, exec_lo
	v_cmpx_gt_u32_e64 s9, v0
	s_cbranch_execz .LBB1570_150
; %bb.149:
	v_mul_i32_i24_e32 v15, -12, v0
	v_add_nc_u32_e32 v13, v13, v15
	ds_read_u16 v13, v13
	s_waitcnt lgkmcnt(0)
	flat_store_short v[1:2], v13
.LBB1570_150:
	s_or_b32 exec_lo, exec_lo, s1
	v_or_b32_e32 v13, 64, v0
	s_mov_b32 s1, exec_lo
	v_cmpx_gt_u32_e64 s9, v13
	s_cbranch_execz .LBB1570_152
; %bb.151:
	s_waitcnt lgkmcnt(5)
	flat_store_short v[1:2], v14 offset:128
.LBB1570_152:
	s_or_b32 exec_lo, exec_lo, s1
	v_or_b32_e32 v13, 0x80, v0
	s_mov_b32 s1, exec_lo
	v_cmpx_gt_u32_e64 s9, v13
	s_cbranch_execz .LBB1570_154
; %bb.153:
	s_waitcnt lgkmcnt(4)
	flat_store_short v[1:2], v12 offset:256
.LBB1570_154:
	s_or_b32 exec_lo, exec_lo, s1
	s_waitcnt lgkmcnt(4)
	v_or_b32_e32 v12, 0xc0, v0
	s_mov_b32 s1, exec_lo
	v_cmpx_gt_u32_e64 s9, v12
	s_cbranch_execz .LBB1570_156
; %bb.155:
	s_waitcnt lgkmcnt(3)
	flat_store_short v[1:2], v11 offset:384
.LBB1570_156:
	s_or_b32 exec_lo, exec_lo, s1
	s_waitcnt lgkmcnt(3)
	;; [unrolled: 10-line block ×3, first 2 shown]
	v_or_b32_e32 v10, 0x140, v0
	s_mov_b32 s1, exec_lo
	v_cmpx_gt_u32_e64 s9, v10
	s_cbranch_execz .LBB1570_160
; %bb.159:
	s_waitcnt lgkmcnt(1)
	flat_store_short v[1:2], v9 offset:640
.LBB1570_160:
	s_or_b32 exec_lo, exec_lo, s1
	v_or_b32_e32 v1, 0x180, v0
	v_cmp_gt_u32_e64 s1, s9, v1
	s_branch .LBB1570_163
.LBB1570_161:
	s_mov_b32 s1, 0
                                        ; implicit-def: $vgpr3
	s_cbranch_execz .LBB1570_163
; %bb.162:
	s_waitcnt lgkmcnt(1)
	v_mul_u32_u24_e32 v9, 14, v0
	s_waitcnt lgkmcnt(0)
	v_perm_b32 v3, v19, v8, 0x5040100
	v_perm_b32 v2, v7, v6, 0x5040100
	;; [unrolled: 1-line block ×3, first 2 shown]
	v_mul_i32_i24_e32 v4, -12, v0
	s_waitcnt_vscnt null, 0x0
	s_barrier
	buffer_gl0_inv
	ds_write_b96 v9, v[1:3]
	v_mad_u32_u24 v1, v0, 14, v4
	ds_write_b16 v9, v20 offset:12
	s_waitcnt lgkmcnt(0)
	s_barrier
	buffer_gl0_inv
	ds_read_u16 v4, v1
	ds_read_u16 v5, v1 offset:128
	ds_read_u16 v6, v1 offset:256
	;; [unrolled: 1-line block ×6, first 2 shown]
	v_lshlrev_b32_e32 v1, 1, v0
	s_or_b32 s1, s1, exec_lo
	v_add_co_u32 v1, s3, s0, v1
	v_add_co_ci_u32_e64 v2, null, s2, 0, s3
	s_waitcnt lgkmcnt(6)
	flat_store_short v[1:2], v4
	s_waitcnt lgkmcnt(6)
	flat_store_short v[1:2], v5 offset:128
	s_waitcnt lgkmcnt(6)
	flat_store_short v[1:2], v6 offset:256
	;; [unrolled: 2-line block ×5, first 2 shown]
.LBB1570_163:
	s_and_saveexec_b32 s3, s1
	s_cbranch_execnz .LBB1570_165
; %bb.164:
	s_endpgm
.LBB1570_165:
	v_lshlrev_b32_e32 v0, 1, v0
	v_add_co_u32 v0, s0, s0, v0
	v_add_co_ci_u32_e64 v1, null, s2, 0, s0
	s_waitcnt lgkmcnt(0)
	flat_store_short v[0:1], v3 offset:768
	s_endpgm
.LBB1570_166:
	v_add_co_u32 v2, s7, s29, v12
	v_add_co_ci_u32_e64 v3, null, s30, 0, s7
	v_mov_b32_e32 v13, v1
	v_mov_b32_e32 v14, v1
	;; [unrolled: 1-line block ×4, first 2 shown]
	flat_load_short_d16 v13, v[2:3]
	s_waitcnt vmcnt(0) lgkmcnt(0)
	v_mov_b32_e32 v1, v13
	v_mov_b32_e32 v2, v14
	;; [unrolled: 1-line block ×4, first 2 shown]
	s_or_b32 exec_lo, exec_lo, s8
	s_and_saveexec_b32 s7, s6
	s_cbranch_execz .LBB1570_23
.LBB1570_167:
	v_add_co_u32 v13, s6, s29, v12
	v_add_co_ci_u32_e64 v14, null, s30, 0, s6
	flat_load_short_d16_hi v1, v[13:14] offset:128
	s_or_b32 exec_lo, exec_lo, s7
	s_and_saveexec_b32 s6, s5
	s_cbranch_execz .LBB1570_24
.LBB1570_168:
	v_add_co_u32 v13, s5, s29, v12
	v_add_co_ci_u32_e64 v14, null, s30, 0, s5
	flat_load_short_d16 v2, v[13:14] offset:256
	s_or_b32 exec_lo, exec_lo, s6
	s_and_saveexec_b32 s5, s4
	s_cbranch_execz .LBB1570_25
.LBB1570_169:
	v_add_co_u32 v13, s4, s29, v12
	v_add_co_ci_u32_e64 v14, null, s30, 0, s4
	s_waitcnt vmcnt(0) lgkmcnt(0)
	flat_load_short_d16_hi v2, v[13:14] offset:384
	s_or_b32 exec_lo, exec_lo, s5
	s_and_saveexec_b32 s4, s3
	s_cbranch_execz .LBB1570_26
.LBB1570_170:
	v_add_co_u32 v13, s3, s29, v12
	v_add_co_ci_u32_e64 v14, null, s30, 0, s3
	flat_load_short_d16 v3, v[13:14] offset:512
	s_or_b32 exec_lo, exec_lo, s4
	s_and_saveexec_b32 s3, s2
	s_cbranch_execz .LBB1570_27
.LBB1570_171:
	v_add_co_u32 v13, s2, s29, v12
	v_add_co_ci_u32_e64 v14, null, s30, 0, s2
	s_waitcnt vmcnt(0) lgkmcnt(0)
	flat_load_short_d16_hi v3, v[13:14] offset:640
	s_or_b32 exec_lo, exec_lo, s3
	v_mul_u32_u24_e32 v23, 7, v0
	s_and_saveexec_b32 s2, vcc_lo
	s_cbranch_execnz .LBB1570_28
	s_branch .LBB1570_29
	.section	.rodata,"a",@progbits
	.p2align	6, 0x0
	.amdhsa_kernel _ZN7rocprim17ROCPRIM_400000_NS6detail17trampoline_kernelINS0_14default_configENS1_27scan_by_key_config_selectorIitEEZZNS1_16scan_by_key_implILNS1_25lookback_scan_determinismE0ELb1ES3_N6thrust23THRUST_200600_302600_NS6detail15normal_iteratorINS9_10device_ptrIiEEEENSB_INSC_ItEEEESG_tNS9_4plusIvEENS9_8equal_toIvEEtEE10hipError_tPvRmT2_T3_T4_T5_mT6_T7_P12ihipStream_tbENKUlT_T0_E_clISt17integral_constantIbLb0EES10_IbLb1EEEEDaSW_SX_EUlSW_E_NS1_11comp_targetILNS1_3genE8ELNS1_11target_archE1030ELNS1_3gpuE2ELNS1_3repE0EEENS1_30default_config_static_selectorELNS0_4arch9wavefront6targetE0EEEvT1_
		.amdhsa_group_segment_fixed_size 2304
		.amdhsa_private_segment_fixed_size 0
		.amdhsa_kernarg_size 112
		.amdhsa_user_sgpr_count 6
		.amdhsa_user_sgpr_private_segment_buffer 1
		.amdhsa_user_sgpr_dispatch_ptr 0
		.amdhsa_user_sgpr_queue_ptr 0
		.amdhsa_user_sgpr_kernarg_segment_ptr 1
		.amdhsa_user_sgpr_dispatch_id 0
		.amdhsa_user_sgpr_flat_scratch_init 0
		.amdhsa_user_sgpr_private_segment_size 0
		.amdhsa_wavefront_size32 1
		.amdhsa_uses_dynamic_stack 0
		.amdhsa_system_sgpr_private_segment_wavefront_offset 0
		.amdhsa_system_sgpr_workgroup_id_x 1
		.amdhsa_system_sgpr_workgroup_id_y 0
		.amdhsa_system_sgpr_workgroup_id_z 0
		.amdhsa_system_sgpr_workgroup_info 0
		.amdhsa_system_vgpr_workitem_id 0
		.amdhsa_next_free_vgpr 38
		.amdhsa_next_free_sgpr 32
		.amdhsa_reserve_vcc 1
		.amdhsa_reserve_flat_scratch 1
		.amdhsa_float_round_mode_32 0
		.amdhsa_float_round_mode_16_64 0
		.amdhsa_float_denorm_mode_32 3
		.amdhsa_float_denorm_mode_16_64 3
		.amdhsa_dx10_clamp 1
		.amdhsa_ieee_mode 1
		.amdhsa_fp16_overflow 0
		.amdhsa_workgroup_processor_mode 1
		.amdhsa_memory_ordered 1
		.amdhsa_forward_progress 1
		.amdhsa_shared_vgpr_count 0
		.amdhsa_exception_fp_ieee_invalid_op 0
		.amdhsa_exception_fp_denorm_src 0
		.amdhsa_exception_fp_ieee_div_zero 0
		.amdhsa_exception_fp_ieee_overflow 0
		.amdhsa_exception_fp_ieee_underflow 0
		.amdhsa_exception_fp_ieee_inexact 0
		.amdhsa_exception_int_div_zero 0
	.end_amdhsa_kernel
	.section	.text._ZN7rocprim17ROCPRIM_400000_NS6detail17trampoline_kernelINS0_14default_configENS1_27scan_by_key_config_selectorIitEEZZNS1_16scan_by_key_implILNS1_25lookback_scan_determinismE0ELb1ES3_N6thrust23THRUST_200600_302600_NS6detail15normal_iteratorINS9_10device_ptrIiEEEENSB_INSC_ItEEEESG_tNS9_4plusIvEENS9_8equal_toIvEEtEE10hipError_tPvRmT2_T3_T4_T5_mT6_T7_P12ihipStream_tbENKUlT_T0_E_clISt17integral_constantIbLb0EES10_IbLb1EEEEDaSW_SX_EUlSW_E_NS1_11comp_targetILNS1_3genE8ELNS1_11target_archE1030ELNS1_3gpuE2ELNS1_3repE0EEENS1_30default_config_static_selectorELNS0_4arch9wavefront6targetE0EEEvT1_,"axG",@progbits,_ZN7rocprim17ROCPRIM_400000_NS6detail17trampoline_kernelINS0_14default_configENS1_27scan_by_key_config_selectorIitEEZZNS1_16scan_by_key_implILNS1_25lookback_scan_determinismE0ELb1ES3_N6thrust23THRUST_200600_302600_NS6detail15normal_iteratorINS9_10device_ptrIiEEEENSB_INSC_ItEEEESG_tNS9_4plusIvEENS9_8equal_toIvEEtEE10hipError_tPvRmT2_T3_T4_T5_mT6_T7_P12ihipStream_tbENKUlT_T0_E_clISt17integral_constantIbLb0EES10_IbLb1EEEEDaSW_SX_EUlSW_E_NS1_11comp_targetILNS1_3genE8ELNS1_11target_archE1030ELNS1_3gpuE2ELNS1_3repE0EEENS1_30default_config_static_selectorELNS0_4arch9wavefront6targetE0EEEvT1_,comdat
.Lfunc_end1570:
	.size	_ZN7rocprim17ROCPRIM_400000_NS6detail17trampoline_kernelINS0_14default_configENS1_27scan_by_key_config_selectorIitEEZZNS1_16scan_by_key_implILNS1_25lookback_scan_determinismE0ELb1ES3_N6thrust23THRUST_200600_302600_NS6detail15normal_iteratorINS9_10device_ptrIiEEEENSB_INSC_ItEEEESG_tNS9_4plusIvEENS9_8equal_toIvEEtEE10hipError_tPvRmT2_T3_T4_T5_mT6_T7_P12ihipStream_tbENKUlT_T0_E_clISt17integral_constantIbLb0EES10_IbLb1EEEEDaSW_SX_EUlSW_E_NS1_11comp_targetILNS1_3genE8ELNS1_11target_archE1030ELNS1_3gpuE2ELNS1_3repE0EEENS1_30default_config_static_selectorELNS0_4arch9wavefront6targetE0EEEvT1_, .Lfunc_end1570-_ZN7rocprim17ROCPRIM_400000_NS6detail17trampoline_kernelINS0_14default_configENS1_27scan_by_key_config_selectorIitEEZZNS1_16scan_by_key_implILNS1_25lookback_scan_determinismE0ELb1ES3_N6thrust23THRUST_200600_302600_NS6detail15normal_iteratorINS9_10device_ptrIiEEEENSB_INSC_ItEEEESG_tNS9_4plusIvEENS9_8equal_toIvEEtEE10hipError_tPvRmT2_T3_T4_T5_mT6_T7_P12ihipStream_tbENKUlT_T0_E_clISt17integral_constantIbLb0EES10_IbLb1EEEEDaSW_SX_EUlSW_E_NS1_11comp_targetILNS1_3genE8ELNS1_11target_archE1030ELNS1_3gpuE2ELNS1_3repE0EEENS1_30default_config_static_selectorELNS0_4arch9wavefront6targetE0EEEvT1_
                                        ; -- End function
	.set _ZN7rocprim17ROCPRIM_400000_NS6detail17trampoline_kernelINS0_14default_configENS1_27scan_by_key_config_selectorIitEEZZNS1_16scan_by_key_implILNS1_25lookback_scan_determinismE0ELb1ES3_N6thrust23THRUST_200600_302600_NS6detail15normal_iteratorINS9_10device_ptrIiEEEENSB_INSC_ItEEEESG_tNS9_4plusIvEENS9_8equal_toIvEEtEE10hipError_tPvRmT2_T3_T4_T5_mT6_T7_P12ihipStream_tbENKUlT_T0_E_clISt17integral_constantIbLb0EES10_IbLb1EEEEDaSW_SX_EUlSW_E_NS1_11comp_targetILNS1_3genE8ELNS1_11target_archE1030ELNS1_3gpuE2ELNS1_3repE0EEENS1_30default_config_static_selectorELNS0_4arch9wavefront6targetE0EEEvT1_.num_vgpr, 38
	.set _ZN7rocprim17ROCPRIM_400000_NS6detail17trampoline_kernelINS0_14default_configENS1_27scan_by_key_config_selectorIitEEZZNS1_16scan_by_key_implILNS1_25lookback_scan_determinismE0ELb1ES3_N6thrust23THRUST_200600_302600_NS6detail15normal_iteratorINS9_10device_ptrIiEEEENSB_INSC_ItEEEESG_tNS9_4plusIvEENS9_8equal_toIvEEtEE10hipError_tPvRmT2_T3_T4_T5_mT6_T7_P12ihipStream_tbENKUlT_T0_E_clISt17integral_constantIbLb0EES10_IbLb1EEEEDaSW_SX_EUlSW_E_NS1_11comp_targetILNS1_3genE8ELNS1_11target_archE1030ELNS1_3gpuE2ELNS1_3repE0EEENS1_30default_config_static_selectorELNS0_4arch9wavefront6targetE0EEEvT1_.num_agpr, 0
	.set _ZN7rocprim17ROCPRIM_400000_NS6detail17trampoline_kernelINS0_14default_configENS1_27scan_by_key_config_selectorIitEEZZNS1_16scan_by_key_implILNS1_25lookback_scan_determinismE0ELb1ES3_N6thrust23THRUST_200600_302600_NS6detail15normal_iteratorINS9_10device_ptrIiEEEENSB_INSC_ItEEEESG_tNS9_4plusIvEENS9_8equal_toIvEEtEE10hipError_tPvRmT2_T3_T4_T5_mT6_T7_P12ihipStream_tbENKUlT_T0_E_clISt17integral_constantIbLb0EES10_IbLb1EEEEDaSW_SX_EUlSW_E_NS1_11comp_targetILNS1_3genE8ELNS1_11target_archE1030ELNS1_3gpuE2ELNS1_3repE0EEENS1_30default_config_static_selectorELNS0_4arch9wavefront6targetE0EEEvT1_.numbered_sgpr, 32
	.set _ZN7rocprim17ROCPRIM_400000_NS6detail17trampoline_kernelINS0_14default_configENS1_27scan_by_key_config_selectorIitEEZZNS1_16scan_by_key_implILNS1_25lookback_scan_determinismE0ELb1ES3_N6thrust23THRUST_200600_302600_NS6detail15normal_iteratorINS9_10device_ptrIiEEEENSB_INSC_ItEEEESG_tNS9_4plusIvEENS9_8equal_toIvEEtEE10hipError_tPvRmT2_T3_T4_T5_mT6_T7_P12ihipStream_tbENKUlT_T0_E_clISt17integral_constantIbLb0EES10_IbLb1EEEEDaSW_SX_EUlSW_E_NS1_11comp_targetILNS1_3genE8ELNS1_11target_archE1030ELNS1_3gpuE2ELNS1_3repE0EEENS1_30default_config_static_selectorELNS0_4arch9wavefront6targetE0EEEvT1_.num_named_barrier, 0
	.set _ZN7rocprim17ROCPRIM_400000_NS6detail17trampoline_kernelINS0_14default_configENS1_27scan_by_key_config_selectorIitEEZZNS1_16scan_by_key_implILNS1_25lookback_scan_determinismE0ELb1ES3_N6thrust23THRUST_200600_302600_NS6detail15normal_iteratorINS9_10device_ptrIiEEEENSB_INSC_ItEEEESG_tNS9_4plusIvEENS9_8equal_toIvEEtEE10hipError_tPvRmT2_T3_T4_T5_mT6_T7_P12ihipStream_tbENKUlT_T0_E_clISt17integral_constantIbLb0EES10_IbLb1EEEEDaSW_SX_EUlSW_E_NS1_11comp_targetILNS1_3genE8ELNS1_11target_archE1030ELNS1_3gpuE2ELNS1_3repE0EEENS1_30default_config_static_selectorELNS0_4arch9wavefront6targetE0EEEvT1_.private_seg_size, 0
	.set _ZN7rocprim17ROCPRIM_400000_NS6detail17trampoline_kernelINS0_14default_configENS1_27scan_by_key_config_selectorIitEEZZNS1_16scan_by_key_implILNS1_25lookback_scan_determinismE0ELb1ES3_N6thrust23THRUST_200600_302600_NS6detail15normal_iteratorINS9_10device_ptrIiEEEENSB_INSC_ItEEEESG_tNS9_4plusIvEENS9_8equal_toIvEEtEE10hipError_tPvRmT2_T3_T4_T5_mT6_T7_P12ihipStream_tbENKUlT_T0_E_clISt17integral_constantIbLb0EES10_IbLb1EEEEDaSW_SX_EUlSW_E_NS1_11comp_targetILNS1_3genE8ELNS1_11target_archE1030ELNS1_3gpuE2ELNS1_3repE0EEENS1_30default_config_static_selectorELNS0_4arch9wavefront6targetE0EEEvT1_.uses_vcc, 1
	.set _ZN7rocprim17ROCPRIM_400000_NS6detail17trampoline_kernelINS0_14default_configENS1_27scan_by_key_config_selectorIitEEZZNS1_16scan_by_key_implILNS1_25lookback_scan_determinismE0ELb1ES3_N6thrust23THRUST_200600_302600_NS6detail15normal_iteratorINS9_10device_ptrIiEEEENSB_INSC_ItEEEESG_tNS9_4plusIvEENS9_8equal_toIvEEtEE10hipError_tPvRmT2_T3_T4_T5_mT6_T7_P12ihipStream_tbENKUlT_T0_E_clISt17integral_constantIbLb0EES10_IbLb1EEEEDaSW_SX_EUlSW_E_NS1_11comp_targetILNS1_3genE8ELNS1_11target_archE1030ELNS1_3gpuE2ELNS1_3repE0EEENS1_30default_config_static_selectorELNS0_4arch9wavefront6targetE0EEEvT1_.uses_flat_scratch, 1
	.set _ZN7rocprim17ROCPRIM_400000_NS6detail17trampoline_kernelINS0_14default_configENS1_27scan_by_key_config_selectorIitEEZZNS1_16scan_by_key_implILNS1_25lookback_scan_determinismE0ELb1ES3_N6thrust23THRUST_200600_302600_NS6detail15normal_iteratorINS9_10device_ptrIiEEEENSB_INSC_ItEEEESG_tNS9_4plusIvEENS9_8equal_toIvEEtEE10hipError_tPvRmT2_T3_T4_T5_mT6_T7_P12ihipStream_tbENKUlT_T0_E_clISt17integral_constantIbLb0EES10_IbLb1EEEEDaSW_SX_EUlSW_E_NS1_11comp_targetILNS1_3genE8ELNS1_11target_archE1030ELNS1_3gpuE2ELNS1_3repE0EEENS1_30default_config_static_selectorELNS0_4arch9wavefront6targetE0EEEvT1_.has_dyn_sized_stack, 0
	.set _ZN7rocprim17ROCPRIM_400000_NS6detail17trampoline_kernelINS0_14default_configENS1_27scan_by_key_config_selectorIitEEZZNS1_16scan_by_key_implILNS1_25lookback_scan_determinismE0ELb1ES3_N6thrust23THRUST_200600_302600_NS6detail15normal_iteratorINS9_10device_ptrIiEEEENSB_INSC_ItEEEESG_tNS9_4plusIvEENS9_8equal_toIvEEtEE10hipError_tPvRmT2_T3_T4_T5_mT6_T7_P12ihipStream_tbENKUlT_T0_E_clISt17integral_constantIbLb0EES10_IbLb1EEEEDaSW_SX_EUlSW_E_NS1_11comp_targetILNS1_3genE8ELNS1_11target_archE1030ELNS1_3gpuE2ELNS1_3repE0EEENS1_30default_config_static_selectorELNS0_4arch9wavefront6targetE0EEEvT1_.has_recursion, 0
	.set _ZN7rocprim17ROCPRIM_400000_NS6detail17trampoline_kernelINS0_14default_configENS1_27scan_by_key_config_selectorIitEEZZNS1_16scan_by_key_implILNS1_25lookback_scan_determinismE0ELb1ES3_N6thrust23THRUST_200600_302600_NS6detail15normal_iteratorINS9_10device_ptrIiEEEENSB_INSC_ItEEEESG_tNS9_4plusIvEENS9_8equal_toIvEEtEE10hipError_tPvRmT2_T3_T4_T5_mT6_T7_P12ihipStream_tbENKUlT_T0_E_clISt17integral_constantIbLb0EES10_IbLb1EEEEDaSW_SX_EUlSW_E_NS1_11comp_targetILNS1_3genE8ELNS1_11target_archE1030ELNS1_3gpuE2ELNS1_3repE0EEENS1_30default_config_static_selectorELNS0_4arch9wavefront6targetE0EEEvT1_.has_indirect_call, 0
	.section	.AMDGPU.csdata,"",@progbits
; Kernel info:
; codeLenInByte = 8160
; TotalNumSgprs: 34
; NumVgprs: 38
; ScratchSize: 0
; MemoryBound: 0
; FloatMode: 240
; IeeeMode: 1
; LDSByteSize: 2304 bytes/workgroup (compile time only)
; SGPRBlocks: 0
; VGPRBlocks: 4
; NumSGPRsForWavesPerEU: 34
; NumVGPRsForWavesPerEU: 38
; Occupancy: 16
; WaveLimiterHint : 1
; COMPUTE_PGM_RSRC2:SCRATCH_EN: 0
; COMPUTE_PGM_RSRC2:USER_SGPR: 6
; COMPUTE_PGM_RSRC2:TRAP_HANDLER: 0
; COMPUTE_PGM_RSRC2:TGID_X_EN: 1
; COMPUTE_PGM_RSRC2:TGID_Y_EN: 0
; COMPUTE_PGM_RSRC2:TGID_Z_EN: 0
; COMPUTE_PGM_RSRC2:TIDIG_COMP_CNT: 0
	.section	.text._ZN7rocprim17ROCPRIM_400000_NS6detail17trampoline_kernelINS0_14default_configENS1_27scan_by_key_config_selectorIixEEZZNS1_16scan_by_key_implILNS1_25lookback_scan_determinismE0ELb1ES3_N6thrust23THRUST_200600_302600_NS6detail15normal_iteratorINS9_10device_ptrIiEEEENSB_INSC_IxEEEESG_xNS9_4plusIvEENS9_8equal_toIvEExEE10hipError_tPvRmT2_T3_T4_T5_mT6_T7_P12ihipStream_tbENKUlT_T0_E_clISt17integral_constantIbLb0EES11_EEDaSW_SX_EUlSW_E_NS1_11comp_targetILNS1_3genE0ELNS1_11target_archE4294967295ELNS1_3gpuE0ELNS1_3repE0EEENS1_30default_config_static_selectorELNS0_4arch9wavefront6targetE0EEEvT1_,"axG",@progbits,_ZN7rocprim17ROCPRIM_400000_NS6detail17trampoline_kernelINS0_14default_configENS1_27scan_by_key_config_selectorIixEEZZNS1_16scan_by_key_implILNS1_25lookback_scan_determinismE0ELb1ES3_N6thrust23THRUST_200600_302600_NS6detail15normal_iteratorINS9_10device_ptrIiEEEENSB_INSC_IxEEEESG_xNS9_4plusIvEENS9_8equal_toIvEExEE10hipError_tPvRmT2_T3_T4_T5_mT6_T7_P12ihipStream_tbENKUlT_T0_E_clISt17integral_constantIbLb0EES11_EEDaSW_SX_EUlSW_E_NS1_11comp_targetILNS1_3genE0ELNS1_11target_archE4294967295ELNS1_3gpuE0ELNS1_3repE0EEENS1_30default_config_static_selectorELNS0_4arch9wavefront6targetE0EEEvT1_,comdat
	.protected	_ZN7rocprim17ROCPRIM_400000_NS6detail17trampoline_kernelINS0_14default_configENS1_27scan_by_key_config_selectorIixEEZZNS1_16scan_by_key_implILNS1_25lookback_scan_determinismE0ELb1ES3_N6thrust23THRUST_200600_302600_NS6detail15normal_iteratorINS9_10device_ptrIiEEEENSB_INSC_IxEEEESG_xNS9_4plusIvEENS9_8equal_toIvEExEE10hipError_tPvRmT2_T3_T4_T5_mT6_T7_P12ihipStream_tbENKUlT_T0_E_clISt17integral_constantIbLb0EES11_EEDaSW_SX_EUlSW_E_NS1_11comp_targetILNS1_3genE0ELNS1_11target_archE4294967295ELNS1_3gpuE0ELNS1_3repE0EEENS1_30default_config_static_selectorELNS0_4arch9wavefront6targetE0EEEvT1_ ; -- Begin function _ZN7rocprim17ROCPRIM_400000_NS6detail17trampoline_kernelINS0_14default_configENS1_27scan_by_key_config_selectorIixEEZZNS1_16scan_by_key_implILNS1_25lookback_scan_determinismE0ELb1ES3_N6thrust23THRUST_200600_302600_NS6detail15normal_iteratorINS9_10device_ptrIiEEEENSB_INSC_IxEEEESG_xNS9_4plusIvEENS9_8equal_toIvEExEE10hipError_tPvRmT2_T3_T4_T5_mT6_T7_P12ihipStream_tbENKUlT_T0_E_clISt17integral_constantIbLb0EES11_EEDaSW_SX_EUlSW_E_NS1_11comp_targetILNS1_3genE0ELNS1_11target_archE4294967295ELNS1_3gpuE0ELNS1_3repE0EEENS1_30default_config_static_selectorELNS0_4arch9wavefront6targetE0EEEvT1_
	.globl	_ZN7rocprim17ROCPRIM_400000_NS6detail17trampoline_kernelINS0_14default_configENS1_27scan_by_key_config_selectorIixEEZZNS1_16scan_by_key_implILNS1_25lookback_scan_determinismE0ELb1ES3_N6thrust23THRUST_200600_302600_NS6detail15normal_iteratorINS9_10device_ptrIiEEEENSB_INSC_IxEEEESG_xNS9_4plusIvEENS9_8equal_toIvEExEE10hipError_tPvRmT2_T3_T4_T5_mT6_T7_P12ihipStream_tbENKUlT_T0_E_clISt17integral_constantIbLb0EES11_EEDaSW_SX_EUlSW_E_NS1_11comp_targetILNS1_3genE0ELNS1_11target_archE4294967295ELNS1_3gpuE0ELNS1_3repE0EEENS1_30default_config_static_selectorELNS0_4arch9wavefront6targetE0EEEvT1_
	.p2align	8
	.type	_ZN7rocprim17ROCPRIM_400000_NS6detail17trampoline_kernelINS0_14default_configENS1_27scan_by_key_config_selectorIixEEZZNS1_16scan_by_key_implILNS1_25lookback_scan_determinismE0ELb1ES3_N6thrust23THRUST_200600_302600_NS6detail15normal_iteratorINS9_10device_ptrIiEEEENSB_INSC_IxEEEESG_xNS9_4plusIvEENS9_8equal_toIvEExEE10hipError_tPvRmT2_T3_T4_T5_mT6_T7_P12ihipStream_tbENKUlT_T0_E_clISt17integral_constantIbLb0EES11_EEDaSW_SX_EUlSW_E_NS1_11comp_targetILNS1_3genE0ELNS1_11target_archE4294967295ELNS1_3gpuE0ELNS1_3repE0EEENS1_30default_config_static_selectorELNS0_4arch9wavefront6targetE0EEEvT1_,@function
_ZN7rocprim17ROCPRIM_400000_NS6detail17trampoline_kernelINS0_14default_configENS1_27scan_by_key_config_selectorIixEEZZNS1_16scan_by_key_implILNS1_25lookback_scan_determinismE0ELb1ES3_N6thrust23THRUST_200600_302600_NS6detail15normal_iteratorINS9_10device_ptrIiEEEENSB_INSC_IxEEEESG_xNS9_4plusIvEENS9_8equal_toIvEExEE10hipError_tPvRmT2_T3_T4_T5_mT6_T7_P12ihipStream_tbENKUlT_T0_E_clISt17integral_constantIbLb0EES11_EEDaSW_SX_EUlSW_E_NS1_11comp_targetILNS1_3genE0ELNS1_11target_archE4294967295ELNS1_3gpuE0ELNS1_3repE0EEENS1_30default_config_static_selectorELNS0_4arch9wavefront6targetE0EEEvT1_: ; @_ZN7rocprim17ROCPRIM_400000_NS6detail17trampoline_kernelINS0_14default_configENS1_27scan_by_key_config_selectorIixEEZZNS1_16scan_by_key_implILNS1_25lookback_scan_determinismE0ELb1ES3_N6thrust23THRUST_200600_302600_NS6detail15normal_iteratorINS9_10device_ptrIiEEEENSB_INSC_IxEEEESG_xNS9_4plusIvEENS9_8equal_toIvEExEE10hipError_tPvRmT2_T3_T4_T5_mT6_T7_P12ihipStream_tbENKUlT_T0_E_clISt17integral_constantIbLb0EES11_EEDaSW_SX_EUlSW_E_NS1_11comp_targetILNS1_3genE0ELNS1_11target_archE4294967295ELNS1_3gpuE0ELNS1_3repE0EEENS1_30default_config_static_selectorELNS0_4arch9wavefront6targetE0EEEvT1_
; %bb.0:
	.section	.rodata,"a",@progbits
	.p2align	6, 0x0
	.amdhsa_kernel _ZN7rocprim17ROCPRIM_400000_NS6detail17trampoline_kernelINS0_14default_configENS1_27scan_by_key_config_selectorIixEEZZNS1_16scan_by_key_implILNS1_25lookback_scan_determinismE0ELb1ES3_N6thrust23THRUST_200600_302600_NS6detail15normal_iteratorINS9_10device_ptrIiEEEENSB_INSC_IxEEEESG_xNS9_4plusIvEENS9_8equal_toIvEExEE10hipError_tPvRmT2_T3_T4_T5_mT6_T7_P12ihipStream_tbENKUlT_T0_E_clISt17integral_constantIbLb0EES11_EEDaSW_SX_EUlSW_E_NS1_11comp_targetILNS1_3genE0ELNS1_11target_archE4294967295ELNS1_3gpuE0ELNS1_3repE0EEENS1_30default_config_static_selectorELNS0_4arch9wavefront6targetE0EEEvT1_
		.amdhsa_group_segment_fixed_size 0
		.amdhsa_private_segment_fixed_size 0
		.amdhsa_kernarg_size 136
		.amdhsa_user_sgpr_count 6
		.amdhsa_user_sgpr_private_segment_buffer 1
		.amdhsa_user_sgpr_dispatch_ptr 0
		.amdhsa_user_sgpr_queue_ptr 0
		.amdhsa_user_sgpr_kernarg_segment_ptr 1
		.amdhsa_user_sgpr_dispatch_id 0
		.amdhsa_user_sgpr_flat_scratch_init 0
		.amdhsa_user_sgpr_private_segment_size 0
		.amdhsa_wavefront_size32 1
		.amdhsa_uses_dynamic_stack 0
		.amdhsa_system_sgpr_private_segment_wavefront_offset 0
		.amdhsa_system_sgpr_workgroup_id_x 1
		.amdhsa_system_sgpr_workgroup_id_y 0
		.amdhsa_system_sgpr_workgroup_id_z 0
		.amdhsa_system_sgpr_workgroup_info 0
		.amdhsa_system_vgpr_workitem_id 0
		.amdhsa_next_free_vgpr 1
		.amdhsa_next_free_sgpr 1
		.amdhsa_reserve_vcc 0
		.amdhsa_reserve_flat_scratch 0
		.amdhsa_float_round_mode_32 0
		.amdhsa_float_round_mode_16_64 0
		.amdhsa_float_denorm_mode_32 3
		.amdhsa_float_denorm_mode_16_64 3
		.amdhsa_dx10_clamp 1
		.amdhsa_ieee_mode 1
		.amdhsa_fp16_overflow 0
		.amdhsa_workgroup_processor_mode 1
		.amdhsa_memory_ordered 1
		.amdhsa_forward_progress 1
		.amdhsa_shared_vgpr_count 0
		.amdhsa_exception_fp_ieee_invalid_op 0
		.amdhsa_exception_fp_denorm_src 0
		.amdhsa_exception_fp_ieee_div_zero 0
		.amdhsa_exception_fp_ieee_overflow 0
		.amdhsa_exception_fp_ieee_underflow 0
		.amdhsa_exception_fp_ieee_inexact 0
		.amdhsa_exception_int_div_zero 0
	.end_amdhsa_kernel
	.section	.text._ZN7rocprim17ROCPRIM_400000_NS6detail17trampoline_kernelINS0_14default_configENS1_27scan_by_key_config_selectorIixEEZZNS1_16scan_by_key_implILNS1_25lookback_scan_determinismE0ELb1ES3_N6thrust23THRUST_200600_302600_NS6detail15normal_iteratorINS9_10device_ptrIiEEEENSB_INSC_IxEEEESG_xNS9_4plusIvEENS9_8equal_toIvEExEE10hipError_tPvRmT2_T3_T4_T5_mT6_T7_P12ihipStream_tbENKUlT_T0_E_clISt17integral_constantIbLb0EES11_EEDaSW_SX_EUlSW_E_NS1_11comp_targetILNS1_3genE0ELNS1_11target_archE4294967295ELNS1_3gpuE0ELNS1_3repE0EEENS1_30default_config_static_selectorELNS0_4arch9wavefront6targetE0EEEvT1_,"axG",@progbits,_ZN7rocprim17ROCPRIM_400000_NS6detail17trampoline_kernelINS0_14default_configENS1_27scan_by_key_config_selectorIixEEZZNS1_16scan_by_key_implILNS1_25lookback_scan_determinismE0ELb1ES3_N6thrust23THRUST_200600_302600_NS6detail15normal_iteratorINS9_10device_ptrIiEEEENSB_INSC_IxEEEESG_xNS9_4plusIvEENS9_8equal_toIvEExEE10hipError_tPvRmT2_T3_T4_T5_mT6_T7_P12ihipStream_tbENKUlT_T0_E_clISt17integral_constantIbLb0EES11_EEDaSW_SX_EUlSW_E_NS1_11comp_targetILNS1_3genE0ELNS1_11target_archE4294967295ELNS1_3gpuE0ELNS1_3repE0EEENS1_30default_config_static_selectorELNS0_4arch9wavefront6targetE0EEEvT1_,comdat
.Lfunc_end1571:
	.size	_ZN7rocprim17ROCPRIM_400000_NS6detail17trampoline_kernelINS0_14default_configENS1_27scan_by_key_config_selectorIixEEZZNS1_16scan_by_key_implILNS1_25lookback_scan_determinismE0ELb1ES3_N6thrust23THRUST_200600_302600_NS6detail15normal_iteratorINS9_10device_ptrIiEEEENSB_INSC_IxEEEESG_xNS9_4plusIvEENS9_8equal_toIvEExEE10hipError_tPvRmT2_T3_T4_T5_mT6_T7_P12ihipStream_tbENKUlT_T0_E_clISt17integral_constantIbLb0EES11_EEDaSW_SX_EUlSW_E_NS1_11comp_targetILNS1_3genE0ELNS1_11target_archE4294967295ELNS1_3gpuE0ELNS1_3repE0EEENS1_30default_config_static_selectorELNS0_4arch9wavefront6targetE0EEEvT1_, .Lfunc_end1571-_ZN7rocprim17ROCPRIM_400000_NS6detail17trampoline_kernelINS0_14default_configENS1_27scan_by_key_config_selectorIixEEZZNS1_16scan_by_key_implILNS1_25lookback_scan_determinismE0ELb1ES3_N6thrust23THRUST_200600_302600_NS6detail15normal_iteratorINS9_10device_ptrIiEEEENSB_INSC_IxEEEESG_xNS9_4plusIvEENS9_8equal_toIvEExEE10hipError_tPvRmT2_T3_T4_T5_mT6_T7_P12ihipStream_tbENKUlT_T0_E_clISt17integral_constantIbLb0EES11_EEDaSW_SX_EUlSW_E_NS1_11comp_targetILNS1_3genE0ELNS1_11target_archE4294967295ELNS1_3gpuE0ELNS1_3repE0EEENS1_30default_config_static_selectorELNS0_4arch9wavefront6targetE0EEEvT1_
                                        ; -- End function
	.set _ZN7rocprim17ROCPRIM_400000_NS6detail17trampoline_kernelINS0_14default_configENS1_27scan_by_key_config_selectorIixEEZZNS1_16scan_by_key_implILNS1_25lookback_scan_determinismE0ELb1ES3_N6thrust23THRUST_200600_302600_NS6detail15normal_iteratorINS9_10device_ptrIiEEEENSB_INSC_IxEEEESG_xNS9_4plusIvEENS9_8equal_toIvEExEE10hipError_tPvRmT2_T3_T4_T5_mT6_T7_P12ihipStream_tbENKUlT_T0_E_clISt17integral_constantIbLb0EES11_EEDaSW_SX_EUlSW_E_NS1_11comp_targetILNS1_3genE0ELNS1_11target_archE4294967295ELNS1_3gpuE0ELNS1_3repE0EEENS1_30default_config_static_selectorELNS0_4arch9wavefront6targetE0EEEvT1_.num_vgpr, 0
	.set _ZN7rocprim17ROCPRIM_400000_NS6detail17trampoline_kernelINS0_14default_configENS1_27scan_by_key_config_selectorIixEEZZNS1_16scan_by_key_implILNS1_25lookback_scan_determinismE0ELb1ES3_N6thrust23THRUST_200600_302600_NS6detail15normal_iteratorINS9_10device_ptrIiEEEENSB_INSC_IxEEEESG_xNS9_4plusIvEENS9_8equal_toIvEExEE10hipError_tPvRmT2_T3_T4_T5_mT6_T7_P12ihipStream_tbENKUlT_T0_E_clISt17integral_constantIbLb0EES11_EEDaSW_SX_EUlSW_E_NS1_11comp_targetILNS1_3genE0ELNS1_11target_archE4294967295ELNS1_3gpuE0ELNS1_3repE0EEENS1_30default_config_static_selectorELNS0_4arch9wavefront6targetE0EEEvT1_.num_agpr, 0
	.set _ZN7rocprim17ROCPRIM_400000_NS6detail17trampoline_kernelINS0_14default_configENS1_27scan_by_key_config_selectorIixEEZZNS1_16scan_by_key_implILNS1_25lookback_scan_determinismE0ELb1ES3_N6thrust23THRUST_200600_302600_NS6detail15normal_iteratorINS9_10device_ptrIiEEEENSB_INSC_IxEEEESG_xNS9_4plusIvEENS9_8equal_toIvEExEE10hipError_tPvRmT2_T3_T4_T5_mT6_T7_P12ihipStream_tbENKUlT_T0_E_clISt17integral_constantIbLb0EES11_EEDaSW_SX_EUlSW_E_NS1_11comp_targetILNS1_3genE0ELNS1_11target_archE4294967295ELNS1_3gpuE0ELNS1_3repE0EEENS1_30default_config_static_selectorELNS0_4arch9wavefront6targetE0EEEvT1_.numbered_sgpr, 0
	.set _ZN7rocprim17ROCPRIM_400000_NS6detail17trampoline_kernelINS0_14default_configENS1_27scan_by_key_config_selectorIixEEZZNS1_16scan_by_key_implILNS1_25lookback_scan_determinismE0ELb1ES3_N6thrust23THRUST_200600_302600_NS6detail15normal_iteratorINS9_10device_ptrIiEEEENSB_INSC_IxEEEESG_xNS9_4plusIvEENS9_8equal_toIvEExEE10hipError_tPvRmT2_T3_T4_T5_mT6_T7_P12ihipStream_tbENKUlT_T0_E_clISt17integral_constantIbLb0EES11_EEDaSW_SX_EUlSW_E_NS1_11comp_targetILNS1_3genE0ELNS1_11target_archE4294967295ELNS1_3gpuE0ELNS1_3repE0EEENS1_30default_config_static_selectorELNS0_4arch9wavefront6targetE0EEEvT1_.num_named_barrier, 0
	.set _ZN7rocprim17ROCPRIM_400000_NS6detail17trampoline_kernelINS0_14default_configENS1_27scan_by_key_config_selectorIixEEZZNS1_16scan_by_key_implILNS1_25lookback_scan_determinismE0ELb1ES3_N6thrust23THRUST_200600_302600_NS6detail15normal_iteratorINS9_10device_ptrIiEEEENSB_INSC_IxEEEESG_xNS9_4plusIvEENS9_8equal_toIvEExEE10hipError_tPvRmT2_T3_T4_T5_mT6_T7_P12ihipStream_tbENKUlT_T0_E_clISt17integral_constantIbLb0EES11_EEDaSW_SX_EUlSW_E_NS1_11comp_targetILNS1_3genE0ELNS1_11target_archE4294967295ELNS1_3gpuE0ELNS1_3repE0EEENS1_30default_config_static_selectorELNS0_4arch9wavefront6targetE0EEEvT1_.private_seg_size, 0
	.set _ZN7rocprim17ROCPRIM_400000_NS6detail17trampoline_kernelINS0_14default_configENS1_27scan_by_key_config_selectorIixEEZZNS1_16scan_by_key_implILNS1_25lookback_scan_determinismE0ELb1ES3_N6thrust23THRUST_200600_302600_NS6detail15normal_iteratorINS9_10device_ptrIiEEEENSB_INSC_IxEEEESG_xNS9_4plusIvEENS9_8equal_toIvEExEE10hipError_tPvRmT2_T3_T4_T5_mT6_T7_P12ihipStream_tbENKUlT_T0_E_clISt17integral_constantIbLb0EES11_EEDaSW_SX_EUlSW_E_NS1_11comp_targetILNS1_3genE0ELNS1_11target_archE4294967295ELNS1_3gpuE0ELNS1_3repE0EEENS1_30default_config_static_selectorELNS0_4arch9wavefront6targetE0EEEvT1_.uses_vcc, 0
	.set _ZN7rocprim17ROCPRIM_400000_NS6detail17trampoline_kernelINS0_14default_configENS1_27scan_by_key_config_selectorIixEEZZNS1_16scan_by_key_implILNS1_25lookback_scan_determinismE0ELb1ES3_N6thrust23THRUST_200600_302600_NS6detail15normal_iteratorINS9_10device_ptrIiEEEENSB_INSC_IxEEEESG_xNS9_4plusIvEENS9_8equal_toIvEExEE10hipError_tPvRmT2_T3_T4_T5_mT6_T7_P12ihipStream_tbENKUlT_T0_E_clISt17integral_constantIbLb0EES11_EEDaSW_SX_EUlSW_E_NS1_11comp_targetILNS1_3genE0ELNS1_11target_archE4294967295ELNS1_3gpuE0ELNS1_3repE0EEENS1_30default_config_static_selectorELNS0_4arch9wavefront6targetE0EEEvT1_.uses_flat_scratch, 0
	.set _ZN7rocprim17ROCPRIM_400000_NS6detail17trampoline_kernelINS0_14default_configENS1_27scan_by_key_config_selectorIixEEZZNS1_16scan_by_key_implILNS1_25lookback_scan_determinismE0ELb1ES3_N6thrust23THRUST_200600_302600_NS6detail15normal_iteratorINS9_10device_ptrIiEEEENSB_INSC_IxEEEESG_xNS9_4plusIvEENS9_8equal_toIvEExEE10hipError_tPvRmT2_T3_T4_T5_mT6_T7_P12ihipStream_tbENKUlT_T0_E_clISt17integral_constantIbLb0EES11_EEDaSW_SX_EUlSW_E_NS1_11comp_targetILNS1_3genE0ELNS1_11target_archE4294967295ELNS1_3gpuE0ELNS1_3repE0EEENS1_30default_config_static_selectorELNS0_4arch9wavefront6targetE0EEEvT1_.has_dyn_sized_stack, 0
	.set _ZN7rocprim17ROCPRIM_400000_NS6detail17trampoline_kernelINS0_14default_configENS1_27scan_by_key_config_selectorIixEEZZNS1_16scan_by_key_implILNS1_25lookback_scan_determinismE0ELb1ES3_N6thrust23THRUST_200600_302600_NS6detail15normal_iteratorINS9_10device_ptrIiEEEENSB_INSC_IxEEEESG_xNS9_4plusIvEENS9_8equal_toIvEExEE10hipError_tPvRmT2_T3_T4_T5_mT6_T7_P12ihipStream_tbENKUlT_T0_E_clISt17integral_constantIbLb0EES11_EEDaSW_SX_EUlSW_E_NS1_11comp_targetILNS1_3genE0ELNS1_11target_archE4294967295ELNS1_3gpuE0ELNS1_3repE0EEENS1_30default_config_static_selectorELNS0_4arch9wavefront6targetE0EEEvT1_.has_recursion, 0
	.set _ZN7rocprim17ROCPRIM_400000_NS6detail17trampoline_kernelINS0_14default_configENS1_27scan_by_key_config_selectorIixEEZZNS1_16scan_by_key_implILNS1_25lookback_scan_determinismE0ELb1ES3_N6thrust23THRUST_200600_302600_NS6detail15normal_iteratorINS9_10device_ptrIiEEEENSB_INSC_IxEEEESG_xNS9_4plusIvEENS9_8equal_toIvEExEE10hipError_tPvRmT2_T3_T4_T5_mT6_T7_P12ihipStream_tbENKUlT_T0_E_clISt17integral_constantIbLb0EES11_EEDaSW_SX_EUlSW_E_NS1_11comp_targetILNS1_3genE0ELNS1_11target_archE4294967295ELNS1_3gpuE0ELNS1_3repE0EEENS1_30default_config_static_selectorELNS0_4arch9wavefront6targetE0EEEvT1_.has_indirect_call, 0
	.section	.AMDGPU.csdata,"",@progbits
; Kernel info:
; codeLenInByte = 0
; TotalNumSgprs: 0
; NumVgprs: 0
; ScratchSize: 0
; MemoryBound: 0
; FloatMode: 240
; IeeeMode: 1
; LDSByteSize: 0 bytes/workgroup (compile time only)
; SGPRBlocks: 0
; VGPRBlocks: 0
; NumSGPRsForWavesPerEU: 1
; NumVGPRsForWavesPerEU: 1
; Occupancy: 16
; WaveLimiterHint : 0
; COMPUTE_PGM_RSRC2:SCRATCH_EN: 0
; COMPUTE_PGM_RSRC2:USER_SGPR: 6
; COMPUTE_PGM_RSRC2:TRAP_HANDLER: 0
; COMPUTE_PGM_RSRC2:TGID_X_EN: 1
; COMPUTE_PGM_RSRC2:TGID_Y_EN: 0
; COMPUTE_PGM_RSRC2:TGID_Z_EN: 0
; COMPUTE_PGM_RSRC2:TIDIG_COMP_CNT: 0
	.section	.text._ZN7rocprim17ROCPRIM_400000_NS6detail17trampoline_kernelINS0_14default_configENS1_27scan_by_key_config_selectorIixEEZZNS1_16scan_by_key_implILNS1_25lookback_scan_determinismE0ELb1ES3_N6thrust23THRUST_200600_302600_NS6detail15normal_iteratorINS9_10device_ptrIiEEEENSB_INSC_IxEEEESG_xNS9_4plusIvEENS9_8equal_toIvEExEE10hipError_tPvRmT2_T3_T4_T5_mT6_T7_P12ihipStream_tbENKUlT_T0_E_clISt17integral_constantIbLb0EES11_EEDaSW_SX_EUlSW_E_NS1_11comp_targetILNS1_3genE10ELNS1_11target_archE1201ELNS1_3gpuE5ELNS1_3repE0EEENS1_30default_config_static_selectorELNS0_4arch9wavefront6targetE0EEEvT1_,"axG",@progbits,_ZN7rocprim17ROCPRIM_400000_NS6detail17trampoline_kernelINS0_14default_configENS1_27scan_by_key_config_selectorIixEEZZNS1_16scan_by_key_implILNS1_25lookback_scan_determinismE0ELb1ES3_N6thrust23THRUST_200600_302600_NS6detail15normal_iteratorINS9_10device_ptrIiEEEENSB_INSC_IxEEEESG_xNS9_4plusIvEENS9_8equal_toIvEExEE10hipError_tPvRmT2_T3_T4_T5_mT6_T7_P12ihipStream_tbENKUlT_T0_E_clISt17integral_constantIbLb0EES11_EEDaSW_SX_EUlSW_E_NS1_11comp_targetILNS1_3genE10ELNS1_11target_archE1201ELNS1_3gpuE5ELNS1_3repE0EEENS1_30default_config_static_selectorELNS0_4arch9wavefront6targetE0EEEvT1_,comdat
	.protected	_ZN7rocprim17ROCPRIM_400000_NS6detail17trampoline_kernelINS0_14default_configENS1_27scan_by_key_config_selectorIixEEZZNS1_16scan_by_key_implILNS1_25lookback_scan_determinismE0ELb1ES3_N6thrust23THRUST_200600_302600_NS6detail15normal_iteratorINS9_10device_ptrIiEEEENSB_INSC_IxEEEESG_xNS9_4plusIvEENS9_8equal_toIvEExEE10hipError_tPvRmT2_T3_T4_T5_mT6_T7_P12ihipStream_tbENKUlT_T0_E_clISt17integral_constantIbLb0EES11_EEDaSW_SX_EUlSW_E_NS1_11comp_targetILNS1_3genE10ELNS1_11target_archE1201ELNS1_3gpuE5ELNS1_3repE0EEENS1_30default_config_static_selectorELNS0_4arch9wavefront6targetE0EEEvT1_ ; -- Begin function _ZN7rocprim17ROCPRIM_400000_NS6detail17trampoline_kernelINS0_14default_configENS1_27scan_by_key_config_selectorIixEEZZNS1_16scan_by_key_implILNS1_25lookback_scan_determinismE0ELb1ES3_N6thrust23THRUST_200600_302600_NS6detail15normal_iteratorINS9_10device_ptrIiEEEENSB_INSC_IxEEEESG_xNS9_4plusIvEENS9_8equal_toIvEExEE10hipError_tPvRmT2_T3_T4_T5_mT6_T7_P12ihipStream_tbENKUlT_T0_E_clISt17integral_constantIbLb0EES11_EEDaSW_SX_EUlSW_E_NS1_11comp_targetILNS1_3genE10ELNS1_11target_archE1201ELNS1_3gpuE5ELNS1_3repE0EEENS1_30default_config_static_selectorELNS0_4arch9wavefront6targetE0EEEvT1_
	.globl	_ZN7rocprim17ROCPRIM_400000_NS6detail17trampoline_kernelINS0_14default_configENS1_27scan_by_key_config_selectorIixEEZZNS1_16scan_by_key_implILNS1_25lookback_scan_determinismE0ELb1ES3_N6thrust23THRUST_200600_302600_NS6detail15normal_iteratorINS9_10device_ptrIiEEEENSB_INSC_IxEEEESG_xNS9_4plusIvEENS9_8equal_toIvEExEE10hipError_tPvRmT2_T3_T4_T5_mT6_T7_P12ihipStream_tbENKUlT_T0_E_clISt17integral_constantIbLb0EES11_EEDaSW_SX_EUlSW_E_NS1_11comp_targetILNS1_3genE10ELNS1_11target_archE1201ELNS1_3gpuE5ELNS1_3repE0EEENS1_30default_config_static_selectorELNS0_4arch9wavefront6targetE0EEEvT1_
	.p2align	8
	.type	_ZN7rocprim17ROCPRIM_400000_NS6detail17trampoline_kernelINS0_14default_configENS1_27scan_by_key_config_selectorIixEEZZNS1_16scan_by_key_implILNS1_25lookback_scan_determinismE0ELb1ES3_N6thrust23THRUST_200600_302600_NS6detail15normal_iteratorINS9_10device_ptrIiEEEENSB_INSC_IxEEEESG_xNS9_4plusIvEENS9_8equal_toIvEExEE10hipError_tPvRmT2_T3_T4_T5_mT6_T7_P12ihipStream_tbENKUlT_T0_E_clISt17integral_constantIbLb0EES11_EEDaSW_SX_EUlSW_E_NS1_11comp_targetILNS1_3genE10ELNS1_11target_archE1201ELNS1_3gpuE5ELNS1_3repE0EEENS1_30default_config_static_selectorELNS0_4arch9wavefront6targetE0EEEvT1_,@function
_ZN7rocprim17ROCPRIM_400000_NS6detail17trampoline_kernelINS0_14default_configENS1_27scan_by_key_config_selectorIixEEZZNS1_16scan_by_key_implILNS1_25lookback_scan_determinismE0ELb1ES3_N6thrust23THRUST_200600_302600_NS6detail15normal_iteratorINS9_10device_ptrIiEEEENSB_INSC_IxEEEESG_xNS9_4plusIvEENS9_8equal_toIvEExEE10hipError_tPvRmT2_T3_T4_T5_mT6_T7_P12ihipStream_tbENKUlT_T0_E_clISt17integral_constantIbLb0EES11_EEDaSW_SX_EUlSW_E_NS1_11comp_targetILNS1_3genE10ELNS1_11target_archE1201ELNS1_3gpuE5ELNS1_3repE0EEENS1_30default_config_static_selectorELNS0_4arch9wavefront6targetE0EEEvT1_: ; @_ZN7rocprim17ROCPRIM_400000_NS6detail17trampoline_kernelINS0_14default_configENS1_27scan_by_key_config_selectorIixEEZZNS1_16scan_by_key_implILNS1_25lookback_scan_determinismE0ELb1ES3_N6thrust23THRUST_200600_302600_NS6detail15normal_iteratorINS9_10device_ptrIiEEEENSB_INSC_IxEEEESG_xNS9_4plusIvEENS9_8equal_toIvEExEE10hipError_tPvRmT2_T3_T4_T5_mT6_T7_P12ihipStream_tbENKUlT_T0_E_clISt17integral_constantIbLb0EES11_EEDaSW_SX_EUlSW_E_NS1_11comp_targetILNS1_3genE10ELNS1_11target_archE1201ELNS1_3gpuE5ELNS1_3repE0EEENS1_30default_config_static_selectorELNS0_4arch9wavefront6targetE0EEEvT1_
; %bb.0:
	.section	.rodata,"a",@progbits
	.p2align	6, 0x0
	.amdhsa_kernel _ZN7rocprim17ROCPRIM_400000_NS6detail17trampoline_kernelINS0_14default_configENS1_27scan_by_key_config_selectorIixEEZZNS1_16scan_by_key_implILNS1_25lookback_scan_determinismE0ELb1ES3_N6thrust23THRUST_200600_302600_NS6detail15normal_iteratorINS9_10device_ptrIiEEEENSB_INSC_IxEEEESG_xNS9_4plusIvEENS9_8equal_toIvEExEE10hipError_tPvRmT2_T3_T4_T5_mT6_T7_P12ihipStream_tbENKUlT_T0_E_clISt17integral_constantIbLb0EES11_EEDaSW_SX_EUlSW_E_NS1_11comp_targetILNS1_3genE10ELNS1_11target_archE1201ELNS1_3gpuE5ELNS1_3repE0EEENS1_30default_config_static_selectorELNS0_4arch9wavefront6targetE0EEEvT1_
		.amdhsa_group_segment_fixed_size 0
		.amdhsa_private_segment_fixed_size 0
		.amdhsa_kernarg_size 136
		.amdhsa_user_sgpr_count 6
		.amdhsa_user_sgpr_private_segment_buffer 1
		.amdhsa_user_sgpr_dispatch_ptr 0
		.amdhsa_user_sgpr_queue_ptr 0
		.amdhsa_user_sgpr_kernarg_segment_ptr 1
		.amdhsa_user_sgpr_dispatch_id 0
		.amdhsa_user_sgpr_flat_scratch_init 0
		.amdhsa_user_sgpr_private_segment_size 0
		.amdhsa_wavefront_size32 1
		.amdhsa_uses_dynamic_stack 0
		.amdhsa_system_sgpr_private_segment_wavefront_offset 0
		.amdhsa_system_sgpr_workgroup_id_x 1
		.amdhsa_system_sgpr_workgroup_id_y 0
		.amdhsa_system_sgpr_workgroup_id_z 0
		.amdhsa_system_sgpr_workgroup_info 0
		.amdhsa_system_vgpr_workitem_id 0
		.amdhsa_next_free_vgpr 1
		.amdhsa_next_free_sgpr 1
		.amdhsa_reserve_vcc 0
		.amdhsa_reserve_flat_scratch 0
		.amdhsa_float_round_mode_32 0
		.amdhsa_float_round_mode_16_64 0
		.amdhsa_float_denorm_mode_32 3
		.amdhsa_float_denorm_mode_16_64 3
		.amdhsa_dx10_clamp 1
		.amdhsa_ieee_mode 1
		.amdhsa_fp16_overflow 0
		.amdhsa_workgroup_processor_mode 1
		.amdhsa_memory_ordered 1
		.amdhsa_forward_progress 1
		.amdhsa_shared_vgpr_count 0
		.amdhsa_exception_fp_ieee_invalid_op 0
		.amdhsa_exception_fp_denorm_src 0
		.amdhsa_exception_fp_ieee_div_zero 0
		.amdhsa_exception_fp_ieee_overflow 0
		.amdhsa_exception_fp_ieee_underflow 0
		.amdhsa_exception_fp_ieee_inexact 0
		.amdhsa_exception_int_div_zero 0
	.end_amdhsa_kernel
	.section	.text._ZN7rocprim17ROCPRIM_400000_NS6detail17trampoline_kernelINS0_14default_configENS1_27scan_by_key_config_selectorIixEEZZNS1_16scan_by_key_implILNS1_25lookback_scan_determinismE0ELb1ES3_N6thrust23THRUST_200600_302600_NS6detail15normal_iteratorINS9_10device_ptrIiEEEENSB_INSC_IxEEEESG_xNS9_4plusIvEENS9_8equal_toIvEExEE10hipError_tPvRmT2_T3_T4_T5_mT6_T7_P12ihipStream_tbENKUlT_T0_E_clISt17integral_constantIbLb0EES11_EEDaSW_SX_EUlSW_E_NS1_11comp_targetILNS1_3genE10ELNS1_11target_archE1201ELNS1_3gpuE5ELNS1_3repE0EEENS1_30default_config_static_selectorELNS0_4arch9wavefront6targetE0EEEvT1_,"axG",@progbits,_ZN7rocprim17ROCPRIM_400000_NS6detail17trampoline_kernelINS0_14default_configENS1_27scan_by_key_config_selectorIixEEZZNS1_16scan_by_key_implILNS1_25lookback_scan_determinismE0ELb1ES3_N6thrust23THRUST_200600_302600_NS6detail15normal_iteratorINS9_10device_ptrIiEEEENSB_INSC_IxEEEESG_xNS9_4plusIvEENS9_8equal_toIvEExEE10hipError_tPvRmT2_T3_T4_T5_mT6_T7_P12ihipStream_tbENKUlT_T0_E_clISt17integral_constantIbLb0EES11_EEDaSW_SX_EUlSW_E_NS1_11comp_targetILNS1_3genE10ELNS1_11target_archE1201ELNS1_3gpuE5ELNS1_3repE0EEENS1_30default_config_static_selectorELNS0_4arch9wavefront6targetE0EEEvT1_,comdat
.Lfunc_end1572:
	.size	_ZN7rocprim17ROCPRIM_400000_NS6detail17trampoline_kernelINS0_14default_configENS1_27scan_by_key_config_selectorIixEEZZNS1_16scan_by_key_implILNS1_25lookback_scan_determinismE0ELb1ES3_N6thrust23THRUST_200600_302600_NS6detail15normal_iteratorINS9_10device_ptrIiEEEENSB_INSC_IxEEEESG_xNS9_4plusIvEENS9_8equal_toIvEExEE10hipError_tPvRmT2_T3_T4_T5_mT6_T7_P12ihipStream_tbENKUlT_T0_E_clISt17integral_constantIbLb0EES11_EEDaSW_SX_EUlSW_E_NS1_11comp_targetILNS1_3genE10ELNS1_11target_archE1201ELNS1_3gpuE5ELNS1_3repE0EEENS1_30default_config_static_selectorELNS0_4arch9wavefront6targetE0EEEvT1_, .Lfunc_end1572-_ZN7rocprim17ROCPRIM_400000_NS6detail17trampoline_kernelINS0_14default_configENS1_27scan_by_key_config_selectorIixEEZZNS1_16scan_by_key_implILNS1_25lookback_scan_determinismE0ELb1ES3_N6thrust23THRUST_200600_302600_NS6detail15normal_iteratorINS9_10device_ptrIiEEEENSB_INSC_IxEEEESG_xNS9_4plusIvEENS9_8equal_toIvEExEE10hipError_tPvRmT2_T3_T4_T5_mT6_T7_P12ihipStream_tbENKUlT_T0_E_clISt17integral_constantIbLb0EES11_EEDaSW_SX_EUlSW_E_NS1_11comp_targetILNS1_3genE10ELNS1_11target_archE1201ELNS1_3gpuE5ELNS1_3repE0EEENS1_30default_config_static_selectorELNS0_4arch9wavefront6targetE0EEEvT1_
                                        ; -- End function
	.set _ZN7rocprim17ROCPRIM_400000_NS6detail17trampoline_kernelINS0_14default_configENS1_27scan_by_key_config_selectorIixEEZZNS1_16scan_by_key_implILNS1_25lookback_scan_determinismE0ELb1ES3_N6thrust23THRUST_200600_302600_NS6detail15normal_iteratorINS9_10device_ptrIiEEEENSB_INSC_IxEEEESG_xNS9_4plusIvEENS9_8equal_toIvEExEE10hipError_tPvRmT2_T3_T4_T5_mT6_T7_P12ihipStream_tbENKUlT_T0_E_clISt17integral_constantIbLb0EES11_EEDaSW_SX_EUlSW_E_NS1_11comp_targetILNS1_3genE10ELNS1_11target_archE1201ELNS1_3gpuE5ELNS1_3repE0EEENS1_30default_config_static_selectorELNS0_4arch9wavefront6targetE0EEEvT1_.num_vgpr, 0
	.set _ZN7rocprim17ROCPRIM_400000_NS6detail17trampoline_kernelINS0_14default_configENS1_27scan_by_key_config_selectorIixEEZZNS1_16scan_by_key_implILNS1_25lookback_scan_determinismE0ELb1ES3_N6thrust23THRUST_200600_302600_NS6detail15normal_iteratorINS9_10device_ptrIiEEEENSB_INSC_IxEEEESG_xNS9_4plusIvEENS9_8equal_toIvEExEE10hipError_tPvRmT2_T3_T4_T5_mT6_T7_P12ihipStream_tbENKUlT_T0_E_clISt17integral_constantIbLb0EES11_EEDaSW_SX_EUlSW_E_NS1_11comp_targetILNS1_3genE10ELNS1_11target_archE1201ELNS1_3gpuE5ELNS1_3repE0EEENS1_30default_config_static_selectorELNS0_4arch9wavefront6targetE0EEEvT1_.num_agpr, 0
	.set _ZN7rocprim17ROCPRIM_400000_NS6detail17trampoline_kernelINS0_14default_configENS1_27scan_by_key_config_selectorIixEEZZNS1_16scan_by_key_implILNS1_25lookback_scan_determinismE0ELb1ES3_N6thrust23THRUST_200600_302600_NS6detail15normal_iteratorINS9_10device_ptrIiEEEENSB_INSC_IxEEEESG_xNS9_4plusIvEENS9_8equal_toIvEExEE10hipError_tPvRmT2_T3_T4_T5_mT6_T7_P12ihipStream_tbENKUlT_T0_E_clISt17integral_constantIbLb0EES11_EEDaSW_SX_EUlSW_E_NS1_11comp_targetILNS1_3genE10ELNS1_11target_archE1201ELNS1_3gpuE5ELNS1_3repE0EEENS1_30default_config_static_selectorELNS0_4arch9wavefront6targetE0EEEvT1_.numbered_sgpr, 0
	.set _ZN7rocprim17ROCPRIM_400000_NS6detail17trampoline_kernelINS0_14default_configENS1_27scan_by_key_config_selectorIixEEZZNS1_16scan_by_key_implILNS1_25lookback_scan_determinismE0ELb1ES3_N6thrust23THRUST_200600_302600_NS6detail15normal_iteratorINS9_10device_ptrIiEEEENSB_INSC_IxEEEESG_xNS9_4plusIvEENS9_8equal_toIvEExEE10hipError_tPvRmT2_T3_T4_T5_mT6_T7_P12ihipStream_tbENKUlT_T0_E_clISt17integral_constantIbLb0EES11_EEDaSW_SX_EUlSW_E_NS1_11comp_targetILNS1_3genE10ELNS1_11target_archE1201ELNS1_3gpuE5ELNS1_3repE0EEENS1_30default_config_static_selectorELNS0_4arch9wavefront6targetE0EEEvT1_.num_named_barrier, 0
	.set _ZN7rocprim17ROCPRIM_400000_NS6detail17trampoline_kernelINS0_14default_configENS1_27scan_by_key_config_selectorIixEEZZNS1_16scan_by_key_implILNS1_25lookback_scan_determinismE0ELb1ES3_N6thrust23THRUST_200600_302600_NS6detail15normal_iteratorINS9_10device_ptrIiEEEENSB_INSC_IxEEEESG_xNS9_4plusIvEENS9_8equal_toIvEExEE10hipError_tPvRmT2_T3_T4_T5_mT6_T7_P12ihipStream_tbENKUlT_T0_E_clISt17integral_constantIbLb0EES11_EEDaSW_SX_EUlSW_E_NS1_11comp_targetILNS1_3genE10ELNS1_11target_archE1201ELNS1_3gpuE5ELNS1_3repE0EEENS1_30default_config_static_selectorELNS0_4arch9wavefront6targetE0EEEvT1_.private_seg_size, 0
	.set _ZN7rocprim17ROCPRIM_400000_NS6detail17trampoline_kernelINS0_14default_configENS1_27scan_by_key_config_selectorIixEEZZNS1_16scan_by_key_implILNS1_25lookback_scan_determinismE0ELb1ES3_N6thrust23THRUST_200600_302600_NS6detail15normal_iteratorINS9_10device_ptrIiEEEENSB_INSC_IxEEEESG_xNS9_4plusIvEENS9_8equal_toIvEExEE10hipError_tPvRmT2_T3_T4_T5_mT6_T7_P12ihipStream_tbENKUlT_T0_E_clISt17integral_constantIbLb0EES11_EEDaSW_SX_EUlSW_E_NS1_11comp_targetILNS1_3genE10ELNS1_11target_archE1201ELNS1_3gpuE5ELNS1_3repE0EEENS1_30default_config_static_selectorELNS0_4arch9wavefront6targetE0EEEvT1_.uses_vcc, 0
	.set _ZN7rocprim17ROCPRIM_400000_NS6detail17trampoline_kernelINS0_14default_configENS1_27scan_by_key_config_selectorIixEEZZNS1_16scan_by_key_implILNS1_25lookback_scan_determinismE0ELb1ES3_N6thrust23THRUST_200600_302600_NS6detail15normal_iteratorINS9_10device_ptrIiEEEENSB_INSC_IxEEEESG_xNS9_4plusIvEENS9_8equal_toIvEExEE10hipError_tPvRmT2_T3_T4_T5_mT6_T7_P12ihipStream_tbENKUlT_T0_E_clISt17integral_constantIbLb0EES11_EEDaSW_SX_EUlSW_E_NS1_11comp_targetILNS1_3genE10ELNS1_11target_archE1201ELNS1_3gpuE5ELNS1_3repE0EEENS1_30default_config_static_selectorELNS0_4arch9wavefront6targetE0EEEvT1_.uses_flat_scratch, 0
	.set _ZN7rocprim17ROCPRIM_400000_NS6detail17trampoline_kernelINS0_14default_configENS1_27scan_by_key_config_selectorIixEEZZNS1_16scan_by_key_implILNS1_25lookback_scan_determinismE0ELb1ES3_N6thrust23THRUST_200600_302600_NS6detail15normal_iteratorINS9_10device_ptrIiEEEENSB_INSC_IxEEEESG_xNS9_4plusIvEENS9_8equal_toIvEExEE10hipError_tPvRmT2_T3_T4_T5_mT6_T7_P12ihipStream_tbENKUlT_T0_E_clISt17integral_constantIbLb0EES11_EEDaSW_SX_EUlSW_E_NS1_11comp_targetILNS1_3genE10ELNS1_11target_archE1201ELNS1_3gpuE5ELNS1_3repE0EEENS1_30default_config_static_selectorELNS0_4arch9wavefront6targetE0EEEvT1_.has_dyn_sized_stack, 0
	.set _ZN7rocprim17ROCPRIM_400000_NS6detail17trampoline_kernelINS0_14default_configENS1_27scan_by_key_config_selectorIixEEZZNS1_16scan_by_key_implILNS1_25lookback_scan_determinismE0ELb1ES3_N6thrust23THRUST_200600_302600_NS6detail15normal_iteratorINS9_10device_ptrIiEEEENSB_INSC_IxEEEESG_xNS9_4plusIvEENS9_8equal_toIvEExEE10hipError_tPvRmT2_T3_T4_T5_mT6_T7_P12ihipStream_tbENKUlT_T0_E_clISt17integral_constantIbLb0EES11_EEDaSW_SX_EUlSW_E_NS1_11comp_targetILNS1_3genE10ELNS1_11target_archE1201ELNS1_3gpuE5ELNS1_3repE0EEENS1_30default_config_static_selectorELNS0_4arch9wavefront6targetE0EEEvT1_.has_recursion, 0
	.set _ZN7rocprim17ROCPRIM_400000_NS6detail17trampoline_kernelINS0_14default_configENS1_27scan_by_key_config_selectorIixEEZZNS1_16scan_by_key_implILNS1_25lookback_scan_determinismE0ELb1ES3_N6thrust23THRUST_200600_302600_NS6detail15normal_iteratorINS9_10device_ptrIiEEEENSB_INSC_IxEEEESG_xNS9_4plusIvEENS9_8equal_toIvEExEE10hipError_tPvRmT2_T3_T4_T5_mT6_T7_P12ihipStream_tbENKUlT_T0_E_clISt17integral_constantIbLb0EES11_EEDaSW_SX_EUlSW_E_NS1_11comp_targetILNS1_3genE10ELNS1_11target_archE1201ELNS1_3gpuE5ELNS1_3repE0EEENS1_30default_config_static_selectorELNS0_4arch9wavefront6targetE0EEEvT1_.has_indirect_call, 0
	.section	.AMDGPU.csdata,"",@progbits
; Kernel info:
; codeLenInByte = 0
; TotalNumSgprs: 0
; NumVgprs: 0
; ScratchSize: 0
; MemoryBound: 0
; FloatMode: 240
; IeeeMode: 1
; LDSByteSize: 0 bytes/workgroup (compile time only)
; SGPRBlocks: 0
; VGPRBlocks: 0
; NumSGPRsForWavesPerEU: 1
; NumVGPRsForWavesPerEU: 1
; Occupancy: 16
; WaveLimiterHint : 0
; COMPUTE_PGM_RSRC2:SCRATCH_EN: 0
; COMPUTE_PGM_RSRC2:USER_SGPR: 6
; COMPUTE_PGM_RSRC2:TRAP_HANDLER: 0
; COMPUTE_PGM_RSRC2:TGID_X_EN: 1
; COMPUTE_PGM_RSRC2:TGID_Y_EN: 0
; COMPUTE_PGM_RSRC2:TGID_Z_EN: 0
; COMPUTE_PGM_RSRC2:TIDIG_COMP_CNT: 0
	.section	.text._ZN7rocprim17ROCPRIM_400000_NS6detail17trampoline_kernelINS0_14default_configENS1_27scan_by_key_config_selectorIixEEZZNS1_16scan_by_key_implILNS1_25lookback_scan_determinismE0ELb1ES3_N6thrust23THRUST_200600_302600_NS6detail15normal_iteratorINS9_10device_ptrIiEEEENSB_INSC_IxEEEESG_xNS9_4plusIvEENS9_8equal_toIvEExEE10hipError_tPvRmT2_T3_T4_T5_mT6_T7_P12ihipStream_tbENKUlT_T0_E_clISt17integral_constantIbLb0EES11_EEDaSW_SX_EUlSW_E_NS1_11comp_targetILNS1_3genE5ELNS1_11target_archE942ELNS1_3gpuE9ELNS1_3repE0EEENS1_30default_config_static_selectorELNS0_4arch9wavefront6targetE0EEEvT1_,"axG",@progbits,_ZN7rocprim17ROCPRIM_400000_NS6detail17trampoline_kernelINS0_14default_configENS1_27scan_by_key_config_selectorIixEEZZNS1_16scan_by_key_implILNS1_25lookback_scan_determinismE0ELb1ES3_N6thrust23THRUST_200600_302600_NS6detail15normal_iteratorINS9_10device_ptrIiEEEENSB_INSC_IxEEEESG_xNS9_4plusIvEENS9_8equal_toIvEExEE10hipError_tPvRmT2_T3_T4_T5_mT6_T7_P12ihipStream_tbENKUlT_T0_E_clISt17integral_constantIbLb0EES11_EEDaSW_SX_EUlSW_E_NS1_11comp_targetILNS1_3genE5ELNS1_11target_archE942ELNS1_3gpuE9ELNS1_3repE0EEENS1_30default_config_static_selectorELNS0_4arch9wavefront6targetE0EEEvT1_,comdat
	.protected	_ZN7rocprim17ROCPRIM_400000_NS6detail17trampoline_kernelINS0_14default_configENS1_27scan_by_key_config_selectorIixEEZZNS1_16scan_by_key_implILNS1_25lookback_scan_determinismE0ELb1ES3_N6thrust23THRUST_200600_302600_NS6detail15normal_iteratorINS9_10device_ptrIiEEEENSB_INSC_IxEEEESG_xNS9_4plusIvEENS9_8equal_toIvEExEE10hipError_tPvRmT2_T3_T4_T5_mT6_T7_P12ihipStream_tbENKUlT_T0_E_clISt17integral_constantIbLb0EES11_EEDaSW_SX_EUlSW_E_NS1_11comp_targetILNS1_3genE5ELNS1_11target_archE942ELNS1_3gpuE9ELNS1_3repE0EEENS1_30default_config_static_selectorELNS0_4arch9wavefront6targetE0EEEvT1_ ; -- Begin function _ZN7rocprim17ROCPRIM_400000_NS6detail17trampoline_kernelINS0_14default_configENS1_27scan_by_key_config_selectorIixEEZZNS1_16scan_by_key_implILNS1_25lookback_scan_determinismE0ELb1ES3_N6thrust23THRUST_200600_302600_NS6detail15normal_iteratorINS9_10device_ptrIiEEEENSB_INSC_IxEEEESG_xNS9_4plusIvEENS9_8equal_toIvEExEE10hipError_tPvRmT2_T3_T4_T5_mT6_T7_P12ihipStream_tbENKUlT_T0_E_clISt17integral_constantIbLb0EES11_EEDaSW_SX_EUlSW_E_NS1_11comp_targetILNS1_3genE5ELNS1_11target_archE942ELNS1_3gpuE9ELNS1_3repE0EEENS1_30default_config_static_selectorELNS0_4arch9wavefront6targetE0EEEvT1_
	.globl	_ZN7rocprim17ROCPRIM_400000_NS6detail17trampoline_kernelINS0_14default_configENS1_27scan_by_key_config_selectorIixEEZZNS1_16scan_by_key_implILNS1_25lookback_scan_determinismE0ELb1ES3_N6thrust23THRUST_200600_302600_NS6detail15normal_iteratorINS9_10device_ptrIiEEEENSB_INSC_IxEEEESG_xNS9_4plusIvEENS9_8equal_toIvEExEE10hipError_tPvRmT2_T3_T4_T5_mT6_T7_P12ihipStream_tbENKUlT_T0_E_clISt17integral_constantIbLb0EES11_EEDaSW_SX_EUlSW_E_NS1_11comp_targetILNS1_3genE5ELNS1_11target_archE942ELNS1_3gpuE9ELNS1_3repE0EEENS1_30default_config_static_selectorELNS0_4arch9wavefront6targetE0EEEvT1_
	.p2align	8
	.type	_ZN7rocprim17ROCPRIM_400000_NS6detail17trampoline_kernelINS0_14default_configENS1_27scan_by_key_config_selectorIixEEZZNS1_16scan_by_key_implILNS1_25lookback_scan_determinismE0ELb1ES3_N6thrust23THRUST_200600_302600_NS6detail15normal_iteratorINS9_10device_ptrIiEEEENSB_INSC_IxEEEESG_xNS9_4plusIvEENS9_8equal_toIvEExEE10hipError_tPvRmT2_T3_T4_T5_mT6_T7_P12ihipStream_tbENKUlT_T0_E_clISt17integral_constantIbLb0EES11_EEDaSW_SX_EUlSW_E_NS1_11comp_targetILNS1_3genE5ELNS1_11target_archE942ELNS1_3gpuE9ELNS1_3repE0EEENS1_30default_config_static_selectorELNS0_4arch9wavefront6targetE0EEEvT1_,@function
_ZN7rocprim17ROCPRIM_400000_NS6detail17trampoline_kernelINS0_14default_configENS1_27scan_by_key_config_selectorIixEEZZNS1_16scan_by_key_implILNS1_25lookback_scan_determinismE0ELb1ES3_N6thrust23THRUST_200600_302600_NS6detail15normal_iteratorINS9_10device_ptrIiEEEENSB_INSC_IxEEEESG_xNS9_4plusIvEENS9_8equal_toIvEExEE10hipError_tPvRmT2_T3_T4_T5_mT6_T7_P12ihipStream_tbENKUlT_T0_E_clISt17integral_constantIbLb0EES11_EEDaSW_SX_EUlSW_E_NS1_11comp_targetILNS1_3genE5ELNS1_11target_archE942ELNS1_3gpuE9ELNS1_3repE0EEENS1_30default_config_static_selectorELNS0_4arch9wavefront6targetE0EEEvT1_: ; @_ZN7rocprim17ROCPRIM_400000_NS6detail17trampoline_kernelINS0_14default_configENS1_27scan_by_key_config_selectorIixEEZZNS1_16scan_by_key_implILNS1_25lookback_scan_determinismE0ELb1ES3_N6thrust23THRUST_200600_302600_NS6detail15normal_iteratorINS9_10device_ptrIiEEEENSB_INSC_IxEEEESG_xNS9_4plusIvEENS9_8equal_toIvEExEE10hipError_tPvRmT2_T3_T4_T5_mT6_T7_P12ihipStream_tbENKUlT_T0_E_clISt17integral_constantIbLb0EES11_EEDaSW_SX_EUlSW_E_NS1_11comp_targetILNS1_3genE5ELNS1_11target_archE942ELNS1_3gpuE9ELNS1_3repE0EEENS1_30default_config_static_selectorELNS0_4arch9wavefront6targetE0EEEvT1_
; %bb.0:
	.section	.rodata,"a",@progbits
	.p2align	6, 0x0
	.amdhsa_kernel _ZN7rocprim17ROCPRIM_400000_NS6detail17trampoline_kernelINS0_14default_configENS1_27scan_by_key_config_selectorIixEEZZNS1_16scan_by_key_implILNS1_25lookback_scan_determinismE0ELb1ES3_N6thrust23THRUST_200600_302600_NS6detail15normal_iteratorINS9_10device_ptrIiEEEENSB_INSC_IxEEEESG_xNS9_4plusIvEENS9_8equal_toIvEExEE10hipError_tPvRmT2_T3_T4_T5_mT6_T7_P12ihipStream_tbENKUlT_T0_E_clISt17integral_constantIbLb0EES11_EEDaSW_SX_EUlSW_E_NS1_11comp_targetILNS1_3genE5ELNS1_11target_archE942ELNS1_3gpuE9ELNS1_3repE0EEENS1_30default_config_static_selectorELNS0_4arch9wavefront6targetE0EEEvT1_
		.amdhsa_group_segment_fixed_size 0
		.amdhsa_private_segment_fixed_size 0
		.amdhsa_kernarg_size 136
		.amdhsa_user_sgpr_count 6
		.amdhsa_user_sgpr_private_segment_buffer 1
		.amdhsa_user_sgpr_dispatch_ptr 0
		.amdhsa_user_sgpr_queue_ptr 0
		.amdhsa_user_sgpr_kernarg_segment_ptr 1
		.amdhsa_user_sgpr_dispatch_id 0
		.amdhsa_user_sgpr_flat_scratch_init 0
		.amdhsa_user_sgpr_private_segment_size 0
		.amdhsa_wavefront_size32 1
		.amdhsa_uses_dynamic_stack 0
		.amdhsa_system_sgpr_private_segment_wavefront_offset 0
		.amdhsa_system_sgpr_workgroup_id_x 1
		.amdhsa_system_sgpr_workgroup_id_y 0
		.amdhsa_system_sgpr_workgroup_id_z 0
		.amdhsa_system_sgpr_workgroup_info 0
		.amdhsa_system_vgpr_workitem_id 0
		.amdhsa_next_free_vgpr 1
		.amdhsa_next_free_sgpr 1
		.amdhsa_reserve_vcc 0
		.amdhsa_reserve_flat_scratch 0
		.amdhsa_float_round_mode_32 0
		.amdhsa_float_round_mode_16_64 0
		.amdhsa_float_denorm_mode_32 3
		.amdhsa_float_denorm_mode_16_64 3
		.amdhsa_dx10_clamp 1
		.amdhsa_ieee_mode 1
		.amdhsa_fp16_overflow 0
		.amdhsa_workgroup_processor_mode 1
		.amdhsa_memory_ordered 1
		.amdhsa_forward_progress 1
		.amdhsa_shared_vgpr_count 0
		.amdhsa_exception_fp_ieee_invalid_op 0
		.amdhsa_exception_fp_denorm_src 0
		.amdhsa_exception_fp_ieee_div_zero 0
		.amdhsa_exception_fp_ieee_overflow 0
		.amdhsa_exception_fp_ieee_underflow 0
		.amdhsa_exception_fp_ieee_inexact 0
		.amdhsa_exception_int_div_zero 0
	.end_amdhsa_kernel
	.section	.text._ZN7rocprim17ROCPRIM_400000_NS6detail17trampoline_kernelINS0_14default_configENS1_27scan_by_key_config_selectorIixEEZZNS1_16scan_by_key_implILNS1_25lookback_scan_determinismE0ELb1ES3_N6thrust23THRUST_200600_302600_NS6detail15normal_iteratorINS9_10device_ptrIiEEEENSB_INSC_IxEEEESG_xNS9_4plusIvEENS9_8equal_toIvEExEE10hipError_tPvRmT2_T3_T4_T5_mT6_T7_P12ihipStream_tbENKUlT_T0_E_clISt17integral_constantIbLb0EES11_EEDaSW_SX_EUlSW_E_NS1_11comp_targetILNS1_3genE5ELNS1_11target_archE942ELNS1_3gpuE9ELNS1_3repE0EEENS1_30default_config_static_selectorELNS0_4arch9wavefront6targetE0EEEvT1_,"axG",@progbits,_ZN7rocprim17ROCPRIM_400000_NS6detail17trampoline_kernelINS0_14default_configENS1_27scan_by_key_config_selectorIixEEZZNS1_16scan_by_key_implILNS1_25lookback_scan_determinismE0ELb1ES3_N6thrust23THRUST_200600_302600_NS6detail15normal_iteratorINS9_10device_ptrIiEEEENSB_INSC_IxEEEESG_xNS9_4plusIvEENS9_8equal_toIvEExEE10hipError_tPvRmT2_T3_T4_T5_mT6_T7_P12ihipStream_tbENKUlT_T0_E_clISt17integral_constantIbLb0EES11_EEDaSW_SX_EUlSW_E_NS1_11comp_targetILNS1_3genE5ELNS1_11target_archE942ELNS1_3gpuE9ELNS1_3repE0EEENS1_30default_config_static_selectorELNS0_4arch9wavefront6targetE0EEEvT1_,comdat
.Lfunc_end1573:
	.size	_ZN7rocprim17ROCPRIM_400000_NS6detail17trampoline_kernelINS0_14default_configENS1_27scan_by_key_config_selectorIixEEZZNS1_16scan_by_key_implILNS1_25lookback_scan_determinismE0ELb1ES3_N6thrust23THRUST_200600_302600_NS6detail15normal_iteratorINS9_10device_ptrIiEEEENSB_INSC_IxEEEESG_xNS9_4plusIvEENS9_8equal_toIvEExEE10hipError_tPvRmT2_T3_T4_T5_mT6_T7_P12ihipStream_tbENKUlT_T0_E_clISt17integral_constantIbLb0EES11_EEDaSW_SX_EUlSW_E_NS1_11comp_targetILNS1_3genE5ELNS1_11target_archE942ELNS1_3gpuE9ELNS1_3repE0EEENS1_30default_config_static_selectorELNS0_4arch9wavefront6targetE0EEEvT1_, .Lfunc_end1573-_ZN7rocprim17ROCPRIM_400000_NS6detail17trampoline_kernelINS0_14default_configENS1_27scan_by_key_config_selectorIixEEZZNS1_16scan_by_key_implILNS1_25lookback_scan_determinismE0ELb1ES3_N6thrust23THRUST_200600_302600_NS6detail15normal_iteratorINS9_10device_ptrIiEEEENSB_INSC_IxEEEESG_xNS9_4plusIvEENS9_8equal_toIvEExEE10hipError_tPvRmT2_T3_T4_T5_mT6_T7_P12ihipStream_tbENKUlT_T0_E_clISt17integral_constantIbLb0EES11_EEDaSW_SX_EUlSW_E_NS1_11comp_targetILNS1_3genE5ELNS1_11target_archE942ELNS1_3gpuE9ELNS1_3repE0EEENS1_30default_config_static_selectorELNS0_4arch9wavefront6targetE0EEEvT1_
                                        ; -- End function
	.set _ZN7rocprim17ROCPRIM_400000_NS6detail17trampoline_kernelINS0_14default_configENS1_27scan_by_key_config_selectorIixEEZZNS1_16scan_by_key_implILNS1_25lookback_scan_determinismE0ELb1ES3_N6thrust23THRUST_200600_302600_NS6detail15normal_iteratorINS9_10device_ptrIiEEEENSB_INSC_IxEEEESG_xNS9_4plusIvEENS9_8equal_toIvEExEE10hipError_tPvRmT2_T3_T4_T5_mT6_T7_P12ihipStream_tbENKUlT_T0_E_clISt17integral_constantIbLb0EES11_EEDaSW_SX_EUlSW_E_NS1_11comp_targetILNS1_3genE5ELNS1_11target_archE942ELNS1_3gpuE9ELNS1_3repE0EEENS1_30default_config_static_selectorELNS0_4arch9wavefront6targetE0EEEvT1_.num_vgpr, 0
	.set _ZN7rocprim17ROCPRIM_400000_NS6detail17trampoline_kernelINS0_14default_configENS1_27scan_by_key_config_selectorIixEEZZNS1_16scan_by_key_implILNS1_25lookback_scan_determinismE0ELb1ES3_N6thrust23THRUST_200600_302600_NS6detail15normal_iteratorINS9_10device_ptrIiEEEENSB_INSC_IxEEEESG_xNS9_4plusIvEENS9_8equal_toIvEExEE10hipError_tPvRmT2_T3_T4_T5_mT6_T7_P12ihipStream_tbENKUlT_T0_E_clISt17integral_constantIbLb0EES11_EEDaSW_SX_EUlSW_E_NS1_11comp_targetILNS1_3genE5ELNS1_11target_archE942ELNS1_3gpuE9ELNS1_3repE0EEENS1_30default_config_static_selectorELNS0_4arch9wavefront6targetE0EEEvT1_.num_agpr, 0
	.set _ZN7rocprim17ROCPRIM_400000_NS6detail17trampoline_kernelINS0_14default_configENS1_27scan_by_key_config_selectorIixEEZZNS1_16scan_by_key_implILNS1_25lookback_scan_determinismE0ELb1ES3_N6thrust23THRUST_200600_302600_NS6detail15normal_iteratorINS9_10device_ptrIiEEEENSB_INSC_IxEEEESG_xNS9_4plusIvEENS9_8equal_toIvEExEE10hipError_tPvRmT2_T3_T4_T5_mT6_T7_P12ihipStream_tbENKUlT_T0_E_clISt17integral_constantIbLb0EES11_EEDaSW_SX_EUlSW_E_NS1_11comp_targetILNS1_3genE5ELNS1_11target_archE942ELNS1_3gpuE9ELNS1_3repE0EEENS1_30default_config_static_selectorELNS0_4arch9wavefront6targetE0EEEvT1_.numbered_sgpr, 0
	.set _ZN7rocprim17ROCPRIM_400000_NS6detail17trampoline_kernelINS0_14default_configENS1_27scan_by_key_config_selectorIixEEZZNS1_16scan_by_key_implILNS1_25lookback_scan_determinismE0ELb1ES3_N6thrust23THRUST_200600_302600_NS6detail15normal_iteratorINS9_10device_ptrIiEEEENSB_INSC_IxEEEESG_xNS9_4plusIvEENS9_8equal_toIvEExEE10hipError_tPvRmT2_T3_T4_T5_mT6_T7_P12ihipStream_tbENKUlT_T0_E_clISt17integral_constantIbLb0EES11_EEDaSW_SX_EUlSW_E_NS1_11comp_targetILNS1_3genE5ELNS1_11target_archE942ELNS1_3gpuE9ELNS1_3repE0EEENS1_30default_config_static_selectorELNS0_4arch9wavefront6targetE0EEEvT1_.num_named_barrier, 0
	.set _ZN7rocprim17ROCPRIM_400000_NS6detail17trampoline_kernelINS0_14default_configENS1_27scan_by_key_config_selectorIixEEZZNS1_16scan_by_key_implILNS1_25lookback_scan_determinismE0ELb1ES3_N6thrust23THRUST_200600_302600_NS6detail15normal_iteratorINS9_10device_ptrIiEEEENSB_INSC_IxEEEESG_xNS9_4plusIvEENS9_8equal_toIvEExEE10hipError_tPvRmT2_T3_T4_T5_mT6_T7_P12ihipStream_tbENKUlT_T0_E_clISt17integral_constantIbLb0EES11_EEDaSW_SX_EUlSW_E_NS1_11comp_targetILNS1_3genE5ELNS1_11target_archE942ELNS1_3gpuE9ELNS1_3repE0EEENS1_30default_config_static_selectorELNS0_4arch9wavefront6targetE0EEEvT1_.private_seg_size, 0
	.set _ZN7rocprim17ROCPRIM_400000_NS6detail17trampoline_kernelINS0_14default_configENS1_27scan_by_key_config_selectorIixEEZZNS1_16scan_by_key_implILNS1_25lookback_scan_determinismE0ELb1ES3_N6thrust23THRUST_200600_302600_NS6detail15normal_iteratorINS9_10device_ptrIiEEEENSB_INSC_IxEEEESG_xNS9_4plusIvEENS9_8equal_toIvEExEE10hipError_tPvRmT2_T3_T4_T5_mT6_T7_P12ihipStream_tbENKUlT_T0_E_clISt17integral_constantIbLb0EES11_EEDaSW_SX_EUlSW_E_NS1_11comp_targetILNS1_3genE5ELNS1_11target_archE942ELNS1_3gpuE9ELNS1_3repE0EEENS1_30default_config_static_selectorELNS0_4arch9wavefront6targetE0EEEvT1_.uses_vcc, 0
	.set _ZN7rocprim17ROCPRIM_400000_NS6detail17trampoline_kernelINS0_14default_configENS1_27scan_by_key_config_selectorIixEEZZNS1_16scan_by_key_implILNS1_25lookback_scan_determinismE0ELb1ES3_N6thrust23THRUST_200600_302600_NS6detail15normal_iteratorINS9_10device_ptrIiEEEENSB_INSC_IxEEEESG_xNS9_4plusIvEENS9_8equal_toIvEExEE10hipError_tPvRmT2_T3_T4_T5_mT6_T7_P12ihipStream_tbENKUlT_T0_E_clISt17integral_constantIbLb0EES11_EEDaSW_SX_EUlSW_E_NS1_11comp_targetILNS1_3genE5ELNS1_11target_archE942ELNS1_3gpuE9ELNS1_3repE0EEENS1_30default_config_static_selectorELNS0_4arch9wavefront6targetE0EEEvT1_.uses_flat_scratch, 0
	.set _ZN7rocprim17ROCPRIM_400000_NS6detail17trampoline_kernelINS0_14default_configENS1_27scan_by_key_config_selectorIixEEZZNS1_16scan_by_key_implILNS1_25lookback_scan_determinismE0ELb1ES3_N6thrust23THRUST_200600_302600_NS6detail15normal_iteratorINS9_10device_ptrIiEEEENSB_INSC_IxEEEESG_xNS9_4plusIvEENS9_8equal_toIvEExEE10hipError_tPvRmT2_T3_T4_T5_mT6_T7_P12ihipStream_tbENKUlT_T0_E_clISt17integral_constantIbLb0EES11_EEDaSW_SX_EUlSW_E_NS1_11comp_targetILNS1_3genE5ELNS1_11target_archE942ELNS1_3gpuE9ELNS1_3repE0EEENS1_30default_config_static_selectorELNS0_4arch9wavefront6targetE0EEEvT1_.has_dyn_sized_stack, 0
	.set _ZN7rocprim17ROCPRIM_400000_NS6detail17trampoline_kernelINS0_14default_configENS1_27scan_by_key_config_selectorIixEEZZNS1_16scan_by_key_implILNS1_25lookback_scan_determinismE0ELb1ES3_N6thrust23THRUST_200600_302600_NS6detail15normal_iteratorINS9_10device_ptrIiEEEENSB_INSC_IxEEEESG_xNS9_4plusIvEENS9_8equal_toIvEExEE10hipError_tPvRmT2_T3_T4_T5_mT6_T7_P12ihipStream_tbENKUlT_T0_E_clISt17integral_constantIbLb0EES11_EEDaSW_SX_EUlSW_E_NS1_11comp_targetILNS1_3genE5ELNS1_11target_archE942ELNS1_3gpuE9ELNS1_3repE0EEENS1_30default_config_static_selectorELNS0_4arch9wavefront6targetE0EEEvT1_.has_recursion, 0
	.set _ZN7rocprim17ROCPRIM_400000_NS6detail17trampoline_kernelINS0_14default_configENS1_27scan_by_key_config_selectorIixEEZZNS1_16scan_by_key_implILNS1_25lookback_scan_determinismE0ELb1ES3_N6thrust23THRUST_200600_302600_NS6detail15normal_iteratorINS9_10device_ptrIiEEEENSB_INSC_IxEEEESG_xNS9_4plusIvEENS9_8equal_toIvEExEE10hipError_tPvRmT2_T3_T4_T5_mT6_T7_P12ihipStream_tbENKUlT_T0_E_clISt17integral_constantIbLb0EES11_EEDaSW_SX_EUlSW_E_NS1_11comp_targetILNS1_3genE5ELNS1_11target_archE942ELNS1_3gpuE9ELNS1_3repE0EEENS1_30default_config_static_selectorELNS0_4arch9wavefront6targetE0EEEvT1_.has_indirect_call, 0
	.section	.AMDGPU.csdata,"",@progbits
; Kernel info:
; codeLenInByte = 0
; TotalNumSgprs: 0
; NumVgprs: 0
; ScratchSize: 0
; MemoryBound: 0
; FloatMode: 240
; IeeeMode: 1
; LDSByteSize: 0 bytes/workgroup (compile time only)
; SGPRBlocks: 0
; VGPRBlocks: 0
; NumSGPRsForWavesPerEU: 1
; NumVGPRsForWavesPerEU: 1
; Occupancy: 16
; WaveLimiterHint : 0
; COMPUTE_PGM_RSRC2:SCRATCH_EN: 0
; COMPUTE_PGM_RSRC2:USER_SGPR: 6
; COMPUTE_PGM_RSRC2:TRAP_HANDLER: 0
; COMPUTE_PGM_RSRC2:TGID_X_EN: 1
; COMPUTE_PGM_RSRC2:TGID_Y_EN: 0
; COMPUTE_PGM_RSRC2:TGID_Z_EN: 0
; COMPUTE_PGM_RSRC2:TIDIG_COMP_CNT: 0
	.section	.text._ZN7rocprim17ROCPRIM_400000_NS6detail17trampoline_kernelINS0_14default_configENS1_27scan_by_key_config_selectorIixEEZZNS1_16scan_by_key_implILNS1_25lookback_scan_determinismE0ELb1ES3_N6thrust23THRUST_200600_302600_NS6detail15normal_iteratorINS9_10device_ptrIiEEEENSB_INSC_IxEEEESG_xNS9_4plusIvEENS9_8equal_toIvEExEE10hipError_tPvRmT2_T3_T4_T5_mT6_T7_P12ihipStream_tbENKUlT_T0_E_clISt17integral_constantIbLb0EES11_EEDaSW_SX_EUlSW_E_NS1_11comp_targetILNS1_3genE4ELNS1_11target_archE910ELNS1_3gpuE8ELNS1_3repE0EEENS1_30default_config_static_selectorELNS0_4arch9wavefront6targetE0EEEvT1_,"axG",@progbits,_ZN7rocprim17ROCPRIM_400000_NS6detail17trampoline_kernelINS0_14default_configENS1_27scan_by_key_config_selectorIixEEZZNS1_16scan_by_key_implILNS1_25lookback_scan_determinismE0ELb1ES3_N6thrust23THRUST_200600_302600_NS6detail15normal_iteratorINS9_10device_ptrIiEEEENSB_INSC_IxEEEESG_xNS9_4plusIvEENS9_8equal_toIvEExEE10hipError_tPvRmT2_T3_T4_T5_mT6_T7_P12ihipStream_tbENKUlT_T0_E_clISt17integral_constantIbLb0EES11_EEDaSW_SX_EUlSW_E_NS1_11comp_targetILNS1_3genE4ELNS1_11target_archE910ELNS1_3gpuE8ELNS1_3repE0EEENS1_30default_config_static_selectorELNS0_4arch9wavefront6targetE0EEEvT1_,comdat
	.protected	_ZN7rocprim17ROCPRIM_400000_NS6detail17trampoline_kernelINS0_14default_configENS1_27scan_by_key_config_selectorIixEEZZNS1_16scan_by_key_implILNS1_25lookback_scan_determinismE0ELb1ES3_N6thrust23THRUST_200600_302600_NS6detail15normal_iteratorINS9_10device_ptrIiEEEENSB_INSC_IxEEEESG_xNS9_4plusIvEENS9_8equal_toIvEExEE10hipError_tPvRmT2_T3_T4_T5_mT6_T7_P12ihipStream_tbENKUlT_T0_E_clISt17integral_constantIbLb0EES11_EEDaSW_SX_EUlSW_E_NS1_11comp_targetILNS1_3genE4ELNS1_11target_archE910ELNS1_3gpuE8ELNS1_3repE0EEENS1_30default_config_static_selectorELNS0_4arch9wavefront6targetE0EEEvT1_ ; -- Begin function _ZN7rocprim17ROCPRIM_400000_NS6detail17trampoline_kernelINS0_14default_configENS1_27scan_by_key_config_selectorIixEEZZNS1_16scan_by_key_implILNS1_25lookback_scan_determinismE0ELb1ES3_N6thrust23THRUST_200600_302600_NS6detail15normal_iteratorINS9_10device_ptrIiEEEENSB_INSC_IxEEEESG_xNS9_4plusIvEENS9_8equal_toIvEExEE10hipError_tPvRmT2_T3_T4_T5_mT6_T7_P12ihipStream_tbENKUlT_T0_E_clISt17integral_constantIbLb0EES11_EEDaSW_SX_EUlSW_E_NS1_11comp_targetILNS1_3genE4ELNS1_11target_archE910ELNS1_3gpuE8ELNS1_3repE0EEENS1_30default_config_static_selectorELNS0_4arch9wavefront6targetE0EEEvT1_
	.globl	_ZN7rocprim17ROCPRIM_400000_NS6detail17trampoline_kernelINS0_14default_configENS1_27scan_by_key_config_selectorIixEEZZNS1_16scan_by_key_implILNS1_25lookback_scan_determinismE0ELb1ES3_N6thrust23THRUST_200600_302600_NS6detail15normal_iteratorINS9_10device_ptrIiEEEENSB_INSC_IxEEEESG_xNS9_4plusIvEENS9_8equal_toIvEExEE10hipError_tPvRmT2_T3_T4_T5_mT6_T7_P12ihipStream_tbENKUlT_T0_E_clISt17integral_constantIbLb0EES11_EEDaSW_SX_EUlSW_E_NS1_11comp_targetILNS1_3genE4ELNS1_11target_archE910ELNS1_3gpuE8ELNS1_3repE0EEENS1_30default_config_static_selectorELNS0_4arch9wavefront6targetE0EEEvT1_
	.p2align	8
	.type	_ZN7rocprim17ROCPRIM_400000_NS6detail17trampoline_kernelINS0_14default_configENS1_27scan_by_key_config_selectorIixEEZZNS1_16scan_by_key_implILNS1_25lookback_scan_determinismE0ELb1ES3_N6thrust23THRUST_200600_302600_NS6detail15normal_iteratorINS9_10device_ptrIiEEEENSB_INSC_IxEEEESG_xNS9_4plusIvEENS9_8equal_toIvEExEE10hipError_tPvRmT2_T3_T4_T5_mT6_T7_P12ihipStream_tbENKUlT_T0_E_clISt17integral_constantIbLb0EES11_EEDaSW_SX_EUlSW_E_NS1_11comp_targetILNS1_3genE4ELNS1_11target_archE910ELNS1_3gpuE8ELNS1_3repE0EEENS1_30default_config_static_selectorELNS0_4arch9wavefront6targetE0EEEvT1_,@function
_ZN7rocprim17ROCPRIM_400000_NS6detail17trampoline_kernelINS0_14default_configENS1_27scan_by_key_config_selectorIixEEZZNS1_16scan_by_key_implILNS1_25lookback_scan_determinismE0ELb1ES3_N6thrust23THRUST_200600_302600_NS6detail15normal_iteratorINS9_10device_ptrIiEEEENSB_INSC_IxEEEESG_xNS9_4plusIvEENS9_8equal_toIvEExEE10hipError_tPvRmT2_T3_T4_T5_mT6_T7_P12ihipStream_tbENKUlT_T0_E_clISt17integral_constantIbLb0EES11_EEDaSW_SX_EUlSW_E_NS1_11comp_targetILNS1_3genE4ELNS1_11target_archE910ELNS1_3gpuE8ELNS1_3repE0EEENS1_30default_config_static_selectorELNS0_4arch9wavefront6targetE0EEEvT1_: ; @_ZN7rocprim17ROCPRIM_400000_NS6detail17trampoline_kernelINS0_14default_configENS1_27scan_by_key_config_selectorIixEEZZNS1_16scan_by_key_implILNS1_25lookback_scan_determinismE0ELb1ES3_N6thrust23THRUST_200600_302600_NS6detail15normal_iteratorINS9_10device_ptrIiEEEENSB_INSC_IxEEEESG_xNS9_4plusIvEENS9_8equal_toIvEExEE10hipError_tPvRmT2_T3_T4_T5_mT6_T7_P12ihipStream_tbENKUlT_T0_E_clISt17integral_constantIbLb0EES11_EEDaSW_SX_EUlSW_E_NS1_11comp_targetILNS1_3genE4ELNS1_11target_archE910ELNS1_3gpuE8ELNS1_3repE0EEENS1_30default_config_static_selectorELNS0_4arch9wavefront6targetE0EEEvT1_
; %bb.0:
	.section	.rodata,"a",@progbits
	.p2align	6, 0x0
	.amdhsa_kernel _ZN7rocprim17ROCPRIM_400000_NS6detail17trampoline_kernelINS0_14default_configENS1_27scan_by_key_config_selectorIixEEZZNS1_16scan_by_key_implILNS1_25lookback_scan_determinismE0ELb1ES3_N6thrust23THRUST_200600_302600_NS6detail15normal_iteratorINS9_10device_ptrIiEEEENSB_INSC_IxEEEESG_xNS9_4plusIvEENS9_8equal_toIvEExEE10hipError_tPvRmT2_T3_T4_T5_mT6_T7_P12ihipStream_tbENKUlT_T0_E_clISt17integral_constantIbLb0EES11_EEDaSW_SX_EUlSW_E_NS1_11comp_targetILNS1_3genE4ELNS1_11target_archE910ELNS1_3gpuE8ELNS1_3repE0EEENS1_30default_config_static_selectorELNS0_4arch9wavefront6targetE0EEEvT1_
		.amdhsa_group_segment_fixed_size 0
		.amdhsa_private_segment_fixed_size 0
		.amdhsa_kernarg_size 136
		.amdhsa_user_sgpr_count 6
		.amdhsa_user_sgpr_private_segment_buffer 1
		.amdhsa_user_sgpr_dispatch_ptr 0
		.amdhsa_user_sgpr_queue_ptr 0
		.amdhsa_user_sgpr_kernarg_segment_ptr 1
		.amdhsa_user_sgpr_dispatch_id 0
		.amdhsa_user_sgpr_flat_scratch_init 0
		.amdhsa_user_sgpr_private_segment_size 0
		.amdhsa_wavefront_size32 1
		.amdhsa_uses_dynamic_stack 0
		.amdhsa_system_sgpr_private_segment_wavefront_offset 0
		.amdhsa_system_sgpr_workgroup_id_x 1
		.amdhsa_system_sgpr_workgroup_id_y 0
		.amdhsa_system_sgpr_workgroup_id_z 0
		.amdhsa_system_sgpr_workgroup_info 0
		.amdhsa_system_vgpr_workitem_id 0
		.amdhsa_next_free_vgpr 1
		.amdhsa_next_free_sgpr 1
		.amdhsa_reserve_vcc 0
		.amdhsa_reserve_flat_scratch 0
		.amdhsa_float_round_mode_32 0
		.amdhsa_float_round_mode_16_64 0
		.amdhsa_float_denorm_mode_32 3
		.amdhsa_float_denorm_mode_16_64 3
		.amdhsa_dx10_clamp 1
		.amdhsa_ieee_mode 1
		.amdhsa_fp16_overflow 0
		.amdhsa_workgroup_processor_mode 1
		.amdhsa_memory_ordered 1
		.amdhsa_forward_progress 1
		.amdhsa_shared_vgpr_count 0
		.amdhsa_exception_fp_ieee_invalid_op 0
		.amdhsa_exception_fp_denorm_src 0
		.amdhsa_exception_fp_ieee_div_zero 0
		.amdhsa_exception_fp_ieee_overflow 0
		.amdhsa_exception_fp_ieee_underflow 0
		.amdhsa_exception_fp_ieee_inexact 0
		.amdhsa_exception_int_div_zero 0
	.end_amdhsa_kernel
	.section	.text._ZN7rocprim17ROCPRIM_400000_NS6detail17trampoline_kernelINS0_14default_configENS1_27scan_by_key_config_selectorIixEEZZNS1_16scan_by_key_implILNS1_25lookback_scan_determinismE0ELb1ES3_N6thrust23THRUST_200600_302600_NS6detail15normal_iteratorINS9_10device_ptrIiEEEENSB_INSC_IxEEEESG_xNS9_4plusIvEENS9_8equal_toIvEExEE10hipError_tPvRmT2_T3_T4_T5_mT6_T7_P12ihipStream_tbENKUlT_T0_E_clISt17integral_constantIbLb0EES11_EEDaSW_SX_EUlSW_E_NS1_11comp_targetILNS1_3genE4ELNS1_11target_archE910ELNS1_3gpuE8ELNS1_3repE0EEENS1_30default_config_static_selectorELNS0_4arch9wavefront6targetE0EEEvT1_,"axG",@progbits,_ZN7rocprim17ROCPRIM_400000_NS6detail17trampoline_kernelINS0_14default_configENS1_27scan_by_key_config_selectorIixEEZZNS1_16scan_by_key_implILNS1_25lookback_scan_determinismE0ELb1ES3_N6thrust23THRUST_200600_302600_NS6detail15normal_iteratorINS9_10device_ptrIiEEEENSB_INSC_IxEEEESG_xNS9_4plusIvEENS9_8equal_toIvEExEE10hipError_tPvRmT2_T3_T4_T5_mT6_T7_P12ihipStream_tbENKUlT_T0_E_clISt17integral_constantIbLb0EES11_EEDaSW_SX_EUlSW_E_NS1_11comp_targetILNS1_3genE4ELNS1_11target_archE910ELNS1_3gpuE8ELNS1_3repE0EEENS1_30default_config_static_selectorELNS0_4arch9wavefront6targetE0EEEvT1_,comdat
.Lfunc_end1574:
	.size	_ZN7rocprim17ROCPRIM_400000_NS6detail17trampoline_kernelINS0_14default_configENS1_27scan_by_key_config_selectorIixEEZZNS1_16scan_by_key_implILNS1_25lookback_scan_determinismE0ELb1ES3_N6thrust23THRUST_200600_302600_NS6detail15normal_iteratorINS9_10device_ptrIiEEEENSB_INSC_IxEEEESG_xNS9_4plusIvEENS9_8equal_toIvEExEE10hipError_tPvRmT2_T3_T4_T5_mT6_T7_P12ihipStream_tbENKUlT_T0_E_clISt17integral_constantIbLb0EES11_EEDaSW_SX_EUlSW_E_NS1_11comp_targetILNS1_3genE4ELNS1_11target_archE910ELNS1_3gpuE8ELNS1_3repE0EEENS1_30default_config_static_selectorELNS0_4arch9wavefront6targetE0EEEvT1_, .Lfunc_end1574-_ZN7rocprim17ROCPRIM_400000_NS6detail17trampoline_kernelINS0_14default_configENS1_27scan_by_key_config_selectorIixEEZZNS1_16scan_by_key_implILNS1_25lookback_scan_determinismE0ELb1ES3_N6thrust23THRUST_200600_302600_NS6detail15normal_iteratorINS9_10device_ptrIiEEEENSB_INSC_IxEEEESG_xNS9_4plusIvEENS9_8equal_toIvEExEE10hipError_tPvRmT2_T3_T4_T5_mT6_T7_P12ihipStream_tbENKUlT_T0_E_clISt17integral_constantIbLb0EES11_EEDaSW_SX_EUlSW_E_NS1_11comp_targetILNS1_3genE4ELNS1_11target_archE910ELNS1_3gpuE8ELNS1_3repE0EEENS1_30default_config_static_selectorELNS0_4arch9wavefront6targetE0EEEvT1_
                                        ; -- End function
	.set _ZN7rocprim17ROCPRIM_400000_NS6detail17trampoline_kernelINS0_14default_configENS1_27scan_by_key_config_selectorIixEEZZNS1_16scan_by_key_implILNS1_25lookback_scan_determinismE0ELb1ES3_N6thrust23THRUST_200600_302600_NS6detail15normal_iteratorINS9_10device_ptrIiEEEENSB_INSC_IxEEEESG_xNS9_4plusIvEENS9_8equal_toIvEExEE10hipError_tPvRmT2_T3_T4_T5_mT6_T7_P12ihipStream_tbENKUlT_T0_E_clISt17integral_constantIbLb0EES11_EEDaSW_SX_EUlSW_E_NS1_11comp_targetILNS1_3genE4ELNS1_11target_archE910ELNS1_3gpuE8ELNS1_3repE0EEENS1_30default_config_static_selectorELNS0_4arch9wavefront6targetE0EEEvT1_.num_vgpr, 0
	.set _ZN7rocprim17ROCPRIM_400000_NS6detail17trampoline_kernelINS0_14default_configENS1_27scan_by_key_config_selectorIixEEZZNS1_16scan_by_key_implILNS1_25lookback_scan_determinismE0ELb1ES3_N6thrust23THRUST_200600_302600_NS6detail15normal_iteratorINS9_10device_ptrIiEEEENSB_INSC_IxEEEESG_xNS9_4plusIvEENS9_8equal_toIvEExEE10hipError_tPvRmT2_T3_T4_T5_mT6_T7_P12ihipStream_tbENKUlT_T0_E_clISt17integral_constantIbLb0EES11_EEDaSW_SX_EUlSW_E_NS1_11comp_targetILNS1_3genE4ELNS1_11target_archE910ELNS1_3gpuE8ELNS1_3repE0EEENS1_30default_config_static_selectorELNS0_4arch9wavefront6targetE0EEEvT1_.num_agpr, 0
	.set _ZN7rocprim17ROCPRIM_400000_NS6detail17trampoline_kernelINS0_14default_configENS1_27scan_by_key_config_selectorIixEEZZNS1_16scan_by_key_implILNS1_25lookback_scan_determinismE0ELb1ES3_N6thrust23THRUST_200600_302600_NS6detail15normal_iteratorINS9_10device_ptrIiEEEENSB_INSC_IxEEEESG_xNS9_4plusIvEENS9_8equal_toIvEExEE10hipError_tPvRmT2_T3_T4_T5_mT6_T7_P12ihipStream_tbENKUlT_T0_E_clISt17integral_constantIbLb0EES11_EEDaSW_SX_EUlSW_E_NS1_11comp_targetILNS1_3genE4ELNS1_11target_archE910ELNS1_3gpuE8ELNS1_3repE0EEENS1_30default_config_static_selectorELNS0_4arch9wavefront6targetE0EEEvT1_.numbered_sgpr, 0
	.set _ZN7rocprim17ROCPRIM_400000_NS6detail17trampoline_kernelINS0_14default_configENS1_27scan_by_key_config_selectorIixEEZZNS1_16scan_by_key_implILNS1_25lookback_scan_determinismE0ELb1ES3_N6thrust23THRUST_200600_302600_NS6detail15normal_iteratorINS9_10device_ptrIiEEEENSB_INSC_IxEEEESG_xNS9_4plusIvEENS9_8equal_toIvEExEE10hipError_tPvRmT2_T3_T4_T5_mT6_T7_P12ihipStream_tbENKUlT_T0_E_clISt17integral_constantIbLb0EES11_EEDaSW_SX_EUlSW_E_NS1_11comp_targetILNS1_3genE4ELNS1_11target_archE910ELNS1_3gpuE8ELNS1_3repE0EEENS1_30default_config_static_selectorELNS0_4arch9wavefront6targetE0EEEvT1_.num_named_barrier, 0
	.set _ZN7rocprim17ROCPRIM_400000_NS6detail17trampoline_kernelINS0_14default_configENS1_27scan_by_key_config_selectorIixEEZZNS1_16scan_by_key_implILNS1_25lookback_scan_determinismE0ELb1ES3_N6thrust23THRUST_200600_302600_NS6detail15normal_iteratorINS9_10device_ptrIiEEEENSB_INSC_IxEEEESG_xNS9_4plusIvEENS9_8equal_toIvEExEE10hipError_tPvRmT2_T3_T4_T5_mT6_T7_P12ihipStream_tbENKUlT_T0_E_clISt17integral_constantIbLb0EES11_EEDaSW_SX_EUlSW_E_NS1_11comp_targetILNS1_3genE4ELNS1_11target_archE910ELNS1_3gpuE8ELNS1_3repE0EEENS1_30default_config_static_selectorELNS0_4arch9wavefront6targetE0EEEvT1_.private_seg_size, 0
	.set _ZN7rocprim17ROCPRIM_400000_NS6detail17trampoline_kernelINS0_14default_configENS1_27scan_by_key_config_selectorIixEEZZNS1_16scan_by_key_implILNS1_25lookback_scan_determinismE0ELb1ES3_N6thrust23THRUST_200600_302600_NS6detail15normal_iteratorINS9_10device_ptrIiEEEENSB_INSC_IxEEEESG_xNS9_4plusIvEENS9_8equal_toIvEExEE10hipError_tPvRmT2_T3_T4_T5_mT6_T7_P12ihipStream_tbENKUlT_T0_E_clISt17integral_constantIbLb0EES11_EEDaSW_SX_EUlSW_E_NS1_11comp_targetILNS1_3genE4ELNS1_11target_archE910ELNS1_3gpuE8ELNS1_3repE0EEENS1_30default_config_static_selectorELNS0_4arch9wavefront6targetE0EEEvT1_.uses_vcc, 0
	.set _ZN7rocprim17ROCPRIM_400000_NS6detail17trampoline_kernelINS0_14default_configENS1_27scan_by_key_config_selectorIixEEZZNS1_16scan_by_key_implILNS1_25lookback_scan_determinismE0ELb1ES3_N6thrust23THRUST_200600_302600_NS6detail15normal_iteratorINS9_10device_ptrIiEEEENSB_INSC_IxEEEESG_xNS9_4plusIvEENS9_8equal_toIvEExEE10hipError_tPvRmT2_T3_T4_T5_mT6_T7_P12ihipStream_tbENKUlT_T0_E_clISt17integral_constantIbLb0EES11_EEDaSW_SX_EUlSW_E_NS1_11comp_targetILNS1_3genE4ELNS1_11target_archE910ELNS1_3gpuE8ELNS1_3repE0EEENS1_30default_config_static_selectorELNS0_4arch9wavefront6targetE0EEEvT1_.uses_flat_scratch, 0
	.set _ZN7rocprim17ROCPRIM_400000_NS6detail17trampoline_kernelINS0_14default_configENS1_27scan_by_key_config_selectorIixEEZZNS1_16scan_by_key_implILNS1_25lookback_scan_determinismE0ELb1ES3_N6thrust23THRUST_200600_302600_NS6detail15normal_iteratorINS9_10device_ptrIiEEEENSB_INSC_IxEEEESG_xNS9_4plusIvEENS9_8equal_toIvEExEE10hipError_tPvRmT2_T3_T4_T5_mT6_T7_P12ihipStream_tbENKUlT_T0_E_clISt17integral_constantIbLb0EES11_EEDaSW_SX_EUlSW_E_NS1_11comp_targetILNS1_3genE4ELNS1_11target_archE910ELNS1_3gpuE8ELNS1_3repE0EEENS1_30default_config_static_selectorELNS0_4arch9wavefront6targetE0EEEvT1_.has_dyn_sized_stack, 0
	.set _ZN7rocprim17ROCPRIM_400000_NS6detail17trampoline_kernelINS0_14default_configENS1_27scan_by_key_config_selectorIixEEZZNS1_16scan_by_key_implILNS1_25lookback_scan_determinismE0ELb1ES3_N6thrust23THRUST_200600_302600_NS6detail15normal_iteratorINS9_10device_ptrIiEEEENSB_INSC_IxEEEESG_xNS9_4plusIvEENS9_8equal_toIvEExEE10hipError_tPvRmT2_T3_T4_T5_mT6_T7_P12ihipStream_tbENKUlT_T0_E_clISt17integral_constantIbLb0EES11_EEDaSW_SX_EUlSW_E_NS1_11comp_targetILNS1_3genE4ELNS1_11target_archE910ELNS1_3gpuE8ELNS1_3repE0EEENS1_30default_config_static_selectorELNS0_4arch9wavefront6targetE0EEEvT1_.has_recursion, 0
	.set _ZN7rocprim17ROCPRIM_400000_NS6detail17trampoline_kernelINS0_14default_configENS1_27scan_by_key_config_selectorIixEEZZNS1_16scan_by_key_implILNS1_25lookback_scan_determinismE0ELb1ES3_N6thrust23THRUST_200600_302600_NS6detail15normal_iteratorINS9_10device_ptrIiEEEENSB_INSC_IxEEEESG_xNS9_4plusIvEENS9_8equal_toIvEExEE10hipError_tPvRmT2_T3_T4_T5_mT6_T7_P12ihipStream_tbENKUlT_T0_E_clISt17integral_constantIbLb0EES11_EEDaSW_SX_EUlSW_E_NS1_11comp_targetILNS1_3genE4ELNS1_11target_archE910ELNS1_3gpuE8ELNS1_3repE0EEENS1_30default_config_static_selectorELNS0_4arch9wavefront6targetE0EEEvT1_.has_indirect_call, 0
	.section	.AMDGPU.csdata,"",@progbits
; Kernel info:
; codeLenInByte = 0
; TotalNumSgprs: 0
; NumVgprs: 0
; ScratchSize: 0
; MemoryBound: 0
; FloatMode: 240
; IeeeMode: 1
; LDSByteSize: 0 bytes/workgroup (compile time only)
; SGPRBlocks: 0
; VGPRBlocks: 0
; NumSGPRsForWavesPerEU: 1
; NumVGPRsForWavesPerEU: 1
; Occupancy: 16
; WaveLimiterHint : 0
; COMPUTE_PGM_RSRC2:SCRATCH_EN: 0
; COMPUTE_PGM_RSRC2:USER_SGPR: 6
; COMPUTE_PGM_RSRC2:TRAP_HANDLER: 0
; COMPUTE_PGM_RSRC2:TGID_X_EN: 1
; COMPUTE_PGM_RSRC2:TGID_Y_EN: 0
; COMPUTE_PGM_RSRC2:TGID_Z_EN: 0
; COMPUTE_PGM_RSRC2:TIDIG_COMP_CNT: 0
	.section	.text._ZN7rocprim17ROCPRIM_400000_NS6detail17trampoline_kernelINS0_14default_configENS1_27scan_by_key_config_selectorIixEEZZNS1_16scan_by_key_implILNS1_25lookback_scan_determinismE0ELb1ES3_N6thrust23THRUST_200600_302600_NS6detail15normal_iteratorINS9_10device_ptrIiEEEENSB_INSC_IxEEEESG_xNS9_4plusIvEENS9_8equal_toIvEExEE10hipError_tPvRmT2_T3_T4_T5_mT6_T7_P12ihipStream_tbENKUlT_T0_E_clISt17integral_constantIbLb0EES11_EEDaSW_SX_EUlSW_E_NS1_11comp_targetILNS1_3genE3ELNS1_11target_archE908ELNS1_3gpuE7ELNS1_3repE0EEENS1_30default_config_static_selectorELNS0_4arch9wavefront6targetE0EEEvT1_,"axG",@progbits,_ZN7rocprim17ROCPRIM_400000_NS6detail17trampoline_kernelINS0_14default_configENS1_27scan_by_key_config_selectorIixEEZZNS1_16scan_by_key_implILNS1_25lookback_scan_determinismE0ELb1ES3_N6thrust23THRUST_200600_302600_NS6detail15normal_iteratorINS9_10device_ptrIiEEEENSB_INSC_IxEEEESG_xNS9_4plusIvEENS9_8equal_toIvEExEE10hipError_tPvRmT2_T3_T4_T5_mT6_T7_P12ihipStream_tbENKUlT_T0_E_clISt17integral_constantIbLb0EES11_EEDaSW_SX_EUlSW_E_NS1_11comp_targetILNS1_3genE3ELNS1_11target_archE908ELNS1_3gpuE7ELNS1_3repE0EEENS1_30default_config_static_selectorELNS0_4arch9wavefront6targetE0EEEvT1_,comdat
	.protected	_ZN7rocprim17ROCPRIM_400000_NS6detail17trampoline_kernelINS0_14default_configENS1_27scan_by_key_config_selectorIixEEZZNS1_16scan_by_key_implILNS1_25lookback_scan_determinismE0ELb1ES3_N6thrust23THRUST_200600_302600_NS6detail15normal_iteratorINS9_10device_ptrIiEEEENSB_INSC_IxEEEESG_xNS9_4plusIvEENS9_8equal_toIvEExEE10hipError_tPvRmT2_T3_T4_T5_mT6_T7_P12ihipStream_tbENKUlT_T0_E_clISt17integral_constantIbLb0EES11_EEDaSW_SX_EUlSW_E_NS1_11comp_targetILNS1_3genE3ELNS1_11target_archE908ELNS1_3gpuE7ELNS1_3repE0EEENS1_30default_config_static_selectorELNS0_4arch9wavefront6targetE0EEEvT1_ ; -- Begin function _ZN7rocprim17ROCPRIM_400000_NS6detail17trampoline_kernelINS0_14default_configENS1_27scan_by_key_config_selectorIixEEZZNS1_16scan_by_key_implILNS1_25lookback_scan_determinismE0ELb1ES3_N6thrust23THRUST_200600_302600_NS6detail15normal_iteratorINS9_10device_ptrIiEEEENSB_INSC_IxEEEESG_xNS9_4plusIvEENS9_8equal_toIvEExEE10hipError_tPvRmT2_T3_T4_T5_mT6_T7_P12ihipStream_tbENKUlT_T0_E_clISt17integral_constantIbLb0EES11_EEDaSW_SX_EUlSW_E_NS1_11comp_targetILNS1_3genE3ELNS1_11target_archE908ELNS1_3gpuE7ELNS1_3repE0EEENS1_30default_config_static_selectorELNS0_4arch9wavefront6targetE0EEEvT1_
	.globl	_ZN7rocprim17ROCPRIM_400000_NS6detail17trampoline_kernelINS0_14default_configENS1_27scan_by_key_config_selectorIixEEZZNS1_16scan_by_key_implILNS1_25lookback_scan_determinismE0ELb1ES3_N6thrust23THRUST_200600_302600_NS6detail15normal_iteratorINS9_10device_ptrIiEEEENSB_INSC_IxEEEESG_xNS9_4plusIvEENS9_8equal_toIvEExEE10hipError_tPvRmT2_T3_T4_T5_mT6_T7_P12ihipStream_tbENKUlT_T0_E_clISt17integral_constantIbLb0EES11_EEDaSW_SX_EUlSW_E_NS1_11comp_targetILNS1_3genE3ELNS1_11target_archE908ELNS1_3gpuE7ELNS1_3repE0EEENS1_30default_config_static_selectorELNS0_4arch9wavefront6targetE0EEEvT1_
	.p2align	8
	.type	_ZN7rocprim17ROCPRIM_400000_NS6detail17trampoline_kernelINS0_14default_configENS1_27scan_by_key_config_selectorIixEEZZNS1_16scan_by_key_implILNS1_25lookback_scan_determinismE0ELb1ES3_N6thrust23THRUST_200600_302600_NS6detail15normal_iteratorINS9_10device_ptrIiEEEENSB_INSC_IxEEEESG_xNS9_4plusIvEENS9_8equal_toIvEExEE10hipError_tPvRmT2_T3_T4_T5_mT6_T7_P12ihipStream_tbENKUlT_T0_E_clISt17integral_constantIbLb0EES11_EEDaSW_SX_EUlSW_E_NS1_11comp_targetILNS1_3genE3ELNS1_11target_archE908ELNS1_3gpuE7ELNS1_3repE0EEENS1_30default_config_static_selectorELNS0_4arch9wavefront6targetE0EEEvT1_,@function
_ZN7rocprim17ROCPRIM_400000_NS6detail17trampoline_kernelINS0_14default_configENS1_27scan_by_key_config_selectorIixEEZZNS1_16scan_by_key_implILNS1_25lookback_scan_determinismE0ELb1ES3_N6thrust23THRUST_200600_302600_NS6detail15normal_iteratorINS9_10device_ptrIiEEEENSB_INSC_IxEEEESG_xNS9_4plusIvEENS9_8equal_toIvEExEE10hipError_tPvRmT2_T3_T4_T5_mT6_T7_P12ihipStream_tbENKUlT_T0_E_clISt17integral_constantIbLb0EES11_EEDaSW_SX_EUlSW_E_NS1_11comp_targetILNS1_3genE3ELNS1_11target_archE908ELNS1_3gpuE7ELNS1_3repE0EEENS1_30default_config_static_selectorELNS0_4arch9wavefront6targetE0EEEvT1_: ; @_ZN7rocprim17ROCPRIM_400000_NS6detail17trampoline_kernelINS0_14default_configENS1_27scan_by_key_config_selectorIixEEZZNS1_16scan_by_key_implILNS1_25lookback_scan_determinismE0ELb1ES3_N6thrust23THRUST_200600_302600_NS6detail15normal_iteratorINS9_10device_ptrIiEEEENSB_INSC_IxEEEESG_xNS9_4plusIvEENS9_8equal_toIvEExEE10hipError_tPvRmT2_T3_T4_T5_mT6_T7_P12ihipStream_tbENKUlT_T0_E_clISt17integral_constantIbLb0EES11_EEDaSW_SX_EUlSW_E_NS1_11comp_targetILNS1_3genE3ELNS1_11target_archE908ELNS1_3gpuE7ELNS1_3repE0EEENS1_30default_config_static_selectorELNS0_4arch9wavefront6targetE0EEEvT1_
; %bb.0:
	.section	.rodata,"a",@progbits
	.p2align	6, 0x0
	.amdhsa_kernel _ZN7rocprim17ROCPRIM_400000_NS6detail17trampoline_kernelINS0_14default_configENS1_27scan_by_key_config_selectorIixEEZZNS1_16scan_by_key_implILNS1_25lookback_scan_determinismE0ELb1ES3_N6thrust23THRUST_200600_302600_NS6detail15normal_iteratorINS9_10device_ptrIiEEEENSB_INSC_IxEEEESG_xNS9_4plusIvEENS9_8equal_toIvEExEE10hipError_tPvRmT2_T3_T4_T5_mT6_T7_P12ihipStream_tbENKUlT_T0_E_clISt17integral_constantIbLb0EES11_EEDaSW_SX_EUlSW_E_NS1_11comp_targetILNS1_3genE3ELNS1_11target_archE908ELNS1_3gpuE7ELNS1_3repE0EEENS1_30default_config_static_selectorELNS0_4arch9wavefront6targetE0EEEvT1_
		.amdhsa_group_segment_fixed_size 0
		.amdhsa_private_segment_fixed_size 0
		.amdhsa_kernarg_size 136
		.amdhsa_user_sgpr_count 6
		.amdhsa_user_sgpr_private_segment_buffer 1
		.amdhsa_user_sgpr_dispatch_ptr 0
		.amdhsa_user_sgpr_queue_ptr 0
		.amdhsa_user_sgpr_kernarg_segment_ptr 1
		.amdhsa_user_sgpr_dispatch_id 0
		.amdhsa_user_sgpr_flat_scratch_init 0
		.amdhsa_user_sgpr_private_segment_size 0
		.amdhsa_wavefront_size32 1
		.amdhsa_uses_dynamic_stack 0
		.amdhsa_system_sgpr_private_segment_wavefront_offset 0
		.amdhsa_system_sgpr_workgroup_id_x 1
		.amdhsa_system_sgpr_workgroup_id_y 0
		.amdhsa_system_sgpr_workgroup_id_z 0
		.amdhsa_system_sgpr_workgroup_info 0
		.amdhsa_system_vgpr_workitem_id 0
		.amdhsa_next_free_vgpr 1
		.amdhsa_next_free_sgpr 1
		.amdhsa_reserve_vcc 0
		.amdhsa_reserve_flat_scratch 0
		.amdhsa_float_round_mode_32 0
		.amdhsa_float_round_mode_16_64 0
		.amdhsa_float_denorm_mode_32 3
		.amdhsa_float_denorm_mode_16_64 3
		.amdhsa_dx10_clamp 1
		.amdhsa_ieee_mode 1
		.amdhsa_fp16_overflow 0
		.amdhsa_workgroup_processor_mode 1
		.amdhsa_memory_ordered 1
		.amdhsa_forward_progress 1
		.amdhsa_shared_vgpr_count 0
		.amdhsa_exception_fp_ieee_invalid_op 0
		.amdhsa_exception_fp_denorm_src 0
		.amdhsa_exception_fp_ieee_div_zero 0
		.amdhsa_exception_fp_ieee_overflow 0
		.amdhsa_exception_fp_ieee_underflow 0
		.amdhsa_exception_fp_ieee_inexact 0
		.amdhsa_exception_int_div_zero 0
	.end_amdhsa_kernel
	.section	.text._ZN7rocprim17ROCPRIM_400000_NS6detail17trampoline_kernelINS0_14default_configENS1_27scan_by_key_config_selectorIixEEZZNS1_16scan_by_key_implILNS1_25lookback_scan_determinismE0ELb1ES3_N6thrust23THRUST_200600_302600_NS6detail15normal_iteratorINS9_10device_ptrIiEEEENSB_INSC_IxEEEESG_xNS9_4plusIvEENS9_8equal_toIvEExEE10hipError_tPvRmT2_T3_T4_T5_mT6_T7_P12ihipStream_tbENKUlT_T0_E_clISt17integral_constantIbLb0EES11_EEDaSW_SX_EUlSW_E_NS1_11comp_targetILNS1_3genE3ELNS1_11target_archE908ELNS1_3gpuE7ELNS1_3repE0EEENS1_30default_config_static_selectorELNS0_4arch9wavefront6targetE0EEEvT1_,"axG",@progbits,_ZN7rocprim17ROCPRIM_400000_NS6detail17trampoline_kernelINS0_14default_configENS1_27scan_by_key_config_selectorIixEEZZNS1_16scan_by_key_implILNS1_25lookback_scan_determinismE0ELb1ES3_N6thrust23THRUST_200600_302600_NS6detail15normal_iteratorINS9_10device_ptrIiEEEENSB_INSC_IxEEEESG_xNS9_4plusIvEENS9_8equal_toIvEExEE10hipError_tPvRmT2_T3_T4_T5_mT6_T7_P12ihipStream_tbENKUlT_T0_E_clISt17integral_constantIbLb0EES11_EEDaSW_SX_EUlSW_E_NS1_11comp_targetILNS1_3genE3ELNS1_11target_archE908ELNS1_3gpuE7ELNS1_3repE0EEENS1_30default_config_static_selectorELNS0_4arch9wavefront6targetE0EEEvT1_,comdat
.Lfunc_end1575:
	.size	_ZN7rocprim17ROCPRIM_400000_NS6detail17trampoline_kernelINS0_14default_configENS1_27scan_by_key_config_selectorIixEEZZNS1_16scan_by_key_implILNS1_25lookback_scan_determinismE0ELb1ES3_N6thrust23THRUST_200600_302600_NS6detail15normal_iteratorINS9_10device_ptrIiEEEENSB_INSC_IxEEEESG_xNS9_4plusIvEENS9_8equal_toIvEExEE10hipError_tPvRmT2_T3_T4_T5_mT6_T7_P12ihipStream_tbENKUlT_T0_E_clISt17integral_constantIbLb0EES11_EEDaSW_SX_EUlSW_E_NS1_11comp_targetILNS1_3genE3ELNS1_11target_archE908ELNS1_3gpuE7ELNS1_3repE0EEENS1_30default_config_static_selectorELNS0_4arch9wavefront6targetE0EEEvT1_, .Lfunc_end1575-_ZN7rocprim17ROCPRIM_400000_NS6detail17trampoline_kernelINS0_14default_configENS1_27scan_by_key_config_selectorIixEEZZNS1_16scan_by_key_implILNS1_25lookback_scan_determinismE0ELb1ES3_N6thrust23THRUST_200600_302600_NS6detail15normal_iteratorINS9_10device_ptrIiEEEENSB_INSC_IxEEEESG_xNS9_4plusIvEENS9_8equal_toIvEExEE10hipError_tPvRmT2_T3_T4_T5_mT6_T7_P12ihipStream_tbENKUlT_T0_E_clISt17integral_constantIbLb0EES11_EEDaSW_SX_EUlSW_E_NS1_11comp_targetILNS1_3genE3ELNS1_11target_archE908ELNS1_3gpuE7ELNS1_3repE0EEENS1_30default_config_static_selectorELNS0_4arch9wavefront6targetE0EEEvT1_
                                        ; -- End function
	.set _ZN7rocprim17ROCPRIM_400000_NS6detail17trampoline_kernelINS0_14default_configENS1_27scan_by_key_config_selectorIixEEZZNS1_16scan_by_key_implILNS1_25lookback_scan_determinismE0ELb1ES3_N6thrust23THRUST_200600_302600_NS6detail15normal_iteratorINS9_10device_ptrIiEEEENSB_INSC_IxEEEESG_xNS9_4plusIvEENS9_8equal_toIvEExEE10hipError_tPvRmT2_T3_T4_T5_mT6_T7_P12ihipStream_tbENKUlT_T0_E_clISt17integral_constantIbLb0EES11_EEDaSW_SX_EUlSW_E_NS1_11comp_targetILNS1_3genE3ELNS1_11target_archE908ELNS1_3gpuE7ELNS1_3repE0EEENS1_30default_config_static_selectorELNS0_4arch9wavefront6targetE0EEEvT1_.num_vgpr, 0
	.set _ZN7rocprim17ROCPRIM_400000_NS6detail17trampoline_kernelINS0_14default_configENS1_27scan_by_key_config_selectorIixEEZZNS1_16scan_by_key_implILNS1_25lookback_scan_determinismE0ELb1ES3_N6thrust23THRUST_200600_302600_NS6detail15normal_iteratorINS9_10device_ptrIiEEEENSB_INSC_IxEEEESG_xNS9_4plusIvEENS9_8equal_toIvEExEE10hipError_tPvRmT2_T3_T4_T5_mT6_T7_P12ihipStream_tbENKUlT_T0_E_clISt17integral_constantIbLb0EES11_EEDaSW_SX_EUlSW_E_NS1_11comp_targetILNS1_3genE3ELNS1_11target_archE908ELNS1_3gpuE7ELNS1_3repE0EEENS1_30default_config_static_selectorELNS0_4arch9wavefront6targetE0EEEvT1_.num_agpr, 0
	.set _ZN7rocprim17ROCPRIM_400000_NS6detail17trampoline_kernelINS0_14default_configENS1_27scan_by_key_config_selectorIixEEZZNS1_16scan_by_key_implILNS1_25lookback_scan_determinismE0ELb1ES3_N6thrust23THRUST_200600_302600_NS6detail15normal_iteratorINS9_10device_ptrIiEEEENSB_INSC_IxEEEESG_xNS9_4plusIvEENS9_8equal_toIvEExEE10hipError_tPvRmT2_T3_T4_T5_mT6_T7_P12ihipStream_tbENKUlT_T0_E_clISt17integral_constantIbLb0EES11_EEDaSW_SX_EUlSW_E_NS1_11comp_targetILNS1_3genE3ELNS1_11target_archE908ELNS1_3gpuE7ELNS1_3repE0EEENS1_30default_config_static_selectorELNS0_4arch9wavefront6targetE0EEEvT1_.numbered_sgpr, 0
	.set _ZN7rocprim17ROCPRIM_400000_NS6detail17trampoline_kernelINS0_14default_configENS1_27scan_by_key_config_selectorIixEEZZNS1_16scan_by_key_implILNS1_25lookback_scan_determinismE0ELb1ES3_N6thrust23THRUST_200600_302600_NS6detail15normal_iteratorINS9_10device_ptrIiEEEENSB_INSC_IxEEEESG_xNS9_4plusIvEENS9_8equal_toIvEExEE10hipError_tPvRmT2_T3_T4_T5_mT6_T7_P12ihipStream_tbENKUlT_T0_E_clISt17integral_constantIbLb0EES11_EEDaSW_SX_EUlSW_E_NS1_11comp_targetILNS1_3genE3ELNS1_11target_archE908ELNS1_3gpuE7ELNS1_3repE0EEENS1_30default_config_static_selectorELNS0_4arch9wavefront6targetE0EEEvT1_.num_named_barrier, 0
	.set _ZN7rocprim17ROCPRIM_400000_NS6detail17trampoline_kernelINS0_14default_configENS1_27scan_by_key_config_selectorIixEEZZNS1_16scan_by_key_implILNS1_25lookback_scan_determinismE0ELb1ES3_N6thrust23THRUST_200600_302600_NS6detail15normal_iteratorINS9_10device_ptrIiEEEENSB_INSC_IxEEEESG_xNS9_4plusIvEENS9_8equal_toIvEExEE10hipError_tPvRmT2_T3_T4_T5_mT6_T7_P12ihipStream_tbENKUlT_T0_E_clISt17integral_constantIbLb0EES11_EEDaSW_SX_EUlSW_E_NS1_11comp_targetILNS1_3genE3ELNS1_11target_archE908ELNS1_3gpuE7ELNS1_3repE0EEENS1_30default_config_static_selectorELNS0_4arch9wavefront6targetE0EEEvT1_.private_seg_size, 0
	.set _ZN7rocprim17ROCPRIM_400000_NS6detail17trampoline_kernelINS0_14default_configENS1_27scan_by_key_config_selectorIixEEZZNS1_16scan_by_key_implILNS1_25lookback_scan_determinismE0ELb1ES3_N6thrust23THRUST_200600_302600_NS6detail15normal_iteratorINS9_10device_ptrIiEEEENSB_INSC_IxEEEESG_xNS9_4plusIvEENS9_8equal_toIvEExEE10hipError_tPvRmT2_T3_T4_T5_mT6_T7_P12ihipStream_tbENKUlT_T0_E_clISt17integral_constantIbLb0EES11_EEDaSW_SX_EUlSW_E_NS1_11comp_targetILNS1_3genE3ELNS1_11target_archE908ELNS1_3gpuE7ELNS1_3repE0EEENS1_30default_config_static_selectorELNS0_4arch9wavefront6targetE0EEEvT1_.uses_vcc, 0
	.set _ZN7rocprim17ROCPRIM_400000_NS6detail17trampoline_kernelINS0_14default_configENS1_27scan_by_key_config_selectorIixEEZZNS1_16scan_by_key_implILNS1_25lookback_scan_determinismE0ELb1ES3_N6thrust23THRUST_200600_302600_NS6detail15normal_iteratorINS9_10device_ptrIiEEEENSB_INSC_IxEEEESG_xNS9_4plusIvEENS9_8equal_toIvEExEE10hipError_tPvRmT2_T3_T4_T5_mT6_T7_P12ihipStream_tbENKUlT_T0_E_clISt17integral_constantIbLb0EES11_EEDaSW_SX_EUlSW_E_NS1_11comp_targetILNS1_3genE3ELNS1_11target_archE908ELNS1_3gpuE7ELNS1_3repE0EEENS1_30default_config_static_selectorELNS0_4arch9wavefront6targetE0EEEvT1_.uses_flat_scratch, 0
	.set _ZN7rocprim17ROCPRIM_400000_NS6detail17trampoline_kernelINS0_14default_configENS1_27scan_by_key_config_selectorIixEEZZNS1_16scan_by_key_implILNS1_25lookback_scan_determinismE0ELb1ES3_N6thrust23THRUST_200600_302600_NS6detail15normal_iteratorINS9_10device_ptrIiEEEENSB_INSC_IxEEEESG_xNS9_4plusIvEENS9_8equal_toIvEExEE10hipError_tPvRmT2_T3_T4_T5_mT6_T7_P12ihipStream_tbENKUlT_T0_E_clISt17integral_constantIbLb0EES11_EEDaSW_SX_EUlSW_E_NS1_11comp_targetILNS1_3genE3ELNS1_11target_archE908ELNS1_3gpuE7ELNS1_3repE0EEENS1_30default_config_static_selectorELNS0_4arch9wavefront6targetE0EEEvT1_.has_dyn_sized_stack, 0
	.set _ZN7rocprim17ROCPRIM_400000_NS6detail17trampoline_kernelINS0_14default_configENS1_27scan_by_key_config_selectorIixEEZZNS1_16scan_by_key_implILNS1_25lookback_scan_determinismE0ELb1ES3_N6thrust23THRUST_200600_302600_NS6detail15normal_iteratorINS9_10device_ptrIiEEEENSB_INSC_IxEEEESG_xNS9_4plusIvEENS9_8equal_toIvEExEE10hipError_tPvRmT2_T3_T4_T5_mT6_T7_P12ihipStream_tbENKUlT_T0_E_clISt17integral_constantIbLb0EES11_EEDaSW_SX_EUlSW_E_NS1_11comp_targetILNS1_3genE3ELNS1_11target_archE908ELNS1_3gpuE7ELNS1_3repE0EEENS1_30default_config_static_selectorELNS0_4arch9wavefront6targetE0EEEvT1_.has_recursion, 0
	.set _ZN7rocprim17ROCPRIM_400000_NS6detail17trampoline_kernelINS0_14default_configENS1_27scan_by_key_config_selectorIixEEZZNS1_16scan_by_key_implILNS1_25lookback_scan_determinismE0ELb1ES3_N6thrust23THRUST_200600_302600_NS6detail15normal_iteratorINS9_10device_ptrIiEEEENSB_INSC_IxEEEESG_xNS9_4plusIvEENS9_8equal_toIvEExEE10hipError_tPvRmT2_T3_T4_T5_mT6_T7_P12ihipStream_tbENKUlT_T0_E_clISt17integral_constantIbLb0EES11_EEDaSW_SX_EUlSW_E_NS1_11comp_targetILNS1_3genE3ELNS1_11target_archE908ELNS1_3gpuE7ELNS1_3repE0EEENS1_30default_config_static_selectorELNS0_4arch9wavefront6targetE0EEEvT1_.has_indirect_call, 0
	.section	.AMDGPU.csdata,"",@progbits
; Kernel info:
; codeLenInByte = 0
; TotalNumSgprs: 0
; NumVgprs: 0
; ScratchSize: 0
; MemoryBound: 0
; FloatMode: 240
; IeeeMode: 1
; LDSByteSize: 0 bytes/workgroup (compile time only)
; SGPRBlocks: 0
; VGPRBlocks: 0
; NumSGPRsForWavesPerEU: 1
; NumVGPRsForWavesPerEU: 1
; Occupancy: 16
; WaveLimiterHint : 0
; COMPUTE_PGM_RSRC2:SCRATCH_EN: 0
; COMPUTE_PGM_RSRC2:USER_SGPR: 6
; COMPUTE_PGM_RSRC2:TRAP_HANDLER: 0
; COMPUTE_PGM_RSRC2:TGID_X_EN: 1
; COMPUTE_PGM_RSRC2:TGID_Y_EN: 0
; COMPUTE_PGM_RSRC2:TGID_Z_EN: 0
; COMPUTE_PGM_RSRC2:TIDIG_COMP_CNT: 0
	.section	.text._ZN7rocprim17ROCPRIM_400000_NS6detail17trampoline_kernelINS0_14default_configENS1_27scan_by_key_config_selectorIixEEZZNS1_16scan_by_key_implILNS1_25lookback_scan_determinismE0ELb1ES3_N6thrust23THRUST_200600_302600_NS6detail15normal_iteratorINS9_10device_ptrIiEEEENSB_INSC_IxEEEESG_xNS9_4plusIvEENS9_8equal_toIvEExEE10hipError_tPvRmT2_T3_T4_T5_mT6_T7_P12ihipStream_tbENKUlT_T0_E_clISt17integral_constantIbLb0EES11_EEDaSW_SX_EUlSW_E_NS1_11comp_targetILNS1_3genE2ELNS1_11target_archE906ELNS1_3gpuE6ELNS1_3repE0EEENS1_30default_config_static_selectorELNS0_4arch9wavefront6targetE0EEEvT1_,"axG",@progbits,_ZN7rocprim17ROCPRIM_400000_NS6detail17trampoline_kernelINS0_14default_configENS1_27scan_by_key_config_selectorIixEEZZNS1_16scan_by_key_implILNS1_25lookback_scan_determinismE0ELb1ES3_N6thrust23THRUST_200600_302600_NS6detail15normal_iteratorINS9_10device_ptrIiEEEENSB_INSC_IxEEEESG_xNS9_4plusIvEENS9_8equal_toIvEExEE10hipError_tPvRmT2_T3_T4_T5_mT6_T7_P12ihipStream_tbENKUlT_T0_E_clISt17integral_constantIbLb0EES11_EEDaSW_SX_EUlSW_E_NS1_11comp_targetILNS1_3genE2ELNS1_11target_archE906ELNS1_3gpuE6ELNS1_3repE0EEENS1_30default_config_static_selectorELNS0_4arch9wavefront6targetE0EEEvT1_,comdat
	.protected	_ZN7rocprim17ROCPRIM_400000_NS6detail17trampoline_kernelINS0_14default_configENS1_27scan_by_key_config_selectorIixEEZZNS1_16scan_by_key_implILNS1_25lookback_scan_determinismE0ELb1ES3_N6thrust23THRUST_200600_302600_NS6detail15normal_iteratorINS9_10device_ptrIiEEEENSB_INSC_IxEEEESG_xNS9_4plusIvEENS9_8equal_toIvEExEE10hipError_tPvRmT2_T3_T4_T5_mT6_T7_P12ihipStream_tbENKUlT_T0_E_clISt17integral_constantIbLb0EES11_EEDaSW_SX_EUlSW_E_NS1_11comp_targetILNS1_3genE2ELNS1_11target_archE906ELNS1_3gpuE6ELNS1_3repE0EEENS1_30default_config_static_selectorELNS0_4arch9wavefront6targetE0EEEvT1_ ; -- Begin function _ZN7rocprim17ROCPRIM_400000_NS6detail17trampoline_kernelINS0_14default_configENS1_27scan_by_key_config_selectorIixEEZZNS1_16scan_by_key_implILNS1_25lookback_scan_determinismE0ELb1ES3_N6thrust23THRUST_200600_302600_NS6detail15normal_iteratorINS9_10device_ptrIiEEEENSB_INSC_IxEEEESG_xNS9_4plusIvEENS9_8equal_toIvEExEE10hipError_tPvRmT2_T3_T4_T5_mT6_T7_P12ihipStream_tbENKUlT_T0_E_clISt17integral_constantIbLb0EES11_EEDaSW_SX_EUlSW_E_NS1_11comp_targetILNS1_3genE2ELNS1_11target_archE906ELNS1_3gpuE6ELNS1_3repE0EEENS1_30default_config_static_selectorELNS0_4arch9wavefront6targetE0EEEvT1_
	.globl	_ZN7rocprim17ROCPRIM_400000_NS6detail17trampoline_kernelINS0_14default_configENS1_27scan_by_key_config_selectorIixEEZZNS1_16scan_by_key_implILNS1_25lookback_scan_determinismE0ELb1ES3_N6thrust23THRUST_200600_302600_NS6detail15normal_iteratorINS9_10device_ptrIiEEEENSB_INSC_IxEEEESG_xNS9_4plusIvEENS9_8equal_toIvEExEE10hipError_tPvRmT2_T3_T4_T5_mT6_T7_P12ihipStream_tbENKUlT_T0_E_clISt17integral_constantIbLb0EES11_EEDaSW_SX_EUlSW_E_NS1_11comp_targetILNS1_3genE2ELNS1_11target_archE906ELNS1_3gpuE6ELNS1_3repE0EEENS1_30default_config_static_selectorELNS0_4arch9wavefront6targetE0EEEvT1_
	.p2align	8
	.type	_ZN7rocprim17ROCPRIM_400000_NS6detail17trampoline_kernelINS0_14default_configENS1_27scan_by_key_config_selectorIixEEZZNS1_16scan_by_key_implILNS1_25lookback_scan_determinismE0ELb1ES3_N6thrust23THRUST_200600_302600_NS6detail15normal_iteratorINS9_10device_ptrIiEEEENSB_INSC_IxEEEESG_xNS9_4plusIvEENS9_8equal_toIvEExEE10hipError_tPvRmT2_T3_T4_T5_mT6_T7_P12ihipStream_tbENKUlT_T0_E_clISt17integral_constantIbLb0EES11_EEDaSW_SX_EUlSW_E_NS1_11comp_targetILNS1_3genE2ELNS1_11target_archE906ELNS1_3gpuE6ELNS1_3repE0EEENS1_30default_config_static_selectorELNS0_4arch9wavefront6targetE0EEEvT1_,@function
_ZN7rocprim17ROCPRIM_400000_NS6detail17trampoline_kernelINS0_14default_configENS1_27scan_by_key_config_selectorIixEEZZNS1_16scan_by_key_implILNS1_25lookback_scan_determinismE0ELb1ES3_N6thrust23THRUST_200600_302600_NS6detail15normal_iteratorINS9_10device_ptrIiEEEENSB_INSC_IxEEEESG_xNS9_4plusIvEENS9_8equal_toIvEExEE10hipError_tPvRmT2_T3_T4_T5_mT6_T7_P12ihipStream_tbENKUlT_T0_E_clISt17integral_constantIbLb0EES11_EEDaSW_SX_EUlSW_E_NS1_11comp_targetILNS1_3genE2ELNS1_11target_archE906ELNS1_3gpuE6ELNS1_3repE0EEENS1_30default_config_static_selectorELNS0_4arch9wavefront6targetE0EEEvT1_: ; @_ZN7rocprim17ROCPRIM_400000_NS6detail17trampoline_kernelINS0_14default_configENS1_27scan_by_key_config_selectorIixEEZZNS1_16scan_by_key_implILNS1_25lookback_scan_determinismE0ELb1ES3_N6thrust23THRUST_200600_302600_NS6detail15normal_iteratorINS9_10device_ptrIiEEEENSB_INSC_IxEEEESG_xNS9_4plusIvEENS9_8equal_toIvEExEE10hipError_tPvRmT2_T3_T4_T5_mT6_T7_P12ihipStream_tbENKUlT_T0_E_clISt17integral_constantIbLb0EES11_EEDaSW_SX_EUlSW_E_NS1_11comp_targetILNS1_3genE2ELNS1_11target_archE906ELNS1_3gpuE6ELNS1_3repE0EEENS1_30default_config_static_selectorELNS0_4arch9wavefront6targetE0EEEvT1_
; %bb.0:
	.section	.rodata,"a",@progbits
	.p2align	6, 0x0
	.amdhsa_kernel _ZN7rocprim17ROCPRIM_400000_NS6detail17trampoline_kernelINS0_14default_configENS1_27scan_by_key_config_selectorIixEEZZNS1_16scan_by_key_implILNS1_25lookback_scan_determinismE0ELb1ES3_N6thrust23THRUST_200600_302600_NS6detail15normal_iteratorINS9_10device_ptrIiEEEENSB_INSC_IxEEEESG_xNS9_4plusIvEENS9_8equal_toIvEExEE10hipError_tPvRmT2_T3_T4_T5_mT6_T7_P12ihipStream_tbENKUlT_T0_E_clISt17integral_constantIbLb0EES11_EEDaSW_SX_EUlSW_E_NS1_11comp_targetILNS1_3genE2ELNS1_11target_archE906ELNS1_3gpuE6ELNS1_3repE0EEENS1_30default_config_static_selectorELNS0_4arch9wavefront6targetE0EEEvT1_
		.amdhsa_group_segment_fixed_size 0
		.amdhsa_private_segment_fixed_size 0
		.amdhsa_kernarg_size 136
		.amdhsa_user_sgpr_count 6
		.amdhsa_user_sgpr_private_segment_buffer 1
		.amdhsa_user_sgpr_dispatch_ptr 0
		.amdhsa_user_sgpr_queue_ptr 0
		.amdhsa_user_sgpr_kernarg_segment_ptr 1
		.amdhsa_user_sgpr_dispatch_id 0
		.amdhsa_user_sgpr_flat_scratch_init 0
		.amdhsa_user_sgpr_private_segment_size 0
		.amdhsa_wavefront_size32 1
		.amdhsa_uses_dynamic_stack 0
		.amdhsa_system_sgpr_private_segment_wavefront_offset 0
		.amdhsa_system_sgpr_workgroup_id_x 1
		.amdhsa_system_sgpr_workgroup_id_y 0
		.amdhsa_system_sgpr_workgroup_id_z 0
		.amdhsa_system_sgpr_workgroup_info 0
		.amdhsa_system_vgpr_workitem_id 0
		.amdhsa_next_free_vgpr 1
		.amdhsa_next_free_sgpr 1
		.amdhsa_reserve_vcc 0
		.amdhsa_reserve_flat_scratch 0
		.amdhsa_float_round_mode_32 0
		.amdhsa_float_round_mode_16_64 0
		.amdhsa_float_denorm_mode_32 3
		.amdhsa_float_denorm_mode_16_64 3
		.amdhsa_dx10_clamp 1
		.amdhsa_ieee_mode 1
		.amdhsa_fp16_overflow 0
		.amdhsa_workgroup_processor_mode 1
		.amdhsa_memory_ordered 1
		.amdhsa_forward_progress 1
		.amdhsa_shared_vgpr_count 0
		.amdhsa_exception_fp_ieee_invalid_op 0
		.amdhsa_exception_fp_denorm_src 0
		.amdhsa_exception_fp_ieee_div_zero 0
		.amdhsa_exception_fp_ieee_overflow 0
		.amdhsa_exception_fp_ieee_underflow 0
		.amdhsa_exception_fp_ieee_inexact 0
		.amdhsa_exception_int_div_zero 0
	.end_amdhsa_kernel
	.section	.text._ZN7rocprim17ROCPRIM_400000_NS6detail17trampoline_kernelINS0_14default_configENS1_27scan_by_key_config_selectorIixEEZZNS1_16scan_by_key_implILNS1_25lookback_scan_determinismE0ELb1ES3_N6thrust23THRUST_200600_302600_NS6detail15normal_iteratorINS9_10device_ptrIiEEEENSB_INSC_IxEEEESG_xNS9_4plusIvEENS9_8equal_toIvEExEE10hipError_tPvRmT2_T3_T4_T5_mT6_T7_P12ihipStream_tbENKUlT_T0_E_clISt17integral_constantIbLb0EES11_EEDaSW_SX_EUlSW_E_NS1_11comp_targetILNS1_3genE2ELNS1_11target_archE906ELNS1_3gpuE6ELNS1_3repE0EEENS1_30default_config_static_selectorELNS0_4arch9wavefront6targetE0EEEvT1_,"axG",@progbits,_ZN7rocprim17ROCPRIM_400000_NS6detail17trampoline_kernelINS0_14default_configENS1_27scan_by_key_config_selectorIixEEZZNS1_16scan_by_key_implILNS1_25lookback_scan_determinismE0ELb1ES3_N6thrust23THRUST_200600_302600_NS6detail15normal_iteratorINS9_10device_ptrIiEEEENSB_INSC_IxEEEESG_xNS9_4plusIvEENS9_8equal_toIvEExEE10hipError_tPvRmT2_T3_T4_T5_mT6_T7_P12ihipStream_tbENKUlT_T0_E_clISt17integral_constantIbLb0EES11_EEDaSW_SX_EUlSW_E_NS1_11comp_targetILNS1_3genE2ELNS1_11target_archE906ELNS1_3gpuE6ELNS1_3repE0EEENS1_30default_config_static_selectorELNS0_4arch9wavefront6targetE0EEEvT1_,comdat
.Lfunc_end1576:
	.size	_ZN7rocprim17ROCPRIM_400000_NS6detail17trampoline_kernelINS0_14default_configENS1_27scan_by_key_config_selectorIixEEZZNS1_16scan_by_key_implILNS1_25lookback_scan_determinismE0ELb1ES3_N6thrust23THRUST_200600_302600_NS6detail15normal_iteratorINS9_10device_ptrIiEEEENSB_INSC_IxEEEESG_xNS9_4plusIvEENS9_8equal_toIvEExEE10hipError_tPvRmT2_T3_T4_T5_mT6_T7_P12ihipStream_tbENKUlT_T0_E_clISt17integral_constantIbLb0EES11_EEDaSW_SX_EUlSW_E_NS1_11comp_targetILNS1_3genE2ELNS1_11target_archE906ELNS1_3gpuE6ELNS1_3repE0EEENS1_30default_config_static_selectorELNS0_4arch9wavefront6targetE0EEEvT1_, .Lfunc_end1576-_ZN7rocprim17ROCPRIM_400000_NS6detail17trampoline_kernelINS0_14default_configENS1_27scan_by_key_config_selectorIixEEZZNS1_16scan_by_key_implILNS1_25lookback_scan_determinismE0ELb1ES3_N6thrust23THRUST_200600_302600_NS6detail15normal_iteratorINS9_10device_ptrIiEEEENSB_INSC_IxEEEESG_xNS9_4plusIvEENS9_8equal_toIvEExEE10hipError_tPvRmT2_T3_T4_T5_mT6_T7_P12ihipStream_tbENKUlT_T0_E_clISt17integral_constantIbLb0EES11_EEDaSW_SX_EUlSW_E_NS1_11comp_targetILNS1_3genE2ELNS1_11target_archE906ELNS1_3gpuE6ELNS1_3repE0EEENS1_30default_config_static_selectorELNS0_4arch9wavefront6targetE0EEEvT1_
                                        ; -- End function
	.set _ZN7rocprim17ROCPRIM_400000_NS6detail17trampoline_kernelINS0_14default_configENS1_27scan_by_key_config_selectorIixEEZZNS1_16scan_by_key_implILNS1_25lookback_scan_determinismE0ELb1ES3_N6thrust23THRUST_200600_302600_NS6detail15normal_iteratorINS9_10device_ptrIiEEEENSB_INSC_IxEEEESG_xNS9_4plusIvEENS9_8equal_toIvEExEE10hipError_tPvRmT2_T3_T4_T5_mT6_T7_P12ihipStream_tbENKUlT_T0_E_clISt17integral_constantIbLb0EES11_EEDaSW_SX_EUlSW_E_NS1_11comp_targetILNS1_3genE2ELNS1_11target_archE906ELNS1_3gpuE6ELNS1_3repE0EEENS1_30default_config_static_selectorELNS0_4arch9wavefront6targetE0EEEvT1_.num_vgpr, 0
	.set _ZN7rocprim17ROCPRIM_400000_NS6detail17trampoline_kernelINS0_14default_configENS1_27scan_by_key_config_selectorIixEEZZNS1_16scan_by_key_implILNS1_25lookback_scan_determinismE0ELb1ES3_N6thrust23THRUST_200600_302600_NS6detail15normal_iteratorINS9_10device_ptrIiEEEENSB_INSC_IxEEEESG_xNS9_4plusIvEENS9_8equal_toIvEExEE10hipError_tPvRmT2_T3_T4_T5_mT6_T7_P12ihipStream_tbENKUlT_T0_E_clISt17integral_constantIbLb0EES11_EEDaSW_SX_EUlSW_E_NS1_11comp_targetILNS1_3genE2ELNS1_11target_archE906ELNS1_3gpuE6ELNS1_3repE0EEENS1_30default_config_static_selectorELNS0_4arch9wavefront6targetE0EEEvT1_.num_agpr, 0
	.set _ZN7rocprim17ROCPRIM_400000_NS6detail17trampoline_kernelINS0_14default_configENS1_27scan_by_key_config_selectorIixEEZZNS1_16scan_by_key_implILNS1_25lookback_scan_determinismE0ELb1ES3_N6thrust23THRUST_200600_302600_NS6detail15normal_iteratorINS9_10device_ptrIiEEEENSB_INSC_IxEEEESG_xNS9_4plusIvEENS9_8equal_toIvEExEE10hipError_tPvRmT2_T3_T4_T5_mT6_T7_P12ihipStream_tbENKUlT_T0_E_clISt17integral_constantIbLb0EES11_EEDaSW_SX_EUlSW_E_NS1_11comp_targetILNS1_3genE2ELNS1_11target_archE906ELNS1_3gpuE6ELNS1_3repE0EEENS1_30default_config_static_selectorELNS0_4arch9wavefront6targetE0EEEvT1_.numbered_sgpr, 0
	.set _ZN7rocprim17ROCPRIM_400000_NS6detail17trampoline_kernelINS0_14default_configENS1_27scan_by_key_config_selectorIixEEZZNS1_16scan_by_key_implILNS1_25lookback_scan_determinismE0ELb1ES3_N6thrust23THRUST_200600_302600_NS6detail15normal_iteratorINS9_10device_ptrIiEEEENSB_INSC_IxEEEESG_xNS9_4plusIvEENS9_8equal_toIvEExEE10hipError_tPvRmT2_T3_T4_T5_mT6_T7_P12ihipStream_tbENKUlT_T0_E_clISt17integral_constantIbLb0EES11_EEDaSW_SX_EUlSW_E_NS1_11comp_targetILNS1_3genE2ELNS1_11target_archE906ELNS1_3gpuE6ELNS1_3repE0EEENS1_30default_config_static_selectorELNS0_4arch9wavefront6targetE0EEEvT1_.num_named_barrier, 0
	.set _ZN7rocprim17ROCPRIM_400000_NS6detail17trampoline_kernelINS0_14default_configENS1_27scan_by_key_config_selectorIixEEZZNS1_16scan_by_key_implILNS1_25lookback_scan_determinismE0ELb1ES3_N6thrust23THRUST_200600_302600_NS6detail15normal_iteratorINS9_10device_ptrIiEEEENSB_INSC_IxEEEESG_xNS9_4plusIvEENS9_8equal_toIvEExEE10hipError_tPvRmT2_T3_T4_T5_mT6_T7_P12ihipStream_tbENKUlT_T0_E_clISt17integral_constantIbLb0EES11_EEDaSW_SX_EUlSW_E_NS1_11comp_targetILNS1_3genE2ELNS1_11target_archE906ELNS1_3gpuE6ELNS1_3repE0EEENS1_30default_config_static_selectorELNS0_4arch9wavefront6targetE0EEEvT1_.private_seg_size, 0
	.set _ZN7rocprim17ROCPRIM_400000_NS6detail17trampoline_kernelINS0_14default_configENS1_27scan_by_key_config_selectorIixEEZZNS1_16scan_by_key_implILNS1_25lookback_scan_determinismE0ELb1ES3_N6thrust23THRUST_200600_302600_NS6detail15normal_iteratorINS9_10device_ptrIiEEEENSB_INSC_IxEEEESG_xNS9_4plusIvEENS9_8equal_toIvEExEE10hipError_tPvRmT2_T3_T4_T5_mT6_T7_P12ihipStream_tbENKUlT_T0_E_clISt17integral_constantIbLb0EES11_EEDaSW_SX_EUlSW_E_NS1_11comp_targetILNS1_3genE2ELNS1_11target_archE906ELNS1_3gpuE6ELNS1_3repE0EEENS1_30default_config_static_selectorELNS0_4arch9wavefront6targetE0EEEvT1_.uses_vcc, 0
	.set _ZN7rocprim17ROCPRIM_400000_NS6detail17trampoline_kernelINS0_14default_configENS1_27scan_by_key_config_selectorIixEEZZNS1_16scan_by_key_implILNS1_25lookback_scan_determinismE0ELb1ES3_N6thrust23THRUST_200600_302600_NS6detail15normal_iteratorINS9_10device_ptrIiEEEENSB_INSC_IxEEEESG_xNS9_4plusIvEENS9_8equal_toIvEExEE10hipError_tPvRmT2_T3_T4_T5_mT6_T7_P12ihipStream_tbENKUlT_T0_E_clISt17integral_constantIbLb0EES11_EEDaSW_SX_EUlSW_E_NS1_11comp_targetILNS1_3genE2ELNS1_11target_archE906ELNS1_3gpuE6ELNS1_3repE0EEENS1_30default_config_static_selectorELNS0_4arch9wavefront6targetE0EEEvT1_.uses_flat_scratch, 0
	.set _ZN7rocprim17ROCPRIM_400000_NS6detail17trampoline_kernelINS0_14default_configENS1_27scan_by_key_config_selectorIixEEZZNS1_16scan_by_key_implILNS1_25lookback_scan_determinismE0ELb1ES3_N6thrust23THRUST_200600_302600_NS6detail15normal_iteratorINS9_10device_ptrIiEEEENSB_INSC_IxEEEESG_xNS9_4plusIvEENS9_8equal_toIvEExEE10hipError_tPvRmT2_T3_T4_T5_mT6_T7_P12ihipStream_tbENKUlT_T0_E_clISt17integral_constantIbLb0EES11_EEDaSW_SX_EUlSW_E_NS1_11comp_targetILNS1_3genE2ELNS1_11target_archE906ELNS1_3gpuE6ELNS1_3repE0EEENS1_30default_config_static_selectorELNS0_4arch9wavefront6targetE0EEEvT1_.has_dyn_sized_stack, 0
	.set _ZN7rocprim17ROCPRIM_400000_NS6detail17trampoline_kernelINS0_14default_configENS1_27scan_by_key_config_selectorIixEEZZNS1_16scan_by_key_implILNS1_25lookback_scan_determinismE0ELb1ES3_N6thrust23THRUST_200600_302600_NS6detail15normal_iteratorINS9_10device_ptrIiEEEENSB_INSC_IxEEEESG_xNS9_4plusIvEENS9_8equal_toIvEExEE10hipError_tPvRmT2_T3_T4_T5_mT6_T7_P12ihipStream_tbENKUlT_T0_E_clISt17integral_constantIbLb0EES11_EEDaSW_SX_EUlSW_E_NS1_11comp_targetILNS1_3genE2ELNS1_11target_archE906ELNS1_3gpuE6ELNS1_3repE0EEENS1_30default_config_static_selectorELNS0_4arch9wavefront6targetE0EEEvT1_.has_recursion, 0
	.set _ZN7rocprim17ROCPRIM_400000_NS6detail17trampoline_kernelINS0_14default_configENS1_27scan_by_key_config_selectorIixEEZZNS1_16scan_by_key_implILNS1_25lookback_scan_determinismE0ELb1ES3_N6thrust23THRUST_200600_302600_NS6detail15normal_iteratorINS9_10device_ptrIiEEEENSB_INSC_IxEEEESG_xNS9_4plusIvEENS9_8equal_toIvEExEE10hipError_tPvRmT2_T3_T4_T5_mT6_T7_P12ihipStream_tbENKUlT_T0_E_clISt17integral_constantIbLb0EES11_EEDaSW_SX_EUlSW_E_NS1_11comp_targetILNS1_3genE2ELNS1_11target_archE906ELNS1_3gpuE6ELNS1_3repE0EEENS1_30default_config_static_selectorELNS0_4arch9wavefront6targetE0EEEvT1_.has_indirect_call, 0
	.section	.AMDGPU.csdata,"",@progbits
; Kernel info:
; codeLenInByte = 0
; TotalNumSgprs: 0
; NumVgprs: 0
; ScratchSize: 0
; MemoryBound: 0
; FloatMode: 240
; IeeeMode: 1
; LDSByteSize: 0 bytes/workgroup (compile time only)
; SGPRBlocks: 0
; VGPRBlocks: 0
; NumSGPRsForWavesPerEU: 1
; NumVGPRsForWavesPerEU: 1
; Occupancy: 16
; WaveLimiterHint : 0
; COMPUTE_PGM_RSRC2:SCRATCH_EN: 0
; COMPUTE_PGM_RSRC2:USER_SGPR: 6
; COMPUTE_PGM_RSRC2:TRAP_HANDLER: 0
; COMPUTE_PGM_RSRC2:TGID_X_EN: 1
; COMPUTE_PGM_RSRC2:TGID_Y_EN: 0
; COMPUTE_PGM_RSRC2:TGID_Z_EN: 0
; COMPUTE_PGM_RSRC2:TIDIG_COMP_CNT: 0
	.section	.text._ZN7rocprim17ROCPRIM_400000_NS6detail17trampoline_kernelINS0_14default_configENS1_27scan_by_key_config_selectorIixEEZZNS1_16scan_by_key_implILNS1_25lookback_scan_determinismE0ELb1ES3_N6thrust23THRUST_200600_302600_NS6detail15normal_iteratorINS9_10device_ptrIiEEEENSB_INSC_IxEEEESG_xNS9_4plusIvEENS9_8equal_toIvEExEE10hipError_tPvRmT2_T3_T4_T5_mT6_T7_P12ihipStream_tbENKUlT_T0_E_clISt17integral_constantIbLb0EES11_EEDaSW_SX_EUlSW_E_NS1_11comp_targetILNS1_3genE10ELNS1_11target_archE1200ELNS1_3gpuE4ELNS1_3repE0EEENS1_30default_config_static_selectorELNS0_4arch9wavefront6targetE0EEEvT1_,"axG",@progbits,_ZN7rocprim17ROCPRIM_400000_NS6detail17trampoline_kernelINS0_14default_configENS1_27scan_by_key_config_selectorIixEEZZNS1_16scan_by_key_implILNS1_25lookback_scan_determinismE0ELb1ES3_N6thrust23THRUST_200600_302600_NS6detail15normal_iteratorINS9_10device_ptrIiEEEENSB_INSC_IxEEEESG_xNS9_4plusIvEENS9_8equal_toIvEExEE10hipError_tPvRmT2_T3_T4_T5_mT6_T7_P12ihipStream_tbENKUlT_T0_E_clISt17integral_constantIbLb0EES11_EEDaSW_SX_EUlSW_E_NS1_11comp_targetILNS1_3genE10ELNS1_11target_archE1200ELNS1_3gpuE4ELNS1_3repE0EEENS1_30default_config_static_selectorELNS0_4arch9wavefront6targetE0EEEvT1_,comdat
	.protected	_ZN7rocprim17ROCPRIM_400000_NS6detail17trampoline_kernelINS0_14default_configENS1_27scan_by_key_config_selectorIixEEZZNS1_16scan_by_key_implILNS1_25lookback_scan_determinismE0ELb1ES3_N6thrust23THRUST_200600_302600_NS6detail15normal_iteratorINS9_10device_ptrIiEEEENSB_INSC_IxEEEESG_xNS9_4plusIvEENS9_8equal_toIvEExEE10hipError_tPvRmT2_T3_T4_T5_mT6_T7_P12ihipStream_tbENKUlT_T0_E_clISt17integral_constantIbLb0EES11_EEDaSW_SX_EUlSW_E_NS1_11comp_targetILNS1_3genE10ELNS1_11target_archE1200ELNS1_3gpuE4ELNS1_3repE0EEENS1_30default_config_static_selectorELNS0_4arch9wavefront6targetE0EEEvT1_ ; -- Begin function _ZN7rocprim17ROCPRIM_400000_NS6detail17trampoline_kernelINS0_14default_configENS1_27scan_by_key_config_selectorIixEEZZNS1_16scan_by_key_implILNS1_25lookback_scan_determinismE0ELb1ES3_N6thrust23THRUST_200600_302600_NS6detail15normal_iteratorINS9_10device_ptrIiEEEENSB_INSC_IxEEEESG_xNS9_4plusIvEENS9_8equal_toIvEExEE10hipError_tPvRmT2_T3_T4_T5_mT6_T7_P12ihipStream_tbENKUlT_T0_E_clISt17integral_constantIbLb0EES11_EEDaSW_SX_EUlSW_E_NS1_11comp_targetILNS1_3genE10ELNS1_11target_archE1200ELNS1_3gpuE4ELNS1_3repE0EEENS1_30default_config_static_selectorELNS0_4arch9wavefront6targetE0EEEvT1_
	.globl	_ZN7rocprim17ROCPRIM_400000_NS6detail17trampoline_kernelINS0_14default_configENS1_27scan_by_key_config_selectorIixEEZZNS1_16scan_by_key_implILNS1_25lookback_scan_determinismE0ELb1ES3_N6thrust23THRUST_200600_302600_NS6detail15normal_iteratorINS9_10device_ptrIiEEEENSB_INSC_IxEEEESG_xNS9_4plusIvEENS9_8equal_toIvEExEE10hipError_tPvRmT2_T3_T4_T5_mT6_T7_P12ihipStream_tbENKUlT_T0_E_clISt17integral_constantIbLb0EES11_EEDaSW_SX_EUlSW_E_NS1_11comp_targetILNS1_3genE10ELNS1_11target_archE1200ELNS1_3gpuE4ELNS1_3repE0EEENS1_30default_config_static_selectorELNS0_4arch9wavefront6targetE0EEEvT1_
	.p2align	8
	.type	_ZN7rocprim17ROCPRIM_400000_NS6detail17trampoline_kernelINS0_14default_configENS1_27scan_by_key_config_selectorIixEEZZNS1_16scan_by_key_implILNS1_25lookback_scan_determinismE0ELb1ES3_N6thrust23THRUST_200600_302600_NS6detail15normal_iteratorINS9_10device_ptrIiEEEENSB_INSC_IxEEEESG_xNS9_4plusIvEENS9_8equal_toIvEExEE10hipError_tPvRmT2_T3_T4_T5_mT6_T7_P12ihipStream_tbENKUlT_T0_E_clISt17integral_constantIbLb0EES11_EEDaSW_SX_EUlSW_E_NS1_11comp_targetILNS1_3genE10ELNS1_11target_archE1200ELNS1_3gpuE4ELNS1_3repE0EEENS1_30default_config_static_selectorELNS0_4arch9wavefront6targetE0EEEvT1_,@function
_ZN7rocprim17ROCPRIM_400000_NS6detail17trampoline_kernelINS0_14default_configENS1_27scan_by_key_config_selectorIixEEZZNS1_16scan_by_key_implILNS1_25lookback_scan_determinismE0ELb1ES3_N6thrust23THRUST_200600_302600_NS6detail15normal_iteratorINS9_10device_ptrIiEEEENSB_INSC_IxEEEESG_xNS9_4plusIvEENS9_8equal_toIvEExEE10hipError_tPvRmT2_T3_T4_T5_mT6_T7_P12ihipStream_tbENKUlT_T0_E_clISt17integral_constantIbLb0EES11_EEDaSW_SX_EUlSW_E_NS1_11comp_targetILNS1_3genE10ELNS1_11target_archE1200ELNS1_3gpuE4ELNS1_3repE0EEENS1_30default_config_static_selectorELNS0_4arch9wavefront6targetE0EEEvT1_: ; @_ZN7rocprim17ROCPRIM_400000_NS6detail17trampoline_kernelINS0_14default_configENS1_27scan_by_key_config_selectorIixEEZZNS1_16scan_by_key_implILNS1_25lookback_scan_determinismE0ELb1ES3_N6thrust23THRUST_200600_302600_NS6detail15normal_iteratorINS9_10device_ptrIiEEEENSB_INSC_IxEEEESG_xNS9_4plusIvEENS9_8equal_toIvEExEE10hipError_tPvRmT2_T3_T4_T5_mT6_T7_P12ihipStream_tbENKUlT_T0_E_clISt17integral_constantIbLb0EES11_EEDaSW_SX_EUlSW_E_NS1_11comp_targetILNS1_3genE10ELNS1_11target_archE1200ELNS1_3gpuE4ELNS1_3repE0EEENS1_30default_config_static_selectorELNS0_4arch9wavefront6targetE0EEEvT1_
; %bb.0:
	.section	.rodata,"a",@progbits
	.p2align	6, 0x0
	.amdhsa_kernel _ZN7rocprim17ROCPRIM_400000_NS6detail17trampoline_kernelINS0_14default_configENS1_27scan_by_key_config_selectorIixEEZZNS1_16scan_by_key_implILNS1_25lookback_scan_determinismE0ELb1ES3_N6thrust23THRUST_200600_302600_NS6detail15normal_iteratorINS9_10device_ptrIiEEEENSB_INSC_IxEEEESG_xNS9_4plusIvEENS9_8equal_toIvEExEE10hipError_tPvRmT2_T3_T4_T5_mT6_T7_P12ihipStream_tbENKUlT_T0_E_clISt17integral_constantIbLb0EES11_EEDaSW_SX_EUlSW_E_NS1_11comp_targetILNS1_3genE10ELNS1_11target_archE1200ELNS1_3gpuE4ELNS1_3repE0EEENS1_30default_config_static_selectorELNS0_4arch9wavefront6targetE0EEEvT1_
		.amdhsa_group_segment_fixed_size 0
		.amdhsa_private_segment_fixed_size 0
		.amdhsa_kernarg_size 136
		.amdhsa_user_sgpr_count 6
		.amdhsa_user_sgpr_private_segment_buffer 1
		.amdhsa_user_sgpr_dispatch_ptr 0
		.amdhsa_user_sgpr_queue_ptr 0
		.amdhsa_user_sgpr_kernarg_segment_ptr 1
		.amdhsa_user_sgpr_dispatch_id 0
		.amdhsa_user_sgpr_flat_scratch_init 0
		.amdhsa_user_sgpr_private_segment_size 0
		.amdhsa_wavefront_size32 1
		.amdhsa_uses_dynamic_stack 0
		.amdhsa_system_sgpr_private_segment_wavefront_offset 0
		.amdhsa_system_sgpr_workgroup_id_x 1
		.amdhsa_system_sgpr_workgroup_id_y 0
		.amdhsa_system_sgpr_workgroup_id_z 0
		.amdhsa_system_sgpr_workgroup_info 0
		.amdhsa_system_vgpr_workitem_id 0
		.amdhsa_next_free_vgpr 1
		.amdhsa_next_free_sgpr 1
		.amdhsa_reserve_vcc 0
		.amdhsa_reserve_flat_scratch 0
		.amdhsa_float_round_mode_32 0
		.amdhsa_float_round_mode_16_64 0
		.amdhsa_float_denorm_mode_32 3
		.amdhsa_float_denorm_mode_16_64 3
		.amdhsa_dx10_clamp 1
		.amdhsa_ieee_mode 1
		.amdhsa_fp16_overflow 0
		.amdhsa_workgroup_processor_mode 1
		.amdhsa_memory_ordered 1
		.amdhsa_forward_progress 1
		.amdhsa_shared_vgpr_count 0
		.amdhsa_exception_fp_ieee_invalid_op 0
		.amdhsa_exception_fp_denorm_src 0
		.amdhsa_exception_fp_ieee_div_zero 0
		.amdhsa_exception_fp_ieee_overflow 0
		.amdhsa_exception_fp_ieee_underflow 0
		.amdhsa_exception_fp_ieee_inexact 0
		.amdhsa_exception_int_div_zero 0
	.end_amdhsa_kernel
	.section	.text._ZN7rocprim17ROCPRIM_400000_NS6detail17trampoline_kernelINS0_14default_configENS1_27scan_by_key_config_selectorIixEEZZNS1_16scan_by_key_implILNS1_25lookback_scan_determinismE0ELb1ES3_N6thrust23THRUST_200600_302600_NS6detail15normal_iteratorINS9_10device_ptrIiEEEENSB_INSC_IxEEEESG_xNS9_4plusIvEENS9_8equal_toIvEExEE10hipError_tPvRmT2_T3_T4_T5_mT6_T7_P12ihipStream_tbENKUlT_T0_E_clISt17integral_constantIbLb0EES11_EEDaSW_SX_EUlSW_E_NS1_11comp_targetILNS1_3genE10ELNS1_11target_archE1200ELNS1_3gpuE4ELNS1_3repE0EEENS1_30default_config_static_selectorELNS0_4arch9wavefront6targetE0EEEvT1_,"axG",@progbits,_ZN7rocprim17ROCPRIM_400000_NS6detail17trampoline_kernelINS0_14default_configENS1_27scan_by_key_config_selectorIixEEZZNS1_16scan_by_key_implILNS1_25lookback_scan_determinismE0ELb1ES3_N6thrust23THRUST_200600_302600_NS6detail15normal_iteratorINS9_10device_ptrIiEEEENSB_INSC_IxEEEESG_xNS9_4plusIvEENS9_8equal_toIvEExEE10hipError_tPvRmT2_T3_T4_T5_mT6_T7_P12ihipStream_tbENKUlT_T0_E_clISt17integral_constantIbLb0EES11_EEDaSW_SX_EUlSW_E_NS1_11comp_targetILNS1_3genE10ELNS1_11target_archE1200ELNS1_3gpuE4ELNS1_3repE0EEENS1_30default_config_static_selectorELNS0_4arch9wavefront6targetE0EEEvT1_,comdat
.Lfunc_end1577:
	.size	_ZN7rocprim17ROCPRIM_400000_NS6detail17trampoline_kernelINS0_14default_configENS1_27scan_by_key_config_selectorIixEEZZNS1_16scan_by_key_implILNS1_25lookback_scan_determinismE0ELb1ES3_N6thrust23THRUST_200600_302600_NS6detail15normal_iteratorINS9_10device_ptrIiEEEENSB_INSC_IxEEEESG_xNS9_4plusIvEENS9_8equal_toIvEExEE10hipError_tPvRmT2_T3_T4_T5_mT6_T7_P12ihipStream_tbENKUlT_T0_E_clISt17integral_constantIbLb0EES11_EEDaSW_SX_EUlSW_E_NS1_11comp_targetILNS1_3genE10ELNS1_11target_archE1200ELNS1_3gpuE4ELNS1_3repE0EEENS1_30default_config_static_selectorELNS0_4arch9wavefront6targetE0EEEvT1_, .Lfunc_end1577-_ZN7rocprim17ROCPRIM_400000_NS6detail17trampoline_kernelINS0_14default_configENS1_27scan_by_key_config_selectorIixEEZZNS1_16scan_by_key_implILNS1_25lookback_scan_determinismE0ELb1ES3_N6thrust23THRUST_200600_302600_NS6detail15normal_iteratorINS9_10device_ptrIiEEEENSB_INSC_IxEEEESG_xNS9_4plusIvEENS9_8equal_toIvEExEE10hipError_tPvRmT2_T3_T4_T5_mT6_T7_P12ihipStream_tbENKUlT_T0_E_clISt17integral_constantIbLb0EES11_EEDaSW_SX_EUlSW_E_NS1_11comp_targetILNS1_3genE10ELNS1_11target_archE1200ELNS1_3gpuE4ELNS1_3repE0EEENS1_30default_config_static_selectorELNS0_4arch9wavefront6targetE0EEEvT1_
                                        ; -- End function
	.set _ZN7rocprim17ROCPRIM_400000_NS6detail17trampoline_kernelINS0_14default_configENS1_27scan_by_key_config_selectorIixEEZZNS1_16scan_by_key_implILNS1_25lookback_scan_determinismE0ELb1ES3_N6thrust23THRUST_200600_302600_NS6detail15normal_iteratorINS9_10device_ptrIiEEEENSB_INSC_IxEEEESG_xNS9_4plusIvEENS9_8equal_toIvEExEE10hipError_tPvRmT2_T3_T4_T5_mT6_T7_P12ihipStream_tbENKUlT_T0_E_clISt17integral_constantIbLb0EES11_EEDaSW_SX_EUlSW_E_NS1_11comp_targetILNS1_3genE10ELNS1_11target_archE1200ELNS1_3gpuE4ELNS1_3repE0EEENS1_30default_config_static_selectorELNS0_4arch9wavefront6targetE0EEEvT1_.num_vgpr, 0
	.set _ZN7rocprim17ROCPRIM_400000_NS6detail17trampoline_kernelINS0_14default_configENS1_27scan_by_key_config_selectorIixEEZZNS1_16scan_by_key_implILNS1_25lookback_scan_determinismE0ELb1ES3_N6thrust23THRUST_200600_302600_NS6detail15normal_iteratorINS9_10device_ptrIiEEEENSB_INSC_IxEEEESG_xNS9_4plusIvEENS9_8equal_toIvEExEE10hipError_tPvRmT2_T3_T4_T5_mT6_T7_P12ihipStream_tbENKUlT_T0_E_clISt17integral_constantIbLb0EES11_EEDaSW_SX_EUlSW_E_NS1_11comp_targetILNS1_3genE10ELNS1_11target_archE1200ELNS1_3gpuE4ELNS1_3repE0EEENS1_30default_config_static_selectorELNS0_4arch9wavefront6targetE0EEEvT1_.num_agpr, 0
	.set _ZN7rocprim17ROCPRIM_400000_NS6detail17trampoline_kernelINS0_14default_configENS1_27scan_by_key_config_selectorIixEEZZNS1_16scan_by_key_implILNS1_25lookback_scan_determinismE0ELb1ES3_N6thrust23THRUST_200600_302600_NS6detail15normal_iteratorINS9_10device_ptrIiEEEENSB_INSC_IxEEEESG_xNS9_4plusIvEENS9_8equal_toIvEExEE10hipError_tPvRmT2_T3_T4_T5_mT6_T7_P12ihipStream_tbENKUlT_T0_E_clISt17integral_constantIbLb0EES11_EEDaSW_SX_EUlSW_E_NS1_11comp_targetILNS1_3genE10ELNS1_11target_archE1200ELNS1_3gpuE4ELNS1_3repE0EEENS1_30default_config_static_selectorELNS0_4arch9wavefront6targetE0EEEvT1_.numbered_sgpr, 0
	.set _ZN7rocprim17ROCPRIM_400000_NS6detail17trampoline_kernelINS0_14default_configENS1_27scan_by_key_config_selectorIixEEZZNS1_16scan_by_key_implILNS1_25lookback_scan_determinismE0ELb1ES3_N6thrust23THRUST_200600_302600_NS6detail15normal_iteratorINS9_10device_ptrIiEEEENSB_INSC_IxEEEESG_xNS9_4plusIvEENS9_8equal_toIvEExEE10hipError_tPvRmT2_T3_T4_T5_mT6_T7_P12ihipStream_tbENKUlT_T0_E_clISt17integral_constantIbLb0EES11_EEDaSW_SX_EUlSW_E_NS1_11comp_targetILNS1_3genE10ELNS1_11target_archE1200ELNS1_3gpuE4ELNS1_3repE0EEENS1_30default_config_static_selectorELNS0_4arch9wavefront6targetE0EEEvT1_.num_named_barrier, 0
	.set _ZN7rocprim17ROCPRIM_400000_NS6detail17trampoline_kernelINS0_14default_configENS1_27scan_by_key_config_selectorIixEEZZNS1_16scan_by_key_implILNS1_25lookback_scan_determinismE0ELb1ES3_N6thrust23THRUST_200600_302600_NS6detail15normal_iteratorINS9_10device_ptrIiEEEENSB_INSC_IxEEEESG_xNS9_4plusIvEENS9_8equal_toIvEExEE10hipError_tPvRmT2_T3_T4_T5_mT6_T7_P12ihipStream_tbENKUlT_T0_E_clISt17integral_constantIbLb0EES11_EEDaSW_SX_EUlSW_E_NS1_11comp_targetILNS1_3genE10ELNS1_11target_archE1200ELNS1_3gpuE4ELNS1_3repE0EEENS1_30default_config_static_selectorELNS0_4arch9wavefront6targetE0EEEvT1_.private_seg_size, 0
	.set _ZN7rocprim17ROCPRIM_400000_NS6detail17trampoline_kernelINS0_14default_configENS1_27scan_by_key_config_selectorIixEEZZNS1_16scan_by_key_implILNS1_25lookback_scan_determinismE0ELb1ES3_N6thrust23THRUST_200600_302600_NS6detail15normal_iteratorINS9_10device_ptrIiEEEENSB_INSC_IxEEEESG_xNS9_4plusIvEENS9_8equal_toIvEExEE10hipError_tPvRmT2_T3_T4_T5_mT6_T7_P12ihipStream_tbENKUlT_T0_E_clISt17integral_constantIbLb0EES11_EEDaSW_SX_EUlSW_E_NS1_11comp_targetILNS1_3genE10ELNS1_11target_archE1200ELNS1_3gpuE4ELNS1_3repE0EEENS1_30default_config_static_selectorELNS0_4arch9wavefront6targetE0EEEvT1_.uses_vcc, 0
	.set _ZN7rocprim17ROCPRIM_400000_NS6detail17trampoline_kernelINS0_14default_configENS1_27scan_by_key_config_selectorIixEEZZNS1_16scan_by_key_implILNS1_25lookback_scan_determinismE0ELb1ES3_N6thrust23THRUST_200600_302600_NS6detail15normal_iteratorINS9_10device_ptrIiEEEENSB_INSC_IxEEEESG_xNS9_4plusIvEENS9_8equal_toIvEExEE10hipError_tPvRmT2_T3_T4_T5_mT6_T7_P12ihipStream_tbENKUlT_T0_E_clISt17integral_constantIbLb0EES11_EEDaSW_SX_EUlSW_E_NS1_11comp_targetILNS1_3genE10ELNS1_11target_archE1200ELNS1_3gpuE4ELNS1_3repE0EEENS1_30default_config_static_selectorELNS0_4arch9wavefront6targetE0EEEvT1_.uses_flat_scratch, 0
	.set _ZN7rocprim17ROCPRIM_400000_NS6detail17trampoline_kernelINS0_14default_configENS1_27scan_by_key_config_selectorIixEEZZNS1_16scan_by_key_implILNS1_25lookback_scan_determinismE0ELb1ES3_N6thrust23THRUST_200600_302600_NS6detail15normal_iteratorINS9_10device_ptrIiEEEENSB_INSC_IxEEEESG_xNS9_4plusIvEENS9_8equal_toIvEExEE10hipError_tPvRmT2_T3_T4_T5_mT6_T7_P12ihipStream_tbENKUlT_T0_E_clISt17integral_constantIbLb0EES11_EEDaSW_SX_EUlSW_E_NS1_11comp_targetILNS1_3genE10ELNS1_11target_archE1200ELNS1_3gpuE4ELNS1_3repE0EEENS1_30default_config_static_selectorELNS0_4arch9wavefront6targetE0EEEvT1_.has_dyn_sized_stack, 0
	.set _ZN7rocprim17ROCPRIM_400000_NS6detail17trampoline_kernelINS0_14default_configENS1_27scan_by_key_config_selectorIixEEZZNS1_16scan_by_key_implILNS1_25lookback_scan_determinismE0ELb1ES3_N6thrust23THRUST_200600_302600_NS6detail15normal_iteratorINS9_10device_ptrIiEEEENSB_INSC_IxEEEESG_xNS9_4plusIvEENS9_8equal_toIvEExEE10hipError_tPvRmT2_T3_T4_T5_mT6_T7_P12ihipStream_tbENKUlT_T0_E_clISt17integral_constantIbLb0EES11_EEDaSW_SX_EUlSW_E_NS1_11comp_targetILNS1_3genE10ELNS1_11target_archE1200ELNS1_3gpuE4ELNS1_3repE0EEENS1_30default_config_static_selectorELNS0_4arch9wavefront6targetE0EEEvT1_.has_recursion, 0
	.set _ZN7rocprim17ROCPRIM_400000_NS6detail17trampoline_kernelINS0_14default_configENS1_27scan_by_key_config_selectorIixEEZZNS1_16scan_by_key_implILNS1_25lookback_scan_determinismE0ELb1ES3_N6thrust23THRUST_200600_302600_NS6detail15normal_iteratorINS9_10device_ptrIiEEEENSB_INSC_IxEEEESG_xNS9_4plusIvEENS9_8equal_toIvEExEE10hipError_tPvRmT2_T3_T4_T5_mT6_T7_P12ihipStream_tbENKUlT_T0_E_clISt17integral_constantIbLb0EES11_EEDaSW_SX_EUlSW_E_NS1_11comp_targetILNS1_3genE10ELNS1_11target_archE1200ELNS1_3gpuE4ELNS1_3repE0EEENS1_30default_config_static_selectorELNS0_4arch9wavefront6targetE0EEEvT1_.has_indirect_call, 0
	.section	.AMDGPU.csdata,"",@progbits
; Kernel info:
; codeLenInByte = 0
; TotalNumSgprs: 0
; NumVgprs: 0
; ScratchSize: 0
; MemoryBound: 0
; FloatMode: 240
; IeeeMode: 1
; LDSByteSize: 0 bytes/workgroup (compile time only)
; SGPRBlocks: 0
; VGPRBlocks: 0
; NumSGPRsForWavesPerEU: 1
; NumVGPRsForWavesPerEU: 1
; Occupancy: 16
; WaveLimiterHint : 0
; COMPUTE_PGM_RSRC2:SCRATCH_EN: 0
; COMPUTE_PGM_RSRC2:USER_SGPR: 6
; COMPUTE_PGM_RSRC2:TRAP_HANDLER: 0
; COMPUTE_PGM_RSRC2:TGID_X_EN: 1
; COMPUTE_PGM_RSRC2:TGID_Y_EN: 0
; COMPUTE_PGM_RSRC2:TGID_Z_EN: 0
; COMPUTE_PGM_RSRC2:TIDIG_COMP_CNT: 0
	.section	.text._ZN7rocprim17ROCPRIM_400000_NS6detail17trampoline_kernelINS0_14default_configENS1_27scan_by_key_config_selectorIixEEZZNS1_16scan_by_key_implILNS1_25lookback_scan_determinismE0ELb1ES3_N6thrust23THRUST_200600_302600_NS6detail15normal_iteratorINS9_10device_ptrIiEEEENSB_INSC_IxEEEESG_xNS9_4plusIvEENS9_8equal_toIvEExEE10hipError_tPvRmT2_T3_T4_T5_mT6_T7_P12ihipStream_tbENKUlT_T0_E_clISt17integral_constantIbLb0EES11_EEDaSW_SX_EUlSW_E_NS1_11comp_targetILNS1_3genE9ELNS1_11target_archE1100ELNS1_3gpuE3ELNS1_3repE0EEENS1_30default_config_static_selectorELNS0_4arch9wavefront6targetE0EEEvT1_,"axG",@progbits,_ZN7rocprim17ROCPRIM_400000_NS6detail17trampoline_kernelINS0_14default_configENS1_27scan_by_key_config_selectorIixEEZZNS1_16scan_by_key_implILNS1_25lookback_scan_determinismE0ELb1ES3_N6thrust23THRUST_200600_302600_NS6detail15normal_iteratorINS9_10device_ptrIiEEEENSB_INSC_IxEEEESG_xNS9_4plusIvEENS9_8equal_toIvEExEE10hipError_tPvRmT2_T3_T4_T5_mT6_T7_P12ihipStream_tbENKUlT_T0_E_clISt17integral_constantIbLb0EES11_EEDaSW_SX_EUlSW_E_NS1_11comp_targetILNS1_3genE9ELNS1_11target_archE1100ELNS1_3gpuE3ELNS1_3repE0EEENS1_30default_config_static_selectorELNS0_4arch9wavefront6targetE0EEEvT1_,comdat
	.protected	_ZN7rocprim17ROCPRIM_400000_NS6detail17trampoline_kernelINS0_14default_configENS1_27scan_by_key_config_selectorIixEEZZNS1_16scan_by_key_implILNS1_25lookback_scan_determinismE0ELb1ES3_N6thrust23THRUST_200600_302600_NS6detail15normal_iteratorINS9_10device_ptrIiEEEENSB_INSC_IxEEEESG_xNS9_4plusIvEENS9_8equal_toIvEExEE10hipError_tPvRmT2_T3_T4_T5_mT6_T7_P12ihipStream_tbENKUlT_T0_E_clISt17integral_constantIbLb0EES11_EEDaSW_SX_EUlSW_E_NS1_11comp_targetILNS1_3genE9ELNS1_11target_archE1100ELNS1_3gpuE3ELNS1_3repE0EEENS1_30default_config_static_selectorELNS0_4arch9wavefront6targetE0EEEvT1_ ; -- Begin function _ZN7rocprim17ROCPRIM_400000_NS6detail17trampoline_kernelINS0_14default_configENS1_27scan_by_key_config_selectorIixEEZZNS1_16scan_by_key_implILNS1_25lookback_scan_determinismE0ELb1ES3_N6thrust23THRUST_200600_302600_NS6detail15normal_iteratorINS9_10device_ptrIiEEEENSB_INSC_IxEEEESG_xNS9_4plusIvEENS9_8equal_toIvEExEE10hipError_tPvRmT2_T3_T4_T5_mT6_T7_P12ihipStream_tbENKUlT_T0_E_clISt17integral_constantIbLb0EES11_EEDaSW_SX_EUlSW_E_NS1_11comp_targetILNS1_3genE9ELNS1_11target_archE1100ELNS1_3gpuE3ELNS1_3repE0EEENS1_30default_config_static_selectorELNS0_4arch9wavefront6targetE0EEEvT1_
	.globl	_ZN7rocprim17ROCPRIM_400000_NS6detail17trampoline_kernelINS0_14default_configENS1_27scan_by_key_config_selectorIixEEZZNS1_16scan_by_key_implILNS1_25lookback_scan_determinismE0ELb1ES3_N6thrust23THRUST_200600_302600_NS6detail15normal_iteratorINS9_10device_ptrIiEEEENSB_INSC_IxEEEESG_xNS9_4plusIvEENS9_8equal_toIvEExEE10hipError_tPvRmT2_T3_T4_T5_mT6_T7_P12ihipStream_tbENKUlT_T0_E_clISt17integral_constantIbLb0EES11_EEDaSW_SX_EUlSW_E_NS1_11comp_targetILNS1_3genE9ELNS1_11target_archE1100ELNS1_3gpuE3ELNS1_3repE0EEENS1_30default_config_static_selectorELNS0_4arch9wavefront6targetE0EEEvT1_
	.p2align	8
	.type	_ZN7rocprim17ROCPRIM_400000_NS6detail17trampoline_kernelINS0_14default_configENS1_27scan_by_key_config_selectorIixEEZZNS1_16scan_by_key_implILNS1_25lookback_scan_determinismE0ELb1ES3_N6thrust23THRUST_200600_302600_NS6detail15normal_iteratorINS9_10device_ptrIiEEEENSB_INSC_IxEEEESG_xNS9_4plusIvEENS9_8equal_toIvEExEE10hipError_tPvRmT2_T3_T4_T5_mT6_T7_P12ihipStream_tbENKUlT_T0_E_clISt17integral_constantIbLb0EES11_EEDaSW_SX_EUlSW_E_NS1_11comp_targetILNS1_3genE9ELNS1_11target_archE1100ELNS1_3gpuE3ELNS1_3repE0EEENS1_30default_config_static_selectorELNS0_4arch9wavefront6targetE0EEEvT1_,@function
_ZN7rocprim17ROCPRIM_400000_NS6detail17trampoline_kernelINS0_14default_configENS1_27scan_by_key_config_selectorIixEEZZNS1_16scan_by_key_implILNS1_25lookback_scan_determinismE0ELb1ES3_N6thrust23THRUST_200600_302600_NS6detail15normal_iteratorINS9_10device_ptrIiEEEENSB_INSC_IxEEEESG_xNS9_4plusIvEENS9_8equal_toIvEExEE10hipError_tPvRmT2_T3_T4_T5_mT6_T7_P12ihipStream_tbENKUlT_T0_E_clISt17integral_constantIbLb0EES11_EEDaSW_SX_EUlSW_E_NS1_11comp_targetILNS1_3genE9ELNS1_11target_archE1100ELNS1_3gpuE3ELNS1_3repE0EEENS1_30default_config_static_selectorELNS0_4arch9wavefront6targetE0EEEvT1_: ; @_ZN7rocprim17ROCPRIM_400000_NS6detail17trampoline_kernelINS0_14default_configENS1_27scan_by_key_config_selectorIixEEZZNS1_16scan_by_key_implILNS1_25lookback_scan_determinismE0ELb1ES3_N6thrust23THRUST_200600_302600_NS6detail15normal_iteratorINS9_10device_ptrIiEEEENSB_INSC_IxEEEESG_xNS9_4plusIvEENS9_8equal_toIvEExEE10hipError_tPvRmT2_T3_T4_T5_mT6_T7_P12ihipStream_tbENKUlT_T0_E_clISt17integral_constantIbLb0EES11_EEDaSW_SX_EUlSW_E_NS1_11comp_targetILNS1_3genE9ELNS1_11target_archE1100ELNS1_3gpuE3ELNS1_3repE0EEENS1_30default_config_static_selectorELNS0_4arch9wavefront6targetE0EEEvT1_
; %bb.0:
	.section	.rodata,"a",@progbits
	.p2align	6, 0x0
	.amdhsa_kernel _ZN7rocprim17ROCPRIM_400000_NS6detail17trampoline_kernelINS0_14default_configENS1_27scan_by_key_config_selectorIixEEZZNS1_16scan_by_key_implILNS1_25lookback_scan_determinismE0ELb1ES3_N6thrust23THRUST_200600_302600_NS6detail15normal_iteratorINS9_10device_ptrIiEEEENSB_INSC_IxEEEESG_xNS9_4plusIvEENS9_8equal_toIvEExEE10hipError_tPvRmT2_T3_T4_T5_mT6_T7_P12ihipStream_tbENKUlT_T0_E_clISt17integral_constantIbLb0EES11_EEDaSW_SX_EUlSW_E_NS1_11comp_targetILNS1_3genE9ELNS1_11target_archE1100ELNS1_3gpuE3ELNS1_3repE0EEENS1_30default_config_static_selectorELNS0_4arch9wavefront6targetE0EEEvT1_
		.amdhsa_group_segment_fixed_size 0
		.amdhsa_private_segment_fixed_size 0
		.amdhsa_kernarg_size 136
		.amdhsa_user_sgpr_count 6
		.amdhsa_user_sgpr_private_segment_buffer 1
		.amdhsa_user_sgpr_dispatch_ptr 0
		.amdhsa_user_sgpr_queue_ptr 0
		.amdhsa_user_sgpr_kernarg_segment_ptr 1
		.amdhsa_user_sgpr_dispatch_id 0
		.amdhsa_user_sgpr_flat_scratch_init 0
		.amdhsa_user_sgpr_private_segment_size 0
		.amdhsa_wavefront_size32 1
		.amdhsa_uses_dynamic_stack 0
		.amdhsa_system_sgpr_private_segment_wavefront_offset 0
		.amdhsa_system_sgpr_workgroup_id_x 1
		.amdhsa_system_sgpr_workgroup_id_y 0
		.amdhsa_system_sgpr_workgroup_id_z 0
		.amdhsa_system_sgpr_workgroup_info 0
		.amdhsa_system_vgpr_workitem_id 0
		.amdhsa_next_free_vgpr 1
		.amdhsa_next_free_sgpr 1
		.amdhsa_reserve_vcc 0
		.amdhsa_reserve_flat_scratch 0
		.amdhsa_float_round_mode_32 0
		.amdhsa_float_round_mode_16_64 0
		.amdhsa_float_denorm_mode_32 3
		.amdhsa_float_denorm_mode_16_64 3
		.amdhsa_dx10_clamp 1
		.amdhsa_ieee_mode 1
		.amdhsa_fp16_overflow 0
		.amdhsa_workgroup_processor_mode 1
		.amdhsa_memory_ordered 1
		.amdhsa_forward_progress 1
		.amdhsa_shared_vgpr_count 0
		.amdhsa_exception_fp_ieee_invalid_op 0
		.amdhsa_exception_fp_denorm_src 0
		.amdhsa_exception_fp_ieee_div_zero 0
		.amdhsa_exception_fp_ieee_overflow 0
		.amdhsa_exception_fp_ieee_underflow 0
		.amdhsa_exception_fp_ieee_inexact 0
		.amdhsa_exception_int_div_zero 0
	.end_amdhsa_kernel
	.section	.text._ZN7rocprim17ROCPRIM_400000_NS6detail17trampoline_kernelINS0_14default_configENS1_27scan_by_key_config_selectorIixEEZZNS1_16scan_by_key_implILNS1_25lookback_scan_determinismE0ELb1ES3_N6thrust23THRUST_200600_302600_NS6detail15normal_iteratorINS9_10device_ptrIiEEEENSB_INSC_IxEEEESG_xNS9_4plusIvEENS9_8equal_toIvEExEE10hipError_tPvRmT2_T3_T4_T5_mT6_T7_P12ihipStream_tbENKUlT_T0_E_clISt17integral_constantIbLb0EES11_EEDaSW_SX_EUlSW_E_NS1_11comp_targetILNS1_3genE9ELNS1_11target_archE1100ELNS1_3gpuE3ELNS1_3repE0EEENS1_30default_config_static_selectorELNS0_4arch9wavefront6targetE0EEEvT1_,"axG",@progbits,_ZN7rocprim17ROCPRIM_400000_NS6detail17trampoline_kernelINS0_14default_configENS1_27scan_by_key_config_selectorIixEEZZNS1_16scan_by_key_implILNS1_25lookback_scan_determinismE0ELb1ES3_N6thrust23THRUST_200600_302600_NS6detail15normal_iteratorINS9_10device_ptrIiEEEENSB_INSC_IxEEEESG_xNS9_4plusIvEENS9_8equal_toIvEExEE10hipError_tPvRmT2_T3_T4_T5_mT6_T7_P12ihipStream_tbENKUlT_T0_E_clISt17integral_constantIbLb0EES11_EEDaSW_SX_EUlSW_E_NS1_11comp_targetILNS1_3genE9ELNS1_11target_archE1100ELNS1_3gpuE3ELNS1_3repE0EEENS1_30default_config_static_selectorELNS0_4arch9wavefront6targetE0EEEvT1_,comdat
.Lfunc_end1578:
	.size	_ZN7rocprim17ROCPRIM_400000_NS6detail17trampoline_kernelINS0_14default_configENS1_27scan_by_key_config_selectorIixEEZZNS1_16scan_by_key_implILNS1_25lookback_scan_determinismE0ELb1ES3_N6thrust23THRUST_200600_302600_NS6detail15normal_iteratorINS9_10device_ptrIiEEEENSB_INSC_IxEEEESG_xNS9_4plusIvEENS9_8equal_toIvEExEE10hipError_tPvRmT2_T3_T4_T5_mT6_T7_P12ihipStream_tbENKUlT_T0_E_clISt17integral_constantIbLb0EES11_EEDaSW_SX_EUlSW_E_NS1_11comp_targetILNS1_3genE9ELNS1_11target_archE1100ELNS1_3gpuE3ELNS1_3repE0EEENS1_30default_config_static_selectorELNS0_4arch9wavefront6targetE0EEEvT1_, .Lfunc_end1578-_ZN7rocprim17ROCPRIM_400000_NS6detail17trampoline_kernelINS0_14default_configENS1_27scan_by_key_config_selectorIixEEZZNS1_16scan_by_key_implILNS1_25lookback_scan_determinismE0ELb1ES3_N6thrust23THRUST_200600_302600_NS6detail15normal_iteratorINS9_10device_ptrIiEEEENSB_INSC_IxEEEESG_xNS9_4plusIvEENS9_8equal_toIvEExEE10hipError_tPvRmT2_T3_T4_T5_mT6_T7_P12ihipStream_tbENKUlT_T0_E_clISt17integral_constantIbLb0EES11_EEDaSW_SX_EUlSW_E_NS1_11comp_targetILNS1_3genE9ELNS1_11target_archE1100ELNS1_3gpuE3ELNS1_3repE0EEENS1_30default_config_static_selectorELNS0_4arch9wavefront6targetE0EEEvT1_
                                        ; -- End function
	.set _ZN7rocprim17ROCPRIM_400000_NS6detail17trampoline_kernelINS0_14default_configENS1_27scan_by_key_config_selectorIixEEZZNS1_16scan_by_key_implILNS1_25lookback_scan_determinismE0ELb1ES3_N6thrust23THRUST_200600_302600_NS6detail15normal_iteratorINS9_10device_ptrIiEEEENSB_INSC_IxEEEESG_xNS9_4plusIvEENS9_8equal_toIvEExEE10hipError_tPvRmT2_T3_T4_T5_mT6_T7_P12ihipStream_tbENKUlT_T0_E_clISt17integral_constantIbLb0EES11_EEDaSW_SX_EUlSW_E_NS1_11comp_targetILNS1_3genE9ELNS1_11target_archE1100ELNS1_3gpuE3ELNS1_3repE0EEENS1_30default_config_static_selectorELNS0_4arch9wavefront6targetE0EEEvT1_.num_vgpr, 0
	.set _ZN7rocprim17ROCPRIM_400000_NS6detail17trampoline_kernelINS0_14default_configENS1_27scan_by_key_config_selectorIixEEZZNS1_16scan_by_key_implILNS1_25lookback_scan_determinismE0ELb1ES3_N6thrust23THRUST_200600_302600_NS6detail15normal_iteratorINS9_10device_ptrIiEEEENSB_INSC_IxEEEESG_xNS9_4plusIvEENS9_8equal_toIvEExEE10hipError_tPvRmT2_T3_T4_T5_mT6_T7_P12ihipStream_tbENKUlT_T0_E_clISt17integral_constantIbLb0EES11_EEDaSW_SX_EUlSW_E_NS1_11comp_targetILNS1_3genE9ELNS1_11target_archE1100ELNS1_3gpuE3ELNS1_3repE0EEENS1_30default_config_static_selectorELNS0_4arch9wavefront6targetE0EEEvT1_.num_agpr, 0
	.set _ZN7rocprim17ROCPRIM_400000_NS6detail17trampoline_kernelINS0_14default_configENS1_27scan_by_key_config_selectorIixEEZZNS1_16scan_by_key_implILNS1_25lookback_scan_determinismE0ELb1ES3_N6thrust23THRUST_200600_302600_NS6detail15normal_iteratorINS9_10device_ptrIiEEEENSB_INSC_IxEEEESG_xNS9_4plusIvEENS9_8equal_toIvEExEE10hipError_tPvRmT2_T3_T4_T5_mT6_T7_P12ihipStream_tbENKUlT_T0_E_clISt17integral_constantIbLb0EES11_EEDaSW_SX_EUlSW_E_NS1_11comp_targetILNS1_3genE9ELNS1_11target_archE1100ELNS1_3gpuE3ELNS1_3repE0EEENS1_30default_config_static_selectorELNS0_4arch9wavefront6targetE0EEEvT1_.numbered_sgpr, 0
	.set _ZN7rocprim17ROCPRIM_400000_NS6detail17trampoline_kernelINS0_14default_configENS1_27scan_by_key_config_selectorIixEEZZNS1_16scan_by_key_implILNS1_25lookback_scan_determinismE0ELb1ES3_N6thrust23THRUST_200600_302600_NS6detail15normal_iteratorINS9_10device_ptrIiEEEENSB_INSC_IxEEEESG_xNS9_4plusIvEENS9_8equal_toIvEExEE10hipError_tPvRmT2_T3_T4_T5_mT6_T7_P12ihipStream_tbENKUlT_T0_E_clISt17integral_constantIbLb0EES11_EEDaSW_SX_EUlSW_E_NS1_11comp_targetILNS1_3genE9ELNS1_11target_archE1100ELNS1_3gpuE3ELNS1_3repE0EEENS1_30default_config_static_selectorELNS0_4arch9wavefront6targetE0EEEvT1_.num_named_barrier, 0
	.set _ZN7rocprim17ROCPRIM_400000_NS6detail17trampoline_kernelINS0_14default_configENS1_27scan_by_key_config_selectorIixEEZZNS1_16scan_by_key_implILNS1_25lookback_scan_determinismE0ELb1ES3_N6thrust23THRUST_200600_302600_NS6detail15normal_iteratorINS9_10device_ptrIiEEEENSB_INSC_IxEEEESG_xNS9_4plusIvEENS9_8equal_toIvEExEE10hipError_tPvRmT2_T3_T4_T5_mT6_T7_P12ihipStream_tbENKUlT_T0_E_clISt17integral_constantIbLb0EES11_EEDaSW_SX_EUlSW_E_NS1_11comp_targetILNS1_3genE9ELNS1_11target_archE1100ELNS1_3gpuE3ELNS1_3repE0EEENS1_30default_config_static_selectorELNS0_4arch9wavefront6targetE0EEEvT1_.private_seg_size, 0
	.set _ZN7rocprim17ROCPRIM_400000_NS6detail17trampoline_kernelINS0_14default_configENS1_27scan_by_key_config_selectorIixEEZZNS1_16scan_by_key_implILNS1_25lookback_scan_determinismE0ELb1ES3_N6thrust23THRUST_200600_302600_NS6detail15normal_iteratorINS9_10device_ptrIiEEEENSB_INSC_IxEEEESG_xNS9_4plusIvEENS9_8equal_toIvEExEE10hipError_tPvRmT2_T3_T4_T5_mT6_T7_P12ihipStream_tbENKUlT_T0_E_clISt17integral_constantIbLb0EES11_EEDaSW_SX_EUlSW_E_NS1_11comp_targetILNS1_3genE9ELNS1_11target_archE1100ELNS1_3gpuE3ELNS1_3repE0EEENS1_30default_config_static_selectorELNS0_4arch9wavefront6targetE0EEEvT1_.uses_vcc, 0
	.set _ZN7rocprim17ROCPRIM_400000_NS6detail17trampoline_kernelINS0_14default_configENS1_27scan_by_key_config_selectorIixEEZZNS1_16scan_by_key_implILNS1_25lookback_scan_determinismE0ELb1ES3_N6thrust23THRUST_200600_302600_NS6detail15normal_iteratorINS9_10device_ptrIiEEEENSB_INSC_IxEEEESG_xNS9_4plusIvEENS9_8equal_toIvEExEE10hipError_tPvRmT2_T3_T4_T5_mT6_T7_P12ihipStream_tbENKUlT_T0_E_clISt17integral_constantIbLb0EES11_EEDaSW_SX_EUlSW_E_NS1_11comp_targetILNS1_3genE9ELNS1_11target_archE1100ELNS1_3gpuE3ELNS1_3repE0EEENS1_30default_config_static_selectorELNS0_4arch9wavefront6targetE0EEEvT1_.uses_flat_scratch, 0
	.set _ZN7rocprim17ROCPRIM_400000_NS6detail17trampoline_kernelINS0_14default_configENS1_27scan_by_key_config_selectorIixEEZZNS1_16scan_by_key_implILNS1_25lookback_scan_determinismE0ELb1ES3_N6thrust23THRUST_200600_302600_NS6detail15normal_iteratorINS9_10device_ptrIiEEEENSB_INSC_IxEEEESG_xNS9_4plusIvEENS9_8equal_toIvEExEE10hipError_tPvRmT2_T3_T4_T5_mT6_T7_P12ihipStream_tbENKUlT_T0_E_clISt17integral_constantIbLb0EES11_EEDaSW_SX_EUlSW_E_NS1_11comp_targetILNS1_3genE9ELNS1_11target_archE1100ELNS1_3gpuE3ELNS1_3repE0EEENS1_30default_config_static_selectorELNS0_4arch9wavefront6targetE0EEEvT1_.has_dyn_sized_stack, 0
	.set _ZN7rocprim17ROCPRIM_400000_NS6detail17trampoline_kernelINS0_14default_configENS1_27scan_by_key_config_selectorIixEEZZNS1_16scan_by_key_implILNS1_25lookback_scan_determinismE0ELb1ES3_N6thrust23THRUST_200600_302600_NS6detail15normal_iteratorINS9_10device_ptrIiEEEENSB_INSC_IxEEEESG_xNS9_4plusIvEENS9_8equal_toIvEExEE10hipError_tPvRmT2_T3_T4_T5_mT6_T7_P12ihipStream_tbENKUlT_T0_E_clISt17integral_constantIbLb0EES11_EEDaSW_SX_EUlSW_E_NS1_11comp_targetILNS1_3genE9ELNS1_11target_archE1100ELNS1_3gpuE3ELNS1_3repE0EEENS1_30default_config_static_selectorELNS0_4arch9wavefront6targetE0EEEvT1_.has_recursion, 0
	.set _ZN7rocprim17ROCPRIM_400000_NS6detail17trampoline_kernelINS0_14default_configENS1_27scan_by_key_config_selectorIixEEZZNS1_16scan_by_key_implILNS1_25lookback_scan_determinismE0ELb1ES3_N6thrust23THRUST_200600_302600_NS6detail15normal_iteratorINS9_10device_ptrIiEEEENSB_INSC_IxEEEESG_xNS9_4plusIvEENS9_8equal_toIvEExEE10hipError_tPvRmT2_T3_T4_T5_mT6_T7_P12ihipStream_tbENKUlT_T0_E_clISt17integral_constantIbLb0EES11_EEDaSW_SX_EUlSW_E_NS1_11comp_targetILNS1_3genE9ELNS1_11target_archE1100ELNS1_3gpuE3ELNS1_3repE0EEENS1_30default_config_static_selectorELNS0_4arch9wavefront6targetE0EEEvT1_.has_indirect_call, 0
	.section	.AMDGPU.csdata,"",@progbits
; Kernel info:
; codeLenInByte = 0
; TotalNumSgprs: 0
; NumVgprs: 0
; ScratchSize: 0
; MemoryBound: 0
; FloatMode: 240
; IeeeMode: 1
; LDSByteSize: 0 bytes/workgroup (compile time only)
; SGPRBlocks: 0
; VGPRBlocks: 0
; NumSGPRsForWavesPerEU: 1
; NumVGPRsForWavesPerEU: 1
; Occupancy: 16
; WaveLimiterHint : 0
; COMPUTE_PGM_RSRC2:SCRATCH_EN: 0
; COMPUTE_PGM_RSRC2:USER_SGPR: 6
; COMPUTE_PGM_RSRC2:TRAP_HANDLER: 0
; COMPUTE_PGM_RSRC2:TGID_X_EN: 1
; COMPUTE_PGM_RSRC2:TGID_Y_EN: 0
; COMPUTE_PGM_RSRC2:TGID_Z_EN: 0
; COMPUTE_PGM_RSRC2:TIDIG_COMP_CNT: 0
	.section	.text._ZN7rocprim17ROCPRIM_400000_NS6detail17trampoline_kernelINS0_14default_configENS1_27scan_by_key_config_selectorIixEEZZNS1_16scan_by_key_implILNS1_25lookback_scan_determinismE0ELb1ES3_N6thrust23THRUST_200600_302600_NS6detail15normal_iteratorINS9_10device_ptrIiEEEENSB_INSC_IxEEEESG_xNS9_4plusIvEENS9_8equal_toIvEExEE10hipError_tPvRmT2_T3_T4_T5_mT6_T7_P12ihipStream_tbENKUlT_T0_E_clISt17integral_constantIbLb0EES11_EEDaSW_SX_EUlSW_E_NS1_11comp_targetILNS1_3genE8ELNS1_11target_archE1030ELNS1_3gpuE2ELNS1_3repE0EEENS1_30default_config_static_selectorELNS0_4arch9wavefront6targetE0EEEvT1_,"axG",@progbits,_ZN7rocprim17ROCPRIM_400000_NS6detail17trampoline_kernelINS0_14default_configENS1_27scan_by_key_config_selectorIixEEZZNS1_16scan_by_key_implILNS1_25lookback_scan_determinismE0ELb1ES3_N6thrust23THRUST_200600_302600_NS6detail15normal_iteratorINS9_10device_ptrIiEEEENSB_INSC_IxEEEESG_xNS9_4plusIvEENS9_8equal_toIvEExEE10hipError_tPvRmT2_T3_T4_T5_mT6_T7_P12ihipStream_tbENKUlT_T0_E_clISt17integral_constantIbLb0EES11_EEDaSW_SX_EUlSW_E_NS1_11comp_targetILNS1_3genE8ELNS1_11target_archE1030ELNS1_3gpuE2ELNS1_3repE0EEENS1_30default_config_static_selectorELNS0_4arch9wavefront6targetE0EEEvT1_,comdat
	.protected	_ZN7rocprim17ROCPRIM_400000_NS6detail17trampoline_kernelINS0_14default_configENS1_27scan_by_key_config_selectorIixEEZZNS1_16scan_by_key_implILNS1_25lookback_scan_determinismE0ELb1ES3_N6thrust23THRUST_200600_302600_NS6detail15normal_iteratorINS9_10device_ptrIiEEEENSB_INSC_IxEEEESG_xNS9_4plusIvEENS9_8equal_toIvEExEE10hipError_tPvRmT2_T3_T4_T5_mT6_T7_P12ihipStream_tbENKUlT_T0_E_clISt17integral_constantIbLb0EES11_EEDaSW_SX_EUlSW_E_NS1_11comp_targetILNS1_3genE8ELNS1_11target_archE1030ELNS1_3gpuE2ELNS1_3repE0EEENS1_30default_config_static_selectorELNS0_4arch9wavefront6targetE0EEEvT1_ ; -- Begin function _ZN7rocprim17ROCPRIM_400000_NS6detail17trampoline_kernelINS0_14default_configENS1_27scan_by_key_config_selectorIixEEZZNS1_16scan_by_key_implILNS1_25lookback_scan_determinismE0ELb1ES3_N6thrust23THRUST_200600_302600_NS6detail15normal_iteratorINS9_10device_ptrIiEEEENSB_INSC_IxEEEESG_xNS9_4plusIvEENS9_8equal_toIvEExEE10hipError_tPvRmT2_T3_T4_T5_mT6_T7_P12ihipStream_tbENKUlT_T0_E_clISt17integral_constantIbLb0EES11_EEDaSW_SX_EUlSW_E_NS1_11comp_targetILNS1_3genE8ELNS1_11target_archE1030ELNS1_3gpuE2ELNS1_3repE0EEENS1_30default_config_static_selectorELNS0_4arch9wavefront6targetE0EEEvT1_
	.globl	_ZN7rocprim17ROCPRIM_400000_NS6detail17trampoline_kernelINS0_14default_configENS1_27scan_by_key_config_selectorIixEEZZNS1_16scan_by_key_implILNS1_25lookback_scan_determinismE0ELb1ES3_N6thrust23THRUST_200600_302600_NS6detail15normal_iteratorINS9_10device_ptrIiEEEENSB_INSC_IxEEEESG_xNS9_4plusIvEENS9_8equal_toIvEExEE10hipError_tPvRmT2_T3_T4_T5_mT6_T7_P12ihipStream_tbENKUlT_T0_E_clISt17integral_constantIbLb0EES11_EEDaSW_SX_EUlSW_E_NS1_11comp_targetILNS1_3genE8ELNS1_11target_archE1030ELNS1_3gpuE2ELNS1_3repE0EEENS1_30default_config_static_selectorELNS0_4arch9wavefront6targetE0EEEvT1_
	.p2align	8
	.type	_ZN7rocprim17ROCPRIM_400000_NS6detail17trampoline_kernelINS0_14default_configENS1_27scan_by_key_config_selectorIixEEZZNS1_16scan_by_key_implILNS1_25lookback_scan_determinismE0ELb1ES3_N6thrust23THRUST_200600_302600_NS6detail15normal_iteratorINS9_10device_ptrIiEEEENSB_INSC_IxEEEESG_xNS9_4plusIvEENS9_8equal_toIvEExEE10hipError_tPvRmT2_T3_T4_T5_mT6_T7_P12ihipStream_tbENKUlT_T0_E_clISt17integral_constantIbLb0EES11_EEDaSW_SX_EUlSW_E_NS1_11comp_targetILNS1_3genE8ELNS1_11target_archE1030ELNS1_3gpuE2ELNS1_3repE0EEENS1_30default_config_static_selectorELNS0_4arch9wavefront6targetE0EEEvT1_,@function
_ZN7rocprim17ROCPRIM_400000_NS6detail17trampoline_kernelINS0_14default_configENS1_27scan_by_key_config_selectorIixEEZZNS1_16scan_by_key_implILNS1_25lookback_scan_determinismE0ELb1ES3_N6thrust23THRUST_200600_302600_NS6detail15normal_iteratorINS9_10device_ptrIiEEEENSB_INSC_IxEEEESG_xNS9_4plusIvEENS9_8equal_toIvEExEE10hipError_tPvRmT2_T3_T4_T5_mT6_T7_P12ihipStream_tbENKUlT_T0_E_clISt17integral_constantIbLb0EES11_EEDaSW_SX_EUlSW_E_NS1_11comp_targetILNS1_3genE8ELNS1_11target_archE1030ELNS1_3gpuE2ELNS1_3repE0EEENS1_30default_config_static_selectorELNS0_4arch9wavefront6targetE0EEEvT1_: ; @_ZN7rocprim17ROCPRIM_400000_NS6detail17trampoline_kernelINS0_14default_configENS1_27scan_by_key_config_selectorIixEEZZNS1_16scan_by_key_implILNS1_25lookback_scan_determinismE0ELb1ES3_N6thrust23THRUST_200600_302600_NS6detail15normal_iteratorINS9_10device_ptrIiEEEENSB_INSC_IxEEEESG_xNS9_4plusIvEENS9_8equal_toIvEExEE10hipError_tPvRmT2_T3_T4_T5_mT6_T7_P12ihipStream_tbENKUlT_T0_E_clISt17integral_constantIbLb0EES11_EEDaSW_SX_EUlSW_E_NS1_11comp_targetILNS1_3genE8ELNS1_11target_archE1030ELNS1_3gpuE2ELNS1_3repE0EEENS1_30default_config_static_selectorELNS0_4arch9wavefront6targetE0EEEvT1_
; %bb.0:
	s_clause 0x5
	s_load_dwordx8 s[8:15], s[4:5], 0x0
	s_load_dwordx2 s[28:29], s[4:5], 0x50
	s_load_dword s7, s[4:5], 0x58
	s_load_dwordx2 s[30:31], s[4:5], 0x20
	s_load_dwordx8 s[16:23], s[4:5], 0x30
	s_load_dwordx4 s[24:27], s[4:5], 0x60
	s_mov_b32 s1, 0
	s_mul_i32 s0, s6, 0x300
	s_waitcnt lgkmcnt(0)
	s_barrier
	buffer_gl0_inv
	s_lshl_b64 s[2:3], s[10:11], 2
	s_add_u32 s8, s8, s2
	s_addc_u32 s9, s9, s3
	s_lshl_b64 s[4:5], s[10:11], 3
	s_mul_i32 s23, s29, s7
	s_mul_hi_u32 s10, s28, s7
	s_add_u32 s12, s12, s4
	s_addc_u32 s13, s13, s5
	s_lshl_b64 s[2:3], s[0:1], 2
	s_add_i32 s23, s10, s23
	s_add_u32 s10, s8, s2
	s_addc_u32 s11, s9, s3
	s_lshl_b64 s[8:9], s[0:1], 3
	s_mul_i32 s0, s28, s7
	s_add_u32 s3, s12, s8
	s_addc_u32 s13, s13, s9
	s_add_u32 s34, s0, s6
	s_addc_u32 s35, s23, 0
	s_add_u32 s24, s24, -1
	s_addc_u32 s25, s25, -1
	s_mul_i32 s7, s24, 0xfffffd00
	v_cmp_ge_u64_e64 s12, s[34:35], s[24:25]
	s_and_b32 vcc_lo, exec_lo, s12
	s_cbranch_vccz .LBB1579_20
; %bb.1:
	v_mov_b32_e32 v1, s10
	v_mov_b32_e32 v2, s11
	s_add_i32 s23, s7, s22
	v_cmp_gt_u32_e64 s1, s23, v0
	flat_load_dword v1, v[1:2]
	s_waitcnt vmcnt(0) lgkmcnt(0)
	v_mov_b32_e32 v2, v1
	s_and_saveexec_b32 s0, s1
	s_cbranch_execz .LBB1579_3
; %bb.2:
	v_lshlrev_b32_e32 v2, 2, v0
	v_add_co_u32 v2, s2, s10, v2
	v_add_co_ci_u32_e64 v3, null, s11, 0, s2
	flat_load_dword v2, v[2:3]
.LBB1579_3:
	s_or_b32 exec_lo, exec_lo, s0
	v_or_b32_e32 v8, 0x100, v0
	v_mov_b32_e32 v3, v1
	v_cmp_gt_u32_e64 s0, s23, v8
	s_and_saveexec_b32 s2, s0
	s_cbranch_execz .LBB1579_5
; %bb.4:
	v_lshlrev_b32_e32 v3, 2, v0
	v_add_co_u32 v3, s24, s10, v3
	v_add_co_ci_u32_e64 v4, null, s11, 0, s24
	flat_load_dword v3, v[3:4] offset:1024
.LBB1579_5:
	s_or_b32 exec_lo, exec_lo, s2
	v_or_b32_e32 v7, 0x200, v0
	v_cmp_gt_u32_e32 vcc_lo, s23, v7
	s_and_saveexec_b32 s2, vcc_lo
	s_cbranch_execz .LBB1579_7
; %bb.6:
	v_lshlrev_b32_e32 v1, 2, v7
	v_add_co_u32 v4, s24, s10, v1
	v_add_co_ci_u32_e64 v5, null, s11, 0, s24
	flat_load_dword v1, v[4:5]
.LBB1579_7:
	s_or_b32 exec_lo, exec_lo, s2
	v_mov_b32_e32 v4, s10
	v_lshlrev_b32_e32 v9, 2, v0
	v_mov_b32_e32 v5, s11
	s_mov_b32 s24, exec_lo
	s_waitcnt vmcnt(0) lgkmcnt(0)
	ds_write2st64_b32 v9, v2, v3 offset1:4
	ds_write_b32 v9, v1 offset:2048
	s_waitcnt lgkmcnt(0)
	s_barrier
	buffer_gl0_inv
	flat_load_dword v14, v[4:5]
	v_lshl_add_u32 v1, v0, 3, v9
	ds_read_b32 v15, v1
	ds_read2_b32 v[11:12], v1 offset0:1 offset1:2
	s_waitcnt lgkmcnt(1)
	ds_write_b32 v9, v15 offset:4096
	s_waitcnt vmcnt(0) lgkmcnt(0)
	s_barrier
	buffer_gl0_inv
	v_cmpx_ne_u32_e32 0xff, v0
; %bb.8:
	ds_read_b32 v14, v9 offset:4100
; %bb.9:
	s_or_b32 exec_lo, exec_lo, s24
	v_mov_b32_e32 v1, 0
	s_waitcnt lgkmcnt(0)
	s_barrier
	buffer_gl0_inv
	v_mov_b32_e32 v2, v1
	v_mov_b32_e32 v3, v1
	;; [unrolled: 1-line block ×5, first 2 shown]
	s_and_saveexec_b32 s2, s1
	s_cbranch_execnz .LBB1579_136
; %bb.10:
	s_or_b32 exec_lo, exec_lo, s2
	s_and_saveexec_b32 s1, s0
	s_cbranch_execnz .LBB1579_137
.LBB1579_11:
	s_or_b32 exec_lo, exec_lo, s1
	v_mul_u32_u24_e32 v16, 3, v0
	s_and_saveexec_b32 s0, vcc_lo
	s_cbranch_execz .LBB1579_13
.LBB1579_12:
	v_lshlrev_b32_e32 v5, 3, v7
	v_add_co_u32 v5, s1, s3, v5
	v_add_co_ci_u32_e64 v6, null, s13, 0, s1
	flat_load_dwordx2 v[5:6], v[5:6]
.LBB1579_13:
	s_or_b32 exec_lo, exec_lo, s0
	v_lshl_add_u32 v18, v0, 2, v9
	v_mov_b32_e32 v9, 0
	v_mov_b32_e32 v7, 0
	;; [unrolled: 1-line block ×4, first 2 shown]
	s_waitcnt vmcnt(0) lgkmcnt(0)
	ds_write2st64_b64 v18, v[1:2], v[3:4] offset1:4
	ds_write_b64 v18, v[5:6] offset:4096
	v_mov_b32_e32 v5, 0
	v_mov_b32_e32 v1, 0
	;; [unrolled: 1-line block ×8, first 2 shown]
	s_mov_b32 s24, 0
	s_mov_b32 s1, 0
	s_mov_b32 s25, exec_lo
	s_waitcnt lgkmcnt(0)
	s_barrier
	buffer_gl0_inv
                                        ; implicit-def: $sgpr2
	v_cmpx_gt_u32_e64 s23, v16
	s_cbranch_execz .LBB1579_19
; %bb.14:
	v_lshlrev_b32_e32 v1, 4, v0
	v_cmp_ne_u32_e32 vcc_lo, v15, v11
	v_mov_b32_e32 v9, 0
	v_mov_b32_e32 v7, 0
	v_add_nc_u32_e32 v4, 1, v16
	v_add_nc_u32_e32 v1, v18, v1
	v_mov_b32_e32 v10, 0
	v_mov_b32_e32 v8, 0
	;; [unrolled: 1-line block ×3, first 2 shown]
	s_mov_b32 s33, exec_lo
	ds_read_b64 v[2:3], v1
                                        ; implicit-def: $sgpr2
	s_waitcnt lgkmcnt(0)
	v_cndmask_b32_e64 v6, v3, s31, vcc_lo
	v_cndmask_b32_e64 v5, v2, s30, vcc_lo
	v_cmpx_gt_u32_e64 s23, v4
	s_cbranch_execz .LBB1579_18
; %bb.15:
	ds_read2_b64 v[1:4], v1 offset0:1 offset1:2
	v_cmp_ne_u32_e64 s0, v11, v12
	v_add_nc_u32_e32 v11, 2, v16
	v_mov_b32_e32 v7, 0
	v_mov_b32_e32 v8, 0
                                        ; implicit-def: $sgpr2
	v_cmp_gt_u32_e64 s1, s23, v11
	s_mov_b32 s23, 0
	s_waitcnt lgkmcnt(0)
	v_cndmask_b32_e64 v10, v2, s31, s0
	v_cndmask_b32_e64 v9, v1, s30, s0
	s_and_saveexec_b32 s34, s1
	s_xor_b32 s1, exec_lo, s34
; %bb.16:
	v_cmp_ne_u32_e64 s2, v12, v14
	s_mov_b32 s23, exec_lo
	v_cndmask_b32_e64 v8, v4, s31, s2
	v_cndmask_b32_e64 v7, v3, s30, s2
; %bb.17:
	s_or_b32 exec_lo, exec_lo, s1
	v_cndmask_b32_e64 v13, 0, 1, s0
	s_and_b32 s1, s23, exec_lo
.LBB1579_18:
	s_or_b32 exec_lo, exec_lo, s33
	v_cndmask_b32_e64 v3, 0, 1, vcc_lo
	v_mov_b32_e32 v1, v9
	v_mov_b32_e32 v19, v13
	v_mov_b32_e32 v2, v10
	s_and_b32 s1, s1, exec_lo
	v_mov_b32_e32 v17, v3
.LBB1579_19:
	s_or_b32 exec_lo, exec_lo, s25
	s_and_b32 vcc_lo, exec_lo, s24
	s_cbranch_vccnz .LBB1579_21
	s_branch .LBB1579_24
.LBB1579_20:
                                        ; implicit-def: $sgpr2
                                        ; implicit-def: $vgpr5_vgpr6
                                        ; implicit-def: $vgpr13
                                        ; implicit-def: $vgpr9_vgpr10
                                        ; implicit-def: $vgpr3
                                        ; implicit-def: $vgpr7_vgpr8
                                        ; implicit-def: $vgpr19
                                        ; implicit-def: $vgpr1_vgpr2
                                        ; implicit-def: $vgpr17
	s_cbranch_execz .LBB1579_24
.LBB1579_21:
	v_lshlrev_b32_e32 v3, 2, v0
	v_add_co_u32 v1, s0, s10, v3
	v_add_co_ci_u32_e64 v2, null, s11, 0, s0
	v_add_co_u32 v4, vcc_lo, 0x800, v1
	v_add_co_ci_u32_e64 v5, null, 0, v2, vcc_lo
	s_clause 0x2
	flat_load_dword v6, v[1:2]
	flat_load_dword v7, v[1:2] offset:1024
	flat_load_dword v4, v[4:5]
	v_add_co_u32 v1, s0, 0x800, s10
	v_add_co_ci_u32_e64 v2, null, 0, s11, s0
	s_mov_b32 s0, exec_lo
	s_waitcnt vmcnt(1) lgkmcnt(1)
	ds_write2st64_b32 v3, v6, v7 offset1:4
	s_waitcnt vmcnt(0) lgkmcnt(1)
	ds_write_b32 v3, v4 offset:2048
	s_waitcnt lgkmcnt(0)
	s_barrier
	buffer_gl0_inv
	flat_load_dword v4, v[1:2] offset:1024
	v_lshl_add_u32 v1, v0, 3, v3
	ds_read_b32 v5, v1
	ds_read2_b32 v[1:2], v1 offset0:1 offset1:2
	s_waitcnt lgkmcnt(1)
	ds_write_b32 v3, v5 offset:4096
	s_waitcnt vmcnt(0) lgkmcnt(0)
	s_barrier
	buffer_gl0_inv
	v_cmpx_ne_u32_e32 0xff, v0
; %bb.22:
	ds_read_b32 v4, v3 offset:4100
; %bb.23:
	s_or_b32 exec_lo, exec_lo, s0
	v_lshlrev_b32_e32 v6, 3, v0
	s_waitcnt lgkmcnt(0)
	s_barrier
	buffer_gl0_inv
	v_lshl_add_u32 v3, v0, 2, v3
	v_add_co_u32 v6, s0, s3, v6
	v_add_co_ci_u32_e64 v7, null, s13, 0, s0
	v_lshl_add_u32 v12, v0, 4, v3
	v_add_co_u32 v8, vcc_lo, 0x800, v6
	v_add_co_ci_u32_e64 v9, null, 0, v7, vcc_lo
	v_add_co_u32 v10, vcc_lo, 0x1000, v6
	v_add_co_ci_u32_e64 v11, null, 0, v7, vcc_lo
	s_clause 0x2
	flat_load_dwordx2 v[6:7], v[6:7]
	flat_load_dwordx2 v[8:9], v[8:9]
	;; [unrolled: 1-line block ×3, first 2 shown]
	v_cmp_ne_u32_e32 vcc_lo, v1, v2
	v_cmp_ne_u32_e64 s0, v5, v1
	v_cmp_ne_u32_e64 s2, v2, v4
	s_mov_b32 s1, -1
	s_waitcnt vmcnt(1) lgkmcnt(1)
	ds_write2st64_b64 v3, v[6:7], v[8:9] offset1:4
	s_waitcnt vmcnt(0) lgkmcnt(1)
	ds_write_b64 v3, v[10:11] offset:4096
	s_waitcnt lgkmcnt(0)
	s_barrier
	buffer_gl0_inv
	ds_read2_b64 v[7:10], v12 offset1:1
	ds_read_b64 v[11:12], v12 offset:16
	v_cndmask_b32_e64 v13, 0, 1, vcc_lo
	v_cndmask_b32_e64 v3, 0, 1, s0
	v_mov_b32_e32 v19, v13
	v_mov_b32_e32 v17, v3
	s_waitcnt lgkmcnt(1)
	v_cndmask_b32_e64 v9, v9, s30, vcc_lo
	v_cndmask_b32_e64 v10, v10, s31, vcc_lo
	v_cndmask_b32_e64 v6, v8, s31, s0
	v_cndmask_b32_e64 v5, v7, s30, s0
	s_waitcnt lgkmcnt(0)
	v_cndmask_b32_e64 v8, v12, s31, s2
	v_mov_b32_e32 v1, v9
	v_cndmask_b32_e64 v7, v11, s30, s2
	v_mov_b32_e32 v2, v10
.LBB1579_24:
	v_mov_b32_e32 v20, 0
	s_and_saveexec_b32 s0, s1
; %bb.25:
	v_mov_b32_e32 v1, v9
	v_cndmask_b32_e64 v20, 0, 1, s2
	v_mov_b32_e32 v17, v3
	v_mov_b32_e32 v2, v10
	;; [unrolled: 1-line block ×3, first 2 shown]
; %bb.26:
	s_or_b32 exec_lo, exec_lo, s0
	v_and_b32_e32 v22, 1, v17
	v_or_b32_e32 v21, v20, v19
	v_mbcnt_lo_u32_b32 v18, -1, 0
	s_cmp_lg_u32 s6, 0
	v_cmp_eq_u16_e32 vcc_lo, 0, v20
	v_cmp_eq_u32_e64 s1, 1, v22
	s_barrier
	buffer_gl0_inv
	s_cbranch_scc0 .LBB1579_84
; %bb.27:
	v_mov_b32_e32 v3, 0
	v_cmp_eq_u16_sdwa s0, v19, v3 src0_sel:BYTE_0 src1_sel:DWORD
	v_cmp_ne_u16_sdwa s3, v21, v3 src0_sel:BYTE_0 src1_sel:DWORD
	v_cndmask_b32_e64 v9, 0, v5, s0
	v_cndmask_b32_e64 v4, 0, v6, s0
	s_or_b32 s1, s3, s1
	v_cndmask_b32_e64 v11, 0, 1, s1
	v_add_co_u32 v9, s2, v9, v1
	v_add_co_ci_u32_e64 v3, null, v4, v2, s2
	v_cndmask_b32_e64 v4, 0, 1, s1
	v_cndmask_b32_e32 v9, 0, v9, vcc_lo
	s_mov_b32 s2, exec_lo
	v_cndmask_b32_e32 v3, 0, v3, vcc_lo
	v_mov_b32_dpp v14, v4 row_shr:1 row_mask:0xf bank_mask:0xf
	v_add_co_u32 v9, vcc_lo, v9, v7
	v_add_co_ci_u32_e64 v10, null, v3, v8, vcc_lo
	v_and_b32_e32 v3, 15, v18
	v_mov_b32_dpp v12, v9 row_shr:1 row_mask:0xf bank_mask:0xf
	v_mov_b32_dpp v13, v10 row_shr:1 row_mask:0xf bank_mask:0xf
	v_cmpx_ne_u32_e32 0, v3
	s_cbranch_execz .LBB1579_29
; %bb.28:
	v_and_b32_e32 v4, 1, v14
	v_cndmask_b32_e64 v12, v12, 0, s1
	v_cndmask_b32_e64 v13, v13, 0, s1
	v_or_b32_e32 v11, v4, v11
	v_add_co_u32 v9, vcc_lo, v12, v9
	v_add_co_ci_u32_e64 v10, null, v13, v10, vcc_lo
	v_and_b32_e32 v4, 0xffff, v11
.LBB1579_29:
	s_or_b32 exec_lo, exec_lo, s2
	v_mov_b32_dpp v12, v9 row_shr:2 row_mask:0xf bank_mask:0xf
	v_mov_b32_dpp v13, v10 row_shr:2 row_mask:0xf bank_mask:0xf
	v_mov_b32_dpp v14, v4 row_shr:2 row_mask:0xf bank_mask:0xf
	s_mov_b32 s3, exec_lo
	v_cmpx_lt_u32_e32 1, v3
	s_cbranch_execz .LBB1579_31
; %bb.30:
	v_cmp_eq_u16_e32 vcc_lo, 0, v11
	v_and_b32_e32 v4, 1, v11
	v_and_b32_e32 v11, 1, v14
	v_cndmask_b32_e32 v13, 0, v13, vcc_lo
	v_cndmask_b32_e32 v12, 0, v12, vcc_lo
	v_cmp_eq_u32_e32 vcc_lo, 1, v4
	v_cmp_eq_u32_e64 s1, 1, v11
	v_add_co_u32 v9, s2, v12, v9
	s_or_b32 s1, vcc_lo, s1
	v_add_co_ci_u32_e64 v10, null, v13, v10, s2
	v_cndmask_b32_e64 v11, 0, 1, s1
	v_cndmask_b32_e64 v4, 0, 1, s1
.LBB1579_31:
	s_or_b32 exec_lo, exec_lo, s3
	v_mov_b32_dpp v12, v9 row_shr:4 row_mask:0xf bank_mask:0xf
	v_mov_b32_dpp v13, v10 row_shr:4 row_mask:0xf bank_mask:0xf
	v_mov_b32_dpp v14, v4 row_shr:4 row_mask:0xf bank_mask:0xf
	s_mov_b32 s3, exec_lo
	v_cmpx_lt_u32_e32 3, v3
	s_cbranch_execz .LBB1579_33
; %bb.32:
	v_cmp_eq_u16_e32 vcc_lo, 0, v11
	v_and_b32_e32 v4, 1, v11
	v_and_b32_e32 v11, 1, v14
	v_cndmask_b32_e32 v13, 0, v13, vcc_lo
	v_cndmask_b32_e32 v12, 0, v12, vcc_lo
	v_cmp_eq_u32_e32 vcc_lo, 1, v4
	v_cmp_eq_u32_e64 s1, 1, v11
	v_add_co_u32 v9, s2, v12, v9
	s_or_b32 s1, vcc_lo, s1
	v_add_co_ci_u32_e64 v10, null, v13, v10, s2
	v_cndmask_b32_e64 v11, 0, 1, s1
	v_cndmask_b32_e64 v4, 0, 1, s1
.LBB1579_33:
	;; [unrolled: 21-line block ×3, first 2 shown]
	s_or_b32 exec_lo, exec_lo, s3
	ds_swizzle_b32 v3, v9 offset:swizzle(BROADCAST,32,15)
	ds_swizzle_b32 v12, v10 offset:swizzle(BROADCAST,32,15)
	;; [unrolled: 1-line block ×3, first 2 shown]
	v_and_b32_e32 v13, 16, v18
	s_mov_b32 s3, exec_lo
	v_cmpx_ne_u32_e32 0, v13
	s_cbranch_execz .LBB1579_37
; %bb.36:
	v_cmp_eq_u16_e32 vcc_lo, 0, v11
	v_and_b32_e32 v11, 1, v11
	s_waitcnt lgkmcnt(0)
	v_and_b32_e32 v4, 1, v4
	v_cndmask_b32_e32 v12, 0, v12, vcc_lo
	v_cndmask_b32_e32 v3, 0, v3, vcc_lo
	v_cmp_eq_u32_e32 vcc_lo, 1, v11
	v_cmp_eq_u32_e64 s1, 1, v4
	v_add_co_u32 v9, s2, v3, v9
	s_or_b32 s1, vcc_lo, s1
	v_add_co_ci_u32_e64 v10, null, v12, v10, s2
	v_cndmask_b32_e64 v11, 0, 1, s1
.LBB1579_37:
	s_or_b32 exec_lo, exec_lo, s3
	s_waitcnt lgkmcnt(0)
	v_lshrrev_b32_e32 v4, 5, v0
	v_or_b32_e32 v3, 31, v0
	s_mov_b32 s1, exec_lo
	v_lshlrev_b32_e32 v12, 4, v4
	v_cmpx_eq_u32_e64 v0, v3
	s_cbranch_execz .LBB1579_39
; %bb.38:
	ds_write_b64 v12, v[9:10]
	ds_write_b8 v12, v11 offset:8
.LBB1579_39:
	s_or_b32 exec_lo, exec_lo, s1
	s_mov_b32 s3, exec_lo
	s_waitcnt lgkmcnt(0)
	s_barrier
	buffer_gl0_inv
	v_cmpx_gt_u32_e32 8, v0
	s_cbranch_execz .LBB1579_47
; %bb.40:
	v_lshlrev_b32_e32 v13, 4, v0
	v_and_b32_e32 v14, 7, v18
	s_mov_b32 s1, exec_lo
	ds_read_b64 v[3:4], v13
	ds_read_b32 v24, v13 offset:8
	s_waitcnt lgkmcnt(1)
	v_mov_b32_dpp v25, v3 row_shr:1 row_mask:0xf bank_mask:0xf
	v_mov_b32_dpp v26, v4 row_shr:1 row_mask:0xf bank_mask:0xf
	s_waitcnt lgkmcnt(0)
	v_and_b32_e32 v16, 0xffffff00, v24
	v_mov_b32_dpp v27, v24 row_shr:1 row_mask:0xf bank_mask:0xf
	v_mov_b32_e32 v23, v24
	v_mov_b32_e32 v15, v24
	v_cmpx_ne_u32_e32 0, v14
	s_cbranch_execz .LBB1579_42
; %bb.41:
	v_mov_b32_e32 v15, 0
	v_cmp_eq_u16_sdwa vcc_lo, v24, v15 src0_sel:BYTE_0 src1_sel:DWORD
	v_or_b32_e32 v15, v27, v24
	v_cndmask_b32_e32 v25, 0, v25, vcc_lo
	v_cndmask_b32_e32 v24, 0, v26, vcc_lo
	v_and_b32_e32 v23, 1, v15
	v_and_b32_e32 v15, 1, v15
	v_add_co_u32 v3, vcc_lo, v25, v3
	v_add_co_ci_u32_e64 v4, null, v24, v4, vcc_lo
	v_or_b32_e32 v24, v15, v16
.LBB1579_42:
	s_or_b32 exec_lo, exec_lo, s1
	v_mov_b32_dpp v25, v3 row_shr:2 row_mask:0xf bank_mask:0xf
	v_mov_b32_dpp v26, v4 row_shr:2 row_mask:0xf bank_mask:0xf
	;; [unrolled: 1-line block ×3, first 2 shown]
	s_mov_b32 s10, exec_lo
	v_cmpx_lt_u32_e32 1, v14
	s_cbranch_execz .LBB1579_44
; %bb.43:
	v_mov_b32_e32 v23, 0
	v_and_b32_e32 v24, 1, v15
	v_and_b32_e32 v27, 1, v27
	v_cmp_eq_u16_sdwa vcc_lo, v15, v23 src0_sel:BYTE_0 src1_sel:DWORD
	v_cmp_eq_u32_e64 s1, 1, v24
	v_cmp_eq_u32_e64 s2, 1, v27
	v_cndmask_b32_e32 v24, 0, v25, vcc_lo
	v_cndmask_b32_e32 v15, 0, v26, vcc_lo
	s_or_b32 s1, s1, s2
	v_cndmask_b32_e64 v23, 0, 1, s1
	v_cndmask_b32_e64 v25, 0, 1, s1
	v_add_co_u32 v3, vcc_lo, v24, v3
	v_add_co_ci_u32_e64 v4, null, v15, v4, vcc_lo
	v_or_b32_e32 v24, v16, v25
	v_mov_b32_e32 v15, v23
.LBB1579_44:
	s_or_b32 exec_lo, exec_lo, s10
	v_mov_b32_dpp v16, v3 row_shr:4 row_mask:0xf bank_mask:0xf
	v_mov_b32_dpp v25, v4 row_shr:4 row_mask:0xf bank_mask:0xf
	;; [unrolled: 1-line block ×3, first 2 shown]
	s_mov_b32 s10, exec_lo
	v_cmpx_lt_u32_e32 3, v14
	s_cbranch_execz .LBB1579_46
; %bb.45:
	v_mov_b32_e32 v14, 0
	v_cmp_eq_u16_sdwa vcc_lo, v15, v14 src0_sel:BYTE_0 src1_sel:DWORD
	v_and_b32_e32 v14, 1, v15
	v_and_b32_e32 v15, 1, v24
	v_cndmask_b32_e32 v23, 0, v25, vcc_lo
	v_cndmask_b32_e32 v16, 0, v16, vcc_lo
	v_cmp_eq_u32_e32 vcc_lo, 1, v14
	v_cmp_eq_u32_e64 s1, 1, v15
	v_add_co_u32 v3, s2, v16, v3
	s_or_b32 s1, vcc_lo, s1
	v_add_co_ci_u32_e64 v4, null, v23, v4, s2
	v_cndmask_b32_e64 v23, 0, 1, s1
.LBB1579_46:
	s_or_b32 exec_lo, exec_lo, s10
	ds_write_b64 v13, v[3:4]
	ds_write_b8 v13, v23 offset:8
.LBB1579_47:
	s_or_b32 exec_lo, exec_lo, s3
	v_mov_b32_e32 v3, 0
	v_mov_b32_e32 v4, 0
	;; [unrolled: 1-line block ×3, first 2 shown]
	s_mov_b32 s2, exec_lo
	v_cmp_gt_u32_e32 vcc_lo, 32, v0
	s_waitcnt lgkmcnt(0)
	s_barrier
	buffer_gl0_inv
	v_cmpx_lt_u32_e32 31, v0
	s_cbranch_execz .LBB1579_49
; %bb.48:
	v_add_nc_u32_e32 v3, -16, v12
	v_add_nc_u32_e32 v12, -8, v12
	v_cmp_eq_u16_e64 s1, 0, v11
	ds_read_b64 v[3:4], v3
	ds_read_u8 v23, v12
	s_waitcnt lgkmcnt(1)
	v_cndmask_b32_e64 v13, 0, v3, s1
	v_cndmask_b32_e64 v12, 0, v4, s1
	s_waitcnt lgkmcnt(0)
	v_or_b32_e32 v11, v23, v11
	v_add_co_u32 v9, s1, v9, v13
	v_add_co_ci_u32_e64 v10, null, v10, v12, s1
.LBB1579_49:
	s_or_b32 exec_lo, exec_lo, s2
	v_sub_co_u32 v12, s1, v18, 1
	v_and_b32_e32 v11, 0xff, v11
	v_cmp_gt_i32_e64 s2, 0, v12
	v_cndmask_b32_e64 v12, v12, v18, s2
	v_lshlrev_b32_e32 v12, 2, v12
	ds_bpermute_b32 v25, v12, v9
	ds_bpermute_b32 v24, v12, v10
	;; [unrolled: 1-line block ×3, first 2 shown]
	s_and_saveexec_b32 s10, vcc_lo
	s_cbranch_execz .LBB1579_89
; %bb.50:
	v_mov_b32_e32 v13, 0
	ds_read_b64 v[9:10], v13 offset:112
	ds_read_u8 v27, v13 offset:120
	s_and_saveexec_b32 s2, s1
	s_cbranch_execz .LBB1579_52
; %bb.51:
	s_add_i32 s24, s6, 32
	s_mov_b32 s25, 0
	v_mov_b32_e32 v11, 1
	s_lshl_b64 s[34:35], s[24:25], 4
	v_mov_b32_e32 v12, s24
	s_add_u32 s34, s16, s34
	s_addc_u32 s35, s17, s35
	s_waitcnt lgkmcnt(1)
	global_store_dwordx2 v13, v[9:10], s[34:35]
	s_waitcnt lgkmcnt(0)
	global_store_byte v13, v27, s[34:35] offset:8
	s_waitcnt_vscnt null, 0x0
	buffer_gl1_inv
	buffer_gl0_inv
	global_store_byte v12, v11, s[20:21]
.LBB1579_52:
	s_or_b32 exec_lo, exec_lo, s2
	v_xad_u32 v11, v18, -1, s6
	s_mov_b32 s3, 0
	s_mov_b32 s2, exec_lo
	v_add_nc_u32_e32 v12, 32, v11
	global_load_ubyte v28, v12, s[20:21] glc dlc
	s_waitcnt vmcnt(0)
	v_cmpx_eq_u16_e32 0, v28
	s_cbranch_execz .LBB1579_56
; %bb.53:
	v_add_co_u32 v14, s11, s20, v12
	v_add_co_ci_u32_e64 v15, null, s21, 0, s11
.LBB1579_54:                            ; =>This Inner Loop Header: Depth=1
	global_load_ubyte v28, v[14:15], off glc dlc
	s_waitcnt vmcnt(0)
	v_cmp_ne_u16_e32 vcc_lo, 0, v28
	s_or_b32 s3, vcc_lo, s3
	s_andn2_b32 exec_lo, exec_lo, s3
	s_cbranch_execnz .LBB1579_54
; %bb.55:
	s_or_b32 exec_lo, exec_lo, s3
.LBB1579_56:
	s_or_b32 exec_lo, exec_lo, s2
	v_cmp_eq_u16_e32 vcc_lo, 1, v28
	v_mov_b32_e32 v15, s16
	v_mov_b32_e32 v14, s17
	v_lshlrev_b64 v[12:13], 4, v[12:13]
	s_waitcnt lgkmcnt(0)
	s_waitcnt_vscnt null, 0x0
	buffer_gl1_inv
	buffer_gl0_inv
	v_lshlrev_b32_e64 v30, v18, -1
	v_cndmask_b32_e32 v15, s18, v15, vcc_lo
	v_cndmask_b32_e32 v14, s19, v14, vcc_lo
	s_mov_b32 s2, exec_lo
	v_add_co_u32 v12, vcc_lo, v15, v12
	v_add_co_ci_u32_e64 v13, null, v14, v13, vcc_lo
	v_cmp_ne_u32_e32 vcc_lo, 31, v18
	s_clause 0x1
	global_load_ubyte v41, v[12:13], off offset:8
	global_load_dwordx2 v[15:16], v[12:13], off
	v_add_co_ci_u32_e64 v12, null, 0, v18, vcc_lo
	v_cmp_eq_u16_e32 vcc_lo, 2, v28
	v_lshlrev_b32_e32 v29, 2, v12
	v_and_or_b32 v12, vcc_lo, v30, 0x80000000
	v_ffbl_b32_e32 v12, v12
	s_waitcnt vmcnt(1)
	v_and_b32_e32 v13, 1, v41
	s_waitcnt vmcnt(0)
	ds_bpermute_b32 v14, v29, v15
	ds_bpermute_b32 v31, v29, v16
	;; [unrolled: 1-line block ×3, first 2 shown]
	v_cmpx_lt_u32_e64 v18, v12
	s_cbranch_execz .LBB1579_58
; %bb.57:
	v_mov_b32_e32 v13, 0
	v_cmp_eq_u16_sdwa vcc_lo, v41, v13 src0_sel:BYTE_0 src1_sel:DWORD
	s_waitcnt lgkmcnt(0)
	v_and_b32_e32 v13, 1, v32
	v_cndmask_b32_e32 v14, 0, v14, vcc_lo
	v_cndmask_b32_e32 v31, 0, v31, vcc_lo
	v_or_b32_e32 v41, v13, v41
	v_add_co_u32 v15, vcc_lo, v14, v15
	v_add_co_ci_u32_e64 v16, null, v31, v16, vcc_lo
	v_and_b32_e32 v13, 0xff, v41
.LBB1579_58:
	s_or_b32 exec_lo, exec_lo, s2
	v_cmp_gt_u32_e32 vcc_lo, 30, v18
	s_waitcnt lgkmcnt(0)
	v_add_nc_u32_e32 v32, 2, v18
	s_mov_b32 s11, exec_lo
	v_cndmask_b32_e64 v14, 0, 2, vcc_lo
	v_add_lshl_u32 v31, v14, v18, 2
	ds_bpermute_b32 v14, v31, v15
	ds_bpermute_b32 v33, v31, v16
	ds_bpermute_b32 v34, v31, v13
	v_cmpx_le_u32_e64 v32, v12
	s_cbranch_execz .LBB1579_60
; %bb.59:
	v_mov_b32_e32 v13, 0
	v_and_b32_e32 v35, 1, v41
	s_waitcnt lgkmcnt(0)
	v_and_b32_e32 v34, 1, v34
	v_cmp_eq_u16_sdwa vcc_lo, v41, v13 src0_sel:BYTE_0 src1_sel:DWORD
	v_cmp_eq_u32_e64 s2, 1, v35
	v_cmp_eq_u32_e64 s3, 1, v34
	v_cndmask_b32_e32 v14, 0, v14, vcc_lo
	v_cndmask_b32_e32 v13, 0, v33, vcc_lo
	s_or_b32 s2, s2, s3
	v_cndmask_b32_e64 v41, 0, 1, s2
	v_add_co_u32 v15, vcc_lo, v14, v15
	v_add_co_ci_u32_e64 v16, null, v13, v16, vcc_lo
	v_cndmask_b32_e64 v13, 0, 1, s2
.LBB1579_60:
	s_or_b32 exec_lo, exec_lo, s11
	v_cmp_gt_u32_e32 vcc_lo, 28, v18
	s_waitcnt lgkmcnt(0)
	v_add_nc_u32_e32 v34, 4, v18
	s_mov_b32 s11, exec_lo
	v_cndmask_b32_e64 v14, 0, 4, vcc_lo
	v_add_lshl_u32 v33, v14, v18, 2
	ds_bpermute_b32 v14, v33, v15
	ds_bpermute_b32 v35, v33, v16
	ds_bpermute_b32 v36, v33, v13
	v_cmpx_le_u32_e64 v34, v12
	s_cbranch_execz .LBB1579_62
; %bb.61:
	v_mov_b32_e32 v13, 0
	v_and_b32_e32 v37, 1, v41
	s_waitcnt lgkmcnt(0)
	v_and_b32_e32 v36, 1, v36
	v_cmp_eq_u16_sdwa vcc_lo, v41, v13 src0_sel:BYTE_0 src1_sel:DWORD
	v_cmp_eq_u32_e64 s2, 1, v37
	v_cmp_eq_u32_e64 s3, 1, v36
	v_cndmask_b32_e32 v14, 0, v14, vcc_lo
	v_cndmask_b32_e32 v13, 0, v35, vcc_lo
	s_or_b32 s2, s2, s3
	v_cndmask_b32_e64 v41, 0, 1, s2
	v_add_co_u32 v15, vcc_lo, v14, v15
	v_add_co_ci_u32_e64 v16, null, v13, v16, vcc_lo
	v_cndmask_b32_e64 v13, 0, 1, s2
.LBB1579_62:
	;; [unrolled: 28-line block ×3, first 2 shown]
	s_or_b32 exec_lo, exec_lo, s11
	s_waitcnt lgkmcnt(0)
	v_lshl_or_b32 v38, v18, 2, 64
	v_add_nc_u32_e32 v39, 16, v18
	s_mov_b32 s11, exec_lo
	ds_bpermute_b32 v14, v38, v15
	ds_bpermute_b32 v37, v38, v16
	;; [unrolled: 1-line block ×3, first 2 shown]
	v_cmpx_le_u32_e64 v39, v12
	s_cbranch_execz .LBB1579_66
; %bb.65:
	v_mov_b32_e32 v12, 0
	s_waitcnt lgkmcnt(0)
	v_and_b32_e32 v13, 1, v13
	v_cmp_eq_u16_sdwa vcc_lo, v41, v12 src0_sel:BYTE_0 src1_sel:DWORD
	v_and_b32_e32 v12, 1, v41
	v_cmp_eq_u32_e64 s2, 1, v13
	v_cndmask_b32_e32 v37, 0, v37, vcc_lo
	v_cndmask_b32_e32 v14, 0, v14, vcc_lo
	v_cmp_eq_u32_e32 vcc_lo, 1, v12
	v_add_co_u32 v15, s3, v14, v15
	s_or_b32 s2, vcc_lo, s2
	v_add_co_ci_u32_e64 v16, null, v37, v16, s3
	v_cndmask_b32_e64 v41, 0, 1, s2
.LBB1579_66:
	s_or_b32 exec_lo, exec_lo, s11
	v_mov_b32_e32 v12, 0
	v_mov_b32_e32 v40, 2
	s_branch .LBB1579_69
.LBB1579_67:                            ;   in Loop: Header=BB1579_69 Depth=1
	s_or_b32 exec_lo, exec_lo, s13
	v_cmp_eq_u16_sdwa vcc_lo, v37, v12 src0_sel:BYTE_0 src1_sel:DWORD
	v_and_b32_e32 v41, 1, v37
	v_subrev_nc_u32_e32 v11, 32, v11
	v_cndmask_b32_e32 v15, 0, v15, vcc_lo
	v_cndmask_b32_e32 v16, 0, v16, vcc_lo
	v_cmp_eq_u32_e32 vcc_lo, 1, v41
	v_add_co_u32 v15, s2, v15, v13
	v_add_co_ci_u32_e64 v16, null, v16, v14, s2
	s_or_b32 s2, vcc_lo, s11
	v_cndmask_b32_e64 v41, 0, 1, s2
	s_mov_b32 s2, 0
.LBB1579_68:                            ;   in Loop: Header=BB1579_69 Depth=1
	s_and_b32 vcc_lo, exec_lo, s2
	s_cbranch_vccnz .LBB1579_85
.LBB1579_69:                            ; =>This Loop Header: Depth=1
                                        ;     Child Loop BB1579_72 Depth 2
	v_cmp_ne_u16_sdwa s2, v28, v40 src0_sel:BYTE_0 src1_sel:DWORD
	s_waitcnt lgkmcnt(0)
	v_mov_b32_e32 v13, v15
	v_mov_b32_e32 v37, v41
	;; [unrolled: 1-line block ×3, first 2 shown]
                                        ; implicit-def: $vgpr41
                                        ; implicit-def: $vgpr15_vgpr16
                                        ; implicit-def: $vgpr28
	s_cmp_lg_u32 s2, exec_lo
	s_mov_b32 s2, -1
	s_cbranch_scc1 .LBB1579_68
; %bb.70:                               ;   in Loop: Header=BB1579_69 Depth=1
	global_load_ubyte v28, v11, s[20:21] glc dlc
	s_mov_b32 s2, exec_lo
	s_waitcnt vmcnt(0)
	v_cmpx_eq_u16_e32 0, v28
	s_cbranch_execz .LBB1579_74
; %bb.71:                               ;   in Loop: Header=BB1579_69 Depth=1
	v_add_co_u32 v15, s3, s20, v11
	v_add_co_ci_u32_e64 v16, null, s21, 0, s3
	s_mov_b32 s3, 0
.LBB1579_72:                            ;   Parent Loop BB1579_69 Depth=1
                                        ; =>  This Inner Loop Header: Depth=2
	global_load_ubyte v28, v[15:16], off glc dlc
	s_waitcnt vmcnt(0)
	v_cmp_ne_u16_e32 vcc_lo, 0, v28
	s_or_b32 s3, vcc_lo, s3
	s_andn2_b32 exec_lo, exec_lo, s3
	s_cbranch_execnz .LBB1579_72
; %bb.73:                               ;   in Loop: Header=BB1579_69 Depth=1
	s_or_b32 exec_lo, exec_lo, s3
.LBB1579_74:                            ;   in Loop: Header=BB1579_69 Depth=1
	s_or_b32 exec_lo, exec_lo, s2
	v_cmp_eq_u16_e32 vcc_lo, 1, v28
	v_mov_b32_e32 v42, s16
	v_mov_b32_e32 v41, s17
	v_lshlrev_b64 v[15:16], 4, v[11:12]
	buffer_gl1_inv
	buffer_gl0_inv
	s_mov_b32 s2, exec_lo
	v_cndmask_b32_e32 v42, s18, v42, vcc_lo
	v_cndmask_b32_e32 v41, s19, v41, vcc_lo
	v_add_co_u32 v15, vcc_lo, v42, v15
	v_add_co_ci_u32_e64 v16, null, v41, v16, vcc_lo
	v_cmp_eq_u16_e32 vcc_lo, 2, v28
	s_clause 0x1
	global_load_ubyte v42, v[15:16], off offset:8
	global_load_dwordx2 v[15:16], v[15:16], off
	v_and_or_b32 v41, vcc_lo, v30, 0x80000000
	v_ffbl_b32_e32 v41, v41
	s_waitcnt vmcnt(1)
	v_and_b32_e32 v43, 1, v42
	s_waitcnt vmcnt(0)
	ds_bpermute_b32 v44, v29, v15
	ds_bpermute_b32 v45, v29, v16
	;; [unrolled: 1-line block ×3, first 2 shown]
	v_cmpx_lt_u32_e64 v18, v41
	s_cbranch_execz .LBB1579_76
; %bb.75:                               ;   in Loop: Header=BB1579_69 Depth=1
	v_cmp_eq_u16_sdwa vcc_lo, v42, v12 src0_sel:BYTE_0 src1_sel:DWORD
	s_waitcnt lgkmcnt(0)
	v_and_b32_e32 v43, 1, v46
	v_cndmask_b32_e32 v44, 0, v44, vcc_lo
	v_cndmask_b32_e32 v45, 0, v45, vcc_lo
	v_or_b32_e32 v42, v43, v42
	v_add_co_u32 v15, vcc_lo, v44, v15
	v_add_co_ci_u32_e64 v16, null, v45, v16, vcc_lo
	v_and_b32_e32 v43, 0xff, v42
.LBB1579_76:                            ;   in Loop: Header=BB1579_69 Depth=1
	s_or_b32 exec_lo, exec_lo, s2
	s_waitcnt lgkmcnt(2)
	ds_bpermute_b32 v44, v31, v15
	s_waitcnt lgkmcnt(2)
	ds_bpermute_b32 v45, v31, v16
	;; [unrolled: 2-line block ×3, first 2 shown]
	v_and_b32_e32 v47, 1, v42
	s_mov_b32 s3, exec_lo
	v_cmp_eq_u32_e64 s11, 1, v47
	v_cmpx_le_u32_e64 v32, v41
	s_cbranch_execz .LBB1579_78
; %bb.77:                               ;   in Loop: Header=BB1579_69 Depth=1
	v_cmp_eq_u16_sdwa vcc_lo, v42, v12 src0_sel:BYTE_0 src1_sel:DWORD
	s_waitcnt lgkmcnt(0)
	v_and_b32_e32 v42, 1, v46
	v_cndmask_b32_e32 v44, 0, v44, vcc_lo
	v_cndmask_b32_e32 v43, 0, v45, vcc_lo
	v_cmp_eq_u32_e32 vcc_lo, 1, v42
	v_add_co_u32 v15, s2, v44, v15
	v_add_co_ci_u32_e64 v16, null, v43, v16, s2
	s_or_b32 s2, s11, vcc_lo
	s_andn2_b32 s11, s11, exec_lo
	v_cndmask_b32_e64 v42, 0, 1, s2
	v_cndmask_b32_e64 v43, 0, 1, s2
	s_and_b32 s2, s2, exec_lo
	s_or_b32 s11, s11, s2
.LBB1579_78:                            ;   in Loop: Header=BB1579_69 Depth=1
	s_or_b32 exec_lo, exec_lo, s3
	s_waitcnt lgkmcnt(2)
	ds_bpermute_b32 v44, v33, v15
	s_waitcnt lgkmcnt(2)
	ds_bpermute_b32 v45, v33, v16
	;; [unrolled: 2-line block ×3, first 2 shown]
	s_mov_b32 s13, exec_lo
	v_cmpx_le_u32_e64 v34, v41
	s_cbranch_execz .LBB1579_80
; %bb.79:                               ;   in Loop: Header=BB1579_69 Depth=1
	v_cmp_eq_u16_sdwa vcc_lo, v42, v12 src0_sel:BYTE_0 src1_sel:DWORD
	v_and_b32_e32 v42, 1, v42
	s_waitcnt lgkmcnt(0)
	v_and_b32_e32 v43, 1, v46
	v_cndmask_b32_e32 v45, 0, v45, vcc_lo
	v_cndmask_b32_e32 v44, 0, v44, vcc_lo
	v_cmp_eq_u32_e32 vcc_lo, 1, v42
	v_cmp_eq_u32_e64 s2, 1, v43
	v_add_co_u32 v15, s3, v44, v15
	s_or_b32 s2, vcc_lo, s2
	v_add_co_ci_u32_e64 v16, null, v45, v16, s3
	v_cndmask_b32_e64 v42, 0, 1, s2
	v_cndmask_b32_e64 v43, 0, 1, s2
	s_andn2_b32 s3, s11, exec_lo
	s_and_b32 s2, s2, exec_lo
	s_or_b32 s11, s3, s2
.LBB1579_80:                            ;   in Loop: Header=BB1579_69 Depth=1
	s_or_b32 exec_lo, exec_lo, s13
	s_waitcnt lgkmcnt(2)
	ds_bpermute_b32 v44, v35, v15
	s_waitcnt lgkmcnt(2)
	ds_bpermute_b32 v45, v35, v16
	;; [unrolled: 2-line block ×3, first 2 shown]
	s_mov_b32 s13, exec_lo
	v_cmpx_le_u32_e64 v36, v41
	s_cbranch_execz .LBB1579_82
; %bb.81:                               ;   in Loop: Header=BB1579_69 Depth=1
	v_cmp_eq_u16_sdwa vcc_lo, v42, v12 src0_sel:BYTE_0 src1_sel:DWORD
	v_and_b32_e32 v42, 1, v42
	s_waitcnt lgkmcnt(0)
	v_and_b32_e32 v43, 1, v46
	v_cndmask_b32_e32 v45, 0, v45, vcc_lo
	v_cndmask_b32_e32 v44, 0, v44, vcc_lo
	v_cmp_eq_u32_e32 vcc_lo, 1, v42
	v_cmp_eq_u32_e64 s2, 1, v43
	v_add_co_u32 v15, s3, v44, v15
	s_or_b32 s2, vcc_lo, s2
	v_add_co_ci_u32_e64 v16, null, v45, v16, s3
	v_cndmask_b32_e64 v42, 0, 1, s2
	v_cndmask_b32_e64 v43, 0, 1, s2
	s_andn2_b32 s3, s11, exec_lo
	s_and_b32 s2, s2, exec_lo
	s_or_b32 s11, s3, s2
.LBB1579_82:                            ;   in Loop: Header=BB1579_69 Depth=1
	s_or_b32 exec_lo, exec_lo, s13
	s_waitcnt lgkmcnt(2)
	ds_bpermute_b32 v44, v38, v15
	s_waitcnt lgkmcnt(2)
	ds_bpermute_b32 v45, v38, v16
	ds_bpermute_b32 v43, v38, v43
	s_mov_b32 s13, exec_lo
	v_cmpx_le_u32_e64 v39, v41
	s_cbranch_execz .LBB1579_67
; %bb.83:                               ;   in Loop: Header=BB1579_69 Depth=1
	v_cmp_eq_u16_sdwa vcc_lo, v42, v12 src0_sel:BYTE_0 src1_sel:DWORD
	v_and_b32_e32 v41, 1, v42
	s_waitcnt lgkmcnt(0)
	v_and_b32_e32 v42, 1, v43
	v_cndmask_b32_e32 v44, 0, v44, vcc_lo
	v_cndmask_b32_e32 v43, 0, v45, vcc_lo
	v_cmp_eq_u32_e32 vcc_lo, 1, v41
	v_cmp_eq_u32_e64 s2, 1, v42
	v_add_co_u32 v15, s3, v44, v15
	v_add_co_ci_u32_e64 v16, null, v43, v16, s3
	s_or_b32 s2, vcc_lo, s2
	s_andn2_b32 s3, s11, exec_lo
	s_and_b32 s2, s2, exec_lo
	s_or_b32 s11, s3, s2
	s_branch .LBB1579_67
.LBB1579_84:
                                        ; implicit-def: $vgpr9_vgpr10
                                        ; implicit-def: $vgpr13_vgpr14
                                        ; implicit-def: $vgpr11_vgpr12
	s_cbranch_execnz .LBB1579_92
	s_branch .LBB1579_119
.LBB1579_85:
	s_and_saveexec_b32 s2, s1
	s_cbranch_execz .LBB1579_87
; %bb.86:
	v_mov_b32_e32 v11, 0
	v_or_b32_e32 v12, v27, v37
	s_mov_b32 s17, 0
	s_add_i32 s16, s6, 32
	v_mov_b32_e32 v15, 2
	v_cmp_eq_u32_sdwa vcc_lo, v27, v11 src0_sel:BYTE_0 src1_sel:DWORD
	s_lshl_b64 s[24:25], s[16:17], 4
	v_mov_b32_e32 v28, s16
	v_and_b32_e32 v12, 1, v12
	s_add_u32 s16, s18, s24
	v_cndmask_b32_e32 v27, 0, v13, vcc_lo
	v_cndmask_b32_e32 v16, 0, v14, vcc_lo
	s_addc_u32 s17, s19, s25
	v_add_co_u32 v9, vcc_lo, v27, v9
	v_add_co_ci_u32_e64 v10, null, v16, v10, vcc_lo
	global_store_byte v11, v12, s[16:17] offset:8
	global_store_dwordx2 v11, v[9:10], s[16:17]
	s_waitcnt lgkmcnt(0)
	s_waitcnt_vscnt null, 0x0
	buffer_gl1_inv
	buffer_gl0_inv
	global_store_byte v28, v15, s[20:21]
.LBB1579_87:
	s_or_b32 exec_lo, exec_lo, s2
	v_cmp_eq_u32_e32 vcc_lo, 0, v0
	s_and_b32 exec_lo, exec_lo, vcc_lo
	s_cbranch_execz .LBB1579_89
; %bb.88:
	v_mov_b32_e32 v9, 0
	ds_write_b64 v9, v[13:14] offset:112
	ds_write_b8 v9, v37 offset:120
.LBB1579_89:
	s_or_b32 exec_lo, exec_lo, s10
	v_mov_b32_e32 v11, 0
	s_waitcnt lgkmcnt(0)
	s_waitcnt_vscnt null, 0x0
	s_barrier
	buffer_gl0_inv
	s_mov_b32 s2, 0
	ds_read_b64 v[9:10], v11 offset:112
	s_mov_b32 s3, exec_lo
	v_cmpx_ne_u32_e32 0, v0
	s_cbranch_execz .LBB1579_91
; %bb.90:
	v_cndmask_b32_e64 v12, v26, v23, s1
	v_cndmask_b32_e64 v3, v25, v3, s1
	;; [unrolled: 1-line block ×3, first 2 shown]
	v_cmp_eq_u16_sdwa vcc_lo, v12, v11 src0_sel:BYTE_0 src1_sel:DWORD
	s_waitcnt lgkmcnt(0)
	v_cndmask_b32_e32 v9, 0, v9, vcc_lo
	v_cndmask_b32_e32 v10, 0, v10, vcc_lo
	v_add_co_u32 v9, vcc_lo, v3, v9
	v_add_co_ci_u32_e64 v10, null, v4, v10, vcc_lo
.LBB1579_91:
	s_or_b32 exec_lo, exec_lo, s3
	v_cmp_eq_u16_sdwa vcc_lo, v17, v11 src0_sel:BYTE_0 src1_sel:DWORD
	s_waitcnt lgkmcnt(0)
	v_cndmask_b32_e32 v4, 0, v9, vcc_lo
	v_cndmask_b32_e32 v3, 0, v10, vcc_lo
	v_add_co_u32 v11, vcc_lo, v4, v5
	v_add_co_ci_u32_e64 v12, null, v3, v6, vcc_lo
	v_cndmask_b32_e64 v13, 0, v11, s0
	v_cndmask_b32_e64 v14, 0, v12, s0
	s_and_b32 vcc_lo, exec_lo, s2
	s_cbranch_vccz .LBB1579_119
.LBB1579_92:
	s_cmp_eq_u64 s[28:29], 0
	v_mov_b32_e32 v3, s30
	s_cselect_b32 s0, -1, 0
	s_cmp_eq_u64 s[26:27], 0
	v_mov_b32_e32 v4, s31
	s_cselect_b32 s1, -1, 0
	s_or_b32 s0, s0, s1
	s_and_b32 vcc_lo, exec_lo, s0
	s_cbranch_vccnz .LBB1579_94
; %bb.93:
	v_mov_b32_e32 v3, 0
	global_load_dwordx2 v[3:4], v3, s[26:27]
.LBB1579_94:
	v_mov_b32_e32 v9, 0
	v_cmp_eq_u32_e64 s0, 1, v22
	v_cmp_eq_u16_sdwa vcc_lo, v19, v9 src0_sel:BYTE_0 src1_sel:DWORD
	v_cmp_ne_u16_sdwa s2, v21, v9 src0_sel:BYTE_0 src1_sel:DWORD
	v_cndmask_b32_e32 v11, 0, v5, vcc_lo
	v_cndmask_b32_e32 v10, 0, v6, vcc_lo
	v_add_co_u32 v11, s1, v11, v1
	v_add_co_ci_u32_e64 v10, null, v10, v2, s1
	v_cmp_eq_u16_e64 s1, 0, v20
	v_cndmask_b32_e64 v12, 0, v11, s1
	v_cndmask_b32_e64 v9, 0, v10, s1
	s_or_b32 s1, s2, s0
	s_mov_b32 s2, exec_lo
	v_cndmask_b32_e64 v10, 0, 1, s1
	v_add_co_u32 v7, s0, v12, v7
	v_add_co_ci_u32_e64 v8, null, v9, v8, s0
	v_cndmask_b32_e64 v11, 0, 1, s1
	v_and_b32_e32 v9, 15, v18
	v_mov_b32_dpp v14, v10 row_shr:1 row_mask:0xf bank_mask:0xf
	v_mov_b32_dpp v12, v7 row_shr:1 row_mask:0xf bank_mask:0xf
	;; [unrolled: 1-line block ×3, first 2 shown]
	v_cmpx_ne_u32_e32 0, v9
	s_cbranch_execz .LBB1579_96
; %bb.95:
	v_and_b32_e32 v10, 1, v14
	v_cndmask_b32_e64 v12, v12, 0, s1
	v_cndmask_b32_e64 v13, v13, 0, s1
	v_or_b32_e32 v11, v10, v11
	v_add_co_u32 v7, s0, v12, v7
	v_add_co_ci_u32_e64 v8, null, v13, v8, s0
	v_and_b32_e32 v10, 0xffff, v11
.LBB1579_96:
	s_or_b32 exec_lo, exec_lo, s2
	v_mov_b32_dpp v12, v7 row_shr:2 row_mask:0xf bank_mask:0xf
	v_mov_b32_dpp v13, v8 row_shr:2 row_mask:0xf bank_mask:0xf
	v_mov_b32_dpp v14, v10 row_shr:2 row_mask:0xf bank_mask:0xf
	s_mov_b32 s3, exec_lo
	v_cmpx_lt_u32_e32 1, v9
	s_cbranch_execz .LBB1579_98
; %bb.97:
	v_cmp_eq_u16_e64 s0, 0, v11
	v_and_b32_e32 v10, 1, v11
	v_and_b32_e32 v11, 1, v14
	v_cndmask_b32_e64 v13, 0, v13, s0
	v_cndmask_b32_e64 v12, 0, v12, s0
	v_cmp_eq_u32_e64 s0, 1, v10
	v_cmp_eq_u32_e64 s1, 1, v11
	v_add_co_u32 v7, s2, v12, v7
	s_or_b32 s0, s0, s1
	v_add_co_ci_u32_e64 v8, null, v13, v8, s2
	v_cndmask_b32_e64 v11, 0, 1, s0
	v_cndmask_b32_e64 v10, 0, 1, s0
.LBB1579_98:
	s_or_b32 exec_lo, exec_lo, s3
	v_mov_b32_dpp v12, v7 row_shr:4 row_mask:0xf bank_mask:0xf
	v_mov_b32_dpp v13, v8 row_shr:4 row_mask:0xf bank_mask:0xf
	v_mov_b32_dpp v14, v10 row_shr:4 row_mask:0xf bank_mask:0xf
	s_mov_b32 s3, exec_lo
	v_cmpx_lt_u32_e32 3, v9
	s_cbranch_execz .LBB1579_100
; %bb.99:
	v_cmp_eq_u16_e64 s0, 0, v11
	v_and_b32_e32 v10, 1, v11
	v_and_b32_e32 v11, 1, v14
	v_cndmask_b32_e64 v13, 0, v13, s0
	v_cndmask_b32_e64 v12, 0, v12, s0
	v_cmp_eq_u32_e64 s0, 1, v10
	v_cmp_eq_u32_e64 s1, 1, v11
	v_add_co_u32 v7, s2, v12, v7
	s_or_b32 s0, s0, s1
	v_add_co_ci_u32_e64 v8, null, v13, v8, s2
	v_cndmask_b32_e64 v11, 0, 1, s0
	v_cndmask_b32_e64 v10, 0, 1, s0
.LBB1579_100:
	;; [unrolled: 21-line block ×3, first 2 shown]
	s_or_b32 exec_lo, exec_lo, s3
	ds_swizzle_b32 v9, v7 offset:swizzle(BROADCAST,32,15)
	ds_swizzle_b32 v12, v8 offset:swizzle(BROADCAST,32,15)
	;; [unrolled: 1-line block ×3, first 2 shown]
	v_and_b32_e32 v13, 16, v18
	s_mov_b32 s3, exec_lo
	v_cmpx_ne_u32_e32 0, v13
	s_cbranch_execz .LBB1579_104
; %bb.103:
	v_cmp_eq_u16_e64 s0, 0, v11
	v_and_b32_e32 v11, 1, v11
	s_waitcnt lgkmcnt(0)
	v_and_b32_e32 v10, 1, v10
	v_cndmask_b32_e64 v12, 0, v12, s0
	v_cndmask_b32_e64 v9, 0, v9, s0
	v_cmp_eq_u32_e64 s0, 1, v11
	v_cmp_eq_u32_e64 s1, 1, v10
	v_add_co_u32 v7, s2, v9, v7
	s_or_b32 s0, s0, s1
	v_add_co_ci_u32_e64 v8, null, v12, v8, s2
	v_cndmask_b32_e64 v11, 0, 1, s0
.LBB1579_104:
	s_or_b32 exec_lo, exec_lo, s3
	s_waitcnt lgkmcnt(0)
	v_lshrrev_b32_e32 v10, 5, v0
	v_or_b32_e32 v9, 31, v0
	s_mov_b32 s1, exec_lo
	v_lshlrev_b32_e32 v12, 4, v10
	v_cmpx_eq_u32_e64 v0, v9
	s_cbranch_execz .LBB1579_106
; %bb.105:
	ds_write_b64 v12, v[7:8]
	ds_write_b8 v12, v11 offset:8
.LBB1579_106:
	s_or_b32 exec_lo, exec_lo, s1
	s_mov_b32 s3, exec_lo
	s_waitcnt vmcnt(0) lgkmcnt(0)
	s_barrier
	buffer_gl0_inv
	v_cmpx_gt_u32_e32 8, v0
	s_cbranch_execz .LBB1579_114
; %bb.107:
	v_lshlrev_b32_e32 v13, 4, v0
	v_and_b32_e32 v14, 7, v18
	s_mov_b32 s1, exec_lo
	ds_read_b64 v[9:10], v13
	ds_read_b32 v20, v13 offset:8
	s_waitcnt lgkmcnt(1)
	v_mov_b32_dpp v21, v9 row_shr:1 row_mask:0xf bank_mask:0xf
	v_mov_b32_dpp v22, v10 row_shr:1 row_mask:0xf bank_mask:0xf
	s_waitcnt lgkmcnt(0)
	v_and_b32_e32 v16, 0xffffff00, v20
	v_mov_b32_dpp v23, v20 row_shr:1 row_mask:0xf bank_mask:0xf
	v_mov_b32_e32 v19, v20
	v_mov_b32_e32 v15, v20
	v_cmpx_ne_u32_e32 0, v14
	s_cbranch_execz .LBB1579_109
; %bb.108:
	v_mov_b32_e32 v15, 0
	v_cmp_eq_u16_sdwa s0, v20, v15 src0_sel:BYTE_0 src1_sel:DWORD
	v_or_b32_e32 v15, v23, v20
	v_cndmask_b32_e64 v21, 0, v21, s0
	v_cndmask_b32_e64 v20, 0, v22, s0
	v_and_b32_e32 v19, 1, v15
	v_and_b32_e32 v15, 1, v15
	v_add_co_u32 v9, s0, v21, v9
	v_add_co_ci_u32_e64 v10, null, v20, v10, s0
	v_or_b32_e32 v20, v15, v16
.LBB1579_109:
	s_or_b32 exec_lo, exec_lo, s1
	v_mov_b32_dpp v21, v9 row_shr:2 row_mask:0xf bank_mask:0xf
	v_mov_b32_dpp v22, v10 row_shr:2 row_mask:0xf bank_mask:0xf
	;; [unrolled: 1-line block ×3, first 2 shown]
	s_mov_b32 s6, exec_lo
	v_cmpx_lt_u32_e32 1, v14
	s_cbranch_execz .LBB1579_111
; %bb.110:
	v_mov_b32_e32 v19, 0
	v_and_b32_e32 v20, 1, v15
	v_and_b32_e32 v23, 1, v23
	v_cmp_eq_u16_sdwa s0, v15, v19 src0_sel:BYTE_0 src1_sel:DWORD
	v_cmp_eq_u32_e64 s1, 1, v20
	v_cmp_eq_u32_e64 s2, 1, v23
	v_cndmask_b32_e64 v15, 0, v22, s0
	v_cndmask_b32_e64 v20, 0, v21, s0
	s_or_b32 s0, s1, s2
	v_cndmask_b32_e64 v19, 0, 1, s0
	v_cndmask_b32_e64 v21, 0, 1, s0
	v_add_co_u32 v9, s0, v20, v9
	v_add_co_ci_u32_e64 v10, null, v15, v10, s0
	v_or_b32_e32 v20, v16, v21
	v_mov_b32_e32 v15, v19
.LBB1579_111:
	s_or_b32 exec_lo, exec_lo, s6
	v_mov_b32_dpp v16, v9 row_shr:4 row_mask:0xf bank_mask:0xf
	v_mov_b32_dpp v21, v10 row_shr:4 row_mask:0xf bank_mask:0xf
	v_mov_b32_dpp v20, v20 row_shr:4 row_mask:0xf bank_mask:0xf
	s_mov_b32 s6, exec_lo
	v_cmpx_lt_u32_e32 3, v14
	s_cbranch_execz .LBB1579_113
; %bb.112:
	v_mov_b32_e32 v14, 0
	v_cmp_eq_u16_sdwa s0, v15, v14 src0_sel:BYTE_0 src1_sel:DWORD
	v_and_b32_e32 v14, 1, v15
	v_and_b32_e32 v15, 1, v20
	v_cndmask_b32_e64 v19, 0, v21, s0
	v_cndmask_b32_e64 v16, 0, v16, s0
	v_cmp_eq_u32_e64 s0, 1, v14
	v_cmp_eq_u32_e64 s1, 1, v15
	v_add_co_u32 v9, s2, v16, v9
	s_or_b32 s0, s0, s1
	v_add_co_ci_u32_e64 v10, null, v19, v10, s2
	v_cndmask_b32_e64 v19, 0, 1, s0
.LBB1579_113:
	s_or_b32 exec_lo, exec_lo, s6
	ds_write_b64 v13, v[9:10]
	ds_write_b8 v13, v19 offset:8
.LBB1579_114:
	s_or_b32 exec_lo, exec_lo, s3
	v_mov_b32_e32 v10, v4
	v_mov_b32_e32 v9, v3
	s_mov_b32 s1, exec_lo
	s_waitcnt lgkmcnt(0)
	s_barrier
	buffer_gl0_inv
	v_cmpx_lt_u32_e32 31, v0
	s_cbranch_execz .LBB1579_116
; %bb.115:
	v_add_nc_u32_e32 v9, -8, v12
	ds_read_u8 v13, v9
	v_add_nc_u32_e32 v9, -16, v12
	ds_read_b64 v[9:10], v9
	s_waitcnt lgkmcnt(1)
	v_cmp_eq_u16_e64 s0, 0, v13
	v_cndmask_b32_e64 v13, 0, v3, s0
	v_cndmask_b32_e64 v12, 0, v4, s0
	s_waitcnt lgkmcnt(0)
	v_add_co_u32 v9, s0, v13, v9
	v_add_co_ci_u32_e64 v10, null, v12, v10, s0
.LBB1579_116:
	s_or_b32 exec_lo, exec_lo, s1
	v_cmp_eq_u16_e64 s0, 0, v11
	v_sub_co_u32 v11, s1, v18, 1
	v_cndmask_b32_e64 v12, 0, v10, s0
	v_cndmask_b32_e64 v13, 0, v9, s0
	v_cmp_gt_i32_e64 s0, 0, v11
	v_cndmask_b32_e64 v11, v11, v18, s0
	v_add_co_u32 v7, s0, v13, v7
	v_add_co_ci_u32_e64 v8, null, v12, v8, s0
	v_lshlrev_b32_e32 v11, 2, v11
	v_cmp_eq_u32_e64 s0, 0, v0
	ds_bpermute_b32 v7, v11, v7
	ds_bpermute_b32 v8, v11, v8
	s_waitcnt lgkmcnt(1)
	v_cndmask_b32_e64 v9, v7, v9, s1
	v_mov_b32_e32 v7, 0
	s_waitcnt lgkmcnt(0)
	v_cndmask_b32_e64 v10, v8, v10, s1
	v_cndmask_b32_e64 v8, v9, v3, s0
	v_cmp_eq_u16_sdwa s1, v17, v7 src0_sel:BYTE_0 src1_sel:DWORD
	v_cndmask_b32_e64 v11, v10, v4, s0
	v_cndmask_b32_e64 v8, 0, v8, s1
	;; [unrolled: 1-line block ×3, first 2 shown]
	v_add_co_u32 v11, s1, v8, v5
	v_add_co_ci_u32_e64 v12, null, v12, v6, s1
	v_cndmask_b32_e32 v13, 0, v11, vcc_lo
	v_cndmask_b32_e32 v14, 0, v12, vcc_lo
	s_and_saveexec_b32 s1, s0
	s_cbranch_execz .LBB1579_118
; %bb.117:
	ds_read_u8 v8, v7 offset:120
	ds_read_b64 v[5:6], v7 offset:112
	v_mov_b32_e32 v15, 2
	s_waitcnt lgkmcnt(1)
	v_cmp_eq_u32_sdwa vcc_lo, v8, v7 src0_sel:WORD_0 src1_sel:DWORD
	v_cndmask_b32_e32 v10, 0, v3, vcc_lo
	v_cndmask_b32_e32 v9, 0, v4, vcc_lo
	s_waitcnt lgkmcnt(0)
	v_add_co_u32 v5, vcc_lo, v10, v5
	v_add_co_ci_u32_e64 v6, null, v9, v6, vcc_lo
	v_mov_b32_e32 v10, v4
	v_mov_b32_e32 v9, v3
	global_store_byte v7, v8, s[18:19] offset:520
	global_store_dwordx2 v7, v[5:6], s[18:19] offset:512
	s_waitcnt_vscnt null, 0x0
	buffer_gl1_inv
	buffer_gl0_inv
	global_store_byte v7, v15, s[20:21] offset:32
.LBB1579_118:
	s_or_b32 exec_lo, exec_lo, s1
.LBB1579_119:
	v_add_co_u32 v5, vcc_lo, v13, v1
	s_add_u32 s0, s14, s4
	v_add_co_ci_u32_e64 v6, null, v14, v2, vcc_lo
	s_addc_u32 s1, s15, s5
	s_add_u32 s0, s0, s8
	s_addc_u32 s1, s1, s9
	s_and_b32 vcc_lo, exec_lo, s12
	s_cbranch_vccz .LBB1579_131
; %bb.120:
	v_mov_b32_e32 v7, 0
	v_mov_b32_e32 v8, 0
	;; [unrolled: 1-line block ×4, first 2 shown]
	v_mul_u32_u24_e32 v13, 3, v0
	s_add_i32 s7, s7, s22
	v_mov_b32_e32 v4, v8
	v_mov_b32_e32 v2, v8
	s_mov_b32 s2, exec_lo
	v_cmpx_gt_u32_e64 s7, v13
	s_cbranch_execz .LBB1579_126
; %bb.121:
	v_mov_b32_e32 v1, 0
	v_mov_b32_e32 v3, 0
	v_add_nc_u32_e32 v7, 1, v13
	v_mov_b32_e32 v2, 0
	v_mov_b32_e32 v4, 0
	s_mov_b32 s3, exec_lo
	v_cmpx_gt_u32_e64 s7, v7
	s_cbranch_execz .LBB1579_125
; %bb.122:
	v_mov_b32_e32 v1, 0
	v_add_nc_u32_e32 v3, 2, v13
	v_mov_b32_e32 v2, 0
	s_mov_b32 s4, exec_lo
	v_cmpx_gt_u32_e64 s7, v3
; %bb.123:
	v_mov_b32_e32 v1, v5
	v_mov_b32_e32 v2, v6
; %bb.124:
	s_or_b32 exec_lo, exec_lo, s4
	v_mov_b32_e32 v3, v11
	v_mov_b32_e32 v4, v12
.LBB1579_125:
	s_or_b32 exec_lo, exec_lo, s3
	v_mov_b32_e32 v7, v9
	v_mov_b32_e32 v8, v10
.LBB1579_126:
	s_or_b32 exec_lo, exec_lo, s2
	v_lshlrev_b32_e32 v13, 3, v13
	v_lshlrev_b32_e32 v14, 4, v0
	s_waitcnt_vscnt null, 0x0
	s_barrier
	buffer_gl0_inv
	ds_write2_b64 v13, v[7:8], v[3:4] offset1:1
	v_sub_nc_u32_e32 v3, v13, v14
	ds_write_b64 v13, v[1:2] offset:16
	s_waitcnt lgkmcnt(0)
	s_barrier
	buffer_gl0_inv
	ds_read2st64_b64 v[1:4], v3 offset0:4 offset1:8
	v_lshlrev_b32_e32 v7, 3, v0
	v_add_co_u32 v7, s2, s0, v7
	v_add_co_ci_u32_e64 v8, null, s1, 0, s2
	s_mov_b32 s2, exec_lo
	v_cmpx_gt_u32_e64 s7, v0
	s_cbranch_execz .LBB1579_128
; %bb.127:
	v_sub_nc_u32_e32 v14, 0, v14
	v_add_nc_u32_e32 v13, v13, v14
	ds_read_b64 v[13:14], v13
	s_waitcnt lgkmcnt(0)
	flat_store_dwordx2 v[7:8], v[13:14]
.LBB1579_128:
	s_or_b32 exec_lo, exec_lo, s2
	v_or_b32_e32 v13, 0x100, v0
	s_mov_b32 s2, exec_lo
	v_cmpx_gt_u32_e64 s7, v13
	s_cbranch_execz .LBB1579_130
; %bb.129:
	v_add_co_u32 v7, vcc_lo, 0x800, v7
	v_add_co_ci_u32_e64 v8, null, 0, v8, vcc_lo
	s_waitcnt lgkmcnt(0)
	flat_store_dwordx2 v[7:8], v[1:2]
.LBB1579_130:
	s_or_b32 exec_lo, exec_lo, s2
	s_waitcnt lgkmcnt(0)
	v_or_b32_e32 v1, 0x200, v0
	v_cmp_gt_u32_e64 s2, s7, v1
	s_branch .LBB1579_133
.LBB1579_131:
	s_mov_b32 s2, 0
                                        ; implicit-def: $vgpr3_vgpr4
	s_cbranch_execz .LBB1579_133
; %bb.132:
	v_mul_u32_u24_e32 v1, 24, v0
	v_lshlrev_b32_e32 v2, 4, v0
	s_waitcnt_vscnt null, 0x0
	s_barrier
	buffer_gl0_inv
	ds_write2_b64 v1, v[9:10], v[11:12] offset1:1
	v_sub_nc_u32_e32 v2, v1, v2
	ds_write_b64 v1, v[5:6] offset:16
	s_waitcnt lgkmcnt(0)
	s_barrier
	buffer_gl0_inv
	ds_read2st64_b64 v[5:8], v2 offset1:4
	ds_read_b64 v[3:4], v2 offset:4096
	v_lshlrev_b32_e32 v1, 3, v0
	s_or_b32 s2, s2, exec_lo
	v_add_co_u32 v1, s3, s0, v1
	v_add_co_ci_u32_e64 v2, null, s1, 0, s3
	v_add_co_u32 v9, vcc_lo, 0x800, v1
	v_add_co_ci_u32_e64 v10, null, 0, v2, vcc_lo
	s_waitcnt lgkmcnt(1)
	flat_store_dwordx2 v[1:2], v[5:6]
	flat_store_dwordx2 v[9:10], v[7:8]
.LBB1579_133:
	s_and_saveexec_b32 s3, s2
	s_cbranch_execnz .LBB1579_135
; %bb.134:
	s_endpgm
.LBB1579_135:
	v_lshlrev_b32_e32 v0, 3, v0
	v_add_co_u32 v0, s0, s0, v0
	v_add_co_ci_u32_e64 v1, null, s1, 0, s0
	v_add_co_u32 v0, vcc_lo, 0x1000, v0
	v_add_co_ci_u32_e64 v1, null, 0, v1, vcc_lo
	s_waitcnt lgkmcnt(2)
	flat_store_dwordx2 v[0:1], v[3:4]
	s_endpgm
.LBB1579_136:
	v_lshlrev_b32_e32 v2, 3, v0
	v_mov_b32_e32 v18, v1
	v_mov_b32_e32 v19, v1
	;; [unrolled: 1-line block ×4, first 2 shown]
	v_add_co_u32 v2, s1, s3, v2
	v_add_co_ci_u32_e64 v3, null, s13, 0, s1
	flat_load_dwordx2 v[16:17], v[2:3]
	s_waitcnt vmcnt(0) lgkmcnt(0)
	v_mov_b32_e32 v1, v16
	v_mov_b32_e32 v2, v17
	;; [unrolled: 1-line block ×6, first 2 shown]
	s_or_b32 exec_lo, exec_lo, s2
	s_and_saveexec_b32 s1, s0
	s_cbranch_execz .LBB1579_11
.LBB1579_137:
	v_lshlrev_b32_e32 v3, 3, v8
	v_add_co_u32 v3, s0, s3, v3
	v_add_co_ci_u32_e64 v4, null, s13, 0, s0
	flat_load_dwordx2 v[3:4], v[3:4]
	s_or_b32 exec_lo, exec_lo, s1
	v_mul_u32_u24_e32 v16, 3, v0
	s_and_saveexec_b32 s0, vcc_lo
	s_cbranch_execnz .LBB1579_12
	s_branch .LBB1579_13
	.section	.rodata,"a",@progbits
	.p2align	6, 0x0
	.amdhsa_kernel _ZN7rocprim17ROCPRIM_400000_NS6detail17trampoline_kernelINS0_14default_configENS1_27scan_by_key_config_selectorIixEEZZNS1_16scan_by_key_implILNS1_25lookback_scan_determinismE0ELb1ES3_N6thrust23THRUST_200600_302600_NS6detail15normal_iteratorINS9_10device_ptrIiEEEENSB_INSC_IxEEEESG_xNS9_4plusIvEENS9_8equal_toIvEExEE10hipError_tPvRmT2_T3_T4_T5_mT6_T7_P12ihipStream_tbENKUlT_T0_E_clISt17integral_constantIbLb0EES11_EEDaSW_SX_EUlSW_E_NS1_11comp_targetILNS1_3genE8ELNS1_11target_archE1030ELNS1_3gpuE2ELNS1_3repE0EEENS1_30default_config_static_selectorELNS0_4arch9wavefront6targetE0EEEvT1_
		.amdhsa_group_segment_fixed_size 6144
		.amdhsa_private_segment_fixed_size 0
		.amdhsa_kernarg_size 136
		.amdhsa_user_sgpr_count 6
		.amdhsa_user_sgpr_private_segment_buffer 1
		.amdhsa_user_sgpr_dispatch_ptr 0
		.amdhsa_user_sgpr_queue_ptr 0
		.amdhsa_user_sgpr_kernarg_segment_ptr 1
		.amdhsa_user_sgpr_dispatch_id 0
		.amdhsa_user_sgpr_flat_scratch_init 0
		.amdhsa_user_sgpr_private_segment_size 0
		.amdhsa_wavefront_size32 1
		.amdhsa_uses_dynamic_stack 0
		.amdhsa_system_sgpr_private_segment_wavefront_offset 0
		.amdhsa_system_sgpr_workgroup_id_x 1
		.amdhsa_system_sgpr_workgroup_id_y 0
		.amdhsa_system_sgpr_workgroup_id_z 0
		.amdhsa_system_sgpr_workgroup_info 0
		.amdhsa_system_vgpr_workitem_id 0
		.amdhsa_next_free_vgpr 48
		.amdhsa_next_free_sgpr 36
		.amdhsa_reserve_vcc 1
		.amdhsa_reserve_flat_scratch 1
		.amdhsa_float_round_mode_32 0
		.amdhsa_float_round_mode_16_64 0
		.amdhsa_float_denorm_mode_32 3
		.amdhsa_float_denorm_mode_16_64 3
		.amdhsa_dx10_clamp 1
		.amdhsa_ieee_mode 1
		.amdhsa_fp16_overflow 0
		.amdhsa_workgroup_processor_mode 1
		.amdhsa_memory_ordered 1
		.amdhsa_forward_progress 1
		.amdhsa_shared_vgpr_count 0
		.amdhsa_exception_fp_ieee_invalid_op 0
		.amdhsa_exception_fp_denorm_src 0
		.amdhsa_exception_fp_ieee_div_zero 0
		.amdhsa_exception_fp_ieee_overflow 0
		.amdhsa_exception_fp_ieee_underflow 0
		.amdhsa_exception_fp_ieee_inexact 0
		.amdhsa_exception_int_div_zero 0
	.end_amdhsa_kernel
	.section	.text._ZN7rocprim17ROCPRIM_400000_NS6detail17trampoline_kernelINS0_14default_configENS1_27scan_by_key_config_selectorIixEEZZNS1_16scan_by_key_implILNS1_25lookback_scan_determinismE0ELb1ES3_N6thrust23THRUST_200600_302600_NS6detail15normal_iteratorINS9_10device_ptrIiEEEENSB_INSC_IxEEEESG_xNS9_4plusIvEENS9_8equal_toIvEExEE10hipError_tPvRmT2_T3_T4_T5_mT6_T7_P12ihipStream_tbENKUlT_T0_E_clISt17integral_constantIbLb0EES11_EEDaSW_SX_EUlSW_E_NS1_11comp_targetILNS1_3genE8ELNS1_11target_archE1030ELNS1_3gpuE2ELNS1_3repE0EEENS1_30default_config_static_selectorELNS0_4arch9wavefront6targetE0EEEvT1_,"axG",@progbits,_ZN7rocprim17ROCPRIM_400000_NS6detail17trampoline_kernelINS0_14default_configENS1_27scan_by_key_config_selectorIixEEZZNS1_16scan_by_key_implILNS1_25lookback_scan_determinismE0ELb1ES3_N6thrust23THRUST_200600_302600_NS6detail15normal_iteratorINS9_10device_ptrIiEEEENSB_INSC_IxEEEESG_xNS9_4plusIvEENS9_8equal_toIvEExEE10hipError_tPvRmT2_T3_T4_T5_mT6_T7_P12ihipStream_tbENKUlT_T0_E_clISt17integral_constantIbLb0EES11_EEDaSW_SX_EUlSW_E_NS1_11comp_targetILNS1_3genE8ELNS1_11target_archE1030ELNS1_3gpuE2ELNS1_3repE0EEENS1_30default_config_static_selectorELNS0_4arch9wavefront6targetE0EEEvT1_,comdat
.Lfunc_end1579:
	.size	_ZN7rocprim17ROCPRIM_400000_NS6detail17trampoline_kernelINS0_14default_configENS1_27scan_by_key_config_selectorIixEEZZNS1_16scan_by_key_implILNS1_25lookback_scan_determinismE0ELb1ES3_N6thrust23THRUST_200600_302600_NS6detail15normal_iteratorINS9_10device_ptrIiEEEENSB_INSC_IxEEEESG_xNS9_4plusIvEENS9_8equal_toIvEExEE10hipError_tPvRmT2_T3_T4_T5_mT6_T7_P12ihipStream_tbENKUlT_T0_E_clISt17integral_constantIbLb0EES11_EEDaSW_SX_EUlSW_E_NS1_11comp_targetILNS1_3genE8ELNS1_11target_archE1030ELNS1_3gpuE2ELNS1_3repE0EEENS1_30default_config_static_selectorELNS0_4arch9wavefront6targetE0EEEvT1_, .Lfunc_end1579-_ZN7rocprim17ROCPRIM_400000_NS6detail17trampoline_kernelINS0_14default_configENS1_27scan_by_key_config_selectorIixEEZZNS1_16scan_by_key_implILNS1_25lookback_scan_determinismE0ELb1ES3_N6thrust23THRUST_200600_302600_NS6detail15normal_iteratorINS9_10device_ptrIiEEEENSB_INSC_IxEEEESG_xNS9_4plusIvEENS9_8equal_toIvEExEE10hipError_tPvRmT2_T3_T4_T5_mT6_T7_P12ihipStream_tbENKUlT_T0_E_clISt17integral_constantIbLb0EES11_EEDaSW_SX_EUlSW_E_NS1_11comp_targetILNS1_3genE8ELNS1_11target_archE1030ELNS1_3gpuE2ELNS1_3repE0EEENS1_30default_config_static_selectorELNS0_4arch9wavefront6targetE0EEEvT1_
                                        ; -- End function
	.set _ZN7rocprim17ROCPRIM_400000_NS6detail17trampoline_kernelINS0_14default_configENS1_27scan_by_key_config_selectorIixEEZZNS1_16scan_by_key_implILNS1_25lookback_scan_determinismE0ELb1ES3_N6thrust23THRUST_200600_302600_NS6detail15normal_iteratorINS9_10device_ptrIiEEEENSB_INSC_IxEEEESG_xNS9_4plusIvEENS9_8equal_toIvEExEE10hipError_tPvRmT2_T3_T4_T5_mT6_T7_P12ihipStream_tbENKUlT_T0_E_clISt17integral_constantIbLb0EES11_EEDaSW_SX_EUlSW_E_NS1_11comp_targetILNS1_3genE8ELNS1_11target_archE1030ELNS1_3gpuE2ELNS1_3repE0EEENS1_30default_config_static_selectorELNS0_4arch9wavefront6targetE0EEEvT1_.num_vgpr, 48
	.set _ZN7rocprim17ROCPRIM_400000_NS6detail17trampoline_kernelINS0_14default_configENS1_27scan_by_key_config_selectorIixEEZZNS1_16scan_by_key_implILNS1_25lookback_scan_determinismE0ELb1ES3_N6thrust23THRUST_200600_302600_NS6detail15normal_iteratorINS9_10device_ptrIiEEEENSB_INSC_IxEEEESG_xNS9_4plusIvEENS9_8equal_toIvEExEE10hipError_tPvRmT2_T3_T4_T5_mT6_T7_P12ihipStream_tbENKUlT_T0_E_clISt17integral_constantIbLb0EES11_EEDaSW_SX_EUlSW_E_NS1_11comp_targetILNS1_3genE8ELNS1_11target_archE1030ELNS1_3gpuE2ELNS1_3repE0EEENS1_30default_config_static_selectorELNS0_4arch9wavefront6targetE0EEEvT1_.num_agpr, 0
	.set _ZN7rocprim17ROCPRIM_400000_NS6detail17trampoline_kernelINS0_14default_configENS1_27scan_by_key_config_selectorIixEEZZNS1_16scan_by_key_implILNS1_25lookback_scan_determinismE0ELb1ES3_N6thrust23THRUST_200600_302600_NS6detail15normal_iteratorINS9_10device_ptrIiEEEENSB_INSC_IxEEEESG_xNS9_4plusIvEENS9_8equal_toIvEExEE10hipError_tPvRmT2_T3_T4_T5_mT6_T7_P12ihipStream_tbENKUlT_T0_E_clISt17integral_constantIbLb0EES11_EEDaSW_SX_EUlSW_E_NS1_11comp_targetILNS1_3genE8ELNS1_11target_archE1030ELNS1_3gpuE2ELNS1_3repE0EEENS1_30default_config_static_selectorELNS0_4arch9wavefront6targetE0EEEvT1_.numbered_sgpr, 36
	.set _ZN7rocprim17ROCPRIM_400000_NS6detail17trampoline_kernelINS0_14default_configENS1_27scan_by_key_config_selectorIixEEZZNS1_16scan_by_key_implILNS1_25lookback_scan_determinismE0ELb1ES3_N6thrust23THRUST_200600_302600_NS6detail15normal_iteratorINS9_10device_ptrIiEEEENSB_INSC_IxEEEESG_xNS9_4plusIvEENS9_8equal_toIvEExEE10hipError_tPvRmT2_T3_T4_T5_mT6_T7_P12ihipStream_tbENKUlT_T0_E_clISt17integral_constantIbLb0EES11_EEDaSW_SX_EUlSW_E_NS1_11comp_targetILNS1_3genE8ELNS1_11target_archE1030ELNS1_3gpuE2ELNS1_3repE0EEENS1_30default_config_static_selectorELNS0_4arch9wavefront6targetE0EEEvT1_.num_named_barrier, 0
	.set _ZN7rocprim17ROCPRIM_400000_NS6detail17trampoline_kernelINS0_14default_configENS1_27scan_by_key_config_selectorIixEEZZNS1_16scan_by_key_implILNS1_25lookback_scan_determinismE0ELb1ES3_N6thrust23THRUST_200600_302600_NS6detail15normal_iteratorINS9_10device_ptrIiEEEENSB_INSC_IxEEEESG_xNS9_4plusIvEENS9_8equal_toIvEExEE10hipError_tPvRmT2_T3_T4_T5_mT6_T7_P12ihipStream_tbENKUlT_T0_E_clISt17integral_constantIbLb0EES11_EEDaSW_SX_EUlSW_E_NS1_11comp_targetILNS1_3genE8ELNS1_11target_archE1030ELNS1_3gpuE2ELNS1_3repE0EEENS1_30default_config_static_selectorELNS0_4arch9wavefront6targetE0EEEvT1_.private_seg_size, 0
	.set _ZN7rocprim17ROCPRIM_400000_NS6detail17trampoline_kernelINS0_14default_configENS1_27scan_by_key_config_selectorIixEEZZNS1_16scan_by_key_implILNS1_25lookback_scan_determinismE0ELb1ES3_N6thrust23THRUST_200600_302600_NS6detail15normal_iteratorINS9_10device_ptrIiEEEENSB_INSC_IxEEEESG_xNS9_4plusIvEENS9_8equal_toIvEExEE10hipError_tPvRmT2_T3_T4_T5_mT6_T7_P12ihipStream_tbENKUlT_T0_E_clISt17integral_constantIbLb0EES11_EEDaSW_SX_EUlSW_E_NS1_11comp_targetILNS1_3genE8ELNS1_11target_archE1030ELNS1_3gpuE2ELNS1_3repE0EEENS1_30default_config_static_selectorELNS0_4arch9wavefront6targetE0EEEvT1_.uses_vcc, 1
	.set _ZN7rocprim17ROCPRIM_400000_NS6detail17trampoline_kernelINS0_14default_configENS1_27scan_by_key_config_selectorIixEEZZNS1_16scan_by_key_implILNS1_25lookback_scan_determinismE0ELb1ES3_N6thrust23THRUST_200600_302600_NS6detail15normal_iteratorINS9_10device_ptrIiEEEENSB_INSC_IxEEEESG_xNS9_4plusIvEENS9_8equal_toIvEExEE10hipError_tPvRmT2_T3_T4_T5_mT6_T7_P12ihipStream_tbENKUlT_T0_E_clISt17integral_constantIbLb0EES11_EEDaSW_SX_EUlSW_E_NS1_11comp_targetILNS1_3genE8ELNS1_11target_archE1030ELNS1_3gpuE2ELNS1_3repE0EEENS1_30default_config_static_selectorELNS0_4arch9wavefront6targetE0EEEvT1_.uses_flat_scratch, 1
	.set _ZN7rocprim17ROCPRIM_400000_NS6detail17trampoline_kernelINS0_14default_configENS1_27scan_by_key_config_selectorIixEEZZNS1_16scan_by_key_implILNS1_25lookback_scan_determinismE0ELb1ES3_N6thrust23THRUST_200600_302600_NS6detail15normal_iteratorINS9_10device_ptrIiEEEENSB_INSC_IxEEEESG_xNS9_4plusIvEENS9_8equal_toIvEExEE10hipError_tPvRmT2_T3_T4_T5_mT6_T7_P12ihipStream_tbENKUlT_T0_E_clISt17integral_constantIbLb0EES11_EEDaSW_SX_EUlSW_E_NS1_11comp_targetILNS1_3genE8ELNS1_11target_archE1030ELNS1_3gpuE2ELNS1_3repE0EEENS1_30default_config_static_selectorELNS0_4arch9wavefront6targetE0EEEvT1_.has_dyn_sized_stack, 0
	.set _ZN7rocprim17ROCPRIM_400000_NS6detail17trampoline_kernelINS0_14default_configENS1_27scan_by_key_config_selectorIixEEZZNS1_16scan_by_key_implILNS1_25lookback_scan_determinismE0ELb1ES3_N6thrust23THRUST_200600_302600_NS6detail15normal_iteratorINS9_10device_ptrIiEEEENSB_INSC_IxEEEESG_xNS9_4plusIvEENS9_8equal_toIvEExEE10hipError_tPvRmT2_T3_T4_T5_mT6_T7_P12ihipStream_tbENKUlT_T0_E_clISt17integral_constantIbLb0EES11_EEDaSW_SX_EUlSW_E_NS1_11comp_targetILNS1_3genE8ELNS1_11target_archE1030ELNS1_3gpuE2ELNS1_3repE0EEENS1_30default_config_static_selectorELNS0_4arch9wavefront6targetE0EEEvT1_.has_recursion, 0
	.set _ZN7rocprim17ROCPRIM_400000_NS6detail17trampoline_kernelINS0_14default_configENS1_27scan_by_key_config_selectorIixEEZZNS1_16scan_by_key_implILNS1_25lookback_scan_determinismE0ELb1ES3_N6thrust23THRUST_200600_302600_NS6detail15normal_iteratorINS9_10device_ptrIiEEEENSB_INSC_IxEEEESG_xNS9_4plusIvEENS9_8equal_toIvEExEE10hipError_tPvRmT2_T3_T4_T5_mT6_T7_P12ihipStream_tbENKUlT_T0_E_clISt17integral_constantIbLb0EES11_EEDaSW_SX_EUlSW_E_NS1_11comp_targetILNS1_3genE8ELNS1_11target_archE1030ELNS1_3gpuE2ELNS1_3repE0EEENS1_30default_config_static_selectorELNS0_4arch9wavefront6targetE0EEEvT1_.has_indirect_call, 0
	.section	.AMDGPU.csdata,"",@progbits
; Kernel info:
; codeLenInByte = 7628
; TotalNumSgprs: 38
; NumVgprs: 48
; ScratchSize: 0
; MemoryBound: 0
; FloatMode: 240
; IeeeMode: 1
; LDSByteSize: 6144 bytes/workgroup (compile time only)
; SGPRBlocks: 0
; VGPRBlocks: 5
; NumSGPRsForWavesPerEU: 38
; NumVGPRsForWavesPerEU: 48
; Occupancy: 16
; WaveLimiterHint : 1
; COMPUTE_PGM_RSRC2:SCRATCH_EN: 0
; COMPUTE_PGM_RSRC2:USER_SGPR: 6
; COMPUTE_PGM_RSRC2:TRAP_HANDLER: 0
; COMPUTE_PGM_RSRC2:TGID_X_EN: 1
; COMPUTE_PGM_RSRC2:TGID_Y_EN: 0
; COMPUTE_PGM_RSRC2:TGID_Z_EN: 0
; COMPUTE_PGM_RSRC2:TIDIG_COMP_CNT: 0
	.section	.text._ZN7rocprim17ROCPRIM_400000_NS6detail17trampoline_kernelINS0_14default_configENS1_27scan_by_key_config_selectorIixEEZZNS1_16scan_by_key_implILNS1_25lookback_scan_determinismE0ELb1ES3_N6thrust23THRUST_200600_302600_NS6detail15normal_iteratorINS9_10device_ptrIiEEEENSB_INSC_IxEEEESG_xNS9_4plusIvEENS9_8equal_toIvEExEE10hipError_tPvRmT2_T3_T4_T5_mT6_T7_P12ihipStream_tbENKUlT_T0_E_clISt17integral_constantIbLb1EES11_EEDaSW_SX_EUlSW_E_NS1_11comp_targetILNS1_3genE0ELNS1_11target_archE4294967295ELNS1_3gpuE0ELNS1_3repE0EEENS1_30default_config_static_selectorELNS0_4arch9wavefront6targetE0EEEvT1_,"axG",@progbits,_ZN7rocprim17ROCPRIM_400000_NS6detail17trampoline_kernelINS0_14default_configENS1_27scan_by_key_config_selectorIixEEZZNS1_16scan_by_key_implILNS1_25lookback_scan_determinismE0ELb1ES3_N6thrust23THRUST_200600_302600_NS6detail15normal_iteratorINS9_10device_ptrIiEEEENSB_INSC_IxEEEESG_xNS9_4plusIvEENS9_8equal_toIvEExEE10hipError_tPvRmT2_T3_T4_T5_mT6_T7_P12ihipStream_tbENKUlT_T0_E_clISt17integral_constantIbLb1EES11_EEDaSW_SX_EUlSW_E_NS1_11comp_targetILNS1_3genE0ELNS1_11target_archE4294967295ELNS1_3gpuE0ELNS1_3repE0EEENS1_30default_config_static_selectorELNS0_4arch9wavefront6targetE0EEEvT1_,comdat
	.protected	_ZN7rocprim17ROCPRIM_400000_NS6detail17trampoline_kernelINS0_14default_configENS1_27scan_by_key_config_selectorIixEEZZNS1_16scan_by_key_implILNS1_25lookback_scan_determinismE0ELb1ES3_N6thrust23THRUST_200600_302600_NS6detail15normal_iteratorINS9_10device_ptrIiEEEENSB_INSC_IxEEEESG_xNS9_4plusIvEENS9_8equal_toIvEExEE10hipError_tPvRmT2_T3_T4_T5_mT6_T7_P12ihipStream_tbENKUlT_T0_E_clISt17integral_constantIbLb1EES11_EEDaSW_SX_EUlSW_E_NS1_11comp_targetILNS1_3genE0ELNS1_11target_archE4294967295ELNS1_3gpuE0ELNS1_3repE0EEENS1_30default_config_static_selectorELNS0_4arch9wavefront6targetE0EEEvT1_ ; -- Begin function _ZN7rocprim17ROCPRIM_400000_NS6detail17trampoline_kernelINS0_14default_configENS1_27scan_by_key_config_selectorIixEEZZNS1_16scan_by_key_implILNS1_25lookback_scan_determinismE0ELb1ES3_N6thrust23THRUST_200600_302600_NS6detail15normal_iteratorINS9_10device_ptrIiEEEENSB_INSC_IxEEEESG_xNS9_4plusIvEENS9_8equal_toIvEExEE10hipError_tPvRmT2_T3_T4_T5_mT6_T7_P12ihipStream_tbENKUlT_T0_E_clISt17integral_constantIbLb1EES11_EEDaSW_SX_EUlSW_E_NS1_11comp_targetILNS1_3genE0ELNS1_11target_archE4294967295ELNS1_3gpuE0ELNS1_3repE0EEENS1_30default_config_static_selectorELNS0_4arch9wavefront6targetE0EEEvT1_
	.globl	_ZN7rocprim17ROCPRIM_400000_NS6detail17trampoline_kernelINS0_14default_configENS1_27scan_by_key_config_selectorIixEEZZNS1_16scan_by_key_implILNS1_25lookback_scan_determinismE0ELb1ES3_N6thrust23THRUST_200600_302600_NS6detail15normal_iteratorINS9_10device_ptrIiEEEENSB_INSC_IxEEEESG_xNS9_4plusIvEENS9_8equal_toIvEExEE10hipError_tPvRmT2_T3_T4_T5_mT6_T7_P12ihipStream_tbENKUlT_T0_E_clISt17integral_constantIbLb1EES11_EEDaSW_SX_EUlSW_E_NS1_11comp_targetILNS1_3genE0ELNS1_11target_archE4294967295ELNS1_3gpuE0ELNS1_3repE0EEENS1_30default_config_static_selectorELNS0_4arch9wavefront6targetE0EEEvT1_
	.p2align	8
	.type	_ZN7rocprim17ROCPRIM_400000_NS6detail17trampoline_kernelINS0_14default_configENS1_27scan_by_key_config_selectorIixEEZZNS1_16scan_by_key_implILNS1_25lookback_scan_determinismE0ELb1ES3_N6thrust23THRUST_200600_302600_NS6detail15normal_iteratorINS9_10device_ptrIiEEEENSB_INSC_IxEEEESG_xNS9_4plusIvEENS9_8equal_toIvEExEE10hipError_tPvRmT2_T3_T4_T5_mT6_T7_P12ihipStream_tbENKUlT_T0_E_clISt17integral_constantIbLb1EES11_EEDaSW_SX_EUlSW_E_NS1_11comp_targetILNS1_3genE0ELNS1_11target_archE4294967295ELNS1_3gpuE0ELNS1_3repE0EEENS1_30default_config_static_selectorELNS0_4arch9wavefront6targetE0EEEvT1_,@function
_ZN7rocprim17ROCPRIM_400000_NS6detail17trampoline_kernelINS0_14default_configENS1_27scan_by_key_config_selectorIixEEZZNS1_16scan_by_key_implILNS1_25lookback_scan_determinismE0ELb1ES3_N6thrust23THRUST_200600_302600_NS6detail15normal_iteratorINS9_10device_ptrIiEEEENSB_INSC_IxEEEESG_xNS9_4plusIvEENS9_8equal_toIvEExEE10hipError_tPvRmT2_T3_T4_T5_mT6_T7_P12ihipStream_tbENKUlT_T0_E_clISt17integral_constantIbLb1EES11_EEDaSW_SX_EUlSW_E_NS1_11comp_targetILNS1_3genE0ELNS1_11target_archE4294967295ELNS1_3gpuE0ELNS1_3repE0EEENS1_30default_config_static_selectorELNS0_4arch9wavefront6targetE0EEEvT1_: ; @_ZN7rocprim17ROCPRIM_400000_NS6detail17trampoline_kernelINS0_14default_configENS1_27scan_by_key_config_selectorIixEEZZNS1_16scan_by_key_implILNS1_25lookback_scan_determinismE0ELb1ES3_N6thrust23THRUST_200600_302600_NS6detail15normal_iteratorINS9_10device_ptrIiEEEENSB_INSC_IxEEEESG_xNS9_4plusIvEENS9_8equal_toIvEExEE10hipError_tPvRmT2_T3_T4_T5_mT6_T7_P12ihipStream_tbENKUlT_T0_E_clISt17integral_constantIbLb1EES11_EEDaSW_SX_EUlSW_E_NS1_11comp_targetILNS1_3genE0ELNS1_11target_archE4294967295ELNS1_3gpuE0ELNS1_3repE0EEENS1_30default_config_static_selectorELNS0_4arch9wavefront6targetE0EEEvT1_
; %bb.0:
	.section	.rodata,"a",@progbits
	.p2align	6, 0x0
	.amdhsa_kernel _ZN7rocprim17ROCPRIM_400000_NS6detail17trampoline_kernelINS0_14default_configENS1_27scan_by_key_config_selectorIixEEZZNS1_16scan_by_key_implILNS1_25lookback_scan_determinismE0ELb1ES3_N6thrust23THRUST_200600_302600_NS6detail15normal_iteratorINS9_10device_ptrIiEEEENSB_INSC_IxEEEESG_xNS9_4plusIvEENS9_8equal_toIvEExEE10hipError_tPvRmT2_T3_T4_T5_mT6_T7_P12ihipStream_tbENKUlT_T0_E_clISt17integral_constantIbLb1EES11_EEDaSW_SX_EUlSW_E_NS1_11comp_targetILNS1_3genE0ELNS1_11target_archE4294967295ELNS1_3gpuE0ELNS1_3repE0EEENS1_30default_config_static_selectorELNS0_4arch9wavefront6targetE0EEEvT1_
		.amdhsa_group_segment_fixed_size 0
		.amdhsa_private_segment_fixed_size 0
		.amdhsa_kernarg_size 136
		.amdhsa_user_sgpr_count 6
		.amdhsa_user_sgpr_private_segment_buffer 1
		.amdhsa_user_sgpr_dispatch_ptr 0
		.amdhsa_user_sgpr_queue_ptr 0
		.amdhsa_user_sgpr_kernarg_segment_ptr 1
		.amdhsa_user_sgpr_dispatch_id 0
		.amdhsa_user_sgpr_flat_scratch_init 0
		.amdhsa_user_sgpr_private_segment_size 0
		.amdhsa_wavefront_size32 1
		.amdhsa_uses_dynamic_stack 0
		.amdhsa_system_sgpr_private_segment_wavefront_offset 0
		.amdhsa_system_sgpr_workgroup_id_x 1
		.amdhsa_system_sgpr_workgroup_id_y 0
		.amdhsa_system_sgpr_workgroup_id_z 0
		.amdhsa_system_sgpr_workgroup_info 0
		.amdhsa_system_vgpr_workitem_id 0
		.amdhsa_next_free_vgpr 1
		.amdhsa_next_free_sgpr 1
		.amdhsa_reserve_vcc 0
		.amdhsa_reserve_flat_scratch 0
		.amdhsa_float_round_mode_32 0
		.amdhsa_float_round_mode_16_64 0
		.amdhsa_float_denorm_mode_32 3
		.amdhsa_float_denorm_mode_16_64 3
		.amdhsa_dx10_clamp 1
		.amdhsa_ieee_mode 1
		.amdhsa_fp16_overflow 0
		.amdhsa_workgroup_processor_mode 1
		.amdhsa_memory_ordered 1
		.amdhsa_forward_progress 1
		.amdhsa_shared_vgpr_count 0
		.amdhsa_exception_fp_ieee_invalid_op 0
		.amdhsa_exception_fp_denorm_src 0
		.amdhsa_exception_fp_ieee_div_zero 0
		.amdhsa_exception_fp_ieee_overflow 0
		.amdhsa_exception_fp_ieee_underflow 0
		.amdhsa_exception_fp_ieee_inexact 0
		.amdhsa_exception_int_div_zero 0
	.end_amdhsa_kernel
	.section	.text._ZN7rocprim17ROCPRIM_400000_NS6detail17trampoline_kernelINS0_14default_configENS1_27scan_by_key_config_selectorIixEEZZNS1_16scan_by_key_implILNS1_25lookback_scan_determinismE0ELb1ES3_N6thrust23THRUST_200600_302600_NS6detail15normal_iteratorINS9_10device_ptrIiEEEENSB_INSC_IxEEEESG_xNS9_4plusIvEENS9_8equal_toIvEExEE10hipError_tPvRmT2_T3_T4_T5_mT6_T7_P12ihipStream_tbENKUlT_T0_E_clISt17integral_constantIbLb1EES11_EEDaSW_SX_EUlSW_E_NS1_11comp_targetILNS1_3genE0ELNS1_11target_archE4294967295ELNS1_3gpuE0ELNS1_3repE0EEENS1_30default_config_static_selectorELNS0_4arch9wavefront6targetE0EEEvT1_,"axG",@progbits,_ZN7rocprim17ROCPRIM_400000_NS6detail17trampoline_kernelINS0_14default_configENS1_27scan_by_key_config_selectorIixEEZZNS1_16scan_by_key_implILNS1_25lookback_scan_determinismE0ELb1ES3_N6thrust23THRUST_200600_302600_NS6detail15normal_iteratorINS9_10device_ptrIiEEEENSB_INSC_IxEEEESG_xNS9_4plusIvEENS9_8equal_toIvEExEE10hipError_tPvRmT2_T3_T4_T5_mT6_T7_P12ihipStream_tbENKUlT_T0_E_clISt17integral_constantIbLb1EES11_EEDaSW_SX_EUlSW_E_NS1_11comp_targetILNS1_3genE0ELNS1_11target_archE4294967295ELNS1_3gpuE0ELNS1_3repE0EEENS1_30default_config_static_selectorELNS0_4arch9wavefront6targetE0EEEvT1_,comdat
.Lfunc_end1580:
	.size	_ZN7rocprim17ROCPRIM_400000_NS6detail17trampoline_kernelINS0_14default_configENS1_27scan_by_key_config_selectorIixEEZZNS1_16scan_by_key_implILNS1_25lookback_scan_determinismE0ELb1ES3_N6thrust23THRUST_200600_302600_NS6detail15normal_iteratorINS9_10device_ptrIiEEEENSB_INSC_IxEEEESG_xNS9_4plusIvEENS9_8equal_toIvEExEE10hipError_tPvRmT2_T3_T4_T5_mT6_T7_P12ihipStream_tbENKUlT_T0_E_clISt17integral_constantIbLb1EES11_EEDaSW_SX_EUlSW_E_NS1_11comp_targetILNS1_3genE0ELNS1_11target_archE4294967295ELNS1_3gpuE0ELNS1_3repE0EEENS1_30default_config_static_selectorELNS0_4arch9wavefront6targetE0EEEvT1_, .Lfunc_end1580-_ZN7rocprim17ROCPRIM_400000_NS6detail17trampoline_kernelINS0_14default_configENS1_27scan_by_key_config_selectorIixEEZZNS1_16scan_by_key_implILNS1_25lookback_scan_determinismE0ELb1ES3_N6thrust23THRUST_200600_302600_NS6detail15normal_iteratorINS9_10device_ptrIiEEEENSB_INSC_IxEEEESG_xNS9_4plusIvEENS9_8equal_toIvEExEE10hipError_tPvRmT2_T3_T4_T5_mT6_T7_P12ihipStream_tbENKUlT_T0_E_clISt17integral_constantIbLb1EES11_EEDaSW_SX_EUlSW_E_NS1_11comp_targetILNS1_3genE0ELNS1_11target_archE4294967295ELNS1_3gpuE0ELNS1_3repE0EEENS1_30default_config_static_selectorELNS0_4arch9wavefront6targetE0EEEvT1_
                                        ; -- End function
	.set _ZN7rocprim17ROCPRIM_400000_NS6detail17trampoline_kernelINS0_14default_configENS1_27scan_by_key_config_selectorIixEEZZNS1_16scan_by_key_implILNS1_25lookback_scan_determinismE0ELb1ES3_N6thrust23THRUST_200600_302600_NS6detail15normal_iteratorINS9_10device_ptrIiEEEENSB_INSC_IxEEEESG_xNS9_4plusIvEENS9_8equal_toIvEExEE10hipError_tPvRmT2_T3_T4_T5_mT6_T7_P12ihipStream_tbENKUlT_T0_E_clISt17integral_constantIbLb1EES11_EEDaSW_SX_EUlSW_E_NS1_11comp_targetILNS1_3genE0ELNS1_11target_archE4294967295ELNS1_3gpuE0ELNS1_3repE0EEENS1_30default_config_static_selectorELNS0_4arch9wavefront6targetE0EEEvT1_.num_vgpr, 0
	.set _ZN7rocprim17ROCPRIM_400000_NS6detail17trampoline_kernelINS0_14default_configENS1_27scan_by_key_config_selectorIixEEZZNS1_16scan_by_key_implILNS1_25lookback_scan_determinismE0ELb1ES3_N6thrust23THRUST_200600_302600_NS6detail15normal_iteratorINS9_10device_ptrIiEEEENSB_INSC_IxEEEESG_xNS9_4plusIvEENS9_8equal_toIvEExEE10hipError_tPvRmT2_T3_T4_T5_mT6_T7_P12ihipStream_tbENKUlT_T0_E_clISt17integral_constantIbLb1EES11_EEDaSW_SX_EUlSW_E_NS1_11comp_targetILNS1_3genE0ELNS1_11target_archE4294967295ELNS1_3gpuE0ELNS1_3repE0EEENS1_30default_config_static_selectorELNS0_4arch9wavefront6targetE0EEEvT1_.num_agpr, 0
	.set _ZN7rocprim17ROCPRIM_400000_NS6detail17trampoline_kernelINS0_14default_configENS1_27scan_by_key_config_selectorIixEEZZNS1_16scan_by_key_implILNS1_25lookback_scan_determinismE0ELb1ES3_N6thrust23THRUST_200600_302600_NS6detail15normal_iteratorINS9_10device_ptrIiEEEENSB_INSC_IxEEEESG_xNS9_4plusIvEENS9_8equal_toIvEExEE10hipError_tPvRmT2_T3_T4_T5_mT6_T7_P12ihipStream_tbENKUlT_T0_E_clISt17integral_constantIbLb1EES11_EEDaSW_SX_EUlSW_E_NS1_11comp_targetILNS1_3genE0ELNS1_11target_archE4294967295ELNS1_3gpuE0ELNS1_3repE0EEENS1_30default_config_static_selectorELNS0_4arch9wavefront6targetE0EEEvT1_.numbered_sgpr, 0
	.set _ZN7rocprim17ROCPRIM_400000_NS6detail17trampoline_kernelINS0_14default_configENS1_27scan_by_key_config_selectorIixEEZZNS1_16scan_by_key_implILNS1_25lookback_scan_determinismE0ELb1ES3_N6thrust23THRUST_200600_302600_NS6detail15normal_iteratorINS9_10device_ptrIiEEEENSB_INSC_IxEEEESG_xNS9_4plusIvEENS9_8equal_toIvEExEE10hipError_tPvRmT2_T3_T4_T5_mT6_T7_P12ihipStream_tbENKUlT_T0_E_clISt17integral_constantIbLb1EES11_EEDaSW_SX_EUlSW_E_NS1_11comp_targetILNS1_3genE0ELNS1_11target_archE4294967295ELNS1_3gpuE0ELNS1_3repE0EEENS1_30default_config_static_selectorELNS0_4arch9wavefront6targetE0EEEvT1_.num_named_barrier, 0
	.set _ZN7rocprim17ROCPRIM_400000_NS6detail17trampoline_kernelINS0_14default_configENS1_27scan_by_key_config_selectorIixEEZZNS1_16scan_by_key_implILNS1_25lookback_scan_determinismE0ELb1ES3_N6thrust23THRUST_200600_302600_NS6detail15normal_iteratorINS9_10device_ptrIiEEEENSB_INSC_IxEEEESG_xNS9_4plusIvEENS9_8equal_toIvEExEE10hipError_tPvRmT2_T3_T4_T5_mT6_T7_P12ihipStream_tbENKUlT_T0_E_clISt17integral_constantIbLb1EES11_EEDaSW_SX_EUlSW_E_NS1_11comp_targetILNS1_3genE0ELNS1_11target_archE4294967295ELNS1_3gpuE0ELNS1_3repE0EEENS1_30default_config_static_selectorELNS0_4arch9wavefront6targetE0EEEvT1_.private_seg_size, 0
	.set _ZN7rocprim17ROCPRIM_400000_NS6detail17trampoline_kernelINS0_14default_configENS1_27scan_by_key_config_selectorIixEEZZNS1_16scan_by_key_implILNS1_25lookback_scan_determinismE0ELb1ES3_N6thrust23THRUST_200600_302600_NS6detail15normal_iteratorINS9_10device_ptrIiEEEENSB_INSC_IxEEEESG_xNS9_4plusIvEENS9_8equal_toIvEExEE10hipError_tPvRmT2_T3_T4_T5_mT6_T7_P12ihipStream_tbENKUlT_T0_E_clISt17integral_constantIbLb1EES11_EEDaSW_SX_EUlSW_E_NS1_11comp_targetILNS1_3genE0ELNS1_11target_archE4294967295ELNS1_3gpuE0ELNS1_3repE0EEENS1_30default_config_static_selectorELNS0_4arch9wavefront6targetE0EEEvT1_.uses_vcc, 0
	.set _ZN7rocprim17ROCPRIM_400000_NS6detail17trampoline_kernelINS0_14default_configENS1_27scan_by_key_config_selectorIixEEZZNS1_16scan_by_key_implILNS1_25lookback_scan_determinismE0ELb1ES3_N6thrust23THRUST_200600_302600_NS6detail15normal_iteratorINS9_10device_ptrIiEEEENSB_INSC_IxEEEESG_xNS9_4plusIvEENS9_8equal_toIvEExEE10hipError_tPvRmT2_T3_T4_T5_mT6_T7_P12ihipStream_tbENKUlT_T0_E_clISt17integral_constantIbLb1EES11_EEDaSW_SX_EUlSW_E_NS1_11comp_targetILNS1_3genE0ELNS1_11target_archE4294967295ELNS1_3gpuE0ELNS1_3repE0EEENS1_30default_config_static_selectorELNS0_4arch9wavefront6targetE0EEEvT1_.uses_flat_scratch, 0
	.set _ZN7rocprim17ROCPRIM_400000_NS6detail17trampoline_kernelINS0_14default_configENS1_27scan_by_key_config_selectorIixEEZZNS1_16scan_by_key_implILNS1_25lookback_scan_determinismE0ELb1ES3_N6thrust23THRUST_200600_302600_NS6detail15normal_iteratorINS9_10device_ptrIiEEEENSB_INSC_IxEEEESG_xNS9_4plusIvEENS9_8equal_toIvEExEE10hipError_tPvRmT2_T3_T4_T5_mT6_T7_P12ihipStream_tbENKUlT_T0_E_clISt17integral_constantIbLb1EES11_EEDaSW_SX_EUlSW_E_NS1_11comp_targetILNS1_3genE0ELNS1_11target_archE4294967295ELNS1_3gpuE0ELNS1_3repE0EEENS1_30default_config_static_selectorELNS0_4arch9wavefront6targetE0EEEvT1_.has_dyn_sized_stack, 0
	.set _ZN7rocprim17ROCPRIM_400000_NS6detail17trampoline_kernelINS0_14default_configENS1_27scan_by_key_config_selectorIixEEZZNS1_16scan_by_key_implILNS1_25lookback_scan_determinismE0ELb1ES3_N6thrust23THRUST_200600_302600_NS6detail15normal_iteratorINS9_10device_ptrIiEEEENSB_INSC_IxEEEESG_xNS9_4plusIvEENS9_8equal_toIvEExEE10hipError_tPvRmT2_T3_T4_T5_mT6_T7_P12ihipStream_tbENKUlT_T0_E_clISt17integral_constantIbLb1EES11_EEDaSW_SX_EUlSW_E_NS1_11comp_targetILNS1_3genE0ELNS1_11target_archE4294967295ELNS1_3gpuE0ELNS1_3repE0EEENS1_30default_config_static_selectorELNS0_4arch9wavefront6targetE0EEEvT1_.has_recursion, 0
	.set _ZN7rocprim17ROCPRIM_400000_NS6detail17trampoline_kernelINS0_14default_configENS1_27scan_by_key_config_selectorIixEEZZNS1_16scan_by_key_implILNS1_25lookback_scan_determinismE0ELb1ES3_N6thrust23THRUST_200600_302600_NS6detail15normal_iteratorINS9_10device_ptrIiEEEENSB_INSC_IxEEEESG_xNS9_4plusIvEENS9_8equal_toIvEExEE10hipError_tPvRmT2_T3_T4_T5_mT6_T7_P12ihipStream_tbENKUlT_T0_E_clISt17integral_constantIbLb1EES11_EEDaSW_SX_EUlSW_E_NS1_11comp_targetILNS1_3genE0ELNS1_11target_archE4294967295ELNS1_3gpuE0ELNS1_3repE0EEENS1_30default_config_static_selectorELNS0_4arch9wavefront6targetE0EEEvT1_.has_indirect_call, 0
	.section	.AMDGPU.csdata,"",@progbits
; Kernel info:
; codeLenInByte = 0
; TotalNumSgprs: 0
; NumVgprs: 0
; ScratchSize: 0
; MemoryBound: 0
; FloatMode: 240
; IeeeMode: 1
; LDSByteSize: 0 bytes/workgroup (compile time only)
; SGPRBlocks: 0
; VGPRBlocks: 0
; NumSGPRsForWavesPerEU: 1
; NumVGPRsForWavesPerEU: 1
; Occupancy: 16
; WaveLimiterHint : 0
; COMPUTE_PGM_RSRC2:SCRATCH_EN: 0
; COMPUTE_PGM_RSRC2:USER_SGPR: 6
; COMPUTE_PGM_RSRC2:TRAP_HANDLER: 0
; COMPUTE_PGM_RSRC2:TGID_X_EN: 1
; COMPUTE_PGM_RSRC2:TGID_Y_EN: 0
; COMPUTE_PGM_RSRC2:TGID_Z_EN: 0
; COMPUTE_PGM_RSRC2:TIDIG_COMP_CNT: 0
	.section	.text._ZN7rocprim17ROCPRIM_400000_NS6detail17trampoline_kernelINS0_14default_configENS1_27scan_by_key_config_selectorIixEEZZNS1_16scan_by_key_implILNS1_25lookback_scan_determinismE0ELb1ES3_N6thrust23THRUST_200600_302600_NS6detail15normal_iteratorINS9_10device_ptrIiEEEENSB_INSC_IxEEEESG_xNS9_4plusIvEENS9_8equal_toIvEExEE10hipError_tPvRmT2_T3_T4_T5_mT6_T7_P12ihipStream_tbENKUlT_T0_E_clISt17integral_constantIbLb1EES11_EEDaSW_SX_EUlSW_E_NS1_11comp_targetILNS1_3genE10ELNS1_11target_archE1201ELNS1_3gpuE5ELNS1_3repE0EEENS1_30default_config_static_selectorELNS0_4arch9wavefront6targetE0EEEvT1_,"axG",@progbits,_ZN7rocprim17ROCPRIM_400000_NS6detail17trampoline_kernelINS0_14default_configENS1_27scan_by_key_config_selectorIixEEZZNS1_16scan_by_key_implILNS1_25lookback_scan_determinismE0ELb1ES3_N6thrust23THRUST_200600_302600_NS6detail15normal_iteratorINS9_10device_ptrIiEEEENSB_INSC_IxEEEESG_xNS9_4plusIvEENS9_8equal_toIvEExEE10hipError_tPvRmT2_T3_T4_T5_mT6_T7_P12ihipStream_tbENKUlT_T0_E_clISt17integral_constantIbLb1EES11_EEDaSW_SX_EUlSW_E_NS1_11comp_targetILNS1_3genE10ELNS1_11target_archE1201ELNS1_3gpuE5ELNS1_3repE0EEENS1_30default_config_static_selectorELNS0_4arch9wavefront6targetE0EEEvT1_,comdat
	.protected	_ZN7rocprim17ROCPRIM_400000_NS6detail17trampoline_kernelINS0_14default_configENS1_27scan_by_key_config_selectorIixEEZZNS1_16scan_by_key_implILNS1_25lookback_scan_determinismE0ELb1ES3_N6thrust23THRUST_200600_302600_NS6detail15normal_iteratorINS9_10device_ptrIiEEEENSB_INSC_IxEEEESG_xNS9_4plusIvEENS9_8equal_toIvEExEE10hipError_tPvRmT2_T3_T4_T5_mT6_T7_P12ihipStream_tbENKUlT_T0_E_clISt17integral_constantIbLb1EES11_EEDaSW_SX_EUlSW_E_NS1_11comp_targetILNS1_3genE10ELNS1_11target_archE1201ELNS1_3gpuE5ELNS1_3repE0EEENS1_30default_config_static_selectorELNS0_4arch9wavefront6targetE0EEEvT1_ ; -- Begin function _ZN7rocprim17ROCPRIM_400000_NS6detail17trampoline_kernelINS0_14default_configENS1_27scan_by_key_config_selectorIixEEZZNS1_16scan_by_key_implILNS1_25lookback_scan_determinismE0ELb1ES3_N6thrust23THRUST_200600_302600_NS6detail15normal_iteratorINS9_10device_ptrIiEEEENSB_INSC_IxEEEESG_xNS9_4plusIvEENS9_8equal_toIvEExEE10hipError_tPvRmT2_T3_T4_T5_mT6_T7_P12ihipStream_tbENKUlT_T0_E_clISt17integral_constantIbLb1EES11_EEDaSW_SX_EUlSW_E_NS1_11comp_targetILNS1_3genE10ELNS1_11target_archE1201ELNS1_3gpuE5ELNS1_3repE0EEENS1_30default_config_static_selectorELNS0_4arch9wavefront6targetE0EEEvT1_
	.globl	_ZN7rocprim17ROCPRIM_400000_NS6detail17trampoline_kernelINS0_14default_configENS1_27scan_by_key_config_selectorIixEEZZNS1_16scan_by_key_implILNS1_25lookback_scan_determinismE0ELb1ES3_N6thrust23THRUST_200600_302600_NS6detail15normal_iteratorINS9_10device_ptrIiEEEENSB_INSC_IxEEEESG_xNS9_4plusIvEENS9_8equal_toIvEExEE10hipError_tPvRmT2_T3_T4_T5_mT6_T7_P12ihipStream_tbENKUlT_T0_E_clISt17integral_constantIbLb1EES11_EEDaSW_SX_EUlSW_E_NS1_11comp_targetILNS1_3genE10ELNS1_11target_archE1201ELNS1_3gpuE5ELNS1_3repE0EEENS1_30default_config_static_selectorELNS0_4arch9wavefront6targetE0EEEvT1_
	.p2align	8
	.type	_ZN7rocprim17ROCPRIM_400000_NS6detail17trampoline_kernelINS0_14default_configENS1_27scan_by_key_config_selectorIixEEZZNS1_16scan_by_key_implILNS1_25lookback_scan_determinismE0ELb1ES3_N6thrust23THRUST_200600_302600_NS6detail15normal_iteratorINS9_10device_ptrIiEEEENSB_INSC_IxEEEESG_xNS9_4plusIvEENS9_8equal_toIvEExEE10hipError_tPvRmT2_T3_T4_T5_mT6_T7_P12ihipStream_tbENKUlT_T0_E_clISt17integral_constantIbLb1EES11_EEDaSW_SX_EUlSW_E_NS1_11comp_targetILNS1_3genE10ELNS1_11target_archE1201ELNS1_3gpuE5ELNS1_3repE0EEENS1_30default_config_static_selectorELNS0_4arch9wavefront6targetE0EEEvT1_,@function
_ZN7rocprim17ROCPRIM_400000_NS6detail17trampoline_kernelINS0_14default_configENS1_27scan_by_key_config_selectorIixEEZZNS1_16scan_by_key_implILNS1_25lookback_scan_determinismE0ELb1ES3_N6thrust23THRUST_200600_302600_NS6detail15normal_iteratorINS9_10device_ptrIiEEEENSB_INSC_IxEEEESG_xNS9_4plusIvEENS9_8equal_toIvEExEE10hipError_tPvRmT2_T3_T4_T5_mT6_T7_P12ihipStream_tbENKUlT_T0_E_clISt17integral_constantIbLb1EES11_EEDaSW_SX_EUlSW_E_NS1_11comp_targetILNS1_3genE10ELNS1_11target_archE1201ELNS1_3gpuE5ELNS1_3repE0EEENS1_30default_config_static_selectorELNS0_4arch9wavefront6targetE0EEEvT1_: ; @_ZN7rocprim17ROCPRIM_400000_NS6detail17trampoline_kernelINS0_14default_configENS1_27scan_by_key_config_selectorIixEEZZNS1_16scan_by_key_implILNS1_25lookback_scan_determinismE0ELb1ES3_N6thrust23THRUST_200600_302600_NS6detail15normal_iteratorINS9_10device_ptrIiEEEENSB_INSC_IxEEEESG_xNS9_4plusIvEENS9_8equal_toIvEExEE10hipError_tPvRmT2_T3_T4_T5_mT6_T7_P12ihipStream_tbENKUlT_T0_E_clISt17integral_constantIbLb1EES11_EEDaSW_SX_EUlSW_E_NS1_11comp_targetILNS1_3genE10ELNS1_11target_archE1201ELNS1_3gpuE5ELNS1_3repE0EEENS1_30default_config_static_selectorELNS0_4arch9wavefront6targetE0EEEvT1_
; %bb.0:
	.section	.rodata,"a",@progbits
	.p2align	6, 0x0
	.amdhsa_kernel _ZN7rocprim17ROCPRIM_400000_NS6detail17trampoline_kernelINS0_14default_configENS1_27scan_by_key_config_selectorIixEEZZNS1_16scan_by_key_implILNS1_25lookback_scan_determinismE0ELb1ES3_N6thrust23THRUST_200600_302600_NS6detail15normal_iteratorINS9_10device_ptrIiEEEENSB_INSC_IxEEEESG_xNS9_4plusIvEENS9_8equal_toIvEExEE10hipError_tPvRmT2_T3_T4_T5_mT6_T7_P12ihipStream_tbENKUlT_T0_E_clISt17integral_constantIbLb1EES11_EEDaSW_SX_EUlSW_E_NS1_11comp_targetILNS1_3genE10ELNS1_11target_archE1201ELNS1_3gpuE5ELNS1_3repE0EEENS1_30default_config_static_selectorELNS0_4arch9wavefront6targetE0EEEvT1_
		.amdhsa_group_segment_fixed_size 0
		.amdhsa_private_segment_fixed_size 0
		.amdhsa_kernarg_size 136
		.amdhsa_user_sgpr_count 6
		.amdhsa_user_sgpr_private_segment_buffer 1
		.amdhsa_user_sgpr_dispatch_ptr 0
		.amdhsa_user_sgpr_queue_ptr 0
		.amdhsa_user_sgpr_kernarg_segment_ptr 1
		.amdhsa_user_sgpr_dispatch_id 0
		.amdhsa_user_sgpr_flat_scratch_init 0
		.amdhsa_user_sgpr_private_segment_size 0
		.amdhsa_wavefront_size32 1
		.amdhsa_uses_dynamic_stack 0
		.amdhsa_system_sgpr_private_segment_wavefront_offset 0
		.amdhsa_system_sgpr_workgroup_id_x 1
		.amdhsa_system_sgpr_workgroup_id_y 0
		.amdhsa_system_sgpr_workgroup_id_z 0
		.amdhsa_system_sgpr_workgroup_info 0
		.amdhsa_system_vgpr_workitem_id 0
		.amdhsa_next_free_vgpr 1
		.amdhsa_next_free_sgpr 1
		.amdhsa_reserve_vcc 0
		.amdhsa_reserve_flat_scratch 0
		.amdhsa_float_round_mode_32 0
		.amdhsa_float_round_mode_16_64 0
		.amdhsa_float_denorm_mode_32 3
		.amdhsa_float_denorm_mode_16_64 3
		.amdhsa_dx10_clamp 1
		.amdhsa_ieee_mode 1
		.amdhsa_fp16_overflow 0
		.amdhsa_workgroup_processor_mode 1
		.amdhsa_memory_ordered 1
		.amdhsa_forward_progress 1
		.amdhsa_shared_vgpr_count 0
		.amdhsa_exception_fp_ieee_invalid_op 0
		.amdhsa_exception_fp_denorm_src 0
		.amdhsa_exception_fp_ieee_div_zero 0
		.amdhsa_exception_fp_ieee_overflow 0
		.amdhsa_exception_fp_ieee_underflow 0
		.amdhsa_exception_fp_ieee_inexact 0
		.amdhsa_exception_int_div_zero 0
	.end_amdhsa_kernel
	.section	.text._ZN7rocprim17ROCPRIM_400000_NS6detail17trampoline_kernelINS0_14default_configENS1_27scan_by_key_config_selectorIixEEZZNS1_16scan_by_key_implILNS1_25lookback_scan_determinismE0ELb1ES3_N6thrust23THRUST_200600_302600_NS6detail15normal_iteratorINS9_10device_ptrIiEEEENSB_INSC_IxEEEESG_xNS9_4plusIvEENS9_8equal_toIvEExEE10hipError_tPvRmT2_T3_T4_T5_mT6_T7_P12ihipStream_tbENKUlT_T0_E_clISt17integral_constantIbLb1EES11_EEDaSW_SX_EUlSW_E_NS1_11comp_targetILNS1_3genE10ELNS1_11target_archE1201ELNS1_3gpuE5ELNS1_3repE0EEENS1_30default_config_static_selectorELNS0_4arch9wavefront6targetE0EEEvT1_,"axG",@progbits,_ZN7rocprim17ROCPRIM_400000_NS6detail17trampoline_kernelINS0_14default_configENS1_27scan_by_key_config_selectorIixEEZZNS1_16scan_by_key_implILNS1_25lookback_scan_determinismE0ELb1ES3_N6thrust23THRUST_200600_302600_NS6detail15normal_iteratorINS9_10device_ptrIiEEEENSB_INSC_IxEEEESG_xNS9_4plusIvEENS9_8equal_toIvEExEE10hipError_tPvRmT2_T3_T4_T5_mT6_T7_P12ihipStream_tbENKUlT_T0_E_clISt17integral_constantIbLb1EES11_EEDaSW_SX_EUlSW_E_NS1_11comp_targetILNS1_3genE10ELNS1_11target_archE1201ELNS1_3gpuE5ELNS1_3repE0EEENS1_30default_config_static_selectorELNS0_4arch9wavefront6targetE0EEEvT1_,comdat
.Lfunc_end1581:
	.size	_ZN7rocprim17ROCPRIM_400000_NS6detail17trampoline_kernelINS0_14default_configENS1_27scan_by_key_config_selectorIixEEZZNS1_16scan_by_key_implILNS1_25lookback_scan_determinismE0ELb1ES3_N6thrust23THRUST_200600_302600_NS6detail15normal_iteratorINS9_10device_ptrIiEEEENSB_INSC_IxEEEESG_xNS9_4plusIvEENS9_8equal_toIvEExEE10hipError_tPvRmT2_T3_T4_T5_mT6_T7_P12ihipStream_tbENKUlT_T0_E_clISt17integral_constantIbLb1EES11_EEDaSW_SX_EUlSW_E_NS1_11comp_targetILNS1_3genE10ELNS1_11target_archE1201ELNS1_3gpuE5ELNS1_3repE0EEENS1_30default_config_static_selectorELNS0_4arch9wavefront6targetE0EEEvT1_, .Lfunc_end1581-_ZN7rocprim17ROCPRIM_400000_NS6detail17trampoline_kernelINS0_14default_configENS1_27scan_by_key_config_selectorIixEEZZNS1_16scan_by_key_implILNS1_25lookback_scan_determinismE0ELb1ES3_N6thrust23THRUST_200600_302600_NS6detail15normal_iteratorINS9_10device_ptrIiEEEENSB_INSC_IxEEEESG_xNS9_4plusIvEENS9_8equal_toIvEExEE10hipError_tPvRmT2_T3_T4_T5_mT6_T7_P12ihipStream_tbENKUlT_T0_E_clISt17integral_constantIbLb1EES11_EEDaSW_SX_EUlSW_E_NS1_11comp_targetILNS1_3genE10ELNS1_11target_archE1201ELNS1_3gpuE5ELNS1_3repE0EEENS1_30default_config_static_selectorELNS0_4arch9wavefront6targetE0EEEvT1_
                                        ; -- End function
	.set _ZN7rocprim17ROCPRIM_400000_NS6detail17trampoline_kernelINS0_14default_configENS1_27scan_by_key_config_selectorIixEEZZNS1_16scan_by_key_implILNS1_25lookback_scan_determinismE0ELb1ES3_N6thrust23THRUST_200600_302600_NS6detail15normal_iteratorINS9_10device_ptrIiEEEENSB_INSC_IxEEEESG_xNS9_4plusIvEENS9_8equal_toIvEExEE10hipError_tPvRmT2_T3_T4_T5_mT6_T7_P12ihipStream_tbENKUlT_T0_E_clISt17integral_constantIbLb1EES11_EEDaSW_SX_EUlSW_E_NS1_11comp_targetILNS1_3genE10ELNS1_11target_archE1201ELNS1_3gpuE5ELNS1_3repE0EEENS1_30default_config_static_selectorELNS0_4arch9wavefront6targetE0EEEvT1_.num_vgpr, 0
	.set _ZN7rocprim17ROCPRIM_400000_NS6detail17trampoline_kernelINS0_14default_configENS1_27scan_by_key_config_selectorIixEEZZNS1_16scan_by_key_implILNS1_25lookback_scan_determinismE0ELb1ES3_N6thrust23THRUST_200600_302600_NS6detail15normal_iteratorINS9_10device_ptrIiEEEENSB_INSC_IxEEEESG_xNS9_4plusIvEENS9_8equal_toIvEExEE10hipError_tPvRmT2_T3_T4_T5_mT6_T7_P12ihipStream_tbENKUlT_T0_E_clISt17integral_constantIbLb1EES11_EEDaSW_SX_EUlSW_E_NS1_11comp_targetILNS1_3genE10ELNS1_11target_archE1201ELNS1_3gpuE5ELNS1_3repE0EEENS1_30default_config_static_selectorELNS0_4arch9wavefront6targetE0EEEvT1_.num_agpr, 0
	.set _ZN7rocprim17ROCPRIM_400000_NS6detail17trampoline_kernelINS0_14default_configENS1_27scan_by_key_config_selectorIixEEZZNS1_16scan_by_key_implILNS1_25lookback_scan_determinismE0ELb1ES3_N6thrust23THRUST_200600_302600_NS6detail15normal_iteratorINS9_10device_ptrIiEEEENSB_INSC_IxEEEESG_xNS9_4plusIvEENS9_8equal_toIvEExEE10hipError_tPvRmT2_T3_T4_T5_mT6_T7_P12ihipStream_tbENKUlT_T0_E_clISt17integral_constantIbLb1EES11_EEDaSW_SX_EUlSW_E_NS1_11comp_targetILNS1_3genE10ELNS1_11target_archE1201ELNS1_3gpuE5ELNS1_3repE0EEENS1_30default_config_static_selectorELNS0_4arch9wavefront6targetE0EEEvT1_.numbered_sgpr, 0
	.set _ZN7rocprim17ROCPRIM_400000_NS6detail17trampoline_kernelINS0_14default_configENS1_27scan_by_key_config_selectorIixEEZZNS1_16scan_by_key_implILNS1_25lookback_scan_determinismE0ELb1ES3_N6thrust23THRUST_200600_302600_NS6detail15normal_iteratorINS9_10device_ptrIiEEEENSB_INSC_IxEEEESG_xNS9_4plusIvEENS9_8equal_toIvEExEE10hipError_tPvRmT2_T3_T4_T5_mT6_T7_P12ihipStream_tbENKUlT_T0_E_clISt17integral_constantIbLb1EES11_EEDaSW_SX_EUlSW_E_NS1_11comp_targetILNS1_3genE10ELNS1_11target_archE1201ELNS1_3gpuE5ELNS1_3repE0EEENS1_30default_config_static_selectorELNS0_4arch9wavefront6targetE0EEEvT1_.num_named_barrier, 0
	.set _ZN7rocprim17ROCPRIM_400000_NS6detail17trampoline_kernelINS0_14default_configENS1_27scan_by_key_config_selectorIixEEZZNS1_16scan_by_key_implILNS1_25lookback_scan_determinismE0ELb1ES3_N6thrust23THRUST_200600_302600_NS6detail15normal_iteratorINS9_10device_ptrIiEEEENSB_INSC_IxEEEESG_xNS9_4plusIvEENS9_8equal_toIvEExEE10hipError_tPvRmT2_T3_T4_T5_mT6_T7_P12ihipStream_tbENKUlT_T0_E_clISt17integral_constantIbLb1EES11_EEDaSW_SX_EUlSW_E_NS1_11comp_targetILNS1_3genE10ELNS1_11target_archE1201ELNS1_3gpuE5ELNS1_3repE0EEENS1_30default_config_static_selectorELNS0_4arch9wavefront6targetE0EEEvT1_.private_seg_size, 0
	.set _ZN7rocprim17ROCPRIM_400000_NS6detail17trampoline_kernelINS0_14default_configENS1_27scan_by_key_config_selectorIixEEZZNS1_16scan_by_key_implILNS1_25lookback_scan_determinismE0ELb1ES3_N6thrust23THRUST_200600_302600_NS6detail15normal_iteratorINS9_10device_ptrIiEEEENSB_INSC_IxEEEESG_xNS9_4plusIvEENS9_8equal_toIvEExEE10hipError_tPvRmT2_T3_T4_T5_mT6_T7_P12ihipStream_tbENKUlT_T0_E_clISt17integral_constantIbLb1EES11_EEDaSW_SX_EUlSW_E_NS1_11comp_targetILNS1_3genE10ELNS1_11target_archE1201ELNS1_3gpuE5ELNS1_3repE0EEENS1_30default_config_static_selectorELNS0_4arch9wavefront6targetE0EEEvT1_.uses_vcc, 0
	.set _ZN7rocprim17ROCPRIM_400000_NS6detail17trampoline_kernelINS0_14default_configENS1_27scan_by_key_config_selectorIixEEZZNS1_16scan_by_key_implILNS1_25lookback_scan_determinismE0ELb1ES3_N6thrust23THRUST_200600_302600_NS6detail15normal_iteratorINS9_10device_ptrIiEEEENSB_INSC_IxEEEESG_xNS9_4plusIvEENS9_8equal_toIvEExEE10hipError_tPvRmT2_T3_T4_T5_mT6_T7_P12ihipStream_tbENKUlT_T0_E_clISt17integral_constantIbLb1EES11_EEDaSW_SX_EUlSW_E_NS1_11comp_targetILNS1_3genE10ELNS1_11target_archE1201ELNS1_3gpuE5ELNS1_3repE0EEENS1_30default_config_static_selectorELNS0_4arch9wavefront6targetE0EEEvT1_.uses_flat_scratch, 0
	.set _ZN7rocprim17ROCPRIM_400000_NS6detail17trampoline_kernelINS0_14default_configENS1_27scan_by_key_config_selectorIixEEZZNS1_16scan_by_key_implILNS1_25lookback_scan_determinismE0ELb1ES3_N6thrust23THRUST_200600_302600_NS6detail15normal_iteratorINS9_10device_ptrIiEEEENSB_INSC_IxEEEESG_xNS9_4plusIvEENS9_8equal_toIvEExEE10hipError_tPvRmT2_T3_T4_T5_mT6_T7_P12ihipStream_tbENKUlT_T0_E_clISt17integral_constantIbLb1EES11_EEDaSW_SX_EUlSW_E_NS1_11comp_targetILNS1_3genE10ELNS1_11target_archE1201ELNS1_3gpuE5ELNS1_3repE0EEENS1_30default_config_static_selectorELNS0_4arch9wavefront6targetE0EEEvT1_.has_dyn_sized_stack, 0
	.set _ZN7rocprim17ROCPRIM_400000_NS6detail17trampoline_kernelINS0_14default_configENS1_27scan_by_key_config_selectorIixEEZZNS1_16scan_by_key_implILNS1_25lookback_scan_determinismE0ELb1ES3_N6thrust23THRUST_200600_302600_NS6detail15normal_iteratorINS9_10device_ptrIiEEEENSB_INSC_IxEEEESG_xNS9_4plusIvEENS9_8equal_toIvEExEE10hipError_tPvRmT2_T3_T4_T5_mT6_T7_P12ihipStream_tbENKUlT_T0_E_clISt17integral_constantIbLb1EES11_EEDaSW_SX_EUlSW_E_NS1_11comp_targetILNS1_3genE10ELNS1_11target_archE1201ELNS1_3gpuE5ELNS1_3repE0EEENS1_30default_config_static_selectorELNS0_4arch9wavefront6targetE0EEEvT1_.has_recursion, 0
	.set _ZN7rocprim17ROCPRIM_400000_NS6detail17trampoline_kernelINS0_14default_configENS1_27scan_by_key_config_selectorIixEEZZNS1_16scan_by_key_implILNS1_25lookback_scan_determinismE0ELb1ES3_N6thrust23THRUST_200600_302600_NS6detail15normal_iteratorINS9_10device_ptrIiEEEENSB_INSC_IxEEEESG_xNS9_4plusIvEENS9_8equal_toIvEExEE10hipError_tPvRmT2_T3_T4_T5_mT6_T7_P12ihipStream_tbENKUlT_T0_E_clISt17integral_constantIbLb1EES11_EEDaSW_SX_EUlSW_E_NS1_11comp_targetILNS1_3genE10ELNS1_11target_archE1201ELNS1_3gpuE5ELNS1_3repE0EEENS1_30default_config_static_selectorELNS0_4arch9wavefront6targetE0EEEvT1_.has_indirect_call, 0
	.section	.AMDGPU.csdata,"",@progbits
; Kernel info:
; codeLenInByte = 0
; TotalNumSgprs: 0
; NumVgprs: 0
; ScratchSize: 0
; MemoryBound: 0
; FloatMode: 240
; IeeeMode: 1
; LDSByteSize: 0 bytes/workgroup (compile time only)
; SGPRBlocks: 0
; VGPRBlocks: 0
; NumSGPRsForWavesPerEU: 1
; NumVGPRsForWavesPerEU: 1
; Occupancy: 16
; WaveLimiterHint : 0
; COMPUTE_PGM_RSRC2:SCRATCH_EN: 0
; COMPUTE_PGM_RSRC2:USER_SGPR: 6
; COMPUTE_PGM_RSRC2:TRAP_HANDLER: 0
; COMPUTE_PGM_RSRC2:TGID_X_EN: 1
; COMPUTE_PGM_RSRC2:TGID_Y_EN: 0
; COMPUTE_PGM_RSRC2:TGID_Z_EN: 0
; COMPUTE_PGM_RSRC2:TIDIG_COMP_CNT: 0
	.section	.text._ZN7rocprim17ROCPRIM_400000_NS6detail17trampoline_kernelINS0_14default_configENS1_27scan_by_key_config_selectorIixEEZZNS1_16scan_by_key_implILNS1_25lookback_scan_determinismE0ELb1ES3_N6thrust23THRUST_200600_302600_NS6detail15normal_iteratorINS9_10device_ptrIiEEEENSB_INSC_IxEEEESG_xNS9_4plusIvEENS9_8equal_toIvEExEE10hipError_tPvRmT2_T3_T4_T5_mT6_T7_P12ihipStream_tbENKUlT_T0_E_clISt17integral_constantIbLb1EES11_EEDaSW_SX_EUlSW_E_NS1_11comp_targetILNS1_3genE5ELNS1_11target_archE942ELNS1_3gpuE9ELNS1_3repE0EEENS1_30default_config_static_selectorELNS0_4arch9wavefront6targetE0EEEvT1_,"axG",@progbits,_ZN7rocprim17ROCPRIM_400000_NS6detail17trampoline_kernelINS0_14default_configENS1_27scan_by_key_config_selectorIixEEZZNS1_16scan_by_key_implILNS1_25lookback_scan_determinismE0ELb1ES3_N6thrust23THRUST_200600_302600_NS6detail15normal_iteratorINS9_10device_ptrIiEEEENSB_INSC_IxEEEESG_xNS9_4plusIvEENS9_8equal_toIvEExEE10hipError_tPvRmT2_T3_T4_T5_mT6_T7_P12ihipStream_tbENKUlT_T0_E_clISt17integral_constantIbLb1EES11_EEDaSW_SX_EUlSW_E_NS1_11comp_targetILNS1_3genE5ELNS1_11target_archE942ELNS1_3gpuE9ELNS1_3repE0EEENS1_30default_config_static_selectorELNS0_4arch9wavefront6targetE0EEEvT1_,comdat
	.protected	_ZN7rocprim17ROCPRIM_400000_NS6detail17trampoline_kernelINS0_14default_configENS1_27scan_by_key_config_selectorIixEEZZNS1_16scan_by_key_implILNS1_25lookback_scan_determinismE0ELb1ES3_N6thrust23THRUST_200600_302600_NS6detail15normal_iteratorINS9_10device_ptrIiEEEENSB_INSC_IxEEEESG_xNS9_4plusIvEENS9_8equal_toIvEExEE10hipError_tPvRmT2_T3_T4_T5_mT6_T7_P12ihipStream_tbENKUlT_T0_E_clISt17integral_constantIbLb1EES11_EEDaSW_SX_EUlSW_E_NS1_11comp_targetILNS1_3genE5ELNS1_11target_archE942ELNS1_3gpuE9ELNS1_3repE0EEENS1_30default_config_static_selectorELNS0_4arch9wavefront6targetE0EEEvT1_ ; -- Begin function _ZN7rocprim17ROCPRIM_400000_NS6detail17trampoline_kernelINS0_14default_configENS1_27scan_by_key_config_selectorIixEEZZNS1_16scan_by_key_implILNS1_25lookback_scan_determinismE0ELb1ES3_N6thrust23THRUST_200600_302600_NS6detail15normal_iteratorINS9_10device_ptrIiEEEENSB_INSC_IxEEEESG_xNS9_4plusIvEENS9_8equal_toIvEExEE10hipError_tPvRmT2_T3_T4_T5_mT6_T7_P12ihipStream_tbENKUlT_T0_E_clISt17integral_constantIbLb1EES11_EEDaSW_SX_EUlSW_E_NS1_11comp_targetILNS1_3genE5ELNS1_11target_archE942ELNS1_3gpuE9ELNS1_3repE0EEENS1_30default_config_static_selectorELNS0_4arch9wavefront6targetE0EEEvT1_
	.globl	_ZN7rocprim17ROCPRIM_400000_NS6detail17trampoline_kernelINS0_14default_configENS1_27scan_by_key_config_selectorIixEEZZNS1_16scan_by_key_implILNS1_25lookback_scan_determinismE0ELb1ES3_N6thrust23THRUST_200600_302600_NS6detail15normal_iteratorINS9_10device_ptrIiEEEENSB_INSC_IxEEEESG_xNS9_4plusIvEENS9_8equal_toIvEExEE10hipError_tPvRmT2_T3_T4_T5_mT6_T7_P12ihipStream_tbENKUlT_T0_E_clISt17integral_constantIbLb1EES11_EEDaSW_SX_EUlSW_E_NS1_11comp_targetILNS1_3genE5ELNS1_11target_archE942ELNS1_3gpuE9ELNS1_3repE0EEENS1_30default_config_static_selectorELNS0_4arch9wavefront6targetE0EEEvT1_
	.p2align	8
	.type	_ZN7rocprim17ROCPRIM_400000_NS6detail17trampoline_kernelINS0_14default_configENS1_27scan_by_key_config_selectorIixEEZZNS1_16scan_by_key_implILNS1_25lookback_scan_determinismE0ELb1ES3_N6thrust23THRUST_200600_302600_NS6detail15normal_iteratorINS9_10device_ptrIiEEEENSB_INSC_IxEEEESG_xNS9_4plusIvEENS9_8equal_toIvEExEE10hipError_tPvRmT2_T3_T4_T5_mT6_T7_P12ihipStream_tbENKUlT_T0_E_clISt17integral_constantIbLb1EES11_EEDaSW_SX_EUlSW_E_NS1_11comp_targetILNS1_3genE5ELNS1_11target_archE942ELNS1_3gpuE9ELNS1_3repE0EEENS1_30default_config_static_selectorELNS0_4arch9wavefront6targetE0EEEvT1_,@function
_ZN7rocprim17ROCPRIM_400000_NS6detail17trampoline_kernelINS0_14default_configENS1_27scan_by_key_config_selectorIixEEZZNS1_16scan_by_key_implILNS1_25lookback_scan_determinismE0ELb1ES3_N6thrust23THRUST_200600_302600_NS6detail15normal_iteratorINS9_10device_ptrIiEEEENSB_INSC_IxEEEESG_xNS9_4plusIvEENS9_8equal_toIvEExEE10hipError_tPvRmT2_T3_T4_T5_mT6_T7_P12ihipStream_tbENKUlT_T0_E_clISt17integral_constantIbLb1EES11_EEDaSW_SX_EUlSW_E_NS1_11comp_targetILNS1_3genE5ELNS1_11target_archE942ELNS1_3gpuE9ELNS1_3repE0EEENS1_30default_config_static_selectorELNS0_4arch9wavefront6targetE0EEEvT1_: ; @_ZN7rocprim17ROCPRIM_400000_NS6detail17trampoline_kernelINS0_14default_configENS1_27scan_by_key_config_selectorIixEEZZNS1_16scan_by_key_implILNS1_25lookback_scan_determinismE0ELb1ES3_N6thrust23THRUST_200600_302600_NS6detail15normal_iteratorINS9_10device_ptrIiEEEENSB_INSC_IxEEEESG_xNS9_4plusIvEENS9_8equal_toIvEExEE10hipError_tPvRmT2_T3_T4_T5_mT6_T7_P12ihipStream_tbENKUlT_T0_E_clISt17integral_constantIbLb1EES11_EEDaSW_SX_EUlSW_E_NS1_11comp_targetILNS1_3genE5ELNS1_11target_archE942ELNS1_3gpuE9ELNS1_3repE0EEENS1_30default_config_static_selectorELNS0_4arch9wavefront6targetE0EEEvT1_
; %bb.0:
	.section	.rodata,"a",@progbits
	.p2align	6, 0x0
	.amdhsa_kernel _ZN7rocprim17ROCPRIM_400000_NS6detail17trampoline_kernelINS0_14default_configENS1_27scan_by_key_config_selectorIixEEZZNS1_16scan_by_key_implILNS1_25lookback_scan_determinismE0ELb1ES3_N6thrust23THRUST_200600_302600_NS6detail15normal_iteratorINS9_10device_ptrIiEEEENSB_INSC_IxEEEESG_xNS9_4plusIvEENS9_8equal_toIvEExEE10hipError_tPvRmT2_T3_T4_T5_mT6_T7_P12ihipStream_tbENKUlT_T0_E_clISt17integral_constantIbLb1EES11_EEDaSW_SX_EUlSW_E_NS1_11comp_targetILNS1_3genE5ELNS1_11target_archE942ELNS1_3gpuE9ELNS1_3repE0EEENS1_30default_config_static_selectorELNS0_4arch9wavefront6targetE0EEEvT1_
		.amdhsa_group_segment_fixed_size 0
		.amdhsa_private_segment_fixed_size 0
		.amdhsa_kernarg_size 136
		.amdhsa_user_sgpr_count 6
		.amdhsa_user_sgpr_private_segment_buffer 1
		.amdhsa_user_sgpr_dispatch_ptr 0
		.amdhsa_user_sgpr_queue_ptr 0
		.amdhsa_user_sgpr_kernarg_segment_ptr 1
		.amdhsa_user_sgpr_dispatch_id 0
		.amdhsa_user_sgpr_flat_scratch_init 0
		.amdhsa_user_sgpr_private_segment_size 0
		.amdhsa_wavefront_size32 1
		.amdhsa_uses_dynamic_stack 0
		.amdhsa_system_sgpr_private_segment_wavefront_offset 0
		.amdhsa_system_sgpr_workgroup_id_x 1
		.amdhsa_system_sgpr_workgroup_id_y 0
		.amdhsa_system_sgpr_workgroup_id_z 0
		.amdhsa_system_sgpr_workgroup_info 0
		.amdhsa_system_vgpr_workitem_id 0
		.amdhsa_next_free_vgpr 1
		.amdhsa_next_free_sgpr 1
		.amdhsa_reserve_vcc 0
		.amdhsa_reserve_flat_scratch 0
		.amdhsa_float_round_mode_32 0
		.amdhsa_float_round_mode_16_64 0
		.amdhsa_float_denorm_mode_32 3
		.amdhsa_float_denorm_mode_16_64 3
		.amdhsa_dx10_clamp 1
		.amdhsa_ieee_mode 1
		.amdhsa_fp16_overflow 0
		.amdhsa_workgroup_processor_mode 1
		.amdhsa_memory_ordered 1
		.amdhsa_forward_progress 1
		.amdhsa_shared_vgpr_count 0
		.amdhsa_exception_fp_ieee_invalid_op 0
		.amdhsa_exception_fp_denorm_src 0
		.amdhsa_exception_fp_ieee_div_zero 0
		.amdhsa_exception_fp_ieee_overflow 0
		.amdhsa_exception_fp_ieee_underflow 0
		.amdhsa_exception_fp_ieee_inexact 0
		.amdhsa_exception_int_div_zero 0
	.end_amdhsa_kernel
	.section	.text._ZN7rocprim17ROCPRIM_400000_NS6detail17trampoline_kernelINS0_14default_configENS1_27scan_by_key_config_selectorIixEEZZNS1_16scan_by_key_implILNS1_25lookback_scan_determinismE0ELb1ES3_N6thrust23THRUST_200600_302600_NS6detail15normal_iteratorINS9_10device_ptrIiEEEENSB_INSC_IxEEEESG_xNS9_4plusIvEENS9_8equal_toIvEExEE10hipError_tPvRmT2_T3_T4_T5_mT6_T7_P12ihipStream_tbENKUlT_T0_E_clISt17integral_constantIbLb1EES11_EEDaSW_SX_EUlSW_E_NS1_11comp_targetILNS1_3genE5ELNS1_11target_archE942ELNS1_3gpuE9ELNS1_3repE0EEENS1_30default_config_static_selectorELNS0_4arch9wavefront6targetE0EEEvT1_,"axG",@progbits,_ZN7rocprim17ROCPRIM_400000_NS6detail17trampoline_kernelINS0_14default_configENS1_27scan_by_key_config_selectorIixEEZZNS1_16scan_by_key_implILNS1_25lookback_scan_determinismE0ELb1ES3_N6thrust23THRUST_200600_302600_NS6detail15normal_iteratorINS9_10device_ptrIiEEEENSB_INSC_IxEEEESG_xNS9_4plusIvEENS9_8equal_toIvEExEE10hipError_tPvRmT2_T3_T4_T5_mT6_T7_P12ihipStream_tbENKUlT_T0_E_clISt17integral_constantIbLb1EES11_EEDaSW_SX_EUlSW_E_NS1_11comp_targetILNS1_3genE5ELNS1_11target_archE942ELNS1_3gpuE9ELNS1_3repE0EEENS1_30default_config_static_selectorELNS0_4arch9wavefront6targetE0EEEvT1_,comdat
.Lfunc_end1582:
	.size	_ZN7rocprim17ROCPRIM_400000_NS6detail17trampoline_kernelINS0_14default_configENS1_27scan_by_key_config_selectorIixEEZZNS1_16scan_by_key_implILNS1_25lookback_scan_determinismE0ELb1ES3_N6thrust23THRUST_200600_302600_NS6detail15normal_iteratorINS9_10device_ptrIiEEEENSB_INSC_IxEEEESG_xNS9_4plusIvEENS9_8equal_toIvEExEE10hipError_tPvRmT2_T3_T4_T5_mT6_T7_P12ihipStream_tbENKUlT_T0_E_clISt17integral_constantIbLb1EES11_EEDaSW_SX_EUlSW_E_NS1_11comp_targetILNS1_3genE5ELNS1_11target_archE942ELNS1_3gpuE9ELNS1_3repE0EEENS1_30default_config_static_selectorELNS0_4arch9wavefront6targetE0EEEvT1_, .Lfunc_end1582-_ZN7rocprim17ROCPRIM_400000_NS6detail17trampoline_kernelINS0_14default_configENS1_27scan_by_key_config_selectorIixEEZZNS1_16scan_by_key_implILNS1_25lookback_scan_determinismE0ELb1ES3_N6thrust23THRUST_200600_302600_NS6detail15normal_iteratorINS9_10device_ptrIiEEEENSB_INSC_IxEEEESG_xNS9_4plusIvEENS9_8equal_toIvEExEE10hipError_tPvRmT2_T3_T4_T5_mT6_T7_P12ihipStream_tbENKUlT_T0_E_clISt17integral_constantIbLb1EES11_EEDaSW_SX_EUlSW_E_NS1_11comp_targetILNS1_3genE5ELNS1_11target_archE942ELNS1_3gpuE9ELNS1_3repE0EEENS1_30default_config_static_selectorELNS0_4arch9wavefront6targetE0EEEvT1_
                                        ; -- End function
	.set _ZN7rocprim17ROCPRIM_400000_NS6detail17trampoline_kernelINS0_14default_configENS1_27scan_by_key_config_selectorIixEEZZNS1_16scan_by_key_implILNS1_25lookback_scan_determinismE0ELb1ES3_N6thrust23THRUST_200600_302600_NS6detail15normal_iteratorINS9_10device_ptrIiEEEENSB_INSC_IxEEEESG_xNS9_4plusIvEENS9_8equal_toIvEExEE10hipError_tPvRmT2_T3_T4_T5_mT6_T7_P12ihipStream_tbENKUlT_T0_E_clISt17integral_constantIbLb1EES11_EEDaSW_SX_EUlSW_E_NS1_11comp_targetILNS1_3genE5ELNS1_11target_archE942ELNS1_3gpuE9ELNS1_3repE0EEENS1_30default_config_static_selectorELNS0_4arch9wavefront6targetE0EEEvT1_.num_vgpr, 0
	.set _ZN7rocprim17ROCPRIM_400000_NS6detail17trampoline_kernelINS0_14default_configENS1_27scan_by_key_config_selectorIixEEZZNS1_16scan_by_key_implILNS1_25lookback_scan_determinismE0ELb1ES3_N6thrust23THRUST_200600_302600_NS6detail15normal_iteratorINS9_10device_ptrIiEEEENSB_INSC_IxEEEESG_xNS9_4plusIvEENS9_8equal_toIvEExEE10hipError_tPvRmT2_T3_T4_T5_mT6_T7_P12ihipStream_tbENKUlT_T0_E_clISt17integral_constantIbLb1EES11_EEDaSW_SX_EUlSW_E_NS1_11comp_targetILNS1_3genE5ELNS1_11target_archE942ELNS1_3gpuE9ELNS1_3repE0EEENS1_30default_config_static_selectorELNS0_4arch9wavefront6targetE0EEEvT1_.num_agpr, 0
	.set _ZN7rocprim17ROCPRIM_400000_NS6detail17trampoline_kernelINS0_14default_configENS1_27scan_by_key_config_selectorIixEEZZNS1_16scan_by_key_implILNS1_25lookback_scan_determinismE0ELb1ES3_N6thrust23THRUST_200600_302600_NS6detail15normal_iteratorINS9_10device_ptrIiEEEENSB_INSC_IxEEEESG_xNS9_4plusIvEENS9_8equal_toIvEExEE10hipError_tPvRmT2_T3_T4_T5_mT6_T7_P12ihipStream_tbENKUlT_T0_E_clISt17integral_constantIbLb1EES11_EEDaSW_SX_EUlSW_E_NS1_11comp_targetILNS1_3genE5ELNS1_11target_archE942ELNS1_3gpuE9ELNS1_3repE0EEENS1_30default_config_static_selectorELNS0_4arch9wavefront6targetE0EEEvT1_.numbered_sgpr, 0
	.set _ZN7rocprim17ROCPRIM_400000_NS6detail17trampoline_kernelINS0_14default_configENS1_27scan_by_key_config_selectorIixEEZZNS1_16scan_by_key_implILNS1_25lookback_scan_determinismE0ELb1ES3_N6thrust23THRUST_200600_302600_NS6detail15normal_iteratorINS9_10device_ptrIiEEEENSB_INSC_IxEEEESG_xNS9_4plusIvEENS9_8equal_toIvEExEE10hipError_tPvRmT2_T3_T4_T5_mT6_T7_P12ihipStream_tbENKUlT_T0_E_clISt17integral_constantIbLb1EES11_EEDaSW_SX_EUlSW_E_NS1_11comp_targetILNS1_3genE5ELNS1_11target_archE942ELNS1_3gpuE9ELNS1_3repE0EEENS1_30default_config_static_selectorELNS0_4arch9wavefront6targetE0EEEvT1_.num_named_barrier, 0
	.set _ZN7rocprim17ROCPRIM_400000_NS6detail17trampoline_kernelINS0_14default_configENS1_27scan_by_key_config_selectorIixEEZZNS1_16scan_by_key_implILNS1_25lookback_scan_determinismE0ELb1ES3_N6thrust23THRUST_200600_302600_NS6detail15normal_iteratorINS9_10device_ptrIiEEEENSB_INSC_IxEEEESG_xNS9_4plusIvEENS9_8equal_toIvEExEE10hipError_tPvRmT2_T3_T4_T5_mT6_T7_P12ihipStream_tbENKUlT_T0_E_clISt17integral_constantIbLb1EES11_EEDaSW_SX_EUlSW_E_NS1_11comp_targetILNS1_3genE5ELNS1_11target_archE942ELNS1_3gpuE9ELNS1_3repE0EEENS1_30default_config_static_selectorELNS0_4arch9wavefront6targetE0EEEvT1_.private_seg_size, 0
	.set _ZN7rocprim17ROCPRIM_400000_NS6detail17trampoline_kernelINS0_14default_configENS1_27scan_by_key_config_selectorIixEEZZNS1_16scan_by_key_implILNS1_25lookback_scan_determinismE0ELb1ES3_N6thrust23THRUST_200600_302600_NS6detail15normal_iteratorINS9_10device_ptrIiEEEENSB_INSC_IxEEEESG_xNS9_4plusIvEENS9_8equal_toIvEExEE10hipError_tPvRmT2_T3_T4_T5_mT6_T7_P12ihipStream_tbENKUlT_T0_E_clISt17integral_constantIbLb1EES11_EEDaSW_SX_EUlSW_E_NS1_11comp_targetILNS1_3genE5ELNS1_11target_archE942ELNS1_3gpuE9ELNS1_3repE0EEENS1_30default_config_static_selectorELNS0_4arch9wavefront6targetE0EEEvT1_.uses_vcc, 0
	.set _ZN7rocprim17ROCPRIM_400000_NS6detail17trampoline_kernelINS0_14default_configENS1_27scan_by_key_config_selectorIixEEZZNS1_16scan_by_key_implILNS1_25lookback_scan_determinismE0ELb1ES3_N6thrust23THRUST_200600_302600_NS6detail15normal_iteratorINS9_10device_ptrIiEEEENSB_INSC_IxEEEESG_xNS9_4plusIvEENS9_8equal_toIvEExEE10hipError_tPvRmT2_T3_T4_T5_mT6_T7_P12ihipStream_tbENKUlT_T0_E_clISt17integral_constantIbLb1EES11_EEDaSW_SX_EUlSW_E_NS1_11comp_targetILNS1_3genE5ELNS1_11target_archE942ELNS1_3gpuE9ELNS1_3repE0EEENS1_30default_config_static_selectorELNS0_4arch9wavefront6targetE0EEEvT1_.uses_flat_scratch, 0
	.set _ZN7rocprim17ROCPRIM_400000_NS6detail17trampoline_kernelINS0_14default_configENS1_27scan_by_key_config_selectorIixEEZZNS1_16scan_by_key_implILNS1_25lookback_scan_determinismE0ELb1ES3_N6thrust23THRUST_200600_302600_NS6detail15normal_iteratorINS9_10device_ptrIiEEEENSB_INSC_IxEEEESG_xNS9_4plusIvEENS9_8equal_toIvEExEE10hipError_tPvRmT2_T3_T4_T5_mT6_T7_P12ihipStream_tbENKUlT_T0_E_clISt17integral_constantIbLb1EES11_EEDaSW_SX_EUlSW_E_NS1_11comp_targetILNS1_3genE5ELNS1_11target_archE942ELNS1_3gpuE9ELNS1_3repE0EEENS1_30default_config_static_selectorELNS0_4arch9wavefront6targetE0EEEvT1_.has_dyn_sized_stack, 0
	.set _ZN7rocprim17ROCPRIM_400000_NS6detail17trampoline_kernelINS0_14default_configENS1_27scan_by_key_config_selectorIixEEZZNS1_16scan_by_key_implILNS1_25lookback_scan_determinismE0ELb1ES3_N6thrust23THRUST_200600_302600_NS6detail15normal_iteratorINS9_10device_ptrIiEEEENSB_INSC_IxEEEESG_xNS9_4plusIvEENS9_8equal_toIvEExEE10hipError_tPvRmT2_T3_T4_T5_mT6_T7_P12ihipStream_tbENKUlT_T0_E_clISt17integral_constantIbLb1EES11_EEDaSW_SX_EUlSW_E_NS1_11comp_targetILNS1_3genE5ELNS1_11target_archE942ELNS1_3gpuE9ELNS1_3repE0EEENS1_30default_config_static_selectorELNS0_4arch9wavefront6targetE0EEEvT1_.has_recursion, 0
	.set _ZN7rocprim17ROCPRIM_400000_NS6detail17trampoline_kernelINS0_14default_configENS1_27scan_by_key_config_selectorIixEEZZNS1_16scan_by_key_implILNS1_25lookback_scan_determinismE0ELb1ES3_N6thrust23THRUST_200600_302600_NS6detail15normal_iteratorINS9_10device_ptrIiEEEENSB_INSC_IxEEEESG_xNS9_4plusIvEENS9_8equal_toIvEExEE10hipError_tPvRmT2_T3_T4_T5_mT6_T7_P12ihipStream_tbENKUlT_T0_E_clISt17integral_constantIbLb1EES11_EEDaSW_SX_EUlSW_E_NS1_11comp_targetILNS1_3genE5ELNS1_11target_archE942ELNS1_3gpuE9ELNS1_3repE0EEENS1_30default_config_static_selectorELNS0_4arch9wavefront6targetE0EEEvT1_.has_indirect_call, 0
	.section	.AMDGPU.csdata,"",@progbits
; Kernel info:
; codeLenInByte = 0
; TotalNumSgprs: 0
; NumVgprs: 0
; ScratchSize: 0
; MemoryBound: 0
; FloatMode: 240
; IeeeMode: 1
; LDSByteSize: 0 bytes/workgroup (compile time only)
; SGPRBlocks: 0
; VGPRBlocks: 0
; NumSGPRsForWavesPerEU: 1
; NumVGPRsForWavesPerEU: 1
; Occupancy: 16
; WaveLimiterHint : 0
; COMPUTE_PGM_RSRC2:SCRATCH_EN: 0
; COMPUTE_PGM_RSRC2:USER_SGPR: 6
; COMPUTE_PGM_RSRC2:TRAP_HANDLER: 0
; COMPUTE_PGM_RSRC2:TGID_X_EN: 1
; COMPUTE_PGM_RSRC2:TGID_Y_EN: 0
; COMPUTE_PGM_RSRC2:TGID_Z_EN: 0
; COMPUTE_PGM_RSRC2:TIDIG_COMP_CNT: 0
	.section	.text._ZN7rocprim17ROCPRIM_400000_NS6detail17trampoline_kernelINS0_14default_configENS1_27scan_by_key_config_selectorIixEEZZNS1_16scan_by_key_implILNS1_25lookback_scan_determinismE0ELb1ES3_N6thrust23THRUST_200600_302600_NS6detail15normal_iteratorINS9_10device_ptrIiEEEENSB_INSC_IxEEEESG_xNS9_4plusIvEENS9_8equal_toIvEExEE10hipError_tPvRmT2_T3_T4_T5_mT6_T7_P12ihipStream_tbENKUlT_T0_E_clISt17integral_constantIbLb1EES11_EEDaSW_SX_EUlSW_E_NS1_11comp_targetILNS1_3genE4ELNS1_11target_archE910ELNS1_3gpuE8ELNS1_3repE0EEENS1_30default_config_static_selectorELNS0_4arch9wavefront6targetE0EEEvT1_,"axG",@progbits,_ZN7rocprim17ROCPRIM_400000_NS6detail17trampoline_kernelINS0_14default_configENS1_27scan_by_key_config_selectorIixEEZZNS1_16scan_by_key_implILNS1_25lookback_scan_determinismE0ELb1ES3_N6thrust23THRUST_200600_302600_NS6detail15normal_iteratorINS9_10device_ptrIiEEEENSB_INSC_IxEEEESG_xNS9_4plusIvEENS9_8equal_toIvEExEE10hipError_tPvRmT2_T3_T4_T5_mT6_T7_P12ihipStream_tbENKUlT_T0_E_clISt17integral_constantIbLb1EES11_EEDaSW_SX_EUlSW_E_NS1_11comp_targetILNS1_3genE4ELNS1_11target_archE910ELNS1_3gpuE8ELNS1_3repE0EEENS1_30default_config_static_selectorELNS0_4arch9wavefront6targetE0EEEvT1_,comdat
	.protected	_ZN7rocprim17ROCPRIM_400000_NS6detail17trampoline_kernelINS0_14default_configENS1_27scan_by_key_config_selectorIixEEZZNS1_16scan_by_key_implILNS1_25lookback_scan_determinismE0ELb1ES3_N6thrust23THRUST_200600_302600_NS6detail15normal_iteratorINS9_10device_ptrIiEEEENSB_INSC_IxEEEESG_xNS9_4plusIvEENS9_8equal_toIvEExEE10hipError_tPvRmT2_T3_T4_T5_mT6_T7_P12ihipStream_tbENKUlT_T0_E_clISt17integral_constantIbLb1EES11_EEDaSW_SX_EUlSW_E_NS1_11comp_targetILNS1_3genE4ELNS1_11target_archE910ELNS1_3gpuE8ELNS1_3repE0EEENS1_30default_config_static_selectorELNS0_4arch9wavefront6targetE0EEEvT1_ ; -- Begin function _ZN7rocprim17ROCPRIM_400000_NS6detail17trampoline_kernelINS0_14default_configENS1_27scan_by_key_config_selectorIixEEZZNS1_16scan_by_key_implILNS1_25lookback_scan_determinismE0ELb1ES3_N6thrust23THRUST_200600_302600_NS6detail15normal_iteratorINS9_10device_ptrIiEEEENSB_INSC_IxEEEESG_xNS9_4plusIvEENS9_8equal_toIvEExEE10hipError_tPvRmT2_T3_T4_T5_mT6_T7_P12ihipStream_tbENKUlT_T0_E_clISt17integral_constantIbLb1EES11_EEDaSW_SX_EUlSW_E_NS1_11comp_targetILNS1_3genE4ELNS1_11target_archE910ELNS1_3gpuE8ELNS1_3repE0EEENS1_30default_config_static_selectorELNS0_4arch9wavefront6targetE0EEEvT1_
	.globl	_ZN7rocprim17ROCPRIM_400000_NS6detail17trampoline_kernelINS0_14default_configENS1_27scan_by_key_config_selectorIixEEZZNS1_16scan_by_key_implILNS1_25lookback_scan_determinismE0ELb1ES3_N6thrust23THRUST_200600_302600_NS6detail15normal_iteratorINS9_10device_ptrIiEEEENSB_INSC_IxEEEESG_xNS9_4plusIvEENS9_8equal_toIvEExEE10hipError_tPvRmT2_T3_T4_T5_mT6_T7_P12ihipStream_tbENKUlT_T0_E_clISt17integral_constantIbLb1EES11_EEDaSW_SX_EUlSW_E_NS1_11comp_targetILNS1_3genE4ELNS1_11target_archE910ELNS1_3gpuE8ELNS1_3repE0EEENS1_30default_config_static_selectorELNS0_4arch9wavefront6targetE0EEEvT1_
	.p2align	8
	.type	_ZN7rocprim17ROCPRIM_400000_NS6detail17trampoline_kernelINS0_14default_configENS1_27scan_by_key_config_selectorIixEEZZNS1_16scan_by_key_implILNS1_25lookback_scan_determinismE0ELb1ES3_N6thrust23THRUST_200600_302600_NS6detail15normal_iteratorINS9_10device_ptrIiEEEENSB_INSC_IxEEEESG_xNS9_4plusIvEENS9_8equal_toIvEExEE10hipError_tPvRmT2_T3_T4_T5_mT6_T7_P12ihipStream_tbENKUlT_T0_E_clISt17integral_constantIbLb1EES11_EEDaSW_SX_EUlSW_E_NS1_11comp_targetILNS1_3genE4ELNS1_11target_archE910ELNS1_3gpuE8ELNS1_3repE0EEENS1_30default_config_static_selectorELNS0_4arch9wavefront6targetE0EEEvT1_,@function
_ZN7rocprim17ROCPRIM_400000_NS6detail17trampoline_kernelINS0_14default_configENS1_27scan_by_key_config_selectorIixEEZZNS1_16scan_by_key_implILNS1_25lookback_scan_determinismE0ELb1ES3_N6thrust23THRUST_200600_302600_NS6detail15normal_iteratorINS9_10device_ptrIiEEEENSB_INSC_IxEEEESG_xNS9_4plusIvEENS9_8equal_toIvEExEE10hipError_tPvRmT2_T3_T4_T5_mT6_T7_P12ihipStream_tbENKUlT_T0_E_clISt17integral_constantIbLb1EES11_EEDaSW_SX_EUlSW_E_NS1_11comp_targetILNS1_3genE4ELNS1_11target_archE910ELNS1_3gpuE8ELNS1_3repE0EEENS1_30default_config_static_selectorELNS0_4arch9wavefront6targetE0EEEvT1_: ; @_ZN7rocprim17ROCPRIM_400000_NS6detail17trampoline_kernelINS0_14default_configENS1_27scan_by_key_config_selectorIixEEZZNS1_16scan_by_key_implILNS1_25lookback_scan_determinismE0ELb1ES3_N6thrust23THRUST_200600_302600_NS6detail15normal_iteratorINS9_10device_ptrIiEEEENSB_INSC_IxEEEESG_xNS9_4plusIvEENS9_8equal_toIvEExEE10hipError_tPvRmT2_T3_T4_T5_mT6_T7_P12ihipStream_tbENKUlT_T0_E_clISt17integral_constantIbLb1EES11_EEDaSW_SX_EUlSW_E_NS1_11comp_targetILNS1_3genE4ELNS1_11target_archE910ELNS1_3gpuE8ELNS1_3repE0EEENS1_30default_config_static_selectorELNS0_4arch9wavefront6targetE0EEEvT1_
; %bb.0:
	.section	.rodata,"a",@progbits
	.p2align	6, 0x0
	.amdhsa_kernel _ZN7rocprim17ROCPRIM_400000_NS6detail17trampoline_kernelINS0_14default_configENS1_27scan_by_key_config_selectorIixEEZZNS1_16scan_by_key_implILNS1_25lookback_scan_determinismE0ELb1ES3_N6thrust23THRUST_200600_302600_NS6detail15normal_iteratorINS9_10device_ptrIiEEEENSB_INSC_IxEEEESG_xNS9_4plusIvEENS9_8equal_toIvEExEE10hipError_tPvRmT2_T3_T4_T5_mT6_T7_P12ihipStream_tbENKUlT_T0_E_clISt17integral_constantIbLb1EES11_EEDaSW_SX_EUlSW_E_NS1_11comp_targetILNS1_3genE4ELNS1_11target_archE910ELNS1_3gpuE8ELNS1_3repE0EEENS1_30default_config_static_selectorELNS0_4arch9wavefront6targetE0EEEvT1_
		.amdhsa_group_segment_fixed_size 0
		.amdhsa_private_segment_fixed_size 0
		.amdhsa_kernarg_size 136
		.amdhsa_user_sgpr_count 6
		.amdhsa_user_sgpr_private_segment_buffer 1
		.amdhsa_user_sgpr_dispatch_ptr 0
		.amdhsa_user_sgpr_queue_ptr 0
		.amdhsa_user_sgpr_kernarg_segment_ptr 1
		.amdhsa_user_sgpr_dispatch_id 0
		.amdhsa_user_sgpr_flat_scratch_init 0
		.amdhsa_user_sgpr_private_segment_size 0
		.amdhsa_wavefront_size32 1
		.amdhsa_uses_dynamic_stack 0
		.amdhsa_system_sgpr_private_segment_wavefront_offset 0
		.amdhsa_system_sgpr_workgroup_id_x 1
		.amdhsa_system_sgpr_workgroup_id_y 0
		.amdhsa_system_sgpr_workgroup_id_z 0
		.amdhsa_system_sgpr_workgroup_info 0
		.amdhsa_system_vgpr_workitem_id 0
		.amdhsa_next_free_vgpr 1
		.amdhsa_next_free_sgpr 1
		.amdhsa_reserve_vcc 0
		.amdhsa_reserve_flat_scratch 0
		.amdhsa_float_round_mode_32 0
		.amdhsa_float_round_mode_16_64 0
		.amdhsa_float_denorm_mode_32 3
		.amdhsa_float_denorm_mode_16_64 3
		.amdhsa_dx10_clamp 1
		.amdhsa_ieee_mode 1
		.amdhsa_fp16_overflow 0
		.amdhsa_workgroup_processor_mode 1
		.amdhsa_memory_ordered 1
		.amdhsa_forward_progress 1
		.amdhsa_shared_vgpr_count 0
		.amdhsa_exception_fp_ieee_invalid_op 0
		.amdhsa_exception_fp_denorm_src 0
		.amdhsa_exception_fp_ieee_div_zero 0
		.amdhsa_exception_fp_ieee_overflow 0
		.amdhsa_exception_fp_ieee_underflow 0
		.amdhsa_exception_fp_ieee_inexact 0
		.amdhsa_exception_int_div_zero 0
	.end_amdhsa_kernel
	.section	.text._ZN7rocprim17ROCPRIM_400000_NS6detail17trampoline_kernelINS0_14default_configENS1_27scan_by_key_config_selectorIixEEZZNS1_16scan_by_key_implILNS1_25lookback_scan_determinismE0ELb1ES3_N6thrust23THRUST_200600_302600_NS6detail15normal_iteratorINS9_10device_ptrIiEEEENSB_INSC_IxEEEESG_xNS9_4plusIvEENS9_8equal_toIvEExEE10hipError_tPvRmT2_T3_T4_T5_mT6_T7_P12ihipStream_tbENKUlT_T0_E_clISt17integral_constantIbLb1EES11_EEDaSW_SX_EUlSW_E_NS1_11comp_targetILNS1_3genE4ELNS1_11target_archE910ELNS1_3gpuE8ELNS1_3repE0EEENS1_30default_config_static_selectorELNS0_4arch9wavefront6targetE0EEEvT1_,"axG",@progbits,_ZN7rocprim17ROCPRIM_400000_NS6detail17trampoline_kernelINS0_14default_configENS1_27scan_by_key_config_selectorIixEEZZNS1_16scan_by_key_implILNS1_25lookback_scan_determinismE0ELb1ES3_N6thrust23THRUST_200600_302600_NS6detail15normal_iteratorINS9_10device_ptrIiEEEENSB_INSC_IxEEEESG_xNS9_4plusIvEENS9_8equal_toIvEExEE10hipError_tPvRmT2_T3_T4_T5_mT6_T7_P12ihipStream_tbENKUlT_T0_E_clISt17integral_constantIbLb1EES11_EEDaSW_SX_EUlSW_E_NS1_11comp_targetILNS1_3genE4ELNS1_11target_archE910ELNS1_3gpuE8ELNS1_3repE0EEENS1_30default_config_static_selectorELNS0_4arch9wavefront6targetE0EEEvT1_,comdat
.Lfunc_end1583:
	.size	_ZN7rocprim17ROCPRIM_400000_NS6detail17trampoline_kernelINS0_14default_configENS1_27scan_by_key_config_selectorIixEEZZNS1_16scan_by_key_implILNS1_25lookback_scan_determinismE0ELb1ES3_N6thrust23THRUST_200600_302600_NS6detail15normal_iteratorINS9_10device_ptrIiEEEENSB_INSC_IxEEEESG_xNS9_4plusIvEENS9_8equal_toIvEExEE10hipError_tPvRmT2_T3_T4_T5_mT6_T7_P12ihipStream_tbENKUlT_T0_E_clISt17integral_constantIbLb1EES11_EEDaSW_SX_EUlSW_E_NS1_11comp_targetILNS1_3genE4ELNS1_11target_archE910ELNS1_3gpuE8ELNS1_3repE0EEENS1_30default_config_static_selectorELNS0_4arch9wavefront6targetE0EEEvT1_, .Lfunc_end1583-_ZN7rocprim17ROCPRIM_400000_NS6detail17trampoline_kernelINS0_14default_configENS1_27scan_by_key_config_selectorIixEEZZNS1_16scan_by_key_implILNS1_25lookback_scan_determinismE0ELb1ES3_N6thrust23THRUST_200600_302600_NS6detail15normal_iteratorINS9_10device_ptrIiEEEENSB_INSC_IxEEEESG_xNS9_4plusIvEENS9_8equal_toIvEExEE10hipError_tPvRmT2_T3_T4_T5_mT6_T7_P12ihipStream_tbENKUlT_T0_E_clISt17integral_constantIbLb1EES11_EEDaSW_SX_EUlSW_E_NS1_11comp_targetILNS1_3genE4ELNS1_11target_archE910ELNS1_3gpuE8ELNS1_3repE0EEENS1_30default_config_static_selectorELNS0_4arch9wavefront6targetE0EEEvT1_
                                        ; -- End function
	.set _ZN7rocprim17ROCPRIM_400000_NS6detail17trampoline_kernelINS0_14default_configENS1_27scan_by_key_config_selectorIixEEZZNS1_16scan_by_key_implILNS1_25lookback_scan_determinismE0ELb1ES3_N6thrust23THRUST_200600_302600_NS6detail15normal_iteratorINS9_10device_ptrIiEEEENSB_INSC_IxEEEESG_xNS9_4plusIvEENS9_8equal_toIvEExEE10hipError_tPvRmT2_T3_T4_T5_mT6_T7_P12ihipStream_tbENKUlT_T0_E_clISt17integral_constantIbLb1EES11_EEDaSW_SX_EUlSW_E_NS1_11comp_targetILNS1_3genE4ELNS1_11target_archE910ELNS1_3gpuE8ELNS1_3repE0EEENS1_30default_config_static_selectorELNS0_4arch9wavefront6targetE0EEEvT1_.num_vgpr, 0
	.set _ZN7rocprim17ROCPRIM_400000_NS6detail17trampoline_kernelINS0_14default_configENS1_27scan_by_key_config_selectorIixEEZZNS1_16scan_by_key_implILNS1_25lookback_scan_determinismE0ELb1ES3_N6thrust23THRUST_200600_302600_NS6detail15normal_iteratorINS9_10device_ptrIiEEEENSB_INSC_IxEEEESG_xNS9_4plusIvEENS9_8equal_toIvEExEE10hipError_tPvRmT2_T3_T4_T5_mT6_T7_P12ihipStream_tbENKUlT_T0_E_clISt17integral_constantIbLb1EES11_EEDaSW_SX_EUlSW_E_NS1_11comp_targetILNS1_3genE4ELNS1_11target_archE910ELNS1_3gpuE8ELNS1_3repE0EEENS1_30default_config_static_selectorELNS0_4arch9wavefront6targetE0EEEvT1_.num_agpr, 0
	.set _ZN7rocprim17ROCPRIM_400000_NS6detail17trampoline_kernelINS0_14default_configENS1_27scan_by_key_config_selectorIixEEZZNS1_16scan_by_key_implILNS1_25lookback_scan_determinismE0ELb1ES3_N6thrust23THRUST_200600_302600_NS6detail15normal_iteratorINS9_10device_ptrIiEEEENSB_INSC_IxEEEESG_xNS9_4plusIvEENS9_8equal_toIvEExEE10hipError_tPvRmT2_T3_T4_T5_mT6_T7_P12ihipStream_tbENKUlT_T0_E_clISt17integral_constantIbLb1EES11_EEDaSW_SX_EUlSW_E_NS1_11comp_targetILNS1_3genE4ELNS1_11target_archE910ELNS1_3gpuE8ELNS1_3repE0EEENS1_30default_config_static_selectorELNS0_4arch9wavefront6targetE0EEEvT1_.numbered_sgpr, 0
	.set _ZN7rocprim17ROCPRIM_400000_NS6detail17trampoline_kernelINS0_14default_configENS1_27scan_by_key_config_selectorIixEEZZNS1_16scan_by_key_implILNS1_25lookback_scan_determinismE0ELb1ES3_N6thrust23THRUST_200600_302600_NS6detail15normal_iteratorINS9_10device_ptrIiEEEENSB_INSC_IxEEEESG_xNS9_4plusIvEENS9_8equal_toIvEExEE10hipError_tPvRmT2_T3_T4_T5_mT6_T7_P12ihipStream_tbENKUlT_T0_E_clISt17integral_constantIbLb1EES11_EEDaSW_SX_EUlSW_E_NS1_11comp_targetILNS1_3genE4ELNS1_11target_archE910ELNS1_3gpuE8ELNS1_3repE0EEENS1_30default_config_static_selectorELNS0_4arch9wavefront6targetE0EEEvT1_.num_named_barrier, 0
	.set _ZN7rocprim17ROCPRIM_400000_NS6detail17trampoline_kernelINS0_14default_configENS1_27scan_by_key_config_selectorIixEEZZNS1_16scan_by_key_implILNS1_25lookback_scan_determinismE0ELb1ES3_N6thrust23THRUST_200600_302600_NS6detail15normal_iteratorINS9_10device_ptrIiEEEENSB_INSC_IxEEEESG_xNS9_4plusIvEENS9_8equal_toIvEExEE10hipError_tPvRmT2_T3_T4_T5_mT6_T7_P12ihipStream_tbENKUlT_T0_E_clISt17integral_constantIbLb1EES11_EEDaSW_SX_EUlSW_E_NS1_11comp_targetILNS1_3genE4ELNS1_11target_archE910ELNS1_3gpuE8ELNS1_3repE0EEENS1_30default_config_static_selectorELNS0_4arch9wavefront6targetE0EEEvT1_.private_seg_size, 0
	.set _ZN7rocprim17ROCPRIM_400000_NS6detail17trampoline_kernelINS0_14default_configENS1_27scan_by_key_config_selectorIixEEZZNS1_16scan_by_key_implILNS1_25lookback_scan_determinismE0ELb1ES3_N6thrust23THRUST_200600_302600_NS6detail15normal_iteratorINS9_10device_ptrIiEEEENSB_INSC_IxEEEESG_xNS9_4plusIvEENS9_8equal_toIvEExEE10hipError_tPvRmT2_T3_T4_T5_mT6_T7_P12ihipStream_tbENKUlT_T0_E_clISt17integral_constantIbLb1EES11_EEDaSW_SX_EUlSW_E_NS1_11comp_targetILNS1_3genE4ELNS1_11target_archE910ELNS1_3gpuE8ELNS1_3repE0EEENS1_30default_config_static_selectorELNS0_4arch9wavefront6targetE0EEEvT1_.uses_vcc, 0
	.set _ZN7rocprim17ROCPRIM_400000_NS6detail17trampoline_kernelINS0_14default_configENS1_27scan_by_key_config_selectorIixEEZZNS1_16scan_by_key_implILNS1_25lookback_scan_determinismE0ELb1ES3_N6thrust23THRUST_200600_302600_NS6detail15normal_iteratorINS9_10device_ptrIiEEEENSB_INSC_IxEEEESG_xNS9_4plusIvEENS9_8equal_toIvEExEE10hipError_tPvRmT2_T3_T4_T5_mT6_T7_P12ihipStream_tbENKUlT_T0_E_clISt17integral_constantIbLb1EES11_EEDaSW_SX_EUlSW_E_NS1_11comp_targetILNS1_3genE4ELNS1_11target_archE910ELNS1_3gpuE8ELNS1_3repE0EEENS1_30default_config_static_selectorELNS0_4arch9wavefront6targetE0EEEvT1_.uses_flat_scratch, 0
	.set _ZN7rocprim17ROCPRIM_400000_NS6detail17trampoline_kernelINS0_14default_configENS1_27scan_by_key_config_selectorIixEEZZNS1_16scan_by_key_implILNS1_25lookback_scan_determinismE0ELb1ES3_N6thrust23THRUST_200600_302600_NS6detail15normal_iteratorINS9_10device_ptrIiEEEENSB_INSC_IxEEEESG_xNS9_4plusIvEENS9_8equal_toIvEExEE10hipError_tPvRmT2_T3_T4_T5_mT6_T7_P12ihipStream_tbENKUlT_T0_E_clISt17integral_constantIbLb1EES11_EEDaSW_SX_EUlSW_E_NS1_11comp_targetILNS1_3genE4ELNS1_11target_archE910ELNS1_3gpuE8ELNS1_3repE0EEENS1_30default_config_static_selectorELNS0_4arch9wavefront6targetE0EEEvT1_.has_dyn_sized_stack, 0
	.set _ZN7rocprim17ROCPRIM_400000_NS6detail17trampoline_kernelINS0_14default_configENS1_27scan_by_key_config_selectorIixEEZZNS1_16scan_by_key_implILNS1_25lookback_scan_determinismE0ELb1ES3_N6thrust23THRUST_200600_302600_NS6detail15normal_iteratorINS9_10device_ptrIiEEEENSB_INSC_IxEEEESG_xNS9_4plusIvEENS9_8equal_toIvEExEE10hipError_tPvRmT2_T3_T4_T5_mT6_T7_P12ihipStream_tbENKUlT_T0_E_clISt17integral_constantIbLb1EES11_EEDaSW_SX_EUlSW_E_NS1_11comp_targetILNS1_3genE4ELNS1_11target_archE910ELNS1_3gpuE8ELNS1_3repE0EEENS1_30default_config_static_selectorELNS0_4arch9wavefront6targetE0EEEvT1_.has_recursion, 0
	.set _ZN7rocprim17ROCPRIM_400000_NS6detail17trampoline_kernelINS0_14default_configENS1_27scan_by_key_config_selectorIixEEZZNS1_16scan_by_key_implILNS1_25lookback_scan_determinismE0ELb1ES3_N6thrust23THRUST_200600_302600_NS6detail15normal_iteratorINS9_10device_ptrIiEEEENSB_INSC_IxEEEESG_xNS9_4plusIvEENS9_8equal_toIvEExEE10hipError_tPvRmT2_T3_T4_T5_mT6_T7_P12ihipStream_tbENKUlT_T0_E_clISt17integral_constantIbLb1EES11_EEDaSW_SX_EUlSW_E_NS1_11comp_targetILNS1_3genE4ELNS1_11target_archE910ELNS1_3gpuE8ELNS1_3repE0EEENS1_30default_config_static_selectorELNS0_4arch9wavefront6targetE0EEEvT1_.has_indirect_call, 0
	.section	.AMDGPU.csdata,"",@progbits
; Kernel info:
; codeLenInByte = 0
; TotalNumSgprs: 0
; NumVgprs: 0
; ScratchSize: 0
; MemoryBound: 0
; FloatMode: 240
; IeeeMode: 1
; LDSByteSize: 0 bytes/workgroup (compile time only)
; SGPRBlocks: 0
; VGPRBlocks: 0
; NumSGPRsForWavesPerEU: 1
; NumVGPRsForWavesPerEU: 1
; Occupancy: 16
; WaveLimiterHint : 0
; COMPUTE_PGM_RSRC2:SCRATCH_EN: 0
; COMPUTE_PGM_RSRC2:USER_SGPR: 6
; COMPUTE_PGM_RSRC2:TRAP_HANDLER: 0
; COMPUTE_PGM_RSRC2:TGID_X_EN: 1
; COMPUTE_PGM_RSRC2:TGID_Y_EN: 0
; COMPUTE_PGM_RSRC2:TGID_Z_EN: 0
; COMPUTE_PGM_RSRC2:TIDIG_COMP_CNT: 0
	.section	.text._ZN7rocprim17ROCPRIM_400000_NS6detail17trampoline_kernelINS0_14default_configENS1_27scan_by_key_config_selectorIixEEZZNS1_16scan_by_key_implILNS1_25lookback_scan_determinismE0ELb1ES3_N6thrust23THRUST_200600_302600_NS6detail15normal_iteratorINS9_10device_ptrIiEEEENSB_INSC_IxEEEESG_xNS9_4plusIvEENS9_8equal_toIvEExEE10hipError_tPvRmT2_T3_T4_T5_mT6_T7_P12ihipStream_tbENKUlT_T0_E_clISt17integral_constantIbLb1EES11_EEDaSW_SX_EUlSW_E_NS1_11comp_targetILNS1_3genE3ELNS1_11target_archE908ELNS1_3gpuE7ELNS1_3repE0EEENS1_30default_config_static_selectorELNS0_4arch9wavefront6targetE0EEEvT1_,"axG",@progbits,_ZN7rocprim17ROCPRIM_400000_NS6detail17trampoline_kernelINS0_14default_configENS1_27scan_by_key_config_selectorIixEEZZNS1_16scan_by_key_implILNS1_25lookback_scan_determinismE0ELb1ES3_N6thrust23THRUST_200600_302600_NS6detail15normal_iteratorINS9_10device_ptrIiEEEENSB_INSC_IxEEEESG_xNS9_4plusIvEENS9_8equal_toIvEExEE10hipError_tPvRmT2_T3_T4_T5_mT6_T7_P12ihipStream_tbENKUlT_T0_E_clISt17integral_constantIbLb1EES11_EEDaSW_SX_EUlSW_E_NS1_11comp_targetILNS1_3genE3ELNS1_11target_archE908ELNS1_3gpuE7ELNS1_3repE0EEENS1_30default_config_static_selectorELNS0_4arch9wavefront6targetE0EEEvT1_,comdat
	.protected	_ZN7rocprim17ROCPRIM_400000_NS6detail17trampoline_kernelINS0_14default_configENS1_27scan_by_key_config_selectorIixEEZZNS1_16scan_by_key_implILNS1_25lookback_scan_determinismE0ELb1ES3_N6thrust23THRUST_200600_302600_NS6detail15normal_iteratorINS9_10device_ptrIiEEEENSB_INSC_IxEEEESG_xNS9_4plusIvEENS9_8equal_toIvEExEE10hipError_tPvRmT2_T3_T4_T5_mT6_T7_P12ihipStream_tbENKUlT_T0_E_clISt17integral_constantIbLb1EES11_EEDaSW_SX_EUlSW_E_NS1_11comp_targetILNS1_3genE3ELNS1_11target_archE908ELNS1_3gpuE7ELNS1_3repE0EEENS1_30default_config_static_selectorELNS0_4arch9wavefront6targetE0EEEvT1_ ; -- Begin function _ZN7rocprim17ROCPRIM_400000_NS6detail17trampoline_kernelINS0_14default_configENS1_27scan_by_key_config_selectorIixEEZZNS1_16scan_by_key_implILNS1_25lookback_scan_determinismE0ELb1ES3_N6thrust23THRUST_200600_302600_NS6detail15normal_iteratorINS9_10device_ptrIiEEEENSB_INSC_IxEEEESG_xNS9_4plusIvEENS9_8equal_toIvEExEE10hipError_tPvRmT2_T3_T4_T5_mT6_T7_P12ihipStream_tbENKUlT_T0_E_clISt17integral_constantIbLb1EES11_EEDaSW_SX_EUlSW_E_NS1_11comp_targetILNS1_3genE3ELNS1_11target_archE908ELNS1_3gpuE7ELNS1_3repE0EEENS1_30default_config_static_selectorELNS0_4arch9wavefront6targetE0EEEvT1_
	.globl	_ZN7rocprim17ROCPRIM_400000_NS6detail17trampoline_kernelINS0_14default_configENS1_27scan_by_key_config_selectorIixEEZZNS1_16scan_by_key_implILNS1_25lookback_scan_determinismE0ELb1ES3_N6thrust23THRUST_200600_302600_NS6detail15normal_iteratorINS9_10device_ptrIiEEEENSB_INSC_IxEEEESG_xNS9_4plusIvEENS9_8equal_toIvEExEE10hipError_tPvRmT2_T3_T4_T5_mT6_T7_P12ihipStream_tbENKUlT_T0_E_clISt17integral_constantIbLb1EES11_EEDaSW_SX_EUlSW_E_NS1_11comp_targetILNS1_3genE3ELNS1_11target_archE908ELNS1_3gpuE7ELNS1_3repE0EEENS1_30default_config_static_selectorELNS0_4arch9wavefront6targetE0EEEvT1_
	.p2align	8
	.type	_ZN7rocprim17ROCPRIM_400000_NS6detail17trampoline_kernelINS0_14default_configENS1_27scan_by_key_config_selectorIixEEZZNS1_16scan_by_key_implILNS1_25lookback_scan_determinismE0ELb1ES3_N6thrust23THRUST_200600_302600_NS6detail15normal_iteratorINS9_10device_ptrIiEEEENSB_INSC_IxEEEESG_xNS9_4plusIvEENS9_8equal_toIvEExEE10hipError_tPvRmT2_T3_T4_T5_mT6_T7_P12ihipStream_tbENKUlT_T0_E_clISt17integral_constantIbLb1EES11_EEDaSW_SX_EUlSW_E_NS1_11comp_targetILNS1_3genE3ELNS1_11target_archE908ELNS1_3gpuE7ELNS1_3repE0EEENS1_30default_config_static_selectorELNS0_4arch9wavefront6targetE0EEEvT1_,@function
_ZN7rocprim17ROCPRIM_400000_NS6detail17trampoline_kernelINS0_14default_configENS1_27scan_by_key_config_selectorIixEEZZNS1_16scan_by_key_implILNS1_25lookback_scan_determinismE0ELb1ES3_N6thrust23THRUST_200600_302600_NS6detail15normal_iteratorINS9_10device_ptrIiEEEENSB_INSC_IxEEEESG_xNS9_4plusIvEENS9_8equal_toIvEExEE10hipError_tPvRmT2_T3_T4_T5_mT6_T7_P12ihipStream_tbENKUlT_T0_E_clISt17integral_constantIbLb1EES11_EEDaSW_SX_EUlSW_E_NS1_11comp_targetILNS1_3genE3ELNS1_11target_archE908ELNS1_3gpuE7ELNS1_3repE0EEENS1_30default_config_static_selectorELNS0_4arch9wavefront6targetE0EEEvT1_: ; @_ZN7rocprim17ROCPRIM_400000_NS6detail17trampoline_kernelINS0_14default_configENS1_27scan_by_key_config_selectorIixEEZZNS1_16scan_by_key_implILNS1_25lookback_scan_determinismE0ELb1ES3_N6thrust23THRUST_200600_302600_NS6detail15normal_iteratorINS9_10device_ptrIiEEEENSB_INSC_IxEEEESG_xNS9_4plusIvEENS9_8equal_toIvEExEE10hipError_tPvRmT2_T3_T4_T5_mT6_T7_P12ihipStream_tbENKUlT_T0_E_clISt17integral_constantIbLb1EES11_EEDaSW_SX_EUlSW_E_NS1_11comp_targetILNS1_3genE3ELNS1_11target_archE908ELNS1_3gpuE7ELNS1_3repE0EEENS1_30default_config_static_selectorELNS0_4arch9wavefront6targetE0EEEvT1_
; %bb.0:
	.section	.rodata,"a",@progbits
	.p2align	6, 0x0
	.amdhsa_kernel _ZN7rocprim17ROCPRIM_400000_NS6detail17trampoline_kernelINS0_14default_configENS1_27scan_by_key_config_selectorIixEEZZNS1_16scan_by_key_implILNS1_25lookback_scan_determinismE0ELb1ES3_N6thrust23THRUST_200600_302600_NS6detail15normal_iteratorINS9_10device_ptrIiEEEENSB_INSC_IxEEEESG_xNS9_4plusIvEENS9_8equal_toIvEExEE10hipError_tPvRmT2_T3_T4_T5_mT6_T7_P12ihipStream_tbENKUlT_T0_E_clISt17integral_constantIbLb1EES11_EEDaSW_SX_EUlSW_E_NS1_11comp_targetILNS1_3genE3ELNS1_11target_archE908ELNS1_3gpuE7ELNS1_3repE0EEENS1_30default_config_static_selectorELNS0_4arch9wavefront6targetE0EEEvT1_
		.amdhsa_group_segment_fixed_size 0
		.amdhsa_private_segment_fixed_size 0
		.amdhsa_kernarg_size 136
		.amdhsa_user_sgpr_count 6
		.amdhsa_user_sgpr_private_segment_buffer 1
		.amdhsa_user_sgpr_dispatch_ptr 0
		.amdhsa_user_sgpr_queue_ptr 0
		.amdhsa_user_sgpr_kernarg_segment_ptr 1
		.amdhsa_user_sgpr_dispatch_id 0
		.amdhsa_user_sgpr_flat_scratch_init 0
		.amdhsa_user_sgpr_private_segment_size 0
		.amdhsa_wavefront_size32 1
		.amdhsa_uses_dynamic_stack 0
		.amdhsa_system_sgpr_private_segment_wavefront_offset 0
		.amdhsa_system_sgpr_workgroup_id_x 1
		.amdhsa_system_sgpr_workgroup_id_y 0
		.amdhsa_system_sgpr_workgroup_id_z 0
		.amdhsa_system_sgpr_workgroup_info 0
		.amdhsa_system_vgpr_workitem_id 0
		.amdhsa_next_free_vgpr 1
		.amdhsa_next_free_sgpr 1
		.amdhsa_reserve_vcc 0
		.amdhsa_reserve_flat_scratch 0
		.amdhsa_float_round_mode_32 0
		.amdhsa_float_round_mode_16_64 0
		.amdhsa_float_denorm_mode_32 3
		.amdhsa_float_denorm_mode_16_64 3
		.amdhsa_dx10_clamp 1
		.amdhsa_ieee_mode 1
		.amdhsa_fp16_overflow 0
		.amdhsa_workgroup_processor_mode 1
		.amdhsa_memory_ordered 1
		.amdhsa_forward_progress 1
		.amdhsa_shared_vgpr_count 0
		.amdhsa_exception_fp_ieee_invalid_op 0
		.amdhsa_exception_fp_denorm_src 0
		.amdhsa_exception_fp_ieee_div_zero 0
		.amdhsa_exception_fp_ieee_overflow 0
		.amdhsa_exception_fp_ieee_underflow 0
		.amdhsa_exception_fp_ieee_inexact 0
		.amdhsa_exception_int_div_zero 0
	.end_amdhsa_kernel
	.section	.text._ZN7rocprim17ROCPRIM_400000_NS6detail17trampoline_kernelINS0_14default_configENS1_27scan_by_key_config_selectorIixEEZZNS1_16scan_by_key_implILNS1_25lookback_scan_determinismE0ELb1ES3_N6thrust23THRUST_200600_302600_NS6detail15normal_iteratorINS9_10device_ptrIiEEEENSB_INSC_IxEEEESG_xNS9_4plusIvEENS9_8equal_toIvEExEE10hipError_tPvRmT2_T3_T4_T5_mT6_T7_P12ihipStream_tbENKUlT_T0_E_clISt17integral_constantIbLb1EES11_EEDaSW_SX_EUlSW_E_NS1_11comp_targetILNS1_3genE3ELNS1_11target_archE908ELNS1_3gpuE7ELNS1_3repE0EEENS1_30default_config_static_selectorELNS0_4arch9wavefront6targetE0EEEvT1_,"axG",@progbits,_ZN7rocprim17ROCPRIM_400000_NS6detail17trampoline_kernelINS0_14default_configENS1_27scan_by_key_config_selectorIixEEZZNS1_16scan_by_key_implILNS1_25lookback_scan_determinismE0ELb1ES3_N6thrust23THRUST_200600_302600_NS6detail15normal_iteratorINS9_10device_ptrIiEEEENSB_INSC_IxEEEESG_xNS9_4plusIvEENS9_8equal_toIvEExEE10hipError_tPvRmT2_T3_T4_T5_mT6_T7_P12ihipStream_tbENKUlT_T0_E_clISt17integral_constantIbLb1EES11_EEDaSW_SX_EUlSW_E_NS1_11comp_targetILNS1_3genE3ELNS1_11target_archE908ELNS1_3gpuE7ELNS1_3repE0EEENS1_30default_config_static_selectorELNS0_4arch9wavefront6targetE0EEEvT1_,comdat
.Lfunc_end1584:
	.size	_ZN7rocprim17ROCPRIM_400000_NS6detail17trampoline_kernelINS0_14default_configENS1_27scan_by_key_config_selectorIixEEZZNS1_16scan_by_key_implILNS1_25lookback_scan_determinismE0ELb1ES3_N6thrust23THRUST_200600_302600_NS6detail15normal_iteratorINS9_10device_ptrIiEEEENSB_INSC_IxEEEESG_xNS9_4plusIvEENS9_8equal_toIvEExEE10hipError_tPvRmT2_T3_T4_T5_mT6_T7_P12ihipStream_tbENKUlT_T0_E_clISt17integral_constantIbLb1EES11_EEDaSW_SX_EUlSW_E_NS1_11comp_targetILNS1_3genE3ELNS1_11target_archE908ELNS1_3gpuE7ELNS1_3repE0EEENS1_30default_config_static_selectorELNS0_4arch9wavefront6targetE0EEEvT1_, .Lfunc_end1584-_ZN7rocprim17ROCPRIM_400000_NS6detail17trampoline_kernelINS0_14default_configENS1_27scan_by_key_config_selectorIixEEZZNS1_16scan_by_key_implILNS1_25lookback_scan_determinismE0ELb1ES3_N6thrust23THRUST_200600_302600_NS6detail15normal_iteratorINS9_10device_ptrIiEEEENSB_INSC_IxEEEESG_xNS9_4plusIvEENS9_8equal_toIvEExEE10hipError_tPvRmT2_T3_T4_T5_mT6_T7_P12ihipStream_tbENKUlT_T0_E_clISt17integral_constantIbLb1EES11_EEDaSW_SX_EUlSW_E_NS1_11comp_targetILNS1_3genE3ELNS1_11target_archE908ELNS1_3gpuE7ELNS1_3repE0EEENS1_30default_config_static_selectorELNS0_4arch9wavefront6targetE0EEEvT1_
                                        ; -- End function
	.set _ZN7rocprim17ROCPRIM_400000_NS6detail17trampoline_kernelINS0_14default_configENS1_27scan_by_key_config_selectorIixEEZZNS1_16scan_by_key_implILNS1_25lookback_scan_determinismE0ELb1ES3_N6thrust23THRUST_200600_302600_NS6detail15normal_iteratorINS9_10device_ptrIiEEEENSB_INSC_IxEEEESG_xNS9_4plusIvEENS9_8equal_toIvEExEE10hipError_tPvRmT2_T3_T4_T5_mT6_T7_P12ihipStream_tbENKUlT_T0_E_clISt17integral_constantIbLb1EES11_EEDaSW_SX_EUlSW_E_NS1_11comp_targetILNS1_3genE3ELNS1_11target_archE908ELNS1_3gpuE7ELNS1_3repE0EEENS1_30default_config_static_selectorELNS0_4arch9wavefront6targetE0EEEvT1_.num_vgpr, 0
	.set _ZN7rocprim17ROCPRIM_400000_NS6detail17trampoline_kernelINS0_14default_configENS1_27scan_by_key_config_selectorIixEEZZNS1_16scan_by_key_implILNS1_25lookback_scan_determinismE0ELb1ES3_N6thrust23THRUST_200600_302600_NS6detail15normal_iteratorINS9_10device_ptrIiEEEENSB_INSC_IxEEEESG_xNS9_4plusIvEENS9_8equal_toIvEExEE10hipError_tPvRmT2_T3_T4_T5_mT6_T7_P12ihipStream_tbENKUlT_T0_E_clISt17integral_constantIbLb1EES11_EEDaSW_SX_EUlSW_E_NS1_11comp_targetILNS1_3genE3ELNS1_11target_archE908ELNS1_3gpuE7ELNS1_3repE0EEENS1_30default_config_static_selectorELNS0_4arch9wavefront6targetE0EEEvT1_.num_agpr, 0
	.set _ZN7rocprim17ROCPRIM_400000_NS6detail17trampoline_kernelINS0_14default_configENS1_27scan_by_key_config_selectorIixEEZZNS1_16scan_by_key_implILNS1_25lookback_scan_determinismE0ELb1ES3_N6thrust23THRUST_200600_302600_NS6detail15normal_iteratorINS9_10device_ptrIiEEEENSB_INSC_IxEEEESG_xNS9_4plusIvEENS9_8equal_toIvEExEE10hipError_tPvRmT2_T3_T4_T5_mT6_T7_P12ihipStream_tbENKUlT_T0_E_clISt17integral_constantIbLb1EES11_EEDaSW_SX_EUlSW_E_NS1_11comp_targetILNS1_3genE3ELNS1_11target_archE908ELNS1_3gpuE7ELNS1_3repE0EEENS1_30default_config_static_selectorELNS0_4arch9wavefront6targetE0EEEvT1_.numbered_sgpr, 0
	.set _ZN7rocprim17ROCPRIM_400000_NS6detail17trampoline_kernelINS0_14default_configENS1_27scan_by_key_config_selectorIixEEZZNS1_16scan_by_key_implILNS1_25lookback_scan_determinismE0ELb1ES3_N6thrust23THRUST_200600_302600_NS6detail15normal_iteratorINS9_10device_ptrIiEEEENSB_INSC_IxEEEESG_xNS9_4plusIvEENS9_8equal_toIvEExEE10hipError_tPvRmT2_T3_T4_T5_mT6_T7_P12ihipStream_tbENKUlT_T0_E_clISt17integral_constantIbLb1EES11_EEDaSW_SX_EUlSW_E_NS1_11comp_targetILNS1_3genE3ELNS1_11target_archE908ELNS1_3gpuE7ELNS1_3repE0EEENS1_30default_config_static_selectorELNS0_4arch9wavefront6targetE0EEEvT1_.num_named_barrier, 0
	.set _ZN7rocprim17ROCPRIM_400000_NS6detail17trampoline_kernelINS0_14default_configENS1_27scan_by_key_config_selectorIixEEZZNS1_16scan_by_key_implILNS1_25lookback_scan_determinismE0ELb1ES3_N6thrust23THRUST_200600_302600_NS6detail15normal_iteratorINS9_10device_ptrIiEEEENSB_INSC_IxEEEESG_xNS9_4plusIvEENS9_8equal_toIvEExEE10hipError_tPvRmT2_T3_T4_T5_mT6_T7_P12ihipStream_tbENKUlT_T0_E_clISt17integral_constantIbLb1EES11_EEDaSW_SX_EUlSW_E_NS1_11comp_targetILNS1_3genE3ELNS1_11target_archE908ELNS1_3gpuE7ELNS1_3repE0EEENS1_30default_config_static_selectorELNS0_4arch9wavefront6targetE0EEEvT1_.private_seg_size, 0
	.set _ZN7rocprim17ROCPRIM_400000_NS6detail17trampoline_kernelINS0_14default_configENS1_27scan_by_key_config_selectorIixEEZZNS1_16scan_by_key_implILNS1_25lookback_scan_determinismE0ELb1ES3_N6thrust23THRUST_200600_302600_NS6detail15normal_iteratorINS9_10device_ptrIiEEEENSB_INSC_IxEEEESG_xNS9_4plusIvEENS9_8equal_toIvEExEE10hipError_tPvRmT2_T3_T4_T5_mT6_T7_P12ihipStream_tbENKUlT_T0_E_clISt17integral_constantIbLb1EES11_EEDaSW_SX_EUlSW_E_NS1_11comp_targetILNS1_3genE3ELNS1_11target_archE908ELNS1_3gpuE7ELNS1_3repE0EEENS1_30default_config_static_selectorELNS0_4arch9wavefront6targetE0EEEvT1_.uses_vcc, 0
	.set _ZN7rocprim17ROCPRIM_400000_NS6detail17trampoline_kernelINS0_14default_configENS1_27scan_by_key_config_selectorIixEEZZNS1_16scan_by_key_implILNS1_25lookback_scan_determinismE0ELb1ES3_N6thrust23THRUST_200600_302600_NS6detail15normal_iteratorINS9_10device_ptrIiEEEENSB_INSC_IxEEEESG_xNS9_4plusIvEENS9_8equal_toIvEExEE10hipError_tPvRmT2_T3_T4_T5_mT6_T7_P12ihipStream_tbENKUlT_T0_E_clISt17integral_constantIbLb1EES11_EEDaSW_SX_EUlSW_E_NS1_11comp_targetILNS1_3genE3ELNS1_11target_archE908ELNS1_3gpuE7ELNS1_3repE0EEENS1_30default_config_static_selectorELNS0_4arch9wavefront6targetE0EEEvT1_.uses_flat_scratch, 0
	.set _ZN7rocprim17ROCPRIM_400000_NS6detail17trampoline_kernelINS0_14default_configENS1_27scan_by_key_config_selectorIixEEZZNS1_16scan_by_key_implILNS1_25lookback_scan_determinismE0ELb1ES3_N6thrust23THRUST_200600_302600_NS6detail15normal_iteratorINS9_10device_ptrIiEEEENSB_INSC_IxEEEESG_xNS9_4plusIvEENS9_8equal_toIvEExEE10hipError_tPvRmT2_T3_T4_T5_mT6_T7_P12ihipStream_tbENKUlT_T0_E_clISt17integral_constantIbLb1EES11_EEDaSW_SX_EUlSW_E_NS1_11comp_targetILNS1_3genE3ELNS1_11target_archE908ELNS1_3gpuE7ELNS1_3repE0EEENS1_30default_config_static_selectorELNS0_4arch9wavefront6targetE0EEEvT1_.has_dyn_sized_stack, 0
	.set _ZN7rocprim17ROCPRIM_400000_NS6detail17trampoline_kernelINS0_14default_configENS1_27scan_by_key_config_selectorIixEEZZNS1_16scan_by_key_implILNS1_25lookback_scan_determinismE0ELb1ES3_N6thrust23THRUST_200600_302600_NS6detail15normal_iteratorINS9_10device_ptrIiEEEENSB_INSC_IxEEEESG_xNS9_4plusIvEENS9_8equal_toIvEExEE10hipError_tPvRmT2_T3_T4_T5_mT6_T7_P12ihipStream_tbENKUlT_T0_E_clISt17integral_constantIbLb1EES11_EEDaSW_SX_EUlSW_E_NS1_11comp_targetILNS1_3genE3ELNS1_11target_archE908ELNS1_3gpuE7ELNS1_3repE0EEENS1_30default_config_static_selectorELNS0_4arch9wavefront6targetE0EEEvT1_.has_recursion, 0
	.set _ZN7rocprim17ROCPRIM_400000_NS6detail17trampoline_kernelINS0_14default_configENS1_27scan_by_key_config_selectorIixEEZZNS1_16scan_by_key_implILNS1_25lookback_scan_determinismE0ELb1ES3_N6thrust23THRUST_200600_302600_NS6detail15normal_iteratorINS9_10device_ptrIiEEEENSB_INSC_IxEEEESG_xNS9_4plusIvEENS9_8equal_toIvEExEE10hipError_tPvRmT2_T3_T4_T5_mT6_T7_P12ihipStream_tbENKUlT_T0_E_clISt17integral_constantIbLb1EES11_EEDaSW_SX_EUlSW_E_NS1_11comp_targetILNS1_3genE3ELNS1_11target_archE908ELNS1_3gpuE7ELNS1_3repE0EEENS1_30default_config_static_selectorELNS0_4arch9wavefront6targetE0EEEvT1_.has_indirect_call, 0
	.section	.AMDGPU.csdata,"",@progbits
; Kernel info:
; codeLenInByte = 0
; TotalNumSgprs: 0
; NumVgprs: 0
; ScratchSize: 0
; MemoryBound: 0
; FloatMode: 240
; IeeeMode: 1
; LDSByteSize: 0 bytes/workgroup (compile time only)
; SGPRBlocks: 0
; VGPRBlocks: 0
; NumSGPRsForWavesPerEU: 1
; NumVGPRsForWavesPerEU: 1
; Occupancy: 16
; WaveLimiterHint : 0
; COMPUTE_PGM_RSRC2:SCRATCH_EN: 0
; COMPUTE_PGM_RSRC2:USER_SGPR: 6
; COMPUTE_PGM_RSRC2:TRAP_HANDLER: 0
; COMPUTE_PGM_RSRC2:TGID_X_EN: 1
; COMPUTE_PGM_RSRC2:TGID_Y_EN: 0
; COMPUTE_PGM_RSRC2:TGID_Z_EN: 0
; COMPUTE_PGM_RSRC2:TIDIG_COMP_CNT: 0
	.section	.text._ZN7rocprim17ROCPRIM_400000_NS6detail17trampoline_kernelINS0_14default_configENS1_27scan_by_key_config_selectorIixEEZZNS1_16scan_by_key_implILNS1_25lookback_scan_determinismE0ELb1ES3_N6thrust23THRUST_200600_302600_NS6detail15normal_iteratorINS9_10device_ptrIiEEEENSB_INSC_IxEEEESG_xNS9_4plusIvEENS9_8equal_toIvEExEE10hipError_tPvRmT2_T3_T4_T5_mT6_T7_P12ihipStream_tbENKUlT_T0_E_clISt17integral_constantIbLb1EES11_EEDaSW_SX_EUlSW_E_NS1_11comp_targetILNS1_3genE2ELNS1_11target_archE906ELNS1_3gpuE6ELNS1_3repE0EEENS1_30default_config_static_selectorELNS0_4arch9wavefront6targetE0EEEvT1_,"axG",@progbits,_ZN7rocprim17ROCPRIM_400000_NS6detail17trampoline_kernelINS0_14default_configENS1_27scan_by_key_config_selectorIixEEZZNS1_16scan_by_key_implILNS1_25lookback_scan_determinismE0ELb1ES3_N6thrust23THRUST_200600_302600_NS6detail15normal_iteratorINS9_10device_ptrIiEEEENSB_INSC_IxEEEESG_xNS9_4plusIvEENS9_8equal_toIvEExEE10hipError_tPvRmT2_T3_T4_T5_mT6_T7_P12ihipStream_tbENKUlT_T0_E_clISt17integral_constantIbLb1EES11_EEDaSW_SX_EUlSW_E_NS1_11comp_targetILNS1_3genE2ELNS1_11target_archE906ELNS1_3gpuE6ELNS1_3repE0EEENS1_30default_config_static_selectorELNS0_4arch9wavefront6targetE0EEEvT1_,comdat
	.protected	_ZN7rocprim17ROCPRIM_400000_NS6detail17trampoline_kernelINS0_14default_configENS1_27scan_by_key_config_selectorIixEEZZNS1_16scan_by_key_implILNS1_25lookback_scan_determinismE0ELb1ES3_N6thrust23THRUST_200600_302600_NS6detail15normal_iteratorINS9_10device_ptrIiEEEENSB_INSC_IxEEEESG_xNS9_4plusIvEENS9_8equal_toIvEExEE10hipError_tPvRmT2_T3_T4_T5_mT6_T7_P12ihipStream_tbENKUlT_T0_E_clISt17integral_constantIbLb1EES11_EEDaSW_SX_EUlSW_E_NS1_11comp_targetILNS1_3genE2ELNS1_11target_archE906ELNS1_3gpuE6ELNS1_3repE0EEENS1_30default_config_static_selectorELNS0_4arch9wavefront6targetE0EEEvT1_ ; -- Begin function _ZN7rocprim17ROCPRIM_400000_NS6detail17trampoline_kernelINS0_14default_configENS1_27scan_by_key_config_selectorIixEEZZNS1_16scan_by_key_implILNS1_25lookback_scan_determinismE0ELb1ES3_N6thrust23THRUST_200600_302600_NS6detail15normal_iteratorINS9_10device_ptrIiEEEENSB_INSC_IxEEEESG_xNS9_4plusIvEENS9_8equal_toIvEExEE10hipError_tPvRmT2_T3_T4_T5_mT6_T7_P12ihipStream_tbENKUlT_T0_E_clISt17integral_constantIbLb1EES11_EEDaSW_SX_EUlSW_E_NS1_11comp_targetILNS1_3genE2ELNS1_11target_archE906ELNS1_3gpuE6ELNS1_3repE0EEENS1_30default_config_static_selectorELNS0_4arch9wavefront6targetE0EEEvT1_
	.globl	_ZN7rocprim17ROCPRIM_400000_NS6detail17trampoline_kernelINS0_14default_configENS1_27scan_by_key_config_selectorIixEEZZNS1_16scan_by_key_implILNS1_25lookback_scan_determinismE0ELb1ES3_N6thrust23THRUST_200600_302600_NS6detail15normal_iteratorINS9_10device_ptrIiEEEENSB_INSC_IxEEEESG_xNS9_4plusIvEENS9_8equal_toIvEExEE10hipError_tPvRmT2_T3_T4_T5_mT6_T7_P12ihipStream_tbENKUlT_T0_E_clISt17integral_constantIbLb1EES11_EEDaSW_SX_EUlSW_E_NS1_11comp_targetILNS1_3genE2ELNS1_11target_archE906ELNS1_3gpuE6ELNS1_3repE0EEENS1_30default_config_static_selectorELNS0_4arch9wavefront6targetE0EEEvT1_
	.p2align	8
	.type	_ZN7rocprim17ROCPRIM_400000_NS6detail17trampoline_kernelINS0_14default_configENS1_27scan_by_key_config_selectorIixEEZZNS1_16scan_by_key_implILNS1_25lookback_scan_determinismE0ELb1ES3_N6thrust23THRUST_200600_302600_NS6detail15normal_iteratorINS9_10device_ptrIiEEEENSB_INSC_IxEEEESG_xNS9_4plusIvEENS9_8equal_toIvEExEE10hipError_tPvRmT2_T3_T4_T5_mT6_T7_P12ihipStream_tbENKUlT_T0_E_clISt17integral_constantIbLb1EES11_EEDaSW_SX_EUlSW_E_NS1_11comp_targetILNS1_3genE2ELNS1_11target_archE906ELNS1_3gpuE6ELNS1_3repE0EEENS1_30default_config_static_selectorELNS0_4arch9wavefront6targetE0EEEvT1_,@function
_ZN7rocprim17ROCPRIM_400000_NS6detail17trampoline_kernelINS0_14default_configENS1_27scan_by_key_config_selectorIixEEZZNS1_16scan_by_key_implILNS1_25lookback_scan_determinismE0ELb1ES3_N6thrust23THRUST_200600_302600_NS6detail15normal_iteratorINS9_10device_ptrIiEEEENSB_INSC_IxEEEESG_xNS9_4plusIvEENS9_8equal_toIvEExEE10hipError_tPvRmT2_T3_T4_T5_mT6_T7_P12ihipStream_tbENKUlT_T0_E_clISt17integral_constantIbLb1EES11_EEDaSW_SX_EUlSW_E_NS1_11comp_targetILNS1_3genE2ELNS1_11target_archE906ELNS1_3gpuE6ELNS1_3repE0EEENS1_30default_config_static_selectorELNS0_4arch9wavefront6targetE0EEEvT1_: ; @_ZN7rocprim17ROCPRIM_400000_NS6detail17trampoline_kernelINS0_14default_configENS1_27scan_by_key_config_selectorIixEEZZNS1_16scan_by_key_implILNS1_25lookback_scan_determinismE0ELb1ES3_N6thrust23THRUST_200600_302600_NS6detail15normal_iteratorINS9_10device_ptrIiEEEENSB_INSC_IxEEEESG_xNS9_4plusIvEENS9_8equal_toIvEExEE10hipError_tPvRmT2_T3_T4_T5_mT6_T7_P12ihipStream_tbENKUlT_T0_E_clISt17integral_constantIbLb1EES11_EEDaSW_SX_EUlSW_E_NS1_11comp_targetILNS1_3genE2ELNS1_11target_archE906ELNS1_3gpuE6ELNS1_3repE0EEENS1_30default_config_static_selectorELNS0_4arch9wavefront6targetE0EEEvT1_
; %bb.0:
	.section	.rodata,"a",@progbits
	.p2align	6, 0x0
	.amdhsa_kernel _ZN7rocprim17ROCPRIM_400000_NS6detail17trampoline_kernelINS0_14default_configENS1_27scan_by_key_config_selectorIixEEZZNS1_16scan_by_key_implILNS1_25lookback_scan_determinismE0ELb1ES3_N6thrust23THRUST_200600_302600_NS6detail15normal_iteratorINS9_10device_ptrIiEEEENSB_INSC_IxEEEESG_xNS9_4plusIvEENS9_8equal_toIvEExEE10hipError_tPvRmT2_T3_T4_T5_mT6_T7_P12ihipStream_tbENKUlT_T0_E_clISt17integral_constantIbLb1EES11_EEDaSW_SX_EUlSW_E_NS1_11comp_targetILNS1_3genE2ELNS1_11target_archE906ELNS1_3gpuE6ELNS1_3repE0EEENS1_30default_config_static_selectorELNS0_4arch9wavefront6targetE0EEEvT1_
		.amdhsa_group_segment_fixed_size 0
		.amdhsa_private_segment_fixed_size 0
		.amdhsa_kernarg_size 136
		.amdhsa_user_sgpr_count 6
		.amdhsa_user_sgpr_private_segment_buffer 1
		.amdhsa_user_sgpr_dispatch_ptr 0
		.amdhsa_user_sgpr_queue_ptr 0
		.amdhsa_user_sgpr_kernarg_segment_ptr 1
		.amdhsa_user_sgpr_dispatch_id 0
		.amdhsa_user_sgpr_flat_scratch_init 0
		.amdhsa_user_sgpr_private_segment_size 0
		.amdhsa_wavefront_size32 1
		.amdhsa_uses_dynamic_stack 0
		.amdhsa_system_sgpr_private_segment_wavefront_offset 0
		.amdhsa_system_sgpr_workgroup_id_x 1
		.amdhsa_system_sgpr_workgroup_id_y 0
		.amdhsa_system_sgpr_workgroup_id_z 0
		.amdhsa_system_sgpr_workgroup_info 0
		.amdhsa_system_vgpr_workitem_id 0
		.amdhsa_next_free_vgpr 1
		.amdhsa_next_free_sgpr 1
		.amdhsa_reserve_vcc 0
		.amdhsa_reserve_flat_scratch 0
		.amdhsa_float_round_mode_32 0
		.amdhsa_float_round_mode_16_64 0
		.amdhsa_float_denorm_mode_32 3
		.amdhsa_float_denorm_mode_16_64 3
		.amdhsa_dx10_clamp 1
		.amdhsa_ieee_mode 1
		.amdhsa_fp16_overflow 0
		.amdhsa_workgroup_processor_mode 1
		.amdhsa_memory_ordered 1
		.amdhsa_forward_progress 1
		.amdhsa_shared_vgpr_count 0
		.amdhsa_exception_fp_ieee_invalid_op 0
		.amdhsa_exception_fp_denorm_src 0
		.amdhsa_exception_fp_ieee_div_zero 0
		.amdhsa_exception_fp_ieee_overflow 0
		.amdhsa_exception_fp_ieee_underflow 0
		.amdhsa_exception_fp_ieee_inexact 0
		.amdhsa_exception_int_div_zero 0
	.end_amdhsa_kernel
	.section	.text._ZN7rocprim17ROCPRIM_400000_NS6detail17trampoline_kernelINS0_14default_configENS1_27scan_by_key_config_selectorIixEEZZNS1_16scan_by_key_implILNS1_25lookback_scan_determinismE0ELb1ES3_N6thrust23THRUST_200600_302600_NS6detail15normal_iteratorINS9_10device_ptrIiEEEENSB_INSC_IxEEEESG_xNS9_4plusIvEENS9_8equal_toIvEExEE10hipError_tPvRmT2_T3_T4_T5_mT6_T7_P12ihipStream_tbENKUlT_T0_E_clISt17integral_constantIbLb1EES11_EEDaSW_SX_EUlSW_E_NS1_11comp_targetILNS1_3genE2ELNS1_11target_archE906ELNS1_3gpuE6ELNS1_3repE0EEENS1_30default_config_static_selectorELNS0_4arch9wavefront6targetE0EEEvT1_,"axG",@progbits,_ZN7rocprim17ROCPRIM_400000_NS6detail17trampoline_kernelINS0_14default_configENS1_27scan_by_key_config_selectorIixEEZZNS1_16scan_by_key_implILNS1_25lookback_scan_determinismE0ELb1ES3_N6thrust23THRUST_200600_302600_NS6detail15normal_iteratorINS9_10device_ptrIiEEEENSB_INSC_IxEEEESG_xNS9_4plusIvEENS9_8equal_toIvEExEE10hipError_tPvRmT2_T3_T4_T5_mT6_T7_P12ihipStream_tbENKUlT_T0_E_clISt17integral_constantIbLb1EES11_EEDaSW_SX_EUlSW_E_NS1_11comp_targetILNS1_3genE2ELNS1_11target_archE906ELNS1_3gpuE6ELNS1_3repE0EEENS1_30default_config_static_selectorELNS0_4arch9wavefront6targetE0EEEvT1_,comdat
.Lfunc_end1585:
	.size	_ZN7rocprim17ROCPRIM_400000_NS6detail17trampoline_kernelINS0_14default_configENS1_27scan_by_key_config_selectorIixEEZZNS1_16scan_by_key_implILNS1_25lookback_scan_determinismE0ELb1ES3_N6thrust23THRUST_200600_302600_NS6detail15normal_iteratorINS9_10device_ptrIiEEEENSB_INSC_IxEEEESG_xNS9_4plusIvEENS9_8equal_toIvEExEE10hipError_tPvRmT2_T3_T4_T5_mT6_T7_P12ihipStream_tbENKUlT_T0_E_clISt17integral_constantIbLb1EES11_EEDaSW_SX_EUlSW_E_NS1_11comp_targetILNS1_3genE2ELNS1_11target_archE906ELNS1_3gpuE6ELNS1_3repE0EEENS1_30default_config_static_selectorELNS0_4arch9wavefront6targetE0EEEvT1_, .Lfunc_end1585-_ZN7rocprim17ROCPRIM_400000_NS6detail17trampoline_kernelINS0_14default_configENS1_27scan_by_key_config_selectorIixEEZZNS1_16scan_by_key_implILNS1_25lookback_scan_determinismE0ELb1ES3_N6thrust23THRUST_200600_302600_NS6detail15normal_iteratorINS9_10device_ptrIiEEEENSB_INSC_IxEEEESG_xNS9_4plusIvEENS9_8equal_toIvEExEE10hipError_tPvRmT2_T3_T4_T5_mT6_T7_P12ihipStream_tbENKUlT_T0_E_clISt17integral_constantIbLb1EES11_EEDaSW_SX_EUlSW_E_NS1_11comp_targetILNS1_3genE2ELNS1_11target_archE906ELNS1_3gpuE6ELNS1_3repE0EEENS1_30default_config_static_selectorELNS0_4arch9wavefront6targetE0EEEvT1_
                                        ; -- End function
	.set _ZN7rocprim17ROCPRIM_400000_NS6detail17trampoline_kernelINS0_14default_configENS1_27scan_by_key_config_selectorIixEEZZNS1_16scan_by_key_implILNS1_25lookback_scan_determinismE0ELb1ES3_N6thrust23THRUST_200600_302600_NS6detail15normal_iteratorINS9_10device_ptrIiEEEENSB_INSC_IxEEEESG_xNS9_4plusIvEENS9_8equal_toIvEExEE10hipError_tPvRmT2_T3_T4_T5_mT6_T7_P12ihipStream_tbENKUlT_T0_E_clISt17integral_constantIbLb1EES11_EEDaSW_SX_EUlSW_E_NS1_11comp_targetILNS1_3genE2ELNS1_11target_archE906ELNS1_3gpuE6ELNS1_3repE0EEENS1_30default_config_static_selectorELNS0_4arch9wavefront6targetE0EEEvT1_.num_vgpr, 0
	.set _ZN7rocprim17ROCPRIM_400000_NS6detail17trampoline_kernelINS0_14default_configENS1_27scan_by_key_config_selectorIixEEZZNS1_16scan_by_key_implILNS1_25lookback_scan_determinismE0ELb1ES3_N6thrust23THRUST_200600_302600_NS6detail15normal_iteratorINS9_10device_ptrIiEEEENSB_INSC_IxEEEESG_xNS9_4plusIvEENS9_8equal_toIvEExEE10hipError_tPvRmT2_T3_T4_T5_mT6_T7_P12ihipStream_tbENKUlT_T0_E_clISt17integral_constantIbLb1EES11_EEDaSW_SX_EUlSW_E_NS1_11comp_targetILNS1_3genE2ELNS1_11target_archE906ELNS1_3gpuE6ELNS1_3repE0EEENS1_30default_config_static_selectorELNS0_4arch9wavefront6targetE0EEEvT1_.num_agpr, 0
	.set _ZN7rocprim17ROCPRIM_400000_NS6detail17trampoline_kernelINS0_14default_configENS1_27scan_by_key_config_selectorIixEEZZNS1_16scan_by_key_implILNS1_25lookback_scan_determinismE0ELb1ES3_N6thrust23THRUST_200600_302600_NS6detail15normal_iteratorINS9_10device_ptrIiEEEENSB_INSC_IxEEEESG_xNS9_4plusIvEENS9_8equal_toIvEExEE10hipError_tPvRmT2_T3_T4_T5_mT6_T7_P12ihipStream_tbENKUlT_T0_E_clISt17integral_constantIbLb1EES11_EEDaSW_SX_EUlSW_E_NS1_11comp_targetILNS1_3genE2ELNS1_11target_archE906ELNS1_3gpuE6ELNS1_3repE0EEENS1_30default_config_static_selectorELNS0_4arch9wavefront6targetE0EEEvT1_.numbered_sgpr, 0
	.set _ZN7rocprim17ROCPRIM_400000_NS6detail17trampoline_kernelINS0_14default_configENS1_27scan_by_key_config_selectorIixEEZZNS1_16scan_by_key_implILNS1_25lookback_scan_determinismE0ELb1ES3_N6thrust23THRUST_200600_302600_NS6detail15normal_iteratorINS9_10device_ptrIiEEEENSB_INSC_IxEEEESG_xNS9_4plusIvEENS9_8equal_toIvEExEE10hipError_tPvRmT2_T3_T4_T5_mT6_T7_P12ihipStream_tbENKUlT_T0_E_clISt17integral_constantIbLb1EES11_EEDaSW_SX_EUlSW_E_NS1_11comp_targetILNS1_3genE2ELNS1_11target_archE906ELNS1_3gpuE6ELNS1_3repE0EEENS1_30default_config_static_selectorELNS0_4arch9wavefront6targetE0EEEvT1_.num_named_barrier, 0
	.set _ZN7rocprim17ROCPRIM_400000_NS6detail17trampoline_kernelINS0_14default_configENS1_27scan_by_key_config_selectorIixEEZZNS1_16scan_by_key_implILNS1_25lookback_scan_determinismE0ELb1ES3_N6thrust23THRUST_200600_302600_NS6detail15normal_iteratorINS9_10device_ptrIiEEEENSB_INSC_IxEEEESG_xNS9_4plusIvEENS9_8equal_toIvEExEE10hipError_tPvRmT2_T3_T4_T5_mT6_T7_P12ihipStream_tbENKUlT_T0_E_clISt17integral_constantIbLb1EES11_EEDaSW_SX_EUlSW_E_NS1_11comp_targetILNS1_3genE2ELNS1_11target_archE906ELNS1_3gpuE6ELNS1_3repE0EEENS1_30default_config_static_selectorELNS0_4arch9wavefront6targetE0EEEvT1_.private_seg_size, 0
	.set _ZN7rocprim17ROCPRIM_400000_NS6detail17trampoline_kernelINS0_14default_configENS1_27scan_by_key_config_selectorIixEEZZNS1_16scan_by_key_implILNS1_25lookback_scan_determinismE0ELb1ES3_N6thrust23THRUST_200600_302600_NS6detail15normal_iteratorINS9_10device_ptrIiEEEENSB_INSC_IxEEEESG_xNS9_4plusIvEENS9_8equal_toIvEExEE10hipError_tPvRmT2_T3_T4_T5_mT6_T7_P12ihipStream_tbENKUlT_T0_E_clISt17integral_constantIbLb1EES11_EEDaSW_SX_EUlSW_E_NS1_11comp_targetILNS1_3genE2ELNS1_11target_archE906ELNS1_3gpuE6ELNS1_3repE0EEENS1_30default_config_static_selectorELNS0_4arch9wavefront6targetE0EEEvT1_.uses_vcc, 0
	.set _ZN7rocprim17ROCPRIM_400000_NS6detail17trampoline_kernelINS0_14default_configENS1_27scan_by_key_config_selectorIixEEZZNS1_16scan_by_key_implILNS1_25lookback_scan_determinismE0ELb1ES3_N6thrust23THRUST_200600_302600_NS6detail15normal_iteratorINS9_10device_ptrIiEEEENSB_INSC_IxEEEESG_xNS9_4plusIvEENS9_8equal_toIvEExEE10hipError_tPvRmT2_T3_T4_T5_mT6_T7_P12ihipStream_tbENKUlT_T0_E_clISt17integral_constantIbLb1EES11_EEDaSW_SX_EUlSW_E_NS1_11comp_targetILNS1_3genE2ELNS1_11target_archE906ELNS1_3gpuE6ELNS1_3repE0EEENS1_30default_config_static_selectorELNS0_4arch9wavefront6targetE0EEEvT1_.uses_flat_scratch, 0
	.set _ZN7rocprim17ROCPRIM_400000_NS6detail17trampoline_kernelINS0_14default_configENS1_27scan_by_key_config_selectorIixEEZZNS1_16scan_by_key_implILNS1_25lookback_scan_determinismE0ELb1ES3_N6thrust23THRUST_200600_302600_NS6detail15normal_iteratorINS9_10device_ptrIiEEEENSB_INSC_IxEEEESG_xNS9_4plusIvEENS9_8equal_toIvEExEE10hipError_tPvRmT2_T3_T4_T5_mT6_T7_P12ihipStream_tbENKUlT_T0_E_clISt17integral_constantIbLb1EES11_EEDaSW_SX_EUlSW_E_NS1_11comp_targetILNS1_3genE2ELNS1_11target_archE906ELNS1_3gpuE6ELNS1_3repE0EEENS1_30default_config_static_selectorELNS0_4arch9wavefront6targetE0EEEvT1_.has_dyn_sized_stack, 0
	.set _ZN7rocprim17ROCPRIM_400000_NS6detail17trampoline_kernelINS0_14default_configENS1_27scan_by_key_config_selectorIixEEZZNS1_16scan_by_key_implILNS1_25lookback_scan_determinismE0ELb1ES3_N6thrust23THRUST_200600_302600_NS6detail15normal_iteratorINS9_10device_ptrIiEEEENSB_INSC_IxEEEESG_xNS9_4plusIvEENS9_8equal_toIvEExEE10hipError_tPvRmT2_T3_T4_T5_mT6_T7_P12ihipStream_tbENKUlT_T0_E_clISt17integral_constantIbLb1EES11_EEDaSW_SX_EUlSW_E_NS1_11comp_targetILNS1_3genE2ELNS1_11target_archE906ELNS1_3gpuE6ELNS1_3repE0EEENS1_30default_config_static_selectorELNS0_4arch9wavefront6targetE0EEEvT1_.has_recursion, 0
	.set _ZN7rocprim17ROCPRIM_400000_NS6detail17trampoline_kernelINS0_14default_configENS1_27scan_by_key_config_selectorIixEEZZNS1_16scan_by_key_implILNS1_25lookback_scan_determinismE0ELb1ES3_N6thrust23THRUST_200600_302600_NS6detail15normal_iteratorINS9_10device_ptrIiEEEENSB_INSC_IxEEEESG_xNS9_4plusIvEENS9_8equal_toIvEExEE10hipError_tPvRmT2_T3_T4_T5_mT6_T7_P12ihipStream_tbENKUlT_T0_E_clISt17integral_constantIbLb1EES11_EEDaSW_SX_EUlSW_E_NS1_11comp_targetILNS1_3genE2ELNS1_11target_archE906ELNS1_3gpuE6ELNS1_3repE0EEENS1_30default_config_static_selectorELNS0_4arch9wavefront6targetE0EEEvT1_.has_indirect_call, 0
	.section	.AMDGPU.csdata,"",@progbits
; Kernel info:
; codeLenInByte = 0
; TotalNumSgprs: 0
; NumVgprs: 0
; ScratchSize: 0
; MemoryBound: 0
; FloatMode: 240
; IeeeMode: 1
; LDSByteSize: 0 bytes/workgroup (compile time only)
; SGPRBlocks: 0
; VGPRBlocks: 0
; NumSGPRsForWavesPerEU: 1
; NumVGPRsForWavesPerEU: 1
; Occupancy: 16
; WaveLimiterHint : 0
; COMPUTE_PGM_RSRC2:SCRATCH_EN: 0
; COMPUTE_PGM_RSRC2:USER_SGPR: 6
; COMPUTE_PGM_RSRC2:TRAP_HANDLER: 0
; COMPUTE_PGM_RSRC2:TGID_X_EN: 1
; COMPUTE_PGM_RSRC2:TGID_Y_EN: 0
; COMPUTE_PGM_RSRC2:TGID_Z_EN: 0
; COMPUTE_PGM_RSRC2:TIDIG_COMP_CNT: 0
	.section	.text._ZN7rocprim17ROCPRIM_400000_NS6detail17trampoline_kernelINS0_14default_configENS1_27scan_by_key_config_selectorIixEEZZNS1_16scan_by_key_implILNS1_25lookback_scan_determinismE0ELb1ES3_N6thrust23THRUST_200600_302600_NS6detail15normal_iteratorINS9_10device_ptrIiEEEENSB_INSC_IxEEEESG_xNS9_4plusIvEENS9_8equal_toIvEExEE10hipError_tPvRmT2_T3_T4_T5_mT6_T7_P12ihipStream_tbENKUlT_T0_E_clISt17integral_constantIbLb1EES11_EEDaSW_SX_EUlSW_E_NS1_11comp_targetILNS1_3genE10ELNS1_11target_archE1200ELNS1_3gpuE4ELNS1_3repE0EEENS1_30default_config_static_selectorELNS0_4arch9wavefront6targetE0EEEvT1_,"axG",@progbits,_ZN7rocprim17ROCPRIM_400000_NS6detail17trampoline_kernelINS0_14default_configENS1_27scan_by_key_config_selectorIixEEZZNS1_16scan_by_key_implILNS1_25lookback_scan_determinismE0ELb1ES3_N6thrust23THRUST_200600_302600_NS6detail15normal_iteratorINS9_10device_ptrIiEEEENSB_INSC_IxEEEESG_xNS9_4plusIvEENS9_8equal_toIvEExEE10hipError_tPvRmT2_T3_T4_T5_mT6_T7_P12ihipStream_tbENKUlT_T0_E_clISt17integral_constantIbLb1EES11_EEDaSW_SX_EUlSW_E_NS1_11comp_targetILNS1_3genE10ELNS1_11target_archE1200ELNS1_3gpuE4ELNS1_3repE0EEENS1_30default_config_static_selectorELNS0_4arch9wavefront6targetE0EEEvT1_,comdat
	.protected	_ZN7rocprim17ROCPRIM_400000_NS6detail17trampoline_kernelINS0_14default_configENS1_27scan_by_key_config_selectorIixEEZZNS1_16scan_by_key_implILNS1_25lookback_scan_determinismE0ELb1ES3_N6thrust23THRUST_200600_302600_NS6detail15normal_iteratorINS9_10device_ptrIiEEEENSB_INSC_IxEEEESG_xNS9_4plusIvEENS9_8equal_toIvEExEE10hipError_tPvRmT2_T3_T4_T5_mT6_T7_P12ihipStream_tbENKUlT_T0_E_clISt17integral_constantIbLb1EES11_EEDaSW_SX_EUlSW_E_NS1_11comp_targetILNS1_3genE10ELNS1_11target_archE1200ELNS1_3gpuE4ELNS1_3repE0EEENS1_30default_config_static_selectorELNS0_4arch9wavefront6targetE0EEEvT1_ ; -- Begin function _ZN7rocprim17ROCPRIM_400000_NS6detail17trampoline_kernelINS0_14default_configENS1_27scan_by_key_config_selectorIixEEZZNS1_16scan_by_key_implILNS1_25lookback_scan_determinismE0ELb1ES3_N6thrust23THRUST_200600_302600_NS6detail15normal_iteratorINS9_10device_ptrIiEEEENSB_INSC_IxEEEESG_xNS9_4plusIvEENS9_8equal_toIvEExEE10hipError_tPvRmT2_T3_T4_T5_mT6_T7_P12ihipStream_tbENKUlT_T0_E_clISt17integral_constantIbLb1EES11_EEDaSW_SX_EUlSW_E_NS1_11comp_targetILNS1_3genE10ELNS1_11target_archE1200ELNS1_3gpuE4ELNS1_3repE0EEENS1_30default_config_static_selectorELNS0_4arch9wavefront6targetE0EEEvT1_
	.globl	_ZN7rocprim17ROCPRIM_400000_NS6detail17trampoline_kernelINS0_14default_configENS1_27scan_by_key_config_selectorIixEEZZNS1_16scan_by_key_implILNS1_25lookback_scan_determinismE0ELb1ES3_N6thrust23THRUST_200600_302600_NS6detail15normal_iteratorINS9_10device_ptrIiEEEENSB_INSC_IxEEEESG_xNS9_4plusIvEENS9_8equal_toIvEExEE10hipError_tPvRmT2_T3_T4_T5_mT6_T7_P12ihipStream_tbENKUlT_T0_E_clISt17integral_constantIbLb1EES11_EEDaSW_SX_EUlSW_E_NS1_11comp_targetILNS1_3genE10ELNS1_11target_archE1200ELNS1_3gpuE4ELNS1_3repE0EEENS1_30default_config_static_selectorELNS0_4arch9wavefront6targetE0EEEvT1_
	.p2align	8
	.type	_ZN7rocprim17ROCPRIM_400000_NS6detail17trampoline_kernelINS0_14default_configENS1_27scan_by_key_config_selectorIixEEZZNS1_16scan_by_key_implILNS1_25lookback_scan_determinismE0ELb1ES3_N6thrust23THRUST_200600_302600_NS6detail15normal_iteratorINS9_10device_ptrIiEEEENSB_INSC_IxEEEESG_xNS9_4plusIvEENS9_8equal_toIvEExEE10hipError_tPvRmT2_T3_T4_T5_mT6_T7_P12ihipStream_tbENKUlT_T0_E_clISt17integral_constantIbLb1EES11_EEDaSW_SX_EUlSW_E_NS1_11comp_targetILNS1_3genE10ELNS1_11target_archE1200ELNS1_3gpuE4ELNS1_3repE0EEENS1_30default_config_static_selectorELNS0_4arch9wavefront6targetE0EEEvT1_,@function
_ZN7rocprim17ROCPRIM_400000_NS6detail17trampoline_kernelINS0_14default_configENS1_27scan_by_key_config_selectorIixEEZZNS1_16scan_by_key_implILNS1_25lookback_scan_determinismE0ELb1ES3_N6thrust23THRUST_200600_302600_NS6detail15normal_iteratorINS9_10device_ptrIiEEEENSB_INSC_IxEEEESG_xNS9_4plusIvEENS9_8equal_toIvEExEE10hipError_tPvRmT2_T3_T4_T5_mT6_T7_P12ihipStream_tbENKUlT_T0_E_clISt17integral_constantIbLb1EES11_EEDaSW_SX_EUlSW_E_NS1_11comp_targetILNS1_3genE10ELNS1_11target_archE1200ELNS1_3gpuE4ELNS1_3repE0EEENS1_30default_config_static_selectorELNS0_4arch9wavefront6targetE0EEEvT1_: ; @_ZN7rocprim17ROCPRIM_400000_NS6detail17trampoline_kernelINS0_14default_configENS1_27scan_by_key_config_selectorIixEEZZNS1_16scan_by_key_implILNS1_25lookback_scan_determinismE0ELb1ES3_N6thrust23THRUST_200600_302600_NS6detail15normal_iteratorINS9_10device_ptrIiEEEENSB_INSC_IxEEEESG_xNS9_4plusIvEENS9_8equal_toIvEExEE10hipError_tPvRmT2_T3_T4_T5_mT6_T7_P12ihipStream_tbENKUlT_T0_E_clISt17integral_constantIbLb1EES11_EEDaSW_SX_EUlSW_E_NS1_11comp_targetILNS1_3genE10ELNS1_11target_archE1200ELNS1_3gpuE4ELNS1_3repE0EEENS1_30default_config_static_selectorELNS0_4arch9wavefront6targetE0EEEvT1_
; %bb.0:
	.section	.rodata,"a",@progbits
	.p2align	6, 0x0
	.amdhsa_kernel _ZN7rocprim17ROCPRIM_400000_NS6detail17trampoline_kernelINS0_14default_configENS1_27scan_by_key_config_selectorIixEEZZNS1_16scan_by_key_implILNS1_25lookback_scan_determinismE0ELb1ES3_N6thrust23THRUST_200600_302600_NS6detail15normal_iteratorINS9_10device_ptrIiEEEENSB_INSC_IxEEEESG_xNS9_4plusIvEENS9_8equal_toIvEExEE10hipError_tPvRmT2_T3_T4_T5_mT6_T7_P12ihipStream_tbENKUlT_T0_E_clISt17integral_constantIbLb1EES11_EEDaSW_SX_EUlSW_E_NS1_11comp_targetILNS1_3genE10ELNS1_11target_archE1200ELNS1_3gpuE4ELNS1_3repE0EEENS1_30default_config_static_selectorELNS0_4arch9wavefront6targetE0EEEvT1_
		.amdhsa_group_segment_fixed_size 0
		.amdhsa_private_segment_fixed_size 0
		.amdhsa_kernarg_size 136
		.amdhsa_user_sgpr_count 6
		.amdhsa_user_sgpr_private_segment_buffer 1
		.amdhsa_user_sgpr_dispatch_ptr 0
		.amdhsa_user_sgpr_queue_ptr 0
		.amdhsa_user_sgpr_kernarg_segment_ptr 1
		.amdhsa_user_sgpr_dispatch_id 0
		.amdhsa_user_sgpr_flat_scratch_init 0
		.amdhsa_user_sgpr_private_segment_size 0
		.amdhsa_wavefront_size32 1
		.amdhsa_uses_dynamic_stack 0
		.amdhsa_system_sgpr_private_segment_wavefront_offset 0
		.amdhsa_system_sgpr_workgroup_id_x 1
		.amdhsa_system_sgpr_workgroup_id_y 0
		.amdhsa_system_sgpr_workgroup_id_z 0
		.amdhsa_system_sgpr_workgroup_info 0
		.amdhsa_system_vgpr_workitem_id 0
		.amdhsa_next_free_vgpr 1
		.amdhsa_next_free_sgpr 1
		.amdhsa_reserve_vcc 0
		.amdhsa_reserve_flat_scratch 0
		.amdhsa_float_round_mode_32 0
		.amdhsa_float_round_mode_16_64 0
		.amdhsa_float_denorm_mode_32 3
		.amdhsa_float_denorm_mode_16_64 3
		.amdhsa_dx10_clamp 1
		.amdhsa_ieee_mode 1
		.amdhsa_fp16_overflow 0
		.amdhsa_workgroup_processor_mode 1
		.amdhsa_memory_ordered 1
		.amdhsa_forward_progress 1
		.amdhsa_shared_vgpr_count 0
		.amdhsa_exception_fp_ieee_invalid_op 0
		.amdhsa_exception_fp_denorm_src 0
		.amdhsa_exception_fp_ieee_div_zero 0
		.amdhsa_exception_fp_ieee_overflow 0
		.amdhsa_exception_fp_ieee_underflow 0
		.amdhsa_exception_fp_ieee_inexact 0
		.amdhsa_exception_int_div_zero 0
	.end_amdhsa_kernel
	.section	.text._ZN7rocprim17ROCPRIM_400000_NS6detail17trampoline_kernelINS0_14default_configENS1_27scan_by_key_config_selectorIixEEZZNS1_16scan_by_key_implILNS1_25lookback_scan_determinismE0ELb1ES3_N6thrust23THRUST_200600_302600_NS6detail15normal_iteratorINS9_10device_ptrIiEEEENSB_INSC_IxEEEESG_xNS9_4plusIvEENS9_8equal_toIvEExEE10hipError_tPvRmT2_T3_T4_T5_mT6_T7_P12ihipStream_tbENKUlT_T0_E_clISt17integral_constantIbLb1EES11_EEDaSW_SX_EUlSW_E_NS1_11comp_targetILNS1_3genE10ELNS1_11target_archE1200ELNS1_3gpuE4ELNS1_3repE0EEENS1_30default_config_static_selectorELNS0_4arch9wavefront6targetE0EEEvT1_,"axG",@progbits,_ZN7rocprim17ROCPRIM_400000_NS6detail17trampoline_kernelINS0_14default_configENS1_27scan_by_key_config_selectorIixEEZZNS1_16scan_by_key_implILNS1_25lookback_scan_determinismE0ELb1ES3_N6thrust23THRUST_200600_302600_NS6detail15normal_iteratorINS9_10device_ptrIiEEEENSB_INSC_IxEEEESG_xNS9_4plusIvEENS9_8equal_toIvEExEE10hipError_tPvRmT2_T3_T4_T5_mT6_T7_P12ihipStream_tbENKUlT_T0_E_clISt17integral_constantIbLb1EES11_EEDaSW_SX_EUlSW_E_NS1_11comp_targetILNS1_3genE10ELNS1_11target_archE1200ELNS1_3gpuE4ELNS1_3repE0EEENS1_30default_config_static_selectorELNS0_4arch9wavefront6targetE0EEEvT1_,comdat
.Lfunc_end1586:
	.size	_ZN7rocprim17ROCPRIM_400000_NS6detail17trampoline_kernelINS0_14default_configENS1_27scan_by_key_config_selectorIixEEZZNS1_16scan_by_key_implILNS1_25lookback_scan_determinismE0ELb1ES3_N6thrust23THRUST_200600_302600_NS6detail15normal_iteratorINS9_10device_ptrIiEEEENSB_INSC_IxEEEESG_xNS9_4plusIvEENS9_8equal_toIvEExEE10hipError_tPvRmT2_T3_T4_T5_mT6_T7_P12ihipStream_tbENKUlT_T0_E_clISt17integral_constantIbLb1EES11_EEDaSW_SX_EUlSW_E_NS1_11comp_targetILNS1_3genE10ELNS1_11target_archE1200ELNS1_3gpuE4ELNS1_3repE0EEENS1_30default_config_static_selectorELNS0_4arch9wavefront6targetE0EEEvT1_, .Lfunc_end1586-_ZN7rocprim17ROCPRIM_400000_NS6detail17trampoline_kernelINS0_14default_configENS1_27scan_by_key_config_selectorIixEEZZNS1_16scan_by_key_implILNS1_25lookback_scan_determinismE0ELb1ES3_N6thrust23THRUST_200600_302600_NS6detail15normal_iteratorINS9_10device_ptrIiEEEENSB_INSC_IxEEEESG_xNS9_4plusIvEENS9_8equal_toIvEExEE10hipError_tPvRmT2_T3_T4_T5_mT6_T7_P12ihipStream_tbENKUlT_T0_E_clISt17integral_constantIbLb1EES11_EEDaSW_SX_EUlSW_E_NS1_11comp_targetILNS1_3genE10ELNS1_11target_archE1200ELNS1_3gpuE4ELNS1_3repE0EEENS1_30default_config_static_selectorELNS0_4arch9wavefront6targetE0EEEvT1_
                                        ; -- End function
	.set _ZN7rocprim17ROCPRIM_400000_NS6detail17trampoline_kernelINS0_14default_configENS1_27scan_by_key_config_selectorIixEEZZNS1_16scan_by_key_implILNS1_25lookback_scan_determinismE0ELb1ES3_N6thrust23THRUST_200600_302600_NS6detail15normal_iteratorINS9_10device_ptrIiEEEENSB_INSC_IxEEEESG_xNS9_4plusIvEENS9_8equal_toIvEExEE10hipError_tPvRmT2_T3_T4_T5_mT6_T7_P12ihipStream_tbENKUlT_T0_E_clISt17integral_constantIbLb1EES11_EEDaSW_SX_EUlSW_E_NS1_11comp_targetILNS1_3genE10ELNS1_11target_archE1200ELNS1_3gpuE4ELNS1_3repE0EEENS1_30default_config_static_selectorELNS0_4arch9wavefront6targetE0EEEvT1_.num_vgpr, 0
	.set _ZN7rocprim17ROCPRIM_400000_NS6detail17trampoline_kernelINS0_14default_configENS1_27scan_by_key_config_selectorIixEEZZNS1_16scan_by_key_implILNS1_25lookback_scan_determinismE0ELb1ES3_N6thrust23THRUST_200600_302600_NS6detail15normal_iteratorINS9_10device_ptrIiEEEENSB_INSC_IxEEEESG_xNS9_4plusIvEENS9_8equal_toIvEExEE10hipError_tPvRmT2_T3_T4_T5_mT6_T7_P12ihipStream_tbENKUlT_T0_E_clISt17integral_constantIbLb1EES11_EEDaSW_SX_EUlSW_E_NS1_11comp_targetILNS1_3genE10ELNS1_11target_archE1200ELNS1_3gpuE4ELNS1_3repE0EEENS1_30default_config_static_selectorELNS0_4arch9wavefront6targetE0EEEvT1_.num_agpr, 0
	.set _ZN7rocprim17ROCPRIM_400000_NS6detail17trampoline_kernelINS0_14default_configENS1_27scan_by_key_config_selectorIixEEZZNS1_16scan_by_key_implILNS1_25lookback_scan_determinismE0ELb1ES3_N6thrust23THRUST_200600_302600_NS6detail15normal_iteratorINS9_10device_ptrIiEEEENSB_INSC_IxEEEESG_xNS9_4plusIvEENS9_8equal_toIvEExEE10hipError_tPvRmT2_T3_T4_T5_mT6_T7_P12ihipStream_tbENKUlT_T0_E_clISt17integral_constantIbLb1EES11_EEDaSW_SX_EUlSW_E_NS1_11comp_targetILNS1_3genE10ELNS1_11target_archE1200ELNS1_3gpuE4ELNS1_3repE0EEENS1_30default_config_static_selectorELNS0_4arch9wavefront6targetE0EEEvT1_.numbered_sgpr, 0
	.set _ZN7rocprim17ROCPRIM_400000_NS6detail17trampoline_kernelINS0_14default_configENS1_27scan_by_key_config_selectorIixEEZZNS1_16scan_by_key_implILNS1_25lookback_scan_determinismE0ELb1ES3_N6thrust23THRUST_200600_302600_NS6detail15normal_iteratorINS9_10device_ptrIiEEEENSB_INSC_IxEEEESG_xNS9_4plusIvEENS9_8equal_toIvEExEE10hipError_tPvRmT2_T3_T4_T5_mT6_T7_P12ihipStream_tbENKUlT_T0_E_clISt17integral_constantIbLb1EES11_EEDaSW_SX_EUlSW_E_NS1_11comp_targetILNS1_3genE10ELNS1_11target_archE1200ELNS1_3gpuE4ELNS1_3repE0EEENS1_30default_config_static_selectorELNS0_4arch9wavefront6targetE0EEEvT1_.num_named_barrier, 0
	.set _ZN7rocprim17ROCPRIM_400000_NS6detail17trampoline_kernelINS0_14default_configENS1_27scan_by_key_config_selectorIixEEZZNS1_16scan_by_key_implILNS1_25lookback_scan_determinismE0ELb1ES3_N6thrust23THRUST_200600_302600_NS6detail15normal_iteratorINS9_10device_ptrIiEEEENSB_INSC_IxEEEESG_xNS9_4plusIvEENS9_8equal_toIvEExEE10hipError_tPvRmT2_T3_T4_T5_mT6_T7_P12ihipStream_tbENKUlT_T0_E_clISt17integral_constantIbLb1EES11_EEDaSW_SX_EUlSW_E_NS1_11comp_targetILNS1_3genE10ELNS1_11target_archE1200ELNS1_3gpuE4ELNS1_3repE0EEENS1_30default_config_static_selectorELNS0_4arch9wavefront6targetE0EEEvT1_.private_seg_size, 0
	.set _ZN7rocprim17ROCPRIM_400000_NS6detail17trampoline_kernelINS0_14default_configENS1_27scan_by_key_config_selectorIixEEZZNS1_16scan_by_key_implILNS1_25lookback_scan_determinismE0ELb1ES3_N6thrust23THRUST_200600_302600_NS6detail15normal_iteratorINS9_10device_ptrIiEEEENSB_INSC_IxEEEESG_xNS9_4plusIvEENS9_8equal_toIvEExEE10hipError_tPvRmT2_T3_T4_T5_mT6_T7_P12ihipStream_tbENKUlT_T0_E_clISt17integral_constantIbLb1EES11_EEDaSW_SX_EUlSW_E_NS1_11comp_targetILNS1_3genE10ELNS1_11target_archE1200ELNS1_3gpuE4ELNS1_3repE0EEENS1_30default_config_static_selectorELNS0_4arch9wavefront6targetE0EEEvT1_.uses_vcc, 0
	.set _ZN7rocprim17ROCPRIM_400000_NS6detail17trampoline_kernelINS0_14default_configENS1_27scan_by_key_config_selectorIixEEZZNS1_16scan_by_key_implILNS1_25lookback_scan_determinismE0ELb1ES3_N6thrust23THRUST_200600_302600_NS6detail15normal_iteratorINS9_10device_ptrIiEEEENSB_INSC_IxEEEESG_xNS9_4plusIvEENS9_8equal_toIvEExEE10hipError_tPvRmT2_T3_T4_T5_mT6_T7_P12ihipStream_tbENKUlT_T0_E_clISt17integral_constantIbLb1EES11_EEDaSW_SX_EUlSW_E_NS1_11comp_targetILNS1_3genE10ELNS1_11target_archE1200ELNS1_3gpuE4ELNS1_3repE0EEENS1_30default_config_static_selectorELNS0_4arch9wavefront6targetE0EEEvT1_.uses_flat_scratch, 0
	.set _ZN7rocprim17ROCPRIM_400000_NS6detail17trampoline_kernelINS0_14default_configENS1_27scan_by_key_config_selectorIixEEZZNS1_16scan_by_key_implILNS1_25lookback_scan_determinismE0ELb1ES3_N6thrust23THRUST_200600_302600_NS6detail15normal_iteratorINS9_10device_ptrIiEEEENSB_INSC_IxEEEESG_xNS9_4plusIvEENS9_8equal_toIvEExEE10hipError_tPvRmT2_T3_T4_T5_mT6_T7_P12ihipStream_tbENKUlT_T0_E_clISt17integral_constantIbLb1EES11_EEDaSW_SX_EUlSW_E_NS1_11comp_targetILNS1_3genE10ELNS1_11target_archE1200ELNS1_3gpuE4ELNS1_3repE0EEENS1_30default_config_static_selectorELNS0_4arch9wavefront6targetE0EEEvT1_.has_dyn_sized_stack, 0
	.set _ZN7rocprim17ROCPRIM_400000_NS6detail17trampoline_kernelINS0_14default_configENS1_27scan_by_key_config_selectorIixEEZZNS1_16scan_by_key_implILNS1_25lookback_scan_determinismE0ELb1ES3_N6thrust23THRUST_200600_302600_NS6detail15normal_iteratorINS9_10device_ptrIiEEEENSB_INSC_IxEEEESG_xNS9_4plusIvEENS9_8equal_toIvEExEE10hipError_tPvRmT2_T3_T4_T5_mT6_T7_P12ihipStream_tbENKUlT_T0_E_clISt17integral_constantIbLb1EES11_EEDaSW_SX_EUlSW_E_NS1_11comp_targetILNS1_3genE10ELNS1_11target_archE1200ELNS1_3gpuE4ELNS1_3repE0EEENS1_30default_config_static_selectorELNS0_4arch9wavefront6targetE0EEEvT1_.has_recursion, 0
	.set _ZN7rocprim17ROCPRIM_400000_NS6detail17trampoline_kernelINS0_14default_configENS1_27scan_by_key_config_selectorIixEEZZNS1_16scan_by_key_implILNS1_25lookback_scan_determinismE0ELb1ES3_N6thrust23THRUST_200600_302600_NS6detail15normal_iteratorINS9_10device_ptrIiEEEENSB_INSC_IxEEEESG_xNS9_4plusIvEENS9_8equal_toIvEExEE10hipError_tPvRmT2_T3_T4_T5_mT6_T7_P12ihipStream_tbENKUlT_T0_E_clISt17integral_constantIbLb1EES11_EEDaSW_SX_EUlSW_E_NS1_11comp_targetILNS1_3genE10ELNS1_11target_archE1200ELNS1_3gpuE4ELNS1_3repE0EEENS1_30default_config_static_selectorELNS0_4arch9wavefront6targetE0EEEvT1_.has_indirect_call, 0
	.section	.AMDGPU.csdata,"",@progbits
; Kernel info:
; codeLenInByte = 0
; TotalNumSgprs: 0
; NumVgprs: 0
; ScratchSize: 0
; MemoryBound: 0
; FloatMode: 240
; IeeeMode: 1
; LDSByteSize: 0 bytes/workgroup (compile time only)
; SGPRBlocks: 0
; VGPRBlocks: 0
; NumSGPRsForWavesPerEU: 1
; NumVGPRsForWavesPerEU: 1
; Occupancy: 16
; WaveLimiterHint : 0
; COMPUTE_PGM_RSRC2:SCRATCH_EN: 0
; COMPUTE_PGM_RSRC2:USER_SGPR: 6
; COMPUTE_PGM_RSRC2:TRAP_HANDLER: 0
; COMPUTE_PGM_RSRC2:TGID_X_EN: 1
; COMPUTE_PGM_RSRC2:TGID_Y_EN: 0
; COMPUTE_PGM_RSRC2:TGID_Z_EN: 0
; COMPUTE_PGM_RSRC2:TIDIG_COMP_CNT: 0
	.section	.text._ZN7rocprim17ROCPRIM_400000_NS6detail17trampoline_kernelINS0_14default_configENS1_27scan_by_key_config_selectorIixEEZZNS1_16scan_by_key_implILNS1_25lookback_scan_determinismE0ELb1ES3_N6thrust23THRUST_200600_302600_NS6detail15normal_iteratorINS9_10device_ptrIiEEEENSB_INSC_IxEEEESG_xNS9_4plusIvEENS9_8equal_toIvEExEE10hipError_tPvRmT2_T3_T4_T5_mT6_T7_P12ihipStream_tbENKUlT_T0_E_clISt17integral_constantIbLb1EES11_EEDaSW_SX_EUlSW_E_NS1_11comp_targetILNS1_3genE9ELNS1_11target_archE1100ELNS1_3gpuE3ELNS1_3repE0EEENS1_30default_config_static_selectorELNS0_4arch9wavefront6targetE0EEEvT1_,"axG",@progbits,_ZN7rocprim17ROCPRIM_400000_NS6detail17trampoline_kernelINS0_14default_configENS1_27scan_by_key_config_selectorIixEEZZNS1_16scan_by_key_implILNS1_25lookback_scan_determinismE0ELb1ES3_N6thrust23THRUST_200600_302600_NS6detail15normal_iteratorINS9_10device_ptrIiEEEENSB_INSC_IxEEEESG_xNS9_4plusIvEENS9_8equal_toIvEExEE10hipError_tPvRmT2_T3_T4_T5_mT6_T7_P12ihipStream_tbENKUlT_T0_E_clISt17integral_constantIbLb1EES11_EEDaSW_SX_EUlSW_E_NS1_11comp_targetILNS1_3genE9ELNS1_11target_archE1100ELNS1_3gpuE3ELNS1_3repE0EEENS1_30default_config_static_selectorELNS0_4arch9wavefront6targetE0EEEvT1_,comdat
	.protected	_ZN7rocprim17ROCPRIM_400000_NS6detail17trampoline_kernelINS0_14default_configENS1_27scan_by_key_config_selectorIixEEZZNS1_16scan_by_key_implILNS1_25lookback_scan_determinismE0ELb1ES3_N6thrust23THRUST_200600_302600_NS6detail15normal_iteratorINS9_10device_ptrIiEEEENSB_INSC_IxEEEESG_xNS9_4plusIvEENS9_8equal_toIvEExEE10hipError_tPvRmT2_T3_T4_T5_mT6_T7_P12ihipStream_tbENKUlT_T0_E_clISt17integral_constantIbLb1EES11_EEDaSW_SX_EUlSW_E_NS1_11comp_targetILNS1_3genE9ELNS1_11target_archE1100ELNS1_3gpuE3ELNS1_3repE0EEENS1_30default_config_static_selectorELNS0_4arch9wavefront6targetE0EEEvT1_ ; -- Begin function _ZN7rocprim17ROCPRIM_400000_NS6detail17trampoline_kernelINS0_14default_configENS1_27scan_by_key_config_selectorIixEEZZNS1_16scan_by_key_implILNS1_25lookback_scan_determinismE0ELb1ES3_N6thrust23THRUST_200600_302600_NS6detail15normal_iteratorINS9_10device_ptrIiEEEENSB_INSC_IxEEEESG_xNS9_4plusIvEENS9_8equal_toIvEExEE10hipError_tPvRmT2_T3_T4_T5_mT6_T7_P12ihipStream_tbENKUlT_T0_E_clISt17integral_constantIbLb1EES11_EEDaSW_SX_EUlSW_E_NS1_11comp_targetILNS1_3genE9ELNS1_11target_archE1100ELNS1_3gpuE3ELNS1_3repE0EEENS1_30default_config_static_selectorELNS0_4arch9wavefront6targetE0EEEvT1_
	.globl	_ZN7rocprim17ROCPRIM_400000_NS6detail17trampoline_kernelINS0_14default_configENS1_27scan_by_key_config_selectorIixEEZZNS1_16scan_by_key_implILNS1_25lookback_scan_determinismE0ELb1ES3_N6thrust23THRUST_200600_302600_NS6detail15normal_iteratorINS9_10device_ptrIiEEEENSB_INSC_IxEEEESG_xNS9_4plusIvEENS9_8equal_toIvEExEE10hipError_tPvRmT2_T3_T4_T5_mT6_T7_P12ihipStream_tbENKUlT_T0_E_clISt17integral_constantIbLb1EES11_EEDaSW_SX_EUlSW_E_NS1_11comp_targetILNS1_3genE9ELNS1_11target_archE1100ELNS1_3gpuE3ELNS1_3repE0EEENS1_30default_config_static_selectorELNS0_4arch9wavefront6targetE0EEEvT1_
	.p2align	8
	.type	_ZN7rocprim17ROCPRIM_400000_NS6detail17trampoline_kernelINS0_14default_configENS1_27scan_by_key_config_selectorIixEEZZNS1_16scan_by_key_implILNS1_25lookback_scan_determinismE0ELb1ES3_N6thrust23THRUST_200600_302600_NS6detail15normal_iteratorINS9_10device_ptrIiEEEENSB_INSC_IxEEEESG_xNS9_4plusIvEENS9_8equal_toIvEExEE10hipError_tPvRmT2_T3_T4_T5_mT6_T7_P12ihipStream_tbENKUlT_T0_E_clISt17integral_constantIbLb1EES11_EEDaSW_SX_EUlSW_E_NS1_11comp_targetILNS1_3genE9ELNS1_11target_archE1100ELNS1_3gpuE3ELNS1_3repE0EEENS1_30default_config_static_selectorELNS0_4arch9wavefront6targetE0EEEvT1_,@function
_ZN7rocprim17ROCPRIM_400000_NS6detail17trampoline_kernelINS0_14default_configENS1_27scan_by_key_config_selectorIixEEZZNS1_16scan_by_key_implILNS1_25lookback_scan_determinismE0ELb1ES3_N6thrust23THRUST_200600_302600_NS6detail15normal_iteratorINS9_10device_ptrIiEEEENSB_INSC_IxEEEESG_xNS9_4plusIvEENS9_8equal_toIvEExEE10hipError_tPvRmT2_T3_T4_T5_mT6_T7_P12ihipStream_tbENKUlT_T0_E_clISt17integral_constantIbLb1EES11_EEDaSW_SX_EUlSW_E_NS1_11comp_targetILNS1_3genE9ELNS1_11target_archE1100ELNS1_3gpuE3ELNS1_3repE0EEENS1_30default_config_static_selectorELNS0_4arch9wavefront6targetE0EEEvT1_: ; @_ZN7rocprim17ROCPRIM_400000_NS6detail17trampoline_kernelINS0_14default_configENS1_27scan_by_key_config_selectorIixEEZZNS1_16scan_by_key_implILNS1_25lookback_scan_determinismE0ELb1ES3_N6thrust23THRUST_200600_302600_NS6detail15normal_iteratorINS9_10device_ptrIiEEEENSB_INSC_IxEEEESG_xNS9_4plusIvEENS9_8equal_toIvEExEE10hipError_tPvRmT2_T3_T4_T5_mT6_T7_P12ihipStream_tbENKUlT_T0_E_clISt17integral_constantIbLb1EES11_EEDaSW_SX_EUlSW_E_NS1_11comp_targetILNS1_3genE9ELNS1_11target_archE1100ELNS1_3gpuE3ELNS1_3repE0EEENS1_30default_config_static_selectorELNS0_4arch9wavefront6targetE0EEEvT1_
; %bb.0:
	.section	.rodata,"a",@progbits
	.p2align	6, 0x0
	.amdhsa_kernel _ZN7rocprim17ROCPRIM_400000_NS6detail17trampoline_kernelINS0_14default_configENS1_27scan_by_key_config_selectorIixEEZZNS1_16scan_by_key_implILNS1_25lookback_scan_determinismE0ELb1ES3_N6thrust23THRUST_200600_302600_NS6detail15normal_iteratorINS9_10device_ptrIiEEEENSB_INSC_IxEEEESG_xNS9_4plusIvEENS9_8equal_toIvEExEE10hipError_tPvRmT2_T3_T4_T5_mT6_T7_P12ihipStream_tbENKUlT_T0_E_clISt17integral_constantIbLb1EES11_EEDaSW_SX_EUlSW_E_NS1_11comp_targetILNS1_3genE9ELNS1_11target_archE1100ELNS1_3gpuE3ELNS1_3repE0EEENS1_30default_config_static_selectorELNS0_4arch9wavefront6targetE0EEEvT1_
		.amdhsa_group_segment_fixed_size 0
		.amdhsa_private_segment_fixed_size 0
		.amdhsa_kernarg_size 136
		.amdhsa_user_sgpr_count 6
		.amdhsa_user_sgpr_private_segment_buffer 1
		.amdhsa_user_sgpr_dispatch_ptr 0
		.amdhsa_user_sgpr_queue_ptr 0
		.amdhsa_user_sgpr_kernarg_segment_ptr 1
		.amdhsa_user_sgpr_dispatch_id 0
		.amdhsa_user_sgpr_flat_scratch_init 0
		.amdhsa_user_sgpr_private_segment_size 0
		.amdhsa_wavefront_size32 1
		.amdhsa_uses_dynamic_stack 0
		.amdhsa_system_sgpr_private_segment_wavefront_offset 0
		.amdhsa_system_sgpr_workgroup_id_x 1
		.amdhsa_system_sgpr_workgroup_id_y 0
		.amdhsa_system_sgpr_workgroup_id_z 0
		.amdhsa_system_sgpr_workgroup_info 0
		.amdhsa_system_vgpr_workitem_id 0
		.amdhsa_next_free_vgpr 1
		.amdhsa_next_free_sgpr 1
		.amdhsa_reserve_vcc 0
		.amdhsa_reserve_flat_scratch 0
		.amdhsa_float_round_mode_32 0
		.amdhsa_float_round_mode_16_64 0
		.amdhsa_float_denorm_mode_32 3
		.amdhsa_float_denorm_mode_16_64 3
		.amdhsa_dx10_clamp 1
		.amdhsa_ieee_mode 1
		.amdhsa_fp16_overflow 0
		.amdhsa_workgroup_processor_mode 1
		.amdhsa_memory_ordered 1
		.amdhsa_forward_progress 1
		.amdhsa_shared_vgpr_count 0
		.amdhsa_exception_fp_ieee_invalid_op 0
		.amdhsa_exception_fp_denorm_src 0
		.amdhsa_exception_fp_ieee_div_zero 0
		.amdhsa_exception_fp_ieee_overflow 0
		.amdhsa_exception_fp_ieee_underflow 0
		.amdhsa_exception_fp_ieee_inexact 0
		.amdhsa_exception_int_div_zero 0
	.end_amdhsa_kernel
	.section	.text._ZN7rocprim17ROCPRIM_400000_NS6detail17trampoline_kernelINS0_14default_configENS1_27scan_by_key_config_selectorIixEEZZNS1_16scan_by_key_implILNS1_25lookback_scan_determinismE0ELb1ES3_N6thrust23THRUST_200600_302600_NS6detail15normal_iteratorINS9_10device_ptrIiEEEENSB_INSC_IxEEEESG_xNS9_4plusIvEENS9_8equal_toIvEExEE10hipError_tPvRmT2_T3_T4_T5_mT6_T7_P12ihipStream_tbENKUlT_T0_E_clISt17integral_constantIbLb1EES11_EEDaSW_SX_EUlSW_E_NS1_11comp_targetILNS1_3genE9ELNS1_11target_archE1100ELNS1_3gpuE3ELNS1_3repE0EEENS1_30default_config_static_selectorELNS0_4arch9wavefront6targetE0EEEvT1_,"axG",@progbits,_ZN7rocprim17ROCPRIM_400000_NS6detail17trampoline_kernelINS0_14default_configENS1_27scan_by_key_config_selectorIixEEZZNS1_16scan_by_key_implILNS1_25lookback_scan_determinismE0ELb1ES3_N6thrust23THRUST_200600_302600_NS6detail15normal_iteratorINS9_10device_ptrIiEEEENSB_INSC_IxEEEESG_xNS9_4plusIvEENS9_8equal_toIvEExEE10hipError_tPvRmT2_T3_T4_T5_mT6_T7_P12ihipStream_tbENKUlT_T0_E_clISt17integral_constantIbLb1EES11_EEDaSW_SX_EUlSW_E_NS1_11comp_targetILNS1_3genE9ELNS1_11target_archE1100ELNS1_3gpuE3ELNS1_3repE0EEENS1_30default_config_static_selectorELNS0_4arch9wavefront6targetE0EEEvT1_,comdat
.Lfunc_end1587:
	.size	_ZN7rocprim17ROCPRIM_400000_NS6detail17trampoline_kernelINS0_14default_configENS1_27scan_by_key_config_selectorIixEEZZNS1_16scan_by_key_implILNS1_25lookback_scan_determinismE0ELb1ES3_N6thrust23THRUST_200600_302600_NS6detail15normal_iteratorINS9_10device_ptrIiEEEENSB_INSC_IxEEEESG_xNS9_4plusIvEENS9_8equal_toIvEExEE10hipError_tPvRmT2_T3_T4_T5_mT6_T7_P12ihipStream_tbENKUlT_T0_E_clISt17integral_constantIbLb1EES11_EEDaSW_SX_EUlSW_E_NS1_11comp_targetILNS1_3genE9ELNS1_11target_archE1100ELNS1_3gpuE3ELNS1_3repE0EEENS1_30default_config_static_selectorELNS0_4arch9wavefront6targetE0EEEvT1_, .Lfunc_end1587-_ZN7rocprim17ROCPRIM_400000_NS6detail17trampoline_kernelINS0_14default_configENS1_27scan_by_key_config_selectorIixEEZZNS1_16scan_by_key_implILNS1_25lookback_scan_determinismE0ELb1ES3_N6thrust23THRUST_200600_302600_NS6detail15normal_iteratorINS9_10device_ptrIiEEEENSB_INSC_IxEEEESG_xNS9_4plusIvEENS9_8equal_toIvEExEE10hipError_tPvRmT2_T3_T4_T5_mT6_T7_P12ihipStream_tbENKUlT_T0_E_clISt17integral_constantIbLb1EES11_EEDaSW_SX_EUlSW_E_NS1_11comp_targetILNS1_3genE9ELNS1_11target_archE1100ELNS1_3gpuE3ELNS1_3repE0EEENS1_30default_config_static_selectorELNS0_4arch9wavefront6targetE0EEEvT1_
                                        ; -- End function
	.set _ZN7rocprim17ROCPRIM_400000_NS6detail17trampoline_kernelINS0_14default_configENS1_27scan_by_key_config_selectorIixEEZZNS1_16scan_by_key_implILNS1_25lookback_scan_determinismE0ELb1ES3_N6thrust23THRUST_200600_302600_NS6detail15normal_iteratorINS9_10device_ptrIiEEEENSB_INSC_IxEEEESG_xNS9_4plusIvEENS9_8equal_toIvEExEE10hipError_tPvRmT2_T3_T4_T5_mT6_T7_P12ihipStream_tbENKUlT_T0_E_clISt17integral_constantIbLb1EES11_EEDaSW_SX_EUlSW_E_NS1_11comp_targetILNS1_3genE9ELNS1_11target_archE1100ELNS1_3gpuE3ELNS1_3repE0EEENS1_30default_config_static_selectorELNS0_4arch9wavefront6targetE0EEEvT1_.num_vgpr, 0
	.set _ZN7rocprim17ROCPRIM_400000_NS6detail17trampoline_kernelINS0_14default_configENS1_27scan_by_key_config_selectorIixEEZZNS1_16scan_by_key_implILNS1_25lookback_scan_determinismE0ELb1ES3_N6thrust23THRUST_200600_302600_NS6detail15normal_iteratorINS9_10device_ptrIiEEEENSB_INSC_IxEEEESG_xNS9_4plusIvEENS9_8equal_toIvEExEE10hipError_tPvRmT2_T3_T4_T5_mT6_T7_P12ihipStream_tbENKUlT_T0_E_clISt17integral_constantIbLb1EES11_EEDaSW_SX_EUlSW_E_NS1_11comp_targetILNS1_3genE9ELNS1_11target_archE1100ELNS1_3gpuE3ELNS1_3repE0EEENS1_30default_config_static_selectorELNS0_4arch9wavefront6targetE0EEEvT1_.num_agpr, 0
	.set _ZN7rocprim17ROCPRIM_400000_NS6detail17trampoline_kernelINS0_14default_configENS1_27scan_by_key_config_selectorIixEEZZNS1_16scan_by_key_implILNS1_25lookback_scan_determinismE0ELb1ES3_N6thrust23THRUST_200600_302600_NS6detail15normal_iteratorINS9_10device_ptrIiEEEENSB_INSC_IxEEEESG_xNS9_4plusIvEENS9_8equal_toIvEExEE10hipError_tPvRmT2_T3_T4_T5_mT6_T7_P12ihipStream_tbENKUlT_T0_E_clISt17integral_constantIbLb1EES11_EEDaSW_SX_EUlSW_E_NS1_11comp_targetILNS1_3genE9ELNS1_11target_archE1100ELNS1_3gpuE3ELNS1_3repE0EEENS1_30default_config_static_selectorELNS0_4arch9wavefront6targetE0EEEvT1_.numbered_sgpr, 0
	.set _ZN7rocprim17ROCPRIM_400000_NS6detail17trampoline_kernelINS0_14default_configENS1_27scan_by_key_config_selectorIixEEZZNS1_16scan_by_key_implILNS1_25lookback_scan_determinismE0ELb1ES3_N6thrust23THRUST_200600_302600_NS6detail15normal_iteratorINS9_10device_ptrIiEEEENSB_INSC_IxEEEESG_xNS9_4plusIvEENS9_8equal_toIvEExEE10hipError_tPvRmT2_T3_T4_T5_mT6_T7_P12ihipStream_tbENKUlT_T0_E_clISt17integral_constantIbLb1EES11_EEDaSW_SX_EUlSW_E_NS1_11comp_targetILNS1_3genE9ELNS1_11target_archE1100ELNS1_3gpuE3ELNS1_3repE0EEENS1_30default_config_static_selectorELNS0_4arch9wavefront6targetE0EEEvT1_.num_named_barrier, 0
	.set _ZN7rocprim17ROCPRIM_400000_NS6detail17trampoline_kernelINS0_14default_configENS1_27scan_by_key_config_selectorIixEEZZNS1_16scan_by_key_implILNS1_25lookback_scan_determinismE0ELb1ES3_N6thrust23THRUST_200600_302600_NS6detail15normal_iteratorINS9_10device_ptrIiEEEENSB_INSC_IxEEEESG_xNS9_4plusIvEENS9_8equal_toIvEExEE10hipError_tPvRmT2_T3_T4_T5_mT6_T7_P12ihipStream_tbENKUlT_T0_E_clISt17integral_constantIbLb1EES11_EEDaSW_SX_EUlSW_E_NS1_11comp_targetILNS1_3genE9ELNS1_11target_archE1100ELNS1_3gpuE3ELNS1_3repE0EEENS1_30default_config_static_selectorELNS0_4arch9wavefront6targetE0EEEvT1_.private_seg_size, 0
	.set _ZN7rocprim17ROCPRIM_400000_NS6detail17trampoline_kernelINS0_14default_configENS1_27scan_by_key_config_selectorIixEEZZNS1_16scan_by_key_implILNS1_25lookback_scan_determinismE0ELb1ES3_N6thrust23THRUST_200600_302600_NS6detail15normal_iteratorINS9_10device_ptrIiEEEENSB_INSC_IxEEEESG_xNS9_4plusIvEENS9_8equal_toIvEExEE10hipError_tPvRmT2_T3_T4_T5_mT6_T7_P12ihipStream_tbENKUlT_T0_E_clISt17integral_constantIbLb1EES11_EEDaSW_SX_EUlSW_E_NS1_11comp_targetILNS1_3genE9ELNS1_11target_archE1100ELNS1_3gpuE3ELNS1_3repE0EEENS1_30default_config_static_selectorELNS0_4arch9wavefront6targetE0EEEvT1_.uses_vcc, 0
	.set _ZN7rocprim17ROCPRIM_400000_NS6detail17trampoline_kernelINS0_14default_configENS1_27scan_by_key_config_selectorIixEEZZNS1_16scan_by_key_implILNS1_25lookback_scan_determinismE0ELb1ES3_N6thrust23THRUST_200600_302600_NS6detail15normal_iteratorINS9_10device_ptrIiEEEENSB_INSC_IxEEEESG_xNS9_4plusIvEENS9_8equal_toIvEExEE10hipError_tPvRmT2_T3_T4_T5_mT6_T7_P12ihipStream_tbENKUlT_T0_E_clISt17integral_constantIbLb1EES11_EEDaSW_SX_EUlSW_E_NS1_11comp_targetILNS1_3genE9ELNS1_11target_archE1100ELNS1_3gpuE3ELNS1_3repE0EEENS1_30default_config_static_selectorELNS0_4arch9wavefront6targetE0EEEvT1_.uses_flat_scratch, 0
	.set _ZN7rocprim17ROCPRIM_400000_NS6detail17trampoline_kernelINS0_14default_configENS1_27scan_by_key_config_selectorIixEEZZNS1_16scan_by_key_implILNS1_25lookback_scan_determinismE0ELb1ES3_N6thrust23THRUST_200600_302600_NS6detail15normal_iteratorINS9_10device_ptrIiEEEENSB_INSC_IxEEEESG_xNS9_4plusIvEENS9_8equal_toIvEExEE10hipError_tPvRmT2_T3_T4_T5_mT6_T7_P12ihipStream_tbENKUlT_T0_E_clISt17integral_constantIbLb1EES11_EEDaSW_SX_EUlSW_E_NS1_11comp_targetILNS1_3genE9ELNS1_11target_archE1100ELNS1_3gpuE3ELNS1_3repE0EEENS1_30default_config_static_selectorELNS0_4arch9wavefront6targetE0EEEvT1_.has_dyn_sized_stack, 0
	.set _ZN7rocprim17ROCPRIM_400000_NS6detail17trampoline_kernelINS0_14default_configENS1_27scan_by_key_config_selectorIixEEZZNS1_16scan_by_key_implILNS1_25lookback_scan_determinismE0ELb1ES3_N6thrust23THRUST_200600_302600_NS6detail15normal_iteratorINS9_10device_ptrIiEEEENSB_INSC_IxEEEESG_xNS9_4plusIvEENS9_8equal_toIvEExEE10hipError_tPvRmT2_T3_T4_T5_mT6_T7_P12ihipStream_tbENKUlT_T0_E_clISt17integral_constantIbLb1EES11_EEDaSW_SX_EUlSW_E_NS1_11comp_targetILNS1_3genE9ELNS1_11target_archE1100ELNS1_3gpuE3ELNS1_3repE0EEENS1_30default_config_static_selectorELNS0_4arch9wavefront6targetE0EEEvT1_.has_recursion, 0
	.set _ZN7rocprim17ROCPRIM_400000_NS6detail17trampoline_kernelINS0_14default_configENS1_27scan_by_key_config_selectorIixEEZZNS1_16scan_by_key_implILNS1_25lookback_scan_determinismE0ELb1ES3_N6thrust23THRUST_200600_302600_NS6detail15normal_iteratorINS9_10device_ptrIiEEEENSB_INSC_IxEEEESG_xNS9_4plusIvEENS9_8equal_toIvEExEE10hipError_tPvRmT2_T3_T4_T5_mT6_T7_P12ihipStream_tbENKUlT_T0_E_clISt17integral_constantIbLb1EES11_EEDaSW_SX_EUlSW_E_NS1_11comp_targetILNS1_3genE9ELNS1_11target_archE1100ELNS1_3gpuE3ELNS1_3repE0EEENS1_30default_config_static_selectorELNS0_4arch9wavefront6targetE0EEEvT1_.has_indirect_call, 0
	.section	.AMDGPU.csdata,"",@progbits
; Kernel info:
; codeLenInByte = 0
; TotalNumSgprs: 0
; NumVgprs: 0
; ScratchSize: 0
; MemoryBound: 0
; FloatMode: 240
; IeeeMode: 1
; LDSByteSize: 0 bytes/workgroup (compile time only)
; SGPRBlocks: 0
; VGPRBlocks: 0
; NumSGPRsForWavesPerEU: 1
; NumVGPRsForWavesPerEU: 1
; Occupancy: 16
; WaveLimiterHint : 0
; COMPUTE_PGM_RSRC2:SCRATCH_EN: 0
; COMPUTE_PGM_RSRC2:USER_SGPR: 6
; COMPUTE_PGM_RSRC2:TRAP_HANDLER: 0
; COMPUTE_PGM_RSRC2:TGID_X_EN: 1
; COMPUTE_PGM_RSRC2:TGID_Y_EN: 0
; COMPUTE_PGM_RSRC2:TGID_Z_EN: 0
; COMPUTE_PGM_RSRC2:TIDIG_COMP_CNT: 0
	.section	.text._ZN7rocprim17ROCPRIM_400000_NS6detail17trampoline_kernelINS0_14default_configENS1_27scan_by_key_config_selectorIixEEZZNS1_16scan_by_key_implILNS1_25lookback_scan_determinismE0ELb1ES3_N6thrust23THRUST_200600_302600_NS6detail15normal_iteratorINS9_10device_ptrIiEEEENSB_INSC_IxEEEESG_xNS9_4plusIvEENS9_8equal_toIvEExEE10hipError_tPvRmT2_T3_T4_T5_mT6_T7_P12ihipStream_tbENKUlT_T0_E_clISt17integral_constantIbLb1EES11_EEDaSW_SX_EUlSW_E_NS1_11comp_targetILNS1_3genE8ELNS1_11target_archE1030ELNS1_3gpuE2ELNS1_3repE0EEENS1_30default_config_static_selectorELNS0_4arch9wavefront6targetE0EEEvT1_,"axG",@progbits,_ZN7rocprim17ROCPRIM_400000_NS6detail17trampoline_kernelINS0_14default_configENS1_27scan_by_key_config_selectorIixEEZZNS1_16scan_by_key_implILNS1_25lookback_scan_determinismE0ELb1ES3_N6thrust23THRUST_200600_302600_NS6detail15normal_iteratorINS9_10device_ptrIiEEEENSB_INSC_IxEEEESG_xNS9_4plusIvEENS9_8equal_toIvEExEE10hipError_tPvRmT2_T3_T4_T5_mT6_T7_P12ihipStream_tbENKUlT_T0_E_clISt17integral_constantIbLb1EES11_EEDaSW_SX_EUlSW_E_NS1_11comp_targetILNS1_3genE8ELNS1_11target_archE1030ELNS1_3gpuE2ELNS1_3repE0EEENS1_30default_config_static_selectorELNS0_4arch9wavefront6targetE0EEEvT1_,comdat
	.protected	_ZN7rocprim17ROCPRIM_400000_NS6detail17trampoline_kernelINS0_14default_configENS1_27scan_by_key_config_selectorIixEEZZNS1_16scan_by_key_implILNS1_25lookback_scan_determinismE0ELb1ES3_N6thrust23THRUST_200600_302600_NS6detail15normal_iteratorINS9_10device_ptrIiEEEENSB_INSC_IxEEEESG_xNS9_4plusIvEENS9_8equal_toIvEExEE10hipError_tPvRmT2_T3_T4_T5_mT6_T7_P12ihipStream_tbENKUlT_T0_E_clISt17integral_constantIbLb1EES11_EEDaSW_SX_EUlSW_E_NS1_11comp_targetILNS1_3genE8ELNS1_11target_archE1030ELNS1_3gpuE2ELNS1_3repE0EEENS1_30default_config_static_selectorELNS0_4arch9wavefront6targetE0EEEvT1_ ; -- Begin function _ZN7rocprim17ROCPRIM_400000_NS6detail17trampoline_kernelINS0_14default_configENS1_27scan_by_key_config_selectorIixEEZZNS1_16scan_by_key_implILNS1_25lookback_scan_determinismE0ELb1ES3_N6thrust23THRUST_200600_302600_NS6detail15normal_iteratorINS9_10device_ptrIiEEEENSB_INSC_IxEEEESG_xNS9_4plusIvEENS9_8equal_toIvEExEE10hipError_tPvRmT2_T3_T4_T5_mT6_T7_P12ihipStream_tbENKUlT_T0_E_clISt17integral_constantIbLb1EES11_EEDaSW_SX_EUlSW_E_NS1_11comp_targetILNS1_3genE8ELNS1_11target_archE1030ELNS1_3gpuE2ELNS1_3repE0EEENS1_30default_config_static_selectorELNS0_4arch9wavefront6targetE0EEEvT1_
	.globl	_ZN7rocprim17ROCPRIM_400000_NS6detail17trampoline_kernelINS0_14default_configENS1_27scan_by_key_config_selectorIixEEZZNS1_16scan_by_key_implILNS1_25lookback_scan_determinismE0ELb1ES3_N6thrust23THRUST_200600_302600_NS6detail15normal_iteratorINS9_10device_ptrIiEEEENSB_INSC_IxEEEESG_xNS9_4plusIvEENS9_8equal_toIvEExEE10hipError_tPvRmT2_T3_T4_T5_mT6_T7_P12ihipStream_tbENKUlT_T0_E_clISt17integral_constantIbLb1EES11_EEDaSW_SX_EUlSW_E_NS1_11comp_targetILNS1_3genE8ELNS1_11target_archE1030ELNS1_3gpuE2ELNS1_3repE0EEENS1_30default_config_static_selectorELNS0_4arch9wavefront6targetE0EEEvT1_
	.p2align	8
	.type	_ZN7rocprim17ROCPRIM_400000_NS6detail17trampoline_kernelINS0_14default_configENS1_27scan_by_key_config_selectorIixEEZZNS1_16scan_by_key_implILNS1_25lookback_scan_determinismE0ELb1ES3_N6thrust23THRUST_200600_302600_NS6detail15normal_iteratorINS9_10device_ptrIiEEEENSB_INSC_IxEEEESG_xNS9_4plusIvEENS9_8equal_toIvEExEE10hipError_tPvRmT2_T3_T4_T5_mT6_T7_P12ihipStream_tbENKUlT_T0_E_clISt17integral_constantIbLb1EES11_EEDaSW_SX_EUlSW_E_NS1_11comp_targetILNS1_3genE8ELNS1_11target_archE1030ELNS1_3gpuE2ELNS1_3repE0EEENS1_30default_config_static_selectorELNS0_4arch9wavefront6targetE0EEEvT1_,@function
_ZN7rocprim17ROCPRIM_400000_NS6detail17trampoline_kernelINS0_14default_configENS1_27scan_by_key_config_selectorIixEEZZNS1_16scan_by_key_implILNS1_25lookback_scan_determinismE0ELb1ES3_N6thrust23THRUST_200600_302600_NS6detail15normal_iteratorINS9_10device_ptrIiEEEENSB_INSC_IxEEEESG_xNS9_4plusIvEENS9_8equal_toIvEExEE10hipError_tPvRmT2_T3_T4_T5_mT6_T7_P12ihipStream_tbENKUlT_T0_E_clISt17integral_constantIbLb1EES11_EEDaSW_SX_EUlSW_E_NS1_11comp_targetILNS1_3genE8ELNS1_11target_archE1030ELNS1_3gpuE2ELNS1_3repE0EEENS1_30default_config_static_selectorELNS0_4arch9wavefront6targetE0EEEvT1_: ; @_ZN7rocprim17ROCPRIM_400000_NS6detail17trampoline_kernelINS0_14default_configENS1_27scan_by_key_config_selectorIixEEZZNS1_16scan_by_key_implILNS1_25lookback_scan_determinismE0ELb1ES3_N6thrust23THRUST_200600_302600_NS6detail15normal_iteratorINS9_10device_ptrIiEEEENSB_INSC_IxEEEESG_xNS9_4plusIvEENS9_8equal_toIvEExEE10hipError_tPvRmT2_T3_T4_T5_mT6_T7_P12ihipStream_tbENKUlT_T0_E_clISt17integral_constantIbLb1EES11_EEDaSW_SX_EUlSW_E_NS1_11comp_targetILNS1_3genE8ELNS1_11target_archE1030ELNS1_3gpuE2ELNS1_3repE0EEENS1_30default_config_static_selectorELNS0_4arch9wavefront6targetE0EEEvT1_
; %bb.0:
	s_endpgm
	.section	.rodata,"a",@progbits
	.p2align	6, 0x0
	.amdhsa_kernel _ZN7rocprim17ROCPRIM_400000_NS6detail17trampoline_kernelINS0_14default_configENS1_27scan_by_key_config_selectorIixEEZZNS1_16scan_by_key_implILNS1_25lookback_scan_determinismE0ELb1ES3_N6thrust23THRUST_200600_302600_NS6detail15normal_iteratorINS9_10device_ptrIiEEEENSB_INSC_IxEEEESG_xNS9_4plusIvEENS9_8equal_toIvEExEE10hipError_tPvRmT2_T3_T4_T5_mT6_T7_P12ihipStream_tbENKUlT_T0_E_clISt17integral_constantIbLb1EES11_EEDaSW_SX_EUlSW_E_NS1_11comp_targetILNS1_3genE8ELNS1_11target_archE1030ELNS1_3gpuE2ELNS1_3repE0EEENS1_30default_config_static_selectorELNS0_4arch9wavefront6targetE0EEEvT1_
		.amdhsa_group_segment_fixed_size 0
		.amdhsa_private_segment_fixed_size 0
		.amdhsa_kernarg_size 136
		.amdhsa_user_sgpr_count 6
		.amdhsa_user_sgpr_private_segment_buffer 1
		.amdhsa_user_sgpr_dispatch_ptr 0
		.amdhsa_user_sgpr_queue_ptr 0
		.amdhsa_user_sgpr_kernarg_segment_ptr 1
		.amdhsa_user_sgpr_dispatch_id 0
		.amdhsa_user_sgpr_flat_scratch_init 0
		.amdhsa_user_sgpr_private_segment_size 0
		.amdhsa_wavefront_size32 1
		.amdhsa_uses_dynamic_stack 0
		.amdhsa_system_sgpr_private_segment_wavefront_offset 0
		.amdhsa_system_sgpr_workgroup_id_x 1
		.amdhsa_system_sgpr_workgroup_id_y 0
		.amdhsa_system_sgpr_workgroup_id_z 0
		.amdhsa_system_sgpr_workgroup_info 0
		.amdhsa_system_vgpr_workitem_id 0
		.amdhsa_next_free_vgpr 1
		.amdhsa_next_free_sgpr 1
		.amdhsa_reserve_vcc 0
		.amdhsa_reserve_flat_scratch 0
		.amdhsa_float_round_mode_32 0
		.amdhsa_float_round_mode_16_64 0
		.amdhsa_float_denorm_mode_32 3
		.amdhsa_float_denorm_mode_16_64 3
		.amdhsa_dx10_clamp 1
		.amdhsa_ieee_mode 1
		.amdhsa_fp16_overflow 0
		.amdhsa_workgroup_processor_mode 1
		.amdhsa_memory_ordered 1
		.amdhsa_forward_progress 1
		.amdhsa_shared_vgpr_count 0
		.amdhsa_exception_fp_ieee_invalid_op 0
		.amdhsa_exception_fp_denorm_src 0
		.amdhsa_exception_fp_ieee_div_zero 0
		.amdhsa_exception_fp_ieee_overflow 0
		.amdhsa_exception_fp_ieee_underflow 0
		.amdhsa_exception_fp_ieee_inexact 0
		.amdhsa_exception_int_div_zero 0
	.end_amdhsa_kernel
	.section	.text._ZN7rocprim17ROCPRIM_400000_NS6detail17trampoline_kernelINS0_14default_configENS1_27scan_by_key_config_selectorIixEEZZNS1_16scan_by_key_implILNS1_25lookback_scan_determinismE0ELb1ES3_N6thrust23THRUST_200600_302600_NS6detail15normal_iteratorINS9_10device_ptrIiEEEENSB_INSC_IxEEEESG_xNS9_4plusIvEENS9_8equal_toIvEExEE10hipError_tPvRmT2_T3_T4_T5_mT6_T7_P12ihipStream_tbENKUlT_T0_E_clISt17integral_constantIbLb1EES11_EEDaSW_SX_EUlSW_E_NS1_11comp_targetILNS1_3genE8ELNS1_11target_archE1030ELNS1_3gpuE2ELNS1_3repE0EEENS1_30default_config_static_selectorELNS0_4arch9wavefront6targetE0EEEvT1_,"axG",@progbits,_ZN7rocprim17ROCPRIM_400000_NS6detail17trampoline_kernelINS0_14default_configENS1_27scan_by_key_config_selectorIixEEZZNS1_16scan_by_key_implILNS1_25lookback_scan_determinismE0ELb1ES3_N6thrust23THRUST_200600_302600_NS6detail15normal_iteratorINS9_10device_ptrIiEEEENSB_INSC_IxEEEESG_xNS9_4plusIvEENS9_8equal_toIvEExEE10hipError_tPvRmT2_T3_T4_T5_mT6_T7_P12ihipStream_tbENKUlT_T0_E_clISt17integral_constantIbLb1EES11_EEDaSW_SX_EUlSW_E_NS1_11comp_targetILNS1_3genE8ELNS1_11target_archE1030ELNS1_3gpuE2ELNS1_3repE0EEENS1_30default_config_static_selectorELNS0_4arch9wavefront6targetE0EEEvT1_,comdat
.Lfunc_end1588:
	.size	_ZN7rocprim17ROCPRIM_400000_NS6detail17trampoline_kernelINS0_14default_configENS1_27scan_by_key_config_selectorIixEEZZNS1_16scan_by_key_implILNS1_25lookback_scan_determinismE0ELb1ES3_N6thrust23THRUST_200600_302600_NS6detail15normal_iteratorINS9_10device_ptrIiEEEENSB_INSC_IxEEEESG_xNS9_4plusIvEENS9_8equal_toIvEExEE10hipError_tPvRmT2_T3_T4_T5_mT6_T7_P12ihipStream_tbENKUlT_T0_E_clISt17integral_constantIbLb1EES11_EEDaSW_SX_EUlSW_E_NS1_11comp_targetILNS1_3genE8ELNS1_11target_archE1030ELNS1_3gpuE2ELNS1_3repE0EEENS1_30default_config_static_selectorELNS0_4arch9wavefront6targetE0EEEvT1_, .Lfunc_end1588-_ZN7rocprim17ROCPRIM_400000_NS6detail17trampoline_kernelINS0_14default_configENS1_27scan_by_key_config_selectorIixEEZZNS1_16scan_by_key_implILNS1_25lookback_scan_determinismE0ELb1ES3_N6thrust23THRUST_200600_302600_NS6detail15normal_iteratorINS9_10device_ptrIiEEEENSB_INSC_IxEEEESG_xNS9_4plusIvEENS9_8equal_toIvEExEE10hipError_tPvRmT2_T3_T4_T5_mT6_T7_P12ihipStream_tbENKUlT_T0_E_clISt17integral_constantIbLb1EES11_EEDaSW_SX_EUlSW_E_NS1_11comp_targetILNS1_3genE8ELNS1_11target_archE1030ELNS1_3gpuE2ELNS1_3repE0EEENS1_30default_config_static_selectorELNS0_4arch9wavefront6targetE0EEEvT1_
                                        ; -- End function
	.set _ZN7rocprim17ROCPRIM_400000_NS6detail17trampoline_kernelINS0_14default_configENS1_27scan_by_key_config_selectorIixEEZZNS1_16scan_by_key_implILNS1_25lookback_scan_determinismE0ELb1ES3_N6thrust23THRUST_200600_302600_NS6detail15normal_iteratorINS9_10device_ptrIiEEEENSB_INSC_IxEEEESG_xNS9_4plusIvEENS9_8equal_toIvEExEE10hipError_tPvRmT2_T3_T4_T5_mT6_T7_P12ihipStream_tbENKUlT_T0_E_clISt17integral_constantIbLb1EES11_EEDaSW_SX_EUlSW_E_NS1_11comp_targetILNS1_3genE8ELNS1_11target_archE1030ELNS1_3gpuE2ELNS1_3repE0EEENS1_30default_config_static_selectorELNS0_4arch9wavefront6targetE0EEEvT1_.num_vgpr, 0
	.set _ZN7rocprim17ROCPRIM_400000_NS6detail17trampoline_kernelINS0_14default_configENS1_27scan_by_key_config_selectorIixEEZZNS1_16scan_by_key_implILNS1_25lookback_scan_determinismE0ELb1ES3_N6thrust23THRUST_200600_302600_NS6detail15normal_iteratorINS9_10device_ptrIiEEEENSB_INSC_IxEEEESG_xNS9_4plusIvEENS9_8equal_toIvEExEE10hipError_tPvRmT2_T3_T4_T5_mT6_T7_P12ihipStream_tbENKUlT_T0_E_clISt17integral_constantIbLb1EES11_EEDaSW_SX_EUlSW_E_NS1_11comp_targetILNS1_3genE8ELNS1_11target_archE1030ELNS1_3gpuE2ELNS1_3repE0EEENS1_30default_config_static_selectorELNS0_4arch9wavefront6targetE0EEEvT1_.num_agpr, 0
	.set _ZN7rocprim17ROCPRIM_400000_NS6detail17trampoline_kernelINS0_14default_configENS1_27scan_by_key_config_selectorIixEEZZNS1_16scan_by_key_implILNS1_25lookback_scan_determinismE0ELb1ES3_N6thrust23THRUST_200600_302600_NS6detail15normal_iteratorINS9_10device_ptrIiEEEENSB_INSC_IxEEEESG_xNS9_4plusIvEENS9_8equal_toIvEExEE10hipError_tPvRmT2_T3_T4_T5_mT6_T7_P12ihipStream_tbENKUlT_T0_E_clISt17integral_constantIbLb1EES11_EEDaSW_SX_EUlSW_E_NS1_11comp_targetILNS1_3genE8ELNS1_11target_archE1030ELNS1_3gpuE2ELNS1_3repE0EEENS1_30default_config_static_selectorELNS0_4arch9wavefront6targetE0EEEvT1_.numbered_sgpr, 0
	.set _ZN7rocprim17ROCPRIM_400000_NS6detail17trampoline_kernelINS0_14default_configENS1_27scan_by_key_config_selectorIixEEZZNS1_16scan_by_key_implILNS1_25lookback_scan_determinismE0ELb1ES3_N6thrust23THRUST_200600_302600_NS6detail15normal_iteratorINS9_10device_ptrIiEEEENSB_INSC_IxEEEESG_xNS9_4plusIvEENS9_8equal_toIvEExEE10hipError_tPvRmT2_T3_T4_T5_mT6_T7_P12ihipStream_tbENKUlT_T0_E_clISt17integral_constantIbLb1EES11_EEDaSW_SX_EUlSW_E_NS1_11comp_targetILNS1_3genE8ELNS1_11target_archE1030ELNS1_3gpuE2ELNS1_3repE0EEENS1_30default_config_static_selectorELNS0_4arch9wavefront6targetE0EEEvT1_.num_named_barrier, 0
	.set _ZN7rocprim17ROCPRIM_400000_NS6detail17trampoline_kernelINS0_14default_configENS1_27scan_by_key_config_selectorIixEEZZNS1_16scan_by_key_implILNS1_25lookback_scan_determinismE0ELb1ES3_N6thrust23THRUST_200600_302600_NS6detail15normal_iteratorINS9_10device_ptrIiEEEENSB_INSC_IxEEEESG_xNS9_4plusIvEENS9_8equal_toIvEExEE10hipError_tPvRmT2_T3_T4_T5_mT6_T7_P12ihipStream_tbENKUlT_T0_E_clISt17integral_constantIbLb1EES11_EEDaSW_SX_EUlSW_E_NS1_11comp_targetILNS1_3genE8ELNS1_11target_archE1030ELNS1_3gpuE2ELNS1_3repE0EEENS1_30default_config_static_selectorELNS0_4arch9wavefront6targetE0EEEvT1_.private_seg_size, 0
	.set _ZN7rocprim17ROCPRIM_400000_NS6detail17trampoline_kernelINS0_14default_configENS1_27scan_by_key_config_selectorIixEEZZNS1_16scan_by_key_implILNS1_25lookback_scan_determinismE0ELb1ES3_N6thrust23THRUST_200600_302600_NS6detail15normal_iteratorINS9_10device_ptrIiEEEENSB_INSC_IxEEEESG_xNS9_4plusIvEENS9_8equal_toIvEExEE10hipError_tPvRmT2_T3_T4_T5_mT6_T7_P12ihipStream_tbENKUlT_T0_E_clISt17integral_constantIbLb1EES11_EEDaSW_SX_EUlSW_E_NS1_11comp_targetILNS1_3genE8ELNS1_11target_archE1030ELNS1_3gpuE2ELNS1_3repE0EEENS1_30default_config_static_selectorELNS0_4arch9wavefront6targetE0EEEvT1_.uses_vcc, 0
	.set _ZN7rocprim17ROCPRIM_400000_NS6detail17trampoline_kernelINS0_14default_configENS1_27scan_by_key_config_selectorIixEEZZNS1_16scan_by_key_implILNS1_25lookback_scan_determinismE0ELb1ES3_N6thrust23THRUST_200600_302600_NS6detail15normal_iteratorINS9_10device_ptrIiEEEENSB_INSC_IxEEEESG_xNS9_4plusIvEENS9_8equal_toIvEExEE10hipError_tPvRmT2_T3_T4_T5_mT6_T7_P12ihipStream_tbENKUlT_T0_E_clISt17integral_constantIbLb1EES11_EEDaSW_SX_EUlSW_E_NS1_11comp_targetILNS1_3genE8ELNS1_11target_archE1030ELNS1_3gpuE2ELNS1_3repE0EEENS1_30default_config_static_selectorELNS0_4arch9wavefront6targetE0EEEvT1_.uses_flat_scratch, 0
	.set _ZN7rocprim17ROCPRIM_400000_NS6detail17trampoline_kernelINS0_14default_configENS1_27scan_by_key_config_selectorIixEEZZNS1_16scan_by_key_implILNS1_25lookback_scan_determinismE0ELb1ES3_N6thrust23THRUST_200600_302600_NS6detail15normal_iteratorINS9_10device_ptrIiEEEENSB_INSC_IxEEEESG_xNS9_4plusIvEENS9_8equal_toIvEExEE10hipError_tPvRmT2_T3_T4_T5_mT6_T7_P12ihipStream_tbENKUlT_T0_E_clISt17integral_constantIbLb1EES11_EEDaSW_SX_EUlSW_E_NS1_11comp_targetILNS1_3genE8ELNS1_11target_archE1030ELNS1_3gpuE2ELNS1_3repE0EEENS1_30default_config_static_selectorELNS0_4arch9wavefront6targetE0EEEvT1_.has_dyn_sized_stack, 0
	.set _ZN7rocprim17ROCPRIM_400000_NS6detail17trampoline_kernelINS0_14default_configENS1_27scan_by_key_config_selectorIixEEZZNS1_16scan_by_key_implILNS1_25lookback_scan_determinismE0ELb1ES3_N6thrust23THRUST_200600_302600_NS6detail15normal_iteratorINS9_10device_ptrIiEEEENSB_INSC_IxEEEESG_xNS9_4plusIvEENS9_8equal_toIvEExEE10hipError_tPvRmT2_T3_T4_T5_mT6_T7_P12ihipStream_tbENKUlT_T0_E_clISt17integral_constantIbLb1EES11_EEDaSW_SX_EUlSW_E_NS1_11comp_targetILNS1_3genE8ELNS1_11target_archE1030ELNS1_3gpuE2ELNS1_3repE0EEENS1_30default_config_static_selectorELNS0_4arch9wavefront6targetE0EEEvT1_.has_recursion, 0
	.set _ZN7rocprim17ROCPRIM_400000_NS6detail17trampoline_kernelINS0_14default_configENS1_27scan_by_key_config_selectorIixEEZZNS1_16scan_by_key_implILNS1_25lookback_scan_determinismE0ELb1ES3_N6thrust23THRUST_200600_302600_NS6detail15normal_iteratorINS9_10device_ptrIiEEEENSB_INSC_IxEEEESG_xNS9_4plusIvEENS9_8equal_toIvEExEE10hipError_tPvRmT2_T3_T4_T5_mT6_T7_P12ihipStream_tbENKUlT_T0_E_clISt17integral_constantIbLb1EES11_EEDaSW_SX_EUlSW_E_NS1_11comp_targetILNS1_3genE8ELNS1_11target_archE1030ELNS1_3gpuE2ELNS1_3repE0EEENS1_30default_config_static_selectorELNS0_4arch9wavefront6targetE0EEEvT1_.has_indirect_call, 0
	.section	.AMDGPU.csdata,"",@progbits
; Kernel info:
; codeLenInByte = 4
; TotalNumSgprs: 0
; NumVgprs: 0
; ScratchSize: 0
; MemoryBound: 0
; FloatMode: 240
; IeeeMode: 1
; LDSByteSize: 0 bytes/workgroup (compile time only)
; SGPRBlocks: 0
; VGPRBlocks: 0
; NumSGPRsForWavesPerEU: 1
; NumVGPRsForWavesPerEU: 1
; Occupancy: 16
; WaveLimiterHint : 0
; COMPUTE_PGM_RSRC2:SCRATCH_EN: 0
; COMPUTE_PGM_RSRC2:USER_SGPR: 6
; COMPUTE_PGM_RSRC2:TRAP_HANDLER: 0
; COMPUTE_PGM_RSRC2:TGID_X_EN: 1
; COMPUTE_PGM_RSRC2:TGID_Y_EN: 0
; COMPUTE_PGM_RSRC2:TGID_Z_EN: 0
; COMPUTE_PGM_RSRC2:TIDIG_COMP_CNT: 0
	.section	.text._ZN7rocprim17ROCPRIM_400000_NS6detail17trampoline_kernelINS0_14default_configENS1_27scan_by_key_config_selectorIixEEZZNS1_16scan_by_key_implILNS1_25lookback_scan_determinismE0ELb1ES3_N6thrust23THRUST_200600_302600_NS6detail15normal_iteratorINS9_10device_ptrIiEEEENSB_INSC_IxEEEESG_xNS9_4plusIvEENS9_8equal_toIvEExEE10hipError_tPvRmT2_T3_T4_T5_mT6_T7_P12ihipStream_tbENKUlT_T0_E_clISt17integral_constantIbLb1EES10_IbLb0EEEEDaSW_SX_EUlSW_E_NS1_11comp_targetILNS1_3genE0ELNS1_11target_archE4294967295ELNS1_3gpuE0ELNS1_3repE0EEENS1_30default_config_static_selectorELNS0_4arch9wavefront6targetE0EEEvT1_,"axG",@progbits,_ZN7rocprim17ROCPRIM_400000_NS6detail17trampoline_kernelINS0_14default_configENS1_27scan_by_key_config_selectorIixEEZZNS1_16scan_by_key_implILNS1_25lookback_scan_determinismE0ELb1ES3_N6thrust23THRUST_200600_302600_NS6detail15normal_iteratorINS9_10device_ptrIiEEEENSB_INSC_IxEEEESG_xNS9_4plusIvEENS9_8equal_toIvEExEE10hipError_tPvRmT2_T3_T4_T5_mT6_T7_P12ihipStream_tbENKUlT_T0_E_clISt17integral_constantIbLb1EES10_IbLb0EEEEDaSW_SX_EUlSW_E_NS1_11comp_targetILNS1_3genE0ELNS1_11target_archE4294967295ELNS1_3gpuE0ELNS1_3repE0EEENS1_30default_config_static_selectorELNS0_4arch9wavefront6targetE0EEEvT1_,comdat
	.protected	_ZN7rocprim17ROCPRIM_400000_NS6detail17trampoline_kernelINS0_14default_configENS1_27scan_by_key_config_selectorIixEEZZNS1_16scan_by_key_implILNS1_25lookback_scan_determinismE0ELb1ES3_N6thrust23THRUST_200600_302600_NS6detail15normal_iteratorINS9_10device_ptrIiEEEENSB_INSC_IxEEEESG_xNS9_4plusIvEENS9_8equal_toIvEExEE10hipError_tPvRmT2_T3_T4_T5_mT6_T7_P12ihipStream_tbENKUlT_T0_E_clISt17integral_constantIbLb1EES10_IbLb0EEEEDaSW_SX_EUlSW_E_NS1_11comp_targetILNS1_3genE0ELNS1_11target_archE4294967295ELNS1_3gpuE0ELNS1_3repE0EEENS1_30default_config_static_selectorELNS0_4arch9wavefront6targetE0EEEvT1_ ; -- Begin function _ZN7rocprim17ROCPRIM_400000_NS6detail17trampoline_kernelINS0_14default_configENS1_27scan_by_key_config_selectorIixEEZZNS1_16scan_by_key_implILNS1_25lookback_scan_determinismE0ELb1ES3_N6thrust23THRUST_200600_302600_NS6detail15normal_iteratorINS9_10device_ptrIiEEEENSB_INSC_IxEEEESG_xNS9_4plusIvEENS9_8equal_toIvEExEE10hipError_tPvRmT2_T3_T4_T5_mT6_T7_P12ihipStream_tbENKUlT_T0_E_clISt17integral_constantIbLb1EES10_IbLb0EEEEDaSW_SX_EUlSW_E_NS1_11comp_targetILNS1_3genE0ELNS1_11target_archE4294967295ELNS1_3gpuE0ELNS1_3repE0EEENS1_30default_config_static_selectorELNS0_4arch9wavefront6targetE0EEEvT1_
	.globl	_ZN7rocprim17ROCPRIM_400000_NS6detail17trampoline_kernelINS0_14default_configENS1_27scan_by_key_config_selectorIixEEZZNS1_16scan_by_key_implILNS1_25lookback_scan_determinismE0ELb1ES3_N6thrust23THRUST_200600_302600_NS6detail15normal_iteratorINS9_10device_ptrIiEEEENSB_INSC_IxEEEESG_xNS9_4plusIvEENS9_8equal_toIvEExEE10hipError_tPvRmT2_T3_T4_T5_mT6_T7_P12ihipStream_tbENKUlT_T0_E_clISt17integral_constantIbLb1EES10_IbLb0EEEEDaSW_SX_EUlSW_E_NS1_11comp_targetILNS1_3genE0ELNS1_11target_archE4294967295ELNS1_3gpuE0ELNS1_3repE0EEENS1_30default_config_static_selectorELNS0_4arch9wavefront6targetE0EEEvT1_
	.p2align	8
	.type	_ZN7rocprim17ROCPRIM_400000_NS6detail17trampoline_kernelINS0_14default_configENS1_27scan_by_key_config_selectorIixEEZZNS1_16scan_by_key_implILNS1_25lookback_scan_determinismE0ELb1ES3_N6thrust23THRUST_200600_302600_NS6detail15normal_iteratorINS9_10device_ptrIiEEEENSB_INSC_IxEEEESG_xNS9_4plusIvEENS9_8equal_toIvEExEE10hipError_tPvRmT2_T3_T4_T5_mT6_T7_P12ihipStream_tbENKUlT_T0_E_clISt17integral_constantIbLb1EES10_IbLb0EEEEDaSW_SX_EUlSW_E_NS1_11comp_targetILNS1_3genE0ELNS1_11target_archE4294967295ELNS1_3gpuE0ELNS1_3repE0EEENS1_30default_config_static_selectorELNS0_4arch9wavefront6targetE0EEEvT1_,@function
_ZN7rocprim17ROCPRIM_400000_NS6detail17trampoline_kernelINS0_14default_configENS1_27scan_by_key_config_selectorIixEEZZNS1_16scan_by_key_implILNS1_25lookback_scan_determinismE0ELb1ES3_N6thrust23THRUST_200600_302600_NS6detail15normal_iteratorINS9_10device_ptrIiEEEENSB_INSC_IxEEEESG_xNS9_4plusIvEENS9_8equal_toIvEExEE10hipError_tPvRmT2_T3_T4_T5_mT6_T7_P12ihipStream_tbENKUlT_T0_E_clISt17integral_constantIbLb1EES10_IbLb0EEEEDaSW_SX_EUlSW_E_NS1_11comp_targetILNS1_3genE0ELNS1_11target_archE4294967295ELNS1_3gpuE0ELNS1_3repE0EEENS1_30default_config_static_selectorELNS0_4arch9wavefront6targetE0EEEvT1_: ; @_ZN7rocprim17ROCPRIM_400000_NS6detail17trampoline_kernelINS0_14default_configENS1_27scan_by_key_config_selectorIixEEZZNS1_16scan_by_key_implILNS1_25lookback_scan_determinismE0ELb1ES3_N6thrust23THRUST_200600_302600_NS6detail15normal_iteratorINS9_10device_ptrIiEEEENSB_INSC_IxEEEESG_xNS9_4plusIvEENS9_8equal_toIvEExEE10hipError_tPvRmT2_T3_T4_T5_mT6_T7_P12ihipStream_tbENKUlT_T0_E_clISt17integral_constantIbLb1EES10_IbLb0EEEEDaSW_SX_EUlSW_E_NS1_11comp_targetILNS1_3genE0ELNS1_11target_archE4294967295ELNS1_3gpuE0ELNS1_3repE0EEENS1_30default_config_static_selectorELNS0_4arch9wavefront6targetE0EEEvT1_
; %bb.0:
	.section	.rodata,"a",@progbits
	.p2align	6, 0x0
	.amdhsa_kernel _ZN7rocprim17ROCPRIM_400000_NS6detail17trampoline_kernelINS0_14default_configENS1_27scan_by_key_config_selectorIixEEZZNS1_16scan_by_key_implILNS1_25lookback_scan_determinismE0ELb1ES3_N6thrust23THRUST_200600_302600_NS6detail15normal_iteratorINS9_10device_ptrIiEEEENSB_INSC_IxEEEESG_xNS9_4plusIvEENS9_8equal_toIvEExEE10hipError_tPvRmT2_T3_T4_T5_mT6_T7_P12ihipStream_tbENKUlT_T0_E_clISt17integral_constantIbLb1EES10_IbLb0EEEEDaSW_SX_EUlSW_E_NS1_11comp_targetILNS1_3genE0ELNS1_11target_archE4294967295ELNS1_3gpuE0ELNS1_3repE0EEENS1_30default_config_static_selectorELNS0_4arch9wavefront6targetE0EEEvT1_
		.amdhsa_group_segment_fixed_size 0
		.amdhsa_private_segment_fixed_size 0
		.amdhsa_kernarg_size 136
		.amdhsa_user_sgpr_count 6
		.amdhsa_user_sgpr_private_segment_buffer 1
		.amdhsa_user_sgpr_dispatch_ptr 0
		.amdhsa_user_sgpr_queue_ptr 0
		.amdhsa_user_sgpr_kernarg_segment_ptr 1
		.amdhsa_user_sgpr_dispatch_id 0
		.amdhsa_user_sgpr_flat_scratch_init 0
		.amdhsa_user_sgpr_private_segment_size 0
		.amdhsa_wavefront_size32 1
		.amdhsa_uses_dynamic_stack 0
		.amdhsa_system_sgpr_private_segment_wavefront_offset 0
		.amdhsa_system_sgpr_workgroup_id_x 1
		.amdhsa_system_sgpr_workgroup_id_y 0
		.amdhsa_system_sgpr_workgroup_id_z 0
		.amdhsa_system_sgpr_workgroup_info 0
		.amdhsa_system_vgpr_workitem_id 0
		.amdhsa_next_free_vgpr 1
		.amdhsa_next_free_sgpr 1
		.amdhsa_reserve_vcc 0
		.amdhsa_reserve_flat_scratch 0
		.amdhsa_float_round_mode_32 0
		.amdhsa_float_round_mode_16_64 0
		.amdhsa_float_denorm_mode_32 3
		.amdhsa_float_denorm_mode_16_64 3
		.amdhsa_dx10_clamp 1
		.amdhsa_ieee_mode 1
		.amdhsa_fp16_overflow 0
		.amdhsa_workgroup_processor_mode 1
		.amdhsa_memory_ordered 1
		.amdhsa_forward_progress 1
		.amdhsa_shared_vgpr_count 0
		.amdhsa_exception_fp_ieee_invalid_op 0
		.amdhsa_exception_fp_denorm_src 0
		.amdhsa_exception_fp_ieee_div_zero 0
		.amdhsa_exception_fp_ieee_overflow 0
		.amdhsa_exception_fp_ieee_underflow 0
		.amdhsa_exception_fp_ieee_inexact 0
		.amdhsa_exception_int_div_zero 0
	.end_amdhsa_kernel
	.section	.text._ZN7rocprim17ROCPRIM_400000_NS6detail17trampoline_kernelINS0_14default_configENS1_27scan_by_key_config_selectorIixEEZZNS1_16scan_by_key_implILNS1_25lookback_scan_determinismE0ELb1ES3_N6thrust23THRUST_200600_302600_NS6detail15normal_iteratorINS9_10device_ptrIiEEEENSB_INSC_IxEEEESG_xNS9_4plusIvEENS9_8equal_toIvEExEE10hipError_tPvRmT2_T3_T4_T5_mT6_T7_P12ihipStream_tbENKUlT_T0_E_clISt17integral_constantIbLb1EES10_IbLb0EEEEDaSW_SX_EUlSW_E_NS1_11comp_targetILNS1_3genE0ELNS1_11target_archE4294967295ELNS1_3gpuE0ELNS1_3repE0EEENS1_30default_config_static_selectorELNS0_4arch9wavefront6targetE0EEEvT1_,"axG",@progbits,_ZN7rocprim17ROCPRIM_400000_NS6detail17trampoline_kernelINS0_14default_configENS1_27scan_by_key_config_selectorIixEEZZNS1_16scan_by_key_implILNS1_25lookback_scan_determinismE0ELb1ES3_N6thrust23THRUST_200600_302600_NS6detail15normal_iteratorINS9_10device_ptrIiEEEENSB_INSC_IxEEEESG_xNS9_4plusIvEENS9_8equal_toIvEExEE10hipError_tPvRmT2_T3_T4_T5_mT6_T7_P12ihipStream_tbENKUlT_T0_E_clISt17integral_constantIbLb1EES10_IbLb0EEEEDaSW_SX_EUlSW_E_NS1_11comp_targetILNS1_3genE0ELNS1_11target_archE4294967295ELNS1_3gpuE0ELNS1_3repE0EEENS1_30default_config_static_selectorELNS0_4arch9wavefront6targetE0EEEvT1_,comdat
.Lfunc_end1589:
	.size	_ZN7rocprim17ROCPRIM_400000_NS6detail17trampoline_kernelINS0_14default_configENS1_27scan_by_key_config_selectorIixEEZZNS1_16scan_by_key_implILNS1_25lookback_scan_determinismE0ELb1ES3_N6thrust23THRUST_200600_302600_NS6detail15normal_iteratorINS9_10device_ptrIiEEEENSB_INSC_IxEEEESG_xNS9_4plusIvEENS9_8equal_toIvEExEE10hipError_tPvRmT2_T3_T4_T5_mT6_T7_P12ihipStream_tbENKUlT_T0_E_clISt17integral_constantIbLb1EES10_IbLb0EEEEDaSW_SX_EUlSW_E_NS1_11comp_targetILNS1_3genE0ELNS1_11target_archE4294967295ELNS1_3gpuE0ELNS1_3repE0EEENS1_30default_config_static_selectorELNS0_4arch9wavefront6targetE0EEEvT1_, .Lfunc_end1589-_ZN7rocprim17ROCPRIM_400000_NS6detail17trampoline_kernelINS0_14default_configENS1_27scan_by_key_config_selectorIixEEZZNS1_16scan_by_key_implILNS1_25lookback_scan_determinismE0ELb1ES3_N6thrust23THRUST_200600_302600_NS6detail15normal_iteratorINS9_10device_ptrIiEEEENSB_INSC_IxEEEESG_xNS9_4plusIvEENS9_8equal_toIvEExEE10hipError_tPvRmT2_T3_T4_T5_mT6_T7_P12ihipStream_tbENKUlT_T0_E_clISt17integral_constantIbLb1EES10_IbLb0EEEEDaSW_SX_EUlSW_E_NS1_11comp_targetILNS1_3genE0ELNS1_11target_archE4294967295ELNS1_3gpuE0ELNS1_3repE0EEENS1_30default_config_static_selectorELNS0_4arch9wavefront6targetE0EEEvT1_
                                        ; -- End function
	.set _ZN7rocprim17ROCPRIM_400000_NS6detail17trampoline_kernelINS0_14default_configENS1_27scan_by_key_config_selectorIixEEZZNS1_16scan_by_key_implILNS1_25lookback_scan_determinismE0ELb1ES3_N6thrust23THRUST_200600_302600_NS6detail15normal_iteratorINS9_10device_ptrIiEEEENSB_INSC_IxEEEESG_xNS9_4plusIvEENS9_8equal_toIvEExEE10hipError_tPvRmT2_T3_T4_T5_mT6_T7_P12ihipStream_tbENKUlT_T0_E_clISt17integral_constantIbLb1EES10_IbLb0EEEEDaSW_SX_EUlSW_E_NS1_11comp_targetILNS1_3genE0ELNS1_11target_archE4294967295ELNS1_3gpuE0ELNS1_3repE0EEENS1_30default_config_static_selectorELNS0_4arch9wavefront6targetE0EEEvT1_.num_vgpr, 0
	.set _ZN7rocprim17ROCPRIM_400000_NS6detail17trampoline_kernelINS0_14default_configENS1_27scan_by_key_config_selectorIixEEZZNS1_16scan_by_key_implILNS1_25lookback_scan_determinismE0ELb1ES3_N6thrust23THRUST_200600_302600_NS6detail15normal_iteratorINS9_10device_ptrIiEEEENSB_INSC_IxEEEESG_xNS9_4plusIvEENS9_8equal_toIvEExEE10hipError_tPvRmT2_T3_T4_T5_mT6_T7_P12ihipStream_tbENKUlT_T0_E_clISt17integral_constantIbLb1EES10_IbLb0EEEEDaSW_SX_EUlSW_E_NS1_11comp_targetILNS1_3genE0ELNS1_11target_archE4294967295ELNS1_3gpuE0ELNS1_3repE0EEENS1_30default_config_static_selectorELNS0_4arch9wavefront6targetE0EEEvT1_.num_agpr, 0
	.set _ZN7rocprim17ROCPRIM_400000_NS6detail17trampoline_kernelINS0_14default_configENS1_27scan_by_key_config_selectorIixEEZZNS1_16scan_by_key_implILNS1_25lookback_scan_determinismE0ELb1ES3_N6thrust23THRUST_200600_302600_NS6detail15normal_iteratorINS9_10device_ptrIiEEEENSB_INSC_IxEEEESG_xNS9_4plusIvEENS9_8equal_toIvEExEE10hipError_tPvRmT2_T3_T4_T5_mT6_T7_P12ihipStream_tbENKUlT_T0_E_clISt17integral_constantIbLb1EES10_IbLb0EEEEDaSW_SX_EUlSW_E_NS1_11comp_targetILNS1_3genE0ELNS1_11target_archE4294967295ELNS1_3gpuE0ELNS1_3repE0EEENS1_30default_config_static_selectorELNS0_4arch9wavefront6targetE0EEEvT1_.numbered_sgpr, 0
	.set _ZN7rocprim17ROCPRIM_400000_NS6detail17trampoline_kernelINS0_14default_configENS1_27scan_by_key_config_selectorIixEEZZNS1_16scan_by_key_implILNS1_25lookback_scan_determinismE0ELb1ES3_N6thrust23THRUST_200600_302600_NS6detail15normal_iteratorINS9_10device_ptrIiEEEENSB_INSC_IxEEEESG_xNS9_4plusIvEENS9_8equal_toIvEExEE10hipError_tPvRmT2_T3_T4_T5_mT6_T7_P12ihipStream_tbENKUlT_T0_E_clISt17integral_constantIbLb1EES10_IbLb0EEEEDaSW_SX_EUlSW_E_NS1_11comp_targetILNS1_3genE0ELNS1_11target_archE4294967295ELNS1_3gpuE0ELNS1_3repE0EEENS1_30default_config_static_selectorELNS0_4arch9wavefront6targetE0EEEvT1_.num_named_barrier, 0
	.set _ZN7rocprim17ROCPRIM_400000_NS6detail17trampoline_kernelINS0_14default_configENS1_27scan_by_key_config_selectorIixEEZZNS1_16scan_by_key_implILNS1_25lookback_scan_determinismE0ELb1ES3_N6thrust23THRUST_200600_302600_NS6detail15normal_iteratorINS9_10device_ptrIiEEEENSB_INSC_IxEEEESG_xNS9_4plusIvEENS9_8equal_toIvEExEE10hipError_tPvRmT2_T3_T4_T5_mT6_T7_P12ihipStream_tbENKUlT_T0_E_clISt17integral_constantIbLb1EES10_IbLb0EEEEDaSW_SX_EUlSW_E_NS1_11comp_targetILNS1_3genE0ELNS1_11target_archE4294967295ELNS1_3gpuE0ELNS1_3repE0EEENS1_30default_config_static_selectorELNS0_4arch9wavefront6targetE0EEEvT1_.private_seg_size, 0
	.set _ZN7rocprim17ROCPRIM_400000_NS6detail17trampoline_kernelINS0_14default_configENS1_27scan_by_key_config_selectorIixEEZZNS1_16scan_by_key_implILNS1_25lookback_scan_determinismE0ELb1ES3_N6thrust23THRUST_200600_302600_NS6detail15normal_iteratorINS9_10device_ptrIiEEEENSB_INSC_IxEEEESG_xNS9_4plusIvEENS9_8equal_toIvEExEE10hipError_tPvRmT2_T3_T4_T5_mT6_T7_P12ihipStream_tbENKUlT_T0_E_clISt17integral_constantIbLb1EES10_IbLb0EEEEDaSW_SX_EUlSW_E_NS1_11comp_targetILNS1_3genE0ELNS1_11target_archE4294967295ELNS1_3gpuE0ELNS1_3repE0EEENS1_30default_config_static_selectorELNS0_4arch9wavefront6targetE0EEEvT1_.uses_vcc, 0
	.set _ZN7rocprim17ROCPRIM_400000_NS6detail17trampoline_kernelINS0_14default_configENS1_27scan_by_key_config_selectorIixEEZZNS1_16scan_by_key_implILNS1_25lookback_scan_determinismE0ELb1ES3_N6thrust23THRUST_200600_302600_NS6detail15normal_iteratorINS9_10device_ptrIiEEEENSB_INSC_IxEEEESG_xNS9_4plusIvEENS9_8equal_toIvEExEE10hipError_tPvRmT2_T3_T4_T5_mT6_T7_P12ihipStream_tbENKUlT_T0_E_clISt17integral_constantIbLb1EES10_IbLb0EEEEDaSW_SX_EUlSW_E_NS1_11comp_targetILNS1_3genE0ELNS1_11target_archE4294967295ELNS1_3gpuE0ELNS1_3repE0EEENS1_30default_config_static_selectorELNS0_4arch9wavefront6targetE0EEEvT1_.uses_flat_scratch, 0
	.set _ZN7rocprim17ROCPRIM_400000_NS6detail17trampoline_kernelINS0_14default_configENS1_27scan_by_key_config_selectorIixEEZZNS1_16scan_by_key_implILNS1_25lookback_scan_determinismE0ELb1ES3_N6thrust23THRUST_200600_302600_NS6detail15normal_iteratorINS9_10device_ptrIiEEEENSB_INSC_IxEEEESG_xNS9_4plusIvEENS9_8equal_toIvEExEE10hipError_tPvRmT2_T3_T4_T5_mT6_T7_P12ihipStream_tbENKUlT_T0_E_clISt17integral_constantIbLb1EES10_IbLb0EEEEDaSW_SX_EUlSW_E_NS1_11comp_targetILNS1_3genE0ELNS1_11target_archE4294967295ELNS1_3gpuE0ELNS1_3repE0EEENS1_30default_config_static_selectorELNS0_4arch9wavefront6targetE0EEEvT1_.has_dyn_sized_stack, 0
	.set _ZN7rocprim17ROCPRIM_400000_NS6detail17trampoline_kernelINS0_14default_configENS1_27scan_by_key_config_selectorIixEEZZNS1_16scan_by_key_implILNS1_25lookback_scan_determinismE0ELb1ES3_N6thrust23THRUST_200600_302600_NS6detail15normal_iteratorINS9_10device_ptrIiEEEENSB_INSC_IxEEEESG_xNS9_4plusIvEENS9_8equal_toIvEExEE10hipError_tPvRmT2_T3_T4_T5_mT6_T7_P12ihipStream_tbENKUlT_T0_E_clISt17integral_constantIbLb1EES10_IbLb0EEEEDaSW_SX_EUlSW_E_NS1_11comp_targetILNS1_3genE0ELNS1_11target_archE4294967295ELNS1_3gpuE0ELNS1_3repE0EEENS1_30default_config_static_selectorELNS0_4arch9wavefront6targetE0EEEvT1_.has_recursion, 0
	.set _ZN7rocprim17ROCPRIM_400000_NS6detail17trampoline_kernelINS0_14default_configENS1_27scan_by_key_config_selectorIixEEZZNS1_16scan_by_key_implILNS1_25lookback_scan_determinismE0ELb1ES3_N6thrust23THRUST_200600_302600_NS6detail15normal_iteratorINS9_10device_ptrIiEEEENSB_INSC_IxEEEESG_xNS9_4plusIvEENS9_8equal_toIvEExEE10hipError_tPvRmT2_T3_T4_T5_mT6_T7_P12ihipStream_tbENKUlT_T0_E_clISt17integral_constantIbLb1EES10_IbLb0EEEEDaSW_SX_EUlSW_E_NS1_11comp_targetILNS1_3genE0ELNS1_11target_archE4294967295ELNS1_3gpuE0ELNS1_3repE0EEENS1_30default_config_static_selectorELNS0_4arch9wavefront6targetE0EEEvT1_.has_indirect_call, 0
	.section	.AMDGPU.csdata,"",@progbits
; Kernel info:
; codeLenInByte = 0
; TotalNumSgprs: 0
; NumVgprs: 0
; ScratchSize: 0
; MemoryBound: 0
; FloatMode: 240
; IeeeMode: 1
; LDSByteSize: 0 bytes/workgroup (compile time only)
; SGPRBlocks: 0
; VGPRBlocks: 0
; NumSGPRsForWavesPerEU: 1
; NumVGPRsForWavesPerEU: 1
; Occupancy: 16
; WaveLimiterHint : 0
; COMPUTE_PGM_RSRC2:SCRATCH_EN: 0
; COMPUTE_PGM_RSRC2:USER_SGPR: 6
; COMPUTE_PGM_RSRC2:TRAP_HANDLER: 0
; COMPUTE_PGM_RSRC2:TGID_X_EN: 1
; COMPUTE_PGM_RSRC2:TGID_Y_EN: 0
; COMPUTE_PGM_RSRC2:TGID_Z_EN: 0
; COMPUTE_PGM_RSRC2:TIDIG_COMP_CNT: 0
	.section	.text._ZN7rocprim17ROCPRIM_400000_NS6detail17trampoline_kernelINS0_14default_configENS1_27scan_by_key_config_selectorIixEEZZNS1_16scan_by_key_implILNS1_25lookback_scan_determinismE0ELb1ES3_N6thrust23THRUST_200600_302600_NS6detail15normal_iteratorINS9_10device_ptrIiEEEENSB_INSC_IxEEEESG_xNS9_4plusIvEENS9_8equal_toIvEExEE10hipError_tPvRmT2_T3_T4_T5_mT6_T7_P12ihipStream_tbENKUlT_T0_E_clISt17integral_constantIbLb1EES10_IbLb0EEEEDaSW_SX_EUlSW_E_NS1_11comp_targetILNS1_3genE10ELNS1_11target_archE1201ELNS1_3gpuE5ELNS1_3repE0EEENS1_30default_config_static_selectorELNS0_4arch9wavefront6targetE0EEEvT1_,"axG",@progbits,_ZN7rocprim17ROCPRIM_400000_NS6detail17trampoline_kernelINS0_14default_configENS1_27scan_by_key_config_selectorIixEEZZNS1_16scan_by_key_implILNS1_25lookback_scan_determinismE0ELb1ES3_N6thrust23THRUST_200600_302600_NS6detail15normal_iteratorINS9_10device_ptrIiEEEENSB_INSC_IxEEEESG_xNS9_4plusIvEENS9_8equal_toIvEExEE10hipError_tPvRmT2_T3_T4_T5_mT6_T7_P12ihipStream_tbENKUlT_T0_E_clISt17integral_constantIbLb1EES10_IbLb0EEEEDaSW_SX_EUlSW_E_NS1_11comp_targetILNS1_3genE10ELNS1_11target_archE1201ELNS1_3gpuE5ELNS1_3repE0EEENS1_30default_config_static_selectorELNS0_4arch9wavefront6targetE0EEEvT1_,comdat
	.protected	_ZN7rocprim17ROCPRIM_400000_NS6detail17trampoline_kernelINS0_14default_configENS1_27scan_by_key_config_selectorIixEEZZNS1_16scan_by_key_implILNS1_25lookback_scan_determinismE0ELb1ES3_N6thrust23THRUST_200600_302600_NS6detail15normal_iteratorINS9_10device_ptrIiEEEENSB_INSC_IxEEEESG_xNS9_4plusIvEENS9_8equal_toIvEExEE10hipError_tPvRmT2_T3_T4_T5_mT6_T7_P12ihipStream_tbENKUlT_T0_E_clISt17integral_constantIbLb1EES10_IbLb0EEEEDaSW_SX_EUlSW_E_NS1_11comp_targetILNS1_3genE10ELNS1_11target_archE1201ELNS1_3gpuE5ELNS1_3repE0EEENS1_30default_config_static_selectorELNS0_4arch9wavefront6targetE0EEEvT1_ ; -- Begin function _ZN7rocprim17ROCPRIM_400000_NS6detail17trampoline_kernelINS0_14default_configENS1_27scan_by_key_config_selectorIixEEZZNS1_16scan_by_key_implILNS1_25lookback_scan_determinismE0ELb1ES3_N6thrust23THRUST_200600_302600_NS6detail15normal_iteratorINS9_10device_ptrIiEEEENSB_INSC_IxEEEESG_xNS9_4plusIvEENS9_8equal_toIvEExEE10hipError_tPvRmT2_T3_T4_T5_mT6_T7_P12ihipStream_tbENKUlT_T0_E_clISt17integral_constantIbLb1EES10_IbLb0EEEEDaSW_SX_EUlSW_E_NS1_11comp_targetILNS1_3genE10ELNS1_11target_archE1201ELNS1_3gpuE5ELNS1_3repE0EEENS1_30default_config_static_selectorELNS0_4arch9wavefront6targetE0EEEvT1_
	.globl	_ZN7rocprim17ROCPRIM_400000_NS6detail17trampoline_kernelINS0_14default_configENS1_27scan_by_key_config_selectorIixEEZZNS1_16scan_by_key_implILNS1_25lookback_scan_determinismE0ELb1ES3_N6thrust23THRUST_200600_302600_NS6detail15normal_iteratorINS9_10device_ptrIiEEEENSB_INSC_IxEEEESG_xNS9_4plusIvEENS9_8equal_toIvEExEE10hipError_tPvRmT2_T3_T4_T5_mT6_T7_P12ihipStream_tbENKUlT_T0_E_clISt17integral_constantIbLb1EES10_IbLb0EEEEDaSW_SX_EUlSW_E_NS1_11comp_targetILNS1_3genE10ELNS1_11target_archE1201ELNS1_3gpuE5ELNS1_3repE0EEENS1_30default_config_static_selectorELNS0_4arch9wavefront6targetE0EEEvT1_
	.p2align	8
	.type	_ZN7rocprim17ROCPRIM_400000_NS6detail17trampoline_kernelINS0_14default_configENS1_27scan_by_key_config_selectorIixEEZZNS1_16scan_by_key_implILNS1_25lookback_scan_determinismE0ELb1ES3_N6thrust23THRUST_200600_302600_NS6detail15normal_iteratorINS9_10device_ptrIiEEEENSB_INSC_IxEEEESG_xNS9_4plusIvEENS9_8equal_toIvEExEE10hipError_tPvRmT2_T3_T4_T5_mT6_T7_P12ihipStream_tbENKUlT_T0_E_clISt17integral_constantIbLb1EES10_IbLb0EEEEDaSW_SX_EUlSW_E_NS1_11comp_targetILNS1_3genE10ELNS1_11target_archE1201ELNS1_3gpuE5ELNS1_3repE0EEENS1_30default_config_static_selectorELNS0_4arch9wavefront6targetE0EEEvT1_,@function
_ZN7rocprim17ROCPRIM_400000_NS6detail17trampoline_kernelINS0_14default_configENS1_27scan_by_key_config_selectorIixEEZZNS1_16scan_by_key_implILNS1_25lookback_scan_determinismE0ELb1ES3_N6thrust23THRUST_200600_302600_NS6detail15normal_iteratorINS9_10device_ptrIiEEEENSB_INSC_IxEEEESG_xNS9_4plusIvEENS9_8equal_toIvEExEE10hipError_tPvRmT2_T3_T4_T5_mT6_T7_P12ihipStream_tbENKUlT_T0_E_clISt17integral_constantIbLb1EES10_IbLb0EEEEDaSW_SX_EUlSW_E_NS1_11comp_targetILNS1_3genE10ELNS1_11target_archE1201ELNS1_3gpuE5ELNS1_3repE0EEENS1_30default_config_static_selectorELNS0_4arch9wavefront6targetE0EEEvT1_: ; @_ZN7rocprim17ROCPRIM_400000_NS6detail17trampoline_kernelINS0_14default_configENS1_27scan_by_key_config_selectorIixEEZZNS1_16scan_by_key_implILNS1_25lookback_scan_determinismE0ELb1ES3_N6thrust23THRUST_200600_302600_NS6detail15normal_iteratorINS9_10device_ptrIiEEEENSB_INSC_IxEEEESG_xNS9_4plusIvEENS9_8equal_toIvEExEE10hipError_tPvRmT2_T3_T4_T5_mT6_T7_P12ihipStream_tbENKUlT_T0_E_clISt17integral_constantIbLb1EES10_IbLb0EEEEDaSW_SX_EUlSW_E_NS1_11comp_targetILNS1_3genE10ELNS1_11target_archE1201ELNS1_3gpuE5ELNS1_3repE0EEENS1_30default_config_static_selectorELNS0_4arch9wavefront6targetE0EEEvT1_
; %bb.0:
	.section	.rodata,"a",@progbits
	.p2align	6, 0x0
	.amdhsa_kernel _ZN7rocprim17ROCPRIM_400000_NS6detail17trampoline_kernelINS0_14default_configENS1_27scan_by_key_config_selectorIixEEZZNS1_16scan_by_key_implILNS1_25lookback_scan_determinismE0ELb1ES3_N6thrust23THRUST_200600_302600_NS6detail15normal_iteratorINS9_10device_ptrIiEEEENSB_INSC_IxEEEESG_xNS9_4plusIvEENS9_8equal_toIvEExEE10hipError_tPvRmT2_T3_T4_T5_mT6_T7_P12ihipStream_tbENKUlT_T0_E_clISt17integral_constantIbLb1EES10_IbLb0EEEEDaSW_SX_EUlSW_E_NS1_11comp_targetILNS1_3genE10ELNS1_11target_archE1201ELNS1_3gpuE5ELNS1_3repE0EEENS1_30default_config_static_selectorELNS0_4arch9wavefront6targetE0EEEvT1_
		.amdhsa_group_segment_fixed_size 0
		.amdhsa_private_segment_fixed_size 0
		.amdhsa_kernarg_size 136
		.amdhsa_user_sgpr_count 6
		.amdhsa_user_sgpr_private_segment_buffer 1
		.amdhsa_user_sgpr_dispatch_ptr 0
		.amdhsa_user_sgpr_queue_ptr 0
		.amdhsa_user_sgpr_kernarg_segment_ptr 1
		.amdhsa_user_sgpr_dispatch_id 0
		.amdhsa_user_sgpr_flat_scratch_init 0
		.amdhsa_user_sgpr_private_segment_size 0
		.amdhsa_wavefront_size32 1
		.amdhsa_uses_dynamic_stack 0
		.amdhsa_system_sgpr_private_segment_wavefront_offset 0
		.amdhsa_system_sgpr_workgroup_id_x 1
		.amdhsa_system_sgpr_workgroup_id_y 0
		.amdhsa_system_sgpr_workgroup_id_z 0
		.amdhsa_system_sgpr_workgroup_info 0
		.amdhsa_system_vgpr_workitem_id 0
		.amdhsa_next_free_vgpr 1
		.amdhsa_next_free_sgpr 1
		.amdhsa_reserve_vcc 0
		.amdhsa_reserve_flat_scratch 0
		.amdhsa_float_round_mode_32 0
		.amdhsa_float_round_mode_16_64 0
		.amdhsa_float_denorm_mode_32 3
		.amdhsa_float_denorm_mode_16_64 3
		.amdhsa_dx10_clamp 1
		.amdhsa_ieee_mode 1
		.amdhsa_fp16_overflow 0
		.amdhsa_workgroup_processor_mode 1
		.amdhsa_memory_ordered 1
		.amdhsa_forward_progress 1
		.amdhsa_shared_vgpr_count 0
		.amdhsa_exception_fp_ieee_invalid_op 0
		.amdhsa_exception_fp_denorm_src 0
		.amdhsa_exception_fp_ieee_div_zero 0
		.amdhsa_exception_fp_ieee_overflow 0
		.amdhsa_exception_fp_ieee_underflow 0
		.amdhsa_exception_fp_ieee_inexact 0
		.amdhsa_exception_int_div_zero 0
	.end_amdhsa_kernel
	.section	.text._ZN7rocprim17ROCPRIM_400000_NS6detail17trampoline_kernelINS0_14default_configENS1_27scan_by_key_config_selectorIixEEZZNS1_16scan_by_key_implILNS1_25lookback_scan_determinismE0ELb1ES3_N6thrust23THRUST_200600_302600_NS6detail15normal_iteratorINS9_10device_ptrIiEEEENSB_INSC_IxEEEESG_xNS9_4plusIvEENS9_8equal_toIvEExEE10hipError_tPvRmT2_T3_T4_T5_mT6_T7_P12ihipStream_tbENKUlT_T0_E_clISt17integral_constantIbLb1EES10_IbLb0EEEEDaSW_SX_EUlSW_E_NS1_11comp_targetILNS1_3genE10ELNS1_11target_archE1201ELNS1_3gpuE5ELNS1_3repE0EEENS1_30default_config_static_selectorELNS0_4arch9wavefront6targetE0EEEvT1_,"axG",@progbits,_ZN7rocprim17ROCPRIM_400000_NS6detail17trampoline_kernelINS0_14default_configENS1_27scan_by_key_config_selectorIixEEZZNS1_16scan_by_key_implILNS1_25lookback_scan_determinismE0ELb1ES3_N6thrust23THRUST_200600_302600_NS6detail15normal_iteratorINS9_10device_ptrIiEEEENSB_INSC_IxEEEESG_xNS9_4plusIvEENS9_8equal_toIvEExEE10hipError_tPvRmT2_T3_T4_T5_mT6_T7_P12ihipStream_tbENKUlT_T0_E_clISt17integral_constantIbLb1EES10_IbLb0EEEEDaSW_SX_EUlSW_E_NS1_11comp_targetILNS1_3genE10ELNS1_11target_archE1201ELNS1_3gpuE5ELNS1_3repE0EEENS1_30default_config_static_selectorELNS0_4arch9wavefront6targetE0EEEvT1_,comdat
.Lfunc_end1590:
	.size	_ZN7rocprim17ROCPRIM_400000_NS6detail17trampoline_kernelINS0_14default_configENS1_27scan_by_key_config_selectorIixEEZZNS1_16scan_by_key_implILNS1_25lookback_scan_determinismE0ELb1ES3_N6thrust23THRUST_200600_302600_NS6detail15normal_iteratorINS9_10device_ptrIiEEEENSB_INSC_IxEEEESG_xNS9_4plusIvEENS9_8equal_toIvEExEE10hipError_tPvRmT2_T3_T4_T5_mT6_T7_P12ihipStream_tbENKUlT_T0_E_clISt17integral_constantIbLb1EES10_IbLb0EEEEDaSW_SX_EUlSW_E_NS1_11comp_targetILNS1_3genE10ELNS1_11target_archE1201ELNS1_3gpuE5ELNS1_3repE0EEENS1_30default_config_static_selectorELNS0_4arch9wavefront6targetE0EEEvT1_, .Lfunc_end1590-_ZN7rocprim17ROCPRIM_400000_NS6detail17trampoline_kernelINS0_14default_configENS1_27scan_by_key_config_selectorIixEEZZNS1_16scan_by_key_implILNS1_25lookback_scan_determinismE0ELb1ES3_N6thrust23THRUST_200600_302600_NS6detail15normal_iteratorINS9_10device_ptrIiEEEENSB_INSC_IxEEEESG_xNS9_4plusIvEENS9_8equal_toIvEExEE10hipError_tPvRmT2_T3_T4_T5_mT6_T7_P12ihipStream_tbENKUlT_T0_E_clISt17integral_constantIbLb1EES10_IbLb0EEEEDaSW_SX_EUlSW_E_NS1_11comp_targetILNS1_3genE10ELNS1_11target_archE1201ELNS1_3gpuE5ELNS1_3repE0EEENS1_30default_config_static_selectorELNS0_4arch9wavefront6targetE0EEEvT1_
                                        ; -- End function
	.set _ZN7rocprim17ROCPRIM_400000_NS6detail17trampoline_kernelINS0_14default_configENS1_27scan_by_key_config_selectorIixEEZZNS1_16scan_by_key_implILNS1_25lookback_scan_determinismE0ELb1ES3_N6thrust23THRUST_200600_302600_NS6detail15normal_iteratorINS9_10device_ptrIiEEEENSB_INSC_IxEEEESG_xNS9_4plusIvEENS9_8equal_toIvEExEE10hipError_tPvRmT2_T3_T4_T5_mT6_T7_P12ihipStream_tbENKUlT_T0_E_clISt17integral_constantIbLb1EES10_IbLb0EEEEDaSW_SX_EUlSW_E_NS1_11comp_targetILNS1_3genE10ELNS1_11target_archE1201ELNS1_3gpuE5ELNS1_3repE0EEENS1_30default_config_static_selectorELNS0_4arch9wavefront6targetE0EEEvT1_.num_vgpr, 0
	.set _ZN7rocprim17ROCPRIM_400000_NS6detail17trampoline_kernelINS0_14default_configENS1_27scan_by_key_config_selectorIixEEZZNS1_16scan_by_key_implILNS1_25lookback_scan_determinismE0ELb1ES3_N6thrust23THRUST_200600_302600_NS6detail15normal_iteratorINS9_10device_ptrIiEEEENSB_INSC_IxEEEESG_xNS9_4plusIvEENS9_8equal_toIvEExEE10hipError_tPvRmT2_T3_T4_T5_mT6_T7_P12ihipStream_tbENKUlT_T0_E_clISt17integral_constantIbLb1EES10_IbLb0EEEEDaSW_SX_EUlSW_E_NS1_11comp_targetILNS1_3genE10ELNS1_11target_archE1201ELNS1_3gpuE5ELNS1_3repE0EEENS1_30default_config_static_selectorELNS0_4arch9wavefront6targetE0EEEvT1_.num_agpr, 0
	.set _ZN7rocprim17ROCPRIM_400000_NS6detail17trampoline_kernelINS0_14default_configENS1_27scan_by_key_config_selectorIixEEZZNS1_16scan_by_key_implILNS1_25lookback_scan_determinismE0ELb1ES3_N6thrust23THRUST_200600_302600_NS6detail15normal_iteratorINS9_10device_ptrIiEEEENSB_INSC_IxEEEESG_xNS9_4plusIvEENS9_8equal_toIvEExEE10hipError_tPvRmT2_T3_T4_T5_mT6_T7_P12ihipStream_tbENKUlT_T0_E_clISt17integral_constantIbLb1EES10_IbLb0EEEEDaSW_SX_EUlSW_E_NS1_11comp_targetILNS1_3genE10ELNS1_11target_archE1201ELNS1_3gpuE5ELNS1_3repE0EEENS1_30default_config_static_selectorELNS0_4arch9wavefront6targetE0EEEvT1_.numbered_sgpr, 0
	.set _ZN7rocprim17ROCPRIM_400000_NS6detail17trampoline_kernelINS0_14default_configENS1_27scan_by_key_config_selectorIixEEZZNS1_16scan_by_key_implILNS1_25lookback_scan_determinismE0ELb1ES3_N6thrust23THRUST_200600_302600_NS6detail15normal_iteratorINS9_10device_ptrIiEEEENSB_INSC_IxEEEESG_xNS9_4plusIvEENS9_8equal_toIvEExEE10hipError_tPvRmT2_T3_T4_T5_mT6_T7_P12ihipStream_tbENKUlT_T0_E_clISt17integral_constantIbLb1EES10_IbLb0EEEEDaSW_SX_EUlSW_E_NS1_11comp_targetILNS1_3genE10ELNS1_11target_archE1201ELNS1_3gpuE5ELNS1_3repE0EEENS1_30default_config_static_selectorELNS0_4arch9wavefront6targetE0EEEvT1_.num_named_barrier, 0
	.set _ZN7rocprim17ROCPRIM_400000_NS6detail17trampoline_kernelINS0_14default_configENS1_27scan_by_key_config_selectorIixEEZZNS1_16scan_by_key_implILNS1_25lookback_scan_determinismE0ELb1ES3_N6thrust23THRUST_200600_302600_NS6detail15normal_iteratorINS9_10device_ptrIiEEEENSB_INSC_IxEEEESG_xNS9_4plusIvEENS9_8equal_toIvEExEE10hipError_tPvRmT2_T3_T4_T5_mT6_T7_P12ihipStream_tbENKUlT_T0_E_clISt17integral_constantIbLb1EES10_IbLb0EEEEDaSW_SX_EUlSW_E_NS1_11comp_targetILNS1_3genE10ELNS1_11target_archE1201ELNS1_3gpuE5ELNS1_3repE0EEENS1_30default_config_static_selectorELNS0_4arch9wavefront6targetE0EEEvT1_.private_seg_size, 0
	.set _ZN7rocprim17ROCPRIM_400000_NS6detail17trampoline_kernelINS0_14default_configENS1_27scan_by_key_config_selectorIixEEZZNS1_16scan_by_key_implILNS1_25lookback_scan_determinismE0ELb1ES3_N6thrust23THRUST_200600_302600_NS6detail15normal_iteratorINS9_10device_ptrIiEEEENSB_INSC_IxEEEESG_xNS9_4plusIvEENS9_8equal_toIvEExEE10hipError_tPvRmT2_T3_T4_T5_mT6_T7_P12ihipStream_tbENKUlT_T0_E_clISt17integral_constantIbLb1EES10_IbLb0EEEEDaSW_SX_EUlSW_E_NS1_11comp_targetILNS1_3genE10ELNS1_11target_archE1201ELNS1_3gpuE5ELNS1_3repE0EEENS1_30default_config_static_selectorELNS0_4arch9wavefront6targetE0EEEvT1_.uses_vcc, 0
	.set _ZN7rocprim17ROCPRIM_400000_NS6detail17trampoline_kernelINS0_14default_configENS1_27scan_by_key_config_selectorIixEEZZNS1_16scan_by_key_implILNS1_25lookback_scan_determinismE0ELb1ES3_N6thrust23THRUST_200600_302600_NS6detail15normal_iteratorINS9_10device_ptrIiEEEENSB_INSC_IxEEEESG_xNS9_4plusIvEENS9_8equal_toIvEExEE10hipError_tPvRmT2_T3_T4_T5_mT6_T7_P12ihipStream_tbENKUlT_T0_E_clISt17integral_constantIbLb1EES10_IbLb0EEEEDaSW_SX_EUlSW_E_NS1_11comp_targetILNS1_3genE10ELNS1_11target_archE1201ELNS1_3gpuE5ELNS1_3repE0EEENS1_30default_config_static_selectorELNS0_4arch9wavefront6targetE0EEEvT1_.uses_flat_scratch, 0
	.set _ZN7rocprim17ROCPRIM_400000_NS6detail17trampoline_kernelINS0_14default_configENS1_27scan_by_key_config_selectorIixEEZZNS1_16scan_by_key_implILNS1_25lookback_scan_determinismE0ELb1ES3_N6thrust23THRUST_200600_302600_NS6detail15normal_iteratorINS9_10device_ptrIiEEEENSB_INSC_IxEEEESG_xNS9_4plusIvEENS9_8equal_toIvEExEE10hipError_tPvRmT2_T3_T4_T5_mT6_T7_P12ihipStream_tbENKUlT_T0_E_clISt17integral_constantIbLb1EES10_IbLb0EEEEDaSW_SX_EUlSW_E_NS1_11comp_targetILNS1_3genE10ELNS1_11target_archE1201ELNS1_3gpuE5ELNS1_3repE0EEENS1_30default_config_static_selectorELNS0_4arch9wavefront6targetE0EEEvT1_.has_dyn_sized_stack, 0
	.set _ZN7rocprim17ROCPRIM_400000_NS6detail17trampoline_kernelINS0_14default_configENS1_27scan_by_key_config_selectorIixEEZZNS1_16scan_by_key_implILNS1_25lookback_scan_determinismE0ELb1ES3_N6thrust23THRUST_200600_302600_NS6detail15normal_iteratorINS9_10device_ptrIiEEEENSB_INSC_IxEEEESG_xNS9_4plusIvEENS9_8equal_toIvEExEE10hipError_tPvRmT2_T3_T4_T5_mT6_T7_P12ihipStream_tbENKUlT_T0_E_clISt17integral_constantIbLb1EES10_IbLb0EEEEDaSW_SX_EUlSW_E_NS1_11comp_targetILNS1_3genE10ELNS1_11target_archE1201ELNS1_3gpuE5ELNS1_3repE0EEENS1_30default_config_static_selectorELNS0_4arch9wavefront6targetE0EEEvT1_.has_recursion, 0
	.set _ZN7rocprim17ROCPRIM_400000_NS6detail17trampoline_kernelINS0_14default_configENS1_27scan_by_key_config_selectorIixEEZZNS1_16scan_by_key_implILNS1_25lookback_scan_determinismE0ELb1ES3_N6thrust23THRUST_200600_302600_NS6detail15normal_iteratorINS9_10device_ptrIiEEEENSB_INSC_IxEEEESG_xNS9_4plusIvEENS9_8equal_toIvEExEE10hipError_tPvRmT2_T3_T4_T5_mT6_T7_P12ihipStream_tbENKUlT_T0_E_clISt17integral_constantIbLb1EES10_IbLb0EEEEDaSW_SX_EUlSW_E_NS1_11comp_targetILNS1_3genE10ELNS1_11target_archE1201ELNS1_3gpuE5ELNS1_3repE0EEENS1_30default_config_static_selectorELNS0_4arch9wavefront6targetE0EEEvT1_.has_indirect_call, 0
	.section	.AMDGPU.csdata,"",@progbits
; Kernel info:
; codeLenInByte = 0
; TotalNumSgprs: 0
; NumVgprs: 0
; ScratchSize: 0
; MemoryBound: 0
; FloatMode: 240
; IeeeMode: 1
; LDSByteSize: 0 bytes/workgroup (compile time only)
; SGPRBlocks: 0
; VGPRBlocks: 0
; NumSGPRsForWavesPerEU: 1
; NumVGPRsForWavesPerEU: 1
; Occupancy: 16
; WaveLimiterHint : 0
; COMPUTE_PGM_RSRC2:SCRATCH_EN: 0
; COMPUTE_PGM_RSRC2:USER_SGPR: 6
; COMPUTE_PGM_RSRC2:TRAP_HANDLER: 0
; COMPUTE_PGM_RSRC2:TGID_X_EN: 1
; COMPUTE_PGM_RSRC2:TGID_Y_EN: 0
; COMPUTE_PGM_RSRC2:TGID_Z_EN: 0
; COMPUTE_PGM_RSRC2:TIDIG_COMP_CNT: 0
	.section	.text._ZN7rocprim17ROCPRIM_400000_NS6detail17trampoline_kernelINS0_14default_configENS1_27scan_by_key_config_selectorIixEEZZNS1_16scan_by_key_implILNS1_25lookback_scan_determinismE0ELb1ES3_N6thrust23THRUST_200600_302600_NS6detail15normal_iteratorINS9_10device_ptrIiEEEENSB_INSC_IxEEEESG_xNS9_4plusIvEENS9_8equal_toIvEExEE10hipError_tPvRmT2_T3_T4_T5_mT6_T7_P12ihipStream_tbENKUlT_T0_E_clISt17integral_constantIbLb1EES10_IbLb0EEEEDaSW_SX_EUlSW_E_NS1_11comp_targetILNS1_3genE5ELNS1_11target_archE942ELNS1_3gpuE9ELNS1_3repE0EEENS1_30default_config_static_selectorELNS0_4arch9wavefront6targetE0EEEvT1_,"axG",@progbits,_ZN7rocprim17ROCPRIM_400000_NS6detail17trampoline_kernelINS0_14default_configENS1_27scan_by_key_config_selectorIixEEZZNS1_16scan_by_key_implILNS1_25lookback_scan_determinismE0ELb1ES3_N6thrust23THRUST_200600_302600_NS6detail15normal_iteratorINS9_10device_ptrIiEEEENSB_INSC_IxEEEESG_xNS9_4plusIvEENS9_8equal_toIvEExEE10hipError_tPvRmT2_T3_T4_T5_mT6_T7_P12ihipStream_tbENKUlT_T0_E_clISt17integral_constantIbLb1EES10_IbLb0EEEEDaSW_SX_EUlSW_E_NS1_11comp_targetILNS1_3genE5ELNS1_11target_archE942ELNS1_3gpuE9ELNS1_3repE0EEENS1_30default_config_static_selectorELNS0_4arch9wavefront6targetE0EEEvT1_,comdat
	.protected	_ZN7rocprim17ROCPRIM_400000_NS6detail17trampoline_kernelINS0_14default_configENS1_27scan_by_key_config_selectorIixEEZZNS1_16scan_by_key_implILNS1_25lookback_scan_determinismE0ELb1ES3_N6thrust23THRUST_200600_302600_NS6detail15normal_iteratorINS9_10device_ptrIiEEEENSB_INSC_IxEEEESG_xNS9_4plusIvEENS9_8equal_toIvEExEE10hipError_tPvRmT2_T3_T4_T5_mT6_T7_P12ihipStream_tbENKUlT_T0_E_clISt17integral_constantIbLb1EES10_IbLb0EEEEDaSW_SX_EUlSW_E_NS1_11comp_targetILNS1_3genE5ELNS1_11target_archE942ELNS1_3gpuE9ELNS1_3repE0EEENS1_30default_config_static_selectorELNS0_4arch9wavefront6targetE0EEEvT1_ ; -- Begin function _ZN7rocprim17ROCPRIM_400000_NS6detail17trampoline_kernelINS0_14default_configENS1_27scan_by_key_config_selectorIixEEZZNS1_16scan_by_key_implILNS1_25lookback_scan_determinismE0ELb1ES3_N6thrust23THRUST_200600_302600_NS6detail15normal_iteratorINS9_10device_ptrIiEEEENSB_INSC_IxEEEESG_xNS9_4plusIvEENS9_8equal_toIvEExEE10hipError_tPvRmT2_T3_T4_T5_mT6_T7_P12ihipStream_tbENKUlT_T0_E_clISt17integral_constantIbLb1EES10_IbLb0EEEEDaSW_SX_EUlSW_E_NS1_11comp_targetILNS1_3genE5ELNS1_11target_archE942ELNS1_3gpuE9ELNS1_3repE0EEENS1_30default_config_static_selectorELNS0_4arch9wavefront6targetE0EEEvT1_
	.globl	_ZN7rocprim17ROCPRIM_400000_NS6detail17trampoline_kernelINS0_14default_configENS1_27scan_by_key_config_selectorIixEEZZNS1_16scan_by_key_implILNS1_25lookback_scan_determinismE0ELb1ES3_N6thrust23THRUST_200600_302600_NS6detail15normal_iteratorINS9_10device_ptrIiEEEENSB_INSC_IxEEEESG_xNS9_4plusIvEENS9_8equal_toIvEExEE10hipError_tPvRmT2_T3_T4_T5_mT6_T7_P12ihipStream_tbENKUlT_T0_E_clISt17integral_constantIbLb1EES10_IbLb0EEEEDaSW_SX_EUlSW_E_NS1_11comp_targetILNS1_3genE5ELNS1_11target_archE942ELNS1_3gpuE9ELNS1_3repE0EEENS1_30default_config_static_selectorELNS0_4arch9wavefront6targetE0EEEvT1_
	.p2align	8
	.type	_ZN7rocprim17ROCPRIM_400000_NS6detail17trampoline_kernelINS0_14default_configENS1_27scan_by_key_config_selectorIixEEZZNS1_16scan_by_key_implILNS1_25lookback_scan_determinismE0ELb1ES3_N6thrust23THRUST_200600_302600_NS6detail15normal_iteratorINS9_10device_ptrIiEEEENSB_INSC_IxEEEESG_xNS9_4plusIvEENS9_8equal_toIvEExEE10hipError_tPvRmT2_T3_T4_T5_mT6_T7_P12ihipStream_tbENKUlT_T0_E_clISt17integral_constantIbLb1EES10_IbLb0EEEEDaSW_SX_EUlSW_E_NS1_11comp_targetILNS1_3genE5ELNS1_11target_archE942ELNS1_3gpuE9ELNS1_3repE0EEENS1_30default_config_static_selectorELNS0_4arch9wavefront6targetE0EEEvT1_,@function
_ZN7rocprim17ROCPRIM_400000_NS6detail17trampoline_kernelINS0_14default_configENS1_27scan_by_key_config_selectorIixEEZZNS1_16scan_by_key_implILNS1_25lookback_scan_determinismE0ELb1ES3_N6thrust23THRUST_200600_302600_NS6detail15normal_iteratorINS9_10device_ptrIiEEEENSB_INSC_IxEEEESG_xNS9_4plusIvEENS9_8equal_toIvEExEE10hipError_tPvRmT2_T3_T4_T5_mT6_T7_P12ihipStream_tbENKUlT_T0_E_clISt17integral_constantIbLb1EES10_IbLb0EEEEDaSW_SX_EUlSW_E_NS1_11comp_targetILNS1_3genE5ELNS1_11target_archE942ELNS1_3gpuE9ELNS1_3repE0EEENS1_30default_config_static_selectorELNS0_4arch9wavefront6targetE0EEEvT1_: ; @_ZN7rocprim17ROCPRIM_400000_NS6detail17trampoline_kernelINS0_14default_configENS1_27scan_by_key_config_selectorIixEEZZNS1_16scan_by_key_implILNS1_25lookback_scan_determinismE0ELb1ES3_N6thrust23THRUST_200600_302600_NS6detail15normal_iteratorINS9_10device_ptrIiEEEENSB_INSC_IxEEEESG_xNS9_4plusIvEENS9_8equal_toIvEExEE10hipError_tPvRmT2_T3_T4_T5_mT6_T7_P12ihipStream_tbENKUlT_T0_E_clISt17integral_constantIbLb1EES10_IbLb0EEEEDaSW_SX_EUlSW_E_NS1_11comp_targetILNS1_3genE5ELNS1_11target_archE942ELNS1_3gpuE9ELNS1_3repE0EEENS1_30default_config_static_selectorELNS0_4arch9wavefront6targetE0EEEvT1_
; %bb.0:
	.section	.rodata,"a",@progbits
	.p2align	6, 0x0
	.amdhsa_kernel _ZN7rocprim17ROCPRIM_400000_NS6detail17trampoline_kernelINS0_14default_configENS1_27scan_by_key_config_selectorIixEEZZNS1_16scan_by_key_implILNS1_25lookback_scan_determinismE0ELb1ES3_N6thrust23THRUST_200600_302600_NS6detail15normal_iteratorINS9_10device_ptrIiEEEENSB_INSC_IxEEEESG_xNS9_4plusIvEENS9_8equal_toIvEExEE10hipError_tPvRmT2_T3_T4_T5_mT6_T7_P12ihipStream_tbENKUlT_T0_E_clISt17integral_constantIbLb1EES10_IbLb0EEEEDaSW_SX_EUlSW_E_NS1_11comp_targetILNS1_3genE5ELNS1_11target_archE942ELNS1_3gpuE9ELNS1_3repE0EEENS1_30default_config_static_selectorELNS0_4arch9wavefront6targetE0EEEvT1_
		.amdhsa_group_segment_fixed_size 0
		.amdhsa_private_segment_fixed_size 0
		.amdhsa_kernarg_size 136
		.amdhsa_user_sgpr_count 6
		.amdhsa_user_sgpr_private_segment_buffer 1
		.amdhsa_user_sgpr_dispatch_ptr 0
		.amdhsa_user_sgpr_queue_ptr 0
		.amdhsa_user_sgpr_kernarg_segment_ptr 1
		.amdhsa_user_sgpr_dispatch_id 0
		.amdhsa_user_sgpr_flat_scratch_init 0
		.amdhsa_user_sgpr_private_segment_size 0
		.amdhsa_wavefront_size32 1
		.amdhsa_uses_dynamic_stack 0
		.amdhsa_system_sgpr_private_segment_wavefront_offset 0
		.amdhsa_system_sgpr_workgroup_id_x 1
		.amdhsa_system_sgpr_workgroup_id_y 0
		.amdhsa_system_sgpr_workgroup_id_z 0
		.amdhsa_system_sgpr_workgroup_info 0
		.amdhsa_system_vgpr_workitem_id 0
		.amdhsa_next_free_vgpr 1
		.amdhsa_next_free_sgpr 1
		.amdhsa_reserve_vcc 0
		.amdhsa_reserve_flat_scratch 0
		.amdhsa_float_round_mode_32 0
		.amdhsa_float_round_mode_16_64 0
		.amdhsa_float_denorm_mode_32 3
		.amdhsa_float_denorm_mode_16_64 3
		.amdhsa_dx10_clamp 1
		.amdhsa_ieee_mode 1
		.amdhsa_fp16_overflow 0
		.amdhsa_workgroup_processor_mode 1
		.amdhsa_memory_ordered 1
		.amdhsa_forward_progress 1
		.amdhsa_shared_vgpr_count 0
		.amdhsa_exception_fp_ieee_invalid_op 0
		.amdhsa_exception_fp_denorm_src 0
		.amdhsa_exception_fp_ieee_div_zero 0
		.amdhsa_exception_fp_ieee_overflow 0
		.amdhsa_exception_fp_ieee_underflow 0
		.amdhsa_exception_fp_ieee_inexact 0
		.amdhsa_exception_int_div_zero 0
	.end_amdhsa_kernel
	.section	.text._ZN7rocprim17ROCPRIM_400000_NS6detail17trampoline_kernelINS0_14default_configENS1_27scan_by_key_config_selectorIixEEZZNS1_16scan_by_key_implILNS1_25lookback_scan_determinismE0ELb1ES3_N6thrust23THRUST_200600_302600_NS6detail15normal_iteratorINS9_10device_ptrIiEEEENSB_INSC_IxEEEESG_xNS9_4plusIvEENS9_8equal_toIvEExEE10hipError_tPvRmT2_T3_T4_T5_mT6_T7_P12ihipStream_tbENKUlT_T0_E_clISt17integral_constantIbLb1EES10_IbLb0EEEEDaSW_SX_EUlSW_E_NS1_11comp_targetILNS1_3genE5ELNS1_11target_archE942ELNS1_3gpuE9ELNS1_3repE0EEENS1_30default_config_static_selectorELNS0_4arch9wavefront6targetE0EEEvT1_,"axG",@progbits,_ZN7rocprim17ROCPRIM_400000_NS6detail17trampoline_kernelINS0_14default_configENS1_27scan_by_key_config_selectorIixEEZZNS1_16scan_by_key_implILNS1_25lookback_scan_determinismE0ELb1ES3_N6thrust23THRUST_200600_302600_NS6detail15normal_iteratorINS9_10device_ptrIiEEEENSB_INSC_IxEEEESG_xNS9_4plusIvEENS9_8equal_toIvEExEE10hipError_tPvRmT2_T3_T4_T5_mT6_T7_P12ihipStream_tbENKUlT_T0_E_clISt17integral_constantIbLb1EES10_IbLb0EEEEDaSW_SX_EUlSW_E_NS1_11comp_targetILNS1_3genE5ELNS1_11target_archE942ELNS1_3gpuE9ELNS1_3repE0EEENS1_30default_config_static_selectorELNS0_4arch9wavefront6targetE0EEEvT1_,comdat
.Lfunc_end1591:
	.size	_ZN7rocprim17ROCPRIM_400000_NS6detail17trampoline_kernelINS0_14default_configENS1_27scan_by_key_config_selectorIixEEZZNS1_16scan_by_key_implILNS1_25lookback_scan_determinismE0ELb1ES3_N6thrust23THRUST_200600_302600_NS6detail15normal_iteratorINS9_10device_ptrIiEEEENSB_INSC_IxEEEESG_xNS9_4plusIvEENS9_8equal_toIvEExEE10hipError_tPvRmT2_T3_T4_T5_mT6_T7_P12ihipStream_tbENKUlT_T0_E_clISt17integral_constantIbLb1EES10_IbLb0EEEEDaSW_SX_EUlSW_E_NS1_11comp_targetILNS1_3genE5ELNS1_11target_archE942ELNS1_3gpuE9ELNS1_3repE0EEENS1_30default_config_static_selectorELNS0_4arch9wavefront6targetE0EEEvT1_, .Lfunc_end1591-_ZN7rocprim17ROCPRIM_400000_NS6detail17trampoline_kernelINS0_14default_configENS1_27scan_by_key_config_selectorIixEEZZNS1_16scan_by_key_implILNS1_25lookback_scan_determinismE0ELb1ES3_N6thrust23THRUST_200600_302600_NS6detail15normal_iteratorINS9_10device_ptrIiEEEENSB_INSC_IxEEEESG_xNS9_4plusIvEENS9_8equal_toIvEExEE10hipError_tPvRmT2_T3_T4_T5_mT6_T7_P12ihipStream_tbENKUlT_T0_E_clISt17integral_constantIbLb1EES10_IbLb0EEEEDaSW_SX_EUlSW_E_NS1_11comp_targetILNS1_3genE5ELNS1_11target_archE942ELNS1_3gpuE9ELNS1_3repE0EEENS1_30default_config_static_selectorELNS0_4arch9wavefront6targetE0EEEvT1_
                                        ; -- End function
	.set _ZN7rocprim17ROCPRIM_400000_NS6detail17trampoline_kernelINS0_14default_configENS1_27scan_by_key_config_selectorIixEEZZNS1_16scan_by_key_implILNS1_25lookback_scan_determinismE0ELb1ES3_N6thrust23THRUST_200600_302600_NS6detail15normal_iteratorINS9_10device_ptrIiEEEENSB_INSC_IxEEEESG_xNS9_4plusIvEENS9_8equal_toIvEExEE10hipError_tPvRmT2_T3_T4_T5_mT6_T7_P12ihipStream_tbENKUlT_T0_E_clISt17integral_constantIbLb1EES10_IbLb0EEEEDaSW_SX_EUlSW_E_NS1_11comp_targetILNS1_3genE5ELNS1_11target_archE942ELNS1_3gpuE9ELNS1_3repE0EEENS1_30default_config_static_selectorELNS0_4arch9wavefront6targetE0EEEvT1_.num_vgpr, 0
	.set _ZN7rocprim17ROCPRIM_400000_NS6detail17trampoline_kernelINS0_14default_configENS1_27scan_by_key_config_selectorIixEEZZNS1_16scan_by_key_implILNS1_25lookback_scan_determinismE0ELb1ES3_N6thrust23THRUST_200600_302600_NS6detail15normal_iteratorINS9_10device_ptrIiEEEENSB_INSC_IxEEEESG_xNS9_4plusIvEENS9_8equal_toIvEExEE10hipError_tPvRmT2_T3_T4_T5_mT6_T7_P12ihipStream_tbENKUlT_T0_E_clISt17integral_constantIbLb1EES10_IbLb0EEEEDaSW_SX_EUlSW_E_NS1_11comp_targetILNS1_3genE5ELNS1_11target_archE942ELNS1_3gpuE9ELNS1_3repE0EEENS1_30default_config_static_selectorELNS0_4arch9wavefront6targetE0EEEvT1_.num_agpr, 0
	.set _ZN7rocprim17ROCPRIM_400000_NS6detail17trampoline_kernelINS0_14default_configENS1_27scan_by_key_config_selectorIixEEZZNS1_16scan_by_key_implILNS1_25lookback_scan_determinismE0ELb1ES3_N6thrust23THRUST_200600_302600_NS6detail15normal_iteratorINS9_10device_ptrIiEEEENSB_INSC_IxEEEESG_xNS9_4plusIvEENS9_8equal_toIvEExEE10hipError_tPvRmT2_T3_T4_T5_mT6_T7_P12ihipStream_tbENKUlT_T0_E_clISt17integral_constantIbLb1EES10_IbLb0EEEEDaSW_SX_EUlSW_E_NS1_11comp_targetILNS1_3genE5ELNS1_11target_archE942ELNS1_3gpuE9ELNS1_3repE0EEENS1_30default_config_static_selectorELNS0_4arch9wavefront6targetE0EEEvT1_.numbered_sgpr, 0
	.set _ZN7rocprim17ROCPRIM_400000_NS6detail17trampoline_kernelINS0_14default_configENS1_27scan_by_key_config_selectorIixEEZZNS1_16scan_by_key_implILNS1_25lookback_scan_determinismE0ELb1ES3_N6thrust23THRUST_200600_302600_NS6detail15normal_iteratorINS9_10device_ptrIiEEEENSB_INSC_IxEEEESG_xNS9_4plusIvEENS9_8equal_toIvEExEE10hipError_tPvRmT2_T3_T4_T5_mT6_T7_P12ihipStream_tbENKUlT_T0_E_clISt17integral_constantIbLb1EES10_IbLb0EEEEDaSW_SX_EUlSW_E_NS1_11comp_targetILNS1_3genE5ELNS1_11target_archE942ELNS1_3gpuE9ELNS1_3repE0EEENS1_30default_config_static_selectorELNS0_4arch9wavefront6targetE0EEEvT1_.num_named_barrier, 0
	.set _ZN7rocprim17ROCPRIM_400000_NS6detail17trampoline_kernelINS0_14default_configENS1_27scan_by_key_config_selectorIixEEZZNS1_16scan_by_key_implILNS1_25lookback_scan_determinismE0ELb1ES3_N6thrust23THRUST_200600_302600_NS6detail15normal_iteratorINS9_10device_ptrIiEEEENSB_INSC_IxEEEESG_xNS9_4plusIvEENS9_8equal_toIvEExEE10hipError_tPvRmT2_T3_T4_T5_mT6_T7_P12ihipStream_tbENKUlT_T0_E_clISt17integral_constantIbLb1EES10_IbLb0EEEEDaSW_SX_EUlSW_E_NS1_11comp_targetILNS1_3genE5ELNS1_11target_archE942ELNS1_3gpuE9ELNS1_3repE0EEENS1_30default_config_static_selectorELNS0_4arch9wavefront6targetE0EEEvT1_.private_seg_size, 0
	.set _ZN7rocprim17ROCPRIM_400000_NS6detail17trampoline_kernelINS0_14default_configENS1_27scan_by_key_config_selectorIixEEZZNS1_16scan_by_key_implILNS1_25lookback_scan_determinismE0ELb1ES3_N6thrust23THRUST_200600_302600_NS6detail15normal_iteratorINS9_10device_ptrIiEEEENSB_INSC_IxEEEESG_xNS9_4plusIvEENS9_8equal_toIvEExEE10hipError_tPvRmT2_T3_T4_T5_mT6_T7_P12ihipStream_tbENKUlT_T0_E_clISt17integral_constantIbLb1EES10_IbLb0EEEEDaSW_SX_EUlSW_E_NS1_11comp_targetILNS1_3genE5ELNS1_11target_archE942ELNS1_3gpuE9ELNS1_3repE0EEENS1_30default_config_static_selectorELNS0_4arch9wavefront6targetE0EEEvT1_.uses_vcc, 0
	.set _ZN7rocprim17ROCPRIM_400000_NS6detail17trampoline_kernelINS0_14default_configENS1_27scan_by_key_config_selectorIixEEZZNS1_16scan_by_key_implILNS1_25lookback_scan_determinismE0ELb1ES3_N6thrust23THRUST_200600_302600_NS6detail15normal_iteratorINS9_10device_ptrIiEEEENSB_INSC_IxEEEESG_xNS9_4plusIvEENS9_8equal_toIvEExEE10hipError_tPvRmT2_T3_T4_T5_mT6_T7_P12ihipStream_tbENKUlT_T0_E_clISt17integral_constantIbLb1EES10_IbLb0EEEEDaSW_SX_EUlSW_E_NS1_11comp_targetILNS1_3genE5ELNS1_11target_archE942ELNS1_3gpuE9ELNS1_3repE0EEENS1_30default_config_static_selectorELNS0_4arch9wavefront6targetE0EEEvT1_.uses_flat_scratch, 0
	.set _ZN7rocprim17ROCPRIM_400000_NS6detail17trampoline_kernelINS0_14default_configENS1_27scan_by_key_config_selectorIixEEZZNS1_16scan_by_key_implILNS1_25lookback_scan_determinismE0ELb1ES3_N6thrust23THRUST_200600_302600_NS6detail15normal_iteratorINS9_10device_ptrIiEEEENSB_INSC_IxEEEESG_xNS9_4plusIvEENS9_8equal_toIvEExEE10hipError_tPvRmT2_T3_T4_T5_mT6_T7_P12ihipStream_tbENKUlT_T0_E_clISt17integral_constantIbLb1EES10_IbLb0EEEEDaSW_SX_EUlSW_E_NS1_11comp_targetILNS1_3genE5ELNS1_11target_archE942ELNS1_3gpuE9ELNS1_3repE0EEENS1_30default_config_static_selectorELNS0_4arch9wavefront6targetE0EEEvT1_.has_dyn_sized_stack, 0
	.set _ZN7rocprim17ROCPRIM_400000_NS6detail17trampoline_kernelINS0_14default_configENS1_27scan_by_key_config_selectorIixEEZZNS1_16scan_by_key_implILNS1_25lookback_scan_determinismE0ELb1ES3_N6thrust23THRUST_200600_302600_NS6detail15normal_iteratorINS9_10device_ptrIiEEEENSB_INSC_IxEEEESG_xNS9_4plusIvEENS9_8equal_toIvEExEE10hipError_tPvRmT2_T3_T4_T5_mT6_T7_P12ihipStream_tbENKUlT_T0_E_clISt17integral_constantIbLb1EES10_IbLb0EEEEDaSW_SX_EUlSW_E_NS1_11comp_targetILNS1_3genE5ELNS1_11target_archE942ELNS1_3gpuE9ELNS1_3repE0EEENS1_30default_config_static_selectorELNS0_4arch9wavefront6targetE0EEEvT1_.has_recursion, 0
	.set _ZN7rocprim17ROCPRIM_400000_NS6detail17trampoline_kernelINS0_14default_configENS1_27scan_by_key_config_selectorIixEEZZNS1_16scan_by_key_implILNS1_25lookback_scan_determinismE0ELb1ES3_N6thrust23THRUST_200600_302600_NS6detail15normal_iteratorINS9_10device_ptrIiEEEENSB_INSC_IxEEEESG_xNS9_4plusIvEENS9_8equal_toIvEExEE10hipError_tPvRmT2_T3_T4_T5_mT6_T7_P12ihipStream_tbENKUlT_T0_E_clISt17integral_constantIbLb1EES10_IbLb0EEEEDaSW_SX_EUlSW_E_NS1_11comp_targetILNS1_3genE5ELNS1_11target_archE942ELNS1_3gpuE9ELNS1_3repE0EEENS1_30default_config_static_selectorELNS0_4arch9wavefront6targetE0EEEvT1_.has_indirect_call, 0
	.section	.AMDGPU.csdata,"",@progbits
; Kernel info:
; codeLenInByte = 0
; TotalNumSgprs: 0
; NumVgprs: 0
; ScratchSize: 0
; MemoryBound: 0
; FloatMode: 240
; IeeeMode: 1
; LDSByteSize: 0 bytes/workgroup (compile time only)
; SGPRBlocks: 0
; VGPRBlocks: 0
; NumSGPRsForWavesPerEU: 1
; NumVGPRsForWavesPerEU: 1
; Occupancy: 16
; WaveLimiterHint : 0
; COMPUTE_PGM_RSRC2:SCRATCH_EN: 0
; COMPUTE_PGM_RSRC2:USER_SGPR: 6
; COMPUTE_PGM_RSRC2:TRAP_HANDLER: 0
; COMPUTE_PGM_RSRC2:TGID_X_EN: 1
; COMPUTE_PGM_RSRC2:TGID_Y_EN: 0
; COMPUTE_PGM_RSRC2:TGID_Z_EN: 0
; COMPUTE_PGM_RSRC2:TIDIG_COMP_CNT: 0
	.section	.text._ZN7rocprim17ROCPRIM_400000_NS6detail17trampoline_kernelINS0_14default_configENS1_27scan_by_key_config_selectorIixEEZZNS1_16scan_by_key_implILNS1_25lookback_scan_determinismE0ELb1ES3_N6thrust23THRUST_200600_302600_NS6detail15normal_iteratorINS9_10device_ptrIiEEEENSB_INSC_IxEEEESG_xNS9_4plusIvEENS9_8equal_toIvEExEE10hipError_tPvRmT2_T3_T4_T5_mT6_T7_P12ihipStream_tbENKUlT_T0_E_clISt17integral_constantIbLb1EES10_IbLb0EEEEDaSW_SX_EUlSW_E_NS1_11comp_targetILNS1_3genE4ELNS1_11target_archE910ELNS1_3gpuE8ELNS1_3repE0EEENS1_30default_config_static_selectorELNS0_4arch9wavefront6targetE0EEEvT1_,"axG",@progbits,_ZN7rocprim17ROCPRIM_400000_NS6detail17trampoline_kernelINS0_14default_configENS1_27scan_by_key_config_selectorIixEEZZNS1_16scan_by_key_implILNS1_25lookback_scan_determinismE0ELb1ES3_N6thrust23THRUST_200600_302600_NS6detail15normal_iteratorINS9_10device_ptrIiEEEENSB_INSC_IxEEEESG_xNS9_4plusIvEENS9_8equal_toIvEExEE10hipError_tPvRmT2_T3_T4_T5_mT6_T7_P12ihipStream_tbENKUlT_T0_E_clISt17integral_constantIbLb1EES10_IbLb0EEEEDaSW_SX_EUlSW_E_NS1_11comp_targetILNS1_3genE4ELNS1_11target_archE910ELNS1_3gpuE8ELNS1_3repE0EEENS1_30default_config_static_selectorELNS0_4arch9wavefront6targetE0EEEvT1_,comdat
	.protected	_ZN7rocprim17ROCPRIM_400000_NS6detail17trampoline_kernelINS0_14default_configENS1_27scan_by_key_config_selectorIixEEZZNS1_16scan_by_key_implILNS1_25lookback_scan_determinismE0ELb1ES3_N6thrust23THRUST_200600_302600_NS6detail15normal_iteratorINS9_10device_ptrIiEEEENSB_INSC_IxEEEESG_xNS9_4plusIvEENS9_8equal_toIvEExEE10hipError_tPvRmT2_T3_T4_T5_mT6_T7_P12ihipStream_tbENKUlT_T0_E_clISt17integral_constantIbLb1EES10_IbLb0EEEEDaSW_SX_EUlSW_E_NS1_11comp_targetILNS1_3genE4ELNS1_11target_archE910ELNS1_3gpuE8ELNS1_3repE0EEENS1_30default_config_static_selectorELNS0_4arch9wavefront6targetE0EEEvT1_ ; -- Begin function _ZN7rocprim17ROCPRIM_400000_NS6detail17trampoline_kernelINS0_14default_configENS1_27scan_by_key_config_selectorIixEEZZNS1_16scan_by_key_implILNS1_25lookback_scan_determinismE0ELb1ES3_N6thrust23THRUST_200600_302600_NS6detail15normal_iteratorINS9_10device_ptrIiEEEENSB_INSC_IxEEEESG_xNS9_4plusIvEENS9_8equal_toIvEExEE10hipError_tPvRmT2_T3_T4_T5_mT6_T7_P12ihipStream_tbENKUlT_T0_E_clISt17integral_constantIbLb1EES10_IbLb0EEEEDaSW_SX_EUlSW_E_NS1_11comp_targetILNS1_3genE4ELNS1_11target_archE910ELNS1_3gpuE8ELNS1_3repE0EEENS1_30default_config_static_selectorELNS0_4arch9wavefront6targetE0EEEvT1_
	.globl	_ZN7rocprim17ROCPRIM_400000_NS6detail17trampoline_kernelINS0_14default_configENS1_27scan_by_key_config_selectorIixEEZZNS1_16scan_by_key_implILNS1_25lookback_scan_determinismE0ELb1ES3_N6thrust23THRUST_200600_302600_NS6detail15normal_iteratorINS9_10device_ptrIiEEEENSB_INSC_IxEEEESG_xNS9_4plusIvEENS9_8equal_toIvEExEE10hipError_tPvRmT2_T3_T4_T5_mT6_T7_P12ihipStream_tbENKUlT_T0_E_clISt17integral_constantIbLb1EES10_IbLb0EEEEDaSW_SX_EUlSW_E_NS1_11comp_targetILNS1_3genE4ELNS1_11target_archE910ELNS1_3gpuE8ELNS1_3repE0EEENS1_30default_config_static_selectorELNS0_4arch9wavefront6targetE0EEEvT1_
	.p2align	8
	.type	_ZN7rocprim17ROCPRIM_400000_NS6detail17trampoline_kernelINS0_14default_configENS1_27scan_by_key_config_selectorIixEEZZNS1_16scan_by_key_implILNS1_25lookback_scan_determinismE0ELb1ES3_N6thrust23THRUST_200600_302600_NS6detail15normal_iteratorINS9_10device_ptrIiEEEENSB_INSC_IxEEEESG_xNS9_4plusIvEENS9_8equal_toIvEExEE10hipError_tPvRmT2_T3_T4_T5_mT6_T7_P12ihipStream_tbENKUlT_T0_E_clISt17integral_constantIbLb1EES10_IbLb0EEEEDaSW_SX_EUlSW_E_NS1_11comp_targetILNS1_3genE4ELNS1_11target_archE910ELNS1_3gpuE8ELNS1_3repE0EEENS1_30default_config_static_selectorELNS0_4arch9wavefront6targetE0EEEvT1_,@function
_ZN7rocprim17ROCPRIM_400000_NS6detail17trampoline_kernelINS0_14default_configENS1_27scan_by_key_config_selectorIixEEZZNS1_16scan_by_key_implILNS1_25lookback_scan_determinismE0ELb1ES3_N6thrust23THRUST_200600_302600_NS6detail15normal_iteratorINS9_10device_ptrIiEEEENSB_INSC_IxEEEESG_xNS9_4plusIvEENS9_8equal_toIvEExEE10hipError_tPvRmT2_T3_T4_T5_mT6_T7_P12ihipStream_tbENKUlT_T0_E_clISt17integral_constantIbLb1EES10_IbLb0EEEEDaSW_SX_EUlSW_E_NS1_11comp_targetILNS1_3genE4ELNS1_11target_archE910ELNS1_3gpuE8ELNS1_3repE0EEENS1_30default_config_static_selectorELNS0_4arch9wavefront6targetE0EEEvT1_: ; @_ZN7rocprim17ROCPRIM_400000_NS6detail17trampoline_kernelINS0_14default_configENS1_27scan_by_key_config_selectorIixEEZZNS1_16scan_by_key_implILNS1_25lookback_scan_determinismE0ELb1ES3_N6thrust23THRUST_200600_302600_NS6detail15normal_iteratorINS9_10device_ptrIiEEEENSB_INSC_IxEEEESG_xNS9_4plusIvEENS9_8equal_toIvEExEE10hipError_tPvRmT2_T3_T4_T5_mT6_T7_P12ihipStream_tbENKUlT_T0_E_clISt17integral_constantIbLb1EES10_IbLb0EEEEDaSW_SX_EUlSW_E_NS1_11comp_targetILNS1_3genE4ELNS1_11target_archE910ELNS1_3gpuE8ELNS1_3repE0EEENS1_30default_config_static_selectorELNS0_4arch9wavefront6targetE0EEEvT1_
; %bb.0:
	.section	.rodata,"a",@progbits
	.p2align	6, 0x0
	.amdhsa_kernel _ZN7rocprim17ROCPRIM_400000_NS6detail17trampoline_kernelINS0_14default_configENS1_27scan_by_key_config_selectorIixEEZZNS1_16scan_by_key_implILNS1_25lookback_scan_determinismE0ELb1ES3_N6thrust23THRUST_200600_302600_NS6detail15normal_iteratorINS9_10device_ptrIiEEEENSB_INSC_IxEEEESG_xNS9_4plusIvEENS9_8equal_toIvEExEE10hipError_tPvRmT2_T3_T4_T5_mT6_T7_P12ihipStream_tbENKUlT_T0_E_clISt17integral_constantIbLb1EES10_IbLb0EEEEDaSW_SX_EUlSW_E_NS1_11comp_targetILNS1_3genE4ELNS1_11target_archE910ELNS1_3gpuE8ELNS1_3repE0EEENS1_30default_config_static_selectorELNS0_4arch9wavefront6targetE0EEEvT1_
		.amdhsa_group_segment_fixed_size 0
		.amdhsa_private_segment_fixed_size 0
		.amdhsa_kernarg_size 136
		.amdhsa_user_sgpr_count 6
		.amdhsa_user_sgpr_private_segment_buffer 1
		.amdhsa_user_sgpr_dispatch_ptr 0
		.amdhsa_user_sgpr_queue_ptr 0
		.amdhsa_user_sgpr_kernarg_segment_ptr 1
		.amdhsa_user_sgpr_dispatch_id 0
		.amdhsa_user_sgpr_flat_scratch_init 0
		.amdhsa_user_sgpr_private_segment_size 0
		.amdhsa_wavefront_size32 1
		.amdhsa_uses_dynamic_stack 0
		.amdhsa_system_sgpr_private_segment_wavefront_offset 0
		.amdhsa_system_sgpr_workgroup_id_x 1
		.amdhsa_system_sgpr_workgroup_id_y 0
		.amdhsa_system_sgpr_workgroup_id_z 0
		.amdhsa_system_sgpr_workgroup_info 0
		.amdhsa_system_vgpr_workitem_id 0
		.amdhsa_next_free_vgpr 1
		.amdhsa_next_free_sgpr 1
		.amdhsa_reserve_vcc 0
		.amdhsa_reserve_flat_scratch 0
		.amdhsa_float_round_mode_32 0
		.amdhsa_float_round_mode_16_64 0
		.amdhsa_float_denorm_mode_32 3
		.amdhsa_float_denorm_mode_16_64 3
		.amdhsa_dx10_clamp 1
		.amdhsa_ieee_mode 1
		.amdhsa_fp16_overflow 0
		.amdhsa_workgroup_processor_mode 1
		.amdhsa_memory_ordered 1
		.amdhsa_forward_progress 1
		.amdhsa_shared_vgpr_count 0
		.amdhsa_exception_fp_ieee_invalid_op 0
		.amdhsa_exception_fp_denorm_src 0
		.amdhsa_exception_fp_ieee_div_zero 0
		.amdhsa_exception_fp_ieee_overflow 0
		.amdhsa_exception_fp_ieee_underflow 0
		.amdhsa_exception_fp_ieee_inexact 0
		.amdhsa_exception_int_div_zero 0
	.end_amdhsa_kernel
	.section	.text._ZN7rocprim17ROCPRIM_400000_NS6detail17trampoline_kernelINS0_14default_configENS1_27scan_by_key_config_selectorIixEEZZNS1_16scan_by_key_implILNS1_25lookback_scan_determinismE0ELb1ES3_N6thrust23THRUST_200600_302600_NS6detail15normal_iteratorINS9_10device_ptrIiEEEENSB_INSC_IxEEEESG_xNS9_4plusIvEENS9_8equal_toIvEExEE10hipError_tPvRmT2_T3_T4_T5_mT6_T7_P12ihipStream_tbENKUlT_T0_E_clISt17integral_constantIbLb1EES10_IbLb0EEEEDaSW_SX_EUlSW_E_NS1_11comp_targetILNS1_3genE4ELNS1_11target_archE910ELNS1_3gpuE8ELNS1_3repE0EEENS1_30default_config_static_selectorELNS0_4arch9wavefront6targetE0EEEvT1_,"axG",@progbits,_ZN7rocprim17ROCPRIM_400000_NS6detail17trampoline_kernelINS0_14default_configENS1_27scan_by_key_config_selectorIixEEZZNS1_16scan_by_key_implILNS1_25lookback_scan_determinismE0ELb1ES3_N6thrust23THRUST_200600_302600_NS6detail15normal_iteratorINS9_10device_ptrIiEEEENSB_INSC_IxEEEESG_xNS9_4plusIvEENS9_8equal_toIvEExEE10hipError_tPvRmT2_T3_T4_T5_mT6_T7_P12ihipStream_tbENKUlT_T0_E_clISt17integral_constantIbLb1EES10_IbLb0EEEEDaSW_SX_EUlSW_E_NS1_11comp_targetILNS1_3genE4ELNS1_11target_archE910ELNS1_3gpuE8ELNS1_3repE0EEENS1_30default_config_static_selectorELNS0_4arch9wavefront6targetE0EEEvT1_,comdat
.Lfunc_end1592:
	.size	_ZN7rocprim17ROCPRIM_400000_NS6detail17trampoline_kernelINS0_14default_configENS1_27scan_by_key_config_selectorIixEEZZNS1_16scan_by_key_implILNS1_25lookback_scan_determinismE0ELb1ES3_N6thrust23THRUST_200600_302600_NS6detail15normal_iteratorINS9_10device_ptrIiEEEENSB_INSC_IxEEEESG_xNS9_4plusIvEENS9_8equal_toIvEExEE10hipError_tPvRmT2_T3_T4_T5_mT6_T7_P12ihipStream_tbENKUlT_T0_E_clISt17integral_constantIbLb1EES10_IbLb0EEEEDaSW_SX_EUlSW_E_NS1_11comp_targetILNS1_3genE4ELNS1_11target_archE910ELNS1_3gpuE8ELNS1_3repE0EEENS1_30default_config_static_selectorELNS0_4arch9wavefront6targetE0EEEvT1_, .Lfunc_end1592-_ZN7rocprim17ROCPRIM_400000_NS6detail17trampoline_kernelINS0_14default_configENS1_27scan_by_key_config_selectorIixEEZZNS1_16scan_by_key_implILNS1_25lookback_scan_determinismE0ELb1ES3_N6thrust23THRUST_200600_302600_NS6detail15normal_iteratorINS9_10device_ptrIiEEEENSB_INSC_IxEEEESG_xNS9_4plusIvEENS9_8equal_toIvEExEE10hipError_tPvRmT2_T3_T4_T5_mT6_T7_P12ihipStream_tbENKUlT_T0_E_clISt17integral_constantIbLb1EES10_IbLb0EEEEDaSW_SX_EUlSW_E_NS1_11comp_targetILNS1_3genE4ELNS1_11target_archE910ELNS1_3gpuE8ELNS1_3repE0EEENS1_30default_config_static_selectorELNS0_4arch9wavefront6targetE0EEEvT1_
                                        ; -- End function
	.set _ZN7rocprim17ROCPRIM_400000_NS6detail17trampoline_kernelINS0_14default_configENS1_27scan_by_key_config_selectorIixEEZZNS1_16scan_by_key_implILNS1_25lookback_scan_determinismE0ELb1ES3_N6thrust23THRUST_200600_302600_NS6detail15normal_iteratorINS9_10device_ptrIiEEEENSB_INSC_IxEEEESG_xNS9_4plusIvEENS9_8equal_toIvEExEE10hipError_tPvRmT2_T3_T4_T5_mT6_T7_P12ihipStream_tbENKUlT_T0_E_clISt17integral_constantIbLb1EES10_IbLb0EEEEDaSW_SX_EUlSW_E_NS1_11comp_targetILNS1_3genE4ELNS1_11target_archE910ELNS1_3gpuE8ELNS1_3repE0EEENS1_30default_config_static_selectorELNS0_4arch9wavefront6targetE0EEEvT1_.num_vgpr, 0
	.set _ZN7rocprim17ROCPRIM_400000_NS6detail17trampoline_kernelINS0_14default_configENS1_27scan_by_key_config_selectorIixEEZZNS1_16scan_by_key_implILNS1_25lookback_scan_determinismE0ELb1ES3_N6thrust23THRUST_200600_302600_NS6detail15normal_iteratorINS9_10device_ptrIiEEEENSB_INSC_IxEEEESG_xNS9_4plusIvEENS9_8equal_toIvEExEE10hipError_tPvRmT2_T3_T4_T5_mT6_T7_P12ihipStream_tbENKUlT_T0_E_clISt17integral_constantIbLb1EES10_IbLb0EEEEDaSW_SX_EUlSW_E_NS1_11comp_targetILNS1_3genE4ELNS1_11target_archE910ELNS1_3gpuE8ELNS1_3repE0EEENS1_30default_config_static_selectorELNS0_4arch9wavefront6targetE0EEEvT1_.num_agpr, 0
	.set _ZN7rocprim17ROCPRIM_400000_NS6detail17trampoline_kernelINS0_14default_configENS1_27scan_by_key_config_selectorIixEEZZNS1_16scan_by_key_implILNS1_25lookback_scan_determinismE0ELb1ES3_N6thrust23THRUST_200600_302600_NS6detail15normal_iteratorINS9_10device_ptrIiEEEENSB_INSC_IxEEEESG_xNS9_4plusIvEENS9_8equal_toIvEExEE10hipError_tPvRmT2_T3_T4_T5_mT6_T7_P12ihipStream_tbENKUlT_T0_E_clISt17integral_constantIbLb1EES10_IbLb0EEEEDaSW_SX_EUlSW_E_NS1_11comp_targetILNS1_3genE4ELNS1_11target_archE910ELNS1_3gpuE8ELNS1_3repE0EEENS1_30default_config_static_selectorELNS0_4arch9wavefront6targetE0EEEvT1_.numbered_sgpr, 0
	.set _ZN7rocprim17ROCPRIM_400000_NS6detail17trampoline_kernelINS0_14default_configENS1_27scan_by_key_config_selectorIixEEZZNS1_16scan_by_key_implILNS1_25lookback_scan_determinismE0ELb1ES3_N6thrust23THRUST_200600_302600_NS6detail15normal_iteratorINS9_10device_ptrIiEEEENSB_INSC_IxEEEESG_xNS9_4plusIvEENS9_8equal_toIvEExEE10hipError_tPvRmT2_T3_T4_T5_mT6_T7_P12ihipStream_tbENKUlT_T0_E_clISt17integral_constantIbLb1EES10_IbLb0EEEEDaSW_SX_EUlSW_E_NS1_11comp_targetILNS1_3genE4ELNS1_11target_archE910ELNS1_3gpuE8ELNS1_3repE0EEENS1_30default_config_static_selectorELNS0_4arch9wavefront6targetE0EEEvT1_.num_named_barrier, 0
	.set _ZN7rocprim17ROCPRIM_400000_NS6detail17trampoline_kernelINS0_14default_configENS1_27scan_by_key_config_selectorIixEEZZNS1_16scan_by_key_implILNS1_25lookback_scan_determinismE0ELb1ES3_N6thrust23THRUST_200600_302600_NS6detail15normal_iteratorINS9_10device_ptrIiEEEENSB_INSC_IxEEEESG_xNS9_4plusIvEENS9_8equal_toIvEExEE10hipError_tPvRmT2_T3_T4_T5_mT6_T7_P12ihipStream_tbENKUlT_T0_E_clISt17integral_constantIbLb1EES10_IbLb0EEEEDaSW_SX_EUlSW_E_NS1_11comp_targetILNS1_3genE4ELNS1_11target_archE910ELNS1_3gpuE8ELNS1_3repE0EEENS1_30default_config_static_selectorELNS0_4arch9wavefront6targetE0EEEvT1_.private_seg_size, 0
	.set _ZN7rocprim17ROCPRIM_400000_NS6detail17trampoline_kernelINS0_14default_configENS1_27scan_by_key_config_selectorIixEEZZNS1_16scan_by_key_implILNS1_25lookback_scan_determinismE0ELb1ES3_N6thrust23THRUST_200600_302600_NS6detail15normal_iteratorINS9_10device_ptrIiEEEENSB_INSC_IxEEEESG_xNS9_4plusIvEENS9_8equal_toIvEExEE10hipError_tPvRmT2_T3_T4_T5_mT6_T7_P12ihipStream_tbENKUlT_T0_E_clISt17integral_constantIbLb1EES10_IbLb0EEEEDaSW_SX_EUlSW_E_NS1_11comp_targetILNS1_3genE4ELNS1_11target_archE910ELNS1_3gpuE8ELNS1_3repE0EEENS1_30default_config_static_selectorELNS0_4arch9wavefront6targetE0EEEvT1_.uses_vcc, 0
	.set _ZN7rocprim17ROCPRIM_400000_NS6detail17trampoline_kernelINS0_14default_configENS1_27scan_by_key_config_selectorIixEEZZNS1_16scan_by_key_implILNS1_25lookback_scan_determinismE0ELb1ES3_N6thrust23THRUST_200600_302600_NS6detail15normal_iteratorINS9_10device_ptrIiEEEENSB_INSC_IxEEEESG_xNS9_4plusIvEENS9_8equal_toIvEExEE10hipError_tPvRmT2_T3_T4_T5_mT6_T7_P12ihipStream_tbENKUlT_T0_E_clISt17integral_constantIbLb1EES10_IbLb0EEEEDaSW_SX_EUlSW_E_NS1_11comp_targetILNS1_3genE4ELNS1_11target_archE910ELNS1_3gpuE8ELNS1_3repE0EEENS1_30default_config_static_selectorELNS0_4arch9wavefront6targetE0EEEvT1_.uses_flat_scratch, 0
	.set _ZN7rocprim17ROCPRIM_400000_NS6detail17trampoline_kernelINS0_14default_configENS1_27scan_by_key_config_selectorIixEEZZNS1_16scan_by_key_implILNS1_25lookback_scan_determinismE0ELb1ES3_N6thrust23THRUST_200600_302600_NS6detail15normal_iteratorINS9_10device_ptrIiEEEENSB_INSC_IxEEEESG_xNS9_4plusIvEENS9_8equal_toIvEExEE10hipError_tPvRmT2_T3_T4_T5_mT6_T7_P12ihipStream_tbENKUlT_T0_E_clISt17integral_constantIbLb1EES10_IbLb0EEEEDaSW_SX_EUlSW_E_NS1_11comp_targetILNS1_3genE4ELNS1_11target_archE910ELNS1_3gpuE8ELNS1_3repE0EEENS1_30default_config_static_selectorELNS0_4arch9wavefront6targetE0EEEvT1_.has_dyn_sized_stack, 0
	.set _ZN7rocprim17ROCPRIM_400000_NS6detail17trampoline_kernelINS0_14default_configENS1_27scan_by_key_config_selectorIixEEZZNS1_16scan_by_key_implILNS1_25lookback_scan_determinismE0ELb1ES3_N6thrust23THRUST_200600_302600_NS6detail15normal_iteratorINS9_10device_ptrIiEEEENSB_INSC_IxEEEESG_xNS9_4plusIvEENS9_8equal_toIvEExEE10hipError_tPvRmT2_T3_T4_T5_mT6_T7_P12ihipStream_tbENKUlT_T0_E_clISt17integral_constantIbLb1EES10_IbLb0EEEEDaSW_SX_EUlSW_E_NS1_11comp_targetILNS1_3genE4ELNS1_11target_archE910ELNS1_3gpuE8ELNS1_3repE0EEENS1_30default_config_static_selectorELNS0_4arch9wavefront6targetE0EEEvT1_.has_recursion, 0
	.set _ZN7rocprim17ROCPRIM_400000_NS6detail17trampoline_kernelINS0_14default_configENS1_27scan_by_key_config_selectorIixEEZZNS1_16scan_by_key_implILNS1_25lookback_scan_determinismE0ELb1ES3_N6thrust23THRUST_200600_302600_NS6detail15normal_iteratorINS9_10device_ptrIiEEEENSB_INSC_IxEEEESG_xNS9_4plusIvEENS9_8equal_toIvEExEE10hipError_tPvRmT2_T3_T4_T5_mT6_T7_P12ihipStream_tbENKUlT_T0_E_clISt17integral_constantIbLb1EES10_IbLb0EEEEDaSW_SX_EUlSW_E_NS1_11comp_targetILNS1_3genE4ELNS1_11target_archE910ELNS1_3gpuE8ELNS1_3repE0EEENS1_30default_config_static_selectorELNS0_4arch9wavefront6targetE0EEEvT1_.has_indirect_call, 0
	.section	.AMDGPU.csdata,"",@progbits
; Kernel info:
; codeLenInByte = 0
; TotalNumSgprs: 0
; NumVgprs: 0
; ScratchSize: 0
; MemoryBound: 0
; FloatMode: 240
; IeeeMode: 1
; LDSByteSize: 0 bytes/workgroup (compile time only)
; SGPRBlocks: 0
; VGPRBlocks: 0
; NumSGPRsForWavesPerEU: 1
; NumVGPRsForWavesPerEU: 1
; Occupancy: 16
; WaveLimiterHint : 0
; COMPUTE_PGM_RSRC2:SCRATCH_EN: 0
; COMPUTE_PGM_RSRC2:USER_SGPR: 6
; COMPUTE_PGM_RSRC2:TRAP_HANDLER: 0
; COMPUTE_PGM_RSRC2:TGID_X_EN: 1
; COMPUTE_PGM_RSRC2:TGID_Y_EN: 0
; COMPUTE_PGM_RSRC2:TGID_Z_EN: 0
; COMPUTE_PGM_RSRC2:TIDIG_COMP_CNT: 0
	.section	.text._ZN7rocprim17ROCPRIM_400000_NS6detail17trampoline_kernelINS0_14default_configENS1_27scan_by_key_config_selectorIixEEZZNS1_16scan_by_key_implILNS1_25lookback_scan_determinismE0ELb1ES3_N6thrust23THRUST_200600_302600_NS6detail15normal_iteratorINS9_10device_ptrIiEEEENSB_INSC_IxEEEESG_xNS9_4plusIvEENS9_8equal_toIvEExEE10hipError_tPvRmT2_T3_T4_T5_mT6_T7_P12ihipStream_tbENKUlT_T0_E_clISt17integral_constantIbLb1EES10_IbLb0EEEEDaSW_SX_EUlSW_E_NS1_11comp_targetILNS1_3genE3ELNS1_11target_archE908ELNS1_3gpuE7ELNS1_3repE0EEENS1_30default_config_static_selectorELNS0_4arch9wavefront6targetE0EEEvT1_,"axG",@progbits,_ZN7rocprim17ROCPRIM_400000_NS6detail17trampoline_kernelINS0_14default_configENS1_27scan_by_key_config_selectorIixEEZZNS1_16scan_by_key_implILNS1_25lookback_scan_determinismE0ELb1ES3_N6thrust23THRUST_200600_302600_NS6detail15normal_iteratorINS9_10device_ptrIiEEEENSB_INSC_IxEEEESG_xNS9_4plusIvEENS9_8equal_toIvEExEE10hipError_tPvRmT2_T3_T4_T5_mT6_T7_P12ihipStream_tbENKUlT_T0_E_clISt17integral_constantIbLb1EES10_IbLb0EEEEDaSW_SX_EUlSW_E_NS1_11comp_targetILNS1_3genE3ELNS1_11target_archE908ELNS1_3gpuE7ELNS1_3repE0EEENS1_30default_config_static_selectorELNS0_4arch9wavefront6targetE0EEEvT1_,comdat
	.protected	_ZN7rocprim17ROCPRIM_400000_NS6detail17trampoline_kernelINS0_14default_configENS1_27scan_by_key_config_selectorIixEEZZNS1_16scan_by_key_implILNS1_25lookback_scan_determinismE0ELb1ES3_N6thrust23THRUST_200600_302600_NS6detail15normal_iteratorINS9_10device_ptrIiEEEENSB_INSC_IxEEEESG_xNS9_4plusIvEENS9_8equal_toIvEExEE10hipError_tPvRmT2_T3_T4_T5_mT6_T7_P12ihipStream_tbENKUlT_T0_E_clISt17integral_constantIbLb1EES10_IbLb0EEEEDaSW_SX_EUlSW_E_NS1_11comp_targetILNS1_3genE3ELNS1_11target_archE908ELNS1_3gpuE7ELNS1_3repE0EEENS1_30default_config_static_selectorELNS0_4arch9wavefront6targetE0EEEvT1_ ; -- Begin function _ZN7rocprim17ROCPRIM_400000_NS6detail17trampoline_kernelINS0_14default_configENS1_27scan_by_key_config_selectorIixEEZZNS1_16scan_by_key_implILNS1_25lookback_scan_determinismE0ELb1ES3_N6thrust23THRUST_200600_302600_NS6detail15normal_iteratorINS9_10device_ptrIiEEEENSB_INSC_IxEEEESG_xNS9_4plusIvEENS9_8equal_toIvEExEE10hipError_tPvRmT2_T3_T4_T5_mT6_T7_P12ihipStream_tbENKUlT_T0_E_clISt17integral_constantIbLb1EES10_IbLb0EEEEDaSW_SX_EUlSW_E_NS1_11comp_targetILNS1_3genE3ELNS1_11target_archE908ELNS1_3gpuE7ELNS1_3repE0EEENS1_30default_config_static_selectorELNS0_4arch9wavefront6targetE0EEEvT1_
	.globl	_ZN7rocprim17ROCPRIM_400000_NS6detail17trampoline_kernelINS0_14default_configENS1_27scan_by_key_config_selectorIixEEZZNS1_16scan_by_key_implILNS1_25lookback_scan_determinismE0ELb1ES3_N6thrust23THRUST_200600_302600_NS6detail15normal_iteratorINS9_10device_ptrIiEEEENSB_INSC_IxEEEESG_xNS9_4plusIvEENS9_8equal_toIvEExEE10hipError_tPvRmT2_T3_T4_T5_mT6_T7_P12ihipStream_tbENKUlT_T0_E_clISt17integral_constantIbLb1EES10_IbLb0EEEEDaSW_SX_EUlSW_E_NS1_11comp_targetILNS1_3genE3ELNS1_11target_archE908ELNS1_3gpuE7ELNS1_3repE0EEENS1_30default_config_static_selectorELNS0_4arch9wavefront6targetE0EEEvT1_
	.p2align	8
	.type	_ZN7rocprim17ROCPRIM_400000_NS6detail17trampoline_kernelINS0_14default_configENS1_27scan_by_key_config_selectorIixEEZZNS1_16scan_by_key_implILNS1_25lookback_scan_determinismE0ELb1ES3_N6thrust23THRUST_200600_302600_NS6detail15normal_iteratorINS9_10device_ptrIiEEEENSB_INSC_IxEEEESG_xNS9_4plusIvEENS9_8equal_toIvEExEE10hipError_tPvRmT2_T3_T4_T5_mT6_T7_P12ihipStream_tbENKUlT_T0_E_clISt17integral_constantIbLb1EES10_IbLb0EEEEDaSW_SX_EUlSW_E_NS1_11comp_targetILNS1_3genE3ELNS1_11target_archE908ELNS1_3gpuE7ELNS1_3repE0EEENS1_30default_config_static_selectorELNS0_4arch9wavefront6targetE0EEEvT1_,@function
_ZN7rocprim17ROCPRIM_400000_NS6detail17trampoline_kernelINS0_14default_configENS1_27scan_by_key_config_selectorIixEEZZNS1_16scan_by_key_implILNS1_25lookback_scan_determinismE0ELb1ES3_N6thrust23THRUST_200600_302600_NS6detail15normal_iteratorINS9_10device_ptrIiEEEENSB_INSC_IxEEEESG_xNS9_4plusIvEENS9_8equal_toIvEExEE10hipError_tPvRmT2_T3_T4_T5_mT6_T7_P12ihipStream_tbENKUlT_T0_E_clISt17integral_constantIbLb1EES10_IbLb0EEEEDaSW_SX_EUlSW_E_NS1_11comp_targetILNS1_3genE3ELNS1_11target_archE908ELNS1_3gpuE7ELNS1_3repE0EEENS1_30default_config_static_selectorELNS0_4arch9wavefront6targetE0EEEvT1_: ; @_ZN7rocprim17ROCPRIM_400000_NS6detail17trampoline_kernelINS0_14default_configENS1_27scan_by_key_config_selectorIixEEZZNS1_16scan_by_key_implILNS1_25lookback_scan_determinismE0ELb1ES3_N6thrust23THRUST_200600_302600_NS6detail15normal_iteratorINS9_10device_ptrIiEEEENSB_INSC_IxEEEESG_xNS9_4plusIvEENS9_8equal_toIvEExEE10hipError_tPvRmT2_T3_T4_T5_mT6_T7_P12ihipStream_tbENKUlT_T0_E_clISt17integral_constantIbLb1EES10_IbLb0EEEEDaSW_SX_EUlSW_E_NS1_11comp_targetILNS1_3genE3ELNS1_11target_archE908ELNS1_3gpuE7ELNS1_3repE0EEENS1_30default_config_static_selectorELNS0_4arch9wavefront6targetE0EEEvT1_
; %bb.0:
	.section	.rodata,"a",@progbits
	.p2align	6, 0x0
	.amdhsa_kernel _ZN7rocprim17ROCPRIM_400000_NS6detail17trampoline_kernelINS0_14default_configENS1_27scan_by_key_config_selectorIixEEZZNS1_16scan_by_key_implILNS1_25lookback_scan_determinismE0ELb1ES3_N6thrust23THRUST_200600_302600_NS6detail15normal_iteratorINS9_10device_ptrIiEEEENSB_INSC_IxEEEESG_xNS9_4plusIvEENS9_8equal_toIvEExEE10hipError_tPvRmT2_T3_T4_T5_mT6_T7_P12ihipStream_tbENKUlT_T0_E_clISt17integral_constantIbLb1EES10_IbLb0EEEEDaSW_SX_EUlSW_E_NS1_11comp_targetILNS1_3genE3ELNS1_11target_archE908ELNS1_3gpuE7ELNS1_3repE0EEENS1_30default_config_static_selectorELNS0_4arch9wavefront6targetE0EEEvT1_
		.amdhsa_group_segment_fixed_size 0
		.amdhsa_private_segment_fixed_size 0
		.amdhsa_kernarg_size 136
		.amdhsa_user_sgpr_count 6
		.amdhsa_user_sgpr_private_segment_buffer 1
		.amdhsa_user_sgpr_dispatch_ptr 0
		.amdhsa_user_sgpr_queue_ptr 0
		.amdhsa_user_sgpr_kernarg_segment_ptr 1
		.amdhsa_user_sgpr_dispatch_id 0
		.amdhsa_user_sgpr_flat_scratch_init 0
		.amdhsa_user_sgpr_private_segment_size 0
		.amdhsa_wavefront_size32 1
		.amdhsa_uses_dynamic_stack 0
		.amdhsa_system_sgpr_private_segment_wavefront_offset 0
		.amdhsa_system_sgpr_workgroup_id_x 1
		.amdhsa_system_sgpr_workgroup_id_y 0
		.amdhsa_system_sgpr_workgroup_id_z 0
		.amdhsa_system_sgpr_workgroup_info 0
		.amdhsa_system_vgpr_workitem_id 0
		.amdhsa_next_free_vgpr 1
		.amdhsa_next_free_sgpr 1
		.amdhsa_reserve_vcc 0
		.amdhsa_reserve_flat_scratch 0
		.amdhsa_float_round_mode_32 0
		.amdhsa_float_round_mode_16_64 0
		.amdhsa_float_denorm_mode_32 3
		.amdhsa_float_denorm_mode_16_64 3
		.amdhsa_dx10_clamp 1
		.amdhsa_ieee_mode 1
		.amdhsa_fp16_overflow 0
		.amdhsa_workgroup_processor_mode 1
		.amdhsa_memory_ordered 1
		.amdhsa_forward_progress 1
		.amdhsa_shared_vgpr_count 0
		.amdhsa_exception_fp_ieee_invalid_op 0
		.amdhsa_exception_fp_denorm_src 0
		.amdhsa_exception_fp_ieee_div_zero 0
		.amdhsa_exception_fp_ieee_overflow 0
		.amdhsa_exception_fp_ieee_underflow 0
		.amdhsa_exception_fp_ieee_inexact 0
		.amdhsa_exception_int_div_zero 0
	.end_amdhsa_kernel
	.section	.text._ZN7rocprim17ROCPRIM_400000_NS6detail17trampoline_kernelINS0_14default_configENS1_27scan_by_key_config_selectorIixEEZZNS1_16scan_by_key_implILNS1_25lookback_scan_determinismE0ELb1ES3_N6thrust23THRUST_200600_302600_NS6detail15normal_iteratorINS9_10device_ptrIiEEEENSB_INSC_IxEEEESG_xNS9_4plusIvEENS9_8equal_toIvEExEE10hipError_tPvRmT2_T3_T4_T5_mT6_T7_P12ihipStream_tbENKUlT_T0_E_clISt17integral_constantIbLb1EES10_IbLb0EEEEDaSW_SX_EUlSW_E_NS1_11comp_targetILNS1_3genE3ELNS1_11target_archE908ELNS1_3gpuE7ELNS1_3repE0EEENS1_30default_config_static_selectorELNS0_4arch9wavefront6targetE0EEEvT1_,"axG",@progbits,_ZN7rocprim17ROCPRIM_400000_NS6detail17trampoline_kernelINS0_14default_configENS1_27scan_by_key_config_selectorIixEEZZNS1_16scan_by_key_implILNS1_25lookback_scan_determinismE0ELb1ES3_N6thrust23THRUST_200600_302600_NS6detail15normal_iteratorINS9_10device_ptrIiEEEENSB_INSC_IxEEEESG_xNS9_4plusIvEENS9_8equal_toIvEExEE10hipError_tPvRmT2_T3_T4_T5_mT6_T7_P12ihipStream_tbENKUlT_T0_E_clISt17integral_constantIbLb1EES10_IbLb0EEEEDaSW_SX_EUlSW_E_NS1_11comp_targetILNS1_3genE3ELNS1_11target_archE908ELNS1_3gpuE7ELNS1_3repE0EEENS1_30default_config_static_selectorELNS0_4arch9wavefront6targetE0EEEvT1_,comdat
.Lfunc_end1593:
	.size	_ZN7rocprim17ROCPRIM_400000_NS6detail17trampoline_kernelINS0_14default_configENS1_27scan_by_key_config_selectorIixEEZZNS1_16scan_by_key_implILNS1_25lookback_scan_determinismE0ELb1ES3_N6thrust23THRUST_200600_302600_NS6detail15normal_iteratorINS9_10device_ptrIiEEEENSB_INSC_IxEEEESG_xNS9_4plusIvEENS9_8equal_toIvEExEE10hipError_tPvRmT2_T3_T4_T5_mT6_T7_P12ihipStream_tbENKUlT_T0_E_clISt17integral_constantIbLb1EES10_IbLb0EEEEDaSW_SX_EUlSW_E_NS1_11comp_targetILNS1_3genE3ELNS1_11target_archE908ELNS1_3gpuE7ELNS1_3repE0EEENS1_30default_config_static_selectorELNS0_4arch9wavefront6targetE0EEEvT1_, .Lfunc_end1593-_ZN7rocprim17ROCPRIM_400000_NS6detail17trampoline_kernelINS0_14default_configENS1_27scan_by_key_config_selectorIixEEZZNS1_16scan_by_key_implILNS1_25lookback_scan_determinismE0ELb1ES3_N6thrust23THRUST_200600_302600_NS6detail15normal_iteratorINS9_10device_ptrIiEEEENSB_INSC_IxEEEESG_xNS9_4plusIvEENS9_8equal_toIvEExEE10hipError_tPvRmT2_T3_T4_T5_mT6_T7_P12ihipStream_tbENKUlT_T0_E_clISt17integral_constantIbLb1EES10_IbLb0EEEEDaSW_SX_EUlSW_E_NS1_11comp_targetILNS1_3genE3ELNS1_11target_archE908ELNS1_3gpuE7ELNS1_3repE0EEENS1_30default_config_static_selectorELNS0_4arch9wavefront6targetE0EEEvT1_
                                        ; -- End function
	.set _ZN7rocprim17ROCPRIM_400000_NS6detail17trampoline_kernelINS0_14default_configENS1_27scan_by_key_config_selectorIixEEZZNS1_16scan_by_key_implILNS1_25lookback_scan_determinismE0ELb1ES3_N6thrust23THRUST_200600_302600_NS6detail15normal_iteratorINS9_10device_ptrIiEEEENSB_INSC_IxEEEESG_xNS9_4plusIvEENS9_8equal_toIvEExEE10hipError_tPvRmT2_T3_T4_T5_mT6_T7_P12ihipStream_tbENKUlT_T0_E_clISt17integral_constantIbLb1EES10_IbLb0EEEEDaSW_SX_EUlSW_E_NS1_11comp_targetILNS1_3genE3ELNS1_11target_archE908ELNS1_3gpuE7ELNS1_3repE0EEENS1_30default_config_static_selectorELNS0_4arch9wavefront6targetE0EEEvT1_.num_vgpr, 0
	.set _ZN7rocprim17ROCPRIM_400000_NS6detail17trampoline_kernelINS0_14default_configENS1_27scan_by_key_config_selectorIixEEZZNS1_16scan_by_key_implILNS1_25lookback_scan_determinismE0ELb1ES3_N6thrust23THRUST_200600_302600_NS6detail15normal_iteratorINS9_10device_ptrIiEEEENSB_INSC_IxEEEESG_xNS9_4plusIvEENS9_8equal_toIvEExEE10hipError_tPvRmT2_T3_T4_T5_mT6_T7_P12ihipStream_tbENKUlT_T0_E_clISt17integral_constantIbLb1EES10_IbLb0EEEEDaSW_SX_EUlSW_E_NS1_11comp_targetILNS1_3genE3ELNS1_11target_archE908ELNS1_3gpuE7ELNS1_3repE0EEENS1_30default_config_static_selectorELNS0_4arch9wavefront6targetE0EEEvT1_.num_agpr, 0
	.set _ZN7rocprim17ROCPRIM_400000_NS6detail17trampoline_kernelINS0_14default_configENS1_27scan_by_key_config_selectorIixEEZZNS1_16scan_by_key_implILNS1_25lookback_scan_determinismE0ELb1ES3_N6thrust23THRUST_200600_302600_NS6detail15normal_iteratorINS9_10device_ptrIiEEEENSB_INSC_IxEEEESG_xNS9_4plusIvEENS9_8equal_toIvEExEE10hipError_tPvRmT2_T3_T4_T5_mT6_T7_P12ihipStream_tbENKUlT_T0_E_clISt17integral_constantIbLb1EES10_IbLb0EEEEDaSW_SX_EUlSW_E_NS1_11comp_targetILNS1_3genE3ELNS1_11target_archE908ELNS1_3gpuE7ELNS1_3repE0EEENS1_30default_config_static_selectorELNS0_4arch9wavefront6targetE0EEEvT1_.numbered_sgpr, 0
	.set _ZN7rocprim17ROCPRIM_400000_NS6detail17trampoline_kernelINS0_14default_configENS1_27scan_by_key_config_selectorIixEEZZNS1_16scan_by_key_implILNS1_25lookback_scan_determinismE0ELb1ES3_N6thrust23THRUST_200600_302600_NS6detail15normal_iteratorINS9_10device_ptrIiEEEENSB_INSC_IxEEEESG_xNS9_4plusIvEENS9_8equal_toIvEExEE10hipError_tPvRmT2_T3_T4_T5_mT6_T7_P12ihipStream_tbENKUlT_T0_E_clISt17integral_constantIbLb1EES10_IbLb0EEEEDaSW_SX_EUlSW_E_NS1_11comp_targetILNS1_3genE3ELNS1_11target_archE908ELNS1_3gpuE7ELNS1_3repE0EEENS1_30default_config_static_selectorELNS0_4arch9wavefront6targetE0EEEvT1_.num_named_barrier, 0
	.set _ZN7rocprim17ROCPRIM_400000_NS6detail17trampoline_kernelINS0_14default_configENS1_27scan_by_key_config_selectorIixEEZZNS1_16scan_by_key_implILNS1_25lookback_scan_determinismE0ELb1ES3_N6thrust23THRUST_200600_302600_NS6detail15normal_iteratorINS9_10device_ptrIiEEEENSB_INSC_IxEEEESG_xNS9_4plusIvEENS9_8equal_toIvEExEE10hipError_tPvRmT2_T3_T4_T5_mT6_T7_P12ihipStream_tbENKUlT_T0_E_clISt17integral_constantIbLb1EES10_IbLb0EEEEDaSW_SX_EUlSW_E_NS1_11comp_targetILNS1_3genE3ELNS1_11target_archE908ELNS1_3gpuE7ELNS1_3repE0EEENS1_30default_config_static_selectorELNS0_4arch9wavefront6targetE0EEEvT1_.private_seg_size, 0
	.set _ZN7rocprim17ROCPRIM_400000_NS6detail17trampoline_kernelINS0_14default_configENS1_27scan_by_key_config_selectorIixEEZZNS1_16scan_by_key_implILNS1_25lookback_scan_determinismE0ELb1ES3_N6thrust23THRUST_200600_302600_NS6detail15normal_iteratorINS9_10device_ptrIiEEEENSB_INSC_IxEEEESG_xNS9_4plusIvEENS9_8equal_toIvEExEE10hipError_tPvRmT2_T3_T4_T5_mT6_T7_P12ihipStream_tbENKUlT_T0_E_clISt17integral_constantIbLb1EES10_IbLb0EEEEDaSW_SX_EUlSW_E_NS1_11comp_targetILNS1_3genE3ELNS1_11target_archE908ELNS1_3gpuE7ELNS1_3repE0EEENS1_30default_config_static_selectorELNS0_4arch9wavefront6targetE0EEEvT1_.uses_vcc, 0
	.set _ZN7rocprim17ROCPRIM_400000_NS6detail17trampoline_kernelINS0_14default_configENS1_27scan_by_key_config_selectorIixEEZZNS1_16scan_by_key_implILNS1_25lookback_scan_determinismE0ELb1ES3_N6thrust23THRUST_200600_302600_NS6detail15normal_iteratorINS9_10device_ptrIiEEEENSB_INSC_IxEEEESG_xNS9_4plusIvEENS9_8equal_toIvEExEE10hipError_tPvRmT2_T3_T4_T5_mT6_T7_P12ihipStream_tbENKUlT_T0_E_clISt17integral_constantIbLb1EES10_IbLb0EEEEDaSW_SX_EUlSW_E_NS1_11comp_targetILNS1_3genE3ELNS1_11target_archE908ELNS1_3gpuE7ELNS1_3repE0EEENS1_30default_config_static_selectorELNS0_4arch9wavefront6targetE0EEEvT1_.uses_flat_scratch, 0
	.set _ZN7rocprim17ROCPRIM_400000_NS6detail17trampoline_kernelINS0_14default_configENS1_27scan_by_key_config_selectorIixEEZZNS1_16scan_by_key_implILNS1_25lookback_scan_determinismE0ELb1ES3_N6thrust23THRUST_200600_302600_NS6detail15normal_iteratorINS9_10device_ptrIiEEEENSB_INSC_IxEEEESG_xNS9_4plusIvEENS9_8equal_toIvEExEE10hipError_tPvRmT2_T3_T4_T5_mT6_T7_P12ihipStream_tbENKUlT_T0_E_clISt17integral_constantIbLb1EES10_IbLb0EEEEDaSW_SX_EUlSW_E_NS1_11comp_targetILNS1_3genE3ELNS1_11target_archE908ELNS1_3gpuE7ELNS1_3repE0EEENS1_30default_config_static_selectorELNS0_4arch9wavefront6targetE0EEEvT1_.has_dyn_sized_stack, 0
	.set _ZN7rocprim17ROCPRIM_400000_NS6detail17trampoline_kernelINS0_14default_configENS1_27scan_by_key_config_selectorIixEEZZNS1_16scan_by_key_implILNS1_25lookback_scan_determinismE0ELb1ES3_N6thrust23THRUST_200600_302600_NS6detail15normal_iteratorINS9_10device_ptrIiEEEENSB_INSC_IxEEEESG_xNS9_4plusIvEENS9_8equal_toIvEExEE10hipError_tPvRmT2_T3_T4_T5_mT6_T7_P12ihipStream_tbENKUlT_T0_E_clISt17integral_constantIbLb1EES10_IbLb0EEEEDaSW_SX_EUlSW_E_NS1_11comp_targetILNS1_3genE3ELNS1_11target_archE908ELNS1_3gpuE7ELNS1_3repE0EEENS1_30default_config_static_selectorELNS0_4arch9wavefront6targetE0EEEvT1_.has_recursion, 0
	.set _ZN7rocprim17ROCPRIM_400000_NS6detail17trampoline_kernelINS0_14default_configENS1_27scan_by_key_config_selectorIixEEZZNS1_16scan_by_key_implILNS1_25lookback_scan_determinismE0ELb1ES3_N6thrust23THRUST_200600_302600_NS6detail15normal_iteratorINS9_10device_ptrIiEEEENSB_INSC_IxEEEESG_xNS9_4plusIvEENS9_8equal_toIvEExEE10hipError_tPvRmT2_T3_T4_T5_mT6_T7_P12ihipStream_tbENKUlT_T0_E_clISt17integral_constantIbLb1EES10_IbLb0EEEEDaSW_SX_EUlSW_E_NS1_11comp_targetILNS1_3genE3ELNS1_11target_archE908ELNS1_3gpuE7ELNS1_3repE0EEENS1_30default_config_static_selectorELNS0_4arch9wavefront6targetE0EEEvT1_.has_indirect_call, 0
	.section	.AMDGPU.csdata,"",@progbits
; Kernel info:
; codeLenInByte = 0
; TotalNumSgprs: 0
; NumVgprs: 0
; ScratchSize: 0
; MemoryBound: 0
; FloatMode: 240
; IeeeMode: 1
; LDSByteSize: 0 bytes/workgroup (compile time only)
; SGPRBlocks: 0
; VGPRBlocks: 0
; NumSGPRsForWavesPerEU: 1
; NumVGPRsForWavesPerEU: 1
; Occupancy: 16
; WaveLimiterHint : 0
; COMPUTE_PGM_RSRC2:SCRATCH_EN: 0
; COMPUTE_PGM_RSRC2:USER_SGPR: 6
; COMPUTE_PGM_RSRC2:TRAP_HANDLER: 0
; COMPUTE_PGM_RSRC2:TGID_X_EN: 1
; COMPUTE_PGM_RSRC2:TGID_Y_EN: 0
; COMPUTE_PGM_RSRC2:TGID_Z_EN: 0
; COMPUTE_PGM_RSRC2:TIDIG_COMP_CNT: 0
	.section	.text._ZN7rocprim17ROCPRIM_400000_NS6detail17trampoline_kernelINS0_14default_configENS1_27scan_by_key_config_selectorIixEEZZNS1_16scan_by_key_implILNS1_25lookback_scan_determinismE0ELb1ES3_N6thrust23THRUST_200600_302600_NS6detail15normal_iteratorINS9_10device_ptrIiEEEENSB_INSC_IxEEEESG_xNS9_4plusIvEENS9_8equal_toIvEExEE10hipError_tPvRmT2_T3_T4_T5_mT6_T7_P12ihipStream_tbENKUlT_T0_E_clISt17integral_constantIbLb1EES10_IbLb0EEEEDaSW_SX_EUlSW_E_NS1_11comp_targetILNS1_3genE2ELNS1_11target_archE906ELNS1_3gpuE6ELNS1_3repE0EEENS1_30default_config_static_selectorELNS0_4arch9wavefront6targetE0EEEvT1_,"axG",@progbits,_ZN7rocprim17ROCPRIM_400000_NS6detail17trampoline_kernelINS0_14default_configENS1_27scan_by_key_config_selectorIixEEZZNS1_16scan_by_key_implILNS1_25lookback_scan_determinismE0ELb1ES3_N6thrust23THRUST_200600_302600_NS6detail15normal_iteratorINS9_10device_ptrIiEEEENSB_INSC_IxEEEESG_xNS9_4plusIvEENS9_8equal_toIvEExEE10hipError_tPvRmT2_T3_T4_T5_mT6_T7_P12ihipStream_tbENKUlT_T0_E_clISt17integral_constantIbLb1EES10_IbLb0EEEEDaSW_SX_EUlSW_E_NS1_11comp_targetILNS1_3genE2ELNS1_11target_archE906ELNS1_3gpuE6ELNS1_3repE0EEENS1_30default_config_static_selectorELNS0_4arch9wavefront6targetE0EEEvT1_,comdat
	.protected	_ZN7rocprim17ROCPRIM_400000_NS6detail17trampoline_kernelINS0_14default_configENS1_27scan_by_key_config_selectorIixEEZZNS1_16scan_by_key_implILNS1_25lookback_scan_determinismE0ELb1ES3_N6thrust23THRUST_200600_302600_NS6detail15normal_iteratorINS9_10device_ptrIiEEEENSB_INSC_IxEEEESG_xNS9_4plusIvEENS9_8equal_toIvEExEE10hipError_tPvRmT2_T3_T4_T5_mT6_T7_P12ihipStream_tbENKUlT_T0_E_clISt17integral_constantIbLb1EES10_IbLb0EEEEDaSW_SX_EUlSW_E_NS1_11comp_targetILNS1_3genE2ELNS1_11target_archE906ELNS1_3gpuE6ELNS1_3repE0EEENS1_30default_config_static_selectorELNS0_4arch9wavefront6targetE0EEEvT1_ ; -- Begin function _ZN7rocprim17ROCPRIM_400000_NS6detail17trampoline_kernelINS0_14default_configENS1_27scan_by_key_config_selectorIixEEZZNS1_16scan_by_key_implILNS1_25lookback_scan_determinismE0ELb1ES3_N6thrust23THRUST_200600_302600_NS6detail15normal_iteratorINS9_10device_ptrIiEEEENSB_INSC_IxEEEESG_xNS9_4plusIvEENS9_8equal_toIvEExEE10hipError_tPvRmT2_T3_T4_T5_mT6_T7_P12ihipStream_tbENKUlT_T0_E_clISt17integral_constantIbLb1EES10_IbLb0EEEEDaSW_SX_EUlSW_E_NS1_11comp_targetILNS1_3genE2ELNS1_11target_archE906ELNS1_3gpuE6ELNS1_3repE0EEENS1_30default_config_static_selectorELNS0_4arch9wavefront6targetE0EEEvT1_
	.globl	_ZN7rocprim17ROCPRIM_400000_NS6detail17trampoline_kernelINS0_14default_configENS1_27scan_by_key_config_selectorIixEEZZNS1_16scan_by_key_implILNS1_25lookback_scan_determinismE0ELb1ES3_N6thrust23THRUST_200600_302600_NS6detail15normal_iteratorINS9_10device_ptrIiEEEENSB_INSC_IxEEEESG_xNS9_4plusIvEENS9_8equal_toIvEExEE10hipError_tPvRmT2_T3_T4_T5_mT6_T7_P12ihipStream_tbENKUlT_T0_E_clISt17integral_constantIbLb1EES10_IbLb0EEEEDaSW_SX_EUlSW_E_NS1_11comp_targetILNS1_3genE2ELNS1_11target_archE906ELNS1_3gpuE6ELNS1_3repE0EEENS1_30default_config_static_selectorELNS0_4arch9wavefront6targetE0EEEvT1_
	.p2align	8
	.type	_ZN7rocprim17ROCPRIM_400000_NS6detail17trampoline_kernelINS0_14default_configENS1_27scan_by_key_config_selectorIixEEZZNS1_16scan_by_key_implILNS1_25lookback_scan_determinismE0ELb1ES3_N6thrust23THRUST_200600_302600_NS6detail15normal_iteratorINS9_10device_ptrIiEEEENSB_INSC_IxEEEESG_xNS9_4plusIvEENS9_8equal_toIvEExEE10hipError_tPvRmT2_T3_T4_T5_mT6_T7_P12ihipStream_tbENKUlT_T0_E_clISt17integral_constantIbLb1EES10_IbLb0EEEEDaSW_SX_EUlSW_E_NS1_11comp_targetILNS1_3genE2ELNS1_11target_archE906ELNS1_3gpuE6ELNS1_3repE0EEENS1_30default_config_static_selectorELNS0_4arch9wavefront6targetE0EEEvT1_,@function
_ZN7rocprim17ROCPRIM_400000_NS6detail17trampoline_kernelINS0_14default_configENS1_27scan_by_key_config_selectorIixEEZZNS1_16scan_by_key_implILNS1_25lookback_scan_determinismE0ELb1ES3_N6thrust23THRUST_200600_302600_NS6detail15normal_iteratorINS9_10device_ptrIiEEEENSB_INSC_IxEEEESG_xNS9_4plusIvEENS9_8equal_toIvEExEE10hipError_tPvRmT2_T3_T4_T5_mT6_T7_P12ihipStream_tbENKUlT_T0_E_clISt17integral_constantIbLb1EES10_IbLb0EEEEDaSW_SX_EUlSW_E_NS1_11comp_targetILNS1_3genE2ELNS1_11target_archE906ELNS1_3gpuE6ELNS1_3repE0EEENS1_30default_config_static_selectorELNS0_4arch9wavefront6targetE0EEEvT1_: ; @_ZN7rocprim17ROCPRIM_400000_NS6detail17trampoline_kernelINS0_14default_configENS1_27scan_by_key_config_selectorIixEEZZNS1_16scan_by_key_implILNS1_25lookback_scan_determinismE0ELb1ES3_N6thrust23THRUST_200600_302600_NS6detail15normal_iteratorINS9_10device_ptrIiEEEENSB_INSC_IxEEEESG_xNS9_4plusIvEENS9_8equal_toIvEExEE10hipError_tPvRmT2_T3_T4_T5_mT6_T7_P12ihipStream_tbENKUlT_T0_E_clISt17integral_constantIbLb1EES10_IbLb0EEEEDaSW_SX_EUlSW_E_NS1_11comp_targetILNS1_3genE2ELNS1_11target_archE906ELNS1_3gpuE6ELNS1_3repE0EEENS1_30default_config_static_selectorELNS0_4arch9wavefront6targetE0EEEvT1_
; %bb.0:
	.section	.rodata,"a",@progbits
	.p2align	6, 0x0
	.amdhsa_kernel _ZN7rocprim17ROCPRIM_400000_NS6detail17trampoline_kernelINS0_14default_configENS1_27scan_by_key_config_selectorIixEEZZNS1_16scan_by_key_implILNS1_25lookback_scan_determinismE0ELb1ES3_N6thrust23THRUST_200600_302600_NS6detail15normal_iteratorINS9_10device_ptrIiEEEENSB_INSC_IxEEEESG_xNS9_4plusIvEENS9_8equal_toIvEExEE10hipError_tPvRmT2_T3_T4_T5_mT6_T7_P12ihipStream_tbENKUlT_T0_E_clISt17integral_constantIbLb1EES10_IbLb0EEEEDaSW_SX_EUlSW_E_NS1_11comp_targetILNS1_3genE2ELNS1_11target_archE906ELNS1_3gpuE6ELNS1_3repE0EEENS1_30default_config_static_selectorELNS0_4arch9wavefront6targetE0EEEvT1_
		.amdhsa_group_segment_fixed_size 0
		.amdhsa_private_segment_fixed_size 0
		.amdhsa_kernarg_size 136
		.amdhsa_user_sgpr_count 6
		.amdhsa_user_sgpr_private_segment_buffer 1
		.amdhsa_user_sgpr_dispatch_ptr 0
		.amdhsa_user_sgpr_queue_ptr 0
		.amdhsa_user_sgpr_kernarg_segment_ptr 1
		.amdhsa_user_sgpr_dispatch_id 0
		.amdhsa_user_sgpr_flat_scratch_init 0
		.amdhsa_user_sgpr_private_segment_size 0
		.amdhsa_wavefront_size32 1
		.amdhsa_uses_dynamic_stack 0
		.amdhsa_system_sgpr_private_segment_wavefront_offset 0
		.amdhsa_system_sgpr_workgroup_id_x 1
		.amdhsa_system_sgpr_workgroup_id_y 0
		.amdhsa_system_sgpr_workgroup_id_z 0
		.amdhsa_system_sgpr_workgroup_info 0
		.amdhsa_system_vgpr_workitem_id 0
		.amdhsa_next_free_vgpr 1
		.amdhsa_next_free_sgpr 1
		.amdhsa_reserve_vcc 0
		.amdhsa_reserve_flat_scratch 0
		.amdhsa_float_round_mode_32 0
		.amdhsa_float_round_mode_16_64 0
		.amdhsa_float_denorm_mode_32 3
		.amdhsa_float_denorm_mode_16_64 3
		.amdhsa_dx10_clamp 1
		.amdhsa_ieee_mode 1
		.amdhsa_fp16_overflow 0
		.amdhsa_workgroup_processor_mode 1
		.amdhsa_memory_ordered 1
		.amdhsa_forward_progress 1
		.amdhsa_shared_vgpr_count 0
		.amdhsa_exception_fp_ieee_invalid_op 0
		.amdhsa_exception_fp_denorm_src 0
		.amdhsa_exception_fp_ieee_div_zero 0
		.amdhsa_exception_fp_ieee_overflow 0
		.amdhsa_exception_fp_ieee_underflow 0
		.amdhsa_exception_fp_ieee_inexact 0
		.amdhsa_exception_int_div_zero 0
	.end_amdhsa_kernel
	.section	.text._ZN7rocprim17ROCPRIM_400000_NS6detail17trampoline_kernelINS0_14default_configENS1_27scan_by_key_config_selectorIixEEZZNS1_16scan_by_key_implILNS1_25lookback_scan_determinismE0ELb1ES3_N6thrust23THRUST_200600_302600_NS6detail15normal_iteratorINS9_10device_ptrIiEEEENSB_INSC_IxEEEESG_xNS9_4plusIvEENS9_8equal_toIvEExEE10hipError_tPvRmT2_T3_T4_T5_mT6_T7_P12ihipStream_tbENKUlT_T0_E_clISt17integral_constantIbLb1EES10_IbLb0EEEEDaSW_SX_EUlSW_E_NS1_11comp_targetILNS1_3genE2ELNS1_11target_archE906ELNS1_3gpuE6ELNS1_3repE0EEENS1_30default_config_static_selectorELNS0_4arch9wavefront6targetE0EEEvT1_,"axG",@progbits,_ZN7rocprim17ROCPRIM_400000_NS6detail17trampoline_kernelINS0_14default_configENS1_27scan_by_key_config_selectorIixEEZZNS1_16scan_by_key_implILNS1_25lookback_scan_determinismE0ELb1ES3_N6thrust23THRUST_200600_302600_NS6detail15normal_iteratorINS9_10device_ptrIiEEEENSB_INSC_IxEEEESG_xNS9_4plusIvEENS9_8equal_toIvEExEE10hipError_tPvRmT2_T3_T4_T5_mT6_T7_P12ihipStream_tbENKUlT_T0_E_clISt17integral_constantIbLb1EES10_IbLb0EEEEDaSW_SX_EUlSW_E_NS1_11comp_targetILNS1_3genE2ELNS1_11target_archE906ELNS1_3gpuE6ELNS1_3repE0EEENS1_30default_config_static_selectorELNS0_4arch9wavefront6targetE0EEEvT1_,comdat
.Lfunc_end1594:
	.size	_ZN7rocprim17ROCPRIM_400000_NS6detail17trampoline_kernelINS0_14default_configENS1_27scan_by_key_config_selectorIixEEZZNS1_16scan_by_key_implILNS1_25lookback_scan_determinismE0ELb1ES3_N6thrust23THRUST_200600_302600_NS6detail15normal_iteratorINS9_10device_ptrIiEEEENSB_INSC_IxEEEESG_xNS9_4plusIvEENS9_8equal_toIvEExEE10hipError_tPvRmT2_T3_T4_T5_mT6_T7_P12ihipStream_tbENKUlT_T0_E_clISt17integral_constantIbLb1EES10_IbLb0EEEEDaSW_SX_EUlSW_E_NS1_11comp_targetILNS1_3genE2ELNS1_11target_archE906ELNS1_3gpuE6ELNS1_3repE0EEENS1_30default_config_static_selectorELNS0_4arch9wavefront6targetE0EEEvT1_, .Lfunc_end1594-_ZN7rocprim17ROCPRIM_400000_NS6detail17trampoline_kernelINS0_14default_configENS1_27scan_by_key_config_selectorIixEEZZNS1_16scan_by_key_implILNS1_25lookback_scan_determinismE0ELb1ES3_N6thrust23THRUST_200600_302600_NS6detail15normal_iteratorINS9_10device_ptrIiEEEENSB_INSC_IxEEEESG_xNS9_4plusIvEENS9_8equal_toIvEExEE10hipError_tPvRmT2_T3_T4_T5_mT6_T7_P12ihipStream_tbENKUlT_T0_E_clISt17integral_constantIbLb1EES10_IbLb0EEEEDaSW_SX_EUlSW_E_NS1_11comp_targetILNS1_3genE2ELNS1_11target_archE906ELNS1_3gpuE6ELNS1_3repE0EEENS1_30default_config_static_selectorELNS0_4arch9wavefront6targetE0EEEvT1_
                                        ; -- End function
	.set _ZN7rocprim17ROCPRIM_400000_NS6detail17trampoline_kernelINS0_14default_configENS1_27scan_by_key_config_selectorIixEEZZNS1_16scan_by_key_implILNS1_25lookback_scan_determinismE0ELb1ES3_N6thrust23THRUST_200600_302600_NS6detail15normal_iteratorINS9_10device_ptrIiEEEENSB_INSC_IxEEEESG_xNS9_4plusIvEENS9_8equal_toIvEExEE10hipError_tPvRmT2_T3_T4_T5_mT6_T7_P12ihipStream_tbENKUlT_T0_E_clISt17integral_constantIbLb1EES10_IbLb0EEEEDaSW_SX_EUlSW_E_NS1_11comp_targetILNS1_3genE2ELNS1_11target_archE906ELNS1_3gpuE6ELNS1_3repE0EEENS1_30default_config_static_selectorELNS0_4arch9wavefront6targetE0EEEvT1_.num_vgpr, 0
	.set _ZN7rocprim17ROCPRIM_400000_NS6detail17trampoline_kernelINS0_14default_configENS1_27scan_by_key_config_selectorIixEEZZNS1_16scan_by_key_implILNS1_25lookback_scan_determinismE0ELb1ES3_N6thrust23THRUST_200600_302600_NS6detail15normal_iteratorINS9_10device_ptrIiEEEENSB_INSC_IxEEEESG_xNS9_4plusIvEENS9_8equal_toIvEExEE10hipError_tPvRmT2_T3_T4_T5_mT6_T7_P12ihipStream_tbENKUlT_T0_E_clISt17integral_constantIbLb1EES10_IbLb0EEEEDaSW_SX_EUlSW_E_NS1_11comp_targetILNS1_3genE2ELNS1_11target_archE906ELNS1_3gpuE6ELNS1_3repE0EEENS1_30default_config_static_selectorELNS0_4arch9wavefront6targetE0EEEvT1_.num_agpr, 0
	.set _ZN7rocprim17ROCPRIM_400000_NS6detail17trampoline_kernelINS0_14default_configENS1_27scan_by_key_config_selectorIixEEZZNS1_16scan_by_key_implILNS1_25lookback_scan_determinismE0ELb1ES3_N6thrust23THRUST_200600_302600_NS6detail15normal_iteratorINS9_10device_ptrIiEEEENSB_INSC_IxEEEESG_xNS9_4plusIvEENS9_8equal_toIvEExEE10hipError_tPvRmT2_T3_T4_T5_mT6_T7_P12ihipStream_tbENKUlT_T0_E_clISt17integral_constantIbLb1EES10_IbLb0EEEEDaSW_SX_EUlSW_E_NS1_11comp_targetILNS1_3genE2ELNS1_11target_archE906ELNS1_3gpuE6ELNS1_3repE0EEENS1_30default_config_static_selectorELNS0_4arch9wavefront6targetE0EEEvT1_.numbered_sgpr, 0
	.set _ZN7rocprim17ROCPRIM_400000_NS6detail17trampoline_kernelINS0_14default_configENS1_27scan_by_key_config_selectorIixEEZZNS1_16scan_by_key_implILNS1_25lookback_scan_determinismE0ELb1ES3_N6thrust23THRUST_200600_302600_NS6detail15normal_iteratorINS9_10device_ptrIiEEEENSB_INSC_IxEEEESG_xNS9_4plusIvEENS9_8equal_toIvEExEE10hipError_tPvRmT2_T3_T4_T5_mT6_T7_P12ihipStream_tbENKUlT_T0_E_clISt17integral_constantIbLb1EES10_IbLb0EEEEDaSW_SX_EUlSW_E_NS1_11comp_targetILNS1_3genE2ELNS1_11target_archE906ELNS1_3gpuE6ELNS1_3repE0EEENS1_30default_config_static_selectorELNS0_4arch9wavefront6targetE0EEEvT1_.num_named_barrier, 0
	.set _ZN7rocprim17ROCPRIM_400000_NS6detail17trampoline_kernelINS0_14default_configENS1_27scan_by_key_config_selectorIixEEZZNS1_16scan_by_key_implILNS1_25lookback_scan_determinismE0ELb1ES3_N6thrust23THRUST_200600_302600_NS6detail15normal_iteratorINS9_10device_ptrIiEEEENSB_INSC_IxEEEESG_xNS9_4plusIvEENS9_8equal_toIvEExEE10hipError_tPvRmT2_T3_T4_T5_mT6_T7_P12ihipStream_tbENKUlT_T0_E_clISt17integral_constantIbLb1EES10_IbLb0EEEEDaSW_SX_EUlSW_E_NS1_11comp_targetILNS1_3genE2ELNS1_11target_archE906ELNS1_3gpuE6ELNS1_3repE0EEENS1_30default_config_static_selectorELNS0_4arch9wavefront6targetE0EEEvT1_.private_seg_size, 0
	.set _ZN7rocprim17ROCPRIM_400000_NS6detail17trampoline_kernelINS0_14default_configENS1_27scan_by_key_config_selectorIixEEZZNS1_16scan_by_key_implILNS1_25lookback_scan_determinismE0ELb1ES3_N6thrust23THRUST_200600_302600_NS6detail15normal_iteratorINS9_10device_ptrIiEEEENSB_INSC_IxEEEESG_xNS9_4plusIvEENS9_8equal_toIvEExEE10hipError_tPvRmT2_T3_T4_T5_mT6_T7_P12ihipStream_tbENKUlT_T0_E_clISt17integral_constantIbLb1EES10_IbLb0EEEEDaSW_SX_EUlSW_E_NS1_11comp_targetILNS1_3genE2ELNS1_11target_archE906ELNS1_3gpuE6ELNS1_3repE0EEENS1_30default_config_static_selectorELNS0_4arch9wavefront6targetE0EEEvT1_.uses_vcc, 0
	.set _ZN7rocprim17ROCPRIM_400000_NS6detail17trampoline_kernelINS0_14default_configENS1_27scan_by_key_config_selectorIixEEZZNS1_16scan_by_key_implILNS1_25lookback_scan_determinismE0ELb1ES3_N6thrust23THRUST_200600_302600_NS6detail15normal_iteratorINS9_10device_ptrIiEEEENSB_INSC_IxEEEESG_xNS9_4plusIvEENS9_8equal_toIvEExEE10hipError_tPvRmT2_T3_T4_T5_mT6_T7_P12ihipStream_tbENKUlT_T0_E_clISt17integral_constantIbLb1EES10_IbLb0EEEEDaSW_SX_EUlSW_E_NS1_11comp_targetILNS1_3genE2ELNS1_11target_archE906ELNS1_3gpuE6ELNS1_3repE0EEENS1_30default_config_static_selectorELNS0_4arch9wavefront6targetE0EEEvT1_.uses_flat_scratch, 0
	.set _ZN7rocprim17ROCPRIM_400000_NS6detail17trampoline_kernelINS0_14default_configENS1_27scan_by_key_config_selectorIixEEZZNS1_16scan_by_key_implILNS1_25lookback_scan_determinismE0ELb1ES3_N6thrust23THRUST_200600_302600_NS6detail15normal_iteratorINS9_10device_ptrIiEEEENSB_INSC_IxEEEESG_xNS9_4plusIvEENS9_8equal_toIvEExEE10hipError_tPvRmT2_T3_T4_T5_mT6_T7_P12ihipStream_tbENKUlT_T0_E_clISt17integral_constantIbLb1EES10_IbLb0EEEEDaSW_SX_EUlSW_E_NS1_11comp_targetILNS1_3genE2ELNS1_11target_archE906ELNS1_3gpuE6ELNS1_3repE0EEENS1_30default_config_static_selectorELNS0_4arch9wavefront6targetE0EEEvT1_.has_dyn_sized_stack, 0
	.set _ZN7rocprim17ROCPRIM_400000_NS6detail17trampoline_kernelINS0_14default_configENS1_27scan_by_key_config_selectorIixEEZZNS1_16scan_by_key_implILNS1_25lookback_scan_determinismE0ELb1ES3_N6thrust23THRUST_200600_302600_NS6detail15normal_iteratorINS9_10device_ptrIiEEEENSB_INSC_IxEEEESG_xNS9_4plusIvEENS9_8equal_toIvEExEE10hipError_tPvRmT2_T3_T4_T5_mT6_T7_P12ihipStream_tbENKUlT_T0_E_clISt17integral_constantIbLb1EES10_IbLb0EEEEDaSW_SX_EUlSW_E_NS1_11comp_targetILNS1_3genE2ELNS1_11target_archE906ELNS1_3gpuE6ELNS1_3repE0EEENS1_30default_config_static_selectorELNS0_4arch9wavefront6targetE0EEEvT1_.has_recursion, 0
	.set _ZN7rocprim17ROCPRIM_400000_NS6detail17trampoline_kernelINS0_14default_configENS1_27scan_by_key_config_selectorIixEEZZNS1_16scan_by_key_implILNS1_25lookback_scan_determinismE0ELb1ES3_N6thrust23THRUST_200600_302600_NS6detail15normal_iteratorINS9_10device_ptrIiEEEENSB_INSC_IxEEEESG_xNS9_4plusIvEENS9_8equal_toIvEExEE10hipError_tPvRmT2_T3_T4_T5_mT6_T7_P12ihipStream_tbENKUlT_T0_E_clISt17integral_constantIbLb1EES10_IbLb0EEEEDaSW_SX_EUlSW_E_NS1_11comp_targetILNS1_3genE2ELNS1_11target_archE906ELNS1_3gpuE6ELNS1_3repE0EEENS1_30default_config_static_selectorELNS0_4arch9wavefront6targetE0EEEvT1_.has_indirect_call, 0
	.section	.AMDGPU.csdata,"",@progbits
; Kernel info:
; codeLenInByte = 0
; TotalNumSgprs: 0
; NumVgprs: 0
; ScratchSize: 0
; MemoryBound: 0
; FloatMode: 240
; IeeeMode: 1
; LDSByteSize: 0 bytes/workgroup (compile time only)
; SGPRBlocks: 0
; VGPRBlocks: 0
; NumSGPRsForWavesPerEU: 1
; NumVGPRsForWavesPerEU: 1
; Occupancy: 16
; WaveLimiterHint : 0
; COMPUTE_PGM_RSRC2:SCRATCH_EN: 0
; COMPUTE_PGM_RSRC2:USER_SGPR: 6
; COMPUTE_PGM_RSRC2:TRAP_HANDLER: 0
; COMPUTE_PGM_RSRC2:TGID_X_EN: 1
; COMPUTE_PGM_RSRC2:TGID_Y_EN: 0
; COMPUTE_PGM_RSRC2:TGID_Z_EN: 0
; COMPUTE_PGM_RSRC2:TIDIG_COMP_CNT: 0
	.section	.text._ZN7rocprim17ROCPRIM_400000_NS6detail17trampoline_kernelINS0_14default_configENS1_27scan_by_key_config_selectorIixEEZZNS1_16scan_by_key_implILNS1_25lookback_scan_determinismE0ELb1ES3_N6thrust23THRUST_200600_302600_NS6detail15normal_iteratorINS9_10device_ptrIiEEEENSB_INSC_IxEEEESG_xNS9_4plusIvEENS9_8equal_toIvEExEE10hipError_tPvRmT2_T3_T4_T5_mT6_T7_P12ihipStream_tbENKUlT_T0_E_clISt17integral_constantIbLb1EES10_IbLb0EEEEDaSW_SX_EUlSW_E_NS1_11comp_targetILNS1_3genE10ELNS1_11target_archE1200ELNS1_3gpuE4ELNS1_3repE0EEENS1_30default_config_static_selectorELNS0_4arch9wavefront6targetE0EEEvT1_,"axG",@progbits,_ZN7rocprim17ROCPRIM_400000_NS6detail17trampoline_kernelINS0_14default_configENS1_27scan_by_key_config_selectorIixEEZZNS1_16scan_by_key_implILNS1_25lookback_scan_determinismE0ELb1ES3_N6thrust23THRUST_200600_302600_NS6detail15normal_iteratorINS9_10device_ptrIiEEEENSB_INSC_IxEEEESG_xNS9_4plusIvEENS9_8equal_toIvEExEE10hipError_tPvRmT2_T3_T4_T5_mT6_T7_P12ihipStream_tbENKUlT_T0_E_clISt17integral_constantIbLb1EES10_IbLb0EEEEDaSW_SX_EUlSW_E_NS1_11comp_targetILNS1_3genE10ELNS1_11target_archE1200ELNS1_3gpuE4ELNS1_3repE0EEENS1_30default_config_static_selectorELNS0_4arch9wavefront6targetE0EEEvT1_,comdat
	.protected	_ZN7rocprim17ROCPRIM_400000_NS6detail17trampoline_kernelINS0_14default_configENS1_27scan_by_key_config_selectorIixEEZZNS1_16scan_by_key_implILNS1_25lookback_scan_determinismE0ELb1ES3_N6thrust23THRUST_200600_302600_NS6detail15normal_iteratorINS9_10device_ptrIiEEEENSB_INSC_IxEEEESG_xNS9_4plusIvEENS9_8equal_toIvEExEE10hipError_tPvRmT2_T3_T4_T5_mT6_T7_P12ihipStream_tbENKUlT_T0_E_clISt17integral_constantIbLb1EES10_IbLb0EEEEDaSW_SX_EUlSW_E_NS1_11comp_targetILNS1_3genE10ELNS1_11target_archE1200ELNS1_3gpuE4ELNS1_3repE0EEENS1_30default_config_static_selectorELNS0_4arch9wavefront6targetE0EEEvT1_ ; -- Begin function _ZN7rocprim17ROCPRIM_400000_NS6detail17trampoline_kernelINS0_14default_configENS1_27scan_by_key_config_selectorIixEEZZNS1_16scan_by_key_implILNS1_25lookback_scan_determinismE0ELb1ES3_N6thrust23THRUST_200600_302600_NS6detail15normal_iteratorINS9_10device_ptrIiEEEENSB_INSC_IxEEEESG_xNS9_4plusIvEENS9_8equal_toIvEExEE10hipError_tPvRmT2_T3_T4_T5_mT6_T7_P12ihipStream_tbENKUlT_T0_E_clISt17integral_constantIbLb1EES10_IbLb0EEEEDaSW_SX_EUlSW_E_NS1_11comp_targetILNS1_3genE10ELNS1_11target_archE1200ELNS1_3gpuE4ELNS1_3repE0EEENS1_30default_config_static_selectorELNS0_4arch9wavefront6targetE0EEEvT1_
	.globl	_ZN7rocprim17ROCPRIM_400000_NS6detail17trampoline_kernelINS0_14default_configENS1_27scan_by_key_config_selectorIixEEZZNS1_16scan_by_key_implILNS1_25lookback_scan_determinismE0ELb1ES3_N6thrust23THRUST_200600_302600_NS6detail15normal_iteratorINS9_10device_ptrIiEEEENSB_INSC_IxEEEESG_xNS9_4plusIvEENS9_8equal_toIvEExEE10hipError_tPvRmT2_T3_T4_T5_mT6_T7_P12ihipStream_tbENKUlT_T0_E_clISt17integral_constantIbLb1EES10_IbLb0EEEEDaSW_SX_EUlSW_E_NS1_11comp_targetILNS1_3genE10ELNS1_11target_archE1200ELNS1_3gpuE4ELNS1_3repE0EEENS1_30default_config_static_selectorELNS0_4arch9wavefront6targetE0EEEvT1_
	.p2align	8
	.type	_ZN7rocprim17ROCPRIM_400000_NS6detail17trampoline_kernelINS0_14default_configENS1_27scan_by_key_config_selectorIixEEZZNS1_16scan_by_key_implILNS1_25lookback_scan_determinismE0ELb1ES3_N6thrust23THRUST_200600_302600_NS6detail15normal_iteratorINS9_10device_ptrIiEEEENSB_INSC_IxEEEESG_xNS9_4plusIvEENS9_8equal_toIvEExEE10hipError_tPvRmT2_T3_T4_T5_mT6_T7_P12ihipStream_tbENKUlT_T0_E_clISt17integral_constantIbLb1EES10_IbLb0EEEEDaSW_SX_EUlSW_E_NS1_11comp_targetILNS1_3genE10ELNS1_11target_archE1200ELNS1_3gpuE4ELNS1_3repE0EEENS1_30default_config_static_selectorELNS0_4arch9wavefront6targetE0EEEvT1_,@function
_ZN7rocprim17ROCPRIM_400000_NS6detail17trampoline_kernelINS0_14default_configENS1_27scan_by_key_config_selectorIixEEZZNS1_16scan_by_key_implILNS1_25lookback_scan_determinismE0ELb1ES3_N6thrust23THRUST_200600_302600_NS6detail15normal_iteratorINS9_10device_ptrIiEEEENSB_INSC_IxEEEESG_xNS9_4plusIvEENS9_8equal_toIvEExEE10hipError_tPvRmT2_T3_T4_T5_mT6_T7_P12ihipStream_tbENKUlT_T0_E_clISt17integral_constantIbLb1EES10_IbLb0EEEEDaSW_SX_EUlSW_E_NS1_11comp_targetILNS1_3genE10ELNS1_11target_archE1200ELNS1_3gpuE4ELNS1_3repE0EEENS1_30default_config_static_selectorELNS0_4arch9wavefront6targetE0EEEvT1_: ; @_ZN7rocprim17ROCPRIM_400000_NS6detail17trampoline_kernelINS0_14default_configENS1_27scan_by_key_config_selectorIixEEZZNS1_16scan_by_key_implILNS1_25lookback_scan_determinismE0ELb1ES3_N6thrust23THRUST_200600_302600_NS6detail15normal_iteratorINS9_10device_ptrIiEEEENSB_INSC_IxEEEESG_xNS9_4plusIvEENS9_8equal_toIvEExEE10hipError_tPvRmT2_T3_T4_T5_mT6_T7_P12ihipStream_tbENKUlT_T0_E_clISt17integral_constantIbLb1EES10_IbLb0EEEEDaSW_SX_EUlSW_E_NS1_11comp_targetILNS1_3genE10ELNS1_11target_archE1200ELNS1_3gpuE4ELNS1_3repE0EEENS1_30default_config_static_selectorELNS0_4arch9wavefront6targetE0EEEvT1_
; %bb.0:
	.section	.rodata,"a",@progbits
	.p2align	6, 0x0
	.amdhsa_kernel _ZN7rocprim17ROCPRIM_400000_NS6detail17trampoline_kernelINS0_14default_configENS1_27scan_by_key_config_selectorIixEEZZNS1_16scan_by_key_implILNS1_25lookback_scan_determinismE0ELb1ES3_N6thrust23THRUST_200600_302600_NS6detail15normal_iteratorINS9_10device_ptrIiEEEENSB_INSC_IxEEEESG_xNS9_4plusIvEENS9_8equal_toIvEExEE10hipError_tPvRmT2_T3_T4_T5_mT6_T7_P12ihipStream_tbENKUlT_T0_E_clISt17integral_constantIbLb1EES10_IbLb0EEEEDaSW_SX_EUlSW_E_NS1_11comp_targetILNS1_3genE10ELNS1_11target_archE1200ELNS1_3gpuE4ELNS1_3repE0EEENS1_30default_config_static_selectorELNS0_4arch9wavefront6targetE0EEEvT1_
		.amdhsa_group_segment_fixed_size 0
		.amdhsa_private_segment_fixed_size 0
		.amdhsa_kernarg_size 136
		.amdhsa_user_sgpr_count 6
		.amdhsa_user_sgpr_private_segment_buffer 1
		.amdhsa_user_sgpr_dispatch_ptr 0
		.amdhsa_user_sgpr_queue_ptr 0
		.amdhsa_user_sgpr_kernarg_segment_ptr 1
		.amdhsa_user_sgpr_dispatch_id 0
		.amdhsa_user_sgpr_flat_scratch_init 0
		.amdhsa_user_sgpr_private_segment_size 0
		.amdhsa_wavefront_size32 1
		.amdhsa_uses_dynamic_stack 0
		.amdhsa_system_sgpr_private_segment_wavefront_offset 0
		.amdhsa_system_sgpr_workgroup_id_x 1
		.amdhsa_system_sgpr_workgroup_id_y 0
		.amdhsa_system_sgpr_workgroup_id_z 0
		.amdhsa_system_sgpr_workgroup_info 0
		.amdhsa_system_vgpr_workitem_id 0
		.amdhsa_next_free_vgpr 1
		.amdhsa_next_free_sgpr 1
		.amdhsa_reserve_vcc 0
		.amdhsa_reserve_flat_scratch 0
		.amdhsa_float_round_mode_32 0
		.amdhsa_float_round_mode_16_64 0
		.amdhsa_float_denorm_mode_32 3
		.amdhsa_float_denorm_mode_16_64 3
		.amdhsa_dx10_clamp 1
		.amdhsa_ieee_mode 1
		.amdhsa_fp16_overflow 0
		.amdhsa_workgroup_processor_mode 1
		.amdhsa_memory_ordered 1
		.amdhsa_forward_progress 1
		.amdhsa_shared_vgpr_count 0
		.amdhsa_exception_fp_ieee_invalid_op 0
		.amdhsa_exception_fp_denorm_src 0
		.amdhsa_exception_fp_ieee_div_zero 0
		.amdhsa_exception_fp_ieee_overflow 0
		.amdhsa_exception_fp_ieee_underflow 0
		.amdhsa_exception_fp_ieee_inexact 0
		.amdhsa_exception_int_div_zero 0
	.end_amdhsa_kernel
	.section	.text._ZN7rocprim17ROCPRIM_400000_NS6detail17trampoline_kernelINS0_14default_configENS1_27scan_by_key_config_selectorIixEEZZNS1_16scan_by_key_implILNS1_25lookback_scan_determinismE0ELb1ES3_N6thrust23THRUST_200600_302600_NS6detail15normal_iteratorINS9_10device_ptrIiEEEENSB_INSC_IxEEEESG_xNS9_4plusIvEENS9_8equal_toIvEExEE10hipError_tPvRmT2_T3_T4_T5_mT6_T7_P12ihipStream_tbENKUlT_T0_E_clISt17integral_constantIbLb1EES10_IbLb0EEEEDaSW_SX_EUlSW_E_NS1_11comp_targetILNS1_3genE10ELNS1_11target_archE1200ELNS1_3gpuE4ELNS1_3repE0EEENS1_30default_config_static_selectorELNS0_4arch9wavefront6targetE0EEEvT1_,"axG",@progbits,_ZN7rocprim17ROCPRIM_400000_NS6detail17trampoline_kernelINS0_14default_configENS1_27scan_by_key_config_selectorIixEEZZNS1_16scan_by_key_implILNS1_25lookback_scan_determinismE0ELb1ES3_N6thrust23THRUST_200600_302600_NS6detail15normal_iteratorINS9_10device_ptrIiEEEENSB_INSC_IxEEEESG_xNS9_4plusIvEENS9_8equal_toIvEExEE10hipError_tPvRmT2_T3_T4_T5_mT6_T7_P12ihipStream_tbENKUlT_T0_E_clISt17integral_constantIbLb1EES10_IbLb0EEEEDaSW_SX_EUlSW_E_NS1_11comp_targetILNS1_3genE10ELNS1_11target_archE1200ELNS1_3gpuE4ELNS1_3repE0EEENS1_30default_config_static_selectorELNS0_4arch9wavefront6targetE0EEEvT1_,comdat
.Lfunc_end1595:
	.size	_ZN7rocprim17ROCPRIM_400000_NS6detail17trampoline_kernelINS0_14default_configENS1_27scan_by_key_config_selectorIixEEZZNS1_16scan_by_key_implILNS1_25lookback_scan_determinismE0ELb1ES3_N6thrust23THRUST_200600_302600_NS6detail15normal_iteratorINS9_10device_ptrIiEEEENSB_INSC_IxEEEESG_xNS9_4plusIvEENS9_8equal_toIvEExEE10hipError_tPvRmT2_T3_T4_T5_mT6_T7_P12ihipStream_tbENKUlT_T0_E_clISt17integral_constantIbLb1EES10_IbLb0EEEEDaSW_SX_EUlSW_E_NS1_11comp_targetILNS1_3genE10ELNS1_11target_archE1200ELNS1_3gpuE4ELNS1_3repE0EEENS1_30default_config_static_selectorELNS0_4arch9wavefront6targetE0EEEvT1_, .Lfunc_end1595-_ZN7rocprim17ROCPRIM_400000_NS6detail17trampoline_kernelINS0_14default_configENS1_27scan_by_key_config_selectorIixEEZZNS1_16scan_by_key_implILNS1_25lookback_scan_determinismE0ELb1ES3_N6thrust23THRUST_200600_302600_NS6detail15normal_iteratorINS9_10device_ptrIiEEEENSB_INSC_IxEEEESG_xNS9_4plusIvEENS9_8equal_toIvEExEE10hipError_tPvRmT2_T3_T4_T5_mT6_T7_P12ihipStream_tbENKUlT_T0_E_clISt17integral_constantIbLb1EES10_IbLb0EEEEDaSW_SX_EUlSW_E_NS1_11comp_targetILNS1_3genE10ELNS1_11target_archE1200ELNS1_3gpuE4ELNS1_3repE0EEENS1_30default_config_static_selectorELNS0_4arch9wavefront6targetE0EEEvT1_
                                        ; -- End function
	.set _ZN7rocprim17ROCPRIM_400000_NS6detail17trampoline_kernelINS0_14default_configENS1_27scan_by_key_config_selectorIixEEZZNS1_16scan_by_key_implILNS1_25lookback_scan_determinismE0ELb1ES3_N6thrust23THRUST_200600_302600_NS6detail15normal_iteratorINS9_10device_ptrIiEEEENSB_INSC_IxEEEESG_xNS9_4plusIvEENS9_8equal_toIvEExEE10hipError_tPvRmT2_T3_T4_T5_mT6_T7_P12ihipStream_tbENKUlT_T0_E_clISt17integral_constantIbLb1EES10_IbLb0EEEEDaSW_SX_EUlSW_E_NS1_11comp_targetILNS1_3genE10ELNS1_11target_archE1200ELNS1_3gpuE4ELNS1_3repE0EEENS1_30default_config_static_selectorELNS0_4arch9wavefront6targetE0EEEvT1_.num_vgpr, 0
	.set _ZN7rocprim17ROCPRIM_400000_NS6detail17trampoline_kernelINS0_14default_configENS1_27scan_by_key_config_selectorIixEEZZNS1_16scan_by_key_implILNS1_25lookback_scan_determinismE0ELb1ES3_N6thrust23THRUST_200600_302600_NS6detail15normal_iteratorINS9_10device_ptrIiEEEENSB_INSC_IxEEEESG_xNS9_4plusIvEENS9_8equal_toIvEExEE10hipError_tPvRmT2_T3_T4_T5_mT6_T7_P12ihipStream_tbENKUlT_T0_E_clISt17integral_constantIbLb1EES10_IbLb0EEEEDaSW_SX_EUlSW_E_NS1_11comp_targetILNS1_3genE10ELNS1_11target_archE1200ELNS1_3gpuE4ELNS1_3repE0EEENS1_30default_config_static_selectorELNS0_4arch9wavefront6targetE0EEEvT1_.num_agpr, 0
	.set _ZN7rocprim17ROCPRIM_400000_NS6detail17trampoline_kernelINS0_14default_configENS1_27scan_by_key_config_selectorIixEEZZNS1_16scan_by_key_implILNS1_25lookback_scan_determinismE0ELb1ES3_N6thrust23THRUST_200600_302600_NS6detail15normal_iteratorINS9_10device_ptrIiEEEENSB_INSC_IxEEEESG_xNS9_4plusIvEENS9_8equal_toIvEExEE10hipError_tPvRmT2_T3_T4_T5_mT6_T7_P12ihipStream_tbENKUlT_T0_E_clISt17integral_constantIbLb1EES10_IbLb0EEEEDaSW_SX_EUlSW_E_NS1_11comp_targetILNS1_3genE10ELNS1_11target_archE1200ELNS1_3gpuE4ELNS1_3repE0EEENS1_30default_config_static_selectorELNS0_4arch9wavefront6targetE0EEEvT1_.numbered_sgpr, 0
	.set _ZN7rocprim17ROCPRIM_400000_NS6detail17trampoline_kernelINS0_14default_configENS1_27scan_by_key_config_selectorIixEEZZNS1_16scan_by_key_implILNS1_25lookback_scan_determinismE0ELb1ES3_N6thrust23THRUST_200600_302600_NS6detail15normal_iteratorINS9_10device_ptrIiEEEENSB_INSC_IxEEEESG_xNS9_4plusIvEENS9_8equal_toIvEExEE10hipError_tPvRmT2_T3_T4_T5_mT6_T7_P12ihipStream_tbENKUlT_T0_E_clISt17integral_constantIbLb1EES10_IbLb0EEEEDaSW_SX_EUlSW_E_NS1_11comp_targetILNS1_3genE10ELNS1_11target_archE1200ELNS1_3gpuE4ELNS1_3repE0EEENS1_30default_config_static_selectorELNS0_4arch9wavefront6targetE0EEEvT1_.num_named_barrier, 0
	.set _ZN7rocprim17ROCPRIM_400000_NS6detail17trampoline_kernelINS0_14default_configENS1_27scan_by_key_config_selectorIixEEZZNS1_16scan_by_key_implILNS1_25lookback_scan_determinismE0ELb1ES3_N6thrust23THRUST_200600_302600_NS6detail15normal_iteratorINS9_10device_ptrIiEEEENSB_INSC_IxEEEESG_xNS9_4plusIvEENS9_8equal_toIvEExEE10hipError_tPvRmT2_T3_T4_T5_mT6_T7_P12ihipStream_tbENKUlT_T0_E_clISt17integral_constantIbLb1EES10_IbLb0EEEEDaSW_SX_EUlSW_E_NS1_11comp_targetILNS1_3genE10ELNS1_11target_archE1200ELNS1_3gpuE4ELNS1_3repE0EEENS1_30default_config_static_selectorELNS0_4arch9wavefront6targetE0EEEvT1_.private_seg_size, 0
	.set _ZN7rocprim17ROCPRIM_400000_NS6detail17trampoline_kernelINS0_14default_configENS1_27scan_by_key_config_selectorIixEEZZNS1_16scan_by_key_implILNS1_25lookback_scan_determinismE0ELb1ES3_N6thrust23THRUST_200600_302600_NS6detail15normal_iteratorINS9_10device_ptrIiEEEENSB_INSC_IxEEEESG_xNS9_4plusIvEENS9_8equal_toIvEExEE10hipError_tPvRmT2_T3_T4_T5_mT6_T7_P12ihipStream_tbENKUlT_T0_E_clISt17integral_constantIbLb1EES10_IbLb0EEEEDaSW_SX_EUlSW_E_NS1_11comp_targetILNS1_3genE10ELNS1_11target_archE1200ELNS1_3gpuE4ELNS1_3repE0EEENS1_30default_config_static_selectorELNS0_4arch9wavefront6targetE0EEEvT1_.uses_vcc, 0
	.set _ZN7rocprim17ROCPRIM_400000_NS6detail17trampoline_kernelINS0_14default_configENS1_27scan_by_key_config_selectorIixEEZZNS1_16scan_by_key_implILNS1_25lookback_scan_determinismE0ELb1ES3_N6thrust23THRUST_200600_302600_NS6detail15normal_iteratorINS9_10device_ptrIiEEEENSB_INSC_IxEEEESG_xNS9_4plusIvEENS9_8equal_toIvEExEE10hipError_tPvRmT2_T3_T4_T5_mT6_T7_P12ihipStream_tbENKUlT_T0_E_clISt17integral_constantIbLb1EES10_IbLb0EEEEDaSW_SX_EUlSW_E_NS1_11comp_targetILNS1_3genE10ELNS1_11target_archE1200ELNS1_3gpuE4ELNS1_3repE0EEENS1_30default_config_static_selectorELNS0_4arch9wavefront6targetE0EEEvT1_.uses_flat_scratch, 0
	.set _ZN7rocprim17ROCPRIM_400000_NS6detail17trampoline_kernelINS0_14default_configENS1_27scan_by_key_config_selectorIixEEZZNS1_16scan_by_key_implILNS1_25lookback_scan_determinismE0ELb1ES3_N6thrust23THRUST_200600_302600_NS6detail15normal_iteratorINS9_10device_ptrIiEEEENSB_INSC_IxEEEESG_xNS9_4plusIvEENS9_8equal_toIvEExEE10hipError_tPvRmT2_T3_T4_T5_mT6_T7_P12ihipStream_tbENKUlT_T0_E_clISt17integral_constantIbLb1EES10_IbLb0EEEEDaSW_SX_EUlSW_E_NS1_11comp_targetILNS1_3genE10ELNS1_11target_archE1200ELNS1_3gpuE4ELNS1_3repE0EEENS1_30default_config_static_selectorELNS0_4arch9wavefront6targetE0EEEvT1_.has_dyn_sized_stack, 0
	.set _ZN7rocprim17ROCPRIM_400000_NS6detail17trampoline_kernelINS0_14default_configENS1_27scan_by_key_config_selectorIixEEZZNS1_16scan_by_key_implILNS1_25lookback_scan_determinismE0ELb1ES3_N6thrust23THRUST_200600_302600_NS6detail15normal_iteratorINS9_10device_ptrIiEEEENSB_INSC_IxEEEESG_xNS9_4plusIvEENS9_8equal_toIvEExEE10hipError_tPvRmT2_T3_T4_T5_mT6_T7_P12ihipStream_tbENKUlT_T0_E_clISt17integral_constantIbLb1EES10_IbLb0EEEEDaSW_SX_EUlSW_E_NS1_11comp_targetILNS1_3genE10ELNS1_11target_archE1200ELNS1_3gpuE4ELNS1_3repE0EEENS1_30default_config_static_selectorELNS0_4arch9wavefront6targetE0EEEvT1_.has_recursion, 0
	.set _ZN7rocprim17ROCPRIM_400000_NS6detail17trampoline_kernelINS0_14default_configENS1_27scan_by_key_config_selectorIixEEZZNS1_16scan_by_key_implILNS1_25lookback_scan_determinismE0ELb1ES3_N6thrust23THRUST_200600_302600_NS6detail15normal_iteratorINS9_10device_ptrIiEEEENSB_INSC_IxEEEESG_xNS9_4plusIvEENS9_8equal_toIvEExEE10hipError_tPvRmT2_T3_T4_T5_mT6_T7_P12ihipStream_tbENKUlT_T0_E_clISt17integral_constantIbLb1EES10_IbLb0EEEEDaSW_SX_EUlSW_E_NS1_11comp_targetILNS1_3genE10ELNS1_11target_archE1200ELNS1_3gpuE4ELNS1_3repE0EEENS1_30default_config_static_selectorELNS0_4arch9wavefront6targetE0EEEvT1_.has_indirect_call, 0
	.section	.AMDGPU.csdata,"",@progbits
; Kernel info:
; codeLenInByte = 0
; TotalNumSgprs: 0
; NumVgprs: 0
; ScratchSize: 0
; MemoryBound: 0
; FloatMode: 240
; IeeeMode: 1
; LDSByteSize: 0 bytes/workgroup (compile time only)
; SGPRBlocks: 0
; VGPRBlocks: 0
; NumSGPRsForWavesPerEU: 1
; NumVGPRsForWavesPerEU: 1
; Occupancy: 16
; WaveLimiterHint : 0
; COMPUTE_PGM_RSRC2:SCRATCH_EN: 0
; COMPUTE_PGM_RSRC2:USER_SGPR: 6
; COMPUTE_PGM_RSRC2:TRAP_HANDLER: 0
; COMPUTE_PGM_RSRC2:TGID_X_EN: 1
; COMPUTE_PGM_RSRC2:TGID_Y_EN: 0
; COMPUTE_PGM_RSRC2:TGID_Z_EN: 0
; COMPUTE_PGM_RSRC2:TIDIG_COMP_CNT: 0
	.section	.text._ZN7rocprim17ROCPRIM_400000_NS6detail17trampoline_kernelINS0_14default_configENS1_27scan_by_key_config_selectorIixEEZZNS1_16scan_by_key_implILNS1_25lookback_scan_determinismE0ELb1ES3_N6thrust23THRUST_200600_302600_NS6detail15normal_iteratorINS9_10device_ptrIiEEEENSB_INSC_IxEEEESG_xNS9_4plusIvEENS9_8equal_toIvEExEE10hipError_tPvRmT2_T3_T4_T5_mT6_T7_P12ihipStream_tbENKUlT_T0_E_clISt17integral_constantIbLb1EES10_IbLb0EEEEDaSW_SX_EUlSW_E_NS1_11comp_targetILNS1_3genE9ELNS1_11target_archE1100ELNS1_3gpuE3ELNS1_3repE0EEENS1_30default_config_static_selectorELNS0_4arch9wavefront6targetE0EEEvT1_,"axG",@progbits,_ZN7rocprim17ROCPRIM_400000_NS6detail17trampoline_kernelINS0_14default_configENS1_27scan_by_key_config_selectorIixEEZZNS1_16scan_by_key_implILNS1_25lookback_scan_determinismE0ELb1ES3_N6thrust23THRUST_200600_302600_NS6detail15normal_iteratorINS9_10device_ptrIiEEEENSB_INSC_IxEEEESG_xNS9_4plusIvEENS9_8equal_toIvEExEE10hipError_tPvRmT2_T3_T4_T5_mT6_T7_P12ihipStream_tbENKUlT_T0_E_clISt17integral_constantIbLb1EES10_IbLb0EEEEDaSW_SX_EUlSW_E_NS1_11comp_targetILNS1_3genE9ELNS1_11target_archE1100ELNS1_3gpuE3ELNS1_3repE0EEENS1_30default_config_static_selectorELNS0_4arch9wavefront6targetE0EEEvT1_,comdat
	.protected	_ZN7rocprim17ROCPRIM_400000_NS6detail17trampoline_kernelINS0_14default_configENS1_27scan_by_key_config_selectorIixEEZZNS1_16scan_by_key_implILNS1_25lookback_scan_determinismE0ELb1ES3_N6thrust23THRUST_200600_302600_NS6detail15normal_iteratorINS9_10device_ptrIiEEEENSB_INSC_IxEEEESG_xNS9_4plusIvEENS9_8equal_toIvEExEE10hipError_tPvRmT2_T3_T4_T5_mT6_T7_P12ihipStream_tbENKUlT_T0_E_clISt17integral_constantIbLb1EES10_IbLb0EEEEDaSW_SX_EUlSW_E_NS1_11comp_targetILNS1_3genE9ELNS1_11target_archE1100ELNS1_3gpuE3ELNS1_3repE0EEENS1_30default_config_static_selectorELNS0_4arch9wavefront6targetE0EEEvT1_ ; -- Begin function _ZN7rocprim17ROCPRIM_400000_NS6detail17trampoline_kernelINS0_14default_configENS1_27scan_by_key_config_selectorIixEEZZNS1_16scan_by_key_implILNS1_25lookback_scan_determinismE0ELb1ES3_N6thrust23THRUST_200600_302600_NS6detail15normal_iteratorINS9_10device_ptrIiEEEENSB_INSC_IxEEEESG_xNS9_4plusIvEENS9_8equal_toIvEExEE10hipError_tPvRmT2_T3_T4_T5_mT6_T7_P12ihipStream_tbENKUlT_T0_E_clISt17integral_constantIbLb1EES10_IbLb0EEEEDaSW_SX_EUlSW_E_NS1_11comp_targetILNS1_3genE9ELNS1_11target_archE1100ELNS1_3gpuE3ELNS1_3repE0EEENS1_30default_config_static_selectorELNS0_4arch9wavefront6targetE0EEEvT1_
	.globl	_ZN7rocprim17ROCPRIM_400000_NS6detail17trampoline_kernelINS0_14default_configENS1_27scan_by_key_config_selectorIixEEZZNS1_16scan_by_key_implILNS1_25lookback_scan_determinismE0ELb1ES3_N6thrust23THRUST_200600_302600_NS6detail15normal_iteratorINS9_10device_ptrIiEEEENSB_INSC_IxEEEESG_xNS9_4plusIvEENS9_8equal_toIvEExEE10hipError_tPvRmT2_T3_T4_T5_mT6_T7_P12ihipStream_tbENKUlT_T0_E_clISt17integral_constantIbLb1EES10_IbLb0EEEEDaSW_SX_EUlSW_E_NS1_11comp_targetILNS1_3genE9ELNS1_11target_archE1100ELNS1_3gpuE3ELNS1_3repE0EEENS1_30default_config_static_selectorELNS0_4arch9wavefront6targetE0EEEvT1_
	.p2align	8
	.type	_ZN7rocprim17ROCPRIM_400000_NS6detail17trampoline_kernelINS0_14default_configENS1_27scan_by_key_config_selectorIixEEZZNS1_16scan_by_key_implILNS1_25lookback_scan_determinismE0ELb1ES3_N6thrust23THRUST_200600_302600_NS6detail15normal_iteratorINS9_10device_ptrIiEEEENSB_INSC_IxEEEESG_xNS9_4plusIvEENS9_8equal_toIvEExEE10hipError_tPvRmT2_T3_T4_T5_mT6_T7_P12ihipStream_tbENKUlT_T0_E_clISt17integral_constantIbLb1EES10_IbLb0EEEEDaSW_SX_EUlSW_E_NS1_11comp_targetILNS1_3genE9ELNS1_11target_archE1100ELNS1_3gpuE3ELNS1_3repE0EEENS1_30default_config_static_selectorELNS0_4arch9wavefront6targetE0EEEvT1_,@function
_ZN7rocprim17ROCPRIM_400000_NS6detail17trampoline_kernelINS0_14default_configENS1_27scan_by_key_config_selectorIixEEZZNS1_16scan_by_key_implILNS1_25lookback_scan_determinismE0ELb1ES3_N6thrust23THRUST_200600_302600_NS6detail15normal_iteratorINS9_10device_ptrIiEEEENSB_INSC_IxEEEESG_xNS9_4plusIvEENS9_8equal_toIvEExEE10hipError_tPvRmT2_T3_T4_T5_mT6_T7_P12ihipStream_tbENKUlT_T0_E_clISt17integral_constantIbLb1EES10_IbLb0EEEEDaSW_SX_EUlSW_E_NS1_11comp_targetILNS1_3genE9ELNS1_11target_archE1100ELNS1_3gpuE3ELNS1_3repE0EEENS1_30default_config_static_selectorELNS0_4arch9wavefront6targetE0EEEvT1_: ; @_ZN7rocprim17ROCPRIM_400000_NS6detail17trampoline_kernelINS0_14default_configENS1_27scan_by_key_config_selectorIixEEZZNS1_16scan_by_key_implILNS1_25lookback_scan_determinismE0ELb1ES3_N6thrust23THRUST_200600_302600_NS6detail15normal_iteratorINS9_10device_ptrIiEEEENSB_INSC_IxEEEESG_xNS9_4plusIvEENS9_8equal_toIvEExEE10hipError_tPvRmT2_T3_T4_T5_mT6_T7_P12ihipStream_tbENKUlT_T0_E_clISt17integral_constantIbLb1EES10_IbLb0EEEEDaSW_SX_EUlSW_E_NS1_11comp_targetILNS1_3genE9ELNS1_11target_archE1100ELNS1_3gpuE3ELNS1_3repE0EEENS1_30default_config_static_selectorELNS0_4arch9wavefront6targetE0EEEvT1_
; %bb.0:
	.section	.rodata,"a",@progbits
	.p2align	6, 0x0
	.amdhsa_kernel _ZN7rocprim17ROCPRIM_400000_NS6detail17trampoline_kernelINS0_14default_configENS1_27scan_by_key_config_selectorIixEEZZNS1_16scan_by_key_implILNS1_25lookback_scan_determinismE0ELb1ES3_N6thrust23THRUST_200600_302600_NS6detail15normal_iteratorINS9_10device_ptrIiEEEENSB_INSC_IxEEEESG_xNS9_4plusIvEENS9_8equal_toIvEExEE10hipError_tPvRmT2_T3_T4_T5_mT6_T7_P12ihipStream_tbENKUlT_T0_E_clISt17integral_constantIbLb1EES10_IbLb0EEEEDaSW_SX_EUlSW_E_NS1_11comp_targetILNS1_3genE9ELNS1_11target_archE1100ELNS1_3gpuE3ELNS1_3repE0EEENS1_30default_config_static_selectorELNS0_4arch9wavefront6targetE0EEEvT1_
		.amdhsa_group_segment_fixed_size 0
		.amdhsa_private_segment_fixed_size 0
		.amdhsa_kernarg_size 136
		.amdhsa_user_sgpr_count 6
		.amdhsa_user_sgpr_private_segment_buffer 1
		.amdhsa_user_sgpr_dispatch_ptr 0
		.amdhsa_user_sgpr_queue_ptr 0
		.amdhsa_user_sgpr_kernarg_segment_ptr 1
		.amdhsa_user_sgpr_dispatch_id 0
		.amdhsa_user_sgpr_flat_scratch_init 0
		.amdhsa_user_sgpr_private_segment_size 0
		.amdhsa_wavefront_size32 1
		.amdhsa_uses_dynamic_stack 0
		.amdhsa_system_sgpr_private_segment_wavefront_offset 0
		.amdhsa_system_sgpr_workgroup_id_x 1
		.amdhsa_system_sgpr_workgroup_id_y 0
		.amdhsa_system_sgpr_workgroup_id_z 0
		.amdhsa_system_sgpr_workgroup_info 0
		.amdhsa_system_vgpr_workitem_id 0
		.amdhsa_next_free_vgpr 1
		.amdhsa_next_free_sgpr 1
		.amdhsa_reserve_vcc 0
		.amdhsa_reserve_flat_scratch 0
		.amdhsa_float_round_mode_32 0
		.amdhsa_float_round_mode_16_64 0
		.amdhsa_float_denorm_mode_32 3
		.amdhsa_float_denorm_mode_16_64 3
		.amdhsa_dx10_clamp 1
		.amdhsa_ieee_mode 1
		.amdhsa_fp16_overflow 0
		.amdhsa_workgroup_processor_mode 1
		.amdhsa_memory_ordered 1
		.amdhsa_forward_progress 1
		.amdhsa_shared_vgpr_count 0
		.amdhsa_exception_fp_ieee_invalid_op 0
		.amdhsa_exception_fp_denorm_src 0
		.amdhsa_exception_fp_ieee_div_zero 0
		.amdhsa_exception_fp_ieee_overflow 0
		.amdhsa_exception_fp_ieee_underflow 0
		.amdhsa_exception_fp_ieee_inexact 0
		.amdhsa_exception_int_div_zero 0
	.end_amdhsa_kernel
	.section	.text._ZN7rocprim17ROCPRIM_400000_NS6detail17trampoline_kernelINS0_14default_configENS1_27scan_by_key_config_selectorIixEEZZNS1_16scan_by_key_implILNS1_25lookback_scan_determinismE0ELb1ES3_N6thrust23THRUST_200600_302600_NS6detail15normal_iteratorINS9_10device_ptrIiEEEENSB_INSC_IxEEEESG_xNS9_4plusIvEENS9_8equal_toIvEExEE10hipError_tPvRmT2_T3_T4_T5_mT6_T7_P12ihipStream_tbENKUlT_T0_E_clISt17integral_constantIbLb1EES10_IbLb0EEEEDaSW_SX_EUlSW_E_NS1_11comp_targetILNS1_3genE9ELNS1_11target_archE1100ELNS1_3gpuE3ELNS1_3repE0EEENS1_30default_config_static_selectorELNS0_4arch9wavefront6targetE0EEEvT1_,"axG",@progbits,_ZN7rocprim17ROCPRIM_400000_NS6detail17trampoline_kernelINS0_14default_configENS1_27scan_by_key_config_selectorIixEEZZNS1_16scan_by_key_implILNS1_25lookback_scan_determinismE0ELb1ES3_N6thrust23THRUST_200600_302600_NS6detail15normal_iteratorINS9_10device_ptrIiEEEENSB_INSC_IxEEEESG_xNS9_4plusIvEENS9_8equal_toIvEExEE10hipError_tPvRmT2_T3_T4_T5_mT6_T7_P12ihipStream_tbENKUlT_T0_E_clISt17integral_constantIbLb1EES10_IbLb0EEEEDaSW_SX_EUlSW_E_NS1_11comp_targetILNS1_3genE9ELNS1_11target_archE1100ELNS1_3gpuE3ELNS1_3repE0EEENS1_30default_config_static_selectorELNS0_4arch9wavefront6targetE0EEEvT1_,comdat
.Lfunc_end1596:
	.size	_ZN7rocprim17ROCPRIM_400000_NS6detail17trampoline_kernelINS0_14default_configENS1_27scan_by_key_config_selectorIixEEZZNS1_16scan_by_key_implILNS1_25lookback_scan_determinismE0ELb1ES3_N6thrust23THRUST_200600_302600_NS6detail15normal_iteratorINS9_10device_ptrIiEEEENSB_INSC_IxEEEESG_xNS9_4plusIvEENS9_8equal_toIvEExEE10hipError_tPvRmT2_T3_T4_T5_mT6_T7_P12ihipStream_tbENKUlT_T0_E_clISt17integral_constantIbLb1EES10_IbLb0EEEEDaSW_SX_EUlSW_E_NS1_11comp_targetILNS1_3genE9ELNS1_11target_archE1100ELNS1_3gpuE3ELNS1_3repE0EEENS1_30default_config_static_selectorELNS0_4arch9wavefront6targetE0EEEvT1_, .Lfunc_end1596-_ZN7rocprim17ROCPRIM_400000_NS6detail17trampoline_kernelINS0_14default_configENS1_27scan_by_key_config_selectorIixEEZZNS1_16scan_by_key_implILNS1_25lookback_scan_determinismE0ELb1ES3_N6thrust23THRUST_200600_302600_NS6detail15normal_iteratorINS9_10device_ptrIiEEEENSB_INSC_IxEEEESG_xNS9_4plusIvEENS9_8equal_toIvEExEE10hipError_tPvRmT2_T3_T4_T5_mT6_T7_P12ihipStream_tbENKUlT_T0_E_clISt17integral_constantIbLb1EES10_IbLb0EEEEDaSW_SX_EUlSW_E_NS1_11comp_targetILNS1_3genE9ELNS1_11target_archE1100ELNS1_3gpuE3ELNS1_3repE0EEENS1_30default_config_static_selectorELNS0_4arch9wavefront6targetE0EEEvT1_
                                        ; -- End function
	.set _ZN7rocprim17ROCPRIM_400000_NS6detail17trampoline_kernelINS0_14default_configENS1_27scan_by_key_config_selectorIixEEZZNS1_16scan_by_key_implILNS1_25lookback_scan_determinismE0ELb1ES3_N6thrust23THRUST_200600_302600_NS6detail15normal_iteratorINS9_10device_ptrIiEEEENSB_INSC_IxEEEESG_xNS9_4plusIvEENS9_8equal_toIvEExEE10hipError_tPvRmT2_T3_T4_T5_mT6_T7_P12ihipStream_tbENKUlT_T0_E_clISt17integral_constantIbLb1EES10_IbLb0EEEEDaSW_SX_EUlSW_E_NS1_11comp_targetILNS1_3genE9ELNS1_11target_archE1100ELNS1_3gpuE3ELNS1_3repE0EEENS1_30default_config_static_selectorELNS0_4arch9wavefront6targetE0EEEvT1_.num_vgpr, 0
	.set _ZN7rocprim17ROCPRIM_400000_NS6detail17trampoline_kernelINS0_14default_configENS1_27scan_by_key_config_selectorIixEEZZNS1_16scan_by_key_implILNS1_25lookback_scan_determinismE0ELb1ES3_N6thrust23THRUST_200600_302600_NS6detail15normal_iteratorINS9_10device_ptrIiEEEENSB_INSC_IxEEEESG_xNS9_4plusIvEENS9_8equal_toIvEExEE10hipError_tPvRmT2_T3_T4_T5_mT6_T7_P12ihipStream_tbENKUlT_T0_E_clISt17integral_constantIbLb1EES10_IbLb0EEEEDaSW_SX_EUlSW_E_NS1_11comp_targetILNS1_3genE9ELNS1_11target_archE1100ELNS1_3gpuE3ELNS1_3repE0EEENS1_30default_config_static_selectorELNS0_4arch9wavefront6targetE0EEEvT1_.num_agpr, 0
	.set _ZN7rocprim17ROCPRIM_400000_NS6detail17trampoline_kernelINS0_14default_configENS1_27scan_by_key_config_selectorIixEEZZNS1_16scan_by_key_implILNS1_25lookback_scan_determinismE0ELb1ES3_N6thrust23THRUST_200600_302600_NS6detail15normal_iteratorINS9_10device_ptrIiEEEENSB_INSC_IxEEEESG_xNS9_4plusIvEENS9_8equal_toIvEExEE10hipError_tPvRmT2_T3_T4_T5_mT6_T7_P12ihipStream_tbENKUlT_T0_E_clISt17integral_constantIbLb1EES10_IbLb0EEEEDaSW_SX_EUlSW_E_NS1_11comp_targetILNS1_3genE9ELNS1_11target_archE1100ELNS1_3gpuE3ELNS1_3repE0EEENS1_30default_config_static_selectorELNS0_4arch9wavefront6targetE0EEEvT1_.numbered_sgpr, 0
	.set _ZN7rocprim17ROCPRIM_400000_NS6detail17trampoline_kernelINS0_14default_configENS1_27scan_by_key_config_selectorIixEEZZNS1_16scan_by_key_implILNS1_25lookback_scan_determinismE0ELb1ES3_N6thrust23THRUST_200600_302600_NS6detail15normal_iteratorINS9_10device_ptrIiEEEENSB_INSC_IxEEEESG_xNS9_4plusIvEENS9_8equal_toIvEExEE10hipError_tPvRmT2_T3_T4_T5_mT6_T7_P12ihipStream_tbENKUlT_T0_E_clISt17integral_constantIbLb1EES10_IbLb0EEEEDaSW_SX_EUlSW_E_NS1_11comp_targetILNS1_3genE9ELNS1_11target_archE1100ELNS1_3gpuE3ELNS1_3repE0EEENS1_30default_config_static_selectorELNS0_4arch9wavefront6targetE0EEEvT1_.num_named_barrier, 0
	.set _ZN7rocprim17ROCPRIM_400000_NS6detail17trampoline_kernelINS0_14default_configENS1_27scan_by_key_config_selectorIixEEZZNS1_16scan_by_key_implILNS1_25lookback_scan_determinismE0ELb1ES3_N6thrust23THRUST_200600_302600_NS6detail15normal_iteratorINS9_10device_ptrIiEEEENSB_INSC_IxEEEESG_xNS9_4plusIvEENS9_8equal_toIvEExEE10hipError_tPvRmT2_T3_T4_T5_mT6_T7_P12ihipStream_tbENKUlT_T0_E_clISt17integral_constantIbLb1EES10_IbLb0EEEEDaSW_SX_EUlSW_E_NS1_11comp_targetILNS1_3genE9ELNS1_11target_archE1100ELNS1_3gpuE3ELNS1_3repE0EEENS1_30default_config_static_selectorELNS0_4arch9wavefront6targetE0EEEvT1_.private_seg_size, 0
	.set _ZN7rocprim17ROCPRIM_400000_NS6detail17trampoline_kernelINS0_14default_configENS1_27scan_by_key_config_selectorIixEEZZNS1_16scan_by_key_implILNS1_25lookback_scan_determinismE0ELb1ES3_N6thrust23THRUST_200600_302600_NS6detail15normal_iteratorINS9_10device_ptrIiEEEENSB_INSC_IxEEEESG_xNS9_4plusIvEENS9_8equal_toIvEExEE10hipError_tPvRmT2_T3_T4_T5_mT6_T7_P12ihipStream_tbENKUlT_T0_E_clISt17integral_constantIbLb1EES10_IbLb0EEEEDaSW_SX_EUlSW_E_NS1_11comp_targetILNS1_3genE9ELNS1_11target_archE1100ELNS1_3gpuE3ELNS1_3repE0EEENS1_30default_config_static_selectorELNS0_4arch9wavefront6targetE0EEEvT1_.uses_vcc, 0
	.set _ZN7rocprim17ROCPRIM_400000_NS6detail17trampoline_kernelINS0_14default_configENS1_27scan_by_key_config_selectorIixEEZZNS1_16scan_by_key_implILNS1_25lookback_scan_determinismE0ELb1ES3_N6thrust23THRUST_200600_302600_NS6detail15normal_iteratorINS9_10device_ptrIiEEEENSB_INSC_IxEEEESG_xNS9_4plusIvEENS9_8equal_toIvEExEE10hipError_tPvRmT2_T3_T4_T5_mT6_T7_P12ihipStream_tbENKUlT_T0_E_clISt17integral_constantIbLb1EES10_IbLb0EEEEDaSW_SX_EUlSW_E_NS1_11comp_targetILNS1_3genE9ELNS1_11target_archE1100ELNS1_3gpuE3ELNS1_3repE0EEENS1_30default_config_static_selectorELNS0_4arch9wavefront6targetE0EEEvT1_.uses_flat_scratch, 0
	.set _ZN7rocprim17ROCPRIM_400000_NS6detail17trampoline_kernelINS0_14default_configENS1_27scan_by_key_config_selectorIixEEZZNS1_16scan_by_key_implILNS1_25lookback_scan_determinismE0ELb1ES3_N6thrust23THRUST_200600_302600_NS6detail15normal_iteratorINS9_10device_ptrIiEEEENSB_INSC_IxEEEESG_xNS9_4plusIvEENS9_8equal_toIvEExEE10hipError_tPvRmT2_T3_T4_T5_mT6_T7_P12ihipStream_tbENKUlT_T0_E_clISt17integral_constantIbLb1EES10_IbLb0EEEEDaSW_SX_EUlSW_E_NS1_11comp_targetILNS1_3genE9ELNS1_11target_archE1100ELNS1_3gpuE3ELNS1_3repE0EEENS1_30default_config_static_selectorELNS0_4arch9wavefront6targetE0EEEvT1_.has_dyn_sized_stack, 0
	.set _ZN7rocprim17ROCPRIM_400000_NS6detail17trampoline_kernelINS0_14default_configENS1_27scan_by_key_config_selectorIixEEZZNS1_16scan_by_key_implILNS1_25lookback_scan_determinismE0ELb1ES3_N6thrust23THRUST_200600_302600_NS6detail15normal_iteratorINS9_10device_ptrIiEEEENSB_INSC_IxEEEESG_xNS9_4plusIvEENS9_8equal_toIvEExEE10hipError_tPvRmT2_T3_T4_T5_mT6_T7_P12ihipStream_tbENKUlT_T0_E_clISt17integral_constantIbLb1EES10_IbLb0EEEEDaSW_SX_EUlSW_E_NS1_11comp_targetILNS1_3genE9ELNS1_11target_archE1100ELNS1_3gpuE3ELNS1_3repE0EEENS1_30default_config_static_selectorELNS0_4arch9wavefront6targetE0EEEvT1_.has_recursion, 0
	.set _ZN7rocprim17ROCPRIM_400000_NS6detail17trampoline_kernelINS0_14default_configENS1_27scan_by_key_config_selectorIixEEZZNS1_16scan_by_key_implILNS1_25lookback_scan_determinismE0ELb1ES3_N6thrust23THRUST_200600_302600_NS6detail15normal_iteratorINS9_10device_ptrIiEEEENSB_INSC_IxEEEESG_xNS9_4plusIvEENS9_8equal_toIvEExEE10hipError_tPvRmT2_T3_T4_T5_mT6_T7_P12ihipStream_tbENKUlT_T0_E_clISt17integral_constantIbLb1EES10_IbLb0EEEEDaSW_SX_EUlSW_E_NS1_11comp_targetILNS1_3genE9ELNS1_11target_archE1100ELNS1_3gpuE3ELNS1_3repE0EEENS1_30default_config_static_selectorELNS0_4arch9wavefront6targetE0EEEvT1_.has_indirect_call, 0
	.section	.AMDGPU.csdata,"",@progbits
; Kernel info:
; codeLenInByte = 0
; TotalNumSgprs: 0
; NumVgprs: 0
; ScratchSize: 0
; MemoryBound: 0
; FloatMode: 240
; IeeeMode: 1
; LDSByteSize: 0 bytes/workgroup (compile time only)
; SGPRBlocks: 0
; VGPRBlocks: 0
; NumSGPRsForWavesPerEU: 1
; NumVGPRsForWavesPerEU: 1
; Occupancy: 16
; WaveLimiterHint : 0
; COMPUTE_PGM_RSRC2:SCRATCH_EN: 0
; COMPUTE_PGM_RSRC2:USER_SGPR: 6
; COMPUTE_PGM_RSRC2:TRAP_HANDLER: 0
; COMPUTE_PGM_RSRC2:TGID_X_EN: 1
; COMPUTE_PGM_RSRC2:TGID_Y_EN: 0
; COMPUTE_PGM_RSRC2:TGID_Z_EN: 0
; COMPUTE_PGM_RSRC2:TIDIG_COMP_CNT: 0
	.section	.text._ZN7rocprim17ROCPRIM_400000_NS6detail17trampoline_kernelINS0_14default_configENS1_27scan_by_key_config_selectorIixEEZZNS1_16scan_by_key_implILNS1_25lookback_scan_determinismE0ELb1ES3_N6thrust23THRUST_200600_302600_NS6detail15normal_iteratorINS9_10device_ptrIiEEEENSB_INSC_IxEEEESG_xNS9_4plusIvEENS9_8equal_toIvEExEE10hipError_tPvRmT2_T3_T4_T5_mT6_T7_P12ihipStream_tbENKUlT_T0_E_clISt17integral_constantIbLb1EES10_IbLb0EEEEDaSW_SX_EUlSW_E_NS1_11comp_targetILNS1_3genE8ELNS1_11target_archE1030ELNS1_3gpuE2ELNS1_3repE0EEENS1_30default_config_static_selectorELNS0_4arch9wavefront6targetE0EEEvT1_,"axG",@progbits,_ZN7rocprim17ROCPRIM_400000_NS6detail17trampoline_kernelINS0_14default_configENS1_27scan_by_key_config_selectorIixEEZZNS1_16scan_by_key_implILNS1_25lookback_scan_determinismE0ELb1ES3_N6thrust23THRUST_200600_302600_NS6detail15normal_iteratorINS9_10device_ptrIiEEEENSB_INSC_IxEEEESG_xNS9_4plusIvEENS9_8equal_toIvEExEE10hipError_tPvRmT2_T3_T4_T5_mT6_T7_P12ihipStream_tbENKUlT_T0_E_clISt17integral_constantIbLb1EES10_IbLb0EEEEDaSW_SX_EUlSW_E_NS1_11comp_targetILNS1_3genE8ELNS1_11target_archE1030ELNS1_3gpuE2ELNS1_3repE0EEENS1_30default_config_static_selectorELNS0_4arch9wavefront6targetE0EEEvT1_,comdat
	.protected	_ZN7rocprim17ROCPRIM_400000_NS6detail17trampoline_kernelINS0_14default_configENS1_27scan_by_key_config_selectorIixEEZZNS1_16scan_by_key_implILNS1_25lookback_scan_determinismE0ELb1ES3_N6thrust23THRUST_200600_302600_NS6detail15normal_iteratorINS9_10device_ptrIiEEEENSB_INSC_IxEEEESG_xNS9_4plusIvEENS9_8equal_toIvEExEE10hipError_tPvRmT2_T3_T4_T5_mT6_T7_P12ihipStream_tbENKUlT_T0_E_clISt17integral_constantIbLb1EES10_IbLb0EEEEDaSW_SX_EUlSW_E_NS1_11comp_targetILNS1_3genE8ELNS1_11target_archE1030ELNS1_3gpuE2ELNS1_3repE0EEENS1_30default_config_static_selectorELNS0_4arch9wavefront6targetE0EEEvT1_ ; -- Begin function _ZN7rocprim17ROCPRIM_400000_NS6detail17trampoline_kernelINS0_14default_configENS1_27scan_by_key_config_selectorIixEEZZNS1_16scan_by_key_implILNS1_25lookback_scan_determinismE0ELb1ES3_N6thrust23THRUST_200600_302600_NS6detail15normal_iteratorINS9_10device_ptrIiEEEENSB_INSC_IxEEEESG_xNS9_4plusIvEENS9_8equal_toIvEExEE10hipError_tPvRmT2_T3_T4_T5_mT6_T7_P12ihipStream_tbENKUlT_T0_E_clISt17integral_constantIbLb1EES10_IbLb0EEEEDaSW_SX_EUlSW_E_NS1_11comp_targetILNS1_3genE8ELNS1_11target_archE1030ELNS1_3gpuE2ELNS1_3repE0EEENS1_30default_config_static_selectorELNS0_4arch9wavefront6targetE0EEEvT1_
	.globl	_ZN7rocprim17ROCPRIM_400000_NS6detail17trampoline_kernelINS0_14default_configENS1_27scan_by_key_config_selectorIixEEZZNS1_16scan_by_key_implILNS1_25lookback_scan_determinismE0ELb1ES3_N6thrust23THRUST_200600_302600_NS6detail15normal_iteratorINS9_10device_ptrIiEEEENSB_INSC_IxEEEESG_xNS9_4plusIvEENS9_8equal_toIvEExEE10hipError_tPvRmT2_T3_T4_T5_mT6_T7_P12ihipStream_tbENKUlT_T0_E_clISt17integral_constantIbLb1EES10_IbLb0EEEEDaSW_SX_EUlSW_E_NS1_11comp_targetILNS1_3genE8ELNS1_11target_archE1030ELNS1_3gpuE2ELNS1_3repE0EEENS1_30default_config_static_selectorELNS0_4arch9wavefront6targetE0EEEvT1_
	.p2align	8
	.type	_ZN7rocprim17ROCPRIM_400000_NS6detail17trampoline_kernelINS0_14default_configENS1_27scan_by_key_config_selectorIixEEZZNS1_16scan_by_key_implILNS1_25lookback_scan_determinismE0ELb1ES3_N6thrust23THRUST_200600_302600_NS6detail15normal_iteratorINS9_10device_ptrIiEEEENSB_INSC_IxEEEESG_xNS9_4plusIvEENS9_8equal_toIvEExEE10hipError_tPvRmT2_T3_T4_T5_mT6_T7_P12ihipStream_tbENKUlT_T0_E_clISt17integral_constantIbLb1EES10_IbLb0EEEEDaSW_SX_EUlSW_E_NS1_11comp_targetILNS1_3genE8ELNS1_11target_archE1030ELNS1_3gpuE2ELNS1_3repE0EEENS1_30default_config_static_selectorELNS0_4arch9wavefront6targetE0EEEvT1_,@function
_ZN7rocprim17ROCPRIM_400000_NS6detail17trampoline_kernelINS0_14default_configENS1_27scan_by_key_config_selectorIixEEZZNS1_16scan_by_key_implILNS1_25lookback_scan_determinismE0ELb1ES3_N6thrust23THRUST_200600_302600_NS6detail15normal_iteratorINS9_10device_ptrIiEEEENSB_INSC_IxEEEESG_xNS9_4plusIvEENS9_8equal_toIvEExEE10hipError_tPvRmT2_T3_T4_T5_mT6_T7_P12ihipStream_tbENKUlT_T0_E_clISt17integral_constantIbLb1EES10_IbLb0EEEEDaSW_SX_EUlSW_E_NS1_11comp_targetILNS1_3genE8ELNS1_11target_archE1030ELNS1_3gpuE2ELNS1_3repE0EEENS1_30default_config_static_selectorELNS0_4arch9wavefront6targetE0EEEvT1_: ; @_ZN7rocprim17ROCPRIM_400000_NS6detail17trampoline_kernelINS0_14default_configENS1_27scan_by_key_config_selectorIixEEZZNS1_16scan_by_key_implILNS1_25lookback_scan_determinismE0ELb1ES3_N6thrust23THRUST_200600_302600_NS6detail15normal_iteratorINS9_10device_ptrIiEEEENSB_INSC_IxEEEESG_xNS9_4plusIvEENS9_8equal_toIvEExEE10hipError_tPvRmT2_T3_T4_T5_mT6_T7_P12ihipStream_tbENKUlT_T0_E_clISt17integral_constantIbLb1EES10_IbLb0EEEEDaSW_SX_EUlSW_E_NS1_11comp_targetILNS1_3genE8ELNS1_11target_archE1030ELNS1_3gpuE2ELNS1_3repE0EEENS1_30default_config_static_selectorELNS0_4arch9wavefront6targetE0EEEvT1_
; %bb.0:
	s_endpgm
	.section	.rodata,"a",@progbits
	.p2align	6, 0x0
	.amdhsa_kernel _ZN7rocprim17ROCPRIM_400000_NS6detail17trampoline_kernelINS0_14default_configENS1_27scan_by_key_config_selectorIixEEZZNS1_16scan_by_key_implILNS1_25lookback_scan_determinismE0ELb1ES3_N6thrust23THRUST_200600_302600_NS6detail15normal_iteratorINS9_10device_ptrIiEEEENSB_INSC_IxEEEESG_xNS9_4plusIvEENS9_8equal_toIvEExEE10hipError_tPvRmT2_T3_T4_T5_mT6_T7_P12ihipStream_tbENKUlT_T0_E_clISt17integral_constantIbLb1EES10_IbLb0EEEEDaSW_SX_EUlSW_E_NS1_11comp_targetILNS1_3genE8ELNS1_11target_archE1030ELNS1_3gpuE2ELNS1_3repE0EEENS1_30default_config_static_selectorELNS0_4arch9wavefront6targetE0EEEvT1_
		.amdhsa_group_segment_fixed_size 0
		.amdhsa_private_segment_fixed_size 0
		.amdhsa_kernarg_size 136
		.amdhsa_user_sgpr_count 6
		.amdhsa_user_sgpr_private_segment_buffer 1
		.amdhsa_user_sgpr_dispatch_ptr 0
		.amdhsa_user_sgpr_queue_ptr 0
		.amdhsa_user_sgpr_kernarg_segment_ptr 1
		.amdhsa_user_sgpr_dispatch_id 0
		.amdhsa_user_sgpr_flat_scratch_init 0
		.amdhsa_user_sgpr_private_segment_size 0
		.amdhsa_wavefront_size32 1
		.amdhsa_uses_dynamic_stack 0
		.amdhsa_system_sgpr_private_segment_wavefront_offset 0
		.amdhsa_system_sgpr_workgroup_id_x 1
		.amdhsa_system_sgpr_workgroup_id_y 0
		.amdhsa_system_sgpr_workgroup_id_z 0
		.amdhsa_system_sgpr_workgroup_info 0
		.amdhsa_system_vgpr_workitem_id 0
		.amdhsa_next_free_vgpr 1
		.amdhsa_next_free_sgpr 1
		.amdhsa_reserve_vcc 0
		.amdhsa_reserve_flat_scratch 0
		.amdhsa_float_round_mode_32 0
		.amdhsa_float_round_mode_16_64 0
		.amdhsa_float_denorm_mode_32 3
		.amdhsa_float_denorm_mode_16_64 3
		.amdhsa_dx10_clamp 1
		.amdhsa_ieee_mode 1
		.amdhsa_fp16_overflow 0
		.amdhsa_workgroup_processor_mode 1
		.amdhsa_memory_ordered 1
		.amdhsa_forward_progress 1
		.amdhsa_shared_vgpr_count 0
		.amdhsa_exception_fp_ieee_invalid_op 0
		.amdhsa_exception_fp_denorm_src 0
		.amdhsa_exception_fp_ieee_div_zero 0
		.amdhsa_exception_fp_ieee_overflow 0
		.amdhsa_exception_fp_ieee_underflow 0
		.amdhsa_exception_fp_ieee_inexact 0
		.amdhsa_exception_int_div_zero 0
	.end_amdhsa_kernel
	.section	.text._ZN7rocprim17ROCPRIM_400000_NS6detail17trampoline_kernelINS0_14default_configENS1_27scan_by_key_config_selectorIixEEZZNS1_16scan_by_key_implILNS1_25lookback_scan_determinismE0ELb1ES3_N6thrust23THRUST_200600_302600_NS6detail15normal_iteratorINS9_10device_ptrIiEEEENSB_INSC_IxEEEESG_xNS9_4plusIvEENS9_8equal_toIvEExEE10hipError_tPvRmT2_T3_T4_T5_mT6_T7_P12ihipStream_tbENKUlT_T0_E_clISt17integral_constantIbLb1EES10_IbLb0EEEEDaSW_SX_EUlSW_E_NS1_11comp_targetILNS1_3genE8ELNS1_11target_archE1030ELNS1_3gpuE2ELNS1_3repE0EEENS1_30default_config_static_selectorELNS0_4arch9wavefront6targetE0EEEvT1_,"axG",@progbits,_ZN7rocprim17ROCPRIM_400000_NS6detail17trampoline_kernelINS0_14default_configENS1_27scan_by_key_config_selectorIixEEZZNS1_16scan_by_key_implILNS1_25lookback_scan_determinismE0ELb1ES3_N6thrust23THRUST_200600_302600_NS6detail15normal_iteratorINS9_10device_ptrIiEEEENSB_INSC_IxEEEESG_xNS9_4plusIvEENS9_8equal_toIvEExEE10hipError_tPvRmT2_T3_T4_T5_mT6_T7_P12ihipStream_tbENKUlT_T0_E_clISt17integral_constantIbLb1EES10_IbLb0EEEEDaSW_SX_EUlSW_E_NS1_11comp_targetILNS1_3genE8ELNS1_11target_archE1030ELNS1_3gpuE2ELNS1_3repE0EEENS1_30default_config_static_selectorELNS0_4arch9wavefront6targetE0EEEvT1_,comdat
.Lfunc_end1597:
	.size	_ZN7rocprim17ROCPRIM_400000_NS6detail17trampoline_kernelINS0_14default_configENS1_27scan_by_key_config_selectorIixEEZZNS1_16scan_by_key_implILNS1_25lookback_scan_determinismE0ELb1ES3_N6thrust23THRUST_200600_302600_NS6detail15normal_iteratorINS9_10device_ptrIiEEEENSB_INSC_IxEEEESG_xNS9_4plusIvEENS9_8equal_toIvEExEE10hipError_tPvRmT2_T3_T4_T5_mT6_T7_P12ihipStream_tbENKUlT_T0_E_clISt17integral_constantIbLb1EES10_IbLb0EEEEDaSW_SX_EUlSW_E_NS1_11comp_targetILNS1_3genE8ELNS1_11target_archE1030ELNS1_3gpuE2ELNS1_3repE0EEENS1_30default_config_static_selectorELNS0_4arch9wavefront6targetE0EEEvT1_, .Lfunc_end1597-_ZN7rocprim17ROCPRIM_400000_NS6detail17trampoline_kernelINS0_14default_configENS1_27scan_by_key_config_selectorIixEEZZNS1_16scan_by_key_implILNS1_25lookback_scan_determinismE0ELb1ES3_N6thrust23THRUST_200600_302600_NS6detail15normal_iteratorINS9_10device_ptrIiEEEENSB_INSC_IxEEEESG_xNS9_4plusIvEENS9_8equal_toIvEExEE10hipError_tPvRmT2_T3_T4_T5_mT6_T7_P12ihipStream_tbENKUlT_T0_E_clISt17integral_constantIbLb1EES10_IbLb0EEEEDaSW_SX_EUlSW_E_NS1_11comp_targetILNS1_3genE8ELNS1_11target_archE1030ELNS1_3gpuE2ELNS1_3repE0EEENS1_30default_config_static_selectorELNS0_4arch9wavefront6targetE0EEEvT1_
                                        ; -- End function
	.set _ZN7rocprim17ROCPRIM_400000_NS6detail17trampoline_kernelINS0_14default_configENS1_27scan_by_key_config_selectorIixEEZZNS1_16scan_by_key_implILNS1_25lookback_scan_determinismE0ELb1ES3_N6thrust23THRUST_200600_302600_NS6detail15normal_iteratorINS9_10device_ptrIiEEEENSB_INSC_IxEEEESG_xNS9_4plusIvEENS9_8equal_toIvEExEE10hipError_tPvRmT2_T3_T4_T5_mT6_T7_P12ihipStream_tbENKUlT_T0_E_clISt17integral_constantIbLb1EES10_IbLb0EEEEDaSW_SX_EUlSW_E_NS1_11comp_targetILNS1_3genE8ELNS1_11target_archE1030ELNS1_3gpuE2ELNS1_3repE0EEENS1_30default_config_static_selectorELNS0_4arch9wavefront6targetE0EEEvT1_.num_vgpr, 0
	.set _ZN7rocprim17ROCPRIM_400000_NS6detail17trampoline_kernelINS0_14default_configENS1_27scan_by_key_config_selectorIixEEZZNS1_16scan_by_key_implILNS1_25lookback_scan_determinismE0ELb1ES3_N6thrust23THRUST_200600_302600_NS6detail15normal_iteratorINS9_10device_ptrIiEEEENSB_INSC_IxEEEESG_xNS9_4plusIvEENS9_8equal_toIvEExEE10hipError_tPvRmT2_T3_T4_T5_mT6_T7_P12ihipStream_tbENKUlT_T0_E_clISt17integral_constantIbLb1EES10_IbLb0EEEEDaSW_SX_EUlSW_E_NS1_11comp_targetILNS1_3genE8ELNS1_11target_archE1030ELNS1_3gpuE2ELNS1_3repE0EEENS1_30default_config_static_selectorELNS0_4arch9wavefront6targetE0EEEvT1_.num_agpr, 0
	.set _ZN7rocprim17ROCPRIM_400000_NS6detail17trampoline_kernelINS0_14default_configENS1_27scan_by_key_config_selectorIixEEZZNS1_16scan_by_key_implILNS1_25lookback_scan_determinismE0ELb1ES3_N6thrust23THRUST_200600_302600_NS6detail15normal_iteratorINS9_10device_ptrIiEEEENSB_INSC_IxEEEESG_xNS9_4plusIvEENS9_8equal_toIvEExEE10hipError_tPvRmT2_T3_T4_T5_mT6_T7_P12ihipStream_tbENKUlT_T0_E_clISt17integral_constantIbLb1EES10_IbLb0EEEEDaSW_SX_EUlSW_E_NS1_11comp_targetILNS1_3genE8ELNS1_11target_archE1030ELNS1_3gpuE2ELNS1_3repE0EEENS1_30default_config_static_selectorELNS0_4arch9wavefront6targetE0EEEvT1_.numbered_sgpr, 0
	.set _ZN7rocprim17ROCPRIM_400000_NS6detail17trampoline_kernelINS0_14default_configENS1_27scan_by_key_config_selectorIixEEZZNS1_16scan_by_key_implILNS1_25lookback_scan_determinismE0ELb1ES3_N6thrust23THRUST_200600_302600_NS6detail15normal_iteratorINS9_10device_ptrIiEEEENSB_INSC_IxEEEESG_xNS9_4plusIvEENS9_8equal_toIvEExEE10hipError_tPvRmT2_T3_T4_T5_mT6_T7_P12ihipStream_tbENKUlT_T0_E_clISt17integral_constantIbLb1EES10_IbLb0EEEEDaSW_SX_EUlSW_E_NS1_11comp_targetILNS1_3genE8ELNS1_11target_archE1030ELNS1_3gpuE2ELNS1_3repE0EEENS1_30default_config_static_selectorELNS0_4arch9wavefront6targetE0EEEvT1_.num_named_barrier, 0
	.set _ZN7rocprim17ROCPRIM_400000_NS6detail17trampoline_kernelINS0_14default_configENS1_27scan_by_key_config_selectorIixEEZZNS1_16scan_by_key_implILNS1_25lookback_scan_determinismE0ELb1ES3_N6thrust23THRUST_200600_302600_NS6detail15normal_iteratorINS9_10device_ptrIiEEEENSB_INSC_IxEEEESG_xNS9_4plusIvEENS9_8equal_toIvEExEE10hipError_tPvRmT2_T3_T4_T5_mT6_T7_P12ihipStream_tbENKUlT_T0_E_clISt17integral_constantIbLb1EES10_IbLb0EEEEDaSW_SX_EUlSW_E_NS1_11comp_targetILNS1_3genE8ELNS1_11target_archE1030ELNS1_3gpuE2ELNS1_3repE0EEENS1_30default_config_static_selectorELNS0_4arch9wavefront6targetE0EEEvT1_.private_seg_size, 0
	.set _ZN7rocprim17ROCPRIM_400000_NS6detail17trampoline_kernelINS0_14default_configENS1_27scan_by_key_config_selectorIixEEZZNS1_16scan_by_key_implILNS1_25lookback_scan_determinismE0ELb1ES3_N6thrust23THRUST_200600_302600_NS6detail15normal_iteratorINS9_10device_ptrIiEEEENSB_INSC_IxEEEESG_xNS9_4plusIvEENS9_8equal_toIvEExEE10hipError_tPvRmT2_T3_T4_T5_mT6_T7_P12ihipStream_tbENKUlT_T0_E_clISt17integral_constantIbLb1EES10_IbLb0EEEEDaSW_SX_EUlSW_E_NS1_11comp_targetILNS1_3genE8ELNS1_11target_archE1030ELNS1_3gpuE2ELNS1_3repE0EEENS1_30default_config_static_selectorELNS0_4arch9wavefront6targetE0EEEvT1_.uses_vcc, 0
	.set _ZN7rocprim17ROCPRIM_400000_NS6detail17trampoline_kernelINS0_14default_configENS1_27scan_by_key_config_selectorIixEEZZNS1_16scan_by_key_implILNS1_25lookback_scan_determinismE0ELb1ES3_N6thrust23THRUST_200600_302600_NS6detail15normal_iteratorINS9_10device_ptrIiEEEENSB_INSC_IxEEEESG_xNS9_4plusIvEENS9_8equal_toIvEExEE10hipError_tPvRmT2_T3_T4_T5_mT6_T7_P12ihipStream_tbENKUlT_T0_E_clISt17integral_constantIbLb1EES10_IbLb0EEEEDaSW_SX_EUlSW_E_NS1_11comp_targetILNS1_3genE8ELNS1_11target_archE1030ELNS1_3gpuE2ELNS1_3repE0EEENS1_30default_config_static_selectorELNS0_4arch9wavefront6targetE0EEEvT1_.uses_flat_scratch, 0
	.set _ZN7rocprim17ROCPRIM_400000_NS6detail17trampoline_kernelINS0_14default_configENS1_27scan_by_key_config_selectorIixEEZZNS1_16scan_by_key_implILNS1_25lookback_scan_determinismE0ELb1ES3_N6thrust23THRUST_200600_302600_NS6detail15normal_iteratorINS9_10device_ptrIiEEEENSB_INSC_IxEEEESG_xNS9_4plusIvEENS9_8equal_toIvEExEE10hipError_tPvRmT2_T3_T4_T5_mT6_T7_P12ihipStream_tbENKUlT_T0_E_clISt17integral_constantIbLb1EES10_IbLb0EEEEDaSW_SX_EUlSW_E_NS1_11comp_targetILNS1_3genE8ELNS1_11target_archE1030ELNS1_3gpuE2ELNS1_3repE0EEENS1_30default_config_static_selectorELNS0_4arch9wavefront6targetE0EEEvT1_.has_dyn_sized_stack, 0
	.set _ZN7rocprim17ROCPRIM_400000_NS6detail17trampoline_kernelINS0_14default_configENS1_27scan_by_key_config_selectorIixEEZZNS1_16scan_by_key_implILNS1_25lookback_scan_determinismE0ELb1ES3_N6thrust23THRUST_200600_302600_NS6detail15normal_iteratorINS9_10device_ptrIiEEEENSB_INSC_IxEEEESG_xNS9_4plusIvEENS9_8equal_toIvEExEE10hipError_tPvRmT2_T3_T4_T5_mT6_T7_P12ihipStream_tbENKUlT_T0_E_clISt17integral_constantIbLb1EES10_IbLb0EEEEDaSW_SX_EUlSW_E_NS1_11comp_targetILNS1_3genE8ELNS1_11target_archE1030ELNS1_3gpuE2ELNS1_3repE0EEENS1_30default_config_static_selectorELNS0_4arch9wavefront6targetE0EEEvT1_.has_recursion, 0
	.set _ZN7rocprim17ROCPRIM_400000_NS6detail17trampoline_kernelINS0_14default_configENS1_27scan_by_key_config_selectorIixEEZZNS1_16scan_by_key_implILNS1_25lookback_scan_determinismE0ELb1ES3_N6thrust23THRUST_200600_302600_NS6detail15normal_iteratorINS9_10device_ptrIiEEEENSB_INSC_IxEEEESG_xNS9_4plusIvEENS9_8equal_toIvEExEE10hipError_tPvRmT2_T3_T4_T5_mT6_T7_P12ihipStream_tbENKUlT_T0_E_clISt17integral_constantIbLb1EES10_IbLb0EEEEDaSW_SX_EUlSW_E_NS1_11comp_targetILNS1_3genE8ELNS1_11target_archE1030ELNS1_3gpuE2ELNS1_3repE0EEENS1_30default_config_static_selectorELNS0_4arch9wavefront6targetE0EEEvT1_.has_indirect_call, 0
	.section	.AMDGPU.csdata,"",@progbits
; Kernel info:
; codeLenInByte = 4
; TotalNumSgprs: 0
; NumVgprs: 0
; ScratchSize: 0
; MemoryBound: 0
; FloatMode: 240
; IeeeMode: 1
; LDSByteSize: 0 bytes/workgroup (compile time only)
; SGPRBlocks: 0
; VGPRBlocks: 0
; NumSGPRsForWavesPerEU: 1
; NumVGPRsForWavesPerEU: 1
; Occupancy: 16
; WaveLimiterHint : 0
; COMPUTE_PGM_RSRC2:SCRATCH_EN: 0
; COMPUTE_PGM_RSRC2:USER_SGPR: 6
; COMPUTE_PGM_RSRC2:TRAP_HANDLER: 0
; COMPUTE_PGM_RSRC2:TGID_X_EN: 1
; COMPUTE_PGM_RSRC2:TGID_Y_EN: 0
; COMPUTE_PGM_RSRC2:TGID_Z_EN: 0
; COMPUTE_PGM_RSRC2:TIDIG_COMP_CNT: 0
	.section	.text._ZN7rocprim17ROCPRIM_400000_NS6detail17trampoline_kernelINS0_14default_configENS1_27scan_by_key_config_selectorIixEEZZNS1_16scan_by_key_implILNS1_25lookback_scan_determinismE0ELb1ES3_N6thrust23THRUST_200600_302600_NS6detail15normal_iteratorINS9_10device_ptrIiEEEENSB_INSC_IxEEEESG_xNS9_4plusIvEENS9_8equal_toIvEExEE10hipError_tPvRmT2_T3_T4_T5_mT6_T7_P12ihipStream_tbENKUlT_T0_E_clISt17integral_constantIbLb0EES10_IbLb1EEEEDaSW_SX_EUlSW_E_NS1_11comp_targetILNS1_3genE0ELNS1_11target_archE4294967295ELNS1_3gpuE0ELNS1_3repE0EEENS1_30default_config_static_selectorELNS0_4arch9wavefront6targetE0EEEvT1_,"axG",@progbits,_ZN7rocprim17ROCPRIM_400000_NS6detail17trampoline_kernelINS0_14default_configENS1_27scan_by_key_config_selectorIixEEZZNS1_16scan_by_key_implILNS1_25lookback_scan_determinismE0ELb1ES3_N6thrust23THRUST_200600_302600_NS6detail15normal_iteratorINS9_10device_ptrIiEEEENSB_INSC_IxEEEESG_xNS9_4plusIvEENS9_8equal_toIvEExEE10hipError_tPvRmT2_T3_T4_T5_mT6_T7_P12ihipStream_tbENKUlT_T0_E_clISt17integral_constantIbLb0EES10_IbLb1EEEEDaSW_SX_EUlSW_E_NS1_11comp_targetILNS1_3genE0ELNS1_11target_archE4294967295ELNS1_3gpuE0ELNS1_3repE0EEENS1_30default_config_static_selectorELNS0_4arch9wavefront6targetE0EEEvT1_,comdat
	.protected	_ZN7rocprim17ROCPRIM_400000_NS6detail17trampoline_kernelINS0_14default_configENS1_27scan_by_key_config_selectorIixEEZZNS1_16scan_by_key_implILNS1_25lookback_scan_determinismE0ELb1ES3_N6thrust23THRUST_200600_302600_NS6detail15normal_iteratorINS9_10device_ptrIiEEEENSB_INSC_IxEEEESG_xNS9_4plusIvEENS9_8equal_toIvEExEE10hipError_tPvRmT2_T3_T4_T5_mT6_T7_P12ihipStream_tbENKUlT_T0_E_clISt17integral_constantIbLb0EES10_IbLb1EEEEDaSW_SX_EUlSW_E_NS1_11comp_targetILNS1_3genE0ELNS1_11target_archE4294967295ELNS1_3gpuE0ELNS1_3repE0EEENS1_30default_config_static_selectorELNS0_4arch9wavefront6targetE0EEEvT1_ ; -- Begin function _ZN7rocprim17ROCPRIM_400000_NS6detail17trampoline_kernelINS0_14default_configENS1_27scan_by_key_config_selectorIixEEZZNS1_16scan_by_key_implILNS1_25lookback_scan_determinismE0ELb1ES3_N6thrust23THRUST_200600_302600_NS6detail15normal_iteratorINS9_10device_ptrIiEEEENSB_INSC_IxEEEESG_xNS9_4plusIvEENS9_8equal_toIvEExEE10hipError_tPvRmT2_T3_T4_T5_mT6_T7_P12ihipStream_tbENKUlT_T0_E_clISt17integral_constantIbLb0EES10_IbLb1EEEEDaSW_SX_EUlSW_E_NS1_11comp_targetILNS1_3genE0ELNS1_11target_archE4294967295ELNS1_3gpuE0ELNS1_3repE0EEENS1_30default_config_static_selectorELNS0_4arch9wavefront6targetE0EEEvT1_
	.globl	_ZN7rocprim17ROCPRIM_400000_NS6detail17trampoline_kernelINS0_14default_configENS1_27scan_by_key_config_selectorIixEEZZNS1_16scan_by_key_implILNS1_25lookback_scan_determinismE0ELb1ES3_N6thrust23THRUST_200600_302600_NS6detail15normal_iteratorINS9_10device_ptrIiEEEENSB_INSC_IxEEEESG_xNS9_4plusIvEENS9_8equal_toIvEExEE10hipError_tPvRmT2_T3_T4_T5_mT6_T7_P12ihipStream_tbENKUlT_T0_E_clISt17integral_constantIbLb0EES10_IbLb1EEEEDaSW_SX_EUlSW_E_NS1_11comp_targetILNS1_3genE0ELNS1_11target_archE4294967295ELNS1_3gpuE0ELNS1_3repE0EEENS1_30default_config_static_selectorELNS0_4arch9wavefront6targetE0EEEvT1_
	.p2align	8
	.type	_ZN7rocprim17ROCPRIM_400000_NS6detail17trampoline_kernelINS0_14default_configENS1_27scan_by_key_config_selectorIixEEZZNS1_16scan_by_key_implILNS1_25lookback_scan_determinismE0ELb1ES3_N6thrust23THRUST_200600_302600_NS6detail15normal_iteratorINS9_10device_ptrIiEEEENSB_INSC_IxEEEESG_xNS9_4plusIvEENS9_8equal_toIvEExEE10hipError_tPvRmT2_T3_T4_T5_mT6_T7_P12ihipStream_tbENKUlT_T0_E_clISt17integral_constantIbLb0EES10_IbLb1EEEEDaSW_SX_EUlSW_E_NS1_11comp_targetILNS1_3genE0ELNS1_11target_archE4294967295ELNS1_3gpuE0ELNS1_3repE0EEENS1_30default_config_static_selectorELNS0_4arch9wavefront6targetE0EEEvT1_,@function
_ZN7rocprim17ROCPRIM_400000_NS6detail17trampoline_kernelINS0_14default_configENS1_27scan_by_key_config_selectorIixEEZZNS1_16scan_by_key_implILNS1_25lookback_scan_determinismE0ELb1ES3_N6thrust23THRUST_200600_302600_NS6detail15normal_iteratorINS9_10device_ptrIiEEEENSB_INSC_IxEEEESG_xNS9_4plusIvEENS9_8equal_toIvEExEE10hipError_tPvRmT2_T3_T4_T5_mT6_T7_P12ihipStream_tbENKUlT_T0_E_clISt17integral_constantIbLb0EES10_IbLb1EEEEDaSW_SX_EUlSW_E_NS1_11comp_targetILNS1_3genE0ELNS1_11target_archE4294967295ELNS1_3gpuE0ELNS1_3repE0EEENS1_30default_config_static_selectorELNS0_4arch9wavefront6targetE0EEEvT1_: ; @_ZN7rocprim17ROCPRIM_400000_NS6detail17trampoline_kernelINS0_14default_configENS1_27scan_by_key_config_selectorIixEEZZNS1_16scan_by_key_implILNS1_25lookback_scan_determinismE0ELb1ES3_N6thrust23THRUST_200600_302600_NS6detail15normal_iteratorINS9_10device_ptrIiEEEENSB_INSC_IxEEEESG_xNS9_4plusIvEENS9_8equal_toIvEExEE10hipError_tPvRmT2_T3_T4_T5_mT6_T7_P12ihipStream_tbENKUlT_T0_E_clISt17integral_constantIbLb0EES10_IbLb1EEEEDaSW_SX_EUlSW_E_NS1_11comp_targetILNS1_3genE0ELNS1_11target_archE4294967295ELNS1_3gpuE0ELNS1_3repE0EEENS1_30default_config_static_selectorELNS0_4arch9wavefront6targetE0EEEvT1_
; %bb.0:
	.section	.rodata,"a",@progbits
	.p2align	6, 0x0
	.amdhsa_kernel _ZN7rocprim17ROCPRIM_400000_NS6detail17trampoline_kernelINS0_14default_configENS1_27scan_by_key_config_selectorIixEEZZNS1_16scan_by_key_implILNS1_25lookback_scan_determinismE0ELb1ES3_N6thrust23THRUST_200600_302600_NS6detail15normal_iteratorINS9_10device_ptrIiEEEENSB_INSC_IxEEEESG_xNS9_4plusIvEENS9_8equal_toIvEExEE10hipError_tPvRmT2_T3_T4_T5_mT6_T7_P12ihipStream_tbENKUlT_T0_E_clISt17integral_constantIbLb0EES10_IbLb1EEEEDaSW_SX_EUlSW_E_NS1_11comp_targetILNS1_3genE0ELNS1_11target_archE4294967295ELNS1_3gpuE0ELNS1_3repE0EEENS1_30default_config_static_selectorELNS0_4arch9wavefront6targetE0EEEvT1_
		.amdhsa_group_segment_fixed_size 0
		.amdhsa_private_segment_fixed_size 0
		.amdhsa_kernarg_size 136
		.amdhsa_user_sgpr_count 6
		.amdhsa_user_sgpr_private_segment_buffer 1
		.amdhsa_user_sgpr_dispatch_ptr 0
		.amdhsa_user_sgpr_queue_ptr 0
		.amdhsa_user_sgpr_kernarg_segment_ptr 1
		.amdhsa_user_sgpr_dispatch_id 0
		.amdhsa_user_sgpr_flat_scratch_init 0
		.amdhsa_user_sgpr_private_segment_size 0
		.amdhsa_wavefront_size32 1
		.amdhsa_uses_dynamic_stack 0
		.amdhsa_system_sgpr_private_segment_wavefront_offset 0
		.amdhsa_system_sgpr_workgroup_id_x 1
		.amdhsa_system_sgpr_workgroup_id_y 0
		.amdhsa_system_sgpr_workgroup_id_z 0
		.amdhsa_system_sgpr_workgroup_info 0
		.amdhsa_system_vgpr_workitem_id 0
		.amdhsa_next_free_vgpr 1
		.amdhsa_next_free_sgpr 1
		.amdhsa_reserve_vcc 0
		.amdhsa_reserve_flat_scratch 0
		.amdhsa_float_round_mode_32 0
		.amdhsa_float_round_mode_16_64 0
		.amdhsa_float_denorm_mode_32 3
		.amdhsa_float_denorm_mode_16_64 3
		.amdhsa_dx10_clamp 1
		.amdhsa_ieee_mode 1
		.amdhsa_fp16_overflow 0
		.amdhsa_workgroup_processor_mode 1
		.amdhsa_memory_ordered 1
		.amdhsa_forward_progress 1
		.amdhsa_shared_vgpr_count 0
		.amdhsa_exception_fp_ieee_invalid_op 0
		.amdhsa_exception_fp_denorm_src 0
		.amdhsa_exception_fp_ieee_div_zero 0
		.amdhsa_exception_fp_ieee_overflow 0
		.amdhsa_exception_fp_ieee_underflow 0
		.amdhsa_exception_fp_ieee_inexact 0
		.amdhsa_exception_int_div_zero 0
	.end_amdhsa_kernel
	.section	.text._ZN7rocprim17ROCPRIM_400000_NS6detail17trampoline_kernelINS0_14default_configENS1_27scan_by_key_config_selectorIixEEZZNS1_16scan_by_key_implILNS1_25lookback_scan_determinismE0ELb1ES3_N6thrust23THRUST_200600_302600_NS6detail15normal_iteratorINS9_10device_ptrIiEEEENSB_INSC_IxEEEESG_xNS9_4plusIvEENS9_8equal_toIvEExEE10hipError_tPvRmT2_T3_T4_T5_mT6_T7_P12ihipStream_tbENKUlT_T0_E_clISt17integral_constantIbLb0EES10_IbLb1EEEEDaSW_SX_EUlSW_E_NS1_11comp_targetILNS1_3genE0ELNS1_11target_archE4294967295ELNS1_3gpuE0ELNS1_3repE0EEENS1_30default_config_static_selectorELNS0_4arch9wavefront6targetE0EEEvT1_,"axG",@progbits,_ZN7rocprim17ROCPRIM_400000_NS6detail17trampoline_kernelINS0_14default_configENS1_27scan_by_key_config_selectorIixEEZZNS1_16scan_by_key_implILNS1_25lookback_scan_determinismE0ELb1ES3_N6thrust23THRUST_200600_302600_NS6detail15normal_iteratorINS9_10device_ptrIiEEEENSB_INSC_IxEEEESG_xNS9_4plusIvEENS9_8equal_toIvEExEE10hipError_tPvRmT2_T3_T4_T5_mT6_T7_P12ihipStream_tbENKUlT_T0_E_clISt17integral_constantIbLb0EES10_IbLb1EEEEDaSW_SX_EUlSW_E_NS1_11comp_targetILNS1_3genE0ELNS1_11target_archE4294967295ELNS1_3gpuE0ELNS1_3repE0EEENS1_30default_config_static_selectorELNS0_4arch9wavefront6targetE0EEEvT1_,comdat
.Lfunc_end1598:
	.size	_ZN7rocprim17ROCPRIM_400000_NS6detail17trampoline_kernelINS0_14default_configENS1_27scan_by_key_config_selectorIixEEZZNS1_16scan_by_key_implILNS1_25lookback_scan_determinismE0ELb1ES3_N6thrust23THRUST_200600_302600_NS6detail15normal_iteratorINS9_10device_ptrIiEEEENSB_INSC_IxEEEESG_xNS9_4plusIvEENS9_8equal_toIvEExEE10hipError_tPvRmT2_T3_T4_T5_mT6_T7_P12ihipStream_tbENKUlT_T0_E_clISt17integral_constantIbLb0EES10_IbLb1EEEEDaSW_SX_EUlSW_E_NS1_11comp_targetILNS1_3genE0ELNS1_11target_archE4294967295ELNS1_3gpuE0ELNS1_3repE0EEENS1_30default_config_static_selectorELNS0_4arch9wavefront6targetE0EEEvT1_, .Lfunc_end1598-_ZN7rocprim17ROCPRIM_400000_NS6detail17trampoline_kernelINS0_14default_configENS1_27scan_by_key_config_selectorIixEEZZNS1_16scan_by_key_implILNS1_25lookback_scan_determinismE0ELb1ES3_N6thrust23THRUST_200600_302600_NS6detail15normal_iteratorINS9_10device_ptrIiEEEENSB_INSC_IxEEEESG_xNS9_4plusIvEENS9_8equal_toIvEExEE10hipError_tPvRmT2_T3_T4_T5_mT6_T7_P12ihipStream_tbENKUlT_T0_E_clISt17integral_constantIbLb0EES10_IbLb1EEEEDaSW_SX_EUlSW_E_NS1_11comp_targetILNS1_3genE0ELNS1_11target_archE4294967295ELNS1_3gpuE0ELNS1_3repE0EEENS1_30default_config_static_selectorELNS0_4arch9wavefront6targetE0EEEvT1_
                                        ; -- End function
	.set _ZN7rocprim17ROCPRIM_400000_NS6detail17trampoline_kernelINS0_14default_configENS1_27scan_by_key_config_selectorIixEEZZNS1_16scan_by_key_implILNS1_25lookback_scan_determinismE0ELb1ES3_N6thrust23THRUST_200600_302600_NS6detail15normal_iteratorINS9_10device_ptrIiEEEENSB_INSC_IxEEEESG_xNS9_4plusIvEENS9_8equal_toIvEExEE10hipError_tPvRmT2_T3_T4_T5_mT6_T7_P12ihipStream_tbENKUlT_T0_E_clISt17integral_constantIbLb0EES10_IbLb1EEEEDaSW_SX_EUlSW_E_NS1_11comp_targetILNS1_3genE0ELNS1_11target_archE4294967295ELNS1_3gpuE0ELNS1_3repE0EEENS1_30default_config_static_selectorELNS0_4arch9wavefront6targetE0EEEvT1_.num_vgpr, 0
	.set _ZN7rocprim17ROCPRIM_400000_NS6detail17trampoline_kernelINS0_14default_configENS1_27scan_by_key_config_selectorIixEEZZNS1_16scan_by_key_implILNS1_25lookback_scan_determinismE0ELb1ES3_N6thrust23THRUST_200600_302600_NS6detail15normal_iteratorINS9_10device_ptrIiEEEENSB_INSC_IxEEEESG_xNS9_4plusIvEENS9_8equal_toIvEExEE10hipError_tPvRmT2_T3_T4_T5_mT6_T7_P12ihipStream_tbENKUlT_T0_E_clISt17integral_constantIbLb0EES10_IbLb1EEEEDaSW_SX_EUlSW_E_NS1_11comp_targetILNS1_3genE0ELNS1_11target_archE4294967295ELNS1_3gpuE0ELNS1_3repE0EEENS1_30default_config_static_selectorELNS0_4arch9wavefront6targetE0EEEvT1_.num_agpr, 0
	.set _ZN7rocprim17ROCPRIM_400000_NS6detail17trampoline_kernelINS0_14default_configENS1_27scan_by_key_config_selectorIixEEZZNS1_16scan_by_key_implILNS1_25lookback_scan_determinismE0ELb1ES3_N6thrust23THRUST_200600_302600_NS6detail15normal_iteratorINS9_10device_ptrIiEEEENSB_INSC_IxEEEESG_xNS9_4plusIvEENS9_8equal_toIvEExEE10hipError_tPvRmT2_T3_T4_T5_mT6_T7_P12ihipStream_tbENKUlT_T0_E_clISt17integral_constantIbLb0EES10_IbLb1EEEEDaSW_SX_EUlSW_E_NS1_11comp_targetILNS1_3genE0ELNS1_11target_archE4294967295ELNS1_3gpuE0ELNS1_3repE0EEENS1_30default_config_static_selectorELNS0_4arch9wavefront6targetE0EEEvT1_.numbered_sgpr, 0
	.set _ZN7rocprim17ROCPRIM_400000_NS6detail17trampoline_kernelINS0_14default_configENS1_27scan_by_key_config_selectorIixEEZZNS1_16scan_by_key_implILNS1_25lookback_scan_determinismE0ELb1ES3_N6thrust23THRUST_200600_302600_NS6detail15normal_iteratorINS9_10device_ptrIiEEEENSB_INSC_IxEEEESG_xNS9_4plusIvEENS9_8equal_toIvEExEE10hipError_tPvRmT2_T3_T4_T5_mT6_T7_P12ihipStream_tbENKUlT_T0_E_clISt17integral_constantIbLb0EES10_IbLb1EEEEDaSW_SX_EUlSW_E_NS1_11comp_targetILNS1_3genE0ELNS1_11target_archE4294967295ELNS1_3gpuE0ELNS1_3repE0EEENS1_30default_config_static_selectorELNS0_4arch9wavefront6targetE0EEEvT1_.num_named_barrier, 0
	.set _ZN7rocprim17ROCPRIM_400000_NS6detail17trampoline_kernelINS0_14default_configENS1_27scan_by_key_config_selectorIixEEZZNS1_16scan_by_key_implILNS1_25lookback_scan_determinismE0ELb1ES3_N6thrust23THRUST_200600_302600_NS6detail15normal_iteratorINS9_10device_ptrIiEEEENSB_INSC_IxEEEESG_xNS9_4plusIvEENS9_8equal_toIvEExEE10hipError_tPvRmT2_T3_T4_T5_mT6_T7_P12ihipStream_tbENKUlT_T0_E_clISt17integral_constantIbLb0EES10_IbLb1EEEEDaSW_SX_EUlSW_E_NS1_11comp_targetILNS1_3genE0ELNS1_11target_archE4294967295ELNS1_3gpuE0ELNS1_3repE0EEENS1_30default_config_static_selectorELNS0_4arch9wavefront6targetE0EEEvT1_.private_seg_size, 0
	.set _ZN7rocprim17ROCPRIM_400000_NS6detail17trampoline_kernelINS0_14default_configENS1_27scan_by_key_config_selectorIixEEZZNS1_16scan_by_key_implILNS1_25lookback_scan_determinismE0ELb1ES3_N6thrust23THRUST_200600_302600_NS6detail15normal_iteratorINS9_10device_ptrIiEEEENSB_INSC_IxEEEESG_xNS9_4plusIvEENS9_8equal_toIvEExEE10hipError_tPvRmT2_T3_T4_T5_mT6_T7_P12ihipStream_tbENKUlT_T0_E_clISt17integral_constantIbLb0EES10_IbLb1EEEEDaSW_SX_EUlSW_E_NS1_11comp_targetILNS1_3genE0ELNS1_11target_archE4294967295ELNS1_3gpuE0ELNS1_3repE0EEENS1_30default_config_static_selectorELNS0_4arch9wavefront6targetE0EEEvT1_.uses_vcc, 0
	.set _ZN7rocprim17ROCPRIM_400000_NS6detail17trampoline_kernelINS0_14default_configENS1_27scan_by_key_config_selectorIixEEZZNS1_16scan_by_key_implILNS1_25lookback_scan_determinismE0ELb1ES3_N6thrust23THRUST_200600_302600_NS6detail15normal_iteratorINS9_10device_ptrIiEEEENSB_INSC_IxEEEESG_xNS9_4plusIvEENS9_8equal_toIvEExEE10hipError_tPvRmT2_T3_T4_T5_mT6_T7_P12ihipStream_tbENKUlT_T0_E_clISt17integral_constantIbLb0EES10_IbLb1EEEEDaSW_SX_EUlSW_E_NS1_11comp_targetILNS1_3genE0ELNS1_11target_archE4294967295ELNS1_3gpuE0ELNS1_3repE0EEENS1_30default_config_static_selectorELNS0_4arch9wavefront6targetE0EEEvT1_.uses_flat_scratch, 0
	.set _ZN7rocprim17ROCPRIM_400000_NS6detail17trampoline_kernelINS0_14default_configENS1_27scan_by_key_config_selectorIixEEZZNS1_16scan_by_key_implILNS1_25lookback_scan_determinismE0ELb1ES3_N6thrust23THRUST_200600_302600_NS6detail15normal_iteratorINS9_10device_ptrIiEEEENSB_INSC_IxEEEESG_xNS9_4plusIvEENS9_8equal_toIvEExEE10hipError_tPvRmT2_T3_T4_T5_mT6_T7_P12ihipStream_tbENKUlT_T0_E_clISt17integral_constantIbLb0EES10_IbLb1EEEEDaSW_SX_EUlSW_E_NS1_11comp_targetILNS1_3genE0ELNS1_11target_archE4294967295ELNS1_3gpuE0ELNS1_3repE0EEENS1_30default_config_static_selectorELNS0_4arch9wavefront6targetE0EEEvT1_.has_dyn_sized_stack, 0
	.set _ZN7rocprim17ROCPRIM_400000_NS6detail17trampoline_kernelINS0_14default_configENS1_27scan_by_key_config_selectorIixEEZZNS1_16scan_by_key_implILNS1_25lookback_scan_determinismE0ELb1ES3_N6thrust23THRUST_200600_302600_NS6detail15normal_iteratorINS9_10device_ptrIiEEEENSB_INSC_IxEEEESG_xNS9_4plusIvEENS9_8equal_toIvEExEE10hipError_tPvRmT2_T3_T4_T5_mT6_T7_P12ihipStream_tbENKUlT_T0_E_clISt17integral_constantIbLb0EES10_IbLb1EEEEDaSW_SX_EUlSW_E_NS1_11comp_targetILNS1_3genE0ELNS1_11target_archE4294967295ELNS1_3gpuE0ELNS1_3repE0EEENS1_30default_config_static_selectorELNS0_4arch9wavefront6targetE0EEEvT1_.has_recursion, 0
	.set _ZN7rocprim17ROCPRIM_400000_NS6detail17trampoline_kernelINS0_14default_configENS1_27scan_by_key_config_selectorIixEEZZNS1_16scan_by_key_implILNS1_25lookback_scan_determinismE0ELb1ES3_N6thrust23THRUST_200600_302600_NS6detail15normal_iteratorINS9_10device_ptrIiEEEENSB_INSC_IxEEEESG_xNS9_4plusIvEENS9_8equal_toIvEExEE10hipError_tPvRmT2_T3_T4_T5_mT6_T7_P12ihipStream_tbENKUlT_T0_E_clISt17integral_constantIbLb0EES10_IbLb1EEEEDaSW_SX_EUlSW_E_NS1_11comp_targetILNS1_3genE0ELNS1_11target_archE4294967295ELNS1_3gpuE0ELNS1_3repE0EEENS1_30default_config_static_selectorELNS0_4arch9wavefront6targetE0EEEvT1_.has_indirect_call, 0
	.section	.AMDGPU.csdata,"",@progbits
; Kernel info:
; codeLenInByte = 0
; TotalNumSgprs: 0
; NumVgprs: 0
; ScratchSize: 0
; MemoryBound: 0
; FloatMode: 240
; IeeeMode: 1
; LDSByteSize: 0 bytes/workgroup (compile time only)
; SGPRBlocks: 0
; VGPRBlocks: 0
; NumSGPRsForWavesPerEU: 1
; NumVGPRsForWavesPerEU: 1
; Occupancy: 16
; WaveLimiterHint : 0
; COMPUTE_PGM_RSRC2:SCRATCH_EN: 0
; COMPUTE_PGM_RSRC2:USER_SGPR: 6
; COMPUTE_PGM_RSRC2:TRAP_HANDLER: 0
; COMPUTE_PGM_RSRC2:TGID_X_EN: 1
; COMPUTE_PGM_RSRC2:TGID_Y_EN: 0
; COMPUTE_PGM_RSRC2:TGID_Z_EN: 0
; COMPUTE_PGM_RSRC2:TIDIG_COMP_CNT: 0
	.section	.text._ZN7rocprim17ROCPRIM_400000_NS6detail17trampoline_kernelINS0_14default_configENS1_27scan_by_key_config_selectorIixEEZZNS1_16scan_by_key_implILNS1_25lookback_scan_determinismE0ELb1ES3_N6thrust23THRUST_200600_302600_NS6detail15normal_iteratorINS9_10device_ptrIiEEEENSB_INSC_IxEEEESG_xNS9_4plusIvEENS9_8equal_toIvEExEE10hipError_tPvRmT2_T3_T4_T5_mT6_T7_P12ihipStream_tbENKUlT_T0_E_clISt17integral_constantIbLb0EES10_IbLb1EEEEDaSW_SX_EUlSW_E_NS1_11comp_targetILNS1_3genE10ELNS1_11target_archE1201ELNS1_3gpuE5ELNS1_3repE0EEENS1_30default_config_static_selectorELNS0_4arch9wavefront6targetE0EEEvT1_,"axG",@progbits,_ZN7rocprim17ROCPRIM_400000_NS6detail17trampoline_kernelINS0_14default_configENS1_27scan_by_key_config_selectorIixEEZZNS1_16scan_by_key_implILNS1_25lookback_scan_determinismE0ELb1ES3_N6thrust23THRUST_200600_302600_NS6detail15normal_iteratorINS9_10device_ptrIiEEEENSB_INSC_IxEEEESG_xNS9_4plusIvEENS9_8equal_toIvEExEE10hipError_tPvRmT2_T3_T4_T5_mT6_T7_P12ihipStream_tbENKUlT_T0_E_clISt17integral_constantIbLb0EES10_IbLb1EEEEDaSW_SX_EUlSW_E_NS1_11comp_targetILNS1_3genE10ELNS1_11target_archE1201ELNS1_3gpuE5ELNS1_3repE0EEENS1_30default_config_static_selectorELNS0_4arch9wavefront6targetE0EEEvT1_,comdat
	.protected	_ZN7rocprim17ROCPRIM_400000_NS6detail17trampoline_kernelINS0_14default_configENS1_27scan_by_key_config_selectorIixEEZZNS1_16scan_by_key_implILNS1_25lookback_scan_determinismE0ELb1ES3_N6thrust23THRUST_200600_302600_NS6detail15normal_iteratorINS9_10device_ptrIiEEEENSB_INSC_IxEEEESG_xNS9_4plusIvEENS9_8equal_toIvEExEE10hipError_tPvRmT2_T3_T4_T5_mT6_T7_P12ihipStream_tbENKUlT_T0_E_clISt17integral_constantIbLb0EES10_IbLb1EEEEDaSW_SX_EUlSW_E_NS1_11comp_targetILNS1_3genE10ELNS1_11target_archE1201ELNS1_3gpuE5ELNS1_3repE0EEENS1_30default_config_static_selectorELNS0_4arch9wavefront6targetE0EEEvT1_ ; -- Begin function _ZN7rocprim17ROCPRIM_400000_NS6detail17trampoline_kernelINS0_14default_configENS1_27scan_by_key_config_selectorIixEEZZNS1_16scan_by_key_implILNS1_25lookback_scan_determinismE0ELb1ES3_N6thrust23THRUST_200600_302600_NS6detail15normal_iteratorINS9_10device_ptrIiEEEENSB_INSC_IxEEEESG_xNS9_4plusIvEENS9_8equal_toIvEExEE10hipError_tPvRmT2_T3_T4_T5_mT6_T7_P12ihipStream_tbENKUlT_T0_E_clISt17integral_constantIbLb0EES10_IbLb1EEEEDaSW_SX_EUlSW_E_NS1_11comp_targetILNS1_3genE10ELNS1_11target_archE1201ELNS1_3gpuE5ELNS1_3repE0EEENS1_30default_config_static_selectorELNS0_4arch9wavefront6targetE0EEEvT1_
	.globl	_ZN7rocprim17ROCPRIM_400000_NS6detail17trampoline_kernelINS0_14default_configENS1_27scan_by_key_config_selectorIixEEZZNS1_16scan_by_key_implILNS1_25lookback_scan_determinismE0ELb1ES3_N6thrust23THRUST_200600_302600_NS6detail15normal_iteratorINS9_10device_ptrIiEEEENSB_INSC_IxEEEESG_xNS9_4plusIvEENS9_8equal_toIvEExEE10hipError_tPvRmT2_T3_T4_T5_mT6_T7_P12ihipStream_tbENKUlT_T0_E_clISt17integral_constantIbLb0EES10_IbLb1EEEEDaSW_SX_EUlSW_E_NS1_11comp_targetILNS1_3genE10ELNS1_11target_archE1201ELNS1_3gpuE5ELNS1_3repE0EEENS1_30default_config_static_selectorELNS0_4arch9wavefront6targetE0EEEvT1_
	.p2align	8
	.type	_ZN7rocprim17ROCPRIM_400000_NS6detail17trampoline_kernelINS0_14default_configENS1_27scan_by_key_config_selectorIixEEZZNS1_16scan_by_key_implILNS1_25lookback_scan_determinismE0ELb1ES3_N6thrust23THRUST_200600_302600_NS6detail15normal_iteratorINS9_10device_ptrIiEEEENSB_INSC_IxEEEESG_xNS9_4plusIvEENS9_8equal_toIvEExEE10hipError_tPvRmT2_T3_T4_T5_mT6_T7_P12ihipStream_tbENKUlT_T0_E_clISt17integral_constantIbLb0EES10_IbLb1EEEEDaSW_SX_EUlSW_E_NS1_11comp_targetILNS1_3genE10ELNS1_11target_archE1201ELNS1_3gpuE5ELNS1_3repE0EEENS1_30default_config_static_selectorELNS0_4arch9wavefront6targetE0EEEvT1_,@function
_ZN7rocprim17ROCPRIM_400000_NS6detail17trampoline_kernelINS0_14default_configENS1_27scan_by_key_config_selectorIixEEZZNS1_16scan_by_key_implILNS1_25lookback_scan_determinismE0ELb1ES3_N6thrust23THRUST_200600_302600_NS6detail15normal_iteratorINS9_10device_ptrIiEEEENSB_INSC_IxEEEESG_xNS9_4plusIvEENS9_8equal_toIvEExEE10hipError_tPvRmT2_T3_T4_T5_mT6_T7_P12ihipStream_tbENKUlT_T0_E_clISt17integral_constantIbLb0EES10_IbLb1EEEEDaSW_SX_EUlSW_E_NS1_11comp_targetILNS1_3genE10ELNS1_11target_archE1201ELNS1_3gpuE5ELNS1_3repE0EEENS1_30default_config_static_selectorELNS0_4arch9wavefront6targetE0EEEvT1_: ; @_ZN7rocprim17ROCPRIM_400000_NS6detail17trampoline_kernelINS0_14default_configENS1_27scan_by_key_config_selectorIixEEZZNS1_16scan_by_key_implILNS1_25lookback_scan_determinismE0ELb1ES3_N6thrust23THRUST_200600_302600_NS6detail15normal_iteratorINS9_10device_ptrIiEEEENSB_INSC_IxEEEESG_xNS9_4plusIvEENS9_8equal_toIvEExEE10hipError_tPvRmT2_T3_T4_T5_mT6_T7_P12ihipStream_tbENKUlT_T0_E_clISt17integral_constantIbLb0EES10_IbLb1EEEEDaSW_SX_EUlSW_E_NS1_11comp_targetILNS1_3genE10ELNS1_11target_archE1201ELNS1_3gpuE5ELNS1_3repE0EEENS1_30default_config_static_selectorELNS0_4arch9wavefront6targetE0EEEvT1_
; %bb.0:
	.section	.rodata,"a",@progbits
	.p2align	6, 0x0
	.amdhsa_kernel _ZN7rocprim17ROCPRIM_400000_NS6detail17trampoline_kernelINS0_14default_configENS1_27scan_by_key_config_selectorIixEEZZNS1_16scan_by_key_implILNS1_25lookback_scan_determinismE0ELb1ES3_N6thrust23THRUST_200600_302600_NS6detail15normal_iteratorINS9_10device_ptrIiEEEENSB_INSC_IxEEEESG_xNS9_4plusIvEENS9_8equal_toIvEExEE10hipError_tPvRmT2_T3_T4_T5_mT6_T7_P12ihipStream_tbENKUlT_T0_E_clISt17integral_constantIbLb0EES10_IbLb1EEEEDaSW_SX_EUlSW_E_NS1_11comp_targetILNS1_3genE10ELNS1_11target_archE1201ELNS1_3gpuE5ELNS1_3repE0EEENS1_30default_config_static_selectorELNS0_4arch9wavefront6targetE0EEEvT1_
		.amdhsa_group_segment_fixed_size 0
		.amdhsa_private_segment_fixed_size 0
		.amdhsa_kernarg_size 136
		.amdhsa_user_sgpr_count 6
		.amdhsa_user_sgpr_private_segment_buffer 1
		.amdhsa_user_sgpr_dispatch_ptr 0
		.amdhsa_user_sgpr_queue_ptr 0
		.amdhsa_user_sgpr_kernarg_segment_ptr 1
		.amdhsa_user_sgpr_dispatch_id 0
		.amdhsa_user_sgpr_flat_scratch_init 0
		.amdhsa_user_sgpr_private_segment_size 0
		.amdhsa_wavefront_size32 1
		.amdhsa_uses_dynamic_stack 0
		.amdhsa_system_sgpr_private_segment_wavefront_offset 0
		.amdhsa_system_sgpr_workgroup_id_x 1
		.amdhsa_system_sgpr_workgroup_id_y 0
		.amdhsa_system_sgpr_workgroup_id_z 0
		.amdhsa_system_sgpr_workgroup_info 0
		.amdhsa_system_vgpr_workitem_id 0
		.amdhsa_next_free_vgpr 1
		.amdhsa_next_free_sgpr 1
		.amdhsa_reserve_vcc 0
		.amdhsa_reserve_flat_scratch 0
		.amdhsa_float_round_mode_32 0
		.amdhsa_float_round_mode_16_64 0
		.amdhsa_float_denorm_mode_32 3
		.amdhsa_float_denorm_mode_16_64 3
		.amdhsa_dx10_clamp 1
		.amdhsa_ieee_mode 1
		.amdhsa_fp16_overflow 0
		.amdhsa_workgroup_processor_mode 1
		.amdhsa_memory_ordered 1
		.amdhsa_forward_progress 1
		.amdhsa_shared_vgpr_count 0
		.amdhsa_exception_fp_ieee_invalid_op 0
		.amdhsa_exception_fp_denorm_src 0
		.amdhsa_exception_fp_ieee_div_zero 0
		.amdhsa_exception_fp_ieee_overflow 0
		.amdhsa_exception_fp_ieee_underflow 0
		.amdhsa_exception_fp_ieee_inexact 0
		.amdhsa_exception_int_div_zero 0
	.end_amdhsa_kernel
	.section	.text._ZN7rocprim17ROCPRIM_400000_NS6detail17trampoline_kernelINS0_14default_configENS1_27scan_by_key_config_selectorIixEEZZNS1_16scan_by_key_implILNS1_25lookback_scan_determinismE0ELb1ES3_N6thrust23THRUST_200600_302600_NS6detail15normal_iteratorINS9_10device_ptrIiEEEENSB_INSC_IxEEEESG_xNS9_4plusIvEENS9_8equal_toIvEExEE10hipError_tPvRmT2_T3_T4_T5_mT6_T7_P12ihipStream_tbENKUlT_T0_E_clISt17integral_constantIbLb0EES10_IbLb1EEEEDaSW_SX_EUlSW_E_NS1_11comp_targetILNS1_3genE10ELNS1_11target_archE1201ELNS1_3gpuE5ELNS1_3repE0EEENS1_30default_config_static_selectorELNS0_4arch9wavefront6targetE0EEEvT1_,"axG",@progbits,_ZN7rocprim17ROCPRIM_400000_NS6detail17trampoline_kernelINS0_14default_configENS1_27scan_by_key_config_selectorIixEEZZNS1_16scan_by_key_implILNS1_25lookback_scan_determinismE0ELb1ES3_N6thrust23THRUST_200600_302600_NS6detail15normal_iteratorINS9_10device_ptrIiEEEENSB_INSC_IxEEEESG_xNS9_4plusIvEENS9_8equal_toIvEExEE10hipError_tPvRmT2_T3_T4_T5_mT6_T7_P12ihipStream_tbENKUlT_T0_E_clISt17integral_constantIbLb0EES10_IbLb1EEEEDaSW_SX_EUlSW_E_NS1_11comp_targetILNS1_3genE10ELNS1_11target_archE1201ELNS1_3gpuE5ELNS1_3repE0EEENS1_30default_config_static_selectorELNS0_4arch9wavefront6targetE0EEEvT1_,comdat
.Lfunc_end1599:
	.size	_ZN7rocprim17ROCPRIM_400000_NS6detail17trampoline_kernelINS0_14default_configENS1_27scan_by_key_config_selectorIixEEZZNS1_16scan_by_key_implILNS1_25lookback_scan_determinismE0ELb1ES3_N6thrust23THRUST_200600_302600_NS6detail15normal_iteratorINS9_10device_ptrIiEEEENSB_INSC_IxEEEESG_xNS9_4plusIvEENS9_8equal_toIvEExEE10hipError_tPvRmT2_T3_T4_T5_mT6_T7_P12ihipStream_tbENKUlT_T0_E_clISt17integral_constantIbLb0EES10_IbLb1EEEEDaSW_SX_EUlSW_E_NS1_11comp_targetILNS1_3genE10ELNS1_11target_archE1201ELNS1_3gpuE5ELNS1_3repE0EEENS1_30default_config_static_selectorELNS0_4arch9wavefront6targetE0EEEvT1_, .Lfunc_end1599-_ZN7rocprim17ROCPRIM_400000_NS6detail17trampoline_kernelINS0_14default_configENS1_27scan_by_key_config_selectorIixEEZZNS1_16scan_by_key_implILNS1_25lookback_scan_determinismE0ELb1ES3_N6thrust23THRUST_200600_302600_NS6detail15normal_iteratorINS9_10device_ptrIiEEEENSB_INSC_IxEEEESG_xNS9_4plusIvEENS9_8equal_toIvEExEE10hipError_tPvRmT2_T3_T4_T5_mT6_T7_P12ihipStream_tbENKUlT_T0_E_clISt17integral_constantIbLb0EES10_IbLb1EEEEDaSW_SX_EUlSW_E_NS1_11comp_targetILNS1_3genE10ELNS1_11target_archE1201ELNS1_3gpuE5ELNS1_3repE0EEENS1_30default_config_static_selectorELNS0_4arch9wavefront6targetE0EEEvT1_
                                        ; -- End function
	.set _ZN7rocprim17ROCPRIM_400000_NS6detail17trampoline_kernelINS0_14default_configENS1_27scan_by_key_config_selectorIixEEZZNS1_16scan_by_key_implILNS1_25lookback_scan_determinismE0ELb1ES3_N6thrust23THRUST_200600_302600_NS6detail15normal_iteratorINS9_10device_ptrIiEEEENSB_INSC_IxEEEESG_xNS9_4plusIvEENS9_8equal_toIvEExEE10hipError_tPvRmT2_T3_T4_T5_mT6_T7_P12ihipStream_tbENKUlT_T0_E_clISt17integral_constantIbLb0EES10_IbLb1EEEEDaSW_SX_EUlSW_E_NS1_11comp_targetILNS1_3genE10ELNS1_11target_archE1201ELNS1_3gpuE5ELNS1_3repE0EEENS1_30default_config_static_selectorELNS0_4arch9wavefront6targetE0EEEvT1_.num_vgpr, 0
	.set _ZN7rocprim17ROCPRIM_400000_NS6detail17trampoline_kernelINS0_14default_configENS1_27scan_by_key_config_selectorIixEEZZNS1_16scan_by_key_implILNS1_25lookback_scan_determinismE0ELb1ES3_N6thrust23THRUST_200600_302600_NS6detail15normal_iteratorINS9_10device_ptrIiEEEENSB_INSC_IxEEEESG_xNS9_4plusIvEENS9_8equal_toIvEExEE10hipError_tPvRmT2_T3_T4_T5_mT6_T7_P12ihipStream_tbENKUlT_T0_E_clISt17integral_constantIbLb0EES10_IbLb1EEEEDaSW_SX_EUlSW_E_NS1_11comp_targetILNS1_3genE10ELNS1_11target_archE1201ELNS1_3gpuE5ELNS1_3repE0EEENS1_30default_config_static_selectorELNS0_4arch9wavefront6targetE0EEEvT1_.num_agpr, 0
	.set _ZN7rocprim17ROCPRIM_400000_NS6detail17trampoline_kernelINS0_14default_configENS1_27scan_by_key_config_selectorIixEEZZNS1_16scan_by_key_implILNS1_25lookback_scan_determinismE0ELb1ES3_N6thrust23THRUST_200600_302600_NS6detail15normal_iteratorINS9_10device_ptrIiEEEENSB_INSC_IxEEEESG_xNS9_4plusIvEENS9_8equal_toIvEExEE10hipError_tPvRmT2_T3_T4_T5_mT6_T7_P12ihipStream_tbENKUlT_T0_E_clISt17integral_constantIbLb0EES10_IbLb1EEEEDaSW_SX_EUlSW_E_NS1_11comp_targetILNS1_3genE10ELNS1_11target_archE1201ELNS1_3gpuE5ELNS1_3repE0EEENS1_30default_config_static_selectorELNS0_4arch9wavefront6targetE0EEEvT1_.numbered_sgpr, 0
	.set _ZN7rocprim17ROCPRIM_400000_NS6detail17trampoline_kernelINS0_14default_configENS1_27scan_by_key_config_selectorIixEEZZNS1_16scan_by_key_implILNS1_25lookback_scan_determinismE0ELb1ES3_N6thrust23THRUST_200600_302600_NS6detail15normal_iteratorINS9_10device_ptrIiEEEENSB_INSC_IxEEEESG_xNS9_4plusIvEENS9_8equal_toIvEExEE10hipError_tPvRmT2_T3_T4_T5_mT6_T7_P12ihipStream_tbENKUlT_T0_E_clISt17integral_constantIbLb0EES10_IbLb1EEEEDaSW_SX_EUlSW_E_NS1_11comp_targetILNS1_3genE10ELNS1_11target_archE1201ELNS1_3gpuE5ELNS1_3repE0EEENS1_30default_config_static_selectorELNS0_4arch9wavefront6targetE0EEEvT1_.num_named_barrier, 0
	.set _ZN7rocprim17ROCPRIM_400000_NS6detail17trampoline_kernelINS0_14default_configENS1_27scan_by_key_config_selectorIixEEZZNS1_16scan_by_key_implILNS1_25lookback_scan_determinismE0ELb1ES3_N6thrust23THRUST_200600_302600_NS6detail15normal_iteratorINS9_10device_ptrIiEEEENSB_INSC_IxEEEESG_xNS9_4plusIvEENS9_8equal_toIvEExEE10hipError_tPvRmT2_T3_T4_T5_mT6_T7_P12ihipStream_tbENKUlT_T0_E_clISt17integral_constantIbLb0EES10_IbLb1EEEEDaSW_SX_EUlSW_E_NS1_11comp_targetILNS1_3genE10ELNS1_11target_archE1201ELNS1_3gpuE5ELNS1_3repE0EEENS1_30default_config_static_selectorELNS0_4arch9wavefront6targetE0EEEvT1_.private_seg_size, 0
	.set _ZN7rocprim17ROCPRIM_400000_NS6detail17trampoline_kernelINS0_14default_configENS1_27scan_by_key_config_selectorIixEEZZNS1_16scan_by_key_implILNS1_25lookback_scan_determinismE0ELb1ES3_N6thrust23THRUST_200600_302600_NS6detail15normal_iteratorINS9_10device_ptrIiEEEENSB_INSC_IxEEEESG_xNS9_4plusIvEENS9_8equal_toIvEExEE10hipError_tPvRmT2_T3_T4_T5_mT6_T7_P12ihipStream_tbENKUlT_T0_E_clISt17integral_constantIbLb0EES10_IbLb1EEEEDaSW_SX_EUlSW_E_NS1_11comp_targetILNS1_3genE10ELNS1_11target_archE1201ELNS1_3gpuE5ELNS1_3repE0EEENS1_30default_config_static_selectorELNS0_4arch9wavefront6targetE0EEEvT1_.uses_vcc, 0
	.set _ZN7rocprim17ROCPRIM_400000_NS6detail17trampoline_kernelINS0_14default_configENS1_27scan_by_key_config_selectorIixEEZZNS1_16scan_by_key_implILNS1_25lookback_scan_determinismE0ELb1ES3_N6thrust23THRUST_200600_302600_NS6detail15normal_iteratorINS9_10device_ptrIiEEEENSB_INSC_IxEEEESG_xNS9_4plusIvEENS9_8equal_toIvEExEE10hipError_tPvRmT2_T3_T4_T5_mT6_T7_P12ihipStream_tbENKUlT_T0_E_clISt17integral_constantIbLb0EES10_IbLb1EEEEDaSW_SX_EUlSW_E_NS1_11comp_targetILNS1_3genE10ELNS1_11target_archE1201ELNS1_3gpuE5ELNS1_3repE0EEENS1_30default_config_static_selectorELNS0_4arch9wavefront6targetE0EEEvT1_.uses_flat_scratch, 0
	.set _ZN7rocprim17ROCPRIM_400000_NS6detail17trampoline_kernelINS0_14default_configENS1_27scan_by_key_config_selectorIixEEZZNS1_16scan_by_key_implILNS1_25lookback_scan_determinismE0ELb1ES3_N6thrust23THRUST_200600_302600_NS6detail15normal_iteratorINS9_10device_ptrIiEEEENSB_INSC_IxEEEESG_xNS9_4plusIvEENS9_8equal_toIvEExEE10hipError_tPvRmT2_T3_T4_T5_mT6_T7_P12ihipStream_tbENKUlT_T0_E_clISt17integral_constantIbLb0EES10_IbLb1EEEEDaSW_SX_EUlSW_E_NS1_11comp_targetILNS1_3genE10ELNS1_11target_archE1201ELNS1_3gpuE5ELNS1_3repE0EEENS1_30default_config_static_selectorELNS0_4arch9wavefront6targetE0EEEvT1_.has_dyn_sized_stack, 0
	.set _ZN7rocprim17ROCPRIM_400000_NS6detail17trampoline_kernelINS0_14default_configENS1_27scan_by_key_config_selectorIixEEZZNS1_16scan_by_key_implILNS1_25lookback_scan_determinismE0ELb1ES3_N6thrust23THRUST_200600_302600_NS6detail15normal_iteratorINS9_10device_ptrIiEEEENSB_INSC_IxEEEESG_xNS9_4plusIvEENS9_8equal_toIvEExEE10hipError_tPvRmT2_T3_T4_T5_mT6_T7_P12ihipStream_tbENKUlT_T0_E_clISt17integral_constantIbLb0EES10_IbLb1EEEEDaSW_SX_EUlSW_E_NS1_11comp_targetILNS1_3genE10ELNS1_11target_archE1201ELNS1_3gpuE5ELNS1_3repE0EEENS1_30default_config_static_selectorELNS0_4arch9wavefront6targetE0EEEvT1_.has_recursion, 0
	.set _ZN7rocprim17ROCPRIM_400000_NS6detail17trampoline_kernelINS0_14default_configENS1_27scan_by_key_config_selectorIixEEZZNS1_16scan_by_key_implILNS1_25lookback_scan_determinismE0ELb1ES3_N6thrust23THRUST_200600_302600_NS6detail15normal_iteratorINS9_10device_ptrIiEEEENSB_INSC_IxEEEESG_xNS9_4plusIvEENS9_8equal_toIvEExEE10hipError_tPvRmT2_T3_T4_T5_mT6_T7_P12ihipStream_tbENKUlT_T0_E_clISt17integral_constantIbLb0EES10_IbLb1EEEEDaSW_SX_EUlSW_E_NS1_11comp_targetILNS1_3genE10ELNS1_11target_archE1201ELNS1_3gpuE5ELNS1_3repE0EEENS1_30default_config_static_selectorELNS0_4arch9wavefront6targetE0EEEvT1_.has_indirect_call, 0
	.section	.AMDGPU.csdata,"",@progbits
; Kernel info:
; codeLenInByte = 0
; TotalNumSgprs: 0
; NumVgprs: 0
; ScratchSize: 0
; MemoryBound: 0
; FloatMode: 240
; IeeeMode: 1
; LDSByteSize: 0 bytes/workgroup (compile time only)
; SGPRBlocks: 0
; VGPRBlocks: 0
; NumSGPRsForWavesPerEU: 1
; NumVGPRsForWavesPerEU: 1
; Occupancy: 16
; WaveLimiterHint : 0
; COMPUTE_PGM_RSRC2:SCRATCH_EN: 0
; COMPUTE_PGM_RSRC2:USER_SGPR: 6
; COMPUTE_PGM_RSRC2:TRAP_HANDLER: 0
; COMPUTE_PGM_RSRC2:TGID_X_EN: 1
; COMPUTE_PGM_RSRC2:TGID_Y_EN: 0
; COMPUTE_PGM_RSRC2:TGID_Z_EN: 0
; COMPUTE_PGM_RSRC2:TIDIG_COMP_CNT: 0
	.section	.text._ZN7rocprim17ROCPRIM_400000_NS6detail17trampoline_kernelINS0_14default_configENS1_27scan_by_key_config_selectorIixEEZZNS1_16scan_by_key_implILNS1_25lookback_scan_determinismE0ELb1ES3_N6thrust23THRUST_200600_302600_NS6detail15normal_iteratorINS9_10device_ptrIiEEEENSB_INSC_IxEEEESG_xNS9_4plusIvEENS9_8equal_toIvEExEE10hipError_tPvRmT2_T3_T4_T5_mT6_T7_P12ihipStream_tbENKUlT_T0_E_clISt17integral_constantIbLb0EES10_IbLb1EEEEDaSW_SX_EUlSW_E_NS1_11comp_targetILNS1_3genE5ELNS1_11target_archE942ELNS1_3gpuE9ELNS1_3repE0EEENS1_30default_config_static_selectorELNS0_4arch9wavefront6targetE0EEEvT1_,"axG",@progbits,_ZN7rocprim17ROCPRIM_400000_NS6detail17trampoline_kernelINS0_14default_configENS1_27scan_by_key_config_selectorIixEEZZNS1_16scan_by_key_implILNS1_25lookback_scan_determinismE0ELb1ES3_N6thrust23THRUST_200600_302600_NS6detail15normal_iteratorINS9_10device_ptrIiEEEENSB_INSC_IxEEEESG_xNS9_4plusIvEENS9_8equal_toIvEExEE10hipError_tPvRmT2_T3_T4_T5_mT6_T7_P12ihipStream_tbENKUlT_T0_E_clISt17integral_constantIbLb0EES10_IbLb1EEEEDaSW_SX_EUlSW_E_NS1_11comp_targetILNS1_3genE5ELNS1_11target_archE942ELNS1_3gpuE9ELNS1_3repE0EEENS1_30default_config_static_selectorELNS0_4arch9wavefront6targetE0EEEvT1_,comdat
	.protected	_ZN7rocprim17ROCPRIM_400000_NS6detail17trampoline_kernelINS0_14default_configENS1_27scan_by_key_config_selectorIixEEZZNS1_16scan_by_key_implILNS1_25lookback_scan_determinismE0ELb1ES3_N6thrust23THRUST_200600_302600_NS6detail15normal_iteratorINS9_10device_ptrIiEEEENSB_INSC_IxEEEESG_xNS9_4plusIvEENS9_8equal_toIvEExEE10hipError_tPvRmT2_T3_T4_T5_mT6_T7_P12ihipStream_tbENKUlT_T0_E_clISt17integral_constantIbLb0EES10_IbLb1EEEEDaSW_SX_EUlSW_E_NS1_11comp_targetILNS1_3genE5ELNS1_11target_archE942ELNS1_3gpuE9ELNS1_3repE0EEENS1_30default_config_static_selectorELNS0_4arch9wavefront6targetE0EEEvT1_ ; -- Begin function _ZN7rocprim17ROCPRIM_400000_NS6detail17trampoline_kernelINS0_14default_configENS1_27scan_by_key_config_selectorIixEEZZNS1_16scan_by_key_implILNS1_25lookback_scan_determinismE0ELb1ES3_N6thrust23THRUST_200600_302600_NS6detail15normal_iteratorINS9_10device_ptrIiEEEENSB_INSC_IxEEEESG_xNS9_4plusIvEENS9_8equal_toIvEExEE10hipError_tPvRmT2_T3_T4_T5_mT6_T7_P12ihipStream_tbENKUlT_T0_E_clISt17integral_constantIbLb0EES10_IbLb1EEEEDaSW_SX_EUlSW_E_NS1_11comp_targetILNS1_3genE5ELNS1_11target_archE942ELNS1_3gpuE9ELNS1_3repE0EEENS1_30default_config_static_selectorELNS0_4arch9wavefront6targetE0EEEvT1_
	.globl	_ZN7rocprim17ROCPRIM_400000_NS6detail17trampoline_kernelINS0_14default_configENS1_27scan_by_key_config_selectorIixEEZZNS1_16scan_by_key_implILNS1_25lookback_scan_determinismE0ELb1ES3_N6thrust23THRUST_200600_302600_NS6detail15normal_iteratorINS9_10device_ptrIiEEEENSB_INSC_IxEEEESG_xNS9_4plusIvEENS9_8equal_toIvEExEE10hipError_tPvRmT2_T3_T4_T5_mT6_T7_P12ihipStream_tbENKUlT_T0_E_clISt17integral_constantIbLb0EES10_IbLb1EEEEDaSW_SX_EUlSW_E_NS1_11comp_targetILNS1_3genE5ELNS1_11target_archE942ELNS1_3gpuE9ELNS1_3repE0EEENS1_30default_config_static_selectorELNS0_4arch9wavefront6targetE0EEEvT1_
	.p2align	8
	.type	_ZN7rocprim17ROCPRIM_400000_NS6detail17trampoline_kernelINS0_14default_configENS1_27scan_by_key_config_selectorIixEEZZNS1_16scan_by_key_implILNS1_25lookback_scan_determinismE0ELb1ES3_N6thrust23THRUST_200600_302600_NS6detail15normal_iteratorINS9_10device_ptrIiEEEENSB_INSC_IxEEEESG_xNS9_4plusIvEENS9_8equal_toIvEExEE10hipError_tPvRmT2_T3_T4_T5_mT6_T7_P12ihipStream_tbENKUlT_T0_E_clISt17integral_constantIbLb0EES10_IbLb1EEEEDaSW_SX_EUlSW_E_NS1_11comp_targetILNS1_3genE5ELNS1_11target_archE942ELNS1_3gpuE9ELNS1_3repE0EEENS1_30default_config_static_selectorELNS0_4arch9wavefront6targetE0EEEvT1_,@function
_ZN7rocprim17ROCPRIM_400000_NS6detail17trampoline_kernelINS0_14default_configENS1_27scan_by_key_config_selectorIixEEZZNS1_16scan_by_key_implILNS1_25lookback_scan_determinismE0ELb1ES3_N6thrust23THRUST_200600_302600_NS6detail15normal_iteratorINS9_10device_ptrIiEEEENSB_INSC_IxEEEESG_xNS9_4plusIvEENS9_8equal_toIvEExEE10hipError_tPvRmT2_T3_T4_T5_mT6_T7_P12ihipStream_tbENKUlT_T0_E_clISt17integral_constantIbLb0EES10_IbLb1EEEEDaSW_SX_EUlSW_E_NS1_11comp_targetILNS1_3genE5ELNS1_11target_archE942ELNS1_3gpuE9ELNS1_3repE0EEENS1_30default_config_static_selectorELNS0_4arch9wavefront6targetE0EEEvT1_: ; @_ZN7rocprim17ROCPRIM_400000_NS6detail17trampoline_kernelINS0_14default_configENS1_27scan_by_key_config_selectorIixEEZZNS1_16scan_by_key_implILNS1_25lookback_scan_determinismE0ELb1ES3_N6thrust23THRUST_200600_302600_NS6detail15normal_iteratorINS9_10device_ptrIiEEEENSB_INSC_IxEEEESG_xNS9_4plusIvEENS9_8equal_toIvEExEE10hipError_tPvRmT2_T3_T4_T5_mT6_T7_P12ihipStream_tbENKUlT_T0_E_clISt17integral_constantIbLb0EES10_IbLb1EEEEDaSW_SX_EUlSW_E_NS1_11comp_targetILNS1_3genE5ELNS1_11target_archE942ELNS1_3gpuE9ELNS1_3repE0EEENS1_30default_config_static_selectorELNS0_4arch9wavefront6targetE0EEEvT1_
; %bb.0:
	.section	.rodata,"a",@progbits
	.p2align	6, 0x0
	.amdhsa_kernel _ZN7rocprim17ROCPRIM_400000_NS6detail17trampoline_kernelINS0_14default_configENS1_27scan_by_key_config_selectorIixEEZZNS1_16scan_by_key_implILNS1_25lookback_scan_determinismE0ELb1ES3_N6thrust23THRUST_200600_302600_NS6detail15normal_iteratorINS9_10device_ptrIiEEEENSB_INSC_IxEEEESG_xNS9_4plusIvEENS9_8equal_toIvEExEE10hipError_tPvRmT2_T3_T4_T5_mT6_T7_P12ihipStream_tbENKUlT_T0_E_clISt17integral_constantIbLb0EES10_IbLb1EEEEDaSW_SX_EUlSW_E_NS1_11comp_targetILNS1_3genE5ELNS1_11target_archE942ELNS1_3gpuE9ELNS1_3repE0EEENS1_30default_config_static_selectorELNS0_4arch9wavefront6targetE0EEEvT1_
		.amdhsa_group_segment_fixed_size 0
		.amdhsa_private_segment_fixed_size 0
		.amdhsa_kernarg_size 136
		.amdhsa_user_sgpr_count 6
		.amdhsa_user_sgpr_private_segment_buffer 1
		.amdhsa_user_sgpr_dispatch_ptr 0
		.amdhsa_user_sgpr_queue_ptr 0
		.amdhsa_user_sgpr_kernarg_segment_ptr 1
		.amdhsa_user_sgpr_dispatch_id 0
		.amdhsa_user_sgpr_flat_scratch_init 0
		.amdhsa_user_sgpr_private_segment_size 0
		.amdhsa_wavefront_size32 1
		.amdhsa_uses_dynamic_stack 0
		.amdhsa_system_sgpr_private_segment_wavefront_offset 0
		.amdhsa_system_sgpr_workgroup_id_x 1
		.amdhsa_system_sgpr_workgroup_id_y 0
		.amdhsa_system_sgpr_workgroup_id_z 0
		.amdhsa_system_sgpr_workgroup_info 0
		.amdhsa_system_vgpr_workitem_id 0
		.amdhsa_next_free_vgpr 1
		.amdhsa_next_free_sgpr 1
		.amdhsa_reserve_vcc 0
		.amdhsa_reserve_flat_scratch 0
		.amdhsa_float_round_mode_32 0
		.amdhsa_float_round_mode_16_64 0
		.amdhsa_float_denorm_mode_32 3
		.amdhsa_float_denorm_mode_16_64 3
		.amdhsa_dx10_clamp 1
		.amdhsa_ieee_mode 1
		.amdhsa_fp16_overflow 0
		.amdhsa_workgroup_processor_mode 1
		.amdhsa_memory_ordered 1
		.amdhsa_forward_progress 1
		.amdhsa_shared_vgpr_count 0
		.amdhsa_exception_fp_ieee_invalid_op 0
		.amdhsa_exception_fp_denorm_src 0
		.amdhsa_exception_fp_ieee_div_zero 0
		.amdhsa_exception_fp_ieee_overflow 0
		.amdhsa_exception_fp_ieee_underflow 0
		.amdhsa_exception_fp_ieee_inexact 0
		.amdhsa_exception_int_div_zero 0
	.end_amdhsa_kernel
	.section	.text._ZN7rocprim17ROCPRIM_400000_NS6detail17trampoline_kernelINS0_14default_configENS1_27scan_by_key_config_selectorIixEEZZNS1_16scan_by_key_implILNS1_25lookback_scan_determinismE0ELb1ES3_N6thrust23THRUST_200600_302600_NS6detail15normal_iteratorINS9_10device_ptrIiEEEENSB_INSC_IxEEEESG_xNS9_4plusIvEENS9_8equal_toIvEExEE10hipError_tPvRmT2_T3_T4_T5_mT6_T7_P12ihipStream_tbENKUlT_T0_E_clISt17integral_constantIbLb0EES10_IbLb1EEEEDaSW_SX_EUlSW_E_NS1_11comp_targetILNS1_3genE5ELNS1_11target_archE942ELNS1_3gpuE9ELNS1_3repE0EEENS1_30default_config_static_selectorELNS0_4arch9wavefront6targetE0EEEvT1_,"axG",@progbits,_ZN7rocprim17ROCPRIM_400000_NS6detail17trampoline_kernelINS0_14default_configENS1_27scan_by_key_config_selectorIixEEZZNS1_16scan_by_key_implILNS1_25lookback_scan_determinismE0ELb1ES3_N6thrust23THRUST_200600_302600_NS6detail15normal_iteratorINS9_10device_ptrIiEEEENSB_INSC_IxEEEESG_xNS9_4plusIvEENS9_8equal_toIvEExEE10hipError_tPvRmT2_T3_T4_T5_mT6_T7_P12ihipStream_tbENKUlT_T0_E_clISt17integral_constantIbLb0EES10_IbLb1EEEEDaSW_SX_EUlSW_E_NS1_11comp_targetILNS1_3genE5ELNS1_11target_archE942ELNS1_3gpuE9ELNS1_3repE0EEENS1_30default_config_static_selectorELNS0_4arch9wavefront6targetE0EEEvT1_,comdat
.Lfunc_end1600:
	.size	_ZN7rocprim17ROCPRIM_400000_NS6detail17trampoline_kernelINS0_14default_configENS1_27scan_by_key_config_selectorIixEEZZNS1_16scan_by_key_implILNS1_25lookback_scan_determinismE0ELb1ES3_N6thrust23THRUST_200600_302600_NS6detail15normal_iteratorINS9_10device_ptrIiEEEENSB_INSC_IxEEEESG_xNS9_4plusIvEENS9_8equal_toIvEExEE10hipError_tPvRmT2_T3_T4_T5_mT6_T7_P12ihipStream_tbENKUlT_T0_E_clISt17integral_constantIbLb0EES10_IbLb1EEEEDaSW_SX_EUlSW_E_NS1_11comp_targetILNS1_3genE5ELNS1_11target_archE942ELNS1_3gpuE9ELNS1_3repE0EEENS1_30default_config_static_selectorELNS0_4arch9wavefront6targetE0EEEvT1_, .Lfunc_end1600-_ZN7rocprim17ROCPRIM_400000_NS6detail17trampoline_kernelINS0_14default_configENS1_27scan_by_key_config_selectorIixEEZZNS1_16scan_by_key_implILNS1_25lookback_scan_determinismE0ELb1ES3_N6thrust23THRUST_200600_302600_NS6detail15normal_iteratorINS9_10device_ptrIiEEEENSB_INSC_IxEEEESG_xNS9_4plusIvEENS9_8equal_toIvEExEE10hipError_tPvRmT2_T3_T4_T5_mT6_T7_P12ihipStream_tbENKUlT_T0_E_clISt17integral_constantIbLb0EES10_IbLb1EEEEDaSW_SX_EUlSW_E_NS1_11comp_targetILNS1_3genE5ELNS1_11target_archE942ELNS1_3gpuE9ELNS1_3repE0EEENS1_30default_config_static_selectorELNS0_4arch9wavefront6targetE0EEEvT1_
                                        ; -- End function
	.set _ZN7rocprim17ROCPRIM_400000_NS6detail17trampoline_kernelINS0_14default_configENS1_27scan_by_key_config_selectorIixEEZZNS1_16scan_by_key_implILNS1_25lookback_scan_determinismE0ELb1ES3_N6thrust23THRUST_200600_302600_NS6detail15normal_iteratorINS9_10device_ptrIiEEEENSB_INSC_IxEEEESG_xNS9_4plusIvEENS9_8equal_toIvEExEE10hipError_tPvRmT2_T3_T4_T5_mT6_T7_P12ihipStream_tbENKUlT_T0_E_clISt17integral_constantIbLb0EES10_IbLb1EEEEDaSW_SX_EUlSW_E_NS1_11comp_targetILNS1_3genE5ELNS1_11target_archE942ELNS1_3gpuE9ELNS1_3repE0EEENS1_30default_config_static_selectorELNS0_4arch9wavefront6targetE0EEEvT1_.num_vgpr, 0
	.set _ZN7rocprim17ROCPRIM_400000_NS6detail17trampoline_kernelINS0_14default_configENS1_27scan_by_key_config_selectorIixEEZZNS1_16scan_by_key_implILNS1_25lookback_scan_determinismE0ELb1ES3_N6thrust23THRUST_200600_302600_NS6detail15normal_iteratorINS9_10device_ptrIiEEEENSB_INSC_IxEEEESG_xNS9_4plusIvEENS9_8equal_toIvEExEE10hipError_tPvRmT2_T3_T4_T5_mT6_T7_P12ihipStream_tbENKUlT_T0_E_clISt17integral_constantIbLb0EES10_IbLb1EEEEDaSW_SX_EUlSW_E_NS1_11comp_targetILNS1_3genE5ELNS1_11target_archE942ELNS1_3gpuE9ELNS1_3repE0EEENS1_30default_config_static_selectorELNS0_4arch9wavefront6targetE0EEEvT1_.num_agpr, 0
	.set _ZN7rocprim17ROCPRIM_400000_NS6detail17trampoline_kernelINS0_14default_configENS1_27scan_by_key_config_selectorIixEEZZNS1_16scan_by_key_implILNS1_25lookback_scan_determinismE0ELb1ES3_N6thrust23THRUST_200600_302600_NS6detail15normal_iteratorINS9_10device_ptrIiEEEENSB_INSC_IxEEEESG_xNS9_4plusIvEENS9_8equal_toIvEExEE10hipError_tPvRmT2_T3_T4_T5_mT6_T7_P12ihipStream_tbENKUlT_T0_E_clISt17integral_constantIbLb0EES10_IbLb1EEEEDaSW_SX_EUlSW_E_NS1_11comp_targetILNS1_3genE5ELNS1_11target_archE942ELNS1_3gpuE9ELNS1_3repE0EEENS1_30default_config_static_selectorELNS0_4arch9wavefront6targetE0EEEvT1_.numbered_sgpr, 0
	.set _ZN7rocprim17ROCPRIM_400000_NS6detail17trampoline_kernelINS0_14default_configENS1_27scan_by_key_config_selectorIixEEZZNS1_16scan_by_key_implILNS1_25lookback_scan_determinismE0ELb1ES3_N6thrust23THRUST_200600_302600_NS6detail15normal_iteratorINS9_10device_ptrIiEEEENSB_INSC_IxEEEESG_xNS9_4plusIvEENS9_8equal_toIvEExEE10hipError_tPvRmT2_T3_T4_T5_mT6_T7_P12ihipStream_tbENKUlT_T0_E_clISt17integral_constantIbLb0EES10_IbLb1EEEEDaSW_SX_EUlSW_E_NS1_11comp_targetILNS1_3genE5ELNS1_11target_archE942ELNS1_3gpuE9ELNS1_3repE0EEENS1_30default_config_static_selectorELNS0_4arch9wavefront6targetE0EEEvT1_.num_named_barrier, 0
	.set _ZN7rocprim17ROCPRIM_400000_NS6detail17trampoline_kernelINS0_14default_configENS1_27scan_by_key_config_selectorIixEEZZNS1_16scan_by_key_implILNS1_25lookback_scan_determinismE0ELb1ES3_N6thrust23THRUST_200600_302600_NS6detail15normal_iteratorINS9_10device_ptrIiEEEENSB_INSC_IxEEEESG_xNS9_4plusIvEENS9_8equal_toIvEExEE10hipError_tPvRmT2_T3_T4_T5_mT6_T7_P12ihipStream_tbENKUlT_T0_E_clISt17integral_constantIbLb0EES10_IbLb1EEEEDaSW_SX_EUlSW_E_NS1_11comp_targetILNS1_3genE5ELNS1_11target_archE942ELNS1_3gpuE9ELNS1_3repE0EEENS1_30default_config_static_selectorELNS0_4arch9wavefront6targetE0EEEvT1_.private_seg_size, 0
	.set _ZN7rocprim17ROCPRIM_400000_NS6detail17trampoline_kernelINS0_14default_configENS1_27scan_by_key_config_selectorIixEEZZNS1_16scan_by_key_implILNS1_25lookback_scan_determinismE0ELb1ES3_N6thrust23THRUST_200600_302600_NS6detail15normal_iteratorINS9_10device_ptrIiEEEENSB_INSC_IxEEEESG_xNS9_4plusIvEENS9_8equal_toIvEExEE10hipError_tPvRmT2_T3_T4_T5_mT6_T7_P12ihipStream_tbENKUlT_T0_E_clISt17integral_constantIbLb0EES10_IbLb1EEEEDaSW_SX_EUlSW_E_NS1_11comp_targetILNS1_3genE5ELNS1_11target_archE942ELNS1_3gpuE9ELNS1_3repE0EEENS1_30default_config_static_selectorELNS0_4arch9wavefront6targetE0EEEvT1_.uses_vcc, 0
	.set _ZN7rocprim17ROCPRIM_400000_NS6detail17trampoline_kernelINS0_14default_configENS1_27scan_by_key_config_selectorIixEEZZNS1_16scan_by_key_implILNS1_25lookback_scan_determinismE0ELb1ES3_N6thrust23THRUST_200600_302600_NS6detail15normal_iteratorINS9_10device_ptrIiEEEENSB_INSC_IxEEEESG_xNS9_4plusIvEENS9_8equal_toIvEExEE10hipError_tPvRmT2_T3_T4_T5_mT6_T7_P12ihipStream_tbENKUlT_T0_E_clISt17integral_constantIbLb0EES10_IbLb1EEEEDaSW_SX_EUlSW_E_NS1_11comp_targetILNS1_3genE5ELNS1_11target_archE942ELNS1_3gpuE9ELNS1_3repE0EEENS1_30default_config_static_selectorELNS0_4arch9wavefront6targetE0EEEvT1_.uses_flat_scratch, 0
	.set _ZN7rocprim17ROCPRIM_400000_NS6detail17trampoline_kernelINS0_14default_configENS1_27scan_by_key_config_selectorIixEEZZNS1_16scan_by_key_implILNS1_25lookback_scan_determinismE0ELb1ES3_N6thrust23THRUST_200600_302600_NS6detail15normal_iteratorINS9_10device_ptrIiEEEENSB_INSC_IxEEEESG_xNS9_4plusIvEENS9_8equal_toIvEExEE10hipError_tPvRmT2_T3_T4_T5_mT6_T7_P12ihipStream_tbENKUlT_T0_E_clISt17integral_constantIbLb0EES10_IbLb1EEEEDaSW_SX_EUlSW_E_NS1_11comp_targetILNS1_3genE5ELNS1_11target_archE942ELNS1_3gpuE9ELNS1_3repE0EEENS1_30default_config_static_selectorELNS0_4arch9wavefront6targetE0EEEvT1_.has_dyn_sized_stack, 0
	.set _ZN7rocprim17ROCPRIM_400000_NS6detail17trampoline_kernelINS0_14default_configENS1_27scan_by_key_config_selectorIixEEZZNS1_16scan_by_key_implILNS1_25lookback_scan_determinismE0ELb1ES3_N6thrust23THRUST_200600_302600_NS6detail15normal_iteratorINS9_10device_ptrIiEEEENSB_INSC_IxEEEESG_xNS9_4plusIvEENS9_8equal_toIvEExEE10hipError_tPvRmT2_T3_T4_T5_mT6_T7_P12ihipStream_tbENKUlT_T0_E_clISt17integral_constantIbLb0EES10_IbLb1EEEEDaSW_SX_EUlSW_E_NS1_11comp_targetILNS1_3genE5ELNS1_11target_archE942ELNS1_3gpuE9ELNS1_3repE0EEENS1_30default_config_static_selectorELNS0_4arch9wavefront6targetE0EEEvT1_.has_recursion, 0
	.set _ZN7rocprim17ROCPRIM_400000_NS6detail17trampoline_kernelINS0_14default_configENS1_27scan_by_key_config_selectorIixEEZZNS1_16scan_by_key_implILNS1_25lookback_scan_determinismE0ELb1ES3_N6thrust23THRUST_200600_302600_NS6detail15normal_iteratorINS9_10device_ptrIiEEEENSB_INSC_IxEEEESG_xNS9_4plusIvEENS9_8equal_toIvEExEE10hipError_tPvRmT2_T3_T4_T5_mT6_T7_P12ihipStream_tbENKUlT_T0_E_clISt17integral_constantIbLb0EES10_IbLb1EEEEDaSW_SX_EUlSW_E_NS1_11comp_targetILNS1_3genE5ELNS1_11target_archE942ELNS1_3gpuE9ELNS1_3repE0EEENS1_30default_config_static_selectorELNS0_4arch9wavefront6targetE0EEEvT1_.has_indirect_call, 0
	.section	.AMDGPU.csdata,"",@progbits
; Kernel info:
; codeLenInByte = 0
; TotalNumSgprs: 0
; NumVgprs: 0
; ScratchSize: 0
; MemoryBound: 0
; FloatMode: 240
; IeeeMode: 1
; LDSByteSize: 0 bytes/workgroup (compile time only)
; SGPRBlocks: 0
; VGPRBlocks: 0
; NumSGPRsForWavesPerEU: 1
; NumVGPRsForWavesPerEU: 1
; Occupancy: 16
; WaveLimiterHint : 0
; COMPUTE_PGM_RSRC2:SCRATCH_EN: 0
; COMPUTE_PGM_RSRC2:USER_SGPR: 6
; COMPUTE_PGM_RSRC2:TRAP_HANDLER: 0
; COMPUTE_PGM_RSRC2:TGID_X_EN: 1
; COMPUTE_PGM_RSRC2:TGID_Y_EN: 0
; COMPUTE_PGM_RSRC2:TGID_Z_EN: 0
; COMPUTE_PGM_RSRC2:TIDIG_COMP_CNT: 0
	.section	.text._ZN7rocprim17ROCPRIM_400000_NS6detail17trampoline_kernelINS0_14default_configENS1_27scan_by_key_config_selectorIixEEZZNS1_16scan_by_key_implILNS1_25lookback_scan_determinismE0ELb1ES3_N6thrust23THRUST_200600_302600_NS6detail15normal_iteratorINS9_10device_ptrIiEEEENSB_INSC_IxEEEESG_xNS9_4plusIvEENS9_8equal_toIvEExEE10hipError_tPvRmT2_T3_T4_T5_mT6_T7_P12ihipStream_tbENKUlT_T0_E_clISt17integral_constantIbLb0EES10_IbLb1EEEEDaSW_SX_EUlSW_E_NS1_11comp_targetILNS1_3genE4ELNS1_11target_archE910ELNS1_3gpuE8ELNS1_3repE0EEENS1_30default_config_static_selectorELNS0_4arch9wavefront6targetE0EEEvT1_,"axG",@progbits,_ZN7rocprim17ROCPRIM_400000_NS6detail17trampoline_kernelINS0_14default_configENS1_27scan_by_key_config_selectorIixEEZZNS1_16scan_by_key_implILNS1_25lookback_scan_determinismE0ELb1ES3_N6thrust23THRUST_200600_302600_NS6detail15normal_iteratorINS9_10device_ptrIiEEEENSB_INSC_IxEEEESG_xNS9_4plusIvEENS9_8equal_toIvEExEE10hipError_tPvRmT2_T3_T4_T5_mT6_T7_P12ihipStream_tbENKUlT_T0_E_clISt17integral_constantIbLb0EES10_IbLb1EEEEDaSW_SX_EUlSW_E_NS1_11comp_targetILNS1_3genE4ELNS1_11target_archE910ELNS1_3gpuE8ELNS1_3repE0EEENS1_30default_config_static_selectorELNS0_4arch9wavefront6targetE0EEEvT1_,comdat
	.protected	_ZN7rocprim17ROCPRIM_400000_NS6detail17trampoline_kernelINS0_14default_configENS1_27scan_by_key_config_selectorIixEEZZNS1_16scan_by_key_implILNS1_25lookback_scan_determinismE0ELb1ES3_N6thrust23THRUST_200600_302600_NS6detail15normal_iteratorINS9_10device_ptrIiEEEENSB_INSC_IxEEEESG_xNS9_4plusIvEENS9_8equal_toIvEExEE10hipError_tPvRmT2_T3_T4_T5_mT6_T7_P12ihipStream_tbENKUlT_T0_E_clISt17integral_constantIbLb0EES10_IbLb1EEEEDaSW_SX_EUlSW_E_NS1_11comp_targetILNS1_3genE4ELNS1_11target_archE910ELNS1_3gpuE8ELNS1_3repE0EEENS1_30default_config_static_selectorELNS0_4arch9wavefront6targetE0EEEvT1_ ; -- Begin function _ZN7rocprim17ROCPRIM_400000_NS6detail17trampoline_kernelINS0_14default_configENS1_27scan_by_key_config_selectorIixEEZZNS1_16scan_by_key_implILNS1_25lookback_scan_determinismE0ELb1ES3_N6thrust23THRUST_200600_302600_NS6detail15normal_iteratorINS9_10device_ptrIiEEEENSB_INSC_IxEEEESG_xNS9_4plusIvEENS9_8equal_toIvEExEE10hipError_tPvRmT2_T3_T4_T5_mT6_T7_P12ihipStream_tbENKUlT_T0_E_clISt17integral_constantIbLb0EES10_IbLb1EEEEDaSW_SX_EUlSW_E_NS1_11comp_targetILNS1_3genE4ELNS1_11target_archE910ELNS1_3gpuE8ELNS1_3repE0EEENS1_30default_config_static_selectorELNS0_4arch9wavefront6targetE0EEEvT1_
	.globl	_ZN7rocprim17ROCPRIM_400000_NS6detail17trampoline_kernelINS0_14default_configENS1_27scan_by_key_config_selectorIixEEZZNS1_16scan_by_key_implILNS1_25lookback_scan_determinismE0ELb1ES3_N6thrust23THRUST_200600_302600_NS6detail15normal_iteratorINS9_10device_ptrIiEEEENSB_INSC_IxEEEESG_xNS9_4plusIvEENS9_8equal_toIvEExEE10hipError_tPvRmT2_T3_T4_T5_mT6_T7_P12ihipStream_tbENKUlT_T0_E_clISt17integral_constantIbLb0EES10_IbLb1EEEEDaSW_SX_EUlSW_E_NS1_11comp_targetILNS1_3genE4ELNS1_11target_archE910ELNS1_3gpuE8ELNS1_3repE0EEENS1_30default_config_static_selectorELNS0_4arch9wavefront6targetE0EEEvT1_
	.p2align	8
	.type	_ZN7rocprim17ROCPRIM_400000_NS6detail17trampoline_kernelINS0_14default_configENS1_27scan_by_key_config_selectorIixEEZZNS1_16scan_by_key_implILNS1_25lookback_scan_determinismE0ELb1ES3_N6thrust23THRUST_200600_302600_NS6detail15normal_iteratorINS9_10device_ptrIiEEEENSB_INSC_IxEEEESG_xNS9_4plusIvEENS9_8equal_toIvEExEE10hipError_tPvRmT2_T3_T4_T5_mT6_T7_P12ihipStream_tbENKUlT_T0_E_clISt17integral_constantIbLb0EES10_IbLb1EEEEDaSW_SX_EUlSW_E_NS1_11comp_targetILNS1_3genE4ELNS1_11target_archE910ELNS1_3gpuE8ELNS1_3repE0EEENS1_30default_config_static_selectorELNS0_4arch9wavefront6targetE0EEEvT1_,@function
_ZN7rocprim17ROCPRIM_400000_NS6detail17trampoline_kernelINS0_14default_configENS1_27scan_by_key_config_selectorIixEEZZNS1_16scan_by_key_implILNS1_25lookback_scan_determinismE0ELb1ES3_N6thrust23THRUST_200600_302600_NS6detail15normal_iteratorINS9_10device_ptrIiEEEENSB_INSC_IxEEEESG_xNS9_4plusIvEENS9_8equal_toIvEExEE10hipError_tPvRmT2_T3_T4_T5_mT6_T7_P12ihipStream_tbENKUlT_T0_E_clISt17integral_constantIbLb0EES10_IbLb1EEEEDaSW_SX_EUlSW_E_NS1_11comp_targetILNS1_3genE4ELNS1_11target_archE910ELNS1_3gpuE8ELNS1_3repE0EEENS1_30default_config_static_selectorELNS0_4arch9wavefront6targetE0EEEvT1_: ; @_ZN7rocprim17ROCPRIM_400000_NS6detail17trampoline_kernelINS0_14default_configENS1_27scan_by_key_config_selectorIixEEZZNS1_16scan_by_key_implILNS1_25lookback_scan_determinismE0ELb1ES3_N6thrust23THRUST_200600_302600_NS6detail15normal_iteratorINS9_10device_ptrIiEEEENSB_INSC_IxEEEESG_xNS9_4plusIvEENS9_8equal_toIvEExEE10hipError_tPvRmT2_T3_T4_T5_mT6_T7_P12ihipStream_tbENKUlT_T0_E_clISt17integral_constantIbLb0EES10_IbLb1EEEEDaSW_SX_EUlSW_E_NS1_11comp_targetILNS1_3genE4ELNS1_11target_archE910ELNS1_3gpuE8ELNS1_3repE0EEENS1_30default_config_static_selectorELNS0_4arch9wavefront6targetE0EEEvT1_
; %bb.0:
	.section	.rodata,"a",@progbits
	.p2align	6, 0x0
	.amdhsa_kernel _ZN7rocprim17ROCPRIM_400000_NS6detail17trampoline_kernelINS0_14default_configENS1_27scan_by_key_config_selectorIixEEZZNS1_16scan_by_key_implILNS1_25lookback_scan_determinismE0ELb1ES3_N6thrust23THRUST_200600_302600_NS6detail15normal_iteratorINS9_10device_ptrIiEEEENSB_INSC_IxEEEESG_xNS9_4plusIvEENS9_8equal_toIvEExEE10hipError_tPvRmT2_T3_T4_T5_mT6_T7_P12ihipStream_tbENKUlT_T0_E_clISt17integral_constantIbLb0EES10_IbLb1EEEEDaSW_SX_EUlSW_E_NS1_11comp_targetILNS1_3genE4ELNS1_11target_archE910ELNS1_3gpuE8ELNS1_3repE0EEENS1_30default_config_static_selectorELNS0_4arch9wavefront6targetE0EEEvT1_
		.amdhsa_group_segment_fixed_size 0
		.amdhsa_private_segment_fixed_size 0
		.amdhsa_kernarg_size 136
		.amdhsa_user_sgpr_count 6
		.amdhsa_user_sgpr_private_segment_buffer 1
		.amdhsa_user_sgpr_dispatch_ptr 0
		.amdhsa_user_sgpr_queue_ptr 0
		.amdhsa_user_sgpr_kernarg_segment_ptr 1
		.amdhsa_user_sgpr_dispatch_id 0
		.amdhsa_user_sgpr_flat_scratch_init 0
		.amdhsa_user_sgpr_private_segment_size 0
		.amdhsa_wavefront_size32 1
		.amdhsa_uses_dynamic_stack 0
		.amdhsa_system_sgpr_private_segment_wavefront_offset 0
		.amdhsa_system_sgpr_workgroup_id_x 1
		.amdhsa_system_sgpr_workgroup_id_y 0
		.amdhsa_system_sgpr_workgroup_id_z 0
		.amdhsa_system_sgpr_workgroup_info 0
		.amdhsa_system_vgpr_workitem_id 0
		.amdhsa_next_free_vgpr 1
		.amdhsa_next_free_sgpr 1
		.amdhsa_reserve_vcc 0
		.amdhsa_reserve_flat_scratch 0
		.amdhsa_float_round_mode_32 0
		.amdhsa_float_round_mode_16_64 0
		.amdhsa_float_denorm_mode_32 3
		.amdhsa_float_denorm_mode_16_64 3
		.amdhsa_dx10_clamp 1
		.amdhsa_ieee_mode 1
		.amdhsa_fp16_overflow 0
		.amdhsa_workgroup_processor_mode 1
		.amdhsa_memory_ordered 1
		.amdhsa_forward_progress 1
		.amdhsa_shared_vgpr_count 0
		.amdhsa_exception_fp_ieee_invalid_op 0
		.amdhsa_exception_fp_denorm_src 0
		.amdhsa_exception_fp_ieee_div_zero 0
		.amdhsa_exception_fp_ieee_overflow 0
		.amdhsa_exception_fp_ieee_underflow 0
		.amdhsa_exception_fp_ieee_inexact 0
		.amdhsa_exception_int_div_zero 0
	.end_amdhsa_kernel
	.section	.text._ZN7rocprim17ROCPRIM_400000_NS6detail17trampoline_kernelINS0_14default_configENS1_27scan_by_key_config_selectorIixEEZZNS1_16scan_by_key_implILNS1_25lookback_scan_determinismE0ELb1ES3_N6thrust23THRUST_200600_302600_NS6detail15normal_iteratorINS9_10device_ptrIiEEEENSB_INSC_IxEEEESG_xNS9_4plusIvEENS9_8equal_toIvEExEE10hipError_tPvRmT2_T3_T4_T5_mT6_T7_P12ihipStream_tbENKUlT_T0_E_clISt17integral_constantIbLb0EES10_IbLb1EEEEDaSW_SX_EUlSW_E_NS1_11comp_targetILNS1_3genE4ELNS1_11target_archE910ELNS1_3gpuE8ELNS1_3repE0EEENS1_30default_config_static_selectorELNS0_4arch9wavefront6targetE0EEEvT1_,"axG",@progbits,_ZN7rocprim17ROCPRIM_400000_NS6detail17trampoline_kernelINS0_14default_configENS1_27scan_by_key_config_selectorIixEEZZNS1_16scan_by_key_implILNS1_25lookback_scan_determinismE0ELb1ES3_N6thrust23THRUST_200600_302600_NS6detail15normal_iteratorINS9_10device_ptrIiEEEENSB_INSC_IxEEEESG_xNS9_4plusIvEENS9_8equal_toIvEExEE10hipError_tPvRmT2_T3_T4_T5_mT6_T7_P12ihipStream_tbENKUlT_T0_E_clISt17integral_constantIbLb0EES10_IbLb1EEEEDaSW_SX_EUlSW_E_NS1_11comp_targetILNS1_3genE4ELNS1_11target_archE910ELNS1_3gpuE8ELNS1_3repE0EEENS1_30default_config_static_selectorELNS0_4arch9wavefront6targetE0EEEvT1_,comdat
.Lfunc_end1601:
	.size	_ZN7rocprim17ROCPRIM_400000_NS6detail17trampoline_kernelINS0_14default_configENS1_27scan_by_key_config_selectorIixEEZZNS1_16scan_by_key_implILNS1_25lookback_scan_determinismE0ELb1ES3_N6thrust23THRUST_200600_302600_NS6detail15normal_iteratorINS9_10device_ptrIiEEEENSB_INSC_IxEEEESG_xNS9_4plusIvEENS9_8equal_toIvEExEE10hipError_tPvRmT2_T3_T4_T5_mT6_T7_P12ihipStream_tbENKUlT_T0_E_clISt17integral_constantIbLb0EES10_IbLb1EEEEDaSW_SX_EUlSW_E_NS1_11comp_targetILNS1_3genE4ELNS1_11target_archE910ELNS1_3gpuE8ELNS1_3repE0EEENS1_30default_config_static_selectorELNS0_4arch9wavefront6targetE0EEEvT1_, .Lfunc_end1601-_ZN7rocprim17ROCPRIM_400000_NS6detail17trampoline_kernelINS0_14default_configENS1_27scan_by_key_config_selectorIixEEZZNS1_16scan_by_key_implILNS1_25lookback_scan_determinismE0ELb1ES3_N6thrust23THRUST_200600_302600_NS6detail15normal_iteratorINS9_10device_ptrIiEEEENSB_INSC_IxEEEESG_xNS9_4plusIvEENS9_8equal_toIvEExEE10hipError_tPvRmT2_T3_T4_T5_mT6_T7_P12ihipStream_tbENKUlT_T0_E_clISt17integral_constantIbLb0EES10_IbLb1EEEEDaSW_SX_EUlSW_E_NS1_11comp_targetILNS1_3genE4ELNS1_11target_archE910ELNS1_3gpuE8ELNS1_3repE0EEENS1_30default_config_static_selectorELNS0_4arch9wavefront6targetE0EEEvT1_
                                        ; -- End function
	.set _ZN7rocprim17ROCPRIM_400000_NS6detail17trampoline_kernelINS0_14default_configENS1_27scan_by_key_config_selectorIixEEZZNS1_16scan_by_key_implILNS1_25lookback_scan_determinismE0ELb1ES3_N6thrust23THRUST_200600_302600_NS6detail15normal_iteratorINS9_10device_ptrIiEEEENSB_INSC_IxEEEESG_xNS9_4plusIvEENS9_8equal_toIvEExEE10hipError_tPvRmT2_T3_T4_T5_mT6_T7_P12ihipStream_tbENKUlT_T0_E_clISt17integral_constantIbLb0EES10_IbLb1EEEEDaSW_SX_EUlSW_E_NS1_11comp_targetILNS1_3genE4ELNS1_11target_archE910ELNS1_3gpuE8ELNS1_3repE0EEENS1_30default_config_static_selectorELNS0_4arch9wavefront6targetE0EEEvT1_.num_vgpr, 0
	.set _ZN7rocprim17ROCPRIM_400000_NS6detail17trampoline_kernelINS0_14default_configENS1_27scan_by_key_config_selectorIixEEZZNS1_16scan_by_key_implILNS1_25lookback_scan_determinismE0ELb1ES3_N6thrust23THRUST_200600_302600_NS6detail15normal_iteratorINS9_10device_ptrIiEEEENSB_INSC_IxEEEESG_xNS9_4plusIvEENS9_8equal_toIvEExEE10hipError_tPvRmT2_T3_T4_T5_mT6_T7_P12ihipStream_tbENKUlT_T0_E_clISt17integral_constantIbLb0EES10_IbLb1EEEEDaSW_SX_EUlSW_E_NS1_11comp_targetILNS1_3genE4ELNS1_11target_archE910ELNS1_3gpuE8ELNS1_3repE0EEENS1_30default_config_static_selectorELNS0_4arch9wavefront6targetE0EEEvT1_.num_agpr, 0
	.set _ZN7rocprim17ROCPRIM_400000_NS6detail17trampoline_kernelINS0_14default_configENS1_27scan_by_key_config_selectorIixEEZZNS1_16scan_by_key_implILNS1_25lookback_scan_determinismE0ELb1ES3_N6thrust23THRUST_200600_302600_NS6detail15normal_iteratorINS9_10device_ptrIiEEEENSB_INSC_IxEEEESG_xNS9_4plusIvEENS9_8equal_toIvEExEE10hipError_tPvRmT2_T3_T4_T5_mT6_T7_P12ihipStream_tbENKUlT_T0_E_clISt17integral_constantIbLb0EES10_IbLb1EEEEDaSW_SX_EUlSW_E_NS1_11comp_targetILNS1_3genE4ELNS1_11target_archE910ELNS1_3gpuE8ELNS1_3repE0EEENS1_30default_config_static_selectorELNS0_4arch9wavefront6targetE0EEEvT1_.numbered_sgpr, 0
	.set _ZN7rocprim17ROCPRIM_400000_NS6detail17trampoline_kernelINS0_14default_configENS1_27scan_by_key_config_selectorIixEEZZNS1_16scan_by_key_implILNS1_25lookback_scan_determinismE0ELb1ES3_N6thrust23THRUST_200600_302600_NS6detail15normal_iteratorINS9_10device_ptrIiEEEENSB_INSC_IxEEEESG_xNS9_4plusIvEENS9_8equal_toIvEExEE10hipError_tPvRmT2_T3_T4_T5_mT6_T7_P12ihipStream_tbENKUlT_T0_E_clISt17integral_constantIbLb0EES10_IbLb1EEEEDaSW_SX_EUlSW_E_NS1_11comp_targetILNS1_3genE4ELNS1_11target_archE910ELNS1_3gpuE8ELNS1_3repE0EEENS1_30default_config_static_selectorELNS0_4arch9wavefront6targetE0EEEvT1_.num_named_barrier, 0
	.set _ZN7rocprim17ROCPRIM_400000_NS6detail17trampoline_kernelINS0_14default_configENS1_27scan_by_key_config_selectorIixEEZZNS1_16scan_by_key_implILNS1_25lookback_scan_determinismE0ELb1ES3_N6thrust23THRUST_200600_302600_NS6detail15normal_iteratorINS9_10device_ptrIiEEEENSB_INSC_IxEEEESG_xNS9_4plusIvEENS9_8equal_toIvEExEE10hipError_tPvRmT2_T3_T4_T5_mT6_T7_P12ihipStream_tbENKUlT_T0_E_clISt17integral_constantIbLb0EES10_IbLb1EEEEDaSW_SX_EUlSW_E_NS1_11comp_targetILNS1_3genE4ELNS1_11target_archE910ELNS1_3gpuE8ELNS1_3repE0EEENS1_30default_config_static_selectorELNS0_4arch9wavefront6targetE0EEEvT1_.private_seg_size, 0
	.set _ZN7rocprim17ROCPRIM_400000_NS6detail17trampoline_kernelINS0_14default_configENS1_27scan_by_key_config_selectorIixEEZZNS1_16scan_by_key_implILNS1_25lookback_scan_determinismE0ELb1ES3_N6thrust23THRUST_200600_302600_NS6detail15normal_iteratorINS9_10device_ptrIiEEEENSB_INSC_IxEEEESG_xNS9_4plusIvEENS9_8equal_toIvEExEE10hipError_tPvRmT2_T3_T4_T5_mT6_T7_P12ihipStream_tbENKUlT_T0_E_clISt17integral_constantIbLb0EES10_IbLb1EEEEDaSW_SX_EUlSW_E_NS1_11comp_targetILNS1_3genE4ELNS1_11target_archE910ELNS1_3gpuE8ELNS1_3repE0EEENS1_30default_config_static_selectorELNS0_4arch9wavefront6targetE0EEEvT1_.uses_vcc, 0
	.set _ZN7rocprim17ROCPRIM_400000_NS6detail17trampoline_kernelINS0_14default_configENS1_27scan_by_key_config_selectorIixEEZZNS1_16scan_by_key_implILNS1_25lookback_scan_determinismE0ELb1ES3_N6thrust23THRUST_200600_302600_NS6detail15normal_iteratorINS9_10device_ptrIiEEEENSB_INSC_IxEEEESG_xNS9_4plusIvEENS9_8equal_toIvEExEE10hipError_tPvRmT2_T3_T4_T5_mT6_T7_P12ihipStream_tbENKUlT_T0_E_clISt17integral_constantIbLb0EES10_IbLb1EEEEDaSW_SX_EUlSW_E_NS1_11comp_targetILNS1_3genE4ELNS1_11target_archE910ELNS1_3gpuE8ELNS1_3repE0EEENS1_30default_config_static_selectorELNS0_4arch9wavefront6targetE0EEEvT1_.uses_flat_scratch, 0
	.set _ZN7rocprim17ROCPRIM_400000_NS6detail17trampoline_kernelINS0_14default_configENS1_27scan_by_key_config_selectorIixEEZZNS1_16scan_by_key_implILNS1_25lookback_scan_determinismE0ELb1ES3_N6thrust23THRUST_200600_302600_NS6detail15normal_iteratorINS9_10device_ptrIiEEEENSB_INSC_IxEEEESG_xNS9_4plusIvEENS9_8equal_toIvEExEE10hipError_tPvRmT2_T3_T4_T5_mT6_T7_P12ihipStream_tbENKUlT_T0_E_clISt17integral_constantIbLb0EES10_IbLb1EEEEDaSW_SX_EUlSW_E_NS1_11comp_targetILNS1_3genE4ELNS1_11target_archE910ELNS1_3gpuE8ELNS1_3repE0EEENS1_30default_config_static_selectorELNS0_4arch9wavefront6targetE0EEEvT1_.has_dyn_sized_stack, 0
	.set _ZN7rocprim17ROCPRIM_400000_NS6detail17trampoline_kernelINS0_14default_configENS1_27scan_by_key_config_selectorIixEEZZNS1_16scan_by_key_implILNS1_25lookback_scan_determinismE0ELb1ES3_N6thrust23THRUST_200600_302600_NS6detail15normal_iteratorINS9_10device_ptrIiEEEENSB_INSC_IxEEEESG_xNS9_4plusIvEENS9_8equal_toIvEExEE10hipError_tPvRmT2_T3_T4_T5_mT6_T7_P12ihipStream_tbENKUlT_T0_E_clISt17integral_constantIbLb0EES10_IbLb1EEEEDaSW_SX_EUlSW_E_NS1_11comp_targetILNS1_3genE4ELNS1_11target_archE910ELNS1_3gpuE8ELNS1_3repE0EEENS1_30default_config_static_selectorELNS0_4arch9wavefront6targetE0EEEvT1_.has_recursion, 0
	.set _ZN7rocprim17ROCPRIM_400000_NS6detail17trampoline_kernelINS0_14default_configENS1_27scan_by_key_config_selectorIixEEZZNS1_16scan_by_key_implILNS1_25lookback_scan_determinismE0ELb1ES3_N6thrust23THRUST_200600_302600_NS6detail15normal_iteratorINS9_10device_ptrIiEEEENSB_INSC_IxEEEESG_xNS9_4plusIvEENS9_8equal_toIvEExEE10hipError_tPvRmT2_T3_T4_T5_mT6_T7_P12ihipStream_tbENKUlT_T0_E_clISt17integral_constantIbLb0EES10_IbLb1EEEEDaSW_SX_EUlSW_E_NS1_11comp_targetILNS1_3genE4ELNS1_11target_archE910ELNS1_3gpuE8ELNS1_3repE0EEENS1_30default_config_static_selectorELNS0_4arch9wavefront6targetE0EEEvT1_.has_indirect_call, 0
	.section	.AMDGPU.csdata,"",@progbits
; Kernel info:
; codeLenInByte = 0
; TotalNumSgprs: 0
; NumVgprs: 0
; ScratchSize: 0
; MemoryBound: 0
; FloatMode: 240
; IeeeMode: 1
; LDSByteSize: 0 bytes/workgroup (compile time only)
; SGPRBlocks: 0
; VGPRBlocks: 0
; NumSGPRsForWavesPerEU: 1
; NumVGPRsForWavesPerEU: 1
; Occupancy: 16
; WaveLimiterHint : 0
; COMPUTE_PGM_RSRC2:SCRATCH_EN: 0
; COMPUTE_PGM_RSRC2:USER_SGPR: 6
; COMPUTE_PGM_RSRC2:TRAP_HANDLER: 0
; COMPUTE_PGM_RSRC2:TGID_X_EN: 1
; COMPUTE_PGM_RSRC2:TGID_Y_EN: 0
; COMPUTE_PGM_RSRC2:TGID_Z_EN: 0
; COMPUTE_PGM_RSRC2:TIDIG_COMP_CNT: 0
	.section	.text._ZN7rocprim17ROCPRIM_400000_NS6detail17trampoline_kernelINS0_14default_configENS1_27scan_by_key_config_selectorIixEEZZNS1_16scan_by_key_implILNS1_25lookback_scan_determinismE0ELb1ES3_N6thrust23THRUST_200600_302600_NS6detail15normal_iteratorINS9_10device_ptrIiEEEENSB_INSC_IxEEEESG_xNS9_4plusIvEENS9_8equal_toIvEExEE10hipError_tPvRmT2_T3_T4_T5_mT6_T7_P12ihipStream_tbENKUlT_T0_E_clISt17integral_constantIbLb0EES10_IbLb1EEEEDaSW_SX_EUlSW_E_NS1_11comp_targetILNS1_3genE3ELNS1_11target_archE908ELNS1_3gpuE7ELNS1_3repE0EEENS1_30default_config_static_selectorELNS0_4arch9wavefront6targetE0EEEvT1_,"axG",@progbits,_ZN7rocprim17ROCPRIM_400000_NS6detail17trampoline_kernelINS0_14default_configENS1_27scan_by_key_config_selectorIixEEZZNS1_16scan_by_key_implILNS1_25lookback_scan_determinismE0ELb1ES3_N6thrust23THRUST_200600_302600_NS6detail15normal_iteratorINS9_10device_ptrIiEEEENSB_INSC_IxEEEESG_xNS9_4plusIvEENS9_8equal_toIvEExEE10hipError_tPvRmT2_T3_T4_T5_mT6_T7_P12ihipStream_tbENKUlT_T0_E_clISt17integral_constantIbLb0EES10_IbLb1EEEEDaSW_SX_EUlSW_E_NS1_11comp_targetILNS1_3genE3ELNS1_11target_archE908ELNS1_3gpuE7ELNS1_3repE0EEENS1_30default_config_static_selectorELNS0_4arch9wavefront6targetE0EEEvT1_,comdat
	.protected	_ZN7rocprim17ROCPRIM_400000_NS6detail17trampoline_kernelINS0_14default_configENS1_27scan_by_key_config_selectorIixEEZZNS1_16scan_by_key_implILNS1_25lookback_scan_determinismE0ELb1ES3_N6thrust23THRUST_200600_302600_NS6detail15normal_iteratorINS9_10device_ptrIiEEEENSB_INSC_IxEEEESG_xNS9_4plusIvEENS9_8equal_toIvEExEE10hipError_tPvRmT2_T3_T4_T5_mT6_T7_P12ihipStream_tbENKUlT_T0_E_clISt17integral_constantIbLb0EES10_IbLb1EEEEDaSW_SX_EUlSW_E_NS1_11comp_targetILNS1_3genE3ELNS1_11target_archE908ELNS1_3gpuE7ELNS1_3repE0EEENS1_30default_config_static_selectorELNS0_4arch9wavefront6targetE0EEEvT1_ ; -- Begin function _ZN7rocprim17ROCPRIM_400000_NS6detail17trampoline_kernelINS0_14default_configENS1_27scan_by_key_config_selectorIixEEZZNS1_16scan_by_key_implILNS1_25lookback_scan_determinismE0ELb1ES3_N6thrust23THRUST_200600_302600_NS6detail15normal_iteratorINS9_10device_ptrIiEEEENSB_INSC_IxEEEESG_xNS9_4plusIvEENS9_8equal_toIvEExEE10hipError_tPvRmT2_T3_T4_T5_mT6_T7_P12ihipStream_tbENKUlT_T0_E_clISt17integral_constantIbLb0EES10_IbLb1EEEEDaSW_SX_EUlSW_E_NS1_11comp_targetILNS1_3genE3ELNS1_11target_archE908ELNS1_3gpuE7ELNS1_3repE0EEENS1_30default_config_static_selectorELNS0_4arch9wavefront6targetE0EEEvT1_
	.globl	_ZN7rocprim17ROCPRIM_400000_NS6detail17trampoline_kernelINS0_14default_configENS1_27scan_by_key_config_selectorIixEEZZNS1_16scan_by_key_implILNS1_25lookback_scan_determinismE0ELb1ES3_N6thrust23THRUST_200600_302600_NS6detail15normal_iteratorINS9_10device_ptrIiEEEENSB_INSC_IxEEEESG_xNS9_4plusIvEENS9_8equal_toIvEExEE10hipError_tPvRmT2_T3_T4_T5_mT6_T7_P12ihipStream_tbENKUlT_T0_E_clISt17integral_constantIbLb0EES10_IbLb1EEEEDaSW_SX_EUlSW_E_NS1_11comp_targetILNS1_3genE3ELNS1_11target_archE908ELNS1_3gpuE7ELNS1_3repE0EEENS1_30default_config_static_selectorELNS0_4arch9wavefront6targetE0EEEvT1_
	.p2align	8
	.type	_ZN7rocprim17ROCPRIM_400000_NS6detail17trampoline_kernelINS0_14default_configENS1_27scan_by_key_config_selectorIixEEZZNS1_16scan_by_key_implILNS1_25lookback_scan_determinismE0ELb1ES3_N6thrust23THRUST_200600_302600_NS6detail15normal_iteratorINS9_10device_ptrIiEEEENSB_INSC_IxEEEESG_xNS9_4plusIvEENS9_8equal_toIvEExEE10hipError_tPvRmT2_T3_T4_T5_mT6_T7_P12ihipStream_tbENKUlT_T0_E_clISt17integral_constantIbLb0EES10_IbLb1EEEEDaSW_SX_EUlSW_E_NS1_11comp_targetILNS1_3genE3ELNS1_11target_archE908ELNS1_3gpuE7ELNS1_3repE0EEENS1_30default_config_static_selectorELNS0_4arch9wavefront6targetE0EEEvT1_,@function
_ZN7rocprim17ROCPRIM_400000_NS6detail17trampoline_kernelINS0_14default_configENS1_27scan_by_key_config_selectorIixEEZZNS1_16scan_by_key_implILNS1_25lookback_scan_determinismE0ELb1ES3_N6thrust23THRUST_200600_302600_NS6detail15normal_iteratorINS9_10device_ptrIiEEEENSB_INSC_IxEEEESG_xNS9_4plusIvEENS9_8equal_toIvEExEE10hipError_tPvRmT2_T3_T4_T5_mT6_T7_P12ihipStream_tbENKUlT_T0_E_clISt17integral_constantIbLb0EES10_IbLb1EEEEDaSW_SX_EUlSW_E_NS1_11comp_targetILNS1_3genE3ELNS1_11target_archE908ELNS1_3gpuE7ELNS1_3repE0EEENS1_30default_config_static_selectorELNS0_4arch9wavefront6targetE0EEEvT1_: ; @_ZN7rocprim17ROCPRIM_400000_NS6detail17trampoline_kernelINS0_14default_configENS1_27scan_by_key_config_selectorIixEEZZNS1_16scan_by_key_implILNS1_25lookback_scan_determinismE0ELb1ES3_N6thrust23THRUST_200600_302600_NS6detail15normal_iteratorINS9_10device_ptrIiEEEENSB_INSC_IxEEEESG_xNS9_4plusIvEENS9_8equal_toIvEExEE10hipError_tPvRmT2_T3_T4_T5_mT6_T7_P12ihipStream_tbENKUlT_T0_E_clISt17integral_constantIbLb0EES10_IbLb1EEEEDaSW_SX_EUlSW_E_NS1_11comp_targetILNS1_3genE3ELNS1_11target_archE908ELNS1_3gpuE7ELNS1_3repE0EEENS1_30default_config_static_selectorELNS0_4arch9wavefront6targetE0EEEvT1_
; %bb.0:
	.section	.rodata,"a",@progbits
	.p2align	6, 0x0
	.amdhsa_kernel _ZN7rocprim17ROCPRIM_400000_NS6detail17trampoline_kernelINS0_14default_configENS1_27scan_by_key_config_selectorIixEEZZNS1_16scan_by_key_implILNS1_25lookback_scan_determinismE0ELb1ES3_N6thrust23THRUST_200600_302600_NS6detail15normal_iteratorINS9_10device_ptrIiEEEENSB_INSC_IxEEEESG_xNS9_4plusIvEENS9_8equal_toIvEExEE10hipError_tPvRmT2_T3_T4_T5_mT6_T7_P12ihipStream_tbENKUlT_T0_E_clISt17integral_constantIbLb0EES10_IbLb1EEEEDaSW_SX_EUlSW_E_NS1_11comp_targetILNS1_3genE3ELNS1_11target_archE908ELNS1_3gpuE7ELNS1_3repE0EEENS1_30default_config_static_selectorELNS0_4arch9wavefront6targetE0EEEvT1_
		.amdhsa_group_segment_fixed_size 0
		.amdhsa_private_segment_fixed_size 0
		.amdhsa_kernarg_size 136
		.amdhsa_user_sgpr_count 6
		.amdhsa_user_sgpr_private_segment_buffer 1
		.amdhsa_user_sgpr_dispatch_ptr 0
		.amdhsa_user_sgpr_queue_ptr 0
		.amdhsa_user_sgpr_kernarg_segment_ptr 1
		.amdhsa_user_sgpr_dispatch_id 0
		.amdhsa_user_sgpr_flat_scratch_init 0
		.amdhsa_user_sgpr_private_segment_size 0
		.amdhsa_wavefront_size32 1
		.amdhsa_uses_dynamic_stack 0
		.amdhsa_system_sgpr_private_segment_wavefront_offset 0
		.amdhsa_system_sgpr_workgroup_id_x 1
		.amdhsa_system_sgpr_workgroup_id_y 0
		.amdhsa_system_sgpr_workgroup_id_z 0
		.amdhsa_system_sgpr_workgroup_info 0
		.amdhsa_system_vgpr_workitem_id 0
		.amdhsa_next_free_vgpr 1
		.amdhsa_next_free_sgpr 1
		.amdhsa_reserve_vcc 0
		.amdhsa_reserve_flat_scratch 0
		.amdhsa_float_round_mode_32 0
		.amdhsa_float_round_mode_16_64 0
		.amdhsa_float_denorm_mode_32 3
		.amdhsa_float_denorm_mode_16_64 3
		.amdhsa_dx10_clamp 1
		.amdhsa_ieee_mode 1
		.amdhsa_fp16_overflow 0
		.amdhsa_workgroup_processor_mode 1
		.amdhsa_memory_ordered 1
		.amdhsa_forward_progress 1
		.amdhsa_shared_vgpr_count 0
		.amdhsa_exception_fp_ieee_invalid_op 0
		.amdhsa_exception_fp_denorm_src 0
		.amdhsa_exception_fp_ieee_div_zero 0
		.amdhsa_exception_fp_ieee_overflow 0
		.amdhsa_exception_fp_ieee_underflow 0
		.amdhsa_exception_fp_ieee_inexact 0
		.amdhsa_exception_int_div_zero 0
	.end_amdhsa_kernel
	.section	.text._ZN7rocprim17ROCPRIM_400000_NS6detail17trampoline_kernelINS0_14default_configENS1_27scan_by_key_config_selectorIixEEZZNS1_16scan_by_key_implILNS1_25lookback_scan_determinismE0ELb1ES3_N6thrust23THRUST_200600_302600_NS6detail15normal_iteratorINS9_10device_ptrIiEEEENSB_INSC_IxEEEESG_xNS9_4plusIvEENS9_8equal_toIvEExEE10hipError_tPvRmT2_T3_T4_T5_mT6_T7_P12ihipStream_tbENKUlT_T0_E_clISt17integral_constantIbLb0EES10_IbLb1EEEEDaSW_SX_EUlSW_E_NS1_11comp_targetILNS1_3genE3ELNS1_11target_archE908ELNS1_3gpuE7ELNS1_3repE0EEENS1_30default_config_static_selectorELNS0_4arch9wavefront6targetE0EEEvT1_,"axG",@progbits,_ZN7rocprim17ROCPRIM_400000_NS6detail17trampoline_kernelINS0_14default_configENS1_27scan_by_key_config_selectorIixEEZZNS1_16scan_by_key_implILNS1_25lookback_scan_determinismE0ELb1ES3_N6thrust23THRUST_200600_302600_NS6detail15normal_iteratorINS9_10device_ptrIiEEEENSB_INSC_IxEEEESG_xNS9_4plusIvEENS9_8equal_toIvEExEE10hipError_tPvRmT2_T3_T4_T5_mT6_T7_P12ihipStream_tbENKUlT_T0_E_clISt17integral_constantIbLb0EES10_IbLb1EEEEDaSW_SX_EUlSW_E_NS1_11comp_targetILNS1_3genE3ELNS1_11target_archE908ELNS1_3gpuE7ELNS1_3repE0EEENS1_30default_config_static_selectorELNS0_4arch9wavefront6targetE0EEEvT1_,comdat
.Lfunc_end1602:
	.size	_ZN7rocprim17ROCPRIM_400000_NS6detail17trampoline_kernelINS0_14default_configENS1_27scan_by_key_config_selectorIixEEZZNS1_16scan_by_key_implILNS1_25lookback_scan_determinismE0ELb1ES3_N6thrust23THRUST_200600_302600_NS6detail15normal_iteratorINS9_10device_ptrIiEEEENSB_INSC_IxEEEESG_xNS9_4plusIvEENS9_8equal_toIvEExEE10hipError_tPvRmT2_T3_T4_T5_mT6_T7_P12ihipStream_tbENKUlT_T0_E_clISt17integral_constantIbLb0EES10_IbLb1EEEEDaSW_SX_EUlSW_E_NS1_11comp_targetILNS1_3genE3ELNS1_11target_archE908ELNS1_3gpuE7ELNS1_3repE0EEENS1_30default_config_static_selectorELNS0_4arch9wavefront6targetE0EEEvT1_, .Lfunc_end1602-_ZN7rocprim17ROCPRIM_400000_NS6detail17trampoline_kernelINS0_14default_configENS1_27scan_by_key_config_selectorIixEEZZNS1_16scan_by_key_implILNS1_25lookback_scan_determinismE0ELb1ES3_N6thrust23THRUST_200600_302600_NS6detail15normal_iteratorINS9_10device_ptrIiEEEENSB_INSC_IxEEEESG_xNS9_4plusIvEENS9_8equal_toIvEExEE10hipError_tPvRmT2_T3_T4_T5_mT6_T7_P12ihipStream_tbENKUlT_T0_E_clISt17integral_constantIbLb0EES10_IbLb1EEEEDaSW_SX_EUlSW_E_NS1_11comp_targetILNS1_3genE3ELNS1_11target_archE908ELNS1_3gpuE7ELNS1_3repE0EEENS1_30default_config_static_selectorELNS0_4arch9wavefront6targetE0EEEvT1_
                                        ; -- End function
	.set _ZN7rocprim17ROCPRIM_400000_NS6detail17trampoline_kernelINS0_14default_configENS1_27scan_by_key_config_selectorIixEEZZNS1_16scan_by_key_implILNS1_25lookback_scan_determinismE0ELb1ES3_N6thrust23THRUST_200600_302600_NS6detail15normal_iteratorINS9_10device_ptrIiEEEENSB_INSC_IxEEEESG_xNS9_4plusIvEENS9_8equal_toIvEExEE10hipError_tPvRmT2_T3_T4_T5_mT6_T7_P12ihipStream_tbENKUlT_T0_E_clISt17integral_constantIbLb0EES10_IbLb1EEEEDaSW_SX_EUlSW_E_NS1_11comp_targetILNS1_3genE3ELNS1_11target_archE908ELNS1_3gpuE7ELNS1_3repE0EEENS1_30default_config_static_selectorELNS0_4arch9wavefront6targetE0EEEvT1_.num_vgpr, 0
	.set _ZN7rocprim17ROCPRIM_400000_NS6detail17trampoline_kernelINS0_14default_configENS1_27scan_by_key_config_selectorIixEEZZNS1_16scan_by_key_implILNS1_25lookback_scan_determinismE0ELb1ES3_N6thrust23THRUST_200600_302600_NS6detail15normal_iteratorINS9_10device_ptrIiEEEENSB_INSC_IxEEEESG_xNS9_4plusIvEENS9_8equal_toIvEExEE10hipError_tPvRmT2_T3_T4_T5_mT6_T7_P12ihipStream_tbENKUlT_T0_E_clISt17integral_constantIbLb0EES10_IbLb1EEEEDaSW_SX_EUlSW_E_NS1_11comp_targetILNS1_3genE3ELNS1_11target_archE908ELNS1_3gpuE7ELNS1_3repE0EEENS1_30default_config_static_selectorELNS0_4arch9wavefront6targetE0EEEvT1_.num_agpr, 0
	.set _ZN7rocprim17ROCPRIM_400000_NS6detail17trampoline_kernelINS0_14default_configENS1_27scan_by_key_config_selectorIixEEZZNS1_16scan_by_key_implILNS1_25lookback_scan_determinismE0ELb1ES3_N6thrust23THRUST_200600_302600_NS6detail15normal_iteratorINS9_10device_ptrIiEEEENSB_INSC_IxEEEESG_xNS9_4plusIvEENS9_8equal_toIvEExEE10hipError_tPvRmT2_T3_T4_T5_mT6_T7_P12ihipStream_tbENKUlT_T0_E_clISt17integral_constantIbLb0EES10_IbLb1EEEEDaSW_SX_EUlSW_E_NS1_11comp_targetILNS1_3genE3ELNS1_11target_archE908ELNS1_3gpuE7ELNS1_3repE0EEENS1_30default_config_static_selectorELNS0_4arch9wavefront6targetE0EEEvT1_.numbered_sgpr, 0
	.set _ZN7rocprim17ROCPRIM_400000_NS6detail17trampoline_kernelINS0_14default_configENS1_27scan_by_key_config_selectorIixEEZZNS1_16scan_by_key_implILNS1_25lookback_scan_determinismE0ELb1ES3_N6thrust23THRUST_200600_302600_NS6detail15normal_iteratorINS9_10device_ptrIiEEEENSB_INSC_IxEEEESG_xNS9_4plusIvEENS9_8equal_toIvEExEE10hipError_tPvRmT2_T3_T4_T5_mT6_T7_P12ihipStream_tbENKUlT_T0_E_clISt17integral_constantIbLb0EES10_IbLb1EEEEDaSW_SX_EUlSW_E_NS1_11comp_targetILNS1_3genE3ELNS1_11target_archE908ELNS1_3gpuE7ELNS1_3repE0EEENS1_30default_config_static_selectorELNS0_4arch9wavefront6targetE0EEEvT1_.num_named_barrier, 0
	.set _ZN7rocprim17ROCPRIM_400000_NS6detail17trampoline_kernelINS0_14default_configENS1_27scan_by_key_config_selectorIixEEZZNS1_16scan_by_key_implILNS1_25lookback_scan_determinismE0ELb1ES3_N6thrust23THRUST_200600_302600_NS6detail15normal_iteratorINS9_10device_ptrIiEEEENSB_INSC_IxEEEESG_xNS9_4plusIvEENS9_8equal_toIvEExEE10hipError_tPvRmT2_T3_T4_T5_mT6_T7_P12ihipStream_tbENKUlT_T0_E_clISt17integral_constantIbLb0EES10_IbLb1EEEEDaSW_SX_EUlSW_E_NS1_11comp_targetILNS1_3genE3ELNS1_11target_archE908ELNS1_3gpuE7ELNS1_3repE0EEENS1_30default_config_static_selectorELNS0_4arch9wavefront6targetE0EEEvT1_.private_seg_size, 0
	.set _ZN7rocprim17ROCPRIM_400000_NS6detail17trampoline_kernelINS0_14default_configENS1_27scan_by_key_config_selectorIixEEZZNS1_16scan_by_key_implILNS1_25lookback_scan_determinismE0ELb1ES3_N6thrust23THRUST_200600_302600_NS6detail15normal_iteratorINS9_10device_ptrIiEEEENSB_INSC_IxEEEESG_xNS9_4plusIvEENS9_8equal_toIvEExEE10hipError_tPvRmT2_T3_T4_T5_mT6_T7_P12ihipStream_tbENKUlT_T0_E_clISt17integral_constantIbLb0EES10_IbLb1EEEEDaSW_SX_EUlSW_E_NS1_11comp_targetILNS1_3genE3ELNS1_11target_archE908ELNS1_3gpuE7ELNS1_3repE0EEENS1_30default_config_static_selectorELNS0_4arch9wavefront6targetE0EEEvT1_.uses_vcc, 0
	.set _ZN7rocprim17ROCPRIM_400000_NS6detail17trampoline_kernelINS0_14default_configENS1_27scan_by_key_config_selectorIixEEZZNS1_16scan_by_key_implILNS1_25lookback_scan_determinismE0ELb1ES3_N6thrust23THRUST_200600_302600_NS6detail15normal_iteratorINS9_10device_ptrIiEEEENSB_INSC_IxEEEESG_xNS9_4plusIvEENS9_8equal_toIvEExEE10hipError_tPvRmT2_T3_T4_T5_mT6_T7_P12ihipStream_tbENKUlT_T0_E_clISt17integral_constantIbLb0EES10_IbLb1EEEEDaSW_SX_EUlSW_E_NS1_11comp_targetILNS1_3genE3ELNS1_11target_archE908ELNS1_3gpuE7ELNS1_3repE0EEENS1_30default_config_static_selectorELNS0_4arch9wavefront6targetE0EEEvT1_.uses_flat_scratch, 0
	.set _ZN7rocprim17ROCPRIM_400000_NS6detail17trampoline_kernelINS0_14default_configENS1_27scan_by_key_config_selectorIixEEZZNS1_16scan_by_key_implILNS1_25lookback_scan_determinismE0ELb1ES3_N6thrust23THRUST_200600_302600_NS6detail15normal_iteratorINS9_10device_ptrIiEEEENSB_INSC_IxEEEESG_xNS9_4plusIvEENS9_8equal_toIvEExEE10hipError_tPvRmT2_T3_T4_T5_mT6_T7_P12ihipStream_tbENKUlT_T0_E_clISt17integral_constantIbLb0EES10_IbLb1EEEEDaSW_SX_EUlSW_E_NS1_11comp_targetILNS1_3genE3ELNS1_11target_archE908ELNS1_3gpuE7ELNS1_3repE0EEENS1_30default_config_static_selectorELNS0_4arch9wavefront6targetE0EEEvT1_.has_dyn_sized_stack, 0
	.set _ZN7rocprim17ROCPRIM_400000_NS6detail17trampoline_kernelINS0_14default_configENS1_27scan_by_key_config_selectorIixEEZZNS1_16scan_by_key_implILNS1_25lookback_scan_determinismE0ELb1ES3_N6thrust23THRUST_200600_302600_NS6detail15normal_iteratorINS9_10device_ptrIiEEEENSB_INSC_IxEEEESG_xNS9_4plusIvEENS9_8equal_toIvEExEE10hipError_tPvRmT2_T3_T4_T5_mT6_T7_P12ihipStream_tbENKUlT_T0_E_clISt17integral_constantIbLb0EES10_IbLb1EEEEDaSW_SX_EUlSW_E_NS1_11comp_targetILNS1_3genE3ELNS1_11target_archE908ELNS1_3gpuE7ELNS1_3repE0EEENS1_30default_config_static_selectorELNS0_4arch9wavefront6targetE0EEEvT1_.has_recursion, 0
	.set _ZN7rocprim17ROCPRIM_400000_NS6detail17trampoline_kernelINS0_14default_configENS1_27scan_by_key_config_selectorIixEEZZNS1_16scan_by_key_implILNS1_25lookback_scan_determinismE0ELb1ES3_N6thrust23THRUST_200600_302600_NS6detail15normal_iteratorINS9_10device_ptrIiEEEENSB_INSC_IxEEEESG_xNS9_4plusIvEENS9_8equal_toIvEExEE10hipError_tPvRmT2_T3_T4_T5_mT6_T7_P12ihipStream_tbENKUlT_T0_E_clISt17integral_constantIbLb0EES10_IbLb1EEEEDaSW_SX_EUlSW_E_NS1_11comp_targetILNS1_3genE3ELNS1_11target_archE908ELNS1_3gpuE7ELNS1_3repE0EEENS1_30default_config_static_selectorELNS0_4arch9wavefront6targetE0EEEvT1_.has_indirect_call, 0
	.section	.AMDGPU.csdata,"",@progbits
; Kernel info:
; codeLenInByte = 0
; TotalNumSgprs: 0
; NumVgprs: 0
; ScratchSize: 0
; MemoryBound: 0
; FloatMode: 240
; IeeeMode: 1
; LDSByteSize: 0 bytes/workgroup (compile time only)
; SGPRBlocks: 0
; VGPRBlocks: 0
; NumSGPRsForWavesPerEU: 1
; NumVGPRsForWavesPerEU: 1
; Occupancy: 16
; WaveLimiterHint : 0
; COMPUTE_PGM_RSRC2:SCRATCH_EN: 0
; COMPUTE_PGM_RSRC2:USER_SGPR: 6
; COMPUTE_PGM_RSRC2:TRAP_HANDLER: 0
; COMPUTE_PGM_RSRC2:TGID_X_EN: 1
; COMPUTE_PGM_RSRC2:TGID_Y_EN: 0
; COMPUTE_PGM_RSRC2:TGID_Z_EN: 0
; COMPUTE_PGM_RSRC2:TIDIG_COMP_CNT: 0
	.section	.text._ZN7rocprim17ROCPRIM_400000_NS6detail17trampoline_kernelINS0_14default_configENS1_27scan_by_key_config_selectorIixEEZZNS1_16scan_by_key_implILNS1_25lookback_scan_determinismE0ELb1ES3_N6thrust23THRUST_200600_302600_NS6detail15normal_iteratorINS9_10device_ptrIiEEEENSB_INSC_IxEEEESG_xNS9_4plusIvEENS9_8equal_toIvEExEE10hipError_tPvRmT2_T3_T4_T5_mT6_T7_P12ihipStream_tbENKUlT_T0_E_clISt17integral_constantIbLb0EES10_IbLb1EEEEDaSW_SX_EUlSW_E_NS1_11comp_targetILNS1_3genE2ELNS1_11target_archE906ELNS1_3gpuE6ELNS1_3repE0EEENS1_30default_config_static_selectorELNS0_4arch9wavefront6targetE0EEEvT1_,"axG",@progbits,_ZN7rocprim17ROCPRIM_400000_NS6detail17trampoline_kernelINS0_14default_configENS1_27scan_by_key_config_selectorIixEEZZNS1_16scan_by_key_implILNS1_25lookback_scan_determinismE0ELb1ES3_N6thrust23THRUST_200600_302600_NS6detail15normal_iteratorINS9_10device_ptrIiEEEENSB_INSC_IxEEEESG_xNS9_4plusIvEENS9_8equal_toIvEExEE10hipError_tPvRmT2_T3_T4_T5_mT6_T7_P12ihipStream_tbENKUlT_T0_E_clISt17integral_constantIbLb0EES10_IbLb1EEEEDaSW_SX_EUlSW_E_NS1_11comp_targetILNS1_3genE2ELNS1_11target_archE906ELNS1_3gpuE6ELNS1_3repE0EEENS1_30default_config_static_selectorELNS0_4arch9wavefront6targetE0EEEvT1_,comdat
	.protected	_ZN7rocprim17ROCPRIM_400000_NS6detail17trampoline_kernelINS0_14default_configENS1_27scan_by_key_config_selectorIixEEZZNS1_16scan_by_key_implILNS1_25lookback_scan_determinismE0ELb1ES3_N6thrust23THRUST_200600_302600_NS6detail15normal_iteratorINS9_10device_ptrIiEEEENSB_INSC_IxEEEESG_xNS9_4plusIvEENS9_8equal_toIvEExEE10hipError_tPvRmT2_T3_T4_T5_mT6_T7_P12ihipStream_tbENKUlT_T0_E_clISt17integral_constantIbLb0EES10_IbLb1EEEEDaSW_SX_EUlSW_E_NS1_11comp_targetILNS1_3genE2ELNS1_11target_archE906ELNS1_3gpuE6ELNS1_3repE0EEENS1_30default_config_static_selectorELNS0_4arch9wavefront6targetE0EEEvT1_ ; -- Begin function _ZN7rocprim17ROCPRIM_400000_NS6detail17trampoline_kernelINS0_14default_configENS1_27scan_by_key_config_selectorIixEEZZNS1_16scan_by_key_implILNS1_25lookback_scan_determinismE0ELb1ES3_N6thrust23THRUST_200600_302600_NS6detail15normal_iteratorINS9_10device_ptrIiEEEENSB_INSC_IxEEEESG_xNS9_4plusIvEENS9_8equal_toIvEExEE10hipError_tPvRmT2_T3_T4_T5_mT6_T7_P12ihipStream_tbENKUlT_T0_E_clISt17integral_constantIbLb0EES10_IbLb1EEEEDaSW_SX_EUlSW_E_NS1_11comp_targetILNS1_3genE2ELNS1_11target_archE906ELNS1_3gpuE6ELNS1_3repE0EEENS1_30default_config_static_selectorELNS0_4arch9wavefront6targetE0EEEvT1_
	.globl	_ZN7rocprim17ROCPRIM_400000_NS6detail17trampoline_kernelINS0_14default_configENS1_27scan_by_key_config_selectorIixEEZZNS1_16scan_by_key_implILNS1_25lookback_scan_determinismE0ELb1ES3_N6thrust23THRUST_200600_302600_NS6detail15normal_iteratorINS9_10device_ptrIiEEEENSB_INSC_IxEEEESG_xNS9_4plusIvEENS9_8equal_toIvEExEE10hipError_tPvRmT2_T3_T4_T5_mT6_T7_P12ihipStream_tbENKUlT_T0_E_clISt17integral_constantIbLb0EES10_IbLb1EEEEDaSW_SX_EUlSW_E_NS1_11comp_targetILNS1_3genE2ELNS1_11target_archE906ELNS1_3gpuE6ELNS1_3repE0EEENS1_30default_config_static_selectorELNS0_4arch9wavefront6targetE0EEEvT1_
	.p2align	8
	.type	_ZN7rocprim17ROCPRIM_400000_NS6detail17trampoline_kernelINS0_14default_configENS1_27scan_by_key_config_selectorIixEEZZNS1_16scan_by_key_implILNS1_25lookback_scan_determinismE0ELb1ES3_N6thrust23THRUST_200600_302600_NS6detail15normal_iteratorINS9_10device_ptrIiEEEENSB_INSC_IxEEEESG_xNS9_4plusIvEENS9_8equal_toIvEExEE10hipError_tPvRmT2_T3_T4_T5_mT6_T7_P12ihipStream_tbENKUlT_T0_E_clISt17integral_constantIbLb0EES10_IbLb1EEEEDaSW_SX_EUlSW_E_NS1_11comp_targetILNS1_3genE2ELNS1_11target_archE906ELNS1_3gpuE6ELNS1_3repE0EEENS1_30default_config_static_selectorELNS0_4arch9wavefront6targetE0EEEvT1_,@function
_ZN7rocprim17ROCPRIM_400000_NS6detail17trampoline_kernelINS0_14default_configENS1_27scan_by_key_config_selectorIixEEZZNS1_16scan_by_key_implILNS1_25lookback_scan_determinismE0ELb1ES3_N6thrust23THRUST_200600_302600_NS6detail15normal_iteratorINS9_10device_ptrIiEEEENSB_INSC_IxEEEESG_xNS9_4plusIvEENS9_8equal_toIvEExEE10hipError_tPvRmT2_T3_T4_T5_mT6_T7_P12ihipStream_tbENKUlT_T0_E_clISt17integral_constantIbLb0EES10_IbLb1EEEEDaSW_SX_EUlSW_E_NS1_11comp_targetILNS1_3genE2ELNS1_11target_archE906ELNS1_3gpuE6ELNS1_3repE0EEENS1_30default_config_static_selectorELNS0_4arch9wavefront6targetE0EEEvT1_: ; @_ZN7rocprim17ROCPRIM_400000_NS6detail17trampoline_kernelINS0_14default_configENS1_27scan_by_key_config_selectorIixEEZZNS1_16scan_by_key_implILNS1_25lookback_scan_determinismE0ELb1ES3_N6thrust23THRUST_200600_302600_NS6detail15normal_iteratorINS9_10device_ptrIiEEEENSB_INSC_IxEEEESG_xNS9_4plusIvEENS9_8equal_toIvEExEE10hipError_tPvRmT2_T3_T4_T5_mT6_T7_P12ihipStream_tbENKUlT_T0_E_clISt17integral_constantIbLb0EES10_IbLb1EEEEDaSW_SX_EUlSW_E_NS1_11comp_targetILNS1_3genE2ELNS1_11target_archE906ELNS1_3gpuE6ELNS1_3repE0EEENS1_30default_config_static_selectorELNS0_4arch9wavefront6targetE0EEEvT1_
; %bb.0:
	.section	.rodata,"a",@progbits
	.p2align	6, 0x0
	.amdhsa_kernel _ZN7rocprim17ROCPRIM_400000_NS6detail17trampoline_kernelINS0_14default_configENS1_27scan_by_key_config_selectorIixEEZZNS1_16scan_by_key_implILNS1_25lookback_scan_determinismE0ELb1ES3_N6thrust23THRUST_200600_302600_NS6detail15normal_iteratorINS9_10device_ptrIiEEEENSB_INSC_IxEEEESG_xNS9_4plusIvEENS9_8equal_toIvEExEE10hipError_tPvRmT2_T3_T4_T5_mT6_T7_P12ihipStream_tbENKUlT_T0_E_clISt17integral_constantIbLb0EES10_IbLb1EEEEDaSW_SX_EUlSW_E_NS1_11comp_targetILNS1_3genE2ELNS1_11target_archE906ELNS1_3gpuE6ELNS1_3repE0EEENS1_30default_config_static_selectorELNS0_4arch9wavefront6targetE0EEEvT1_
		.amdhsa_group_segment_fixed_size 0
		.amdhsa_private_segment_fixed_size 0
		.amdhsa_kernarg_size 136
		.amdhsa_user_sgpr_count 6
		.amdhsa_user_sgpr_private_segment_buffer 1
		.amdhsa_user_sgpr_dispatch_ptr 0
		.amdhsa_user_sgpr_queue_ptr 0
		.amdhsa_user_sgpr_kernarg_segment_ptr 1
		.amdhsa_user_sgpr_dispatch_id 0
		.amdhsa_user_sgpr_flat_scratch_init 0
		.amdhsa_user_sgpr_private_segment_size 0
		.amdhsa_wavefront_size32 1
		.amdhsa_uses_dynamic_stack 0
		.amdhsa_system_sgpr_private_segment_wavefront_offset 0
		.amdhsa_system_sgpr_workgroup_id_x 1
		.amdhsa_system_sgpr_workgroup_id_y 0
		.amdhsa_system_sgpr_workgroup_id_z 0
		.amdhsa_system_sgpr_workgroup_info 0
		.amdhsa_system_vgpr_workitem_id 0
		.amdhsa_next_free_vgpr 1
		.amdhsa_next_free_sgpr 1
		.amdhsa_reserve_vcc 0
		.amdhsa_reserve_flat_scratch 0
		.amdhsa_float_round_mode_32 0
		.amdhsa_float_round_mode_16_64 0
		.amdhsa_float_denorm_mode_32 3
		.amdhsa_float_denorm_mode_16_64 3
		.amdhsa_dx10_clamp 1
		.amdhsa_ieee_mode 1
		.amdhsa_fp16_overflow 0
		.amdhsa_workgroup_processor_mode 1
		.amdhsa_memory_ordered 1
		.amdhsa_forward_progress 1
		.amdhsa_shared_vgpr_count 0
		.amdhsa_exception_fp_ieee_invalid_op 0
		.amdhsa_exception_fp_denorm_src 0
		.amdhsa_exception_fp_ieee_div_zero 0
		.amdhsa_exception_fp_ieee_overflow 0
		.amdhsa_exception_fp_ieee_underflow 0
		.amdhsa_exception_fp_ieee_inexact 0
		.amdhsa_exception_int_div_zero 0
	.end_amdhsa_kernel
	.section	.text._ZN7rocprim17ROCPRIM_400000_NS6detail17trampoline_kernelINS0_14default_configENS1_27scan_by_key_config_selectorIixEEZZNS1_16scan_by_key_implILNS1_25lookback_scan_determinismE0ELb1ES3_N6thrust23THRUST_200600_302600_NS6detail15normal_iteratorINS9_10device_ptrIiEEEENSB_INSC_IxEEEESG_xNS9_4plusIvEENS9_8equal_toIvEExEE10hipError_tPvRmT2_T3_T4_T5_mT6_T7_P12ihipStream_tbENKUlT_T0_E_clISt17integral_constantIbLb0EES10_IbLb1EEEEDaSW_SX_EUlSW_E_NS1_11comp_targetILNS1_3genE2ELNS1_11target_archE906ELNS1_3gpuE6ELNS1_3repE0EEENS1_30default_config_static_selectorELNS0_4arch9wavefront6targetE0EEEvT1_,"axG",@progbits,_ZN7rocprim17ROCPRIM_400000_NS6detail17trampoline_kernelINS0_14default_configENS1_27scan_by_key_config_selectorIixEEZZNS1_16scan_by_key_implILNS1_25lookback_scan_determinismE0ELb1ES3_N6thrust23THRUST_200600_302600_NS6detail15normal_iteratorINS9_10device_ptrIiEEEENSB_INSC_IxEEEESG_xNS9_4plusIvEENS9_8equal_toIvEExEE10hipError_tPvRmT2_T3_T4_T5_mT6_T7_P12ihipStream_tbENKUlT_T0_E_clISt17integral_constantIbLb0EES10_IbLb1EEEEDaSW_SX_EUlSW_E_NS1_11comp_targetILNS1_3genE2ELNS1_11target_archE906ELNS1_3gpuE6ELNS1_3repE0EEENS1_30default_config_static_selectorELNS0_4arch9wavefront6targetE0EEEvT1_,comdat
.Lfunc_end1603:
	.size	_ZN7rocprim17ROCPRIM_400000_NS6detail17trampoline_kernelINS0_14default_configENS1_27scan_by_key_config_selectorIixEEZZNS1_16scan_by_key_implILNS1_25lookback_scan_determinismE0ELb1ES3_N6thrust23THRUST_200600_302600_NS6detail15normal_iteratorINS9_10device_ptrIiEEEENSB_INSC_IxEEEESG_xNS9_4plusIvEENS9_8equal_toIvEExEE10hipError_tPvRmT2_T3_T4_T5_mT6_T7_P12ihipStream_tbENKUlT_T0_E_clISt17integral_constantIbLb0EES10_IbLb1EEEEDaSW_SX_EUlSW_E_NS1_11comp_targetILNS1_3genE2ELNS1_11target_archE906ELNS1_3gpuE6ELNS1_3repE0EEENS1_30default_config_static_selectorELNS0_4arch9wavefront6targetE0EEEvT1_, .Lfunc_end1603-_ZN7rocprim17ROCPRIM_400000_NS6detail17trampoline_kernelINS0_14default_configENS1_27scan_by_key_config_selectorIixEEZZNS1_16scan_by_key_implILNS1_25lookback_scan_determinismE0ELb1ES3_N6thrust23THRUST_200600_302600_NS6detail15normal_iteratorINS9_10device_ptrIiEEEENSB_INSC_IxEEEESG_xNS9_4plusIvEENS9_8equal_toIvEExEE10hipError_tPvRmT2_T3_T4_T5_mT6_T7_P12ihipStream_tbENKUlT_T0_E_clISt17integral_constantIbLb0EES10_IbLb1EEEEDaSW_SX_EUlSW_E_NS1_11comp_targetILNS1_3genE2ELNS1_11target_archE906ELNS1_3gpuE6ELNS1_3repE0EEENS1_30default_config_static_selectorELNS0_4arch9wavefront6targetE0EEEvT1_
                                        ; -- End function
	.set _ZN7rocprim17ROCPRIM_400000_NS6detail17trampoline_kernelINS0_14default_configENS1_27scan_by_key_config_selectorIixEEZZNS1_16scan_by_key_implILNS1_25lookback_scan_determinismE0ELb1ES3_N6thrust23THRUST_200600_302600_NS6detail15normal_iteratorINS9_10device_ptrIiEEEENSB_INSC_IxEEEESG_xNS9_4plusIvEENS9_8equal_toIvEExEE10hipError_tPvRmT2_T3_T4_T5_mT6_T7_P12ihipStream_tbENKUlT_T0_E_clISt17integral_constantIbLb0EES10_IbLb1EEEEDaSW_SX_EUlSW_E_NS1_11comp_targetILNS1_3genE2ELNS1_11target_archE906ELNS1_3gpuE6ELNS1_3repE0EEENS1_30default_config_static_selectorELNS0_4arch9wavefront6targetE0EEEvT1_.num_vgpr, 0
	.set _ZN7rocprim17ROCPRIM_400000_NS6detail17trampoline_kernelINS0_14default_configENS1_27scan_by_key_config_selectorIixEEZZNS1_16scan_by_key_implILNS1_25lookback_scan_determinismE0ELb1ES3_N6thrust23THRUST_200600_302600_NS6detail15normal_iteratorINS9_10device_ptrIiEEEENSB_INSC_IxEEEESG_xNS9_4plusIvEENS9_8equal_toIvEExEE10hipError_tPvRmT2_T3_T4_T5_mT6_T7_P12ihipStream_tbENKUlT_T0_E_clISt17integral_constantIbLb0EES10_IbLb1EEEEDaSW_SX_EUlSW_E_NS1_11comp_targetILNS1_3genE2ELNS1_11target_archE906ELNS1_3gpuE6ELNS1_3repE0EEENS1_30default_config_static_selectorELNS0_4arch9wavefront6targetE0EEEvT1_.num_agpr, 0
	.set _ZN7rocprim17ROCPRIM_400000_NS6detail17trampoline_kernelINS0_14default_configENS1_27scan_by_key_config_selectorIixEEZZNS1_16scan_by_key_implILNS1_25lookback_scan_determinismE0ELb1ES3_N6thrust23THRUST_200600_302600_NS6detail15normal_iteratorINS9_10device_ptrIiEEEENSB_INSC_IxEEEESG_xNS9_4plusIvEENS9_8equal_toIvEExEE10hipError_tPvRmT2_T3_T4_T5_mT6_T7_P12ihipStream_tbENKUlT_T0_E_clISt17integral_constantIbLb0EES10_IbLb1EEEEDaSW_SX_EUlSW_E_NS1_11comp_targetILNS1_3genE2ELNS1_11target_archE906ELNS1_3gpuE6ELNS1_3repE0EEENS1_30default_config_static_selectorELNS0_4arch9wavefront6targetE0EEEvT1_.numbered_sgpr, 0
	.set _ZN7rocprim17ROCPRIM_400000_NS6detail17trampoline_kernelINS0_14default_configENS1_27scan_by_key_config_selectorIixEEZZNS1_16scan_by_key_implILNS1_25lookback_scan_determinismE0ELb1ES3_N6thrust23THRUST_200600_302600_NS6detail15normal_iteratorINS9_10device_ptrIiEEEENSB_INSC_IxEEEESG_xNS9_4plusIvEENS9_8equal_toIvEExEE10hipError_tPvRmT2_T3_T4_T5_mT6_T7_P12ihipStream_tbENKUlT_T0_E_clISt17integral_constantIbLb0EES10_IbLb1EEEEDaSW_SX_EUlSW_E_NS1_11comp_targetILNS1_3genE2ELNS1_11target_archE906ELNS1_3gpuE6ELNS1_3repE0EEENS1_30default_config_static_selectorELNS0_4arch9wavefront6targetE0EEEvT1_.num_named_barrier, 0
	.set _ZN7rocprim17ROCPRIM_400000_NS6detail17trampoline_kernelINS0_14default_configENS1_27scan_by_key_config_selectorIixEEZZNS1_16scan_by_key_implILNS1_25lookback_scan_determinismE0ELb1ES3_N6thrust23THRUST_200600_302600_NS6detail15normal_iteratorINS9_10device_ptrIiEEEENSB_INSC_IxEEEESG_xNS9_4plusIvEENS9_8equal_toIvEExEE10hipError_tPvRmT2_T3_T4_T5_mT6_T7_P12ihipStream_tbENKUlT_T0_E_clISt17integral_constantIbLb0EES10_IbLb1EEEEDaSW_SX_EUlSW_E_NS1_11comp_targetILNS1_3genE2ELNS1_11target_archE906ELNS1_3gpuE6ELNS1_3repE0EEENS1_30default_config_static_selectorELNS0_4arch9wavefront6targetE0EEEvT1_.private_seg_size, 0
	.set _ZN7rocprim17ROCPRIM_400000_NS6detail17trampoline_kernelINS0_14default_configENS1_27scan_by_key_config_selectorIixEEZZNS1_16scan_by_key_implILNS1_25lookback_scan_determinismE0ELb1ES3_N6thrust23THRUST_200600_302600_NS6detail15normal_iteratorINS9_10device_ptrIiEEEENSB_INSC_IxEEEESG_xNS9_4plusIvEENS9_8equal_toIvEExEE10hipError_tPvRmT2_T3_T4_T5_mT6_T7_P12ihipStream_tbENKUlT_T0_E_clISt17integral_constantIbLb0EES10_IbLb1EEEEDaSW_SX_EUlSW_E_NS1_11comp_targetILNS1_3genE2ELNS1_11target_archE906ELNS1_3gpuE6ELNS1_3repE0EEENS1_30default_config_static_selectorELNS0_4arch9wavefront6targetE0EEEvT1_.uses_vcc, 0
	.set _ZN7rocprim17ROCPRIM_400000_NS6detail17trampoline_kernelINS0_14default_configENS1_27scan_by_key_config_selectorIixEEZZNS1_16scan_by_key_implILNS1_25lookback_scan_determinismE0ELb1ES3_N6thrust23THRUST_200600_302600_NS6detail15normal_iteratorINS9_10device_ptrIiEEEENSB_INSC_IxEEEESG_xNS9_4plusIvEENS9_8equal_toIvEExEE10hipError_tPvRmT2_T3_T4_T5_mT6_T7_P12ihipStream_tbENKUlT_T0_E_clISt17integral_constantIbLb0EES10_IbLb1EEEEDaSW_SX_EUlSW_E_NS1_11comp_targetILNS1_3genE2ELNS1_11target_archE906ELNS1_3gpuE6ELNS1_3repE0EEENS1_30default_config_static_selectorELNS0_4arch9wavefront6targetE0EEEvT1_.uses_flat_scratch, 0
	.set _ZN7rocprim17ROCPRIM_400000_NS6detail17trampoline_kernelINS0_14default_configENS1_27scan_by_key_config_selectorIixEEZZNS1_16scan_by_key_implILNS1_25lookback_scan_determinismE0ELb1ES3_N6thrust23THRUST_200600_302600_NS6detail15normal_iteratorINS9_10device_ptrIiEEEENSB_INSC_IxEEEESG_xNS9_4plusIvEENS9_8equal_toIvEExEE10hipError_tPvRmT2_T3_T4_T5_mT6_T7_P12ihipStream_tbENKUlT_T0_E_clISt17integral_constantIbLb0EES10_IbLb1EEEEDaSW_SX_EUlSW_E_NS1_11comp_targetILNS1_3genE2ELNS1_11target_archE906ELNS1_3gpuE6ELNS1_3repE0EEENS1_30default_config_static_selectorELNS0_4arch9wavefront6targetE0EEEvT1_.has_dyn_sized_stack, 0
	.set _ZN7rocprim17ROCPRIM_400000_NS6detail17trampoline_kernelINS0_14default_configENS1_27scan_by_key_config_selectorIixEEZZNS1_16scan_by_key_implILNS1_25lookback_scan_determinismE0ELb1ES3_N6thrust23THRUST_200600_302600_NS6detail15normal_iteratorINS9_10device_ptrIiEEEENSB_INSC_IxEEEESG_xNS9_4plusIvEENS9_8equal_toIvEExEE10hipError_tPvRmT2_T3_T4_T5_mT6_T7_P12ihipStream_tbENKUlT_T0_E_clISt17integral_constantIbLb0EES10_IbLb1EEEEDaSW_SX_EUlSW_E_NS1_11comp_targetILNS1_3genE2ELNS1_11target_archE906ELNS1_3gpuE6ELNS1_3repE0EEENS1_30default_config_static_selectorELNS0_4arch9wavefront6targetE0EEEvT1_.has_recursion, 0
	.set _ZN7rocprim17ROCPRIM_400000_NS6detail17trampoline_kernelINS0_14default_configENS1_27scan_by_key_config_selectorIixEEZZNS1_16scan_by_key_implILNS1_25lookback_scan_determinismE0ELb1ES3_N6thrust23THRUST_200600_302600_NS6detail15normal_iteratorINS9_10device_ptrIiEEEENSB_INSC_IxEEEESG_xNS9_4plusIvEENS9_8equal_toIvEExEE10hipError_tPvRmT2_T3_T4_T5_mT6_T7_P12ihipStream_tbENKUlT_T0_E_clISt17integral_constantIbLb0EES10_IbLb1EEEEDaSW_SX_EUlSW_E_NS1_11comp_targetILNS1_3genE2ELNS1_11target_archE906ELNS1_3gpuE6ELNS1_3repE0EEENS1_30default_config_static_selectorELNS0_4arch9wavefront6targetE0EEEvT1_.has_indirect_call, 0
	.section	.AMDGPU.csdata,"",@progbits
; Kernel info:
; codeLenInByte = 0
; TotalNumSgprs: 0
; NumVgprs: 0
; ScratchSize: 0
; MemoryBound: 0
; FloatMode: 240
; IeeeMode: 1
; LDSByteSize: 0 bytes/workgroup (compile time only)
; SGPRBlocks: 0
; VGPRBlocks: 0
; NumSGPRsForWavesPerEU: 1
; NumVGPRsForWavesPerEU: 1
; Occupancy: 16
; WaveLimiterHint : 0
; COMPUTE_PGM_RSRC2:SCRATCH_EN: 0
; COMPUTE_PGM_RSRC2:USER_SGPR: 6
; COMPUTE_PGM_RSRC2:TRAP_HANDLER: 0
; COMPUTE_PGM_RSRC2:TGID_X_EN: 1
; COMPUTE_PGM_RSRC2:TGID_Y_EN: 0
; COMPUTE_PGM_RSRC2:TGID_Z_EN: 0
; COMPUTE_PGM_RSRC2:TIDIG_COMP_CNT: 0
	.section	.text._ZN7rocprim17ROCPRIM_400000_NS6detail17trampoline_kernelINS0_14default_configENS1_27scan_by_key_config_selectorIixEEZZNS1_16scan_by_key_implILNS1_25lookback_scan_determinismE0ELb1ES3_N6thrust23THRUST_200600_302600_NS6detail15normal_iteratorINS9_10device_ptrIiEEEENSB_INSC_IxEEEESG_xNS9_4plusIvEENS9_8equal_toIvEExEE10hipError_tPvRmT2_T3_T4_T5_mT6_T7_P12ihipStream_tbENKUlT_T0_E_clISt17integral_constantIbLb0EES10_IbLb1EEEEDaSW_SX_EUlSW_E_NS1_11comp_targetILNS1_3genE10ELNS1_11target_archE1200ELNS1_3gpuE4ELNS1_3repE0EEENS1_30default_config_static_selectorELNS0_4arch9wavefront6targetE0EEEvT1_,"axG",@progbits,_ZN7rocprim17ROCPRIM_400000_NS6detail17trampoline_kernelINS0_14default_configENS1_27scan_by_key_config_selectorIixEEZZNS1_16scan_by_key_implILNS1_25lookback_scan_determinismE0ELb1ES3_N6thrust23THRUST_200600_302600_NS6detail15normal_iteratorINS9_10device_ptrIiEEEENSB_INSC_IxEEEESG_xNS9_4plusIvEENS9_8equal_toIvEExEE10hipError_tPvRmT2_T3_T4_T5_mT6_T7_P12ihipStream_tbENKUlT_T0_E_clISt17integral_constantIbLb0EES10_IbLb1EEEEDaSW_SX_EUlSW_E_NS1_11comp_targetILNS1_3genE10ELNS1_11target_archE1200ELNS1_3gpuE4ELNS1_3repE0EEENS1_30default_config_static_selectorELNS0_4arch9wavefront6targetE0EEEvT1_,comdat
	.protected	_ZN7rocprim17ROCPRIM_400000_NS6detail17trampoline_kernelINS0_14default_configENS1_27scan_by_key_config_selectorIixEEZZNS1_16scan_by_key_implILNS1_25lookback_scan_determinismE0ELb1ES3_N6thrust23THRUST_200600_302600_NS6detail15normal_iteratorINS9_10device_ptrIiEEEENSB_INSC_IxEEEESG_xNS9_4plusIvEENS9_8equal_toIvEExEE10hipError_tPvRmT2_T3_T4_T5_mT6_T7_P12ihipStream_tbENKUlT_T0_E_clISt17integral_constantIbLb0EES10_IbLb1EEEEDaSW_SX_EUlSW_E_NS1_11comp_targetILNS1_3genE10ELNS1_11target_archE1200ELNS1_3gpuE4ELNS1_3repE0EEENS1_30default_config_static_selectorELNS0_4arch9wavefront6targetE0EEEvT1_ ; -- Begin function _ZN7rocprim17ROCPRIM_400000_NS6detail17trampoline_kernelINS0_14default_configENS1_27scan_by_key_config_selectorIixEEZZNS1_16scan_by_key_implILNS1_25lookback_scan_determinismE0ELb1ES3_N6thrust23THRUST_200600_302600_NS6detail15normal_iteratorINS9_10device_ptrIiEEEENSB_INSC_IxEEEESG_xNS9_4plusIvEENS9_8equal_toIvEExEE10hipError_tPvRmT2_T3_T4_T5_mT6_T7_P12ihipStream_tbENKUlT_T0_E_clISt17integral_constantIbLb0EES10_IbLb1EEEEDaSW_SX_EUlSW_E_NS1_11comp_targetILNS1_3genE10ELNS1_11target_archE1200ELNS1_3gpuE4ELNS1_3repE0EEENS1_30default_config_static_selectorELNS0_4arch9wavefront6targetE0EEEvT1_
	.globl	_ZN7rocprim17ROCPRIM_400000_NS6detail17trampoline_kernelINS0_14default_configENS1_27scan_by_key_config_selectorIixEEZZNS1_16scan_by_key_implILNS1_25lookback_scan_determinismE0ELb1ES3_N6thrust23THRUST_200600_302600_NS6detail15normal_iteratorINS9_10device_ptrIiEEEENSB_INSC_IxEEEESG_xNS9_4plusIvEENS9_8equal_toIvEExEE10hipError_tPvRmT2_T3_T4_T5_mT6_T7_P12ihipStream_tbENKUlT_T0_E_clISt17integral_constantIbLb0EES10_IbLb1EEEEDaSW_SX_EUlSW_E_NS1_11comp_targetILNS1_3genE10ELNS1_11target_archE1200ELNS1_3gpuE4ELNS1_3repE0EEENS1_30default_config_static_selectorELNS0_4arch9wavefront6targetE0EEEvT1_
	.p2align	8
	.type	_ZN7rocprim17ROCPRIM_400000_NS6detail17trampoline_kernelINS0_14default_configENS1_27scan_by_key_config_selectorIixEEZZNS1_16scan_by_key_implILNS1_25lookback_scan_determinismE0ELb1ES3_N6thrust23THRUST_200600_302600_NS6detail15normal_iteratorINS9_10device_ptrIiEEEENSB_INSC_IxEEEESG_xNS9_4plusIvEENS9_8equal_toIvEExEE10hipError_tPvRmT2_T3_T4_T5_mT6_T7_P12ihipStream_tbENKUlT_T0_E_clISt17integral_constantIbLb0EES10_IbLb1EEEEDaSW_SX_EUlSW_E_NS1_11comp_targetILNS1_3genE10ELNS1_11target_archE1200ELNS1_3gpuE4ELNS1_3repE0EEENS1_30default_config_static_selectorELNS0_4arch9wavefront6targetE0EEEvT1_,@function
_ZN7rocprim17ROCPRIM_400000_NS6detail17trampoline_kernelINS0_14default_configENS1_27scan_by_key_config_selectorIixEEZZNS1_16scan_by_key_implILNS1_25lookback_scan_determinismE0ELb1ES3_N6thrust23THRUST_200600_302600_NS6detail15normal_iteratorINS9_10device_ptrIiEEEENSB_INSC_IxEEEESG_xNS9_4plusIvEENS9_8equal_toIvEExEE10hipError_tPvRmT2_T3_T4_T5_mT6_T7_P12ihipStream_tbENKUlT_T0_E_clISt17integral_constantIbLb0EES10_IbLb1EEEEDaSW_SX_EUlSW_E_NS1_11comp_targetILNS1_3genE10ELNS1_11target_archE1200ELNS1_3gpuE4ELNS1_3repE0EEENS1_30default_config_static_selectorELNS0_4arch9wavefront6targetE0EEEvT1_: ; @_ZN7rocprim17ROCPRIM_400000_NS6detail17trampoline_kernelINS0_14default_configENS1_27scan_by_key_config_selectorIixEEZZNS1_16scan_by_key_implILNS1_25lookback_scan_determinismE0ELb1ES3_N6thrust23THRUST_200600_302600_NS6detail15normal_iteratorINS9_10device_ptrIiEEEENSB_INSC_IxEEEESG_xNS9_4plusIvEENS9_8equal_toIvEExEE10hipError_tPvRmT2_T3_T4_T5_mT6_T7_P12ihipStream_tbENKUlT_T0_E_clISt17integral_constantIbLb0EES10_IbLb1EEEEDaSW_SX_EUlSW_E_NS1_11comp_targetILNS1_3genE10ELNS1_11target_archE1200ELNS1_3gpuE4ELNS1_3repE0EEENS1_30default_config_static_selectorELNS0_4arch9wavefront6targetE0EEEvT1_
; %bb.0:
	.section	.rodata,"a",@progbits
	.p2align	6, 0x0
	.amdhsa_kernel _ZN7rocprim17ROCPRIM_400000_NS6detail17trampoline_kernelINS0_14default_configENS1_27scan_by_key_config_selectorIixEEZZNS1_16scan_by_key_implILNS1_25lookback_scan_determinismE0ELb1ES3_N6thrust23THRUST_200600_302600_NS6detail15normal_iteratorINS9_10device_ptrIiEEEENSB_INSC_IxEEEESG_xNS9_4plusIvEENS9_8equal_toIvEExEE10hipError_tPvRmT2_T3_T4_T5_mT6_T7_P12ihipStream_tbENKUlT_T0_E_clISt17integral_constantIbLb0EES10_IbLb1EEEEDaSW_SX_EUlSW_E_NS1_11comp_targetILNS1_3genE10ELNS1_11target_archE1200ELNS1_3gpuE4ELNS1_3repE0EEENS1_30default_config_static_selectorELNS0_4arch9wavefront6targetE0EEEvT1_
		.amdhsa_group_segment_fixed_size 0
		.amdhsa_private_segment_fixed_size 0
		.amdhsa_kernarg_size 136
		.amdhsa_user_sgpr_count 6
		.amdhsa_user_sgpr_private_segment_buffer 1
		.amdhsa_user_sgpr_dispatch_ptr 0
		.amdhsa_user_sgpr_queue_ptr 0
		.amdhsa_user_sgpr_kernarg_segment_ptr 1
		.amdhsa_user_sgpr_dispatch_id 0
		.amdhsa_user_sgpr_flat_scratch_init 0
		.amdhsa_user_sgpr_private_segment_size 0
		.amdhsa_wavefront_size32 1
		.amdhsa_uses_dynamic_stack 0
		.amdhsa_system_sgpr_private_segment_wavefront_offset 0
		.amdhsa_system_sgpr_workgroup_id_x 1
		.amdhsa_system_sgpr_workgroup_id_y 0
		.amdhsa_system_sgpr_workgroup_id_z 0
		.amdhsa_system_sgpr_workgroup_info 0
		.amdhsa_system_vgpr_workitem_id 0
		.amdhsa_next_free_vgpr 1
		.amdhsa_next_free_sgpr 1
		.amdhsa_reserve_vcc 0
		.amdhsa_reserve_flat_scratch 0
		.amdhsa_float_round_mode_32 0
		.amdhsa_float_round_mode_16_64 0
		.amdhsa_float_denorm_mode_32 3
		.amdhsa_float_denorm_mode_16_64 3
		.amdhsa_dx10_clamp 1
		.amdhsa_ieee_mode 1
		.amdhsa_fp16_overflow 0
		.amdhsa_workgroup_processor_mode 1
		.amdhsa_memory_ordered 1
		.amdhsa_forward_progress 1
		.amdhsa_shared_vgpr_count 0
		.amdhsa_exception_fp_ieee_invalid_op 0
		.amdhsa_exception_fp_denorm_src 0
		.amdhsa_exception_fp_ieee_div_zero 0
		.amdhsa_exception_fp_ieee_overflow 0
		.amdhsa_exception_fp_ieee_underflow 0
		.amdhsa_exception_fp_ieee_inexact 0
		.amdhsa_exception_int_div_zero 0
	.end_amdhsa_kernel
	.section	.text._ZN7rocprim17ROCPRIM_400000_NS6detail17trampoline_kernelINS0_14default_configENS1_27scan_by_key_config_selectorIixEEZZNS1_16scan_by_key_implILNS1_25lookback_scan_determinismE0ELb1ES3_N6thrust23THRUST_200600_302600_NS6detail15normal_iteratorINS9_10device_ptrIiEEEENSB_INSC_IxEEEESG_xNS9_4plusIvEENS9_8equal_toIvEExEE10hipError_tPvRmT2_T3_T4_T5_mT6_T7_P12ihipStream_tbENKUlT_T0_E_clISt17integral_constantIbLb0EES10_IbLb1EEEEDaSW_SX_EUlSW_E_NS1_11comp_targetILNS1_3genE10ELNS1_11target_archE1200ELNS1_3gpuE4ELNS1_3repE0EEENS1_30default_config_static_selectorELNS0_4arch9wavefront6targetE0EEEvT1_,"axG",@progbits,_ZN7rocprim17ROCPRIM_400000_NS6detail17trampoline_kernelINS0_14default_configENS1_27scan_by_key_config_selectorIixEEZZNS1_16scan_by_key_implILNS1_25lookback_scan_determinismE0ELb1ES3_N6thrust23THRUST_200600_302600_NS6detail15normal_iteratorINS9_10device_ptrIiEEEENSB_INSC_IxEEEESG_xNS9_4plusIvEENS9_8equal_toIvEExEE10hipError_tPvRmT2_T3_T4_T5_mT6_T7_P12ihipStream_tbENKUlT_T0_E_clISt17integral_constantIbLb0EES10_IbLb1EEEEDaSW_SX_EUlSW_E_NS1_11comp_targetILNS1_3genE10ELNS1_11target_archE1200ELNS1_3gpuE4ELNS1_3repE0EEENS1_30default_config_static_selectorELNS0_4arch9wavefront6targetE0EEEvT1_,comdat
.Lfunc_end1604:
	.size	_ZN7rocprim17ROCPRIM_400000_NS6detail17trampoline_kernelINS0_14default_configENS1_27scan_by_key_config_selectorIixEEZZNS1_16scan_by_key_implILNS1_25lookback_scan_determinismE0ELb1ES3_N6thrust23THRUST_200600_302600_NS6detail15normal_iteratorINS9_10device_ptrIiEEEENSB_INSC_IxEEEESG_xNS9_4plusIvEENS9_8equal_toIvEExEE10hipError_tPvRmT2_T3_T4_T5_mT6_T7_P12ihipStream_tbENKUlT_T0_E_clISt17integral_constantIbLb0EES10_IbLb1EEEEDaSW_SX_EUlSW_E_NS1_11comp_targetILNS1_3genE10ELNS1_11target_archE1200ELNS1_3gpuE4ELNS1_3repE0EEENS1_30default_config_static_selectorELNS0_4arch9wavefront6targetE0EEEvT1_, .Lfunc_end1604-_ZN7rocprim17ROCPRIM_400000_NS6detail17trampoline_kernelINS0_14default_configENS1_27scan_by_key_config_selectorIixEEZZNS1_16scan_by_key_implILNS1_25lookback_scan_determinismE0ELb1ES3_N6thrust23THRUST_200600_302600_NS6detail15normal_iteratorINS9_10device_ptrIiEEEENSB_INSC_IxEEEESG_xNS9_4plusIvEENS9_8equal_toIvEExEE10hipError_tPvRmT2_T3_T4_T5_mT6_T7_P12ihipStream_tbENKUlT_T0_E_clISt17integral_constantIbLb0EES10_IbLb1EEEEDaSW_SX_EUlSW_E_NS1_11comp_targetILNS1_3genE10ELNS1_11target_archE1200ELNS1_3gpuE4ELNS1_3repE0EEENS1_30default_config_static_selectorELNS0_4arch9wavefront6targetE0EEEvT1_
                                        ; -- End function
	.set _ZN7rocprim17ROCPRIM_400000_NS6detail17trampoline_kernelINS0_14default_configENS1_27scan_by_key_config_selectorIixEEZZNS1_16scan_by_key_implILNS1_25lookback_scan_determinismE0ELb1ES3_N6thrust23THRUST_200600_302600_NS6detail15normal_iteratorINS9_10device_ptrIiEEEENSB_INSC_IxEEEESG_xNS9_4plusIvEENS9_8equal_toIvEExEE10hipError_tPvRmT2_T3_T4_T5_mT6_T7_P12ihipStream_tbENKUlT_T0_E_clISt17integral_constantIbLb0EES10_IbLb1EEEEDaSW_SX_EUlSW_E_NS1_11comp_targetILNS1_3genE10ELNS1_11target_archE1200ELNS1_3gpuE4ELNS1_3repE0EEENS1_30default_config_static_selectorELNS0_4arch9wavefront6targetE0EEEvT1_.num_vgpr, 0
	.set _ZN7rocprim17ROCPRIM_400000_NS6detail17trampoline_kernelINS0_14default_configENS1_27scan_by_key_config_selectorIixEEZZNS1_16scan_by_key_implILNS1_25lookback_scan_determinismE0ELb1ES3_N6thrust23THRUST_200600_302600_NS6detail15normal_iteratorINS9_10device_ptrIiEEEENSB_INSC_IxEEEESG_xNS9_4plusIvEENS9_8equal_toIvEExEE10hipError_tPvRmT2_T3_T4_T5_mT6_T7_P12ihipStream_tbENKUlT_T0_E_clISt17integral_constantIbLb0EES10_IbLb1EEEEDaSW_SX_EUlSW_E_NS1_11comp_targetILNS1_3genE10ELNS1_11target_archE1200ELNS1_3gpuE4ELNS1_3repE0EEENS1_30default_config_static_selectorELNS0_4arch9wavefront6targetE0EEEvT1_.num_agpr, 0
	.set _ZN7rocprim17ROCPRIM_400000_NS6detail17trampoline_kernelINS0_14default_configENS1_27scan_by_key_config_selectorIixEEZZNS1_16scan_by_key_implILNS1_25lookback_scan_determinismE0ELb1ES3_N6thrust23THRUST_200600_302600_NS6detail15normal_iteratorINS9_10device_ptrIiEEEENSB_INSC_IxEEEESG_xNS9_4plusIvEENS9_8equal_toIvEExEE10hipError_tPvRmT2_T3_T4_T5_mT6_T7_P12ihipStream_tbENKUlT_T0_E_clISt17integral_constantIbLb0EES10_IbLb1EEEEDaSW_SX_EUlSW_E_NS1_11comp_targetILNS1_3genE10ELNS1_11target_archE1200ELNS1_3gpuE4ELNS1_3repE0EEENS1_30default_config_static_selectorELNS0_4arch9wavefront6targetE0EEEvT1_.numbered_sgpr, 0
	.set _ZN7rocprim17ROCPRIM_400000_NS6detail17trampoline_kernelINS0_14default_configENS1_27scan_by_key_config_selectorIixEEZZNS1_16scan_by_key_implILNS1_25lookback_scan_determinismE0ELb1ES3_N6thrust23THRUST_200600_302600_NS6detail15normal_iteratorINS9_10device_ptrIiEEEENSB_INSC_IxEEEESG_xNS9_4plusIvEENS9_8equal_toIvEExEE10hipError_tPvRmT2_T3_T4_T5_mT6_T7_P12ihipStream_tbENKUlT_T0_E_clISt17integral_constantIbLb0EES10_IbLb1EEEEDaSW_SX_EUlSW_E_NS1_11comp_targetILNS1_3genE10ELNS1_11target_archE1200ELNS1_3gpuE4ELNS1_3repE0EEENS1_30default_config_static_selectorELNS0_4arch9wavefront6targetE0EEEvT1_.num_named_barrier, 0
	.set _ZN7rocprim17ROCPRIM_400000_NS6detail17trampoline_kernelINS0_14default_configENS1_27scan_by_key_config_selectorIixEEZZNS1_16scan_by_key_implILNS1_25lookback_scan_determinismE0ELb1ES3_N6thrust23THRUST_200600_302600_NS6detail15normal_iteratorINS9_10device_ptrIiEEEENSB_INSC_IxEEEESG_xNS9_4plusIvEENS9_8equal_toIvEExEE10hipError_tPvRmT2_T3_T4_T5_mT6_T7_P12ihipStream_tbENKUlT_T0_E_clISt17integral_constantIbLb0EES10_IbLb1EEEEDaSW_SX_EUlSW_E_NS1_11comp_targetILNS1_3genE10ELNS1_11target_archE1200ELNS1_3gpuE4ELNS1_3repE0EEENS1_30default_config_static_selectorELNS0_4arch9wavefront6targetE0EEEvT1_.private_seg_size, 0
	.set _ZN7rocprim17ROCPRIM_400000_NS6detail17trampoline_kernelINS0_14default_configENS1_27scan_by_key_config_selectorIixEEZZNS1_16scan_by_key_implILNS1_25lookback_scan_determinismE0ELb1ES3_N6thrust23THRUST_200600_302600_NS6detail15normal_iteratorINS9_10device_ptrIiEEEENSB_INSC_IxEEEESG_xNS9_4plusIvEENS9_8equal_toIvEExEE10hipError_tPvRmT2_T3_T4_T5_mT6_T7_P12ihipStream_tbENKUlT_T0_E_clISt17integral_constantIbLb0EES10_IbLb1EEEEDaSW_SX_EUlSW_E_NS1_11comp_targetILNS1_3genE10ELNS1_11target_archE1200ELNS1_3gpuE4ELNS1_3repE0EEENS1_30default_config_static_selectorELNS0_4arch9wavefront6targetE0EEEvT1_.uses_vcc, 0
	.set _ZN7rocprim17ROCPRIM_400000_NS6detail17trampoline_kernelINS0_14default_configENS1_27scan_by_key_config_selectorIixEEZZNS1_16scan_by_key_implILNS1_25lookback_scan_determinismE0ELb1ES3_N6thrust23THRUST_200600_302600_NS6detail15normal_iteratorINS9_10device_ptrIiEEEENSB_INSC_IxEEEESG_xNS9_4plusIvEENS9_8equal_toIvEExEE10hipError_tPvRmT2_T3_T4_T5_mT6_T7_P12ihipStream_tbENKUlT_T0_E_clISt17integral_constantIbLb0EES10_IbLb1EEEEDaSW_SX_EUlSW_E_NS1_11comp_targetILNS1_3genE10ELNS1_11target_archE1200ELNS1_3gpuE4ELNS1_3repE0EEENS1_30default_config_static_selectorELNS0_4arch9wavefront6targetE0EEEvT1_.uses_flat_scratch, 0
	.set _ZN7rocprim17ROCPRIM_400000_NS6detail17trampoline_kernelINS0_14default_configENS1_27scan_by_key_config_selectorIixEEZZNS1_16scan_by_key_implILNS1_25lookback_scan_determinismE0ELb1ES3_N6thrust23THRUST_200600_302600_NS6detail15normal_iteratorINS9_10device_ptrIiEEEENSB_INSC_IxEEEESG_xNS9_4plusIvEENS9_8equal_toIvEExEE10hipError_tPvRmT2_T3_T4_T5_mT6_T7_P12ihipStream_tbENKUlT_T0_E_clISt17integral_constantIbLb0EES10_IbLb1EEEEDaSW_SX_EUlSW_E_NS1_11comp_targetILNS1_3genE10ELNS1_11target_archE1200ELNS1_3gpuE4ELNS1_3repE0EEENS1_30default_config_static_selectorELNS0_4arch9wavefront6targetE0EEEvT1_.has_dyn_sized_stack, 0
	.set _ZN7rocprim17ROCPRIM_400000_NS6detail17trampoline_kernelINS0_14default_configENS1_27scan_by_key_config_selectorIixEEZZNS1_16scan_by_key_implILNS1_25lookback_scan_determinismE0ELb1ES3_N6thrust23THRUST_200600_302600_NS6detail15normal_iteratorINS9_10device_ptrIiEEEENSB_INSC_IxEEEESG_xNS9_4plusIvEENS9_8equal_toIvEExEE10hipError_tPvRmT2_T3_T4_T5_mT6_T7_P12ihipStream_tbENKUlT_T0_E_clISt17integral_constantIbLb0EES10_IbLb1EEEEDaSW_SX_EUlSW_E_NS1_11comp_targetILNS1_3genE10ELNS1_11target_archE1200ELNS1_3gpuE4ELNS1_3repE0EEENS1_30default_config_static_selectorELNS0_4arch9wavefront6targetE0EEEvT1_.has_recursion, 0
	.set _ZN7rocprim17ROCPRIM_400000_NS6detail17trampoline_kernelINS0_14default_configENS1_27scan_by_key_config_selectorIixEEZZNS1_16scan_by_key_implILNS1_25lookback_scan_determinismE0ELb1ES3_N6thrust23THRUST_200600_302600_NS6detail15normal_iteratorINS9_10device_ptrIiEEEENSB_INSC_IxEEEESG_xNS9_4plusIvEENS9_8equal_toIvEExEE10hipError_tPvRmT2_T3_T4_T5_mT6_T7_P12ihipStream_tbENKUlT_T0_E_clISt17integral_constantIbLb0EES10_IbLb1EEEEDaSW_SX_EUlSW_E_NS1_11comp_targetILNS1_3genE10ELNS1_11target_archE1200ELNS1_3gpuE4ELNS1_3repE0EEENS1_30default_config_static_selectorELNS0_4arch9wavefront6targetE0EEEvT1_.has_indirect_call, 0
	.section	.AMDGPU.csdata,"",@progbits
; Kernel info:
; codeLenInByte = 0
; TotalNumSgprs: 0
; NumVgprs: 0
; ScratchSize: 0
; MemoryBound: 0
; FloatMode: 240
; IeeeMode: 1
; LDSByteSize: 0 bytes/workgroup (compile time only)
; SGPRBlocks: 0
; VGPRBlocks: 0
; NumSGPRsForWavesPerEU: 1
; NumVGPRsForWavesPerEU: 1
; Occupancy: 16
; WaveLimiterHint : 0
; COMPUTE_PGM_RSRC2:SCRATCH_EN: 0
; COMPUTE_PGM_RSRC2:USER_SGPR: 6
; COMPUTE_PGM_RSRC2:TRAP_HANDLER: 0
; COMPUTE_PGM_RSRC2:TGID_X_EN: 1
; COMPUTE_PGM_RSRC2:TGID_Y_EN: 0
; COMPUTE_PGM_RSRC2:TGID_Z_EN: 0
; COMPUTE_PGM_RSRC2:TIDIG_COMP_CNT: 0
	.section	.text._ZN7rocprim17ROCPRIM_400000_NS6detail17trampoline_kernelINS0_14default_configENS1_27scan_by_key_config_selectorIixEEZZNS1_16scan_by_key_implILNS1_25lookback_scan_determinismE0ELb1ES3_N6thrust23THRUST_200600_302600_NS6detail15normal_iteratorINS9_10device_ptrIiEEEENSB_INSC_IxEEEESG_xNS9_4plusIvEENS9_8equal_toIvEExEE10hipError_tPvRmT2_T3_T4_T5_mT6_T7_P12ihipStream_tbENKUlT_T0_E_clISt17integral_constantIbLb0EES10_IbLb1EEEEDaSW_SX_EUlSW_E_NS1_11comp_targetILNS1_3genE9ELNS1_11target_archE1100ELNS1_3gpuE3ELNS1_3repE0EEENS1_30default_config_static_selectorELNS0_4arch9wavefront6targetE0EEEvT1_,"axG",@progbits,_ZN7rocprim17ROCPRIM_400000_NS6detail17trampoline_kernelINS0_14default_configENS1_27scan_by_key_config_selectorIixEEZZNS1_16scan_by_key_implILNS1_25lookback_scan_determinismE0ELb1ES3_N6thrust23THRUST_200600_302600_NS6detail15normal_iteratorINS9_10device_ptrIiEEEENSB_INSC_IxEEEESG_xNS9_4plusIvEENS9_8equal_toIvEExEE10hipError_tPvRmT2_T3_T4_T5_mT6_T7_P12ihipStream_tbENKUlT_T0_E_clISt17integral_constantIbLb0EES10_IbLb1EEEEDaSW_SX_EUlSW_E_NS1_11comp_targetILNS1_3genE9ELNS1_11target_archE1100ELNS1_3gpuE3ELNS1_3repE0EEENS1_30default_config_static_selectorELNS0_4arch9wavefront6targetE0EEEvT1_,comdat
	.protected	_ZN7rocprim17ROCPRIM_400000_NS6detail17trampoline_kernelINS0_14default_configENS1_27scan_by_key_config_selectorIixEEZZNS1_16scan_by_key_implILNS1_25lookback_scan_determinismE0ELb1ES3_N6thrust23THRUST_200600_302600_NS6detail15normal_iteratorINS9_10device_ptrIiEEEENSB_INSC_IxEEEESG_xNS9_4plusIvEENS9_8equal_toIvEExEE10hipError_tPvRmT2_T3_T4_T5_mT6_T7_P12ihipStream_tbENKUlT_T0_E_clISt17integral_constantIbLb0EES10_IbLb1EEEEDaSW_SX_EUlSW_E_NS1_11comp_targetILNS1_3genE9ELNS1_11target_archE1100ELNS1_3gpuE3ELNS1_3repE0EEENS1_30default_config_static_selectorELNS0_4arch9wavefront6targetE0EEEvT1_ ; -- Begin function _ZN7rocprim17ROCPRIM_400000_NS6detail17trampoline_kernelINS0_14default_configENS1_27scan_by_key_config_selectorIixEEZZNS1_16scan_by_key_implILNS1_25lookback_scan_determinismE0ELb1ES3_N6thrust23THRUST_200600_302600_NS6detail15normal_iteratorINS9_10device_ptrIiEEEENSB_INSC_IxEEEESG_xNS9_4plusIvEENS9_8equal_toIvEExEE10hipError_tPvRmT2_T3_T4_T5_mT6_T7_P12ihipStream_tbENKUlT_T0_E_clISt17integral_constantIbLb0EES10_IbLb1EEEEDaSW_SX_EUlSW_E_NS1_11comp_targetILNS1_3genE9ELNS1_11target_archE1100ELNS1_3gpuE3ELNS1_3repE0EEENS1_30default_config_static_selectorELNS0_4arch9wavefront6targetE0EEEvT1_
	.globl	_ZN7rocprim17ROCPRIM_400000_NS6detail17trampoline_kernelINS0_14default_configENS1_27scan_by_key_config_selectorIixEEZZNS1_16scan_by_key_implILNS1_25lookback_scan_determinismE0ELb1ES3_N6thrust23THRUST_200600_302600_NS6detail15normal_iteratorINS9_10device_ptrIiEEEENSB_INSC_IxEEEESG_xNS9_4plusIvEENS9_8equal_toIvEExEE10hipError_tPvRmT2_T3_T4_T5_mT6_T7_P12ihipStream_tbENKUlT_T0_E_clISt17integral_constantIbLb0EES10_IbLb1EEEEDaSW_SX_EUlSW_E_NS1_11comp_targetILNS1_3genE9ELNS1_11target_archE1100ELNS1_3gpuE3ELNS1_3repE0EEENS1_30default_config_static_selectorELNS0_4arch9wavefront6targetE0EEEvT1_
	.p2align	8
	.type	_ZN7rocprim17ROCPRIM_400000_NS6detail17trampoline_kernelINS0_14default_configENS1_27scan_by_key_config_selectorIixEEZZNS1_16scan_by_key_implILNS1_25lookback_scan_determinismE0ELb1ES3_N6thrust23THRUST_200600_302600_NS6detail15normal_iteratorINS9_10device_ptrIiEEEENSB_INSC_IxEEEESG_xNS9_4plusIvEENS9_8equal_toIvEExEE10hipError_tPvRmT2_T3_T4_T5_mT6_T7_P12ihipStream_tbENKUlT_T0_E_clISt17integral_constantIbLb0EES10_IbLb1EEEEDaSW_SX_EUlSW_E_NS1_11comp_targetILNS1_3genE9ELNS1_11target_archE1100ELNS1_3gpuE3ELNS1_3repE0EEENS1_30default_config_static_selectorELNS0_4arch9wavefront6targetE0EEEvT1_,@function
_ZN7rocprim17ROCPRIM_400000_NS6detail17trampoline_kernelINS0_14default_configENS1_27scan_by_key_config_selectorIixEEZZNS1_16scan_by_key_implILNS1_25lookback_scan_determinismE0ELb1ES3_N6thrust23THRUST_200600_302600_NS6detail15normal_iteratorINS9_10device_ptrIiEEEENSB_INSC_IxEEEESG_xNS9_4plusIvEENS9_8equal_toIvEExEE10hipError_tPvRmT2_T3_T4_T5_mT6_T7_P12ihipStream_tbENKUlT_T0_E_clISt17integral_constantIbLb0EES10_IbLb1EEEEDaSW_SX_EUlSW_E_NS1_11comp_targetILNS1_3genE9ELNS1_11target_archE1100ELNS1_3gpuE3ELNS1_3repE0EEENS1_30default_config_static_selectorELNS0_4arch9wavefront6targetE0EEEvT1_: ; @_ZN7rocprim17ROCPRIM_400000_NS6detail17trampoline_kernelINS0_14default_configENS1_27scan_by_key_config_selectorIixEEZZNS1_16scan_by_key_implILNS1_25lookback_scan_determinismE0ELb1ES3_N6thrust23THRUST_200600_302600_NS6detail15normal_iteratorINS9_10device_ptrIiEEEENSB_INSC_IxEEEESG_xNS9_4plusIvEENS9_8equal_toIvEExEE10hipError_tPvRmT2_T3_T4_T5_mT6_T7_P12ihipStream_tbENKUlT_T0_E_clISt17integral_constantIbLb0EES10_IbLb1EEEEDaSW_SX_EUlSW_E_NS1_11comp_targetILNS1_3genE9ELNS1_11target_archE1100ELNS1_3gpuE3ELNS1_3repE0EEENS1_30default_config_static_selectorELNS0_4arch9wavefront6targetE0EEEvT1_
; %bb.0:
	.section	.rodata,"a",@progbits
	.p2align	6, 0x0
	.amdhsa_kernel _ZN7rocprim17ROCPRIM_400000_NS6detail17trampoline_kernelINS0_14default_configENS1_27scan_by_key_config_selectorIixEEZZNS1_16scan_by_key_implILNS1_25lookback_scan_determinismE0ELb1ES3_N6thrust23THRUST_200600_302600_NS6detail15normal_iteratorINS9_10device_ptrIiEEEENSB_INSC_IxEEEESG_xNS9_4plusIvEENS9_8equal_toIvEExEE10hipError_tPvRmT2_T3_T4_T5_mT6_T7_P12ihipStream_tbENKUlT_T0_E_clISt17integral_constantIbLb0EES10_IbLb1EEEEDaSW_SX_EUlSW_E_NS1_11comp_targetILNS1_3genE9ELNS1_11target_archE1100ELNS1_3gpuE3ELNS1_3repE0EEENS1_30default_config_static_selectorELNS0_4arch9wavefront6targetE0EEEvT1_
		.amdhsa_group_segment_fixed_size 0
		.amdhsa_private_segment_fixed_size 0
		.amdhsa_kernarg_size 136
		.amdhsa_user_sgpr_count 6
		.amdhsa_user_sgpr_private_segment_buffer 1
		.amdhsa_user_sgpr_dispatch_ptr 0
		.amdhsa_user_sgpr_queue_ptr 0
		.amdhsa_user_sgpr_kernarg_segment_ptr 1
		.amdhsa_user_sgpr_dispatch_id 0
		.amdhsa_user_sgpr_flat_scratch_init 0
		.amdhsa_user_sgpr_private_segment_size 0
		.amdhsa_wavefront_size32 1
		.amdhsa_uses_dynamic_stack 0
		.amdhsa_system_sgpr_private_segment_wavefront_offset 0
		.amdhsa_system_sgpr_workgroup_id_x 1
		.amdhsa_system_sgpr_workgroup_id_y 0
		.amdhsa_system_sgpr_workgroup_id_z 0
		.amdhsa_system_sgpr_workgroup_info 0
		.amdhsa_system_vgpr_workitem_id 0
		.amdhsa_next_free_vgpr 1
		.amdhsa_next_free_sgpr 1
		.amdhsa_reserve_vcc 0
		.amdhsa_reserve_flat_scratch 0
		.amdhsa_float_round_mode_32 0
		.amdhsa_float_round_mode_16_64 0
		.amdhsa_float_denorm_mode_32 3
		.amdhsa_float_denorm_mode_16_64 3
		.amdhsa_dx10_clamp 1
		.amdhsa_ieee_mode 1
		.amdhsa_fp16_overflow 0
		.amdhsa_workgroup_processor_mode 1
		.amdhsa_memory_ordered 1
		.amdhsa_forward_progress 1
		.amdhsa_shared_vgpr_count 0
		.amdhsa_exception_fp_ieee_invalid_op 0
		.amdhsa_exception_fp_denorm_src 0
		.amdhsa_exception_fp_ieee_div_zero 0
		.amdhsa_exception_fp_ieee_overflow 0
		.amdhsa_exception_fp_ieee_underflow 0
		.amdhsa_exception_fp_ieee_inexact 0
		.amdhsa_exception_int_div_zero 0
	.end_amdhsa_kernel
	.section	.text._ZN7rocprim17ROCPRIM_400000_NS6detail17trampoline_kernelINS0_14default_configENS1_27scan_by_key_config_selectorIixEEZZNS1_16scan_by_key_implILNS1_25lookback_scan_determinismE0ELb1ES3_N6thrust23THRUST_200600_302600_NS6detail15normal_iteratorINS9_10device_ptrIiEEEENSB_INSC_IxEEEESG_xNS9_4plusIvEENS9_8equal_toIvEExEE10hipError_tPvRmT2_T3_T4_T5_mT6_T7_P12ihipStream_tbENKUlT_T0_E_clISt17integral_constantIbLb0EES10_IbLb1EEEEDaSW_SX_EUlSW_E_NS1_11comp_targetILNS1_3genE9ELNS1_11target_archE1100ELNS1_3gpuE3ELNS1_3repE0EEENS1_30default_config_static_selectorELNS0_4arch9wavefront6targetE0EEEvT1_,"axG",@progbits,_ZN7rocprim17ROCPRIM_400000_NS6detail17trampoline_kernelINS0_14default_configENS1_27scan_by_key_config_selectorIixEEZZNS1_16scan_by_key_implILNS1_25lookback_scan_determinismE0ELb1ES3_N6thrust23THRUST_200600_302600_NS6detail15normal_iteratorINS9_10device_ptrIiEEEENSB_INSC_IxEEEESG_xNS9_4plusIvEENS9_8equal_toIvEExEE10hipError_tPvRmT2_T3_T4_T5_mT6_T7_P12ihipStream_tbENKUlT_T0_E_clISt17integral_constantIbLb0EES10_IbLb1EEEEDaSW_SX_EUlSW_E_NS1_11comp_targetILNS1_3genE9ELNS1_11target_archE1100ELNS1_3gpuE3ELNS1_3repE0EEENS1_30default_config_static_selectorELNS0_4arch9wavefront6targetE0EEEvT1_,comdat
.Lfunc_end1605:
	.size	_ZN7rocprim17ROCPRIM_400000_NS6detail17trampoline_kernelINS0_14default_configENS1_27scan_by_key_config_selectorIixEEZZNS1_16scan_by_key_implILNS1_25lookback_scan_determinismE0ELb1ES3_N6thrust23THRUST_200600_302600_NS6detail15normal_iteratorINS9_10device_ptrIiEEEENSB_INSC_IxEEEESG_xNS9_4plusIvEENS9_8equal_toIvEExEE10hipError_tPvRmT2_T3_T4_T5_mT6_T7_P12ihipStream_tbENKUlT_T0_E_clISt17integral_constantIbLb0EES10_IbLb1EEEEDaSW_SX_EUlSW_E_NS1_11comp_targetILNS1_3genE9ELNS1_11target_archE1100ELNS1_3gpuE3ELNS1_3repE0EEENS1_30default_config_static_selectorELNS0_4arch9wavefront6targetE0EEEvT1_, .Lfunc_end1605-_ZN7rocprim17ROCPRIM_400000_NS6detail17trampoline_kernelINS0_14default_configENS1_27scan_by_key_config_selectorIixEEZZNS1_16scan_by_key_implILNS1_25lookback_scan_determinismE0ELb1ES3_N6thrust23THRUST_200600_302600_NS6detail15normal_iteratorINS9_10device_ptrIiEEEENSB_INSC_IxEEEESG_xNS9_4plusIvEENS9_8equal_toIvEExEE10hipError_tPvRmT2_T3_T4_T5_mT6_T7_P12ihipStream_tbENKUlT_T0_E_clISt17integral_constantIbLb0EES10_IbLb1EEEEDaSW_SX_EUlSW_E_NS1_11comp_targetILNS1_3genE9ELNS1_11target_archE1100ELNS1_3gpuE3ELNS1_3repE0EEENS1_30default_config_static_selectorELNS0_4arch9wavefront6targetE0EEEvT1_
                                        ; -- End function
	.set _ZN7rocprim17ROCPRIM_400000_NS6detail17trampoline_kernelINS0_14default_configENS1_27scan_by_key_config_selectorIixEEZZNS1_16scan_by_key_implILNS1_25lookback_scan_determinismE0ELb1ES3_N6thrust23THRUST_200600_302600_NS6detail15normal_iteratorINS9_10device_ptrIiEEEENSB_INSC_IxEEEESG_xNS9_4plusIvEENS9_8equal_toIvEExEE10hipError_tPvRmT2_T3_T4_T5_mT6_T7_P12ihipStream_tbENKUlT_T0_E_clISt17integral_constantIbLb0EES10_IbLb1EEEEDaSW_SX_EUlSW_E_NS1_11comp_targetILNS1_3genE9ELNS1_11target_archE1100ELNS1_3gpuE3ELNS1_3repE0EEENS1_30default_config_static_selectorELNS0_4arch9wavefront6targetE0EEEvT1_.num_vgpr, 0
	.set _ZN7rocprim17ROCPRIM_400000_NS6detail17trampoline_kernelINS0_14default_configENS1_27scan_by_key_config_selectorIixEEZZNS1_16scan_by_key_implILNS1_25lookback_scan_determinismE0ELb1ES3_N6thrust23THRUST_200600_302600_NS6detail15normal_iteratorINS9_10device_ptrIiEEEENSB_INSC_IxEEEESG_xNS9_4plusIvEENS9_8equal_toIvEExEE10hipError_tPvRmT2_T3_T4_T5_mT6_T7_P12ihipStream_tbENKUlT_T0_E_clISt17integral_constantIbLb0EES10_IbLb1EEEEDaSW_SX_EUlSW_E_NS1_11comp_targetILNS1_3genE9ELNS1_11target_archE1100ELNS1_3gpuE3ELNS1_3repE0EEENS1_30default_config_static_selectorELNS0_4arch9wavefront6targetE0EEEvT1_.num_agpr, 0
	.set _ZN7rocprim17ROCPRIM_400000_NS6detail17trampoline_kernelINS0_14default_configENS1_27scan_by_key_config_selectorIixEEZZNS1_16scan_by_key_implILNS1_25lookback_scan_determinismE0ELb1ES3_N6thrust23THRUST_200600_302600_NS6detail15normal_iteratorINS9_10device_ptrIiEEEENSB_INSC_IxEEEESG_xNS9_4plusIvEENS9_8equal_toIvEExEE10hipError_tPvRmT2_T3_T4_T5_mT6_T7_P12ihipStream_tbENKUlT_T0_E_clISt17integral_constantIbLb0EES10_IbLb1EEEEDaSW_SX_EUlSW_E_NS1_11comp_targetILNS1_3genE9ELNS1_11target_archE1100ELNS1_3gpuE3ELNS1_3repE0EEENS1_30default_config_static_selectorELNS0_4arch9wavefront6targetE0EEEvT1_.numbered_sgpr, 0
	.set _ZN7rocprim17ROCPRIM_400000_NS6detail17trampoline_kernelINS0_14default_configENS1_27scan_by_key_config_selectorIixEEZZNS1_16scan_by_key_implILNS1_25lookback_scan_determinismE0ELb1ES3_N6thrust23THRUST_200600_302600_NS6detail15normal_iteratorINS9_10device_ptrIiEEEENSB_INSC_IxEEEESG_xNS9_4plusIvEENS9_8equal_toIvEExEE10hipError_tPvRmT2_T3_T4_T5_mT6_T7_P12ihipStream_tbENKUlT_T0_E_clISt17integral_constantIbLb0EES10_IbLb1EEEEDaSW_SX_EUlSW_E_NS1_11comp_targetILNS1_3genE9ELNS1_11target_archE1100ELNS1_3gpuE3ELNS1_3repE0EEENS1_30default_config_static_selectorELNS0_4arch9wavefront6targetE0EEEvT1_.num_named_barrier, 0
	.set _ZN7rocprim17ROCPRIM_400000_NS6detail17trampoline_kernelINS0_14default_configENS1_27scan_by_key_config_selectorIixEEZZNS1_16scan_by_key_implILNS1_25lookback_scan_determinismE0ELb1ES3_N6thrust23THRUST_200600_302600_NS6detail15normal_iteratorINS9_10device_ptrIiEEEENSB_INSC_IxEEEESG_xNS9_4plusIvEENS9_8equal_toIvEExEE10hipError_tPvRmT2_T3_T4_T5_mT6_T7_P12ihipStream_tbENKUlT_T0_E_clISt17integral_constantIbLb0EES10_IbLb1EEEEDaSW_SX_EUlSW_E_NS1_11comp_targetILNS1_3genE9ELNS1_11target_archE1100ELNS1_3gpuE3ELNS1_3repE0EEENS1_30default_config_static_selectorELNS0_4arch9wavefront6targetE0EEEvT1_.private_seg_size, 0
	.set _ZN7rocprim17ROCPRIM_400000_NS6detail17trampoline_kernelINS0_14default_configENS1_27scan_by_key_config_selectorIixEEZZNS1_16scan_by_key_implILNS1_25lookback_scan_determinismE0ELb1ES3_N6thrust23THRUST_200600_302600_NS6detail15normal_iteratorINS9_10device_ptrIiEEEENSB_INSC_IxEEEESG_xNS9_4plusIvEENS9_8equal_toIvEExEE10hipError_tPvRmT2_T3_T4_T5_mT6_T7_P12ihipStream_tbENKUlT_T0_E_clISt17integral_constantIbLb0EES10_IbLb1EEEEDaSW_SX_EUlSW_E_NS1_11comp_targetILNS1_3genE9ELNS1_11target_archE1100ELNS1_3gpuE3ELNS1_3repE0EEENS1_30default_config_static_selectorELNS0_4arch9wavefront6targetE0EEEvT1_.uses_vcc, 0
	.set _ZN7rocprim17ROCPRIM_400000_NS6detail17trampoline_kernelINS0_14default_configENS1_27scan_by_key_config_selectorIixEEZZNS1_16scan_by_key_implILNS1_25lookback_scan_determinismE0ELb1ES3_N6thrust23THRUST_200600_302600_NS6detail15normal_iteratorINS9_10device_ptrIiEEEENSB_INSC_IxEEEESG_xNS9_4plusIvEENS9_8equal_toIvEExEE10hipError_tPvRmT2_T3_T4_T5_mT6_T7_P12ihipStream_tbENKUlT_T0_E_clISt17integral_constantIbLb0EES10_IbLb1EEEEDaSW_SX_EUlSW_E_NS1_11comp_targetILNS1_3genE9ELNS1_11target_archE1100ELNS1_3gpuE3ELNS1_3repE0EEENS1_30default_config_static_selectorELNS0_4arch9wavefront6targetE0EEEvT1_.uses_flat_scratch, 0
	.set _ZN7rocprim17ROCPRIM_400000_NS6detail17trampoline_kernelINS0_14default_configENS1_27scan_by_key_config_selectorIixEEZZNS1_16scan_by_key_implILNS1_25lookback_scan_determinismE0ELb1ES3_N6thrust23THRUST_200600_302600_NS6detail15normal_iteratorINS9_10device_ptrIiEEEENSB_INSC_IxEEEESG_xNS9_4plusIvEENS9_8equal_toIvEExEE10hipError_tPvRmT2_T3_T4_T5_mT6_T7_P12ihipStream_tbENKUlT_T0_E_clISt17integral_constantIbLb0EES10_IbLb1EEEEDaSW_SX_EUlSW_E_NS1_11comp_targetILNS1_3genE9ELNS1_11target_archE1100ELNS1_3gpuE3ELNS1_3repE0EEENS1_30default_config_static_selectorELNS0_4arch9wavefront6targetE0EEEvT1_.has_dyn_sized_stack, 0
	.set _ZN7rocprim17ROCPRIM_400000_NS6detail17trampoline_kernelINS0_14default_configENS1_27scan_by_key_config_selectorIixEEZZNS1_16scan_by_key_implILNS1_25lookback_scan_determinismE0ELb1ES3_N6thrust23THRUST_200600_302600_NS6detail15normal_iteratorINS9_10device_ptrIiEEEENSB_INSC_IxEEEESG_xNS9_4plusIvEENS9_8equal_toIvEExEE10hipError_tPvRmT2_T3_T4_T5_mT6_T7_P12ihipStream_tbENKUlT_T0_E_clISt17integral_constantIbLb0EES10_IbLb1EEEEDaSW_SX_EUlSW_E_NS1_11comp_targetILNS1_3genE9ELNS1_11target_archE1100ELNS1_3gpuE3ELNS1_3repE0EEENS1_30default_config_static_selectorELNS0_4arch9wavefront6targetE0EEEvT1_.has_recursion, 0
	.set _ZN7rocprim17ROCPRIM_400000_NS6detail17trampoline_kernelINS0_14default_configENS1_27scan_by_key_config_selectorIixEEZZNS1_16scan_by_key_implILNS1_25lookback_scan_determinismE0ELb1ES3_N6thrust23THRUST_200600_302600_NS6detail15normal_iteratorINS9_10device_ptrIiEEEENSB_INSC_IxEEEESG_xNS9_4plusIvEENS9_8equal_toIvEExEE10hipError_tPvRmT2_T3_T4_T5_mT6_T7_P12ihipStream_tbENKUlT_T0_E_clISt17integral_constantIbLb0EES10_IbLb1EEEEDaSW_SX_EUlSW_E_NS1_11comp_targetILNS1_3genE9ELNS1_11target_archE1100ELNS1_3gpuE3ELNS1_3repE0EEENS1_30default_config_static_selectorELNS0_4arch9wavefront6targetE0EEEvT1_.has_indirect_call, 0
	.section	.AMDGPU.csdata,"",@progbits
; Kernel info:
; codeLenInByte = 0
; TotalNumSgprs: 0
; NumVgprs: 0
; ScratchSize: 0
; MemoryBound: 0
; FloatMode: 240
; IeeeMode: 1
; LDSByteSize: 0 bytes/workgroup (compile time only)
; SGPRBlocks: 0
; VGPRBlocks: 0
; NumSGPRsForWavesPerEU: 1
; NumVGPRsForWavesPerEU: 1
; Occupancy: 16
; WaveLimiterHint : 0
; COMPUTE_PGM_RSRC2:SCRATCH_EN: 0
; COMPUTE_PGM_RSRC2:USER_SGPR: 6
; COMPUTE_PGM_RSRC2:TRAP_HANDLER: 0
; COMPUTE_PGM_RSRC2:TGID_X_EN: 1
; COMPUTE_PGM_RSRC2:TGID_Y_EN: 0
; COMPUTE_PGM_RSRC2:TGID_Z_EN: 0
; COMPUTE_PGM_RSRC2:TIDIG_COMP_CNT: 0
	.section	.text._ZN7rocprim17ROCPRIM_400000_NS6detail17trampoline_kernelINS0_14default_configENS1_27scan_by_key_config_selectorIixEEZZNS1_16scan_by_key_implILNS1_25lookback_scan_determinismE0ELb1ES3_N6thrust23THRUST_200600_302600_NS6detail15normal_iteratorINS9_10device_ptrIiEEEENSB_INSC_IxEEEESG_xNS9_4plusIvEENS9_8equal_toIvEExEE10hipError_tPvRmT2_T3_T4_T5_mT6_T7_P12ihipStream_tbENKUlT_T0_E_clISt17integral_constantIbLb0EES10_IbLb1EEEEDaSW_SX_EUlSW_E_NS1_11comp_targetILNS1_3genE8ELNS1_11target_archE1030ELNS1_3gpuE2ELNS1_3repE0EEENS1_30default_config_static_selectorELNS0_4arch9wavefront6targetE0EEEvT1_,"axG",@progbits,_ZN7rocprim17ROCPRIM_400000_NS6detail17trampoline_kernelINS0_14default_configENS1_27scan_by_key_config_selectorIixEEZZNS1_16scan_by_key_implILNS1_25lookback_scan_determinismE0ELb1ES3_N6thrust23THRUST_200600_302600_NS6detail15normal_iteratorINS9_10device_ptrIiEEEENSB_INSC_IxEEEESG_xNS9_4plusIvEENS9_8equal_toIvEExEE10hipError_tPvRmT2_T3_T4_T5_mT6_T7_P12ihipStream_tbENKUlT_T0_E_clISt17integral_constantIbLb0EES10_IbLb1EEEEDaSW_SX_EUlSW_E_NS1_11comp_targetILNS1_3genE8ELNS1_11target_archE1030ELNS1_3gpuE2ELNS1_3repE0EEENS1_30default_config_static_selectorELNS0_4arch9wavefront6targetE0EEEvT1_,comdat
	.protected	_ZN7rocprim17ROCPRIM_400000_NS6detail17trampoline_kernelINS0_14default_configENS1_27scan_by_key_config_selectorIixEEZZNS1_16scan_by_key_implILNS1_25lookback_scan_determinismE0ELb1ES3_N6thrust23THRUST_200600_302600_NS6detail15normal_iteratorINS9_10device_ptrIiEEEENSB_INSC_IxEEEESG_xNS9_4plusIvEENS9_8equal_toIvEExEE10hipError_tPvRmT2_T3_T4_T5_mT6_T7_P12ihipStream_tbENKUlT_T0_E_clISt17integral_constantIbLb0EES10_IbLb1EEEEDaSW_SX_EUlSW_E_NS1_11comp_targetILNS1_3genE8ELNS1_11target_archE1030ELNS1_3gpuE2ELNS1_3repE0EEENS1_30default_config_static_selectorELNS0_4arch9wavefront6targetE0EEEvT1_ ; -- Begin function _ZN7rocprim17ROCPRIM_400000_NS6detail17trampoline_kernelINS0_14default_configENS1_27scan_by_key_config_selectorIixEEZZNS1_16scan_by_key_implILNS1_25lookback_scan_determinismE0ELb1ES3_N6thrust23THRUST_200600_302600_NS6detail15normal_iteratorINS9_10device_ptrIiEEEENSB_INSC_IxEEEESG_xNS9_4plusIvEENS9_8equal_toIvEExEE10hipError_tPvRmT2_T3_T4_T5_mT6_T7_P12ihipStream_tbENKUlT_T0_E_clISt17integral_constantIbLb0EES10_IbLb1EEEEDaSW_SX_EUlSW_E_NS1_11comp_targetILNS1_3genE8ELNS1_11target_archE1030ELNS1_3gpuE2ELNS1_3repE0EEENS1_30default_config_static_selectorELNS0_4arch9wavefront6targetE0EEEvT1_
	.globl	_ZN7rocprim17ROCPRIM_400000_NS6detail17trampoline_kernelINS0_14default_configENS1_27scan_by_key_config_selectorIixEEZZNS1_16scan_by_key_implILNS1_25lookback_scan_determinismE0ELb1ES3_N6thrust23THRUST_200600_302600_NS6detail15normal_iteratorINS9_10device_ptrIiEEEENSB_INSC_IxEEEESG_xNS9_4plusIvEENS9_8equal_toIvEExEE10hipError_tPvRmT2_T3_T4_T5_mT6_T7_P12ihipStream_tbENKUlT_T0_E_clISt17integral_constantIbLb0EES10_IbLb1EEEEDaSW_SX_EUlSW_E_NS1_11comp_targetILNS1_3genE8ELNS1_11target_archE1030ELNS1_3gpuE2ELNS1_3repE0EEENS1_30default_config_static_selectorELNS0_4arch9wavefront6targetE0EEEvT1_
	.p2align	8
	.type	_ZN7rocprim17ROCPRIM_400000_NS6detail17trampoline_kernelINS0_14default_configENS1_27scan_by_key_config_selectorIixEEZZNS1_16scan_by_key_implILNS1_25lookback_scan_determinismE0ELb1ES3_N6thrust23THRUST_200600_302600_NS6detail15normal_iteratorINS9_10device_ptrIiEEEENSB_INSC_IxEEEESG_xNS9_4plusIvEENS9_8equal_toIvEExEE10hipError_tPvRmT2_T3_T4_T5_mT6_T7_P12ihipStream_tbENKUlT_T0_E_clISt17integral_constantIbLb0EES10_IbLb1EEEEDaSW_SX_EUlSW_E_NS1_11comp_targetILNS1_3genE8ELNS1_11target_archE1030ELNS1_3gpuE2ELNS1_3repE0EEENS1_30default_config_static_selectorELNS0_4arch9wavefront6targetE0EEEvT1_,@function
_ZN7rocprim17ROCPRIM_400000_NS6detail17trampoline_kernelINS0_14default_configENS1_27scan_by_key_config_selectorIixEEZZNS1_16scan_by_key_implILNS1_25lookback_scan_determinismE0ELb1ES3_N6thrust23THRUST_200600_302600_NS6detail15normal_iteratorINS9_10device_ptrIiEEEENSB_INSC_IxEEEESG_xNS9_4plusIvEENS9_8equal_toIvEExEE10hipError_tPvRmT2_T3_T4_T5_mT6_T7_P12ihipStream_tbENKUlT_T0_E_clISt17integral_constantIbLb0EES10_IbLb1EEEEDaSW_SX_EUlSW_E_NS1_11comp_targetILNS1_3genE8ELNS1_11target_archE1030ELNS1_3gpuE2ELNS1_3repE0EEENS1_30default_config_static_selectorELNS0_4arch9wavefront6targetE0EEEvT1_: ; @_ZN7rocprim17ROCPRIM_400000_NS6detail17trampoline_kernelINS0_14default_configENS1_27scan_by_key_config_selectorIixEEZZNS1_16scan_by_key_implILNS1_25lookback_scan_determinismE0ELb1ES3_N6thrust23THRUST_200600_302600_NS6detail15normal_iteratorINS9_10device_ptrIiEEEENSB_INSC_IxEEEESG_xNS9_4plusIvEENS9_8equal_toIvEExEE10hipError_tPvRmT2_T3_T4_T5_mT6_T7_P12ihipStream_tbENKUlT_T0_E_clISt17integral_constantIbLb0EES10_IbLb1EEEEDaSW_SX_EUlSW_E_NS1_11comp_targetILNS1_3genE8ELNS1_11target_archE1030ELNS1_3gpuE2ELNS1_3repE0EEENS1_30default_config_static_selectorELNS0_4arch9wavefront6targetE0EEEvT1_
; %bb.0:
	s_clause 0x3
	s_load_dwordx8 s[16:23], s[4:5], 0x0
	s_load_dwordx2 s[28:29], s[4:5], 0x20
	s_load_dwordx8 s[8:15], s[4:5], 0x30
	s_load_dwordx2 s[30:31], s[4:5], 0x50
	v_cmp_ne_u32_e64 s2, 0, v0
	v_cmp_eq_u32_e64 s0, 0, v0
	s_and_saveexec_b32 s1, s0
	s_cbranch_execz .LBB1606_4
; %bb.1:
	s_mov_b32 s6, exec_lo
	s_mov_b32 s3, exec_lo
	v_mbcnt_lo_u32_b32 v1, s6, 0
                                        ; implicit-def: $vgpr2
	v_cmpx_eq_u32_e32 0, v1
	s_cbranch_execz .LBB1606_3
; %bb.2:
	s_load_dwordx2 s[24:25], s[4:5], 0x80
	s_bcnt1_i32_b32 s6, s6
	v_mov_b32_e32 v2, 0
	v_mov_b32_e32 v3, s6
	s_waitcnt lgkmcnt(0)
	global_atomic_add v2, v2, v3, s[24:25] glc
.LBB1606_3:
	s_or_b32 exec_lo, exec_lo, s3
	s_waitcnt vmcnt(0)
	v_readfirstlane_b32 s3, v2
	v_mov_b32_e32 v2, 0
	v_add_nc_u32_e32 v1, s3, v1
	ds_write_b32 v2, v1
.LBB1606_4:
	s_or_b32 exec_lo, exec_lo, s1
	v_mov_b32_e32 v1, 0
	s_clause 0x1
	s_load_dword s1, s[4:5], 0x58
	s_load_dwordx4 s[24:27], s[4:5], 0x60
	s_waitcnt lgkmcnt(0)
	s_barrier
	buffer_gl0_inv
	ds_read_b32 v1, v1
	s_lshl_b64 s[4:5], s[18:19], 2
	s_waitcnt lgkmcnt(0)
	s_add_u32 s34, s16, s4
	s_addc_u32 s35, s17, s5
	s_lshl_b64 s[16:17], s[18:19], 3
	s_mov_b32 s5, 0
	s_add_u32 s20, s20, s16
	s_addc_u32 s21, s21, s17
	s_barrier
	buffer_gl0_inv
	s_barrier
	buffer_gl0_inv
	s_mul_i32 s3, s31, s1
	s_mul_hi_u32 s15, s30, s1
	s_mul_i32 s1, s30, s1
	s_add_i32 s15, s15, s3
	v_readfirstlane_b32 s33, v1
	v_add_co_u32 v1, s1, s1, v1
	v_add_co_ci_u32_e64 v2, null, s15, 0, s1
	s_mul_i32 s4, s33, 0x300
	s_lshl_b64 s[6:7], s[4:5], 2
	s_add_u32 s6, s34, s6
	s_addc_u32 s7, s35, s7
	s_lshl_b64 s[18:19], s[4:5], 3
	s_add_u32 s20, s20, s18
	s_addc_u32 s21, s21, s19
	s_add_u32 s24, s24, -1
	s_addc_u32 s25, s25, -1
	s_mul_i32 s15, s24, 0xfffffd00
	v_cmp_le_u64_e64 s1, s[24:25], v[1:2]
	s_and_b32 vcc_lo, exec_lo, s1
	s_cbranch_vccz .LBB1606_24
; %bb.5:
	v_mov_b32_e32 v1, s6
	v_mov_b32_e32 v2, s7
	s_add_i32 s24, s15, s14
	v_cmp_gt_u32_e64 s4, s24, v0
	flat_load_dword v1, v[1:2]
	s_waitcnt vmcnt(0) lgkmcnt(0)
	v_mov_b32_e32 v2, v1
	s_and_saveexec_b32 s3, s4
	s_cbranch_execz .LBB1606_7
; %bb.6:
	v_lshlrev_b32_e32 v2, 2, v0
	v_add_co_u32 v2, s5, s6, v2
	v_add_co_ci_u32_e64 v3, null, s7, 0, s5
	flat_load_dword v2, v[2:3]
.LBB1606_7:
	s_or_b32 exec_lo, exec_lo, s3
	v_or_b32_e32 v8, 0x100, v0
	v_mov_b32_e32 v3, v1
	v_cmp_gt_u32_e64 s3, s24, v8
	s_and_saveexec_b32 s5, s3
	s_cbranch_execz .LBB1606_9
; %bb.8:
	v_lshlrev_b32_e32 v3, 2, v0
	v_add_co_u32 v3, s25, s6, v3
	v_add_co_ci_u32_e64 v4, null, s7, 0, s25
	flat_load_dword v3, v[3:4] offset:1024
.LBB1606_9:
	s_or_b32 exec_lo, exec_lo, s5
	v_or_b32_e32 v7, 0x200, v0
	v_cmp_gt_u32_e32 vcc_lo, s24, v7
	s_and_saveexec_b32 s5, vcc_lo
	s_cbranch_execz .LBB1606_11
; %bb.10:
	v_lshlrev_b32_e32 v1, 2, v7
	v_add_co_u32 v4, s25, s6, v1
	v_add_co_ci_u32_e64 v5, null, s7, 0, s25
	flat_load_dword v1, v[4:5]
.LBB1606_11:
	s_or_b32 exec_lo, exec_lo, s5
	v_mov_b32_e32 v4, s6
	v_lshlrev_b32_e32 v9, 2, v0
	v_mov_b32_e32 v5, s7
	s_mov_b32 s25, exec_lo
	s_waitcnt vmcnt(0) lgkmcnt(0)
	ds_write2st64_b32 v9, v2, v3 offset1:4
	ds_write_b32 v9, v1 offset:2048
	s_waitcnt lgkmcnt(0)
	s_barrier
	buffer_gl0_inv
	flat_load_dword v14, v[4:5]
	v_lshl_add_u32 v1, v0, 3, v9
	ds_read_b32 v15, v1
	ds_read2_b32 v[11:12], v1 offset0:1 offset1:2
	s_waitcnt lgkmcnt(1)
	ds_write_b32 v9, v15 offset:4096
	s_waitcnt vmcnt(0) lgkmcnt(0)
	s_barrier
	buffer_gl0_inv
	v_cmpx_ne_u32_e32 0xff, v0
; %bb.12:
	ds_read_b32 v14, v9 offset:4100
; %bb.13:
	s_or_b32 exec_lo, exec_lo, s25
	v_mov_b32_e32 v1, 0
	s_waitcnt lgkmcnt(0)
	s_barrier
	buffer_gl0_inv
	v_mov_b32_e32 v2, v1
	v_mov_b32_e32 v3, v1
	;; [unrolled: 1-line block ×5, first 2 shown]
	s_and_saveexec_b32 s5, s4
	s_cbranch_execnz .LBB1606_140
; %bb.14:
	s_or_b32 exec_lo, exec_lo, s5
	s_and_saveexec_b32 s4, s3
	s_cbranch_execnz .LBB1606_141
.LBB1606_15:
	s_or_b32 exec_lo, exec_lo, s4
	v_mul_u32_u24_e32 v16, 3, v0
	s_and_saveexec_b32 s3, vcc_lo
	s_cbranch_execz .LBB1606_17
.LBB1606_16:
	v_lshlrev_b32_e32 v5, 3, v7
	v_add_co_u32 v5, s4, s20, v5
	v_add_co_ci_u32_e64 v6, null, s21, 0, s4
	flat_load_dwordx2 v[5:6], v[5:6]
.LBB1606_17:
	s_or_b32 exec_lo, exec_lo, s3
	v_lshl_add_u32 v18, v0, 2, v9
	v_mov_b32_e32 v9, 0
	v_mov_b32_e32 v7, 0
	;; [unrolled: 1-line block ×4, first 2 shown]
	s_waitcnt vmcnt(0) lgkmcnt(0)
	ds_write2st64_b64 v18, v[1:2], v[3:4] offset1:4
	ds_write_b64 v18, v[5:6] offset:4096
	v_mov_b32_e32 v5, 0
	v_mov_b32_e32 v1, 0
	v_mov_b32_e32 v6, 0
	v_mov_b32_e32 v3, 0
	v_mov_b32_e32 v8, 0
	v_mov_b32_e32 v19, 0
	v_mov_b32_e32 v2, 0
	v_mov_b32_e32 v17, 0
	s_mov_b32 s34, 0
	s_mov_b32 s5, 0
	s_mov_b32 s35, exec_lo
	s_waitcnt lgkmcnt(0)
	s_barrier
	buffer_gl0_inv
                                        ; implicit-def: $sgpr25
	v_cmpx_gt_u32_e64 s24, v16
	s_cbranch_execz .LBB1606_23
; %bb.18:
	v_lshlrev_b32_e32 v1, 4, v0
	v_cmp_ne_u32_e32 vcc_lo, v15, v11
	v_mov_b32_e32 v9, 0
	v_mov_b32_e32 v7, 0
	v_add_nc_u32_e32 v4, 1, v16
	v_add_nc_u32_e32 v1, v18, v1
	v_mov_b32_e32 v10, 0
	v_mov_b32_e32 v8, 0
	;; [unrolled: 1-line block ×3, first 2 shown]
	s_mov_b32 s4, 0
	ds_read_b64 v[2:3], v1
	s_mov_b32 s5, exec_lo
                                        ; implicit-def: $sgpr25
	s_waitcnt lgkmcnt(0)
	v_cndmask_b32_e64 v6, v3, s29, vcc_lo
	v_cndmask_b32_e64 v5, v2, s28, vcc_lo
	v_cmpx_gt_u32_e64 s24, v4
	s_cbranch_execz .LBB1606_22
; %bb.19:
	ds_read2_b64 v[1:4], v1 offset0:1 offset1:2
	v_cmp_ne_u32_e64 s3, v11, v12
	v_add_nc_u32_e32 v11, 2, v16
	v_mov_b32_e32 v7, 0
	v_mov_b32_e32 v8, 0
                                        ; implicit-def: $sgpr25
	v_cmp_gt_u32_e64 s4, s24, v11
	s_mov_b32 s24, 0
	s_waitcnt lgkmcnt(0)
	v_cndmask_b32_e64 v10, v2, s29, s3
	v_cndmask_b32_e64 v9, v1, s28, s3
	s_and_saveexec_b32 s36, s4
	s_xor_b32 s4, exec_lo, s36
; %bb.20:
	v_cmp_ne_u32_e64 s25, v12, v14
	s_mov_b32 s24, exec_lo
	v_cndmask_b32_e64 v8, v4, s29, s25
	v_cndmask_b32_e64 v7, v3, s28, s25
; %bb.21:
	s_or_b32 exec_lo, exec_lo, s4
	v_cndmask_b32_e64 v13, 0, 1, s3
	s_and_b32 s4, s24, exec_lo
.LBB1606_22:
	s_or_b32 exec_lo, exec_lo, s5
	v_cndmask_b32_e64 v3, 0, 1, vcc_lo
	v_mov_b32_e32 v1, v9
	v_mov_b32_e32 v19, v13
	;; [unrolled: 1-line block ×3, first 2 shown]
	s_and_b32 s5, s4, exec_lo
	v_mov_b32_e32 v17, v3
.LBB1606_23:
	s_or_b32 exec_lo, exec_lo, s35
	s_and_b32 vcc_lo, exec_lo, s34
	s_cbranch_vccnz .LBB1606_25
	s_branch .LBB1606_28
.LBB1606_24:
                                        ; implicit-def: $sgpr25
                                        ; implicit-def: $vgpr5_vgpr6
                                        ; implicit-def: $vgpr13
                                        ; implicit-def: $vgpr9_vgpr10
                                        ; implicit-def: $vgpr3
                                        ; implicit-def: $vgpr7_vgpr8
                                        ; implicit-def: $vgpr19
                                        ; implicit-def: $vgpr1_vgpr2
                                        ; implicit-def: $vgpr17
	s_cbranch_execz .LBB1606_28
.LBB1606_25:
	v_lshlrev_b32_e32 v3, 2, v0
	v_add_co_u32 v1, s3, s6, v3
	v_add_co_ci_u32_e64 v2, null, s7, 0, s3
	v_add_co_u32 v4, vcc_lo, 0x800, v1
	v_add_co_ci_u32_e64 v5, null, 0, v2, vcc_lo
	s_clause 0x2
	flat_load_dword v6, v[1:2]
	flat_load_dword v7, v[1:2] offset:1024
	flat_load_dword v4, v[4:5]
	v_add_co_u32 v1, s3, 0x800, s6
	v_add_co_ci_u32_e64 v2, null, 0, s7, s3
	s_mov_b32 s3, exec_lo
	s_waitcnt vmcnt(1) lgkmcnt(1)
	ds_write2st64_b32 v3, v6, v7 offset1:4
	s_waitcnt vmcnt(0) lgkmcnt(1)
	ds_write_b32 v3, v4 offset:2048
	s_waitcnt lgkmcnt(0)
	s_barrier
	buffer_gl0_inv
	flat_load_dword v4, v[1:2] offset:1024
	v_lshl_add_u32 v1, v0, 3, v3
	ds_read_b32 v5, v1
	ds_read2_b32 v[1:2], v1 offset0:1 offset1:2
	s_waitcnt lgkmcnt(1)
	ds_write_b32 v3, v5 offset:4096
	s_waitcnt vmcnt(0) lgkmcnt(0)
	s_barrier
	buffer_gl0_inv
	v_cmpx_ne_u32_e32 0xff, v0
; %bb.26:
	ds_read_b32 v4, v3 offset:4100
; %bb.27:
	s_or_b32 exec_lo, exec_lo, s3
	v_lshlrev_b32_e32 v6, 3, v0
	s_waitcnt lgkmcnt(0)
	s_barrier
	buffer_gl0_inv
	v_lshl_add_u32 v3, v0, 2, v3
	v_add_co_u32 v6, s3, s20, v6
	v_add_co_ci_u32_e64 v7, null, s21, 0, s3
	v_lshl_add_u32 v12, v0, 4, v3
	v_add_co_u32 v8, vcc_lo, 0x800, v6
	v_add_co_ci_u32_e64 v9, null, 0, v7, vcc_lo
	v_add_co_u32 v10, vcc_lo, 0x1000, v6
	v_add_co_ci_u32_e64 v11, null, 0, v7, vcc_lo
	s_clause 0x2
	flat_load_dwordx2 v[6:7], v[6:7]
	flat_load_dwordx2 v[8:9], v[8:9]
	;; [unrolled: 1-line block ×3, first 2 shown]
	v_cmp_ne_u32_e32 vcc_lo, v1, v2
	v_cmp_ne_u32_e64 s3, v5, v1
	v_cmp_ne_u32_e64 s25, v2, v4
	s_mov_b32 s5, -1
	s_waitcnt vmcnt(1) lgkmcnt(1)
	ds_write2st64_b64 v3, v[6:7], v[8:9] offset1:4
	s_waitcnt vmcnt(0) lgkmcnt(1)
	ds_write_b64 v3, v[10:11] offset:4096
	s_waitcnt lgkmcnt(0)
	s_barrier
	buffer_gl0_inv
	ds_read2_b64 v[7:10], v12 offset1:1
	ds_read_b64 v[11:12], v12 offset:16
	v_cndmask_b32_e64 v13, 0, 1, vcc_lo
	v_cndmask_b32_e64 v3, 0, 1, s3
	v_mov_b32_e32 v19, v13
	v_mov_b32_e32 v17, v3
	s_waitcnt lgkmcnt(1)
	v_cndmask_b32_e64 v9, v9, s28, vcc_lo
	v_cndmask_b32_e64 v10, v10, s29, vcc_lo
	v_cndmask_b32_e64 v6, v8, s29, s3
	v_cndmask_b32_e64 v5, v7, s28, s3
	s_waitcnt lgkmcnt(0)
	v_cndmask_b32_e64 v8, v12, s29, s25
	v_mov_b32_e32 v1, v9
	v_cndmask_b32_e64 v7, v11, s28, s25
	v_mov_b32_e32 v2, v10
.LBB1606_28:
	v_mov_b32_e32 v20, 0
	s_and_saveexec_b32 s3, s5
; %bb.29:
	v_mov_b32_e32 v1, v9
	v_cndmask_b32_e64 v20, 0, 1, s25
	v_mov_b32_e32 v17, v3
	v_mov_b32_e32 v2, v10
	;; [unrolled: 1-line block ×3, first 2 shown]
; %bb.30:
	s_or_b32 exec_lo, exec_lo, s3
	v_and_b32_e32 v22, 1, v17
	v_or_b32_e32 v21, v20, v19
	v_mbcnt_lo_u32_b32 v18, -1, 0
	s_cmp_lg_u32 s33, 0
	v_cmp_eq_u16_e32 vcc_lo, 0, v20
	v_cmp_eq_u32_e64 s4, 1, v22
	s_barrier
	buffer_gl0_inv
	s_cbranch_scc0 .LBB1606_88
; %bb.31:
	v_mov_b32_e32 v3, 0
	v_cmp_eq_u16_sdwa s3, v19, v3 src0_sel:BYTE_0 src1_sel:DWORD
	v_cmp_ne_u16_sdwa s6, v21, v3 src0_sel:BYTE_0 src1_sel:DWORD
	v_cndmask_b32_e64 v9, 0, v5, s3
	v_cndmask_b32_e64 v4, 0, v6, s3
	s_or_b32 s4, s6, s4
	v_cndmask_b32_e64 v11, 0, 1, s4
	v_add_co_u32 v9, s5, v9, v1
	v_add_co_ci_u32_e64 v3, null, v4, v2, s5
	v_cndmask_b32_e64 v4, 0, 1, s4
	v_cndmask_b32_e32 v9, 0, v9, vcc_lo
	s_mov_b32 s5, exec_lo
	v_cndmask_b32_e32 v3, 0, v3, vcc_lo
	v_mov_b32_dpp v14, v4 row_shr:1 row_mask:0xf bank_mask:0xf
	v_add_co_u32 v9, vcc_lo, v9, v7
	v_add_co_ci_u32_e64 v10, null, v3, v8, vcc_lo
	v_and_b32_e32 v3, 15, v18
	v_mov_b32_dpp v12, v9 row_shr:1 row_mask:0xf bank_mask:0xf
	v_mov_b32_dpp v13, v10 row_shr:1 row_mask:0xf bank_mask:0xf
	v_cmpx_ne_u32_e32 0, v3
	s_cbranch_execz .LBB1606_33
; %bb.32:
	v_and_b32_e32 v4, 1, v14
	v_cndmask_b32_e64 v12, v12, 0, s4
	v_cndmask_b32_e64 v13, v13, 0, s4
	v_or_b32_e32 v11, v4, v11
	v_add_co_u32 v9, vcc_lo, v12, v9
	v_add_co_ci_u32_e64 v10, null, v13, v10, vcc_lo
	v_and_b32_e32 v4, 0xffff, v11
.LBB1606_33:
	s_or_b32 exec_lo, exec_lo, s5
	v_mov_b32_dpp v12, v9 row_shr:2 row_mask:0xf bank_mask:0xf
	v_mov_b32_dpp v13, v10 row_shr:2 row_mask:0xf bank_mask:0xf
	v_mov_b32_dpp v14, v4 row_shr:2 row_mask:0xf bank_mask:0xf
	s_mov_b32 s6, exec_lo
	v_cmpx_lt_u32_e32 1, v3
	s_cbranch_execz .LBB1606_35
; %bb.34:
	v_cmp_eq_u16_e32 vcc_lo, 0, v11
	v_and_b32_e32 v4, 1, v11
	v_and_b32_e32 v11, 1, v14
	v_cndmask_b32_e32 v13, 0, v13, vcc_lo
	v_cndmask_b32_e32 v12, 0, v12, vcc_lo
	v_cmp_eq_u32_e32 vcc_lo, 1, v4
	v_cmp_eq_u32_e64 s4, 1, v11
	v_add_co_u32 v9, s5, v12, v9
	s_or_b32 s4, vcc_lo, s4
	v_add_co_ci_u32_e64 v10, null, v13, v10, s5
	v_cndmask_b32_e64 v11, 0, 1, s4
	v_cndmask_b32_e64 v4, 0, 1, s4
.LBB1606_35:
	s_or_b32 exec_lo, exec_lo, s6
	v_mov_b32_dpp v12, v9 row_shr:4 row_mask:0xf bank_mask:0xf
	v_mov_b32_dpp v13, v10 row_shr:4 row_mask:0xf bank_mask:0xf
	v_mov_b32_dpp v14, v4 row_shr:4 row_mask:0xf bank_mask:0xf
	s_mov_b32 s6, exec_lo
	v_cmpx_lt_u32_e32 3, v3
	s_cbranch_execz .LBB1606_37
; %bb.36:
	v_cmp_eq_u16_e32 vcc_lo, 0, v11
	v_and_b32_e32 v4, 1, v11
	v_and_b32_e32 v11, 1, v14
	v_cndmask_b32_e32 v13, 0, v13, vcc_lo
	v_cndmask_b32_e32 v12, 0, v12, vcc_lo
	v_cmp_eq_u32_e32 vcc_lo, 1, v4
	v_cmp_eq_u32_e64 s4, 1, v11
	v_add_co_u32 v9, s5, v12, v9
	s_or_b32 s4, vcc_lo, s4
	v_add_co_ci_u32_e64 v10, null, v13, v10, s5
	v_cndmask_b32_e64 v11, 0, 1, s4
	v_cndmask_b32_e64 v4, 0, 1, s4
.LBB1606_37:
	;; [unrolled: 21-line block ×3, first 2 shown]
	s_or_b32 exec_lo, exec_lo, s6
	ds_swizzle_b32 v3, v9 offset:swizzle(BROADCAST,32,15)
	ds_swizzle_b32 v12, v10 offset:swizzle(BROADCAST,32,15)
	;; [unrolled: 1-line block ×3, first 2 shown]
	v_and_b32_e32 v13, 16, v18
	s_mov_b32 s6, exec_lo
	v_cmpx_ne_u32_e32 0, v13
	s_cbranch_execz .LBB1606_41
; %bb.40:
	v_cmp_eq_u16_e32 vcc_lo, 0, v11
	v_and_b32_e32 v11, 1, v11
	s_waitcnt lgkmcnt(0)
	v_and_b32_e32 v4, 1, v4
	v_cndmask_b32_e32 v12, 0, v12, vcc_lo
	v_cndmask_b32_e32 v3, 0, v3, vcc_lo
	v_cmp_eq_u32_e32 vcc_lo, 1, v11
	v_cmp_eq_u32_e64 s4, 1, v4
	v_add_co_u32 v9, s5, v3, v9
	s_or_b32 s4, vcc_lo, s4
	v_add_co_ci_u32_e64 v10, null, v12, v10, s5
	v_cndmask_b32_e64 v11, 0, 1, s4
.LBB1606_41:
	s_or_b32 exec_lo, exec_lo, s6
	s_waitcnt lgkmcnt(0)
	v_lshrrev_b32_e32 v4, 5, v0
	v_or_b32_e32 v3, 31, v0
	s_mov_b32 s4, exec_lo
	v_lshlrev_b32_e32 v12, 4, v4
	v_cmpx_eq_u32_e64 v0, v3
	s_cbranch_execz .LBB1606_43
; %bb.42:
	ds_write_b64 v12, v[9:10]
	ds_write_b8 v12, v11 offset:8
.LBB1606_43:
	s_or_b32 exec_lo, exec_lo, s4
	s_mov_b32 s6, exec_lo
	s_waitcnt lgkmcnt(0)
	s_barrier
	buffer_gl0_inv
	v_cmpx_gt_u32_e32 8, v0
	s_cbranch_execz .LBB1606_51
; %bb.44:
	v_lshlrev_b32_e32 v13, 4, v0
	v_and_b32_e32 v14, 7, v18
	s_mov_b32 s4, exec_lo
	ds_read_b64 v[3:4], v13
	ds_read_b32 v24, v13 offset:8
	s_waitcnt lgkmcnt(1)
	v_mov_b32_dpp v25, v3 row_shr:1 row_mask:0xf bank_mask:0xf
	v_mov_b32_dpp v26, v4 row_shr:1 row_mask:0xf bank_mask:0xf
	s_waitcnt lgkmcnt(0)
	v_and_b32_e32 v16, 0xffffff00, v24
	v_mov_b32_dpp v27, v24 row_shr:1 row_mask:0xf bank_mask:0xf
	v_mov_b32_e32 v23, v24
	v_mov_b32_e32 v15, v24
	v_cmpx_ne_u32_e32 0, v14
	s_cbranch_execz .LBB1606_46
; %bb.45:
	v_mov_b32_e32 v15, 0
	v_cmp_eq_u16_sdwa vcc_lo, v24, v15 src0_sel:BYTE_0 src1_sel:DWORD
	v_or_b32_e32 v15, v27, v24
	v_cndmask_b32_e32 v25, 0, v25, vcc_lo
	v_cndmask_b32_e32 v24, 0, v26, vcc_lo
	v_and_b32_e32 v23, 1, v15
	v_and_b32_e32 v15, 1, v15
	v_add_co_u32 v3, vcc_lo, v25, v3
	v_add_co_ci_u32_e64 v4, null, v24, v4, vcc_lo
	v_or_b32_e32 v24, v15, v16
.LBB1606_46:
	s_or_b32 exec_lo, exec_lo, s4
	v_mov_b32_dpp v25, v3 row_shr:2 row_mask:0xf bank_mask:0xf
	v_mov_b32_dpp v26, v4 row_shr:2 row_mask:0xf bank_mask:0xf
	;; [unrolled: 1-line block ×3, first 2 shown]
	s_mov_b32 s7, exec_lo
	v_cmpx_lt_u32_e32 1, v14
	s_cbranch_execz .LBB1606_48
; %bb.47:
	v_mov_b32_e32 v23, 0
	v_and_b32_e32 v24, 1, v15
	v_and_b32_e32 v27, 1, v27
	v_cmp_eq_u16_sdwa vcc_lo, v15, v23 src0_sel:BYTE_0 src1_sel:DWORD
	v_cmp_eq_u32_e64 s4, 1, v24
	v_cmp_eq_u32_e64 s5, 1, v27
	v_cndmask_b32_e32 v24, 0, v25, vcc_lo
	v_cndmask_b32_e32 v15, 0, v26, vcc_lo
	s_or_b32 s4, s4, s5
	v_cndmask_b32_e64 v23, 0, 1, s4
	v_cndmask_b32_e64 v25, 0, 1, s4
	v_add_co_u32 v3, vcc_lo, v24, v3
	v_add_co_ci_u32_e64 v4, null, v15, v4, vcc_lo
	v_or_b32_e32 v24, v16, v25
	v_mov_b32_e32 v15, v23
.LBB1606_48:
	s_or_b32 exec_lo, exec_lo, s7
	v_mov_b32_dpp v16, v3 row_shr:4 row_mask:0xf bank_mask:0xf
	v_mov_b32_dpp v25, v4 row_shr:4 row_mask:0xf bank_mask:0xf
	;; [unrolled: 1-line block ×3, first 2 shown]
	s_mov_b32 s7, exec_lo
	v_cmpx_lt_u32_e32 3, v14
	s_cbranch_execz .LBB1606_50
; %bb.49:
	v_mov_b32_e32 v14, 0
	v_cmp_eq_u16_sdwa vcc_lo, v15, v14 src0_sel:BYTE_0 src1_sel:DWORD
	v_and_b32_e32 v14, 1, v15
	v_and_b32_e32 v15, 1, v24
	v_cndmask_b32_e32 v23, 0, v25, vcc_lo
	v_cndmask_b32_e32 v16, 0, v16, vcc_lo
	v_cmp_eq_u32_e32 vcc_lo, 1, v14
	v_cmp_eq_u32_e64 s4, 1, v15
	v_add_co_u32 v3, s5, v16, v3
	s_or_b32 s4, vcc_lo, s4
	v_add_co_ci_u32_e64 v4, null, v23, v4, s5
	v_cndmask_b32_e64 v23, 0, 1, s4
.LBB1606_50:
	s_or_b32 exec_lo, exec_lo, s7
	ds_write_b64 v13, v[3:4]
	ds_write_b8 v13, v23 offset:8
.LBB1606_51:
	s_or_b32 exec_lo, exec_lo, s6
	v_mov_b32_e32 v3, 0
	v_mov_b32_e32 v4, 0
	;; [unrolled: 1-line block ×3, first 2 shown]
	s_mov_b32 s5, exec_lo
	v_cmp_gt_u32_e32 vcc_lo, 32, v0
	s_waitcnt lgkmcnt(0)
	s_barrier
	buffer_gl0_inv
	v_cmpx_lt_u32_e32 31, v0
	s_cbranch_execz .LBB1606_53
; %bb.52:
	v_add_nc_u32_e32 v3, -16, v12
	v_add_nc_u32_e32 v12, -8, v12
	v_cmp_eq_u16_e64 s4, 0, v11
	ds_read_b64 v[3:4], v3
	ds_read_u8 v23, v12
	s_waitcnt lgkmcnt(1)
	v_cndmask_b32_e64 v13, 0, v3, s4
	v_cndmask_b32_e64 v12, 0, v4, s4
	s_waitcnt lgkmcnt(0)
	v_or_b32_e32 v11, v23, v11
	v_add_co_u32 v9, s4, v9, v13
	v_add_co_ci_u32_e64 v10, null, v10, v12, s4
.LBB1606_53:
	s_or_b32 exec_lo, exec_lo, s5
	v_sub_co_u32 v12, s4, v18, 1
	v_and_b32_e32 v11, 0xff, v11
	v_cmp_gt_i32_e64 s5, 0, v12
	v_cndmask_b32_e64 v12, v12, v18, s5
	v_lshlrev_b32_e32 v12, 2, v12
	ds_bpermute_b32 v25, v12, v9
	ds_bpermute_b32 v24, v12, v10
	;; [unrolled: 1-line block ×3, first 2 shown]
	s_and_saveexec_b32 s7, vcc_lo
	s_cbranch_execz .LBB1606_93
; %bb.54:
	v_mov_b32_e32 v13, 0
	ds_read_b64 v[9:10], v13 offset:112
	ds_read_u8 v27, v13 offset:120
	s_and_saveexec_b32 s5, s4
	s_cbranch_execz .LBB1606_56
; %bb.55:
	s_add_i32 s20, s33, 32
	s_mov_b32 s21, 0
	v_mov_b32_e32 v11, 1
	s_lshl_b64 s[24:25], s[20:21], 4
	v_mov_b32_e32 v12, s20
	s_add_u32 s24, s8, s24
	s_addc_u32 s25, s9, s25
	s_waitcnt lgkmcnt(1)
	global_store_dwordx2 v13, v[9:10], s[24:25]
	s_waitcnt lgkmcnt(0)
	global_store_byte v13, v27, s[24:25] offset:8
	s_waitcnt_vscnt null, 0x0
	buffer_gl1_inv
	buffer_gl0_inv
	global_store_byte v12, v11, s[12:13]
.LBB1606_56:
	s_or_b32 exec_lo, exec_lo, s5
	v_xad_u32 v11, v18, -1, s33
	s_mov_b32 s6, 0
	s_mov_b32 s5, exec_lo
	v_add_nc_u32_e32 v12, 32, v11
	global_load_ubyte v28, v12, s[12:13] glc dlc
	s_waitcnt vmcnt(0)
	v_cmpx_eq_u16_e32 0, v28
	s_cbranch_execz .LBB1606_60
; %bb.57:
	v_add_co_u32 v14, s20, s12, v12
	v_add_co_ci_u32_e64 v15, null, s13, 0, s20
.LBB1606_58:                            ; =>This Inner Loop Header: Depth=1
	global_load_ubyte v28, v[14:15], off glc dlc
	s_waitcnt vmcnt(0)
	v_cmp_ne_u16_e32 vcc_lo, 0, v28
	s_or_b32 s6, vcc_lo, s6
	s_andn2_b32 exec_lo, exec_lo, s6
	s_cbranch_execnz .LBB1606_58
; %bb.59:
	s_or_b32 exec_lo, exec_lo, s6
.LBB1606_60:
	s_or_b32 exec_lo, exec_lo, s5
	v_cmp_eq_u16_e32 vcc_lo, 1, v28
	v_mov_b32_e32 v15, s8
	v_mov_b32_e32 v14, s9
	v_lshlrev_b64 v[12:13], 4, v[12:13]
	s_waitcnt lgkmcnt(0)
	s_waitcnt_vscnt null, 0x0
	buffer_gl1_inv
	buffer_gl0_inv
	v_lshlrev_b32_e64 v30, v18, -1
	v_cndmask_b32_e32 v15, s10, v15, vcc_lo
	v_cndmask_b32_e32 v14, s11, v14, vcc_lo
	s_mov_b32 s5, exec_lo
	v_add_co_u32 v12, vcc_lo, v15, v12
	v_add_co_ci_u32_e64 v13, null, v14, v13, vcc_lo
	v_cmp_ne_u32_e32 vcc_lo, 31, v18
	s_clause 0x1
	global_load_ubyte v41, v[12:13], off offset:8
	global_load_dwordx2 v[15:16], v[12:13], off
	v_add_co_ci_u32_e64 v12, null, 0, v18, vcc_lo
	v_cmp_eq_u16_e32 vcc_lo, 2, v28
	v_lshlrev_b32_e32 v29, 2, v12
	v_and_or_b32 v12, vcc_lo, v30, 0x80000000
	v_ffbl_b32_e32 v12, v12
	s_waitcnt vmcnt(1)
	v_and_b32_e32 v13, 1, v41
	s_waitcnt vmcnt(0)
	ds_bpermute_b32 v14, v29, v15
	ds_bpermute_b32 v31, v29, v16
	;; [unrolled: 1-line block ×3, first 2 shown]
	v_cmpx_lt_u32_e64 v18, v12
	s_cbranch_execz .LBB1606_62
; %bb.61:
	v_mov_b32_e32 v13, 0
	v_cmp_eq_u16_sdwa vcc_lo, v41, v13 src0_sel:BYTE_0 src1_sel:DWORD
	s_waitcnt lgkmcnt(0)
	v_and_b32_e32 v13, 1, v32
	v_cndmask_b32_e32 v14, 0, v14, vcc_lo
	v_cndmask_b32_e32 v31, 0, v31, vcc_lo
	v_or_b32_e32 v41, v13, v41
	v_add_co_u32 v15, vcc_lo, v14, v15
	v_add_co_ci_u32_e64 v16, null, v31, v16, vcc_lo
	v_and_b32_e32 v13, 0xff, v41
.LBB1606_62:
	s_or_b32 exec_lo, exec_lo, s5
	v_cmp_gt_u32_e32 vcc_lo, 30, v18
	s_waitcnt lgkmcnt(0)
	v_add_nc_u32_e32 v32, 2, v18
	s_mov_b32 s20, exec_lo
	v_cndmask_b32_e64 v14, 0, 2, vcc_lo
	v_add_lshl_u32 v31, v14, v18, 2
	ds_bpermute_b32 v14, v31, v15
	ds_bpermute_b32 v33, v31, v16
	ds_bpermute_b32 v34, v31, v13
	v_cmpx_le_u32_e64 v32, v12
	s_cbranch_execz .LBB1606_64
; %bb.63:
	v_mov_b32_e32 v13, 0
	v_and_b32_e32 v35, 1, v41
	s_waitcnt lgkmcnt(0)
	v_and_b32_e32 v34, 1, v34
	v_cmp_eq_u16_sdwa vcc_lo, v41, v13 src0_sel:BYTE_0 src1_sel:DWORD
	v_cmp_eq_u32_e64 s5, 1, v35
	v_cmp_eq_u32_e64 s6, 1, v34
	v_cndmask_b32_e32 v14, 0, v14, vcc_lo
	v_cndmask_b32_e32 v13, 0, v33, vcc_lo
	s_or_b32 s5, s5, s6
	v_cndmask_b32_e64 v41, 0, 1, s5
	v_add_co_u32 v15, vcc_lo, v14, v15
	v_add_co_ci_u32_e64 v16, null, v13, v16, vcc_lo
	v_cndmask_b32_e64 v13, 0, 1, s5
.LBB1606_64:
	s_or_b32 exec_lo, exec_lo, s20
	v_cmp_gt_u32_e32 vcc_lo, 28, v18
	s_waitcnt lgkmcnt(0)
	v_add_nc_u32_e32 v34, 4, v18
	s_mov_b32 s20, exec_lo
	v_cndmask_b32_e64 v14, 0, 4, vcc_lo
	v_add_lshl_u32 v33, v14, v18, 2
	ds_bpermute_b32 v14, v33, v15
	ds_bpermute_b32 v35, v33, v16
	ds_bpermute_b32 v36, v33, v13
	v_cmpx_le_u32_e64 v34, v12
	s_cbranch_execz .LBB1606_66
; %bb.65:
	v_mov_b32_e32 v13, 0
	v_and_b32_e32 v37, 1, v41
	s_waitcnt lgkmcnt(0)
	v_and_b32_e32 v36, 1, v36
	v_cmp_eq_u16_sdwa vcc_lo, v41, v13 src0_sel:BYTE_0 src1_sel:DWORD
	v_cmp_eq_u32_e64 s5, 1, v37
	v_cmp_eq_u32_e64 s6, 1, v36
	v_cndmask_b32_e32 v14, 0, v14, vcc_lo
	v_cndmask_b32_e32 v13, 0, v35, vcc_lo
	s_or_b32 s5, s5, s6
	v_cndmask_b32_e64 v41, 0, 1, s5
	v_add_co_u32 v15, vcc_lo, v14, v15
	v_add_co_ci_u32_e64 v16, null, v13, v16, vcc_lo
	v_cndmask_b32_e64 v13, 0, 1, s5
.LBB1606_66:
	;; [unrolled: 28-line block ×3, first 2 shown]
	s_or_b32 exec_lo, exec_lo, s20
	s_waitcnt lgkmcnt(0)
	v_lshl_or_b32 v38, v18, 2, 64
	v_add_nc_u32_e32 v39, 16, v18
	s_mov_b32 s20, exec_lo
	ds_bpermute_b32 v14, v38, v15
	ds_bpermute_b32 v37, v38, v16
	;; [unrolled: 1-line block ×3, first 2 shown]
	v_cmpx_le_u32_e64 v39, v12
	s_cbranch_execz .LBB1606_70
; %bb.69:
	v_mov_b32_e32 v12, 0
	s_waitcnt lgkmcnt(0)
	v_and_b32_e32 v13, 1, v13
	v_cmp_eq_u16_sdwa vcc_lo, v41, v12 src0_sel:BYTE_0 src1_sel:DWORD
	v_and_b32_e32 v12, 1, v41
	v_cmp_eq_u32_e64 s5, 1, v13
	v_cndmask_b32_e32 v37, 0, v37, vcc_lo
	v_cndmask_b32_e32 v14, 0, v14, vcc_lo
	v_cmp_eq_u32_e32 vcc_lo, 1, v12
	v_add_co_u32 v15, s6, v14, v15
	s_or_b32 s5, vcc_lo, s5
	v_add_co_ci_u32_e64 v16, null, v37, v16, s6
	v_cndmask_b32_e64 v41, 0, 1, s5
.LBB1606_70:
	s_or_b32 exec_lo, exec_lo, s20
	v_mov_b32_e32 v12, 0
	v_mov_b32_e32 v40, 2
	s_branch .LBB1606_73
.LBB1606_71:                            ;   in Loop: Header=BB1606_73 Depth=1
	s_or_b32 exec_lo, exec_lo, s21
	v_cmp_eq_u16_sdwa vcc_lo, v37, v12 src0_sel:BYTE_0 src1_sel:DWORD
	v_and_b32_e32 v41, 1, v37
	v_subrev_nc_u32_e32 v11, 32, v11
	v_cndmask_b32_e32 v15, 0, v15, vcc_lo
	v_cndmask_b32_e32 v16, 0, v16, vcc_lo
	v_cmp_eq_u32_e32 vcc_lo, 1, v41
	v_add_co_u32 v15, s5, v15, v13
	v_add_co_ci_u32_e64 v16, null, v16, v14, s5
	s_or_b32 s5, vcc_lo, s20
	v_cndmask_b32_e64 v41, 0, 1, s5
	s_mov_b32 s5, 0
.LBB1606_72:                            ;   in Loop: Header=BB1606_73 Depth=1
	s_and_b32 vcc_lo, exec_lo, s5
	s_cbranch_vccnz .LBB1606_89
.LBB1606_73:                            ; =>This Loop Header: Depth=1
                                        ;     Child Loop BB1606_76 Depth 2
	v_cmp_ne_u16_sdwa s5, v28, v40 src0_sel:BYTE_0 src1_sel:DWORD
	s_waitcnt lgkmcnt(0)
	v_mov_b32_e32 v13, v15
	v_mov_b32_e32 v37, v41
	;; [unrolled: 1-line block ×3, first 2 shown]
                                        ; implicit-def: $vgpr41
                                        ; implicit-def: $vgpr15_vgpr16
                                        ; implicit-def: $vgpr28
	s_cmp_lg_u32 s5, exec_lo
	s_mov_b32 s5, -1
	s_cbranch_scc1 .LBB1606_72
; %bb.74:                               ;   in Loop: Header=BB1606_73 Depth=1
	global_load_ubyte v28, v11, s[12:13] glc dlc
	s_mov_b32 s5, exec_lo
	s_waitcnt vmcnt(0)
	v_cmpx_eq_u16_e32 0, v28
	s_cbranch_execz .LBB1606_78
; %bb.75:                               ;   in Loop: Header=BB1606_73 Depth=1
	v_add_co_u32 v15, s6, s12, v11
	v_add_co_ci_u32_e64 v16, null, s13, 0, s6
	s_mov_b32 s6, 0
.LBB1606_76:                            ;   Parent Loop BB1606_73 Depth=1
                                        ; =>  This Inner Loop Header: Depth=2
	global_load_ubyte v28, v[15:16], off glc dlc
	s_waitcnt vmcnt(0)
	v_cmp_ne_u16_e32 vcc_lo, 0, v28
	s_or_b32 s6, vcc_lo, s6
	s_andn2_b32 exec_lo, exec_lo, s6
	s_cbranch_execnz .LBB1606_76
; %bb.77:                               ;   in Loop: Header=BB1606_73 Depth=1
	s_or_b32 exec_lo, exec_lo, s6
.LBB1606_78:                            ;   in Loop: Header=BB1606_73 Depth=1
	s_or_b32 exec_lo, exec_lo, s5
	v_cmp_eq_u16_e32 vcc_lo, 1, v28
	v_mov_b32_e32 v42, s8
	v_mov_b32_e32 v41, s9
	v_lshlrev_b64 v[15:16], 4, v[11:12]
	buffer_gl1_inv
	buffer_gl0_inv
	s_mov_b32 s5, exec_lo
	v_cndmask_b32_e32 v42, s10, v42, vcc_lo
	v_cndmask_b32_e32 v41, s11, v41, vcc_lo
	v_add_co_u32 v15, vcc_lo, v42, v15
	v_add_co_ci_u32_e64 v16, null, v41, v16, vcc_lo
	v_cmp_eq_u16_e32 vcc_lo, 2, v28
	s_clause 0x1
	global_load_ubyte v42, v[15:16], off offset:8
	global_load_dwordx2 v[15:16], v[15:16], off
	v_and_or_b32 v41, vcc_lo, v30, 0x80000000
	v_ffbl_b32_e32 v41, v41
	s_waitcnt vmcnt(1)
	v_and_b32_e32 v43, 1, v42
	s_waitcnt vmcnt(0)
	ds_bpermute_b32 v44, v29, v15
	ds_bpermute_b32 v45, v29, v16
	;; [unrolled: 1-line block ×3, first 2 shown]
	v_cmpx_lt_u32_e64 v18, v41
	s_cbranch_execz .LBB1606_80
; %bb.79:                               ;   in Loop: Header=BB1606_73 Depth=1
	v_cmp_eq_u16_sdwa vcc_lo, v42, v12 src0_sel:BYTE_0 src1_sel:DWORD
	s_waitcnt lgkmcnt(0)
	v_and_b32_e32 v43, 1, v46
	v_cndmask_b32_e32 v44, 0, v44, vcc_lo
	v_cndmask_b32_e32 v45, 0, v45, vcc_lo
	v_or_b32_e32 v42, v43, v42
	v_add_co_u32 v15, vcc_lo, v44, v15
	v_add_co_ci_u32_e64 v16, null, v45, v16, vcc_lo
	v_and_b32_e32 v43, 0xff, v42
.LBB1606_80:                            ;   in Loop: Header=BB1606_73 Depth=1
	s_or_b32 exec_lo, exec_lo, s5
	s_waitcnt lgkmcnt(2)
	ds_bpermute_b32 v44, v31, v15
	s_waitcnt lgkmcnt(2)
	ds_bpermute_b32 v45, v31, v16
	;; [unrolled: 2-line block ×3, first 2 shown]
	v_and_b32_e32 v47, 1, v42
	s_mov_b32 s6, exec_lo
	v_cmp_eq_u32_e64 s20, 1, v47
	v_cmpx_le_u32_e64 v32, v41
	s_cbranch_execz .LBB1606_82
; %bb.81:                               ;   in Loop: Header=BB1606_73 Depth=1
	v_cmp_eq_u16_sdwa vcc_lo, v42, v12 src0_sel:BYTE_0 src1_sel:DWORD
	s_waitcnt lgkmcnt(0)
	v_and_b32_e32 v42, 1, v46
	v_cndmask_b32_e32 v44, 0, v44, vcc_lo
	v_cndmask_b32_e32 v43, 0, v45, vcc_lo
	v_cmp_eq_u32_e32 vcc_lo, 1, v42
	v_add_co_u32 v15, s5, v44, v15
	v_add_co_ci_u32_e64 v16, null, v43, v16, s5
	s_or_b32 s5, s20, vcc_lo
	s_andn2_b32 s20, s20, exec_lo
	v_cndmask_b32_e64 v42, 0, 1, s5
	v_cndmask_b32_e64 v43, 0, 1, s5
	s_and_b32 s5, s5, exec_lo
	s_or_b32 s20, s20, s5
.LBB1606_82:                            ;   in Loop: Header=BB1606_73 Depth=1
	s_or_b32 exec_lo, exec_lo, s6
	s_waitcnt lgkmcnt(2)
	ds_bpermute_b32 v44, v33, v15
	s_waitcnt lgkmcnt(2)
	ds_bpermute_b32 v45, v33, v16
	;; [unrolled: 2-line block ×3, first 2 shown]
	s_mov_b32 s21, exec_lo
	v_cmpx_le_u32_e64 v34, v41
	s_cbranch_execz .LBB1606_84
; %bb.83:                               ;   in Loop: Header=BB1606_73 Depth=1
	v_cmp_eq_u16_sdwa vcc_lo, v42, v12 src0_sel:BYTE_0 src1_sel:DWORD
	v_and_b32_e32 v42, 1, v42
	s_waitcnt lgkmcnt(0)
	v_and_b32_e32 v43, 1, v46
	v_cndmask_b32_e32 v45, 0, v45, vcc_lo
	v_cndmask_b32_e32 v44, 0, v44, vcc_lo
	v_cmp_eq_u32_e32 vcc_lo, 1, v42
	v_cmp_eq_u32_e64 s5, 1, v43
	v_add_co_u32 v15, s6, v44, v15
	s_or_b32 s5, vcc_lo, s5
	v_add_co_ci_u32_e64 v16, null, v45, v16, s6
	v_cndmask_b32_e64 v42, 0, 1, s5
	v_cndmask_b32_e64 v43, 0, 1, s5
	s_andn2_b32 s6, s20, exec_lo
	s_and_b32 s5, s5, exec_lo
	s_or_b32 s20, s6, s5
.LBB1606_84:                            ;   in Loop: Header=BB1606_73 Depth=1
	s_or_b32 exec_lo, exec_lo, s21
	s_waitcnt lgkmcnt(2)
	ds_bpermute_b32 v44, v35, v15
	s_waitcnt lgkmcnt(2)
	ds_bpermute_b32 v45, v35, v16
	;; [unrolled: 2-line block ×3, first 2 shown]
	s_mov_b32 s21, exec_lo
	v_cmpx_le_u32_e64 v36, v41
	s_cbranch_execz .LBB1606_86
; %bb.85:                               ;   in Loop: Header=BB1606_73 Depth=1
	v_cmp_eq_u16_sdwa vcc_lo, v42, v12 src0_sel:BYTE_0 src1_sel:DWORD
	v_and_b32_e32 v42, 1, v42
	s_waitcnt lgkmcnt(0)
	v_and_b32_e32 v43, 1, v46
	v_cndmask_b32_e32 v45, 0, v45, vcc_lo
	v_cndmask_b32_e32 v44, 0, v44, vcc_lo
	v_cmp_eq_u32_e32 vcc_lo, 1, v42
	v_cmp_eq_u32_e64 s5, 1, v43
	v_add_co_u32 v15, s6, v44, v15
	s_or_b32 s5, vcc_lo, s5
	v_add_co_ci_u32_e64 v16, null, v45, v16, s6
	v_cndmask_b32_e64 v42, 0, 1, s5
	v_cndmask_b32_e64 v43, 0, 1, s5
	s_andn2_b32 s6, s20, exec_lo
	s_and_b32 s5, s5, exec_lo
	s_or_b32 s20, s6, s5
.LBB1606_86:                            ;   in Loop: Header=BB1606_73 Depth=1
	s_or_b32 exec_lo, exec_lo, s21
	s_waitcnt lgkmcnt(2)
	ds_bpermute_b32 v44, v38, v15
	s_waitcnt lgkmcnt(2)
	ds_bpermute_b32 v45, v38, v16
	ds_bpermute_b32 v43, v38, v43
	s_mov_b32 s21, exec_lo
	v_cmpx_le_u32_e64 v39, v41
	s_cbranch_execz .LBB1606_71
; %bb.87:                               ;   in Loop: Header=BB1606_73 Depth=1
	v_cmp_eq_u16_sdwa vcc_lo, v42, v12 src0_sel:BYTE_0 src1_sel:DWORD
	v_and_b32_e32 v41, 1, v42
	s_waitcnt lgkmcnt(0)
	v_and_b32_e32 v42, 1, v43
	v_cndmask_b32_e32 v44, 0, v44, vcc_lo
	v_cndmask_b32_e32 v43, 0, v45, vcc_lo
	v_cmp_eq_u32_e32 vcc_lo, 1, v41
	v_cmp_eq_u32_e64 s5, 1, v42
	v_add_co_u32 v15, s6, v44, v15
	v_add_co_ci_u32_e64 v16, null, v43, v16, s6
	s_or_b32 s5, vcc_lo, s5
	s_andn2_b32 s6, s20, exec_lo
	s_and_b32 s5, s5, exec_lo
	s_or_b32 s20, s6, s5
	s_branch .LBB1606_71
.LBB1606_88:
                                        ; implicit-def: $vgpr9_vgpr10
                                        ; implicit-def: $vgpr13_vgpr14
                                        ; implicit-def: $vgpr11_vgpr12
	s_cbranch_execnz .LBB1606_96
	s_branch .LBB1606_123
.LBB1606_89:
	s_and_saveexec_b32 s5, s4
	s_cbranch_execz .LBB1606_91
; %bb.90:
	v_mov_b32_e32 v11, 0
	v_or_b32_e32 v12, v27, v37
	s_mov_b32 s9, 0
	s_add_i32 s8, s33, 32
	v_mov_b32_e32 v15, 2
	v_cmp_eq_u32_sdwa vcc_lo, v27, v11 src0_sel:BYTE_0 src1_sel:DWORD
	s_lshl_b64 s[20:21], s[8:9], 4
	v_mov_b32_e32 v28, s8
	v_and_b32_e32 v12, 1, v12
	s_add_u32 s8, s10, s20
	v_cndmask_b32_e32 v27, 0, v13, vcc_lo
	v_cndmask_b32_e32 v16, 0, v14, vcc_lo
	s_addc_u32 s9, s11, s21
	v_add_co_u32 v9, vcc_lo, v27, v9
	v_add_co_ci_u32_e64 v10, null, v16, v10, vcc_lo
	global_store_byte v11, v12, s[8:9] offset:8
	global_store_dwordx2 v11, v[9:10], s[8:9]
	s_waitcnt lgkmcnt(0)
	s_waitcnt_vscnt null, 0x0
	buffer_gl1_inv
	buffer_gl0_inv
	global_store_byte v28, v15, s[12:13]
.LBB1606_91:
	s_or_b32 exec_lo, exec_lo, s5
	s_and_b32 exec_lo, exec_lo, s0
	s_cbranch_execz .LBB1606_93
; %bb.92:
	v_mov_b32_e32 v9, 0
	ds_write_b64 v9, v[13:14] offset:112
	ds_write_b8 v9, v37 offset:120
.LBB1606_93:
	s_or_b32 exec_lo, exec_lo, s7
	v_mov_b32_e32 v11, 0
	s_waitcnt lgkmcnt(0)
	s_waitcnt_vscnt null, 0x0
	s_barrier
	buffer_gl0_inv
	ds_read_b64 v[9:10], v11 offset:112
	s_and_saveexec_b32 s5, s2
	s_cbranch_execz .LBB1606_95
; %bb.94:
	v_cndmask_b32_e64 v12, v26, v23, s4
	v_cndmask_b32_e64 v3, v25, v3, s4
	;; [unrolled: 1-line block ×3, first 2 shown]
	v_cmp_eq_u16_sdwa vcc_lo, v12, v11 src0_sel:BYTE_0 src1_sel:DWORD
	s_waitcnt lgkmcnt(0)
	v_cndmask_b32_e32 v9, 0, v9, vcc_lo
	v_cndmask_b32_e32 v10, 0, v10, vcc_lo
	v_add_co_u32 v9, vcc_lo, v3, v9
	v_add_co_ci_u32_e64 v10, null, v4, v10, vcc_lo
.LBB1606_95:
	s_or_b32 exec_lo, exec_lo, s5
	v_cmp_eq_u16_sdwa vcc_lo, v17, v11 src0_sel:BYTE_0 src1_sel:DWORD
	s_waitcnt lgkmcnt(0)
	v_cndmask_b32_e32 v4, 0, v9, vcc_lo
	v_cndmask_b32_e32 v3, 0, v10, vcc_lo
	v_add_co_u32 v11, vcc_lo, v4, v5
	v_add_co_ci_u32_e64 v12, null, v3, v6, vcc_lo
	v_cndmask_b32_e64 v13, 0, v11, s3
	v_cndmask_b32_e64 v14, 0, v12, s3
	s_branch .LBB1606_123
.LBB1606_96:
	s_cmp_eq_u64 s[30:31], 0
	v_mov_b32_e32 v3, s28
	s_cselect_b32 s2, -1, 0
	s_cmp_eq_u64 s[26:27], 0
	v_mov_b32_e32 v4, s29
	s_cselect_b32 s3, -1, 0
	s_or_b32 s2, s2, s3
	s_and_b32 vcc_lo, exec_lo, s2
	s_cbranch_vccnz .LBB1606_98
; %bb.97:
	v_mov_b32_e32 v3, 0
	global_load_dwordx2 v[3:4], v3, s[26:27]
.LBB1606_98:
	v_mov_b32_e32 v9, 0
	v_cmp_eq_u32_e64 s2, 1, v22
	v_cmp_eq_u16_sdwa vcc_lo, v19, v9 src0_sel:BYTE_0 src1_sel:DWORD
	v_cmp_ne_u16_sdwa s4, v21, v9 src0_sel:BYTE_0 src1_sel:DWORD
	v_cndmask_b32_e32 v11, 0, v5, vcc_lo
	v_cndmask_b32_e32 v10, 0, v6, vcc_lo
	v_add_co_u32 v11, s3, v11, v1
	v_add_co_ci_u32_e64 v10, null, v10, v2, s3
	v_cmp_eq_u16_e64 s3, 0, v20
	v_cndmask_b32_e64 v12, 0, v11, s3
	v_cndmask_b32_e64 v9, 0, v10, s3
	s_or_b32 s3, s4, s2
	s_mov_b32 s4, exec_lo
	v_cndmask_b32_e64 v10, 0, 1, s3
	v_add_co_u32 v7, s2, v12, v7
	v_add_co_ci_u32_e64 v8, null, v9, v8, s2
	v_cndmask_b32_e64 v11, 0, 1, s3
	v_and_b32_e32 v9, 15, v18
	v_mov_b32_dpp v14, v10 row_shr:1 row_mask:0xf bank_mask:0xf
	v_mov_b32_dpp v12, v7 row_shr:1 row_mask:0xf bank_mask:0xf
	;; [unrolled: 1-line block ×3, first 2 shown]
	v_cmpx_ne_u32_e32 0, v9
	s_cbranch_execz .LBB1606_100
; %bb.99:
	v_and_b32_e32 v10, 1, v14
	v_cndmask_b32_e64 v12, v12, 0, s3
	v_cndmask_b32_e64 v13, v13, 0, s3
	v_or_b32_e32 v11, v10, v11
	v_add_co_u32 v7, s2, v12, v7
	v_add_co_ci_u32_e64 v8, null, v13, v8, s2
	v_and_b32_e32 v10, 0xffff, v11
.LBB1606_100:
	s_or_b32 exec_lo, exec_lo, s4
	v_mov_b32_dpp v12, v7 row_shr:2 row_mask:0xf bank_mask:0xf
	v_mov_b32_dpp v13, v8 row_shr:2 row_mask:0xf bank_mask:0xf
	v_mov_b32_dpp v14, v10 row_shr:2 row_mask:0xf bank_mask:0xf
	s_mov_b32 s5, exec_lo
	v_cmpx_lt_u32_e32 1, v9
	s_cbranch_execz .LBB1606_102
; %bb.101:
	v_cmp_eq_u16_e64 s2, 0, v11
	v_and_b32_e32 v10, 1, v11
	v_and_b32_e32 v11, 1, v14
	v_cndmask_b32_e64 v13, 0, v13, s2
	v_cndmask_b32_e64 v12, 0, v12, s2
	v_cmp_eq_u32_e64 s2, 1, v10
	v_cmp_eq_u32_e64 s3, 1, v11
	v_add_co_u32 v7, s4, v12, v7
	s_or_b32 s2, s2, s3
	v_add_co_ci_u32_e64 v8, null, v13, v8, s4
	v_cndmask_b32_e64 v11, 0, 1, s2
	v_cndmask_b32_e64 v10, 0, 1, s2
.LBB1606_102:
	s_or_b32 exec_lo, exec_lo, s5
	v_mov_b32_dpp v12, v7 row_shr:4 row_mask:0xf bank_mask:0xf
	v_mov_b32_dpp v13, v8 row_shr:4 row_mask:0xf bank_mask:0xf
	v_mov_b32_dpp v14, v10 row_shr:4 row_mask:0xf bank_mask:0xf
	s_mov_b32 s5, exec_lo
	v_cmpx_lt_u32_e32 3, v9
	s_cbranch_execz .LBB1606_104
; %bb.103:
	v_cmp_eq_u16_e64 s2, 0, v11
	v_and_b32_e32 v10, 1, v11
	v_and_b32_e32 v11, 1, v14
	v_cndmask_b32_e64 v13, 0, v13, s2
	v_cndmask_b32_e64 v12, 0, v12, s2
	v_cmp_eq_u32_e64 s2, 1, v10
	v_cmp_eq_u32_e64 s3, 1, v11
	v_add_co_u32 v7, s4, v12, v7
	s_or_b32 s2, s2, s3
	v_add_co_ci_u32_e64 v8, null, v13, v8, s4
	v_cndmask_b32_e64 v11, 0, 1, s2
	v_cndmask_b32_e64 v10, 0, 1, s2
.LBB1606_104:
	;; [unrolled: 21-line block ×3, first 2 shown]
	s_or_b32 exec_lo, exec_lo, s5
	ds_swizzle_b32 v9, v7 offset:swizzle(BROADCAST,32,15)
	ds_swizzle_b32 v12, v8 offset:swizzle(BROADCAST,32,15)
	ds_swizzle_b32 v10, v10 offset:swizzle(BROADCAST,32,15)
	v_and_b32_e32 v13, 16, v18
	s_mov_b32 s5, exec_lo
	v_cmpx_ne_u32_e32 0, v13
	s_cbranch_execz .LBB1606_108
; %bb.107:
	v_cmp_eq_u16_e64 s2, 0, v11
	v_and_b32_e32 v11, 1, v11
	s_waitcnt lgkmcnt(0)
	v_and_b32_e32 v10, 1, v10
	v_cndmask_b32_e64 v12, 0, v12, s2
	v_cndmask_b32_e64 v9, 0, v9, s2
	v_cmp_eq_u32_e64 s2, 1, v11
	v_cmp_eq_u32_e64 s3, 1, v10
	v_add_co_u32 v7, s4, v9, v7
	s_or_b32 s2, s2, s3
	v_add_co_ci_u32_e64 v8, null, v12, v8, s4
	v_cndmask_b32_e64 v11, 0, 1, s2
.LBB1606_108:
	s_or_b32 exec_lo, exec_lo, s5
	s_waitcnt lgkmcnt(0)
	v_lshrrev_b32_e32 v10, 5, v0
	v_or_b32_e32 v9, 31, v0
	s_mov_b32 s3, exec_lo
	v_lshlrev_b32_e32 v12, 4, v10
	v_cmpx_eq_u32_e64 v0, v9
	s_cbranch_execz .LBB1606_110
; %bb.109:
	ds_write_b64 v12, v[7:8]
	ds_write_b8 v12, v11 offset:8
.LBB1606_110:
	s_or_b32 exec_lo, exec_lo, s3
	s_mov_b32 s5, exec_lo
	s_waitcnt vmcnt(0) lgkmcnt(0)
	s_barrier
	buffer_gl0_inv
	v_cmpx_gt_u32_e32 8, v0
	s_cbranch_execz .LBB1606_118
; %bb.111:
	v_lshlrev_b32_e32 v13, 4, v0
	v_and_b32_e32 v14, 7, v18
	s_mov_b32 s3, exec_lo
	ds_read_b64 v[9:10], v13
	ds_read_b32 v20, v13 offset:8
	s_waitcnt lgkmcnt(1)
	v_mov_b32_dpp v21, v9 row_shr:1 row_mask:0xf bank_mask:0xf
	v_mov_b32_dpp v22, v10 row_shr:1 row_mask:0xf bank_mask:0xf
	s_waitcnt lgkmcnt(0)
	v_and_b32_e32 v16, 0xffffff00, v20
	v_mov_b32_dpp v23, v20 row_shr:1 row_mask:0xf bank_mask:0xf
	v_mov_b32_e32 v19, v20
	v_mov_b32_e32 v15, v20
	v_cmpx_ne_u32_e32 0, v14
	s_cbranch_execz .LBB1606_113
; %bb.112:
	v_mov_b32_e32 v15, 0
	v_cmp_eq_u16_sdwa s2, v20, v15 src0_sel:BYTE_0 src1_sel:DWORD
	v_or_b32_e32 v15, v23, v20
	v_cndmask_b32_e64 v21, 0, v21, s2
	v_cndmask_b32_e64 v20, 0, v22, s2
	v_and_b32_e32 v19, 1, v15
	v_and_b32_e32 v15, 1, v15
	v_add_co_u32 v9, s2, v21, v9
	v_add_co_ci_u32_e64 v10, null, v20, v10, s2
	v_or_b32_e32 v20, v15, v16
.LBB1606_113:
	s_or_b32 exec_lo, exec_lo, s3
	v_mov_b32_dpp v21, v9 row_shr:2 row_mask:0xf bank_mask:0xf
	v_mov_b32_dpp v22, v10 row_shr:2 row_mask:0xf bank_mask:0xf
	;; [unrolled: 1-line block ×3, first 2 shown]
	s_mov_b32 s6, exec_lo
	v_cmpx_lt_u32_e32 1, v14
	s_cbranch_execz .LBB1606_115
; %bb.114:
	v_mov_b32_e32 v19, 0
	v_and_b32_e32 v20, 1, v15
	v_and_b32_e32 v23, 1, v23
	v_cmp_eq_u16_sdwa s2, v15, v19 src0_sel:BYTE_0 src1_sel:DWORD
	v_cmp_eq_u32_e64 s3, 1, v20
	v_cmp_eq_u32_e64 s4, 1, v23
	v_cndmask_b32_e64 v15, 0, v22, s2
	v_cndmask_b32_e64 v20, 0, v21, s2
	s_or_b32 s2, s3, s4
	v_cndmask_b32_e64 v19, 0, 1, s2
	v_cndmask_b32_e64 v21, 0, 1, s2
	v_add_co_u32 v9, s2, v20, v9
	v_add_co_ci_u32_e64 v10, null, v15, v10, s2
	v_or_b32_e32 v20, v16, v21
	v_mov_b32_e32 v15, v19
.LBB1606_115:
	s_or_b32 exec_lo, exec_lo, s6
	v_mov_b32_dpp v16, v9 row_shr:4 row_mask:0xf bank_mask:0xf
	v_mov_b32_dpp v21, v10 row_shr:4 row_mask:0xf bank_mask:0xf
	;; [unrolled: 1-line block ×3, first 2 shown]
	s_mov_b32 s6, exec_lo
	v_cmpx_lt_u32_e32 3, v14
	s_cbranch_execz .LBB1606_117
; %bb.116:
	v_mov_b32_e32 v14, 0
	v_cmp_eq_u16_sdwa s2, v15, v14 src0_sel:BYTE_0 src1_sel:DWORD
	v_and_b32_e32 v14, 1, v15
	v_and_b32_e32 v15, 1, v20
	v_cndmask_b32_e64 v19, 0, v21, s2
	v_cndmask_b32_e64 v16, 0, v16, s2
	v_cmp_eq_u32_e64 s2, 1, v14
	v_cmp_eq_u32_e64 s3, 1, v15
	v_add_co_u32 v9, s4, v16, v9
	s_or_b32 s2, s2, s3
	v_add_co_ci_u32_e64 v10, null, v19, v10, s4
	v_cndmask_b32_e64 v19, 0, 1, s2
.LBB1606_117:
	s_or_b32 exec_lo, exec_lo, s6
	ds_write_b64 v13, v[9:10]
	ds_write_b8 v13, v19 offset:8
.LBB1606_118:
	s_or_b32 exec_lo, exec_lo, s5
	v_mov_b32_e32 v10, v4
	v_mov_b32_e32 v9, v3
	s_mov_b32 s3, exec_lo
	s_waitcnt lgkmcnt(0)
	s_barrier
	buffer_gl0_inv
	v_cmpx_lt_u32_e32 31, v0
	s_cbranch_execz .LBB1606_120
; %bb.119:
	v_add_nc_u32_e32 v9, -8, v12
	ds_read_u8 v13, v9
	v_add_nc_u32_e32 v9, -16, v12
	ds_read_b64 v[9:10], v9
	s_waitcnt lgkmcnt(1)
	v_cmp_eq_u16_e64 s2, 0, v13
	v_cndmask_b32_e64 v13, 0, v3, s2
	v_cndmask_b32_e64 v12, 0, v4, s2
	s_waitcnt lgkmcnt(0)
	v_add_co_u32 v9, s2, v13, v9
	v_add_co_ci_u32_e64 v10, null, v12, v10, s2
.LBB1606_120:
	s_or_b32 exec_lo, exec_lo, s3
	v_cmp_eq_u16_e64 s2, 0, v11
	v_sub_co_u32 v11, s3, v18, 1
	v_cndmask_b32_e64 v12, 0, v10, s2
	v_cndmask_b32_e64 v13, 0, v9, s2
	v_cmp_gt_i32_e64 s2, 0, v11
	v_cndmask_b32_e64 v11, v11, v18, s2
	v_add_co_u32 v7, s2, v13, v7
	v_add_co_ci_u32_e64 v8, null, v12, v8, s2
	v_lshlrev_b32_e32 v11, 2, v11
	ds_bpermute_b32 v7, v11, v7
	ds_bpermute_b32 v8, v11, v8
	s_waitcnt lgkmcnt(1)
	v_cndmask_b32_e64 v9, v7, v9, s3
	v_mov_b32_e32 v7, 0
	s_waitcnt lgkmcnt(0)
	v_cndmask_b32_e64 v10, v8, v10, s3
	v_cndmask_b32_e64 v8, v9, v3, s0
	v_cmp_eq_u16_sdwa s2, v17, v7 src0_sel:BYTE_0 src1_sel:DWORD
	v_cndmask_b32_e64 v11, v10, v4, s0
	v_cndmask_b32_e64 v8, 0, v8, s2
	;; [unrolled: 1-line block ×3, first 2 shown]
	v_add_co_u32 v11, s2, v8, v5
	v_add_co_ci_u32_e64 v12, null, v12, v6, s2
	v_cndmask_b32_e32 v13, 0, v11, vcc_lo
	v_cndmask_b32_e32 v14, 0, v12, vcc_lo
	s_and_saveexec_b32 s2, s0
	s_cbranch_execz .LBB1606_122
; %bb.121:
	ds_read_u8 v8, v7 offset:120
	ds_read_b64 v[5:6], v7 offset:112
	v_mov_b32_e32 v15, 2
	s_waitcnt lgkmcnt(1)
	v_cmp_eq_u32_sdwa vcc_lo, v8, v7 src0_sel:WORD_0 src1_sel:DWORD
	v_cndmask_b32_e32 v10, 0, v3, vcc_lo
	v_cndmask_b32_e32 v9, 0, v4, vcc_lo
	s_waitcnt lgkmcnt(0)
	v_add_co_u32 v5, vcc_lo, v10, v5
	v_add_co_ci_u32_e64 v6, null, v9, v6, vcc_lo
	v_mov_b32_e32 v10, v4
	v_mov_b32_e32 v9, v3
	global_store_byte v7, v8, s[10:11] offset:520
	global_store_dwordx2 v7, v[5:6], s[10:11] offset:512
	s_waitcnt_vscnt null, 0x0
	buffer_gl1_inv
	buffer_gl0_inv
	global_store_byte v7, v15, s[12:13] offset:32
.LBB1606_122:
	s_or_b32 exec_lo, exec_lo, s2
.LBB1606_123:
	v_add_co_u32 v5, vcc_lo, v13, v1
	s_add_u32 s0, s22, s16
	v_add_co_ci_u32_e64 v6, null, v14, v2, vcc_lo
	s_addc_u32 s2, s23, s17
	s_add_u32 s0, s0, s18
	s_addc_u32 s2, s2, s19
	s_and_b32 vcc_lo, exec_lo, s1
	s_cbranch_vccz .LBB1606_135
; %bb.124:
	v_mov_b32_e32 v7, 0
	v_mov_b32_e32 v8, 0
	;; [unrolled: 1-line block ×4, first 2 shown]
	v_mul_u32_u24_e32 v13, 3, v0
	s_add_i32 s15, s15, s14
	v_mov_b32_e32 v4, v8
	v_mov_b32_e32 v2, v8
	s_mov_b32 s1, exec_lo
	v_cmpx_gt_u32_e64 s15, v13
	s_cbranch_execz .LBB1606_130
; %bb.125:
	v_mov_b32_e32 v1, 0
	v_mov_b32_e32 v3, 0
	v_add_nc_u32_e32 v7, 1, v13
	v_mov_b32_e32 v2, 0
	v_mov_b32_e32 v4, 0
	s_mov_b32 s3, exec_lo
	v_cmpx_gt_u32_e64 s15, v7
	s_cbranch_execz .LBB1606_129
; %bb.126:
	v_mov_b32_e32 v1, 0
	v_add_nc_u32_e32 v3, 2, v13
	v_mov_b32_e32 v2, 0
	s_mov_b32 s4, exec_lo
	v_cmpx_gt_u32_e64 s15, v3
; %bb.127:
	v_mov_b32_e32 v1, v5
	v_mov_b32_e32 v2, v6
; %bb.128:
	s_or_b32 exec_lo, exec_lo, s4
	v_mov_b32_e32 v3, v11
	v_mov_b32_e32 v4, v12
.LBB1606_129:
	s_or_b32 exec_lo, exec_lo, s3
	v_mov_b32_e32 v7, v9
	v_mov_b32_e32 v8, v10
.LBB1606_130:
	s_or_b32 exec_lo, exec_lo, s1
	v_lshlrev_b32_e32 v13, 3, v13
	v_lshlrev_b32_e32 v14, 4, v0
	s_waitcnt_vscnt null, 0x0
	s_barrier
	buffer_gl0_inv
	ds_write2_b64 v13, v[7:8], v[3:4] offset1:1
	v_sub_nc_u32_e32 v3, v13, v14
	ds_write_b64 v13, v[1:2] offset:16
	s_waitcnt lgkmcnt(0)
	s_barrier
	buffer_gl0_inv
	ds_read2st64_b64 v[1:4], v3 offset0:4 offset1:8
	v_lshlrev_b32_e32 v7, 3, v0
	v_add_co_u32 v7, s1, s0, v7
	v_add_co_ci_u32_e64 v8, null, s2, 0, s1
	s_mov_b32 s1, exec_lo
	v_cmpx_gt_u32_e64 s15, v0
	s_cbranch_execz .LBB1606_132
; %bb.131:
	v_sub_nc_u32_e32 v14, 0, v14
	v_add_nc_u32_e32 v13, v13, v14
	ds_read_b64 v[13:14], v13
	s_waitcnt lgkmcnt(0)
	flat_store_dwordx2 v[7:8], v[13:14]
.LBB1606_132:
	s_or_b32 exec_lo, exec_lo, s1
	v_or_b32_e32 v13, 0x100, v0
	s_mov_b32 s1, exec_lo
	v_cmpx_gt_u32_e64 s15, v13
	s_cbranch_execz .LBB1606_134
; %bb.133:
	v_add_co_u32 v7, vcc_lo, 0x800, v7
	v_add_co_ci_u32_e64 v8, null, 0, v8, vcc_lo
	s_waitcnt lgkmcnt(0)
	flat_store_dwordx2 v[7:8], v[1:2]
.LBB1606_134:
	s_or_b32 exec_lo, exec_lo, s1
	s_waitcnt lgkmcnt(0)
	v_or_b32_e32 v1, 0x200, v0
	v_cmp_gt_u32_e64 s1, s15, v1
	s_branch .LBB1606_137
.LBB1606_135:
	s_mov_b32 s1, 0
                                        ; implicit-def: $vgpr3_vgpr4
	s_cbranch_execz .LBB1606_137
; %bb.136:
	v_mul_u32_u24_e32 v1, 24, v0
	v_lshlrev_b32_e32 v2, 4, v0
	s_waitcnt_vscnt null, 0x0
	s_barrier
	buffer_gl0_inv
	ds_write2_b64 v1, v[9:10], v[11:12] offset1:1
	v_sub_nc_u32_e32 v2, v1, v2
	ds_write_b64 v1, v[5:6] offset:16
	s_waitcnt lgkmcnt(0)
	s_barrier
	buffer_gl0_inv
	ds_read2st64_b64 v[5:8], v2 offset1:4
	ds_read_b64 v[3:4], v2 offset:4096
	v_lshlrev_b32_e32 v1, 3, v0
	s_or_b32 s1, s1, exec_lo
	v_add_co_u32 v1, s3, s0, v1
	v_add_co_ci_u32_e64 v2, null, s2, 0, s3
	v_add_co_u32 v9, vcc_lo, 0x800, v1
	v_add_co_ci_u32_e64 v10, null, 0, v2, vcc_lo
	s_waitcnt lgkmcnt(1)
	flat_store_dwordx2 v[1:2], v[5:6]
	flat_store_dwordx2 v[9:10], v[7:8]
.LBB1606_137:
	s_and_saveexec_b32 s3, s1
	s_cbranch_execnz .LBB1606_139
; %bb.138:
	s_endpgm
.LBB1606_139:
	v_lshlrev_b32_e32 v0, 3, v0
	v_add_co_u32 v0, s0, s0, v0
	v_add_co_ci_u32_e64 v1, null, s2, 0, s0
	v_add_co_u32 v0, vcc_lo, 0x1000, v0
	v_add_co_ci_u32_e64 v1, null, 0, v1, vcc_lo
	s_waitcnt lgkmcnt(2)
	flat_store_dwordx2 v[0:1], v[3:4]
	s_endpgm
.LBB1606_140:
	v_lshlrev_b32_e32 v2, 3, v0
	v_mov_b32_e32 v18, v1
	v_mov_b32_e32 v19, v1
	;; [unrolled: 1-line block ×4, first 2 shown]
	v_add_co_u32 v2, s4, s20, v2
	v_add_co_ci_u32_e64 v3, null, s21, 0, s4
	flat_load_dwordx2 v[16:17], v[2:3]
	s_waitcnt vmcnt(0) lgkmcnt(0)
	v_mov_b32_e32 v1, v16
	v_mov_b32_e32 v2, v17
	;; [unrolled: 1-line block ×6, first 2 shown]
	s_or_b32 exec_lo, exec_lo, s5
	s_and_saveexec_b32 s4, s3
	s_cbranch_execz .LBB1606_15
.LBB1606_141:
	v_lshlrev_b32_e32 v3, 3, v8
	v_add_co_u32 v3, s3, s20, v3
	v_add_co_ci_u32_e64 v4, null, s21, 0, s3
	flat_load_dwordx2 v[3:4], v[3:4]
	s_or_b32 exec_lo, exec_lo, s4
	v_mul_u32_u24_e32 v16, 3, v0
	s_and_saveexec_b32 s3, vcc_lo
	s_cbranch_execnz .LBB1606_16
	s_branch .LBB1606_17
	.section	.rodata,"a",@progbits
	.p2align	6, 0x0
	.amdhsa_kernel _ZN7rocprim17ROCPRIM_400000_NS6detail17trampoline_kernelINS0_14default_configENS1_27scan_by_key_config_selectorIixEEZZNS1_16scan_by_key_implILNS1_25lookback_scan_determinismE0ELb1ES3_N6thrust23THRUST_200600_302600_NS6detail15normal_iteratorINS9_10device_ptrIiEEEENSB_INSC_IxEEEESG_xNS9_4plusIvEENS9_8equal_toIvEExEE10hipError_tPvRmT2_T3_T4_T5_mT6_T7_P12ihipStream_tbENKUlT_T0_E_clISt17integral_constantIbLb0EES10_IbLb1EEEEDaSW_SX_EUlSW_E_NS1_11comp_targetILNS1_3genE8ELNS1_11target_archE1030ELNS1_3gpuE2ELNS1_3repE0EEENS1_30default_config_static_selectorELNS0_4arch9wavefront6targetE0EEEvT1_
		.amdhsa_group_segment_fixed_size 6144
		.amdhsa_private_segment_fixed_size 0
		.amdhsa_kernarg_size 136
		.amdhsa_user_sgpr_count 6
		.amdhsa_user_sgpr_private_segment_buffer 1
		.amdhsa_user_sgpr_dispatch_ptr 0
		.amdhsa_user_sgpr_queue_ptr 0
		.amdhsa_user_sgpr_kernarg_segment_ptr 1
		.amdhsa_user_sgpr_dispatch_id 0
		.amdhsa_user_sgpr_flat_scratch_init 0
		.amdhsa_user_sgpr_private_segment_size 0
		.amdhsa_wavefront_size32 1
		.amdhsa_uses_dynamic_stack 0
		.amdhsa_system_sgpr_private_segment_wavefront_offset 0
		.amdhsa_system_sgpr_workgroup_id_x 1
		.amdhsa_system_sgpr_workgroup_id_y 0
		.amdhsa_system_sgpr_workgroup_id_z 0
		.amdhsa_system_sgpr_workgroup_info 0
		.amdhsa_system_vgpr_workitem_id 0
		.amdhsa_next_free_vgpr 48
		.amdhsa_next_free_sgpr 37
		.amdhsa_reserve_vcc 1
		.amdhsa_reserve_flat_scratch 1
		.amdhsa_float_round_mode_32 0
		.amdhsa_float_round_mode_16_64 0
		.amdhsa_float_denorm_mode_32 3
		.amdhsa_float_denorm_mode_16_64 3
		.amdhsa_dx10_clamp 1
		.amdhsa_ieee_mode 1
		.amdhsa_fp16_overflow 0
		.amdhsa_workgroup_processor_mode 1
		.amdhsa_memory_ordered 1
		.amdhsa_forward_progress 1
		.amdhsa_shared_vgpr_count 0
		.amdhsa_exception_fp_ieee_invalid_op 0
		.amdhsa_exception_fp_denorm_src 0
		.amdhsa_exception_fp_ieee_div_zero 0
		.amdhsa_exception_fp_ieee_overflow 0
		.amdhsa_exception_fp_ieee_underflow 0
		.amdhsa_exception_fp_ieee_inexact 0
		.amdhsa_exception_int_div_zero 0
	.end_amdhsa_kernel
	.section	.text._ZN7rocprim17ROCPRIM_400000_NS6detail17trampoline_kernelINS0_14default_configENS1_27scan_by_key_config_selectorIixEEZZNS1_16scan_by_key_implILNS1_25lookback_scan_determinismE0ELb1ES3_N6thrust23THRUST_200600_302600_NS6detail15normal_iteratorINS9_10device_ptrIiEEEENSB_INSC_IxEEEESG_xNS9_4plusIvEENS9_8equal_toIvEExEE10hipError_tPvRmT2_T3_T4_T5_mT6_T7_P12ihipStream_tbENKUlT_T0_E_clISt17integral_constantIbLb0EES10_IbLb1EEEEDaSW_SX_EUlSW_E_NS1_11comp_targetILNS1_3genE8ELNS1_11target_archE1030ELNS1_3gpuE2ELNS1_3repE0EEENS1_30default_config_static_selectorELNS0_4arch9wavefront6targetE0EEEvT1_,"axG",@progbits,_ZN7rocprim17ROCPRIM_400000_NS6detail17trampoline_kernelINS0_14default_configENS1_27scan_by_key_config_selectorIixEEZZNS1_16scan_by_key_implILNS1_25lookback_scan_determinismE0ELb1ES3_N6thrust23THRUST_200600_302600_NS6detail15normal_iteratorINS9_10device_ptrIiEEEENSB_INSC_IxEEEESG_xNS9_4plusIvEENS9_8equal_toIvEExEE10hipError_tPvRmT2_T3_T4_T5_mT6_T7_P12ihipStream_tbENKUlT_T0_E_clISt17integral_constantIbLb0EES10_IbLb1EEEEDaSW_SX_EUlSW_E_NS1_11comp_targetILNS1_3genE8ELNS1_11target_archE1030ELNS1_3gpuE2ELNS1_3repE0EEENS1_30default_config_static_selectorELNS0_4arch9wavefront6targetE0EEEvT1_,comdat
.Lfunc_end1606:
	.size	_ZN7rocprim17ROCPRIM_400000_NS6detail17trampoline_kernelINS0_14default_configENS1_27scan_by_key_config_selectorIixEEZZNS1_16scan_by_key_implILNS1_25lookback_scan_determinismE0ELb1ES3_N6thrust23THRUST_200600_302600_NS6detail15normal_iteratorINS9_10device_ptrIiEEEENSB_INSC_IxEEEESG_xNS9_4plusIvEENS9_8equal_toIvEExEE10hipError_tPvRmT2_T3_T4_T5_mT6_T7_P12ihipStream_tbENKUlT_T0_E_clISt17integral_constantIbLb0EES10_IbLb1EEEEDaSW_SX_EUlSW_E_NS1_11comp_targetILNS1_3genE8ELNS1_11target_archE1030ELNS1_3gpuE2ELNS1_3repE0EEENS1_30default_config_static_selectorELNS0_4arch9wavefront6targetE0EEEvT1_, .Lfunc_end1606-_ZN7rocprim17ROCPRIM_400000_NS6detail17trampoline_kernelINS0_14default_configENS1_27scan_by_key_config_selectorIixEEZZNS1_16scan_by_key_implILNS1_25lookback_scan_determinismE0ELb1ES3_N6thrust23THRUST_200600_302600_NS6detail15normal_iteratorINS9_10device_ptrIiEEEENSB_INSC_IxEEEESG_xNS9_4plusIvEENS9_8equal_toIvEExEE10hipError_tPvRmT2_T3_T4_T5_mT6_T7_P12ihipStream_tbENKUlT_T0_E_clISt17integral_constantIbLb0EES10_IbLb1EEEEDaSW_SX_EUlSW_E_NS1_11comp_targetILNS1_3genE8ELNS1_11target_archE1030ELNS1_3gpuE2ELNS1_3repE0EEENS1_30default_config_static_selectorELNS0_4arch9wavefront6targetE0EEEvT1_
                                        ; -- End function
	.set _ZN7rocprim17ROCPRIM_400000_NS6detail17trampoline_kernelINS0_14default_configENS1_27scan_by_key_config_selectorIixEEZZNS1_16scan_by_key_implILNS1_25lookback_scan_determinismE0ELb1ES3_N6thrust23THRUST_200600_302600_NS6detail15normal_iteratorINS9_10device_ptrIiEEEENSB_INSC_IxEEEESG_xNS9_4plusIvEENS9_8equal_toIvEExEE10hipError_tPvRmT2_T3_T4_T5_mT6_T7_P12ihipStream_tbENKUlT_T0_E_clISt17integral_constantIbLb0EES10_IbLb1EEEEDaSW_SX_EUlSW_E_NS1_11comp_targetILNS1_3genE8ELNS1_11target_archE1030ELNS1_3gpuE2ELNS1_3repE0EEENS1_30default_config_static_selectorELNS0_4arch9wavefront6targetE0EEEvT1_.num_vgpr, 48
	.set _ZN7rocprim17ROCPRIM_400000_NS6detail17trampoline_kernelINS0_14default_configENS1_27scan_by_key_config_selectorIixEEZZNS1_16scan_by_key_implILNS1_25lookback_scan_determinismE0ELb1ES3_N6thrust23THRUST_200600_302600_NS6detail15normal_iteratorINS9_10device_ptrIiEEEENSB_INSC_IxEEEESG_xNS9_4plusIvEENS9_8equal_toIvEExEE10hipError_tPvRmT2_T3_T4_T5_mT6_T7_P12ihipStream_tbENKUlT_T0_E_clISt17integral_constantIbLb0EES10_IbLb1EEEEDaSW_SX_EUlSW_E_NS1_11comp_targetILNS1_3genE8ELNS1_11target_archE1030ELNS1_3gpuE2ELNS1_3repE0EEENS1_30default_config_static_selectorELNS0_4arch9wavefront6targetE0EEEvT1_.num_agpr, 0
	.set _ZN7rocprim17ROCPRIM_400000_NS6detail17trampoline_kernelINS0_14default_configENS1_27scan_by_key_config_selectorIixEEZZNS1_16scan_by_key_implILNS1_25lookback_scan_determinismE0ELb1ES3_N6thrust23THRUST_200600_302600_NS6detail15normal_iteratorINS9_10device_ptrIiEEEENSB_INSC_IxEEEESG_xNS9_4plusIvEENS9_8equal_toIvEExEE10hipError_tPvRmT2_T3_T4_T5_mT6_T7_P12ihipStream_tbENKUlT_T0_E_clISt17integral_constantIbLb0EES10_IbLb1EEEEDaSW_SX_EUlSW_E_NS1_11comp_targetILNS1_3genE8ELNS1_11target_archE1030ELNS1_3gpuE2ELNS1_3repE0EEENS1_30default_config_static_selectorELNS0_4arch9wavefront6targetE0EEEvT1_.numbered_sgpr, 37
	.set _ZN7rocprim17ROCPRIM_400000_NS6detail17trampoline_kernelINS0_14default_configENS1_27scan_by_key_config_selectorIixEEZZNS1_16scan_by_key_implILNS1_25lookback_scan_determinismE0ELb1ES3_N6thrust23THRUST_200600_302600_NS6detail15normal_iteratorINS9_10device_ptrIiEEEENSB_INSC_IxEEEESG_xNS9_4plusIvEENS9_8equal_toIvEExEE10hipError_tPvRmT2_T3_T4_T5_mT6_T7_P12ihipStream_tbENKUlT_T0_E_clISt17integral_constantIbLb0EES10_IbLb1EEEEDaSW_SX_EUlSW_E_NS1_11comp_targetILNS1_3genE8ELNS1_11target_archE1030ELNS1_3gpuE2ELNS1_3repE0EEENS1_30default_config_static_selectorELNS0_4arch9wavefront6targetE0EEEvT1_.num_named_barrier, 0
	.set _ZN7rocprim17ROCPRIM_400000_NS6detail17trampoline_kernelINS0_14default_configENS1_27scan_by_key_config_selectorIixEEZZNS1_16scan_by_key_implILNS1_25lookback_scan_determinismE0ELb1ES3_N6thrust23THRUST_200600_302600_NS6detail15normal_iteratorINS9_10device_ptrIiEEEENSB_INSC_IxEEEESG_xNS9_4plusIvEENS9_8equal_toIvEExEE10hipError_tPvRmT2_T3_T4_T5_mT6_T7_P12ihipStream_tbENKUlT_T0_E_clISt17integral_constantIbLb0EES10_IbLb1EEEEDaSW_SX_EUlSW_E_NS1_11comp_targetILNS1_3genE8ELNS1_11target_archE1030ELNS1_3gpuE2ELNS1_3repE0EEENS1_30default_config_static_selectorELNS0_4arch9wavefront6targetE0EEEvT1_.private_seg_size, 0
	.set _ZN7rocprim17ROCPRIM_400000_NS6detail17trampoline_kernelINS0_14default_configENS1_27scan_by_key_config_selectorIixEEZZNS1_16scan_by_key_implILNS1_25lookback_scan_determinismE0ELb1ES3_N6thrust23THRUST_200600_302600_NS6detail15normal_iteratorINS9_10device_ptrIiEEEENSB_INSC_IxEEEESG_xNS9_4plusIvEENS9_8equal_toIvEExEE10hipError_tPvRmT2_T3_T4_T5_mT6_T7_P12ihipStream_tbENKUlT_T0_E_clISt17integral_constantIbLb0EES10_IbLb1EEEEDaSW_SX_EUlSW_E_NS1_11comp_targetILNS1_3genE8ELNS1_11target_archE1030ELNS1_3gpuE2ELNS1_3repE0EEENS1_30default_config_static_selectorELNS0_4arch9wavefront6targetE0EEEvT1_.uses_vcc, 1
	.set _ZN7rocprim17ROCPRIM_400000_NS6detail17trampoline_kernelINS0_14default_configENS1_27scan_by_key_config_selectorIixEEZZNS1_16scan_by_key_implILNS1_25lookback_scan_determinismE0ELb1ES3_N6thrust23THRUST_200600_302600_NS6detail15normal_iteratorINS9_10device_ptrIiEEEENSB_INSC_IxEEEESG_xNS9_4plusIvEENS9_8equal_toIvEExEE10hipError_tPvRmT2_T3_T4_T5_mT6_T7_P12ihipStream_tbENKUlT_T0_E_clISt17integral_constantIbLb0EES10_IbLb1EEEEDaSW_SX_EUlSW_E_NS1_11comp_targetILNS1_3genE8ELNS1_11target_archE1030ELNS1_3gpuE2ELNS1_3repE0EEENS1_30default_config_static_selectorELNS0_4arch9wavefront6targetE0EEEvT1_.uses_flat_scratch, 1
	.set _ZN7rocprim17ROCPRIM_400000_NS6detail17trampoline_kernelINS0_14default_configENS1_27scan_by_key_config_selectorIixEEZZNS1_16scan_by_key_implILNS1_25lookback_scan_determinismE0ELb1ES3_N6thrust23THRUST_200600_302600_NS6detail15normal_iteratorINS9_10device_ptrIiEEEENSB_INSC_IxEEEESG_xNS9_4plusIvEENS9_8equal_toIvEExEE10hipError_tPvRmT2_T3_T4_T5_mT6_T7_P12ihipStream_tbENKUlT_T0_E_clISt17integral_constantIbLb0EES10_IbLb1EEEEDaSW_SX_EUlSW_E_NS1_11comp_targetILNS1_3genE8ELNS1_11target_archE1030ELNS1_3gpuE2ELNS1_3repE0EEENS1_30default_config_static_selectorELNS0_4arch9wavefront6targetE0EEEvT1_.has_dyn_sized_stack, 0
	.set _ZN7rocprim17ROCPRIM_400000_NS6detail17trampoline_kernelINS0_14default_configENS1_27scan_by_key_config_selectorIixEEZZNS1_16scan_by_key_implILNS1_25lookback_scan_determinismE0ELb1ES3_N6thrust23THRUST_200600_302600_NS6detail15normal_iteratorINS9_10device_ptrIiEEEENSB_INSC_IxEEEESG_xNS9_4plusIvEENS9_8equal_toIvEExEE10hipError_tPvRmT2_T3_T4_T5_mT6_T7_P12ihipStream_tbENKUlT_T0_E_clISt17integral_constantIbLb0EES10_IbLb1EEEEDaSW_SX_EUlSW_E_NS1_11comp_targetILNS1_3genE8ELNS1_11target_archE1030ELNS1_3gpuE2ELNS1_3repE0EEENS1_30default_config_static_selectorELNS0_4arch9wavefront6targetE0EEEvT1_.has_recursion, 0
	.set _ZN7rocprim17ROCPRIM_400000_NS6detail17trampoline_kernelINS0_14default_configENS1_27scan_by_key_config_selectorIixEEZZNS1_16scan_by_key_implILNS1_25lookback_scan_determinismE0ELb1ES3_N6thrust23THRUST_200600_302600_NS6detail15normal_iteratorINS9_10device_ptrIiEEEENSB_INSC_IxEEEESG_xNS9_4plusIvEENS9_8equal_toIvEExEE10hipError_tPvRmT2_T3_T4_T5_mT6_T7_P12ihipStream_tbENKUlT_T0_E_clISt17integral_constantIbLb0EES10_IbLb1EEEEDaSW_SX_EUlSW_E_NS1_11comp_targetILNS1_3genE8ELNS1_11target_archE1030ELNS1_3gpuE2ELNS1_3repE0EEENS1_30default_config_static_selectorELNS0_4arch9wavefront6targetE0EEEvT1_.has_indirect_call, 0
	.section	.AMDGPU.csdata,"",@progbits
; Kernel info:
; codeLenInByte = 7776
; TotalNumSgprs: 39
; NumVgprs: 48
; ScratchSize: 0
; MemoryBound: 0
; FloatMode: 240
; IeeeMode: 1
; LDSByteSize: 6144 bytes/workgroup (compile time only)
; SGPRBlocks: 0
; VGPRBlocks: 5
; NumSGPRsForWavesPerEU: 39
; NumVGPRsForWavesPerEU: 48
; Occupancy: 16
; WaveLimiterHint : 1
; COMPUTE_PGM_RSRC2:SCRATCH_EN: 0
; COMPUTE_PGM_RSRC2:USER_SGPR: 6
; COMPUTE_PGM_RSRC2:TRAP_HANDLER: 0
; COMPUTE_PGM_RSRC2:TGID_X_EN: 1
; COMPUTE_PGM_RSRC2:TGID_Y_EN: 0
; COMPUTE_PGM_RSRC2:TGID_Z_EN: 0
; COMPUTE_PGM_RSRC2:TIDIG_COMP_CNT: 0
	.section	.text._ZN7rocprim17ROCPRIM_400000_NS6detail17trampoline_kernelINS0_14default_configENS1_27scan_by_key_config_selectorIisEEZZNS1_16scan_by_key_implILNS1_25lookback_scan_determinismE0ELb1ES3_N6thrust23THRUST_200600_302600_NS6detail15normal_iteratorINS9_10device_ptrIiEEEENSB_INSC_IsEEEESG_sNS9_4plusIvEENS9_8equal_toIvEEsEE10hipError_tPvRmT2_T3_T4_T5_mT6_T7_P12ihipStream_tbENKUlT_T0_E_clISt17integral_constantIbLb0EES11_EEDaSW_SX_EUlSW_E_NS1_11comp_targetILNS1_3genE0ELNS1_11target_archE4294967295ELNS1_3gpuE0ELNS1_3repE0EEENS1_30default_config_static_selectorELNS0_4arch9wavefront6targetE0EEEvT1_,"axG",@progbits,_ZN7rocprim17ROCPRIM_400000_NS6detail17trampoline_kernelINS0_14default_configENS1_27scan_by_key_config_selectorIisEEZZNS1_16scan_by_key_implILNS1_25lookback_scan_determinismE0ELb1ES3_N6thrust23THRUST_200600_302600_NS6detail15normal_iteratorINS9_10device_ptrIiEEEENSB_INSC_IsEEEESG_sNS9_4plusIvEENS9_8equal_toIvEEsEE10hipError_tPvRmT2_T3_T4_T5_mT6_T7_P12ihipStream_tbENKUlT_T0_E_clISt17integral_constantIbLb0EES11_EEDaSW_SX_EUlSW_E_NS1_11comp_targetILNS1_3genE0ELNS1_11target_archE4294967295ELNS1_3gpuE0ELNS1_3repE0EEENS1_30default_config_static_selectorELNS0_4arch9wavefront6targetE0EEEvT1_,comdat
	.protected	_ZN7rocprim17ROCPRIM_400000_NS6detail17trampoline_kernelINS0_14default_configENS1_27scan_by_key_config_selectorIisEEZZNS1_16scan_by_key_implILNS1_25lookback_scan_determinismE0ELb1ES3_N6thrust23THRUST_200600_302600_NS6detail15normal_iteratorINS9_10device_ptrIiEEEENSB_INSC_IsEEEESG_sNS9_4plusIvEENS9_8equal_toIvEEsEE10hipError_tPvRmT2_T3_T4_T5_mT6_T7_P12ihipStream_tbENKUlT_T0_E_clISt17integral_constantIbLb0EES11_EEDaSW_SX_EUlSW_E_NS1_11comp_targetILNS1_3genE0ELNS1_11target_archE4294967295ELNS1_3gpuE0ELNS1_3repE0EEENS1_30default_config_static_selectorELNS0_4arch9wavefront6targetE0EEEvT1_ ; -- Begin function _ZN7rocprim17ROCPRIM_400000_NS6detail17trampoline_kernelINS0_14default_configENS1_27scan_by_key_config_selectorIisEEZZNS1_16scan_by_key_implILNS1_25lookback_scan_determinismE0ELb1ES3_N6thrust23THRUST_200600_302600_NS6detail15normal_iteratorINS9_10device_ptrIiEEEENSB_INSC_IsEEEESG_sNS9_4plusIvEENS9_8equal_toIvEEsEE10hipError_tPvRmT2_T3_T4_T5_mT6_T7_P12ihipStream_tbENKUlT_T0_E_clISt17integral_constantIbLb0EES11_EEDaSW_SX_EUlSW_E_NS1_11comp_targetILNS1_3genE0ELNS1_11target_archE4294967295ELNS1_3gpuE0ELNS1_3repE0EEENS1_30default_config_static_selectorELNS0_4arch9wavefront6targetE0EEEvT1_
	.globl	_ZN7rocprim17ROCPRIM_400000_NS6detail17trampoline_kernelINS0_14default_configENS1_27scan_by_key_config_selectorIisEEZZNS1_16scan_by_key_implILNS1_25lookback_scan_determinismE0ELb1ES3_N6thrust23THRUST_200600_302600_NS6detail15normal_iteratorINS9_10device_ptrIiEEEENSB_INSC_IsEEEESG_sNS9_4plusIvEENS9_8equal_toIvEEsEE10hipError_tPvRmT2_T3_T4_T5_mT6_T7_P12ihipStream_tbENKUlT_T0_E_clISt17integral_constantIbLb0EES11_EEDaSW_SX_EUlSW_E_NS1_11comp_targetILNS1_3genE0ELNS1_11target_archE4294967295ELNS1_3gpuE0ELNS1_3repE0EEENS1_30default_config_static_selectorELNS0_4arch9wavefront6targetE0EEEvT1_
	.p2align	8
	.type	_ZN7rocprim17ROCPRIM_400000_NS6detail17trampoline_kernelINS0_14default_configENS1_27scan_by_key_config_selectorIisEEZZNS1_16scan_by_key_implILNS1_25lookback_scan_determinismE0ELb1ES3_N6thrust23THRUST_200600_302600_NS6detail15normal_iteratorINS9_10device_ptrIiEEEENSB_INSC_IsEEEESG_sNS9_4plusIvEENS9_8equal_toIvEEsEE10hipError_tPvRmT2_T3_T4_T5_mT6_T7_P12ihipStream_tbENKUlT_T0_E_clISt17integral_constantIbLb0EES11_EEDaSW_SX_EUlSW_E_NS1_11comp_targetILNS1_3genE0ELNS1_11target_archE4294967295ELNS1_3gpuE0ELNS1_3repE0EEENS1_30default_config_static_selectorELNS0_4arch9wavefront6targetE0EEEvT1_,@function
_ZN7rocprim17ROCPRIM_400000_NS6detail17trampoline_kernelINS0_14default_configENS1_27scan_by_key_config_selectorIisEEZZNS1_16scan_by_key_implILNS1_25lookback_scan_determinismE0ELb1ES3_N6thrust23THRUST_200600_302600_NS6detail15normal_iteratorINS9_10device_ptrIiEEEENSB_INSC_IsEEEESG_sNS9_4plusIvEENS9_8equal_toIvEEsEE10hipError_tPvRmT2_T3_T4_T5_mT6_T7_P12ihipStream_tbENKUlT_T0_E_clISt17integral_constantIbLb0EES11_EEDaSW_SX_EUlSW_E_NS1_11comp_targetILNS1_3genE0ELNS1_11target_archE4294967295ELNS1_3gpuE0ELNS1_3repE0EEENS1_30default_config_static_selectorELNS0_4arch9wavefront6targetE0EEEvT1_: ; @_ZN7rocprim17ROCPRIM_400000_NS6detail17trampoline_kernelINS0_14default_configENS1_27scan_by_key_config_selectorIisEEZZNS1_16scan_by_key_implILNS1_25lookback_scan_determinismE0ELb1ES3_N6thrust23THRUST_200600_302600_NS6detail15normal_iteratorINS9_10device_ptrIiEEEENSB_INSC_IsEEEESG_sNS9_4plusIvEENS9_8equal_toIvEEsEE10hipError_tPvRmT2_T3_T4_T5_mT6_T7_P12ihipStream_tbENKUlT_T0_E_clISt17integral_constantIbLb0EES11_EEDaSW_SX_EUlSW_E_NS1_11comp_targetILNS1_3genE0ELNS1_11target_archE4294967295ELNS1_3gpuE0ELNS1_3repE0EEENS1_30default_config_static_selectorELNS0_4arch9wavefront6targetE0EEEvT1_
; %bb.0:
	.section	.rodata,"a",@progbits
	.p2align	6, 0x0
	.amdhsa_kernel _ZN7rocprim17ROCPRIM_400000_NS6detail17trampoline_kernelINS0_14default_configENS1_27scan_by_key_config_selectorIisEEZZNS1_16scan_by_key_implILNS1_25lookback_scan_determinismE0ELb1ES3_N6thrust23THRUST_200600_302600_NS6detail15normal_iteratorINS9_10device_ptrIiEEEENSB_INSC_IsEEEESG_sNS9_4plusIvEENS9_8equal_toIvEEsEE10hipError_tPvRmT2_T3_T4_T5_mT6_T7_P12ihipStream_tbENKUlT_T0_E_clISt17integral_constantIbLb0EES11_EEDaSW_SX_EUlSW_E_NS1_11comp_targetILNS1_3genE0ELNS1_11target_archE4294967295ELNS1_3gpuE0ELNS1_3repE0EEENS1_30default_config_static_selectorELNS0_4arch9wavefront6targetE0EEEvT1_
		.amdhsa_group_segment_fixed_size 0
		.amdhsa_private_segment_fixed_size 0
		.amdhsa_kernarg_size 112
		.amdhsa_user_sgpr_count 6
		.amdhsa_user_sgpr_private_segment_buffer 1
		.amdhsa_user_sgpr_dispatch_ptr 0
		.amdhsa_user_sgpr_queue_ptr 0
		.amdhsa_user_sgpr_kernarg_segment_ptr 1
		.amdhsa_user_sgpr_dispatch_id 0
		.amdhsa_user_sgpr_flat_scratch_init 0
		.amdhsa_user_sgpr_private_segment_size 0
		.amdhsa_wavefront_size32 1
		.amdhsa_uses_dynamic_stack 0
		.amdhsa_system_sgpr_private_segment_wavefront_offset 0
		.amdhsa_system_sgpr_workgroup_id_x 1
		.amdhsa_system_sgpr_workgroup_id_y 0
		.amdhsa_system_sgpr_workgroup_id_z 0
		.amdhsa_system_sgpr_workgroup_info 0
		.amdhsa_system_vgpr_workitem_id 0
		.amdhsa_next_free_vgpr 1
		.amdhsa_next_free_sgpr 1
		.amdhsa_reserve_vcc 0
		.amdhsa_reserve_flat_scratch 0
		.amdhsa_float_round_mode_32 0
		.amdhsa_float_round_mode_16_64 0
		.amdhsa_float_denorm_mode_32 3
		.amdhsa_float_denorm_mode_16_64 3
		.amdhsa_dx10_clamp 1
		.amdhsa_ieee_mode 1
		.amdhsa_fp16_overflow 0
		.amdhsa_workgroup_processor_mode 1
		.amdhsa_memory_ordered 1
		.amdhsa_forward_progress 1
		.amdhsa_shared_vgpr_count 0
		.amdhsa_exception_fp_ieee_invalid_op 0
		.amdhsa_exception_fp_denorm_src 0
		.amdhsa_exception_fp_ieee_div_zero 0
		.amdhsa_exception_fp_ieee_overflow 0
		.amdhsa_exception_fp_ieee_underflow 0
		.amdhsa_exception_fp_ieee_inexact 0
		.amdhsa_exception_int_div_zero 0
	.end_amdhsa_kernel
	.section	.text._ZN7rocprim17ROCPRIM_400000_NS6detail17trampoline_kernelINS0_14default_configENS1_27scan_by_key_config_selectorIisEEZZNS1_16scan_by_key_implILNS1_25lookback_scan_determinismE0ELb1ES3_N6thrust23THRUST_200600_302600_NS6detail15normal_iteratorINS9_10device_ptrIiEEEENSB_INSC_IsEEEESG_sNS9_4plusIvEENS9_8equal_toIvEEsEE10hipError_tPvRmT2_T3_T4_T5_mT6_T7_P12ihipStream_tbENKUlT_T0_E_clISt17integral_constantIbLb0EES11_EEDaSW_SX_EUlSW_E_NS1_11comp_targetILNS1_3genE0ELNS1_11target_archE4294967295ELNS1_3gpuE0ELNS1_3repE0EEENS1_30default_config_static_selectorELNS0_4arch9wavefront6targetE0EEEvT1_,"axG",@progbits,_ZN7rocprim17ROCPRIM_400000_NS6detail17trampoline_kernelINS0_14default_configENS1_27scan_by_key_config_selectorIisEEZZNS1_16scan_by_key_implILNS1_25lookback_scan_determinismE0ELb1ES3_N6thrust23THRUST_200600_302600_NS6detail15normal_iteratorINS9_10device_ptrIiEEEENSB_INSC_IsEEEESG_sNS9_4plusIvEENS9_8equal_toIvEEsEE10hipError_tPvRmT2_T3_T4_T5_mT6_T7_P12ihipStream_tbENKUlT_T0_E_clISt17integral_constantIbLb0EES11_EEDaSW_SX_EUlSW_E_NS1_11comp_targetILNS1_3genE0ELNS1_11target_archE4294967295ELNS1_3gpuE0ELNS1_3repE0EEENS1_30default_config_static_selectorELNS0_4arch9wavefront6targetE0EEEvT1_,comdat
.Lfunc_end1607:
	.size	_ZN7rocprim17ROCPRIM_400000_NS6detail17trampoline_kernelINS0_14default_configENS1_27scan_by_key_config_selectorIisEEZZNS1_16scan_by_key_implILNS1_25lookback_scan_determinismE0ELb1ES3_N6thrust23THRUST_200600_302600_NS6detail15normal_iteratorINS9_10device_ptrIiEEEENSB_INSC_IsEEEESG_sNS9_4plusIvEENS9_8equal_toIvEEsEE10hipError_tPvRmT2_T3_T4_T5_mT6_T7_P12ihipStream_tbENKUlT_T0_E_clISt17integral_constantIbLb0EES11_EEDaSW_SX_EUlSW_E_NS1_11comp_targetILNS1_3genE0ELNS1_11target_archE4294967295ELNS1_3gpuE0ELNS1_3repE0EEENS1_30default_config_static_selectorELNS0_4arch9wavefront6targetE0EEEvT1_, .Lfunc_end1607-_ZN7rocprim17ROCPRIM_400000_NS6detail17trampoline_kernelINS0_14default_configENS1_27scan_by_key_config_selectorIisEEZZNS1_16scan_by_key_implILNS1_25lookback_scan_determinismE0ELb1ES3_N6thrust23THRUST_200600_302600_NS6detail15normal_iteratorINS9_10device_ptrIiEEEENSB_INSC_IsEEEESG_sNS9_4plusIvEENS9_8equal_toIvEEsEE10hipError_tPvRmT2_T3_T4_T5_mT6_T7_P12ihipStream_tbENKUlT_T0_E_clISt17integral_constantIbLb0EES11_EEDaSW_SX_EUlSW_E_NS1_11comp_targetILNS1_3genE0ELNS1_11target_archE4294967295ELNS1_3gpuE0ELNS1_3repE0EEENS1_30default_config_static_selectorELNS0_4arch9wavefront6targetE0EEEvT1_
                                        ; -- End function
	.set _ZN7rocprim17ROCPRIM_400000_NS6detail17trampoline_kernelINS0_14default_configENS1_27scan_by_key_config_selectorIisEEZZNS1_16scan_by_key_implILNS1_25lookback_scan_determinismE0ELb1ES3_N6thrust23THRUST_200600_302600_NS6detail15normal_iteratorINS9_10device_ptrIiEEEENSB_INSC_IsEEEESG_sNS9_4plusIvEENS9_8equal_toIvEEsEE10hipError_tPvRmT2_T3_T4_T5_mT6_T7_P12ihipStream_tbENKUlT_T0_E_clISt17integral_constantIbLb0EES11_EEDaSW_SX_EUlSW_E_NS1_11comp_targetILNS1_3genE0ELNS1_11target_archE4294967295ELNS1_3gpuE0ELNS1_3repE0EEENS1_30default_config_static_selectorELNS0_4arch9wavefront6targetE0EEEvT1_.num_vgpr, 0
	.set _ZN7rocprim17ROCPRIM_400000_NS6detail17trampoline_kernelINS0_14default_configENS1_27scan_by_key_config_selectorIisEEZZNS1_16scan_by_key_implILNS1_25lookback_scan_determinismE0ELb1ES3_N6thrust23THRUST_200600_302600_NS6detail15normal_iteratorINS9_10device_ptrIiEEEENSB_INSC_IsEEEESG_sNS9_4plusIvEENS9_8equal_toIvEEsEE10hipError_tPvRmT2_T3_T4_T5_mT6_T7_P12ihipStream_tbENKUlT_T0_E_clISt17integral_constantIbLb0EES11_EEDaSW_SX_EUlSW_E_NS1_11comp_targetILNS1_3genE0ELNS1_11target_archE4294967295ELNS1_3gpuE0ELNS1_3repE0EEENS1_30default_config_static_selectorELNS0_4arch9wavefront6targetE0EEEvT1_.num_agpr, 0
	.set _ZN7rocprim17ROCPRIM_400000_NS6detail17trampoline_kernelINS0_14default_configENS1_27scan_by_key_config_selectorIisEEZZNS1_16scan_by_key_implILNS1_25lookback_scan_determinismE0ELb1ES3_N6thrust23THRUST_200600_302600_NS6detail15normal_iteratorINS9_10device_ptrIiEEEENSB_INSC_IsEEEESG_sNS9_4plusIvEENS9_8equal_toIvEEsEE10hipError_tPvRmT2_T3_T4_T5_mT6_T7_P12ihipStream_tbENKUlT_T0_E_clISt17integral_constantIbLb0EES11_EEDaSW_SX_EUlSW_E_NS1_11comp_targetILNS1_3genE0ELNS1_11target_archE4294967295ELNS1_3gpuE0ELNS1_3repE0EEENS1_30default_config_static_selectorELNS0_4arch9wavefront6targetE0EEEvT1_.numbered_sgpr, 0
	.set _ZN7rocprim17ROCPRIM_400000_NS6detail17trampoline_kernelINS0_14default_configENS1_27scan_by_key_config_selectorIisEEZZNS1_16scan_by_key_implILNS1_25lookback_scan_determinismE0ELb1ES3_N6thrust23THRUST_200600_302600_NS6detail15normal_iteratorINS9_10device_ptrIiEEEENSB_INSC_IsEEEESG_sNS9_4plusIvEENS9_8equal_toIvEEsEE10hipError_tPvRmT2_T3_T4_T5_mT6_T7_P12ihipStream_tbENKUlT_T0_E_clISt17integral_constantIbLb0EES11_EEDaSW_SX_EUlSW_E_NS1_11comp_targetILNS1_3genE0ELNS1_11target_archE4294967295ELNS1_3gpuE0ELNS1_3repE0EEENS1_30default_config_static_selectorELNS0_4arch9wavefront6targetE0EEEvT1_.num_named_barrier, 0
	.set _ZN7rocprim17ROCPRIM_400000_NS6detail17trampoline_kernelINS0_14default_configENS1_27scan_by_key_config_selectorIisEEZZNS1_16scan_by_key_implILNS1_25lookback_scan_determinismE0ELb1ES3_N6thrust23THRUST_200600_302600_NS6detail15normal_iteratorINS9_10device_ptrIiEEEENSB_INSC_IsEEEESG_sNS9_4plusIvEENS9_8equal_toIvEEsEE10hipError_tPvRmT2_T3_T4_T5_mT6_T7_P12ihipStream_tbENKUlT_T0_E_clISt17integral_constantIbLb0EES11_EEDaSW_SX_EUlSW_E_NS1_11comp_targetILNS1_3genE0ELNS1_11target_archE4294967295ELNS1_3gpuE0ELNS1_3repE0EEENS1_30default_config_static_selectorELNS0_4arch9wavefront6targetE0EEEvT1_.private_seg_size, 0
	.set _ZN7rocprim17ROCPRIM_400000_NS6detail17trampoline_kernelINS0_14default_configENS1_27scan_by_key_config_selectorIisEEZZNS1_16scan_by_key_implILNS1_25lookback_scan_determinismE0ELb1ES3_N6thrust23THRUST_200600_302600_NS6detail15normal_iteratorINS9_10device_ptrIiEEEENSB_INSC_IsEEEESG_sNS9_4plusIvEENS9_8equal_toIvEEsEE10hipError_tPvRmT2_T3_T4_T5_mT6_T7_P12ihipStream_tbENKUlT_T0_E_clISt17integral_constantIbLb0EES11_EEDaSW_SX_EUlSW_E_NS1_11comp_targetILNS1_3genE0ELNS1_11target_archE4294967295ELNS1_3gpuE0ELNS1_3repE0EEENS1_30default_config_static_selectorELNS0_4arch9wavefront6targetE0EEEvT1_.uses_vcc, 0
	.set _ZN7rocprim17ROCPRIM_400000_NS6detail17trampoline_kernelINS0_14default_configENS1_27scan_by_key_config_selectorIisEEZZNS1_16scan_by_key_implILNS1_25lookback_scan_determinismE0ELb1ES3_N6thrust23THRUST_200600_302600_NS6detail15normal_iteratorINS9_10device_ptrIiEEEENSB_INSC_IsEEEESG_sNS9_4plusIvEENS9_8equal_toIvEEsEE10hipError_tPvRmT2_T3_T4_T5_mT6_T7_P12ihipStream_tbENKUlT_T0_E_clISt17integral_constantIbLb0EES11_EEDaSW_SX_EUlSW_E_NS1_11comp_targetILNS1_3genE0ELNS1_11target_archE4294967295ELNS1_3gpuE0ELNS1_3repE0EEENS1_30default_config_static_selectorELNS0_4arch9wavefront6targetE0EEEvT1_.uses_flat_scratch, 0
	.set _ZN7rocprim17ROCPRIM_400000_NS6detail17trampoline_kernelINS0_14default_configENS1_27scan_by_key_config_selectorIisEEZZNS1_16scan_by_key_implILNS1_25lookback_scan_determinismE0ELb1ES3_N6thrust23THRUST_200600_302600_NS6detail15normal_iteratorINS9_10device_ptrIiEEEENSB_INSC_IsEEEESG_sNS9_4plusIvEENS9_8equal_toIvEEsEE10hipError_tPvRmT2_T3_T4_T5_mT6_T7_P12ihipStream_tbENKUlT_T0_E_clISt17integral_constantIbLb0EES11_EEDaSW_SX_EUlSW_E_NS1_11comp_targetILNS1_3genE0ELNS1_11target_archE4294967295ELNS1_3gpuE0ELNS1_3repE0EEENS1_30default_config_static_selectorELNS0_4arch9wavefront6targetE0EEEvT1_.has_dyn_sized_stack, 0
	.set _ZN7rocprim17ROCPRIM_400000_NS6detail17trampoline_kernelINS0_14default_configENS1_27scan_by_key_config_selectorIisEEZZNS1_16scan_by_key_implILNS1_25lookback_scan_determinismE0ELb1ES3_N6thrust23THRUST_200600_302600_NS6detail15normal_iteratorINS9_10device_ptrIiEEEENSB_INSC_IsEEEESG_sNS9_4plusIvEENS9_8equal_toIvEEsEE10hipError_tPvRmT2_T3_T4_T5_mT6_T7_P12ihipStream_tbENKUlT_T0_E_clISt17integral_constantIbLb0EES11_EEDaSW_SX_EUlSW_E_NS1_11comp_targetILNS1_3genE0ELNS1_11target_archE4294967295ELNS1_3gpuE0ELNS1_3repE0EEENS1_30default_config_static_selectorELNS0_4arch9wavefront6targetE0EEEvT1_.has_recursion, 0
	.set _ZN7rocprim17ROCPRIM_400000_NS6detail17trampoline_kernelINS0_14default_configENS1_27scan_by_key_config_selectorIisEEZZNS1_16scan_by_key_implILNS1_25lookback_scan_determinismE0ELb1ES3_N6thrust23THRUST_200600_302600_NS6detail15normal_iteratorINS9_10device_ptrIiEEEENSB_INSC_IsEEEESG_sNS9_4plusIvEENS9_8equal_toIvEEsEE10hipError_tPvRmT2_T3_T4_T5_mT6_T7_P12ihipStream_tbENKUlT_T0_E_clISt17integral_constantIbLb0EES11_EEDaSW_SX_EUlSW_E_NS1_11comp_targetILNS1_3genE0ELNS1_11target_archE4294967295ELNS1_3gpuE0ELNS1_3repE0EEENS1_30default_config_static_selectorELNS0_4arch9wavefront6targetE0EEEvT1_.has_indirect_call, 0
	.section	.AMDGPU.csdata,"",@progbits
; Kernel info:
; codeLenInByte = 0
; TotalNumSgprs: 0
; NumVgprs: 0
; ScratchSize: 0
; MemoryBound: 0
; FloatMode: 240
; IeeeMode: 1
; LDSByteSize: 0 bytes/workgroup (compile time only)
; SGPRBlocks: 0
; VGPRBlocks: 0
; NumSGPRsForWavesPerEU: 1
; NumVGPRsForWavesPerEU: 1
; Occupancy: 16
; WaveLimiterHint : 0
; COMPUTE_PGM_RSRC2:SCRATCH_EN: 0
; COMPUTE_PGM_RSRC2:USER_SGPR: 6
; COMPUTE_PGM_RSRC2:TRAP_HANDLER: 0
; COMPUTE_PGM_RSRC2:TGID_X_EN: 1
; COMPUTE_PGM_RSRC2:TGID_Y_EN: 0
; COMPUTE_PGM_RSRC2:TGID_Z_EN: 0
; COMPUTE_PGM_RSRC2:TIDIG_COMP_CNT: 0
	.section	.text._ZN7rocprim17ROCPRIM_400000_NS6detail17trampoline_kernelINS0_14default_configENS1_27scan_by_key_config_selectorIisEEZZNS1_16scan_by_key_implILNS1_25lookback_scan_determinismE0ELb1ES3_N6thrust23THRUST_200600_302600_NS6detail15normal_iteratorINS9_10device_ptrIiEEEENSB_INSC_IsEEEESG_sNS9_4plusIvEENS9_8equal_toIvEEsEE10hipError_tPvRmT2_T3_T4_T5_mT6_T7_P12ihipStream_tbENKUlT_T0_E_clISt17integral_constantIbLb0EES11_EEDaSW_SX_EUlSW_E_NS1_11comp_targetILNS1_3genE10ELNS1_11target_archE1201ELNS1_3gpuE5ELNS1_3repE0EEENS1_30default_config_static_selectorELNS0_4arch9wavefront6targetE0EEEvT1_,"axG",@progbits,_ZN7rocprim17ROCPRIM_400000_NS6detail17trampoline_kernelINS0_14default_configENS1_27scan_by_key_config_selectorIisEEZZNS1_16scan_by_key_implILNS1_25lookback_scan_determinismE0ELb1ES3_N6thrust23THRUST_200600_302600_NS6detail15normal_iteratorINS9_10device_ptrIiEEEENSB_INSC_IsEEEESG_sNS9_4plusIvEENS9_8equal_toIvEEsEE10hipError_tPvRmT2_T3_T4_T5_mT6_T7_P12ihipStream_tbENKUlT_T0_E_clISt17integral_constantIbLb0EES11_EEDaSW_SX_EUlSW_E_NS1_11comp_targetILNS1_3genE10ELNS1_11target_archE1201ELNS1_3gpuE5ELNS1_3repE0EEENS1_30default_config_static_selectorELNS0_4arch9wavefront6targetE0EEEvT1_,comdat
	.protected	_ZN7rocprim17ROCPRIM_400000_NS6detail17trampoline_kernelINS0_14default_configENS1_27scan_by_key_config_selectorIisEEZZNS1_16scan_by_key_implILNS1_25lookback_scan_determinismE0ELb1ES3_N6thrust23THRUST_200600_302600_NS6detail15normal_iteratorINS9_10device_ptrIiEEEENSB_INSC_IsEEEESG_sNS9_4plusIvEENS9_8equal_toIvEEsEE10hipError_tPvRmT2_T3_T4_T5_mT6_T7_P12ihipStream_tbENKUlT_T0_E_clISt17integral_constantIbLb0EES11_EEDaSW_SX_EUlSW_E_NS1_11comp_targetILNS1_3genE10ELNS1_11target_archE1201ELNS1_3gpuE5ELNS1_3repE0EEENS1_30default_config_static_selectorELNS0_4arch9wavefront6targetE0EEEvT1_ ; -- Begin function _ZN7rocprim17ROCPRIM_400000_NS6detail17trampoline_kernelINS0_14default_configENS1_27scan_by_key_config_selectorIisEEZZNS1_16scan_by_key_implILNS1_25lookback_scan_determinismE0ELb1ES3_N6thrust23THRUST_200600_302600_NS6detail15normal_iteratorINS9_10device_ptrIiEEEENSB_INSC_IsEEEESG_sNS9_4plusIvEENS9_8equal_toIvEEsEE10hipError_tPvRmT2_T3_T4_T5_mT6_T7_P12ihipStream_tbENKUlT_T0_E_clISt17integral_constantIbLb0EES11_EEDaSW_SX_EUlSW_E_NS1_11comp_targetILNS1_3genE10ELNS1_11target_archE1201ELNS1_3gpuE5ELNS1_3repE0EEENS1_30default_config_static_selectorELNS0_4arch9wavefront6targetE0EEEvT1_
	.globl	_ZN7rocprim17ROCPRIM_400000_NS6detail17trampoline_kernelINS0_14default_configENS1_27scan_by_key_config_selectorIisEEZZNS1_16scan_by_key_implILNS1_25lookback_scan_determinismE0ELb1ES3_N6thrust23THRUST_200600_302600_NS6detail15normal_iteratorINS9_10device_ptrIiEEEENSB_INSC_IsEEEESG_sNS9_4plusIvEENS9_8equal_toIvEEsEE10hipError_tPvRmT2_T3_T4_T5_mT6_T7_P12ihipStream_tbENKUlT_T0_E_clISt17integral_constantIbLb0EES11_EEDaSW_SX_EUlSW_E_NS1_11comp_targetILNS1_3genE10ELNS1_11target_archE1201ELNS1_3gpuE5ELNS1_3repE0EEENS1_30default_config_static_selectorELNS0_4arch9wavefront6targetE0EEEvT1_
	.p2align	8
	.type	_ZN7rocprim17ROCPRIM_400000_NS6detail17trampoline_kernelINS0_14default_configENS1_27scan_by_key_config_selectorIisEEZZNS1_16scan_by_key_implILNS1_25lookback_scan_determinismE0ELb1ES3_N6thrust23THRUST_200600_302600_NS6detail15normal_iteratorINS9_10device_ptrIiEEEENSB_INSC_IsEEEESG_sNS9_4plusIvEENS9_8equal_toIvEEsEE10hipError_tPvRmT2_T3_T4_T5_mT6_T7_P12ihipStream_tbENKUlT_T0_E_clISt17integral_constantIbLb0EES11_EEDaSW_SX_EUlSW_E_NS1_11comp_targetILNS1_3genE10ELNS1_11target_archE1201ELNS1_3gpuE5ELNS1_3repE0EEENS1_30default_config_static_selectorELNS0_4arch9wavefront6targetE0EEEvT1_,@function
_ZN7rocprim17ROCPRIM_400000_NS6detail17trampoline_kernelINS0_14default_configENS1_27scan_by_key_config_selectorIisEEZZNS1_16scan_by_key_implILNS1_25lookback_scan_determinismE0ELb1ES3_N6thrust23THRUST_200600_302600_NS6detail15normal_iteratorINS9_10device_ptrIiEEEENSB_INSC_IsEEEESG_sNS9_4plusIvEENS9_8equal_toIvEEsEE10hipError_tPvRmT2_T3_T4_T5_mT6_T7_P12ihipStream_tbENKUlT_T0_E_clISt17integral_constantIbLb0EES11_EEDaSW_SX_EUlSW_E_NS1_11comp_targetILNS1_3genE10ELNS1_11target_archE1201ELNS1_3gpuE5ELNS1_3repE0EEENS1_30default_config_static_selectorELNS0_4arch9wavefront6targetE0EEEvT1_: ; @_ZN7rocprim17ROCPRIM_400000_NS6detail17trampoline_kernelINS0_14default_configENS1_27scan_by_key_config_selectorIisEEZZNS1_16scan_by_key_implILNS1_25lookback_scan_determinismE0ELb1ES3_N6thrust23THRUST_200600_302600_NS6detail15normal_iteratorINS9_10device_ptrIiEEEENSB_INSC_IsEEEESG_sNS9_4plusIvEENS9_8equal_toIvEEsEE10hipError_tPvRmT2_T3_T4_T5_mT6_T7_P12ihipStream_tbENKUlT_T0_E_clISt17integral_constantIbLb0EES11_EEDaSW_SX_EUlSW_E_NS1_11comp_targetILNS1_3genE10ELNS1_11target_archE1201ELNS1_3gpuE5ELNS1_3repE0EEENS1_30default_config_static_selectorELNS0_4arch9wavefront6targetE0EEEvT1_
; %bb.0:
	.section	.rodata,"a",@progbits
	.p2align	6, 0x0
	.amdhsa_kernel _ZN7rocprim17ROCPRIM_400000_NS6detail17trampoline_kernelINS0_14default_configENS1_27scan_by_key_config_selectorIisEEZZNS1_16scan_by_key_implILNS1_25lookback_scan_determinismE0ELb1ES3_N6thrust23THRUST_200600_302600_NS6detail15normal_iteratorINS9_10device_ptrIiEEEENSB_INSC_IsEEEESG_sNS9_4plusIvEENS9_8equal_toIvEEsEE10hipError_tPvRmT2_T3_T4_T5_mT6_T7_P12ihipStream_tbENKUlT_T0_E_clISt17integral_constantIbLb0EES11_EEDaSW_SX_EUlSW_E_NS1_11comp_targetILNS1_3genE10ELNS1_11target_archE1201ELNS1_3gpuE5ELNS1_3repE0EEENS1_30default_config_static_selectorELNS0_4arch9wavefront6targetE0EEEvT1_
		.amdhsa_group_segment_fixed_size 0
		.amdhsa_private_segment_fixed_size 0
		.amdhsa_kernarg_size 112
		.amdhsa_user_sgpr_count 6
		.amdhsa_user_sgpr_private_segment_buffer 1
		.amdhsa_user_sgpr_dispatch_ptr 0
		.amdhsa_user_sgpr_queue_ptr 0
		.amdhsa_user_sgpr_kernarg_segment_ptr 1
		.amdhsa_user_sgpr_dispatch_id 0
		.amdhsa_user_sgpr_flat_scratch_init 0
		.amdhsa_user_sgpr_private_segment_size 0
		.amdhsa_wavefront_size32 1
		.amdhsa_uses_dynamic_stack 0
		.amdhsa_system_sgpr_private_segment_wavefront_offset 0
		.amdhsa_system_sgpr_workgroup_id_x 1
		.amdhsa_system_sgpr_workgroup_id_y 0
		.amdhsa_system_sgpr_workgroup_id_z 0
		.amdhsa_system_sgpr_workgroup_info 0
		.amdhsa_system_vgpr_workitem_id 0
		.amdhsa_next_free_vgpr 1
		.amdhsa_next_free_sgpr 1
		.amdhsa_reserve_vcc 0
		.amdhsa_reserve_flat_scratch 0
		.amdhsa_float_round_mode_32 0
		.amdhsa_float_round_mode_16_64 0
		.amdhsa_float_denorm_mode_32 3
		.amdhsa_float_denorm_mode_16_64 3
		.amdhsa_dx10_clamp 1
		.amdhsa_ieee_mode 1
		.amdhsa_fp16_overflow 0
		.amdhsa_workgroup_processor_mode 1
		.amdhsa_memory_ordered 1
		.amdhsa_forward_progress 1
		.amdhsa_shared_vgpr_count 0
		.amdhsa_exception_fp_ieee_invalid_op 0
		.amdhsa_exception_fp_denorm_src 0
		.amdhsa_exception_fp_ieee_div_zero 0
		.amdhsa_exception_fp_ieee_overflow 0
		.amdhsa_exception_fp_ieee_underflow 0
		.amdhsa_exception_fp_ieee_inexact 0
		.amdhsa_exception_int_div_zero 0
	.end_amdhsa_kernel
	.section	.text._ZN7rocprim17ROCPRIM_400000_NS6detail17trampoline_kernelINS0_14default_configENS1_27scan_by_key_config_selectorIisEEZZNS1_16scan_by_key_implILNS1_25lookback_scan_determinismE0ELb1ES3_N6thrust23THRUST_200600_302600_NS6detail15normal_iteratorINS9_10device_ptrIiEEEENSB_INSC_IsEEEESG_sNS9_4plusIvEENS9_8equal_toIvEEsEE10hipError_tPvRmT2_T3_T4_T5_mT6_T7_P12ihipStream_tbENKUlT_T0_E_clISt17integral_constantIbLb0EES11_EEDaSW_SX_EUlSW_E_NS1_11comp_targetILNS1_3genE10ELNS1_11target_archE1201ELNS1_3gpuE5ELNS1_3repE0EEENS1_30default_config_static_selectorELNS0_4arch9wavefront6targetE0EEEvT1_,"axG",@progbits,_ZN7rocprim17ROCPRIM_400000_NS6detail17trampoline_kernelINS0_14default_configENS1_27scan_by_key_config_selectorIisEEZZNS1_16scan_by_key_implILNS1_25lookback_scan_determinismE0ELb1ES3_N6thrust23THRUST_200600_302600_NS6detail15normal_iteratorINS9_10device_ptrIiEEEENSB_INSC_IsEEEESG_sNS9_4plusIvEENS9_8equal_toIvEEsEE10hipError_tPvRmT2_T3_T4_T5_mT6_T7_P12ihipStream_tbENKUlT_T0_E_clISt17integral_constantIbLb0EES11_EEDaSW_SX_EUlSW_E_NS1_11comp_targetILNS1_3genE10ELNS1_11target_archE1201ELNS1_3gpuE5ELNS1_3repE0EEENS1_30default_config_static_selectorELNS0_4arch9wavefront6targetE0EEEvT1_,comdat
.Lfunc_end1608:
	.size	_ZN7rocprim17ROCPRIM_400000_NS6detail17trampoline_kernelINS0_14default_configENS1_27scan_by_key_config_selectorIisEEZZNS1_16scan_by_key_implILNS1_25lookback_scan_determinismE0ELb1ES3_N6thrust23THRUST_200600_302600_NS6detail15normal_iteratorINS9_10device_ptrIiEEEENSB_INSC_IsEEEESG_sNS9_4plusIvEENS9_8equal_toIvEEsEE10hipError_tPvRmT2_T3_T4_T5_mT6_T7_P12ihipStream_tbENKUlT_T0_E_clISt17integral_constantIbLb0EES11_EEDaSW_SX_EUlSW_E_NS1_11comp_targetILNS1_3genE10ELNS1_11target_archE1201ELNS1_3gpuE5ELNS1_3repE0EEENS1_30default_config_static_selectorELNS0_4arch9wavefront6targetE0EEEvT1_, .Lfunc_end1608-_ZN7rocprim17ROCPRIM_400000_NS6detail17trampoline_kernelINS0_14default_configENS1_27scan_by_key_config_selectorIisEEZZNS1_16scan_by_key_implILNS1_25lookback_scan_determinismE0ELb1ES3_N6thrust23THRUST_200600_302600_NS6detail15normal_iteratorINS9_10device_ptrIiEEEENSB_INSC_IsEEEESG_sNS9_4plusIvEENS9_8equal_toIvEEsEE10hipError_tPvRmT2_T3_T4_T5_mT6_T7_P12ihipStream_tbENKUlT_T0_E_clISt17integral_constantIbLb0EES11_EEDaSW_SX_EUlSW_E_NS1_11comp_targetILNS1_3genE10ELNS1_11target_archE1201ELNS1_3gpuE5ELNS1_3repE0EEENS1_30default_config_static_selectorELNS0_4arch9wavefront6targetE0EEEvT1_
                                        ; -- End function
	.set _ZN7rocprim17ROCPRIM_400000_NS6detail17trampoline_kernelINS0_14default_configENS1_27scan_by_key_config_selectorIisEEZZNS1_16scan_by_key_implILNS1_25lookback_scan_determinismE0ELb1ES3_N6thrust23THRUST_200600_302600_NS6detail15normal_iteratorINS9_10device_ptrIiEEEENSB_INSC_IsEEEESG_sNS9_4plusIvEENS9_8equal_toIvEEsEE10hipError_tPvRmT2_T3_T4_T5_mT6_T7_P12ihipStream_tbENKUlT_T0_E_clISt17integral_constantIbLb0EES11_EEDaSW_SX_EUlSW_E_NS1_11comp_targetILNS1_3genE10ELNS1_11target_archE1201ELNS1_3gpuE5ELNS1_3repE0EEENS1_30default_config_static_selectorELNS0_4arch9wavefront6targetE0EEEvT1_.num_vgpr, 0
	.set _ZN7rocprim17ROCPRIM_400000_NS6detail17trampoline_kernelINS0_14default_configENS1_27scan_by_key_config_selectorIisEEZZNS1_16scan_by_key_implILNS1_25lookback_scan_determinismE0ELb1ES3_N6thrust23THRUST_200600_302600_NS6detail15normal_iteratorINS9_10device_ptrIiEEEENSB_INSC_IsEEEESG_sNS9_4plusIvEENS9_8equal_toIvEEsEE10hipError_tPvRmT2_T3_T4_T5_mT6_T7_P12ihipStream_tbENKUlT_T0_E_clISt17integral_constantIbLb0EES11_EEDaSW_SX_EUlSW_E_NS1_11comp_targetILNS1_3genE10ELNS1_11target_archE1201ELNS1_3gpuE5ELNS1_3repE0EEENS1_30default_config_static_selectorELNS0_4arch9wavefront6targetE0EEEvT1_.num_agpr, 0
	.set _ZN7rocprim17ROCPRIM_400000_NS6detail17trampoline_kernelINS0_14default_configENS1_27scan_by_key_config_selectorIisEEZZNS1_16scan_by_key_implILNS1_25lookback_scan_determinismE0ELb1ES3_N6thrust23THRUST_200600_302600_NS6detail15normal_iteratorINS9_10device_ptrIiEEEENSB_INSC_IsEEEESG_sNS9_4plusIvEENS9_8equal_toIvEEsEE10hipError_tPvRmT2_T3_T4_T5_mT6_T7_P12ihipStream_tbENKUlT_T0_E_clISt17integral_constantIbLb0EES11_EEDaSW_SX_EUlSW_E_NS1_11comp_targetILNS1_3genE10ELNS1_11target_archE1201ELNS1_3gpuE5ELNS1_3repE0EEENS1_30default_config_static_selectorELNS0_4arch9wavefront6targetE0EEEvT1_.numbered_sgpr, 0
	.set _ZN7rocprim17ROCPRIM_400000_NS6detail17trampoline_kernelINS0_14default_configENS1_27scan_by_key_config_selectorIisEEZZNS1_16scan_by_key_implILNS1_25lookback_scan_determinismE0ELb1ES3_N6thrust23THRUST_200600_302600_NS6detail15normal_iteratorINS9_10device_ptrIiEEEENSB_INSC_IsEEEESG_sNS9_4plusIvEENS9_8equal_toIvEEsEE10hipError_tPvRmT2_T3_T4_T5_mT6_T7_P12ihipStream_tbENKUlT_T0_E_clISt17integral_constantIbLb0EES11_EEDaSW_SX_EUlSW_E_NS1_11comp_targetILNS1_3genE10ELNS1_11target_archE1201ELNS1_3gpuE5ELNS1_3repE0EEENS1_30default_config_static_selectorELNS0_4arch9wavefront6targetE0EEEvT1_.num_named_barrier, 0
	.set _ZN7rocprim17ROCPRIM_400000_NS6detail17trampoline_kernelINS0_14default_configENS1_27scan_by_key_config_selectorIisEEZZNS1_16scan_by_key_implILNS1_25lookback_scan_determinismE0ELb1ES3_N6thrust23THRUST_200600_302600_NS6detail15normal_iteratorINS9_10device_ptrIiEEEENSB_INSC_IsEEEESG_sNS9_4plusIvEENS9_8equal_toIvEEsEE10hipError_tPvRmT2_T3_T4_T5_mT6_T7_P12ihipStream_tbENKUlT_T0_E_clISt17integral_constantIbLb0EES11_EEDaSW_SX_EUlSW_E_NS1_11comp_targetILNS1_3genE10ELNS1_11target_archE1201ELNS1_3gpuE5ELNS1_3repE0EEENS1_30default_config_static_selectorELNS0_4arch9wavefront6targetE0EEEvT1_.private_seg_size, 0
	.set _ZN7rocprim17ROCPRIM_400000_NS6detail17trampoline_kernelINS0_14default_configENS1_27scan_by_key_config_selectorIisEEZZNS1_16scan_by_key_implILNS1_25lookback_scan_determinismE0ELb1ES3_N6thrust23THRUST_200600_302600_NS6detail15normal_iteratorINS9_10device_ptrIiEEEENSB_INSC_IsEEEESG_sNS9_4plusIvEENS9_8equal_toIvEEsEE10hipError_tPvRmT2_T3_T4_T5_mT6_T7_P12ihipStream_tbENKUlT_T0_E_clISt17integral_constantIbLb0EES11_EEDaSW_SX_EUlSW_E_NS1_11comp_targetILNS1_3genE10ELNS1_11target_archE1201ELNS1_3gpuE5ELNS1_3repE0EEENS1_30default_config_static_selectorELNS0_4arch9wavefront6targetE0EEEvT1_.uses_vcc, 0
	.set _ZN7rocprim17ROCPRIM_400000_NS6detail17trampoline_kernelINS0_14default_configENS1_27scan_by_key_config_selectorIisEEZZNS1_16scan_by_key_implILNS1_25lookback_scan_determinismE0ELb1ES3_N6thrust23THRUST_200600_302600_NS6detail15normal_iteratorINS9_10device_ptrIiEEEENSB_INSC_IsEEEESG_sNS9_4plusIvEENS9_8equal_toIvEEsEE10hipError_tPvRmT2_T3_T4_T5_mT6_T7_P12ihipStream_tbENKUlT_T0_E_clISt17integral_constantIbLb0EES11_EEDaSW_SX_EUlSW_E_NS1_11comp_targetILNS1_3genE10ELNS1_11target_archE1201ELNS1_3gpuE5ELNS1_3repE0EEENS1_30default_config_static_selectorELNS0_4arch9wavefront6targetE0EEEvT1_.uses_flat_scratch, 0
	.set _ZN7rocprim17ROCPRIM_400000_NS6detail17trampoline_kernelINS0_14default_configENS1_27scan_by_key_config_selectorIisEEZZNS1_16scan_by_key_implILNS1_25lookback_scan_determinismE0ELb1ES3_N6thrust23THRUST_200600_302600_NS6detail15normal_iteratorINS9_10device_ptrIiEEEENSB_INSC_IsEEEESG_sNS9_4plusIvEENS9_8equal_toIvEEsEE10hipError_tPvRmT2_T3_T4_T5_mT6_T7_P12ihipStream_tbENKUlT_T0_E_clISt17integral_constantIbLb0EES11_EEDaSW_SX_EUlSW_E_NS1_11comp_targetILNS1_3genE10ELNS1_11target_archE1201ELNS1_3gpuE5ELNS1_3repE0EEENS1_30default_config_static_selectorELNS0_4arch9wavefront6targetE0EEEvT1_.has_dyn_sized_stack, 0
	.set _ZN7rocprim17ROCPRIM_400000_NS6detail17trampoline_kernelINS0_14default_configENS1_27scan_by_key_config_selectorIisEEZZNS1_16scan_by_key_implILNS1_25lookback_scan_determinismE0ELb1ES3_N6thrust23THRUST_200600_302600_NS6detail15normal_iteratorINS9_10device_ptrIiEEEENSB_INSC_IsEEEESG_sNS9_4plusIvEENS9_8equal_toIvEEsEE10hipError_tPvRmT2_T3_T4_T5_mT6_T7_P12ihipStream_tbENKUlT_T0_E_clISt17integral_constantIbLb0EES11_EEDaSW_SX_EUlSW_E_NS1_11comp_targetILNS1_3genE10ELNS1_11target_archE1201ELNS1_3gpuE5ELNS1_3repE0EEENS1_30default_config_static_selectorELNS0_4arch9wavefront6targetE0EEEvT1_.has_recursion, 0
	.set _ZN7rocprim17ROCPRIM_400000_NS6detail17trampoline_kernelINS0_14default_configENS1_27scan_by_key_config_selectorIisEEZZNS1_16scan_by_key_implILNS1_25lookback_scan_determinismE0ELb1ES3_N6thrust23THRUST_200600_302600_NS6detail15normal_iteratorINS9_10device_ptrIiEEEENSB_INSC_IsEEEESG_sNS9_4plusIvEENS9_8equal_toIvEEsEE10hipError_tPvRmT2_T3_T4_T5_mT6_T7_P12ihipStream_tbENKUlT_T0_E_clISt17integral_constantIbLb0EES11_EEDaSW_SX_EUlSW_E_NS1_11comp_targetILNS1_3genE10ELNS1_11target_archE1201ELNS1_3gpuE5ELNS1_3repE0EEENS1_30default_config_static_selectorELNS0_4arch9wavefront6targetE0EEEvT1_.has_indirect_call, 0
	.section	.AMDGPU.csdata,"",@progbits
; Kernel info:
; codeLenInByte = 0
; TotalNumSgprs: 0
; NumVgprs: 0
; ScratchSize: 0
; MemoryBound: 0
; FloatMode: 240
; IeeeMode: 1
; LDSByteSize: 0 bytes/workgroup (compile time only)
; SGPRBlocks: 0
; VGPRBlocks: 0
; NumSGPRsForWavesPerEU: 1
; NumVGPRsForWavesPerEU: 1
; Occupancy: 16
; WaveLimiterHint : 0
; COMPUTE_PGM_RSRC2:SCRATCH_EN: 0
; COMPUTE_PGM_RSRC2:USER_SGPR: 6
; COMPUTE_PGM_RSRC2:TRAP_HANDLER: 0
; COMPUTE_PGM_RSRC2:TGID_X_EN: 1
; COMPUTE_PGM_RSRC2:TGID_Y_EN: 0
; COMPUTE_PGM_RSRC2:TGID_Z_EN: 0
; COMPUTE_PGM_RSRC2:TIDIG_COMP_CNT: 0
	.section	.text._ZN7rocprim17ROCPRIM_400000_NS6detail17trampoline_kernelINS0_14default_configENS1_27scan_by_key_config_selectorIisEEZZNS1_16scan_by_key_implILNS1_25lookback_scan_determinismE0ELb1ES3_N6thrust23THRUST_200600_302600_NS6detail15normal_iteratorINS9_10device_ptrIiEEEENSB_INSC_IsEEEESG_sNS9_4plusIvEENS9_8equal_toIvEEsEE10hipError_tPvRmT2_T3_T4_T5_mT6_T7_P12ihipStream_tbENKUlT_T0_E_clISt17integral_constantIbLb0EES11_EEDaSW_SX_EUlSW_E_NS1_11comp_targetILNS1_3genE5ELNS1_11target_archE942ELNS1_3gpuE9ELNS1_3repE0EEENS1_30default_config_static_selectorELNS0_4arch9wavefront6targetE0EEEvT1_,"axG",@progbits,_ZN7rocprim17ROCPRIM_400000_NS6detail17trampoline_kernelINS0_14default_configENS1_27scan_by_key_config_selectorIisEEZZNS1_16scan_by_key_implILNS1_25lookback_scan_determinismE0ELb1ES3_N6thrust23THRUST_200600_302600_NS6detail15normal_iteratorINS9_10device_ptrIiEEEENSB_INSC_IsEEEESG_sNS9_4plusIvEENS9_8equal_toIvEEsEE10hipError_tPvRmT2_T3_T4_T5_mT6_T7_P12ihipStream_tbENKUlT_T0_E_clISt17integral_constantIbLb0EES11_EEDaSW_SX_EUlSW_E_NS1_11comp_targetILNS1_3genE5ELNS1_11target_archE942ELNS1_3gpuE9ELNS1_3repE0EEENS1_30default_config_static_selectorELNS0_4arch9wavefront6targetE0EEEvT1_,comdat
	.protected	_ZN7rocprim17ROCPRIM_400000_NS6detail17trampoline_kernelINS0_14default_configENS1_27scan_by_key_config_selectorIisEEZZNS1_16scan_by_key_implILNS1_25lookback_scan_determinismE0ELb1ES3_N6thrust23THRUST_200600_302600_NS6detail15normal_iteratorINS9_10device_ptrIiEEEENSB_INSC_IsEEEESG_sNS9_4plusIvEENS9_8equal_toIvEEsEE10hipError_tPvRmT2_T3_T4_T5_mT6_T7_P12ihipStream_tbENKUlT_T0_E_clISt17integral_constantIbLb0EES11_EEDaSW_SX_EUlSW_E_NS1_11comp_targetILNS1_3genE5ELNS1_11target_archE942ELNS1_3gpuE9ELNS1_3repE0EEENS1_30default_config_static_selectorELNS0_4arch9wavefront6targetE0EEEvT1_ ; -- Begin function _ZN7rocprim17ROCPRIM_400000_NS6detail17trampoline_kernelINS0_14default_configENS1_27scan_by_key_config_selectorIisEEZZNS1_16scan_by_key_implILNS1_25lookback_scan_determinismE0ELb1ES3_N6thrust23THRUST_200600_302600_NS6detail15normal_iteratorINS9_10device_ptrIiEEEENSB_INSC_IsEEEESG_sNS9_4plusIvEENS9_8equal_toIvEEsEE10hipError_tPvRmT2_T3_T4_T5_mT6_T7_P12ihipStream_tbENKUlT_T0_E_clISt17integral_constantIbLb0EES11_EEDaSW_SX_EUlSW_E_NS1_11comp_targetILNS1_3genE5ELNS1_11target_archE942ELNS1_3gpuE9ELNS1_3repE0EEENS1_30default_config_static_selectorELNS0_4arch9wavefront6targetE0EEEvT1_
	.globl	_ZN7rocprim17ROCPRIM_400000_NS6detail17trampoline_kernelINS0_14default_configENS1_27scan_by_key_config_selectorIisEEZZNS1_16scan_by_key_implILNS1_25lookback_scan_determinismE0ELb1ES3_N6thrust23THRUST_200600_302600_NS6detail15normal_iteratorINS9_10device_ptrIiEEEENSB_INSC_IsEEEESG_sNS9_4plusIvEENS9_8equal_toIvEEsEE10hipError_tPvRmT2_T3_T4_T5_mT6_T7_P12ihipStream_tbENKUlT_T0_E_clISt17integral_constantIbLb0EES11_EEDaSW_SX_EUlSW_E_NS1_11comp_targetILNS1_3genE5ELNS1_11target_archE942ELNS1_3gpuE9ELNS1_3repE0EEENS1_30default_config_static_selectorELNS0_4arch9wavefront6targetE0EEEvT1_
	.p2align	8
	.type	_ZN7rocprim17ROCPRIM_400000_NS6detail17trampoline_kernelINS0_14default_configENS1_27scan_by_key_config_selectorIisEEZZNS1_16scan_by_key_implILNS1_25lookback_scan_determinismE0ELb1ES3_N6thrust23THRUST_200600_302600_NS6detail15normal_iteratorINS9_10device_ptrIiEEEENSB_INSC_IsEEEESG_sNS9_4plusIvEENS9_8equal_toIvEEsEE10hipError_tPvRmT2_T3_T4_T5_mT6_T7_P12ihipStream_tbENKUlT_T0_E_clISt17integral_constantIbLb0EES11_EEDaSW_SX_EUlSW_E_NS1_11comp_targetILNS1_3genE5ELNS1_11target_archE942ELNS1_3gpuE9ELNS1_3repE0EEENS1_30default_config_static_selectorELNS0_4arch9wavefront6targetE0EEEvT1_,@function
_ZN7rocprim17ROCPRIM_400000_NS6detail17trampoline_kernelINS0_14default_configENS1_27scan_by_key_config_selectorIisEEZZNS1_16scan_by_key_implILNS1_25lookback_scan_determinismE0ELb1ES3_N6thrust23THRUST_200600_302600_NS6detail15normal_iteratorINS9_10device_ptrIiEEEENSB_INSC_IsEEEESG_sNS9_4plusIvEENS9_8equal_toIvEEsEE10hipError_tPvRmT2_T3_T4_T5_mT6_T7_P12ihipStream_tbENKUlT_T0_E_clISt17integral_constantIbLb0EES11_EEDaSW_SX_EUlSW_E_NS1_11comp_targetILNS1_3genE5ELNS1_11target_archE942ELNS1_3gpuE9ELNS1_3repE0EEENS1_30default_config_static_selectorELNS0_4arch9wavefront6targetE0EEEvT1_: ; @_ZN7rocprim17ROCPRIM_400000_NS6detail17trampoline_kernelINS0_14default_configENS1_27scan_by_key_config_selectorIisEEZZNS1_16scan_by_key_implILNS1_25lookback_scan_determinismE0ELb1ES3_N6thrust23THRUST_200600_302600_NS6detail15normal_iteratorINS9_10device_ptrIiEEEENSB_INSC_IsEEEESG_sNS9_4plusIvEENS9_8equal_toIvEEsEE10hipError_tPvRmT2_T3_T4_T5_mT6_T7_P12ihipStream_tbENKUlT_T0_E_clISt17integral_constantIbLb0EES11_EEDaSW_SX_EUlSW_E_NS1_11comp_targetILNS1_3genE5ELNS1_11target_archE942ELNS1_3gpuE9ELNS1_3repE0EEENS1_30default_config_static_selectorELNS0_4arch9wavefront6targetE0EEEvT1_
; %bb.0:
	.section	.rodata,"a",@progbits
	.p2align	6, 0x0
	.amdhsa_kernel _ZN7rocprim17ROCPRIM_400000_NS6detail17trampoline_kernelINS0_14default_configENS1_27scan_by_key_config_selectorIisEEZZNS1_16scan_by_key_implILNS1_25lookback_scan_determinismE0ELb1ES3_N6thrust23THRUST_200600_302600_NS6detail15normal_iteratorINS9_10device_ptrIiEEEENSB_INSC_IsEEEESG_sNS9_4plusIvEENS9_8equal_toIvEEsEE10hipError_tPvRmT2_T3_T4_T5_mT6_T7_P12ihipStream_tbENKUlT_T0_E_clISt17integral_constantIbLb0EES11_EEDaSW_SX_EUlSW_E_NS1_11comp_targetILNS1_3genE5ELNS1_11target_archE942ELNS1_3gpuE9ELNS1_3repE0EEENS1_30default_config_static_selectorELNS0_4arch9wavefront6targetE0EEEvT1_
		.amdhsa_group_segment_fixed_size 0
		.amdhsa_private_segment_fixed_size 0
		.amdhsa_kernarg_size 112
		.amdhsa_user_sgpr_count 6
		.amdhsa_user_sgpr_private_segment_buffer 1
		.amdhsa_user_sgpr_dispatch_ptr 0
		.amdhsa_user_sgpr_queue_ptr 0
		.amdhsa_user_sgpr_kernarg_segment_ptr 1
		.amdhsa_user_sgpr_dispatch_id 0
		.amdhsa_user_sgpr_flat_scratch_init 0
		.amdhsa_user_sgpr_private_segment_size 0
		.amdhsa_wavefront_size32 1
		.amdhsa_uses_dynamic_stack 0
		.amdhsa_system_sgpr_private_segment_wavefront_offset 0
		.amdhsa_system_sgpr_workgroup_id_x 1
		.amdhsa_system_sgpr_workgroup_id_y 0
		.amdhsa_system_sgpr_workgroup_id_z 0
		.amdhsa_system_sgpr_workgroup_info 0
		.amdhsa_system_vgpr_workitem_id 0
		.amdhsa_next_free_vgpr 1
		.amdhsa_next_free_sgpr 1
		.amdhsa_reserve_vcc 0
		.amdhsa_reserve_flat_scratch 0
		.amdhsa_float_round_mode_32 0
		.amdhsa_float_round_mode_16_64 0
		.amdhsa_float_denorm_mode_32 3
		.amdhsa_float_denorm_mode_16_64 3
		.amdhsa_dx10_clamp 1
		.amdhsa_ieee_mode 1
		.amdhsa_fp16_overflow 0
		.amdhsa_workgroup_processor_mode 1
		.amdhsa_memory_ordered 1
		.amdhsa_forward_progress 1
		.amdhsa_shared_vgpr_count 0
		.amdhsa_exception_fp_ieee_invalid_op 0
		.amdhsa_exception_fp_denorm_src 0
		.amdhsa_exception_fp_ieee_div_zero 0
		.amdhsa_exception_fp_ieee_overflow 0
		.amdhsa_exception_fp_ieee_underflow 0
		.amdhsa_exception_fp_ieee_inexact 0
		.amdhsa_exception_int_div_zero 0
	.end_amdhsa_kernel
	.section	.text._ZN7rocprim17ROCPRIM_400000_NS6detail17trampoline_kernelINS0_14default_configENS1_27scan_by_key_config_selectorIisEEZZNS1_16scan_by_key_implILNS1_25lookback_scan_determinismE0ELb1ES3_N6thrust23THRUST_200600_302600_NS6detail15normal_iteratorINS9_10device_ptrIiEEEENSB_INSC_IsEEEESG_sNS9_4plusIvEENS9_8equal_toIvEEsEE10hipError_tPvRmT2_T3_T4_T5_mT6_T7_P12ihipStream_tbENKUlT_T0_E_clISt17integral_constantIbLb0EES11_EEDaSW_SX_EUlSW_E_NS1_11comp_targetILNS1_3genE5ELNS1_11target_archE942ELNS1_3gpuE9ELNS1_3repE0EEENS1_30default_config_static_selectorELNS0_4arch9wavefront6targetE0EEEvT1_,"axG",@progbits,_ZN7rocprim17ROCPRIM_400000_NS6detail17trampoline_kernelINS0_14default_configENS1_27scan_by_key_config_selectorIisEEZZNS1_16scan_by_key_implILNS1_25lookback_scan_determinismE0ELb1ES3_N6thrust23THRUST_200600_302600_NS6detail15normal_iteratorINS9_10device_ptrIiEEEENSB_INSC_IsEEEESG_sNS9_4plusIvEENS9_8equal_toIvEEsEE10hipError_tPvRmT2_T3_T4_T5_mT6_T7_P12ihipStream_tbENKUlT_T0_E_clISt17integral_constantIbLb0EES11_EEDaSW_SX_EUlSW_E_NS1_11comp_targetILNS1_3genE5ELNS1_11target_archE942ELNS1_3gpuE9ELNS1_3repE0EEENS1_30default_config_static_selectorELNS0_4arch9wavefront6targetE0EEEvT1_,comdat
.Lfunc_end1609:
	.size	_ZN7rocprim17ROCPRIM_400000_NS6detail17trampoline_kernelINS0_14default_configENS1_27scan_by_key_config_selectorIisEEZZNS1_16scan_by_key_implILNS1_25lookback_scan_determinismE0ELb1ES3_N6thrust23THRUST_200600_302600_NS6detail15normal_iteratorINS9_10device_ptrIiEEEENSB_INSC_IsEEEESG_sNS9_4plusIvEENS9_8equal_toIvEEsEE10hipError_tPvRmT2_T3_T4_T5_mT6_T7_P12ihipStream_tbENKUlT_T0_E_clISt17integral_constantIbLb0EES11_EEDaSW_SX_EUlSW_E_NS1_11comp_targetILNS1_3genE5ELNS1_11target_archE942ELNS1_3gpuE9ELNS1_3repE0EEENS1_30default_config_static_selectorELNS0_4arch9wavefront6targetE0EEEvT1_, .Lfunc_end1609-_ZN7rocprim17ROCPRIM_400000_NS6detail17trampoline_kernelINS0_14default_configENS1_27scan_by_key_config_selectorIisEEZZNS1_16scan_by_key_implILNS1_25lookback_scan_determinismE0ELb1ES3_N6thrust23THRUST_200600_302600_NS6detail15normal_iteratorINS9_10device_ptrIiEEEENSB_INSC_IsEEEESG_sNS9_4plusIvEENS9_8equal_toIvEEsEE10hipError_tPvRmT2_T3_T4_T5_mT6_T7_P12ihipStream_tbENKUlT_T0_E_clISt17integral_constantIbLb0EES11_EEDaSW_SX_EUlSW_E_NS1_11comp_targetILNS1_3genE5ELNS1_11target_archE942ELNS1_3gpuE9ELNS1_3repE0EEENS1_30default_config_static_selectorELNS0_4arch9wavefront6targetE0EEEvT1_
                                        ; -- End function
	.set _ZN7rocprim17ROCPRIM_400000_NS6detail17trampoline_kernelINS0_14default_configENS1_27scan_by_key_config_selectorIisEEZZNS1_16scan_by_key_implILNS1_25lookback_scan_determinismE0ELb1ES3_N6thrust23THRUST_200600_302600_NS6detail15normal_iteratorINS9_10device_ptrIiEEEENSB_INSC_IsEEEESG_sNS9_4plusIvEENS9_8equal_toIvEEsEE10hipError_tPvRmT2_T3_T4_T5_mT6_T7_P12ihipStream_tbENKUlT_T0_E_clISt17integral_constantIbLb0EES11_EEDaSW_SX_EUlSW_E_NS1_11comp_targetILNS1_3genE5ELNS1_11target_archE942ELNS1_3gpuE9ELNS1_3repE0EEENS1_30default_config_static_selectorELNS0_4arch9wavefront6targetE0EEEvT1_.num_vgpr, 0
	.set _ZN7rocprim17ROCPRIM_400000_NS6detail17trampoline_kernelINS0_14default_configENS1_27scan_by_key_config_selectorIisEEZZNS1_16scan_by_key_implILNS1_25lookback_scan_determinismE0ELb1ES3_N6thrust23THRUST_200600_302600_NS6detail15normal_iteratorINS9_10device_ptrIiEEEENSB_INSC_IsEEEESG_sNS9_4plusIvEENS9_8equal_toIvEEsEE10hipError_tPvRmT2_T3_T4_T5_mT6_T7_P12ihipStream_tbENKUlT_T0_E_clISt17integral_constantIbLb0EES11_EEDaSW_SX_EUlSW_E_NS1_11comp_targetILNS1_3genE5ELNS1_11target_archE942ELNS1_3gpuE9ELNS1_3repE0EEENS1_30default_config_static_selectorELNS0_4arch9wavefront6targetE0EEEvT1_.num_agpr, 0
	.set _ZN7rocprim17ROCPRIM_400000_NS6detail17trampoline_kernelINS0_14default_configENS1_27scan_by_key_config_selectorIisEEZZNS1_16scan_by_key_implILNS1_25lookback_scan_determinismE0ELb1ES3_N6thrust23THRUST_200600_302600_NS6detail15normal_iteratorINS9_10device_ptrIiEEEENSB_INSC_IsEEEESG_sNS9_4plusIvEENS9_8equal_toIvEEsEE10hipError_tPvRmT2_T3_T4_T5_mT6_T7_P12ihipStream_tbENKUlT_T0_E_clISt17integral_constantIbLb0EES11_EEDaSW_SX_EUlSW_E_NS1_11comp_targetILNS1_3genE5ELNS1_11target_archE942ELNS1_3gpuE9ELNS1_3repE0EEENS1_30default_config_static_selectorELNS0_4arch9wavefront6targetE0EEEvT1_.numbered_sgpr, 0
	.set _ZN7rocprim17ROCPRIM_400000_NS6detail17trampoline_kernelINS0_14default_configENS1_27scan_by_key_config_selectorIisEEZZNS1_16scan_by_key_implILNS1_25lookback_scan_determinismE0ELb1ES3_N6thrust23THRUST_200600_302600_NS6detail15normal_iteratorINS9_10device_ptrIiEEEENSB_INSC_IsEEEESG_sNS9_4plusIvEENS9_8equal_toIvEEsEE10hipError_tPvRmT2_T3_T4_T5_mT6_T7_P12ihipStream_tbENKUlT_T0_E_clISt17integral_constantIbLb0EES11_EEDaSW_SX_EUlSW_E_NS1_11comp_targetILNS1_3genE5ELNS1_11target_archE942ELNS1_3gpuE9ELNS1_3repE0EEENS1_30default_config_static_selectorELNS0_4arch9wavefront6targetE0EEEvT1_.num_named_barrier, 0
	.set _ZN7rocprim17ROCPRIM_400000_NS6detail17trampoline_kernelINS0_14default_configENS1_27scan_by_key_config_selectorIisEEZZNS1_16scan_by_key_implILNS1_25lookback_scan_determinismE0ELb1ES3_N6thrust23THRUST_200600_302600_NS6detail15normal_iteratorINS9_10device_ptrIiEEEENSB_INSC_IsEEEESG_sNS9_4plusIvEENS9_8equal_toIvEEsEE10hipError_tPvRmT2_T3_T4_T5_mT6_T7_P12ihipStream_tbENKUlT_T0_E_clISt17integral_constantIbLb0EES11_EEDaSW_SX_EUlSW_E_NS1_11comp_targetILNS1_3genE5ELNS1_11target_archE942ELNS1_3gpuE9ELNS1_3repE0EEENS1_30default_config_static_selectorELNS0_4arch9wavefront6targetE0EEEvT1_.private_seg_size, 0
	.set _ZN7rocprim17ROCPRIM_400000_NS6detail17trampoline_kernelINS0_14default_configENS1_27scan_by_key_config_selectorIisEEZZNS1_16scan_by_key_implILNS1_25lookback_scan_determinismE0ELb1ES3_N6thrust23THRUST_200600_302600_NS6detail15normal_iteratorINS9_10device_ptrIiEEEENSB_INSC_IsEEEESG_sNS9_4plusIvEENS9_8equal_toIvEEsEE10hipError_tPvRmT2_T3_T4_T5_mT6_T7_P12ihipStream_tbENKUlT_T0_E_clISt17integral_constantIbLb0EES11_EEDaSW_SX_EUlSW_E_NS1_11comp_targetILNS1_3genE5ELNS1_11target_archE942ELNS1_3gpuE9ELNS1_3repE0EEENS1_30default_config_static_selectorELNS0_4arch9wavefront6targetE0EEEvT1_.uses_vcc, 0
	.set _ZN7rocprim17ROCPRIM_400000_NS6detail17trampoline_kernelINS0_14default_configENS1_27scan_by_key_config_selectorIisEEZZNS1_16scan_by_key_implILNS1_25lookback_scan_determinismE0ELb1ES3_N6thrust23THRUST_200600_302600_NS6detail15normal_iteratorINS9_10device_ptrIiEEEENSB_INSC_IsEEEESG_sNS9_4plusIvEENS9_8equal_toIvEEsEE10hipError_tPvRmT2_T3_T4_T5_mT6_T7_P12ihipStream_tbENKUlT_T0_E_clISt17integral_constantIbLb0EES11_EEDaSW_SX_EUlSW_E_NS1_11comp_targetILNS1_3genE5ELNS1_11target_archE942ELNS1_3gpuE9ELNS1_3repE0EEENS1_30default_config_static_selectorELNS0_4arch9wavefront6targetE0EEEvT1_.uses_flat_scratch, 0
	.set _ZN7rocprim17ROCPRIM_400000_NS6detail17trampoline_kernelINS0_14default_configENS1_27scan_by_key_config_selectorIisEEZZNS1_16scan_by_key_implILNS1_25lookback_scan_determinismE0ELb1ES3_N6thrust23THRUST_200600_302600_NS6detail15normal_iteratorINS9_10device_ptrIiEEEENSB_INSC_IsEEEESG_sNS9_4plusIvEENS9_8equal_toIvEEsEE10hipError_tPvRmT2_T3_T4_T5_mT6_T7_P12ihipStream_tbENKUlT_T0_E_clISt17integral_constantIbLb0EES11_EEDaSW_SX_EUlSW_E_NS1_11comp_targetILNS1_3genE5ELNS1_11target_archE942ELNS1_3gpuE9ELNS1_3repE0EEENS1_30default_config_static_selectorELNS0_4arch9wavefront6targetE0EEEvT1_.has_dyn_sized_stack, 0
	.set _ZN7rocprim17ROCPRIM_400000_NS6detail17trampoline_kernelINS0_14default_configENS1_27scan_by_key_config_selectorIisEEZZNS1_16scan_by_key_implILNS1_25lookback_scan_determinismE0ELb1ES3_N6thrust23THRUST_200600_302600_NS6detail15normal_iteratorINS9_10device_ptrIiEEEENSB_INSC_IsEEEESG_sNS9_4plusIvEENS9_8equal_toIvEEsEE10hipError_tPvRmT2_T3_T4_T5_mT6_T7_P12ihipStream_tbENKUlT_T0_E_clISt17integral_constantIbLb0EES11_EEDaSW_SX_EUlSW_E_NS1_11comp_targetILNS1_3genE5ELNS1_11target_archE942ELNS1_3gpuE9ELNS1_3repE0EEENS1_30default_config_static_selectorELNS0_4arch9wavefront6targetE0EEEvT1_.has_recursion, 0
	.set _ZN7rocprim17ROCPRIM_400000_NS6detail17trampoline_kernelINS0_14default_configENS1_27scan_by_key_config_selectorIisEEZZNS1_16scan_by_key_implILNS1_25lookback_scan_determinismE0ELb1ES3_N6thrust23THRUST_200600_302600_NS6detail15normal_iteratorINS9_10device_ptrIiEEEENSB_INSC_IsEEEESG_sNS9_4plusIvEENS9_8equal_toIvEEsEE10hipError_tPvRmT2_T3_T4_T5_mT6_T7_P12ihipStream_tbENKUlT_T0_E_clISt17integral_constantIbLb0EES11_EEDaSW_SX_EUlSW_E_NS1_11comp_targetILNS1_3genE5ELNS1_11target_archE942ELNS1_3gpuE9ELNS1_3repE0EEENS1_30default_config_static_selectorELNS0_4arch9wavefront6targetE0EEEvT1_.has_indirect_call, 0
	.section	.AMDGPU.csdata,"",@progbits
; Kernel info:
; codeLenInByte = 0
; TotalNumSgprs: 0
; NumVgprs: 0
; ScratchSize: 0
; MemoryBound: 0
; FloatMode: 240
; IeeeMode: 1
; LDSByteSize: 0 bytes/workgroup (compile time only)
; SGPRBlocks: 0
; VGPRBlocks: 0
; NumSGPRsForWavesPerEU: 1
; NumVGPRsForWavesPerEU: 1
; Occupancy: 16
; WaveLimiterHint : 0
; COMPUTE_PGM_RSRC2:SCRATCH_EN: 0
; COMPUTE_PGM_RSRC2:USER_SGPR: 6
; COMPUTE_PGM_RSRC2:TRAP_HANDLER: 0
; COMPUTE_PGM_RSRC2:TGID_X_EN: 1
; COMPUTE_PGM_RSRC2:TGID_Y_EN: 0
; COMPUTE_PGM_RSRC2:TGID_Z_EN: 0
; COMPUTE_PGM_RSRC2:TIDIG_COMP_CNT: 0
	.section	.text._ZN7rocprim17ROCPRIM_400000_NS6detail17trampoline_kernelINS0_14default_configENS1_27scan_by_key_config_selectorIisEEZZNS1_16scan_by_key_implILNS1_25lookback_scan_determinismE0ELb1ES3_N6thrust23THRUST_200600_302600_NS6detail15normal_iteratorINS9_10device_ptrIiEEEENSB_INSC_IsEEEESG_sNS9_4plusIvEENS9_8equal_toIvEEsEE10hipError_tPvRmT2_T3_T4_T5_mT6_T7_P12ihipStream_tbENKUlT_T0_E_clISt17integral_constantIbLb0EES11_EEDaSW_SX_EUlSW_E_NS1_11comp_targetILNS1_3genE4ELNS1_11target_archE910ELNS1_3gpuE8ELNS1_3repE0EEENS1_30default_config_static_selectorELNS0_4arch9wavefront6targetE0EEEvT1_,"axG",@progbits,_ZN7rocprim17ROCPRIM_400000_NS6detail17trampoline_kernelINS0_14default_configENS1_27scan_by_key_config_selectorIisEEZZNS1_16scan_by_key_implILNS1_25lookback_scan_determinismE0ELb1ES3_N6thrust23THRUST_200600_302600_NS6detail15normal_iteratorINS9_10device_ptrIiEEEENSB_INSC_IsEEEESG_sNS9_4plusIvEENS9_8equal_toIvEEsEE10hipError_tPvRmT2_T3_T4_T5_mT6_T7_P12ihipStream_tbENKUlT_T0_E_clISt17integral_constantIbLb0EES11_EEDaSW_SX_EUlSW_E_NS1_11comp_targetILNS1_3genE4ELNS1_11target_archE910ELNS1_3gpuE8ELNS1_3repE0EEENS1_30default_config_static_selectorELNS0_4arch9wavefront6targetE0EEEvT1_,comdat
	.protected	_ZN7rocprim17ROCPRIM_400000_NS6detail17trampoline_kernelINS0_14default_configENS1_27scan_by_key_config_selectorIisEEZZNS1_16scan_by_key_implILNS1_25lookback_scan_determinismE0ELb1ES3_N6thrust23THRUST_200600_302600_NS6detail15normal_iteratorINS9_10device_ptrIiEEEENSB_INSC_IsEEEESG_sNS9_4plusIvEENS9_8equal_toIvEEsEE10hipError_tPvRmT2_T3_T4_T5_mT6_T7_P12ihipStream_tbENKUlT_T0_E_clISt17integral_constantIbLb0EES11_EEDaSW_SX_EUlSW_E_NS1_11comp_targetILNS1_3genE4ELNS1_11target_archE910ELNS1_3gpuE8ELNS1_3repE0EEENS1_30default_config_static_selectorELNS0_4arch9wavefront6targetE0EEEvT1_ ; -- Begin function _ZN7rocprim17ROCPRIM_400000_NS6detail17trampoline_kernelINS0_14default_configENS1_27scan_by_key_config_selectorIisEEZZNS1_16scan_by_key_implILNS1_25lookback_scan_determinismE0ELb1ES3_N6thrust23THRUST_200600_302600_NS6detail15normal_iteratorINS9_10device_ptrIiEEEENSB_INSC_IsEEEESG_sNS9_4plusIvEENS9_8equal_toIvEEsEE10hipError_tPvRmT2_T3_T4_T5_mT6_T7_P12ihipStream_tbENKUlT_T0_E_clISt17integral_constantIbLb0EES11_EEDaSW_SX_EUlSW_E_NS1_11comp_targetILNS1_3genE4ELNS1_11target_archE910ELNS1_3gpuE8ELNS1_3repE0EEENS1_30default_config_static_selectorELNS0_4arch9wavefront6targetE0EEEvT1_
	.globl	_ZN7rocprim17ROCPRIM_400000_NS6detail17trampoline_kernelINS0_14default_configENS1_27scan_by_key_config_selectorIisEEZZNS1_16scan_by_key_implILNS1_25lookback_scan_determinismE0ELb1ES3_N6thrust23THRUST_200600_302600_NS6detail15normal_iteratorINS9_10device_ptrIiEEEENSB_INSC_IsEEEESG_sNS9_4plusIvEENS9_8equal_toIvEEsEE10hipError_tPvRmT2_T3_T4_T5_mT6_T7_P12ihipStream_tbENKUlT_T0_E_clISt17integral_constantIbLb0EES11_EEDaSW_SX_EUlSW_E_NS1_11comp_targetILNS1_3genE4ELNS1_11target_archE910ELNS1_3gpuE8ELNS1_3repE0EEENS1_30default_config_static_selectorELNS0_4arch9wavefront6targetE0EEEvT1_
	.p2align	8
	.type	_ZN7rocprim17ROCPRIM_400000_NS6detail17trampoline_kernelINS0_14default_configENS1_27scan_by_key_config_selectorIisEEZZNS1_16scan_by_key_implILNS1_25lookback_scan_determinismE0ELb1ES3_N6thrust23THRUST_200600_302600_NS6detail15normal_iteratorINS9_10device_ptrIiEEEENSB_INSC_IsEEEESG_sNS9_4plusIvEENS9_8equal_toIvEEsEE10hipError_tPvRmT2_T3_T4_T5_mT6_T7_P12ihipStream_tbENKUlT_T0_E_clISt17integral_constantIbLb0EES11_EEDaSW_SX_EUlSW_E_NS1_11comp_targetILNS1_3genE4ELNS1_11target_archE910ELNS1_3gpuE8ELNS1_3repE0EEENS1_30default_config_static_selectorELNS0_4arch9wavefront6targetE0EEEvT1_,@function
_ZN7rocprim17ROCPRIM_400000_NS6detail17trampoline_kernelINS0_14default_configENS1_27scan_by_key_config_selectorIisEEZZNS1_16scan_by_key_implILNS1_25lookback_scan_determinismE0ELb1ES3_N6thrust23THRUST_200600_302600_NS6detail15normal_iteratorINS9_10device_ptrIiEEEENSB_INSC_IsEEEESG_sNS9_4plusIvEENS9_8equal_toIvEEsEE10hipError_tPvRmT2_T3_T4_T5_mT6_T7_P12ihipStream_tbENKUlT_T0_E_clISt17integral_constantIbLb0EES11_EEDaSW_SX_EUlSW_E_NS1_11comp_targetILNS1_3genE4ELNS1_11target_archE910ELNS1_3gpuE8ELNS1_3repE0EEENS1_30default_config_static_selectorELNS0_4arch9wavefront6targetE0EEEvT1_: ; @_ZN7rocprim17ROCPRIM_400000_NS6detail17trampoline_kernelINS0_14default_configENS1_27scan_by_key_config_selectorIisEEZZNS1_16scan_by_key_implILNS1_25lookback_scan_determinismE0ELb1ES3_N6thrust23THRUST_200600_302600_NS6detail15normal_iteratorINS9_10device_ptrIiEEEENSB_INSC_IsEEEESG_sNS9_4plusIvEENS9_8equal_toIvEEsEE10hipError_tPvRmT2_T3_T4_T5_mT6_T7_P12ihipStream_tbENKUlT_T0_E_clISt17integral_constantIbLb0EES11_EEDaSW_SX_EUlSW_E_NS1_11comp_targetILNS1_3genE4ELNS1_11target_archE910ELNS1_3gpuE8ELNS1_3repE0EEENS1_30default_config_static_selectorELNS0_4arch9wavefront6targetE0EEEvT1_
; %bb.0:
	.section	.rodata,"a",@progbits
	.p2align	6, 0x0
	.amdhsa_kernel _ZN7rocprim17ROCPRIM_400000_NS6detail17trampoline_kernelINS0_14default_configENS1_27scan_by_key_config_selectorIisEEZZNS1_16scan_by_key_implILNS1_25lookback_scan_determinismE0ELb1ES3_N6thrust23THRUST_200600_302600_NS6detail15normal_iteratorINS9_10device_ptrIiEEEENSB_INSC_IsEEEESG_sNS9_4plusIvEENS9_8equal_toIvEEsEE10hipError_tPvRmT2_T3_T4_T5_mT6_T7_P12ihipStream_tbENKUlT_T0_E_clISt17integral_constantIbLb0EES11_EEDaSW_SX_EUlSW_E_NS1_11comp_targetILNS1_3genE4ELNS1_11target_archE910ELNS1_3gpuE8ELNS1_3repE0EEENS1_30default_config_static_selectorELNS0_4arch9wavefront6targetE0EEEvT1_
		.amdhsa_group_segment_fixed_size 0
		.amdhsa_private_segment_fixed_size 0
		.amdhsa_kernarg_size 112
		.amdhsa_user_sgpr_count 6
		.amdhsa_user_sgpr_private_segment_buffer 1
		.amdhsa_user_sgpr_dispatch_ptr 0
		.amdhsa_user_sgpr_queue_ptr 0
		.amdhsa_user_sgpr_kernarg_segment_ptr 1
		.amdhsa_user_sgpr_dispatch_id 0
		.amdhsa_user_sgpr_flat_scratch_init 0
		.amdhsa_user_sgpr_private_segment_size 0
		.amdhsa_wavefront_size32 1
		.amdhsa_uses_dynamic_stack 0
		.amdhsa_system_sgpr_private_segment_wavefront_offset 0
		.amdhsa_system_sgpr_workgroup_id_x 1
		.amdhsa_system_sgpr_workgroup_id_y 0
		.amdhsa_system_sgpr_workgroup_id_z 0
		.amdhsa_system_sgpr_workgroup_info 0
		.amdhsa_system_vgpr_workitem_id 0
		.amdhsa_next_free_vgpr 1
		.amdhsa_next_free_sgpr 1
		.amdhsa_reserve_vcc 0
		.amdhsa_reserve_flat_scratch 0
		.amdhsa_float_round_mode_32 0
		.amdhsa_float_round_mode_16_64 0
		.amdhsa_float_denorm_mode_32 3
		.amdhsa_float_denorm_mode_16_64 3
		.amdhsa_dx10_clamp 1
		.amdhsa_ieee_mode 1
		.amdhsa_fp16_overflow 0
		.amdhsa_workgroup_processor_mode 1
		.amdhsa_memory_ordered 1
		.amdhsa_forward_progress 1
		.amdhsa_shared_vgpr_count 0
		.amdhsa_exception_fp_ieee_invalid_op 0
		.amdhsa_exception_fp_denorm_src 0
		.amdhsa_exception_fp_ieee_div_zero 0
		.amdhsa_exception_fp_ieee_overflow 0
		.amdhsa_exception_fp_ieee_underflow 0
		.amdhsa_exception_fp_ieee_inexact 0
		.amdhsa_exception_int_div_zero 0
	.end_amdhsa_kernel
	.section	.text._ZN7rocprim17ROCPRIM_400000_NS6detail17trampoline_kernelINS0_14default_configENS1_27scan_by_key_config_selectorIisEEZZNS1_16scan_by_key_implILNS1_25lookback_scan_determinismE0ELb1ES3_N6thrust23THRUST_200600_302600_NS6detail15normal_iteratorINS9_10device_ptrIiEEEENSB_INSC_IsEEEESG_sNS9_4plusIvEENS9_8equal_toIvEEsEE10hipError_tPvRmT2_T3_T4_T5_mT6_T7_P12ihipStream_tbENKUlT_T0_E_clISt17integral_constantIbLb0EES11_EEDaSW_SX_EUlSW_E_NS1_11comp_targetILNS1_3genE4ELNS1_11target_archE910ELNS1_3gpuE8ELNS1_3repE0EEENS1_30default_config_static_selectorELNS0_4arch9wavefront6targetE0EEEvT1_,"axG",@progbits,_ZN7rocprim17ROCPRIM_400000_NS6detail17trampoline_kernelINS0_14default_configENS1_27scan_by_key_config_selectorIisEEZZNS1_16scan_by_key_implILNS1_25lookback_scan_determinismE0ELb1ES3_N6thrust23THRUST_200600_302600_NS6detail15normal_iteratorINS9_10device_ptrIiEEEENSB_INSC_IsEEEESG_sNS9_4plusIvEENS9_8equal_toIvEEsEE10hipError_tPvRmT2_T3_T4_T5_mT6_T7_P12ihipStream_tbENKUlT_T0_E_clISt17integral_constantIbLb0EES11_EEDaSW_SX_EUlSW_E_NS1_11comp_targetILNS1_3genE4ELNS1_11target_archE910ELNS1_3gpuE8ELNS1_3repE0EEENS1_30default_config_static_selectorELNS0_4arch9wavefront6targetE0EEEvT1_,comdat
.Lfunc_end1610:
	.size	_ZN7rocprim17ROCPRIM_400000_NS6detail17trampoline_kernelINS0_14default_configENS1_27scan_by_key_config_selectorIisEEZZNS1_16scan_by_key_implILNS1_25lookback_scan_determinismE0ELb1ES3_N6thrust23THRUST_200600_302600_NS6detail15normal_iteratorINS9_10device_ptrIiEEEENSB_INSC_IsEEEESG_sNS9_4plusIvEENS9_8equal_toIvEEsEE10hipError_tPvRmT2_T3_T4_T5_mT6_T7_P12ihipStream_tbENKUlT_T0_E_clISt17integral_constantIbLb0EES11_EEDaSW_SX_EUlSW_E_NS1_11comp_targetILNS1_3genE4ELNS1_11target_archE910ELNS1_3gpuE8ELNS1_3repE0EEENS1_30default_config_static_selectorELNS0_4arch9wavefront6targetE0EEEvT1_, .Lfunc_end1610-_ZN7rocprim17ROCPRIM_400000_NS6detail17trampoline_kernelINS0_14default_configENS1_27scan_by_key_config_selectorIisEEZZNS1_16scan_by_key_implILNS1_25lookback_scan_determinismE0ELb1ES3_N6thrust23THRUST_200600_302600_NS6detail15normal_iteratorINS9_10device_ptrIiEEEENSB_INSC_IsEEEESG_sNS9_4plusIvEENS9_8equal_toIvEEsEE10hipError_tPvRmT2_T3_T4_T5_mT6_T7_P12ihipStream_tbENKUlT_T0_E_clISt17integral_constantIbLb0EES11_EEDaSW_SX_EUlSW_E_NS1_11comp_targetILNS1_3genE4ELNS1_11target_archE910ELNS1_3gpuE8ELNS1_3repE0EEENS1_30default_config_static_selectorELNS0_4arch9wavefront6targetE0EEEvT1_
                                        ; -- End function
	.set _ZN7rocprim17ROCPRIM_400000_NS6detail17trampoline_kernelINS0_14default_configENS1_27scan_by_key_config_selectorIisEEZZNS1_16scan_by_key_implILNS1_25lookback_scan_determinismE0ELb1ES3_N6thrust23THRUST_200600_302600_NS6detail15normal_iteratorINS9_10device_ptrIiEEEENSB_INSC_IsEEEESG_sNS9_4plusIvEENS9_8equal_toIvEEsEE10hipError_tPvRmT2_T3_T4_T5_mT6_T7_P12ihipStream_tbENKUlT_T0_E_clISt17integral_constantIbLb0EES11_EEDaSW_SX_EUlSW_E_NS1_11comp_targetILNS1_3genE4ELNS1_11target_archE910ELNS1_3gpuE8ELNS1_3repE0EEENS1_30default_config_static_selectorELNS0_4arch9wavefront6targetE0EEEvT1_.num_vgpr, 0
	.set _ZN7rocprim17ROCPRIM_400000_NS6detail17trampoline_kernelINS0_14default_configENS1_27scan_by_key_config_selectorIisEEZZNS1_16scan_by_key_implILNS1_25lookback_scan_determinismE0ELb1ES3_N6thrust23THRUST_200600_302600_NS6detail15normal_iteratorINS9_10device_ptrIiEEEENSB_INSC_IsEEEESG_sNS9_4plusIvEENS9_8equal_toIvEEsEE10hipError_tPvRmT2_T3_T4_T5_mT6_T7_P12ihipStream_tbENKUlT_T0_E_clISt17integral_constantIbLb0EES11_EEDaSW_SX_EUlSW_E_NS1_11comp_targetILNS1_3genE4ELNS1_11target_archE910ELNS1_3gpuE8ELNS1_3repE0EEENS1_30default_config_static_selectorELNS0_4arch9wavefront6targetE0EEEvT1_.num_agpr, 0
	.set _ZN7rocprim17ROCPRIM_400000_NS6detail17trampoline_kernelINS0_14default_configENS1_27scan_by_key_config_selectorIisEEZZNS1_16scan_by_key_implILNS1_25lookback_scan_determinismE0ELb1ES3_N6thrust23THRUST_200600_302600_NS6detail15normal_iteratorINS9_10device_ptrIiEEEENSB_INSC_IsEEEESG_sNS9_4plusIvEENS9_8equal_toIvEEsEE10hipError_tPvRmT2_T3_T4_T5_mT6_T7_P12ihipStream_tbENKUlT_T0_E_clISt17integral_constantIbLb0EES11_EEDaSW_SX_EUlSW_E_NS1_11comp_targetILNS1_3genE4ELNS1_11target_archE910ELNS1_3gpuE8ELNS1_3repE0EEENS1_30default_config_static_selectorELNS0_4arch9wavefront6targetE0EEEvT1_.numbered_sgpr, 0
	.set _ZN7rocprim17ROCPRIM_400000_NS6detail17trampoline_kernelINS0_14default_configENS1_27scan_by_key_config_selectorIisEEZZNS1_16scan_by_key_implILNS1_25lookback_scan_determinismE0ELb1ES3_N6thrust23THRUST_200600_302600_NS6detail15normal_iteratorINS9_10device_ptrIiEEEENSB_INSC_IsEEEESG_sNS9_4plusIvEENS9_8equal_toIvEEsEE10hipError_tPvRmT2_T3_T4_T5_mT6_T7_P12ihipStream_tbENKUlT_T0_E_clISt17integral_constantIbLb0EES11_EEDaSW_SX_EUlSW_E_NS1_11comp_targetILNS1_3genE4ELNS1_11target_archE910ELNS1_3gpuE8ELNS1_3repE0EEENS1_30default_config_static_selectorELNS0_4arch9wavefront6targetE0EEEvT1_.num_named_barrier, 0
	.set _ZN7rocprim17ROCPRIM_400000_NS6detail17trampoline_kernelINS0_14default_configENS1_27scan_by_key_config_selectorIisEEZZNS1_16scan_by_key_implILNS1_25lookback_scan_determinismE0ELb1ES3_N6thrust23THRUST_200600_302600_NS6detail15normal_iteratorINS9_10device_ptrIiEEEENSB_INSC_IsEEEESG_sNS9_4plusIvEENS9_8equal_toIvEEsEE10hipError_tPvRmT2_T3_T4_T5_mT6_T7_P12ihipStream_tbENKUlT_T0_E_clISt17integral_constantIbLb0EES11_EEDaSW_SX_EUlSW_E_NS1_11comp_targetILNS1_3genE4ELNS1_11target_archE910ELNS1_3gpuE8ELNS1_3repE0EEENS1_30default_config_static_selectorELNS0_4arch9wavefront6targetE0EEEvT1_.private_seg_size, 0
	.set _ZN7rocprim17ROCPRIM_400000_NS6detail17trampoline_kernelINS0_14default_configENS1_27scan_by_key_config_selectorIisEEZZNS1_16scan_by_key_implILNS1_25lookback_scan_determinismE0ELb1ES3_N6thrust23THRUST_200600_302600_NS6detail15normal_iteratorINS9_10device_ptrIiEEEENSB_INSC_IsEEEESG_sNS9_4plusIvEENS9_8equal_toIvEEsEE10hipError_tPvRmT2_T3_T4_T5_mT6_T7_P12ihipStream_tbENKUlT_T0_E_clISt17integral_constantIbLb0EES11_EEDaSW_SX_EUlSW_E_NS1_11comp_targetILNS1_3genE4ELNS1_11target_archE910ELNS1_3gpuE8ELNS1_3repE0EEENS1_30default_config_static_selectorELNS0_4arch9wavefront6targetE0EEEvT1_.uses_vcc, 0
	.set _ZN7rocprim17ROCPRIM_400000_NS6detail17trampoline_kernelINS0_14default_configENS1_27scan_by_key_config_selectorIisEEZZNS1_16scan_by_key_implILNS1_25lookback_scan_determinismE0ELb1ES3_N6thrust23THRUST_200600_302600_NS6detail15normal_iteratorINS9_10device_ptrIiEEEENSB_INSC_IsEEEESG_sNS9_4plusIvEENS9_8equal_toIvEEsEE10hipError_tPvRmT2_T3_T4_T5_mT6_T7_P12ihipStream_tbENKUlT_T0_E_clISt17integral_constantIbLb0EES11_EEDaSW_SX_EUlSW_E_NS1_11comp_targetILNS1_3genE4ELNS1_11target_archE910ELNS1_3gpuE8ELNS1_3repE0EEENS1_30default_config_static_selectorELNS0_4arch9wavefront6targetE0EEEvT1_.uses_flat_scratch, 0
	.set _ZN7rocprim17ROCPRIM_400000_NS6detail17trampoline_kernelINS0_14default_configENS1_27scan_by_key_config_selectorIisEEZZNS1_16scan_by_key_implILNS1_25lookback_scan_determinismE0ELb1ES3_N6thrust23THRUST_200600_302600_NS6detail15normal_iteratorINS9_10device_ptrIiEEEENSB_INSC_IsEEEESG_sNS9_4plusIvEENS9_8equal_toIvEEsEE10hipError_tPvRmT2_T3_T4_T5_mT6_T7_P12ihipStream_tbENKUlT_T0_E_clISt17integral_constantIbLb0EES11_EEDaSW_SX_EUlSW_E_NS1_11comp_targetILNS1_3genE4ELNS1_11target_archE910ELNS1_3gpuE8ELNS1_3repE0EEENS1_30default_config_static_selectorELNS0_4arch9wavefront6targetE0EEEvT1_.has_dyn_sized_stack, 0
	.set _ZN7rocprim17ROCPRIM_400000_NS6detail17trampoline_kernelINS0_14default_configENS1_27scan_by_key_config_selectorIisEEZZNS1_16scan_by_key_implILNS1_25lookback_scan_determinismE0ELb1ES3_N6thrust23THRUST_200600_302600_NS6detail15normal_iteratorINS9_10device_ptrIiEEEENSB_INSC_IsEEEESG_sNS9_4plusIvEENS9_8equal_toIvEEsEE10hipError_tPvRmT2_T3_T4_T5_mT6_T7_P12ihipStream_tbENKUlT_T0_E_clISt17integral_constantIbLb0EES11_EEDaSW_SX_EUlSW_E_NS1_11comp_targetILNS1_3genE4ELNS1_11target_archE910ELNS1_3gpuE8ELNS1_3repE0EEENS1_30default_config_static_selectorELNS0_4arch9wavefront6targetE0EEEvT1_.has_recursion, 0
	.set _ZN7rocprim17ROCPRIM_400000_NS6detail17trampoline_kernelINS0_14default_configENS1_27scan_by_key_config_selectorIisEEZZNS1_16scan_by_key_implILNS1_25lookback_scan_determinismE0ELb1ES3_N6thrust23THRUST_200600_302600_NS6detail15normal_iteratorINS9_10device_ptrIiEEEENSB_INSC_IsEEEESG_sNS9_4plusIvEENS9_8equal_toIvEEsEE10hipError_tPvRmT2_T3_T4_T5_mT6_T7_P12ihipStream_tbENKUlT_T0_E_clISt17integral_constantIbLb0EES11_EEDaSW_SX_EUlSW_E_NS1_11comp_targetILNS1_3genE4ELNS1_11target_archE910ELNS1_3gpuE8ELNS1_3repE0EEENS1_30default_config_static_selectorELNS0_4arch9wavefront6targetE0EEEvT1_.has_indirect_call, 0
	.section	.AMDGPU.csdata,"",@progbits
; Kernel info:
; codeLenInByte = 0
; TotalNumSgprs: 0
; NumVgprs: 0
; ScratchSize: 0
; MemoryBound: 0
; FloatMode: 240
; IeeeMode: 1
; LDSByteSize: 0 bytes/workgroup (compile time only)
; SGPRBlocks: 0
; VGPRBlocks: 0
; NumSGPRsForWavesPerEU: 1
; NumVGPRsForWavesPerEU: 1
; Occupancy: 16
; WaveLimiterHint : 0
; COMPUTE_PGM_RSRC2:SCRATCH_EN: 0
; COMPUTE_PGM_RSRC2:USER_SGPR: 6
; COMPUTE_PGM_RSRC2:TRAP_HANDLER: 0
; COMPUTE_PGM_RSRC2:TGID_X_EN: 1
; COMPUTE_PGM_RSRC2:TGID_Y_EN: 0
; COMPUTE_PGM_RSRC2:TGID_Z_EN: 0
; COMPUTE_PGM_RSRC2:TIDIG_COMP_CNT: 0
	.section	.text._ZN7rocprim17ROCPRIM_400000_NS6detail17trampoline_kernelINS0_14default_configENS1_27scan_by_key_config_selectorIisEEZZNS1_16scan_by_key_implILNS1_25lookback_scan_determinismE0ELb1ES3_N6thrust23THRUST_200600_302600_NS6detail15normal_iteratorINS9_10device_ptrIiEEEENSB_INSC_IsEEEESG_sNS9_4plusIvEENS9_8equal_toIvEEsEE10hipError_tPvRmT2_T3_T4_T5_mT6_T7_P12ihipStream_tbENKUlT_T0_E_clISt17integral_constantIbLb0EES11_EEDaSW_SX_EUlSW_E_NS1_11comp_targetILNS1_3genE3ELNS1_11target_archE908ELNS1_3gpuE7ELNS1_3repE0EEENS1_30default_config_static_selectorELNS0_4arch9wavefront6targetE0EEEvT1_,"axG",@progbits,_ZN7rocprim17ROCPRIM_400000_NS6detail17trampoline_kernelINS0_14default_configENS1_27scan_by_key_config_selectorIisEEZZNS1_16scan_by_key_implILNS1_25lookback_scan_determinismE0ELb1ES3_N6thrust23THRUST_200600_302600_NS6detail15normal_iteratorINS9_10device_ptrIiEEEENSB_INSC_IsEEEESG_sNS9_4plusIvEENS9_8equal_toIvEEsEE10hipError_tPvRmT2_T3_T4_T5_mT6_T7_P12ihipStream_tbENKUlT_T0_E_clISt17integral_constantIbLb0EES11_EEDaSW_SX_EUlSW_E_NS1_11comp_targetILNS1_3genE3ELNS1_11target_archE908ELNS1_3gpuE7ELNS1_3repE0EEENS1_30default_config_static_selectorELNS0_4arch9wavefront6targetE0EEEvT1_,comdat
	.protected	_ZN7rocprim17ROCPRIM_400000_NS6detail17trampoline_kernelINS0_14default_configENS1_27scan_by_key_config_selectorIisEEZZNS1_16scan_by_key_implILNS1_25lookback_scan_determinismE0ELb1ES3_N6thrust23THRUST_200600_302600_NS6detail15normal_iteratorINS9_10device_ptrIiEEEENSB_INSC_IsEEEESG_sNS9_4plusIvEENS9_8equal_toIvEEsEE10hipError_tPvRmT2_T3_T4_T5_mT6_T7_P12ihipStream_tbENKUlT_T0_E_clISt17integral_constantIbLb0EES11_EEDaSW_SX_EUlSW_E_NS1_11comp_targetILNS1_3genE3ELNS1_11target_archE908ELNS1_3gpuE7ELNS1_3repE0EEENS1_30default_config_static_selectorELNS0_4arch9wavefront6targetE0EEEvT1_ ; -- Begin function _ZN7rocprim17ROCPRIM_400000_NS6detail17trampoline_kernelINS0_14default_configENS1_27scan_by_key_config_selectorIisEEZZNS1_16scan_by_key_implILNS1_25lookback_scan_determinismE0ELb1ES3_N6thrust23THRUST_200600_302600_NS6detail15normal_iteratorINS9_10device_ptrIiEEEENSB_INSC_IsEEEESG_sNS9_4plusIvEENS9_8equal_toIvEEsEE10hipError_tPvRmT2_T3_T4_T5_mT6_T7_P12ihipStream_tbENKUlT_T0_E_clISt17integral_constantIbLb0EES11_EEDaSW_SX_EUlSW_E_NS1_11comp_targetILNS1_3genE3ELNS1_11target_archE908ELNS1_3gpuE7ELNS1_3repE0EEENS1_30default_config_static_selectorELNS0_4arch9wavefront6targetE0EEEvT1_
	.globl	_ZN7rocprim17ROCPRIM_400000_NS6detail17trampoline_kernelINS0_14default_configENS1_27scan_by_key_config_selectorIisEEZZNS1_16scan_by_key_implILNS1_25lookback_scan_determinismE0ELb1ES3_N6thrust23THRUST_200600_302600_NS6detail15normal_iteratorINS9_10device_ptrIiEEEENSB_INSC_IsEEEESG_sNS9_4plusIvEENS9_8equal_toIvEEsEE10hipError_tPvRmT2_T3_T4_T5_mT6_T7_P12ihipStream_tbENKUlT_T0_E_clISt17integral_constantIbLb0EES11_EEDaSW_SX_EUlSW_E_NS1_11comp_targetILNS1_3genE3ELNS1_11target_archE908ELNS1_3gpuE7ELNS1_3repE0EEENS1_30default_config_static_selectorELNS0_4arch9wavefront6targetE0EEEvT1_
	.p2align	8
	.type	_ZN7rocprim17ROCPRIM_400000_NS6detail17trampoline_kernelINS0_14default_configENS1_27scan_by_key_config_selectorIisEEZZNS1_16scan_by_key_implILNS1_25lookback_scan_determinismE0ELb1ES3_N6thrust23THRUST_200600_302600_NS6detail15normal_iteratorINS9_10device_ptrIiEEEENSB_INSC_IsEEEESG_sNS9_4plusIvEENS9_8equal_toIvEEsEE10hipError_tPvRmT2_T3_T4_T5_mT6_T7_P12ihipStream_tbENKUlT_T0_E_clISt17integral_constantIbLb0EES11_EEDaSW_SX_EUlSW_E_NS1_11comp_targetILNS1_3genE3ELNS1_11target_archE908ELNS1_3gpuE7ELNS1_3repE0EEENS1_30default_config_static_selectorELNS0_4arch9wavefront6targetE0EEEvT1_,@function
_ZN7rocprim17ROCPRIM_400000_NS6detail17trampoline_kernelINS0_14default_configENS1_27scan_by_key_config_selectorIisEEZZNS1_16scan_by_key_implILNS1_25lookback_scan_determinismE0ELb1ES3_N6thrust23THRUST_200600_302600_NS6detail15normal_iteratorINS9_10device_ptrIiEEEENSB_INSC_IsEEEESG_sNS9_4plusIvEENS9_8equal_toIvEEsEE10hipError_tPvRmT2_T3_T4_T5_mT6_T7_P12ihipStream_tbENKUlT_T0_E_clISt17integral_constantIbLb0EES11_EEDaSW_SX_EUlSW_E_NS1_11comp_targetILNS1_3genE3ELNS1_11target_archE908ELNS1_3gpuE7ELNS1_3repE0EEENS1_30default_config_static_selectorELNS0_4arch9wavefront6targetE0EEEvT1_: ; @_ZN7rocprim17ROCPRIM_400000_NS6detail17trampoline_kernelINS0_14default_configENS1_27scan_by_key_config_selectorIisEEZZNS1_16scan_by_key_implILNS1_25lookback_scan_determinismE0ELb1ES3_N6thrust23THRUST_200600_302600_NS6detail15normal_iteratorINS9_10device_ptrIiEEEENSB_INSC_IsEEEESG_sNS9_4plusIvEENS9_8equal_toIvEEsEE10hipError_tPvRmT2_T3_T4_T5_mT6_T7_P12ihipStream_tbENKUlT_T0_E_clISt17integral_constantIbLb0EES11_EEDaSW_SX_EUlSW_E_NS1_11comp_targetILNS1_3genE3ELNS1_11target_archE908ELNS1_3gpuE7ELNS1_3repE0EEENS1_30default_config_static_selectorELNS0_4arch9wavefront6targetE0EEEvT1_
; %bb.0:
	.section	.rodata,"a",@progbits
	.p2align	6, 0x0
	.amdhsa_kernel _ZN7rocprim17ROCPRIM_400000_NS6detail17trampoline_kernelINS0_14default_configENS1_27scan_by_key_config_selectorIisEEZZNS1_16scan_by_key_implILNS1_25lookback_scan_determinismE0ELb1ES3_N6thrust23THRUST_200600_302600_NS6detail15normal_iteratorINS9_10device_ptrIiEEEENSB_INSC_IsEEEESG_sNS9_4plusIvEENS9_8equal_toIvEEsEE10hipError_tPvRmT2_T3_T4_T5_mT6_T7_P12ihipStream_tbENKUlT_T0_E_clISt17integral_constantIbLb0EES11_EEDaSW_SX_EUlSW_E_NS1_11comp_targetILNS1_3genE3ELNS1_11target_archE908ELNS1_3gpuE7ELNS1_3repE0EEENS1_30default_config_static_selectorELNS0_4arch9wavefront6targetE0EEEvT1_
		.amdhsa_group_segment_fixed_size 0
		.amdhsa_private_segment_fixed_size 0
		.amdhsa_kernarg_size 112
		.amdhsa_user_sgpr_count 6
		.amdhsa_user_sgpr_private_segment_buffer 1
		.amdhsa_user_sgpr_dispatch_ptr 0
		.amdhsa_user_sgpr_queue_ptr 0
		.amdhsa_user_sgpr_kernarg_segment_ptr 1
		.amdhsa_user_sgpr_dispatch_id 0
		.amdhsa_user_sgpr_flat_scratch_init 0
		.amdhsa_user_sgpr_private_segment_size 0
		.amdhsa_wavefront_size32 1
		.amdhsa_uses_dynamic_stack 0
		.amdhsa_system_sgpr_private_segment_wavefront_offset 0
		.amdhsa_system_sgpr_workgroup_id_x 1
		.amdhsa_system_sgpr_workgroup_id_y 0
		.amdhsa_system_sgpr_workgroup_id_z 0
		.amdhsa_system_sgpr_workgroup_info 0
		.amdhsa_system_vgpr_workitem_id 0
		.amdhsa_next_free_vgpr 1
		.amdhsa_next_free_sgpr 1
		.amdhsa_reserve_vcc 0
		.amdhsa_reserve_flat_scratch 0
		.amdhsa_float_round_mode_32 0
		.amdhsa_float_round_mode_16_64 0
		.amdhsa_float_denorm_mode_32 3
		.amdhsa_float_denorm_mode_16_64 3
		.amdhsa_dx10_clamp 1
		.amdhsa_ieee_mode 1
		.amdhsa_fp16_overflow 0
		.amdhsa_workgroup_processor_mode 1
		.amdhsa_memory_ordered 1
		.amdhsa_forward_progress 1
		.amdhsa_shared_vgpr_count 0
		.amdhsa_exception_fp_ieee_invalid_op 0
		.amdhsa_exception_fp_denorm_src 0
		.amdhsa_exception_fp_ieee_div_zero 0
		.amdhsa_exception_fp_ieee_overflow 0
		.amdhsa_exception_fp_ieee_underflow 0
		.amdhsa_exception_fp_ieee_inexact 0
		.amdhsa_exception_int_div_zero 0
	.end_amdhsa_kernel
	.section	.text._ZN7rocprim17ROCPRIM_400000_NS6detail17trampoline_kernelINS0_14default_configENS1_27scan_by_key_config_selectorIisEEZZNS1_16scan_by_key_implILNS1_25lookback_scan_determinismE0ELb1ES3_N6thrust23THRUST_200600_302600_NS6detail15normal_iteratorINS9_10device_ptrIiEEEENSB_INSC_IsEEEESG_sNS9_4plusIvEENS9_8equal_toIvEEsEE10hipError_tPvRmT2_T3_T4_T5_mT6_T7_P12ihipStream_tbENKUlT_T0_E_clISt17integral_constantIbLb0EES11_EEDaSW_SX_EUlSW_E_NS1_11comp_targetILNS1_3genE3ELNS1_11target_archE908ELNS1_3gpuE7ELNS1_3repE0EEENS1_30default_config_static_selectorELNS0_4arch9wavefront6targetE0EEEvT1_,"axG",@progbits,_ZN7rocprim17ROCPRIM_400000_NS6detail17trampoline_kernelINS0_14default_configENS1_27scan_by_key_config_selectorIisEEZZNS1_16scan_by_key_implILNS1_25lookback_scan_determinismE0ELb1ES3_N6thrust23THRUST_200600_302600_NS6detail15normal_iteratorINS9_10device_ptrIiEEEENSB_INSC_IsEEEESG_sNS9_4plusIvEENS9_8equal_toIvEEsEE10hipError_tPvRmT2_T3_T4_T5_mT6_T7_P12ihipStream_tbENKUlT_T0_E_clISt17integral_constantIbLb0EES11_EEDaSW_SX_EUlSW_E_NS1_11comp_targetILNS1_3genE3ELNS1_11target_archE908ELNS1_3gpuE7ELNS1_3repE0EEENS1_30default_config_static_selectorELNS0_4arch9wavefront6targetE0EEEvT1_,comdat
.Lfunc_end1611:
	.size	_ZN7rocprim17ROCPRIM_400000_NS6detail17trampoline_kernelINS0_14default_configENS1_27scan_by_key_config_selectorIisEEZZNS1_16scan_by_key_implILNS1_25lookback_scan_determinismE0ELb1ES3_N6thrust23THRUST_200600_302600_NS6detail15normal_iteratorINS9_10device_ptrIiEEEENSB_INSC_IsEEEESG_sNS9_4plusIvEENS9_8equal_toIvEEsEE10hipError_tPvRmT2_T3_T4_T5_mT6_T7_P12ihipStream_tbENKUlT_T0_E_clISt17integral_constantIbLb0EES11_EEDaSW_SX_EUlSW_E_NS1_11comp_targetILNS1_3genE3ELNS1_11target_archE908ELNS1_3gpuE7ELNS1_3repE0EEENS1_30default_config_static_selectorELNS0_4arch9wavefront6targetE0EEEvT1_, .Lfunc_end1611-_ZN7rocprim17ROCPRIM_400000_NS6detail17trampoline_kernelINS0_14default_configENS1_27scan_by_key_config_selectorIisEEZZNS1_16scan_by_key_implILNS1_25lookback_scan_determinismE0ELb1ES3_N6thrust23THRUST_200600_302600_NS6detail15normal_iteratorINS9_10device_ptrIiEEEENSB_INSC_IsEEEESG_sNS9_4plusIvEENS9_8equal_toIvEEsEE10hipError_tPvRmT2_T3_T4_T5_mT6_T7_P12ihipStream_tbENKUlT_T0_E_clISt17integral_constantIbLb0EES11_EEDaSW_SX_EUlSW_E_NS1_11comp_targetILNS1_3genE3ELNS1_11target_archE908ELNS1_3gpuE7ELNS1_3repE0EEENS1_30default_config_static_selectorELNS0_4arch9wavefront6targetE0EEEvT1_
                                        ; -- End function
	.set _ZN7rocprim17ROCPRIM_400000_NS6detail17trampoline_kernelINS0_14default_configENS1_27scan_by_key_config_selectorIisEEZZNS1_16scan_by_key_implILNS1_25lookback_scan_determinismE0ELb1ES3_N6thrust23THRUST_200600_302600_NS6detail15normal_iteratorINS9_10device_ptrIiEEEENSB_INSC_IsEEEESG_sNS9_4plusIvEENS9_8equal_toIvEEsEE10hipError_tPvRmT2_T3_T4_T5_mT6_T7_P12ihipStream_tbENKUlT_T0_E_clISt17integral_constantIbLb0EES11_EEDaSW_SX_EUlSW_E_NS1_11comp_targetILNS1_3genE3ELNS1_11target_archE908ELNS1_3gpuE7ELNS1_3repE0EEENS1_30default_config_static_selectorELNS0_4arch9wavefront6targetE0EEEvT1_.num_vgpr, 0
	.set _ZN7rocprim17ROCPRIM_400000_NS6detail17trampoline_kernelINS0_14default_configENS1_27scan_by_key_config_selectorIisEEZZNS1_16scan_by_key_implILNS1_25lookback_scan_determinismE0ELb1ES3_N6thrust23THRUST_200600_302600_NS6detail15normal_iteratorINS9_10device_ptrIiEEEENSB_INSC_IsEEEESG_sNS9_4plusIvEENS9_8equal_toIvEEsEE10hipError_tPvRmT2_T3_T4_T5_mT6_T7_P12ihipStream_tbENKUlT_T0_E_clISt17integral_constantIbLb0EES11_EEDaSW_SX_EUlSW_E_NS1_11comp_targetILNS1_3genE3ELNS1_11target_archE908ELNS1_3gpuE7ELNS1_3repE0EEENS1_30default_config_static_selectorELNS0_4arch9wavefront6targetE0EEEvT1_.num_agpr, 0
	.set _ZN7rocprim17ROCPRIM_400000_NS6detail17trampoline_kernelINS0_14default_configENS1_27scan_by_key_config_selectorIisEEZZNS1_16scan_by_key_implILNS1_25lookback_scan_determinismE0ELb1ES3_N6thrust23THRUST_200600_302600_NS6detail15normal_iteratorINS9_10device_ptrIiEEEENSB_INSC_IsEEEESG_sNS9_4plusIvEENS9_8equal_toIvEEsEE10hipError_tPvRmT2_T3_T4_T5_mT6_T7_P12ihipStream_tbENKUlT_T0_E_clISt17integral_constantIbLb0EES11_EEDaSW_SX_EUlSW_E_NS1_11comp_targetILNS1_3genE3ELNS1_11target_archE908ELNS1_3gpuE7ELNS1_3repE0EEENS1_30default_config_static_selectorELNS0_4arch9wavefront6targetE0EEEvT1_.numbered_sgpr, 0
	.set _ZN7rocprim17ROCPRIM_400000_NS6detail17trampoline_kernelINS0_14default_configENS1_27scan_by_key_config_selectorIisEEZZNS1_16scan_by_key_implILNS1_25lookback_scan_determinismE0ELb1ES3_N6thrust23THRUST_200600_302600_NS6detail15normal_iteratorINS9_10device_ptrIiEEEENSB_INSC_IsEEEESG_sNS9_4plusIvEENS9_8equal_toIvEEsEE10hipError_tPvRmT2_T3_T4_T5_mT6_T7_P12ihipStream_tbENKUlT_T0_E_clISt17integral_constantIbLb0EES11_EEDaSW_SX_EUlSW_E_NS1_11comp_targetILNS1_3genE3ELNS1_11target_archE908ELNS1_3gpuE7ELNS1_3repE0EEENS1_30default_config_static_selectorELNS0_4arch9wavefront6targetE0EEEvT1_.num_named_barrier, 0
	.set _ZN7rocprim17ROCPRIM_400000_NS6detail17trampoline_kernelINS0_14default_configENS1_27scan_by_key_config_selectorIisEEZZNS1_16scan_by_key_implILNS1_25lookback_scan_determinismE0ELb1ES3_N6thrust23THRUST_200600_302600_NS6detail15normal_iteratorINS9_10device_ptrIiEEEENSB_INSC_IsEEEESG_sNS9_4plusIvEENS9_8equal_toIvEEsEE10hipError_tPvRmT2_T3_T4_T5_mT6_T7_P12ihipStream_tbENKUlT_T0_E_clISt17integral_constantIbLb0EES11_EEDaSW_SX_EUlSW_E_NS1_11comp_targetILNS1_3genE3ELNS1_11target_archE908ELNS1_3gpuE7ELNS1_3repE0EEENS1_30default_config_static_selectorELNS0_4arch9wavefront6targetE0EEEvT1_.private_seg_size, 0
	.set _ZN7rocprim17ROCPRIM_400000_NS6detail17trampoline_kernelINS0_14default_configENS1_27scan_by_key_config_selectorIisEEZZNS1_16scan_by_key_implILNS1_25lookback_scan_determinismE0ELb1ES3_N6thrust23THRUST_200600_302600_NS6detail15normal_iteratorINS9_10device_ptrIiEEEENSB_INSC_IsEEEESG_sNS9_4plusIvEENS9_8equal_toIvEEsEE10hipError_tPvRmT2_T3_T4_T5_mT6_T7_P12ihipStream_tbENKUlT_T0_E_clISt17integral_constantIbLb0EES11_EEDaSW_SX_EUlSW_E_NS1_11comp_targetILNS1_3genE3ELNS1_11target_archE908ELNS1_3gpuE7ELNS1_3repE0EEENS1_30default_config_static_selectorELNS0_4arch9wavefront6targetE0EEEvT1_.uses_vcc, 0
	.set _ZN7rocprim17ROCPRIM_400000_NS6detail17trampoline_kernelINS0_14default_configENS1_27scan_by_key_config_selectorIisEEZZNS1_16scan_by_key_implILNS1_25lookback_scan_determinismE0ELb1ES3_N6thrust23THRUST_200600_302600_NS6detail15normal_iteratorINS9_10device_ptrIiEEEENSB_INSC_IsEEEESG_sNS9_4plusIvEENS9_8equal_toIvEEsEE10hipError_tPvRmT2_T3_T4_T5_mT6_T7_P12ihipStream_tbENKUlT_T0_E_clISt17integral_constantIbLb0EES11_EEDaSW_SX_EUlSW_E_NS1_11comp_targetILNS1_3genE3ELNS1_11target_archE908ELNS1_3gpuE7ELNS1_3repE0EEENS1_30default_config_static_selectorELNS0_4arch9wavefront6targetE0EEEvT1_.uses_flat_scratch, 0
	.set _ZN7rocprim17ROCPRIM_400000_NS6detail17trampoline_kernelINS0_14default_configENS1_27scan_by_key_config_selectorIisEEZZNS1_16scan_by_key_implILNS1_25lookback_scan_determinismE0ELb1ES3_N6thrust23THRUST_200600_302600_NS6detail15normal_iteratorINS9_10device_ptrIiEEEENSB_INSC_IsEEEESG_sNS9_4plusIvEENS9_8equal_toIvEEsEE10hipError_tPvRmT2_T3_T4_T5_mT6_T7_P12ihipStream_tbENKUlT_T0_E_clISt17integral_constantIbLb0EES11_EEDaSW_SX_EUlSW_E_NS1_11comp_targetILNS1_3genE3ELNS1_11target_archE908ELNS1_3gpuE7ELNS1_3repE0EEENS1_30default_config_static_selectorELNS0_4arch9wavefront6targetE0EEEvT1_.has_dyn_sized_stack, 0
	.set _ZN7rocprim17ROCPRIM_400000_NS6detail17trampoline_kernelINS0_14default_configENS1_27scan_by_key_config_selectorIisEEZZNS1_16scan_by_key_implILNS1_25lookback_scan_determinismE0ELb1ES3_N6thrust23THRUST_200600_302600_NS6detail15normal_iteratorINS9_10device_ptrIiEEEENSB_INSC_IsEEEESG_sNS9_4plusIvEENS9_8equal_toIvEEsEE10hipError_tPvRmT2_T3_T4_T5_mT6_T7_P12ihipStream_tbENKUlT_T0_E_clISt17integral_constantIbLb0EES11_EEDaSW_SX_EUlSW_E_NS1_11comp_targetILNS1_3genE3ELNS1_11target_archE908ELNS1_3gpuE7ELNS1_3repE0EEENS1_30default_config_static_selectorELNS0_4arch9wavefront6targetE0EEEvT1_.has_recursion, 0
	.set _ZN7rocprim17ROCPRIM_400000_NS6detail17trampoline_kernelINS0_14default_configENS1_27scan_by_key_config_selectorIisEEZZNS1_16scan_by_key_implILNS1_25lookback_scan_determinismE0ELb1ES3_N6thrust23THRUST_200600_302600_NS6detail15normal_iteratorINS9_10device_ptrIiEEEENSB_INSC_IsEEEESG_sNS9_4plusIvEENS9_8equal_toIvEEsEE10hipError_tPvRmT2_T3_T4_T5_mT6_T7_P12ihipStream_tbENKUlT_T0_E_clISt17integral_constantIbLb0EES11_EEDaSW_SX_EUlSW_E_NS1_11comp_targetILNS1_3genE3ELNS1_11target_archE908ELNS1_3gpuE7ELNS1_3repE0EEENS1_30default_config_static_selectorELNS0_4arch9wavefront6targetE0EEEvT1_.has_indirect_call, 0
	.section	.AMDGPU.csdata,"",@progbits
; Kernel info:
; codeLenInByte = 0
; TotalNumSgprs: 0
; NumVgprs: 0
; ScratchSize: 0
; MemoryBound: 0
; FloatMode: 240
; IeeeMode: 1
; LDSByteSize: 0 bytes/workgroup (compile time only)
; SGPRBlocks: 0
; VGPRBlocks: 0
; NumSGPRsForWavesPerEU: 1
; NumVGPRsForWavesPerEU: 1
; Occupancy: 16
; WaveLimiterHint : 0
; COMPUTE_PGM_RSRC2:SCRATCH_EN: 0
; COMPUTE_PGM_RSRC2:USER_SGPR: 6
; COMPUTE_PGM_RSRC2:TRAP_HANDLER: 0
; COMPUTE_PGM_RSRC2:TGID_X_EN: 1
; COMPUTE_PGM_RSRC2:TGID_Y_EN: 0
; COMPUTE_PGM_RSRC2:TGID_Z_EN: 0
; COMPUTE_PGM_RSRC2:TIDIG_COMP_CNT: 0
	.section	.text._ZN7rocprim17ROCPRIM_400000_NS6detail17trampoline_kernelINS0_14default_configENS1_27scan_by_key_config_selectorIisEEZZNS1_16scan_by_key_implILNS1_25lookback_scan_determinismE0ELb1ES3_N6thrust23THRUST_200600_302600_NS6detail15normal_iteratorINS9_10device_ptrIiEEEENSB_INSC_IsEEEESG_sNS9_4plusIvEENS9_8equal_toIvEEsEE10hipError_tPvRmT2_T3_T4_T5_mT6_T7_P12ihipStream_tbENKUlT_T0_E_clISt17integral_constantIbLb0EES11_EEDaSW_SX_EUlSW_E_NS1_11comp_targetILNS1_3genE2ELNS1_11target_archE906ELNS1_3gpuE6ELNS1_3repE0EEENS1_30default_config_static_selectorELNS0_4arch9wavefront6targetE0EEEvT1_,"axG",@progbits,_ZN7rocprim17ROCPRIM_400000_NS6detail17trampoline_kernelINS0_14default_configENS1_27scan_by_key_config_selectorIisEEZZNS1_16scan_by_key_implILNS1_25lookback_scan_determinismE0ELb1ES3_N6thrust23THRUST_200600_302600_NS6detail15normal_iteratorINS9_10device_ptrIiEEEENSB_INSC_IsEEEESG_sNS9_4plusIvEENS9_8equal_toIvEEsEE10hipError_tPvRmT2_T3_T4_T5_mT6_T7_P12ihipStream_tbENKUlT_T0_E_clISt17integral_constantIbLb0EES11_EEDaSW_SX_EUlSW_E_NS1_11comp_targetILNS1_3genE2ELNS1_11target_archE906ELNS1_3gpuE6ELNS1_3repE0EEENS1_30default_config_static_selectorELNS0_4arch9wavefront6targetE0EEEvT1_,comdat
	.protected	_ZN7rocprim17ROCPRIM_400000_NS6detail17trampoline_kernelINS0_14default_configENS1_27scan_by_key_config_selectorIisEEZZNS1_16scan_by_key_implILNS1_25lookback_scan_determinismE0ELb1ES3_N6thrust23THRUST_200600_302600_NS6detail15normal_iteratorINS9_10device_ptrIiEEEENSB_INSC_IsEEEESG_sNS9_4plusIvEENS9_8equal_toIvEEsEE10hipError_tPvRmT2_T3_T4_T5_mT6_T7_P12ihipStream_tbENKUlT_T0_E_clISt17integral_constantIbLb0EES11_EEDaSW_SX_EUlSW_E_NS1_11comp_targetILNS1_3genE2ELNS1_11target_archE906ELNS1_3gpuE6ELNS1_3repE0EEENS1_30default_config_static_selectorELNS0_4arch9wavefront6targetE0EEEvT1_ ; -- Begin function _ZN7rocprim17ROCPRIM_400000_NS6detail17trampoline_kernelINS0_14default_configENS1_27scan_by_key_config_selectorIisEEZZNS1_16scan_by_key_implILNS1_25lookback_scan_determinismE0ELb1ES3_N6thrust23THRUST_200600_302600_NS6detail15normal_iteratorINS9_10device_ptrIiEEEENSB_INSC_IsEEEESG_sNS9_4plusIvEENS9_8equal_toIvEEsEE10hipError_tPvRmT2_T3_T4_T5_mT6_T7_P12ihipStream_tbENKUlT_T0_E_clISt17integral_constantIbLb0EES11_EEDaSW_SX_EUlSW_E_NS1_11comp_targetILNS1_3genE2ELNS1_11target_archE906ELNS1_3gpuE6ELNS1_3repE0EEENS1_30default_config_static_selectorELNS0_4arch9wavefront6targetE0EEEvT1_
	.globl	_ZN7rocprim17ROCPRIM_400000_NS6detail17trampoline_kernelINS0_14default_configENS1_27scan_by_key_config_selectorIisEEZZNS1_16scan_by_key_implILNS1_25lookback_scan_determinismE0ELb1ES3_N6thrust23THRUST_200600_302600_NS6detail15normal_iteratorINS9_10device_ptrIiEEEENSB_INSC_IsEEEESG_sNS9_4plusIvEENS9_8equal_toIvEEsEE10hipError_tPvRmT2_T3_T4_T5_mT6_T7_P12ihipStream_tbENKUlT_T0_E_clISt17integral_constantIbLb0EES11_EEDaSW_SX_EUlSW_E_NS1_11comp_targetILNS1_3genE2ELNS1_11target_archE906ELNS1_3gpuE6ELNS1_3repE0EEENS1_30default_config_static_selectorELNS0_4arch9wavefront6targetE0EEEvT1_
	.p2align	8
	.type	_ZN7rocprim17ROCPRIM_400000_NS6detail17trampoline_kernelINS0_14default_configENS1_27scan_by_key_config_selectorIisEEZZNS1_16scan_by_key_implILNS1_25lookback_scan_determinismE0ELb1ES3_N6thrust23THRUST_200600_302600_NS6detail15normal_iteratorINS9_10device_ptrIiEEEENSB_INSC_IsEEEESG_sNS9_4plusIvEENS9_8equal_toIvEEsEE10hipError_tPvRmT2_T3_T4_T5_mT6_T7_P12ihipStream_tbENKUlT_T0_E_clISt17integral_constantIbLb0EES11_EEDaSW_SX_EUlSW_E_NS1_11comp_targetILNS1_3genE2ELNS1_11target_archE906ELNS1_3gpuE6ELNS1_3repE0EEENS1_30default_config_static_selectorELNS0_4arch9wavefront6targetE0EEEvT1_,@function
_ZN7rocprim17ROCPRIM_400000_NS6detail17trampoline_kernelINS0_14default_configENS1_27scan_by_key_config_selectorIisEEZZNS1_16scan_by_key_implILNS1_25lookback_scan_determinismE0ELb1ES3_N6thrust23THRUST_200600_302600_NS6detail15normal_iteratorINS9_10device_ptrIiEEEENSB_INSC_IsEEEESG_sNS9_4plusIvEENS9_8equal_toIvEEsEE10hipError_tPvRmT2_T3_T4_T5_mT6_T7_P12ihipStream_tbENKUlT_T0_E_clISt17integral_constantIbLb0EES11_EEDaSW_SX_EUlSW_E_NS1_11comp_targetILNS1_3genE2ELNS1_11target_archE906ELNS1_3gpuE6ELNS1_3repE0EEENS1_30default_config_static_selectorELNS0_4arch9wavefront6targetE0EEEvT1_: ; @_ZN7rocprim17ROCPRIM_400000_NS6detail17trampoline_kernelINS0_14default_configENS1_27scan_by_key_config_selectorIisEEZZNS1_16scan_by_key_implILNS1_25lookback_scan_determinismE0ELb1ES3_N6thrust23THRUST_200600_302600_NS6detail15normal_iteratorINS9_10device_ptrIiEEEENSB_INSC_IsEEEESG_sNS9_4plusIvEENS9_8equal_toIvEEsEE10hipError_tPvRmT2_T3_T4_T5_mT6_T7_P12ihipStream_tbENKUlT_T0_E_clISt17integral_constantIbLb0EES11_EEDaSW_SX_EUlSW_E_NS1_11comp_targetILNS1_3genE2ELNS1_11target_archE906ELNS1_3gpuE6ELNS1_3repE0EEENS1_30default_config_static_selectorELNS0_4arch9wavefront6targetE0EEEvT1_
; %bb.0:
	.section	.rodata,"a",@progbits
	.p2align	6, 0x0
	.amdhsa_kernel _ZN7rocprim17ROCPRIM_400000_NS6detail17trampoline_kernelINS0_14default_configENS1_27scan_by_key_config_selectorIisEEZZNS1_16scan_by_key_implILNS1_25lookback_scan_determinismE0ELb1ES3_N6thrust23THRUST_200600_302600_NS6detail15normal_iteratorINS9_10device_ptrIiEEEENSB_INSC_IsEEEESG_sNS9_4plusIvEENS9_8equal_toIvEEsEE10hipError_tPvRmT2_T3_T4_T5_mT6_T7_P12ihipStream_tbENKUlT_T0_E_clISt17integral_constantIbLb0EES11_EEDaSW_SX_EUlSW_E_NS1_11comp_targetILNS1_3genE2ELNS1_11target_archE906ELNS1_3gpuE6ELNS1_3repE0EEENS1_30default_config_static_selectorELNS0_4arch9wavefront6targetE0EEEvT1_
		.amdhsa_group_segment_fixed_size 0
		.amdhsa_private_segment_fixed_size 0
		.amdhsa_kernarg_size 112
		.amdhsa_user_sgpr_count 6
		.amdhsa_user_sgpr_private_segment_buffer 1
		.amdhsa_user_sgpr_dispatch_ptr 0
		.amdhsa_user_sgpr_queue_ptr 0
		.amdhsa_user_sgpr_kernarg_segment_ptr 1
		.amdhsa_user_sgpr_dispatch_id 0
		.amdhsa_user_sgpr_flat_scratch_init 0
		.amdhsa_user_sgpr_private_segment_size 0
		.amdhsa_wavefront_size32 1
		.amdhsa_uses_dynamic_stack 0
		.amdhsa_system_sgpr_private_segment_wavefront_offset 0
		.amdhsa_system_sgpr_workgroup_id_x 1
		.amdhsa_system_sgpr_workgroup_id_y 0
		.amdhsa_system_sgpr_workgroup_id_z 0
		.amdhsa_system_sgpr_workgroup_info 0
		.amdhsa_system_vgpr_workitem_id 0
		.amdhsa_next_free_vgpr 1
		.amdhsa_next_free_sgpr 1
		.amdhsa_reserve_vcc 0
		.amdhsa_reserve_flat_scratch 0
		.amdhsa_float_round_mode_32 0
		.amdhsa_float_round_mode_16_64 0
		.amdhsa_float_denorm_mode_32 3
		.amdhsa_float_denorm_mode_16_64 3
		.amdhsa_dx10_clamp 1
		.amdhsa_ieee_mode 1
		.amdhsa_fp16_overflow 0
		.amdhsa_workgroup_processor_mode 1
		.amdhsa_memory_ordered 1
		.amdhsa_forward_progress 1
		.amdhsa_shared_vgpr_count 0
		.amdhsa_exception_fp_ieee_invalid_op 0
		.amdhsa_exception_fp_denorm_src 0
		.amdhsa_exception_fp_ieee_div_zero 0
		.amdhsa_exception_fp_ieee_overflow 0
		.amdhsa_exception_fp_ieee_underflow 0
		.amdhsa_exception_fp_ieee_inexact 0
		.amdhsa_exception_int_div_zero 0
	.end_amdhsa_kernel
	.section	.text._ZN7rocprim17ROCPRIM_400000_NS6detail17trampoline_kernelINS0_14default_configENS1_27scan_by_key_config_selectorIisEEZZNS1_16scan_by_key_implILNS1_25lookback_scan_determinismE0ELb1ES3_N6thrust23THRUST_200600_302600_NS6detail15normal_iteratorINS9_10device_ptrIiEEEENSB_INSC_IsEEEESG_sNS9_4plusIvEENS9_8equal_toIvEEsEE10hipError_tPvRmT2_T3_T4_T5_mT6_T7_P12ihipStream_tbENKUlT_T0_E_clISt17integral_constantIbLb0EES11_EEDaSW_SX_EUlSW_E_NS1_11comp_targetILNS1_3genE2ELNS1_11target_archE906ELNS1_3gpuE6ELNS1_3repE0EEENS1_30default_config_static_selectorELNS0_4arch9wavefront6targetE0EEEvT1_,"axG",@progbits,_ZN7rocprim17ROCPRIM_400000_NS6detail17trampoline_kernelINS0_14default_configENS1_27scan_by_key_config_selectorIisEEZZNS1_16scan_by_key_implILNS1_25lookback_scan_determinismE0ELb1ES3_N6thrust23THRUST_200600_302600_NS6detail15normal_iteratorINS9_10device_ptrIiEEEENSB_INSC_IsEEEESG_sNS9_4plusIvEENS9_8equal_toIvEEsEE10hipError_tPvRmT2_T3_T4_T5_mT6_T7_P12ihipStream_tbENKUlT_T0_E_clISt17integral_constantIbLb0EES11_EEDaSW_SX_EUlSW_E_NS1_11comp_targetILNS1_3genE2ELNS1_11target_archE906ELNS1_3gpuE6ELNS1_3repE0EEENS1_30default_config_static_selectorELNS0_4arch9wavefront6targetE0EEEvT1_,comdat
.Lfunc_end1612:
	.size	_ZN7rocprim17ROCPRIM_400000_NS6detail17trampoline_kernelINS0_14default_configENS1_27scan_by_key_config_selectorIisEEZZNS1_16scan_by_key_implILNS1_25lookback_scan_determinismE0ELb1ES3_N6thrust23THRUST_200600_302600_NS6detail15normal_iteratorINS9_10device_ptrIiEEEENSB_INSC_IsEEEESG_sNS9_4plusIvEENS9_8equal_toIvEEsEE10hipError_tPvRmT2_T3_T4_T5_mT6_T7_P12ihipStream_tbENKUlT_T0_E_clISt17integral_constantIbLb0EES11_EEDaSW_SX_EUlSW_E_NS1_11comp_targetILNS1_3genE2ELNS1_11target_archE906ELNS1_3gpuE6ELNS1_3repE0EEENS1_30default_config_static_selectorELNS0_4arch9wavefront6targetE0EEEvT1_, .Lfunc_end1612-_ZN7rocprim17ROCPRIM_400000_NS6detail17trampoline_kernelINS0_14default_configENS1_27scan_by_key_config_selectorIisEEZZNS1_16scan_by_key_implILNS1_25lookback_scan_determinismE0ELb1ES3_N6thrust23THRUST_200600_302600_NS6detail15normal_iteratorINS9_10device_ptrIiEEEENSB_INSC_IsEEEESG_sNS9_4plusIvEENS9_8equal_toIvEEsEE10hipError_tPvRmT2_T3_T4_T5_mT6_T7_P12ihipStream_tbENKUlT_T0_E_clISt17integral_constantIbLb0EES11_EEDaSW_SX_EUlSW_E_NS1_11comp_targetILNS1_3genE2ELNS1_11target_archE906ELNS1_3gpuE6ELNS1_3repE0EEENS1_30default_config_static_selectorELNS0_4arch9wavefront6targetE0EEEvT1_
                                        ; -- End function
	.set _ZN7rocprim17ROCPRIM_400000_NS6detail17trampoline_kernelINS0_14default_configENS1_27scan_by_key_config_selectorIisEEZZNS1_16scan_by_key_implILNS1_25lookback_scan_determinismE0ELb1ES3_N6thrust23THRUST_200600_302600_NS6detail15normal_iteratorINS9_10device_ptrIiEEEENSB_INSC_IsEEEESG_sNS9_4plusIvEENS9_8equal_toIvEEsEE10hipError_tPvRmT2_T3_T4_T5_mT6_T7_P12ihipStream_tbENKUlT_T0_E_clISt17integral_constantIbLb0EES11_EEDaSW_SX_EUlSW_E_NS1_11comp_targetILNS1_3genE2ELNS1_11target_archE906ELNS1_3gpuE6ELNS1_3repE0EEENS1_30default_config_static_selectorELNS0_4arch9wavefront6targetE0EEEvT1_.num_vgpr, 0
	.set _ZN7rocprim17ROCPRIM_400000_NS6detail17trampoline_kernelINS0_14default_configENS1_27scan_by_key_config_selectorIisEEZZNS1_16scan_by_key_implILNS1_25lookback_scan_determinismE0ELb1ES3_N6thrust23THRUST_200600_302600_NS6detail15normal_iteratorINS9_10device_ptrIiEEEENSB_INSC_IsEEEESG_sNS9_4plusIvEENS9_8equal_toIvEEsEE10hipError_tPvRmT2_T3_T4_T5_mT6_T7_P12ihipStream_tbENKUlT_T0_E_clISt17integral_constantIbLb0EES11_EEDaSW_SX_EUlSW_E_NS1_11comp_targetILNS1_3genE2ELNS1_11target_archE906ELNS1_3gpuE6ELNS1_3repE0EEENS1_30default_config_static_selectorELNS0_4arch9wavefront6targetE0EEEvT1_.num_agpr, 0
	.set _ZN7rocprim17ROCPRIM_400000_NS6detail17trampoline_kernelINS0_14default_configENS1_27scan_by_key_config_selectorIisEEZZNS1_16scan_by_key_implILNS1_25lookback_scan_determinismE0ELb1ES3_N6thrust23THRUST_200600_302600_NS6detail15normal_iteratorINS9_10device_ptrIiEEEENSB_INSC_IsEEEESG_sNS9_4plusIvEENS9_8equal_toIvEEsEE10hipError_tPvRmT2_T3_T4_T5_mT6_T7_P12ihipStream_tbENKUlT_T0_E_clISt17integral_constantIbLb0EES11_EEDaSW_SX_EUlSW_E_NS1_11comp_targetILNS1_3genE2ELNS1_11target_archE906ELNS1_3gpuE6ELNS1_3repE0EEENS1_30default_config_static_selectorELNS0_4arch9wavefront6targetE0EEEvT1_.numbered_sgpr, 0
	.set _ZN7rocprim17ROCPRIM_400000_NS6detail17trampoline_kernelINS0_14default_configENS1_27scan_by_key_config_selectorIisEEZZNS1_16scan_by_key_implILNS1_25lookback_scan_determinismE0ELb1ES3_N6thrust23THRUST_200600_302600_NS6detail15normal_iteratorINS9_10device_ptrIiEEEENSB_INSC_IsEEEESG_sNS9_4plusIvEENS9_8equal_toIvEEsEE10hipError_tPvRmT2_T3_T4_T5_mT6_T7_P12ihipStream_tbENKUlT_T0_E_clISt17integral_constantIbLb0EES11_EEDaSW_SX_EUlSW_E_NS1_11comp_targetILNS1_3genE2ELNS1_11target_archE906ELNS1_3gpuE6ELNS1_3repE0EEENS1_30default_config_static_selectorELNS0_4arch9wavefront6targetE0EEEvT1_.num_named_barrier, 0
	.set _ZN7rocprim17ROCPRIM_400000_NS6detail17trampoline_kernelINS0_14default_configENS1_27scan_by_key_config_selectorIisEEZZNS1_16scan_by_key_implILNS1_25lookback_scan_determinismE0ELb1ES3_N6thrust23THRUST_200600_302600_NS6detail15normal_iteratorINS9_10device_ptrIiEEEENSB_INSC_IsEEEESG_sNS9_4plusIvEENS9_8equal_toIvEEsEE10hipError_tPvRmT2_T3_T4_T5_mT6_T7_P12ihipStream_tbENKUlT_T0_E_clISt17integral_constantIbLb0EES11_EEDaSW_SX_EUlSW_E_NS1_11comp_targetILNS1_3genE2ELNS1_11target_archE906ELNS1_3gpuE6ELNS1_3repE0EEENS1_30default_config_static_selectorELNS0_4arch9wavefront6targetE0EEEvT1_.private_seg_size, 0
	.set _ZN7rocprim17ROCPRIM_400000_NS6detail17trampoline_kernelINS0_14default_configENS1_27scan_by_key_config_selectorIisEEZZNS1_16scan_by_key_implILNS1_25lookback_scan_determinismE0ELb1ES3_N6thrust23THRUST_200600_302600_NS6detail15normal_iteratorINS9_10device_ptrIiEEEENSB_INSC_IsEEEESG_sNS9_4plusIvEENS9_8equal_toIvEEsEE10hipError_tPvRmT2_T3_T4_T5_mT6_T7_P12ihipStream_tbENKUlT_T0_E_clISt17integral_constantIbLb0EES11_EEDaSW_SX_EUlSW_E_NS1_11comp_targetILNS1_3genE2ELNS1_11target_archE906ELNS1_3gpuE6ELNS1_3repE0EEENS1_30default_config_static_selectorELNS0_4arch9wavefront6targetE0EEEvT1_.uses_vcc, 0
	.set _ZN7rocprim17ROCPRIM_400000_NS6detail17trampoline_kernelINS0_14default_configENS1_27scan_by_key_config_selectorIisEEZZNS1_16scan_by_key_implILNS1_25lookback_scan_determinismE0ELb1ES3_N6thrust23THRUST_200600_302600_NS6detail15normal_iteratorINS9_10device_ptrIiEEEENSB_INSC_IsEEEESG_sNS9_4plusIvEENS9_8equal_toIvEEsEE10hipError_tPvRmT2_T3_T4_T5_mT6_T7_P12ihipStream_tbENKUlT_T0_E_clISt17integral_constantIbLb0EES11_EEDaSW_SX_EUlSW_E_NS1_11comp_targetILNS1_3genE2ELNS1_11target_archE906ELNS1_3gpuE6ELNS1_3repE0EEENS1_30default_config_static_selectorELNS0_4arch9wavefront6targetE0EEEvT1_.uses_flat_scratch, 0
	.set _ZN7rocprim17ROCPRIM_400000_NS6detail17trampoline_kernelINS0_14default_configENS1_27scan_by_key_config_selectorIisEEZZNS1_16scan_by_key_implILNS1_25lookback_scan_determinismE0ELb1ES3_N6thrust23THRUST_200600_302600_NS6detail15normal_iteratorINS9_10device_ptrIiEEEENSB_INSC_IsEEEESG_sNS9_4plusIvEENS9_8equal_toIvEEsEE10hipError_tPvRmT2_T3_T4_T5_mT6_T7_P12ihipStream_tbENKUlT_T0_E_clISt17integral_constantIbLb0EES11_EEDaSW_SX_EUlSW_E_NS1_11comp_targetILNS1_3genE2ELNS1_11target_archE906ELNS1_3gpuE6ELNS1_3repE0EEENS1_30default_config_static_selectorELNS0_4arch9wavefront6targetE0EEEvT1_.has_dyn_sized_stack, 0
	.set _ZN7rocprim17ROCPRIM_400000_NS6detail17trampoline_kernelINS0_14default_configENS1_27scan_by_key_config_selectorIisEEZZNS1_16scan_by_key_implILNS1_25lookback_scan_determinismE0ELb1ES3_N6thrust23THRUST_200600_302600_NS6detail15normal_iteratorINS9_10device_ptrIiEEEENSB_INSC_IsEEEESG_sNS9_4plusIvEENS9_8equal_toIvEEsEE10hipError_tPvRmT2_T3_T4_T5_mT6_T7_P12ihipStream_tbENKUlT_T0_E_clISt17integral_constantIbLb0EES11_EEDaSW_SX_EUlSW_E_NS1_11comp_targetILNS1_3genE2ELNS1_11target_archE906ELNS1_3gpuE6ELNS1_3repE0EEENS1_30default_config_static_selectorELNS0_4arch9wavefront6targetE0EEEvT1_.has_recursion, 0
	.set _ZN7rocprim17ROCPRIM_400000_NS6detail17trampoline_kernelINS0_14default_configENS1_27scan_by_key_config_selectorIisEEZZNS1_16scan_by_key_implILNS1_25lookback_scan_determinismE0ELb1ES3_N6thrust23THRUST_200600_302600_NS6detail15normal_iteratorINS9_10device_ptrIiEEEENSB_INSC_IsEEEESG_sNS9_4plusIvEENS9_8equal_toIvEEsEE10hipError_tPvRmT2_T3_T4_T5_mT6_T7_P12ihipStream_tbENKUlT_T0_E_clISt17integral_constantIbLb0EES11_EEDaSW_SX_EUlSW_E_NS1_11comp_targetILNS1_3genE2ELNS1_11target_archE906ELNS1_3gpuE6ELNS1_3repE0EEENS1_30default_config_static_selectorELNS0_4arch9wavefront6targetE0EEEvT1_.has_indirect_call, 0
	.section	.AMDGPU.csdata,"",@progbits
; Kernel info:
; codeLenInByte = 0
; TotalNumSgprs: 0
; NumVgprs: 0
; ScratchSize: 0
; MemoryBound: 0
; FloatMode: 240
; IeeeMode: 1
; LDSByteSize: 0 bytes/workgroup (compile time only)
; SGPRBlocks: 0
; VGPRBlocks: 0
; NumSGPRsForWavesPerEU: 1
; NumVGPRsForWavesPerEU: 1
; Occupancy: 16
; WaveLimiterHint : 0
; COMPUTE_PGM_RSRC2:SCRATCH_EN: 0
; COMPUTE_PGM_RSRC2:USER_SGPR: 6
; COMPUTE_PGM_RSRC2:TRAP_HANDLER: 0
; COMPUTE_PGM_RSRC2:TGID_X_EN: 1
; COMPUTE_PGM_RSRC2:TGID_Y_EN: 0
; COMPUTE_PGM_RSRC2:TGID_Z_EN: 0
; COMPUTE_PGM_RSRC2:TIDIG_COMP_CNT: 0
	.section	.text._ZN7rocprim17ROCPRIM_400000_NS6detail17trampoline_kernelINS0_14default_configENS1_27scan_by_key_config_selectorIisEEZZNS1_16scan_by_key_implILNS1_25lookback_scan_determinismE0ELb1ES3_N6thrust23THRUST_200600_302600_NS6detail15normal_iteratorINS9_10device_ptrIiEEEENSB_INSC_IsEEEESG_sNS9_4plusIvEENS9_8equal_toIvEEsEE10hipError_tPvRmT2_T3_T4_T5_mT6_T7_P12ihipStream_tbENKUlT_T0_E_clISt17integral_constantIbLb0EES11_EEDaSW_SX_EUlSW_E_NS1_11comp_targetILNS1_3genE10ELNS1_11target_archE1200ELNS1_3gpuE4ELNS1_3repE0EEENS1_30default_config_static_selectorELNS0_4arch9wavefront6targetE0EEEvT1_,"axG",@progbits,_ZN7rocprim17ROCPRIM_400000_NS6detail17trampoline_kernelINS0_14default_configENS1_27scan_by_key_config_selectorIisEEZZNS1_16scan_by_key_implILNS1_25lookback_scan_determinismE0ELb1ES3_N6thrust23THRUST_200600_302600_NS6detail15normal_iteratorINS9_10device_ptrIiEEEENSB_INSC_IsEEEESG_sNS9_4plusIvEENS9_8equal_toIvEEsEE10hipError_tPvRmT2_T3_T4_T5_mT6_T7_P12ihipStream_tbENKUlT_T0_E_clISt17integral_constantIbLb0EES11_EEDaSW_SX_EUlSW_E_NS1_11comp_targetILNS1_3genE10ELNS1_11target_archE1200ELNS1_3gpuE4ELNS1_3repE0EEENS1_30default_config_static_selectorELNS0_4arch9wavefront6targetE0EEEvT1_,comdat
	.protected	_ZN7rocprim17ROCPRIM_400000_NS6detail17trampoline_kernelINS0_14default_configENS1_27scan_by_key_config_selectorIisEEZZNS1_16scan_by_key_implILNS1_25lookback_scan_determinismE0ELb1ES3_N6thrust23THRUST_200600_302600_NS6detail15normal_iteratorINS9_10device_ptrIiEEEENSB_INSC_IsEEEESG_sNS9_4plusIvEENS9_8equal_toIvEEsEE10hipError_tPvRmT2_T3_T4_T5_mT6_T7_P12ihipStream_tbENKUlT_T0_E_clISt17integral_constantIbLb0EES11_EEDaSW_SX_EUlSW_E_NS1_11comp_targetILNS1_3genE10ELNS1_11target_archE1200ELNS1_3gpuE4ELNS1_3repE0EEENS1_30default_config_static_selectorELNS0_4arch9wavefront6targetE0EEEvT1_ ; -- Begin function _ZN7rocprim17ROCPRIM_400000_NS6detail17trampoline_kernelINS0_14default_configENS1_27scan_by_key_config_selectorIisEEZZNS1_16scan_by_key_implILNS1_25lookback_scan_determinismE0ELb1ES3_N6thrust23THRUST_200600_302600_NS6detail15normal_iteratorINS9_10device_ptrIiEEEENSB_INSC_IsEEEESG_sNS9_4plusIvEENS9_8equal_toIvEEsEE10hipError_tPvRmT2_T3_T4_T5_mT6_T7_P12ihipStream_tbENKUlT_T0_E_clISt17integral_constantIbLb0EES11_EEDaSW_SX_EUlSW_E_NS1_11comp_targetILNS1_3genE10ELNS1_11target_archE1200ELNS1_3gpuE4ELNS1_3repE0EEENS1_30default_config_static_selectorELNS0_4arch9wavefront6targetE0EEEvT1_
	.globl	_ZN7rocprim17ROCPRIM_400000_NS6detail17trampoline_kernelINS0_14default_configENS1_27scan_by_key_config_selectorIisEEZZNS1_16scan_by_key_implILNS1_25lookback_scan_determinismE0ELb1ES3_N6thrust23THRUST_200600_302600_NS6detail15normal_iteratorINS9_10device_ptrIiEEEENSB_INSC_IsEEEESG_sNS9_4plusIvEENS9_8equal_toIvEEsEE10hipError_tPvRmT2_T3_T4_T5_mT6_T7_P12ihipStream_tbENKUlT_T0_E_clISt17integral_constantIbLb0EES11_EEDaSW_SX_EUlSW_E_NS1_11comp_targetILNS1_3genE10ELNS1_11target_archE1200ELNS1_3gpuE4ELNS1_3repE0EEENS1_30default_config_static_selectorELNS0_4arch9wavefront6targetE0EEEvT1_
	.p2align	8
	.type	_ZN7rocprim17ROCPRIM_400000_NS6detail17trampoline_kernelINS0_14default_configENS1_27scan_by_key_config_selectorIisEEZZNS1_16scan_by_key_implILNS1_25lookback_scan_determinismE0ELb1ES3_N6thrust23THRUST_200600_302600_NS6detail15normal_iteratorINS9_10device_ptrIiEEEENSB_INSC_IsEEEESG_sNS9_4plusIvEENS9_8equal_toIvEEsEE10hipError_tPvRmT2_T3_T4_T5_mT6_T7_P12ihipStream_tbENKUlT_T0_E_clISt17integral_constantIbLb0EES11_EEDaSW_SX_EUlSW_E_NS1_11comp_targetILNS1_3genE10ELNS1_11target_archE1200ELNS1_3gpuE4ELNS1_3repE0EEENS1_30default_config_static_selectorELNS0_4arch9wavefront6targetE0EEEvT1_,@function
_ZN7rocprim17ROCPRIM_400000_NS6detail17trampoline_kernelINS0_14default_configENS1_27scan_by_key_config_selectorIisEEZZNS1_16scan_by_key_implILNS1_25lookback_scan_determinismE0ELb1ES3_N6thrust23THRUST_200600_302600_NS6detail15normal_iteratorINS9_10device_ptrIiEEEENSB_INSC_IsEEEESG_sNS9_4plusIvEENS9_8equal_toIvEEsEE10hipError_tPvRmT2_T3_T4_T5_mT6_T7_P12ihipStream_tbENKUlT_T0_E_clISt17integral_constantIbLb0EES11_EEDaSW_SX_EUlSW_E_NS1_11comp_targetILNS1_3genE10ELNS1_11target_archE1200ELNS1_3gpuE4ELNS1_3repE0EEENS1_30default_config_static_selectorELNS0_4arch9wavefront6targetE0EEEvT1_: ; @_ZN7rocprim17ROCPRIM_400000_NS6detail17trampoline_kernelINS0_14default_configENS1_27scan_by_key_config_selectorIisEEZZNS1_16scan_by_key_implILNS1_25lookback_scan_determinismE0ELb1ES3_N6thrust23THRUST_200600_302600_NS6detail15normal_iteratorINS9_10device_ptrIiEEEENSB_INSC_IsEEEESG_sNS9_4plusIvEENS9_8equal_toIvEEsEE10hipError_tPvRmT2_T3_T4_T5_mT6_T7_P12ihipStream_tbENKUlT_T0_E_clISt17integral_constantIbLb0EES11_EEDaSW_SX_EUlSW_E_NS1_11comp_targetILNS1_3genE10ELNS1_11target_archE1200ELNS1_3gpuE4ELNS1_3repE0EEENS1_30default_config_static_selectorELNS0_4arch9wavefront6targetE0EEEvT1_
; %bb.0:
	.section	.rodata,"a",@progbits
	.p2align	6, 0x0
	.amdhsa_kernel _ZN7rocprim17ROCPRIM_400000_NS6detail17trampoline_kernelINS0_14default_configENS1_27scan_by_key_config_selectorIisEEZZNS1_16scan_by_key_implILNS1_25lookback_scan_determinismE0ELb1ES3_N6thrust23THRUST_200600_302600_NS6detail15normal_iteratorINS9_10device_ptrIiEEEENSB_INSC_IsEEEESG_sNS9_4plusIvEENS9_8equal_toIvEEsEE10hipError_tPvRmT2_T3_T4_T5_mT6_T7_P12ihipStream_tbENKUlT_T0_E_clISt17integral_constantIbLb0EES11_EEDaSW_SX_EUlSW_E_NS1_11comp_targetILNS1_3genE10ELNS1_11target_archE1200ELNS1_3gpuE4ELNS1_3repE0EEENS1_30default_config_static_selectorELNS0_4arch9wavefront6targetE0EEEvT1_
		.amdhsa_group_segment_fixed_size 0
		.amdhsa_private_segment_fixed_size 0
		.amdhsa_kernarg_size 112
		.amdhsa_user_sgpr_count 6
		.amdhsa_user_sgpr_private_segment_buffer 1
		.amdhsa_user_sgpr_dispatch_ptr 0
		.amdhsa_user_sgpr_queue_ptr 0
		.amdhsa_user_sgpr_kernarg_segment_ptr 1
		.amdhsa_user_sgpr_dispatch_id 0
		.amdhsa_user_sgpr_flat_scratch_init 0
		.amdhsa_user_sgpr_private_segment_size 0
		.amdhsa_wavefront_size32 1
		.amdhsa_uses_dynamic_stack 0
		.amdhsa_system_sgpr_private_segment_wavefront_offset 0
		.amdhsa_system_sgpr_workgroup_id_x 1
		.amdhsa_system_sgpr_workgroup_id_y 0
		.amdhsa_system_sgpr_workgroup_id_z 0
		.amdhsa_system_sgpr_workgroup_info 0
		.amdhsa_system_vgpr_workitem_id 0
		.amdhsa_next_free_vgpr 1
		.amdhsa_next_free_sgpr 1
		.amdhsa_reserve_vcc 0
		.amdhsa_reserve_flat_scratch 0
		.amdhsa_float_round_mode_32 0
		.amdhsa_float_round_mode_16_64 0
		.amdhsa_float_denorm_mode_32 3
		.amdhsa_float_denorm_mode_16_64 3
		.amdhsa_dx10_clamp 1
		.amdhsa_ieee_mode 1
		.amdhsa_fp16_overflow 0
		.amdhsa_workgroup_processor_mode 1
		.amdhsa_memory_ordered 1
		.amdhsa_forward_progress 1
		.amdhsa_shared_vgpr_count 0
		.amdhsa_exception_fp_ieee_invalid_op 0
		.amdhsa_exception_fp_denorm_src 0
		.amdhsa_exception_fp_ieee_div_zero 0
		.amdhsa_exception_fp_ieee_overflow 0
		.amdhsa_exception_fp_ieee_underflow 0
		.amdhsa_exception_fp_ieee_inexact 0
		.amdhsa_exception_int_div_zero 0
	.end_amdhsa_kernel
	.section	.text._ZN7rocprim17ROCPRIM_400000_NS6detail17trampoline_kernelINS0_14default_configENS1_27scan_by_key_config_selectorIisEEZZNS1_16scan_by_key_implILNS1_25lookback_scan_determinismE0ELb1ES3_N6thrust23THRUST_200600_302600_NS6detail15normal_iteratorINS9_10device_ptrIiEEEENSB_INSC_IsEEEESG_sNS9_4plusIvEENS9_8equal_toIvEEsEE10hipError_tPvRmT2_T3_T4_T5_mT6_T7_P12ihipStream_tbENKUlT_T0_E_clISt17integral_constantIbLb0EES11_EEDaSW_SX_EUlSW_E_NS1_11comp_targetILNS1_3genE10ELNS1_11target_archE1200ELNS1_3gpuE4ELNS1_3repE0EEENS1_30default_config_static_selectorELNS0_4arch9wavefront6targetE0EEEvT1_,"axG",@progbits,_ZN7rocprim17ROCPRIM_400000_NS6detail17trampoline_kernelINS0_14default_configENS1_27scan_by_key_config_selectorIisEEZZNS1_16scan_by_key_implILNS1_25lookback_scan_determinismE0ELb1ES3_N6thrust23THRUST_200600_302600_NS6detail15normal_iteratorINS9_10device_ptrIiEEEENSB_INSC_IsEEEESG_sNS9_4plusIvEENS9_8equal_toIvEEsEE10hipError_tPvRmT2_T3_T4_T5_mT6_T7_P12ihipStream_tbENKUlT_T0_E_clISt17integral_constantIbLb0EES11_EEDaSW_SX_EUlSW_E_NS1_11comp_targetILNS1_3genE10ELNS1_11target_archE1200ELNS1_3gpuE4ELNS1_3repE0EEENS1_30default_config_static_selectorELNS0_4arch9wavefront6targetE0EEEvT1_,comdat
.Lfunc_end1613:
	.size	_ZN7rocprim17ROCPRIM_400000_NS6detail17trampoline_kernelINS0_14default_configENS1_27scan_by_key_config_selectorIisEEZZNS1_16scan_by_key_implILNS1_25lookback_scan_determinismE0ELb1ES3_N6thrust23THRUST_200600_302600_NS6detail15normal_iteratorINS9_10device_ptrIiEEEENSB_INSC_IsEEEESG_sNS9_4plusIvEENS9_8equal_toIvEEsEE10hipError_tPvRmT2_T3_T4_T5_mT6_T7_P12ihipStream_tbENKUlT_T0_E_clISt17integral_constantIbLb0EES11_EEDaSW_SX_EUlSW_E_NS1_11comp_targetILNS1_3genE10ELNS1_11target_archE1200ELNS1_3gpuE4ELNS1_3repE0EEENS1_30default_config_static_selectorELNS0_4arch9wavefront6targetE0EEEvT1_, .Lfunc_end1613-_ZN7rocprim17ROCPRIM_400000_NS6detail17trampoline_kernelINS0_14default_configENS1_27scan_by_key_config_selectorIisEEZZNS1_16scan_by_key_implILNS1_25lookback_scan_determinismE0ELb1ES3_N6thrust23THRUST_200600_302600_NS6detail15normal_iteratorINS9_10device_ptrIiEEEENSB_INSC_IsEEEESG_sNS9_4plusIvEENS9_8equal_toIvEEsEE10hipError_tPvRmT2_T3_T4_T5_mT6_T7_P12ihipStream_tbENKUlT_T0_E_clISt17integral_constantIbLb0EES11_EEDaSW_SX_EUlSW_E_NS1_11comp_targetILNS1_3genE10ELNS1_11target_archE1200ELNS1_3gpuE4ELNS1_3repE0EEENS1_30default_config_static_selectorELNS0_4arch9wavefront6targetE0EEEvT1_
                                        ; -- End function
	.set _ZN7rocprim17ROCPRIM_400000_NS6detail17trampoline_kernelINS0_14default_configENS1_27scan_by_key_config_selectorIisEEZZNS1_16scan_by_key_implILNS1_25lookback_scan_determinismE0ELb1ES3_N6thrust23THRUST_200600_302600_NS6detail15normal_iteratorINS9_10device_ptrIiEEEENSB_INSC_IsEEEESG_sNS9_4plusIvEENS9_8equal_toIvEEsEE10hipError_tPvRmT2_T3_T4_T5_mT6_T7_P12ihipStream_tbENKUlT_T0_E_clISt17integral_constantIbLb0EES11_EEDaSW_SX_EUlSW_E_NS1_11comp_targetILNS1_3genE10ELNS1_11target_archE1200ELNS1_3gpuE4ELNS1_3repE0EEENS1_30default_config_static_selectorELNS0_4arch9wavefront6targetE0EEEvT1_.num_vgpr, 0
	.set _ZN7rocprim17ROCPRIM_400000_NS6detail17trampoline_kernelINS0_14default_configENS1_27scan_by_key_config_selectorIisEEZZNS1_16scan_by_key_implILNS1_25lookback_scan_determinismE0ELb1ES3_N6thrust23THRUST_200600_302600_NS6detail15normal_iteratorINS9_10device_ptrIiEEEENSB_INSC_IsEEEESG_sNS9_4plusIvEENS9_8equal_toIvEEsEE10hipError_tPvRmT2_T3_T4_T5_mT6_T7_P12ihipStream_tbENKUlT_T0_E_clISt17integral_constantIbLb0EES11_EEDaSW_SX_EUlSW_E_NS1_11comp_targetILNS1_3genE10ELNS1_11target_archE1200ELNS1_3gpuE4ELNS1_3repE0EEENS1_30default_config_static_selectorELNS0_4arch9wavefront6targetE0EEEvT1_.num_agpr, 0
	.set _ZN7rocprim17ROCPRIM_400000_NS6detail17trampoline_kernelINS0_14default_configENS1_27scan_by_key_config_selectorIisEEZZNS1_16scan_by_key_implILNS1_25lookback_scan_determinismE0ELb1ES3_N6thrust23THRUST_200600_302600_NS6detail15normal_iteratorINS9_10device_ptrIiEEEENSB_INSC_IsEEEESG_sNS9_4plusIvEENS9_8equal_toIvEEsEE10hipError_tPvRmT2_T3_T4_T5_mT6_T7_P12ihipStream_tbENKUlT_T0_E_clISt17integral_constantIbLb0EES11_EEDaSW_SX_EUlSW_E_NS1_11comp_targetILNS1_3genE10ELNS1_11target_archE1200ELNS1_3gpuE4ELNS1_3repE0EEENS1_30default_config_static_selectorELNS0_4arch9wavefront6targetE0EEEvT1_.numbered_sgpr, 0
	.set _ZN7rocprim17ROCPRIM_400000_NS6detail17trampoline_kernelINS0_14default_configENS1_27scan_by_key_config_selectorIisEEZZNS1_16scan_by_key_implILNS1_25lookback_scan_determinismE0ELb1ES3_N6thrust23THRUST_200600_302600_NS6detail15normal_iteratorINS9_10device_ptrIiEEEENSB_INSC_IsEEEESG_sNS9_4plusIvEENS9_8equal_toIvEEsEE10hipError_tPvRmT2_T3_T4_T5_mT6_T7_P12ihipStream_tbENKUlT_T0_E_clISt17integral_constantIbLb0EES11_EEDaSW_SX_EUlSW_E_NS1_11comp_targetILNS1_3genE10ELNS1_11target_archE1200ELNS1_3gpuE4ELNS1_3repE0EEENS1_30default_config_static_selectorELNS0_4arch9wavefront6targetE0EEEvT1_.num_named_barrier, 0
	.set _ZN7rocprim17ROCPRIM_400000_NS6detail17trampoline_kernelINS0_14default_configENS1_27scan_by_key_config_selectorIisEEZZNS1_16scan_by_key_implILNS1_25lookback_scan_determinismE0ELb1ES3_N6thrust23THRUST_200600_302600_NS6detail15normal_iteratorINS9_10device_ptrIiEEEENSB_INSC_IsEEEESG_sNS9_4plusIvEENS9_8equal_toIvEEsEE10hipError_tPvRmT2_T3_T4_T5_mT6_T7_P12ihipStream_tbENKUlT_T0_E_clISt17integral_constantIbLb0EES11_EEDaSW_SX_EUlSW_E_NS1_11comp_targetILNS1_3genE10ELNS1_11target_archE1200ELNS1_3gpuE4ELNS1_3repE0EEENS1_30default_config_static_selectorELNS0_4arch9wavefront6targetE0EEEvT1_.private_seg_size, 0
	.set _ZN7rocprim17ROCPRIM_400000_NS6detail17trampoline_kernelINS0_14default_configENS1_27scan_by_key_config_selectorIisEEZZNS1_16scan_by_key_implILNS1_25lookback_scan_determinismE0ELb1ES3_N6thrust23THRUST_200600_302600_NS6detail15normal_iteratorINS9_10device_ptrIiEEEENSB_INSC_IsEEEESG_sNS9_4plusIvEENS9_8equal_toIvEEsEE10hipError_tPvRmT2_T3_T4_T5_mT6_T7_P12ihipStream_tbENKUlT_T0_E_clISt17integral_constantIbLb0EES11_EEDaSW_SX_EUlSW_E_NS1_11comp_targetILNS1_3genE10ELNS1_11target_archE1200ELNS1_3gpuE4ELNS1_3repE0EEENS1_30default_config_static_selectorELNS0_4arch9wavefront6targetE0EEEvT1_.uses_vcc, 0
	.set _ZN7rocprim17ROCPRIM_400000_NS6detail17trampoline_kernelINS0_14default_configENS1_27scan_by_key_config_selectorIisEEZZNS1_16scan_by_key_implILNS1_25lookback_scan_determinismE0ELb1ES3_N6thrust23THRUST_200600_302600_NS6detail15normal_iteratorINS9_10device_ptrIiEEEENSB_INSC_IsEEEESG_sNS9_4plusIvEENS9_8equal_toIvEEsEE10hipError_tPvRmT2_T3_T4_T5_mT6_T7_P12ihipStream_tbENKUlT_T0_E_clISt17integral_constantIbLb0EES11_EEDaSW_SX_EUlSW_E_NS1_11comp_targetILNS1_3genE10ELNS1_11target_archE1200ELNS1_3gpuE4ELNS1_3repE0EEENS1_30default_config_static_selectorELNS0_4arch9wavefront6targetE0EEEvT1_.uses_flat_scratch, 0
	.set _ZN7rocprim17ROCPRIM_400000_NS6detail17trampoline_kernelINS0_14default_configENS1_27scan_by_key_config_selectorIisEEZZNS1_16scan_by_key_implILNS1_25lookback_scan_determinismE0ELb1ES3_N6thrust23THRUST_200600_302600_NS6detail15normal_iteratorINS9_10device_ptrIiEEEENSB_INSC_IsEEEESG_sNS9_4plusIvEENS9_8equal_toIvEEsEE10hipError_tPvRmT2_T3_T4_T5_mT6_T7_P12ihipStream_tbENKUlT_T0_E_clISt17integral_constantIbLb0EES11_EEDaSW_SX_EUlSW_E_NS1_11comp_targetILNS1_3genE10ELNS1_11target_archE1200ELNS1_3gpuE4ELNS1_3repE0EEENS1_30default_config_static_selectorELNS0_4arch9wavefront6targetE0EEEvT1_.has_dyn_sized_stack, 0
	.set _ZN7rocprim17ROCPRIM_400000_NS6detail17trampoline_kernelINS0_14default_configENS1_27scan_by_key_config_selectorIisEEZZNS1_16scan_by_key_implILNS1_25lookback_scan_determinismE0ELb1ES3_N6thrust23THRUST_200600_302600_NS6detail15normal_iteratorINS9_10device_ptrIiEEEENSB_INSC_IsEEEESG_sNS9_4plusIvEENS9_8equal_toIvEEsEE10hipError_tPvRmT2_T3_T4_T5_mT6_T7_P12ihipStream_tbENKUlT_T0_E_clISt17integral_constantIbLb0EES11_EEDaSW_SX_EUlSW_E_NS1_11comp_targetILNS1_3genE10ELNS1_11target_archE1200ELNS1_3gpuE4ELNS1_3repE0EEENS1_30default_config_static_selectorELNS0_4arch9wavefront6targetE0EEEvT1_.has_recursion, 0
	.set _ZN7rocprim17ROCPRIM_400000_NS6detail17trampoline_kernelINS0_14default_configENS1_27scan_by_key_config_selectorIisEEZZNS1_16scan_by_key_implILNS1_25lookback_scan_determinismE0ELb1ES3_N6thrust23THRUST_200600_302600_NS6detail15normal_iteratorINS9_10device_ptrIiEEEENSB_INSC_IsEEEESG_sNS9_4plusIvEENS9_8equal_toIvEEsEE10hipError_tPvRmT2_T3_T4_T5_mT6_T7_P12ihipStream_tbENKUlT_T0_E_clISt17integral_constantIbLb0EES11_EEDaSW_SX_EUlSW_E_NS1_11comp_targetILNS1_3genE10ELNS1_11target_archE1200ELNS1_3gpuE4ELNS1_3repE0EEENS1_30default_config_static_selectorELNS0_4arch9wavefront6targetE0EEEvT1_.has_indirect_call, 0
	.section	.AMDGPU.csdata,"",@progbits
; Kernel info:
; codeLenInByte = 0
; TotalNumSgprs: 0
; NumVgprs: 0
; ScratchSize: 0
; MemoryBound: 0
; FloatMode: 240
; IeeeMode: 1
; LDSByteSize: 0 bytes/workgroup (compile time only)
; SGPRBlocks: 0
; VGPRBlocks: 0
; NumSGPRsForWavesPerEU: 1
; NumVGPRsForWavesPerEU: 1
; Occupancy: 16
; WaveLimiterHint : 0
; COMPUTE_PGM_RSRC2:SCRATCH_EN: 0
; COMPUTE_PGM_RSRC2:USER_SGPR: 6
; COMPUTE_PGM_RSRC2:TRAP_HANDLER: 0
; COMPUTE_PGM_RSRC2:TGID_X_EN: 1
; COMPUTE_PGM_RSRC2:TGID_Y_EN: 0
; COMPUTE_PGM_RSRC2:TGID_Z_EN: 0
; COMPUTE_PGM_RSRC2:TIDIG_COMP_CNT: 0
	.section	.text._ZN7rocprim17ROCPRIM_400000_NS6detail17trampoline_kernelINS0_14default_configENS1_27scan_by_key_config_selectorIisEEZZNS1_16scan_by_key_implILNS1_25lookback_scan_determinismE0ELb1ES3_N6thrust23THRUST_200600_302600_NS6detail15normal_iteratorINS9_10device_ptrIiEEEENSB_INSC_IsEEEESG_sNS9_4plusIvEENS9_8equal_toIvEEsEE10hipError_tPvRmT2_T3_T4_T5_mT6_T7_P12ihipStream_tbENKUlT_T0_E_clISt17integral_constantIbLb0EES11_EEDaSW_SX_EUlSW_E_NS1_11comp_targetILNS1_3genE9ELNS1_11target_archE1100ELNS1_3gpuE3ELNS1_3repE0EEENS1_30default_config_static_selectorELNS0_4arch9wavefront6targetE0EEEvT1_,"axG",@progbits,_ZN7rocprim17ROCPRIM_400000_NS6detail17trampoline_kernelINS0_14default_configENS1_27scan_by_key_config_selectorIisEEZZNS1_16scan_by_key_implILNS1_25lookback_scan_determinismE0ELb1ES3_N6thrust23THRUST_200600_302600_NS6detail15normal_iteratorINS9_10device_ptrIiEEEENSB_INSC_IsEEEESG_sNS9_4plusIvEENS9_8equal_toIvEEsEE10hipError_tPvRmT2_T3_T4_T5_mT6_T7_P12ihipStream_tbENKUlT_T0_E_clISt17integral_constantIbLb0EES11_EEDaSW_SX_EUlSW_E_NS1_11comp_targetILNS1_3genE9ELNS1_11target_archE1100ELNS1_3gpuE3ELNS1_3repE0EEENS1_30default_config_static_selectorELNS0_4arch9wavefront6targetE0EEEvT1_,comdat
	.protected	_ZN7rocprim17ROCPRIM_400000_NS6detail17trampoline_kernelINS0_14default_configENS1_27scan_by_key_config_selectorIisEEZZNS1_16scan_by_key_implILNS1_25lookback_scan_determinismE0ELb1ES3_N6thrust23THRUST_200600_302600_NS6detail15normal_iteratorINS9_10device_ptrIiEEEENSB_INSC_IsEEEESG_sNS9_4plusIvEENS9_8equal_toIvEEsEE10hipError_tPvRmT2_T3_T4_T5_mT6_T7_P12ihipStream_tbENKUlT_T0_E_clISt17integral_constantIbLb0EES11_EEDaSW_SX_EUlSW_E_NS1_11comp_targetILNS1_3genE9ELNS1_11target_archE1100ELNS1_3gpuE3ELNS1_3repE0EEENS1_30default_config_static_selectorELNS0_4arch9wavefront6targetE0EEEvT1_ ; -- Begin function _ZN7rocprim17ROCPRIM_400000_NS6detail17trampoline_kernelINS0_14default_configENS1_27scan_by_key_config_selectorIisEEZZNS1_16scan_by_key_implILNS1_25lookback_scan_determinismE0ELb1ES3_N6thrust23THRUST_200600_302600_NS6detail15normal_iteratorINS9_10device_ptrIiEEEENSB_INSC_IsEEEESG_sNS9_4plusIvEENS9_8equal_toIvEEsEE10hipError_tPvRmT2_T3_T4_T5_mT6_T7_P12ihipStream_tbENKUlT_T0_E_clISt17integral_constantIbLb0EES11_EEDaSW_SX_EUlSW_E_NS1_11comp_targetILNS1_3genE9ELNS1_11target_archE1100ELNS1_3gpuE3ELNS1_3repE0EEENS1_30default_config_static_selectorELNS0_4arch9wavefront6targetE0EEEvT1_
	.globl	_ZN7rocprim17ROCPRIM_400000_NS6detail17trampoline_kernelINS0_14default_configENS1_27scan_by_key_config_selectorIisEEZZNS1_16scan_by_key_implILNS1_25lookback_scan_determinismE0ELb1ES3_N6thrust23THRUST_200600_302600_NS6detail15normal_iteratorINS9_10device_ptrIiEEEENSB_INSC_IsEEEESG_sNS9_4plusIvEENS9_8equal_toIvEEsEE10hipError_tPvRmT2_T3_T4_T5_mT6_T7_P12ihipStream_tbENKUlT_T0_E_clISt17integral_constantIbLb0EES11_EEDaSW_SX_EUlSW_E_NS1_11comp_targetILNS1_3genE9ELNS1_11target_archE1100ELNS1_3gpuE3ELNS1_3repE0EEENS1_30default_config_static_selectorELNS0_4arch9wavefront6targetE0EEEvT1_
	.p2align	8
	.type	_ZN7rocprim17ROCPRIM_400000_NS6detail17trampoline_kernelINS0_14default_configENS1_27scan_by_key_config_selectorIisEEZZNS1_16scan_by_key_implILNS1_25lookback_scan_determinismE0ELb1ES3_N6thrust23THRUST_200600_302600_NS6detail15normal_iteratorINS9_10device_ptrIiEEEENSB_INSC_IsEEEESG_sNS9_4plusIvEENS9_8equal_toIvEEsEE10hipError_tPvRmT2_T3_T4_T5_mT6_T7_P12ihipStream_tbENKUlT_T0_E_clISt17integral_constantIbLb0EES11_EEDaSW_SX_EUlSW_E_NS1_11comp_targetILNS1_3genE9ELNS1_11target_archE1100ELNS1_3gpuE3ELNS1_3repE0EEENS1_30default_config_static_selectorELNS0_4arch9wavefront6targetE0EEEvT1_,@function
_ZN7rocprim17ROCPRIM_400000_NS6detail17trampoline_kernelINS0_14default_configENS1_27scan_by_key_config_selectorIisEEZZNS1_16scan_by_key_implILNS1_25lookback_scan_determinismE0ELb1ES3_N6thrust23THRUST_200600_302600_NS6detail15normal_iteratorINS9_10device_ptrIiEEEENSB_INSC_IsEEEESG_sNS9_4plusIvEENS9_8equal_toIvEEsEE10hipError_tPvRmT2_T3_T4_T5_mT6_T7_P12ihipStream_tbENKUlT_T0_E_clISt17integral_constantIbLb0EES11_EEDaSW_SX_EUlSW_E_NS1_11comp_targetILNS1_3genE9ELNS1_11target_archE1100ELNS1_3gpuE3ELNS1_3repE0EEENS1_30default_config_static_selectorELNS0_4arch9wavefront6targetE0EEEvT1_: ; @_ZN7rocprim17ROCPRIM_400000_NS6detail17trampoline_kernelINS0_14default_configENS1_27scan_by_key_config_selectorIisEEZZNS1_16scan_by_key_implILNS1_25lookback_scan_determinismE0ELb1ES3_N6thrust23THRUST_200600_302600_NS6detail15normal_iteratorINS9_10device_ptrIiEEEENSB_INSC_IsEEEESG_sNS9_4plusIvEENS9_8equal_toIvEEsEE10hipError_tPvRmT2_T3_T4_T5_mT6_T7_P12ihipStream_tbENKUlT_T0_E_clISt17integral_constantIbLb0EES11_EEDaSW_SX_EUlSW_E_NS1_11comp_targetILNS1_3genE9ELNS1_11target_archE1100ELNS1_3gpuE3ELNS1_3repE0EEENS1_30default_config_static_selectorELNS0_4arch9wavefront6targetE0EEEvT1_
; %bb.0:
	.section	.rodata,"a",@progbits
	.p2align	6, 0x0
	.amdhsa_kernel _ZN7rocprim17ROCPRIM_400000_NS6detail17trampoline_kernelINS0_14default_configENS1_27scan_by_key_config_selectorIisEEZZNS1_16scan_by_key_implILNS1_25lookback_scan_determinismE0ELb1ES3_N6thrust23THRUST_200600_302600_NS6detail15normal_iteratorINS9_10device_ptrIiEEEENSB_INSC_IsEEEESG_sNS9_4plusIvEENS9_8equal_toIvEEsEE10hipError_tPvRmT2_T3_T4_T5_mT6_T7_P12ihipStream_tbENKUlT_T0_E_clISt17integral_constantIbLb0EES11_EEDaSW_SX_EUlSW_E_NS1_11comp_targetILNS1_3genE9ELNS1_11target_archE1100ELNS1_3gpuE3ELNS1_3repE0EEENS1_30default_config_static_selectorELNS0_4arch9wavefront6targetE0EEEvT1_
		.amdhsa_group_segment_fixed_size 0
		.amdhsa_private_segment_fixed_size 0
		.amdhsa_kernarg_size 112
		.amdhsa_user_sgpr_count 6
		.amdhsa_user_sgpr_private_segment_buffer 1
		.amdhsa_user_sgpr_dispatch_ptr 0
		.amdhsa_user_sgpr_queue_ptr 0
		.amdhsa_user_sgpr_kernarg_segment_ptr 1
		.amdhsa_user_sgpr_dispatch_id 0
		.amdhsa_user_sgpr_flat_scratch_init 0
		.amdhsa_user_sgpr_private_segment_size 0
		.amdhsa_wavefront_size32 1
		.amdhsa_uses_dynamic_stack 0
		.amdhsa_system_sgpr_private_segment_wavefront_offset 0
		.amdhsa_system_sgpr_workgroup_id_x 1
		.amdhsa_system_sgpr_workgroup_id_y 0
		.amdhsa_system_sgpr_workgroup_id_z 0
		.amdhsa_system_sgpr_workgroup_info 0
		.amdhsa_system_vgpr_workitem_id 0
		.amdhsa_next_free_vgpr 1
		.amdhsa_next_free_sgpr 1
		.amdhsa_reserve_vcc 0
		.amdhsa_reserve_flat_scratch 0
		.amdhsa_float_round_mode_32 0
		.amdhsa_float_round_mode_16_64 0
		.amdhsa_float_denorm_mode_32 3
		.amdhsa_float_denorm_mode_16_64 3
		.amdhsa_dx10_clamp 1
		.amdhsa_ieee_mode 1
		.amdhsa_fp16_overflow 0
		.amdhsa_workgroup_processor_mode 1
		.amdhsa_memory_ordered 1
		.amdhsa_forward_progress 1
		.amdhsa_shared_vgpr_count 0
		.amdhsa_exception_fp_ieee_invalid_op 0
		.amdhsa_exception_fp_denorm_src 0
		.amdhsa_exception_fp_ieee_div_zero 0
		.amdhsa_exception_fp_ieee_overflow 0
		.amdhsa_exception_fp_ieee_underflow 0
		.amdhsa_exception_fp_ieee_inexact 0
		.amdhsa_exception_int_div_zero 0
	.end_amdhsa_kernel
	.section	.text._ZN7rocprim17ROCPRIM_400000_NS6detail17trampoline_kernelINS0_14default_configENS1_27scan_by_key_config_selectorIisEEZZNS1_16scan_by_key_implILNS1_25lookback_scan_determinismE0ELb1ES3_N6thrust23THRUST_200600_302600_NS6detail15normal_iteratorINS9_10device_ptrIiEEEENSB_INSC_IsEEEESG_sNS9_4plusIvEENS9_8equal_toIvEEsEE10hipError_tPvRmT2_T3_T4_T5_mT6_T7_P12ihipStream_tbENKUlT_T0_E_clISt17integral_constantIbLb0EES11_EEDaSW_SX_EUlSW_E_NS1_11comp_targetILNS1_3genE9ELNS1_11target_archE1100ELNS1_3gpuE3ELNS1_3repE0EEENS1_30default_config_static_selectorELNS0_4arch9wavefront6targetE0EEEvT1_,"axG",@progbits,_ZN7rocprim17ROCPRIM_400000_NS6detail17trampoline_kernelINS0_14default_configENS1_27scan_by_key_config_selectorIisEEZZNS1_16scan_by_key_implILNS1_25lookback_scan_determinismE0ELb1ES3_N6thrust23THRUST_200600_302600_NS6detail15normal_iteratorINS9_10device_ptrIiEEEENSB_INSC_IsEEEESG_sNS9_4plusIvEENS9_8equal_toIvEEsEE10hipError_tPvRmT2_T3_T4_T5_mT6_T7_P12ihipStream_tbENKUlT_T0_E_clISt17integral_constantIbLb0EES11_EEDaSW_SX_EUlSW_E_NS1_11comp_targetILNS1_3genE9ELNS1_11target_archE1100ELNS1_3gpuE3ELNS1_3repE0EEENS1_30default_config_static_selectorELNS0_4arch9wavefront6targetE0EEEvT1_,comdat
.Lfunc_end1614:
	.size	_ZN7rocprim17ROCPRIM_400000_NS6detail17trampoline_kernelINS0_14default_configENS1_27scan_by_key_config_selectorIisEEZZNS1_16scan_by_key_implILNS1_25lookback_scan_determinismE0ELb1ES3_N6thrust23THRUST_200600_302600_NS6detail15normal_iteratorINS9_10device_ptrIiEEEENSB_INSC_IsEEEESG_sNS9_4plusIvEENS9_8equal_toIvEEsEE10hipError_tPvRmT2_T3_T4_T5_mT6_T7_P12ihipStream_tbENKUlT_T0_E_clISt17integral_constantIbLb0EES11_EEDaSW_SX_EUlSW_E_NS1_11comp_targetILNS1_3genE9ELNS1_11target_archE1100ELNS1_3gpuE3ELNS1_3repE0EEENS1_30default_config_static_selectorELNS0_4arch9wavefront6targetE0EEEvT1_, .Lfunc_end1614-_ZN7rocprim17ROCPRIM_400000_NS6detail17trampoline_kernelINS0_14default_configENS1_27scan_by_key_config_selectorIisEEZZNS1_16scan_by_key_implILNS1_25lookback_scan_determinismE0ELb1ES3_N6thrust23THRUST_200600_302600_NS6detail15normal_iteratorINS9_10device_ptrIiEEEENSB_INSC_IsEEEESG_sNS9_4plusIvEENS9_8equal_toIvEEsEE10hipError_tPvRmT2_T3_T4_T5_mT6_T7_P12ihipStream_tbENKUlT_T0_E_clISt17integral_constantIbLb0EES11_EEDaSW_SX_EUlSW_E_NS1_11comp_targetILNS1_3genE9ELNS1_11target_archE1100ELNS1_3gpuE3ELNS1_3repE0EEENS1_30default_config_static_selectorELNS0_4arch9wavefront6targetE0EEEvT1_
                                        ; -- End function
	.set _ZN7rocprim17ROCPRIM_400000_NS6detail17trampoline_kernelINS0_14default_configENS1_27scan_by_key_config_selectorIisEEZZNS1_16scan_by_key_implILNS1_25lookback_scan_determinismE0ELb1ES3_N6thrust23THRUST_200600_302600_NS6detail15normal_iteratorINS9_10device_ptrIiEEEENSB_INSC_IsEEEESG_sNS9_4plusIvEENS9_8equal_toIvEEsEE10hipError_tPvRmT2_T3_T4_T5_mT6_T7_P12ihipStream_tbENKUlT_T0_E_clISt17integral_constantIbLb0EES11_EEDaSW_SX_EUlSW_E_NS1_11comp_targetILNS1_3genE9ELNS1_11target_archE1100ELNS1_3gpuE3ELNS1_3repE0EEENS1_30default_config_static_selectorELNS0_4arch9wavefront6targetE0EEEvT1_.num_vgpr, 0
	.set _ZN7rocprim17ROCPRIM_400000_NS6detail17trampoline_kernelINS0_14default_configENS1_27scan_by_key_config_selectorIisEEZZNS1_16scan_by_key_implILNS1_25lookback_scan_determinismE0ELb1ES3_N6thrust23THRUST_200600_302600_NS6detail15normal_iteratorINS9_10device_ptrIiEEEENSB_INSC_IsEEEESG_sNS9_4plusIvEENS9_8equal_toIvEEsEE10hipError_tPvRmT2_T3_T4_T5_mT6_T7_P12ihipStream_tbENKUlT_T0_E_clISt17integral_constantIbLb0EES11_EEDaSW_SX_EUlSW_E_NS1_11comp_targetILNS1_3genE9ELNS1_11target_archE1100ELNS1_3gpuE3ELNS1_3repE0EEENS1_30default_config_static_selectorELNS0_4arch9wavefront6targetE0EEEvT1_.num_agpr, 0
	.set _ZN7rocprim17ROCPRIM_400000_NS6detail17trampoline_kernelINS0_14default_configENS1_27scan_by_key_config_selectorIisEEZZNS1_16scan_by_key_implILNS1_25lookback_scan_determinismE0ELb1ES3_N6thrust23THRUST_200600_302600_NS6detail15normal_iteratorINS9_10device_ptrIiEEEENSB_INSC_IsEEEESG_sNS9_4plusIvEENS9_8equal_toIvEEsEE10hipError_tPvRmT2_T3_T4_T5_mT6_T7_P12ihipStream_tbENKUlT_T0_E_clISt17integral_constantIbLb0EES11_EEDaSW_SX_EUlSW_E_NS1_11comp_targetILNS1_3genE9ELNS1_11target_archE1100ELNS1_3gpuE3ELNS1_3repE0EEENS1_30default_config_static_selectorELNS0_4arch9wavefront6targetE0EEEvT1_.numbered_sgpr, 0
	.set _ZN7rocprim17ROCPRIM_400000_NS6detail17trampoline_kernelINS0_14default_configENS1_27scan_by_key_config_selectorIisEEZZNS1_16scan_by_key_implILNS1_25lookback_scan_determinismE0ELb1ES3_N6thrust23THRUST_200600_302600_NS6detail15normal_iteratorINS9_10device_ptrIiEEEENSB_INSC_IsEEEESG_sNS9_4plusIvEENS9_8equal_toIvEEsEE10hipError_tPvRmT2_T3_T4_T5_mT6_T7_P12ihipStream_tbENKUlT_T0_E_clISt17integral_constantIbLb0EES11_EEDaSW_SX_EUlSW_E_NS1_11comp_targetILNS1_3genE9ELNS1_11target_archE1100ELNS1_3gpuE3ELNS1_3repE0EEENS1_30default_config_static_selectorELNS0_4arch9wavefront6targetE0EEEvT1_.num_named_barrier, 0
	.set _ZN7rocprim17ROCPRIM_400000_NS6detail17trampoline_kernelINS0_14default_configENS1_27scan_by_key_config_selectorIisEEZZNS1_16scan_by_key_implILNS1_25lookback_scan_determinismE0ELb1ES3_N6thrust23THRUST_200600_302600_NS6detail15normal_iteratorINS9_10device_ptrIiEEEENSB_INSC_IsEEEESG_sNS9_4plusIvEENS9_8equal_toIvEEsEE10hipError_tPvRmT2_T3_T4_T5_mT6_T7_P12ihipStream_tbENKUlT_T0_E_clISt17integral_constantIbLb0EES11_EEDaSW_SX_EUlSW_E_NS1_11comp_targetILNS1_3genE9ELNS1_11target_archE1100ELNS1_3gpuE3ELNS1_3repE0EEENS1_30default_config_static_selectorELNS0_4arch9wavefront6targetE0EEEvT1_.private_seg_size, 0
	.set _ZN7rocprim17ROCPRIM_400000_NS6detail17trampoline_kernelINS0_14default_configENS1_27scan_by_key_config_selectorIisEEZZNS1_16scan_by_key_implILNS1_25lookback_scan_determinismE0ELb1ES3_N6thrust23THRUST_200600_302600_NS6detail15normal_iteratorINS9_10device_ptrIiEEEENSB_INSC_IsEEEESG_sNS9_4plusIvEENS9_8equal_toIvEEsEE10hipError_tPvRmT2_T3_T4_T5_mT6_T7_P12ihipStream_tbENKUlT_T0_E_clISt17integral_constantIbLb0EES11_EEDaSW_SX_EUlSW_E_NS1_11comp_targetILNS1_3genE9ELNS1_11target_archE1100ELNS1_3gpuE3ELNS1_3repE0EEENS1_30default_config_static_selectorELNS0_4arch9wavefront6targetE0EEEvT1_.uses_vcc, 0
	.set _ZN7rocprim17ROCPRIM_400000_NS6detail17trampoline_kernelINS0_14default_configENS1_27scan_by_key_config_selectorIisEEZZNS1_16scan_by_key_implILNS1_25lookback_scan_determinismE0ELb1ES3_N6thrust23THRUST_200600_302600_NS6detail15normal_iteratorINS9_10device_ptrIiEEEENSB_INSC_IsEEEESG_sNS9_4plusIvEENS9_8equal_toIvEEsEE10hipError_tPvRmT2_T3_T4_T5_mT6_T7_P12ihipStream_tbENKUlT_T0_E_clISt17integral_constantIbLb0EES11_EEDaSW_SX_EUlSW_E_NS1_11comp_targetILNS1_3genE9ELNS1_11target_archE1100ELNS1_3gpuE3ELNS1_3repE0EEENS1_30default_config_static_selectorELNS0_4arch9wavefront6targetE0EEEvT1_.uses_flat_scratch, 0
	.set _ZN7rocprim17ROCPRIM_400000_NS6detail17trampoline_kernelINS0_14default_configENS1_27scan_by_key_config_selectorIisEEZZNS1_16scan_by_key_implILNS1_25lookback_scan_determinismE0ELb1ES3_N6thrust23THRUST_200600_302600_NS6detail15normal_iteratorINS9_10device_ptrIiEEEENSB_INSC_IsEEEESG_sNS9_4plusIvEENS9_8equal_toIvEEsEE10hipError_tPvRmT2_T3_T4_T5_mT6_T7_P12ihipStream_tbENKUlT_T0_E_clISt17integral_constantIbLb0EES11_EEDaSW_SX_EUlSW_E_NS1_11comp_targetILNS1_3genE9ELNS1_11target_archE1100ELNS1_3gpuE3ELNS1_3repE0EEENS1_30default_config_static_selectorELNS0_4arch9wavefront6targetE0EEEvT1_.has_dyn_sized_stack, 0
	.set _ZN7rocprim17ROCPRIM_400000_NS6detail17trampoline_kernelINS0_14default_configENS1_27scan_by_key_config_selectorIisEEZZNS1_16scan_by_key_implILNS1_25lookback_scan_determinismE0ELb1ES3_N6thrust23THRUST_200600_302600_NS6detail15normal_iteratorINS9_10device_ptrIiEEEENSB_INSC_IsEEEESG_sNS9_4plusIvEENS9_8equal_toIvEEsEE10hipError_tPvRmT2_T3_T4_T5_mT6_T7_P12ihipStream_tbENKUlT_T0_E_clISt17integral_constantIbLb0EES11_EEDaSW_SX_EUlSW_E_NS1_11comp_targetILNS1_3genE9ELNS1_11target_archE1100ELNS1_3gpuE3ELNS1_3repE0EEENS1_30default_config_static_selectorELNS0_4arch9wavefront6targetE0EEEvT1_.has_recursion, 0
	.set _ZN7rocprim17ROCPRIM_400000_NS6detail17trampoline_kernelINS0_14default_configENS1_27scan_by_key_config_selectorIisEEZZNS1_16scan_by_key_implILNS1_25lookback_scan_determinismE0ELb1ES3_N6thrust23THRUST_200600_302600_NS6detail15normal_iteratorINS9_10device_ptrIiEEEENSB_INSC_IsEEEESG_sNS9_4plusIvEENS9_8equal_toIvEEsEE10hipError_tPvRmT2_T3_T4_T5_mT6_T7_P12ihipStream_tbENKUlT_T0_E_clISt17integral_constantIbLb0EES11_EEDaSW_SX_EUlSW_E_NS1_11comp_targetILNS1_3genE9ELNS1_11target_archE1100ELNS1_3gpuE3ELNS1_3repE0EEENS1_30default_config_static_selectorELNS0_4arch9wavefront6targetE0EEEvT1_.has_indirect_call, 0
	.section	.AMDGPU.csdata,"",@progbits
; Kernel info:
; codeLenInByte = 0
; TotalNumSgprs: 0
; NumVgprs: 0
; ScratchSize: 0
; MemoryBound: 0
; FloatMode: 240
; IeeeMode: 1
; LDSByteSize: 0 bytes/workgroup (compile time only)
; SGPRBlocks: 0
; VGPRBlocks: 0
; NumSGPRsForWavesPerEU: 1
; NumVGPRsForWavesPerEU: 1
; Occupancy: 16
; WaveLimiterHint : 0
; COMPUTE_PGM_RSRC2:SCRATCH_EN: 0
; COMPUTE_PGM_RSRC2:USER_SGPR: 6
; COMPUTE_PGM_RSRC2:TRAP_HANDLER: 0
; COMPUTE_PGM_RSRC2:TGID_X_EN: 1
; COMPUTE_PGM_RSRC2:TGID_Y_EN: 0
; COMPUTE_PGM_RSRC2:TGID_Z_EN: 0
; COMPUTE_PGM_RSRC2:TIDIG_COMP_CNT: 0
	.section	.text._ZN7rocprim17ROCPRIM_400000_NS6detail17trampoline_kernelINS0_14default_configENS1_27scan_by_key_config_selectorIisEEZZNS1_16scan_by_key_implILNS1_25lookback_scan_determinismE0ELb1ES3_N6thrust23THRUST_200600_302600_NS6detail15normal_iteratorINS9_10device_ptrIiEEEENSB_INSC_IsEEEESG_sNS9_4plusIvEENS9_8equal_toIvEEsEE10hipError_tPvRmT2_T3_T4_T5_mT6_T7_P12ihipStream_tbENKUlT_T0_E_clISt17integral_constantIbLb0EES11_EEDaSW_SX_EUlSW_E_NS1_11comp_targetILNS1_3genE8ELNS1_11target_archE1030ELNS1_3gpuE2ELNS1_3repE0EEENS1_30default_config_static_selectorELNS0_4arch9wavefront6targetE0EEEvT1_,"axG",@progbits,_ZN7rocprim17ROCPRIM_400000_NS6detail17trampoline_kernelINS0_14default_configENS1_27scan_by_key_config_selectorIisEEZZNS1_16scan_by_key_implILNS1_25lookback_scan_determinismE0ELb1ES3_N6thrust23THRUST_200600_302600_NS6detail15normal_iteratorINS9_10device_ptrIiEEEENSB_INSC_IsEEEESG_sNS9_4plusIvEENS9_8equal_toIvEEsEE10hipError_tPvRmT2_T3_T4_T5_mT6_T7_P12ihipStream_tbENKUlT_T0_E_clISt17integral_constantIbLb0EES11_EEDaSW_SX_EUlSW_E_NS1_11comp_targetILNS1_3genE8ELNS1_11target_archE1030ELNS1_3gpuE2ELNS1_3repE0EEENS1_30default_config_static_selectorELNS0_4arch9wavefront6targetE0EEEvT1_,comdat
	.protected	_ZN7rocprim17ROCPRIM_400000_NS6detail17trampoline_kernelINS0_14default_configENS1_27scan_by_key_config_selectorIisEEZZNS1_16scan_by_key_implILNS1_25lookback_scan_determinismE0ELb1ES3_N6thrust23THRUST_200600_302600_NS6detail15normal_iteratorINS9_10device_ptrIiEEEENSB_INSC_IsEEEESG_sNS9_4plusIvEENS9_8equal_toIvEEsEE10hipError_tPvRmT2_T3_T4_T5_mT6_T7_P12ihipStream_tbENKUlT_T0_E_clISt17integral_constantIbLb0EES11_EEDaSW_SX_EUlSW_E_NS1_11comp_targetILNS1_3genE8ELNS1_11target_archE1030ELNS1_3gpuE2ELNS1_3repE0EEENS1_30default_config_static_selectorELNS0_4arch9wavefront6targetE0EEEvT1_ ; -- Begin function _ZN7rocprim17ROCPRIM_400000_NS6detail17trampoline_kernelINS0_14default_configENS1_27scan_by_key_config_selectorIisEEZZNS1_16scan_by_key_implILNS1_25lookback_scan_determinismE0ELb1ES3_N6thrust23THRUST_200600_302600_NS6detail15normal_iteratorINS9_10device_ptrIiEEEENSB_INSC_IsEEEESG_sNS9_4plusIvEENS9_8equal_toIvEEsEE10hipError_tPvRmT2_T3_T4_T5_mT6_T7_P12ihipStream_tbENKUlT_T0_E_clISt17integral_constantIbLb0EES11_EEDaSW_SX_EUlSW_E_NS1_11comp_targetILNS1_3genE8ELNS1_11target_archE1030ELNS1_3gpuE2ELNS1_3repE0EEENS1_30default_config_static_selectorELNS0_4arch9wavefront6targetE0EEEvT1_
	.globl	_ZN7rocprim17ROCPRIM_400000_NS6detail17trampoline_kernelINS0_14default_configENS1_27scan_by_key_config_selectorIisEEZZNS1_16scan_by_key_implILNS1_25lookback_scan_determinismE0ELb1ES3_N6thrust23THRUST_200600_302600_NS6detail15normal_iteratorINS9_10device_ptrIiEEEENSB_INSC_IsEEEESG_sNS9_4plusIvEENS9_8equal_toIvEEsEE10hipError_tPvRmT2_T3_T4_T5_mT6_T7_P12ihipStream_tbENKUlT_T0_E_clISt17integral_constantIbLb0EES11_EEDaSW_SX_EUlSW_E_NS1_11comp_targetILNS1_3genE8ELNS1_11target_archE1030ELNS1_3gpuE2ELNS1_3repE0EEENS1_30default_config_static_selectorELNS0_4arch9wavefront6targetE0EEEvT1_
	.p2align	8
	.type	_ZN7rocprim17ROCPRIM_400000_NS6detail17trampoline_kernelINS0_14default_configENS1_27scan_by_key_config_selectorIisEEZZNS1_16scan_by_key_implILNS1_25lookback_scan_determinismE0ELb1ES3_N6thrust23THRUST_200600_302600_NS6detail15normal_iteratorINS9_10device_ptrIiEEEENSB_INSC_IsEEEESG_sNS9_4plusIvEENS9_8equal_toIvEEsEE10hipError_tPvRmT2_T3_T4_T5_mT6_T7_P12ihipStream_tbENKUlT_T0_E_clISt17integral_constantIbLb0EES11_EEDaSW_SX_EUlSW_E_NS1_11comp_targetILNS1_3genE8ELNS1_11target_archE1030ELNS1_3gpuE2ELNS1_3repE0EEENS1_30default_config_static_selectorELNS0_4arch9wavefront6targetE0EEEvT1_,@function
_ZN7rocprim17ROCPRIM_400000_NS6detail17trampoline_kernelINS0_14default_configENS1_27scan_by_key_config_selectorIisEEZZNS1_16scan_by_key_implILNS1_25lookback_scan_determinismE0ELb1ES3_N6thrust23THRUST_200600_302600_NS6detail15normal_iteratorINS9_10device_ptrIiEEEENSB_INSC_IsEEEESG_sNS9_4plusIvEENS9_8equal_toIvEEsEE10hipError_tPvRmT2_T3_T4_T5_mT6_T7_P12ihipStream_tbENKUlT_T0_E_clISt17integral_constantIbLb0EES11_EEDaSW_SX_EUlSW_E_NS1_11comp_targetILNS1_3genE8ELNS1_11target_archE1030ELNS1_3gpuE2ELNS1_3repE0EEENS1_30default_config_static_selectorELNS0_4arch9wavefront6targetE0EEEvT1_: ; @_ZN7rocprim17ROCPRIM_400000_NS6detail17trampoline_kernelINS0_14default_configENS1_27scan_by_key_config_selectorIisEEZZNS1_16scan_by_key_implILNS1_25lookback_scan_determinismE0ELb1ES3_N6thrust23THRUST_200600_302600_NS6detail15normal_iteratorINS9_10device_ptrIiEEEENSB_INSC_IsEEEESG_sNS9_4plusIvEENS9_8equal_toIvEEsEE10hipError_tPvRmT2_T3_T4_T5_mT6_T7_P12ihipStream_tbENKUlT_T0_E_clISt17integral_constantIbLb0EES11_EEDaSW_SX_EUlSW_E_NS1_11comp_targetILNS1_3genE8ELNS1_11target_archE1030ELNS1_3gpuE2ELNS1_3repE0EEENS1_30default_config_static_selectorELNS0_4arch9wavefront6targetE0EEEvT1_
; %bb.0:
	s_clause 0x5
	s_load_dwordx8 s[8:15], s[4:5], 0x0
	s_load_dwordx2 s[24:25], s[4:5], 0x38
	s_load_dword s7, s[4:5], 0x40
	s_load_dword s26, s[4:5], 0x20
	s_load_dwordx4 s[16:19], s[4:5], 0x28
	s_load_dwordx4 s[20:23], s[4:5], 0x48
	s_mov_b32 s1, 0
	s_mul_i32 s0, s6, 0x1c0
	s_waitcnt lgkmcnt(0)
	s_barrier
	buffer_gl0_inv
	s_lshl_b64 s[2:3], s[10:11], 2
	s_add_u32 s5, s8, s2
	s_addc_u32 s19, s9, s3
	s_lshl_b64 s[8:9], s[10:11], 1
	s_mul_i32 s4, s25, s7
	s_mul_hi_u32 s10, s24, s7
	s_add_u32 s27, s12, s8
	s_addc_u32 s28, s13, s9
	s_lshl_b64 s[2:3], s[0:1], 2
	s_add_i32 s4, s10, s4
	s_add_u32 s12, s5, s2
	s_addc_u32 s13, s19, s3
	s_lshl_b64 s[10:11], s[0:1], 1
	s_mul_i32 s0, s24, s7
	s_add_u32 s27, s27, s10
	s_addc_u32 s28, s28, s11
	s_add_u32 s2, s0, s6
	s_addc_u32 s3, s4, 0
	s_add_u32 s4, s20, -1
	s_addc_u32 s5, s21, -1
	s_mul_i32 s19, s4, 0xfffffe40
	v_cmp_ge_u64_e64 s20, s[2:3], s[4:5]
	s_and_b32 vcc_lo, exec_lo, s20
	s_cbranch_vccz .LBB1615_40
; %bb.1:
	v_mov_b32_e32 v1, s12
	v_mov_b32_e32 v2, s13
	s_add_i32 s21, s19, s18
	v_cmp_gt_u32_e64 s5, s21, v0
	flat_load_dword v1, v[1:2]
	s_waitcnt vmcnt(0) lgkmcnt(0)
	v_mov_b32_e32 v2, v1
	s_and_saveexec_b32 s0, s5
	s_cbranch_execz .LBB1615_3
; %bb.2:
	v_lshlrev_b32_e32 v2, 2, v0
	v_add_co_u32 v2, s1, s12, v2
	v_add_co_ci_u32_e64 v3, null, s13, 0, s1
	flat_load_dword v2, v[2:3]
.LBB1615_3:
	s_or_b32 exec_lo, exec_lo, s0
	v_or_b32_e32 v3, 64, v0
	v_cmp_gt_u32_e64 s4, s21, v3
	v_mov_b32_e32 v3, v1
	s_and_saveexec_b32 s0, s4
	s_cbranch_execz .LBB1615_5
; %bb.4:
	v_lshlrev_b32_e32 v3, 2, v0
	v_add_co_u32 v3, s1, s12, v3
	v_add_co_ci_u32_e64 v4, null, s13, 0, s1
	flat_load_dword v3, v[3:4] offset:256
.LBB1615_5:
	s_or_b32 exec_lo, exec_lo, s0
	v_or_b32_e32 v4, 0x80, v0
	v_cmp_gt_u32_e64 s3, s21, v4
	v_mov_b32_e32 v4, v1
	s_and_saveexec_b32 s0, s3
	s_cbranch_execz .LBB1615_7
; %bb.6:
	v_lshlrev_b32_e32 v4, 2, v0
	v_add_co_u32 v4, s1, s12, v4
	v_add_co_ci_u32_e64 v5, null, s13, 0, s1
	flat_load_dword v4, v[4:5] offset:512
.LBB1615_7:
	;; [unrolled: 12-line block ×5, first 2 shown]
	s_or_b32 exec_lo, exec_lo, s7
	v_or_b32_e32 v8, 0x180, v0
	v_cmp_le_u32_e64 s7, s21, v8
	v_cmp_gt_u32_e32 vcc_lo, s21, v8
	s_and_saveexec_b32 s29, s7
	s_xor_b32 s7, exec_lo, s29
	s_andn2_saveexec_b32 s7, s7
	s_cbranch_execz .LBB1615_15
; %bb.14:
	v_lshlrev_b32_e32 v1, 2, v0
	v_add_co_u32 v8, s29, s12, v1
	v_add_co_ci_u32_e64 v9, null, s13, 0, s29
	flat_load_dword v1, v[8:9] offset:1536
.LBB1615_15:
	s_or_b32 exec_lo, exec_lo, s7
	v_mov_b32_e32 v8, s12
	v_lshlrev_b32_e32 v10, 2, v0
	v_mov_b32_e32 v9, s13
	s_mov_b32 s29, exec_lo
	s_waitcnt vmcnt(0) lgkmcnt(0)
	ds_write2st64_b32 v10, v2, v3 offset1:1
	ds_write2st64_b32 v10, v4, v5 offset0:2 offset1:3
	ds_write2st64_b32 v10, v6, v7 offset0:4 offset1:5
	ds_write_b32 v10, v1 offset:1536
	s_waitcnt lgkmcnt(0)
	s_barrier
	buffer_gl0_inv
	flat_load_dword v17, v[8:9]
	v_mad_u32_u24 v1, v0, 24, v10
	ds_read_b32 v22, v1
	ds_read2_b32 v[9:10], v1 offset0:1 offset1:2
	ds_read2_b32 v[7:8], v1 offset0:3 offset1:4
	;; [unrolled: 1-line block ×3, first 2 shown]
	v_mad_i32_i24 v11, 0xffffffe8, v0, v1
	s_waitcnt lgkmcnt(3)
	ds_write_b32 v11, v22 offset:2048
	s_waitcnt vmcnt(0) lgkmcnt(0)
	s_barrier
	buffer_gl0_inv
	v_cmpx_ne_u32_e32 63, v0
; %bb.16:
	ds_read_b32 v17, v11 offset:2052
; %bb.17:
	s_or_b32 exec_lo, exec_lo, s29
	v_mov_b32_e32 v1, 0
	v_lshlrev_b32_e32 v12, 1, v0
	s_waitcnt lgkmcnt(0)
	s_barrier
	buffer_gl0_inv
	v_mov_b32_e32 v2, v1
	v_mov_b32_e32 v3, v1
	;; [unrolled: 1-line block ×3, first 2 shown]
	s_and_saveexec_b32 s7, s5
	s_cbranch_execnz .LBB1615_162
; %bb.18:
	s_or_b32 exec_lo, exec_lo, s7
	s_and_saveexec_b32 s5, s4
	s_cbranch_execnz .LBB1615_163
.LBB1615_19:
	s_or_b32 exec_lo, exec_lo, s5
	s_and_saveexec_b32 s4, s3
	s_cbranch_execnz .LBB1615_164
.LBB1615_20:
	s_or_b32 exec_lo, exec_lo, s4
	s_and_saveexec_b32 s3, s2
	s_cbranch_execnz .LBB1615_165
.LBB1615_21:
	s_or_b32 exec_lo, exec_lo, s3
	s_and_saveexec_b32 s2, s1
	s_cbranch_execnz .LBB1615_166
.LBB1615_22:
	s_or_b32 exec_lo, exec_lo, s2
	s_and_saveexec_b32 s1, s0
	s_cbranch_execnz .LBB1615_167
.LBB1615_23:
	s_or_b32 exec_lo, exec_lo, s1
	v_mul_u32_u24_e32 v23, 7, v0
	s_and_saveexec_b32 s0, vcc_lo
	s_cbranch_execz .LBB1615_25
.LBB1615_24:
	v_add_co_u32 v12, s1, s27, v12
	v_add_co_ci_u32_e64 v13, null, s28, 0, s1
	flat_load_short_d16 v4, v[12:13] offset:768
.LBB1615_25:
	s_or_b32 exec_lo, exec_lo, s0
	v_lshlrev_b32_e32 v12, 1, v0
	v_cmp_gt_u32_e32 vcc_lo, s21, v23
	v_mov_b32_e32 v14, 0
	v_mov_b32_e32 v21, 0
	;; [unrolled: 1-line block ×3, first 2 shown]
	v_sub_nc_u32_e32 v24, v11, v12
	v_mov_b32_e32 v18, 0
	v_mov_b32_e32 v16, 0
	;; [unrolled: 1-line block ×4, first 2 shown]
	s_waitcnt vmcnt(0) lgkmcnt(0)
	ds_write_b16 v24, v1
	ds_write_b16_d16_hi v24, v1 offset:128
	ds_write_b16 v24, v2 offset:256
	ds_write_b16_d16_hi v24, v2 offset:384
	ds_write_b16 v24, v3 offset:512
	;; [unrolled: 2-line block ×3, first 2 shown]
	v_mov_b32_e32 v1, 0
	v_mov_b32_e32 v4, 0
	;; [unrolled: 1-line block ×4, first 2 shown]
	s_mov_b32 s2, 0
	s_mov_b32 s1, 0
	s_waitcnt lgkmcnt(0)
	s_barrier
	buffer_gl0_inv
                                        ; implicit-def: $sgpr3
                                        ; implicit-def: $vgpr19
	s_and_saveexec_b32 s4, vcc_lo
	s_cbranch_execz .LBB1615_39
; %bb.26:
	v_mad_u32_u24 v1, v0, 12, v24
	v_cmp_eq_u32_e32 vcc_lo, v22, v9
	v_add_nc_u32_e32 v3, 1, v23
	v_mov_b32_e32 v21, 0
	v_mov_b32_e32 v20, 0
	ds_read_u16 v2, v1
	v_mov_b32_e32 v1, 0
	v_mov_b32_e32 v18, 0
	;; [unrolled: 1-line block ×6, first 2 shown]
	v_cndmask_b32_e64 v16, 0x10000, 0, vcc_lo
	v_mov_b32_e32 v11, 0
	s_mov_b32 s5, 0
	s_mov_b32 s1, exec_lo
                                        ; implicit-def: $sgpr3
                                        ; implicit-def: $vgpr19
	s_waitcnt lgkmcnt(0)
	v_cndmask_b32_e32 v14, s26, v2, vcc_lo
	v_cmpx_gt_u32_e64 s21, v3
	s_cbranch_execz .LBB1615_38
; %bb.27:
	v_mul_u32_u24_e32 v1, 12, v0
	v_add_nc_u32_e32 v11, 2, v23
	v_cmp_eq_u32_e32 vcc_lo, v9, v10
	v_mov_b32_e32 v21, 0
	v_mov_b32_e32 v20, 0
	v_add_nc_u32_e32 v1, v24, v1
	v_mov_b32_e32 v18, 0
	v_mov_b32_e32 v4, 0
	;; [unrolled: 1-line block ×4, first 2 shown]
	ds_read_b96 v[1:3], v1 offset:2
	v_cmp_gt_u32_e64 s0, s21, v11
	v_cndmask_b32_e64 v15, 0x10000, 0, vcc_lo
	v_mov_b32_e32 v11, 0
	s_mov_b32 s7, 0
                                        ; implicit-def: $sgpr3
                                        ; implicit-def: $vgpr19
	s_waitcnt lgkmcnt(0)
	v_cndmask_b32_e32 v9, s26, v1, vcc_lo
	s_and_saveexec_b32 s5, s0
	s_cbranch_execz .LBB1615_37
; %bb.28:
	v_add_nc_u32_e32 v4, 3, v23
	v_cmp_eq_u32_e32 vcc_lo, v10, v7
	v_mov_b32_e32 v20, 0
	v_mov_b32_e32 v18, 0
	;; [unrolled: 1-line block ×3, first 2 shown]
	v_cmp_gt_u32_e64 s0, s21, v4
	v_cndmask_b32_e64 v10, 0x10000, 0, vcc_lo
	v_cndmask_b32_sdwa v1, s26, v1, vcc_lo dst_sel:DWORD dst_unused:UNUSED_PAD src0_sel:DWORD src1_sel:WORD_1
	v_mov_b32_e32 v4, 0
	v_mov_b32_e32 v11, 0
	s_mov_b32 s29, 0
                                        ; implicit-def: $sgpr3
                                        ; implicit-def: $vgpr19
	s_and_saveexec_b32 s7, s0
	s_cbranch_execz .LBB1615_36
; %bb.29:
	v_cmp_eq_u32_e32 vcc_lo, v7, v8
	v_add_nc_u32_e32 v4, 4, v23
	v_mov_b32_e32 v18, 0
	v_mov_b32_e32 v11, 0
                                        ; implicit-def: $sgpr3
                                        ; implicit-def: $vgpr19
	v_cndmask_b32_e32 v7, s26, v2, vcc_lo
	v_cndmask_b32_e64 v12, 0x10000, 0, vcc_lo
	v_cmp_gt_u32_e32 vcc_lo, s21, v4
	v_mov_b32_e32 v4, 0
	s_and_saveexec_b32 s0, vcc_lo
	s_cbranch_execz .LBB1615_35
; %bb.30:
	v_cmp_eq_u32_e32 vcc_lo, v8, v5
	v_mov_b32_e32 v4, 0
	v_add_nc_u32_e32 v11, 5, v23
	s_mov_b32 s30, 0
	s_mov_b32 s29, exec_lo
	v_cndmask_b32_e64 v8, 0x10000, 0, vcc_lo
	v_cndmask_b32_sdwa v2, s26, v2, vcc_lo dst_sel:DWORD dst_unused:UNUSED_PAD src0_sel:DWORD src1_sel:WORD_1
                                        ; implicit-def: $sgpr3
                                        ; implicit-def: $vgpr19
	v_cmpx_gt_u32_e64 s21, v11
	s_cbranch_execz .LBB1615_34
; %bb.31:
	v_cmp_eq_u32_e32 vcc_lo, v5, v6
	v_add_nc_u32_e32 v11, 6, v23
                                        ; implicit-def: $sgpr3
                                        ; implicit-def: $vgpr19
	v_cndmask_b32_e32 v4, s26, v3, vcc_lo
	v_cndmask_b32_e64 v5, 0x10000, 0, vcc_lo
	v_cmp_gt_u32_e32 vcc_lo, s21, v11
	s_mov_b32 s21, 0
	s_and_saveexec_b32 s30, vcc_lo
	s_xor_b32 s30, exec_lo, s30
; %bb.32:
	v_lshrrev_b32_e32 v3, 16, v3
	v_cmp_ne_u32_e64 s3, v6, v17
	s_mov_b32 s21, exec_lo
	v_cndmask_b32_e64 v19, v3, s26, s3
; %bb.33:
	s_or_b32 exec_lo, exec_lo, s30
	v_or_b32_sdwa v4, v5, v4 dst_sel:DWORD dst_unused:UNUSED_PAD src0_sel:DWORD src1_sel:WORD_0
	s_and_b32 s30, s21, exec_lo
.LBB1615_34:
	s_or_b32 exec_lo, exec_lo, s29
	v_or_b32_sdwa v18, v8, v2 dst_sel:DWORD dst_unused:UNUSED_PAD src0_sel:DWORD src1_sel:WORD_0
	v_mov_b32_e32 v11, v4
	s_and_b32 s29, s30, exec_lo
.LBB1615_35:
	s_or_b32 exec_lo, exec_lo, s0
	v_or_b32_sdwa v20, v12, v7 dst_sel:DWORD dst_unused:UNUSED_PAD src0_sel:DWORD src1_sel:WORD_0
	v_mov_b32_e32 v12, v18
	s_and_b32 s29, s29, exec_lo
.LBB1615_36:
	s_or_b32 exec_lo, exec_lo, s7
	v_or_b32_sdwa v21, v10, v1 dst_sel:DWORD dst_unused:UNUSED_PAD src0_sel:DWORD src1_sel:WORD_0
	v_mov_b32_e32 v13, v20
	s_and_b32 s7, s29, exec_lo
.LBB1615_37:
	s_or_b32 exec_lo, exec_lo, s5
	v_or_b32_sdwa v1, v15, v9 dst_sel:DWORD dst_unused:UNUSED_PAD src0_sel:DWORD src1_sel:WORD_0
	v_mov_b32_e32 v15, v21
	s_and_b32 s5, s7, exec_lo
.LBB1615_38:
	s_or_b32 exec_lo, exec_lo, s1
	v_or_b32_sdwa v14, v16, v14 dst_sel:DWORD dst_unused:UNUSED_PAD src0_sel:DWORD src1_sel:WORD_0
	v_mov_b32_e32 v16, v1
	s_and_b32 s1, s5, exec_lo
.LBB1615_39:
	s_or_b32 exec_lo, exec_lo, s4
	s_and_b32 vcc_lo, exec_lo, s2
	s_cbranch_vccnz .LBB1615_41
	s_branch .LBB1615_44
.LBB1615_40:
                                        ; implicit-def: $sgpr3
                                        ; implicit-def: $vgpr19
                                        ; implicit-def: $vgpr14
                                        ; implicit-def: $vgpr1
                                        ; implicit-def: $vgpr21
                                        ; implicit-def: $vgpr20
                                        ; implicit-def: $vgpr18
                                        ; implicit-def: $vgpr4
                                        ; implicit-def: $vgpr16
                                        ; implicit-def: $vgpr15
                                        ; implicit-def: $vgpr13
                                        ; implicit-def: $vgpr12
                                        ; implicit-def: $vgpr11
	s_cbranch_execz .LBB1615_44
.LBB1615_41:
	v_lshlrev_b32_e32 v3, 2, v0
	v_add_co_u32 v1, s0, s12, v3
	v_add_co_ci_u32_e64 v2, null, s13, 0, s0
	s_mov_b32 s0, exec_lo
	s_clause 0x6
	flat_load_dword v4, v[1:2]
	flat_load_dword v5, v[1:2] offset:256
	flat_load_dword v6, v[1:2] offset:512
	;; [unrolled: 1-line block ×6, first 2 shown]
	v_mov_b32_e32 v1, s12
	v_mov_b32_e32 v2, s13
	s_waitcnt vmcnt(5) lgkmcnt(5)
	ds_write2st64_b32 v3, v4, v5 offset1:1
	s_waitcnt vmcnt(3) lgkmcnt(4)
	ds_write2st64_b32 v3, v6, v7 offset0:2 offset1:3
	s_waitcnt vmcnt(1) lgkmcnt(3)
	ds_write2st64_b32 v3, v8, v9 offset0:4 offset1:5
	s_waitcnt vmcnt(0) lgkmcnt(3)
	ds_write_b32 v3, v10 offset:1536
	s_waitcnt lgkmcnt(0)
	s_barrier
	buffer_gl0_inv
	flat_load_dword v7, v[1:2] offset:1792
	v_mad_u32_u24 v9, v0, 24, v3
	ds_read_b32 v8, v9
	ds_read2_b32 v[3:4], v9 offset0:1 offset1:2
	ds_read2_b32 v[5:6], v9 offset0:3 offset1:4
	ds_read2_b32 v[1:2], v9 offset0:5 offset1:6
	v_mad_i32_i24 v9, 0xffffffe8, v0, v9
	s_waitcnt lgkmcnt(3)
	ds_write_b32 v9, v8 offset:2048
	s_waitcnt vmcnt(0) lgkmcnt(0)
	s_barrier
	buffer_gl0_inv
	v_cmpx_ne_u32_e32 63, v0
; %bb.42:
	ds_read_b32 v7, v9 offset:2052
; %bb.43:
	s_or_b32 exec_lo, exec_lo, s0
	v_lshlrev_b32_e32 v12, 1, v0
	s_waitcnt lgkmcnt(0)
	s_barrier
	buffer_gl0_inv
	v_cmp_eq_u32_e32 vcc_lo, v3, v4
	v_add_co_u32 v10, s0, s27, v12
	v_add_co_ci_u32_e64 v11, null, s28, 0, s0
	v_sub_nc_u32_e32 v9, v9, v12
	v_cmp_eq_u32_e64 s0, v5, v6
	v_cmp_eq_u32_e64 s2, v1, v2
	s_clause 0x6
	flat_load_ushort v13, v[10:11]
	flat_load_ushort v14, v[10:11] offset:128
	flat_load_ushort v15, v[10:11] offset:256
	;; [unrolled: 1-line block ×6, first 2 shown]
	v_cmp_eq_u32_e64 s3, v4, v5
	v_mad_u32_u24 v12, v0, 12, v9
	v_cmp_eq_u32_e64 s1, v8, v3
	v_cmp_eq_u32_e64 s4, v6, v1
	v_cndmask_b32_e64 v3, 0x10000, 0, s2
	v_cndmask_b32_e64 v8, 0x10000, 0, s3
	s_waitcnt vmcnt(6) lgkmcnt(6)
	ds_write_b16 v9, v13
	s_waitcnt vmcnt(5) lgkmcnt(6)
	ds_write_b16 v9, v14 offset:128
	s_waitcnt vmcnt(4) lgkmcnt(6)
	ds_write_b16 v9, v15 offset:256
	;; [unrolled: 2-line block ×6, first 2 shown]
	s_waitcnt lgkmcnt(0)
	s_barrier
	buffer_gl0_inv
	ds_read_b96 v[9:11], v12
	ds_read_u16 v12, v12 offset:12
	v_cndmask_b32_e64 v13, 0x10000, 0, vcc_lo
	v_cndmask_b32_e64 v15, 0x10000, 0, s0
	v_cndmask_b32_e64 v4, 0x10000, 0, s1
	;; [unrolled: 1-line block ×3, first 2 shown]
	s_waitcnt lgkmcnt(1)
	v_cndmask_b32_sdwa v5, s26, v9, vcc_lo dst_sel:DWORD dst_unused:UNUSED_PAD src0_sel:DWORD src1_sel:WORD_1
	s_mov_b32 vcc_lo, s0
	v_cndmask_b32_e64 v6, s26, v10, s3
	v_cndmask_b32_sdwa v10, s26, v10, vcc_lo dst_sel:DWORD dst_unused:UNUSED_PAD src0_sel:DWORD src1_sel:WORD_1
	s_mov_b32 vcc_lo, s2
	v_cndmask_b32_e64 v1, s26, v9, s1
	v_cndmask_b32_e64 v9, s26, v11, s4
	v_cndmask_b32_sdwa v11, s26, v11, vcc_lo dst_sel:DWORD dst_unused:UNUSED_PAD src0_sel:DWORD src1_sel:WORD_1
	v_or_b32_sdwa v21, v8, v6 dst_sel:DWORD dst_unused:UNUSED_PAD src0_sel:DWORD src1_sel:WORD_0
	v_or_b32_sdwa v20, v15, v10 dst_sel:DWORD dst_unused:UNUSED_PAD src0_sel:DWORD src1_sel:WORD_0
	;; [unrolled: 1-line block ×6, first 2 shown]
	v_cmp_ne_u32_e64 s3, v2, v7
	v_mov_b32_e32 v15, v21
	v_mov_b32_e32 v16, v1
	;; [unrolled: 1-line block ×4, first 2 shown]
	s_waitcnt lgkmcnt(0)
	v_cndmask_b32_e64 v19, v12, s26, s3
	v_mov_b32_e32 v12, v18
	s_mov_b32 s1, -1
.LBB1615_44:
	v_mov_b32_e32 v10, 0
	s_and_saveexec_b32 s0, s1
	s_cbranch_execz .LBB1615_46
; %bb.45:
	v_cndmask_b32_e64 v2, 0, 0x10000, s3
	v_mov_b32_e32 v11, v4
	v_mov_b32_e32 v12, v18
	;; [unrolled: 1-line block ×4, first 2 shown]
	v_or_b32_sdwa v10, v2, v19 dst_sel:DWORD dst_unused:UNUSED_PAD src0_sel:DWORD src1_sel:WORD_0
	v_mov_b32_e32 v16, v1
.LBB1615_46:
	s_or_b32 exec_lo, exec_lo, s0
	v_or_b32_e32 v1, v11, v10
	v_cmp_gt_u32_e64 s3, 0x10000, v16
	v_and_b32_e32 v17, 0x10000, v14
	v_cmp_gt_u32_e64 s4, 0x10000, v15
	v_cmp_gt_u32_e64 s2, 0x10000, v13
	;; [unrolled: 1-line block ×4, first 2 shown]
	v_or3_b32 v18, v1, v12, v13
	v_mbcnt_lo_u32_b32 v9, -1, 0
	s_cmp_lg_u32 s6, 0
	v_cmp_gt_u32_e32 vcc_lo, 0x10000, v10
	s_barrier
	buffer_gl0_inv
	s_cbranch_scc0 .LBB1615_100
; %bb.47:
	v_cndmask_b32_e64 v1, 0, v14, s3
	v_or3_b32 v2, v18, v15, v16
	v_and_b32_e32 v3, 15, v9
	s_mov_b32 s5, exec_lo
	v_add_nc_u16 v1, v1, v16
	v_and_b32_e32 v2, 0xff0000, v2
	v_cndmask_b32_e64 v1, 0, v1, s4
	v_add_nc_u16 v1, v1, v15
	v_cndmask_b32_e64 v1, 0, v1, s2
	v_add_nc_u16 v1, v1, v13
	;; [unrolled: 2-line block ×4, first 2 shown]
	v_cndmask_b32_e32 v1, 0, v1, vcc_lo
	v_cmp_eq_u32_e32 vcc_lo, 0, v2
	v_add_nc_u16 v1, v1, v10
	v_cndmask_b32_e32 v5, 0x10000, v17, vcc_lo
	v_or_b32_sdwa v4, v5, v1 dst_sel:DWORD dst_unused:UNUSED_PAD src0_sel:DWORD src1_sel:WORD_0
	v_lshrrev_b32_e32 v2, 16, v5
	v_mov_b32_dpp v6, v4 row_shr:1 row_mask:0xf bank_mask:0xf
	v_cmpx_ne_u32_e32 0, v3
	s_cbranch_execz .LBB1615_49
; %bb.48:
	v_mov_b32_e32 v2, 1
	v_and_b32_e32 v4, 0x10000, v5
	v_cmp_eq_u32_e32 vcc_lo, 0, v5
	v_and_b32_sdwa v2, v6, v2 dst_sel:DWORD dst_unused:UNUSED_PAD src0_sel:WORD_1 src1_sel:DWORD
	v_cndmask_b32_e32 v5, 0, v6, vcc_lo
	v_cmp_ne_u32_e32 vcc_lo, 0, v4
	v_add_nc_u16 v1, v5, v1
	v_cndmask_b32_e64 v2, v2, 1, vcc_lo
	v_lshlrev_b32_e32 v4, 16, v2
	v_or_b32_sdwa v4, v4, v1 dst_sel:DWORD dst_unused:UNUSED_PAD src0_sel:DWORD src1_sel:WORD_0
.LBB1615_49:
	s_or_b32 exec_lo, exec_lo, s5
	v_lshrrev_b32_e32 v5, 16, v4
	v_mov_b32_dpp v6, v4 row_shr:2 row_mask:0xf bank_mask:0xf
	s_mov_b32 s5, exec_lo
	v_cmpx_lt_u32_e32 1, v3
	s_cbranch_execz .LBB1615_51
; %bb.50:
	v_mov_b32_e32 v2, 1
	v_and_b32_e32 v5, 0x10000, v4
	v_cmp_gt_u32_e32 vcc_lo, 0x10000, v4
	v_and_b32_sdwa v2, v6, v2 dst_sel:DWORD dst_unused:UNUSED_PAD src0_sel:WORD_1 src1_sel:DWORD
	v_cndmask_b32_e32 v4, 0, v6, vcc_lo
	v_cmp_ne_u32_e32 vcc_lo, 0, v5
	v_add_nc_u16 v1, v4, v1
	v_cndmask_b32_e64 v2, v2, 1, vcc_lo
	v_lshlrev_b32_e32 v4, 16, v2
	v_mov_b32_e32 v5, v2
	v_or_b32_sdwa v4, v4, v1 dst_sel:DWORD dst_unused:UNUSED_PAD src0_sel:DWORD src1_sel:WORD_0
.LBB1615_51:
	s_or_b32 exec_lo, exec_lo, s5
	v_mov_b32_dpp v6, v4 row_shr:4 row_mask:0xf bank_mask:0xf
	s_mov_b32 s5, exec_lo
	v_cmpx_lt_u32_e32 3, v3
	s_cbranch_execz .LBB1615_53
; %bb.52:
	v_mov_b32_e32 v2, 1
	v_and_b32_e32 v4, 1, v5
	v_cmp_eq_u16_e32 vcc_lo, 0, v5
	v_and_b32_sdwa v2, v6, v2 dst_sel:DWORD dst_unused:UNUSED_PAD src0_sel:WORD_1 src1_sel:DWORD
	v_cndmask_b32_e32 v5, 0, v6, vcc_lo
	v_cmp_eq_u32_e32 vcc_lo, 1, v4
	v_add_nc_u16 v1, v5, v1
	v_cndmask_b32_e64 v2, v2, 1, vcc_lo
	v_lshlrev_b32_e32 v4, 16, v2
	v_mov_b32_e32 v5, v2
	v_or_b32_sdwa v4, v4, v1 dst_sel:DWORD dst_unused:UNUSED_PAD src0_sel:DWORD src1_sel:WORD_0
.LBB1615_53:
	s_or_b32 exec_lo, exec_lo, s5
	v_mov_b32_dpp v6, v4 row_shr:8 row_mask:0xf bank_mask:0xf
	s_mov_b32 s5, exec_lo
	v_cmpx_lt_u32_e32 7, v3
	s_cbranch_execz .LBB1615_55
; %bb.54:
	v_mov_b32_e32 v2, 1
	v_and_b32_e32 v3, 1, v5
	v_cmp_eq_u16_e32 vcc_lo, 0, v5
	v_and_b32_sdwa v2, v6, v2 dst_sel:DWORD dst_unused:UNUSED_PAD src0_sel:WORD_1 src1_sel:DWORD
	v_cndmask_b32_e32 v4, 0, v6, vcc_lo
	v_cmp_eq_u32_e32 vcc_lo, 1, v3
	v_add_nc_u16 v1, v4, v1
	v_cndmask_b32_e64 v2, v2, 1, vcc_lo
	v_lshlrev_b32_e32 v3, 16, v2
	v_mov_b32_e32 v5, v2
	v_or_b32_sdwa v4, v3, v1 dst_sel:DWORD dst_unused:UNUSED_PAD src0_sel:DWORD src1_sel:WORD_0
.LBB1615_55:
	s_or_b32 exec_lo, exec_lo, s5
	ds_swizzle_b32 v3, v4 offset:swizzle(BROADCAST,32,15)
	v_and_b32_e32 v4, 16, v9
	s_mov_b32 s5, exec_lo
	v_cmpx_ne_u32_e32 0, v4
	s_cbranch_execz .LBB1615_57
; %bb.56:
	v_mov_b32_e32 v2, 1
	v_cmp_eq_u16_e32 vcc_lo, 0, v5
	v_and_b32_e32 v5, 1, v5
	s_waitcnt lgkmcnt(0)
	v_and_b32_sdwa v2, v3, v2 dst_sel:DWORD dst_unused:UNUSED_PAD src0_sel:WORD_1 src1_sel:DWORD
	v_cndmask_b32_e32 v4, 0, v3, vcc_lo
	v_cmp_eq_u32_e32 vcc_lo, 1, v5
	v_add_nc_u16 v1, v4, v1
	v_cndmask_b32_e64 v2, v2, 1, vcc_lo
.LBB1615_57:
	s_or_b32 exec_lo, exec_lo, s5
	s_waitcnt lgkmcnt(0)
	v_or_b32_e32 v3, 31, v0
	v_lshrrev_b32_e32 v4, 5, v0
	v_cmp_eq_u32_e32 vcc_lo, v0, v3
	v_lshlrev_b32_e32 v3, 2, v4
	s_and_saveexec_b32 s5, vcc_lo
	s_cbranch_execz .LBB1615_59
; %bb.58:
	ds_write_b16 v3, v1
	ds_write_b8 v3, v2 offset:2
.LBB1615_59:
	s_or_b32 exec_lo, exec_lo, s5
	s_mov_b32 s5, exec_lo
	s_waitcnt lgkmcnt(0)
	s_barrier
	buffer_gl0_inv
	v_cmpx_gt_u32_e32 2, v0
	s_cbranch_execz .LBB1615_63
; %bb.60:
	v_lshlrev_b32_e32 v4, 2, v0
	v_and_b32_e32 v8, 1, v9
	s_mov_b32 s7, exec_lo
	ds_read_b32 v5, v4
	s_waitcnt lgkmcnt(0)
	v_lshrrev_b32_e32 v6, 16, v5
	v_mov_b32_dpp v7, v5 row_shr:1 row_mask:0xf bank_mask:0xf
	v_cmpx_eq_u32_e32 1, v8
	s_cbranch_execz .LBB1615_62
; %bb.61:
	v_mov_b32_e32 v8, 0
	v_mov_b32_e32 v19, 1
	v_cmp_eq_u16_sdwa vcc_lo, v6, v8 src0_sel:BYTE_0 src1_sel:DWORD
	v_and_b32_e32 v8, 0x10000, v5
	v_cndmask_b32_e32 v6, 0, v7, vcc_lo
	v_and_b32_sdwa v7, v7, v19 dst_sel:DWORD dst_unused:UNUSED_PAD src0_sel:WORD_1 src1_sel:DWORD
	v_cmp_ne_u32_e32 vcc_lo, 0, v8
	v_add_nc_u16 v5, v6, v5
	v_cndmask_b32_e64 v6, v7, 1, vcc_lo
.LBB1615_62:
	s_or_b32 exec_lo, exec_lo, s7
	ds_write_b16 v4, v5
	ds_write_b8 v4, v6 offset:2
.LBB1615_63:
	s_or_b32 exec_lo, exec_lo, s5
	v_mov_b32_e32 v19, 0
	v_mov_b32_e32 v20, 0
	s_mov_b32 s7, exec_lo
	v_cmp_gt_u32_e32 vcc_lo, 32, v0
	s_waitcnt lgkmcnt(0)
	s_barrier
	buffer_gl0_inv
	v_cmpx_lt_u32_e32 31, v0
	s_cbranch_execz .LBB1615_65
; %bb.64:
	v_add_nc_u32_e32 v4, -4, v3
	v_add_nc_u32_e32 v3, -2, v3
	v_cmp_eq_u16_e64 s5, 0, v2
	v_and_b32_e32 v2, 1, v2
	ds_read_u16 v19, v4
	ds_read_u8 v20, v3
	s_waitcnt lgkmcnt(1)
	v_cndmask_b32_e64 v3, 0, v19, s5
	v_cmp_eq_u32_e64 s5, 1, v2
	v_add_nc_u16 v1, v3, v1
	s_waitcnt lgkmcnt(0)
	v_cndmask_b32_e64 v2, v20, 1, s5
.LBB1615_65:
	s_or_b32 exec_lo, exec_lo, s7
	v_sub_co_u32 v3, s5, v9, 1
	v_and_b32_e32 v2, 0xff, v2
	v_and_b32_e32 v1, 0xffff, v1
	v_cmp_gt_i32_e64 s7, 0, v3
	v_lshl_or_b32 v1, v2, 16, v1
	v_cndmask_b32_e64 v3, v3, v9, s7
	v_lshlrev_b32_e32 v2, 2, v3
	ds_bpermute_b32 v21, v2, v1
	s_and_saveexec_b32 s7, vcc_lo
	s_cbranch_execz .LBB1615_105
; %bb.66:
	v_mov_b32_e32 v6, 0
	ds_read_b32 v1, v6 offset:4
	s_and_saveexec_b32 s12, s5
	s_cbranch_execz .LBB1615_68
; %bb.67:
	s_add_i32 s28, s6, 32
	s_mov_b32 s29, 0
	v_mov_b32_e32 v2, 1
	s_lshl_b64 s[28:29], s[28:29], 3
	s_add_u32 s28, s16, s28
	s_addc_u32 s29, s17, s29
	s_waitcnt lgkmcnt(0)
	global_store_dwordx2 v6, v[1:2], s[28:29]
.LBB1615_68:
	s_or_b32 exec_lo, exec_lo, s12
	v_xad_u32 v2, v9, -1, s6
	s_mov_b32 s13, 0
	v_add_nc_u32_e32 v5, 32, v2
	v_lshlrev_b64 v[3:4], 3, v[5:6]
	v_add_co_u32 v7, vcc_lo, s16, v3
	v_add_co_ci_u32_e64 v8, null, s17, v4, vcc_lo
	global_load_dwordx2 v[4:5], v[7:8], off glc dlc
	s_waitcnt vmcnt(0)
	v_cmp_eq_u16_sdwa s21, v5, v6 src0_sel:BYTE_0 src1_sel:DWORD
	s_and_saveexec_b32 s12, s21
	s_cbranch_execz .LBB1615_72
; %bb.69:
	v_mov_b32_e32 v3, 0
.LBB1615_70:                            ; =>This Inner Loop Header: Depth=1
	global_load_dwordx2 v[4:5], v[7:8], off glc dlc
	s_waitcnt vmcnt(0)
	v_cmp_ne_u16_sdwa s21, v5, v3 src0_sel:BYTE_0 src1_sel:DWORD
	s_or_b32 s13, s21, s13
	s_andn2_b32 exec_lo, exec_lo, s13
	s_cbranch_execnz .LBB1615_70
; %bb.71:
	s_or_b32 exec_lo, exec_lo, s13
.LBB1615_72:
	s_or_b32 exec_lo, exec_lo, s12
	v_cmp_ne_u32_e32 vcc_lo, 31, v9
	v_and_b32_e32 v29, 0xffffff, v4
	v_mov_b32_e32 v6, 2
	v_lshlrev_b32_e64 v22, v9, -1
	v_bfe_u32 v7, v4, 16, 8
	v_add_co_ci_u32_e64 v3, null, 0, v9, vcc_lo
	v_cmp_eq_u16_sdwa s12, v5, v6 src0_sel:BYTE_0 src1_sel:DWORD
	v_lshrrev_b32_e32 v6, 16, v4
	v_lshlrev_b32_e32 v8, 2, v3
	v_and_or_b32 v3, s12, v22, 0x80000000
	s_mov_b32 s12, exec_lo
	ds_bpermute_b32 v23, v8, v29
	v_ffbl_b32_e32 v3, v3
	v_cmpx_lt_u32_e64 v9, v3
	s_cbranch_execz .LBB1615_74
; %bb.73:
	v_and_b32_e32 v6, 0xff0000, v4
	v_mov_b32_e32 v7, 1
	v_and_b32_e32 v24, 0x10000, v6
	v_cmp_eq_u32_e32 vcc_lo, 0, v6
	s_waitcnt lgkmcnt(0)
	v_and_b32_sdwa v7, v23, v7 dst_sel:DWORD dst_unused:UNUSED_PAD src0_sel:WORD_1 src1_sel:DWORD
	v_cndmask_b32_e32 v23, 0, v23, vcc_lo
	v_cmp_ne_u32_e32 vcc_lo, 0, v24
	v_add_nc_u16 v4, v23, v4
	v_cndmask_b32_e64 v6, v7, 1, vcc_lo
	v_lshlrev_b32_e32 v7, 16, v6
	v_or_b32_sdwa v29, v7, v4 dst_sel:DWORD dst_unused:UNUSED_PAD src0_sel:DWORD src1_sel:WORD_0
	v_mov_b32_e32 v7, v6
.LBB1615_74:
	s_or_b32 exec_lo, exec_lo, s12
	v_cmp_gt_u32_e32 vcc_lo, 30, v9
	v_add_nc_u32_e32 v24, 2, v9
	s_mov_b32 s12, exec_lo
	s_waitcnt lgkmcnt(0)
	v_cndmask_b32_e64 v23, 0, 2, vcc_lo
	v_add_lshl_u32 v23, v23, v9, 2
	ds_bpermute_b32 v25, v23, v29
	v_cmpx_le_u32_e64 v24, v3
	s_cbranch_execz .LBB1615_76
; %bb.75:
	v_mov_b32_e32 v6, 1
	v_and_b32_e32 v26, 1, v7
	v_cmp_eq_u16_e32 vcc_lo, 0, v7
	s_waitcnt lgkmcnt(0)
	v_and_b32_sdwa v6, v25, v6 dst_sel:DWORD dst_unused:UNUSED_PAD src0_sel:WORD_1 src1_sel:DWORD
	v_cndmask_b32_e32 v7, 0, v25, vcc_lo
	v_cmp_eq_u32_e32 vcc_lo, 1, v26
	v_add_nc_u16 v4, v7, v4
	v_cndmask_b32_e64 v6, v6, 1, vcc_lo
	v_lshlrev_b32_e32 v7, 16, v6
	v_or_b32_sdwa v29, v7, v4 dst_sel:DWORD dst_unused:UNUSED_PAD src0_sel:DWORD src1_sel:WORD_0
	v_mov_b32_e32 v7, v6
.LBB1615_76:
	s_or_b32 exec_lo, exec_lo, s12
	v_cmp_gt_u32_e32 vcc_lo, 28, v9
	v_add_nc_u32_e32 v26, 4, v9
	s_mov_b32 s12, exec_lo
	s_waitcnt lgkmcnt(0)
	v_cndmask_b32_e64 v25, 0, 4, vcc_lo
	v_add_lshl_u32 v25, v25, v9, 2
	ds_bpermute_b32 v27, v25, v29
	v_cmpx_le_u32_e64 v26, v3
	s_cbranch_execz .LBB1615_78
; %bb.77:
	v_mov_b32_e32 v6, 1
	v_and_b32_e32 v28, 1, v7
	v_cmp_eq_u16_e32 vcc_lo, 0, v7
	s_waitcnt lgkmcnt(0)
	v_and_b32_sdwa v6, v27, v6 dst_sel:DWORD dst_unused:UNUSED_PAD src0_sel:WORD_1 src1_sel:DWORD
	v_cndmask_b32_e32 v7, 0, v27, vcc_lo
	v_cmp_eq_u32_e32 vcc_lo, 1, v28
	v_add_nc_u16 v4, v7, v4
	v_cndmask_b32_e64 v6, v6, 1, vcc_lo
	v_lshlrev_b32_e32 v7, 16, v6
	v_or_b32_sdwa v29, v7, v4 dst_sel:DWORD dst_unused:UNUSED_PAD src0_sel:DWORD src1_sel:WORD_0
	v_mov_b32_e32 v7, v6
.LBB1615_78:
	;; [unrolled: 24-line block ×3, first 2 shown]
	s_or_b32 exec_lo, exec_lo, s12
	v_lshl_or_b32 v31, v9, 2, 64
	v_add_nc_u32_e32 v32, 16, v9
	s_mov_b32 s12, exec_lo
	ds_bpermute_b32 v29, v31, v29
	v_cmpx_le_u32_e64 v32, v3
	s_cbranch_execz .LBB1615_82
; %bb.81:
	v_mov_b32_e32 v3, 1
	v_cmp_eq_u16_e32 vcc_lo, 0, v7
	v_and_b32_e32 v7, 1, v7
	s_waitcnt lgkmcnt(0)
	v_and_b32_sdwa v3, v29, v3 dst_sel:DWORD dst_unused:UNUSED_PAD src0_sel:WORD_1 src1_sel:DWORD
	v_cndmask_b32_e32 v6, 0, v29, vcc_lo
	v_cmp_eq_u32_e32 vcc_lo, 1, v7
	v_add_nc_u16 v4, v6, v4
	v_cndmask_b32_e64 v6, v3, 1, vcc_lo
.LBB1615_82:
	s_or_b32 exec_lo, exec_lo, s12
	v_mov_b32_e32 v3, 0
	v_mov_b32_e32 v33, 2
	;; [unrolled: 1-line block ×3, first 2 shown]
	s_branch .LBB1615_85
.LBB1615_83:                            ;   in Loop: Header=BB1615_85 Depth=1
	s_or_b32 exec_lo, exec_lo, s12
	v_cmp_eq_u16_sdwa vcc_lo, v29, v3 src0_sel:BYTE_0 src1_sel:DWORD
	v_and_b32_e32 v6, 1, v29
	v_and_b32_e32 v7, 1, v7
	v_subrev_nc_u32_e32 v2, 32, v2
	s_mov_b32 s12, 0
	v_cndmask_b32_e32 v4, 0, v4, vcc_lo
	v_cmp_eq_u32_e32 vcc_lo, 1, v6
	v_add_nc_u16 v4, v4, v30
	v_cndmask_b32_e64 v6, v7, 1, vcc_lo
.LBB1615_84:                            ;   in Loop: Header=BB1615_85 Depth=1
	s_and_b32 vcc_lo, exec_lo, s12
	s_cbranch_vccnz .LBB1615_101
.LBB1615_85:                            ; =>This Loop Header: Depth=1
                                        ;     Child Loop BB1615_88 Depth 2
	v_cmp_ne_u16_sdwa s12, v5, v33 src0_sel:BYTE_0 src1_sel:DWORD
	s_waitcnt lgkmcnt(0)
	v_mov_b32_e32 v29, v6
	v_mov_b32_e32 v30, v4
                                        ; implicit-def: $vgpr6
                                        ; implicit-def: $vgpr4
	s_cmp_lg_u32 s12, exec_lo
	s_mov_b32 s12, -1
	s_cbranch_scc1 .LBB1615_84
; %bb.86:                               ;   in Loop: Header=BB1615_85 Depth=1
	v_lshlrev_b64 v[4:5], 3, v[2:3]
	v_add_co_u32 v6, vcc_lo, s16, v4
	v_add_co_ci_u32_e64 v7, null, s17, v5, vcc_lo
	global_load_dwordx2 v[4:5], v[6:7], off glc dlc
	s_waitcnt vmcnt(0)
	v_cmp_eq_u16_sdwa s13, v5, v3 src0_sel:BYTE_0 src1_sel:DWORD
	s_and_saveexec_b32 s12, s13
	s_cbranch_execz .LBB1615_90
; %bb.87:                               ;   in Loop: Header=BB1615_85 Depth=1
	s_mov_b32 s13, 0
.LBB1615_88:                            ;   Parent Loop BB1615_85 Depth=1
                                        ; =>  This Inner Loop Header: Depth=2
	global_load_dwordx2 v[4:5], v[6:7], off glc dlc
	s_waitcnt vmcnt(0)
	v_cmp_ne_u16_sdwa s21, v5, v3 src0_sel:BYTE_0 src1_sel:DWORD
	s_or_b32 s13, s21, s13
	s_andn2_b32 exec_lo, exec_lo, s13
	s_cbranch_execnz .LBB1615_88
; %bb.89:                               ;   in Loop: Header=BB1615_85 Depth=1
	s_or_b32 exec_lo, exec_lo, s13
.LBB1615_90:                            ;   in Loop: Header=BB1615_85 Depth=1
	s_or_b32 exec_lo, exec_lo, s12
	v_and_b32_e32 v36, 0xffffff, v4
	v_cmp_eq_u16_sdwa s12, v5, v33 src0_sel:BYTE_0 src1_sel:DWORD
	v_lshrrev_b32_e32 v7, 16, v4
	v_bfe_u32 v35, v4, 16, 8
	ds_bpermute_b32 v37, v8, v36
	v_and_or_b32 v6, s12, v22, 0x80000000
	s_mov_b32 s12, exec_lo
	v_ffbl_b32_e32 v6, v6
	v_cmpx_lt_u32_e64 v9, v6
	s_cbranch_execz .LBB1615_92
; %bb.91:                               ;   in Loop: Header=BB1615_85 Depth=1
	v_and_b32_e32 v7, 0xff0000, v4
	s_waitcnt lgkmcnt(0)
	v_and_b32_sdwa v36, v37, v34 dst_sel:DWORD dst_unused:UNUSED_PAD src0_sel:WORD_1 src1_sel:DWORD
	v_and_b32_e32 v35, 0x10000, v7
	v_cmp_eq_u32_e32 vcc_lo, 0, v7
	v_cndmask_b32_e32 v37, 0, v37, vcc_lo
	v_cmp_ne_u32_e32 vcc_lo, 0, v35
	v_add_nc_u16 v4, v37, v4
	v_cndmask_b32_e64 v7, v36, 1, vcc_lo
	v_lshlrev_b32_e32 v35, 16, v7
	v_or_b32_sdwa v36, v35, v4 dst_sel:DWORD dst_unused:UNUSED_PAD src0_sel:DWORD src1_sel:WORD_0
	v_mov_b32_e32 v35, v7
.LBB1615_92:                            ;   in Loop: Header=BB1615_85 Depth=1
	s_or_b32 exec_lo, exec_lo, s12
	s_waitcnt lgkmcnt(0)
	ds_bpermute_b32 v37, v23, v36
	s_mov_b32 s12, exec_lo
	v_cmpx_le_u32_e64 v24, v6
	s_cbranch_execz .LBB1615_94
; %bb.93:                               ;   in Loop: Header=BB1615_85 Depth=1
	v_and_b32_e32 v7, 1, v35
	v_cmp_eq_u16_e32 vcc_lo, 0, v35
	s_waitcnt lgkmcnt(0)
	v_and_b32_sdwa v36, v37, v34 dst_sel:DWORD dst_unused:UNUSED_PAD src0_sel:WORD_1 src1_sel:DWORD
	v_cndmask_b32_e32 v35, 0, v37, vcc_lo
	v_cmp_eq_u32_e32 vcc_lo, 1, v7
	v_add_nc_u16 v4, v35, v4
	v_cndmask_b32_e64 v7, v36, 1, vcc_lo
	v_lshlrev_b32_e32 v35, 16, v7
	v_or_b32_sdwa v36, v35, v4 dst_sel:DWORD dst_unused:UNUSED_PAD src0_sel:DWORD src1_sel:WORD_0
	v_mov_b32_e32 v35, v7
.LBB1615_94:                            ;   in Loop: Header=BB1615_85 Depth=1
	s_or_b32 exec_lo, exec_lo, s12
	s_waitcnt lgkmcnt(0)
	ds_bpermute_b32 v37, v25, v36
	s_mov_b32 s12, exec_lo
	v_cmpx_le_u32_e64 v26, v6
	s_cbranch_execz .LBB1615_96
; %bb.95:                               ;   in Loop: Header=BB1615_85 Depth=1
	v_and_b32_e32 v7, 1, v35
	v_cmp_eq_u16_e32 vcc_lo, 0, v35
	s_waitcnt lgkmcnt(0)
	v_and_b32_sdwa v36, v37, v34 dst_sel:DWORD dst_unused:UNUSED_PAD src0_sel:WORD_1 src1_sel:DWORD
	v_cndmask_b32_e32 v35, 0, v37, vcc_lo
	v_cmp_eq_u32_e32 vcc_lo, 1, v7
	v_add_nc_u16 v4, v35, v4
	v_cndmask_b32_e64 v7, v36, 1, vcc_lo
	v_lshlrev_b32_e32 v35, 16, v7
	v_or_b32_sdwa v36, v35, v4 dst_sel:DWORD dst_unused:UNUSED_PAD src0_sel:DWORD src1_sel:WORD_0
	v_mov_b32_e32 v35, v7
.LBB1615_96:                            ;   in Loop: Header=BB1615_85 Depth=1
	;; [unrolled: 19-line block ×3, first 2 shown]
	s_or_b32 exec_lo, exec_lo, s12
	ds_bpermute_b32 v36, v31, v36
	s_mov_b32 s12, exec_lo
	v_cmpx_le_u32_e64 v32, v6
	s_cbranch_execz .LBB1615_83
; %bb.99:                               ;   in Loop: Header=BB1615_85 Depth=1
	v_cmp_eq_u16_e32 vcc_lo, 0, v35
	v_and_b32_e32 v7, 1, v35
	s_waitcnt lgkmcnt(0)
	v_lshrrev_b32_e32 v35, 16, v36
	v_cndmask_b32_e32 v6, 0, v36, vcc_lo
	v_cmp_eq_u32_e32 vcc_lo, 1, v7
	v_add_nc_u16 v4, v6, v4
	v_cndmask_b32_e64 v7, v35, 1, vcc_lo
	s_branch .LBB1615_83
.LBB1615_100:
                                        ; implicit-def: $vgpr5
                                        ; implicit-def: $vgpr4
                                        ; implicit-def: $vgpr6
                                        ; implicit-def: $vgpr7
                                        ; implicit-def: $vgpr8
                                        ; implicit-def: $vgpr19
                                        ; implicit-def: $vgpr20
	s_cbranch_execnz .LBB1615_106
	s_branch .LBB1615_129
.LBB1615_101:
	s_and_saveexec_b32 s12, s5
	s_cbranch_execz .LBB1615_103
; %bb.102:
	v_and_b32_e32 v2, 0xff0000, v1
	v_mov_b32_e32 v3, 1
	v_and_b32_e32 v4, 0x10000, v1
	s_mov_b32 s29, 0
	s_add_i32 s28, s6, 32
	v_cmp_eq_u32_e32 vcc_lo, 0, v2
	v_and_b32_sdwa v3, v29, v3 dst_sel:WORD_1 dst_unused:UNUSED_PAD src0_sel:DWORD src1_sel:DWORD
	s_lshl_b64 s[28:29], s[28:29], 3
	s_add_u32 s28, s16, s28
	v_cndmask_b32_e32 v2, 0, v30, vcc_lo
	v_cmp_eq_u32_e32 vcc_lo, 0, v4
	s_addc_u32 s29, s17, s29
	v_add_nc_u16 v1, v2, v1
	v_cndmask_b32_e32 v2, 0x10000, v3, vcc_lo
	v_mov_b32_e32 v3, 0
	v_or_b32_sdwa v1, v2, v1 dst_sel:DWORD dst_unused:UNUSED_PAD src0_sel:DWORD src1_sel:WORD_0
	v_mov_b32_e32 v2, 2
	global_store_dwordx2 v3, v[1:2], s[28:29]
.LBB1615_103:
	s_or_b32 exec_lo, exec_lo, s12
	v_cmp_eq_u32_e32 vcc_lo, 0, v0
	s_and_b32 exec_lo, exec_lo, vcc_lo
	s_cbranch_execz .LBB1615_105
; %bb.104:
	v_mov_b32_e32 v1, 0
	ds_write_b16 v1, v30 offset:4
	ds_write_b8 v1, v29 offset:6
.LBB1615_105:
	s_or_b32 exec_lo, exec_lo, s7
	v_mov_b32_e32 v1, 0
	s_waitcnt lgkmcnt(0)
	s_waitcnt_vscnt null, 0x0
	s_barrier
	buffer_gl0_inv
	s_mov_b32 vcc_lo, s5
	ds_read_b32 v2, v1 offset:4
	v_cndmask_b32_sdwa v3, v21, v20, vcc_lo dst_sel:DWORD dst_unused:UNUSED_PAD src0_sel:WORD_1 src1_sel:DWORD
	v_cndmask_b32_e64 v4, v21, v19, s5
	v_cmp_eq_u16_sdwa vcc_lo, v3, v1 src0_sel:BYTE_0 src1_sel:DWORD
	v_and_b32_e32 v3, 0xff0000, v14
	s_waitcnt lgkmcnt(0)
	v_cndmask_b32_e32 v1, 0, v2, vcc_lo
	v_cmp_eq_u32_e32 vcc_lo, 0, v0
	v_add_nc_u16 v1, v1, v4
	v_cndmask_b32_e32 v5, v1, v2, vcc_lo
	v_cmp_eq_u32_e32 vcc_lo, 0, v3
	v_cndmask_b32_e32 v1, 0, v5, vcc_lo
	v_add_nc_u16 v4, v1, v14
	v_cndmask_b32_e64 v1, 0, v4, s3
	v_add_nc_u16 v6, v1, v16
	v_cndmask_b32_e64 v1, 0, v6, s4
	;; [unrolled: 2-line block ×5, first 2 shown]
	v_add_nc_u16 v20, v1, v11
	s_branch .LBB1615_129
.LBB1615_106:
	s_cmp_eq_u64 s[24:25], 0
	v_mov_b32_e32 v1, s26
	s_cselect_b32 s0, -1, 0
	s_cmp_eq_u64 s[22:23], 0
	s_cselect_b32 s1, -1, 0
	s_or_b32 s0, s0, s1
	s_and_b32 vcc_lo, exec_lo, s0
	s_cbranch_vccnz .LBB1615_108
; %bb.107:
	v_mov_b32_e32 v1, 0
	global_load_ushort v1, v1, s[22:23]
.LBB1615_108:
	v_cmp_gt_u32_e32 vcc_lo, 0x10000, v16
	v_cmp_gt_u32_e64 s0, 0x10000, v15
	v_cmp_gt_u32_e64 s1, 0x10000, v13
	;; [unrolled: 1-line block ×4, first 2 shown]
	v_cndmask_b32_e32 v2, 0, v14, vcc_lo
	v_or3_b32 v3, v18, v15, v16
	v_cmp_gt_u32_e64 s4, 0x10000, v10
	v_and_b32_e32 v4, 15, v9
	s_mov_b32 s5, exec_lo
	v_add_nc_u16 v2, v2, v16
	v_and_b32_e32 v3, 0xff0000, v3
	v_cndmask_b32_e64 v2, 0, v2, s0
	v_add_nc_u16 v2, v2, v15
	v_cndmask_b32_e64 v2, 0, v2, s1
	v_add_nc_u16 v2, v2, v13
	;; [unrolled: 2-line block ×4, first 2 shown]
	v_cndmask_b32_e64 v2, 0, v2, s4
	v_cmp_eq_u32_e64 s4, 0, v3
	v_add_nc_u16 v2, v2, v10
	v_cndmask_b32_e64 v5, 0x10000, v17, s4
	v_or_b32_sdwa v6, v5, v2 dst_sel:DWORD dst_unused:UNUSED_PAD src0_sel:DWORD src1_sel:WORD_0
	v_lshrrev_b32_e32 v3, 16, v5
	v_mov_b32_dpp v7, v6 row_shr:1 row_mask:0xf bank_mask:0xf
	v_cmpx_ne_u32_e32 0, v4
	s_cbranch_execz .LBB1615_110
; %bb.109:
	v_mov_b32_e32 v3, 1
	v_and_b32_e32 v6, 0x10000, v5
	v_cmp_eq_u32_e64 s4, 0, v5
	v_and_b32_sdwa v3, v7, v3 dst_sel:DWORD dst_unused:UNUSED_PAD src0_sel:WORD_1 src1_sel:DWORD
	v_cndmask_b32_e64 v5, 0, v7, s4
	v_cmp_ne_u32_e64 s4, 0, v6
	v_add_nc_u16 v2, v5, v2
	v_cndmask_b32_e64 v3, v3, 1, s4
	v_lshlrev_b32_e32 v5, 16, v3
	v_or_b32_sdwa v6, v5, v2 dst_sel:DWORD dst_unused:UNUSED_PAD src0_sel:DWORD src1_sel:WORD_0
.LBB1615_110:
	s_or_b32 exec_lo, exec_lo, s5
	v_lshrrev_b32_e32 v5, 16, v6
	v_mov_b32_dpp v7, v6 row_shr:2 row_mask:0xf bank_mask:0xf
	s_mov_b32 s5, exec_lo
	v_cmpx_lt_u32_e32 1, v4
	s_cbranch_execz .LBB1615_112
; %bb.111:
	v_mov_b32_e32 v3, 1
	v_and_b32_e32 v5, 0x10000, v6
	v_cmp_gt_u32_e64 s4, 0x10000, v6
	v_and_b32_sdwa v3, v7, v3 dst_sel:DWORD dst_unused:UNUSED_PAD src0_sel:WORD_1 src1_sel:DWORD
	v_cndmask_b32_e64 v6, 0, v7, s4
	v_cmp_ne_u32_e64 s4, 0, v5
	v_add_nc_u16 v2, v6, v2
	v_cndmask_b32_e64 v3, v3, 1, s4
	v_lshlrev_b32_e32 v5, 16, v3
	v_or_b32_sdwa v6, v5, v2 dst_sel:DWORD dst_unused:UNUSED_PAD src0_sel:DWORD src1_sel:WORD_0
	v_mov_b32_e32 v5, v3
.LBB1615_112:
	s_or_b32 exec_lo, exec_lo, s5
	v_mov_b32_dpp v7, v6 row_shr:4 row_mask:0xf bank_mask:0xf
	s_mov_b32 s5, exec_lo
	v_cmpx_lt_u32_e32 3, v4
	s_cbranch_execz .LBB1615_114
; %bb.113:
	v_mov_b32_e32 v3, 1
	v_and_b32_e32 v6, 1, v5
	v_cmp_eq_u16_e64 s4, 0, v5
	v_and_b32_sdwa v3, v7, v3 dst_sel:DWORD dst_unused:UNUSED_PAD src0_sel:WORD_1 src1_sel:DWORD
	v_cndmask_b32_e64 v5, 0, v7, s4
	v_cmp_eq_u32_e64 s4, 1, v6
	v_add_nc_u16 v2, v5, v2
	v_cndmask_b32_e64 v3, v3, 1, s4
	v_lshlrev_b32_e32 v5, 16, v3
	v_or_b32_sdwa v6, v5, v2 dst_sel:DWORD dst_unused:UNUSED_PAD src0_sel:DWORD src1_sel:WORD_0
	v_mov_b32_e32 v5, v3
.LBB1615_114:
	s_or_b32 exec_lo, exec_lo, s5
	v_mov_b32_dpp v7, v6 row_shr:8 row_mask:0xf bank_mask:0xf
	s_mov_b32 s5, exec_lo
	v_cmpx_lt_u32_e32 7, v4
	s_cbranch_execz .LBB1615_116
; %bb.115:
	v_mov_b32_e32 v3, 1
	v_and_b32_e32 v4, 1, v5
	v_cmp_eq_u16_e64 s4, 0, v5
	v_and_b32_sdwa v3, v7, v3 dst_sel:DWORD dst_unused:UNUSED_PAD src0_sel:WORD_1 src1_sel:DWORD
	v_cndmask_b32_e64 v5, 0, v7, s4
	v_cmp_eq_u32_e64 s4, 1, v4
	v_add_nc_u16 v2, v5, v2
	v_cndmask_b32_e64 v3, v3, 1, s4
	v_lshlrev_b32_e32 v4, 16, v3
	v_mov_b32_e32 v5, v3
	v_or_b32_sdwa v6, v4, v2 dst_sel:DWORD dst_unused:UNUSED_PAD src0_sel:DWORD src1_sel:WORD_0
.LBB1615_116:
	s_or_b32 exec_lo, exec_lo, s5
	ds_swizzle_b32 v4, v6 offset:swizzle(BROADCAST,32,15)
	v_and_b32_e32 v6, 16, v9
	s_mov_b32 s5, exec_lo
	v_cmpx_ne_u32_e32 0, v6
	s_cbranch_execz .LBB1615_118
; %bb.117:
	v_mov_b32_e32 v3, 1
	v_cmp_eq_u16_e64 s4, 0, v5
	v_and_b32_e32 v5, 1, v5
	s_waitcnt lgkmcnt(0)
	v_and_b32_sdwa v3, v4, v3 dst_sel:DWORD dst_unused:UNUSED_PAD src0_sel:WORD_1 src1_sel:DWORD
	v_cndmask_b32_e64 v6, 0, v4, s4
	v_cmp_eq_u32_e64 s4, 1, v5
	v_add_nc_u16 v2, v6, v2
	v_cndmask_b32_e64 v3, v3, 1, s4
.LBB1615_118:
	s_or_b32 exec_lo, exec_lo, s5
	s_waitcnt lgkmcnt(0)
	v_or_b32_e32 v4, 31, v0
	v_lshrrev_b32_e32 v5, 5, v0
	v_cmp_eq_u32_e64 s4, v0, v4
	v_lshlrev_b32_e32 v4, 2, v5
	s_and_saveexec_b32 s5, s4
	s_cbranch_execz .LBB1615_120
; %bb.119:
	ds_write_b16 v4, v2
	ds_write_b8 v4, v3 offset:2
.LBB1615_120:
	s_or_b32 exec_lo, exec_lo, s5
	s_mov_b32 s5, exec_lo
	s_waitcnt vmcnt(0) lgkmcnt(0)
	s_barrier
	buffer_gl0_inv
	v_cmpx_gt_u32_e32 2, v0
	s_cbranch_execz .LBB1615_124
; %bb.121:
	v_lshlrev_b32_e32 v5, 2, v0
	v_and_b32_e32 v10, 1, v9
	s_mov_b32 s6, exec_lo
	ds_read_b32 v6, v5
	s_waitcnt lgkmcnt(0)
	v_lshrrev_b32_e32 v7, 16, v6
	v_mov_b32_dpp v8, v6 row_shr:1 row_mask:0xf bank_mask:0xf
	v_cmpx_eq_u32_e32 1, v10
	s_cbranch_execz .LBB1615_123
; %bb.122:
	v_mov_b32_e32 v10, 0
	v_mov_b32_e32 v17, 1
	v_cmp_eq_u16_sdwa s4, v7, v10 src0_sel:BYTE_0 src1_sel:DWORD
	v_and_b32_e32 v10, 0x10000, v6
	v_cndmask_b32_e64 v7, 0, v8, s4
	v_and_b32_sdwa v8, v8, v17 dst_sel:DWORD dst_unused:UNUSED_PAD src0_sel:WORD_1 src1_sel:DWORD
	v_cmp_ne_u32_e64 s4, 0, v10
	v_add_nc_u16 v6, v7, v6
	v_cndmask_b32_e64 v7, v8, 1, s4
.LBB1615_123:
	s_or_b32 exec_lo, exec_lo, s6
	ds_write_b16 v5, v6
	ds_write_b8 v5, v7 offset:2
.LBB1615_124:
	s_or_b32 exec_lo, exec_lo, s5
	v_mov_b32_e32 v6, 0
	v_mov_b32_e32 v5, v1
	s_mov_b32 s5, exec_lo
	s_waitcnt lgkmcnt(0)
	s_barrier
	buffer_gl0_inv
	v_cmpx_lt_u32_e32 31, v0
	s_cbranch_execz .LBB1615_126
; %bb.125:
	v_add_nc_u32_e32 v5, -2, v4
	v_add_nc_u32_e32 v4, -4, v4
	ds_read_u8 v6, v5
	ds_read_u16 v4, v4
	s_waitcnt lgkmcnt(1)
	v_cmp_eq_u32_e64 s4, 0, v6
	v_lshlrev_b32_e32 v6, 16, v6
	v_cndmask_b32_e64 v5, 0, v1, s4
	s_waitcnt lgkmcnt(0)
	v_add_nc_u16 v5, v5, v4
.LBB1615_126:
	s_or_b32 exec_lo, exec_lo, s5
	v_cmp_eq_u16_e64 s4, 0, v3
	v_and_b32_e32 v3, 1, v3
	v_cndmask_b32_e64 v4, 0, v5, s4
	v_sub_co_u32 v7, s4, v9, 1
	v_cmp_eq_u32_e64 s5, 1, v3
	v_add_nc_u16 v2, v4, v2
	v_cndmask_b32_e64 v3, v6, 0x10000, s5
	v_cmp_gt_i32_e64 s5, 0, v7
	v_or_b32_sdwa v2, v3, v2 dst_sel:DWORD dst_unused:UNUSED_PAD src0_sel:DWORD src1_sel:WORD_0
	v_cndmask_b32_e64 v4, v7, v9, s5
	v_lshlrev_b32_e32 v3, 2, v4
	ds_bpermute_b32 v2, v3, v2
	s_waitcnt lgkmcnt(0)
	v_cndmask_b32_e64 v5, v2, v5, s4
	v_and_b32_e32 v2, 0xff0000, v14
	v_cmp_eq_u32_e64 s4, 0, v0
	v_cmp_eq_u32_e64 s5, 0, v2
	v_cndmask_b32_e64 v3, v5, v1, s4
	v_cndmask_b32_e64 v2, 0, v3, s5
	v_add_nc_u16 v4, v2, v14
	v_cndmask_b32_e32 v2, 0, v4, vcc_lo
	v_add_nc_u16 v6, v2, v16
	v_cndmask_b32_e64 v2, 0, v6, s0
	v_add_nc_u16 v7, v2, v15
	v_cndmask_b32_e64 v2, 0, v7, s1
	;; [unrolled: 2-line block ×4, first 2 shown]
	s_and_saveexec_b32 s0, s4
	s_cbranch_execz .LBB1615_128
; %bb.127:
	v_mov_b32_e32 v3, 0
	ds_read_u8 v5, v3 offset:6
	ds_read_u16 v9, v3 offset:4
	s_waitcnt lgkmcnt(1)
	v_cmp_eq_u32_e32 vcc_lo, 0, v5
	v_lshlrev_b32_e32 v5, 16, v5
	v_cndmask_b32_e32 v10, 0, v1, vcc_lo
	s_waitcnt lgkmcnt(0)
	v_add_nc_u32_e32 v9, v10, v9
	v_mov_b32_e32 v10, 2
	v_or_b32_sdwa v9, v5, v9 dst_sel:DWORD dst_unused:UNUSED_PAD src0_sel:DWORD src1_sel:WORD_0
	v_mov_b32_e32 v5, v1
	global_store_dwordx2 v3, v[9:10], s[16:17] offset:256
.LBB1615_128:
	s_or_b32 exec_lo, exec_lo, s0
	v_add_nc_u16 v20, v2, v11
.LBB1615_129:
	s_add_u32 s0, s14, s8
	v_mov_b32_e32 v10, 0
	s_addc_u32 s1, s15, s9
	s_add_u32 s0, s0, s10
	s_addc_u32 s1, s1, s11
	s_and_b32 vcc_lo, exec_lo, s20
	s_cbranch_vccz .LBB1615_157
; %bb.130:
	v_mov_b32_e32 v1, 0
	v_mul_u32_u24_e32 v9, 7, v0
	s_add_i32 s19, s19, s18
	s_mov_b32 s2, exec_lo
	v_mov_b32_e32 v2, v1
	v_mov_b32_e32 v3, v1
	v_cmpx_gt_u32_e64 s19, v9
	s_cbranch_execz .LBB1615_144
; %bb.131:
	v_add_nc_u32_e32 v3, 1, v9
	v_and_b32_e32 v1, 0xffff, v5
	v_mov_b32_e32 v10, 0
	v_mov_b32_e32 v2, 0
	v_cmp_gt_u32_e32 vcc_lo, s19, v3
	v_mov_b32_e32 v3, 0
	s_and_saveexec_b32 s3, vcc_lo
	s_cbranch_execz .LBB1615_143
; %bb.132:
	v_add_nc_u32_e32 v10, 2, v9
	v_perm_b32 v1, v4, v1, 0x5040100
	v_mov_b32_e32 v3, 0
	v_mov_b32_e32 v2, 0
	v_cmp_gt_u32_e32 vcc_lo, s19, v10
	v_mov_b32_e32 v10, 0
	s_and_saveexec_b32 s4, vcc_lo
	s_cbranch_execz .LBB1615_142
; %bb.133:
	v_add_nc_u32_e32 v10, 3, v9
	v_bfi_b32 v2, 0xffff, v6, 0
	v_mov_b32_e32 v3, 0
	v_cmp_gt_u32_e32 vcc_lo, s19, v10
	v_mov_b32_e32 v10, 0
	s_and_saveexec_b32 s5, vcc_lo
	s_cbranch_execz .LBB1615_141
; %bb.134:
	v_add_nc_u32_e32 v10, 4, v9
	v_perm_b32 v2, v7, v2, 0x5040100
	v_mov_b32_e32 v3, 0
	v_cmp_gt_u32_e32 vcc_lo, s19, v10
	v_mov_b32_e32 v10, 0
	s_and_saveexec_b32 s6, vcc_lo
	s_cbranch_execz .LBB1615_140
; %bb.135:
	v_add_nc_u32_e32 v10, 5, v9
	v_bfi_b32 v3, 0xffff, v8, 0
	v_cmp_gt_u32_e32 vcc_lo, s19, v10
	v_mov_b32_e32 v10, 0
	s_and_saveexec_b32 s7, vcc_lo
	s_cbranch_execz .LBB1615_139
; %bb.136:
	v_add_nc_u32_e32 v10, 6, v9
	v_perm_b32 v3, v19, v3, 0x5040100
	v_cmp_gt_u32_e32 vcc_lo, s19, v10
	v_mov_b32_e32 v10, 0
	s_and_saveexec_b32 s8, vcc_lo
; %bb.137:
	v_mov_b32_e32 v10, v20
; %bb.138:
	s_or_b32 exec_lo, exec_lo, s8
.LBB1615_139:
	s_or_b32 exec_lo, exec_lo, s7
.LBB1615_140:
	s_or_b32 exec_lo, exec_lo, s6
.LBB1615_141:
	s_or_b32 exec_lo, exec_lo, s5
.LBB1615_142:
	s_or_b32 exec_lo, exec_lo, s4
.LBB1615_143:
	s_or_b32 exec_lo, exec_lo, s3
.LBB1615_144:
	s_or_b32 exec_lo, exec_lo, s2
	v_lshlrev_b32_e32 v13, 1, v9
	s_waitcnt_vscnt null, 0x0
	s_barrier
	buffer_gl0_inv
	ds_write_b96 v13, v[1:3]
	v_mad_i32_i24 v1, v0, -12, v13
	ds_write_b16 v13, v10 offset:12
	s_waitcnt lgkmcnt(0)
	s_barrier
	buffer_gl0_inv
	ds_read_u16 v14, v1 offset:128
	ds_read_u16 v12, v1 offset:256
	;; [unrolled: 1-line block ×6, first 2 shown]
	v_lshlrev_b32_e32 v1, 1, v0
	v_add_co_u32 v1, s2, s0, v1
	v_add_co_ci_u32_e64 v2, null, s1, 0, s2
	s_mov_b32 s2, exec_lo
	v_cmpx_gt_u32_e64 s19, v0
	s_cbranch_execz .LBB1615_146
; %bb.145:
	v_mul_i32_i24_e32 v15, -12, v0
	v_add_nc_u32_e32 v13, v13, v15
	ds_read_u16 v13, v13
	s_waitcnt lgkmcnt(0)
	flat_store_short v[1:2], v13
.LBB1615_146:
	s_or_b32 exec_lo, exec_lo, s2
	v_or_b32_e32 v13, 64, v0
	s_mov_b32 s2, exec_lo
	v_cmpx_gt_u32_e64 s19, v13
	s_cbranch_execz .LBB1615_148
; %bb.147:
	s_waitcnt lgkmcnt(5)
	flat_store_short v[1:2], v14 offset:128
.LBB1615_148:
	s_or_b32 exec_lo, exec_lo, s2
	v_or_b32_e32 v13, 0x80, v0
	s_mov_b32 s2, exec_lo
	v_cmpx_gt_u32_e64 s19, v13
	s_cbranch_execz .LBB1615_150
; %bb.149:
	s_waitcnt lgkmcnt(4)
	flat_store_short v[1:2], v12 offset:256
.LBB1615_150:
	s_or_b32 exec_lo, exec_lo, s2
	s_waitcnt lgkmcnt(4)
	v_or_b32_e32 v12, 0xc0, v0
	s_mov_b32 s2, exec_lo
	v_cmpx_gt_u32_e64 s19, v12
	s_cbranch_execz .LBB1615_152
; %bb.151:
	s_waitcnt lgkmcnt(3)
	flat_store_short v[1:2], v11 offset:384
.LBB1615_152:
	s_or_b32 exec_lo, exec_lo, s2
	s_waitcnt lgkmcnt(3)
	;; [unrolled: 10-line block ×3, first 2 shown]
	v_or_b32_e32 v10, 0x140, v0
	s_mov_b32 s2, exec_lo
	v_cmpx_gt_u32_e64 s19, v10
	s_cbranch_execz .LBB1615_156
; %bb.155:
	s_waitcnt lgkmcnt(1)
	flat_store_short v[1:2], v9 offset:640
.LBB1615_156:
	s_or_b32 exec_lo, exec_lo, s2
	v_or_b32_e32 v1, 0x180, v0
	v_cmp_gt_u32_e64 s2, s19, v1
	s_branch .LBB1615_159
.LBB1615_157:
	s_mov_b32 s2, 0
                                        ; implicit-def: $vgpr3
	s_cbranch_execz .LBB1615_159
; %bb.158:
	s_waitcnt lgkmcnt(1)
	v_mul_u32_u24_e32 v9, 14, v0
	s_waitcnt lgkmcnt(0)
	v_perm_b32 v3, v19, v8, 0x5040100
	v_perm_b32 v2, v7, v6, 0x5040100
	v_perm_b32 v1, v4, v5, 0x5040100
	v_mul_i32_i24_e32 v4, -12, v0
	s_waitcnt_vscnt null, 0x0
	s_barrier
	buffer_gl0_inv
	ds_write_b96 v9, v[1:3]
	v_mad_u32_u24 v1, v0, 14, v4
	ds_write_b16 v9, v20 offset:12
	s_waitcnt lgkmcnt(0)
	s_barrier
	buffer_gl0_inv
	ds_read_u16 v4, v1
	ds_read_u16 v5, v1 offset:128
	ds_read_u16 v6, v1 offset:256
	;; [unrolled: 1-line block ×6, first 2 shown]
	v_lshlrev_b32_e32 v1, 1, v0
	s_or_b32 s2, s2, exec_lo
	v_add_co_u32 v1, s3, s0, v1
	v_add_co_ci_u32_e64 v2, null, s1, 0, s3
	s_waitcnt lgkmcnt(6)
	flat_store_short v[1:2], v4
	s_waitcnt lgkmcnt(6)
	flat_store_short v[1:2], v5 offset:128
	s_waitcnt lgkmcnt(6)
	flat_store_short v[1:2], v6 offset:256
	;; [unrolled: 2-line block ×5, first 2 shown]
.LBB1615_159:
	s_and_saveexec_b32 s3, s2
	s_cbranch_execnz .LBB1615_161
; %bb.160:
	s_endpgm
.LBB1615_161:
	v_lshlrev_b32_e32 v0, 1, v0
	v_add_co_u32 v0, s0, s0, v0
	v_add_co_ci_u32_e64 v1, null, s1, 0, s0
	s_waitcnt lgkmcnt(0)
	flat_store_short v[0:1], v3 offset:768
	s_endpgm
.LBB1615_162:
	v_add_co_u32 v2, s5, s27, v12
	v_add_co_ci_u32_e64 v3, null, s28, 0, s5
	v_mov_b32_e32 v13, v1
	v_mov_b32_e32 v14, v1
	;; [unrolled: 1-line block ×4, first 2 shown]
	flat_load_short_d16 v13, v[2:3]
	s_waitcnt vmcnt(0) lgkmcnt(0)
	v_mov_b32_e32 v1, v13
	v_mov_b32_e32 v2, v14
	;; [unrolled: 1-line block ×4, first 2 shown]
	s_or_b32 exec_lo, exec_lo, s7
	s_and_saveexec_b32 s5, s4
	s_cbranch_execz .LBB1615_19
.LBB1615_163:
	v_add_co_u32 v13, s4, s27, v12
	v_add_co_ci_u32_e64 v14, null, s28, 0, s4
	flat_load_short_d16_hi v1, v[13:14] offset:128
	s_or_b32 exec_lo, exec_lo, s5
	s_and_saveexec_b32 s4, s3
	s_cbranch_execz .LBB1615_20
.LBB1615_164:
	v_add_co_u32 v13, s3, s27, v12
	v_add_co_ci_u32_e64 v14, null, s28, 0, s3
	flat_load_short_d16 v2, v[13:14] offset:256
	s_or_b32 exec_lo, exec_lo, s4
	s_and_saveexec_b32 s3, s2
	s_cbranch_execz .LBB1615_21
.LBB1615_165:
	v_add_co_u32 v13, s2, s27, v12
	v_add_co_ci_u32_e64 v14, null, s28, 0, s2
	s_waitcnt vmcnt(0) lgkmcnt(0)
	flat_load_short_d16_hi v2, v[13:14] offset:384
	s_or_b32 exec_lo, exec_lo, s3
	s_and_saveexec_b32 s2, s1
	s_cbranch_execz .LBB1615_22
.LBB1615_166:
	v_add_co_u32 v13, s1, s27, v12
	v_add_co_ci_u32_e64 v14, null, s28, 0, s1
	flat_load_short_d16 v3, v[13:14] offset:512
	s_or_b32 exec_lo, exec_lo, s2
	s_and_saveexec_b32 s1, s0
	s_cbranch_execz .LBB1615_23
.LBB1615_167:
	v_add_co_u32 v13, s0, s27, v12
	v_add_co_ci_u32_e64 v14, null, s28, 0, s0
	s_waitcnt vmcnt(0) lgkmcnt(0)
	flat_load_short_d16_hi v3, v[13:14] offset:640
	s_or_b32 exec_lo, exec_lo, s1
	v_mul_u32_u24_e32 v23, 7, v0
	s_and_saveexec_b32 s0, vcc_lo
	s_cbranch_execnz .LBB1615_24
	s_branch .LBB1615_25
	.section	.rodata,"a",@progbits
	.p2align	6, 0x0
	.amdhsa_kernel _ZN7rocprim17ROCPRIM_400000_NS6detail17trampoline_kernelINS0_14default_configENS1_27scan_by_key_config_selectorIisEEZZNS1_16scan_by_key_implILNS1_25lookback_scan_determinismE0ELb1ES3_N6thrust23THRUST_200600_302600_NS6detail15normal_iteratorINS9_10device_ptrIiEEEENSB_INSC_IsEEEESG_sNS9_4plusIvEENS9_8equal_toIvEEsEE10hipError_tPvRmT2_T3_T4_T5_mT6_T7_P12ihipStream_tbENKUlT_T0_E_clISt17integral_constantIbLb0EES11_EEDaSW_SX_EUlSW_E_NS1_11comp_targetILNS1_3genE8ELNS1_11target_archE1030ELNS1_3gpuE2ELNS1_3repE0EEENS1_30default_config_static_selectorELNS0_4arch9wavefront6targetE0EEEvT1_
		.amdhsa_group_segment_fixed_size 2304
		.amdhsa_private_segment_fixed_size 0
		.amdhsa_kernarg_size 112
		.amdhsa_user_sgpr_count 6
		.amdhsa_user_sgpr_private_segment_buffer 1
		.amdhsa_user_sgpr_dispatch_ptr 0
		.amdhsa_user_sgpr_queue_ptr 0
		.amdhsa_user_sgpr_kernarg_segment_ptr 1
		.amdhsa_user_sgpr_dispatch_id 0
		.amdhsa_user_sgpr_flat_scratch_init 0
		.amdhsa_user_sgpr_private_segment_size 0
		.amdhsa_wavefront_size32 1
		.amdhsa_uses_dynamic_stack 0
		.amdhsa_system_sgpr_private_segment_wavefront_offset 0
		.amdhsa_system_sgpr_workgroup_id_x 1
		.amdhsa_system_sgpr_workgroup_id_y 0
		.amdhsa_system_sgpr_workgroup_id_z 0
		.amdhsa_system_sgpr_workgroup_info 0
		.amdhsa_system_vgpr_workitem_id 0
		.amdhsa_next_free_vgpr 38
		.amdhsa_next_free_sgpr 31
		.amdhsa_reserve_vcc 1
		.amdhsa_reserve_flat_scratch 1
		.amdhsa_float_round_mode_32 0
		.amdhsa_float_round_mode_16_64 0
		.amdhsa_float_denorm_mode_32 3
		.amdhsa_float_denorm_mode_16_64 3
		.amdhsa_dx10_clamp 1
		.amdhsa_ieee_mode 1
		.amdhsa_fp16_overflow 0
		.amdhsa_workgroup_processor_mode 1
		.amdhsa_memory_ordered 1
		.amdhsa_forward_progress 1
		.amdhsa_shared_vgpr_count 0
		.amdhsa_exception_fp_ieee_invalid_op 0
		.amdhsa_exception_fp_denorm_src 0
		.amdhsa_exception_fp_ieee_div_zero 0
		.amdhsa_exception_fp_ieee_overflow 0
		.amdhsa_exception_fp_ieee_underflow 0
		.amdhsa_exception_fp_ieee_inexact 0
		.amdhsa_exception_int_div_zero 0
	.end_amdhsa_kernel
	.section	.text._ZN7rocprim17ROCPRIM_400000_NS6detail17trampoline_kernelINS0_14default_configENS1_27scan_by_key_config_selectorIisEEZZNS1_16scan_by_key_implILNS1_25lookback_scan_determinismE0ELb1ES3_N6thrust23THRUST_200600_302600_NS6detail15normal_iteratorINS9_10device_ptrIiEEEENSB_INSC_IsEEEESG_sNS9_4plusIvEENS9_8equal_toIvEEsEE10hipError_tPvRmT2_T3_T4_T5_mT6_T7_P12ihipStream_tbENKUlT_T0_E_clISt17integral_constantIbLb0EES11_EEDaSW_SX_EUlSW_E_NS1_11comp_targetILNS1_3genE8ELNS1_11target_archE1030ELNS1_3gpuE2ELNS1_3repE0EEENS1_30default_config_static_selectorELNS0_4arch9wavefront6targetE0EEEvT1_,"axG",@progbits,_ZN7rocprim17ROCPRIM_400000_NS6detail17trampoline_kernelINS0_14default_configENS1_27scan_by_key_config_selectorIisEEZZNS1_16scan_by_key_implILNS1_25lookback_scan_determinismE0ELb1ES3_N6thrust23THRUST_200600_302600_NS6detail15normal_iteratorINS9_10device_ptrIiEEEENSB_INSC_IsEEEESG_sNS9_4plusIvEENS9_8equal_toIvEEsEE10hipError_tPvRmT2_T3_T4_T5_mT6_T7_P12ihipStream_tbENKUlT_T0_E_clISt17integral_constantIbLb0EES11_EEDaSW_SX_EUlSW_E_NS1_11comp_targetILNS1_3genE8ELNS1_11target_archE1030ELNS1_3gpuE2ELNS1_3repE0EEENS1_30default_config_static_selectorELNS0_4arch9wavefront6targetE0EEEvT1_,comdat
.Lfunc_end1615:
	.size	_ZN7rocprim17ROCPRIM_400000_NS6detail17trampoline_kernelINS0_14default_configENS1_27scan_by_key_config_selectorIisEEZZNS1_16scan_by_key_implILNS1_25lookback_scan_determinismE0ELb1ES3_N6thrust23THRUST_200600_302600_NS6detail15normal_iteratorINS9_10device_ptrIiEEEENSB_INSC_IsEEEESG_sNS9_4plusIvEENS9_8equal_toIvEEsEE10hipError_tPvRmT2_T3_T4_T5_mT6_T7_P12ihipStream_tbENKUlT_T0_E_clISt17integral_constantIbLb0EES11_EEDaSW_SX_EUlSW_E_NS1_11comp_targetILNS1_3genE8ELNS1_11target_archE1030ELNS1_3gpuE2ELNS1_3repE0EEENS1_30default_config_static_selectorELNS0_4arch9wavefront6targetE0EEEvT1_, .Lfunc_end1615-_ZN7rocprim17ROCPRIM_400000_NS6detail17trampoline_kernelINS0_14default_configENS1_27scan_by_key_config_selectorIisEEZZNS1_16scan_by_key_implILNS1_25lookback_scan_determinismE0ELb1ES3_N6thrust23THRUST_200600_302600_NS6detail15normal_iteratorINS9_10device_ptrIiEEEENSB_INSC_IsEEEESG_sNS9_4plusIvEENS9_8equal_toIvEEsEE10hipError_tPvRmT2_T3_T4_T5_mT6_T7_P12ihipStream_tbENKUlT_T0_E_clISt17integral_constantIbLb0EES11_EEDaSW_SX_EUlSW_E_NS1_11comp_targetILNS1_3genE8ELNS1_11target_archE1030ELNS1_3gpuE2ELNS1_3repE0EEENS1_30default_config_static_selectorELNS0_4arch9wavefront6targetE0EEEvT1_
                                        ; -- End function
	.set _ZN7rocprim17ROCPRIM_400000_NS6detail17trampoline_kernelINS0_14default_configENS1_27scan_by_key_config_selectorIisEEZZNS1_16scan_by_key_implILNS1_25lookback_scan_determinismE0ELb1ES3_N6thrust23THRUST_200600_302600_NS6detail15normal_iteratorINS9_10device_ptrIiEEEENSB_INSC_IsEEEESG_sNS9_4plusIvEENS9_8equal_toIvEEsEE10hipError_tPvRmT2_T3_T4_T5_mT6_T7_P12ihipStream_tbENKUlT_T0_E_clISt17integral_constantIbLb0EES11_EEDaSW_SX_EUlSW_E_NS1_11comp_targetILNS1_3genE8ELNS1_11target_archE1030ELNS1_3gpuE2ELNS1_3repE0EEENS1_30default_config_static_selectorELNS0_4arch9wavefront6targetE0EEEvT1_.num_vgpr, 38
	.set _ZN7rocprim17ROCPRIM_400000_NS6detail17trampoline_kernelINS0_14default_configENS1_27scan_by_key_config_selectorIisEEZZNS1_16scan_by_key_implILNS1_25lookback_scan_determinismE0ELb1ES3_N6thrust23THRUST_200600_302600_NS6detail15normal_iteratorINS9_10device_ptrIiEEEENSB_INSC_IsEEEESG_sNS9_4plusIvEENS9_8equal_toIvEEsEE10hipError_tPvRmT2_T3_T4_T5_mT6_T7_P12ihipStream_tbENKUlT_T0_E_clISt17integral_constantIbLb0EES11_EEDaSW_SX_EUlSW_E_NS1_11comp_targetILNS1_3genE8ELNS1_11target_archE1030ELNS1_3gpuE2ELNS1_3repE0EEENS1_30default_config_static_selectorELNS0_4arch9wavefront6targetE0EEEvT1_.num_agpr, 0
	.set _ZN7rocprim17ROCPRIM_400000_NS6detail17trampoline_kernelINS0_14default_configENS1_27scan_by_key_config_selectorIisEEZZNS1_16scan_by_key_implILNS1_25lookback_scan_determinismE0ELb1ES3_N6thrust23THRUST_200600_302600_NS6detail15normal_iteratorINS9_10device_ptrIiEEEENSB_INSC_IsEEEESG_sNS9_4plusIvEENS9_8equal_toIvEEsEE10hipError_tPvRmT2_T3_T4_T5_mT6_T7_P12ihipStream_tbENKUlT_T0_E_clISt17integral_constantIbLb0EES11_EEDaSW_SX_EUlSW_E_NS1_11comp_targetILNS1_3genE8ELNS1_11target_archE1030ELNS1_3gpuE2ELNS1_3repE0EEENS1_30default_config_static_selectorELNS0_4arch9wavefront6targetE0EEEvT1_.numbered_sgpr, 31
	.set _ZN7rocprim17ROCPRIM_400000_NS6detail17trampoline_kernelINS0_14default_configENS1_27scan_by_key_config_selectorIisEEZZNS1_16scan_by_key_implILNS1_25lookback_scan_determinismE0ELb1ES3_N6thrust23THRUST_200600_302600_NS6detail15normal_iteratorINS9_10device_ptrIiEEEENSB_INSC_IsEEEESG_sNS9_4plusIvEENS9_8equal_toIvEEsEE10hipError_tPvRmT2_T3_T4_T5_mT6_T7_P12ihipStream_tbENKUlT_T0_E_clISt17integral_constantIbLb0EES11_EEDaSW_SX_EUlSW_E_NS1_11comp_targetILNS1_3genE8ELNS1_11target_archE1030ELNS1_3gpuE2ELNS1_3repE0EEENS1_30default_config_static_selectorELNS0_4arch9wavefront6targetE0EEEvT1_.num_named_barrier, 0
	.set _ZN7rocprim17ROCPRIM_400000_NS6detail17trampoline_kernelINS0_14default_configENS1_27scan_by_key_config_selectorIisEEZZNS1_16scan_by_key_implILNS1_25lookback_scan_determinismE0ELb1ES3_N6thrust23THRUST_200600_302600_NS6detail15normal_iteratorINS9_10device_ptrIiEEEENSB_INSC_IsEEEESG_sNS9_4plusIvEENS9_8equal_toIvEEsEE10hipError_tPvRmT2_T3_T4_T5_mT6_T7_P12ihipStream_tbENKUlT_T0_E_clISt17integral_constantIbLb0EES11_EEDaSW_SX_EUlSW_E_NS1_11comp_targetILNS1_3genE8ELNS1_11target_archE1030ELNS1_3gpuE2ELNS1_3repE0EEENS1_30default_config_static_selectorELNS0_4arch9wavefront6targetE0EEEvT1_.private_seg_size, 0
	.set _ZN7rocprim17ROCPRIM_400000_NS6detail17trampoline_kernelINS0_14default_configENS1_27scan_by_key_config_selectorIisEEZZNS1_16scan_by_key_implILNS1_25lookback_scan_determinismE0ELb1ES3_N6thrust23THRUST_200600_302600_NS6detail15normal_iteratorINS9_10device_ptrIiEEEENSB_INSC_IsEEEESG_sNS9_4plusIvEENS9_8equal_toIvEEsEE10hipError_tPvRmT2_T3_T4_T5_mT6_T7_P12ihipStream_tbENKUlT_T0_E_clISt17integral_constantIbLb0EES11_EEDaSW_SX_EUlSW_E_NS1_11comp_targetILNS1_3genE8ELNS1_11target_archE1030ELNS1_3gpuE2ELNS1_3repE0EEENS1_30default_config_static_selectorELNS0_4arch9wavefront6targetE0EEEvT1_.uses_vcc, 1
	.set _ZN7rocprim17ROCPRIM_400000_NS6detail17trampoline_kernelINS0_14default_configENS1_27scan_by_key_config_selectorIisEEZZNS1_16scan_by_key_implILNS1_25lookback_scan_determinismE0ELb1ES3_N6thrust23THRUST_200600_302600_NS6detail15normal_iteratorINS9_10device_ptrIiEEEENSB_INSC_IsEEEESG_sNS9_4plusIvEENS9_8equal_toIvEEsEE10hipError_tPvRmT2_T3_T4_T5_mT6_T7_P12ihipStream_tbENKUlT_T0_E_clISt17integral_constantIbLb0EES11_EEDaSW_SX_EUlSW_E_NS1_11comp_targetILNS1_3genE8ELNS1_11target_archE1030ELNS1_3gpuE2ELNS1_3repE0EEENS1_30default_config_static_selectorELNS0_4arch9wavefront6targetE0EEEvT1_.uses_flat_scratch, 1
	.set _ZN7rocprim17ROCPRIM_400000_NS6detail17trampoline_kernelINS0_14default_configENS1_27scan_by_key_config_selectorIisEEZZNS1_16scan_by_key_implILNS1_25lookback_scan_determinismE0ELb1ES3_N6thrust23THRUST_200600_302600_NS6detail15normal_iteratorINS9_10device_ptrIiEEEENSB_INSC_IsEEEESG_sNS9_4plusIvEENS9_8equal_toIvEEsEE10hipError_tPvRmT2_T3_T4_T5_mT6_T7_P12ihipStream_tbENKUlT_T0_E_clISt17integral_constantIbLb0EES11_EEDaSW_SX_EUlSW_E_NS1_11comp_targetILNS1_3genE8ELNS1_11target_archE1030ELNS1_3gpuE2ELNS1_3repE0EEENS1_30default_config_static_selectorELNS0_4arch9wavefront6targetE0EEEvT1_.has_dyn_sized_stack, 0
	.set _ZN7rocprim17ROCPRIM_400000_NS6detail17trampoline_kernelINS0_14default_configENS1_27scan_by_key_config_selectorIisEEZZNS1_16scan_by_key_implILNS1_25lookback_scan_determinismE0ELb1ES3_N6thrust23THRUST_200600_302600_NS6detail15normal_iteratorINS9_10device_ptrIiEEEENSB_INSC_IsEEEESG_sNS9_4plusIvEENS9_8equal_toIvEEsEE10hipError_tPvRmT2_T3_T4_T5_mT6_T7_P12ihipStream_tbENKUlT_T0_E_clISt17integral_constantIbLb0EES11_EEDaSW_SX_EUlSW_E_NS1_11comp_targetILNS1_3genE8ELNS1_11target_archE1030ELNS1_3gpuE2ELNS1_3repE0EEENS1_30default_config_static_selectorELNS0_4arch9wavefront6targetE0EEEvT1_.has_recursion, 0
	.set _ZN7rocprim17ROCPRIM_400000_NS6detail17trampoline_kernelINS0_14default_configENS1_27scan_by_key_config_selectorIisEEZZNS1_16scan_by_key_implILNS1_25lookback_scan_determinismE0ELb1ES3_N6thrust23THRUST_200600_302600_NS6detail15normal_iteratorINS9_10device_ptrIiEEEENSB_INSC_IsEEEESG_sNS9_4plusIvEENS9_8equal_toIvEEsEE10hipError_tPvRmT2_T3_T4_T5_mT6_T7_P12ihipStream_tbENKUlT_T0_E_clISt17integral_constantIbLb0EES11_EEDaSW_SX_EUlSW_E_NS1_11comp_targetILNS1_3genE8ELNS1_11target_archE1030ELNS1_3gpuE2ELNS1_3repE0EEENS1_30default_config_static_selectorELNS0_4arch9wavefront6targetE0EEEvT1_.has_indirect_call, 0
	.section	.AMDGPU.csdata,"",@progbits
; Kernel info:
; codeLenInByte = 8012
; TotalNumSgprs: 33
; NumVgprs: 38
; ScratchSize: 0
; MemoryBound: 0
; FloatMode: 240
; IeeeMode: 1
; LDSByteSize: 2304 bytes/workgroup (compile time only)
; SGPRBlocks: 0
; VGPRBlocks: 4
; NumSGPRsForWavesPerEU: 33
; NumVGPRsForWavesPerEU: 38
; Occupancy: 16
; WaveLimiterHint : 1
; COMPUTE_PGM_RSRC2:SCRATCH_EN: 0
; COMPUTE_PGM_RSRC2:USER_SGPR: 6
; COMPUTE_PGM_RSRC2:TRAP_HANDLER: 0
; COMPUTE_PGM_RSRC2:TGID_X_EN: 1
; COMPUTE_PGM_RSRC2:TGID_Y_EN: 0
; COMPUTE_PGM_RSRC2:TGID_Z_EN: 0
; COMPUTE_PGM_RSRC2:TIDIG_COMP_CNT: 0
	.section	.text._ZN7rocprim17ROCPRIM_400000_NS6detail17trampoline_kernelINS0_14default_configENS1_27scan_by_key_config_selectorIisEEZZNS1_16scan_by_key_implILNS1_25lookback_scan_determinismE0ELb1ES3_N6thrust23THRUST_200600_302600_NS6detail15normal_iteratorINS9_10device_ptrIiEEEENSB_INSC_IsEEEESG_sNS9_4plusIvEENS9_8equal_toIvEEsEE10hipError_tPvRmT2_T3_T4_T5_mT6_T7_P12ihipStream_tbENKUlT_T0_E_clISt17integral_constantIbLb1EES11_EEDaSW_SX_EUlSW_E_NS1_11comp_targetILNS1_3genE0ELNS1_11target_archE4294967295ELNS1_3gpuE0ELNS1_3repE0EEENS1_30default_config_static_selectorELNS0_4arch9wavefront6targetE0EEEvT1_,"axG",@progbits,_ZN7rocprim17ROCPRIM_400000_NS6detail17trampoline_kernelINS0_14default_configENS1_27scan_by_key_config_selectorIisEEZZNS1_16scan_by_key_implILNS1_25lookback_scan_determinismE0ELb1ES3_N6thrust23THRUST_200600_302600_NS6detail15normal_iteratorINS9_10device_ptrIiEEEENSB_INSC_IsEEEESG_sNS9_4plusIvEENS9_8equal_toIvEEsEE10hipError_tPvRmT2_T3_T4_T5_mT6_T7_P12ihipStream_tbENKUlT_T0_E_clISt17integral_constantIbLb1EES11_EEDaSW_SX_EUlSW_E_NS1_11comp_targetILNS1_3genE0ELNS1_11target_archE4294967295ELNS1_3gpuE0ELNS1_3repE0EEENS1_30default_config_static_selectorELNS0_4arch9wavefront6targetE0EEEvT1_,comdat
	.protected	_ZN7rocprim17ROCPRIM_400000_NS6detail17trampoline_kernelINS0_14default_configENS1_27scan_by_key_config_selectorIisEEZZNS1_16scan_by_key_implILNS1_25lookback_scan_determinismE0ELb1ES3_N6thrust23THRUST_200600_302600_NS6detail15normal_iteratorINS9_10device_ptrIiEEEENSB_INSC_IsEEEESG_sNS9_4plusIvEENS9_8equal_toIvEEsEE10hipError_tPvRmT2_T3_T4_T5_mT6_T7_P12ihipStream_tbENKUlT_T0_E_clISt17integral_constantIbLb1EES11_EEDaSW_SX_EUlSW_E_NS1_11comp_targetILNS1_3genE0ELNS1_11target_archE4294967295ELNS1_3gpuE0ELNS1_3repE0EEENS1_30default_config_static_selectorELNS0_4arch9wavefront6targetE0EEEvT1_ ; -- Begin function _ZN7rocprim17ROCPRIM_400000_NS6detail17trampoline_kernelINS0_14default_configENS1_27scan_by_key_config_selectorIisEEZZNS1_16scan_by_key_implILNS1_25lookback_scan_determinismE0ELb1ES3_N6thrust23THRUST_200600_302600_NS6detail15normal_iteratorINS9_10device_ptrIiEEEENSB_INSC_IsEEEESG_sNS9_4plusIvEENS9_8equal_toIvEEsEE10hipError_tPvRmT2_T3_T4_T5_mT6_T7_P12ihipStream_tbENKUlT_T0_E_clISt17integral_constantIbLb1EES11_EEDaSW_SX_EUlSW_E_NS1_11comp_targetILNS1_3genE0ELNS1_11target_archE4294967295ELNS1_3gpuE0ELNS1_3repE0EEENS1_30default_config_static_selectorELNS0_4arch9wavefront6targetE0EEEvT1_
	.globl	_ZN7rocprim17ROCPRIM_400000_NS6detail17trampoline_kernelINS0_14default_configENS1_27scan_by_key_config_selectorIisEEZZNS1_16scan_by_key_implILNS1_25lookback_scan_determinismE0ELb1ES3_N6thrust23THRUST_200600_302600_NS6detail15normal_iteratorINS9_10device_ptrIiEEEENSB_INSC_IsEEEESG_sNS9_4plusIvEENS9_8equal_toIvEEsEE10hipError_tPvRmT2_T3_T4_T5_mT6_T7_P12ihipStream_tbENKUlT_T0_E_clISt17integral_constantIbLb1EES11_EEDaSW_SX_EUlSW_E_NS1_11comp_targetILNS1_3genE0ELNS1_11target_archE4294967295ELNS1_3gpuE0ELNS1_3repE0EEENS1_30default_config_static_selectorELNS0_4arch9wavefront6targetE0EEEvT1_
	.p2align	8
	.type	_ZN7rocprim17ROCPRIM_400000_NS6detail17trampoline_kernelINS0_14default_configENS1_27scan_by_key_config_selectorIisEEZZNS1_16scan_by_key_implILNS1_25lookback_scan_determinismE0ELb1ES3_N6thrust23THRUST_200600_302600_NS6detail15normal_iteratorINS9_10device_ptrIiEEEENSB_INSC_IsEEEESG_sNS9_4plusIvEENS9_8equal_toIvEEsEE10hipError_tPvRmT2_T3_T4_T5_mT6_T7_P12ihipStream_tbENKUlT_T0_E_clISt17integral_constantIbLb1EES11_EEDaSW_SX_EUlSW_E_NS1_11comp_targetILNS1_3genE0ELNS1_11target_archE4294967295ELNS1_3gpuE0ELNS1_3repE0EEENS1_30default_config_static_selectorELNS0_4arch9wavefront6targetE0EEEvT1_,@function
_ZN7rocprim17ROCPRIM_400000_NS6detail17trampoline_kernelINS0_14default_configENS1_27scan_by_key_config_selectorIisEEZZNS1_16scan_by_key_implILNS1_25lookback_scan_determinismE0ELb1ES3_N6thrust23THRUST_200600_302600_NS6detail15normal_iteratorINS9_10device_ptrIiEEEENSB_INSC_IsEEEESG_sNS9_4plusIvEENS9_8equal_toIvEEsEE10hipError_tPvRmT2_T3_T4_T5_mT6_T7_P12ihipStream_tbENKUlT_T0_E_clISt17integral_constantIbLb1EES11_EEDaSW_SX_EUlSW_E_NS1_11comp_targetILNS1_3genE0ELNS1_11target_archE4294967295ELNS1_3gpuE0ELNS1_3repE0EEENS1_30default_config_static_selectorELNS0_4arch9wavefront6targetE0EEEvT1_: ; @_ZN7rocprim17ROCPRIM_400000_NS6detail17trampoline_kernelINS0_14default_configENS1_27scan_by_key_config_selectorIisEEZZNS1_16scan_by_key_implILNS1_25lookback_scan_determinismE0ELb1ES3_N6thrust23THRUST_200600_302600_NS6detail15normal_iteratorINS9_10device_ptrIiEEEENSB_INSC_IsEEEESG_sNS9_4plusIvEENS9_8equal_toIvEEsEE10hipError_tPvRmT2_T3_T4_T5_mT6_T7_P12ihipStream_tbENKUlT_T0_E_clISt17integral_constantIbLb1EES11_EEDaSW_SX_EUlSW_E_NS1_11comp_targetILNS1_3genE0ELNS1_11target_archE4294967295ELNS1_3gpuE0ELNS1_3repE0EEENS1_30default_config_static_selectorELNS0_4arch9wavefront6targetE0EEEvT1_
; %bb.0:
	.section	.rodata,"a",@progbits
	.p2align	6, 0x0
	.amdhsa_kernel _ZN7rocprim17ROCPRIM_400000_NS6detail17trampoline_kernelINS0_14default_configENS1_27scan_by_key_config_selectorIisEEZZNS1_16scan_by_key_implILNS1_25lookback_scan_determinismE0ELb1ES3_N6thrust23THRUST_200600_302600_NS6detail15normal_iteratorINS9_10device_ptrIiEEEENSB_INSC_IsEEEESG_sNS9_4plusIvEENS9_8equal_toIvEEsEE10hipError_tPvRmT2_T3_T4_T5_mT6_T7_P12ihipStream_tbENKUlT_T0_E_clISt17integral_constantIbLb1EES11_EEDaSW_SX_EUlSW_E_NS1_11comp_targetILNS1_3genE0ELNS1_11target_archE4294967295ELNS1_3gpuE0ELNS1_3repE0EEENS1_30default_config_static_selectorELNS0_4arch9wavefront6targetE0EEEvT1_
		.amdhsa_group_segment_fixed_size 0
		.amdhsa_private_segment_fixed_size 0
		.amdhsa_kernarg_size 112
		.amdhsa_user_sgpr_count 6
		.amdhsa_user_sgpr_private_segment_buffer 1
		.amdhsa_user_sgpr_dispatch_ptr 0
		.amdhsa_user_sgpr_queue_ptr 0
		.amdhsa_user_sgpr_kernarg_segment_ptr 1
		.amdhsa_user_sgpr_dispatch_id 0
		.amdhsa_user_sgpr_flat_scratch_init 0
		.amdhsa_user_sgpr_private_segment_size 0
		.amdhsa_wavefront_size32 1
		.amdhsa_uses_dynamic_stack 0
		.amdhsa_system_sgpr_private_segment_wavefront_offset 0
		.amdhsa_system_sgpr_workgroup_id_x 1
		.amdhsa_system_sgpr_workgroup_id_y 0
		.amdhsa_system_sgpr_workgroup_id_z 0
		.amdhsa_system_sgpr_workgroup_info 0
		.amdhsa_system_vgpr_workitem_id 0
		.amdhsa_next_free_vgpr 1
		.amdhsa_next_free_sgpr 1
		.amdhsa_reserve_vcc 0
		.amdhsa_reserve_flat_scratch 0
		.amdhsa_float_round_mode_32 0
		.amdhsa_float_round_mode_16_64 0
		.amdhsa_float_denorm_mode_32 3
		.amdhsa_float_denorm_mode_16_64 3
		.amdhsa_dx10_clamp 1
		.amdhsa_ieee_mode 1
		.amdhsa_fp16_overflow 0
		.amdhsa_workgroup_processor_mode 1
		.amdhsa_memory_ordered 1
		.amdhsa_forward_progress 1
		.amdhsa_shared_vgpr_count 0
		.amdhsa_exception_fp_ieee_invalid_op 0
		.amdhsa_exception_fp_denorm_src 0
		.amdhsa_exception_fp_ieee_div_zero 0
		.amdhsa_exception_fp_ieee_overflow 0
		.amdhsa_exception_fp_ieee_underflow 0
		.amdhsa_exception_fp_ieee_inexact 0
		.amdhsa_exception_int_div_zero 0
	.end_amdhsa_kernel
	.section	.text._ZN7rocprim17ROCPRIM_400000_NS6detail17trampoline_kernelINS0_14default_configENS1_27scan_by_key_config_selectorIisEEZZNS1_16scan_by_key_implILNS1_25lookback_scan_determinismE0ELb1ES3_N6thrust23THRUST_200600_302600_NS6detail15normal_iteratorINS9_10device_ptrIiEEEENSB_INSC_IsEEEESG_sNS9_4plusIvEENS9_8equal_toIvEEsEE10hipError_tPvRmT2_T3_T4_T5_mT6_T7_P12ihipStream_tbENKUlT_T0_E_clISt17integral_constantIbLb1EES11_EEDaSW_SX_EUlSW_E_NS1_11comp_targetILNS1_3genE0ELNS1_11target_archE4294967295ELNS1_3gpuE0ELNS1_3repE0EEENS1_30default_config_static_selectorELNS0_4arch9wavefront6targetE0EEEvT1_,"axG",@progbits,_ZN7rocprim17ROCPRIM_400000_NS6detail17trampoline_kernelINS0_14default_configENS1_27scan_by_key_config_selectorIisEEZZNS1_16scan_by_key_implILNS1_25lookback_scan_determinismE0ELb1ES3_N6thrust23THRUST_200600_302600_NS6detail15normal_iteratorINS9_10device_ptrIiEEEENSB_INSC_IsEEEESG_sNS9_4plusIvEENS9_8equal_toIvEEsEE10hipError_tPvRmT2_T3_T4_T5_mT6_T7_P12ihipStream_tbENKUlT_T0_E_clISt17integral_constantIbLb1EES11_EEDaSW_SX_EUlSW_E_NS1_11comp_targetILNS1_3genE0ELNS1_11target_archE4294967295ELNS1_3gpuE0ELNS1_3repE0EEENS1_30default_config_static_selectorELNS0_4arch9wavefront6targetE0EEEvT1_,comdat
.Lfunc_end1616:
	.size	_ZN7rocprim17ROCPRIM_400000_NS6detail17trampoline_kernelINS0_14default_configENS1_27scan_by_key_config_selectorIisEEZZNS1_16scan_by_key_implILNS1_25lookback_scan_determinismE0ELb1ES3_N6thrust23THRUST_200600_302600_NS6detail15normal_iteratorINS9_10device_ptrIiEEEENSB_INSC_IsEEEESG_sNS9_4plusIvEENS9_8equal_toIvEEsEE10hipError_tPvRmT2_T3_T4_T5_mT6_T7_P12ihipStream_tbENKUlT_T0_E_clISt17integral_constantIbLb1EES11_EEDaSW_SX_EUlSW_E_NS1_11comp_targetILNS1_3genE0ELNS1_11target_archE4294967295ELNS1_3gpuE0ELNS1_3repE0EEENS1_30default_config_static_selectorELNS0_4arch9wavefront6targetE0EEEvT1_, .Lfunc_end1616-_ZN7rocprim17ROCPRIM_400000_NS6detail17trampoline_kernelINS0_14default_configENS1_27scan_by_key_config_selectorIisEEZZNS1_16scan_by_key_implILNS1_25lookback_scan_determinismE0ELb1ES3_N6thrust23THRUST_200600_302600_NS6detail15normal_iteratorINS9_10device_ptrIiEEEENSB_INSC_IsEEEESG_sNS9_4plusIvEENS9_8equal_toIvEEsEE10hipError_tPvRmT2_T3_T4_T5_mT6_T7_P12ihipStream_tbENKUlT_T0_E_clISt17integral_constantIbLb1EES11_EEDaSW_SX_EUlSW_E_NS1_11comp_targetILNS1_3genE0ELNS1_11target_archE4294967295ELNS1_3gpuE0ELNS1_3repE0EEENS1_30default_config_static_selectorELNS0_4arch9wavefront6targetE0EEEvT1_
                                        ; -- End function
	.set _ZN7rocprim17ROCPRIM_400000_NS6detail17trampoline_kernelINS0_14default_configENS1_27scan_by_key_config_selectorIisEEZZNS1_16scan_by_key_implILNS1_25lookback_scan_determinismE0ELb1ES3_N6thrust23THRUST_200600_302600_NS6detail15normal_iteratorINS9_10device_ptrIiEEEENSB_INSC_IsEEEESG_sNS9_4plusIvEENS9_8equal_toIvEEsEE10hipError_tPvRmT2_T3_T4_T5_mT6_T7_P12ihipStream_tbENKUlT_T0_E_clISt17integral_constantIbLb1EES11_EEDaSW_SX_EUlSW_E_NS1_11comp_targetILNS1_3genE0ELNS1_11target_archE4294967295ELNS1_3gpuE0ELNS1_3repE0EEENS1_30default_config_static_selectorELNS0_4arch9wavefront6targetE0EEEvT1_.num_vgpr, 0
	.set _ZN7rocprim17ROCPRIM_400000_NS6detail17trampoline_kernelINS0_14default_configENS1_27scan_by_key_config_selectorIisEEZZNS1_16scan_by_key_implILNS1_25lookback_scan_determinismE0ELb1ES3_N6thrust23THRUST_200600_302600_NS6detail15normal_iteratorINS9_10device_ptrIiEEEENSB_INSC_IsEEEESG_sNS9_4plusIvEENS9_8equal_toIvEEsEE10hipError_tPvRmT2_T3_T4_T5_mT6_T7_P12ihipStream_tbENKUlT_T0_E_clISt17integral_constantIbLb1EES11_EEDaSW_SX_EUlSW_E_NS1_11comp_targetILNS1_3genE0ELNS1_11target_archE4294967295ELNS1_3gpuE0ELNS1_3repE0EEENS1_30default_config_static_selectorELNS0_4arch9wavefront6targetE0EEEvT1_.num_agpr, 0
	.set _ZN7rocprim17ROCPRIM_400000_NS6detail17trampoline_kernelINS0_14default_configENS1_27scan_by_key_config_selectorIisEEZZNS1_16scan_by_key_implILNS1_25lookback_scan_determinismE0ELb1ES3_N6thrust23THRUST_200600_302600_NS6detail15normal_iteratorINS9_10device_ptrIiEEEENSB_INSC_IsEEEESG_sNS9_4plusIvEENS9_8equal_toIvEEsEE10hipError_tPvRmT2_T3_T4_T5_mT6_T7_P12ihipStream_tbENKUlT_T0_E_clISt17integral_constantIbLb1EES11_EEDaSW_SX_EUlSW_E_NS1_11comp_targetILNS1_3genE0ELNS1_11target_archE4294967295ELNS1_3gpuE0ELNS1_3repE0EEENS1_30default_config_static_selectorELNS0_4arch9wavefront6targetE0EEEvT1_.numbered_sgpr, 0
	.set _ZN7rocprim17ROCPRIM_400000_NS6detail17trampoline_kernelINS0_14default_configENS1_27scan_by_key_config_selectorIisEEZZNS1_16scan_by_key_implILNS1_25lookback_scan_determinismE0ELb1ES3_N6thrust23THRUST_200600_302600_NS6detail15normal_iteratorINS9_10device_ptrIiEEEENSB_INSC_IsEEEESG_sNS9_4plusIvEENS9_8equal_toIvEEsEE10hipError_tPvRmT2_T3_T4_T5_mT6_T7_P12ihipStream_tbENKUlT_T0_E_clISt17integral_constantIbLb1EES11_EEDaSW_SX_EUlSW_E_NS1_11comp_targetILNS1_3genE0ELNS1_11target_archE4294967295ELNS1_3gpuE0ELNS1_3repE0EEENS1_30default_config_static_selectorELNS0_4arch9wavefront6targetE0EEEvT1_.num_named_barrier, 0
	.set _ZN7rocprim17ROCPRIM_400000_NS6detail17trampoline_kernelINS0_14default_configENS1_27scan_by_key_config_selectorIisEEZZNS1_16scan_by_key_implILNS1_25lookback_scan_determinismE0ELb1ES3_N6thrust23THRUST_200600_302600_NS6detail15normal_iteratorINS9_10device_ptrIiEEEENSB_INSC_IsEEEESG_sNS9_4plusIvEENS9_8equal_toIvEEsEE10hipError_tPvRmT2_T3_T4_T5_mT6_T7_P12ihipStream_tbENKUlT_T0_E_clISt17integral_constantIbLb1EES11_EEDaSW_SX_EUlSW_E_NS1_11comp_targetILNS1_3genE0ELNS1_11target_archE4294967295ELNS1_3gpuE0ELNS1_3repE0EEENS1_30default_config_static_selectorELNS0_4arch9wavefront6targetE0EEEvT1_.private_seg_size, 0
	.set _ZN7rocprim17ROCPRIM_400000_NS6detail17trampoline_kernelINS0_14default_configENS1_27scan_by_key_config_selectorIisEEZZNS1_16scan_by_key_implILNS1_25lookback_scan_determinismE0ELb1ES3_N6thrust23THRUST_200600_302600_NS6detail15normal_iteratorINS9_10device_ptrIiEEEENSB_INSC_IsEEEESG_sNS9_4plusIvEENS9_8equal_toIvEEsEE10hipError_tPvRmT2_T3_T4_T5_mT6_T7_P12ihipStream_tbENKUlT_T0_E_clISt17integral_constantIbLb1EES11_EEDaSW_SX_EUlSW_E_NS1_11comp_targetILNS1_3genE0ELNS1_11target_archE4294967295ELNS1_3gpuE0ELNS1_3repE0EEENS1_30default_config_static_selectorELNS0_4arch9wavefront6targetE0EEEvT1_.uses_vcc, 0
	.set _ZN7rocprim17ROCPRIM_400000_NS6detail17trampoline_kernelINS0_14default_configENS1_27scan_by_key_config_selectorIisEEZZNS1_16scan_by_key_implILNS1_25lookback_scan_determinismE0ELb1ES3_N6thrust23THRUST_200600_302600_NS6detail15normal_iteratorINS9_10device_ptrIiEEEENSB_INSC_IsEEEESG_sNS9_4plusIvEENS9_8equal_toIvEEsEE10hipError_tPvRmT2_T3_T4_T5_mT6_T7_P12ihipStream_tbENKUlT_T0_E_clISt17integral_constantIbLb1EES11_EEDaSW_SX_EUlSW_E_NS1_11comp_targetILNS1_3genE0ELNS1_11target_archE4294967295ELNS1_3gpuE0ELNS1_3repE0EEENS1_30default_config_static_selectorELNS0_4arch9wavefront6targetE0EEEvT1_.uses_flat_scratch, 0
	.set _ZN7rocprim17ROCPRIM_400000_NS6detail17trampoline_kernelINS0_14default_configENS1_27scan_by_key_config_selectorIisEEZZNS1_16scan_by_key_implILNS1_25lookback_scan_determinismE0ELb1ES3_N6thrust23THRUST_200600_302600_NS6detail15normal_iteratorINS9_10device_ptrIiEEEENSB_INSC_IsEEEESG_sNS9_4plusIvEENS9_8equal_toIvEEsEE10hipError_tPvRmT2_T3_T4_T5_mT6_T7_P12ihipStream_tbENKUlT_T0_E_clISt17integral_constantIbLb1EES11_EEDaSW_SX_EUlSW_E_NS1_11comp_targetILNS1_3genE0ELNS1_11target_archE4294967295ELNS1_3gpuE0ELNS1_3repE0EEENS1_30default_config_static_selectorELNS0_4arch9wavefront6targetE0EEEvT1_.has_dyn_sized_stack, 0
	.set _ZN7rocprim17ROCPRIM_400000_NS6detail17trampoline_kernelINS0_14default_configENS1_27scan_by_key_config_selectorIisEEZZNS1_16scan_by_key_implILNS1_25lookback_scan_determinismE0ELb1ES3_N6thrust23THRUST_200600_302600_NS6detail15normal_iteratorINS9_10device_ptrIiEEEENSB_INSC_IsEEEESG_sNS9_4plusIvEENS9_8equal_toIvEEsEE10hipError_tPvRmT2_T3_T4_T5_mT6_T7_P12ihipStream_tbENKUlT_T0_E_clISt17integral_constantIbLb1EES11_EEDaSW_SX_EUlSW_E_NS1_11comp_targetILNS1_3genE0ELNS1_11target_archE4294967295ELNS1_3gpuE0ELNS1_3repE0EEENS1_30default_config_static_selectorELNS0_4arch9wavefront6targetE0EEEvT1_.has_recursion, 0
	.set _ZN7rocprim17ROCPRIM_400000_NS6detail17trampoline_kernelINS0_14default_configENS1_27scan_by_key_config_selectorIisEEZZNS1_16scan_by_key_implILNS1_25lookback_scan_determinismE0ELb1ES3_N6thrust23THRUST_200600_302600_NS6detail15normal_iteratorINS9_10device_ptrIiEEEENSB_INSC_IsEEEESG_sNS9_4plusIvEENS9_8equal_toIvEEsEE10hipError_tPvRmT2_T3_T4_T5_mT6_T7_P12ihipStream_tbENKUlT_T0_E_clISt17integral_constantIbLb1EES11_EEDaSW_SX_EUlSW_E_NS1_11comp_targetILNS1_3genE0ELNS1_11target_archE4294967295ELNS1_3gpuE0ELNS1_3repE0EEENS1_30default_config_static_selectorELNS0_4arch9wavefront6targetE0EEEvT1_.has_indirect_call, 0
	.section	.AMDGPU.csdata,"",@progbits
; Kernel info:
; codeLenInByte = 0
; TotalNumSgprs: 0
; NumVgprs: 0
; ScratchSize: 0
; MemoryBound: 0
; FloatMode: 240
; IeeeMode: 1
; LDSByteSize: 0 bytes/workgroup (compile time only)
; SGPRBlocks: 0
; VGPRBlocks: 0
; NumSGPRsForWavesPerEU: 1
; NumVGPRsForWavesPerEU: 1
; Occupancy: 16
; WaveLimiterHint : 0
; COMPUTE_PGM_RSRC2:SCRATCH_EN: 0
; COMPUTE_PGM_RSRC2:USER_SGPR: 6
; COMPUTE_PGM_RSRC2:TRAP_HANDLER: 0
; COMPUTE_PGM_RSRC2:TGID_X_EN: 1
; COMPUTE_PGM_RSRC2:TGID_Y_EN: 0
; COMPUTE_PGM_RSRC2:TGID_Z_EN: 0
; COMPUTE_PGM_RSRC2:TIDIG_COMP_CNT: 0
	.section	.text._ZN7rocprim17ROCPRIM_400000_NS6detail17trampoline_kernelINS0_14default_configENS1_27scan_by_key_config_selectorIisEEZZNS1_16scan_by_key_implILNS1_25lookback_scan_determinismE0ELb1ES3_N6thrust23THRUST_200600_302600_NS6detail15normal_iteratorINS9_10device_ptrIiEEEENSB_INSC_IsEEEESG_sNS9_4plusIvEENS9_8equal_toIvEEsEE10hipError_tPvRmT2_T3_T4_T5_mT6_T7_P12ihipStream_tbENKUlT_T0_E_clISt17integral_constantIbLb1EES11_EEDaSW_SX_EUlSW_E_NS1_11comp_targetILNS1_3genE10ELNS1_11target_archE1201ELNS1_3gpuE5ELNS1_3repE0EEENS1_30default_config_static_selectorELNS0_4arch9wavefront6targetE0EEEvT1_,"axG",@progbits,_ZN7rocprim17ROCPRIM_400000_NS6detail17trampoline_kernelINS0_14default_configENS1_27scan_by_key_config_selectorIisEEZZNS1_16scan_by_key_implILNS1_25lookback_scan_determinismE0ELb1ES3_N6thrust23THRUST_200600_302600_NS6detail15normal_iteratorINS9_10device_ptrIiEEEENSB_INSC_IsEEEESG_sNS9_4plusIvEENS9_8equal_toIvEEsEE10hipError_tPvRmT2_T3_T4_T5_mT6_T7_P12ihipStream_tbENKUlT_T0_E_clISt17integral_constantIbLb1EES11_EEDaSW_SX_EUlSW_E_NS1_11comp_targetILNS1_3genE10ELNS1_11target_archE1201ELNS1_3gpuE5ELNS1_3repE0EEENS1_30default_config_static_selectorELNS0_4arch9wavefront6targetE0EEEvT1_,comdat
	.protected	_ZN7rocprim17ROCPRIM_400000_NS6detail17trampoline_kernelINS0_14default_configENS1_27scan_by_key_config_selectorIisEEZZNS1_16scan_by_key_implILNS1_25lookback_scan_determinismE0ELb1ES3_N6thrust23THRUST_200600_302600_NS6detail15normal_iteratorINS9_10device_ptrIiEEEENSB_INSC_IsEEEESG_sNS9_4plusIvEENS9_8equal_toIvEEsEE10hipError_tPvRmT2_T3_T4_T5_mT6_T7_P12ihipStream_tbENKUlT_T0_E_clISt17integral_constantIbLb1EES11_EEDaSW_SX_EUlSW_E_NS1_11comp_targetILNS1_3genE10ELNS1_11target_archE1201ELNS1_3gpuE5ELNS1_3repE0EEENS1_30default_config_static_selectorELNS0_4arch9wavefront6targetE0EEEvT1_ ; -- Begin function _ZN7rocprim17ROCPRIM_400000_NS6detail17trampoline_kernelINS0_14default_configENS1_27scan_by_key_config_selectorIisEEZZNS1_16scan_by_key_implILNS1_25lookback_scan_determinismE0ELb1ES3_N6thrust23THRUST_200600_302600_NS6detail15normal_iteratorINS9_10device_ptrIiEEEENSB_INSC_IsEEEESG_sNS9_4plusIvEENS9_8equal_toIvEEsEE10hipError_tPvRmT2_T3_T4_T5_mT6_T7_P12ihipStream_tbENKUlT_T0_E_clISt17integral_constantIbLb1EES11_EEDaSW_SX_EUlSW_E_NS1_11comp_targetILNS1_3genE10ELNS1_11target_archE1201ELNS1_3gpuE5ELNS1_3repE0EEENS1_30default_config_static_selectorELNS0_4arch9wavefront6targetE0EEEvT1_
	.globl	_ZN7rocprim17ROCPRIM_400000_NS6detail17trampoline_kernelINS0_14default_configENS1_27scan_by_key_config_selectorIisEEZZNS1_16scan_by_key_implILNS1_25lookback_scan_determinismE0ELb1ES3_N6thrust23THRUST_200600_302600_NS6detail15normal_iteratorINS9_10device_ptrIiEEEENSB_INSC_IsEEEESG_sNS9_4plusIvEENS9_8equal_toIvEEsEE10hipError_tPvRmT2_T3_T4_T5_mT6_T7_P12ihipStream_tbENKUlT_T0_E_clISt17integral_constantIbLb1EES11_EEDaSW_SX_EUlSW_E_NS1_11comp_targetILNS1_3genE10ELNS1_11target_archE1201ELNS1_3gpuE5ELNS1_3repE0EEENS1_30default_config_static_selectorELNS0_4arch9wavefront6targetE0EEEvT1_
	.p2align	8
	.type	_ZN7rocprim17ROCPRIM_400000_NS6detail17trampoline_kernelINS0_14default_configENS1_27scan_by_key_config_selectorIisEEZZNS1_16scan_by_key_implILNS1_25lookback_scan_determinismE0ELb1ES3_N6thrust23THRUST_200600_302600_NS6detail15normal_iteratorINS9_10device_ptrIiEEEENSB_INSC_IsEEEESG_sNS9_4plusIvEENS9_8equal_toIvEEsEE10hipError_tPvRmT2_T3_T4_T5_mT6_T7_P12ihipStream_tbENKUlT_T0_E_clISt17integral_constantIbLb1EES11_EEDaSW_SX_EUlSW_E_NS1_11comp_targetILNS1_3genE10ELNS1_11target_archE1201ELNS1_3gpuE5ELNS1_3repE0EEENS1_30default_config_static_selectorELNS0_4arch9wavefront6targetE0EEEvT1_,@function
_ZN7rocprim17ROCPRIM_400000_NS6detail17trampoline_kernelINS0_14default_configENS1_27scan_by_key_config_selectorIisEEZZNS1_16scan_by_key_implILNS1_25lookback_scan_determinismE0ELb1ES3_N6thrust23THRUST_200600_302600_NS6detail15normal_iteratorINS9_10device_ptrIiEEEENSB_INSC_IsEEEESG_sNS9_4plusIvEENS9_8equal_toIvEEsEE10hipError_tPvRmT2_T3_T4_T5_mT6_T7_P12ihipStream_tbENKUlT_T0_E_clISt17integral_constantIbLb1EES11_EEDaSW_SX_EUlSW_E_NS1_11comp_targetILNS1_3genE10ELNS1_11target_archE1201ELNS1_3gpuE5ELNS1_3repE0EEENS1_30default_config_static_selectorELNS0_4arch9wavefront6targetE0EEEvT1_: ; @_ZN7rocprim17ROCPRIM_400000_NS6detail17trampoline_kernelINS0_14default_configENS1_27scan_by_key_config_selectorIisEEZZNS1_16scan_by_key_implILNS1_25lookback_scan_determinismE0ELb1ES3_N6thrust23THRUST_200600_302600_NS6detail15normal_iteratorINS9_10device_ptrIiEEEENSB_INSC_IsEEEESG_sNS9_4plusIvEENS9_8equal_toIvEEsEE10hipError_tPvRmT2_T3_T4_T5_mT6_T7_P12ihipStream_tbENKUlT_T0_E_clISt17integral_constantIbLb1EES11_EEDaSW_SX_EUlSW_E_NS1_11comp_targetILNS1_3genE10ELNS1_11target_archE1201ELNS1_3gpuE5ELNS1_3repE0EEENS1_30default_config_static_selectorELNS0_4arch9wavefront6targetE0EEEvT1_
; %bb.0:
	.section	.rodata,"a",@progbits
	.p2align	6, 0x0
	.amdhsa_kernel _ZN7rocprim17ROCPRIM_400000_NS6detail17trampoline_kernelINS0_14default_configENS1_27scan_by_key_config_selectorIisEEZZNS1_16scan_by_key_implILNS1_25lookback_scan_determinismE0ELb1ES3_N6thrust23THRUST_200600_302600_NS6detail15normal_iteratorINS9_10device_ptrIiEEEENSB_INSC_IsEEEESG_sNS9_4plusIvEENS9_8equal_toIvEEsEE10hipError_tPvRmT2_T3_T4_T5_mT6_T7_P12ihipStream_tbENKUlT_T0_E_clISt17integral_constantIbLb1EES11_EEDaSW_SX_EUlSW_E_NS1_11comp_targetILNS1_3genE10ELNS1_11target_archE1201ELNS1_3gpuE5ELNS1_3repE0EEENS1_30default_config_static_selectorELNS0_4arch9wavefront6targetE0EEEvT1_
		.amdhsa_group_segment_fixed_size 0
		.amdhsa_private_segment_fixed_size 0
		.amdhsa_kernarg_size 112
		.amdhsa_user_sgpr_count 6
		.amdhsa_user_sgpr_private_segment_buffer 1
		.amdhsa_user_sgpr_dispatch_ptr 0
		.amdhsa_user_sgpr_queue_ptr 0
		.amdhsa_user_sgpr_kernarg_segment_ptr 1
		.amdhsa_user_sgpr_dispatch_id 0
		.amdhsa_user_sgpr_flat_scratch_init 0
		.amdhsa_user_sgpr_private_segment_size 0
		.amdhsa_wavefront_size32 1
		.amdhsa_uses_dynamic_stack 0
		.amdhsa_system_sgpr_private_segment_wavefront_offset 0
		.amdhsa_system_sgpr_workgroup_id_x 1
		.amdhsa_system_sgpr_workgroup_id_y 0
		.amdhsa_system_sgpr_workgroup_id_z 0
		.amdhsa_system_sgpr_workgroup_info 0
		.amdhsa_system_vgpr_workitem_id 0
		.amdhsa_next_free_vgpr 1
		.amdhsa_next_free_sgpr 1
		.amdhsa_reserve_vcc 0
		.amdhsa_reserve_flat_scratch 0
		.amdhsa_float_round_mode_32 0
		.amdhsa_float_round_mode_16_64 0
		.amdhsa_float_denorm_mode_32 3
		.amdhsa_float_denorm_mode_16_64 3
		.amdhsa_dx10_clamp 1
		.amdhsa_ieee_mode 1
		.amdhsa_fp16_overflow 0
		.amdhsa_workgroup_processor_mode 1
		.amdhsa_memory_ordered 1
		.amdhsa_forward_progress 1
		.amdhsa_shared_vgpr_count 0
		.amdhsa_exception_fp_ieee_invalid_op 0
		.amdhsa_exception_fp_denorm_src 0
		.amdhsa_exception_fp_ieee_div_zero 0
		.amdhsa_exception_fp_ieee_overflow 0
		.amdhsa_exception_fp_ieee_underflow 0
		.amdhsa_exception_fp_ieee_inexact 0
		.amdhsa_exception_int_div_zero 0
	.end_amdhsa_kernel
	.section	.text._ZN7rocprim17ROCPRIM_400000_NS6detail17trampoline_kernelINS0_14default_configENS1_27scan_by_key_config_selectorIisEEZZNS1_16scan_by_key_implILNS1_25lookback_scan_determinismE0ELb1ES3_N6thrust23THRUST_200600_302600_NS6detail15normal_iteratorINS9_10device_ptrIiEEEENSB_INSC_IsEEEESG_sNS9_4plusIvEENS9_8equal_toIvEEsEE10hipError_tPvRmT2_T3_T4_T5_mT6_T7_P12ihipStream_tbENKUlT_T0_E_clISt17integral_constantIbLb1EES11_EEDaSW_SX_EUlSW_E_NS1_11comp_targetILNS1_3genE10ELNS1_11target_archE1201ELNS1_3gpuE5ELNS1_3repE0EEENS1_30default_config_static_selectorELNS0_4arch9wavefront6targetE0EEEvT1_,"axG",@progbits,_ZN7rocprim17ROCPRIM_400000_NS6detail17trampoline_kernelINS0_14default_configENS1_27scan_by_key_config_selectorIisEEZZNS1_16scan_by_key_implILNS1_25lookback_scan_determinismE0ELb1ES3_N6thrust23THRUST_200600_302600_NS6detail15normal_iteratorINS9_10device_ptrIiEEEENSB_INSC_IsEEEESG_sNS9_4plusIvEENS9_8equal_toIvEEsEE10hipError_tPvRmT2_T3_T4_T5_mT6_T7_P12ihipStream_tbENKUlT_T0_E_clISt17integral_constantIbLb1EES11_EEDaSW_SX_EUlSW_E_NS1_11comp_targetILNS1_3genE10ELNS1_11target_archE1201ELNS1_3gpuE5ELNS1_3repE0EEENS1_30default_config_static_selectorELNS0_4arch9wavefront6targetE0EEEvT1_,comdat
.Lfunc_end1617:
	.size	_ZN7rocprim17ROCPRIM_400000_NS6detail17trampoline_kernelINS0_14default_configENS1_27scan_by_key_config_selectorIisEEZZNS1_16scan_by_key_implILNS1_25lookback_scan_determinismE0ELb1ES3_N6thrust23THRUST_200600_302600_NS6detail15normal_iteratorINS9_10device_ptrIiEEEENSB_INSC_IsEEEESG_sNS9_4plusIvEENS9_8equal_toIvEEsEE10hipError_tPvRmT2_T3_T4_T5_mT6_T7_P12ihipStream_tbENKUlT_T0_E_clISt17integral_constantIbLb1EES11_EEDaSW_SX_EUlSW_E_NS1_11comp_targetILNS1_3genE10ELNS1_11target_archE1201ELNS1_3gpuE5ELNS1_3repE0EEENS1_30default_config_static_selectorELNS0_4arch9wavefront6targetE0EEEvT1_, .Lfunc_end1617-_ZN7rocprim17ROCPRIM_400000_NS6detail17trampoline_kernelINS0_14default_configENS1_27scan_by_key_config_selectorIisEEZZNS1_16scan_by_key_implILNS1_25lookback_scan_determinismE0ELb1ES3_N6thrust23THRUST_200600_302600_NS6detail15normal_iteratorINS9_10device_ptrIiEEEENSB_INSC_IsEEEESG_sNS9_4plusIvEENS9_8equal_toIvEEsEE10hipError_tPvRmT2_T3_T4_T5_mT6_T7_P12ihipStream_tbENKUlT_T0_E_clISt17integral_constantIbLb1EES11_EEDaSW_SX_EUlSW_E_NS1_11comp_targetILNS1_3genE10ELNS1_11target_archE1201ELNS1_3gpuE5ELNS1_3repE0EEENS1_30default_config_static_selectorELNS0_4arch9wavefront6targetE0EEEvT1_
                                        ; -- End function
	.set _ZN7rocprim17ROCPRIM_400000_NS6detail17trampoline_kernelINS0_14default_configENS1_27scan_by_key_config_selectorIisEEZZNS1_16scan_by_key_implILNS1_25lookback_scan_determinismE0ELb1ES3_N6thrust23THRUST_200600_302600_NS6detail15normal_iteratorINS9_10device_ptrIiEEEENSB_INSC_IsEEEESG_sNS9_4plusIvEENS9_8equal_toIvEEsEE10hipError_tPvRmT2_T3_T4_T5_mT6_T7_P12ihipStream_tbENKUlT_T0_E_clISt17integral_constantIbLb1EES11_EEDaSW_SX_EUlSW_E_NS1_11comp_targetILNS1_3genE10ELNS1_11target_archE1201ELNS1_3gpuE5ELNS1_3repE0EEENS1_30default_config_static_selectorELNS0_4arch9wavefront6targetE0EEEvT1_.num_vgpr, 0
	.set _ZN7rocprim17ROCPRIM_400000_NS6detail17trampoline_kernelINS0_14default_configENS1_27scan_by_key_config_selectorIisEEZZNS1_16scan_by_key_implILNS1_25lookback_scan_determinismE0ELb1ES3_N6thrust23THRUST_200600_302600_NS6detail15normal_iteratorINS9_10device_ptrIiEEEENSB_INSC_IsEEEESG_sNS9_4plusIvEENS9_8equal_toIvEEsEE10hipError_tPvRmT2_T3_T4_T5_mT6_T7_P12ihipStream_tbENKUlT_T0_E_clISt17integral_constantIbLb1EES11_EEDaSW_SX_EUlSW_E_NS1_11comp_targetILNS1_3genE10ELNS1_11target_archE1201ELNS1_3gpuE5ELNS1_3repE0EEENS1_30default_config_static_selectorELNS0_4arch9wavefront6targetE0EEEvT1_.num_agpr, 0
	.set _ZN7rocprim17ROCPRIM_400000_NS6detail17trampoline_kernelINS0_14default_configENS1_27scan_by_key_config_selectorIisEEZZNS1_16scan_by_key_implILNS1_25lookback_scan_determinismE0ELb1ES3_N6thrust23THRUST_200600_302600_NS6detail15normal_iteratorINS9_10device_ptrIiEEEENSB_INSC_IsEEEESG_sNS9_4plusIvEENS9_8equal_toIvEEsEE10hipError_tPvRmT2_T3_T4_T5_mT6_T7_P12ihipStream_tbENKUlT_T0_E_clISt17integral_constantIbLb1EES11_EEDaSW_SX_EUlSW_E_NS1_11comp_targetILNS1_3genE10ELNS1_11target_archE1201ELNS1_3gpuE5ELNS1_3repE0EEENS1_30default_config_static_selectorELNS0_4arch9wavefront6targetE0EEEvT1_.numbered_sgpr, 0
	.set _ZN7rocprim17ROCPRIM_400000_NS6detail17trampoline_kernelINS0_14default_configENS1_27scan_by_key_config_selectorIisEEZZNS1_16scan_by_key_implILNS1_25lookback_scan_determinismE0ELb1ES3_N6thrust23THRUST_200600_302600_NS6detail15normal_iteratorINS9_10device_ptrIiEEEENSB_INSC_IsEEEESG_sNS9_4plusIvEENS9_8equal_toIvEEsEE10hipError_tPvRmT2_T3_T4_T5_mT6_T7_P12ihipStream_tbENKUlT_T0_E_clISt17integral_constantIbLb1EES11_EEDaSW_SX_EUlSW_E_NS1_11comp_targetILNS1_3genE10ELNS1_11target_archE1201ELNS1_3gpuE5ELNS1_3repE0EEENS1_30default_config_static_selectorELNS0_4arch9wavefront6targetE0EEEvT1_.num_named_barrier, 0
	.set _ZN7rocprim17ROCPRIM_400000_NS6detail17trampoline_kernelINS0_14default_configENS1_27scan_by_key_config_selectorIisEEZZNS1_16scan_by_key_implILNS1_25lookback_scan_determinismE0ELb1ES3_N6thrust23THRUST_200600_302600_NS6detail15normal_iteratorINS9_10device_ptrIiEEEENSB_INSC_IsEEEESG_sNS9_4plusIvEENS9_8equal_toIvEEsEE10hipError_tPvRmT2_T3_T4_T5_mT6_T7_P12ihipStream_tbENKUlT_T0_E_clISt17integral_constantIbLb1EES11_EEDaSW_SX_EUlSW_E_NS1_11comp_targetILNS1_3genE10ELNS1_11target_archE1201ELNS1_3gpuE5ELNS1_3repE0EEENS1_30default_config_static_selectorELNS0_4arch9wavefront6targetE0EEEvT1_.private_seg_size, 0
	.set _ZN7rocprim17ROCPRIM_400000_NS6detail17trampoline_kernelINS0_14default_configENS1_27scan_by_key_config_selectorIisEEZZNS1_16scan_by_key_implILNS1_25lookback_scan_determinismE0ELb1ES3_N6thrust23THRUST_200600_302600_NS6detail15normal_iteratorINS9_10device_ptrIiEEEENSB_INSC_IsEEEESG_sNS9_4plusIvEENS9_8equal_toIvEEsEE10hipError_tPvRmT2_T3_T4_T5_mT6_T7_P12ihipStream_tbENKUlT_T0_E_clISt17integral_constantIbLb1EES11_EEDaSW_SX_EUlSW_E_NS1_11comp_targetILNS1_3genE10ELNS1_11target_archE1201ELNS1_3gpuE5ELNS1_3repE0EEENS1_30default_config_static_selectorELNS0_4arch9wavefront6targetE0EEEvT1_.uses_vcc, 0
	.set _ZN7rocprim17ROCPRIM_400000_NS6detail17trampoline_kernelINS0_14default_configENS1_27scan_by_key_config_selectorIisEEZZNS1_16scan_by_key_implILNS1_25lookback_scan_determinismE0ELb1ES3_N6thrust23THRUST_200600_302600_NS6detail15normal_iteratorINS9_10device_ptrIiEEEENSB_INSC_IsEEEESG_sNS9_4plusIvEENS9_8equal_toIvEEsEE10hipError_tPvRmT2_T3_T4_T5_mT6_T7_P12ihipStream_tbENKUlT_T0_E_clISt17integral_constantIbLb1EES11_EEDaSW_SX_EUlSW_E_NS1_11comp_targetILNS1_3genE10ELNS1_11target_archE1201ELNS1_3gpuE5ELNS1_3repE0EEENS1_30default_config_static_selectorELNS0_4arch9wavefront6targetE0EEEvT1_.uses_flat_scratch, 0
	.set _ZN7rocprim17ROCPRIM_400000_NS6detail17trampoline_kernelINS0_14default_configENS1_27scan_by_key_config_selectorIisEEZZNS1_16scan_by_key_implILNS1_25lookback_scan_determinismE0ELb1ES3_N6thrust23THRUST_200600_302600_NS6detail15normal_iteratorINS9_10device_ptrIiEEEENSB_INSC_IsEEEESG_sNS9_4plusIvEENS9_8equal_toIvEEsEE10hipError_tPvRmT2_T3_T4_T5_mT6_T7_P12ihipStream_tbENKUlT_T0_E_clISt17integral_constantIbLb1EES11_EEDaSW_SX_EUlSW_E_NS1_11comp_targetILNS1_3genE10ELNS1_11target_archE1201ELNS1_3gpuE5ELNS1_3repE0EEENS1_30default_config_static_selectorELNS0_4arch9wavefront6targetE0EEEvT1_.has_dyn_sized_stack, 0
	.set _ZN7rocprim17ROCPRIM_400000_NS6detail17trampoline_kernelINS0_14default_configENS1_27scan_by_key_config_selectorIisEEZZNS1_16scan_by_key_implILNS1_25lookback_scan_determinismE0ELb1ES3_N6thrust23THRUST_200600_302600_NS6detail15normal_iteratorINS9_10device_ptrIiEEEENSB_INSC_IsEEEESG_sNS9_4plusIvEENS9_8equal_toIvEEsEE10hipError_tPvRmT2_T3_T4_T5_mT6_T7_P12ihipStream_tbENKUlT_T0_E_clISt17integral_constantIbLb1EES11_EEDaSW_SX_EUlSW_E_NS1_11comp_targetILNS1_3genE10ELNS1_11target_archE1201ELNS1_3gpuE5ELNS1_3repE0EEENS1_30default_config_static_selectorELNS0_4arch9wavefront6targetE0EEEvT1_.has_recursion, 0
	.set _ZN7rocprim17ROCPRIM_400000_NS6detail17trampoline_kernelINS0_14default_configENS1_27scan_by_key_config_selectorIisEEZZNS1_16scan_by_key_implILNS1_25lookback_scan_determinismE0ELb1ES3_N6thrust23THRUST_200600_302600_NS6detail15normal_iteratorINS9_10device_ptrIiEEEENSB_INSC_IsEEEESG_sNS9_4plusIvEENS9_8equal_toIvEEsEE10hipError_tPvRmT2_T3_T4_T5_mT6_T7_P12ihipStream_tbENKUlT_T0_E_clISt17integral_constantIbLb1EES11_EEDaSW_SX_EUlSW_E_NS1_11comp_targetILNS1_3genE10ELNS1_11target_archE1201ELNS1_3gpuE5ELNS1_3repE0EEENS1_30default_config_static_selectorELNS0_4arch9wavefront6targetE0EEEvT1_.has_indirect_call, 0
	.section	.AMDGPU.csdata,"",@progbits
; Kernel info:
; codeLenInByte = 0
; TotalNumSgprs: 0
; NumVgprs: 0
; ScratchSize: 0
; MemoryBound: 0
; FloatMode: 240
; IeeeMode: 1
; LDSByteSize: 0 bytes/workgroup (compile time only)
; SGPRBlocks: 0
; VGPRBlocks: 0
; NumSGPRsForWavesPerEU: 1
; NumVGPRsForWavesPerEU: 1
; Occupancy: 16
; WaveLimiterHint : 0
; COMPUTE_PGM_RSRC2:SCRATCH_EN: 0
; COMPUTE_PGM_RSRC2:USER_SGPR: 6
; COMPUTE_PGM_RSRC2:TRAP_HANDLER: 0
; COMPUTE_PGM_RSRC2:TGID_X_EN: 1
; COMPUTE_PGM_RSRC2:TGID_Y_EN: 0
; COMPUTE_PGM_RSRC2:TGID_Z_EN: 0
; COMPUTE_PGM_RSRC2:TIDIG_COMP_CNT: 0
	.section	.text._ZN7rocprim17ROCPRIM_400000_NS6detail17trampoline_kernelINS0_14default_configENS1_27scan_by_key_config_selectorIisEEZZNS1_16scan_by_key_implILNS1_25lookback_scan_determinismE0ELb1ES3_N6thrust23THRUST_200600_302600_NS6detail15normal_iteratorINS9_10device_ptrIiEEEENSB_INSC_IsEEEESG_sNS9_4plusIvEENS9_8equal_toIvEEsEE10hipError_tPvRmT2_T3_T4_T5_mT6_T7_P12ihipStream_tbENKUlT_T0_E_clISt17integral_constantIbLb1EES11_EEDaSW_SX_EUlSW_E_NS1_11comp_targetILNS1_3genE5ELNS1_11target_archE942ELNS1_3gpuE9ELNS1_3repE0EEENS1_30default_config_static_selectorELNS0_4arch9wavefront6targetE0EEEvT1_,"axG",@progbits,_ZN7rocprim17ROCPRIM_400000_NS6detail17trampoline_kernelINS0_14default_configENS1_27scan_by_key_config_selectorIisEEZZNS1_16scan_by_key_implILNS1_25lookback_scan_determinismE0ELb1ES3_N6thrust23THRUST_200600_302600_NS6detail15normal_iteratorINS9_10device_ptrIiEEEENSB_INSC_IsEEEESG_sNS9_4plusIvEENS9_8equal_toIvEEsEE10hipError_tPvRmT2_T3_T4_T5_mT6_T7_P12ihipStream_tbENKUlT_T0_E_clISt17integral_constantIbLb1EES11_EEDaSW_SX_EUlSW_E_NS1_11comp_targetILNS1_3genE5ELNS1_11target_archE942ELNS1_3gpuE9ELNS1_3repE0EEENS1_30default_config_static_selectorELNS0_4arch9wavefront6targetE0EEEvT1_,comdat
	.protected	_ZN7rocprim17ROCPRIM_400000_NS6detail17trampoline_kernelINS0_14default_configENS1_27scan_by_key_config_selectorIisEEZZNS1_16scan_by_key_implILNS1_25lookback_scan_determinismE0ELb1ES3_N6thrust23THRUST_200600_302600_NS6detail15normal_iteratorINS9_10device_ptrIiEEEENSB_INSC_IsEEEESG_sNS9_4plusIvEENS9_8equal_toIvEEsEE10hipError_tPvRmT2_T3_T4_T5_mT6_T7_P12ihipStream_tbENKUlT_T0_E_clISt17integral_constantIbLb1EES11_EEDaSW_SX_EUlSW_E_NS1_11comp_targetILNS1_3genE5ELNS1_11target_archE942ELNS1_3gpuE9ELNS1_3repE0EEENS1_30default_config_static_selectorELNS0_4arch9wavefront6targetE0EEEvT1_ ; -- Begin function _ZN7rocprim17ROCPRIM_400000_NS6detail17trampoline_kernelINS0_14default_configENS1_27scan_by_key_config_selectorIisEEZZNS1_16scan_by_key_implILNS1_25lookback_scan_determinismE0ELb1ES3_N6thrust23THRUST_200600_302600_NS6detail15normal_iteratorINS9_10device_ptrIiEEEENSB_INSC_IsEEEESG_sNS9_4plusIvEENS9_8equal_toIvEEsEE10hipError_tPvRmT2_T3_T4_T5_mT6_T7_P12ihipStream_tbENKUlT_T0_E_clISt17integral_constantIbLb1EES11_EEDaSW_SX_EUlSW_E_NS1_11comp_targetILNS1_3genE5ELNS1_11target_archE942ELNS1_3gpuE9ELNS1_3repE0EEENS1_30default_config_static_selectorELNS0_4arch9wavefront6targetE0EEEvT1_
	.globl	_ZN7rocprim17ROCPRIM_400000_NS6detail17trampoline_kernelINS0_14default_configENS1_27scan_by_key_config_selectorIisEEZZNS1_16scan_by_key_implILNS1_25lookback_scan_determinismE0ELb1ES3_N6thrust23THRUST_200600_302600_NS6detail15normal_iteratorINS9_10device_ptrIiEEEENSB_INSC_IsEEEESG_sNS9_4plusIvEENS9_8equal_toIvEEsEE10hipError_tPvRmT2_T3_T4_T5_mT6_T7_P12ihipStream_tbENKUlT_T0_E_clISt17integral_constantIbLb1EES11_EEDaSW_SX_EUlSW_E_NS1_11comp_targetILNS1_3genE5ELNS1_11target_archE942ELNS1_3gpuE9ELNS1_3repE0EEENS1_30default_config_static_selectorELNS0_4arch9wavefront6targetE0EEEvT1_
	.p2align	8
	.type	_ZN7rocprim17ROCPRIM_400000_NS6detail17trampoline_kernelINS0_14default_configENS1_27scan_by_key_config_selectorIisEEZZNS1_16scan_by_key_implILNS1_25lookback_scan_determinismE0ELb1ES3_N6thrust23THRUST_200600_302600_NS6detail15normal_iteratorINS9_10device_ptrIiEEEENSB_INSC_IsEEEESG_sNS9_4plusIvEENS9_8equal_toIvEEsEE10hipError_tPvRmT2_T3_T4_T5_mT6_T7_P12ihipStream_tbENKUlT_T0_E_clISt17integral_constantIbLb1EES11_EEDaSW_SX_EUlSW_E_NS1_11comp_targetILNS1_3genE5ELNS1_11target_archE942ELNS1_3gpuE9ELNS1_3repE0EEENS1_30default_config_static_selectorELNS0_4arch9wavefront6targetE0EEEvT1_,@function
_ZN7rocprim17ROCPRIM_400000_NS6detail17trampoline_kernelINS0_14default_configENS1_27scan_by_key_config_selectorIisEEZZNS1_16scan_by_key_implILNS1_25lookback_scan_determinismE0ELb1ES3_N6thrust23THRUST_200600_302600_NS6detail15normal_iteratorINS9_10device_ptrIiEEEENSB_INSC_IsEEEESG_sNS9_4plusIvEENS9_8equal_toIvEEsEE10hipError_tPvRmT2_T3_T4_T5_mT6_T7_P12ihipStream_tbENKUlT_T0_E_clISt17integral_constantIbLb1EES11_EEDaSW_SX_EUlSW_E_NS1_11comp_targetILNS1_3genE5ELNS1_11target_archE942ELNS1_3gpuE9ELNS1_3repE0EEENS1_30default_config_static_selectorELNS0_4arch9wavefront6targetE0EEEvT1_: ; @_ZN7rocprim17ROCPRIM_400000_NS6detail17trampoline_kernelINS0_14default_configENS1_27scan_by_key_config_selectorIisEEZZNS1_16scan_by_key_implILNS1_25lookback_scan_determinismE0ELb1ES3_N6thrust23THRUST_200600_302600_NS6detail15normal_iteratorINS9_10device_ptrIiEEEENSB_INSC_IsEEEESG_sNS9_4plusIvEENS9_8equal_toIvEEsEE10hipError_tPvRmT2_T3_T4_T5_mT6_T7_P12ihipStream_tbENKUlT_T0_E_clISt17integral_constantIbLb1EES11_EEDaSW_SX_EUlSW_E_NS1_11comp_targetILNS1_3genE5ELNS1_11target_archE942ELNS1_3gpuE9ELNS1_3repE0EEENS1_30default_config_static_selectorELNS0_4arch9wavefront6targetE0EEEvT1_
; %bb.0:
	.section	.rodata,"a",@progbits
	.p2align	6, 0x0
	.amdhsa_kernel _ZN7rocprim17ROCPRIM_400000_NS6detail17trampoline_kernelINS0_14default_configENS1_27scan_by_key_config_selectorIisEEZZNS1_16scan_by_key_implILNS1_25lookback_scan_determinismE0ELb1ES3_N6thrust23THRUST_200600_302600_NS6detail15normal_iteratorINS9_10device_ptrIiEEEENSB_INSC_IsEEEESG_sNS9_4plusIvEENS9_8equal_toIvEEsEE10hipError_tPvRmT2_T3_T4_T5_mT6_T7_P12ihipStream_tbENKUlT_T0_E_clISt17integral_constantIbLb1EES11_EEDaSW_SX_EUlSW_E_NS1_11comp_targetILNS1_3genE5ELNS1_11target_archE942ELNS1_3gpuE9ELNS1_3repE0EEENS1_30default_config_static_selectorELNS0_4arch9wavefront6targetE0EEEvT1_
		.amdhsa_group_segment_fixed_size 0
		.amdhsa_private_segment_fixed_size 0
		.amdhsa_kernarg_size 112
		.amdhsa_user_sgpr_count 6
		.amdhsa_user_sgpr_private_segment_buffer 1
		.amdhsa_user_sgpr_dispatch_ptr 0
		.amdhsa_user_sgpr_queue_ptr 0
		.amdhsa_user_sgpr_kernarg_segment_ptr 1
		.amdhsa_user_sgpr_dispatch_id 0
		.amdhsa_user_sgpr_flat_scratch_init 0
		.amdhsa_user_sgpr_private_segment_size 0
		.amdhsa_wavefront_size32 1
		.amdhsa_uses_dynamic_stack 0
		.amdhsa_system_sgpr_private_segment_wavefront_offset 0
		.amdhsa_system_sgpr_workgroup_id_x 1
		.amdhsa_system_sgpr_workgroup_id_y 0
		.amdhsa_system_sgpr_workgroup_id_z 0
		.amdhsa_system_sgpr_workgroup_info 0
		.amdhsa_system_vgpr_workitem_id 0
		.amdhsa_next_free_vgpr 1
		.amdhsa_next_free_sgpr 1
		.amdhsa_reserve_vcc 0
		.amdhsa_reserve_flat_scratch 0
		.amdhsa_float_round_mode_32 0
		.amdhsa_float_round_mode_16_64 0
		.amdhsa_float_denorm_mode_32 3
		.amdhsa_float_denorm_mode_16_64 3
		.amdhsa_dx10_clamp 1
		.amdhsa_ieee_mode 1
		.amdhsa_fp16_overflow 0
		.amdhsa_workgroup_processor_mode 1
		.amdhsa_memory_ordered 1
		.amdhsa_forward_progress 1
		.amdhsa_shared_vgpr_count 0
		.amdhsa_exception_fp_ieee_invalid_op 0
		.amdhsa_exception_fp_denorm_src 0
		.amdhsa_exception_fp_ieee_div_zero 0
		.amdhsa_exception_fp_ieee_overflow 0
		.amdhsa_exception_fp_ieee_underflow 0
		.amdhsa_exception_fp_ieee_inexact 0
		.amdhsa_exception_int_div_zero 0
	.end_amdhsa_kernel
	.section	.text._ZN7rocprim17ROCPRIM_400000_NS6detail17trampoline_kernelINS0_14default_configENS1_27scan_by_key_config_selectorIisEEZZNS1_16scan_by_key_implILNS1_25lookback_scan_determinismE0ELb1ES3_N6thrust23THRUST_200600_302600_NS6detail15normal_iteratorINS9_10device_ptrIiEEEENSB_INSC_IsEEEESG_sNS9_4plusIvEENS9_8equal_toIvEEsEE10hipError_tPvRmT2_T3_T4_T5_mT6_T7_P12ihipStream_tbENKUlT_T0_E_clISt17integral_constantIbLb1EES11_EEDaSW_SX_EUlSW_E_NS1_11comp_targetILNS1_3genE5ELNS1_11target_archE942ELNS1_3gpuE9ELNS1_3repE0EEENS1_30default_config_static_selectorELNS0_4arch9wavefront6targetE0EEEvT1_,"axG",@progbits,_ZN7rocprim17ROCPRIM_400000_NS6detail17trampoline_kernelINS0_14default_configENS1_27scan_by_key_config_selectorIisEEZZNS1_16scan_by_key_implILNS1_25lookback_scan_determinismE0ELb1ES3_N6thrust23THRUST_200600_302600_NS6detail15normal_iteratorINS9_10device_ptrIiEEEENSB_INSC_IsEEEESG_sNS9_4plusIvEENS9_8equal_toIvEEsEE10hipError_tPvRmT2_T3_T4_T5_mT6_T7_P12ihipStream_tbENKUlT_T0_E_clISt17integral_constantIbLb1EES11_EEDaSW_SX_EUlSW_E_NS1_11comp_targetILNS1_3genE5ELNS1_11target_archE942ELNS1_3gpuE9ELNS1_3repE0EEENS1_30default_config_static_selectorELNS0_4arch9wavefront6targetE0EEEvT1_,comdat
.Lfunc_end1618:
	.size	_ZN7rocprim17ROCPRIM_400000_NS6detail17trampoline_kernelINS0_14default_configENS1_27scan_by_key_config_selectorIisEEZZNS1_16scan_by_key_implILNS1_25lookback_scan_determinismE0ELb1ES3_N6thrust23THRUST_200600_302600_NS6detail15normal_iteratorINS9_10device_ptrIiEEEENSB_INSC_IsEEEESG_sNS9_4plusIvEENS9_8equal_toIvEEsEE10hipError_tPvRmT2_T3_T4_T5_mT6_T7_P12ihipStream_tbENKUlT_T0_E_clISt17integral_constantIbLb1EES11_EEDaSW_SX_EUlSW_E_NS1_11comp_targetILNS1_3genE5ELNS1_11target_archE942ELNS1_3gpuE9ELNS1_3repE0EEENS1_30default_config_static_selectorELNS0_4arch9wavefront6targetE0EEEvT1_, .Lfunc_end1618-_ZN7rocprim17ROCPRIM_400000_NS6detail17trampoline_kernelINS0_14default_configENS1_27scan_by_key_config_selectorIisEEZZNS1_16scan_by_key_implILNS1_25lookback_scan_determinismE0ELb1ES3_N6thrust23THRUST_200600_302600_NS6detail15normal_iteratorINS9_10device_ptrIiEEEENSB_INSC_IsEEEESG_sNS9_4plusIvEENS9_8equal_toIvEEsEE10hipError_tPvRmT2_T3_T4_T5_mT6_T7_P12ihipStream_tbENKUlT_T0_E_clISt17integral_constantIbLb1EES11_EEDaSW_SX_EUlSW_E_NS1_11comp_targetILNS1_3genE5ELNS1_11target_archE942ELNS1_3gpuE9ELNS1_3repE0EEENS1_30default_config_static_selectorELNS0_4arch9wavefront6targetE0EEEvT1_
                                        ; -- End function
	.set _ZN7rocprim17ROCPRIM_400000_NS6detail17trampoline_kernelINS0_14default_configENS1_27scan_by_key_config_selectorIisEEZZNS1_16scan_by_key_implILNS1_25lookback_scan_determinismE0ELb1ES3_N6thrust23THRUST_200600_302600_NS6detail15normal_iteratorINS9_10device_ptrIiEEEENSB_INSC_IsEEEESG_sNS9_4plusIvEENS9_8equal_toIvEEsEE10hipError_tPvRmT2_T3_T4_T5_mT6_T7_P12ihipStream_tbENKUlT_T0_E_clISt17integral_constantIbLb1EES11_EEDaSW_SX_EUlSW_E_NS1_11comp_targetILNS1_3genE5ELNS1_11target_archE942ELNS1_3gpuE9ELNS1_3repE0EEENS1_30default_config_static_selectorELNS0_4arch9wavefront6targetE0EEEvT1_.num_vgpr, 0
	.set _ZN7rocprim17ROCPRIM_400000_NS6detail17trampoline_kernelINS0_14default_configENS1_27scan_by_key_config_selectorIisEEZZNS1_16scan_by_key_implILNS1_25lookback_scan_determinismE0ELb1ES3_N6thrust23THRUST_200600_302600_NS6detail15normal_iteratorINS9_10device_ptrIiEEEENSB_INSC_IsEEEESG_sNS9_4plusIvEENS9_8equal_toIvEEsEE10hipError_tPvRmT2_T3_T4_T5_mT6_T7_P12ihipStream_tbENKUlT_T0_E_clISt17integral_constantIbLb1EES11_EEDaSW_SX_EUlSW_E_NS1_11comp_targetILNS1_3genE5ELNS1_11target_archE942ELNS1_3gpuE9ELNS1_3repE0EEENS1_30default_config_static_selectorELNS0_4arch9wavefront6targetE0EEEvT1_.num_agpr, 0
	.set _ZN7rocprim17ROCPRIM_400000_NS6detail17trampoline_kernelINS0_14default_configENS1_27scan_by_key_config_selectorIisEEZZNS1_16scan_by_key_implILNS1_25lookback_scan_determinismE0ELb1ES3_N6thrust23THRUST_200600_302600_NS6detail15normal_iteratorINS9_10device_ptrIiEEEENSB_INSC_IsEEEESG_sNS9_4plusIvEENS9_8equal_toIvEEsEE10hipError_tPvRmT2_T3_T4_T5_mT6_T7_P12ihipStream_tbENKUlT_T0_E_clISt17integral_constantIbLb1EES11_EEDaSW_SX_EUlSW_E_NS1_11comp_targetILNS1_3genE5ELNS1_11target_archE942ELNS1_3gpuE9ELNS1_3repE0EEENS1_30default_config_static_selectorELNS0_4arch9wavefront6targetE0EEEvT1_.numbered_sgpr, 0
	.set _ZN7rocprim17ROCPRIM_400000_NS6detail17trampoline_kernelINS0_14default_configENS1_27scan_by_key_config_selectorIisEEZZNS1_16scan_by_key_implILNS1_25lookback_scan_determinismE0ELb1ES3_N6thrust23THRUST_200600_302600_NS6detail15normal_iteratorINS9_10device_ptrIiEEEENSB_INSC_IsEEEESG_sNS9_4plusIvEENS9_8equal_toIvEEsEE10hipError_tPvRmT2_T3_T4_T5_mT6_T7_P12ihipStream_tbENKUlT_T0_E_clISt17integral_constantIbLb1EES11_EEDaSW_SX_EUlSW_E_NS1_11comp_targetILNS1_3genE5ELNS1_11target_archE942ELNS1_3gpuE9ELNS1_3repE0EEENS1_30default_config_static_selectorELNS0_4arch9wavefront6targetE0EEEvT1_.num_named_barrier, 0
	.set _ZN7rocprim17ROCPRIM_400000_NS6detail17trampoline_kernelINS0_14default_configENS1_27scan_by_key_config_selectorIisEEZZNS1_16scan_by_key_implILNS1_25lookback_scan_determinismE0ELb1ES3_N6thrust23THRUST_200600_302600_NS6detail15normal_iteratorINS9_10device_ptrIiEEEENSB_INSC_IsEEEESG_sNS9_4plusIvEENS9_8equal_toIvEEsEE10hipError_tPvRmT2_T3_T4_T5_mT6_T7_P12ihipStream_tbENKUlT_T0_E_clISt17integral_constantIbLb1EES11_EEDaSW_SX_EUlSW_E_NS1_11comp_targetILNS1_3genE5ELNS1_11target_archE942ELNS1_3gpuE9ELNS1_3repE0EEENS1_30default_config_static_selectorELNS0_4arch9wavefront6targetE0EEEvT1_.private_seg_size, 0
	.set _ZN7rocprim17ROCPRIM_400000_NS6detail17trampoline_kernelINS0_14default_configENS1_27scan_by_key_config_selectorIisEEZZNS1_16scan_by_key_implILNS1_25lookback_scan_determinismE0ELb1ES3_N6thrust23THRUST_200600_302600_NS6detail15normal_iteratorINS9_10device_ptrIiEEEENSB_INSC_IsEEEESG_sNS9_4plusIvEENS9_8equal_toIvEEsEE10hipError_tPvRmT2_T3_T4_T5_mT6_T7_P12ihipStream_tbENKUlT_T0_E_clISt17integral_constantIbLb1EES11_EEDaSW_SX_EUlSW_E_NS1_11comp_targetILNS1_3genE5ELNS1_11target_archE942ELNS1_3gpuE9ELNS1_3repE0EEENS1_30default_config_static_selectorELNS0_4arch9wavefront6targetE0EEEvT1_.uses_vcc, 0
	.set _ZN7rocprim17ROCPRIM_400000_NS6detail17trampoline_kernelINS0_14default_configENS1_27scan_by_key_config_selectorIisEEZZNS1_16scan_by_key_implILNS1_25lookback_scan_determinismE0ELb1ES3_N6thrust23THRUST_200600_302600_NS6detail15normal_iteratorINS9_10device_ptrIiEEEENSB_INSC_IsEEEESG_sNS9_4plusIvEENS9_8equal_toIvEEsEE10hipError_tPvRmT2_T3_T4_T5_mT6_T7_P12ihipStream_tbENKUlT_T0_E_clISt17integral_constantIbLb1EES11_EEDaSW_SX_EUlSW_E_NS1_11comp_targetILNS1_3genE5ELNS1_11target_archE942ELNS1_3gpuE9ELNS1_3repE0EEENS1_30default_config_static_selectorELNS0_4arch9wavefront6targetE0EEEvT1_.uses_flat_scratch, 0
	.set _ZN7rocprim17ROCPRIM_400000_NS6detail17trampoline_kernelINS0_14default_configENS1_27scan_by_key_config_selectorIisEEZZNS1_16scan_by_key_implILNS1_25lookback_scan_determinismE0ELb1ES3_N6thrust23THRUST_200600_302600_NS6detail15normal_iteratorINS9_10device_ptrIiEEEENSB_INSC_IsEEEESG_sNS9_4plusIvEENS9_8equal_toIvEEsEE10hipError_tPvRmT2_T3_T4_T5_mT6_T7_P12ihipStream_tbENKUlT_T0_E_clISt17integral_constantIbLb1EES11_EEDaSW_SX_EUlSW_E_NS1_11comp_targetILNS1_3genE5ELNS1_11target_archE942ELNS1_3gpuE9ELNS1_3repE0EEENS1_30default_config_static_selectorELNS0_4arch9wavefront6targetE0EEEvT1_.has_dyn_sized_stack, 0
	.set _ZN7rocprim17ROCPRIM_400000_NS6detail17trampoline_kernelINS0_14default_configENS1_27scan_by_key_config_selectorIisEEZZNS1_16scan_by_key_implILNS1_25lookback_scan_determinismE0ELb1ES3_N6thrust23THRUST_200600_302600_NS6detail15normal_iteratorINS9_10device_ptrIiEEEENSB_INSC_IsEEEESG_sNS9_4plusIvEENS9_8equal_toIvEEsEE10hipError_tPvRmT2_T3_T4_T5_mT6_T7_P12ihipStream_tbENKUlT_T0_E_clISt17integral_constantIbLb1EES11_EEDaSW_SX_EUlSW_E_NS1_11comp_targetILNS1_3genE5ELNS1_11target_archE942ELNS1_3gpuE9ELNS1_3repE0EEENS1_30default_config_static_selectorELNS0_4arch9wavefront6targetE0EEEvT1_.has_recursion, 0
	.set _ZN7rocprim17ROCPRIM_400000_NS6detail17trampoline_kernelINS0_14default_configENS1_27scan_by_key_config_selectorIisEEZZNS1_16scan_by_key_implILNS1_25lookback_scan_determinismE0ELb1ES3_N6thrust23THRUST_200600_302600_NS6detail15normal_iteratorINS9_10device_ptrIiEEEENSB_INSC_IsEEEESG_sNS9_4plusIvEENS9_8equal_toIvEEsEE10hipError_tPvRmT2_T3_T4_T5_mT6_T7_P12ihipStream_tbENKUlT_T0_E_clISt17integral_constantIbLb1EES11_EEDaSW_SX_EUlSW_E_NS1_11comp_targetILNS1_3genE5ELNS1_11target_archE942ELNS1_3gpuE9ELNS1_3repE0EEENS1_30default_config_static_selectorELNS0_4arch9wavefront6targetE0EEEvT1_.has_indirect_call, 0
	.section	.AMDGPU.csdata,"",@progbits
; Kernel info:
; codeLenInByte = 0
; TotalNumSgprs: 0
; NumVgprs: 0
; ScratchSize: 0
; MemoryBound: 0
; FloatMode: 240
; IeeeMode: 1
; LDSByteSize: 0 bytes/workgroup (compile time only)
; SGPRBlocks: 0
; VGPRBlocks: 0
; NumSGPRsForWavesPerEU: 1
; NumVGPRsForWavesPerEU: 1
; Occupancy: 16
; WaveLimiterHint : 0
; COMPUTE_PGM_RSRC2:SCRATCH_EN: 0
; COMPUTE_PGM_RSRC2:USER_SGPR: 6
; COMPUTE_PGM_RSRC2:TRAP_HANDLER: 0
; COMPUTE_PGM_RSRC2:TGID_X_EN: 1
; COMPUTE_PGM_RSRC2:TGID_Y_EN: 0
; COMPUTE_PGM_RSRC2:TGID_Z_EN: 0
; COMPUTE_PGM_RSRC2:TIDIG_COMP_CNT: 0
	.section	.text._ZN7rocprim17ROCPRIM_400000_NS6detail17trampoline_kernelINS0_14default_configENS1_27scan_by_key_config_selectorIisEEZZNS1_16scan_by_key_implILNS1_25lookback_scan_determinismE0ELb1ES3_N6thrust23THRUST_200600_302600_NS6detail15normal_iteratorINS9_10device_ptrIiEEEENSB_INSC_IsEEEESG_sNS9_4plusIvEENS9_8equal_toIvEEsEE10hipError_tPvRmT2_T3_T4_T5_mT6_T7_P12ihipStream_tbENKUlT_T0_E_clISt17integral_constantIbLb1EES11_EEDaSW_SX_EUlSW_E_NS1_11comp_targetILNS1_3genE4ELNS1_11target_archE910ELNS1_3gpuE8ELNS1_3repE0EEENS1_30default_config_static_selectorELNS0_4arch9wavefront6targetE0EEEvT1_,"axG",@progbits,_ZN7rocprim17ROCPRIM_400000_NS6detail17trampoline_kernelINS0_14default_configENS1_27scan_by_key_config_selectorIisEEZZNS1_16scan_by_key_implILNS1_25lookback_scan_determinismE0ELb1ES3_N6thrust23THRUST_200600_302600_NS6detail15normal_iteratorINS9_10device_ptrIiEEEENSB_INSC_IsEEEESG_sNS9_4plusIvEENS9_8equal_toIvEEsEE10hipError_tPvRmT2_T3_T4_T5_mT6_T7_P12ihipStream_tbENKUlT_T0_E_clISt17integral_constantIbLb1EES11_EEDaSW_SX_EUlSW_E_NS1_11comp_targetILNS1_3genE4ELNS1_11target_archE910ELNS1_3gpuE8ELNS1_3repE0EEENS1_30default_config_static_selectorELNS0_4arch9wavefront6targetE0EEEvT1_,comdat
	.protected	_ZN7rocprim17ROCPRIM_400000_NS6detail17trampoline_kernelINS0_14default_configENS1_27scan_by_key_config_selectorIisEEZZNS1_16scan_by_key_implILNS1_25lookback_scan_determinismE0ELb1ES3_N6thrust23THRUST_200600_302600_NS6detail15normal_iteratorINS9_10device_ptrIiEEEENSB_INSC_IsEEEESG_sNS9_4plusIvEENS9_8equal_toIvEEsEE10hipError_tPvRmT2_T3_T4_T5_mT6_T7_P12ihipStream_tbENKUlT_T0_E_clISt17integral_constantIbLb1EES11_EEDaSW_SX_EUlSW_E_NS1_11comp_targetILNS1_3genE4ELNS1_11target_archE910ELNS1_3gpuE8ELNS1_3repE0EEENS1_30default_config_static_selectorELNS0_4arch9wavefront6targetE0EEEvT1_ ; -- Begin function _ZN7rocprim17ROCPRIM_400000_NS6detail17trampoline_kernelINS0_14default_configENS1_27scan_by_key_config_selectorIisEEZZNS1_16scan_by_key_implILNS1_25lookback_scan_determinismE0ELb1ES3_N6thrust23THRUST_200600_302600_NS6detail15normal_iteratorINS9_10device_ptrIiEEEENSB_INSC_IsEEEESG_sNS9_4plusIvEENS9_8equal_toIvEEsEE10hipError_tPvRmT2_T3_T4_T5_mT6_T7_P12ihipStream_tbENKUlT_T0_E_clISt17integral_constantIbLb1EES11_EEDaSW_SX_EUlSW_E_NS1_11comp_targetILNS1_3genE4ELNS1_11target_archE910ELNS1_3gpuE8ELNS1_3repE0EEENS1_30default_config_static_selectorELNS0_4arch9wavefront6targetE0EEEvT1_
	.globl	_ZN7rocprim17ROCPRIM_400000_NS6detail17trampoline_kernelINS0_14default_configENS1_27scan_by_key_config_selectorIisEEZZNS1_16scan_by_key_implILNS1_25lookback_scan_determinismE0ELb1ES3_N6thrust23THRUST_200600_302600_NS6detail15normal_iteratorINS9_10device_ptrIiEEEENSB_INSC_IsEEEESG_sNS9_4plusIvEENS9_8equal_toIvEEsEE10hipError_tPvRmT2_T3_T4_T5_mT6_T7_P12ihipStream_tbENKUlT_T0_E_clISt17integral_constantIbLb1EES11_EEDaSW_SX_EUlSW_E_NS1_11comp_targetILNS1_3genE4ELNS1_11target_archE910ELNS1_3gpuE8ELNS1_3repE0EEENS1_30default_config_static_selectorELNS0_4arch9wavefront6targetE0EEEvT1_
	.p2align	8
	.type	_ZN7rocprim17ROCPRIM_400000_NS6detail17trampoline_kernelINS0_14default_configENS1_27scan_by_key_config_selectorIisEEZZNS1_16scan_by_key_implILNS1_25lookback_scan_determinismE0ELb1ES3_N6thrust23THRUST_200600_302600_NS6detail15normal_iteratorINS9_10device_ptrIiEEEENSB_INSC_IsEEEESG_sNS9_4plusIvEENS9_8equal_toIvEEsEE10hipError_tPvRmT2_T3_T4_T5_mT6_T7_P12ihipStream_tbENKUlT_T0_E_clISt17integral_constantIbLb1EES11_EEDaSW_SX_EUlSW_E_NS1_11comp_targetILNS1_3genE4ELNS1_11target_archE910ELNS1_3gpuE8ELNS1_3repE0EEENS1_30default_config_static_selectorELNS0_4arch9wavefront6targetE0EEEvT1_,@function
_ZN7rocprim17ROCPRIM_400000_NS6detail17trampoline_kernelINS0_14default_configENS1_27scan_by_key_config_selectorIisEEZZNS1_16scan_by_key_implILNS1_25lookback_scan_determinismE0ELb1ES3_N6thrust23THRUST_200600_302600_NS6detail15normal_iteratorINS9_10device_ptrIiEEEENSB_INSC_IsEEEESG_sNS9_4plusIvEENS9_8equal_toIvEEsEE10hipError_tPvRmT2_T3_T4_T5_mT6_T7_P12ihipStream_tbENKUlT_T0_E_clISt17integral_constantIbLb1EES11_EEDaSW_SX_EUlSW_E_NS1_11comp_targetILNS1_3genE4ELNS1_11target_archE910ELNS1_3gpuE8ELNS1_3repE0EEENS1_30default_config_static_selectorELNS0_4arch9wavefront6targetE0EEEvT1_: ; @_ZN7rocprim17ROCPRIM_400000_NS6detail17trampoline_kernelINS0_14default_configENS1_27scan_by_key_config_selectorIisEEZZNS1_16scan_by_key_implILNS1_25lookback_scan_determinismE0ELb1ES3_N6thrust23THRUST_200600_302600_NS6detail15normal_iteratorINS9_10device_ptrIiEEEENSB_INSC_IsEEEESG_sNS9_4plusIvEENS9_8equal_toIvEEsEE10hipError_tPvRmT2_T3_T4_T5_mT6_T7_P12ihipStream_tbENKUlT_T0_E_clISt17integral_constantIbLb1EES11_EEDaSW_SX_EUlSW_E_NS1_11comp_targetILNS1_3genE4ELNS1_11target_archE910ELNS1_3gpuE8ELNS1_3repE0EEENS1_30default_config_static_selectorELNS0_4arch9wavefront6targetE0EEEvT1_
; %bb.0:
	.section	.rodata,"a",@progbits
	.p2align	6, 0x0
	.amdhsa_kernel _ZN7rocprim17ROCPRIM_400000_NS6detail17trampoline_kernelINS0_14default_configENS1_27scan_by_key_config_selectorIisEEZZNS1_16scan_by_key_implILNS1_25lookback_scan_determinismE0ELb1ES3_N6thrust23THRUST_200600_302600_NS6detail15normal_iteratorINS9_10device_ptrIiEEEENSB_INSC_IsEEEESG_sNS9_4plusIvEENS9_8equal_toIvEEsEE10hipError_tPvRmT2_T3_T4_T5_mT6_T7_P12ihipStream_tbENKUlT_T0_E_clISt17integral_constantIbLb1EES11_EEDaSW_SX_EUlSW_E_NS1_11comp_targetILNS1_3genE4ELNS1_11target_archE910ELNS1_3gpuE8ELNS1_3repE0EEENS1_30default_config_static_selectorELNS0_4arch9wavefront6targetE0EEEvT1_
		.amdhsa_group_segment_fixed_size 0
		.amdhsa_private_segment_fixed_size 0
		.amdhsa_kernarg_size 112
		.amdhsa_user_sgpr_count 6
		.amdhsa_user_sgpr_private_segment_buffer 1
		.amdhsa_user_sgpr_dispatch_ptr 0
		.amdhsa_user_sgpr_queue_ptr 0
		.amdhsa_user_sgpr_kernarg_segment_ptr 1
		.amdhsa_user_sgpr_dispatch_id 0
		.amdhsa_user_sgpr_flat_scratch_init 0
		.amdhsa_user_sgpr_private_segment_size 0
		.amdhsa_wavefront_size32 1
		.amdhsa_uses_dynamic_stack 0
		.amdhsa_system_sgpr_private_segment_wavefront_offset 0
		.amdhsa_system_sgpr_workgroup_id_x 1
		.amdhsa_system_sgpr_workgroup_id_y 0
		.amdhsa_system_sgpr_workgroup_id_z 0
		.amdhsa_system_sgpr_workgroup_info 0
		.amdhsa_system_vgpr_workitem_id 0
		.amdhsa_next_free_vgpr 1
		.amdhsa_next_free_sgpr 1
		.amdhsa_reserve_vcc 0
		.amdhsa_reserve_flat_scratch 0
		.amdhsa_float_round_mode_32 0
		.amdhsa_float_round_mode_16_64 0
		.amdhsa_float_denorm_mode_32 3
		.amdhsa_float_denorm_mode_16_64 3
		.amdhsa_dx10_clamp 1
		.amdhsa_ieee_mode 1
		.amdhsa_fp16_overflow 0
		.amdhsa_workgroup_processor_mode 1
		.amdhsa_memory_ordered 1
		.amdhsa_forward_progress 1
		.amdhsa_shared_vgpr_count 0
		.amdhsa_exception_fp_ieee_invalid_op 0
		.amdhsa_exception_fp_denorm_src 0
		.amdhsa_exception_fp_ieee_div_zero 0
		.amdhsa_exception_fp_ieee_overflow 0
		.amdhsa_exception_fp_ieee_underflow 0
		.amdhsa_exception_fp_ieee_inexact 0
		.amdhsa_exception_int_div_zero 0
	.end_amdhsa_kernel
	.section	.text._ZN7rocprim17ROCPRIM_400000_NS6detail17trampoline_kernelINS0_14default_configENS1_27scan_by_key_config_selectorIisEEZZNS1_16scan_by_key_implILNS1_25lookback_scan_determinismE0ELb1ES3_N6thrust23THRUST_200600_302600_NS6detail15normal_iteratorINS9_10device_ptrIiEEEENSB_INSC_IsEEEESG_sNS9_4plusIvEENS9_8equal_toIvEEsEE10hipError_tPvRmT2_T3_T4_T5_mT6_T7_P12ihipStream_tbENKUlT_T0_E_clISt17integral_constantIbLb1EES11_EEDaSW_SX_EUlSW_E_NS1_11comp_targetILNS1_3genE4ELNS1_11target_archE910ELNS1_3gpuE8ELNS1_3repE0EEENS1_30default_config_static_selectorELNS0_4arch9wavefront6targetE0EEEvT1_,"axG",@progbits,_ZN7rocprim17ROCPRIM_400000_NS6detail17trampoline_kernelINS0_14default_configENS1_27scan_by_key_config_selectorIisEEZZNS1_16scan_by_key_implILNS1_25lookback_scan_determinismE0ELb1ES3_N6thrust23THRUST_200600_302600_NS6detail15normal_iteratorINS9_10device_ptrIiEEEENSB_INSC_IsEEEESG_sNS9_4plusIvEENS9_8equal_toIvEEsEE10hipError_tPvRmT2_T3_T4_T5_mT6_T7_P12ihipStream_tbENKUlT_T0_E_clISt17integral_constantIbLb1EES11_EEDaSW_SX_EUlSW_E_NS1_11comp_targetILNS1_3genE4ELNS1_11target_archE910ELNS1_3gpuE8ELNS1_3repE0EEENS1_30default_config_static_selectorELNS0_4arch9wavefront6targetE0EEEvT1_,comdat
.Lfunc_end1619:
	.size	_ZN7rocprim17ROCPRIM_400000_NS6detail17trampoline_kernelINS0_14default_configENS1_27scan_by_key_config_selectorIisEEZZNS1_16scan_by_key_implILNS1_25lookback_scan_determinismE0ELb1ES3_N6thrust23THRUST_200600_302600_NS6detail15normal_iteratorINS9_10device_ptrIiEEEENSB_INSC_IsEEEESG_sNS9_4plusIvEENS9_8equal_toIvEEsEE10hipError_tPvRmT2_T3_T4_T5_mT6_T7_P12ihipStream_tbENKUlT_T0_E_clISt17integral_constantIbLb1EES11_EEDaSW_SX_EUlSW_E_NS1_11comp_targetILNS1_3genE4ELNS1_11target_archE910ELNS1_3gpuE8ELNS1_3repE0EEENS1_30default_config_static_selectorELNS0_4arch9wavefront6targetE0EEEvT1_, .Lfunc_end1619-_ZN7rocprim17ROCPRIM_400000_NS6detail17trampoline_kernelINS0_14default_configENS1_27scan_by_key_config_selectorIisEEZZNS1_16scan_by_key_implILNS1_25lookback_scan_determinismE0ELb1ES3_N6thrust23THRUST_200600_302600_NS6detail15normal_iteratorINS9_10device_ptrIiEEEENSB_INSC_IsEEEESG_sNS9_4plusIvEENS9_8equal_toIvEEsEE10hipError_tPvRmT2_T3_T4_T5_mT6_T7_P12ihipStream_tbENKUlT_T0_E_clISt17integral_constantIbLb1EES11_EEDaSW_SX_EUlSW_E_NS1_11comp_targetILNS1_3genE4ELNS1_11target_archE910ELNS1_3gpuE8ELNS1_3repE0EEENS1_30default_config_static_selectorELNS0_4arch9wavefront6targetE0EEEvT1_
                                        ; -- End function
	.set _ZN7rocprim17ROCPRIM_400000_NS6detail17trampoline_kernelINS0_14default_configENS1_27scan_by_key_config_selectorIisEEZZNS1_16scan_by_key_implILNS1_25lookback_scan_determinismE0ELb1ES3_N6thrust23THRUST_200600_302600_NS6detail15normal_iteratorINS9_10device_ptrIiEEEENSB_INSC_IsEEEESG_sNS9_4plusIvEENS9_8equal_toIvEEsEE10hipError_tPvRmT2_T3_T4_T5_mT6_T7_P12ihipStream_tbENKUlT_T0_E_clISt17integral_constantIbLb1EES11_EEDaSW_SX_EUlSW_E_NS1_11comp_targetILNS1_3genE4ELNS1_11target_archE910ELNS1_3gpuE8ELNS1_3repE0EEENS1_30default_config_static_selectorELNS0_4arch9wavefront6targetE0EEEvT1_.num_vgpr, 0
	.set _ZN7rocprim17ROCPRIM_400000_NS6detail17trampoline_kernelINS0_14default_configENS1_27scan_by_key_config_selectorIisEEZZNS1_16scan_by_key_implILNS1_25lookback_scan_determinismE0ELb1ES3_N6thrust23THRUST_200600_302600_NS6detail15normal_iteratorINS9_10device_ptrIiEEEENSB_INSC_IsEEEESG_sNS9_4plusIvEENS9_8equal_toIvEEsEE10hipError_tPvRmT2_T3_T4_T5_mT6_T7_P12ihipStream_tbENKUlT_T0_E_clISt17integral_constantIbLb1EES11_EEDaSW_SX_EUlSW_E_NS1_11comp_targetILNS1_3genE4ELNS1_11target_archE910ELNS1_3gpuE8ELNS1_3repE0EEENS1_30default_config_static_selectorELNS0_4arch9wavefront6targetE0EEEvT1_.num_agpr, 0
	.set _ZN7rocprim17ROCPRIM_400000_NS6detail17trampoline_kernelINS0_14default_configENS1_27scan_by_key_config_selectorIisEEZZNS1_16scan_by_key_implILNS1_25lookback_scan_determinismE0ELb1ES3_N6thrust23THRUST_200600_302600_NS6detail15normal_iteratorINS9_10device_ptrIiEEEENSB_INSC_IsEEEESG_sNS9_4plusIvEENS9_8equal_toIvEEsEE10hipError_tPvRmT2_T3_T4_T5_mT6_T7_P12ihipStream_tbENKUlT_T0_E_clISt17integral_constantIbLb1EES11_EEDaSW_SX_EUlSW_E_NS1_11comp_targetILNS1_3genE4ELNS1_11target_archE910ELNS1_3gpuE8ELNS1_3repE0EEENS1_30default_config_static_selectorELNS0_4arch9wavefront6targetE0EEEvT1_.numbered_sgpr, 0
	.set _ZN7rocprim17ROCPRIM_400000_NS6detail17trampoline_kernelINS0_14default_configENS1_27scan_by_key_config_selectorIisEEZZNS1_16scan_by_key_implILNS1_25lookback_scan_determinismE0ELb1ES3_N6thrust23THRUST_200600_302600_NS6detail15normal_iteratorINS9_10device_ptrIiEEEENSB_INSC_IsEEEESG_sNS9_4plusIvEENS9_8equal_toIvEEsEE10hipError_tPvRmT2_T3_T4_T5_mT6_T7_P12ihipStream_tbENKUlT_T0_E_clISt17integral_constantIbLb1EES11_EEDaSW_SX_EUlSW_E_NS1_11comp_targetILNS1_3genE4ELNS1_11target_archE910ELNS1_3gpuE8ELNS1_3repE0EEENS1_30default_config_static_selectorELNS0_4arch9wavefront6targetE0EEEvT1_.num_named_barrier, 0
	.set _ZN7rocprim17ROCPRIM_400000_NS6detail17trampoline_kernelINS0_14default_configENS1_27scan_by_key_config_selectorIisEEZZNS1_16scan_by_key_implILNS1_25lookback_scan_determinismE0ELb1ES3_N6thrust23THRUST_200600_302600_NS6detail15normal_iteratorINS9_10device_ptrIiEEEENSB_INSC_IsEEEESG_sNS9_4plusIvEENS9_8equal_toIvEEsEE10hipError_tPvRmT2_T3_T4_T5_mT6_T7_P12ihipStream_tbENKUlT_T0_E_clISt17integral_constantIbLb1EES11_EEDaSW_SX_EUlSW_E_NS1_11comp_targetILNS1_3genE4ELNS1_11target_archE910ELNS1_3gpuE8ELNS1_3repE0EEENS1_30default_config_static_selectorELNS0_4arch9wavefront6targetE0EEEvT1_.private_seg_size, 0
	.set _ZN7rocprim17ROCPRIM_400000_NS6detail17trampoline_kernelINS0_14default_configENS1_27scan_by_key_config_selectorIisEEZZNS1_16scan_by_key_implILNS1_25lookback_scan_determinismE0ELb1ES3_N6thrust23THRUST_200600_302600_NS6detail15normal_iteratorINS9_10device_ptrIiEEEENSB_INSC_IsEEEESG_sNS9_4plusIvEENS9_8equal_toIvEEsEE10hipError_tPvRmT2_T3_T4_T5_mT6_T7_P12ihipStream_tbENKUlT_T0_E_clISt17integral_constantIbLb1EES11_EEDaSW_SX_EUlSW_E_NS1_11comp_targetILNS1_3genE4ELNS1_11target_archE910ELNS1_3gpuE8ELNS1_3repE0EEENS1_30default_config_static_selectorELNS0_4arch9wavefront6targetE0EEEvT1_.uses_vcc, 0
	.set _ZN7rocprim17ROCPRIM_400000_NS6detail17trampoline_kernelINS0_14default_configENS1_27scan_by_key_config_selectorIisEEZZNS1_16scan_by_key_implILNS1_25lookback_scan_determinismE0ELb1ES3_N6thrust23THRUST_200600_302600_NS6detail15normal_iteratorINS9_10device_ptrIiEEEENSB_INSC_IsEEEESG_sNS9_4plusIvEENS9_8equal_toIvEEsEE10hipError_tPvRmT2_T3_T4_T5_mT6_T7_P12ihipStream_tbENKUlT_T0_E_clISt17integral_constantIbLb1EES11_EEDaSW_SX_EUlSW_E_NS1_11comp_targetILNS1_3genE4ELNS1_11target_archE910ELNS1_3gpuE8ELNS1_3repE0EEENS1_30default_config_static_selectorELNS0_4arch9wavefront6targetE0EEEvT1_.uses_flat_scratch, 0
	.set _ZN7rocprim17ROCPRIM_400000_NS6detail17trampoline_kernelINS0_14default_configENS1_27scan_by_key_config_selectorIisEEZZNS1_16scan_by_key_implILNS1_25lookback_scan_determinismE0ELb1ES3_N6thrust23THRUST_200600_302600_NS6detail15normal_iteratorINS9_10device_ptrIiEEEENSB_INSC_IsEEEESG_sNS9_4plusIvEENS9_8equal_toIvEEsEE10hipError_tPvRmT2_T3_T4_T5_mT6_T7_P12ihipStream_tbENKUlT_T0_E_clISt17integral_constantIbLb1EES11_EEDaSW_SX_EUlSW_E_NS1_11comp_targetILNS1_3genE4ELNS1_11target_archE910ELNS1_3gpuE8ELNS1_3repE0EEENS1_30default_config_static_selectorELNS0_4arch9wavefront6targetE0EEEvT1_.has_dyn_sized_stack, 0
	.set _ZN7rocprim17ROCPRIM_400000_NS6detail17trampoline_kernelINS0_14default_configENS1_27scan_by_key_config_selectorIisEEZZNS1_16scan_by_key_implILNS1_25lookback_scan_determinismE0ELb1ES3_N6thrust23THRUST_200600_302600_NS6detail15normal_iteratorINS9_10device_ptrIiEEEENSB_INSC_IsEEEESG_sNS9_4plusIvEENS9_8equal_toIvEEsEE10hipError_tPvRmT2_T3_T4_T5_mT6_T7_P12ihipStream_tbENKUlT_T0_E_clISt17integral_constantIbLb1EES11_EEDaSW_SX_EUlSW_E_NS1_11comp_targetILNS1_3genE4ELNS1_11target_archE910ELNS1_3gpuE8ELNS1_3repE0EEENS1_30default_config_static_selectorELNS0_4arch9wavefront6targetE0EEEvT1_.has_recursion, 0
	.set _ZN7rocprim17ROCPRIM_400000_NS6detail17trampoline_kernelINS0_14default_configENS1_27scan_by_key_config_selectorIisEEZZNS1_16scan_by_key_implILNS1_25lookback_scan_determinismE0ELb1ES3_N6thrust23THRUST_200600_302600_NS6detail15normal_iteratorINS9_10device_ptrIiEEEENSB_INSC_IsEEEESG_sNS9_4plusIvEENS9_8equal_toIvEEsEE10hipError_tPvRmT2_T3_T4_T5_mT6_T7_P12ihipStream_tbENKUlT_T0_E_clISt17integral_constantIbLb1EES11_EEDaSW_SX_EUlSW_E_NS1_11comp_targetILNS1_3genE4ELNS1_11target_archE910ELNS1_3gpuE8ELNS1_3repE0EEENS1_30default_config_static_selectorELNS0_4arch9wavefront6targetE0EEEvT1_.has_indirect_call, 0
	.section	.AMDGPU.csdata,"",@progbits
; Kernel info:
; codeLenInByte = 0
; TotalNumSgprs: 0
; NumVgprs: 0
; ScratchSize: 0
; MemoryBound: 0
; FloatMode: 240
; IeeeMode: 1
; LDSByteSize: 0 bytes/workgroup (compile time only)
; SGPRBlocks: 0
; VGPRBlocks: 0
; NumSGPRsForWavesPerEU: 1
; NumVGPRsForWavesPerEU: 1
; Occupancy: 16
; WaveLimiterHint : 0
; COMPUTE_PGM_RSRC2:SCRATCH_EN: 0
; COMPUTE_PGM_RSRC2:USER_SGPR: 6
; COMPUTE_PGM_RSRC2:TRAP_HANDLER: 0
; COMPUTE_PGM_RSRC2:TGID_X_EN: 1
; COMPUTE_PGM_RSRC2:TGID_Y_EN: 0
; COMPUTE_PGM_RSRC2:TGID_Z_EN: 0
; COMPUTE_PGM_RSRC2:TIDIG_COMP_CNT: 0
	.section	.text._ZN7rocprim17ROCPRIM_400000_NS6detail17trampoline_kernelINS0_14default_configENS1_27scan_by_key_config_selectorIisEEZZNS1_16scan_by_key_implILNS1_25lookback_scan_determinismE0ELb1ES3_N6thrust23THRUST_200600_302600_NS6detail15normal_iteratorINS9_10device_ptrIiEEEENSB_INSC_IsEEEESG_sNS9_4plusIvEENS9_8equal_toIvEEsEE10hipError_tPvRmT2_T3_T4_T5_mT6_T7_P12ihipStream_tbENKUlT_T0_E_clISt17integral_constantIbLb1EES11_EEDaSW_SX_EUlSW_E_NS1_11comp_targetILNS1_3genE3ELNS1_11target_archE908ELNS1_3gpuE7ELNS1_3repE0EEENS1_30default_config_static_selectorELNS0_4arch9wavefront6targetE0EEEvT1_,"axG",@progbits,_ZN7rocprim17ROCPRIM_400000_NS6detail17trampoline_kernelINS0_14default_configENS1_27scan_by_key_config_selectorIisEEZZNS1_16scan_by_key_implILNS1_25lookback_scan_determinismE0ELb1ES3_N6thrust23THRUST_200600_302600_NS6detail15normal_iteratorINS9_10device_ptrIiEEEENSB_INSC_IsEEEESG_sNS9_4plusIvEENS9_8equal_toIvEEsEE10hipError_tPvRmT2_T3_T4_T5_mT6_T7_P12ihipStream_tbENKUlT_T0_E_clISt17integral_constantIbLb1EES11_EEDaSW_SX_EUlSW_E_NS1_11comp_targetILNS1_3genE3ELNS1_11target_archE908ELNS1_3gpuE7ELNS1_3repE0EEENS1_30default_config_static_selectorELNS0_4arch9wavefront6targetE0EEEvT1_,comdat
	.protected	_ZN7rocprim17ROCPRIM_400000_NS6detail17trampoline_kernelINS0_14default_configENS1_27scan_by_key_config_selectorIisEEZZNS1_16scan_by_key_implILNS1_25lookback_scan_determinismE0ELb1ES3_N6thrust23THRUST_200600_302600_NS6detail15normal_iteratorINS9_10device_ptrIiEEEENSB_INSC_IsEEEESG_sNS9_4plusIvEENS9_8equal_toIvEEsEE10hipError_tPvRmT2_T3_T4_T5_mT6_T7_P12ihipStream_tbENKUlT_T0_E_clISt17integral_constantIbLb1EES11_EEDaSW_SX_EUlSW_E_NS1_11comp_targetILNS1_3genE3ELNS1_11target_archE908ELNS1_3gpuE7ELNS1_3repE0EEENS1_30default_config_static_selectorELNS0_4arch9wavefront6targetE0EEEvT1_ ; -- Begin function _ZN7rocprim17ROCPRIM_400000_NS6detail17trampoline_kernelINS0_14default_configENS1_27scan_by_key_config_selectorIisEEZZNS1_16scan_by_key_implILNS1_25lookback_scan_determinismE0ELb1ES3_N6thrust23THRUST_200600_302600_NS6detail15normal_iteratorINS9_10device_ptrIiEEEENSB_INSC_IsEEEESG_sNS9_4plusIvEENS9_8equal_toIvEEsEE10hipError_tPvRmT2_T3_T4_T5_mT6_T7_P12ihipStream_tbENKUlT_T0_E_clISt17integral_constantIbLb1EES11_EEDaSW_SX_EUlSW_E_NS1_11comp_targetILNS1_3genE3ELNS1_11target_archE908ELNS1_3gpuE7ELNS1_3repE0EEENS1_30default_config_static_selectorELNS0_4arch9wavefront6targetE0EEEvT1_
	.globl	_ZN7rocprim17ROCPRIM_400000_NS6detail17trampoline_kernelINS0_14default_configENS1_27scan_by_key_config_selectorIisEEZZNS1_16scan_by_key_implILNS1_25lookback_scan_determinismE0ELb1ES3_N6thrust23THRUST_200600_302600_NS6detail15normal_iteratorINS9_10device_ptrIiEEEENSB_INSC_IsEEEESG_sNS9_4plusIvEENS9_8equal_toIvEEsEE10hipError_tPvRmT2_T3_T4_T5_mT6_T7_P12ihipStream_tbENKUlT_T0_E_clISt17integral_constantIbLb1EES11_EEDaSW_SX_EUlSW_E_NS1_11comp_targetILNS1_3genE3ELNS1_11target_archE908ELNS1_3gpuE7ELNS1_3repE0EEENS1_30default_config_static_selectorELNS0_4arch9wavefront6targetE0EEEvT1_
	.p2align	8
	.type	_ZN7rocprim17ROCPRIM_400000_NS6detail17trampoline_kernelINS0_14default_configENS1_27scan_by_key_config_selectorIisEEZZNS1_16scan_by_key_implILNS1_25lookback_scan_determinismE0ELb1ES3_N6thrust23THRUST_200600_302600_NS6detail15normal_iteratorINS9_10device_ptrIiEEEENSB_INSC_IsEEEESG_sNS9_4plusIvEENS9_8equal_toIvEEsEE10hipError_tPvRmT2_T3_T4_T5_mT6_T7_P12ihipStream_tbENKUlT_T0_E_clISt17integral_constantIbLb1EES11_EEDaSW_SX_EUlSW_E_NS1_11comp_targetILNS1_3genE3ELNS1_11target_archE908ELNS1_3gpuE7ELNS1_3repE0EEENS1_30default_config_static_selectorELNS0_4arch9wavefront6targetE0EEEvT1_,@function
_ZN7rocprim17ROCPRIM_400000_NS6detail17trampoline_kernelINS0_14default_configENS1_27scan_by_key_config_selectorIisEEZZNS1_16scan_by_key_implILNS1_25lookback_scan_determinismE0ELb1ES3_N6thrust23THRUST_200600_302600_NS6detail15normal_iteratorINS9_10device_ptrIiEEEENSB_INSC_IsEEEESG_sNS9_4plusIvEENS9_8equal_toIvEEsEE10hipError_tPvRmT2_T3_T4_T5_mT6_T7_P12ihipStream_tbENKUlT_T0_E_clISt17integral_constantIbLb1EES11_EEDaSW_SX_EUlSW_E_NS1_11comp_targetILNS1_3genE3ELNS1_11target_archE908ELNS1_3gpuE7ELNS1_3repE0EEENS1_30default_config_static_selectorELNS0_4arch9wavefront6targetE0EEEvT1_: ; @_ZN7rocprim17ROCPRIM_400000_NS6detail17trampoline_kernelINS0_14default_configENS1_27scan_by_key_config_selectorIisEEZZNS1_16scan_by_key_implILNS1_25lookback_scan_determinismE0ELb1ES3_N6thrust23THRUST_200600_302600_NS6detail15normal_iteratorINS9_10device_ptrIiEEEENSB_INSC_IsEEEESG_sNS9_4plusIvEENS9_8equal_toIvEEsEE10hipError_tPvRmT2_T3_T4_T5_mT6_T7_P12ihipStream_tbENKUlT_T0_E_clISt17integral_constantIbLb1EES11_EEDaSW_SX_EUlSW_E_NS1_11comp_targetILNS1_3genE3ELNS1_11target_archE908ELNS1_3gpuE7ELNS1_3repE0EEENS1_30default_config_static_selectorELNS0_4arch9wavefront6targetE0EEEvT1_
; %bb.0:
	.section	.rodata,"a",@progbits
	.p2align	6, 0x0
	.amdhsa_kernel _ZN7rocprim17ROCPRIM_400000_NS6detail17trampoline_kernelINS0_14default_configENS1_27scan_by_key_config_selectorIisEEZZNS1_16scan_by_key_implILNS1_25lookback_scan_determinismE0ELb1ES3_N6thrust23THRUST_200600_302600_NS6detail15normal_iteratorINS9_10device_ptrIiEEEENSB_INSC_IsEEEESG_sNS9_4plusIvEENS9_8equal_toIvEEsEE10hipError_tPvRmT2_T3_T4_T5_mT6_T7_P12ihipStream_tbENKUlT_T0_E_clISt17integral_constantIbLb1EES11_EEDaSW_SX_EUlSW_E_NS1_11comp_targetILNS1_3genE3ELNS1_11target_archE908ELNS1_3gpuE7ELNS1_3repE0EEENS1_30default_config_static_selectorELNS0_4arch9wavefront6targetE0EEEvT1_
		.amdhsa_group_segment_fixed_size 0
		.amdhsa_private_segment_fixed_size 0
		.amdhsa_kernarg_size 112
		.amdhsa_user_sgpr_count 6
		.amdhsa_user_sgpr_private_segment_buffer 1
		.amdhsa_user_sgpr_dispatch_ptr 0
		.amdhsa_user_sgpr_queue_ptr 0
		.amdhsa_user_sgpr_kernarg_segment_ptr 1
		.amdhsa_user_sgpr_dispatch_id 0
		.amdhsa_user_sgpr_flat_scratch_init 0
		.amdhsa_user_sgpr_private_segment_size 0
		.amdhsa_wavefront_size32 1
		.amdhsa_uses_dynamic_stack 0
		.amdhsa_system_sgpr_private_segment_wavefront_offset 0
		.amdhsa_system_sgpr_workgroup_id_x 1
		.amdhsa_system_sgpr_workgroup_id_y 0
		.amdhsa_system_sgpr_workgroup_id_z 0
		.amdhsa_system_sgpr_workgroup_info 0
		.amdhsa_system_vgpr_workitem_id 0
		.amdhsa_next_free_vgpr 1
		.amdhsa_next_free_sgpr 1
		.amdhsa_reserve_vcc 0
		.amdhsa_reserve_flat_scratch 0
		.amdhsa_float_round_mode_32 0
		.amdhsa_float_round_mode_16_64 0
		.amdhsa_float_denorm_mode_32 3
		.amdhsa_float_denorm_mode_16_64 3
		.amdhsa_dx10_clamp 1
		.amdhsa_ieee_mode 1
		.amdhsa_fp16_overflow 0
		.amdhsa_workgroup_processor_mode 1
		.amdhsa_memory_ordered 1
		.amdhsa_forward_progress 1
		.amdhsa_shared_vgpr_count 0
		.amdhsa_exception_fp_ieee_invalid_op 0
		.amdhsa_exception_fp_denorm_src 0
		.amdhsa_exception_fp_ieee_div_zero 0
		.amdhsa_exception_fp_ieee_overflow 0
		.amdhsa_exception_fp_ieee_underflow 0
		.amdhsa_exception_fp_ieee_inexact 0
		.amdhsa_exception_int_div_zero 0
	.end_amdhsa_kernel
	.section	.text._ZN7rocprim17ROCPRIM_400000_NS6detail17trampoline_kernelINS0_14default_configENS1_27scan_by_key_config_selectorIisEEZZNS1_16scan_by_key_implILNS1_25lookback_scan_determinismE0ELb1ES3_N6thrust23THRUST_200600_302600_NS6detail15normal_iteratorINS9_10device_ptrIiEEEENSB_INSC_IsEEEESG_sNS9_4plusIvEENS9_8equal_toIvEEsEE10hipError_tPvRmT2_T3_T4_T5_mT6_T7_P12ihipStream_tbENKUlT_T0_E_clISt17integral_constantIbLb1EES11_EEDaSW_SX_EUlSW_E_NS1_11comp_targetILNS1_3genE3ELNS1_11target_archE908ELNS1_3gpuE7ELNS1_3repE0EEENS1_30default_config_static_selectorELNS0_4arch9wavefront6targetE0EEEvT1_,"axG",@progbits,_ZN7rocprim17ROCPRIM_400000_NS6detail17trampoline_kernelINS0_14default_configENS1_27scan_by_key_config_selectorIisEEZZNS1_16scan_by_key_implILNS1_25lookback_scan_determinismE0ELb1ES3_N6thrust23THRUST_200600_302600_NS6detail15normal_iteratorINS9_10device_ptrIiEEEENSB_INSC_IsEEEESG_sNS9_4plusIvEENS9_8equal_toIvEEsEE10hipError_tPvRmT2_T3_T4_T5_mT6_T7_P12ihipStream_tbENKUlT_T0_E_clISt17integral_constantIbLb1EES11_EEDaSW_SX_EUlSW_E_NS1_11comp_targetILNS1_3genE3ELNS1_11target_archE908ELNS1_3gpuE7ELNS1_3repE0EEENS1_30default_config_static_selectorELNS0_4arch9wavefront6targetE0EEEvT1_,comdat
.Lfunc_end1620:
	.size	_ZN7rocprim17ROCPRIM_400000_NS6detail17trampoline_kernelINS0_14default_configENS1_27scan_by_key_config_selectorIisEEZZNS1_16scan_by_key_implILNS1_25lookback_scan_determinismE0ELb1ES3_N6thrust23THRUST_200600_302600_NS6detail15normal_iteratorINS9_10device_ptrIiEEEENSB_INSC_IsEEEESG_sNS9_4plusIvEENS9_8equal_toIvEEsEE10hipError_tPvRmT2_T3_T4_T5_mT6_T7_P12ihipStream_tbENKUlT_T0_E_clISt17integral_constantIbLb1EES11_EEDaSW_SX_EUlSW_E_NS1_11comp_targetILNS1_3genE3ELNS1_11target_archE908ELNS1_3gpuE7ELNS1_3repE0EEENS1_30default_config_static_selectorELNS0_4arch9wavefront6targetE0EEEvT1_, .Lfunc_end1620-_ZN7rocprim17ROCPRIM_400000_NS6detail17trampoline_kernelINS0_14default_configENS1_27scan_by_key_config_selectorIisEEZZNS1_16scan_by_key_implILNS1_25lookback_scan_determinismE0ELb1ES3_N6thrust23THRUST_200600_302600_NS6detail15normal_iteratorINS9_10device_ptrIiEEEENSB_INSC_IsEEEESG_sNS9_4plusIvEENS9_8equal_toIvEEsEE10hipError_tPvRmT2_T3_T4_T5_mT6_T7_P12ihipStream_tbENKUlT_T0_E_clISt17integral_constantIbLb1EES11_EEDaSW_SX_EUlSW_E_NS1_11comp_targetILNS1_3genE3ELNS1_11target_archE908ELNS1_3gpuE7ELNS1_3repE0EEENS1_30default_config_static_selectorELNS0_4arch9wavefront6targetE0EEEvT1_
                                        ; -- End function
	.set _ZN7rocprim17ROCPRIM_400000_NS6detail17trampoline_kernelINS0_14default_configENS1_27scan_by_key_config_selectorIisEEZZNS1_16scan_by_key_implILNS1_25lookback_scan_determinismE0ELb1ES3_N6thrust23THRUST_200600_302600_NS6detail15normal_iteratorINS9_10device_ptrIiEEEENSB_INSC_IsEEEESG_sNS9_4plusIvEENS9_8equal_toIvEEsEE10hipError_tPvRmT2_T3_T4_T5_mT6_T7_P12ihipStream_tbENKUlT_T0_E_clISt17integral_constantIbLb1EES11_EEDaSW_SX_EUlSW_E_NS1_11comp_targetILNS1_3genE3ELNS1_11target_archE908ELNS1_3gpuE7ELNS1_3repE0EEENS1_30default_config_static_selectorELNS0_4arch9wavefront6targetE0EEEvT1_.num_vgpr, 0
	.set _ZN7rocprim17ROCPRIM_400000_NS6detail17trampoline_kernelINS0_14default_configENS1_27scan_by_key_config_selectorIisEEZZNS1_16scan_by_key_implILNS1_25lookback_scan_determinismE0ELb1ES3_N6thrust23THRUST_200600_302600_NS6detail15normal_iteratorINS9_10device_ptrIiEEEENSB_INSC_IsEEEESG_sNS9_4plusIvEENS9_8equal_toIvEEsEE10hipError_tPvRmT2_T3_T4_T5_mT6_T7_P12ihipStream_tbENKUlT_T0_E_clISt17integral_constantIbLb1EES11_EEDaSW_SX_EUlSW_E_NS1_11comp_targetILNS1_3genE3ELNS1_11target_archE908ELNS1_3gpuE7ELNS1_3repE0EEENS1_30default_config_static_selectorELNS0_4arch9wavefront6targetE0EEEvT1_.num_agpr, 0
	.set _ZN7rocprim17ROCPRIM_400000_NS6detail17trampoline_kernelINS0_14default_configENS1_27scan_by_key_config_selectorIisEEZZNS1_16scan_by_key_implILNS1_25lookback_scan_determinismE0ELb1ES3_N6thrust23THRUST_200600_302600_NS6detail15normal_iteratorINS9_10device_ptrIiEEEENSB_INSC_IsEEEESG_sNS9_4plusIvEENS9_8equal_toIvEEsEE10hipError_tPvRmT2_T3_T4_T5_mT6_T7_P12ihipStream_tbENKUlT_T0_E_clISt17integral_constantIbLb1EES11_EEDaSW_SX_EUlSW_E_NS1_11comp_targetILNS1_3genE3ELNS1_11target_archE908ELNS1_3gpuE7ELNS1_3repE0EEENS1_30default_config_static_selectorELNS0_4arch9wavefront6targetE0EEEvT1_.numbered_sgpr, 0
	.set _ZN7rocprim17ROCPRIM_400000_NS6detail17trampoline_kernelINS0_14default_configENS1_27scan_by_key_config_selectorIisEEZZNS1_16scan_by_key_implILNS1_25lookback_scan_determinismE0ELb1ES3_N6thrust23THRUST_200600_302600_NS6detail15normal_iteratorINS9_10device_ptrIiEEEENSB_INSC_IsEEEESG_sNS9_4plusIvEENS9_8equal_toIvEEsEE10hipError_tPvRmT2_T3_T4_T5_mT6_T7_P12ihipStream_tbENKUlT_T0_E_clISt17integral_constantIbLb1EES11_EEDaSW_SX_EUlSW_E_NS1_11comp_targetILNS1_3genE3ELNS1_11target_archE908ELNS1_3gpuE7ELNS1_3repE0EEENS1_30default_config_static_selectorELNS0_4arch9wavefront6targetE0EEEvT1_.num_named_barrier, 0
	.set _ZN7rocprim17ROCPRIM_400000_NS6detail17trampoline_kernelINS0_14default_configENS1_27scan_by_key_config_selectorIisEEZZNS1_16scan_by_key_implILNS1_25lookback_scan_determinismE0ELb1ES3_N6thrust23THRUST_200600_302600_NS6detail15normal_iteratorINS9_10device_ptrIiEEEENSB_INSC_IsEEEESG_sNS9_4plusIvEENS9_8equal_toIvEEsEE10hipError_tPvRmT2_T3_T4_T5_mT6_T7_P12ihipStream_tbENKUlT_T0_E_clISt17integral_constantIbLb1EES11_EEDaSW_SX_EUlSW_E_NS1_11comp_targetILNS1_3genE3ELNS1_11target_archE908ELNS1_3gpuE7ELNS1_3repE0EEENS1_30default_config_static_selectorELNS0_4arch9wavefront6targetE0EEEvT1_.private_seg_size, 0
	.set _ZN7rocprim17ROCPRIM_400000_NS6detail17trampoline_kernelINS0_14default_configENS1_27scan_by_key_config_selectorIisEEZZNS1_16scan_by_key_implILNS1_25lookback_scan_determinismE0ELb1ES3_N6thrust23THRUST_200600_302600_NS6detail15normal_iteratorINS9_10device_ptrIiEEEENSB_INSC_IsEEEESG_sNS9_4plusIvEENS9_8equal_toIvEEsEE10hipError_tPvRmT2_T3_T4_T5_mT6_T7_P12ihipStream_tbENKUlT_T0_E_clISt17integral_constantIbLb1EES11_EEDaSW_SX_EUlSW_E_NS1_11comp_targetILNS1_3genE3ELNS1_11target_archE908ELNS1_3gpuE7ELNS1_3repE0EEENS1_30default_config_static_selectorELNS0_4arch9wavefront6targetE0EEEvT1_.uses_vcc, 0
	.set _ZN7rocprim17ROCPRIM_400000_NS6detail17trampoline_kernelINS0_14default_configENS1_27scan_by_key_config_selectorIisEEZZNS1_16scan_by_key_implILNS1_25lookback_scan_determinismE0ELb1ES3_N6thrust23THRUST_200600_302600_NS6detail15normal_iteratorINS9_10device_ptrIiEEEENSB_INSC_IsEEEESG_sNS9_4plusIvEENS9_8equal_toIvEEsEE10hipError_tPvRmT2_T3_T4_T5_mT6_T7_P12ihipStream_tbENKUlT_T0_E_clISt17integral_constantIbLb1EES11_EEDaSW_SX_EUlSW_E_NS1_11comp_targetILNS1_3genE3ELNS1_11target_archE908ELNS1_3gpuE7ELNS1_3repE0EEENS1_30default_config_static_selectorELNS0_4arch9wavefront6targetE0EEEvT1_.uses_flat_scratch, 0
	.set _ZN7rocprim17ROCPRIM_400000_NS6detail17trampoline_kernelINS0_14default_configENS1_27scan_by_key_config_selectorIisEEZZNS1_16scan_by_key_implILNS1_25lookback_scan_determinismE0ELb1ES3_N6thrust23THRUST_200600_302600_NS6detail15normal_iteratorINS9_10device_ptrIiEEEENSB_INSC_IsEEEESG_sNS9_4plusIvEENS9_8equal_toIvEEsEE10hipError_tPvRmT2_T3_T4_T5_mT6_T7_P12ihipStream_tbENKUlT_T0_E_clISt17integral_constantIbLb1EES11_EEDaSW_SX_EUlSW_E_NS1_11comp_targetILNS1_3genE3ELNS1_11target_archE908ELNS1_3gpuE7ELNS1_3repE0EEENS1_30default_config_static_selectorELNS0_4arch9wavefront6targetE0EEEvT1_.has_dyn_sized_stack, 0
	.set _ZN7rocprim17ROCPRIM_400000_NS6detail17trampoline_kernelINS0_14default_configENS1_27scan_by_key_config_selectorIisEEZZNS1_16scan_by_key_implILNS1_25lookback_scan_determinismE0ELb1ES3_N6thrust23THRUST_200600_302600_NS6detail15normal_iteratorINS9_10device_ptrIiEEEENSB_INSC_IsEEEESG_sNS9_4plusIvEENS9_8equal_toIvEEsEE10hipError_tPvRmT2_T3_T4_T5_mT6_T7_P12ihipStream_tbENKUlT_T0_E_clISt17integral_constantIbLb1EES11_EEDaSW_SX_EUlSW_E_NS1_11comp_targetILNS1_3genE3ELNS1_11target_archE908ELNS1_3gpuE7ELNS1_3repE0EEENS1_30default_config_static_selectorELNS0_4arch9wavefront6targetE0EEEvT1_.has_recursion, 0
	.set _ZN7rocprim17ROCPRIM_400000_NS6detail17trampoline_kernelINS0_14default_configENS1_27scan_by_key_config_selectorIisEEZZNS1_16scan_by_key_implILNS1_25lookback_scan_determinismE0ELb1ES3_N6thrust23THRUST_200600_302600_NS6detail15normal_iteratorINS9_10device_ptrIiEEEENSB_INSC_IsEEEESG_sNS9_4plusIvEENS9_8equal_toIvEEsEE10hipError_tPvRmT2_T3_T4_T5_mT6_T7_P12ihipStream_tbENKUlT_T0_E_clISt17integral_constantIbLb1EES11_EEDaSW_SX_EUlSW_E_NS1_11comp_targetILNS1_3genE3ELNS1_11target_archE908ELNS1_3gpuE7ELNS1_3repE0EEENS1_30default_config_static_selectorELNS0_4arch9wavefront6targetE0EEEvT1_.has_indirect_call, 0
	.section	.AMDGPU.csdata,"",@progbits
; Kernel info:
; codeLenInByte = 0
; TotalNumSgprs: 0
; NumVgprs: 0
; ScratchSize: 0
; MemoryBound: 0
; FloatMode: 240
; IeeeMode: 1
; LDSByteSize: 0 bytes/workgroup (compile time only)
; SGPRBlocks: 0
; VGPRBlocks: 0
; NumSGPRsForWavesPerEU: 1
; NumVGPRsForWavesPerEU: 1
; Occupancy: 16
; WaveLimiterHint : 0
; COMPUTE_PGM_RSRC2:SCRATCH_EN: 0
; COMPUTE_PGM_RSRC2:USER_SGPR: 6
; COMPUTE_PGM_RSRC2:TRAP_HANDLER: 0
; COMPUTE_PGM_RSRC2:TGID_X_EN: 1
; COMPUTE_PGM_RSRC2:TGID_Y_EN: 0
; COMPUTE_PGM_RSRC2:TGID_Z_EN: 0
; COMPUTE_PGM_RSRC2:TIDIG_COMP_CNT: 0
	.section	.text._ZN7rocprim17ROCPRIM_400000_NS6detail17trampoline_kernelINS0_14default_configENS1_27scan_by_key_config_selectorIisEEZZNS1_16scan_by_key_implILNS1_25lookback_scan_determinismE0ELb1ES3_N6thrust23THRUST_200600_302600_NS6detail15normal_iteratorINS9_10device_ptrIiEEEENSB_INSC_IsEEEESG_sNS9_4plusIvEENS9_8equal_toIvEEsEE10hipError_tPvRmT2_T3_T4_T5_mT6_T7_P12ihipStream_tbENKUlT_T0_E_clISt17integral_constantIbLb1EES11_EEDaSW_SX_EUlSW_E_NS1_11comp_targetILNS1_3genE2ELNS1_11target_archE906ELNS1_3gpuE6ELNS1_3repE0EEENS1_30default_config_static_selectorELNS0_4arch9wavefront6targetE0EEEvT1_,"axG",@progbits,_ZN7rocprim17ROCPRIM_400000_NS6detail17trampoline_kernelINS0_14default_configENS1_27scan_by_key_config_selectorIisEEZZNS1_16scan_by_key_implILNS1_25lookback_scan_determinismE0ELb1ES3_N6thrust23THRUST_200600_302600_NS6detail15normal_iteratorINS9_10device_ptrIiEEEENSB_INSC_IsEEEESG_sNS9_4plusIvEENS9_8equal_toIvEEsEE10hipError_tPvRmT2_T3_T4_T5_mT6_T7_P12ihipStream_tbENKUlT_T0_E_clISt17integral_constantIbLb1EES11_EEDaSW_SX_EUlSW_E_NS1_11comp_targetILNS1_3genE2ELNS1_11target_archE906ELNS1_3gpuE6ELNS1_3repE0EEENS1_30default_config_static_selectorELNS0_4arch9wavefront6targetE0EEEvT1_,comdat
	.protected	_ZN7rocprim17ROCPRIM_400000_NS6detail17trampoline_kernelINS0_14default_configENS1_27scan_by_key_config_selectorIisEEZZNS1_16scan_by_key_implILNS1_25lookback_scan_determinismE0ELb1ES3_N6thrust23THRUST_200600_302600_NS6detail15normal_iteratorINS9_10device_ptrIiEEEENSB_INSC_IsEEEESG_sNS9_4plusIvEENS9_8equal_toIvEEsEE10hipError_tPvRmT2_T3_T4_T5_mT6_T7_P12ihipStream_tbENKUlT_T0_E_clISt17integral_constantIbLb1EES11_EEDaSW_SX_EUlSW_E_NS1_11comp_targetILNS1_3genE2ELNS1_11target_archE906ELNS1_3gpuE6ELNS1_3repE0EEENS1_30default_config_static_selectorELNS0_4arch9wavefront6targetE0EEEvT1_ ; -- Begin function _ZN7rocprim17ROCPRIM_400000_NS6detail17trampoline_kernelINS0_14default_configENS1_27scan_by_key_config_selectorIisEEZZNS1_16scan_by_key_implILNS1_25lookback_scan_determinismE0ELb1ES3_N6thrust23THRUST_200600_302600_NS6detail15normal_iteratorINS9_10device_ptrIiEEEENSB_INSC_IsEEEESG_sNS9_4plusIvEENS9_8equal_toIvEEsEE10hipError_tPvRmT2_T3_T4_T5_mT6_T7_P12ihipStream_tbENKUlT_T0_E_clISt17integral_constantIbLb1EES11_EEDaSW_SX_EUlSW_E_NS1_11comp_targetILNS1_3genE2ELNS1_11target_archE906ELNS1_3gpuE6ELNS1_3repE0EEENS1_30default_config_static_selectorELNS0_4arch9wavefront6targetE0EEEvT1_
	.globl	_ZN7rocprim17ROCPRIM_400000_NS6detail17trampoline_kernelINS0_14default_configENS1_27scan_by_key_config_selectorIisEEZZNS1_16scan_by_key_implILNS1_25lookback_scan_determinismE0ELb1ES3_N6thrust23THRUST_200600_302600_NS6detail15normal_iteratorINS9_10device_ptrIiEEEENSB_INSC_IsEEEESG_sNS9_4plusIvEENS9_8equal_toIvEEsEE10hipError_tPvRmT2_T3_T4_T5_mT6_T7_P12ihipStream_tbENKUlT_T0_E_clISt17integral_constantIbLb1EES11_EEDaSW_SX_EUlSW_E_NS1_11comp_targetILNS1_3genE2ELNS1_11target_archE906ELNS1_3gpuE6ELNS1_3repE0EEENS1_30default_config_static_selectorELNS0_4arch9wavefront6targetE0EEEvT1_
	.p2align	8
	.type	_ZN7rocprim17ROCPRIM_400000_NS6detail17trampoline_kernelINS0_14default_configENS1_27scan_by_key_config_selectorIisEEZZNS1_16scan_by_key_implILNS1_25lookback_scan_determinismE0ELb1ES3_N6thrust23THRUST_200600_302600_NS6detail15normal_iteratorINS9_10device_ptrIiEEEENSB_INSC_IsEEEESG_sNS9_4plusIvEENS9_8equal_toIvEEsEE10hipError_tPvRmT2_T3_T4_T5_mT6_T7_P12ihipStream_tbENKUlT_T0_E_clISt17integral_constantIbLb1EES11_EEDaSW_SX_EUlSW_E_NS1_11comp_targetILNS1_3genE2ELNS1_11target_archE906ELNS1_3gpuE6ELNS1_3repE0EEENS1_30default_config_static_selectorELNS0_4arch9wavefront6targetE0EEEvT1_,@function
_ZN7rocprim17ROCPRIM_400000_NS6detail17trampoline_kernelINS0_14default_configENS1_27scan_by_key_config_selectorIisEEZZNS1_16scan_by_key_implILNS1_25lookback_scan_determinismE0ELb1ES3_N6thrust23THRUST_200600_302600_NS6detail15normal_iteratorINS9_10device_ptrIiEEEENSB_INSC_IsEEEESG_sNS9_4plusIvEENS9_8equal_toIvEEsEE10hipError_tPvRmT2_T3_T4_T5_mT6_T7_P12ihipStream_tbENKUlT_T0_E_clISt17integral_constantIbLb1EES11_EEDaSW_SX_EUlSW_E_NS1_11comp_targetILNS1_3genE2ELNS1_11target_archE906ELNS1_3gpuE6ELNS1_3repE0EEENS1_30default_config_static_selectorELNS0_4arch9wavefront6targetE0EEEvT1_: ; @_ZN7rocprim17ROCPRIM_400000_NS6detail17trampoline_kernelINS0_14default_configENS1_27scan_by_key_config_selectorIisEEZZNS1_16scan_by_key_implILNS1_25lookback_scan_determinismE0ELb1ES3_N6thrust23THRUST_200600_302600_NS6detail15normal_iteratorINS9_10device_ptrIiEEEENSB_INSC_IsEEEESG_sNS9_4plusIvEENS9_8equal_toIvEEsEE10hipError_tPvRmT2_T3_T4_T5_mT6_T7_P12ihipStream_tbENKUlT_T0_E_clISt17integral_constantIbLb1EES11_EEDaSW_SX_EUlSW_E_NS1_11comp_targetILNS1_3genE2ELNS1_11target_archE906ELNS1_3gpuE6ELNS1_3repE0EEENS1_30default_config_static_selectorELNS0_4arch9wavefront6targetE0EEEvT1_
; %bb.0:
	.section	.rodata,"a",@progbits
	.p2align	6, 0x0
	.amdhsa_kernel _ZN7rocprim17ROCPRIM_400000_NS6detail17trampoline_kernelINS0_14default_configENS1_27scan_by_key_config_selectorIisEEZZNS1_16scan_by_key_implILNS1_25lookback_scan_determinismE0ELb1ES3_N6thrust23THRUST_200600_302600_NS6detail15normal_iteratorINS9_10device_ptrIiEEEENSB_INSC_IsEEEESG_sNS9_4plusIvEENS9_8equal_toIvEEsEE10hipError_tPvRmT2_T3_T4_T5_mT6_T7_P12ihipStream_tbENKUlT_T0_E_clISt17integral_constantIbLb1EES11_EEDaSW_SX_EUlSW_E_NS1_11comp_targetILNS1_3genE2ELNS1_11target_archE906ELNS1_3gpuE6ELNS1_3repE0EEENS1_30default_config_static_selectorELNS0_4arch9wavefront6targetE0EEEvT1_
		.amdhsa_group_segment_fixed_size 0
		.amdhsa_private_segment_fixed_size 0
		.amdhsa_kernarg_size 112
		.amdhsa_user_sgpr_count 6
		.amdhsa_user_sgpr_private_segment_buffer 1
		.amdhsa_user_sgpr_dispatch_ptr 0
		.amdhsa_user_sgpr_queue_ptr 0
		.amdhsa_user_sgpr_kernarg_segment_ptr 1
		.amdhsa_user_sgpr_dispatch_id 0
		.amdhsa_user_sgpr_flat_scratch_init 0
		.amdhsa_user_sgpr_private_segment_size 0
		.amdhsa_wavefront_size32 1
		.amdhsa_uses_dynamic_stack 0
		.amdhsa_system_sgpr_private_segment_wavefront_offset 0
		.amdhsa_system_sgpr_workgroup_id_x 1
		.amdhsa_system_sgpr_workgroup_id_y 0
		.amdhsa_system_sgpr_workgroup_id_z 0
		.amdhsa_system_sgpr_workgroup_info 0
		.amdhsa_system_vgpr_workitem_id 0
		.amdhsa_next_free_vgpr 1
		.amdhsa_next_free_sgpr 1
		.amdhsa_reserve_vcc 0
		.amdhsa_reserve_flat_scratch 0
		.amdhsa_float_round_mode_32 0
		.amdhsa_float_round_mode_16_64 0
		.amdhsa_float_denorm_mode_32 3
		.amdhsa_float_denorm_mode_16_64 3
		.amdhsa_dx10_clamp 1
		.amdhsa_ieee_mode 1
		.amdhsa_fp16_overflow 0
		.amdhsa_workgroup_processor_mode 1
		.amdhsa_memory_ordered 1
		.amdhsa_forward_progress 1
		.amdhsa_shared_vgpr_count 0
		.amdhsa_exception_fp_ieee_invalid_op 0
		.amdhsa_exception_fp_denorm_src 0
		.amdhsa_exception_fp_ieee_div_zero 0
		.amdhsa_exception_fp_ieee_overflow 0
		.amdhsa_exception_fp_ieee_underflow 0
		.amdhsa_exception_fp_ieee_inexact 0
		.amdhsa_exception_int_div_zero 0
	.end_amdhsa_kernel
	.section	.text._ZN7rocprim17ROCPRIM_400000_NS6detail17trampoline_kernelINS0_14default_configENS1_27scan_by_key_config_selectorIisEEZZNS1_16scan_by_key_implILNS1_25lookback_scan_determinismE0ELb1ES3_N6thrust23THRUST_200600_302600_NS6detail15normal_iteratorINS9_10device_ptrIiEEEENSB_INSC_IsEEEESG_sNS9_4plusIvEENS9_8equal_toIvEEsEE10hipError_tPvRmT2_T3_T4_T5_mT6_T7_P12ihipStream_tbENKUlT_T0_E_clISt17integral_constantIbLb1EES11_EEDaSW_SX_EUlSW_E_NS1_11comp_targetILNS1_3genE2ELNS1_11target_archE906ELNS1_3gpuE6ELNS1_3repE0EEENS1_30default_config_static_selectorELNS0_4arch9wavefront6targetE0EEEvT1_,"axG",@progbits,_ZN7rocprim17ROCPRIM_400000_NS6detail17trampoline_kernelINS0_14default_configENS1_27scan_by_key_config_selectorIisEEZZNS1_16scan_by_key_implILNS1_25lookback_scan_determinismE0ELb1ES3_N6thrust23THRUST_200600_302600_NS6detail15normal_iteratorINS9_10device_ptrIiEEEENSB_INSC_IsEEEESG_sNS9_4plusIvEENS9_8equal_toIvEEsEE10hipError_tPvRmT2_T3_T4_T5_mT6_T7_P12ihipStream_tbENKUlT_T0_E_clISt17integral_constantIbLb1EES11_EEDaSW_SX_EUlSW_E_NS1_11comp_targetILNS1_3genE2ELNS1_11target_archE906ELNS1_3gpuE6ELNS1_3repE0EEENS1_30default_config_static_selectorELNS0_4arch9wavefront6targetE0EEEvT1_,comdat
.Lfunc_end1621:
	.size	_ZN7rocprim17ROCPRIM_400000_NS6detail17trampoline_kernelINS0_14default_configENS1_27scan_by_key_config_selectorIisEEZZNS1_16scan_by_key_implILNS1_25lookback_scan_determinismE0ELb1ES3_N6thrust23THRUST_200600_302600_NS6detail15normal_iteratorINS9_10device_ptrIiEEEENSB_INSC_IsEEEESG_sNS9_4plusIvEENS9_8equal_toIvEEsEE10hipError_tPvRmT2_T3_T4_T5_mT6_T7_P12ihipStream_tbENKUlT_T0_E_clISt17integral_constantIbLb1EES11_EEDaSW_SX_EUlSW_E_NS1_11comp_targetILNS1_3genE2ELNS1_11target_archE906ELNS1_3gpuE6ELNS1_3repE0EEENS1_30default_config_static_selectorELNS0_4arch9wavefront6targetE0EEEvT1_, .Lfunc_end1621-_ZN7rocprim17ROCPRIM_400000_NS6detail17trampoline_kernelINS0_14default_configENS1_27scan_by_key_config_selectorIisEEZZNS1_16scan_by_key_implILNS1_25lookback_scan_determinismE0ELb1ES3_N6thrust23THRUST_200600_302600_NS6detail15normal_iteratorINS9_10device_ptrIiEEEENSB_INSC_IsEEEESG_sNS9_4plusIvEENS9_8equal_toIvEEsEE10hipError_tPvRmT2_T3_T4_T5_mT6_T7_P12ihipStream_tbENKUlT_T0_E_clISt17integral_constantIbLb1EES11_EEDaSW_SX_EUlSW_E_NS1_11comp_targetILNS1_3genE2ELNS1_11target_archE906ELNS1_3gpuE6ELNS1_3repE0EEENS1_30default_config_static_selectorELNS0_4arch9wavefront6targetE0EEEvT1_
                                        ; -- End function
	.set _ZN7rocprim17ROCPRIM_400000_NS6detail17trampoline_kernelINS0_14default_configENS1_27scan_by_key_config_selectorIisEEZZNS1_16scan_by_key_implILNS1_25lookback_scan_determinismE0ELb1ES3_N6thrust23THRUST_200600_302600_NS6detail15normal_iteratorINS9_10device_ptrIiEEEENSB_INSC_IsEEEESG_sNS9_4plusIvEENS9_8equal_toIvEEsEE10hipError_tPvRmT2_T3_T4_T5_mT6_T7_P12ihipStream_tbENKUlT_T0_E_clISt17integral_constantIbLb1EES11_EEDaSW_SX_EUlSW_E_NS1_11comp_targetILNS1_3genE2ELNS1_11target_archE906ELNS1_3gpuE6ELNS1_3repE0EEENS1_30default_config_static_selectorELNS0_4arch9wavefront6targetE0EEEvT1_.num_vgpr, 0
	.set _ZN7rocprim17ROCPRIM_400000_NS6detail17trampoline_kernelINS0_14default_configENS1_27scan_by_key_config_selectorIisEEZZNS1_16scan_by_key_implILNS1_25lookback_scan_determinismE0ELb1ES3_N6thrust23THRUST_200600_302600_NS6detail15normal_iteratorINS9_10device_ptrIiEEEENSB_INSC_IsEEEESG_sNS9_4plusIvEENS9_8equal_toIvEEsEE10hipError_tPvRmT2_T3_T4_T5_mT6_T7_P12ihipStream_tbENKUlT_T0_E_clISt17integral_constantIbLb1EES11_EEDaSW_SX_EUlSW_E_NS1_11comp_targetILNS1_3genE2ELNS1_11target_archE906ELNS1_3gpuE6ELNS1_3repE0EEENS1_30default_config_static_selectorELNS0_4arch9wavefront6targetE0EEEvT1_.num_agpr, 0
	.set _ZN7rocprim17ROCPRIM_400000_NS6detail17trampoline_kernelINS0_14default_configENS1_27scan_by_key_config_selectorIisEEZZNS1_16scan_by_key_implILNS1_25lookback_scan_determinismE0ELb1ES3_N6thrust23THRUST_200600_302600_NS6detail15normal_iteratorINS9_10device_ptrIiEEEENSB_INSC_IsEEEESG_sNS9_4plusIvEENS9_8equal_toIvEEsEE10hipError_tPvRmT2_T3_T4_T5_mT6_T7_P12ihipStream_tbENKUlT_T0_E_clISt17integral_constantIbLb1EES11_EEDaSW_SX_EUlSW_E_NS1_11comp_targetILNS1_3genE2ELNS1_11target_archE906ELNS1_3gpuE6ELNS1_3repE0EEENS1_30default_config_static_selectorELNS0_4arch9wavefront6targetE0EEEvT1_.numbered_sgpr, 0
	.set _ZN7rocprim17ROCPRIM_400000_NS6detail17trampoline_kernelINS0_14default_configENS1_27scan_by_key_config_selectorIisEEZZNS1_16scan_by_key_implILNS1_25lookback_scan_determinismE0ELb1ES3_N6thrust23THRUST_200600_302600_NS6detail15normal_iteratorINS9_10device_ptrIiEEEENSB_INSC_IsEEEESG_sNS9_4plusIvEENS9_8equal_toIvEEsEE10hipError_tPvRmT2_T3_T4_T5_mT6_T7_P12ihipStream_tbENKUlT_T0_E_clISt17integral_constantIbLb1EES11_EEDaSW_SX_EUlSW_E_NS1_11comp_targetILNS1_3genE2ELNS1_11target_archE906ELNS1_3gpuE6ELNS1_3repE0EEENS1_30default_config_static_selectorELNS0_4arch9wavefront6targetE0EEEvT1_.num_named_barrier, 0
	.set _ZN7rocprim17ROCPRIM_400000_NS6detail17trampoline_kernelINS0_14default_configENS1_27scan_by_key_config_selectorIisEEZZNS1_16scan_by_key_implILNS1_25lookback_scan_determinismE0ELb1ES3_N6thrust23THRUST_200600_302600_NS6detail15normal_iteratorINS9_10device_ptrIiEEEENSB_INSC_IsEEEESG_sNS9_4plusIvEENS9_8equal_toIvEEsEE10hipError_tPvRmT2_T3_T4_T5_mT6_T7_P12ihipStream_tbENKUlT_T0_E_clISt17integral_constantIbLb1EES11_EEDaSW_SX_EUlSW_E_NS1_11comp_targetILNS1_3genE2ELNS1_11target_archE906ELNS1_3gpuE6ELNS1_3repE0EEENS1_30default_config_static_selectorELNS0_4arch9wavefront6targetE0EEEvT1_.private_seg_size, 0
	.set _ZN7rocprim17ROCPRIM_400000_NS6detail17trampoline_kernelINS0_14default_configENS1_27scan_by_key_config_selectorIisEEZZNS1_16scan_by_key_implILNS1_25lookback_scan_determinismE0ELb1ES3_N6thrust23THRUST_200600_302600_NS6detail15normal_iteratorINS9_10device_ptrIiEEEENSB_INSC_IsEEEESG_sNS9_4plusIvEENS9_8equal_toIvEEsEE10hipError_tPvRmT2_T3_T4_T5_mT6_T7_P12ihipStream_tbENKUlT_T0_E_clISt17integral_constantIbLb1EES11_EEDaSW_SX_EUlSW_E_NS1_11comp_targetILNS1_3genE2ELNS1_11target_archE906ELNS1_3gpuE6ELNS1_3repE0EEENS1_30default_config_static_selectorELNS0_4arch9wavefront6targetE0EEEvT1_.uses_vcc, 0
	.set _ZN7rocprim17ROCPRIM_400000_NS6detail17trampoline_kernelINS0_14default_configENS1_27scan_by_key_config_selectorIisEEZZNS1_16scan_by_key_implILNS1_25lookback_scan_determinismE0ELb1ES3_N6thrust23THRUST_200600_302600_NS6detail15normal_iteratorINS9_10device_ptrIiEEEENSB_INSC_IsEEEESG_sNS9_4plusIvEENS9_8equal_toIvEEsEE10hipError_tPvRmT2_T3_T4_T5_mT6_T7_P12ihipStream_tbENKUlT_T0_E_clISt17integral_constantIbLb1EES11_EEDaSW_SX_EUlSW_E_NS1_11comp_targetILNS1_3genE2ELNS1_11target_archE906ELNS1_3gpuE6ELNS1_3repE0EEENS1_30default_config_static_selectorELNS0_4arch9wavefront6targetE0EEEvT1_.uses_flat_scratch, 0
	.set _ZN7rocprim17ROCPRIM_400000_NS6detail17trampoline_kernelINS0_14default_configENS1_27scan_by_key_config_selectorIisEEZZNS1_16scan_by_key_implILNS1_25lookback_scan_determinismE0ELb1ES3_N6thrust23THRUST_200600_302600_NS6detail15normal_iteratorINS9_10device_ptrIiEEEENSB_INSC_IsEEEESG_sNS9_4plusIvEENS9_8equal_toIvEEsEE10hipError_tPvRmT2_T3_T4_T5_mT6_T7_P12ihipStream_tbENKUlT_T0_E_clISt17integral_constantIbLb1EES11_EEDaSW_SX_EUlSW_E_NS1_11comp_targetILNS1_3genE2ELNS1_11target_archE906ELNS1_3gpuE6ELNS1_3repE0EEENS1_30default_config_static_selectorELNS0_4arch9wavefront6targetE0EEEvT1_.has_dyn_sized_stack, 0
	.set _ZN7rocprim17ROCPRIM_400000_NS6detail17trampoline_kernelINS0_14default_configENS1_27scan_by_key_config_selectorIisEEZZNS1_16scan_by_key_implILNS1_25lookback_scan_determinismE0ELb1ES3_N6thrust23THRUST_200600_302600_NS6detail15normal_iteratorINS9_10device_ptrIiEEEENSB_INSC_IsEEEESG_sNS9_4plusIvEENS9_8equal_toIvEEsEE10hipError_tPvRmT2_T3_T4_T5_mT6_T7_P12ihipStream_tbENKUlT_T0_E_clISt17integral_constantIbLb1EES11_EEDaSW_SX_EUlSW_E_NS1_11comp_targetILNS1_3genE2ELNS1_11target_archE906ELNS1_3gpuE6ELNS1_3repE0EEENS1_30default_config_static_selectorELNS0_4arch9wavefront6targetE0EEEvT1_.has_recursion, 0
	.set _ZN7rocprim17ROCPRIM_400000_NS6detail17trampoline_kernelINS0_14default_configENS1_27scan_by_key_config_selectorIisEEZZNS1_16scan_by_key_implILNS1_25lookback_scan_determinismE0ELb1ES3_N6thrust23THRUST_200600_302600_NS6detail15normal_iteratorINS9_10device_ptrIiEEEENSB_INSC_IsEEEESG_sNS9_4plusIvEENS9_8equal_toIvEEsEE10hipError_tPvRmT2_T3_T4_T5_mT6_T7_P12ihipStream_tbENKUlT_T0_E_clISt17integral_constantIbLb1EES11_EEDaSW_SX_EUlSW_E_NS1_11comp_targetILNS1_3genE2ELNS1_11target_archE906ELNS1_3gpuE6ELNS1_3repE0EEENS1_30default_config_static_selectorELNS0_4arch9wavefront6targetE0EEEvT1_.has_indirect_call, 0
	.section	.AMDGPU.csdata,"",@progbits
; Kernel info:
; codeLenInByte = 0
; TotalNumSgprs: 0
; NumVgprs: 0
; ScratchSize: 0
; MemoryBound: 0
; FloatMode: 240
; IeeeMode: 1
; LDSByteSize: 0 bytes/workgroup (compile time only)
; SGPRBlocks: 0
; VGPRBlocks: 0
; NumSGPRsForWavesPerEU: 1
; NumVGPRsForWavesPerEU: 1
; Occupancy: 16
; WaveLimiterHint : 0
; COMPUTE_PGM_RSRC2:SCRATCH_EN: 0
; COMPUTE_PGM_RSRC2:USER_SGPR: 6
; COMPUTE_PGM_RSRC2:TRAP_HANDLER: 0
; COMPUTE_PGM_RSRC2:TGID_X_EN: 1
; COMPUTE_PGM_RSRC2:TGID_Y_EN: 0
; COMPUTE_PGM_RSRC2:TGID_Z_EN: 0
; COMPUTE_PGM_RSRC2:TIDIG_COMP_CNT: 0
	.section	.text._ZN7rocprim17ROCPRIM_400000_NS6detail17trampoline_kernelINS0_14default_configENS1_27scan_by_key_config_selectorIisEEZZNS1_16scan_by_key_implILNS1_25lookback_scan_determinismE0ELb1ES3_N6thrust23THRUST_200600_302600_NS6detail15normal_iteratorINS9_10device_ptrIiEEEENSB_INSC_IsEEEESG_sNS9_4plusIvEENS9_8equal_toIvEEsEE10hipError_tPvRmT2_T3_T4_T5_mT6_T7_P12ihipStream_tbENKUlT_T0_E_clISt17integral_constantIbLb1EES11_EEDaSW_SX_EUlSW_E_NS1_11comp_targetILNS1_3genE10ELNS1_11target_archE1200ELNS1_3gpuE4ELNS1_3repE0EEENS1_30default_config_static_selectorELNS0_4arch9wavefront6targetE0EEEvT1_,"axG",@progbits,_ZN7rocprim17ROCPRIM_400000_NS6detail17trampoline_kernelINS0_14default_configENS1_27scan_by_key_config_selectorIisEEZZNS1_16scan_by_key_implILNS1_25lookback_scan_determinismE0ELb1ES3_N6thrust23THRUST_200600_302600_NS6detail15normal_iteratorINS9_10device_ptrIiEEEENSB_INSC_IsEEEESG_sNS9_4plusIvEENS9_8equal_toIvEEsEE10hipError_tPvRmT2_T3_T4_T5_mT6_T7_P12ihipStream_tbENKUlT_T0_E_clISt17integral_constantIbLb1EES11_EEDaSW_SX_EUlSW_E_NS1_11comp_targetILNS1_3genE10ELNS1_11target_archE1200ELNS1_3gpuE4ELNS1_3repE0EEENS1_30default_config_static_selectorELNS0_4arch9wavefront6targetE0EEEvT1_,comdat
	.protected	_ZN7rocprim17ROCPRIM_400000_NS6detail17trampoline_kernelINS0_14default_configENS1_27scan_by_key_config_selectorIisEEZZNS1_16scan_by_key_implILNS1_25lookback_scan_determinismE0ELb1ES3_N6thrust23THRUST_200600_302600_NS6detail15normal_iteratorINS9_10device_ptrIiEEEENSB_INSC_IsEEEESG_sNS9_4plusIvEENS9_8equal_toIvEEsEE10hipError_tPvRmT2_T3_T4_T5_mT6_T7_P12ihipStream_tbENKUlT_T0_E_clISt17integral_constantIbLb1EES11_EEDaSW_SX_EUlSW_E_NS1_11comp_targetILNS1_3genE10ELNS1_11target_archE1200ELNS1_3gpuE4ELNS1_3repE0EEENS1_30default_config_static_selectorELNS0_4arch9wavefront6targetE0EEEvT1_ ; -- Begin function _ZN7rocprim17ROCPRIM_400000_NS6detail17trampoline_kernelINS0_14default_configENS1_27scan_by_key_config_selectorIisEEZZNS1_16scan_by_key_implILNS1_25lookback_scan_determinismE0ELb1ES3_N6thrust23THRUST_200600_302600_NS6detail15normal_iteratorINS9_10device_ptrIiEEEENSB_INSC_IsEEEESG_sNS9_4plusIvEENS9_8equal_toIvEEsEE10hipError_tPvRmT2_T3_T4_T5_mT6_T7_P12ihipStream_tbENKUlT_T0_E_clISt17integral_constantIbLb1EES11_EEDaSW_SX_EUlSW_E_NS1_11comp_targetILNS1_3genE10ELNS1_11target_archE1200ELNS1_3gpuE4ELNS1_3repE0EEENS1_30default_config_static_selectorELNS0_4arch9wavefront6targetE0EEEvT1_
	.globl	_ZN7rocprim17ROCPRIM_400000_NS6detail17trampoline_kernelINS0_14default_configENS1_27scan_by_key_config_selectorIisEEZZNS1_16scan_by_key_implILNS1_25lookback_scan_determinismE0ELb1ES3_N6thrust23THRUST_200600_302600_NS6detail15normal_iteratorINS9_10device_ptrIiEEEENSB_INSC_IsEEEESG_sNS9_4plusIvEENS9_8equal_toIvEEsEE10hipError_tPvRmT2_T3_T4_T5_mT6_T7_P12ihipStream_tbENKUlT_T0_E_clISt17integral_constantIbLb1EES11_EEDaSW_SX_EUlSW_E_NS1_11comp_targetILNS1_3genE10ELNS1_11target_archE1200ELNS1_3gpuE4ELNS1_3repE0EEENS1_30default_config_static_selectorELNS0_4arch9wavefront6targetE0EEEvT1_
	.p2align	8
	.type	_ZN7rocprim17ROCPRIM_400000_NS6detail17trampoline_kernelINS0_14default_configENS1_27scan_by_key_config_selectorIisEEZZNS1_16scan_by_key_implILNS1_25lookback_scan_determinismE0ELb1ES3_N6thrust23THRUST_200600_302600_NS6detail15normal_iteratorINS9_10device_ptrIiEEEENSB_INSC_IsEEEESG_sNS9_4plusIvEENS9_8equal_toIvEEsEE10hipError_tPvRmT2_T3_T4_T5_mT6_T7_P12ihipStream_tbENKUlT_T0_E_clISt17integral_constantIbLb1EES11_EEDaSW_SX_EUlSW_E_NS1_11comp_targetILNS1_3genE10ELNS1_11target_archE1200ELNS1_3gpuE4ELNS1_3repE0EEENS1_30default_config_static_selectorELNS0_4arch9wavefront6targetE0EEEvT1_,@function
_ZN7rocprim17ROCPRIM_400000_NS6detail17trampoline_kernelINS0_14default_configENS1_27scan_by_key_config_selectorIisEEZZNS1_16scan_by_key_implILNS1_25lookback_scan_determinismE0ELb1ES3_N6thrust23THRUST_200600_302600_NS6detail15normal_iteratorINS9_10device_ptrIiEEEENSB_INSC_IsEEEESG_sNS9_4plusIvEENS9_8equal_toIvEEsEE10hipError_tPvRmT2_T3_T4_T5_mT6_T7_P12ihipStream_tbENKUlT_T0_E_clISt17integral_constantIbLb1EES11_EEDaSW_SX_EUlSW_E_NS1_11comp_targetILNS1_3genE10ELNS1_11target_archE1200ELNS1_3gpuE4ELNS1_3repE0EEENS1_30default_config_static_selectorELNS0_4arch9wavefront6targetE0EEEvT1_: ; @_ZN7rocprim17ROCPRIM_400000_NS6detail17trampoline_kernelINS0_14default_configENS1_27scan_by_key_config_selectorIisEEZZNS1_16scan_by_key_implILNS1_25lookback_scan_determinismE0ELb1ES3_N6thrust23THRUST_200600_302600_NS6detail15normal_iteratorINS9_10device_ptrIiEEEENSB_INSC_IsEEEESG_sNS9_4plusIvEENS9_8equal_toIvEEsEE10hipError_tPvRmT2_T3_T4_T5_mT6_T7_P12ihipStream_tbENKUlT_T0_E_clISt17integral_constantIbLb1EES11_EEDaSW_SX_EUlSW_E_NS1_11comp_targetILNS1_3genE10ELNS1_11target_archE1200ELNS1_3gpuE4ELNS1_3repE0EEENS1_30default_config_static_selectorELNS0_4arch9wavefront6targetE0EEEvT1_
; %bb.0:
	.section	.rodata,"a",@progbits
	.p2align	6, 0x0
	.amdhsa_kernel _ZN7rocprim17ROCPRIM_400000_NS6detail17trampoline_kernelINS0_14default_configENS1_27scan_by_key_config_selectorIisEEZZNS1_16scan_by_key_implILNS1_25lookback_scan_determinismE0ELb1ES3_N6thrust23THRUST_200600_302600_NS6detail15normal_iteratorINS9_10device_ptrIiEEEENSB_INSC_IsEEEESG_sNS9_4plusIvEENS9_8equal_toIvEEsEE10hipError_tPvRmT2_T3_T4_T5_mT6_T7_P12ihipStream_tbENKUlT_T0_E_clISt17integral_constantIbLb1EES11_EEDaSW_SX_EUlSW_E_NS1_11comp_targetILNS1_3genE10ELNS1_11target_archE1200ELNS1_3gpuE4ELNS1_3repE0EEENS1_30default_config_static_selectorELNS0_4arch9wavefront6targetE0EEEvT1_
		.amdhsa_group_segment_fixed_size 0
		.amdhsa_private_segment_fixed_size 0
		.amdhsa_kernarg_size 112
		.amdhsa_user_sgpr_count 6
		.amdhsa_user_sgpr_private_segment_buffer 1
		.amdhsa_user_sgpr_dispatch_ptr 0
		.amdhsa_user_sgpr_queue_ptr 0
		.amdhsa_user_sgpr_kernarg_segment_ptr 1
		.amdhsa_user_sgpr_dispatch_id 0
		.amdhsa_user_sgpr_flat_scratch_init 0
		.amdhsa_user_sgpr_private_segment_size 0
		.amdhsa_wavefront_size32 1
		.amdhsa_uses_dynamic_stack 0
		.amdhsa_system_sgpr_private_segment_wavefront_offset 0
		.amdhsa_system_sgpr_workgroup_id_x 1
		.amdhsa_system_sgpr_workgroup_id_y 0
		.amdhsa_system_sgpr_workgroup_id_z 0
		.amdhsa_system_sgpr_workgroup_info 0
		.amdhsa_system_vgpr_workitem_id 0
		.amdhsa_next_free_vgpr 1
		.amdhsa_next_free_sgpr 1
		.amdhsa_reserve_vcc 0
		.amdhsa_reserve_flat_scratch 0
		.amdhsa_float_round_mode_32 0
		.amdhsa_float_round_mode_16_64 0
		.amdhsa_float_denorm_mode_32 3
		.amdhsa_float_denorm_mode_16_64 3
		.amdhsa_dx10_clamp 1
		.amdhsa_ieee_mode 1
		.amdhsa_fp16_overflow 0
		.amdhsa_workgroup_processor_mode 1
		.amdhsa_memory_ordered 1
		.amdhsa_forward_progress 1
		.amdhsa_shared_vgpr_count 0
		.amdhsa_exception_fp_ieee_invalid_op 0
		.amdhsa_exception_fp_denorm_src 0
		.amdhsa_exception_fp_ieee_div_zero 0
		.amdhsa_exception_fp_ieee_overflow 0
		.amdhsa_exception_fp_ieee_underflow 0
		.amdhsa_exception_fp_ieee_inexact 0
		.amdhsa_exception_int_div_zero 0
	.end_amdhsa_kernel
	.section	.text._ZN7rocprim17ROCPRIM_400000_NS6detail17trampoline_kernelINS0_14default_configENS1_27scan_by_key_config_selectorIisEEZZNS1_16scan_by_key_implILNS1_25lookback_scan_determinismE0ELb1ES3_N6thrust23THRUST_200600_302600_NS6detail15normal_iteratorINS9_10device_ptrIiEEEENSB_INSC_IsEEEESG_sNS9_4plusIvEENS9_8equal_toIvEEsEE10hipError_tPvRmT2_T3_T4_T5_mT6_T7_P12ihipStream_tbENKUlT_T0_E_clISt17integral_constantIbLb1EES11_EEDaSW_SX_EUlSW_E_NS1_11comp_targetILNS1_3genE10ELNS1_11target_archE1200ELNS1_3gpuE4ELNS1_3repE0EEENS1_30default_config_static_selectorELNS0_4arch9wavefront6targetE0EEEvT1_,"axG",@progbits,_ZN7rocprim17ROCPRIM_400000_NS6detail17trampoline_kernelINS0_14default_configENS1_27scan_by_key_config_selectorIisEEZZNS1_16scan_by_key_implILNS1_25lookback_scan_determinismE0ELb1ES3_N6thrust23THRUST_200600_302600_NS6detail15normal_iteratorINS9_10device_ptrIiEEEENSB_INSC_IsEEEESG_sNS9_4plusIvEENS9_8equal_toIvEEsEE10hipError_tPvRmT2_T3_T4_T5_mT6_T7_P12ihipStream_tbENKUlT_T0_E_clISt17integral_constantIbLb1EES11_EEDaSW_SX_EUlSW_E_NS1_11comp_targetILNS1_3genE10ELNS1_11target_archE1200ELNS1_3gpuE4ELNS1_3repE0EEENS1_30default_config_static_selectorELNS0_4arch9wavefront6targetE0EEEvT1_,comdat
.Lfunc_end1622:
	.size	_ZN7rocprim17ROCPRIM_400000_NS6detail17trampoline_kernelINS0_14default_configENS1_27scan_by_key_config_selectorIisEEZZNS1_16scan_by_key_implILNS1_25lookback_scan_determinismE0ELb1ES3_N6thrust23THRUST_200600_302600_NS6detail15normal_iteratorINS9_10device_ptrIiEEEENSB_INSC_IsEEEESG_sNS9_4plusIvEENS9_8equal_toIvEEsEE10hipError_tPvRmT2_T3_T4_T5_mT6_T7_P12ihipStream_tbENKUlT_T0_E_clISt17integral_constantIbLb1EES11_EEDaSW_SX_EUlSW_E_NS1_11comp_targetILNS1_3genE10ELNS1_11target_archE1200ELNS1_3gpuE4ELNS1_3repE0EEENS1_30default_config_static_selectorELNS0_4arch9wavefront6targetE0EEEvT1_, .Lfunc_end1622-_ZN7rocprim17ROCPRIM_400000_NS6detail17trampoline_kernelINS0_14default_configENS1_27scan_by_key_config_selectorIisEEZZNS1_16scan_by_key_implILNS1_25lookback_scan_determinismE0ELb1ES3_N6thrust23THRUST_200600_302600_NS6detail15normal_iteratorINS9_10device_ptrIiEEEENSB_INSC_IsEEEESG_sNS9_4plusIvEENS9_8equal_toIvEEsEE10hipError_tPvRmT2_T3_T4_T5_mT6_T7_P12ihipStream_tbENKUlT_T0_E_clISt17integral_constantIbLb1EES11_EEDaSW_SX_EUlSW_E_NS1_11comp_targetILNS1_3genE10ELNS1_11target_archE1200ELNS1_3gpuE4ELNS1_3repE0EEENS1_30default_config_static_selectorELNS0_4arch9wavefront6targetE0EEEvT1_
                                        ; -- End function
	.set _ZN7rocprim17ROCPRIM_400000_NS6detail17trampoline_kernelINS0_14default_configENS1_27scan_by_key_config_selectorIisEEZZNS1_16scan_by_key_implILNS1_25lookback_scan_determinismE0ELb1ES3_N6thrust23THRUST_200600_302600_NS6detail15normal_iteratorINS9_10device_ptrIiEEEENSB_INSC_IsEEEESG_sNS9_4plusIvEENS9_8equal_toIvEEsEE10hipError_tPvRmT2_T3_T4_T5_mT6_T7_P12ihipStream_tbENKUlT_T0_E_clISt17integral_constantIbLb1EES11_EEDaSW_SX_EUlSW_E_NS1_11comp_targetILNS1_3genE10ELNS1_11target_archE1200ELNS1_3gpuE4ELNS1_3repE0EEENS1_30default_config_static_selectorELNS0_4arch9wavefront6targetE0EEEvT1_.num_vgpr, 0
	.set _ZN7rocprim17ROCPRIM_400000_NS6detail17trampoline_kernelINS0_14default_configENS1_27scan_by_key_config_selectorIisEEZZNS1_16scan_by_key_implILNS1_25lookback_scan_determinismE0ELb1ES3_N6thrust23THRUST_200600_302600_NS6detail15normal_iteratorINS9_10device_ptrIiEEEENSB_INSC_IsEEEESG_sNS9_4plusIvEENS9_8equal_toIvEEsEE10hipError_tPvRmT2_T3_T4_T5_mT6_T7_P12ihipStream_tbENKUlT_T0_E_clISt17integral_constantIbLb1EES11_EEDaSW_SX_EUlSW_E_NS1_11comp_targetILNS1_3genE10ELNS1_11target_archE1200ELNS1_3gpuE4ELNS1_3repE0EEENS1_30default_config_static_selectorELNS0_4arch9wavefront6targetE0EEEvT1_.num_agpr, 0
	.set _ZN7rocprim17ROCPRIM_400000_NS6detail17trampoline_kernelINS0_14default_configENS1_27scan_by_key_config_selectorIisEEZZNS1_16scan_by_key_implILNS1_25lookback_scan_determinismE0ELb1ES3_N6thrust23THRUST_200600_302600_NS6detail15normal_iteratorINS9_10device_ptrIiEEEENSB_INSC_IsEEEESG_sNS9_4plusIvEENS9_8equal_toIvEEsEE10hipError_tPvRmT2_T3_T4_T5_mT6_T7_P12ihipStream_tbENKUlT_T0_E_clISt17integral_constantIbLb1EES11_EEDaSW_SX_EUlSW_E_NS1_11comp_targetILNS1_3genE10ELNS1_11target_archE1200ELNS1_3gpuE4ELNS1_3repE0EEENS1_30default_config_static_selectorELNS0_4arch9wavefront6targetE0EEEvT1_.numbered_sgpr, 0
	.set _ZN7rocprim17ROCPRIM_400000_NS6detail17trampoline_kernelINS0_14default_configENS1_27scan_by_key_config_selectorIisEEZZNS1_16scan_by_key_implILNS1_25lookback_scan_determinismE0ELb1ES3_N6thrust23THRUST_200600_302600_NS6detail15normal_iteratorINS9_10device_ptrIiEEEENSB_INSC_IsEEEESG_sNS9_4plusIvEENS9_8equal_toIvEEsEE10hipError_tPvRmT2_T3_T4_T5_mT6_T7_P12ihipStream_tbENKUlT_T0_E_clISt17integral_constantIbLb1EES11_EEDaSW_SX_EUlSW_E_NS1_11comp_targetILNS1_3genE10ELNS1_11target_archE1200ELNS1_3gpuE4ELNS1_3repE0EEENS1_30default_config_static_selectorELNS0_4arch9wavefront6targetE0EEEvT1_.num_named_barrier, 0
	.set _ZN7rocprim17ROCPRIM_400000_NS6detail17trampoline_kernelINS0_14default_configENS1_27scan_by_key_config_selectorIisEEZZNS1_16scan_by_key_implILNS1_25lookback_scan_determinismE0ELb1ES3_N6thrust23THRUST_200600_302600_NS6detail15normal_iteratorINS9_10device_ptrIiEEEENSB_INSC_IsEEEESG_sNS9_4plusIvEENS9_8equal_toIvEEsEE10hipError_tPvRmT2_T3_T4_T5_mT6_T7_P12ihipStream_tbENKUlT_T0_E_clISt17integral_constantIbLb1EES11_EEDaSW_SX_EUlSW_E_NS1_11comp_targetILNS1_3genE10ELNS1_11target_archE1200ELNS1_3gpuE4ELNS1_3repE0EEENS1_30default_config_static_selectorELNS0_4arch9wavefront6targetE0EEEvT1_.private_seg_size, 0
	.set _ZN7rocprim17ROCPRIM_400000_NS6detail17trampoline_kernelINS0_14default_configENS1_27scan_by_key_config_selectorIisEEZZNS1_16scan_by_key_implILNS1_25lookback_scan_determinismE0ELb1ES3_N6thrust23THRUST_200600_302600_NS6detail15normal_iteratorINS9_10device_ptrIiEEEENSB_INSC_IsEEEESG_sNS9_4plusIvEENS9_8equal_toIvEEsEE10hipError_tPvRmT2_T3_T4_T5_mT6_T7_P12ihipStream_tbENKUlT_T0_E_clISt17integral_constantIbLb1EES11_EEDaSW_SX_EUlSW_E_NS1_11comp_targetILNS1_3genE10ELNS1_11target_archE1200ELNS1_3gpuE4ELNS1_3repE0EEENS1_30default_config_static_selectorELNS0_4arch9wavefront6targetE0EEEvT1_.uses_vcc, 0
	.set _ZN7rocprim17ROCPRIM_400000_NS6detail17trampoline_kernelINS0_14default_configENS1_27scan_by_key_config_selectorIisEEZZNS1_16scan_by_key_implILNS1_25lookback_scan_determinismE0ELb1ES3_N6thrust23THRUST_200600_302600_NS6detail15normal_iteratorINS9_10device_ptrIiEEEENSB_INSC_IsEEEESG_sNS9_4plusIvEENS9_8equal_toIvEEsEE10hipError_tPvRmT2_T3_T4_T5_mT6_T7_P12ihipStream_tbENKUlT_T0_E_clISt17integral_constantIbLb1EES11_EEDaSW_SX_EUlSW_E_NS1_11comp_targetILNS1_3genE10ELNS1_11target_archE1200ELNS1_3gpuE4ELNS1_3repE0EEENS1_30default_config_static_selectorELNS0_4arch9wavefront6targetE0EEEvT1_.uses_flat_scratch, 0
	.set _ZN7rocprim17ROCPRIM_400000_NS6detail17trampoline_kernelINS0_14default_configENS1_27scan_by_key_config_selectorIisEEZZNS1_16scan_by_key_implILNS1_25lookback_scan_determinismE0ELb1ES3_N6thrust23THRUST_200600_302600_NS6detail15normal_iteratorINS9_10device_ptrIiEEEENSB_INSC_IsEEEESG_sNS9_4plusIvEENS9_8equal_toIvEEsEE10hipError_tPvRmT2_T3_T4_T5_mT6_T7_P12ihipStream_tbENKUlT_T0_E_clISt17integral_constantIbLb1EES11_EEDaSW_SX_EUlSW_E_NS1_11comp_targetILNS1_3genE10ELNS1_11target_archE1200ELNS1_3gpuE4ELNS1_3repE0EEENS1_30default_config_static_selectorELNS0_4arch9wavefront6targetE0EEEvT1_.has_dyn_sized_stack, 0
	.set _ZN7rocprim17ROCPRIM_400000_NS6detail17trampoline_kernelINS0_14default_configENS1_27scan_by_key_config_selectorIisEEZZNS1_16scan_by_key_implILNS1_25lookback_scan_determinismE0ELb1ES3_N6thrust23THRUST_200600_302600_NS6detail15normal_iteratorINS9_10device_ptrIiEEEENSB_INSC_IsEEEESG_sNS9_4plusIvEENS9_8equal_toIvEEsEE10hipError_tPvRmT2_T3_T4_T5_mT6_T7_P12ihipStream_tbENKUlT_T0_E_clISt17integral_constantIbLb1EES11_EEDaSW_SX_EUlSW_E_NS1_11comp_targetILNS1_3genE10ELNS1_11target_archE1200ELNS1_3gpuE4ELNS1_3repE0EEENS1_30default_config_static_selectorELNS0_4arch9wavefront6targetE0EEEvT1_.has_recursion, 0
	.set _ZN7rocprim17ROCPRIM_400000_NS6detail17trampoline_kernelINS0_14default_configENS1_27scan_by_key_config_selectorIisEEZZNS1_16scan_by_key_implILNS1_25lookback_scan_determinismE0ELb1ES3_N6thrust23THRUST_200600_302600_NS6detail15normal_iteratorINS9_10device_ptrIiEEEENSB_INSC_IsEEEESG_sNS9_4plusIvEENS9_8equal_toIvEEsEE10hipError_tPvRmT2_T3_T4_T5_mT6_T7_P12ihipStream_tbENKUlT_T0_E_clISt17integral_constantIbLb1EES11_EEDaSW_SX_EUlSW_E_NS1_11comp_targetILNS1_3genE10ELNS1_11target_archE1200ELNS1_3gpuE4ELNS1_3repE0EEENS1_30default_config_static_selectorELNS0_4arch9wavefront6targetE0EEEvT1_.has_indirect_call, 0
	.section	.AMDGPU.csdata,"",@progbits
; Kernel info:
; codeLenInByte = 0
; TotalNumSgprs: 0
; NumVgprs: 0
; ScratchSize: 0
; MemoryBound: 0
; FloatMode: 240
; IeeeMode: 1
; LDSByteSize: 0 bytes/workgroup (compile time only)
; SGPRBlocks: 0
; VGPRBlocks: 0
; NumSGPRsForWavesPerEU: 1
; NumVGPRsForWavesPerEU: 1
; Occupancy: 16
; WaveLimiterHint : 0
; COMPUTE_PGM_RSRC2:SCRATCH_EN: 0
; COMPUTE_PGM_RSRC2:USER_SGPR: 6
; COMPUTE_PGM_RSRC2:TRAP_HANDLER: 0
; COMPUTE_PGM_RSRC2:TGID_X_EN: 1
; COMPUTE_PGM_RSRC2:TGID_Y_EN: 0
; COMPUTE_PGM_RSRC2:TGID_Z_EN: 0
; COMPUTE_PGM_RSRC2:TIDIG_COMP_CNT: 0
	.section	.text._ZN7rocprim17ROCPRIM_400000_NS6detail17trampoline_kernelINS0_14default_configENS1_27scan_by_key_config_selectorIisEEZZNS1_16scan_by_key_implILNS1_25lookback_scan_determinismE0ELb1ES3_N6thrust23THRUST_200600_302600_NS6detail15normal_iteratorINS9_10device_ptrIiEEEENSB_INSC_IsEEEESG_sNS9_4plusIvEENS9_8equal_toIvEEsEE10hipError_tPvRmT2_T3_T4_T5_mT6_T7_P12ihipStream_tbENKUlT_T0_E_clISt17integral_constantIbLb1EES11_EEDaSW_SX_EUlSW_E_NS1_11comp_targetILNS1_3genE9ELNS1_11target_archE1100ELNS1_3gpuE3ELNS1_3repE0EEENS1_30default_config_static_selectorELNS0_4arch9wavefront6targetE0EEEvT1_,"axG",@progbits,_ZN7rocprim17ROCPRIM_400000_NS6detail17trampoline_kernelINS0_14default_configENS1_27scan_by_key_config_selectorIisEEZZNS1_16scan_by_key_implILNS1_25lookback_scan_determinismE0ELb1ES3_N6thrust23THRUST_200600_302600_NS6detail15normal_iteratorINS9_10device_ptrIiEEEENSB_INSC_IsEEEESG_sNS9_4plusIvEENS9_8equal_toIvEEsEE10hipError_tPvRmT2_T3_T4_T5_mT6_T7_P12ihipStream_tbENKUlT_T0_E_clISt17integral_constantIbLb1EES11_EEDaSW_SX_EUlSW_E_NS1_11comp_targetILNS1_3genE9ELNS1_11target_archE1100ELNS1_3gpuE3ELNS1_3repE0EEENS1_30default_config_static_selectorELNS0_4arch9wavefront6targetE0EEEvT1_,comdat
	.protected	_ZN7rocprim17ROCPRIM_400000_NS6detail17trampoline_kernelINS0_14default_configENS1_27scan_by_key_config_selectorIisEEZZNS1_16scan_by_key_implILNS1_25lookback_scan_determinismE0ELb1ES3_N6thrust23THRUST_200600_302600_NS6detail15normal_iteratorINS9_10device_ptrIiEEEENSB_INSC_IsEEEESG_sNS9_4plusIvEENS9_8equal_toIvEEsEE10hipError_tPvRmT2_T3_T4_T5_mT6_T7_P12ihipStream_tbENKUlT_T0_E_clISt17integral_constantIbLb1EES11_EEDaSW_SX_EUlSW_E_NS1_11comp_targetILNS1_3genE9ELNS1_11target_archE1100ELNS1_3gpuE3ELNS1_3repE0EEENS1_30default_config_static_selectorELNS0_4arch9wavefront6targetE0EEEvT1_ ; -- Begin function _ZN7rocprim17ROCPRIM_400000_NS6detail17trampoline_kernelINS0_14default_configENS1_27scan_by_key_config_selectorIisEEZZNS1_16scan_by_key_implILNS1_25lookback_scan_determinismE0ELb1ES3_N6thrust23THRUST_200600_302600_NS6detail15normal_iteratorINS9_10device_ptrIiEEEENSB_INSC_IsEEEESG_sNS9_4plusIvEENS9_8equal_toIvEEsEE10hipError_tPvRmT2_T3_T4_T5_mT6_T7_P12ihipStream_tbENKUlT_T0_E_clISt17integral_constantIbLb1EES11_EEDaSW_SX_EUlSW_E_NS1_11comp_targetILNS1_3genE9ELNS1_11target_archE1100ELNS1_3gpuE3ELNS1_3repE0EEENS1_30default_config_static_selectorELNS0_4arch9wavefront6targetE0EEEvT1_
	.globl	_ZN7rocprim17ROCPRIM_400000_NS6detail17trampoline_kernelINS0_14default_configENS1_27scan_by_key_config_selectorIisEEZZNS1_16scan_by_key_implILNS1_25lookback_scan_determinismE0ELb1ES3_N6thrust23THRUST_200600_302600_NS6detail15normal_iteratorINS9_10device_ptrIiEEEENSB_INSC_IsEEEESG_sNS9_4plusIvEENS9_8equal_toIvEEsEE10hipError_tPvRmT2_T3_T4_T5_mT6_T7_P12ihipStream_tbENKUlT_T0_E_clISt17integral_constantIbLb1EES11_EEDaSW_SX_EUlSW_E_NS1_11comp_targetILNS1_3genE9ELNS1_11target_archE1100ELNS1_3gpuE3ELNS1_3repE0EEENS1_30default_config_static_selectorELNS0_4arch9wavefront6targetE0EEEvT1_
	.p2align	8
	.type	_ZN7rocprim17ROCPRIM_400000_NS6detail17trampoline_kernelINS0_14default_configENS1_27scan_by_key_config_selectorIisEEZZNS1_16scan_by_key_implILNS1_25lookback_scan_determinismE0ELb1ES3_N6thrust23THRUST_200600_302600_NS6detail15normal_iteratorINS9_10device_ptrIiEEEENSB_INSC_IsEEEESG_sNS9_4plusIvEENS9_8equal_toIvEEsEE10hipError_tPvRmT2_T3_T4_T5_mT6_T7_P12ihipStream_tbENKUlT_T0_E_clISt17integral_constantIbLb1EES11_EEDaSW_SX_EUlSW_E_NS1_11comp_targetILNS1_3genE9ELNS1_11target_archE1100ELNS1_3gpuE3ELNS1_3repE0EEENS1_30default_config_static_selectorELNS0_4arch9wavefront6targetE0EEEvT1_,@function
_ZN7rocprim17ROCPRIM_400000_NS6detail17trampoline_kernelINS0_14default_configENS1_27scan_by_key_config_selectorIisEEZZNS1_16scan_by_key_implILNS1_25lookback_scan_determinismE0ELb1ES3_N6thrust23THRUST_200600_302600_NS6detail15normal_iteratorINS9_10device_ptrIiEEEENSB_INSC_IsEEEESG_sNS9_4plusIvEENS9_8equal_toIvEEsEE10hipError_tPvRmT2_T3_T4_T5_mT6_T7_P12ihipStream_tbENKUlT_T0_E_clISt17integral_constantIbLb1EES11_EEDaSW_SX_EUlSW_E_NS1_11comp_targetILNS1_3genE9ELNS1_11target_archE1100ELNS1_3gpuE3ELNS1_3repE0EEENS1_30default_config_static_selectorELNS0_4arch9wavefront6targetE0EEEvT1_: ; @_ZN7rocprim17ROCPRIM_400000_NS6detail17trampoline_kernelINS0_14default_configENS1_27scan_by_key_config_selectorIisEEZZNS1_16scan_by_key_implILNS1_25lookback_scan_determinismE0ELb1ES3_N6thrust23THRUST_200600_302600_NS6detail15normal_iteratorINS9_10device_ptrIiEEEENSB_INSC_IsEEEESG_sNS9_4plusIvEENS9_8equal_toIvEEsEE10hipError_tPvRmT2_T3_T4_T5_mT6_T7_P12ihipStream_tbENKUlT_T0_E_clISt17integral_constantIbLb1EES11_EEDaSW_SX_EUlSW_E_NS1_11comp_targetILNS1_3genE9ELNS1_11target_archE1100ELNS1_3gpuE3ELNS1_3repE0EEENS1_30default_config_static_selectorELNS0_4arch9wavefront6targetE0EEEvT1_
; %bb.0:
	.section	.rodata,"a",@progbits
	.p2align	6, 0x0
	.amdhsa_kernel _ZN7rocprim17ROCPRIM_400000_NS6detail17trampoline_kernelINS0_14default_configENS1_27scan_by_key_config_selectorIisEEZZNS1_16scan_by_key_implILNS1_25lookback_scan_determinismE0ELb1ES3_N6thrust23THRUST_200600_302600_NS6detail15normal_iteratorINS9_10device_ptrIiEEEENSB_INSC_IsEEEESG_sNS9_4plusIvEENS9_8equal_toIvEEsEE10hipError_tPvRmT2_T3_T4_T5_mT6_T7_P12ihipStream_tbENKUlT_T0_E_clISt17integral_constantIbLb1EES11_EEDaSW_SX_EUlSW_E_NS1_11comp_targetILNS1_3genE9ELNS1_11target_archE1100ELNS1_3gpuE3ELNS1_3repE0EEENS1_30default_config_static_selectorELNS0_4arch9wavefront6targetE0EEEvT1_
		.amdhsa_group_segment_fixed_size 0
		.amdhsa_private_segment_fixed_size 0
		.amdhsa_kernarg_size 112
		.amdhsa_user_sgpr_count 6
		.amdhsa_user_sgpr_private_segment_buffer 1
		.amdhsa_user_sgpr_dispatch_ptr 0
		.amdhsa_user_sgpr_queue_ptr 0
		.amdhsa_user_sgpr_kernarg_segment_ptr 1
		.amdhsa_user_sgpr_dispatch_id 0
		.amdhsa_user_sgpr_flat_scratch_init 0
		.amdhsa_user_sgpr_private_segment_size 0
		.amdhsa_wavefront_size32 1
		.amdhsa_uses_dynamic_stack 0
		.amdhsa_system_sgpr_private_segment_wavefront_offset 0
		.amdhsa_system_sgpr_workgroup_id_x 1
		.amdhsa_system_sgpr_workgroup_id_y 0
		.amdhsa_system_sgpr_workgroup_id_z 0
		.amdhsa_system_sgpr_workgroup_info 0
		.amdhsa_system_vgpr_workitem_id 0
		.amdhsa_next_free_vgpr 1
		.amdhsa_next_free_sgpr 1
		.amdhsa_reserve_vcc 0
		.amdhsa_reserve_flat_scratch 0
		.amdhsa_float_round_mode_32 0
		.amdhsa_float_round_mode_16_64 0
		.amdhsa_float_denorm_mode_32 3
		.amdhsa_float_denorm_mode_16_64 3
		.amdhsa_dx10_clamp 1
		.amdhsa_ieee_mode 1
		.amdhsa_fp16_overflow 0
		.amdhsa_workgroup_processor_mode 1
		.amdhsa_memory_ordered 1
		.amdhsa_forward_progress 1
		.amdhsa_shared_vgpr_count 0
		.amdhsa_exception_fp_ieee_invalid_op 0
		.amdhsa_exception_fp_denorm_src 0
		.amdhsa_exception_fp_ieee_div_zero 0
		.amdhsa_exception_fp_ieee_overflow 0
		.amdhsa_exception_fp_ieee_underflow 0
		.amdhsa_exception_fp_ieee_inexact 0
		.amdhsa_exception_int_div_zero 0
	.end_amdhsa_kernel
	.section	.text._ZN7rocprim17ROCPRIM_400000_NS6detail17trampoline_kernelINS0_14default_configENS1_27scan_by_key_config_selectorIisEEZZNS1_16scan_by_key_implILNS1_25lookback_scan_determinismE0ELb1ES3_N6thrust23THRUST_200600_302600_NS6detail15normal_iteratorINS9_10device_ptrIiEEEENSB_INSC_IsEEEESG_sNS9_4plusIvEENS9_8equal_toIvEEsEE10hipError_tPvRmT2_T3_T4_T5_mT6_T7_P12ihipStream_tbENKUlT_T0_E_clISt17integral_constantIbLb1EES11_EEDaSW_SX_EUlSW_E_NS1_11comp_targetILNS1_3genE9ELNS1_11target_archE1100ELNS1_3gpuE3ELNS1_3repE0EEENS1_30default_config_static_selectorELNS0_4arch9wavefront6targetE0EEEvT1_,"axG",@progbits,_ZN7rocprim17ROCPRIM_400000_NS6detail17trampoline_kernelINS0_14default_configENS1_27scan_by_key_config_selectorIisEEZZNS1_16scan_by_key_implILNS1_25lookback_scan_determinismE0ELb1ES3_N6thrust23THRUST_200600_302600_NS6detail15normal_iteratorINS9_10device_ptrIiEEEENSB_INSC_IsEEEESG_sNS9_4plusIvEENS9_8equal_toIvEEsEE10hipError_tPvRmT2_T3_T4_T5_mT6_T7_P12ihipStream_tbENKUlT_T0_E_clISt17integral_constantIbLb1EES11_EEDaSW_SX_EUlSW_E_NS1_11comp_targetILNS1_3genE9ELNS1_11target_archE1100ELNS1_3gpuE3ELNS1_3repE0EEENS1_30default_config_static_selectorELNS0_4arch9wavefront6targetE0EEEvT1_,comdat
.Lfunc_end1623:
	.size	_ZN7rocprim17ROCPRIM_400000_NS6detail17trampoline_kernelINS0_14default_configENS1_27scan_by_key_config_selectorIisEEZZNS1_16scan_by_key_implILNS1_25lookback_scan_determinismE0ELb1ES3_N6thrust23THRUST_200600_302600_NS6detail15normal_iteratorINS9_10device_ptrIiEEEENSB_INSC_IsEEEESG_sNS9_4plusIvEENS9_8equal_toIvEEsEE10hipError_tPvRmT2_T3_T4_T5_mT6_T7_P12ihipStream_tbENKUlT_T0_E_clISt17integral_constantIbLb1EES11_EEDaSW_SX_EUlSW_E_NS1_11comp_targetILNS1_3genE9ELNS1_11target_archE1100ELNS1_3gpuE3ELNS1_3repE0EEENS1_30default_config_static_selectorELNS0_4arch9wavefront6targetE0EEEvT1_, .Lfunc_end1623-_ZN7rocprim17ROCPRIM_400000_NS6detail17trampoline_kernelINS0_14default_configENS1_27scan_by_key_config_selectorIisEEZZNS1_16scan_by_key_implILNS1_25lookback_scan_determinismE0ELb1ES3_N6thrust23THRUST_200600_302600_NS6detail15normal_iteratorINS9_10device_ptrIiEEEENSB_INSC_IsEEEESG_sNS9_4plusIvEENS9_8equal_toIvEEsEE10hipError_tPvRmT2_T3_T4_T5_mT6_T7_P12ihipStream_tbENKUlT_T0_E_clISt17integral_constantIbLb1EES11_EEDaSW_SX_EUlSW_E_NS1_11comp_targetILNS1_3genE9ELNS1_11target_archE1100ELNS1_3gpuE3ELNS1_3repE0EEENS1_30default_config_static_selectorELNS0_4arch9wavefront6targetE0EEEvT1_
                                        ; -- End function
	.set _ZN7rocprim17ROCPRIM_400000_NS6detail17trampoline_kernelINS0_14default_configENS1_27scan_by_key_config_selectorIisEEZZNS1_16scan_by_key_implILNS1_25lookback_scan_determinismE0ELb1ES3_N6thrust23THRUST_200600_302600_NS6detail15normal_iteratorINS9_10device_ptrIiEEEENSB_INSC_IsEEEESG_sNS9_4plusIvEENS9_8equal_toIvEEsEE10hipError_tPvRmT2_T3_T4_T5_mT6_T7_P12ihipStream_tbENKUlT_T0_E_clISt17integral_constantIbLb1EES11_EEDaSW_SX_EUlSW_E_NS1_11comp_targetILNS1_3genE9ELNS1_11target_archE1100ELNS1_3gpuE3ELNS1_3repE0EEENS1_30default_config_static_selectorELNS0_4arch9wavefront6targetE0EEEvT1_.num_vgpr, 0
	.set _ZN7rocprim17ROCPRIM_400000_NS6detail17trampoline_kernelINS0_14default_configENS1_27scan_by_key_config_selectorIisEEZZNS1_16scan_by_key_implILNS1_25lookback_scan_determinismE0ELb1ES3_N6thrust23THRUST_200600_302600_NS6detail15normal_iteratorINS9_10device_ptrIiEEEENSB_INSC_IsEEEESG_sNS9_4plusIvEENS9_8equal_toIvEEsEE10hipError_tPvRmT2_T3_T4_T5_mT6_T7_P12ihipStream_tbENKUlT_T0_E_clISt17integral_constantIbLb1EES11_EEDaSW_SX_EUlSW_E_NS1_11comp_targetILNS1_3genE9ELNS1_11target_archE1100ELNS1_3gpuE3ELNS1_3repE0EEENS1_30default_config_static_selectorELNS0_4arch9wavefront6targetE0EEEvT1_.num_agpr, 0
	.set _ZN7rocprim17ROCPRIM_400000_NS6detail17trampoline_kernelINS0_14default_configENS1_27scan_by_key_config_selectorIisEEZZNS1_16scan_by_key_implILNS1_25lookback_scan_determinismE0ELb1ES3_N6thrust23THRUST_200600_302600_NS6detail15normal_iteratorINS9_10device_ptrIiEEEENSB_INSC_IsEEEESG_sNS9_4plusIvEENS9_8equal_toIvEEsEE10hipError_tPvRmT2_T3_T4_T5_mT6_T7_P12ihipStream_tbENKUlT_T0_E_clISt17integral_constantIbLb1EES11_EEDaSW_SX_EUlSW_E_NS1_11comp_targetILNS1_3genE9ELNS1_11target_archE1100ELNS1_3gpuE3ELNS1_3repE0EEENS1_30default_config_static_selectorELNS0_4arch9wavefront6targetE0EEEvT1_.numbered_sgpr, 0
	.set _ZN7rocprim17ROCPRIM_400000_NS6detail17trampoline_kernelINS0_14default_configENS1_27scan_by_key_config_selectorIisEEZZNS1_16scan_by_key_implILNS1_25lookback_scan_determinismE0ELb1ES3_N6thrust23THRUST_200600_302600_NS6detail15normal_iteratorINS9_10device_ptrIiEEEENSB_INSC_IsEEEESG_sNS9_4plusIvEENS9_8equal_toIvEEsEE10hipError_tPvRmT2_T3_T4_T5_mT6_T7_P12ihipStream_tbENKUlT_T0_E_clISt17integral_constantIbLb1EES11_EEDaSW_SX_EUlSW_E_NS1_11comp_targetILNS1_3genE9ELNS1_11target_archE1100ELNS1_3gpuE3ELNS1_3repE0EEENS1_30default_config_static_selectorELNS0_4arch9wavefront6targetE0EEEvT1_.num_named_barrier, 0
	.set _ZN7rocprim17ROCPRIM_400000_NS6detail17trampoline_kernelINS0_14default_configENS1_27scan_by_key_config_selectorIisEEZZNS1_16scan_by_key_implILNS1_25lookback_scan_determinismE0ELb1ES3_N6thrust23THRUST_200600_302600_NS6detail15normal_iteratorINS9_10device_ptrIiEEEENSB_INSC_IsEEEESG_sNS9_4plusIvEENS9_8equal_toIvEEsEE10hipError_tPvRmT2_T3_T4_T5_mT6_T7_P12ihipStream_tbENKUlT_T0_E_clISt17integral_constantIbLb1EES11_EEDaSW_SX_EUlSW_E_NS1_11comp_targetILNS1_3genE9ELNS1_11target_archE1100ELNS1_3gpuE3ELNS1_3repE0EEENS1_30default_config_static_selectorELNS0_4arch9wavefront6targetE0EEEvT1_.private_seg_size, 0
	.set _ZN7rocprim17ROCPRIM_400000_NS6detail17trampoline_kernelINS0_14default_configENS1_27scan_by_key_config_selectorIisEEZZNS1_16scan_by_key_implILNS1_25lookback_scan_determinismE0ELb1ES3_N6thrust23THRUST_200600_302600_NS6detail15normal_iteratorINS9_10device_ptrIiEEEENSB_INSC_IsEEEESG_sNS9_4plusIvEENS9_8equal_toIvEEsEE10hipError_tPvRmT2_T3_T4_T5_mT6_T7_P12ihipStream_tbENKUlT_T0_E_clISt17integral_constantIbLb1EES11_EEDaSW_SX_EUlSW_E_NS1_11comp_targetILNS1_3genE9ELNS1_11target_archE1100ELNS1_3gpuE3ELNS1_3repE0EEENS1_30default_config_static_selectorELNS0_4arch9wavefront6targetE0EEEvT1_.uses_vcc, 0
	.set _ZN7rocprim17ROCPRIM_400000_NS6detail17trampoline_kernelINS0_14default_configENS1_27scan_by_key_config_selectorIisEEZZNS1_16scan_by_key_implILNS1_25lookback_scan_determinismE0ELb1ES3_N6thrust23THRUST_200600_302600_NS6detail15normal_iteratorINS9_10device_ptrIiEEEENSB_INSC_IsEEEESG_sNS9_4plusIvEENS9_8equal_toIvEEsEE10hipError_tPvRmT2_T3_T4_T5_mT6_T7_P12ihipStream_tbENKUlT_T0_E_clISt17integral_constantIbLb1EES11_EEDaSW_SX_EUlSW_E_NS1_11comp_targetILNS1_3genE9ELNS1_11target_archE1100ELNS1_3gpuE3ELNS1_3repE0EEENS1_30default_config_static_selectorELNS0_4arch9wavefront6targetE0EEEvT1_.uses_flat_scratch, 0
	.set _ZN7rocprim17ROCPRIM_400000_NS6detail17trampoline_kernelINS0_14default_configENS1_27scan_by_key_config_selectorIisEEZZNS1_16scan_by_key_implILNS1_25lookback_scan_determinismE0ELb1ES3_N6thrust23THRUST_200600_302600_NS6detail15normal_iteratorINS9_10device_ptrIiEEEENSB_INSC_IsEEEESG_sNS9_4plusIvEENS9_8equal_toIvEEsEE10hipError_tPvRmT2_T3_T4_T5_mT6_T7_P12ihipStream_tbENKUlT_T0_E_clISt17integral_constantIbLb1EES11_EEDaSW_SX_EUlSW_E_NS1_11comp_targetILNS1_3genE9ELNS1_11target_archE1100ELNS1_3gpuE3ELNS1_3repE0EEENS1_30default_config_static_selectorELNS0_4arch9wavefront6targetE0EEEvT1_.has_dyn_sized_stack, 0
	.set _ZN7rocprim17ROCPRIM_400000_NS6detail17trampoline_kernelINS0_14default_configENS1_27scan_by_key_config_selectorIisEEZZNS1_16scan_by_key_implILNS1_25lookback_scan_determinismE0ELb1ES3_N6thrust23THRUST_200600_302600_NS6detail15normal_iteratorINS9_10device_ptrIiEEEENSB_INSC_IsEEEESG_sNS9_4plusIvEENS9_8equal_toIvEEsEE10hipError_tPvRmT2_T3_T4_T5_mT6_T7_P12ihipStream_tbENKUlT_T0_E_clISt17integral_constantIbLb1EES11_EEDaSW_SX_EUlSW_E_NS1_11comp_targetILNS1_3genE9ELNS1_11target_archE1100ELNS1_3gpuE3ELNS1_3repE0EEENS1_30default_config_static_selectorELNS0_4arch9wavefront6targetE0EEEvT1_.has_recursion, 0
	.set _ZN7rocprim17ROCPRIM_400000_NS6detail17trampoline_kernelINS0_14default_configENS1_27scan_by_key_config_selectorIisEEZZNS1_16scan_by_key_implILNS1_25lookback_scan_determinismE0ELb1ES3_N6thrust23THRUST_200600_302600_NS6detail15normal_iteratorINS9_10device_ptrIiEEEENSB_INSC_IsEEEESG_sNS9_4plusIvEENS9_8equal_toIvEEsEE10hipError_tPvRmT2_T3_T4_T5_mT6_T7_P12ihipStream_tbENKUlT_T0_E_clISt17integral_constantIbLb1EES11_EEDaSW_SX_EUlSW_E_NS1_11comp_targetILNS1_3genE9ELNS1_11target_archE1100ELNS1_3gpuE3ELNS1_3repE0EEENS1_30default_config_static_selectorELNS0_4arch9wavefront6targetE0EEEvT1_.has_indirect_call, 0
	.section	.AMDGPU.csdata,"",@progbits
; Kernel info:
; codeLenInByte = 0
; TotalNumSgprs: 0
; NumVgprs: 0
; ScratchSize: 0
; MemoryBound: 0
; FloatMode: 240
; IeeeMode: 1
; LDSByteSize: 0 bytes/workgroup (compile time only)
; SGPRBlocks: 0
; VGPRBlocks: 0
; NumSGPRsForWavesPerEU: 1
; NumVGPRsForWavesPerEU: 1
; Occupancy: 16
; WaveLimiterHint : 0
; COMPUTE_PGM_RSRC2:SCRATCH_EN: 0
; COMPUTE_PGM_RSRC2:USER_SGPR: 6
; COMPUTE_PGM_RSRC2:TRAP_HANDLER: 0
; COMPUTE_PGM_RSRC2:TGID_X_EN: 1
; COMPUTE_PGM_RSRC2:TGID_Y_EN: 0
; COMPUTE_PGM_RSRC2:TGID_Z_EN: 0
; COMPUTE_PGM_RSRC2:TIDIG_COMP_CNT: 0
	.section	.text._ZN7rocprim17ROCPRIM_400000_NS6detail17trampoline_kernelINS0_14default_configENS1_27scan_by_key_config_selectorIisEEZZNS1_16scan_by_key_implILNS1_25lookback_scan_determinismE0ELb1ES3_N6thrust23THRUST_200600_302600_NS6detail15normal_iteratorINS9_10device_ptrIiEEEENSB_INSC_IsEEEESG_sNS9_4plusIvEENS9_8equal_toIvEEsEE10hipError_tPvRmT2_T3_T4_T5_mT6_T7_P12ihipStream_tbENKUlT_T0_E_clISt17integral_constantIbLb1EES11_EEDaSW_SX_EUlSW_E_NS1_11comp_targetILNS1_3genE8ELNS1_11target_archE1030ELNS1_3gpuE2ELNS1_3repE0EEENS1_30default_config_static_selectorELNS0_4arch9wavefront6targetE0EEEvT1_,"axG",@progbits,_ZN7rocprim17ROCPRIM_400000_NS6detail17trampoline_kernelINS0_14default_configENS1_27scan_by_key_config_selectorIisEEZZNS1_16scan_by_key_implILNS1_25lookback_scan_determinismE0ELb1ES3_N6thrust23THRUST_200600_302600_NS6detail15normal_iteratorINS9_10device_ptrIiEEEENSB_INSC_IsEEEESG_sNS9_4plusIvEENS9_8equal_toIvEEsEE10hipError_tPvRmT2_T3_T4_T5_mT6_T7_P12ihipStream_tbENKUlT_T0_E_clISt17integral_constantIbLb1EES11_EEDaSW_SX_EUlSW_E_NS1_11comp_targetILNS1_3genE8ELNS1_11target_archE1030ELNS1_3gpuE2ELNS1_3repE0EEENS1_30default_config_static_selectorELNS0_4arch9wavefront6targetE0EEEvT1_,comdat
	.protected	_ZN7rocprim17ROCPRIM_400000_NS6detail17trampoline_kernelINS0_14default_configENS1_27scan_by_key_config_selectorIisEEZZNS1_16scan_by_key_implILNS1_25lookback_scan_determinismE0ELb1ES3_N6thrust23THRUST_200600_302600_NS6detail15normal_iteratorINS9_10device_ptrIiEEEENSB_INSC_IsEEEESG_sNS9_4plusIvEENS9_8equal_toIvEEsEE10hipError_tPvRmT2_T3_T4_T5_mT6_T7_P12ihipStream_tbENKUlT_T0_E_clISt17integral_constantIbLb1EES11_EEDaSW_SX_EUlSW_E_NS1_11comp_targetILNS1_3genE8ELNS1_11target_archE1030ELNS1_3gpuE2ELNS1_3repE0EEENS1_30default_config_static_selectorELNS0_4arch9wavefront6targetE0EEEvT1_ ; -- Begin function _ZN7rocprim17ROCPRIM_400000_NS6detail17trampoline_kernelINS0_14default_configENS1_27scan_by_key_config_selectorIisEEZZNS1_16scan_by_key_implILNS1_25lookback_scan_determinismE0ELb1ES3_N6thrust23THRUST_200600_302600_NS6detail15normal_iteratorINS9_10device_ptrIiEEEENSB_INSC_IsEEEESG_sNS9_4plusIvEENS9_8equal_toIvEEsEE10hipError_tPvRmT2_T3_T4_T5_mT6_T7_P12ihipStream_tbENKUlT_T0_E_clISt17integral_constantIbLb1EES11_EEDaSW_SX_EUlSW_E_NS1_11comp_targetILNS1_3genE8ELNS1_11target_archE1030ELNS1_3gpuE2ELNS1_3repE0EEENS1_30default_config_static_selectorELNS0_4arch9wavefront6targetE0EEEvT1_
	.globl	_ZN7rocprim17ROCPRIM_400000_NS6detail17trampoline_kernelINS0_14default_configENS1_27scan_by_key_config_selectorIisEEZZNS1_16scan_by_key_implILNS1_25lookback_scan_determinismE0ELb1ES3_N6thrust23THRUST_200600_302600_NS6detail15normal_iteratorINS9_10device_ptrIiEEEENSB_INSC_IsEEEESG_sNS9_4plusIvEENS9_8equal_toIvEEsEE10hipError_tPvRmT2_T3_T4_T5_mT6_T7_P12ihipStream_tbENKUlT_T0_E_clISt17integral_constantIbLb1EES11_EEDaSW_SX_EUlSW_E_NS1_11comp_targetILNS1_3genE8ELNS1_11target_archE1030ELNS1_3gpuE2ELNS1_3repE0EEENS1_30default_config_static_selectorELNS0_4arch9wavefront6targetE0EEEvT1_
	.p2align	8
	.type	_ZN7rocprim17ROCPRIM_400000_NS6detail17trampoline_kernelINS0_14default_configENS1_27scan_by_key_config_selectorIisEEZZNS1_16scan_by_key_implILNS1_25lookback_scan_determinismE0ELb1ES3_N6thrust23THRUST_200600_302600_NS6detail15normal_iteratorINS9_10device_ptrIiEEEENSB_INSC_IsEEEESG_sNS9_4plusIvEENS9_8equal_toIvEEsEE10hipError_tPvRmT2_T3_T4_T5_mT6_T7_P12ihipStream_tbENKUlT_T0_E_clISt17integral_constantIbLb1EES11_EEDaSW_SX_EUlSW_E_NS1_11comp_targetILNS1_3genE8ELNS1_11target_archE1030ELNS1_3gpuE2ELNS1_3repE0EEENS1_30default_config_static_selectorELNS0_4arch9wavefront6targetE0EEEvT1_,@function
_ZN7rocprim17ROCPRIM_400000_NS6detail17trampoline_kernelINS0_14default_configENS1_27scan_by_key_config_selectorIisEEZZNS1_16scan_by_key_implILNS1_25lookback_scan_determinismE0ELb1ES3_N6thrust23THRUST_200600_302600_NS6detail15normal_iteratorINS9_10device_ptrIiEEEENSB_INSC_IsEEEESG_sNS9_4plusIvEENS9_8equal_toIvEEsEE10hipError_tPvRmT2_T3_T4_T5_mT6_T7_P12ihipStream_tbENKUlT_T0_E_clISt17integral_constantIbLb1EES11_EEDaSW_SX_EUlSW_E_NS1_11comp_targetILNS1_3genE8ELNS1_11target_archE1030ELNS1_3gpuE2ELNS1_3repE0EEENS1_30default_config_static_selectorELNS0_4arch9wavefront6targetE0EEEvT1_: ; @_ZN7rocprim17ROCPRIM_400000_NS6detail17trampoline_kernelINS0_14default_configENS1_27scan_by_key_config_selectorIisEEZZNS1_16scan_by_key_implILNS1_25lookback_scan_determinismE0ELb1ES3_N6thrust23THRUST_200600_302600_NS6detail15normal_iteratorINS9_10device_ptrIiEEEENSB_INSC_IsEEEESG_sNS9_4plusIvEENS9_8equal_toIvEEsEE10hipError_tPvRmT2_T3_T4_T5_mT6_T7_P12ihipStream_tbENKUlT_T0_E_clISt17integral_constantIbLb1EES11_EEDaSW_SX_EUlSW_E_NS1_11comp_targetILNS1_3genE8ELNS1_11target_archE1030ELNS1_3gpuE2ELNS1_3repE0EEENS1_30default_config_static_selectorELNS0_4arch9wavefront6targetE0EEEvT1_
; %bb.0:
	s_endpgm
	.section	.rodata,"a",@progbits
	.p2align	6, 0x0
	.amdhsa_kernel _ZN7rocprim17ROCPRIM_400000_NS6detail17trampoline_kernelINS0_14default_configENS1_27scan_by_key_config_selectorIisEEZZNS1_16scan_by_key_implILNS1_25lookback_scan_determinismE0ELb1ES3_N6thrust23THRUST_200600_302600_NS6detail15normal_iteratorINS9_10device_ptrIiEEEENSB_INSC_IsEEEESG_sNS9_4plusIvEENS9_8equal_toIvEEsEE10hipError_tPvRmT2_T3_T4_T5_mT6_T7_P12ihipStream_tbENKUlT_T0_E_clISt17integral_constantIbLb1EES11_EEDaSW_SX_EUlSW_E_NS1_11comp_targetILNS1_3genE8ELNS1_11target_archE1030ELNS1_3gpuE2ELNS1_3repE0EEENS1_30default_config_static_selectorELNS0_4arch9wavefront6targetE0EEEvT1_
		.amdhsa_group_segment_fixed_size 0
		.amdhsa_private_segment_fixed_size 0
		.amdhsa_kernarg_size 112
		.amdhsa_user_sgpr_count 6
		.amdhsa_user_sgpr_private_segment_buffer 1
		.amdhsa_user_sgpr_dispatch_ptr 0
		.amdhsa_user_sgpr_queue_ptr 0
		.amdhsa_user_sgpr_kernarg_segment_ptr 1
		.amdhsa_user_sgpr_dispatch_id 0
		.amdhsa_user_sgpr_flat_scratch_init 0
		.amdhsa_user_sgpr_private_segment_size 0
		.amdhsa_wavefront_size32 1
		.amdhsa_uses_dynamic_stack 0
		.amdhsa_system_sgpr_private_segment_wavefront_offset 0
		.amdhsa_system_sgpr_workgroup_id_x 1
		.amdhsa_system_sgpr_workgroup_id_y 0
		.amdhsa_system_sgpr_workgroup_id_z 0
		.amdhsa_system_sgpr_workgroup_info 0
		.amdhsa_system_vgpr_workitem_id 0
		.amdhsa_next_free_vgpr 1
		.amdhsa_next_free_sgpr 1
		.amdhsa_reserve_vcc 0
		.amdhsa_reserve_flat_scratch 0
		.amdhsa_float_round_mode_32 0
		.amdhsa_float_round_mode_16_64 0
		.amdhsa_float_denorm_mode_32 3
		.amdhsa_float_denorm_mode_16_64 3
		.amdhsa_dx10_clamp 1
		.amdhsa_ieee_mode 1
		.amdhsa_fp16_overflow 0
		.amdhsa_workgroup_processor_mode 1
		.amdhsa_memory_ordered 1
		.amdhsa_forward_progress 1
		.amdhsa_shared_vgpr_count 0
		.amdhsa_exception_fp_ieee_invalid_op 0
		.amdhsa_exception_fp_denorm_src 0
		.amdhsa_exception_fp_ieee_div_zero 0
		.amdhsa_exception_fp_ieee_overflow 0
		.amdhsa_exception_fp_ieee_underflow 0
		.amdhsa_exception_fp_ieee_inexact 0
		.amdhsa_exception_int_div_zero 0
	.end_amdhsa_kernel
	.section	.text._ZN7rocprim17ROCPRIM_400000_NS6detail17trampoline_kernelINS0_14default_configENS1_27scan_by_key_config_selectorIisEEZZNS1_16scan_by_key_implILNS1_25lookback_scan_determinismE0ELb1ES3_N6thrust23THRUST_200600_302600_NS6detail15normal_iteratorINS9_10device_ptrIiEEEENSB_INSC_IsEEEESG_sNS9_4plusIvEENS9_8equal_toIvEEsEE10hipError_tPvRmT2_T3_T4_T5_mT6_T7_P12ihipStream_tbENKUlT_T0_E_clISt17integral_constantIbLb1EES11_EEDaSW_SX_EUlSW_E_NS1_11comp_targetILNS1_3genE8ELNS1_11target_archE1030ELNS1_3gpuE2ELNS1_3repE0EEENS1_30default_config_static_selectorELNS0_4arch9wavefront6targetE0EEEvT1_,"axG",@progbits,_ZN7rocprim17ROCPRIM_400000_NS6detail17trampoline_kernelINS0_14default_configENS1_27scan_by_key_config_selectorIisEEZZNS1_16scan_by_key_implILNS1_25lookback_scan_determinismE0ELb1ES3_N6thrust23THRUST_200600_302600_NS6detail15normal_iteratorINS9_10device_ptrIiEEEENSB_INSC_IsEEEESG_sNS9_4plusIvEENS9_8equal_toIvEEsEE10hipError_tPvRmT2_T3_T4_T5_mT6_T7_P12ihipStream_tbENKUlT_T0_E_clISt17integral_constantIbLb1EES11_EEDaSW_SX_EUlSW_E_NS1_11comp_targetILNS1_3genE8ELNS1_11target_archE1030ELNS1_3gpuE2ELNS1_3repE0EEENS1_30default_config_static_selectorELNS0_4arch9wavefront6targetE0EEEvT1_,comdat
.Lfunc_end1624:
	.size	_ZN7rocprim17ROCPRIM_400000_NS6detail17trampoline_kernelINS0_14default_configENS1_27scan_by_key_config_selectorIisEEZZNS1_16scan_by_key_implILNS1_25lookback_scan_determinismE0ELb1ES3_N6thrust23THRUST_200600_302600_NS6detail15normal_iteratorINS9_10device_ptrIiEEEENSB_INSC_IsEEEESG_sNS9_4plusIvEENS9_8equal_toIvEEsEE10hipError_tPvRmT2_T3_T4_T5_mT6_T7_P12ihipStream_tbENKUlT_T0_E_clISt17integral_constantIbLb1EES11_EEDaSW_SX_EUlSW_E_NS1_11comp_targetILNS1_3genE8ELNS1_11target_archE1030ELNS1_3gpuE2ELNS1_3repE0EEENS1_30default_config_static_selectorELNS0_4arch9wavefront6targetE0EEEvT1_, .Lfunc_end1624-_ZN7rocprim17ROCPRIM_400000_NS6detail17trampoline_kernelINS0_14default_configENS1_27scan_by_key_config_selectorIisEEZZNS1_16scan_by_key_implILNS1_25lookback_scan_determinismE0ELb1ES3_N6thrust23THRUST_200600_302600_NS6detail15normal_iteratorINS9_10device_ptrIiEEEENSB_INSC_IsEEEESG_sNS9_4plusIvEENS9_8equal_toIvEEsEE10hipError_tPvRmT2_T3_T4_T5_mT6_T7_P12ihipStream_tbENKUlT_T0_E_clISt17integral_constantIbLb1EES11_EEDaSW_SX_EUlSW_E_NS1_11comp_targetILNS1_3genE8ELNS1_11target_archE1030ELNS1_3gpuE2ELNS1_3repE0EEENS1_30default_config_static_selectorELNS0_4arch9wavefront6targetE0EEEvT1_
                                        ; -- End function
	.set _ZN7rocprim17ROCPRIM_400000_NS6detail17trampoline_kernelINS0_14default_configENS1_27scan_by_key_config_selectorIisEEZZNS1_16scan_by_key_implILNS1_25lookback_scan_determinismE0ELb1ES3_N6thrust23THRUST_200600_302600_NS6detail15normal_iteratorINS9_10device_ptrIiEEEENSB_INSC_IsEEEESG_sNS9_4plusIvEENS9_8equal_toIvEEsEE10hipError_tPvRmT2_T3_T4_T5_mT6_T7_P12ihipStream_tbENKUlT_T0_E_clISt17integral_constantIbLb1EES11_EEDaSW_SX_EUlSW_E_NS1_11comp_targetILNS1_3genE8ELNS1_11target_archE1030ELNS1_3gpuE2ELNS1_3repE0EEENS1_30default_config_static_selectorELNS0_4arch9wavefront6targetE0EEEvT1_.num_vgpr, 0
	.set _ZN7rocprim17ROCPRIM_400000_NS6detail17trampoline_kernelINS0_14default_configENS1_27scan_by_key_config_selectorIisEEZZNS1_16scan_by_key_implILNS1_25lookback_scan_determinismE0ELb1ES3_N6thrust23THRUST_200600_302600_NS6detail15normal_iteratorINS9_10device_ptrIiEEEENSB_INSC_IsEEEESG_sNS9_4plusIvEENS9_8equal_toIvEEsEE10hipError_tPvRmT2_T3_T4_T5_mT6_T7_P12ihipStream_tbENKUlT_T0_E_clISt17integral_constantIbLb1EES11_EEDaSW_SX_EUlSW_E_NS1_11comp_targetILNS1_3genE8ELNS1_11target_archE1030ELNS1_3gpuE2ELNS1_3repE0EEENS1_30default_config_static_selectorELNS0_4arch9wavefront6targetE0EEEvT1_.num_agpr, 0
	.set _ZN7rocprim17ROCPRIM_400000_NS6detail17trampoline_kernelINS0_14default_configENS1_27scan_by_key_config_selectorIisEEZZNS1_16scan_by_key_implILNS1_25lookback_scan_determinismE0ELb1ES3_N6thrust23THRUST_200600_302600_NS6detail15normal_iteratorINS9_10device_ptrIiEEEENSB_INSC_IsEEEESG_sNS9_4plusIvEENS9_8equal_toIvEEsEE10hipError_tPvRmT2_T3_T4_T5_mT6_T7_P12ihipStream_tbENKUlT_T0_E_clISt17integral_constantIbLb1EES11_EEDaSW_SX_EUlSW_E_NS1_11comp_targetILNS1_3genE8ELNS1_11target_archE1030ELNS1_3gpuE2ELNS1_3repE0EEENS1_30default_config_static_selectorELNS0_4arch9wavefront6targetE0EEEvT1_.numbered_sgpr, 0
	.set _ZN7rocprim17ROCPRIM_400000_NS6detail17trampoline_kernelINS0_14default_configENS1_27scan_by_key_config_selectorIisEEZZNS1_16scan_by_key_implILNS1_25lookback_scan_determinismE0ELb1ES3_N6thrust23THRUST_200600_302600_NS6detail15normal_iteratorINS9_10device_ptrIiEEEENSB_INSC_IsEEEESG_sNS9_4plusIvEENS9_8equal_toIvEEsEE10hipError_tPvRmT2_T3_T4_T5_mT6_T7_P12ihipStream_tbENKUlT_T0_E_clISt17integral_constantIbLb1EES11_EEDaSW_SX_EUlSW_E_NS1_11comp_targetILNS1_3genE8ELNS1_11target_archE1030ELNS1_3gpuE2ELNS1_3repE0EEENS1_30default_config_static_selectorELNS0_4arch9wavefront6targetE0EEEvT1_.num_named_barrier, 0
	.set _ZN7rocprim17ROCPRIM_400000_NS6detail17trampoline_kernelINS0_14default_configENS1_27scan_by_key_config_selectorIisEEZZNS1_16scan_by_key_implILNS1_25lookback_scan_determinismE0ELb1ES3_N6thrust23THRUST_200600_302600_NS6detail15normal_iteratorINS9_10device_ptrIiEEEENSB_INSC_IsEEEESG_sNS9_4plusIvEENS9_8equal_toIvEEsEE10hipError_tPvRmT2_T3_T4_T5_mT6_T7_P12ihipStream_tbENKUlT_T0_E_clISt17integral_constantIbLb1EES11_EEDaSW_SX_EUlSW_E_NS1_11comp_targetILNS1_3genE8ELNS1_11target_archE1030ELNS1_3gpuE2ELNS1_3repE0EEENS1_30default_config_static_selectorELNS0_4arch9wavefront6targetE0EEEvT1_.private_seg_size, 0
	.set _ZN7rocprim17ROCPRIM_400000_NS6detail17trampoline_kernelINS0_14default_configENS1_27scan_by_key_config_selectorIisEEZZNS1_16scan_by_key_implILNS1_25lookback_scan_determinismE0ELb1ES3_N6thrust23THRUST_200600_302600_NS6detail15normal_iteratorINS9_10device_ptrIiEEEENSB_INSC_IsEEEESG_sNS9_4plusIvEENS9_8equal_toIvEEsEE10hipError_tPvRmT2_T3_T4_T5_mT6_T7_P12ihipStream_tbENKUlT_T0_E_clISt17integral_constantIbLb1EES11_EEDaSW_SX_EUlSW_E_NS1_11comp_targetILNS1_3genE8ELNS1_11target_archE1030ELNS1_3gpuE2ELNS1_3repE0EEENS1_30default_config_static_selectorELNS0_4arch9wavefront6targetE0EEEvT1_.uses_vcc, 0
	.set _ZN7rocprim17ROCPRIM_400000_NS6detail17trampoline_kernelINS0_14default_configENS1_27scan_by_key_config_selectorIisEEZZNS1_16scan_by_key_implILNS1_25lookback_scan_determinismE0ELb1ES3_N6thrust23THRUST_200600_302600_NS6detail15normal_iteratorINS9_10device_ptrIiEEEENSB_INSC_IsEEEESG_sNS9_4plusIvEENS9_8equal_toIvEEsEE10hipError_tPvRmT2_T3_T4_T5_mT6_T7_P12ihipStream_tbENKUlT_T0_E_clISt17integral_constantIbLb1EES11_EEDaSW_SX_EUlSW_E_NS1_11comp_targetILNS1_3genE8ELNS1_11target_archE1030ELNS1_3gpuE2ELNS1_3repE0EEENS1_30default_config_static_selectorELNS0_4arch9wavefront6targetE0EEEvT1_.uses_flat_scratch, 0
	.set _ZN7rocprim17ROCPRIM_400000_NS6detail17trampoline_kernelINS0_14default_configENS1_27scan_by_key_config_selectorIisEEZZNS1_16scan_by_key_implILNS1_25lookback_scan_determinismE0ELb1ES3_N6thrust23THRUST_200600_302600_NS6detail15normal_iteratorINS9_10device_ptrIiEEEENSB_INSC_IsEEEESG_sNS9_4plusIvEENS9_8equal_toIvEEsEE10hipError_tPvRmT2_T3_T4_T5_mT6_T7_P12ihipStream_tbENKUlT_T0_E_clISt17integral_constantIbLb1EES11_EEDaSW_SX_EUlSW_E_NS1_11comp_targetILNS1_3genE8ELNS1_11target_archE1030ELNS1_3gpuE2ELNS1_3repE0EEENS1_30default_config_static_selectorELNS0_4arch9wavefront6targetE0EEEvT1_.has_dyn_sized_stack, 0
	.set _ZN7rocprim17ROCPRIM_400000_NS6detail17trampoline_kernelINS0_14default_configENS1_27scan_by_key_config_selectorIisEEZZNS1_16scan_by_key_implILNS1_25lookback_scan_determinismE0ELb1ES3_N6thrust23THRUST_200600_302600_NS6detail15normal_iteratorINS9_10device_ptrIiEEEENSB_INSC_IsEEEESG_sNS9_4plusIvEENS9_8equal_toIvEEsEE10hipError_tPvRmT2_T3_T4_T5_mT6_T7_P12ihipStream_tbENKUlT_T0_E_clISt17integral_constantIbLb1EES11_EEDaSW_SX_EUlSW_E_NS1_11comp_targetILNS1_3genE8ELNS1_11target_archE1030ELNS1_3gpuE2ELNS1_3repE0EEENS1_30default_config_static_selectorELNS0_4arch9wavefront6targetE0EEEvT1_.has_recursion, 0
	.set _ZN7rocprim17ROCPRIM_400000_NS6detail17trampoline_kernelINS0_14default_configENS1_27scan_by_key_config_selectorIisEEZZNS1_16scan_by_key_implILNS1_25lookback_scan_determinismE0ELb1ES3_N6thrust23THRUST_200600_302600_NS6detail15normal_iteratorINS9_10device_ptrIiEEEENSB_INSC_IsEEEESG_sNS9_4plusIvEENS9_8equal_toIvEEsEE10hipError_tPvRmT2_T3_T4_T5_mT6_T7_P12ihipStream_tbENKUlT_T0_E_clISt17integral_constantIbLb1EES11_EEDaSW_SX_EUlSW_E_NS1_11comp_targetILNS1_3genE8ELNS1_11target_archE1030ELNS1_3gpuE2ELNS1_3repE0EEENS1_30default_config_static_selectorELNS0_4arch9wavefront6targetE0EEEvT1_.has_indirect_call, 0
	.section	.AMDGPU.csdata,"",@progbits
; Kernel info:
; codeLenInByte = 4
; TotalNumSgprs: 0
; NumVgprs: 0
; ScratchSize: 0
; MemoryBound: 0
; FloatMode: 240
; IeeeMode: 1
; LDSByteSize: 0 bytes/workgroup (compile time only)
; SGPRBlocks: 0
; VGPRBlocks: 0
; NumSGPRsForWavesPerEU: 1
; NumVGPRsForWavesPerEU: 1
; Occupancy: 16
; WaveLimiterHint : 0
; COMPUTE_PGM_RSRC2:SCRATCH_EN: 0
; COMPUTE_PGM_RSRC2:USER_SGPR: 6
; COMPUTE_PGM_RSRC2:TRAP_HANDLER: 0
; COMPUTE_PGM_RSRC2:TGID_X_EN: 1
; COMPUTE_PGM_RSRC2:TGID_Y_EN: 0
; COMPUTE_PGM_RSRC2:TGID_Z_EN: 0
; COMPUTE_PGM_RSRC2:TIDIG_COMP_CNT: 0
	.section	.text._ZN7rocprim17ROCPRIM_400000_NS6detail17trampoline_kernelINS0_14default_configENS1_27scan_by_key_config_selectorIisEEZZNS1_16scan_by_key_implILNS1_25lookback_scan_determinismE0ELb1ES3_N6thrust23THRUST_200600_302600_NS6detail15normal_iteratorINS9_10device_ptrIiEEEENSB_INSC_IsEEEESG_sNS9_4plusIvEENS9_8equal_toIvEEsEE10hipError_tPvRmT2_T3_T4_T5_mT6_T7_P12ihipStream_tbENKUlT_T0_E_clISt17integral_constantIbLb1EES10_IbLb0EEEEDaSW_SX_EUlSW_E_NS1_11comp_targetILNS1_3genE0ELNS1_11target_archE4294967295ELNS1_3gpuE0ELNS1_3repE0EEENS1_30default_config_static_selectorELNS0_4arch9wavefront6targetE0EEEvT1_,"axG",@progbits,_ZN7rocprim17ROCPRIM_400000_NS6detail17trampoline_kernelINS0_14default_configENS1_27scan_by_key_config_selectorIisEEZZNS1_16scan_by_key_implILNS1_25lookback_scan_determinismE0ELb1ES3_N6thrust23THRUST_200600_302600_NS6detail15normal_iteratorINS9_10device_ptrIiEEEENSB_INSC_IsEEEESG_sNS9_4plusIvEENS9_8equal_toIvEEsEE10hipError_tPvRmT2_T3_T4_T5_mT6_T7_P12ihipStream_tbENKUlT_T0_E_clISt17integral_constantIbLb1EES10_IbLb0EEEEDaSW_SX_EUlSW_E_NS1_11comp_targetILNS1_3genE0ELNS1_11target_archE4294967295ELNS1_3gpuE0ELNS1_3repE0EEENS1_30default_config_static_selectorELNS0_4arch9wavefront6targetE0EEEvT1_,comdat
	.protected	_ZN7rocprim17ROCPRIM_400000_NS6detail17trampoline_kernelINS0_14default_configENS1_27scan_by_key_config_selectorIisEEZZNS1_16scan_by_key_implILNS1_25lookback_scan_determinismE0ELb1ES3_N6thrust23THRUST_200600_302600_NS6detail15normal_iteratorINS9_10device_ptrIiEEEENSB_INSC_IsEEEESG_sNS9_4plusIvEENS9_8equal_toIvEEsEE10hipError_tPvRmT2_T3_T4_T5_mT6_T7_P12ihipStream_tbENKUlT_T0_E_clISt17integral_constantIbLb1EES10_IbLb0EEEEDaSW_SX_EUlSW_E_NS1_11comp_targetILNS1_3genE0ELNS1_11target_archE4294967295ELNS1_3gpuE0ELNS1_3repE0EEENS1_30default_config_static_selectorELNS0_4arch9wavefront6targetE0EEEvT1_ ; -- Begin function _ZN7rocprim17ROCPRIM_400000_NS6detail17trampoline_kernelINS0_14default_configENS1_27scan_by_key_config_selectorIisEEZZNS1_16scan_by_key_implILNS1_25lookback_scan_determinismE0ELb1ES3_N6thrust23THRUST_200600_302600_NS6detail15normal_iteratorINS9_10device_ptrIiEEEENSB_INSC_IsEEEESG_sNS9_4plusIvEENS9_8equal_toIvEEsEE10hipError_tPvRmT2_T3_T4_T5_mT6_T7_P12ihipStream_tbENKUlT_T0_E_clISt17integral_constantIbLb1EES10_IbLb0EEEEDaSW_SX_EUlSW_E_NS1_11comp_targetILNS1_3genE0ELNS1_11target_archE4294967295ELNS1_3gpuE0ELNS1_3repE0EEENS1_30default_config_static_selectorELNS0_4arch9wavefront6targetE0EEEvT1_
	.globl	_ZN7rocprim17ROCPRIM_400000_NS6detail17trampoline_kernelINS0_14default_configENS1_27scan_by_key_config_selectorIisEEZZNS1_16scan_by_key_implILNS1_25lookback_scan_determinismE0ELb1ES3_N6thrust23THRUST_200600_302600_NS6detail15normal_iteratorINS9_10device_ptrIiEEEENSB_INSC_IsEEEESG_sNS9_4plusIvEENS9_8equal_toIvEEsEE10hipError_tPvRmT2_T3_T4_T5_mT6_T7_P12ihipStream_tbENKUlT_T0_E_clISt17integral_constantIbLb1EES10_IbLb0EEEEDaSW_SX_EUlSW_E_NS1_11comp_targetILNS1_3genE0ELNS1_11target_archE4294967295ELNS1_3gpuE0ELNS1_3repE0EEENS1_30default_config_static_selectorELNS0_4arch9wavefront6targetE0EEEvT1_
	.p2align	8
	.type	_ZN7rocprim17ROCPRIM_400000_NS6detail17trampoline_kernelINS0_14default_configENS1_27scan_by_key_config_selectorIisEEZZNS1_16scan_by_key_implILNS1_25lookback_scan_determinismE0ELb1ES3_N6thrust23THRUST_200600_302600_NS6detail15normal_iteratorINS9_10device_ptrIiEEEENSB_INSC_IsEEEESG_sNS9_4plusIvEENS9_8equal_toIvEEsEE10hipError_tPvRmT2_T3_T4_T5_mT6_T7_P12ihipStream_tbENKUlT_T0_E_clISt17integral_constantIbLb1EES10_IbLb0EEEEDaSW_SX_EUlSW_E_NS1_11comp_targetILNS1_3genE0ELNS1_11target_archE4294967295ELNS1_3gpuE0ELNS1_3repE0EEENS1_30default_config_static_selectorELNS0_4arch9wavefront6targetE0EEEvT1_,@function
_ZN7rocprim17ROCPRIM_400000_NS6detail17trampoline_kernelINS0_14default_configENS1_27scan_by_key_config_selectorIisEEZZNS1_16scan_by_key_implILNS1_25lookback_scan_determinismE0ELb1ES3_N6thrust23THRUST_200600_302600_NS6detail15normal_iteratorINS9_10device_ptrIiEEEENSB_INSC_IsEEEESG_sNS9_4plusIvEENS9_8equal_toIvEEsEE10hipError_tPvRmT2_T3_T4_T5_mT6_T7_P12ihipStream_tbENKUlT_T0_E_clISt17integral_constantIbLb1EES10_IbLb0EEEEDaSW_SX_EUlSW_E_NS1_11comp_targetILNS1_3genE0ELNS1_11target_archE4294967295ELNS1_3gpuE0ELNS1_3repE0EEENS1_30default_config_static_selectorELNS0_4arch9wavefront6targetE0EEEvT1_: ; @_ZN7rocprim17ROCPRIM_400000_NS6detail17trampoline_kernelINS0_14default_configENS1_27scan_by_key_config_selectorIisEEZZNS1_16scan_by_key_implILNS1_25lookback_scan_determinismE0ELb1ES3_N6thrust23THRUST_200600_302600_NS6detail15normal_iteratorINS9_10device_ptrIiEEEENSB_INSC_IsEEEESG_sNS9_4plusIvEENS9_8equal_toIvEEsEE10hipError_tPvRmT2_T3_T4_T5_mT6_T7_P12ihipStream_tbENKUlT_T0_E_clISt17integral_constantIbLb1EES10_IbLb0EEEEDaSW_SX_EUlSW_E_NS1_11comp_targetILNS1_3genE0ELNS1_11target_archE4294967295ELNS1_3gpuE0ELNS1_3repE0EEENS1_30default_config_static_selectorELNS0_4arch9wavefront6targetE0EEEvT1_
; %bb.0:
	.section	.rodata,"a",@progbits
	.p2align	6, 0x0
	.amdhsa_kernel _ZN7rocprim17ROCPRIM_400000_NS6detail17trampoline_kernelINS0_14default_configENS1_27scan_by_key_config_selectorIisEEZZNS1_16scan_by_key_implILNS1_25lookback_scan_determinismE0ELb1ES3_N6thrust23THRUST_200600_302600_NS6detail15normal_iteratorINS9_10device_ptrIiEEEENSB_INSC_IsEEEESG_sNS9_4plusIvEENS9_8equal_toIvEEsEE10hipError_tPvRmT2_T3_T4_T5_mT6_T7_P12ihipStream_tbENKUlT_T0_E_clISt17integral_constantIbLb1EES10_IbLb0EEEEDaSW_SX_EUlSW_E_NS1_11comp_targetILNS1_3genE0ELNS1_11target_archE4294967295ELNS1_3gpuE0ELNS1_3repE0EEENS1_30default_config_static_selectorELNS0_4arch9wavefront6targetE0EEEvT1_
		.amdhsa_group_segment_fixed_size 0
		.amdhsa_private_segment_fixed_size 0
		.amdhsa_kernarg_size 112
		.amdhsa_user_sgpr_count 6
		.amdhsa_user_sgpr_private_segment_buffer 1
		.amdhsa_user_sgpr_dispatch_ptr 0
		.amdhsa_user_sgpr_queue_ptr 0
		.amdhsa_user_sgpr_kernarg_segment_ptr 1
		.amdhsa_user_sgpr_dispatch_id 0
		.amdhsa_user_sgpr_flat_scratch_init 0
		.amdhsa_user_sgpr_private_segment_size 0
		.amdhsa_wavefront_size32 1
		.amdhsa_uses_dynamic_stack 0
		.amdhsa_system_sgpr_private_segment_wavefront_offset 0
		.amdhsa_system_sgpr_workgroup_id_x 1
		.amdhsa_system_sgpr_workgroup_id_y 0
		.amdhsa_system_sgpr_workgroup_id_z 0
		.amdhsa_system_sgpr_workgroup_info 0
		.amdhsa_system_vgpr_workitem_id 0
		.amdhsa_next_free_vgpr 1
		.amdhsa_next_free_sgpr 1
		.amdhsa_reserve_vcc 0
		.amdhsa_reserve_flat_scratch 0
		.amdhsa_float_round_mode_32 0
		.amdhsa_float_round_mode_16_64 0
		.amdhsa_float_denorm_mode_32 3
		.amdhsa_float_denorm_mode_16_64 3
		.amdhsa_dx10_clamp 1
		.amdhsa_ieee_mode 1
		.amdhsa_fp16_overflow 0
		.amdhsa_workgroup_processor_mode 1
		.amdhsa_memory_ordered 1
		.amdhsa_forward_progress 1
		.amdhsa_shared_vgpr_count 0
		.amdhsa_exception_fp_ieee_invalid_op 0
		.amdhsa_exception_fp_denorm_src 0
		.amdhsa_exception_fp_ieee_div_zero 0
		.amdhsa_exception_fp_ieee_overflow 0
		.amdhsa_exception_fp_ieee_underflow 0
		.amdhsa_exception_fp_ieee_inexact 0
		.amdhsa_exception_int_div_zero 0
	.end_amdhsa_kernel
	.section	.text._ZN7rocprim17ROCPRIM_400000_NS6detail17trampoline_kernelINS0_14default_configENS1_27scan_by_key_config_selectorIisEEZZNS1_16scan_by_key_implILNS1_25lookback_scan_determinismE0ELb1ES3_N6thrust23THRUST_200600_302600_NS6detail15normal_iteratorINS9_10device_ptrIiEEEENSB_INSC_IsEEEESG_sNS9_4plusIvEENS9_8equal_toIvEEsEE10hipError_tPvRmT2_T3_T4_T5_mT6_T7_P12ihipStream_tbENKUlT_T0_E_clISt17integral_constantIbLb1EES10_IbLb0EEEEDaSW_SX_EUlSW_E_NS1_11comp_targetILNS1_3genE0ELNS1_11target_archE4294967295ELNS1_3gpuE0ELNS1_3repE0EEENS1_30default_config_static_selectorELNS0_4arch9wavefront6targetE0EEEvT1_,"axG",@progbits,_ZN7rocprim17ROCPRIM_400000_NS6detail17trampoline_kernelINS0_14default_configENS1_27scan_by_key_config_selectorIisEEZZNS1_16scan_by_key_implILNS1_25lookback_scan_determinismE0ELb1ES3_N6thrust23THRUST_200600_302600_NS6detail15normal_iteratorINS9_10device_ptrIiEEEENSB_INSC_IsEEEESG_sNS9_4plusIvEENS9_8equal_toIvEEsEE10hipError_tPvRmT2_T3_T4_T5_mT6_T7_P12ihipStream_tbENKUlT_T0_E_clISt17integral_constantIbLb1EES10_IbLb0EEEEDaSW_SX_EUlSW_E_NS1_11comp_targetILNS1_3genE0ELNS1_11target_archE4294967295ELNS1_3gpuE0ELNS1_3repE0EEENS1_30default_config_static_selectorELNS0_4arch9wavefront6targetE0EEEvT1_,comdat
.Lfunc_end1625:
	.size	_ZN7rocprim17ROCPRIM_400000_NS6detail17trampoline_kernelINS0_14default_configENS1_27scan_by_key_config_selectorIisEEZZNS1_16scan_by_key_implILNS1_25lookback_scan_determinismE0ELb1ES3_N6thrust23THRUST_200600_302600_NS6detail15normal_iteratorINS9_10device_ptrIiEEEENSB_INSC_IsEEEESG_sNS9_4plusIvEENS9_8equal_toIvEEsEE10hipError_tPvRmT2_T3_T4_T5_mT6_T7_P12ihipStream_tbENKUlT_T0_E_clISt17integral_constantIbLb1EES10_IbLb0EEEEDaSW_SX_EUlSW_E_NS1_11comp_targetILNS1_3genE0ELNS1_11target_archE4294967295ELNS1_3gpuE0ELNS1_3repE0EEENS1_30default_config_static_selectorELNS0_4arch9wavefront6targetE0EEEvT1_, .Lfunc_end1625-_ZN7rocprim17ROCPRIM_400000_NS6detail17trampoline_kernelINS0_14default_configENS1_27scan_by_key_config_selectorIisEEZZNS1_16scan_by_key_implILNS1_25lookback_scan_determinismE0ELb1ES3_N6thrust23THRUST_200600_302600_NS6detail15normal_iteratorINS9_10device_ptrIiEEEENSB_INSC_IsEEEESG_sNS9_4plusIvEENS9_8equal_toIvEEsEE10hipError_tPvRmT2_T3_T4_T5_mT6_T7_P12ihipStream_tbENKUlT_T0_E_clISt17integral_constantIbLb1EES10_IbLb0EEEEDaSW_SX_EUlSW_E_NS1_11comp_targetILNS1_3genE0ELNS1_11target_archE4294967295ELNS1_3gpuE0ELNS1_3repE0EEENS1_30default_config_static_selectorELNS0_4arch9wavefront6targetE0EEEvT1_
                                        ; -- End function
	.set _ZN7rocprim17ROCPRIM_400000_NS6detail17trampoline_kernelINS0_14default_configENS1_27scan_by_key_config_selectorIisEEZZNS1_16scan_by_key_implILNS1_25lookback_scan_determinismE0ELb1ES3_N6thrust23THRUST_200600_302600_NS6detail15normal_iteratorINS9_10device_ptrIiEEEENSB_INSC_IsEEEESG_sNS9_4plusIvEENS9_8equal_toIvEEsEE10hipError_tPvRmT2_T3_T4_T5_mT6_T7_P12ihipStream_tbENKUlT_T0_E_clISt17integral_constantIbLb1EES10_IbLb0EEEEDaSW_SX_EUlSW_E_NS1_11comp_targetILNS1_3genE0ELNS1_11target_archE4294967295ELNS1_3gpuE0ELNS1_3repE0EEENS1_30default_config_static_selectorELNS0_4arch9wavefront6targetE0EEEvT1_.num_vgpr, 0
	.set _ZN7rocprim17ROCPRIM_400000_NS6detail17trampoline_kernelINS0_14default_configENS1_27scan_by_key_config_selectorIisEEZZNS1_16scan_by_key_implILNS1_25lookback_scan_determinismE0ELb1ES3_N6thrust23THRUST_200600_302600_NS6detail15normal_iteratorINS9_10device_ptrIiEEEENSB_INSC_IsEEEESG_sNS9_4plusIvEENS9_8equal_toIvEEsEE10hipError_tPvRmT2_T3_T4_T5_mT6_T7_P12ihipStream_tbENKUlT_T0_E_clISt17integral_constantIbLb1EES10_IbLb0EEEEDaSW_SX_EUlSW_E_NS1_11comp_targetILNS1_3genE0ELNS1_11target_archE4294967295ELNS1_3gpuE0ELNS1_3repE0EEENS1_30default_config_static_selectorELNS0_4arch9wavefront6targetE0EEEvT1_.num_agpr, 0
	.set _ZN7rocprim17ROCPRIM_400000_NS6detail17trampoline_kernelINS0_14default_configENS1_27scan_by_key_config_selectorIisEEZZNS1_16scan_by_key_implILNS1_25lookback_scan_determinismE0ELb1ES3_N6thrust23THRUST_200600_302600_NS6detail15normal_iteratorINS9_10device_ptrIiEEEENSB_INSC_IsEEEESG_sNS9_4plusIvEENS9_8equal_toIvEEsEE10hipError_tPvRmT2_T3_T4_T5_mT6_T7_P12ihipStream_tbENKUlT_T0_E_clISt17integral_constantIbLb1EES10_IbLb0EEEEDaSW_SX_EUlSW_E_NS1_11comp_targetILNS1_3genE0ELNS1_11target_archE4294967295ELNS1_3gpuE0ELNS1_3repE0EEENS1_30default_config_static_selectorELNS0_4arch9wavefront6targetE0EEEvT1_.numbered_sgpr, 0
	.set _ZN7rocprim17ROCPRIM_400000_NS6detail17trampoline_kernelINS0_14default_configENS1_27scan_by_key_config_selectorIisEEZZNS1_16scan_by_key_implILNS1_25lookback_scan_determinismE0ELb1ES3_N6thrust23THRUST_200600_302600_NS6detail15normal_iteratorINS9_10device_ptrIiEEEENSB_INSC_IsEEEESG_sNS9_4plusIvEENS9_8equal_toIvEEsEE10hipError_tPvRmT2_T3_T4_T5_mT6_T7_P12ihipStream_tbENKUlT_T0_E_clISt17integral_constantIbLb1EES10_IbLb0EEEEDaSW_SX_EUlSW_E_NS1_11comp_targetILNS1_3genE0ELNS1_11target_archE4294967295ELNS1_3gpuE0ELNS1_3repE0EEENS1_30default_config_static_selectorELNS0_4arch9wavefront6targetE0EEEvT1_.num_named_barrier, 0
	.set _ZN7rocprim17ROCPRIM_400000_NS6detail17trampoline_kernelINS0_14default_configENS1_27scan_by_key_config_selectorIisEEZZNS1_16scan_by_key_implILNS1_25lookback_scan_determinismE0ELb1ES3_N6thrust23THRUST_200600_302600_NS6detail15normal_iteratorINS9_10device_ptrIiEEEENSB_INSC_IsEEEESG_sNS9_4plusIvEENS9_8equal_toIvEEsEE10hipError_tPvRmT2_T3_T4_T5_mT6_T7_P12ihipStream_tbENKUlT_T0_E_clISt17integral_constantIbLb1EES10_IbLb0EEEEDaSW_SX_EUlSW_E_NS1_11comp_targetILNS1_3genE0ELNS1_11target_archE4294967295ELNS1_3gpuE0ELNS1_3repE0EEENS1_30default_config_static_selectorELNS0_4arch9wavefront6targetE0EEEvT1_.private_seg_size, 0
	.set _ZN7rocprim17ROCPRIM_400000_NS6detail17trampoline_kernelINS0_14default_configENS1_27scan_by_key_config_selectorIisEEZZNS1_16scan_by_key_implILNS1_25lookback_scan_determinismE0ELb1ES3_N6thrust23THRUST_200600_302600_NS6detail15normal_iteratorINS9_10device_ptrIiEEEENSB_INSC_IsEEEESG_sNS9_4plusIvEENS9_8equal_toIvEEsEE10hipError_tPvRmT2_T3_T4_T5_mT6_T7_P12ihipStream_tbENKUlT_T0_E_clISt17integral_constantIbLb1EES10_IbLb0EEEEDaSW_SX_EUlSW_E_NS1_11comp_targetILNS1_3genE0ELNS1_11target_archE4294967295ELNS1_3gpuE0ELNS1_3repE0EEENS1_30default_config_static_selectorELNS0_4arch9wavefront6targetE0EEEvT1_.uses_vcc, 0
	.set _ZN7rocprim17ROCPRIM_400000_NS6detail17trampoline_kernelINS0_14default_configENS1_27scan_by_key_config_selectorIisEEZZNS1_16scan_by_key_implILNS1_25lookback_scan_determinismE0ELb1ES3_N6thrust23THRUST_200600_302600_NS6detail15normal_iteratorINS9_10device_ptrIiEEEENSB_INSC_IsEEEESG_sNS9_4plusIvEENS9_8equal_toIvEEsEE10hipError_tPvRmT2_T3_T4_T5_mT6_T7_P12ihipStream_tbENKUlT_T0_E_clISt17integral_constantIbLb1EES10_IbLb0EEEEDaSW_SX_EUlSW_E_NS1_11comp_targetILNS1_3genE0ELNS1_11target_archE4294967295ELNS1_3gpuE0ELNS1_3repE0EEENS1_30default_config_static_selectorELNS0_4arch9wavefront6targetE0EEEvT1_.uses_flat_scratch, 0
	.set _ZN7rocprim17ROCPRIM_400000_NS6detail17trampoline_kernelINS0_14default_configENS1_27scan_by_key_config_selectorIisEEZZNS1_16scan_by_key_implILNS1_25lookback_scan_determinismE0ELb1ES3_N6thrust23THRUST_200600_302600_NS6detail15normal_iteratorINS9_10device_ptrIiEEEENSB_INSC_IsEEEESG_sNS9_4plusIvEENS9_8equal_toIvEEsEE10hipError_tPvRmT2_T3_T4_T5_mT6_T7_P12ihipStream_tbENKUlT_T0_E_clISt17integral_constantIbLb1EES10_IbLb0EEEEDaSW_SX_EUlSW_E_NS1_11comp_targetILNS1_3genE0ELNS1_11target_archE4294967295ELNS1_3gpuE0ELNS1_3repE0EEENS1_30default_config_static_selectorELNS0_4arch9wavefront6targetE0EEEvT1_.has_dyn_sized_stack, 0
	.set _ZN7rocprim17ROCPRIM_400000_NS6detail17trampoline_kernelINS0_14default_configENS1_27scan_by_key_config_selectorIisEEZZNS1_16scan_by_key_implILNS1_25lookback_scan_determinismE0ELb1ES3_N6thrust23THRUST_200600_302600_NS6detail15normal_iteratorINS9_10device_ptrIiEEEENSB_INSC_IsEEEESG_sNS9_4plusIvEENS9_8equal_toIvEEsEE10hipError_tPvRmT2_T3_T4_T5_mT6_T7_P12ihipStream_tbENKUlT_T0_E_clISt17integral_constantIbLb1EES10_IbLb0EEEEDaSW_SX_EUlSW_E_NS1_11comp_targetILNS1_3genE0ELNS1_11target_archE4294967295ELNS1_3gpuE0ELNS1_3repE0EEENS1_30default_config_static_selectorELNS0_4arch9wavefront6targetE0EEEvT1_.has_recursion, 0
	.set _ZN7rocprim17ROCPRIM_400000_NS6detail17trampoline_kernelINS0_14default_configENS1_27scan_by_key_config_selectorIisEEZZNS1_16scan_by_key_implILNS1_25lookback_scan_determinismE0ELb1ES3_N6thrust23THRUST_200600_302600_NS6detail15normal_iteratorINS9_10device_ptrIiEEEENSB_INSC_IsEEEESG_sNS9_4plusIvEENS9_8equal_toIvEEsEE10hipError_tPvRmT2_T3_T4_T5_mT6_T7_P12ihipStream_tbENKUlT_T0_E_clISt17integral_constantIbLb1EES10_IbLb0EEEEDaSW_SX_EUlSW_E_NS1_11comp_targetILNS1_3genE0ELNS1_11target_archE4294967295ELNS1_3gpuE0ELNS1_3repE0EEENS1_30default_config_static_selectorELNS0_4arch9wavefront6targetE0EEEvT1_.has_indirect_call, 0
	.section	.AMDGPU.csdata,"",@progbits
; Kernel info:
; codeLenInByte = 0
; TotalNumSgprs: 0
; NumVgprs: 0
; ScratchSize: 0
; MemoryBound: 0
; FloatMode: 240
; IeeeMode: 1
; LDSByteSize: 0 bytes/workgroup (compile time only)
; SGPRBlocks: 0
; VGPRBlocks: 0
; NumSGPRsForWavesPerEU: 1
; NumVGPRsForWavesPerEU: 1
; Occupancy: 16
; WaveLimiterHint : 0
; COMPUTE_PGM_RSRC2:SCRATCH_EN: 0
; COMPUTE_PGM_RSRC2:USER_SGPR: 6
; COMPUTE_PGM_RSRC2:TRAP_HANDLER: 0
; COMPUTE_PGM_RSRC2:TGID_X_EN: 1
; COMPUTE_PGM_RSRC2:TGID_Y_EN: 0
; COMPUTE_PGM_RSRC2:TGID_Z_EN: 0
; COMPUTE_PGM_RSRC2:TIDIG_COMP_CNT: 0
	.section	.text._ZN7rocprim17ROCPRIM_400000_NS6detail17trampoline_kernelINS0_14default_configENS1_27scan_by_key_config_selectorIisEEZZNS1_16scan_by_key_implILNS1_25lookback_scan_determinismE0ELb1ES3_N6thrust23THRUST_200600_302600_NS6detail15normal_iteratorINS9_10device_ptrIiEEEENSB_INSC_IsEEEESG_sNS9_4plusIvEENS9_8equal_toIvEEsEE10hipError_tPvRmT2_T3_T4_T5_mT6_T7_P12ihipStream_tbENKUlT_T0_E_clISt17integral_constantIbLb1EES10_IbLb0EEEEDaSW_SX_EUlSW_E_NS1_11comp_targetILNS1_3genE10ELNS1_11target_archE1201ELNS1_3gpuE5ELNS1_3repE0EEENS1_30default_config_static_selectorELNS0_4arch9wavefront6targetE0EEEvT1_,"axG",@progbits,_ZN7rocprim17ROCPRIM_400000_NS6detail17trampoline_kernelINS0_14default_configENS1_27scan_by_key_config_selectorIisEEZZNS1_16scan_by_key_implILNS1_25lookback_scan_determinismE0ELb1ES3_N6thrust23THRUST_200600_302600_NS6detail15normal_iteratorINS9_10device_ptrIiEEEENSB_INSC_IsEEEESG_sNS9_4plusIvEENS9_8equal_toIvEEsEE10hipError_tPvRmT2_T3_T4_T5_mT6_T7_P12ihipStream_tbENKUlT_T0_E_clISt17integral_constantIbLb1EES10_IbLb0EEEEDaSW_SX_EUlSW_E_NS1_11comp_targetILNS1_3genE10ELNS1_11target_archE1201ELNS1_3gpuE5ELNS1_3repE0EEENS1_30default_config_static_selectorELNS0_4arch9wavefront6targetE0EEEvT1_,comdat
	.protected	_ZN7rocprim17ROCPRIM_400000_NS6detail17trampoline_kernelINS0_14default_configENS1_27scan_by_key_config_selectorIisEEZZNS1_16scan_by_key_implILNS1_25lookback_scan_determinismE0ELb1ES3_N6thrust23THRUST_200600_302600_NS6detail15normal_iteratorINS9_10device_ptrIiEEEENSB_INSC_IsEEEESG_sNS9_4plusIvEENS9_8equal_toIvEEsEE10hipError_tPvRmT2_T3_T4_T5_mT6_T7_P12ihipStream_tbENKUlT_T0_E_clISt17integral_constantIbLb1EES10_IbLb0EEEEDaSW_SX_EUlSW_E_NS1_11comp_targetILNS1_3genE10ELNS1_11target_archE1201ELNS1_3gpuE5ELNS1_3repE0EEENS1_30default_config_static_selectorELNS0_4arch9wavefront6targetE0EEEvT1_ ; -- Begin function _ZN7rocprim17ROCPRIM_400000_NS6detail17trampoline_kernelINS0_14default_configENS1_27scan_by_key_config_selectorIisEEZZNS1_16scan_by_key_implILNS1_25lookback_scan_determinismE0ELb1ES3_N6thrust23THRUST_200600_302600_NS6detail15normal_iteratorINS9_10device_ptrIiEEEENSB_INSC_IsEEEESG_sNS9_4plusIvEENS9_8equal_toIvEEsEE10hipError_tPvRmT2_T3_T4_T5_mT6_T7_P12ihipStream_tbENKUlT_T0_E_clISt17integral_constantIbLb1EES10_IbLb0EEEEDaSW_SX_EUlSW_E_NS1_11comp_targetILNS1_3genE10ELNS1_11target_archE1201ELNS1_3gpuE5ELNS1_3repE0EEENS1_30default_config_static_selectorELNS0_4arch9wavefront6targetE0EEEvT1_
	.globl	_ZN7rocprim17ROCPRIM_400000_NS6detail17trampoline_kernelINS0_14default_configENS1_27scan_by_key_config_selectorIisEEZZNS1_16scan_by_key_implILNS1_25lookback_scan_determinismE0ELb1ES3_N6thrust23THRUST_200600_302600_NS6detail15normal_iteratorINS9_10device_ptrIiEEEENSB_INSC_IsEEEESG_sNS9_4plusIvEENS9_8equal_toIvEEsEE10hipError_tPvRmT2_T3_T4_T5_mT6_T7_P12ihipStream_tbENKUlT_T0_E_clISt17integral_constantIbLb1EES10_IbLb0EEEEDaSW_SX_EUlSW_E_NS1_11comp_targetILNS1_3genE10ELNS1_11target_archE1201ELNS1_3gpuE5ELNS1_3repE0EEENS1_30default_config_static_selectorELNS0_4arch9wavefront6targetE0EEEvT1_
	.p2align	8
	.type	_ZN7rocprim17ROCPRIM_400000_NS6detail17trampoline_kernelINS0_14default_configENS1_27scan_by_key_config_selectorIisEEZZNS1_16scan_by_key_implILNS1_25lookback_scan_determinismE0ELb1ES3_N6thrust23THRUST_200600_302600_NS6detail15normal_iteratorINS9_10device_ptrIiEEEENSB_INSC_IsEEEESG_sNS9_4plusIvEENS9_8equal_toIvEEsEE10hipError_tPvRmT2_T3_T4_T5_mT6_T7_P12ihipStream_tbENKUlT_T0_E_clISt17integral_constantIbLb1EES10_IbLb0EEEEDaSW_SX_EUlSW_E_NS1_11comp_targetILNS1_3genE10ELNS1_11target_archE1201ELNS1_3gpuE5ELNS1_3repE0EEENS1_30default_config_static_selectorELNS0_4arch9wavefront6targetE0EEEvT1_,@function
_ZN7rocprim17ROCPRIM_400000_NS6detail17trampoline_kernelINS0_14default_configENS1_27scan_by_key_config_selectorIisEEZZNS1_16scan_by_key_implILNS1_25lookback_scan_determinismE0ELb1ES3_N6thrust23THRUST_200600_302600_NS6detail15normal_iteratorINS9_10device_ptrIiEEEENSB_INSC_IsEEEESG_sNS9_4plusIvEENS9_8equal_toIvEEsEE10hipError_tPvRmT2_T3_T4_T5_mT6_T7_P12ihipStream_tbENKUlT_T0_E_clISt17integral_constantIbLb1EES10_IbLb0EEEEDaSW_SX_EUlSW_E_NS1_11comp_targetILNS1_3genE10ELNS1_11target_archE1201ELNS1_3gpuE5ELNS1_3repE0EEENS1_30default_config_static_selectorELNS0_4arch9wavefront6targetE0EEEvT1_: ; @_ZN7rocprim17ROCPRIM_400000_NS6detail17trampoline_kernelINS0_14default_configENS1_27scan_by_key_config_selectorIisEEZZNS1_16scan_by_key_implILNS1_25lookback_scan_determinismE0ELb1ES3_N6thrust23THRUST_200600_302600_NS6detail15normal_iteratorINS9_10device_ptrIiEEEENSB_INSC_IsEEEESG_sNS9_4plusIvEENS9_8equal_toIvEEsEE10hipError_tPvRmT2_T3_T4_T5_mT6_T7_P12ihipStream_tbENKUlT_T0_E_clISt17integral_constantIbLb1EES10_IbLb0EEEEDaSW_SX_EUlSW_E_NS1_11comp_targetILNS1_3genE10ELNS1_11target_archE1201ELNS1_3gpuE5ELNS1_3repE0EEENS1_30default_config_static_selectorELNS0_4arch9wavefront6targetE0EEEvT1_
; %bb.0:
	.section	.rodata,"a",@progbits
	.p2align	6, 0x0
	.amdhsa_kernel _ZN7rocprim17ROCPRIM_400000_NS6detail17trampoline_kernelINS0_14default_configENS1_27scan_by_key_config_selectorIisEEZZNS1_16scan_by_key_implILNS1_25lookback_scan_determinismE0ELb1ES3_N6thrust23THRUST_200600_302600_NS6detail15normal_iteratorINS9_10device_ptrIiEEEENSB_INSC_IsEEEESG_sNS9_4plusIvEENS9_8equal_toIvEEsEE10hipError_tPvRmT2_T3_T4_T5_mT6_T7_P12ihipStream_tbENKUlT_T0_E_clISt17integral_constantIbLb1EES10_IbLb0EEEEDaSW_SX_EUlSW_E_NS1_11comp_targetILNS1_3genE10ELNS1_11target_archE1201ELNS1_3gpuE5ELNS1_3repE0EEENS1_30default_config_static_selectorELNS0_4arch9wavefront6targetE0EEEvT1_
		.amdhsa_group_segment_fixed_size 0
		.amdhsa_private_segment_fixed_size 0
		.amdhsa_kernarg_size 112
		.amdhsa_user_sgpr_count 6
		.amdhsa_user_sgpr_private_segment_buffer 1
		.amdhsa_user_sgpr_dispatch_ptr 0
		.amdhsa_user_sgpr_queue_ptr 0
		.amdhsa_user_sgpr_kernarg_segment_ptr 1
		.amdhsa_user_sgpr_dispatch_id 0
		.amdhsa_user_sgpr_flat_scratch_init 0
		.amdhsa_user_sgpr_private_segment_size 0
		.amdhsa_wavefront_size32 1
		.amdhsa_uses_dynamic_stack 0
		.amdhsa_system_sgpr_private_segment_wavefront_offset 0
		.amdhsa_system_sgpr_workgroup_id_x 1
		.amdhsa_system_sgpr_workgroup_id_y 0
		.amdhsa_system_sgpr_workgroup_id_z 0
		.amdhsa_system_sgpr_workgroup_info 0
		.amdhsa_system_vgpr_workitem_id 0
		.amdhsa_next_free_vgpr 1
		.amdhsa_next_free_sgpr 1
		.amdhsa_reserve_vcc 0
		.amdhsa_reserve_flat_scratch 0
		.amdhsa_float_round_mode_32 0
		.amdhsa_float_round_mode_16_64 0
		.amdhsa_float_denorm_mode_32 3
		.amdhsa_float_denorm_mode_16_64 3
		.amdhsa_dx10_clamp 1
		.amdhsa_ieee_mode 1
		.amdhsa_fp16_overflow 0
		.amdhsa_workgroup_processor_mode 1
		.amdhsa_memory_ordered 1
		.amdhsa_forward_progress 1
		.amdhsa_shared_vgpr_count 0
		.amdhsa_exception_fp_ieee_invalid_op 0
		.amdhsa_exception_fp_denorm_src 0
		.amdhsa_exception_fp_ieee_div_zero 0
		.amdhsa_exception_fp_ieee_overflow 0
		.amdhsa_exception_fp_ieee_underflow 0
		.amdhsa_exception_fp_ieee_inexact 0
		.amdhsa_exception_int_div_zero 0
	.end_amdhsa_kernel
	.section	.text._ZN7rocprim17ROCPRIM_400000_NS6detail17trampoline_kernelINS0_14default_configENS1_27scan_by_key_config_selectorIisEEZZNS1_16scan_by_key_implILNS1_25lookback_scan_determinismE0ELb1ES3_N6thrust23THRUST_200600_302600_NS6detail15normal_iteratorINS9_10device_ptrIiEEEENSB_INSC_IsEEEESG_sNS9_4plusIvEENS9_8equal_toIvEEsEE10hipError_tPvRmT2_T3_T4_T5_mT6_T7_P12ihipStream_tbENKUlT_T0_E_clISt17integral_constantIbLb1EES10_IbLb0EEEEDaSW_SX_EUlSW_E_NS1_11comp_targetILNS1_3genE10ELNS1_11target_archE1201ELNS1_3gpuE5ELNS1_3repE0EEENS1_30default_config_static_selectorELNS0_4arch9wavefront6targetE0EEEvT1_,"axG",@progbits,_ZN7rocprim17ROCPRIM_400000_NS6detail17trampoline_kernelINS0_14default_configENS1_27scan_by_key_config_selectorIisEEZZNS1_16scan_by_key_implILNS1_25lookback_scan_determinismE0ELb1ES3_N6thrust23THRUST_200600_302600_NS6detail15normal_iteratorINS9_10device_ptrIiEEEENSB_INSC_IsEEEESG_sNS9_4plusIvEENS9_8equal_toIvEEsEE10hipError_tPvRmT2_T3_T4_T5_mT6_T7_P12ihipStream_tbENKUlT_T0_E_clISt17integral_constantIbLb1EES10_IbLb0EEEEDaSW_SX_EUlSW_E_NS1_11comp_targetILNS1_3genE10ELNS1_11target_archE1201ELNS1_3gpuE5ELNS1_3repE0EEENS1_30default_config_static_selectorELNS0_4arch9wavefront6targetE0EEEvT1_,comdat
.Lfunc_end1626:
	.size	_ZN7rocprim17ROCPRIM_400000_NS6detail17trampoline_kernelINS0_14default_configENS1_27scan_by_key_config_selectorIisEEZZNS1_16scan_by_key_implILNS1_25lookback_scan_determinismE0ELb1ES3_N6thrust23THRUST_200600_302600_NS6detail15normal_iteratorINS9_10device_ptrIiEEEENSB_INSC_IsEEEESG_sNS9_4plusIvEENS9_8equal_toIvEEsEE10hipError_tPvRmT2_T3_T4_T5_mT6_T7_P12ihipStream_tbENKUlT_T0_E_clISt17integral_constantIbLb1EES10_IbLb0EEEEDaSW_SX_EUlSW_E_NS1_11comp_targetILNS1_3genE10ELNS1_11target_archE1201ELNS1_3gpuE5ELNS1_3repE0EEENS1_30default_config_static_selectorELNS0_4arch9wavefront6targetE0EEEvT1_, .Lfunc_end1626-_ZN7rocprim17ROCPRIM_400000_NS6detail17trampoline_kernelINS0_14default_configENS1_27scan_by_key_config_selectorIisEEZZNS1_16scan_by_key_implILNS1_25lookback_scan_determinismE0ELb1ES3_N6thrust23THRUST_200600_302600_NS6detail15normal_iteratorINS9_10device_ptrIiEEEENSB_INSC_IsEEEESG_sNS9_4plusIvEENS9_8equal_toIvEEsEE10hipError_tPvRmT2_T3_T4_T5_mT6_T7_P12ihipStream_tbENKUlT_T0_E_clISt17integral_constantIbLb1EES10_IbLb0EEEEDaSW_SX_EUlSW_E_NS1_11comp_targetILNS1_3genE10ELNS1_11target_archE1201ELNS1_3gpuE5ELNS1_3repE0EEENS1_30default_config_static_selectorELNS0_4arch9wavefront6targetE0EEEvT1_
                                        ; -- End function
	.set _ZN7rocprim17ROCPRIM_400000_NS6detail17trampoline_kernelINS0_14default_configENS1_27scan_by_key_config_selectorIisEEZZNS1_16scan_by_key_implILNS1_25lookback_scan_determinismE0ELb1ES3_N6thrust23THRUST_200600_302600_NS6detail15normal_iteratorINS9_10device_ptrIiEEEENSB_INSC_IsEEEESG_sNS9_4plusIvEENS9_8equal_toIvEEsEE10hipError_tPvRmT2_T3_T4_T5_mT6_T7_P12ihipStream_tbENKUlT_T0_E_clISt17integral_constantIbLb1EES10_IbLb0EEEEDaSW_SX_EUlSW_E_NS1_11comp_targetILNS1_3genE10ELNS1_11target_archE1201ELNS1_3gpuE5ELNS1_3repE0EEENS1_30default_config_static_selectorELNS0_4arch9wavefront6targetE0EEEvT1_.num_vgpr, 0
	.set _ZN7rocprim17ROCPRIM_400000_NS6detail17trampoline_kernelINS0_14default_configENS1_27scan_by_key_config_selectorIisEEZZNS1_16scan_by_key_implILNS1_25lookback_scan_determinismE0ELb1ES3_N6thrust23THRUST_200600_302600_NS6detail15normal_iteratorINS9_10device_ptrIiEEEENSB_INSC_IsEEEESG_sNS9_4plusIvEENS9_8equal_toIvEEsEE10hipError_tPvRmT2_T3_T4_T5_mT6_T7_P12ihipStream_tbENKUlT_T0_E_clISt17integral_constantIbLb1EES10_IbLb0EEEEDaSW_SX_EUlSW_E_NS1_11comp_targetILNS1_3genE10ELNS1_11target_archE1201ELNS1_3gpuE5ELNS1_3repE0EEENS1_30default_config_static_selectorELNS0_4arch9wavefront6targetE0EEEvT1_.num_agpr, 0
	.set _ZN7rocprim17ROCPRIM_400000_NS6detail17trampoline_kernelINS0_14default_configENS1_27scan_by_key_config_selectorIisEEZZNS1_16scan_by_key_implILNS1_25lookback_scan_determinismE0ELb1ES3_N6thrust23THRUST_200600_302600_NS6detail15normal_iteratorINS9_10device_ptrIiEEEENSB_INSC_IsEEEESG_sNS9_4plusIvEENS9_8equal_toIvEEsEE10hipError_tPvRmT2_T3_T4_T5_mT6_T7_P12ihipStream_tbENKUlT_T0_E_clISt17integral_constantIbLb1EES10_IbLb0EEEEDaSW_SX_EUlSW_E_NS1_11comp_targetILNS1_3genE10ELNS1_11target_archE1201ELNS1_3gpuE5ELNS1_3repE0EEENS1_30default_config_static_selectorELNS0_4arch9wavefront6targetE0EEEvT1_.numbered_sgpr, 0
	.set _ZN7rocprim17ROCPRIM_400000_NS6detail17trampoline_kernelINS0_14default_configENS1_27scan_by_key_config_selectorIisEEZZNS1_16scan_by_key_implILNS1_25lookback_scan_determinismE0ELb1ES3_N6thrust23THRUST_200600_302600_NS6detail15normal_iteratorINS9_10device_ptrIiEEEENSB_INSC_IsEEEESG_sNS9_4plusIvEENS9_8equal_toIvEEsEE10hipError_tPvRmT2_T3_T4_T5_mT6_T7_P12ihipStream_tbENKUlT_T0_E_clISt17integral_constantIbLb1EES10_IbLb0EEEEDaSW_SX_EUlSW_E_NS1_11comp_targetILNS1_3genE10ELNS1_11target_archE1201ELNS1_3gpuE5ELNS1_3repE0EEENS1_30default_config_static_selectorELNS0_4arch9wavefront6targetE0EEEvT1_.num_named_barrier, 0
	.set _ZN7rocprim17ROCPRIM_400000_NS6detail17trampoline_kernelINS0_14default_configENS1_27scan_by_key_config_selectorIisEEZZNS1_16scan_by_key_implILNS1_25lookback_scan_determinismE0ELb1ES3_N6thrust23THRUST_200600_302600_NS6detail15normal_iteratorINS9_10device_ptrIiEEEENSB_INSC_IsEEEESG_sNS9_4plusIvEENS9_8equal_toIvEEsEE10hipError_tPvRmT2_T3_T4_T5_mT6_T7_P12ihipStream_tbENKUlT_T0_E_clISt17integral_constantIbLb1EES10_IbLb0EEEEDaSW_SX_EUlSW_E_NS1_11comp_targetILNS1_3genE10ELNS1_11target_archE1201ELNS1_3gpuE5ELNS1_3repE0EEENS1_30default_config_static_selectorELNS0_4arch9wavefront6targetE0EEEvT1_.private_seg_size, 0
	.set _ZN7rocprim17ROCPRIM_400000_NS6detail17trampoline_kernelINS0_14default_configENS1_27scan_by_key_config_selectorIisEEZZNS1_16scan_by_key_implILNS1_25lookback_scan_determinismE0ELb1ES3_N6thrust23THRUST_200600_302600_NS6detail15normal_iteratorINS9_10device_ptrIiEEEENSB_INSC_IsEEEESG_sNS9_4plusIvEENS9_8equal_toIvEEsEE10hipError_tPvRmT2_T3_T4_T5_mT6_T7_P12ihipStream_tbENKUlT_T0_E_clISt17integral_constantIbLb1EES10_IbLb0EEEEDaSW_SX_EUlSW_E_NS1_11comp_targetILNS1_3genE10ELNS1_11target_archE1201ELNS1_3gpuE5ELNS1_3repE0EEENS1_30default_config_static_selectorELNS0_4arch9wavefront6targetE0EEEvT1_.uses_vcc, 0
	.set _ZN7rocprim17ROCPRIM_400000_NS6detail17trampoline_kernelINS0_14default_configENS1_27scan_by_key_config_selectorIisEEZZNS1_16scan_by_key_implILNS1_25lookback_scan_determinismE0ELb1ES3_N6thrust23THRUST_200600_302600_NS6detail15normal_iteratorINS9_10device_ptrIiEEEENSB_INSC_IsEEEESG_sNS9_4plusIvEENS9_8equal_toIvEEsEE10hipError_tPvRmT2_T3_T4_T5_mT6_T7_P12ihipStream_tbENKUlT_T0_E_clISt17integral_constantIbLb1EES10_IbLb0EEEEDaSW_SX_EUlSW_E_NS1_11comp_targetILNS1_3genE10ELNS1_11target_archE1201ELNS1_3gpuE5ELNS1_3repE0EEENS1_30default_config_static_selectorELNS0_4arch9wavefront6targetE0EEEvT1_.uses_flat_scratch, 0
	.set _ZN7rocprim17ROCPRIM_400000_NS6detail17trampoline_kernelINS0_14default_configENS1_27scan_by_key_config_selectorIisEEZZNS1_16scan_by_key_implILNS1_25lookback_scan_determinismE0ELb1ES3_N6thrust23THRUST_200600_302600_NS6detail15normal_iteratorINS9_10device_ptrIiEEEENSB_INSC_IsEEEESG_sNS9_4plusIvEENS9_8equal_toIvEEsEE10hipError_tPvRmT2_T3_T4_T5_mT6_T7_P12ihipStream_tbENKUlT_T0_E_clISt17integral_constantIbLb1EES10_IbLb0EEEEDaSW_SX_EUlSW_E_NS1_11comp_targetILNS1_3genE10ELNS1_11target_archE1201ELNS1_3gpuE5ELNS1_3repE0EEENS1_30default_config_static_selectorELNS0_4arch9wavefront6targetE0EEEvT1_.has_dyn_sized_stack, 0
	.set _ZN7rocprim17ROCPRIM_400000_NS6detail17trampoline_kernelINS0_14default_configENS1_27scan_by_key_config_selectorIisEEZZNS1_16scan_by_key_implILNS1_25lookback_scan_determinismE0ELb1ES3_N6thrust23THRUST_200600_302600_NS6detail15normal_iteratorINS9_10device_ptrIiEEEENSB_INSC_IsEEEESG_sNS9_4plusIvEENS9_8equal_toIvEEsEE10hipError_tPvRmT2_T3_T4_T5_mT6_T7_P12ihipStream_tbENKUlT_T0_E_clISt17integral_constantIbLb1EES10_IbLb0EEEEDaSW_SX_EUlSW_E_NS1_11comp_targetILNS1_3genE10ELNS1_11target_archE1201ELNS1_3gpuE5ELNS1_3repE0EEENS1_30default_config_static_selectorELNS0_4arch9wavefront6targetE0EEEvT1_.has_recursion, 0
	.set _ZN7rocprim17ROCPRIM_400000_NS6detail17trampoline_kernelINS0_14default_configENS1_27scan_by_key_config_selectorIisEEZZNS1_16scan_by_key_implILNS1_25lookback_scan_determinismE0ELb1ES3_N6thrust23THRUST_200600_302600_NS6detail15normal_iteratorINS9_10device_ptrIiEEEENSB_INSC_IsEEEESG_sNS9_4plusIvEENS9_8equal_toIvEEsEE10hipError_tPvRmT2_T3_T4_T5_mT6_T7_P12ihipStream_tbENKUlT_T0_E_clISt17integral_constantIbLb1EES10_IbLb0EEEEDaSW_SX_EUlSW_E_NS1_11comp_targetILNS1_3genE10ELNS1_11target_archE1201ELNS1_3gpuE5ELNS1_3repE0EEENS1_30default_config_static_selectorELNS0_4arch9wavefront6targetE0EEEvT1_.has_indirect_call, 0
	.section	.AMDGPU.csdata,"",@progbits
; Kernel info:
; codeLenInByte = 0
; TotalNumSgprs: 0
; NumVgprs: 0
; ScratchSize: 0
; MemoryBound: 0
; FloatMode: 240
; IeeeMode: 1
; LDSByteSize: 0 bytes/workgroup (compile time only)
; SGPRBlocks: 0
; VGPRBlocks: 0
; NumSGPRsForWavesPerEU: 1
; NumVGPRsForWavesPerEU: 1
; Occupancy: 16
; WaveLimiterHint : 0
; COMPUTE_PGM_RSRC2:SCRATCH_EN: 0
; COMPUTE_PGM_RSRC2:USER_SGPR: 6
; COMPUTE_PGM_RSRC2:TRAP_HANDLER: 0
; COMPUTE_PGM_RSRC2:TGID_X_EN: 1
; COMPUTE_PGM_RSRC2:TGID_Y_EN: 0
; COMPUTE_PGM_RSRC2:TGID_Z_EN: 0
; COMPUTE_PGM_RSRC2:TIDIG_COMP_CNT: 0
	.section	.text._ZN7rocprim17ROCPRIM_400000_NS6detail17trampoline_kernelINS0_14default_configENS1_27scan_by_key_config_selectorIisEEZZNS1_16scan_by_key_implILNS1_25lookback_scan_determinismE0ELb1ES3_N6thrust23THRUST_200600_302600_NS6detail15normal_iteratorINS9_10device_ptrIiEEEENSB_INSC_IsEEEESG_sNS9_4plusIvEENS9_8equal_toIvEEsEE10hipError_tPvRmT2_T3_T4_T5_mT6_T7_P12ihipStream_tbENKUlT_T0_E_clISt17integral_constantIbLb1EES10_IbLb0EEEEDaSW_SX_EUlSW_E_NS1_11comp_targetILNS1_3genE5ELNS1_11target_archE942ELNS1_3gpuE9ELNS1_3repE0EEENS1_30default_config_static_selectorELNS0_4arch9wavefront6targetE0EEEvT1_,"axG",@progbits,_ZN7rocprim17ROCPRIM_400000_NS6detail17trampoline_kernelINS0_14default_configENS1_27scan_by_key_config_selectorIisEEZZNS1_16scan_by_key_implILNS1_25lookback_scan_determinismE0ELb1ES3_N6thrust23THRUST_200600_302600_NS6detail15normal_iteratorINS9_10device_ptrIiEEEENSB_INSC_IsEEEESG_sNS9_4plusIvEENS9_8equal_toIvEEsEE10hipError_tPvRmT2_T3_T4_T5_mT6_T7_P12ihipStream_tbENKUlT_T0_E_clISt17integral_constantIbLb1EES10_IbLb0EEEEDaSW_SX_EUlSW_E_NS1_11comp_targetILNS1_3genE5ELNS1_11target_archE942ELNS1_3gpuE9ELNS1_3repE0EEENS1_30default_config_static_selectorELNS0_4arch9wavefront6targetE0EEEvT1_,comdat
	.protected	_ZN7rocprim17ROCPRIM_400000_NS6detail17trampoline_kernelINS0_14default_configENS1_27scan_by_key_config_selectorIisEEZZNS1_16scan_by_key_implILNS1_25lookback_scan_determinismE0ELb1ES3_N6thrust23THRUST_200600_302600_NS6detail15normal_iteratorINS9_10device_ptrIiEEEENSB_INSC_IsEEEESG_sNS9_4plusIvEENS9_8equal_toIvEEsEE10hipError_tPvRmT2_T3_T4_T5_mT6_T7_P12ihipStream_tbENKUlT_T0_E_clISt17integral_constantIbLb1EES10_IbLb0EEEEDaSW_SX_EUlSW_E_NS1_11comp_targetILNS1_3genE5ELNS1_11target_archE942ELNS1_3gpuE9ELNS1_3repE0EEENS1_30default_config_static_selectorELNS0_4arch9wavefront6targetE0EEEvT1_ ; -- Begin function _ZN7rocprim17ROCPRIM_400000_NS6detail17trampoline_kernelINS0_14default_configENS1_27scan_by_key_config_selectorIisEEZZNS1_16scan_by_key_implILNS1_25lookback_scan_determinismE0ELb1ES3_N6thrust23THRUST_200600_302600_NS6detail15normal_iteratorINS9_10device_ptrIiEEEENSB_INSC_IsEEEESG_sNS9_4plusIvEENS9_8equal_toIvEEsEE10hipError_tPvRmT2_T3_T4_T5_mT6_T7_P12ihipStream_tbENKUlT_T0_E_clISt17integral_constantIbLb1EES10_IbLb0EEEEDaSW_SX_EUlSW_E_NS1_11comp_targetILNS1_3genE5ELNS1_11target_archE942ELNS1_3gpuE9ELNS1_3repE0EEENS1_30default_config_static_selectorELNS0_4arch9wavefront6targetE0EEEvT1_
	.globl	_ZN7rocprim17ROCPRIM_400000_NS6detail17trampoline_kernelINS0_14default_configENS1_27scan_by_key_config_selectorIisEEZZNS1_16scan_by_key_implILNS1_25lookback_scan_determinismE0ELb1ES3_N6thrust23THRUST_200600_302600_NS6detail15normal_iteratorINS9_10device_ptrIiEEEENSB_INSC_IsEEEESG_sNS9_4plusIvEENS9_8equal_toIvEEsEE10hipError_tPvRmT2_T3_T4_T5_mT6_T7_P12ihipStream_tbENKUlT_T0_E_clISt17integral_constantIbLb1EES10_IbLb0EEEEDaSW_SX_EUlSW_E_NS1_11comp_targetILNS1_3genE5ELNS1_11target_archE942ELNS1_3gpuE9ELNS1_3repE0EEENS1_30default_config_static_selectorELNS0_4arch9wavefront6targetE0EEEvT1_
	.p2align	8
	.type	_ZN7rocprim17ROCPRIM_400000_NS6detail17trampoline_kernelINS0_14default_configENS1_27scan_by_key_config_selectorIisEEZZNS1_16scan_by_key_implILNS1_25lookback_scan_determinismE0ELb1ES3_N6thrust23THRUST_200600_302600_NS6detail15normal_iteratorINS9_10device_ptrIiEEEENSB_INSC_IsEEEESG_sNS9_4plusIvEENS9_8equal_toIvEEsEE10hipError_tPvRmT2_T3_T4_T5_mT6_T7_P12ihipStream_tbENKUlT_T0_E_clISt17integral_constantIbLb1EES10_IbLb0EEEEDaSW_SX_EUlSW_E_NS1_11comp_targetILNS1_3genE5ELNS1_11target_archE942ELNS1_3gpuE9ELNS1_3repE0EEENS1_30default_config_static_selectorELNS0_4arch9wavefront6targetE0EEEvT1_,@function
_ZN7rocprim17ROCPRIM_400000_NS6detail17trampoline_kernelINS0_14default_configENS1_27scan_by_key_config_selectorIisEEZZNS1_16scan_by_key_implILNS1_25lookback_scan_determinismE0ELb1ES3_N6thrust23THRUST_200600_302600_NS6detail15normal_iteratorINS9_10device_ptrIiEEEENSB_INSC_IsEEEESG_sNS9_4plusIvEENS9_8equal_toIvEEsEE10hipError_tPvRmT2_T3_T4_T5_mT6_T7_P12ihipStream_tbENKUlT_T0_E_clISt17integral_constantIbLb1EES10_IbLb0EEEEDaSW_SX_EUlSW_E_NS1_11comp_targetILNS1_3genE5ELNS1_11target_archE942ELNS1_3gpuE9ELNS1_3repE0EEENS1_30default_config_static_selectorELNS0_4arch9wavefront6targetE0EEEvT1_: ; @_ZN7rocprim17ROCPRIM_400000_NS6detail17trampoline_kernelINS0_14default_configENS1_27scan_by_key_config_selectorIisEEZZNS1_16scan_by_key_implILNS1_25lookback_scan_determinismE0ELb1ES3_N6thrust23THRUST_200600_302600_NS6detail15normal_iteratorINS9_10device_ptrIiEEEENSB_INSC_IsEEEESG_sNS9_4plusIvEENS9_8equal_toIvEEsEE10hipError_tPvRmT2_T3_T4_T5_mT6_T7_P12ihipStream_tbENKUlT_T0_E_clISt17integral_constantIbLb1EES10_IbLb0EEEEDaSW_SX_EUlSW_E_NS1_11comp_targetILNS1_3genE5ELNS1_11target_archE942ELNS1_3gpuE9ELNS1_3repE0EEENS1_30default_config_static_selectorELNS0_4arch9wavefront6targetE0EEEvT1_
; %bb.0:
	.section	.rodata,"a",@progbits
	.p2align	6, 0x0
	.amdhsa_kernel _ZN7rocprim17ROCPRIM_400000_NS6detail17trampoline_kernelINS0_14default_configENS1_27scan_by_key_config_selectorIisEEZZNS1_16scan_by_key_implILNS1_25lookback_scan_determinismE0ELb1ES3_N6thrust23THRUST_200600_302600_NS6detail15normal_iteratorINS9_10device_ptrIiEEEENSB_INSC_IsEEEESG_sNS9_4plusIvEENS9_8equal_toIvEEsEE10hipError_tPvRmT2_T3_T4_T5_mT6_T7_P12ihipStream_tbENKUlT_T0_E_clISt17integral_constantIbLb1EES10_IbLb0EEEEDaSW_SX_EUlSW_E_NS1_11comp_targetILNS1_3genE5ELNS1_11target_archE942ELNS1_3gpuE9ELNS1_3repE0EEENS1_30default_config_static_selectorELNS0_4arch9wavefront6targetE0EEEvT1_
		.amdhsa_group_segment_fixed_size 0
		.amdhsa_private_segment_fixed_size 0
		.amdhsa_kernarg_size 112
		.amdhsa_user_sgpr_count 6
		.amdhsa_user_sgpr_private_segment_buffer 1
		.amdhsa_user_sgpr_dispatch_ptr 0
		.amdhsa_user_sgpr_queue_ptr 0
		.amdhsa_user_sgpr_kernarg_segment_ptr 1
		.amdhsa_user_sgpr_dispatch_id 0
		.amdhsa_user_sgpr_flat_scratch_init 0
		.amdhsa_user_sgpr_private_segment_size 0
		.amdhsa_wavefront_size32 1
		.amdhsa_uses_dynamic_stack 0
		.amdhsa_system_sgpr_private_segment_wavefront_offset 0
		.amdhsa_system_sgpr_workgroup_id_x 1
		.amdhsa_system_sgpr_workgroup_id_y 0
		.amdhsa_system_sgpr_workgroup_id_z 0
		.amdhsa_system_sgpr_workgroup_info 0
		.amdhsa_system_vgpr_workitem_id 0
		.amdhsa_next_free_vgpr 1
		.amdhsa_next_free_sgpr 1
		.amdhsa_reserve_vcc 0
		.amdhsa_reserve_flat_scratch 0
		.amdhsa_float_round_mode_32 0
		.amdhsa_float_round_mode_16_64 0
		.amdhsa_float_denorm_mode_32 3
		.amdhsa_float_denorm_mode_16_64 3
		.amdhsa_dx10_clamp 1
		.amdhsa_ieee_mode 1
		.amdhsa_fp16_overflow 0
		.amdhsa_workgroup_processor_mode 1
		.amdhsa_memory_ordered 1
		.amdhsa_forward_progress 1
		.amdhsa_shared_vgpr_count 0
		.amdhsa_exception_fp_ieee_invalid_op 0
		.amdhsa_exception_fp_denorm_src 0
		.amdhsa_exception_fp_ieee_div_zero 0
		.amdhsa_exception_fp_ieee_overflow 0
		.amdhsa_exception_fp_ieee_underflow 0
		.amdhsa_exception_fp_ieee_inexact 0
		.amdhsa_exception_int_div_zero 0
	.end_amdhsa_kernel
	.section	.text._ZN7rocprim17ROCPRIM_400000_NS6detail17trampoline_kernelINS0_14default_configENS1_27scan_by_key_config_selectorIisEEZZNS1_16scan_by_key_implILNS1_25lookback_scan_determinismE0ELb1ES3_N6thrust23THRUST_200600_302600_NS6detail15normal_iteratorINS9_10device_ptrIiEEEENSB_INSC_IsEEEESG_sNS9_4plusIvEENS9_8equal_toIvEEsEE10hipError_tPvRmT2_T3_T4_T5_mT6_T7_P12ihipStream_tbENKUlT_T0_E_clISt17integral_constantIbLb1EES10_IbLb0EEEEDaSW_SX_EUlSW_E_NS1_11comp_targetILNS1_3genE5ELNS1_11target_archE942ELNS1_3gpuE9ELNS1_3repE0EEENS1_30default_config_static_selectorELNS0_4arch9wavefront6targetE0EEEvT1_,"axG",@progbits,_ZN7rocprim17ROCPRIM_400000_NS6detail17trampoline_kernelINS0_14default_configENS1_27scan_by_key_config_selectorIisEEZZNS1_16scan_by_key_implILNS1_25lookback_scan_determinismE0ELb1ES3_N6thrust23THRUST_200600_302600_NS6detail15normal_iteratorINS9_10device_ptrIiEEEENSB_INSC_IsEEEESG_sNS9_4plusIvEENS9_8equal_toIvEEsEE10hipError_tPvRmT2_T3_T4_T5_mT6_T7_P12ihipStream_tbENKUlT_T0_E_clISt17integral_constantIbLb1EES10_IbLb0EEEEDaSW_SX_EUlSW_E_NS1_11comp_targetILNS1_3genE5ELNS1_11target_archE942ELNS1_3gpuE9ELNS1_3repE0EEENS1_30default_config_static_selectorELNS0_4arch9wavefront6targetE0EEEvT1_,comdat
.Lfunc_end1627:
	.size	_ZN7rocprim17ROCPRIM_400000_NS6detail17trampoline_kernelINS0_14default_configENS1_27scan_by_key_config_selectorIisEEZZNS1_16scan_by_key_implILNS1_25lookback_scan_determinismE0ELb1ES3_N6thrust23THRUST_200600_302600_NS6detail15normal_iteratorINS9_10device_ptrIiEEEENSB_INSC_IsEEEESG_sNS9_4plusIvEENS9_8equal_toIvEEsEE10hipError_tPvRmT2_T3_T4_T5_mT6_T7_P12ihipStream_tbENKUlT_T0_E_clISt17integral_constantIbLb1EES10_IbLb0EEEEDaSW_SX_EUlSW_E_NS1_11comp_targetILNS1_3genE5ELNS1_11target_archE942ELNS1_3gpuE9ELNS1_3repE0EEENS1_30default_config_static_selectorELNS0_4arch9wavefront6targetE0EEEvT1_, .Lfunc_end1627-_ZN7rocprim17ROCPRIM_400000_NS6detail17trampoline_kernelINS0_14default_configENS1_27scan_by_key_config_selectorIisEEZZNS1_16scan_by_key_implILNS1_25lookback_scan_determinismE0ELb1ES3_N6thrust23THRUST_200600_302600_NS6detail15normal_iteratorINS9_10device_ptrIiEEEENSB_INSC_IsEEEESG_sNS9_4plusIvEENS9_8equal_toIvEEsEE10hipError_tPvRmT2_T3_T4_T5_mT6_T7_P12ihipStream_tbENKUlT_T0_E_clISt17integral_constantIbLb1EES10_IbLb0EEEEDaSW_SX_EUlSW_E_NS1_11comp_targetILNS1_3genE5ELNS1_11target_archE942ELNS1_3gpuE9ELNS1_3repE0EEENS1_30default_config_static_selectorELNS0_4arch9wavefront6targetE0EEEvT1_
                                        ; -- End function
	.set _ZN7rocprim17ROCPRIM_400000_NS6detail17trampoline_kernelINS0_14default_configENS1_27scan_by_key_config_selectorIisEEZZNS1_16scan_by_key_implILNS1_25lookback_scan_determinismE0ELb1ES3_N6thrust23THRUST_200600_302600_NS6detail15normal_iteratorINS9_10device_ptrIiEEEENSB_INSC_IsEEEESG_sNS9_4plusIvEENS9_8equal_toIvEEsEE10hipError_tPvRmT2_T3_T4_T5_mT6_T7_P12ihipStream_tbENKUlT_T0_E_clISt17integral_constantIbLb1EES10_IbLb0EEEEDaSW_SX_EUlSW_E_NS1_11comp_targetILNS1_3genE5ELNS1_11target_archE942ELNS1_3gpuE9ELNS1_3repE0EEENS1_30default_config_static_selectorELNS0_4arch9wavefront6targetE0EEEvT1_.num_vgpr, 0
	.set _ZN7rocprim17ROCPRIM_400000_NS6detail17trampoline_kernelINS0_14default_configENS1_27scan_by_key_config_selectorIisEEZZNS1_16scan_by_key_implILNS1_25lookback_scan_determinismE0ELb1ES3_N6thrust23THRUST_200600_302600_NS6detail15normal_iteratorINS9_10device_ptrIiEEEENSB_INSC_IsEEEESG_sNS9_4plusIvEENS9_8equal_toIvEEsEE10hipError_tPvRmT2_T3_T4_T5_mT6_T7_P12ihipStream_tbENKUlT_T0_E_clISt17integral_constantIbLb1EES10_IbLb0EEEEDaSW_SX_EUlSW_E_NS1_11comp_targetILNS1_3genE5ELNS1_11target_archE942ELNS1_3gpuE9ELNS1_3repE0EEENS1_30default_config_static_selectorELNS0_4arch9wavefront6targetE0EEEvT1_.num_agpr, 0
	.set _ZN7rocprim17ROCPRIM_400000_NS6detail17trampoline_kernelINS0_14default_configENS1_27scan_by_key_config_selectorIisEEZZNS1_16scan_by_key_implILNS1_25lookback_scan_determinismE0ELb1ES3_N6thrust23THRUST_200600_302600_NS6detail15normal_iteratorINS9_10device_ptrIiEEEENSB_INSC_IsEEEESG_sNS9_4plusIvEENS9_8equal_toIvEEsEE10hipError_tPvRmT2_T3_T4_T5_mT6_T7_P12ihipStream_tbENKUlT_T0_E_clISt17integral_constantIbLb1EES10_IbLb0EEEEDaSW_SX_EUlSW_E_NS1_11comp_targetILNS1_3genE5ELNS1_11target_archE942ELNS1_3gpuE9ELNS1_3repE0EEENS1_30default_config_static_selectorELNS0_4arch9wavefront6targetE0EEEvT1_.numbered_sgpr, 0
	.set _ZN7rocprim17ROCPRIM_400000_NS6detail17trampoline_kernelINS0_14default_configENS1_27scan_by_key_config_selectorIisEEZZNS1_16scan_by_key_implILNS1_25lookback_scan_determinismE0ELb1ES3_N6thrust23THRUST_200600_302600_NS6detail15normal_iteratorINS9_10device_ptrIiEEEENSB_INSC_IsEEEESG_sNS9_4plusIvEENS9_8equal_toIvEEsEE10hipError_tPvRmT2_T3_T4_T5_mT6_T7_P12ihipStream_tbENKUlT_T0_E_clISt17integral_constantIbLb1EES10_IbLb0EEEEDaSW_SX_EUlSW_E_NS1_11comp_targetILNS1_3genE5ELNS1_11target_archE942ELNS1_3gpuE9ELNS1_3repE0EEENS1_30default_config_static_selectorELNS0_4arch9wavefront6targetE0EEEvT1_.num_named_barrier, 0
	.set _ZN7rocprim17ROCPRIM_400000_NS6detail17trampoline_kernelINS0_14default_configENS1_27scan_by_key_config_selectorIisEEZZNS1_16scan_by_key_implILNS1_25lookback_scan_determinismE0ELb1ES3_N6thrust23THRUST_200600_302600_NS6detail15normal_iteratorINS9_10device_ptrIiEEEENSB_INSC_IsEEEESG_sNS9_4plusIvEENS9_8equal_toIvEEsEE10hipError_tPvRmT2_T3_T4_T5_mT6_T7_P12ihipStream_tbENKUlT_T0_E_clISt17integral_constantIbLb1EES10_IbLb0EEEEDaSW_SX_EUlSW_E_NS1_11comp_targetILNS1_3genE5ELNS1_11target_archE942ELNS1_3gpuE9ELNS1_3repE0EEENS1_30default_config_static_selectorELNS0_4arch9wavefront6targetE0EEEvT1_.private_seg_size, 0
	.set _ZN7rocprim17ROCPRIM_400000_NS6detail17trampoline_kernelINS0_14default_configENS1_27scan_by_key_config_selectorIisEEZZNS1_16scan_by_key_implILNS1_25lookback_scan_determinismE0ELb1ES3_N6thrust23THRUST_200600_302600_NS6detail15normal_iteratorINS9_10device_ptrIiEEEENSB_INSC_IsEEEESG_sNS9_4plusIvEENS9_8equal_toIvEEsEE10hipError_tPvRmT2_T3_T4_T5_mT6_T7_P12ihipStream_tbENKUlT_T0_E_clISt17integral_constantIbLb1EES10_IbLb0EEEEDaSW_SX_EUlSW_E_NS1_11comp_targetILNS1_3genE5ELNS1_11target_archE942ELNS1_3gpuE9ELNS1_3repE0EEENS1_30default_config_static_selectorELNS0_4arch9wavefront6targetE0EEEvT1_.uses_vcc, 0
	.set _ZN7rocprim17ROCPRIM_400000_NS6detail17trampoline_kernelINS0_14default_configENS1_27scan_by_key_config_selectorIisEEZZNS1_16scan_by_key_implILNS1_25lookback_scan_determinismE0ELb1ES3_N6thrust23THRUST_200600_302600_NS6detail15normal_iteratorINS9_10device_ptrIiEEEENSB_INSC_IsEEEESG_sNS9_4plusIvEENS9_8equal_toIvEEsEE10hipError_tPvRmT2_T3_T4_T5_mT6_T7_P12ihipStream_tbENKUlT_T0_E_clISt17integral_constantIbLb1EES10_IbLb0EEEEDaSW_SX_EUlSW_E_NS1_11comp_targetILNS1_3genE5ELNS1_11target_archE942ELNS1_3gpuE9ELNS1_3repE0EEENS1_30default_config_static_selectorELNS0_4arch9wavefront6targetE0EEEvT1_.uses_flat_scratch, 0
	.set _ZN7rocprim17ROCPRIM_400000_NS6detail17trampoline_kernelINS0_14default_configENS1_27scan_by_key_config_selectorIisEEZZNS1_16scan_by_key_implILNS1_25lookback_scan_determinismE0ELb1ES3_N6thrust23THRUST_200600_302600_NS6detail15normal_iteratorINS9_10device_ptrIiEEEENSB_INSC_IsEEEESG_sNS9_4plusIvEENS9_8equal_toIvEEsEE10hipError_tPvRmT2_T3_T4_T5_mT6_T7_P12ihipStream_tbENKUlT_T0_E_clISt17integral_constantIbLb1EES10_IbLb0EEEEDaSW_SX_EUlSW_E_NS1_11comp_targetILNS1_3genE5ELNS1_11target_archE942ELNS1_3gpuE9ELNS1_3repE0EEENS1_30default_config_static_selectorELNS0_4arch9wavefront6targetE0EEEvT1_.has_dyn_sized_stack, 0
	.set _ZN7rocprim17ROCPRIM_400000_NS6detail17trampoline_kernelINS0_14default_configENS1_27scan_by_key_config_selectorIisEEZZNS1_16scan_by_key_implILNS1_25lookback_scan_determinismE0ELb1ES3_N6thrust23THRUST_200600_302600_NS6detail15normal_iteratorINS9_10device_ptrIiEEEENSB_INSC_IsEEEESG_sNS9_4plusIvEENS9_8equal_toIvEEsEE10hipError_tPvRmT2_T3_T4_T5_mT6_T7_P12ihipStream_tbENKUlT_T0_E_clISt17integral_constantIbLb1EES10_IbLb0EEEEDaSW_SX_EUlSW_E_NS1_11comp_targetILNS1_3genE5ELNS1_11target_archE942ELNS1_3gpuE9ELNS1_3repE0EEENS1_30default_config_static_selectorELNS0_4arch9wavefront6targetE0EEEvT1_.has_recursion, 0
	.set _ZN7rocprim17ROCPRIM_400000_NS6detail17trampoline_kernelINS0_14default_configENS1_27scan_by_key_config_selectorIisEEZZNS1_16scan_by_key_implILNS1_25lookback_scan_determinismE0ELb1ES3_N6thrust23THRUST_200600_302600_NS6detail15normal_iteratorINS9_10device_ptrIiEEEENSB_INSC_IsEEEESG_sNS9_4plusIvEENS9_8equal_toIvEEsEE10hipError_tPvRmT2_T3_T4_T5_mT6_T7_P12ihipStream_tbENKUlT_T0_E_clISt17integral_constantIbLb1EES10_IbLb0EEEEDaSW_SX_EUlSW_E_NS1_11comp_targetILNS1_3genE5ELNS1_11target_archE942ELNS1_3gpuE9ELNS1_3repE0EEENS1_30default_config_static_selectorELNS0_4arch9wavefront6targetE0EEEvT1_.has_indirect_call, 0
	.section	.AMDGPU.csdata,"",@progbits
; Kernel info:
; codeLenInByte = 0
; TotalNumSgprs: 0
; NumVgprs: 0
; ScratchSize: 0
; MemoryBound: 0
; FloatMode: 240
; IeeeMode: 1
; LDSByteSize: 0 bytes/workgroup (compile time only)
; SGPRBlocks: 0
; VGPRBlocks: 0
; NumSGPRsForWavesPerEU: 1
; NumVGPRsForWavesPerEU: 1
; Occupancy: 16
; WaveLimiterHint : 0
; COMPUTE_PGM_RSRC2:SCRATCH_EN: 0
; COMPUTE_PGM_RSRC2:USER_SGPR: 6
; COMPUTE_PGM_RSRC2:TRAP_HANDLER: 0
; COMPUTE_PGM_RSRC2:TGID_X_EN: 1
; COMPUTE_PGM_RSRC2:TGID_Y_EN: 0
; COMPUTE_PGM_RSRC2:TGID_Z_EN: 0
; COMPUTE_PGM_RSRC2:TIDIG_COMP_CNT: 0
	.section	.text._ZN7rocprim17ROCPRIM_400000_NS6detail17trampoline_kernelINS0_14default_configENS1_27scan_by_key_config_selectorIisEEZZNS1_16scan_by_key_implILNS1_25lookback_scan_determinismE0ELb1ES3_N6thrust23THRUST_200600_302600_NS6detail15normal_iteratorINS9_10device_ptrIiEEEENSB_INSC_IsEEEESG_sNS9_4plusIvEENS9_8equal_toIvEEsEE10hipError_tPvRmT2_T3_T4_T5_mT6_T7_P12ihipStream_tbENKUlT_T0_E_clISt17integral_constantIbLb1EES10_IbLb0EEEEDaSW_SX_EUlSW_E_NS1_11comp_targetILNS1_3genE4ELNS1_11target_archE910ELNS1_3gpuE8ELNS1_3repE0EEENS1_30default_config_static_selectorELNS0_4arch9wavefront6targetE0EEEvT1_,"axG",@progbits,_ZN7rocprim17ROCPRIM_400000_NS6detail17trampoline_kernelINS0_14default_configENS1_27scan_by_key_config_selectorIisEEZZNS1_16scan_by_key_implILNS1_25lookback_scan_determinismE0ELb1ES3_N6thrust23THRUST_200600_302600_NS6detail15normal_iteratorINS9_10device_ptrIiEEEENSB_INSC_IsEEEESG_sNS9_4plusIvEENS9_8equal_toIvEEsEE10hipError_tPvRmT2_T3_T4_T5_mT6_T7_P12ihipStream_tbENKUlT_T0_E_clISt17integral_constantIbLb1EES10_IbLb0EEEEDaSW_SX_EUlSW_E_NS1_11comp_targetILNS1_3genE4ELNS1_11target_archE910ELNS1_3gpuE8ELNS1_3repE0EEENS1_30default_config_static_selectorELNS0_4arch9wavefront6targetE0EEEvT1_,comdat
	.protected	_ZN7rocprim17ROCPRIM_400000_NS6detail17trampoline_kernelINS0_14default_configENS1_27scan_by_key_config_selectorIisEEZZNS1_16scan_by_key_implILNS1_25lookback_scan_determinismE0ELb1ES3_N6thrust23THRUST_200600_302600_NS6detail15normal_iteratorINS9_10device_ptrIiEEEENSB_INSC_IsEEEESG_sNS9_4plusIvEENS9_8equal_toIvEEsEE10hipError_tPvRmT2_T3_T4_T5_mT6_T7_P12ihipStream_tbENKUlT_T0_E_clISt17integral_constantIbLb1EES10_IbLb0EEEEDaSW_SX_EUlSW_E_NS1_11comp_targetILNS1_3genE4ELNS1_11target_archE910ELNS1_3gpuE8ELNS1_3repE0EEENS1_30default_config_static_selectorELNS0_4arch9wavefront6targetE0EEEvT1_ ; -- Begin function _ZN7rocprim17ROCPRIM_400000_NS6detail17trampoline_kernelINS0_14default_configENS1_27scan_by_key_config_selectorIisEEZZNS1_16scan_by_key_implILNS1_25lookback_scan_determinismE0ELb1ES3_N6thrust23THRUST_200600_302600_NS6detail15normal_iteratorINS9_10device_ptrIiEEEENSB_INSC_IsEEEESG_sNS9_4plusIvEENS9_8equal_toIvEEsEE10hipError_tPvRmT2_T3_T4_T5_mT6_T7_P12ihipStream_tbENKUlT_T0_E_clISt17integral_constantIbLb1EES10_IbLb0EEEEDaSW_SX_EUlSW_E_NS1_11comp_targetILNS1_3genE4ELNS1_11target_archE910ELNS1_3gpuE8ELNS1_3repE0EEENS1_30default_config_static_selectorELNS0_4arch9wavefront6targetE0EEEvT1_
	.globl	_ZN7rocprim17ROCPRIM_400000_NS6detail17trampoline_kernelINS0_14default_configENS1_27scan_by_key_config_selectorIisEEZZNS1_16scan_by_key_implILNS1_25lookback_scan_determinismE0ELb1ES3_N6thrust23THRUST_200600_302600_NS6detail15normal_iteratorINS9_10device_ptrIiEEEENSB_INSC_IsEEEESG_sNS9_4plusIvEENS9_8equal_toIvEEsEE10hipError_tPvRmT2_T3_T4_T5_mT6_T7_P12ihipStream_tbENKUlT_T0_E_clISt17integral_constantIbLb1EES10_IbLb0EEEEDaSW_SX_EUlSW_E_NS1_11comp_targetILNS1_3genE4ELNS1_11target_archE910ELNS1_3gpuE8ELNS1_3repE0EEENS1_30default_config_static_selectorELNS0_4arch9wavefront6targetE0EEEvT1_
	.p2align	8
	.type	_ZN7rocprim17ROCPRIM_400000_NS6detail17trampoline_kernelINS0_14default_configENS1_27scan_by_key_config_selectorIisEEZZNS1_16scan_by_key_implILNS1_25lookback_scan_determinismE0ELb1ES3_N6thrust23THRUST_200600_302600_NS6detail15normal_iteratorINS9_10device_ptrIiEEEENSB_INSC_IsEEEESG_sNS9_4plusIvEENS9_8equal_toIvEEsEE10hipError_tPvRmT2_T3_T4_T5_mT6_T7_P12ihipStream_tbENKUlT_T0_E_clISt17integral_constantIbLb1EES10_IbLb0EEEEDaSW_SX_EUlSW_E_NS1_11comp_targetILNS1_3genE4ELNS1_11target_archE910ELNS1_3gpuE8ELNS1_3repE0EEENS1_30default_config_static_selectorELNS0_4arch9wavefront6targetE0EEEvT1_,@function
_ZN7rocprim17ROCPRIM_400000_NS6detail17trampoline_kernelINS0_14default_configENS1_27scan_by_key_config_selectorIisEEZZNS1_16scan_by_key_implILNS1_25lookback_scan_determinismE0ELb1ES3_N6thrust23THRUST_200600_302600_NS6detail15normal_iteratorINS9_10device_ptrIiEEEENSB_INSC_IsEEEESG_sNS9_4plusIvEENS9_8equal_toIvEEsEE10hipError_tPvRmT2_T3_T4_T5_mT6_T7_P12ihipStream_tbENKUlT_T0_E_clISt17integral_constantIbLb1EES10_IbLb0EEEEDaSW_SX_EUlSW_E_NS1_11comp_targetILNS1_3genE4ELNS1_11target_archE910ELNS1_3gpuE8ELNS1_3repE0EEENS1_30default_config_static_selectorELNS0_4arch9wavefront6targetE0EEEvT1_: ; @_ZN7rocprim17ROCPRIM_400000_NS6detail17trampoline_kernelINS0_14default_configENS1_27scan_by_key_config_selectorIisEEZZNS1_16scan_by_key_implILNS1_25lookback_scan_determinismE0ELb1ES3_N6thrust23THRUST_200600_302600_NS6detail15normal_iteratorINS9_10device_ptrIiEEEENSB_INSC_IsEEEESG_sNS9_4plusIvEENS9_8equal_toIvEEsEE10hipError_tPvRmT2_T3_T4_T5_mT6_T7_P12ihipStream_tbENKUlT_T0_E_clISt17integral_constantIbLb1EES10_IbLb0EEEEDaSW_SX_EUlSW_E_NS1_11comp_targetILNS1_3genE4ELNS1_11target_archE910ELNS1_3gpuE8ELNS1_3repE0EEENS1_30default_config_static_selectorELNS0_4arch9wavefront6targetE0EEEvT1_
; %bb.0:
	.section	.rodata,"a",@progbits
	.p2align	6, 0x0
	.amdhsa_kernel _ZN7rocprim17ROCPRIM_400000_NS6detail17trampoline_kernelINS0_14default_configENS1_27scan_by_key_config_selectorIisEEZZNS1_16scan_by_key_implILNS1_25lookback_scan_determinismE0ELb1ES3_N6thrust23THRUST_200600_302600_NS6detail15normal_iteratorINS9_10device_ptrIiEEEENSB_INSC_IsEEEESG_sNS9_4plusIvEENS9_8equal_toIvEEsEE10hipError_tPvRmT2_T3_T4_T5_mT6_T7_P12ihipStream_tbENKUlT_T0_E_clISt17integral_constantIbLb1EES10_IbLb0EEEEDaSW_SX_EUlSW_E_NS1_11comp_targetILNS1_3genE4ELNS1_11target_archE910ELNS1_3gpuE8ELNS1_3repE0EEENS1_30default_config_static_selectorELNS0_4arch9wavefront6targetE0EEEvT1_
		.amdhsa_group_segment_fixed_size 0
		.amdhsa_private_segment_fixed_size 0
		.amdhsa_kernarg_size 112
		.amdhsa_user_sgpr_count 6
		.amdhsa_user_sgpr_private_segment_buffer 1
		.amdhsa_user_sgpr_dispatch_ptr 0
		.amdhsa_user_sgpr_queue_ptr 0
		.amdhsa_user_sgpr_kernarg_segment_ptr 1
		.amdhsa_user_sgpr_dispatch_id 0
		.amdhsa_user_sgpr_flat_scratch_init 0
		.amdhsa_user_sgpr_private_segment_size 0
		.amdhsa_wavefront_size32 1
		.amdhsa_uses_dynamic_stack 0
		.amdhsa_system_sgpr_private_segment_wavefront_offset 0
		.amdhsa_system_sgpr_workgroup_id_x 1
		.amdhsa_system_sgpr_workgroup_id_y 0
		.amdhsa_system_sgpr_workgroup_id_z 0
		.amdhsa_system_sgpr_workgroup_info 0
		.amdhsa_system_vgpr_workitem_id 0
		.amdhsa_next_free_vgpr 1
		.amdhsa_next_free_sgpr 1
		.amdhsa_reserve_vcc 0
		.amdhsa_reserve_flat_scratch 0
		.amdhsa_float_round_mode_32 0
		.amdhsa_float_round_mode_16_64 0
		.amdhsa_float_denorm_mode_32 3
		.amdhsa_float_denorm_mode_16_64 3
		.amdhsa_dx10_clamp 1
		.amdhsa_ieee_mode 1
		.amdhsa_fp16_overflow 0
		.amdhsa_workgroup_processor_mode 1
		.amdhsa_memory_ordered 1
		.amdhsa_forward_progress 1
		.amdhsa_shared_vgpr_count 0
		.amdhsa_exception_fp_ieee_invalid_op 0
		.amdhsa_exception_fp_denorm_src 0
		.amdhsa_exception_fp_ieee_div_zero 0
		.amdhsa_exception_fp_ieee_overflow 0
		.amdhsa_exception_fp_ieee_underflow 0
		.amdhsa_exception_fp_ieee_inexact 0
		.amdhsa_exception_int_div_zero 0
	.end_amdhsa_kernel
	.section	.text._ZN7rocprim17ROCPRIM_400000_NS6detail17trampoline_kernelINS0_14default_configENS1_27scan_by_key_config_selectorIisEEZZNS1_16scan_by_key_implILNS1_25lookback_scan_determinismE0ELb1ES3_N6thrust23THRUST_200600_302600_NS6detail15normal_iteratorINS9_10device_ptrIiEEEENSB_INSC_IsEEEESG_sNS9_4plusIvEENS9_8equal_toIvEEsEE10hipError_tPvRmT2_T3_T4_T5_mT6_T7_P12ihipStream_tbENKUlT_T0_E_clISt17integral_constantIbLb1EES10_IbLb0EEEEDaSW_SX_EUlSW_E_NS1_11comp_targetILNS1_3genE4ELNS1_11target_archE910ELNS1_3gpuE8ELNS1_3repE0EEENS1_30default_config_static_selectorELNS0_4arch9wavefront6targetE0EEEvT1_,"axG",@progbits,_ZN7rocprim17ROCPRIM_400000_NS6detail17trampoline_kernelINS0_14default_configENS1_27scan_by_key_config_selectorIisEEZZNS1_16scan_by_key_implILNS1_25lookback_scan_determinismE0ELb1ES3_N6thrust23THRUST_200600_302600_NS6detail15normal_iteratorINS9_10device_ptrIiEEEENSB_INSC_IsEEEESG_sNS9_4plusIvEENS9_8equal_toIvEEsEE10hipError_tPvRmT2_T3_T4_T5_mT6_T7_P12ihipStream_tbENKUlT_T0_E_clISt17integral_constantIbLb1EES10_IbLb0EEEEDaSW_SX_EUlSW_E_NS1_11comp_targetILNS1_3genE4ELNS1_11target_archE910ELNS1_3gpuE8ELNS1_3repE0EEENS1_30default_config_static_selectorELNS0_4arch9wavefront6targetE0EEEvT1_,comdat
.Lfunc_end1628:
	.size	_ZN7rocprim17ROCPRIM_400000_NS6detail17trampoline_kernelINS0_14default_configENS1_27scan_by_key_config_selectorIisEEZZNS1_16scan_by_key_implILNS1_25lookback_scan_determinismE0ELb1ES3_N6thrust23THRUST_200600_302600_NS6detail15normal_iteratorINS9_10device_ptrIiEEEENSB_INSC_IsEEEESG_sNS9_4plusIvEENS9_8equal_toIvEEsEE10hipError_tPvRmT2_T3_T4_T5_mT6_T7_P12ihipStream_tbENKUlT_T0_E_clISt17integral_constantIbLb1EES10_IbLb0EEEEDaSW_SX_EUlSW_E_NS1_11comp_targetILNS1_3genE4ELNS1_11target_archE910ELNS1_3gpuE8ELNS1_3repE0EEENS1_30default_config_static_selectorELNS0_4arch9wavefront6targetE0EEEvT1_, .Lfunc_end1628-_ZN7rocprim17ROCPRIM_400000_NS6detail17trampoline_kernelINS0_14default_configENS1_27scan_by_key_config_selectorIisEEZZNS1_16scan_by_key_implILNS1_25lookback_scan_determinismE0ELb1ES3_N6thrust23THRUST_200600_302600_NS6detail15normal_iteratorINS9_10device_ptrIiEEEENSB_INSC_IsEEEESG_sNS9_4plusIvEENS9_8equal_toIvEEsEE10hipError_tPvRmT2_T3_T4_T5_mT6_T7_P12ihipStream_tbENKUlT_T0_E_clISt17integral_constantIbLb1EES10_IbLb0EEEEDaSW_SX_EUlSW_E_NS1_11comp_targetILNS1_3genE4ELNS1_11target_archE910ELNS1_3gpuE8ELNS1_3repE0EEENS1_30default_config_static_selectorELNS0_4arch9wavefront6targetE0EEEvT1_
                                        ; -- End function
	.set _ZN7rocprim17ROCPRIM_400000_NS6detail17trampoline_kernelINS0_14default_configENS1_27scan_by_key_config_selectorIisEEZZNS1_16scan_by_key_implILNS1_25lookback_scan_determinismE0ELb1ES3_N6thrust23THRUST_200600_302600_NS6detail15normal_iteratorINS9_10device_ptrIiEEEENSB_INSC_IsEEEESG_sNS9_4plusIvEENS9_8equal_toIvEEsEE10hipError_tPvRmT2_T3_T4_T5_mT6_T7_P12ihipStream_tbENKUlT_T0_E_clISt17integral_constantIbLb1EES10_IbLb0EEEEDaSW_SX_EUlSW_E_NS1_11comp_targetILNS1_3genE4ELNS1_11target_archE910ELNS1_3gpuE8ELNS1_3repE0EEENS1_30default_config_static_selectorELNS0_4arch9wavefront6targetE0EEEvT1_.num_vgpr, 0
	.set _ZN7rocprim17ROCPRIM_400000_NS6detail17trampoline_kernelINS0_14default_configENS1_27scan_by_key_config_selectorIisEEZZNS1_16scan_by_key_implILNS1_25lookback_scan_determinismE0ELb1ES3_N6thrust23THRUST_200600_302600_NS6detail15normal_iteratorINS9_10device_ptrIiEEEENSB_INSC_IsEEEESG_sNS9_4plusIvEENS9_8equal_toIvEEsEE10hipError_tPvRmT2_T3_T4_T5_mT6_T7_P12ihipStream_tbENKUlT_T0_E_clISt17integral_constantIbLb1EES10_IbLb0EEEEDaSW_SX_EUlSW_E_NS1_11comp_targetILNS1_3genE4ELNS1_11target_archE910ELNS1_3gpuE8ELNS1_3repE0EEENS1_30default_config_static_selectorELNS0_4arch9wavefront6targetE0EEEvT1_.num_agpr, 0
	.set _ZN7rocprim17ROCPRIM_400000_NS6detail17trampoline_kernelINS0_14default_configENS1_27scan_by_key_config_selectorIisEEZZNS1_16scan_by_key_implILNS1_25lookback_scan_determinismE0ELb1ES3_N6thrust23THRUST_200600_302600_NS6detail15normal_iteratorINS9_10device_ptrIiEEEENSB_INSC_IsEEEESG_sNS9_4plusIvEENS9_8equal_toIvEEsEE10hipError_tPvRmT2_T3_T4_T5_mT6_T7_P12ihipStream_tbENKUlT_T0_E_clISt17integral_constantIbLb1EES10_IbLb0EEEEDaSW_SX_EUlSW_E_NS1_11comp_targetILNS1_3genE4ELNS1_11target_archE910ELNS1_3gpuE8ELNS1_3repE0EEENS1_30default_config_static_selectorELNS0_4arch9wavefront6targetE0EEEvT1_.numbered_sgpr, 0
	.set _ZN7rocprim17ROCPRIM_400000_NS6detail17trampoline_kernelINS0_14default_configENS1_27scan_by_key_config_selectorIisEEZZNS1_16scan_by_key_implILNS1_25lookback_scan_determinismE0ELb1ES3_N6thrust23THRUST_200600_302600_NS6detail15normal_iteratorINS9_10device_ptrIiEEEENSB_INSC_IsEEEESG_sNS9_4plusIvEENS9_8equal_toIvEEsEE10hipError_tPvRmT2_T3_T4_T5_mT6_T7_P12ihipStream_tbENKUlT_T0_E_clISt17integral_constantIbLb1EES10_IbLb0EEEEDaSW_SX_EUlSW_E_NS1_11comp_targetILNS1_3genE4ELNS1_11target_archE910ELNS1_3gpuE8ELNS1_3repE0EEENS1_30default_config_static_selectorELNS0_4arch9wavefront6targetE0EEEvT1_.num_named_barrier, 0
	.set _ZN7rocprim17ROCPRIM_400000_NS6detail17trampoline_kernelINS0_14default_configENS1_27scan_by_key_config_selectorIisEEZZNS1_16scan_by_key_implILNS1_25lookback_scan_determinismE0ELb1ES3_N6thrust23THRUST_200600_302600_NS6detail15normal_iteratorINS9_10device_ptrIiEEEENSB_INSC_IsEEEESG_sNS9_4plusIvEENS9_8equal_toIvEEsEE10hipError_tPvRmT2_T3_T4_T5_mT6_T7_P12ihipStream_tbENKUlT_T0_E_clISt17integral_constantIbLb1EES10_IbLb0EEEEDaSW_SX_EUlSW_E_NS1_11comp_targetILNS1_3genE4ELNS1_11target_archE910ELNS1_3gpuE8ELNS1_3repE0EEENS1_30default_config_static_selectorELNS0_4arch9wavefront6targetE0EEEvT1_.private_seg_size, 0
	.set _ZN7rocprim17ROCPRIM_400000_NS6detail17trampoline_kernelINS0_14default_configENS1_27scan_by_key_config_selectorIisEEZZNS1_16scan_by_key_implILNS1_25lookback_scan_determinismE0ELb1ES3_N6thrust23THRUST_200600_302600_NS6detail15normal_iteratorINS9_10device_ptrIiEEEENSB_INSC_IsEEEESG_sNS9_4plusIvEENS9_8equal_toIvEEsEE10hipError_tPvRmT2_T3_T4_T5_mT6_T7_P12ihipStream_tbENKUlT_T0_E_clISt17integral_constantIbLb1EES10_IbLb0EEEEDaSW_SX_EUlSW_E_NS1_11comp_targetILNS1_3genE4ELNS1_11target_archE910ELNS1_3gpuE8ELNS1_3repE0EEENS1_30default_config_static_selectorELNS0_4arch9wavefront6targetE0EEEvT1_.uses_vcc, 0
	.set _ZN7rocprim17ROCPRIM_400000_NS6detail17trampoline_kernelINS0_14default_configENS1_27scan_by_key_config_selectorIisEEZZNS1_16scan_by_key_implILNS1_25lookback_scan_determinismE0ELb1ES3_N6thrust23THRUST_200600_302600_NS6detail15normal_iteratorINS9_10device_ptrIiEEEENSB_INSC_IsEEEESG_sNS9_4plusIvEENS9_8equal_toIvEEsEE10hipError_tPvRmT2_T3_T4_T5_mT6_T7_P12ihipStream_tbENKUlT_T0_E_clISt17integral_constantIbLb1EES10_IbLb0EEEEDaSW_SX_EUlSW_E_NS1_11comp_targetILNS1_3genE4ELNS1_11target_archE910ELNS1_3gpuE8ELNS1_3repE0EEENS1_30default_config_static_selectorELNS0_4arch9wavefront6targetE0EEEvT1_.uses_flat_scratch, 0
	.set _ZN7rocprim17ROCPRIM_400000_NS6detail17trampoline_kernelINS0_14default_configENS1_27scan_by_key_config_selectorIisEEZZNS1_16scan_by_key_implILNS1_25lookback_scan_determinismE0ELb1ES3_N6thrust23THRUST_200600_302600_NS6detail15normal_iteratorINS9_10device_ptrIiEEEENSB_INSC_IsEEEESG_sNS9_4plusIvEENS9_8equal_toIvEEsEE10hipError_tPvRmT2_T3_T4_T5_mT6_T7_P12ihipStream_tbENKUlT_T0_E_clISt17integral_constantIbLb1EES10_IbLb0EEEEDaSW_SX_EUlSW_E_NS1_11comp_targetILNS1_3genE4ELNS1_11target_archE910ELNS1_3gpuE8ELNS1_3repE0EEENS1_30default_config_static_selectorELNS0_4arch9wavefront6targetE0EEEvT1_.has_dyn_sized_stack, 0
	.set _ZN7rocprim17ROCPRIM_400000_NS6detail17trampoline_kernelINS0_14default_configENS1_27scan_by_key_config_selectorIisEEZZNS1_16scan_by_key_implILNS1_25lookback_scan_determinismE0ELb1ES3_N6thrust23THRUST_200600_302600_NS6detail15normal_iteratorINS9_10device_ptrIiEEEENSB_INSC_IsEEEESG_sNS9_4plusIvEENS9_8equal_toIvEEsEE10hipError_tPvRmT2_T3_T4_T5_mT6_T7_P12ihipStream_tbENKUlT_T0_E_clISt17integral_constantIbLb1EES10_IbLb0EEEEDaSW_SX_EUlSW_E_NS1_11comp_targetILNS1_3genE4ELNS1_11target_archE910ELNS1_3gpuE8ELNS1_3repE0EEENS1_30default_config_static_selectorELNS0_4arch9wavefront6targetE0EEEvT1_.has_recursion, 0
	.set _ZN7rocprim17ROCPRIM_400000_NS6detail17trampoline_kernelINS0_14default_configENS1_27scan_by_key_config_selectorIisEEZZNS1_16scan_by_key_implILNS1_25lookback_scan_determinismE0ELb1ES3_N6thrust23THRUST_200600_302600_NS6detail15normal_iteratorINS9_10device_ptrIiEEEENSB_INSC_IsEEEESG_sNS9_4plusIvEENS9_8equal_toIvEEsEE10hipError_tPvRmT2_T3_T4_T5_mT6_T7_P12ihipStream_tbENKUlT_T0_E_clISt17integral_constantIbLb1EES10_IbLb0EEEEDaSW_SX_EUlSW_E_NS1_11comp_targetILNS1_3genE4ELNS1_11target_archE910ELNS1_3gpuE8ELNS1_3repE0EEENS1_30default_config_static_selectorELNS0_4arch9wavefront6targetE0EEEvT1_.has_indirect_call, 0
	.section	.AMDGPU.csdata,"",@progbits
; Kernel info:
; codeLenInByte = 0
; TotalNumSgprs: 0
; NumVgprs: 0
; ScratchSize: 0
; MemoryBound: 0
; FloatMode: 240
; IeeeMode: 1
; LDSByteSize: 0 bytes/workgroup (compile time only)
; SGPRBlocks: 0
; VGPRBlocks: 0
; NumSGPRsForWavesPerEU: 1
; NumVGPRsForWavesPerEU: 1
; Occupancy: 16
; WaveLimiterHint : 0
; COMPUTE_PGM_RSRC2:SCRATCH_EN: 0
; COMPUTE_PGM_RSRC2:USER_SGPR: 6
; COMPUTE_PGM_RSRC2:TRAP_HANDLER: 0
; COMPUTE_PGM_RSRC2:TGID_X_EN: 1
; COMPUTE_PGM_RSRC2:TGID_Y_EN: 0
; COMPUTE_PGM_RSRC2:TGID_Z_EN: 0
; COMPUTE_PGM_RSRC2:TIDIG_COMP_CNT: 0
	.section	.text._ZN7rocprim17ROCPRIM_400000_NS6detail17trampoline_kernelINS0_14default_configENS1_27scan_by_key_config_selectorIisEEZZNS1_16scan_by_key_implILNS1_25lookback_scan_determinismE0ELb1ES3_N6thrust23THRUST_200600_302600_NS6detail15normal_iteratorINS9_10device_ptrIiEEEENSB_INSC_IsEEEESG_sNS9_4plusIvEENS9_8equal_toIvEEsEE10hipError_tPvRmT2_T3_T4_T5_mT6_T7_P12ihipStream_tbENKUlT_T0_E_clISt17integral_constantIbLb1EES10_IbLb0EEEEDaSW_SX_EUlSW_E_NS1_11comp_targetILNS1_3genE3ELNS1_11target_archE908ELNS1_3gpuE7ELNS1_3repE0EEENS1_30default_config_static_selectorELNS0_4arch9wavefront6targetE0EEEvT1_,"axG",@progbits,_ZN7rocprim17ROCPRIM_400000_NS6detail17trampoline_kernelINS0_14default_configENS1_27scan_by_key_config_selectorIisEEZZNS1_16scan_by_key_implILNS1_25lookback_scan_determinismE0ELb1ES3_N6thrust23THRUST_200600_302600_NS6detail15normal_iteratorINS9_10device_ptrIiEEEENSB_INSC_IsEEEESG_sNS9_4plusIvEENS9_8equal_toIvEEsEE10hipError_tPvRmT2_T3_T4_T5_mT6_T7_P12ihipStream_tbENKUlT_T0_E_clISt17integral_constantIbLb1EES10_IbLb0EEEEDaSW_SX_EUlSW_E_NS1_11comp_targetILNS1_3genE3ELNS1_11target_archE908ELNS1_3gpuE7ELNS1_3repE0EEENS1_30default_config_static_selectorELNS0_4arch9wavefront6targetE0EEEvT1_,comdat
	.protected	_ZN7rocprim17ROCPRIM_400000_NS6detail17trampoline_kernelINS0_14default_configENS1_27scan_by_key_config_selectorIisEEZZNS1_16scan_by_key_implILNS1_25lookback_scan_determinismE0ELb1ES3_N6thrust23THRUST_200600_302600_NS6detail15normal_iteratorINS9_10device_ptrIiEEEENSB_INSC_IsEEEESG_sNS9_4plusIvEENS9_8equal_toIvEEsEE10hipError_tPvRmT2_T3_T4_T5_mT6_T7_P12ihipStream_tbENKUlT_T0_E_clISt17integral_constantIbLb1EES10_IbLb0EEEEDaSW_SX_EUlSW_E_NS1_11comp_targetILNS1_3genE3ELNS1_11target_archE908ELNS1_3gpuE7ELNS1_3repE0EEENS1_30default_config_static_selectorELNS0_4arch9wavefront6targetE0EEEvT1_ ; -- Begin function _ZN7rocprim17ROCPRIM_400000_NS6detail17trampoline_kernelINS0_14default_configENS1_27scan_by_key_config_selectorIisEEZZNS1_16scan_by_key_implILNS1_25lookback_scan_determinismE0ELb1ES3_N6thrust23THRUST_200600_302600_NS6detail15normal_iteratorINS9_10device_ptrIiEEEENSB_INSC_IsEEEESG_sNS9_4plusIvEENS9_8equal_toIvEEsEE10hipError_tPvRmT2_T3_T4_T5_mT6_T7_P12ihipStream_tbENKUlT_T0_E_clISt17integral_constantIbLb1EES10_IbLb0EEEEDaSW_SX_EUlSW_E_NS1_11comp_targetILNS1_3genE3ELNS1_11target_archE908ELNS1_3gpuE7ELNS1_3repE0EEENS1_30default_config_static_selectorELNS0_4arch9wavefront6targetE0EEEvT1_
	.globl	_ZN7rocprim17ROCPRIM_400000_NS6detail17trampoline_kernelINS0_14default_configENS1_27scan_by_key_config_selectorIisEEZZNS1_16scan_by_key_implILNS1_25lookback_scan_determinismE0ELb1ES3_N6thrust23THRUST_200600_302600_NS6detail15normal_iteratorINS9_10device_ptrIiEEEENSB_INSC_IsEEEESG_sNS9_4plusIvEENS9_8equal_toIvEEsEE10hipError_tPvRmT2_T3_T4_T5_mT6_T7_P12ihipStream_tbENKUlT_T0_E_clISt17integral_constantIbLb1EES10_IbLb0EEEEDaSW_SX_EUlSW_E_NS1_11comp_targetILNS1_3genE3ELNS1_11target_archE908ELNS1_3gpuE7ELNS1_3repE0EEENS1_30default_config_static_selectorELNS0_4arch9wavefront6targetE0EEEvT1_
	.p2align	8
	.type	_ZN7rocprim17ROCPRIM_400000_NS6detail17trampoline_kernelINS0_14default_configENS1_27scan_by_key_config_selectorIisEEZZNS1_16scan_by_key_implILNS1_25lookback_scan_determinismE0ELb1ES3_N6thrust23THRUST_200600_302600_NS6detail15normal_iteratorINS9_10device_ptrIiEEEENSB_INSC_IsEEEESG_sNS9_4plusIvEENS9_8equal_toIvEEsEE10hipError_tPvRmT2_T3_T4_T5_mT6_T7_P12ihipStream_tbENKUlT_T0_E_clISt17integral_constantIbLb1EES10_IbLb0EEEEDaSW_SX_EUlSW_E_NS1_11comp_targetILNS1_3genE3ELNS1_11target_archE908ELNS1_3gpuE7ELNS1_3repE0EEENS1_30default_config_static_selectorELNS0_4arch9wavefront6targetE0EEEvT1_,@function
_ZN7rocprim17ROCPRIM_400000_NS6detail17trampoline_kernelINS0_14default_configENS1_27scan_by_key_config_selectorIisEEZZNS1_16scan_by_key_implILNS1_25lookback_scan_determinismE0ELb1ES3_N6thrust23THRUST_200600_302600_NS6detail15normal_iteratorINS9_10device_ptrIiEEEENSB_INSC_IsEEEESG_sNS9_4plusIvEENS9_8equal_toIvEEsEE10hipError_tPvRmT2_T3_T4_T5_mT6_T7_P12ihipStream_tbENKUlT_T0_E_clISt17integral_constantIbLb1EES10_IbLb0EEEEDaSW_SX_EUlSW_E_NS1_11comp_targetILNS1_3genE3ELNS1_11target_archE908ELNS1_3gpuE7ELNS1_3repE0EEENS1_30default_config_static_selectorELNS0_4arch9wavefront6targetE0EEEvT1_: ; @_ZN7rocprim17ROCPRIM_400000_NS6detail17trampoline_kernelINS0_14default_configENS1_27scan_by_key_config_selectorIisEEZZNS1_16scan_by_key_implILNS1_25lookback_scan_determinismE0ELb1ES3_N6thrust23THRUST_200600_302600_NS6detail15normal_iteratorINS9_10device_ptrIiEEEENSB_INSC_IsEEEESG_sNS9_4plusIvEENS9_8equal_toIvEEsEE10hipError_tPvRmT2_T3_T4_T5_mT6_T7_P12ihipStream_tbENKUlT_T0_E_clISt17integral_constantIbLb1EES10_IbLb0EEEEDaSW_SX_EUlSW_E_NS1_11comp_targetILNS1_3genE3ELNS1_11target_archE908ELNS1_3gpuE7ELNS1_3repE0EEENS1_30default_config_static_selectorELNS0_4arch9wavefront6targetE0EEEvT1_
; %bb.0:
	.section	.rodata,"a",@progbits
	.p2align	6, 0x0
	.amdhsa_kernel _ZN7rocprim17ROCPRIM_400000_NS6detail17trampoline_kernelINS0_14default_configENS1_27scan_by_key_config_selectorIisEEZZNS1_16scan_by_key_implILNS1_25lookback_scan_determinismE0ELb1ES3_N6thrust23THRUST_200600_302600_NS6detail15normal_iteratorINS9_10device_ptrIiEEEENSB_INSC_IsEEEESG_sNS9_4plusIvEENS9_8equal_toIvEEsEE10hipError_tPvRmT2_T3_T4_T5_mT6_T7_P12ihipStream_tbENKUlT_T0_E_clISt17integral_constantIbLb1EES10_IbLb0EEEEDaSW_SX_EUlSW_E_NS1_11comp_targetILNS1_3genE3ELNS1_11target_archE908ELNS1_3gpuE7ELNS1_3repE0EEENS1_30default_config_static_selectorELNS0_4arch9wavefront6targetE0EEEvT1_
		.amdhsa_group_segment_fixed_size 0
		.amdhsa_private_segment_fixed_size 0
		.amdhsa_kernarg_size 112
		.amdhsa_user_sgpr_count 6
		.amdhsa_user_sgpr_private_segment_buffer 1
		.amdhsa_user_sgpr_dispatch_ptr 0
		.amdhsa_user_sgpr_queue_ptr 0
		.amdhsa_user_sgpr_kernarg_segment_ptr 1
		.amdhsa_user_sgpr_dispatch_id 0
		.amdhsa_user_sgpr_flat_scratch_init 0
		.amdhsa_user_sgpr_private_segment_size 0
		.amdhsa_wavefront_size32 1
		.amdhsa_uses_dynamic_stack 0
		.amdhsa_system_sgpr_private_segment_wavefront_offset 0
		.amdhsa_system_sgpr_workgroup_id_x 1
		.amdhsa_system_sgpr_workgroup_id_y 0
		.amdhsa_system_sgpr_workgroup_id_z 0
		.amdhsa_system_sgpr_workgroup_info 0
		.amdhsa_system_vgpr_workitem_id 0
		.amdhsa_next_free_vgpr 1
		.amdhsa_next_free_sgpr 1
		.amdhsa_reserve_vcc 0
		.amdhsa_reserve_flat_scratch 0
		.amdhsa_float_round_mode_32 0
		.amdhsa_float_round_mode_16_64 0
		.amdhsa_float_denorm_mode_32 3
		.amdhsa_float_denorm_mode_16_64 3
		.amdhsa_dx10_clamp 1
		.amdhsa_ieee_mode 1
		.amdhsa_fp16_overflow 0
		.amdhsa_workgroup_processor_mode 1
		.amdhsa_memory_ordered 1
		.amdhsa_forward_progress 1
		.amdhsa_shared_vgpr_count 0
		.amdhsa_exception_fp_ieee_invalid_op 0
		.amdhsa_exception_fp_denorm_src 0
		.amdhsa_exception_fp_ieee_div_zero 0
		.amdhsa_exception_fp_ieee_overflow 0
		.amdhsa_exception_fp_ieee_underflow 0
		.amdhsa_exception_fp_ieee_inexact 0
		.amdhsa_exception_int_div_zero 0
	.end_amdhsa_kernel
	.section	.text._ZN7rocprim17ROCPRIM_400000_NS6detail17trampoline_kernelINS0_14default_configENS1_27scan_by_key_config_selectorIisEEZZNS1_16scan_by_key_implILNS1_25lookback_scan_determinismE0ELb1ES3_N6thrust23THRUST_200600_302600_NS6detail15normal_iteratorINS9_10device_ptrIiEEEENSB_INSC_IsEEEESG_sNS9_4plusIvEENS9_8equal_toIvEEsEE10hipError_tPvRmT2_T3_T4_T5_mT6_T7_P12ihipStream_tbENKUlT_T0_E_clISt17integral_constantIbLb1EES10_IbLb0EEEEDaSW_SX_EUlSW_E_NS1_11comp_targetILNS1_3genE3ELNS1_11target_archE908ELNS1_3gpuE7ELNS1_3repE0EEENS1_30default_config_static_selectorELNS0_4arch9wavefront6targetE0EEEvT1_,"axG",@progbits,_ZN7rocprim17ROCPRIM_400000_NS6detail17trampoline_kernelINS0_14default_configENS1_27scan_by_key_config_selectorIisEEZZNS1_16scan_by_key_implILNS1_25lookback_scan_determinismE0ELb1ES3_N6thrust23THRUST_200600_302600_NS6detail15normal_iteratorINS9_10device_ptrIiEEEENSB_INSC_IsEEEESG_sNS9_4plusIvEENS9_8equal_toIvEEsEE10hipError_tPvRmT2_T3_T4_T5_mT6_T7_P12ihipStream_tbENKUlT_T0_E_clISt17integral_constantIbLb1EES10_IbLb0EEEEDaSW_SX_EUlSW_E_NS1_11comp_targetILNS1_3genE3ELNS1_11target_archE908ELNS1_3gpuE7ELNS1_3repE0EEENS1_30default_config_static_selectorELNS0_4arch9wavefront6targetE0EEEvT1_,comdat
.Lfunc_end1629:
	.size	_ZN7rocprim17ROCPRIM_400000_NS6detail17trampoline_kernelINS0_14default_configENS1_27scan_by_key_config_selectorIisEEZZNS1_16scan_by_key_implILNS1_25lookback_scan_determinismE0ELb1ES3_N6thrust23THRUST_200600_302600_NS6detail15normal_iteratorINS9_10device_ptrIiEEEENSB_INSC_IsEEEESG_sNS9_4plusIvEENS9_8equal_toIvEEsEE10hipError_tPvRmT2_T3_T4_T5_mT6_T7_P12ihipStream_tbENKUlT_T0_E_clISt17integral_constantIbLb1EES10_IbLb0EEEEDaSW_SX_EUlSW_E_NS1_11comp_targetILNS1_3genE3ELNS1_11target_archE908ELNS1_3gpuE7ELNS1_3repE0EEENS1_30default_config_static_selectorELNS0_4arch9wavefront6targetE0EEEvT1_, .Lfunc_end1629-_ZN7rocprim17ROCPRIM_400000_NS6detail17trampoline_kernelINS0_14default_configENS1_27scan_by_key_config_selectorIisEEZZNS1_16scan_by_key_implILNS1_25lookback_scan_determinismE0ELb1ES3_N6thrust23THRUST_200600_302600_NS6detail15normal_iteratorINS9_10device_ptrIiEEEENSB_INSC_IsEEEESG_sNS9_4plusIvEENS9_8equal_toIvEEsEE10hipError_tPvRmT2_T3_T4_T5_mT6_T7_P12ihipStream_tbENKUlT_T0_E_clISt17integral_constantIbLb1EES10_IbLb0EEEEDaSW_SX_EUlSW_E_NS1_11comp_targetILNS1_3genE3ELNS1_11target_archE908ELNS1_3gpuE7ELNS1_3repE0EEENS1_30default_config_static_selectorELNS0_4arch9wavefront6targetE0EEEvT1_
                                        ; -- End function
	.set _ZN7rocprim17ROCPRIM_400000_NS6detail17trampoline_kernelINS0_14default_configENS1_27scan_by_key_config_selectorIisEEZZNS1_16scan_by_key_implILNS1_25lookback_scan_determinismE0ELb1ES3_N6thrust23THRUST_200600_302600_NS6detail15normal_iteratorINS9_10device_ptrIiEEEENSB_INSC_IsEEEESG_sNS9_4plusIvEENS9_8equal_toIvEEsEE10hipError_tPvRmT2_T3_T4_T5_mT6_T7_P12ihipStream_tbENKUlT_T0_E_clISt17integral_constantIbLb1EES10_IbLb0EEEEDaSW_SX_EUlSW_E_NS1_11comp_targetILNS1_3genE3ELNS1_11target_archE908ELNS1_3gpuE7ELNS1_3repE0EEENS1_30default_config_static_selectorELNS0_4arch9wavefront6targetE0EEEvT1_.num_vgpr, 0
	.set _ZN7rocprim17ROCPRIM_400000_NS6detail17trampoline_kernelINS0_14default_configENS1_27scan_by_key_config_selectorIisEEZZNS1_16scan_by_key_implILNS1_25lookback_scan_determinismE0ELb1ES3_N6thrust23THRUST_200600_302600_NS6detail15normal_iteratorINS9_10device_ptrIiEEEENSB_INSC_IsEEEESG_sNS9_4plusIvEENS9_8equal_toIvEEsEE10hipError_tPvRmT2_T3_T4_T5_mT6_T7_P12ihipStream_tbENKUlT_T0_E_clISt17integral_constantIbLb1EES10_IbLb0EEEEDaSW_SX_EUlSW_E_NS1_11comp_targetILNS1_3genE3ELNS1_11target_archE908ELNS1_3gpuE7ELNS1_3repE0EEENS1_30default_config_static_selectorELNS0_4arch9wavefront6targetE0EEEvT1_.num_agpr, 0
	.set _ZN7rocprim17ROCPRIM_400000_NS6detail17trampoline_kernelINS0_14default_configENS1_27scan_by_key_config_selectorIisEEZZNS1_16scan_by_key_implILNS1_25lookback_scan_determinismE0ELb1ES3_N6thrust23THRUST_200600_302600_NS6detail15normal_iteratorINS9_10device_ptrIiEEEENSB_INSC_IsEEEESG_sNS9_4plusIvEENS9_8equal_toIvEEsEE10hipError_tPvRmT2_T3_T4_T5_mT6_T7_P12ihipStream_tbENKUlT_T0_E_clISt17integral_constantIbLb1EES10_IbLb0EEEEDaSW_SX_EUlSW_E_NS1_11comp_targetILNS1_3genE3ELNS1_11target_archE908ELNS1_3gpuE7ELNS1_3repE0EEENS1_30default_config_static_selectorELNS0_4arch9wavefront6targetE0EEEvT1_.numbered_sgpr, 0
	.set _ZN7rocprim17ROCPRIM_400000_NS6detail17trampoline_kernelINS0_14default_configENS1_27scan_by_key_config_selectorIisEEZZNS1_16scan_by_key_implILNS1_25lookback_scan_determinismE0ELb1ES3_N6thrust23THRUST_200600_302600_NS6detail15normal_iteratorINS9_10device_ptrIiEEEENSB_INSC_IsEEEESG_sNS9_4plusIvEENS9_8equal_toIvEEsEE10hipError_tPvRmT2_T3_T4_T5_mT6_T7_P12ihipStream_tbENKUlT_T0_E_clISt17integral_constantIbLb1EES10_IbLb0EEEEDaSW_SX_EUlSW_E_NS1_11comp_targetILNS1_3genE3ELNS1_11target_archE908ELNS1_3gpuE7ELNS1_3repE0EEENS1_30default_config_static_selectorELNS0_4arch9wavefront6targetE0EEEvT1_.num_named_barrier, 0
	.set _ZN7rocprim17ROCPRIM_400000_NS6detail17trampoline_kernelINS0_14default_configENS1_27scan_by_key_config_selectorIisEEZZNS1_16scan_by_key_implILNS1_25lookback_scan_determinismE0ELb1ES3_N6thrust23THRUST_200600_302600_NS6detail15normal_iteratorINS9_10device_ptrIiEEEENSB_INSC_IsEEEESG_sNS9_4plusIvEENS9_8equal_toIvEEsEE10hipError_tPvRmT2_T3_T4_T5_mT6_T7_P12ihipStream_tbENKUlT_T0_E_clISt17integral_constantIbLb1EES10_IbLb0EEEEDaSW_SX_EUlSW_E_NS1_11comp_targetILNS1_3genE3ELNS1_11target_archE908ELNS1_3gpuE7ELNS1_3repE0EEENS1_30default_config_static_selectorELNS0_4arch9wavefront6targetE0EEEvT1_.private_seg_size, 0
	.set _ZN7rocprim17ROCPRIM_400000_NS6detail17trampoline_kernelINS0_14default_configENS1_27scan_by_key_config_selectorIisEEZZNS1_16scan_by_key_implILNS1_25lookback_scan_determinismE0ELb1ES3_N6thrust23THRUST_200600_302600_NS6detail15normal_iteratorINS9_10device_ptrIiEEEENSB_INSC_IsEEEESG_sNS9_4plusIvEENS9_8equal_toIvEEsEE10hipError_tPvRmT2_T3_T4_T5_mT6_T7_P12ihipStream_tbENKUlT_T0_E_clISt17integral_constantIbLb1EES10_IbLb0EEEEDaSW_SX_EUlSW_E_NS1_11comp_targetILNS1_3genE3ELNS1_11target_archE908ELNS1_3gpuE7ELNS1_3repE0EEENS1_30default_config_static_selectorELNS0_4arch9wavefront6targetE0EEEvT1_.uses_vcc, 0
	.set _ZN7rocprim17ROCPRIM_400000_NS6detail17trampoline_kernelINS0_14default_configENS1_27scan_by_key_config_selectorIisEEZZNS1_16scan_by_key_implILNS1_25lookback_scan_determinismE0ELb1ES3_N6thrust23THRUST_200600_302600_NS6detail15normal_iteratorINS9_10device_ptrIiEEEENSB_INSC_IsEEEESG_sNS9_4plusIvEENS9_8equal_toIvEEsEE10hipError_tPvRmT2_T3_T4_T5_mT6_T7_P12ihipStream_tbENKUlT_T0_E_clISt17integral_constantIbLb1EES10_IbLb0EEEEDaSW_SX_EUlSW_E_NS1_11comp_targetILNS1_3genE3ELNS1_11target_archE908ELNS1_3gpuE7ELNS1_3repE0EEENS1_30default_config_static_selectorELNS0_4arch9wavefront6targetE0EEEvT1_.uses_flat_scratch, 0
	.set _ZN7rocprim17ROCPRIM_400000_NS6detail17trampoline_kernelINS0_14default_configENS1_27scan_by_key_config_selectorIisEEZZNS1_16scan_by_key_implILNS1_25lookback_scan_determinismE0ELb1ES3_N6thrust23THRUST_200600_302600_NS6detail15normal_iteratorINS9_10device_ptrIiEEEENSB_INSC_IsEEEESG_sNS9_4plusIvEENS9_8equal_toIvEEsEE10hipError_tPvRmT2_T3_T4_T5_mT6_T7_P12ihipStream_tbENKUlT_T0_E_clISt17integral_constantIbLb1EES10_IbLb0EEEEDaSW_SX_EUlSW_E_NS1_11comp_targetILNS1_3genE3ELNS1_11target_archE908ELNS1_3gpuE7ELNS1_3repE0EEENS1_30default_config_static_selectorELNS0_4arch9wavefront6targetE0EEEvT1_.has_dyn_sized_stack, 0
	.set _ZN7rocprim17ROCPRIM_400000_NS6detail17trampoline_kernelINS0_14default_configENS1_27scan_by_key_config_selectorIisEEZZNS1_16scan_by_key_implILNS1_25lookback_scan_determinismE0ELb1ES3_N6thrust23THRUST_200600_302600_NS6detail15normal_iteratorINS9_10device_ptrIiEEEENSB_INSC_IsEEEESG_sNS9_4plusIvEENS9_8equal_toIvEEsEE10hipError_tPvRmT2_T3_T4_T5_mT6_T7_P12ihipStream_tbENKUlT_T0_E_clISt17integral_constantIbLb1EES10_IbLb0EEEEDaSW_SX_EUlSW_E_NS1_11comp_targetILNS1_3genE3ELNS1_11target_archE908ELNS1_3gpuE7ELNS1_3repE0EEENS1_30default_config_static_selectorELNS0_4arch9wavefront6targetE0EEEvT1_.has_recursion, 0
	.set _ZN7rocprim17ROCPRIM_400000_NS6detail17trampoline_kernelINS0_14default_configENS1_27scan_by_key_config_selectorIisEEZZNS1_16scan_by_key_implILNS1_25lookback_scan_determinismE0ELb1ES3_N6thrust23THRUST_200600_302600_NS6detail15normal_iteratorINS9_10device_ptrIiEEEENSB_INSC_IsEEEESG_sNS9_4plusIvEENS9_8equal_toIvEEsEE10hipError_tPvRmT2_T3_T4_T5_mT6_T7_P12ihipStream_tbENKUlT_T0_E_clISt17integral_constantIbLb1EES10_IbLb0EEEEDaSW_SX_EUlSW_E_NS1_11comp_targetILNS1_3genE3ELNS1_11target_archE908ELNS1_3gpuE7ELNS1_3repE0EEENS1_30default_config_static_selectorELNS0_4arch9wavefront6targetE0EEEvT1_.has_indirect_call, 0
	.section	.AMDGPU.csdata,"",@progbits
; Kernel info:
; codeLenInByte = 0
; TotalNumSgprs: 0
; NumVgprs: 0
; ScratchSize: 0
; MemoryBound: 0
; FloatMode: 240
; IeeeMode: 1
; LDSByteSize: 0 bytes/workgroup (compile time only)
; SGPRBlocks: 0
; VGPRBlocks: 0
; NumSGPRsForWavesPerEU: 1
; NumVGPRsForWavesPerEU: 1
; Occupancy: 16
; WaveLimiterHint : 0
; COMPUTE_PGM_RSRC2:SCRATCH_EN: 0
; COMPUTE_PGM_RSRC2:USER_SGPR: 6
; COMPUTE_PGM_RSRC2:TRAP_HANDLER: 0
; COMPUTE_PGM_RSRC2:TGID_X_EN: 1
; COMPUTE_PGM_RSRC2:TGID_Y_EN: 0
; COMPUTE_PGM_RSRC2:TGID_Z_EN: 0
; COMPUTE_PGM_RSRC2:TIDIG_COMP_CNT: 0
	.section	.text._ZN7rocprim17ROCPRIM_400000_NS6detail17trampoline_kernelINS0_14default_configENS1_27scan_by_key_config_selectorIisEEZZNS1_16scan_by_key_implILNS1_25lookback_scan_determinismE0ELb1ES3_N6thrust23THRUST_200600_302600_NS6detail15normal_iteratorINS9_10device_ptrIiEEEENSB_INSC_IsEEEESG_sNS9_4plusIvEENS9_8equal_toIvEEsEE10hipError_tPvRmT2_T3_T4_T5_mT6_T7_P12ihipStream_tbENKUlT_T0_E_clISt17integral_constantIbLb1EES10_IbLb0EEEEDaSW_SX_EUlSW_E_NS1_11comp_targetILNS1_3genE2ELNS1_11target_archE906ELNS1_3gpuE6ELNS1_3repE0EEENS1_30default_config_static_selectorELNS0_4arch9wavefront6targetE0EEEvT1_,"axG",@progbits,_ZN7rocprim17ROCPRIM_400000_NS6detail17trampoline_kernelINS0_14default_configENS1_27scan_by_key_config_selectorIisEEZZNS1_16scan_by_key_implILNS1_25lookback_scan_determinismE0ELb1ES3_N6thrust23THRUST_200600_302600_NS6detail15normal_iteratorINS9_10device_ptrIiEEEENSB_INSC_IsEEEESG_sNS9_4plusIvEENS9_8equal_toIvEEsEE10hipError_tPvRmT2_T3_T4_T5_mT6_T7_P12ihipStream_tbENKUlT_T0_E_clISt17integral_constantIbLb1EES10_IbLb0EEEEDaSW_SX_EUlSW_E_NS1_11comp_targetILNS1_3genE2ELNS1_11target_archE906ELNS1_3gpuE6ELNS1_3repE0EEENS1_30default_config_static_selectorELNS0_4arch9wavefront6targetE0EEEvT1_,comdat
	.protected	_ZN7rocprim17ROCPRIM_400000_NS6detail17trampoline_kernelINS0_14default_configENS1_27scan_by_key_config_selectorIisEEZZNS1_16scan_by_key_implILNS1_25lookback_scan_determinismE0ELb1ES3_N6thrust23THRUST_200600_302600_NS6detail15normal_iteratorINS9_10device_ptrIiEEEENSB_INSC_IsEEEESG_sNS9_4plusIvEENS9_8equal_toIvEEsEE10hipError_tPvRmT2_T3_T4_T5_mT6_T7_P12ihipStream_tbENKUlT_T0_E_clISt17integral_constantIbLb1EES10_IbLb0EEEEDaSW_SX_EUlSW_E_NS1_11comp_targetILNS1_3genE2ELNS1_11target_archE906ELNS1_3gpuE6ELNS1_3repE0EEENS1_30default_config_static_selectorELNS0_4arch9wavefront6targetE0EEEvT1_ ; -- Begin function _ZN7rocprim17ROCPRIM_400000_NS6detail17trampoline_kernelINS0_14default_configENS1_27scan_by_key_config_selectorIisEEZZNS1_16scan_by_key_implILNS1_25lookback_scan_determinismE0ELb1ES3_N6thrust23THRUST_200600_302600_NS6detail15normal_iteratorINS9_10device_ptrIiEEEENSB_INSC_IsEEEESG_sNS9_4plusIvEENS9_8equal_toIvEEsEE10hipError_tPvRmT2_T3_T4_T5_mT6_T7_P12ihipStream_tbENKUlT_T0_E_clISt17integral_constantIbLb1EES10_IbLb0EEEEDaSW_SX_EUlSW_E_NS1_11comp_targetILNS1_3genE2ELNS1_11target_archE906ELNS1_3gpuE6ELNS1_3repE0EEENS1_30default_config_static_selectorELNS0_4arch9wavefront6targetE0EEEvT1_
	.globl	_ZN7rocprim17ROCPRIM_400000_NS6detail17trampoline_kernelINS0_14default_configENS1_27scan_by_key_config_selectorIisEEZZNS1_16scan_by_key_implILNS1_25lookback_scan_determinismE0ELb1ES3_N6thrust23THRUST_200600_302600_NS6detail15normal_iteratorINS9_10device_ptrIiEEEENSB_INSC_IsEEEESG_sNS9_4plusIvEENS9_8equal_toIvEEsEE10hipError_tPvRmT2_T3_T4_T5_mT6_T7_P12ihipStream_tbENKUlT_T0_E_clISt17integral_constantIbLb1EES10_IbLb0EEEEDaSW_SX_EUlSW_E_NS1_11comp_targetILNS1_3genE2ELNS1_11target_archE906ELNS1_3gpuE6ELNS1_3repE0EEENS1_30default_config_static_selectorELNS0_4arch9wavefront6targetE0EEEvT1_
	.p2align	8
	.type	_ZN7rocprim17ROCPRIM_400000_NS6detail17trampoline_kernelINS0_14default_configENS1_27scan_by_key_config_selectorIisEEZZNS1_16scan_by_key_implILNS1_25lookback_scan_determinismE0ELb1ES3_N6thrust23THRUST_200600_302600_NS6detail15normal_iteratorINS9_10device_ptrIiEEEENSB_INSC_IsEEEESG_sNS9_4plusIvEENS9_8equal_toIvEEsEE10hipError_tPvRmT2_T3_T4_T5_mT6_T7_P12ihipStream_tbENKUlT_T0_E_clISt17integral_constantIbLb1EES10_IbLb0EEEEDaSW_SX_EUlSW_E_NS1_11comp_targetILNS1_3genE2ELNS1_11target_archE906ELNS1_3gpuE6ELNS1_3repE0EEENS1_30default_config_static_selectorELNS0_4arch9wavefront6targetE0EEEvT1_,@function
_ZN7rocprim17ROCPRIM_400000_NS6detail17trampoline_kernelINS0_14default_configENS1_27scan_by_key_config_selectorIisEEZZNS1_16scan_by_key_implILNS1_25lookback_scan_determinismE0ELb1ES3_N6thrust23THRUST_200600_302600_NS6detail15normal_iteratorINS9_10device_ptrIiEEEENSB_INSC_IsEEEESG_sNS9_4plusIvEENS9_8equal_toIvEEsEE10hipError_tPvRmT2_T3_T4_T5_mT6_T7_P12ihipStream_tbENKUlT_T0_E_clISt17integral_constantIbLb1EES10_IbLb0EEEEDaSW_SX_EUlSW_E_NS1_11comp_targetILNS1_3genE2ELNS1_11target_archE906ELNS1_3gpuE6ELNS1_3repE0EEENS1_30default_config_static_selectorELNS0_4arch9wavefront6targetE0EEEvT1_: ; @_ZN7rocprim17ROCPRIM_400000_NS6detail17trampoline_kernelINS0_14default_configENS1_27scan_by_key_config_selectorIisEEZZNS1_16scan_by_key_implILNS1_25lookback_scan_determinismE0ELb1ES3_N6thrust23THRUST_200600_302600_NS6detail15normal_iteratorINS9_10device_ptrIiEEEENSB_INSC_IsEEEESG_sNS9_4plusIvEENS9_8equal_toIvEEsEE10hipError_tPvRmT2_T3_T4_T5_mT6_T7_P12ihipStream_tbENKUlT_T0_E_clISt17integral_constantIbLb1EES10_IbLb0EEEEDaSW_SX_EUlSW_E_NS1_11comp_targetILNS1_3genE2ELNS1_11target_archE906ELNS1_3gpuE6ELNS1_3repE0EEENS1_30default_config_static_selectorELNS0_4arch9wavefront6targetE0EEEvT1_
; %bb.0:
	.section	.rodata,"a",@progbits
	.p2align	6, 0x0
	.amdhsa_kernel _ZN7rocprim17ROCPRIM_400000_NS6detail17trampoline_kernelINS0_14default_configENS1_27scan_by_key_config_selectorIisEEZZNS1_16scan_by_key_implILNS1_25lookback_scan_determinismE0ELb1ES3_N6thrust23THRUST_200600_302600_NS6detail15normal_iteratorINS9_10device_ptrIiEEEENSB_INSC_IsEEEESG_sNS9_4plusIvEENS9_8equal_toIvEEsEE10hipError_tPvRmT2_T3_T4_T5_mT6_T7_P12ihipStream_tbENKUlT_T0_E_clISt17integral_constantIbLb1EES10_IbLb0EEEEDaSW_SX_EUlSW_E_NS1_11comp_targetILNS1_3genE2ELNS1_11target_archE906ELNS1_3gpuE6ELNS1_3repE0EEENS1_30default_config_static_selectorELNS0_4arch9wavefront6targetE0EEEvT1_
		.amdhsa_group_segment_fixed_size 0
		.amdhsa_private_segment_fixed_size 0
		.amdhsa_kernarg_size 112
		.amdhsa_user_sgpr_count 6
		.amdhsa_user_sgpr_private_segment_buffer 1
		.amdhsa_user_sgpr_dispatch_ptr 0
		.amdhsa_user_sgpr_queue_ptr 0
		.amdhsa_user_sgpr_kernarg_segment_ptr 1
		.amdhsa_user_sgpr_dispatch_id 0
		.amdhsa_user_sgpr_flat_scratch_init 0
		.amdhsa_user_sgpr_private_segment_size 0
		.amdhsa_wavefront_size32 1
		.amdhsa_uses_dynamic_stack 0
		.amdhsa_system_sgpr_private_segment_wavefront_offset 0
		.amdhsa_system_sgpr_workgroup_id_x 1
		.amdhsa_system_sgpr_workgroup_id_y 0
		.amdhsa_system_sgpr_workgroup_id_z 0
		.amdhsa_system_sgpr_workgroup_info 0
		.amdhsa_system_vgpr_workitem_id 0
		.amdhsa_next_free_vgpr 1
		.amdhsa_next_free_sgpr 1
		.amdhsa_reserve_vcc 0
		.amdhsa_reserve_flat_scratch 0
		.amdhsa_float_round_mode_32 0
		.amdhsa_float_round_mode_16_64 0
		.amdhsa_float_denorm_mode_32 3
		.amdhsa_float_denorm_mode_16_64 3
		.amdhsa_dx10_clamp 1
		.amdhsa_ieee_mode 1
		.amdhsa_fp16_overflow 0
		.amdhsa_workgroup_processor_mode 1
		.amdhsa_memory_ordered 1
		.amdhsa_forward_progress 1
		.amdhsa_shared_vgpr_count 0
		.amdhsa_exception_fp_ieee_invalid_op 0
		.amdhsa_exception_fp_denorm_src 0
		.amdhsa_exception_fp_ieee_div_zero 0
		.amdhsa_exception_fp_ieee_overflow 0
		.amdhsa_exception_fp_ieee_underflow 0
		.amdhsa_exception_fp_ieee_inexact 0
		.amdhsa_exception_int_div_zero 0
	.end_amdhsa_kernel
	.section	.text._ZN7rocprim17ROCPRIM_400000_NS6detail17trampoline_kernelINS0_14default_configENS1_27scan_by_key_config_selectorIisEEZZNS1_16scan_by_key_implILNS1_25lookback_scan_determinismE0ELb1ES3_N6thrust23THRUST_200600_302600_NS6detail15normal_iteratorINS9_10device_ptrIiEEEENSB_INSC_IsEEEESG_sNS9_4plusIvEENS9_8equal_toIvEEsEE10hipError_tPvRmT2_T3_T4_T5_mT6_T7_P12ihipStream_tbENKUlT_T0_E_clISt17integral_constantIbLb1EES10_IbLb0EEEEDaSW_SX_EUlSW_E_NS1_11comp_targetILNS1_3genE2ELNS1_11target_archE906ELNS1_3gpuE6ELNS1_3repE0EEENS1_30default_config_static_selectorELNS0_4arch9wavefront6targetE0EEEvT1_,"axG",@progbits,_ZN7rocprim17ROCPRIM_400000_NS6detail17trampoline_kernelINS0_14default_configENS1_27scan_by_key_config_selectorIisEEZZNS1_16scan_by_key_implILNS1_25lookback_scan_determinismE0ELb1ES3_N6thrust23THRUST_200600_302600_NS6detail15normal_iteratorINS9_10device_ptrIiEEEENSB_INSC_IsEEEESG_sNS9_4plusIvEENS9_8equal_toIvEEsEE10hipError_tPvRmT2_T3_T4_T5_mT6_T7_P12ihipStream_tbENKUlT_T0_E_clISt17integral_constantIbLb1EES10_IbLb0EEEEDaSW_SX_EUlSW_E_NS1_11comp_targetILNS1_3genE2ELNS1_11target_archE906ELNS1_3gpuE6ELNS1_3repE0EEENS1_30default_config_static_selectorELNS0_4arch9wavefront6targetE0EEEvT1_,comdat
.Lfunc_end1630:
	.size	_ZN7rocprim17ROCPRIM_400000_NS6detail17trampoline_kernelINS0_14default_configENS1_27scan_by_key_config_selectorIisEEZZNS1_16scan_by_key_implILNS1_25lookback_scan_determinismE0ELb1ES3_N6thrust23THRUST_200600_302600_NS6detail15normal_iteratorINS9_10device_ptrIiEEEENSB_INSC_IsEEEESG_sNS9_4plusIvEENS9_8equal_toIvEEsEE10hipError_tPvRmT2_T3_T4_T5_mT6_T7_P12ihipStream_tbENKUlT_T0_E_clISt17integral_constantIbLb1EES10_IbLb0EEEEDaSW_SX_EUlSW_E_NS1_11comp_targetILNS1_3genE2ELNS1_11target_archE906ELNS1_3gpuE6ELNS1_3repE0EEENS1_30default_config_static_selectorELNS0_4arch9wavefront6targetE0EEEvT1_, .Lfunc_end1630-_ZN7rocprim17ROCPRIM_400000_NS6detail17trampoline_kernelINS0_14default_configENS1_27scan_by_key_config_selectorIisEEZZNS1_16scan_by_key_implILNS1_25lookback_scan_determinismE0ELb1ES3_N6thrust23THRUST_200600_302600_NS6detail15normal_iteratorINS9_10device_ptrIiEEEENSB_INSC_IsEEEESG_sNS9_4plusIvEENS9_8equal_toIvEEsEE10hipError_tPvRmT2_T3_T4_T5_mT6_T7_P12ihipStream_tbENKUlT_T0_E_clISt17integral_constantIbLb1EES10_IbLb0EEEEDaSW_SX_EUlSW_E_NS1_11comp_targetILNS1_3genE2ELNS1_11target_archE906ELNS1_3gpuE6ELNS1_3repE0EEENS1_30default_config_static_selectorELNS0_4arch9wavefront6targetE0EEEvT1_
                                        ; -- End function
	.set _ZN7rocprim17ROCPRIM_400000_NS6detail17trampoline_kernelINS0_14default_configENS1_27scan_by_key_config_selectorIisEEZZNS1_16scan_by_key_implILNS1_25lookback_scan_determinismE0ELb1ES3_N6thrust23THRUST_200600_302600_NS6detail15normal_iteratorINS9_10device_ptrIiEEEENSB_INSC_IsEEEESG_sNS9_4plusIvEENS9_8equal_toIvEEsEE10hipError_tPvRmT2_T3_T4_T5_mT6_T7_P12ihipStream_tbENKUlT_T0_E_clISt17integral_constantIbLb1EES10_IbLb0EEEEDaSW_SX_EUlSW_E_NS1_11comp_targetILNS1_3genE2ELNS1_11target_archE906ELNS1_3gpuE6ELNS1_3repE0EEENS1_30default_config_static_selectorELNS0_4arch9wavefront6targetE0EEEvT1_.num_vgpr, 0
	.set _ZN7rocprim17ROCPRIM_400000_NS6detail17trampoline_kernelINS0_14default_configENS1_27scan_by_key_config_selectorIisEEZZNS1_16scan_by_key_implILNS1_25lookback_scan_determinismE0ELb1ES3_N6thrust23THRUST_200600_302600_NS6detail15normal_iteratorINS9_10device_ptrIiEEEENSB_INSC_IsEEEESG_sNS9_4plusIvEENS9_8equal_toIvEEsEE10hipError_tPvRmT2_T3_T4_T5_mT6_T7_P12ihipStream_tbENKUlT_T0_E_clISt17integral_constantIbLb1EES10_IbLb0EEEEDaSW_SX_EUlSW_E_NS1_11comp_targetILNS1_3genE2ELNS1_11target_archE906ELNS1_3gpuE6ELNS1_3repE0EEENS1_30default_config_static_selectorELNS0_4arch9wavefront6targetE0EEEvT1_.num_agpr, 0
	.set _ZN7rocprim17ROCPRIM_400000_NS6detail17trampoline_kernelINS0_14default_configENS1_27scan_by_key_config_selectorIisEEZZNS1_16scan_by_key_implILNS1_25lookback_scan_determinismE0ELb1ES3_N6thrust23THRUST_200600_302600_NS6detail15normal_iteratorINS9_10device_ptrIiEEEENSB_INSC_IsEEEESG_sNS9_4plusIvEENS9_8equal_toIvEEsEE10hipError_tPvRmT2_T3_T4_T5_mT6_T7_P12ihipStream_tbENKUlT_T0_E_clISt17integral_constantIbLb1EES10_IbLb0EEEEDaSW_SX_EUlSW_E_NS1_11comp_targetILNS1_3genE2ELNS1_11target_archE906ELNS1_3gpuE6ELNS1_3repE0EEENS1_30default_config_static_selectorELNS0_4arch9wavefront6targetE0EEEvT1_.numbered_sgpr, 0
	.set _ZN7rocprim17ROCPRIM_400000_NS6detail17trampoline_kernelINS0_14default_configENS1_27scan_by_key_config_selectorIisEEZZNS1_16scan_by_key_implILNS1_25lookback_scan_determinismE0ELb1ES3_N6thrust23THRUST_200600_302600_NS6detail15normal_iteratorINS9_10device_ptrIiEEEENSB_INSC_IsEEEESG_sNS9_4plusIvEENS9_8equal_toIvEEsEE10hipError_tPvRmT2_T3_T4_T5_mT6_T7_P12ihipStream_tbENKUlT_T0_E_clISt17integral_constantIbLb1EES10_IbLb0EEEEDaSW_SX_EUlSW_E_NS1_11comp_targetILNS1_3genE2ELNS1_11target_archE906ELNS1_3gpuE6ELNS1_3repE0EEENS1_30default_config_static_selectorELNS0_4arch9wavefront6targetE0EEEvT1_.num_named_barrier, 0
	.set _ZN7rocprim17ROCPRIM_400000_NS6detail17trampoline_kernelINS0_14default_configENS1_27scan_by_key_config_selectorIisEEZZNS1_16scan_by_key_implILNS1_25lookback_scan_determinismE0ELb1ES3_N6thrust23THRUST_200600_302600_NS6detail15normal_iteratorINS9_10device_ptrIiEEEENSB_INSC_IsEEEESG_sNS9_4plusIvEENS9_8equal_toIvEEsEE10hipError_tPvRmT2_T3_T4_T5_mT6_T7_P12ihipStream_tbENKUlT_T0_E_clISt17integral_constantIbLb1EES10_IbLb0EEEEDaSW_SX_EUlSW_E_NS1_11comp_targetILNS1_3genE2ELNS1_11target_archE906ELNS1_3gpuE6ELNS1_3repE0EEENS1_30default_config_static_selectorELNS0_4arch9wavefront6targetE0EEEvT1_.private_seg_size, 0
	.set _ZN7rocprim17ROCPRIM_400000_NS6detail17trampoline_kernelINS0_14default_configENS1_27scan_by_key_config_selectorIisEEZZNS1_16scan_by_key_implILNS1_25lookback_scan_determinismE0ELb1ES3_N6thrust23THRUST_200600_302600_NS6detail15normal_iteratorINS9_10device_ptrIiEEEENSB_INSC_IsEEEESG_sNS9_4plusIvEENS9_8equal_toIvEEsEE10hipError_tPvRmT2_T3_T4_T5_mT6_T7_P12ihipStream_tbENKUlT_T0_E_clISt17integral_constantIbLb1EES10_IbLb0EEEEDaSW_SX_EUlSW_E_NS1_11comp_targetILNS1_3genE2ELNS1_11target_archE906ELNS1_3gpuE6ELNS1_3repE0EEENS1_30default_config_static_selectorELNS0_4arch9wavefront6targetE0EEEvT1_.uses_vcc, 0
	.set _ZN7rocprim17ROCPRIM_400000_NS6detail17trampoline_kernelINS0_14default_configENS1_27scan_by_key_config_selectorIisEEZZNS1_16scan_by_key_implILNS1_25lookback_scan_determinismE0ELb1ES3_N6thrust23THRUST_200600_302600_NS6detail15normal_iteratorINS9_10device_ptrIiEEEENSB_INSC_IsEEEESG_sNS9_4plusIvEENS9_8equal_toIvEEsEE10hipError_tPvRmT2_T3_T4_T5_mT6_T7_P12ihipStream_tbENKUlT_T0_E_clISt17integral_constantIbLb1EES10_IbLb0EEEEDaSW_SX_EUlSW_E_NS1_11comp_targetILNS1_3genE2ELNS1_11target_archE906ELNS1_3gpuE6ELNS1_3repE0EEENS1_30default_config_static_selectorELNS0_4arch9wavefront6targetE0EEEvT1_.uses_flat_scratch, 0
	.set _ZN7rocprim17ROCPRIM_400000_NS6detail17trampoline_kernelINS0_14default_configENS1_27scan_by_key_config_selectorIisEEZZNS1_16scan_by_key_implILNS1_25lookback_scan_determinismE0ELb1ES3_N6thrust23THRUST_200600_302600_NS6detail15normal_iteratorINS9_10device_ptrIiEEEENSB_INSC_IsEEEESG_sNS9_4plusIvEENS9_8equal_toIvEEsEE10hipError_tPvRmT2_T3_T4_T5_mT6_T7_P12ihipStream_tbENKUlT_T0_E_clISt17integral_constantIbLb1EES10_IbLb0EEEEDaSW_SX_EUlSW_E_NS1_11comp_targetILNS1_3genE2ELNS1_11target_archE906ELNS1_3gpuE6ELNS1_3repE0EEENS1_30default_config_static_selectorELNS0_4arch9wavefront6targetE0EEEvT1_.has_dyn_sized_stack, 0
	.set _ZN7rocprim17ROCPRIM_400000_NS6detail17trampoline_kernelINS0_14default_configENS1_27scan_by_key_config_selectorIisEEZZNS1_16scan_by_key_implILNS1_25lookback_scan_determinismE0ELb1ES3_N6thrust23THRUST_200600_302600_NS6detail15normal_iteratorINS9_10device_ptrIiEEEENSB_INSC_IsEEEESG_sNS9_4plusIvEENS9_8equal_toIvEEsEE10hipError_tPvRmT2_T3_T4_T5_mT6_T7_P12ihipStream_tbENKUlT_T0_E_clISt17integral_constantIbLb1EES10_IbLb0EEEEDaSW_SX_EUlSW_E_NS1_11comp_targetILNS1_3genE2ELNS1_11target_archE906ELNS1_3gpuE6ELNS1_3repE0EEENS1_30default_config_static_selectorELNS0_4arch9wavefront6targetE0EEEvT1_.has_recursion, 0
	.set _ZN7rocprim17ROCPRIM_400000_NS6detail17trampoline_kernelINS0_14default_configENS1_27scan_by_key_config_selectorIisEEZZNS1_16scan_by_key_implILNS1_25lookback_scan_determinismE0ELb1ES3_N6thrust23THRUST_200600_302600_NS6detail15normal_iteratorINS9_10device_ptrIiEEEENSB_INSC_IsEEEESG_sNS9_4plusIvEENS9_8equal_toIvEEsEE10hipError_tPvRmT2_T3_T4_T5_mT6_T7_P12ihipStream_tbENKUlT_T0_E_clISt17integral_constantIbLb1EES10_IbLb0EEEEDaSW_SX_EUlSW_E_NS1_11comp_targetILNS1_3genE2ELNS1_11target_archE906ELNS1_3gpuE6ELNS1_3repE0EEENS1_30default_config_static_selectorELNS0_4arch9wavefront6targetE0EEEvT1_.has_indirect_call, 0
	.section	.AMDGPU.csdata,"",@progbits
; Kernel info:
; codeLenInByte = 0
; TotalNumSgprs: 0
; NumVgprs: 0
; ScratchSize: 0
; MemoryBound: 0
; FloatMode: 240
; IeeeMode: 1
; LDSByteSize: 0 bytes/workgroup (compile time only)
; SGPRBlocks: 0
; VGPRBlocks: 0
; NumSGPRsForWavesPerEU: 1
; NumVGPRsForWavesPerEU: 1
; Occupancy: 16
; WaveLimiterHint : 0
; COMPUTE_PGM_RSRC2:SCRATCH_EN: 0
; COMPUTE_PGM_RSRC2:USER_SGPR: 6
; COMPUTE_PGM_RSRC2:TRAP_HANDLER: 0
; COMPUTE_PGM_RSRC2:TGID_X_EN: 1
; COMPUTE_PGM_RSRC2:TGID_Y_EN: 0
; COMPUTE_PGM_RSRC2:TGID_Z_EN: 0
; COMPUTE_PGM_RSRC2:TIDIG_COMP_CNT: 0
	.section	.text._ZN7rocprim17ROCPRIM_400000_NS6detail17trampoline_kernelINS0_14default_configENS1_27scan_by_key_config_selectorIisEEZZNS1_16scan_by_key_implILNS1_25lookback_scan_determinismE0ELb1ES3_N6thrust23THRUST_200600_302600_NS6detail15normal_iteratorINS9_10device_ptrIiEEEENSB_INSC_IsEEEESG_sNS9_4plusIvEENS9_8equal_toIvEEsEE10hipError_tPvRmT2_T3_T4_T5_mT6_T7_P12ihipStream_tbENKUlT_T0_E_clISt17integral_constantIbLb1EES10_IbLb0EEEEDaSW_SX_EUlSW_E_NS1_11comp_targetILNS1_3genE10ELNS1_11target_archE1200ELNS1_3gpuE4ELNS1_3repE0EEENS1_30default_config_static_selectorELNS0_4arch9wavefront6targetE0EEEvT1_,"axG",@progbits,_ZN7rocprim17ROCPRIM_400000_NS6detail17trampoline_kernelINS0_14default_configENS1_27scan_by_key_config_selectorIisEEZZNS1_16scan_by_key_implILNS1_25lookback_scan_determinismE0ELb1ES3_N6thrust23THRUST_200600_302600_NS6detail15normal_iteratorINS9_10device_ptrIiEEEENSB_INSC_IsEEEESG_sNS9_4plusIvEENS9_8equal_toIvEEsEE10hipError_tPvRmT2_T3_T4_T5_mT6_T7_P12ihipStream_tbENKUlT_T0_E_clISt17integral_constantIbLb1EES10_IbLb0EEEEDaSW_SX_EUlSW_E_NS1_11comp_targetILNS1_3genE10ELNS1_11target_archE1200ELNS1_3gpuE4ELNS1_3repE0EEENS1_30default_config_static_selectorELNS0_4arch9wavefront6targetE0EEEvT1_,comdat
	.protected	_ZN7rocprim17ROCPRIM_400000_NS6detail17trampoline_kernelINS0_14default_configENS1_27scan_by_key_config_selectorIisEEZZNS1_16scan_by_key_implILNS1_25lookback_scan_determinismE0ELb1ES3_N6thrust23THRUST_200600_302600_NS6detail15normal_iteratorINS9_10device_ptrIiEEEENSB_INSC_IsEEEESG_sNS9_4plusIvEENS9_8equal_toIvEEsEE10hipError_tPvRmT2_T3_T4_T5_mT6_T7_P12ihipStream_tbENKUlT_T0_E_clISt17integral_constantIbLb1EES10_IbLb0EEEEDaSW_SX_EUlSW_E_NS1_11comp_targetILNS1_3genE10ELNS1_11target_archE1200ELNS1_3gpuE4ELNS1_3repE0EEENS1_30default_config_static_selectorELNS0_4arch9wavefront6targetE0EEEvT1_ ; -- Begin function _ZN7rocprim17ROCPRIM_400000_NS6detail17trampoline_kernelINS0_14default_configENS1_27scan_by_key_config_selectorIisEEZZNS1_16scan_by_key_implILNS1_25lookback_scan_determinismE0ELb1ES3_N6thrust23THRUST_200600_302600_NS6detail15normal_iteratorINS9_10device_ptrIiEEEENSB_INSC_IsEEEESG_sNS9_4plusIvEENS9_8equal_toIvEEsEE10hipError_tPvRmT2_T3_T4_T5_mT6_T7_P12ihipStream_tbENKUlT_T0_E_clISt17integral_constantIbLb1EES10_IbLb0EEEEDaSW_SX_EUlSW_E_NS1_11comp_targetILNS1_3genE10ELNS1_11target_archE1200ELNS1_3gpuE4ELNS1_3repE0EEENS1_30default_config_static_selectorELNS0_4arch9wavefront6targetE0EEEvT1_
	.globl	_ZN7rocprim17ROCPRIM_400000_NS6detail17trampoline_kernelINS0_14default_configENS1_27scan_by_key_config_selectorIisEEZZNS1_16scan_by_key_implILNS1_25lookback_scan_determinismE0ELb1ES3_N6thrust23THRUST_200600_302600_NS6detail15normal_iteratorINS9_10device_ptrIiEEEENSB_INSC_IsEEEESG_sNS9_4plusIvEENS9_8equal_toIvEEsEE10hipError_tPvRmT2_T3_T4_T5_mT6_T7_P12ihipStream_tbENKUlT_T0_E_clISt17integral_constantIbLb1EES10_IbLb0EEEEDaSW_SX_EUlSW_E_NS1_11comp_targetILNS1_3genE10ELNS1_11target_archE1200ELNS1_3gpuE4ELNS1_3repE0EEENS1_30default_config_static_selectorELNS0_4arch9wavefront6targetE0EEEvT1_
	.p2align	8
	.type	_ZN7rocprim17ROCPRIM_400000_NS6detail17trampoline_kernelINS0_14default_configENS1_27scan_by_key_config_selectorIisEEZZNS1_16scan_by_key_implILNS1_25lookback_scan_determinismE0ELb1ES3_N6thrust23THRUST_200600_302600_NS6detail15normal_iteratorINS9_10device_ptrIiEEEENSB_INSC_IsEEEESG_sNS9_4plusIvEENS9_8equal_toIvEEsEE10hipError_tPvRmT2_T3_T4_T5_mT6_T7_P12ihipStream_tbENKUlT_T0_E_clISt17integral_constantIbLb1EES10_IbLb0EEEEDaSW_SX_EUlSW_E_NS1_11comp_targetILNS1_3genE10ELNS1_11target_archE1200ELNS1_3gpuE4ELNS1_3repE0EEENS1_30default_config_static_selectorELNS0_4arch9wavefront6targetE0EEEvT1_,@function
_ZN7rocprim17ROCPRIM_400000_NS6detail17trampoline_kernelINS0_14default_configENS1_27scan_by_key_config_selectorIisEEZZNS1_16scan_by_key_implILNS1_25lookback_scan_determinismE0ELb1ES3_N6thrust23THRUST_200600_302600_NS6detail15normal_iteratorINS9_10device_ptrIiEEEENSB_INSC_IsEEEESG_sNS9_4plusIvEENS9_8equal_toIvEEsEE10hipError_tPvRmT2_T3_T4_T5_mT6_T7_P12ihipStream_tbENKUlT_T0_E_clISt17integral_constantIbLb1EES10_IbLb0EEEEDaSW_SX_EUlSW_E_NS1_11comp_targetILNS1_3genE10ELNS1_11target_archE1200ELNS1_3gpuE4ELNS1_3repE0EEENS1_30default_config_static_selectorELNS0_4arch9wavefront6targetE0EEEvT1_: ; @_ZN7rocprim17ROCPRIM_400000_NS6detail17trampoline_kernelINS0_14default_configENS1_27scan_by_key_config_selectorIisEEZZNS1_16scan_by_key_implILNS1_25lookback_scan_determinismE0ELb1ES3_N6thrust23THRUST_200600_302600_NS6detail15normal_iteratorINS9_10device_ptrIiEEEENSB_INSC_IsEEEESG_sNS9_4plusIvEENS9_8equal_toIvEEsEE10hipError_tPvRmT2_T3_T4_T5_mT6_T7_P12ihipStream_tbENKUlT_T0_E_clISt17integral_constantIbLb1EES10_IbLb0EEEEDaSW_SX_EUlSW_E_NS1_11comp_targetILNS1_3genE10ELNS1_11target_archE1200ELNS1_3gpuE4ELNS1_3repE0EEENS1_30default_config_static_selectorELNS0_4arch9wavefront6targetE0EEEvT1_
; %bb.0:
	.section	.rodata,"a",@progbits
	.p2align	6, 0x0
	.amdhsa_kernel _ZN7rocprim17ROCPRIM_400000_NS6detail17trampoline_kernelINS0_14default_configENS1_27scan_by_key_config_selectorIisEEZZNS1_16scan_by_key_implILNS1_25lookback_scan_determinismE0ELb1ES3_N6thrust23THRUST_200600_302600_NS6detail15normal_iteratorINS9_10device_ptrIiEEEENSB_INSC_IsEEEESG_sNS9_4plusIvEENS9_8equal_toIvEEsEE10hipError_tPvRmT2_T3_T4_T5_mT6_T7_P12ihipStream_tbENKUlT_T0_E_clISt17integral_constantIbLb1EES10_IbLb0EEEEDaSW_SX_EUlSW_E_NS1_11comp_targetILNS1_3genE10ELNS1_11target_archE1200ELNS1_3gpuE4ELNS1_3repE0EEENS1_30default_config_static_selectorELNS0_4arch9wavefront6targetE0EEEvT1_
		.amdhsa_group_segment_fixed_size 0
		.amdhsa_private_segment_fixed_size 0
		.amdhsa_kernarg_size 112
		.amdhsa_user_sgpr_count 6
		.amdhsa_user_sgpr_private_segment_buffer 1
		.amdhsa_user_sgpr_dispatch_ptr 0
		.amdhsa_user_sgpr_queue_ptr 0
		.amdhsa_user_sgpr_kernarg_segment_ptr 1
		.amdhsa_user_sgpr_dispatch_id 0
		.amdhsa_user_sgpr_flat_scratch_init 0
		.amdhsa_user_sgpr_private_segment_size 0
		.amdhsa_wavefront_size32 1
		.amdhsa_uses_dynamic_stack 0
		.amdhsa_system_sgpr_private_segment_wavefront_offset 0
		.amdhsa_system_sgpr_workgroup_id_x 1
		.amdhsa_system_sgpr_workgroup_id_y 0
		.amdhsa_system_sgpr_workgroup_id_z 0
		.amdhsa_system_sgpr_workgroup_info 0
		.amdhsa_system_vgpr_workitem_id 0
		.amdhsa_next_free_vgpr 1
		.amdhsa_next_free_sgpr 1
		.amdhsa_reserve_vcc 0
		.amdhsa_reserve_flat_scratch 0
		.amdhsa_float_round_mode_32 0
		.amdhsa_float_round_mode_16_64 0
		.amdhsa_float_denorm_mode_32 3
		.amdhsa_float_denorm_mode_16_64 3
		.amdhsa_dx10_clamp 1
		.amdhsa_ieee_mode 1
		.amdhsa_fp16_overflow 0
		.amdhsa_workgroup_processor_mode 1
		.amdhsa_memory_ordered 1
		.amdhsa_forward_progress 1
		.amdhsa_shared_vgpr_count 0
		.amdhsa_exception_fp_ieee_invalid_op 0
		.amdhsa_exception_fp_denorm_src 0
		.amdhsa_exception_fp_ieee_div_zero 0
		.amdhsa_exception_fp_ieee_overflow 0
		.amdhsa_exception_fp_ieee_underflow 0
		.amdhsa_exception_fp_ieee_inexact 0
		.amdhsa_exception_int_div_zero 0
	.end_amdhsa_kernel
	.section	.text._ZN7rocprim17ROCPRIM_400000_NS6detail17trampoline_kernelINS0_14default_configENS1_27scan_by_key_config_selectorIisEEZZNS1_16scan_by_key_implILNS1_25lookback_scan_determinismE0ELb1ES3_N6thrust23THRUST_200600_302600_NS6detail15normal_iteratorINS9_10device_ptrIiEEEENSB_INSC_IsEEEESG_sNS9_4plusIvEENS9_8equal_toIvEEsEE10hipError_tPvRmT2_T3_T4_T5_mT6_T7_P12ihipStream_tbENKUlT_T0_E_clISt17integral_constantIbLb1EES10_IbLb0EEEEDaSW_SX_EUlSW_E_NS1_11comp_targetILNS1_3genE10ELNS1_11target_archE1200ELNS1_3gpuE4ELNS1_3repE0EEENS1_30default_config_static_selectorELNS0_4arch9wavefront6targetE0EEEvT1_,"axG",@progbits,_ZN7rocprim17ROCPRIM_400000_NS6detail17trampoline_kernelINS0_14default_configENS1_27scan_by_key_config_selectorIisEEZZNS1_16scan_by_key_implILNS1_25lookback_scan_determinismE0ELb1ES3_N6thrust23THRUST_200600_302600_NS6detail15normal_iteratorINS9_10device_ptrIiEEEENSB_INSC_IsEEEESG_sNS9_4plusIvEENS9_8equal_toIvEEsEE10hipError_tPvRmT2_T3_T4_T5_mT6_T7_P12ihipStream_tbENKUlT_T0_E_clISt17integral_constantIbLb1EES10_IbLb0EEEEDaSW_SX_EUlSW_E_NS1_11comp_targetILNS1_3genE10ELNS1_11target_archE1200ELNS1_3gpuE4ELNS1_3repE0EEENS1_30default_config_static_selectorELNS0_4arch9wavefront6targetE0EEEvT1_,comdat
.Lfunc_end1631:
	.size	_ZN7rocprim17ROCPRIM_400000_NS6detail17trampoline_kernelINS0_14default_configENS1_27scan_by_key_config_selectorIisEEZZNS1_16scan_by_key_implILNS1_25lookback_scan_determinismE0ELb1ES3_N6thrust23THRUST_200600_302600_NS6detail15normal_iteratorINS9_10device_ptrIiEEEENSB_INSC_IsEEEESG_sNS9_4plusIvEENS9_8equal_toIvEEsEE10hipError_tPvRmT2_T3_T4_T5_mT6_T7_P12ihipStream_tbENKUlT_T0_E_clISt17integral_constantIbLb1EES10_IbLb0EEEEDaSW_SX_EUlSW_E_NS1_11comp_targetILNS1_3genE10ELNS1_11target_archE1200ELNS1_3gpuE4ELNS1_3repE0EEENS1_30default_config_static_selectorELNS0_4arch9wavefront6targetE0EEEvT1_, .Lfunc_end1631-_ZN7rocprim17ROCPRIM_400000_NS6detail17trampoline_kernelINS0_14default_configENS1_27scan_by_key_config_selectorIisEEZZNS1_16scan_by_key_implILNS1_25lookback_scan_determinismE0ELb1ES3_N6thrust23THRUST_200600_302600_NS6detail15normal_iteratorINS9_10device_ptrIiEEEENSB_INSC_IsEEEESG_sNS9_4plusIvEENS9_8equal_toIvEEsEE10hipError_tPvRmT2_T3_T4_T5_mT6_T7_P12ihipStream_tbENKUlT_T0_E_clISt17integral_constantIbLb1EES10_IbLb0EEEEDaSW_SX_EUlSW_E_NS1_11comp_targetILNS1_3genE10ELNS1_11target_archE1200ELNS1_3gpuE4ELNS1_3repE0EEENS1_30default_config_static_selectorELNS0_4arch9wavefront6targetE0EEEvT1_
                                        ; -- End function
	.set _ZN7rocprim17ROCPRIM_400000_NS6detail17trampoline_kernelINS0_14default_configENS1_27scan_by_key_config_selectorIisEEZZNS1_16scan_by_key_implILNS1_25lookback_scan_determinismE0ELb1ES3_N6thrust23THRUST_200600_302600_NS6detail15normal_iteratorINS9_10device_ptrIiEEEENSB_INSC_IsEEEESG_sNS9_4plusIvEENS9_8equal_toIvEEsEE10hipError_tPvRmT2_T3_T4_T5_mT6_T7_P12ihipStream_tbENKUlT_T0_E_clISt17integral_constantIbLb1EES10_IbLb0EEEEDaSW_SX_EUlSW_E_NS1_11comp_targetILNS1_3genE10ELNS1_11target_archE1200ELNS1_3gpuE4ELNS1_3repE0EEENS1_30default_config_static_selectorELNS0_4arch9wavefront6targetE0EEEvT1_.num_vgpr, 0
	.set _ZN7rocprim17ROCPRIM_400000_NS6detail17trampoline_kernelINS0_14default_configENS1_27scan_by_key_config_selectorIisEEZZNS1_16scan_by_key_implILNS1_25lookback_scan_determinismE0ELb1ES3_N6thrust23THRUST_200600_302600_NS6detail15normal_iteratorINS9_10device_ptrIiEEEENSB_INSC_IsEEEESG_sNS9_4plusIvEENS9_8equal_toIvEEsEE10hipError_tPvRmT2_T3_T4_T5_mT6_T7_P12ihipStream_tbENKUlT_T0_E_clISt17integral_constantIbLb1EES10_IbLb0EEEEDaSW_SX_EUlSW_E_NS1_11comp_targetILNS1_3genE10ELNS1_11target_archE1200ELNS1_3gpuE4ELNS1_3repE0EEENS1_30default_config_static_selectorELNS0_4arch9wavefront6targetE0EEEvT1_.num_agpr, 0
	.set _ZN7rocprim17ROCPRIM_400000_NS6detail17trampoline_kernelINS0_14default_configENS1_27scan_by_key_config_selectorIisEEZZNS1_16scan_by_key_implILNS1_25lookback_scan_determinismE0ELb1ES3_N6thrust23THRUST_200600_302600_NS6detail15normal_iteratorINS9_10device_ptrIiEEEENSB_INSC_IsEEEESG_sNS9_4plusIvEENS9_8equal_toIvEEsEE10hipError_tPvRmT2_T3_T4_T5_mT6_T7_P12ihipStream_tbENKUlT_T0_E_clISt17integral_constantIbLb1EES10_IbLb0EEEEDaSW_SX_EUlSW_E_NS1_11comp_targetILNS1_3genE10ELNS1_11target_archE1200ELNS1_3gpuE4ELNS1_3repE0EEENS1_30default_config_static_selectorELNS0_4arch9wavefront6targetE0EEEvT1_.numbered_sgpr, 0
	.set _ZN7rocprim17ROCPRIM_400000_NS6detail17trampoline_kernelINS0_14default_configENS1_27scan_by_key_config_selectorIisEEZZNS1_16scan_by_key_implILNS1_25lookback_scan_determinismE0ELb1ES3_N6thrust23THRUST_200600_302600_NS6detail15normal_iteratorINS9_10device_ptrIiEEEENSB_INSC_IsEEEESG_sNS9_4plusIvEENS9_8equal_toIvEEsEE10hipError_tPvRmT2_T3_T4_T5_mT6_T7_P12ihipStream_tbENKUlT_T0_E_clISt17integral_constantIbLb1EES10_IbLb0EEEEDaSW_SX_EUlSW_E_NS1_11comp_targetILNS1_3genE10ELNS1_11target_archE1200ELNS1_3gpuE4ELNS1_3repE0EEENS1_30default_config_static_selectorELNS0_4arch9wavefront6targetE0EEEvT1_.num_named_barrier, 0
	.set _ZN7rocprim17ROCPRIM_400000_NS6detail17trampoline_kernelINS0_14default_configENS1_27scan_by_key_config_selectorIisEEZZNS1_16scan_by_key_implILNS1_25lookback_scan_determinismE0ELb1ES3_N6thrust23THRUST_200600_302600_NS6detail15normal_iteratorINS9_10device_ptrIiEEEENSB_INSC_IsEEEESG_sNS9_4plusIvEENS9_8equal_toIvEEsEE10hipError_tPvRmT2_T3_T4_T5_mT6_T7_P12ihipStream_tbENKUlT_T0_E_clISt17integral_constantIbLb1EES10_IbLb0EEEEDaSW_SX_EUlSW_E_NS1_11comp_targetILNS1_3genE10ELNS1_11target_archE1200ELNS1_3gpuE4ELNS1_3repE0EEENS1_30default_config_static_selectorELNS0_4arch9wavefront6targetE0EEEvT1_.private_seg_size, 0
	.set _ZN7rocprim17ROCPRIM_400000_NS6detail17trampoline_kernelINS0_14default_configENS1_27scan_by_key_config_selectorIisEEZZNS1_16scan_by_key_implILNS1_25lookback_scan_determinismE0ELb1ES3_N6thrust23THRUST_200600_302600_NS6detail15normal_iteratorINS9_10device_ptrIiEEEENSB_INSC_IsEEEESG_sNS9_4plusIvEENS9_8equal_toIvEEsEE10hipError_tPvRmT2_T3_T4_T5_mT6_T7_P12ihipStream_tbENKUlT_T0_E_clISt17integral_constantIbLb1EES10_IbLb0EEEEDaSW_SX_EUlSW_E_NS1_11comp_targetILNS1_3genE10ELNS1_11target_archE1200ELNS1_3gpuE4ELNS1_3repE0EEENS1_30default_config_static_selectorELNS0_4arch9wavefront6targetE0EEEvT1_.uses_vcc, 0
	.set _ZN7rocprim17ROCPRIM_400000_NS6detail17trampoline_kernelINS0_14default_configENS1_27scan_by_key_config_selectorIisEEZZNS1_16scan_by_key_implILNS1_25lookback_scan_determinismE0ELb1ES3_N6thrust23THRUST_200600_302600_NS6detail15normal_iteratorINS9_10device_ptrIiEEEENSB_INSC_IsEEEESG_sNS9_4plusIvEENS9_8equal_toIvEEsEE10hipError_tPvRmT2_T3_T4_T5_mT6_T7_P12ihipStream_tbENKUlT_T0_E_clISt17integral_constantIbLb1EES10_IbLb0EEEEDaSW_SX_EUlSW_E_NS1_11comp_targetILNS1_3genE10ELNS1_11target_archE1200ELNS1_3gpuE4ELNS1_3repE0EEENS1_30default_config_static_selectorELNS0_4arch9wavefront6targetE0EEEvT1_.uses_flat_scratch, 0
	.set _ZN7rocprim17ROCPRIM_400000_NS6detail17trampoline_kernelINS0_14default_configENS1_27scan_by_key_config_selectorIisEEZZNS1_16scan_by_key_implILNS1_25lookback_scan_determinismE0ELb1ES3_N6thrust23THRUST_200600_302600_NS6detail15normal_iteratorINS9_10device_ptrIiEEEENSB_INSC_IsEEEESG_sNS9_4plusIvEENS9_8equal_toIvEEsEE10hipError_tPvRmT2_T3_T4_T5_mT6_T7_P12ihipStream_tbENKUlT_T0_E_clISt17integral_constantIbLb1EES10_IbLb0EEEEDaSW_SX_EUlSW_E_NS1_11comp_targetILNS1_3genE10ELNS1_11target_archE1200ELNS1_3gpuE4ELNS1_3repE0EEENS1_30default_config_static_selectorELNS0_4arch9wavefront6targetE0EEEvT1_.has_dyn_sized_stack, 0
	.set _ZN7rocprim17ROCPRIM_400000_NS6detail17trampoline_kernelINS0_14default_configENS1_27scan_by_key_config_selectorIisEEZZNS1_16scan_by_key_implILNS1_25lookback_scan_determinismE0ELb1ES3_N6thrust23THRUST_200600_302600_NS6detail15normal_iteratorINS9_10device_ptrIiEEEENSB_INSC_IsEEEESG_sNS9_4plusIvEENS9_8equal_toIvEEsEE10hipError_tPvRmT2_T3_T4_T5_mT6_T7_P12ihipStream_tbENKUlT_T0_E_clISt17integral_constantIbLb1EES10_IbLb0EEEEDaSW_SX_EUlSW_E_NS1_11comp_targetILNS1_3genE10ELNS1_11target_archE1200ELNS1_3gpuE4ELNS1_3repE0EEENS1_30default_config_static_selectorELNS0_4arch9wavefront6targetE0EEEvT1_.has_recursion, 0
	.set _ZN7rocprim17ROCPRIM_400000_NS6detail17trampoline_kernelINS0_14default_configENS1_27scan_by_key_config_selectorIisEEZZNS1_16scan_by_key_implILNS1_25lookback_scan_determinismE0ELb1ES3_N6thrust23THRUST_200600_302600_NS6detail15normal_iteratorINS9_10device_ptrIiEEEENSB_INSC_IsEEEESG_sNS9_4plusIvEENS9_8equal_toIvEEsEE10hipError_tPvRmT2_T3_T4_T5_mT6_T7_P12ihipStream_tbENKUlT_T0_E_clISt17integral_constantIbLb1EES10_IbLb0EEEEDaSW_SX_EUlSW_E_NS1_11comp_targetILNS1_3genE10ELNS1_11target_archE1200ELNS1_3gpuE4ELNS1_3repE0EEENS1_30default_config_static_selectorELNS0_4arch9wavefront6targetE0EEEvT1_.has_indirect_call, 0
	.section	.AMDGPU.csdata,"",@progbits
; Kernel info:
; codeLenInByte = 0
; TotalNumSgprs: 0
; NumVgprs: 0
; ScratchSize: 0
; MemoryBound: 0
; FloatMode: 240
; IeeeMode: 1
; LDSByteSize: 0 bytes/workgroup (compile time only)
; SGPRBlocks: 0
; VGPRBlocks: 0
; NumSGPRsForWavesPerEU: 1
; NumVGPRsForWavesPerEU: 1
; Occupancy: 16
; WaveLimiterHint : 0
; COMPUTE_PGM_RSRC2:SCRATCH_EN: 0
; COMPUTE_PGM_RSRC2:USER_SGPR: 6
; COMPUTE_PGM_RSRC2:TRAP_HANDLER: 0
; COMPUTE_PGM_RSRC2:TGID_X_EN: 1
; COMPUTE_PGM_RSRC2:TGID_Y_EN: 0
; COMPUTE_PGM_RSRC2:TGID_Z_EN: 0
; COMPUTE_PGM_RSRC2:TIDIG_COMP_CNT: 0
	.section	.text._ZN7rocprim17ROCPRIM_400000_NS6detail17trampoline_kernelINS0_14default_configENS1_27scan_by_key_config_selectorIisEEZZNS1_16scan_by_key_implILNS1_25lookback_scan_determinismE0ELb1ES3_N6thrust23THRUST_200600_302600_NS6detail15normal_iteratorINS9_10device_ptrIiEEEENSB_INSC_IsEEEESG_sNS9_4plusIvEENS9_8equal_toIvEEsEE10hipError_tPvRmT2_T3_T4_T5_mT6_T7_P12ihipStream_tbENKUlT_T0_E_clISt17integral_constantIbLb1EES10_IbLb0EEEEDaSW_SX_EUlSW_E_NS1_11comp_targetILNS1_3genE9ELNS1_11target_archE1100ELNS1_3gpuE3ELNS1_3repE0EEENS1_30default_config_static_selectorELNS0_4arch9wavefront6targetE0EEEvT1_,"axG",@progbits,_ZN7rocprim17ROCPRIM_400000_NS6detail17trampoline_kernelINS0_14default_configENS1_27scan_by_key_config_selectorIisEEZZNS1_16scan_by_key_implILNS1_25lookback_scan_determinismE0ELb1ES3_N6thrust23THRUST_200600_302600_NS6detail15normal_iteratorINS9_10device_ptrIiEEEENSB_INSC_IsEEEESG_sNS9_4plusIvEENS9_8equal_toIvEEsEE10hipError_tPvRmT2_T3_T4_T5_mT6_T7_P12ihipStream_tbENKUlT_T0_E_clISt17integral_constantIbLb1EES10_IbLb0EEEEDaSW_SX_EUlSW_E_NS1_11comp_targetILNS1_3genE9ELNS1_11target_archE1100ELNS1_3gpuE3ELNS1_3repE0EEENS1_30default_config_static_selectorELNS0_4arch9wavefront6targetE0EEEvT1_,comdat
	.protected	_ZN7rocprim17ROCPRIM_400000_NS6detail17trampoline_kernelINS0_14default_configENS1_27scan_by_key_config_selectorIisEEZZNS1_16scan_by_key_implILNS1_25lookback_scan_determinismE0ELb1ES3_N6thrust23THRUST_200600_302600_NS6detail15normal_iteratorINS9_10device_ptrIiEEEENSB_INSC_IsEEEESG_sNS9_4plusIvEENS9_8equal_toIvEEsEE10hipError_tPvRmT2_T3_T4_T5_mT6_T7_P12ihipStream_tbENKUlT_T0_E_clISt17integral_constantIbLb1EES10_IbLb0EEEEDaSW_SX_EUlSW_E_NS1_11comp_targetILNS1_3genE9ELNS1_11target_archE1100ELNS1_3gpuE3ELNS1_3repE0EEENS1_30default_config_static_selectorELNS0_4arch9wavefront6targetE0EEEvT1_ ; -- Begin function _ZN7rocprim17ROCPRIM_400000_NS6detail17trampoline_kernelINS0_14default_configENS1_27scan_by_key_config_selectorIisEEZZNS1_16scan_by_key_implILNS1_25lookback_scan_determinismE0ELb1ES3_N6thrust23THRUST_200600_302600_NS6detail15normal_iteratorINS9_10device_ptrIiEEEENSB_INSC_IsEEEESG_sNS9_4plusIvEENS9_8equal_toIvEEsEE10hipError_tPvRmT2_T3_T4_T5_mT6_T7_P12ihipStream_tbENKUlT_T0_E_clISt17integral_constantIbLb1EES10_IbLb0EEEEDaSW_SX_EUlSW_E_NS1_11comp_targetILNS1_3genE9ELNS1_11target_archE1100ELNS1_3gpuE3ELNS1_3repE0EEENS1_30default_config_static_selectorELNS0_4arch9wavefront6targetE0EEEvT1_
	.globl	_ZN7rocprim17ROCPRIM_400000_NS6detail17trampoline_kernelINS0_14default_configENS1_27scan_by_key_config_selectorIisEEZZNS1_16scan_by_key_implILNS1_25lookback_scan_determinismE0ELb1ES3_N6thrust23THRUST_200600_302600_NS6detail15normal_iteratorINS9_10device_ptrIiEEEENSB_INSC_IsEEEESG_sNS9_4plusIvEENS9_8equal_toIvEEsEE10hipError_tPvRmT2_T3_T4_T5_mT6_T7_P12ihipStream_tbENKUlT_T0_E_clISt17integral_constantIbLb1EES10_IbLb0EEEEDaSW_SX_EUlSW_E_NS1_11comp_targetILNS1_3genE9ELNS1_11target_archE1100ELNS1_3gpuE3ELNS1_3repE0EEENS1_30default_config_static_selectorELNS0_4arch9wavefront6targetE0EEEvT1_
	.p2align	8
	.type	_ZN7rocprim17ROCPRIM_400000_NS6detail17trampoline_kernelINS0_14default_configENS1_27scan_by_key_config_selectorIisEEZZNS1_16scan_by_key_implILNS1_25lookback_scan_determinismE0ELb1ES3_N6thrust23THRUST_200600_302600_NS6detail15normal_iteratorINS9_10device_ptrIiEEEENSB_INSC_IsEEEESG_sNS9_4plusIvEENS9_8equal_toIvEEsEE10hipError_tPvRmT2_T3_T4_T5_mT6_T7_P12ihipStream_tbENKUlT_T0_E_clISt17integral_constantIbLb1EES10_IbLb0EEEEDaSW_SX_EUlSW_E_NS1_11comp_targetILNS1_3genE9ELNS1_11target_archE1100ELNS1_3gpuE3ELNS1_3repE0EEENS1_30default_config_static_selectorELNS0_4arch9wavefront6targetE0EEEvT1_,@function
_ZN7rocprim17ROCPRIM_400000_NS6detail17trampoline_kernelINS0_14default_configENS1_27scan_by_key_config_selectorIisEEZZNS1_16scan_by_key_implILNS1_25lookback_scan_determinismE0ELb1ES3_N6thrust23THRUST_200600_302600_NS6detail15normal_iteratorINS9_10device_ptrIiEEEENSB_INSC_IsEEEESG_sNS9_4plusIvEENS9_8equal_toIvEEsEE10hipError_tPvRmT2_T3_T4_T5_mT6_T7_P12ihipStream_tbENKUlT_T0_E_clISt17integral_constantIbLb1EES10_IbLb0EEEEDaSW_SX_EUlSW_E_NS1_11comp_targetILNS1_3genE9ELNS1_11target_archE1100ELNS1_3gpuE3ELNS1_3repE0EEENS1_30default_config_static_selectorELNS0_4arch9wavefront6targetE0EEEvT1_: ; @_ZN7rocprim17ROCPRIM_400000_NS6detail17trampoline_kernelINS0_14default_configENS1_27scan_by_key_config_selectorIisEEZZNS1_16scan_by_key_implILNS1_25lookback_scan_determinismE0ELb1ES3_N6thrust23THRUST_200600_302600_NS6detail15normal_iteratorINS9_10device_ptrIiEEEENSB_INSC_IsEEEESG_sNS9_4plusIvEENS9_8equal_toIvEEsEE10hipError_tPvRmT2_T3_T4_T5_mT6_T7_P12ihipStream_tbENKUlT_T0_E_clISt17integral_constantIbLb1EES10_IbLb0EEEEDaSW_SX_EUlSW_E_NS1_11comp_targetILNS1_3genE9ELNS1_11target_archE1100ELNS1_3gpuE3ELNS1_3repE0EEENS1_30default_config_static_selectorELNS0_4arch9wavefront6targetE0EEEvT1_
; %bb.0:
	.section	.rodata,"a",@progbits
	.p2align	6, 0x0
	.amdhsa_kernel _ZN7rocprim17ROCPRIM_400000_NS6detail17trampoline_kernelINS0_14default_configENS1_27scan_by_key_config_selectorIisEEZZNS1_16scan_by_key_implILNS1_25lookback_scan_determinismE0ELb1ES3_N6thrust23THRUST_200600_302600_NS6detail15normal_iteratorINS9_10device_ptrIiEEEENSB_INSC_IsEEEESG_sNS9_4plusIvEENS9_8equal_toIvEEsEE10hipError_tPvRmT2_T3_T4_T5_mT6_T7_P12ihipStream_tbENKUlT_T0_E_clISt17integral_constantIbLb1EES10_IbLb0EEEEDaSW_SX_EUlSW_E_NS1_11comp_targetILNS1_3genE9ELNS1_11target_archE1100ELNS1_3gpuE3ELNS1_3repE0EEENS1_30default_config_static_selectorELNS0_4arch9wavefront6targetE0EEEvT1_
		.amdhsa_group_segment_fixed_size 0
		.amdhsa_private_segment_fixed_size 0
		.amdhsa_kernarg_size 112
		.amdhsa_user_sgpr_count 6
		.amdhsa_user_sgpr_private_segment_buffer 1
		.amdhsa_user_sgpr_dispatch_ptr 0
		.amdhsa_user_sgpr_queue_ptr 0
		.amdhsa_user_sgpr_kernarg_segment_ptr 1
		.amdhsa_user_sgpr_dispatch_id 0
		.amdhsa_user_sgpr_flat_scratch_init 0
		.amdhsa_user_sgpr_private_segment_size 0
		.amdhsa_wavefront_size32 1
		.amdhsa_uses_dynamic_stack 0
		.amdhsa_system_sgpr_private_segment_wavefront_offset 0
		.amdhsa_system_sgpr_workgroup_id_x 1
		.amdhsa_system_sgpr_workgroup_id_y 0
		.amdhsa_system_sgpr_workgroup_id_z 0
		.amdhsa_system_sgpr_workgroup_info 0
		.amdhsa_system_vgpr_workitem_id 0
		.amdhsa_next_free_vgpr 1
		.amdhsa_next_free_sgpr 1
		.amdhsa_reserve_vcc 0
		.amdhsa_reserve_flat_scratch 0
		.amdhsa_float_round_mode_32 0
		.amdhsa_float_round_mode_16_64 0
		.amdhsa_float_denorm_mode_32 3
		.amdhsa_float_denorm_mode_16_64 3
		.amdhsa_dx10_clamp 1
		.amdhsa_ieee_mode 1
		.amdhsa_fp16_overflow 0
		.amdhsa_workgroup_processor_mode 1
		.amdhsa_memory_ordered 1
		.amdhsa_forward_progress 1
		.amdhsa_shared_vgpr_count 0
		.amdhsa_exception_fp_ieee_invalid_op 0
		.amdhsa_exception_fp_denorm_src 0
		.amdhsa_exception_fp_ieee_div_zero 0
		.amdhsa_exception_fp_ieee_overflow 0
		.amdhsa_exception_fp_ieee_underflow 0
		.amdhsa_exception_fp_ieee_inexact 0
		.amdhsa_exception_int_div_zero 0
	.end_amdhsa_kernel
	.section	.text._ZN7rocprim17ROCPRIM_400000_NS6detail17trampoline_kernelINS0_14default_configENS1_27scan_by_key_config_selectorIisEEZZNS1_16scan_by_key_implILNS1_25lookback_scan_determinismE0ELb1ES3_N6thrust23THRUST_200600_302600_NS6detail15normal_iteratorINS9_10device_ptrIiEEEENSB_INSC_IsEEEESG_sNS9_4plusIvEENS9_8equal_toIvEEsEE10hipError_tPvRmT2_T3_T4_T5_mT6_T7_P12ihipStream_tbENKUlT_T0_E_clISt17integral_constantIbLb1EES10_IbLb0EEEEDaSW_SX_EUlSW_E_NS1_11comp_targetILNS1_3genE9ELNS1_11target_archE1100ELNS1_3gpuE3ELNS1_3repE0EEENS1_30default_config_static_selectorELNS0_4arch9wavefront6targetE0EEEvT1_,"axG",@progbits,_ZN7rocprim17ROCPRIM_400000_NS6detail17trampoline_kernelINS0_14default_configENS1_27scan_by_key_config_selectorIisEEZZNS1_16scan_by_key_implILNS1_25lookback_scan_determinismE0ELb1ES3_N6thrust23THRUST_200600_302600_NS6detail15normal_iteratorINS9_10device_ptrIiEEEENSB_INSC_IsEEEESG_sNS9_4plusIvEENS9_8equal_toIvEEsEE10hipError_tPvRmT2_T3_T4_T5_mT6_T7_P12ihipStream_tbENKUlT_T0_E_clISt17integral_constantIbLb1EES10_IbLb0EEEEDaSW_SX_EUlSW_E_NS1_11comp_targetILNS1_3genE9ELNS1_11target_archE1100ELNS1_3gpuE3ELNS1_3repE0EEENS1_30default_config_static_selectorELNS0_4arch9wavefront6targetE0EEEvT1_,comdat
.Lfunc_end1632:
	.size	_ZN7rocprim17ROCPRIM_400000_NS6detail17trampoline_kernelINS0_14default_configENS1_27scan_by_key_config_selectorIisEEZZNS1_16scan_by_key_implILNS1_25lookback_scan_determinismE0ELb1ES3_N6thrust23THRUST_200600_302600_NS6detail15normal_iteratorINS9_10device_ptrIiEEEENSB_INSC_IsEEEESG_sNS9_4plusIvEENS9_8equal_toIvEEsEE10hipError_tPvRmT2_T3_T4_T5_mT6_T7_P12ihipStream_tbENKUlT_T0_E_clISt17integral_constantIbLb1EES10_IbLb0EEEEDaSW_SX_EUlSW_E_NS1_11comp_targetILNS1_3genE9ELNS1_11target_archE1100ELNS1_3gpuE3ELNS1_3repE0EEENS1_30default_config_static_selectorELNS0_4arch9wavefront6targetE0EEEvT1_, .Lfunc_end1632-_ZN7rocprim17ROCPRIM_400000_NS6detail17trampoline_kernelINS0_14default_configENS1_27scan_by_key_config_selectorIisEEZZNS1_16scan_by_key_implILNS1_25lookback_scan_determinismE0ELb1ES3_N6thrust23THRUST_200600_302600_NS6detail15normal_iteratorINS9_10device_ptrIiEEEENSB_INSC_IsEEEESG_sNS9_4plusIvEENS9_8equal_toIvEEsEE10hipError_tPvRmT2_T3_T4_T5_mT6_T7_P12ihipStream_tbENKUlT_T0_E_clISt17integral_constantIbLb1EES10_IbLb0EEEEDaSW_SX_EUlSW_E_NS1_11comp_targetILNS1_3genE9ELNS1_11target_archE1100ELNS1_3gpuE3ELNS1_3repE0EEENS1_30default_config_static_selectorELNS0_4arch9wavefront6targetE0EEEvT1_
                                        ; -- End function
	.set _ZN7rocprim17ROCPRIM_400000_NS6detail17trampoline_kernelINS0_14default_configENS1_27scan_by_key_config_selectorIisEEZZNS1_16scan_by_key_implILNS1_25lookback_scan_determinismE0ELb1ES3_N6thrust23THRUST_200600_302600_NS6detail15normal_iteratorINS9_10device_ptrIiEEEENSB_INSC_IsEEEESG_sNS9_4plusIvEENS9_8equal_toIvEEsEE10hipError_tPvRmT2_T3_T4_T5_mT6_T7_P12ihipStream_tbENKUlT_T0_E_clISt17integral_constantIbLb1EES10_IbLb0EEEEDaSW_SX_EUlSW_E_NS1_11comp_targetILNS1_3genE9ELNS1_11target_archE1100ELNS1_3gpuE3ELNS1_3repE0EEENS1_30default_config_static_selectorELNS0_4arch9wavefront6targetE0EEEvT1_.num_vgpr, 0
	.set _ZN7rocprim17ROCPRIM_400000_NS6detail17trampoline_kernelINS0_14default_configENS1_27scan_by_key_config_selectorIisEEZZNS1_16scan_by_key_implILNS1_25lookback_scan_determinismE0ELb1ES3_N6thrust23THRUST_200600_302600_NS6detail15normal_iteratorINS9_10device_ptrIiEEEENSB_INSC_IsEEEESG_sNS9_4plusIvEENS9_8equal_toIvEEsEE10hipError_tPvRmT2_T3_T4_T5_mT6_T7_P12ihipStream_tbENKUlT_T0_E_clISt17integral_constantIbLb1EES10_IbLb0EEEEDaSW_SX_EUlSW_E_NS1_11comp_targetILNS1_3genE9ELNS1_11target_archE1100ELNS1_3gpuE3ELNS1_3repE0EEENS1_30default_config_static_selectorELNS0_4arch9wavefront6targetE0EEEvT1_.num_agpr, 0
	.set _ZN7rocprim17ROCPRIM_400000_NS6detail17trampoline_kernelINS0_14default_configENS1_27scan_by_key_config_selectorIisEEZZNS1_16scan_by_key_implILNS1_25lookback_scan_determinismE0ELb1ES3_N6thrust23THRUST_200600_302600_NS6detail15normal_iteratorINS9_10device_ptrIiEEEENSB_INSC_IsEEEESG_sNS9_4plusIvEENS9_8equal_toIvEEsEE10hipError_tPvRmT2_T3_T4_T5_mT6_T7_P12ihipStream_tbENKUlT_T0_E_clISt17integral_constantIbLb1EES10_IbLb0EEEEDaSW_SX_EUlSW_E_NS1_11comp_targetILNS1_3genE9ELNS1_11target_archE1100ELNS1_3gpuE3ELNS1_3repE0EEENS1_30default_config_static_selectorELNS0_4arch9wavefront6targetE0EEEvT1_.numbered_sgpr, 0
	.set _ZN7rocprim17ROCPRIM_400000_NS6detail17trampoline_kernelINS0_14default_configENS1_27scan_by_key_config_selectorIisEEZZNS1_16scan_by_key_implILNS1_25lookback_scan_determinismE0ELb1ES3_N6thrust23THRUST_200600_302600_NS6detail15normal_iteratorINS9_10device_ptrIiEEEENSB_INSC_IsEEEESG_sNS9_4plusIvEENS9_8equal_toIvEEsEE10hipError_tPvRmT2_T3_T4_T5_mT6_T7_P12ihipStream_tbENKUlT_T0_E_clISt17integral_constantIbLb1EES10_IbLb0EEEEDaSW_SX_EUlSW_E_NS1_11comp_targetILNS1_3genE9ELNS1_11target_archE1100ELNS1_3gpuE3ELNS1_3repE0EEENS1_30default_config_static_selectorELNS0_4arch9wavefront6targetE0EEEvT1_.num_named_barrier, 0
	.set _ZN7rocprim17ROCPRIM_400000_NS6detail17trampoline_kernelINS0_14default_configENS1_27scan_by_key_config_selectorIisEEZZNS1_16scan_by_key_implILNS1_25lookback_scan_determinismE0ELb1ES3_N6thrust23THRUST_200600_302600_NS6detail15normal_iteratorINS9_10device_ptrIiEEEENSB_INSC_IsEEEESG_sNS9_4plusIvEENS9_8equal_toIvEEsEE10hipError_tPvRmT2_T3_T4_T5_mT6_T7_P12ihipStream_tbENKUlT_T0_E_clISt17integral_constantIbLb1EES10_IbLb0EEEEDaSW_SX_EUlSW_E_NS1_11comp_targetILNS1_3genE9ELNS1_11target_archE1100ELNS1_3gpuE3ELNS1_3repE0EEENS1_30default_config_static_selectorELNS0_4arch9wavefront6targetE0EEEvT1_.private_seg_size, 0
	.set _ZN7rocprim17ROCPRIM_400000_NS6detail17trampoline_kernelINS0_14default_configENS1_27scan_by_key_config_selectorIisEEZZNS1_16scan_by_key_implILNS1_25lookback_scan_determinismE0ELb1ES3_N6thrust23THRUST_200600_302600_NS6detail15normal_iteratorINS9_10device_ptrIiEEEENSB_INSC_IsEEEESG_sNS9_4plusIvEENS9_8equal_toIvEEsEE10hipError_tPvRmT2_T3_T4_T5_mT6_T7_P12ihipStream_tbENKUlT_T0_E_clISt17integral_constantIbLb1EES10_IbLb0EEEEDaSW_SX_EUlSW_E_NS1_11comp_targetILNS1_3genE9ELNS1_11target_archE1100ELNS1_3gpuE3ELNS1_3repE0EEENS1_30default_config_static_selectorELNS0_4arch9wavefront6targetE0EEEvT1_.uses_vcc, 0
	.set _ZN7rocprim17ROCPRIM_400000_NS6detail17trampoline_kernelINS0_14default_configENS1_27scan_by_key_config_selectorIisEEZZNS1_16scan_by_key_implILNS1_25lookback_scan_determinismE0ELb1ES3_N6thrust23THRUST_200600_302600_NS6detail15normal_iteratorINS9_10device_ptrIiEEEENSB_INSC_IsEEEESG_sNS9_4plusIvEENS9_8equal_toIvEEsEE10hipError_tPvRmT2_T3_T4_T5_mT6_T7_P12ihipStream_tbENKUlT_T0_E_clISt17integral_constantIbLb1EES10_IbLb0EEEEDaSW_SX_EUlSW_E_NS1_11comp_targetILNS1_3genE9ELNS1_11target_archE1100ELNS1_3gpuE3ELNS1_3repE0EEENS1_30default_config_static_selectorELNS0_4arch9wavefront6targetE0EEEvT1_.uses_flat_scratch, 0
	.set _ZN7rocprim17ROCPRIM_400000_NS6detail17trampoline_kernelINS0_14default_configENS1_27scan_by_key_config_selectorIisEEZZNS1_16scan_by_key_implILNS1_25lookback_scan_determinismE0ELb1ES3_N6thrust23THRUST_200600_302600_NS6detail15normal_iteratorINS9_10device_ptrIiEEEENSB_INSC_IsEEEESG_sNS9_4plusIvEENS9_8equal_toIvEEsEE10hipError_tPvRmT2_T3_T4_T5_mT6_T7_P12ihipStream_tbENKUlT_T0_E_clISt17integral_constantIbLb1EES10_IbLb0EEEEDaSW_SX_EUlSW_E_NS1_11comp_targetILNS1_3genE9ELNS1_11target_archE1100ELNS1_3gpuE3ELNS1_3repE0EEENS1_30default_config_static_selectorELNS0_4arch9wavefront6targetE0EEEvT1_.has_dyn_sized_stack, 0
	.set _ZN7rocprim17ROCPRIM_400000_NS6detail17trampoline_kernelINS0_14default_configENS1_27scan_by_key_config_selectorIisEEZZNS1_16scan_by_key_implILNS1_25lookback_scan_determinismE0ELb1ES3_N6thrust23THRUST_200600_302600_NS6detail15normal_iteratorINS9_10device_ptrIiEEEENSB_INSC_IsEEEESG_sNS9_4plusIvEENS9_8equal_toIvEEsEE10hipError_tPvRmT2_T3_T4_T5_mT6_T7_P12ihipStream_tbENKUlT_T0_E_clISt17integral_constantIbLb1EES10_IbLb0EEEEDaSW_SX_EUlSW_E_NS1_11comp_targetILNS1_3genE9ELNS1_11target_archE1100ELNS1_3gpuE3ELNS1_3repE0EEENS1_30default_config_static_selectorELNS0_4arch9wavefront6targetE0EEEvT1_.has_recursion, 0
	.set _ZN7rocprim17ROCPRIM_400000_NS6detail17trampoline_kernelINS0_14default_configENS1_27scan_by_key_config_selectorIisEEZZNS1_16scan_by_key_implILNS1_25lookback_scan_determinismE0ELb1ES3_N6thrust23THRUST_200600_302600_NS6detail15normal_iteratorINS9_10device_ptrIiEEEENSB_INSC_IsEEEESG_sNS9_4plusIvEENS9_8equal_toIvEEsEE10hipError_tPvRmT2_T3_T4_T5_mT6_T7_P12ihipStream_tbENKUlT_T0_E_clISt17integral_constantIbLb1EES10_IbLb0EEEEDaSW_SX_EUlSW_E_NS1_11comp_targetILNS1_3genE9ELNS1_11target_archE1100ELNS1_3gpuE3ELNS1_3repE0EEENS1_30default_config_static_selectorELNS0_4arch9wavefront6targetE0EEEvT1_.has_indirect_call, 0
	.section	.AMDGPU.csdata,"",@progbits
; Kernel info:
; codeLenInByte = 0
; TotalNumSgprs: 0
; NumVgprs: 0
; ScratchSize: 0
; MemoryBound: 0
; FloatMode: 240
; IeeeMode: 1
; LDSByteSize: 0 bytes/workgroup (compile time only)
; SGPRBlocks: 0
; VGPRBlocks: 0
; NumSGPRsForWavesPerEU: 1
; NumVGPRsForWavesPerEU: 1
; Occupancy: 16
; WaveLimiterHint : 0
; COMPUTE_PGM_RSRC2:SCRATCH_EN: 0
; COMPUTE_PGM_RSRC2:USER_SGPR: 6
; COMPUTE_PGM_RSRC2:TRAP_HANDLER: 0
; COMPUTE_PGM_RSRC2:TGID_X_EN: 1
; COMPUTE_PGM_RSRC2:TGID_Y_EN: 0
; COMPUTE_PGM_RSRC2:TGID_Z_EN: 0
; COMPUTE_PGM_RSRC2:TIDIG_COMP_CNT: 0
	.section	.text._ZN7rocprim17ROCPRIM_400000_NS6detail17trampoline_kernelINS0_14default_configENS1_27scan_by_key_config_selectorIisEEZZNS1_16scan_by_key_implILNS1_25lookback_scan_determinismE0ELb1ES3_N6thrust23THRUST_200600_302600_NS6detail15normal_iteratorINS9_10device_ptrIiEEEENSB_INSC_IsEEEESG_sNS9_4plusIvEENS9_8equal_toIvEEsEE10hipError_tPvRmT2_T3_T4_T5_mT6_T7_P12ihipStream_tbENKUlT_T0_E_clISt17integral_constantIbLb1EES10_IbLb0EEEEDaSW_SX_EUlSW_E_NS1_11comp_targetILNS1_3genE8ELNS1_11target_archE1030ELNS1_3gpuE2ELNS1_3repE0EEENS1_30default_config_static_selectorELNS0_4arch9wavefront6targetE0EEEvT1_,"axG",@progbits,_ZN7rocprim17ROCPRIM_400000_NS6detail17trampoline_kernelINS0_14default_configENS1_27scan_by_key_config_selectorIisEEZZNS1_16scan_by_key_implILNS1_25lookback_scan_determinismE0ELb1ES3_N6thrust23THRUST_200600_302600_NS6detail15normal_iteratorINS9_10device_ptrIiEEEENSB_INSC_IsEEEESG_sNS9_4plusIvEENS9_8equal_toIvEEsEE10hipError_tPvRmT2_T3_T4_T5_mT6_T7_P12ihipStream_tbENKUlT_T0_E_clISt17integral_constantIbLb1EES10_IbLb0EEEEDaSW_SX_EUlSW_E_NS1_11comp_targetILNS1_3genE8ELNS1_11target_archE1030ELNS1_3gpuE2ELNS1_3repE0EEENS1_30default_config_static_selectorELNS0_4arch9wavefront6targetE0EEEvT1_,comdat
	.protected	_ZN7rocprim17ROCPRIM_400000_NS6detail17trampoline_kernelINS0_14default_configENS1_27scan_by_key_config_selectorIisEEZZNS1_16scan_by_key_implILNS1_25lookback_scan_determinismE0ELb1ES3_N6thrust23THRUST_200600_302600_NS6detail15normal_iteratorINS9_10device_ptrIiEEEENSB_INSC_IsEEEESG_sNS9_4plusIvEENS9_8equal_toIvEEsEE10hipError_tPvRmT2_T3_T4_T5_mT6_T7_P12ihipStream_tbENKUlT_T0_E_clISt17integral_constantIbLb1EES10_IbLb0EEEEDaSW_SX_EUlSW_E_NS1_11comp_targetILNS1_3genE8ELNS1_11target_archE1030ELNS1_3gpuE2ELNS1_3repE0EEENS1_30default_config_static_selectorELNS0_4arch9wavefront6targetE0EEEvT1_ ; -- Begin function _ZN7rocprim17ROCPRIM_400000_NS6detail17trampoline_kernelINS0_14default_configENS1_27scan_by_key_config_selectorIisEEZZNS1_16scan_by_key_implILNS1_25lookback_scan_determinismE0ELb1ES3_N6thrust23THRUST_200600_302600_NS6detail15normal_iteratorINS9_10device_ptrIiEEEENSB_INSC_IsEEEESG_sNS9_4plusIvEENS9_8equal_toIvEEsEE10hipError_tPvRmT2_T3_T4_T5_mT6_T7_P12ihipStream_tbENKUlT_T0_E_clISt17integral_constantIbLb1EES10_IbLb0EEEEDaSW_SX_EUlSW_E_NS1_11comp_targetILNS1_3genE8ELNS1_11target_archE1030ELNS1_3gpuE2ELNS1_3repE0EEENS1_30default_config_static_selectorELNS0_4arch9wavefront6targetE0EEEvT1_
	.globl	_ZN7rocprim17ROCPRIM_400000_NS6detail17trampoline_kernelINS0_14default_configENS1_27scan_by_key_config_selectorIisEEZZNS1_16scan_by_key_implILNS1_25lookback_scan_determinismE0ELb1ES3_N6thrust23THRUST_200600_302600_NS6detail15normal_iteratorINS9_10device_ptrIiEEEENSB_INSC_IsEEEESG_sNS9_4plusIvEENS9_8equal_toIvEEsEE10hipError_tPvRmT2_T3_T4_T5_mT6_T7_P12ihipStream_tbENKUlT_T0_E_clISt17integral_constantIbLb1EES10_IbLb0EEEEDaSW_SX_EUlSW_E_NS1_11comp_targetILNS1_3genE8ELNS1_11target_archE1030ELNS1_3gpuE2ELNS1_3repE0EEENS1_30default_config_static_selectorELNS0_4arch9wavefront6targetE0EEEvT1_
	.p2align	8
	.type	_ZN7rocprim17ROCPRIM_400000_NS6detail17trampoline_kernelINS0_14default_configENS1_27scan_by_key_config_selectorIisEEZZNS1_16scan_by_key_implILNS1_25lookback_scan_determinismE0ELb1ES3_N6thrust23THRUST_200600_302600_NS6detail15normal_iteratorINS9_10device_ptrIiEEEENSB_INSC_IsEEEESG_sNS9_4plusIvEENS9_8equal_toIvEEsEE10hipError_tPvRmT2_T3_T4_T5_mT6_T7_P12ihipStream_tbENKUlT_T0_E_clISt17integral_constantIbLb1EES10_IbLb0EEEEDaSW_SX_EUlSW_E_NS1_11comp_targetILNS1_3genE8ELNS1_11target_archE1030ELNS1_3gpuE2ELNS1_3repE0EEENS1_30default_config_static_selectorELNS0_4arch9wavefront6targetE0EEEvT1_,@function
_ZN7rocprim17ROCPRIM_400000_NS6detail17trampoline_kernelINS0_14default_configENS1_27scan_by_key_config_selectorIisEEZZNS1_16scan_by_key_implILNS1_25lookback_scan_determinismE0ELb1ES3_N6thrust23THRUST_200600_302600_NS6detail15normal_iteratorINS9_10device_ptrIiEEEENSB_INSC_IsEEEESG_sNS9_4plusIvEENS9_8equal_toIvEEsEE10hipError_tPvRmT2_T3_T4_T5_mT6_T7_P12ihipStream_tbENKUlT_T0_E_clISt17integral_constantIbLb1EES10_IbLb0EEEEDaSW_SX_EUlSW_E_NS1_11comp_targetILNS1_3genE8ELNS1_11target_archE1030ELNS1_3gpuE2ELNS1_3repE0EEENS1_30default_config_static_selectorELNS0_4arch9wavefront6targetE0EEEvT1_: ; @_ZN7rocprim17ROCPRIM_400000_NS6detail17trampoline_kernelINS0_14default_configENS1_27scan_by_key_config_selectorIisEEZZNS1_16scan_by_key_implILNS1_25lookback_scan_determinismE0ELb1ES3_N6thrust23THRUST_200600_302600_NS6detail15normal_iteratorINS9_10device_ptrIiEEEENSB_INSC_IsEEEESG_sNS9_4plusIvEENS9_8equal_toIvEEsEE10hipError_tPvRmT2_T3_T4_T5_mT6_T7_P12ihipStream_tbENKUlT_T0_E_clISt17integral_constantIbLb1EES10_IbLb0EEEEDaSW_SX_EUlSW_E_NS1_11comp_targetILNS1_3genE8ELNS1_11target_archE1030ELNS1_3gpuE2ELNS1_3repE0EEENS1_30default_config_static_selectorELNS0_4arch9wavefront6targetE0EEEvT1_
; %bb.0:
	s_endpgm
	.section	.rodata,"a",@progbits
	.p2align	6, 0x0
	.amdhsa_kernel _ZN7rocprim17ROCPRIM_400000_NS6detail17trampoline_kernelINS0_14default_configENS1_27scan_by_key_config_selectorIisEEZZNS1_16scan_by_key_implILNS1_25lookback_scan_determinismE0ELb1ES3_N6thrust23THRUST_200600_302600_NS6detail15normal_iteratorINS9_10device_ptrIiEEEENSB_INSC_IsEEEESG_sNS9_4plusIvEENS9_8equal_toIvEEsEE10hipError_tPvRmT2_T3_T4_T5_mT6_T7_P12ihipStream_tbENKUlT_T0_E_clISt17integral_constantIbLb1EES10_IbLb0EEEEDaSW_SX_EUlSW_E_NS1_11comp_targetILNS1_3genE8ELNS1_11target_archE1030ELNS1_3gpuE2ELNS1_3repE0EEENS1_30default_config_static_selectorELNS0_4arch9wavefront6targetE0EEEvT1_
		.amdhsa_group_segment_fixed_size 0
		.amdhsa_private_segment_fixed_size 0
		.amdhsa_kernarg_size 112
		.amdhsa_user_sgpr_count 6
		.amdhsa_user_sgpr_private_segment_buffer 1
		.amdhsa_user_sgpr_dispatch_ptr 0
		.amdhsa_user_sgpr_queue_ptr 0
		.amdhsa_user_sgpr_kernarg_segment_ptr 1
		.amdhsa_user_sgpr_dispatch_id 0
		.amdhsa_user_sgpr_flat_scratch_init 0
		.amdhsa_user_sgpr_private_segment_size 0
		.amdhsa_wavefront_size32 1
		.amdhsa_uses_dynamic_stack 0
		.amdhsa_system_sgpr_private_segment_wavefront_offset 0
		.amdhsa_system_sgpr_workgroup_id_x 1
		.amdhsa_system_sgpr_workgroup_id_y 0
		.amdhsa_system_sgpr_workgroup_id_z 0
		.amdhsa_system_sgpr_workgroup_info 0
		.amdhsa_system_vgpr_workitem_id 0
		.amdhsa_next_free_vgpr 1
		.amdhsa_next_free_sgpr 1
		.amdhsa_reserve_vcc 0
		.amdhsa_reserve_flat_scratch 0
		.amdhsa_float_round_mode_32 0
		.amdhsa_float_round_mode_16_64 0
		.amdhsa_float_denorm_mode_32 3
		.amdhsa_float_denorm_mode_16_64 3
		.amdhsa_dx10_clamp 1
		.amdhsa_ieee_mode 1
		.amdhsa_fp16_overflow 0
		.amdhsa_workgroup_processor_mode 1
		.amdhsa_memory_ordered 1
		.amdhsa_forward_progress 1
		.amdhsa_shared_vgpr_count 0
		.amdhsa_exception_fp_ieee_invalid_op 0
		.amdhsa_exception_fp_denorm_src 0
		.amdhsa_exception_fp_ieee_div_zero 0
		.amdhsa_exception_fp_ieee_overflow 0
		.amdhsa_exception_fp_ieee_underflow 0
		.amdhsa_exception_fp_ieee_inexact 0
		.amdhsa_exception_int_div_zero 0
	.end_amdhsa_kernel
	.section	.text._ZN7rocprim17ROCPRIM_400000_NS6detail17trampoline_kernelINS0_14default_configENS1_27scan_by_key_config_selectorIisEEZZNS1_16scan_by_key_implILNS1_25lookback_scan_determinismE0ELb1ES3_N6thrust23THRUST_200600_302600_NS6detail15normal_iteratorINS9_10device_ptrIiEEEENSB_INSC_IsEEEESG_sNS9_4plusIvEENS9_8equal_toIvEEsEE10hipError_tPvRmT2_T3_T4_T5_mT6_T7_P12ihipStream_tbENKUlT_T0_E_clISt17integral_constantIbLb1EES10_IbLb0EEEEDaSW_SX_EUlSW_E_NS1_11comp_targetILNS1_3genE8ELNS1_11target_archE1030ELNS1_3gpuE2ELNS1_3repE0EEENS1_30default_config_static_selectorELNS0_4arch9wavefront6targetE0EEEvT1_,"axG",@progbits,_ZN7rocprim17ROCPRIM_400000_NS6detail17trampoline_kernelINS0_14default_configENS1_27scan_by_key_config_selectorIisEEZZNS1_16scan_by_key_implILNS1_25lookback_scan_determinismE0ELb1ES3_N6thrust23THRUST_200600_302600_NS6detail15normal_iteratorINS9_10device_ptrIiEEEENSB_INSC_IsEEEESG_sNS9_4plusIvEENS9_8equal_toIvEEsEE10hipError_tPvRmT2_T3_T4_T5_mT6_T7_P12ihipStream_tbENKUlT_T0_E_clISt17integral_constantIbLb1EES10_IbLb0EEEEDaSW_SX_EUlSW_E_NS1_11comp_targetILNS1_3genE8ELNS1_11target_archE1030ELNS1_3gpuE2ELNS1_3repE0EEENS1_30default_config_static_selectorELNS0_4arch9wavefront6targetE0EEEvT1_,comdat
.Lfunc_end1633:
	.size	_ZN7rocprim17ROCPRIM_400000_NS6detail17trampoline_kernelINS0_14default_configENS1_27scan_by_key_config_selectorIisEEZZNS1_16scan_by_key_implILNS1_25lookback_scan_determinismE0ELb1ES3_N6thrust23THRUST_200600_302600_NS6detail15normal_iteratorINS9_10device_ptrIiEEEENSB_INSC_IsEEEESG_sNS9_4plusIvEENS9_8equal_toIvEEsEE10hipError_tPvRmT2_T3_T4_T5_mT6_T7_P12ihipStream_tbENKUlT_T0_E_clISt17integral_constantIbLb1EES10_IbLb0EEEEDaSW_SX_EUlSW_E_NS1_11comp_targetILNS1_3genE8ELNS1_11target_archE1030ELNS1_3gpuE2ELNS1_3repE0EEENS1_30default_config_static_selectorELNS0_4arch9wavefront6targetE0EEEvT1_, .Lfunc_end1633-_ZN7rocprim17ROCPRIM_400000_NS6detail17trampoline_kernelINS0_14default_configENS1_27scan_by_key_config_selectorIisEEZZNS1_16scan_by_key_implILNS1_25lookback_scan_determinismE0ELb1ES3_N6thrust23THRUST_200600_302600_NS6detail15normal_iteratorINS9_10device_ptrIiEEEENSB_INSC_IsEEEESG_sNS9_4plusIvEENS9_8equal_toIvEEsEE10hipError_tPvRmT2_T3_T4_T5_mT6_T7_P12ihipStream_tbENKUlT_T0_E_clISt17integral_constantIbLb1EES10_IbLb0EEEEDaSW_SX_EUlSW_E_NS1_11comp_targetILNS1_3genE8ELNS1_11target_archE1030ELNS1_3gpuE2ELNS1_3repE0EEENS1_30default_config_static_selectorELNS0_4arch9wavefront6targetE0EEEvT1_
                                        ; -- End function
	.set _ZN7rocprim17ROCPRIM_400000_NS6detail17trampoline_kernelINS0_14default_configENS1_27scan_by_key_config_selectorIisEEZZNS1_16scan_by_key_implILNS1_25lookback_scan_determinismE0ELb1ES3_N6thrust23THRUST_200600_302600_NS6detail15normal_iteratorINS9_10device_ptrIiEEEENSB_INSC_IsEEEESG_sNS9_4plusIvEENS9_8equal_toIvEEsEE10hipError_tPvRmT2_T3_T4_T5_mT6_T7_P12ihipStream_tbENKUlT_T0_E_clISt17integral_constantIbLb1EES10_IbLb0EEEEDaSW_SX_EUlSW_E_NS1_11comp_targetILNS1_3genE8ELNS1_11target_archE1030ELNS1_3gpuE2ELNS1_3repE0EEENS1_30default_config_static_selectorELNS0_4arch9wavefront6targetE0EEEvT1_.num_vgpr, 0
	.set _ZN7rocprim17ROCPRIM_400000_NS6detail17trampoline_kernelINS0_14default_configENS1_27scan_by_key_config_selectorIisEEZZNS1_16scan_by_key_implILNS1_25lookback_scan_determinismE0ELb1ES3_N6thrust23THRUST_200600_302600_NS6detail15normal_iteratorINS9_10device_ptrIiEEEENSB_INSC_IsEEEESG_sNS9_4plusIvEENS9_8equal_toIvEEsEE10hipError_tPvRmT2_T3_T4_T5_mT6_T7_P12ihipStream_tbENKUlT_T0_E_clISt17integral_constantIbLb1EES10_IbLb0EEEEDaSW_SX_EUlSW_E_NS1_11comp_targetILNS1_3genE8ELNS1_11target_archE1030ELNS1_3gpuE2ELNS1_3repE0EEENS1_30default_config_static_selectorELNS0_4arch9wavefront6targetE0EEEvT1_.num_agpr, 0
	.set _ZN7rocprim17ROCPRIM_400000_NS6detail17trampoline_kernelINS0_14default_configENS1_27scan_by_key_config_selectorIisEEZZNS1_16scan_by_key_implILNS1_25lookback_scan_determinismE0ELb1ES3_N6thrust23THRUST_200600_302600_NS6detail15normal_iteratorINS9_10device_ptrIiEEEENSB_INSC_IsEEEESG_sNS9_4plusIvEENS9_8equal_toIvEEsEE10hipError_tPvRmT2_T3_T4_T5_mT6_T7_P12ihipStream_tbENKUlT_T0_E_clISt17integral_constantIbLb1EES10_IbLb0EEEEDaSW_SX_EUlSW_E_NS1_11comp_targetILNS1_3genE8ELNS1_11target_archE1030ELNS1_3gpuE2ELNS1_3repE0EEENS1_30default_config_static_selectorELNS0_4arch9wavefront6targetE0EEEvT1_.numbered_sgpr, 0
	.set _ZN7rocprim17ROCPRIM_400000_NS6detail17trampoline_kernelINS0_14default_configENS1_27scan_by_key_config_selectorIisEEZZNS1_16scan_by_key_implILNS1_25lookback_scan_determinismE0ELb1ES3_N6thrust23THRUST_200600_302600_NS6detail15normal_iteratorINS9_10device_ptrIiEEEENSB_INSC_IsEEEESG_sNS9_4plusIvEENS9_8equal_toIvEEsEE10hipError_tPvRmT2_T3_T4_T5_mT6_T7_P12ihipStream_tbENKUlT_T0_E_clISt17integral_constantIbLb1EES10_IbLb0EEEEDaSW_SX_EUlSW_E_NS1_11comp_targetILNS1_3genE8ELNS1_11target_archE1030ELNS1_3gpuE2ELNS1_3repE0EEENS1_30default_config_static_selectorELNS0_4arch9wavefront6targetE0EEEvT1_.num_named_barrier, 0
	.set _ZN7rocprim17ROCPRIM_400000_NS6detail17trampoline_kernelINS0_14default_configENS1_27scan_by_key_config_selectorIisEEZZNS1_16scan_by_key_implILNS1_25lookback_scan_determinismE0ELb1ES3_N6thrust23THRUST_200600_302600_NS6detail15normal_iteratorINS9_10device_ptrIiEEEENSB_INSC_IsEEEESG_sNS9_4plusIvEENS9_8equal_toIvEEsEE10hipError_tPvRmT2_T3_T4_T5_mT6_T7_P12ihipStream_tbENKUlT_T0_E_clISt17integral_constantIbLb1EES10_IbLb0EEEEDaSW_SX_EUlSW_E_NS1_11comp_targetILNS1_3genE8ELNS1_11target_archE1030ELNS1_3gpuE2ELNS1_3repE0EEENS1_30default_config_static_selectorELNS0_4arch9wavefront6targetE0EEEvT1_.private_seg_size, 0
	.set _ZN7rocprim17ROCPRIM_400000_NS6detail17trampoline_kernelINS0_14default_configENS1_27scan_by_key_config_selectorIisEEZZNS1_16scan_by_key_implILNS1_25lookback_scan_determinismE0ELb1ES3_N6thrust23THRUST_200600_302600_NS6detail15normal_iteratorINS9_10device_ptrIiEEEENSB_INSC_IsEEEESG_sNS9_4plusIvEENS9_8equal_toIvEEsEE10hipError_tPvRmT2_T3_T4_T5_mT6_T7_P12ihipStream_tbENKUlT_T0_E_clISt17integral_constantIbLb1EES10_IbLb0EEEEDaSW_SX_EUlSW_E_NS1_11comp_targetILNS1_3genE8ELNS1_11target_archE1030ELNS1_3gpuE2ELNS1_3repE0EEENS1_30default_config_static_selectorELNS0_4arch9wavefront6targetE0EEEvT1_.uses_vcc, 0
	.set _ZN7rocprim17ROCPRIM_400000_NS6detail17trampoline_kernelINS0_14default_configENS1_27scan_by_key_config_selectorIisEEZZNS1_16scan_by_key_implILNS1_25lookback_scan_determinismE0ELb1ES3_N6thrust23THRUST_200600_302600_NS6detail15normal_iteratorINS9_10device_ptrIiEEEENSB_INSC_IsEEEESG_sNS9_4plusIvEENS9_8equal_toIvEEsEE10hipError_tPvRmT2_T3_T4_T5_mT6_T7_P12ihipStream_tbENKUlT_T0_E_clISt17integral_constantIbLb1EES10_IbLb0EEEEDaSW_SX_EUlSW_E_NS1_11comp_targetILNS1_3genE8ELNS1_11target_archE1030ELNS1_3gpuE2ELNS1_3repE0EEENS1_30default_config_static_selectorELNS0_4arch9wavefront6targetE0EEEvT1_.uses_flat_scratch, 0
	.set _ZN7rocprim17ROCPRIM_400000_NS6detail17trampoline_kernelINS0_14default_configENS1_27scan_by_key_config_selectorIisEEZZNS1_16scan_by_key_implILNS1_25lookback_scan_determinismE0ELb1ES3_N6thrust23THRUST_200600_302600_NS6detail15normal_iteratorINS9_10device_ptrIiEEEENSB_INSC_IsEEEESG_sNS9_4plusIvEENS9_8equal_toIvEEsEE10hipError_tPvRmT2_T3_T4_T5_mT6_T7_P12ihipStream_tbENKUlT_T0_E_clISt17integral_constantIbLb1EES10_IbLb0EEEEDaSW_SX_EUlSW_E_NS1_11comp_targetILNS1_3genE8ELNS1_11target_archE1030ELNS1_3gpuE2ELNS1_3repE0EEENS1_30default_config_static_selectorELNS0_4arch9wavefront6targetE0EEEvT1_.has_dyn_sized_stack, 0
	.set _ZN7rocprim17ROCPRIM_400000_NS6detail17trampoline_kernelINS0_14default_configENS1_27scan_by_key_config_selectorIisEEZZNS1_16scan_by_key_implILNS1_25lookback_scan_determinismE0ELb1ES3_N6thrust23THRUST_200600_302600_NS6detail15normal_iteratorINS9_10device_ptrIiEEEENSB_INSC_IsEEEESG_sNS9_4plusIvEENS9_8equal_toIvEEsEE10hipError_tPvRmT2_T3_T4_T5_mT6_T7_P12ihipStream_tbENKUlT_T0_E_clISt17integral_constantIbLb1EES10_IbLb0EEEEDaSW_SX_EUlSW_E_NS1_11comp_targetILNS1_3genE8ELNS1_11target_archE1030ELNS1_3gpuE2ELNS1_3repE0EEENS1_30default_config_static_selectorELNS0_4arch9wavefront6targetE0EEEvT1_.has_recursion, 0
	.set _ZN7rocprim17ROCPRIM_400000_NS6detail17trampoline_kernelINS0_14default_configENS1_27scan_by_key_config_selectorIisEEZZNS1_16scan_by_key_implILNS1_25lookback_scan_determinismE0ELb1ES3_N6thrust23THRUST_200600_302600_NS6detail15normal_iteratorINS9_10device_ptrIiEEEENSB_INSC_IsEEEESG_sNS9_4plusIvEENS9_8equal_toIvEEsEE10hipError_tPvRmT2_T3_T4_T5_mT6_T7_P12ihipStream_tbENKUlT_T0_E_clISt17integral_constantIbLb1EES10_IbLb0EEEEDaSW_SX_EUlSW_E_NS1_11comp_targetILNS1_3genE8ELNS1_11target_archE1030ELNS1_3gpuE2ELNS1_3repE0EEENS1_30default_config_static_selectorELNS0_4arch9wavefront6targetE0EEEvT1_.has_indirect_call, 0
	.section	.AMDGPU.csdata,"",@progbits
; Kernel info:
; codeLenInByte = 4
; TotalNumSgprs: 0
; NumVgprs: 0
; ScratchSize: 0
; MemoryBound: 0
; FloatMode: 240
; IeeeMode: 1
; LDSByteSize: 0 bytes/workgroup (compile time only)
; SGPRBlocks: 0
; VGPRBlocks: 0
; NumSGPRsForWavesPerEU: 1
; NumVGPRsForWavesPerEU: 1
; Occupancy: 16
; WaveLimiterHint : 0
; COMPUTE_PGM_RSRC2:SCRATCH_EN: 0
; COMPUTE_PGM_RSRC2:USER_SGPR: 6
; COMPUTE_PGM_RSRC2:TRAP_HANDLER: 0
; COMPUTE_PGM_RSRC2:TGID_X_EN: 1
; COMPUTE_PGM_RSRC2:TGID_Y_EN: 0
; COMPUTE_PGM_RSRC2:TGID_Z_EN: 0
; COMPUTE_PGM_RSRC2:TIDIG_COMP_CNT: 0
	.section	.text._ZN7rocprim17ROCPRIM_400000_NS6detail17trampoline_kernelINS0_14default_configENS1_27scan_by_key_config_selectorIisEEZZNS1_16scan_by_key_implILNS1_25lookback_scan_determinismE0ELb1ES3_N6thrust23THRUST_200600_302600_NS6detail15normal_iteratorINS9_10device_ptrIiEEEENSB_INSC_IsEEEESG_sNS9_4plusIvEENS9_8equal_toIvEEsEE10hipError_tPvRmT2_T3_T4_T5_mT6_T7_P12ihipStream_tbENKUlT_T0_E_clISt17integral_constantIbLb0EES10_IbLb1EEEEDaSW_SX_EUlSW_E_NS1_11comp_targetILNS1_3genE0ELNS1_11target_archE4294967295ELNS1_3gpuE0ELNS1_3repE0EEENS1_30default_config_static_selectorELNS0_4arch9wavefront6targetE0EEEvT1_,"axG",@progbits,_ZN7rocprim17ROCPRIM_400000_NS6detail17trampoline_kernelINS0_14default_configENS1_27scan_by_key_config_selectorIisEEZZNS1_16scan_by_key_implILNS1_25lookback_scan_determinismE0ELb1ES3_N6thrust23THRUST_200600_302600_NS6detail15normal_iteratorINS9_10device_ptrIiEEEENSB_INSC_IsEEEESG_sNS9_4plusIvEENS9_8equal_toIvEEsEE10hipError_tPvRmT2_T3_T4_T5_mT6_T7_P12ihipStream_tbENKUlT_T0_E_clISt17integral_constantIbLb0EES10_IbLb1EEEEDaSW_SX_EUlSW_E_NS1_11comp_targetILNS1_3genE0ELNS1_11target_archE4294967295ELNS1_3gpuE0ELNS1_3repE0EEENS1_30default_config_static_selectorELNS0_4arch9wavefront6targetE0EEEvT1_,comdat
	.protected	_ZN7rocprim17ROCPRIM_400000_NS6detail17trampoline_kernelINS0_14default_configENS1_27scan_by_key_config_selectorIisEEZZNS1_16scan_by_key_implILNS1_25lookback_scan_determinismE0ELb1ES3_N6thrust23THRUST_200600_302600_NS6detail15normal_iteratorINS9_10device_ptrIiEEEENSB_INSC_IsEEEESG_sNS9_4plusIvEENS9_8equal_toIvEEsEE10hipError_tPvRmT2_T3_T4_T5_mT6_T7_P12ihipStream_tbENKUlT_T0_E_clISt17integral_constantIbLb0EES10_IbLb1EEEEDaSW_SX_EUlSW_E_NS1_11comp_targetILNS1_3genE0ELNS1_11target_archE4294967295ELNS1_3gpuE0ELNS1_3repE0EEENS1_30default_config_static_selectorELNS0_4arch9wavefront6targetE0EEEvT1_ ; -- Begin function _ZN7rocprim17ROCPRIM_400000_NS6detail17trampoline_kernelINS0_14default_configENS1_27scan_by_key_config_selectorIisEEZZNS1_16scan_by_key_implILNS1_25lookback_scan_determinismE0ELb1ES3_N6thrust23THRUST_200600_302600_NS6detail15normal_iteratorINS9_10device_ptrIiEEEENSB_INSC_IsEEEESG_sNS9_4plusIvEENS9_8equal_toIvEEsEE10hipError_tPvRmT2_T3_T4_T5_mT6_T7_P12ihipStream_tbENKUlT_T0_E_clISt17integral_constantIbLb0EES10_IbLb1EEEEDaSW_SX_EUlSW_E_NS1_11comp_targetILNS1_3genE0ELNS1_11target_archE4294967295ELNS1_3gpuE0ELNS1_3repE0EEENS1_30default_config_static_selectorELNS0_4arch9wavefront6targetE0EEEvT1_
	.globl	_ZN7rocprim17ROCPRIM_400000_NS6detail17trampoline_kernelINS0_14default_configENS1_27scan_by_key_config_selectorIisEEZZNS1_16scan_by_key_implILNS1_25lookback_scan_determinismE0ELb1ES3_N6thrust23THRUST_200600_302600_NS6detail15normal_iteratorINS9_10device_ptrIiEEEENSB_INSC_IsEEEESG_sNS9_4plusIvEENS9_8equal_toIvEEsEE10hipError_tPvRmT2_T3_T4_T5_mT6_T7_P12ihipStream_tbENKUlT_T0_E_clISt17integral_constantIbLb0EES10_IbLb1EEEEDaSW_SX_EUlSW_E_NS1_11comp_targetILNS1_3genE0ELNS1_11target_archE4294967295ELNS1_3gpuE0ELNS1_3repE0EEENS1_30default_config_static_selectorELNS0_4arch9wavefront6targetE0EEEvT1_
	.p2align	8
	.type	_ZN7rocprim17ROCPRIM_400000_NS6detail17trampoline_kernelINS0_14default_configENS1_27scan_by_key_config_selectorIisEEZZNS1_16scan_by_key_implILNS1_25lookback_scan_determinismE0ELb1ES3_N6thrust23THRUST_200600_302600_NS6detail15normal_iteratorINS9_10device_ptrIiEEEENSB_INSC_IsEEEESG_sNS9_4plusIvEENS9_8equal_toIvEEsEE10hipError_tPvRmT2_T3_T4_T5_mT6_T7_P12ihipStream_tbENKUlT_T0_E_clISt17integral_constantIbLb0EES10_IbLb1EEEEDaSW_SX_EUlSW_E_NS1_11comp_targetILNS1_3genE0ELNS1_11target_archE4294967295ELNS1_3gpuE0ELNS1_3repE0EEENS1_30default_config_static_selectorELNS0_4arch9wavefront6targetE0EEEvT1_,@function
_ZN7rocprim17ROCPRIM_400000_NS6detail17trampoline_kernelINS0_14default_configENS1_27scan_by_key_config_selectorIisEEZZNS1_16scan_by_key_implILNS1_25lookback_scan_determinismE0ELb1ES3_N6thrust23THRUST_200600_302600_NS6detail15normal_iteratorINS9_10device_ptrIiEEEENSB_INSC_IsEEEESG_sNS9_4plusIvEENS9_8equal_toIvEEsEE10hipError_tPvRmT2_T3_T4_T5_mT6_T7_P12ihipStream_tbENKUlT_T0_E_clISt17integral_constantIbLb0EES10_IbLb1EEEEDaSW_SX_EUlSW_E_NS1_11comp_targetILNS1_3genE0ELNS1_11target_archE4294967295ELNS1_3gpuE0ELNS1_3repE0EEENS1_30default_config_static_selectorELNS0_4arch9wavefront6targetE0EEEvT1_: ; @_ZN7rocprim17ROCPRIM_400000_NS6detail17trampoline_kernelINS0_14default_configENS1_27scan_by_key_config_selectorIisEEZZNS1_16scan_by_key_implILNS1_25lookback_scan_determinismE0ELb1ES3_N6thrust23THRUST_200600_302600_NS6detail15normal_iteratorINS9_10device_ptrIiEEEENSB_INSC_IsEEEESG_sNS9_4plusIvEENS9_8equal_toIvEEsEE10hipError_tPvRmT2_T3_T4_T5_mT6_T7_P12ihipStream_tbENKUlT_T0_E_clISt17integral_constantIbLb0EES10_IbLb1EEEEDaSW_SX_EUlSW_E_NS1_11comp_targetILNS1_3genE0ELNS1_11target_archE4294967295ELNS1_3gpuE0ELNS1_3repE0EEENS1_30default_config_static_selectorELNS0_4arch9wavefront6targetE0EEEvT1_
; %bb.0:
	.section	.rodata,"a",@progbits
	.p2align	6, 0x0
	.amdhsa_kernel _ZN7rocprim17ROCPRIM_400000_NS6detail17trampoline_kernelINS0_14default_configENS1_27scan_by_key_config_selectorIisEEZZNS1_16scan_by_key_implILNS1_25lookback_scan_determinismE0ELb1ES3_N6thrust23THRUST_200600_302600_NS6detail15normal_iteratorINS9_10device_ptrIiEEEENSB_INSC_IsEEEESG_sNS9_4plusIvEENS9_8equal_toIvEEsEE10hipError_tPvRmT2_T3_T4_T5_mT6_T7_P12ihipStream_tbENKUlT_T0_E_clISt17integral_constantIbLb0EES10_IbLb1EEEEDaSW_SX_EUlSW_E_NS1_11comp_targetILNS1_3genE0ELNS1_11target_archE4294967295ELNS1_3gpuE0ELNS1_3repE0EEENS1_30default_config_static_selectorELNS0_4arch9wavefront6targetE0EEEvT1_
		.amdhsa_group_segment_fixed_size 0
		.amdhsa_private_segment_fixed_size 0
		.amdhsa_kernarg_size 112
		.amdhsa_user_sgpr_count 6
		.amdhsa_user_sgpr_private_segment_buffer 1
		.amdhsa_user_sgpr_dispatch_ptr 0
		.amdhsa_user_sgpr_queue_ptr 0
		.amdhsa_user_sgpr_kernarg_segment_ptr 1
		.amdhsa_user_sgpr_dispatch_id 0
		.amdhsa_user_sgpr_flat_scratch_init 0
		.amdhsa_user_sgpr_private_segment_size 0
		.amdhsa_wavefront_size32 1
		.amdhsa_uses_dynamic_stack 0
		.amdhsa_system_sgpr_private_segment_wavefront_offset 0
		.amdhsa_system_sgpr_workgroup_id_x 1
		.amdhsa_system_sgpr_workgroup_id_y 0
		.amdhsa_system_sgpr_workgroup_id_z 0
		.amdhsa_system_sgpr_workgroup_info 0
		.amdhsa_system_vgpr_workitem_id 0
		.amdhsa_next_free_vgpr 1
		.amdhsa_next_free_sgpr 1
		.amdhsa_reserve_vcc 0
		.amdhsa_reserve_flat_scratch 0
		.amdhsa_float_round_mode_32 0
		.amdhsa_float_round_mode_16_64 0
		.amdhsa_float_denorm_mode_32 3
		.amdhsa_float_denorm_mode_16_64 3
		.amdhsa_dx10_clamp 1
		.amdhsa_ieee_mode 1
		.amdhsa_fp16_overflow 0
		.amdhsa_workgroup_processor_mode 1
		.amdhsa_memory_ordered 1
		.amdhsa_forward_progress 1
		.amdhsa_shared_vgpr_count 0
		.amdhsa_exception_fp_ieee_invalid_op 0
		.amdhsa_exception_fp_denorm_src 0
		.amdhsa_exception_fp_ieee_div_zero 0
		.amdhsa_exception_fp_ieee_overflow 0
		.amdhsa_exception_fp_ieee_underflow 0
		.amdhsa_exception_fp_ieee_inexact 0
		.amdhsa_exception_int_div_zero 0
	.end_amdhsa_kernel
	.section	.text._ZN7rocprim17ROCPRIM_400000_NS6detail17trampoline_kernelINS0_14default_configENS1_27scan_by_key_config_selectorIisEEZZNS1_16scan_by_key_implILNS1_25lookback_scan_determinismE0ELb1ES3_N6thrust23THRUST_200600_302600_NS6detail15normal_iteratorINS9_10device_ptrIiEEEENSB_INSC_IsEEEESG_sNS9_4plusIvEENS9_8equal_toIvEEsEE10hipError_tPvRmT2_T3_T4_T5_mT6_T7_P12ihipStream_tbENKUlT_T0_E_clISt17integral_constantIbLb0EES10_IbLb1EEEEDaSW_SX_EUlSW_E_NS1_11comp_targetILNS1_3genE0ELNS1_11target_archE4294967295ELNS1_3gpuE0ELNS1_3repE0EEENS1_30default_config_static_selectorELNS0_4arch9wavefront6targetE0EEEvT1_,"axG",@progbits,_ZN7rocprim17ROCPRIM_400000_NS6detail17trampoline_kernelINS0_14default_configENS1_27scan_by_key_config_selectorIisEEZZNS1_16scan_by_key_implILNS1_25lookback_scan_determinismE0ELb1ES3_N6thrust23THRUST_200600_302600_NS6detail15normal_iteratorINS9_10device_ptrIiEEEENSB_INSC_IsEEEESG_sNS9_4plusIvEENS9_8equal_toIvEEsEE10hipError_tPvRmT2_T3_T4_T5_mT6_T7_P12ihipStream_tbENKUlT_T0_E_clISt17integral_constantIbLb0EES10_IbLb1EEEEDaSW_SX_EUlSW_E_NS1_11comp_targetILNS1_3genE0ELNS1_11target_archE4294967295ELNS1_3gpuE0ELNS1_3repE0EEENS1_30default_config_static_selectorELNS0_4arch9wavefront6targetE0EEEvT1_,comdat
.Lfunc_end1634:
	.size	_ZN7rocprim17ROCPRIM_400000_NS6detail17trampoline_kernelINS0_14default_configENS1_27scan_by_key_config_selectorIisEEZZNS1_16scan_by_key_implILNS1_25lookback_scan_determinismE0ELb1ES3_N6thrust23THRUST_200600_302600_NS6detail15normal_iteratorINS9_10device_ptrIiEEEENSB_INSC_IsEEEESG_sNS9_4plusIvEENS9_8equal_toIvEEsEE10hipError_tPvRmT2_T3_T4_T5_mT6_T7_P12ihipStream_tbENKUlT_T0_E_clISt17integral_constantIbLb0EES10_IbLb1EEEEDaSW_SX_EUlSW_E_NS1_11comp_targetILNS1_3genE0ELNS1_11target_archE4294967295ELNS1_3gpuE0ELNS1_3repE0EEENS1_30default_config_static_selectorELNS0_4arch9wavefront6targetE0EEEvT1_, .Lfunc_end1634-_ZN7rocprim17ROCPRIM_400000_NS6detail17trampoline_kernelINS0_14default_configENS1_27scan_by_key_config_selectorIisEEZZNS1_16scan_by_key_implILNS1_25lookback_scan_determinismE0ELb1ES3_N6thrust23THRUST_200600_302600_NS6detail15normal_iteratorINS9_10device_ptrIiEEEENSB_INSC_IsEEEESG_sNS9_4plusIvEENS9_8equal_toIvEEsEE10hipError_tPvRmT2_T3_T4_T5_mT6_T7_P12ihipStream_tbENKUlT_T0_E_clISt17integral_constantIbLb0EES10_IbLb1EEEEDaSW_SX_EUlSW_E_NS1_11comp_targetILNS1_3genE0ELNS1_11target_archE4294967295ELNS1_3gpuE0ELNS1_3repE0EEENS1_30default_config_static_selectorELNS0_4arch9wavefront6targetE0EEEvT1_
                                        ; -- End function
	.set _ZN7rocprim17ROCPRIM_400000_NS6detail17trampoline_kernelINS0_14default_configENS1_27scan_by_key_config_selectorIisEEZZNS1_16scan_by_key_implILNS1_25lookback_scan_determinismE0ELb1ES3_N6thrust23THRUST_200600_302600_NS6detail15normal_iteratorINS9_10device_ptrIiEEEENSB_INSC_IsEEEESG_sNS9_4plusIvEENS9_8equal_toIvEEsEE10hipError_tPvRmT2_T3_T4_T5_mT6_T7_P12ihipStream_tbENKUlT_T0_E_clISt17integral_constantIbLb0EES10_IbLb1EEEEDaSW_SX_EUlSW_E_NS1_11comp_targetILNS1_3genE0ELNS1_11target_archE4294967295ELNS1_3gpuE0ELNS1_3repE0EEENS1_30default_config_static_selectorELNS0_4arch9wavefront6targetE0EEEvT1_.num_vgpr, 0
	.set _ZN7rocprim17ROCPRIM_400000_NS6detail17trampoline_kernelINS0_14default_configENS1_27scan_by_key_config_selectorIisEEZZNS1_16scan_by_key_implILNS1_25lookback_scan_determinismE0ELb1ES3_N6thrust23THRUST_200600_302600_NS6detail15normal_iteratorINS9_10device_ptrIiEEEENSB_INSC_IsEEEESG_sNS9_4plusIvEENS9_8equal_toIvEEsEE10hipError_tPvRmT2_T3_T4_T5_mT6_T7_P12ihipStream_tbENKUlT_T0_E_clISt17integral_constantIbLb0EES10_IbLb1EEEEDaSW_SX_EUlSW_E_NS1_11comp_targetILNS1_3genE0ELNS1_11target_archE4294967295ELNS1_3gpuE0ELNS1_3repE0EEENS1_30default_config_static_selectorELNS0_4arch9wavefront6targetE0EEEvT1_.num_agpr, 0
	.set _ZN7rocprim17ROCPRIM_400000_NS6detail17trampoline_kernelINS0_14default_configENS1_27scan_by_key_config_selectorIisEEZZNS1_16scan_by_key_implILNS1_25lookback_scan_determinismE0ELb1ES3_N6thrust23THRUST_200600_302600_NS6detail15normal_iteratorINS9_10device_ptrIiEEEENSB_INSC_IsEEEESG_sNS9_4plusIvEENS9_8equal_toIvEEsEE10hipError_tPvRmT2_T3_T4_T5_mT6_T7_P12ihipStream_tbENKUlT_T0_E_clISt17integral_constantIbLb0EES10_IbLb1EEEEDaSW_SX_EUlSW_E_NS1_11comp_targetILNS1_3genE0ELNS1_11target_archE4294967295ELNS1_3gpuE0ELNS1_3repE0EEENS1_30default_config_static_selectorELNS0_4arch9wavefront6targetE0EEEvT1_.numbered_sgpr, 0
	.set _ZN7rocprim17ROCPRIM_400000_NS6detail17trampoline_kernelINS0_14default_configENS1_27scan_by_key_config_selectorIisEEZZNS1_16scan_by_key_implILNS1_25lookback_scan_determinismE0ELb1ES3_N6thrust23THRUST_200600_302600_NS6detail15normal_iteratorINS9_10device_ptrIiEEEENSB_INSC_IsEEEESG_sNS9_4plusIvEENS9_8equal_toIvEEsEE10hipError_tPvRmT2_T3_T4_T5_mT6_T7_P12ihipStream_tbENKUlT_T0_E_clISt17integral_constantIbLb0EES10_IbLb1EEEEDaSW_SX_EUlSW_E_NS1_11comp_targetILNS1_3genE0ELNS1_11target_archE4294967295ELNS1_3gpuE0ELNS1_3repE0EEENS1_30default_config_static_selectorELNS0_4arch9wavefront6targetE0EEEvT1_.num_named_barrier, 0
	.set _ZN7rocprim17ROCPRIM_400000_NS6detail17trampoline_kernelINS0_14default_configENS1_27scan_by_key_config_selectorIisEEZZNS1_16scan_by_key_implILNS1_25lookback_scan_determinismE0ELb1ES3_N6thrust23THRUST_200600_302600_NS6detail15normal_iteratorINS9_10device_ptrIiEEEENSB_INSC_IsEEEESG_sNS9_4plusIvEENS9_8equal_toIvEEsEE10hipError_tPvRmT2_T3_T4_T5_mT6_T7_P12ihipStream_tbENKUlT_T0_E_clISt17integral_constantIbLb0EES10_IbLb1EEEEDaSW_SX_EUlSW_E_NS1_11comp_targetILNS1_3genE0ELNS1_11target_archE4294967295ELNS1_3gpuE0ELNS1_3repE0EEENS1_30default_config_static_selectorELNS0_4arch9wavefront6targetE0EEEvT1_.private_seg_size, 0
	.set _ZN7rocprim17ROCPRIM_400000_NS6detail17trampoline_kernelINS0_14default_configENS1_27scan_by_key_config_selectorIisEEZZNS1_16scan_by_key_implILNS1_25lookback_scan_determinismE0ELb1ES3_N6thrust23THRUST_200600_302600_NS6detail15normal_iteratorINS9_10device_ptrIiEEEENSB_INSC_IsEEEESG_sNS9_4plusIvEENS9_8equal_toIvEEsEE10hipError_tPvRmT2_T3_T4_T5_mT6_T7_P12ihipStream_tbENKUlT_T0_E_clISt17integral_constantIbLb0EES10_IbLb1EEEEDaSW_SX_EUlSW_E_NS1_11comp_targetILNS1_3genE0ELNS1_11target_archE4294967295ELNS1_3gpuE0ELNS1_3repE0EEENS1_30default_config_static_selectorELNS0_4arch9wavefront6targetE0EEEvT1_.uses_vcc, 0
	.set _ZN7rocprim17ROCPRIM_400000_NS6detail17trampoline_kernelINS0_14default_configENS1_27scan_by_key_config_selectorIisEEZZNS1_16scan_by_key_implILNS1_25lookback_scan_determinismE0ELb1ES3_N6thrust23THRUST_200600_302600_NS6detail15normal_iteratorINS9_10device_ptrIiEEEENSB_INSC_IsEEEESG_sNS9_4plusIvEENS9_8equal_toIvEEsEE10hipError_tPvRmT2_T3_T4_T5_mT6_T7_P12ihipStream_tbENKUlT_T0_E_clISt17integral_constantIbLb0EES10_IbLb1EEEEDaSW_SX_EUlSW_E_NS1_11comp_targetILNS1_3genE0ELNS1_11target_archE4294967295ELNS1_3gpuE0ELNS1_3repE0EEENS1_30default_config_static_selectorELNS0_4arch9wavefront6targetE0EEEvT1_.uses_flat_scratch, 0
	.set _ZN7rocprim17ROCPRIM_400000_NS6detail17trampoline_kernelINS0_14default_configENS1_27scan_by_key_config_selectorIisEEZZNS1_16scan_by_key_implILNS1_25lookback_scan_determinismE0ELb1ES3_N6thrust23THRUST_200600_302600_NS6detail15normal_iteratorINS9_10device_ptrIiEEEENSB_INSC_IsEEEESG_sNS9_4plusIvEENS9_8equal_toIvEEsEE10hipError_tPvRmT2_T3_T4_T5_mT6_T7_P12ihipStream_tbENKUlT_T0_E_clISt17integral_constantIbLb0EES10_IbLb1EEEEDaSW_SX_EUlSW_E_NS1_11comp_targetILNS1_3genE0ELNS1_11target_archE4294967295ELNS1_3gpuE0ELNS1_3repE0EEENS1_30default_config_static_selectorELNS0_4arch9wavefront6targetE0EEEvT1_.has_dyn_sized_stack, 0
	.set _ZN7rocprim17ROCPRIM_400000_NS6detail17trampoline_kernelINS0_14default_configENS1_27scan_by_key_config_selectorIisEEZZNS1_16scan_by_key_implILNS1_25lookback_scan_determinismE0ELb1ES3_N6thrust23THRUST_200600_302600_NS6detail15normal_iteratorINS9_10device_ptrIiEEEENSB_INSC_IsEEEESG_sNS9_4plusIvEENS9_8equal_toIvEEsEE10hipError_tPvRmT2_T3_T4_T5_mT6_T7_P12ihipStream_tbENKUlT_T0_E_clISt17integral_constantIbLb0EES10_IbLb1EEEEDaSW_SX_EUlSW_E_NS1_11comp_targetILNS1_3genE0ELNS1_11target_archE4294967295ELNS1_3gpuE0ELNS1_3repE0EEENS1_30default_config_static_selectorELNS0_4arch9wavefront6targetE0EEEvT1_.has_recursion, 0
	.set _ZN7rocprim17ROCPRIM_400000_NS6detail17trampoline_kernelINS0_14default_configENS1_27scan_by_key_config_selectorIisEEZZNS1_16scan_by_key_implILNS1_25lookback_scan_determinismE0ELb1ES3_N6thrust23THRUST_200600_302600_NS6detail15normal_iteratorINS9_10device_ptrIiEEEENSB_INSC_IsEEEESG_sNS9_4plusIvEENS9_8equal_toIvEEsEE10hipError_tPvRmT2_T3_T4_T5_mT6_T7_P12ihipStream_tbENKUlT_T0_E_clISt17integral_constantIbLb0EES10_IbLb1EEEEDaSW_SX_EUlSW_E_NS1_11comp_targetILNS1_3genE0ELNS1_11target_archE4294967295ELNS1_3gpuE0ELNS1_3repE0EEENS1_30default_config_static_selectorELNS0_4arch9wavefront6targetE0EEEvT1_.has_indirect_call, 0
	.section	.AMDGPU.csdata,"",@progbits
; Kernel info:
; codeLenInByte = 0
; TotalNumSgprs: 0
; NumVgprs: 0
; ScratchSize: 0
; MemoryBound: 0
; FloatMode: 240
; IeeeMode: 1
; LDSByteSize: 0 bytes/workgroup (compile time only)
; SGPRBlocks: 0
; VGPRBlocks: 0
; NumSGPRsForWavesPerEU: 1
; NumVGPRsForWavesPerEU: 1
; Occupancy: 16
; WaveLimiterHint : 0
; COMPUTE_PGM_RSRC2:SCRATCH_EN: 0
; COMPUTE_PGM_RSRC2:USER_SGPR: 6
; COMPUTE_PGM_RSRC2:TRAP_HANDLER: 0
; COMPUTE_PGM_RSRC2:TGID_X_EN: 1
; COMPUTE_PGM_RSRC2:TGID_Y_EN: 0
; COMPUTE_PGM_RSRC2:TGID_Z_EN: 0
; COMPUTE_PGM_RSRC2:TIDIG_COMP_CNT: 0
	.section	.text._ZN7rocprim17ROCPRIM_400000_NS6detail17trampoline_kernelINS0_14default_configENS1_27scan_by_key_config_selectorIisEEZZNS1_16scan_by_key_implILNS1_25lookback_scan_determinismE0ELb1ES3_N6thrust23THRUST_200600_302600_NS6detail15normal_iteratorINS9_10device_ptrIiEEEENSB_INSC_IsEEEESG_sNS9_4plusIvEENS9_8equal_toIvEEsEE10hipError_tPvRmT2_T3_T4_T5_mT6_T7_P12ihipStream_tbENKUlT_T0_E_clISt17integral_constantIbLb0EES10_IbLb1EEEEDaSW_SX_EUlSW_E_NS1_11comp_targetILNS1_3genE10ELNS1_11target_archE1201ELNS1_3gpuE5ELNS1_3repE0EEENS1_30default_config_static_selectorELNS0_4arch9wavefront6targetE0EEEvT1_,"axG",@progbits,_ZN7rocprim17ROCPRIM_400000_NS6detail17trampoline_kernelINS0_14default_configENS1_27scan_by_key_config_selectorIisEEZZNS1_16scan_by_key_implILNS1_25lookback_scan_determinismE0ELb1ES3_N6thrust23THRUST_200600_302600_NS6detail15normal_iteratorINS9_10device_ptrIiEEEENSB_INSC_IsEEEESG_sNS9_4plusIvEENS9_8equal_toIvEEsEE10hipError_tPvRmT2_T3_T4_T5_mT6_T7_P12ihipStream_tbENKUlT_T0_E_clISt17integral_constantIbLb0EES10_IbLb1EEEEDaSW_SX_EUlSW_E_NS1_11comp_targetILNS1_3genE10ELNS1_11target_archE1201ELNS1_3gpuE5ELNS1_3repE0EEENS1_30default_config_static_selectorELNS0_4arch9wavefront6targetE0EEEvT1_,comdat
	.protected	_ZN7rocprim17ROCPRIM_400000_NS6detail17trampoline_kernelINS0_14default_configENS1_27scan_by_key_config_selectorIisEEZZNS1_16scan_by_key_implILNS1_25lookback_scan_determinismE0ELb1ES3_N6thrust23THRUST_200600_302600_NS6detail15normal_iteratorINS9_10device_ptrIiEEEENSB_INSC_IsEEEESG_sNS9_4plusIvEENS9_8equal_toIvEEsEE10hipError_tPvRmT2_T3_T4_T5_mT6_T7_P12ihipStream_tbENKUlT_T0_E_clISt17integral_constantIbLb0EES10_IbLb1EEEEDaSW_SX_EUlSW_E_NS1_11comp_targetILNS1_3genE10ELNS1_11target_archE1201ELNS1_3gpuE5ELNS1_3repE0EEENS1_30default_config_static_selectorELNS0_4arch9wavefront6targetE0EEEvT1_ ; -- Begin function _ZN7rocprim17ROCPRIM_400000_NS6detail17trampoline_kernelINS0_14default_configENS1_27scan_by_key_config_selectorIisEEZZNS1_16scan_by_key_implILNS1_25lookback_scan_determinismE0ELb1ES3_N6thrust23THRUST_200600_302600_NS6detail15normal_iteratorINS9_10device_ptrIiEEEENSB_INSC_IsEEEESG_sNS9_4plusIvEENS9_8equal_toIvEEsEE10hipError_tPvRmT2_T3_T4_T5_mT6_T7_P12ihipStream_tbENKUlT_T0_E_clISt17integral_constantIbLb0EES10_IbLb1EEEEDaSW_SX_EUlSW_E_NS1_11comp_targetILNS1_3genE10ELNS1_11target_archE1201ELNS1_3gpuE5ELNS1_3repE0EEENS1_30default_config_static_selectorELNS0_4arch9wavefront6targetE0EEEvT1_
	.globl	_ZN7rocprim17ROCPRIM_400000_NS6detail17trampoline_kernelINS0_14default_configENS1_27scan_by_key_config_selectorIisEEZZNS1_16scan_by_key_implILNS1_25lookback_scan_determinismE0ELb1ES3_N6thrust23THRUST_200600_302600_NS6detail15normal_iteratorINS9_10device_ptrIiEEEENSB_INSC_IsEEEESG_sNS9_4plusIvEENS9_8equal_toIvEEsEE10hipError_tPvRmT2_T3_T4_T5_mT6_T7_P12ihipStream_tbENKUlT_T0_E_clISt17integral_constantIbLb0EES10_IbLb1EEEEDaSW_SX_EUlSW_E_NS1_11comp_targetILNS1_3genE10ELNS1_11target_archE1201ELNS1_3gpuE5ELNS1_3repE0EEENS1_30default_config_static_selectorELNS0_4arch9wavefront6targetE0EEEvT1_
	.p2align	8
	.type	_ZN7rocprim17ROCPRIM_400000_NS6detail17trampoline_kernelINS0_14default_configENS1_27scan_by_key_config_selectorIisEEZZNS1_16scan_by_key_implILNS1_25lookback_scan_determinismE0ELb1ES3_N6thrust23THRUST_200600_302600_NS6detail15normal_iteratorINS9_10device_ptrIiEEEENSB_INSC_IsEEEESG_sNS9_4plusIvEENS9_8equal_toIvEEsEE10hipError_tPvRmT2_T3_T4_T5_mT6_T7_P12ihipStream_tbENKUlT_T0_E_clISt17integral_constantIbLb0EES10_IbLb1EEEEDaSW_SX_EUlSW_E_NS1_11comp_targetILNS1_3genE10ELNS1_11target_archE1201ELNS1_3gpuE5ELNS1_3repE0EEENS1_30default_config_static_selectorELNS0_4arch9wavefront6targetE0EEEvT1_,@function
_ZN7rocprim17ROCPRIM_400000_NS6detail17trampoline_kernelINS0_14default_configENS1_27scan_by_key_config_selectorIisEEZZNS1_16scan_by_key_implILNS1_25lookback_scan_determinismE0ELb1ES3_N6thrust23THRUST_200600_302600_NS6detail15normal_iteratorINS9_10device_ptrIiEEEENSB_INSC_IsEEEESG_sNS9_4plusIvEENS9_8equal_toIvEEsEE10hipError_tPvRmT2_T3_T4_T5_mT6_T7_P12ihipStream_tbENKUlT_T0_E_clISt17integral_constantIbLb0EES10_IbLb1EEEEDaSW_SX_EUlSW_E_NS1_11comp_targetILNS1_3genE10ELNS1_11target_archE1201ELNS1_3gpuE5ELNS1_3repE0EEENS1_30default_config_static_selectorELNS0_4arch9wavefront6targetE0EEEvT1_: ; @_ZN7rocprim17ROCPRIM_400000_NS6detail17trampoline_kernelINS0_14default_configENS1_27scan_by_key_config_selectorIisEEZZNS1_16scan_by_key_implILNS1_25lookback_scan_determinismE0ELb1ES3_N6thrust23THRUST_200600_302600_NS6detail15normal_iteratorINS9_10device_ptrIiEEEENSB_INSC_IsEEEESG_sNS9_4plusIvEENS9_8equal_toIvEEsEE10hipError_tPvRmT2_T3_T4_T5_mT6_T7_P12ihipStream_tbENKUlT_T0_E_clISt17integral_constantIbLb0EES10_IbLb1EEEEDaSW_SX_EUlSW_E_NS1_11comp_targetILNS1_3genE10ELNS1_11target_archE1201ELNS1_3gpuE5ELNS1_3repE0EEENS1_30default_config_static_selectorELNS0_4arch9wavefront6targetE0EEEvT1_
; %bb.0:
	.section	.rodata,"a",@progbits
	.p2align	6, 0x0
	.amdhsa_kernel _ZN7rocprim17ROCPRIM_400000_NS6detail17trampoline_kernelINS0_14default_configENS1_27scan_by_key_config_selectorIisEEZZNS1_16scan_by_key_implILNS1_25lookback_scan_determinismE0ELb1ES3_N6thrust23THRUST_200600_302600_NS6detail15normal_iteratorINS9_10device_ptrIiEEEENSB_INSC_IsEEEESG_sNS9_4plusIvEENS9_8equal_toIvEEsEE10hipError_tPvRmT2_T3_T4_T5_mT6_T7_P12ihipStream_tbENKUlT_T0_E_clISt17integral_constantIbLb0EES10_IbLb1EEEEDaSW_SX_EUlSW_E_NS1_11comp_targetILNS1_3genE10ELNS1_11target_archE1201ELNS1_3gpuE5ELNS1_3repE0EEENS1_30default_config_static_selectorELNS0_4arch9wavefront6targetE0EEEvT1_
		.amdhsa_group_segment_fixed_size 0
		.amdhsa_private_segment_fixed_size 0
		.amdhsa_kernarg_size 112
		.amdhsa_user_sgpr_count 6
		.amdhsa_user_sgpr_private_segment_buffer 1
		.amdhsa_user_sgpr_dispatch_ptr 0
		.amdhsa_user_sgpr_queue_ptr 0
		.amdhsa_user_sgpr_kernarg_segment_ptr 1
		.amdhsa_user_sgpr_dispatch_id 0
		.amdhsa_user_sgpr_flat_scratch_init 0
		.amdhsa_user_sgpr_private_segment_size 0
		.amdhsa_wavefront_size32 1
		.amdhsa_uses_dynamic_stack 0
		.amdhsa_system_sgpr_private_segment_wavefront_offset 0
		.amdhsa_system_sgpr_workgroup_id_x 1
		.amdhsa_system_sgpr_workgroup_id_y 0
		.amdhsa_system_sgpr_workgroup_id_z 0
		.amdhsa_system_sgpr_workgroup_info 0
		.amdhsa_system_vgpr_workitem_id 0
		.amdhsa_next_free_vgpr 1
		.amdhsa_next_free_sgpr 1
		.amdhsa_reserve_vcc 0
		.amdhsa_reserve_flat_scratch 0
		.amdhsa_float_round_mode_32 0
		.amdhsa_float_round_mode_16_64 0
		.amdhsa_float_denorm_mode_32 3
		.amdhsa_float_denorm_mode_16_64 3
		.amdhsa_dx10_clamp 1
		.amdhsa_ieee_mode 1
		.amdhsa_fp16_overflow 0
		.amdhsa_workgroup_processor_mode 1
		.amdhsa_memory_ordered 1
		.amdhsa_forward_progress 1
		.amdhsa_shared_vgpr_count 0
		.amdhsa_exception_fp_ieee_invalid_op 0
		.amdhsa_exception_fp_denorm_src 0
		.amdhsa_exception_fp_ieee_div_zero 0
		.amdhsa_exception_fp_ieee_overflow 0
		.amdhsa_exception_fp_ieee_underflow 0
		.amdhsa_exception_fp_ieee_inexact 0
		.amdhsa_exception_int_div_zero 0
	.end_amdhsa_kernel
	.section	.text._ZN7rocprim17ROCPRIM_400000_NS6detail17trampoline_kernelINS0_14default_configENS1_27scan_by_key_config_selectorIisEEZZNS1_16scan_by_key_implILNS1_25lookback_scan_determinismE0ELb1ES3_N6thrust23THRUST_200600_302600_NS6detail15normal_iteratorINS9_10device_ptrIiEEEENSB_INSC_IsEEEESG_sNS9_4plusIvEENS9_8equal_toIvEEsEE10hipError_tPvRmT2_T3_T4_T5_mT6_T7_P12ihipStream_tbENKUlT_T0_E_clISt17integral_constantIbLb0EES10_IbLb1EEEEDaSW_SX_EUlSW_E_NS1_11comp_targetILNS1_3genE10ELNS1_11target_archE1201ELNS1_3gpuE5ELNS1_3repE0EEENS1_30default_config_static_selectorELNS0_4arch9wavefront6targetE0EEEvT1_,"axG",@progbits,_ZN7rocprim17ROCPRIM_400000_NS6detail17trampoline_kernelINS0_14default_configENS1_27scan_by_key_config_selectorIisEEZZNS1_16scan_by_key_implILNS1_25lookback_scan_determinismE0ELb1ES3_N6thrust23THRUST_200600_302600_NS6detail15normal_iteratorINS9_10device_ptrIiEEEENSB_INSC_IsEEEESG_sNS9_4plusIvEENS9_8equal_toIvEEsEE10hipError_tPvRmT2_T3_T4_T5_mT6_T7_P12ihipStream_tbENKUlT_T0_E_clISt17integral_constantIbLb0EES10_IbLb1EEEEDaSW_SX_EUlSW_E_NS1_11comp_targetILNS1_3genE10ELNS1_11target_archE1201ELNS1_3gpuE5ELNS1_3repE0EEENS1_30default_config_static_selectorELNS0_4arch9wavefront6targetE0EEEvT1_,comdat
.Lfunc_end1635:
	.size	_ZN7rocprim17ROCPRIM_400000_NS6detail17trampoline_kernelINS0_14default_configENS1_27scan_by_key_config_selectorIisEEZZNS1_16scan_by_key_implILNS1_25lookback_scan_determinismE0ELb1ES3_N6thrust23THRUST_200600_302600_NS6detail15normal_iteratorINS9_10device_ptrIiEEEENSB_INSC_IsEEEESG_sNS9_4plusIvEENS9_8equal_toIvEEsEE10hipError_tPvRmT2_T3_T4_T5_mT6_T7_P12ihipStream_tbENKUlT_T0_E_clISt17integral_constantIbLb0EES10_IbLb1EEEEDaSW_SX_EUlSW_E_NS1_11comp_targetILNS1_3genE10ELNS1_11target_archE1201ELNS1_3gpuE5ELNS1_3repE0EEENS1_30default_config_static_selectorELNS0_4arch9wavefront6targetE0EEEvT1_, .Lfunc_end1635-_ZN7rocprim17ROCPRIM_400000_NS6detail17trampoline_kernelINS0_14default_configENS1_27scan_by_key_config_selectorIisEEZZNS1_16scan_by_key_implILNS1_25lookback_scan_determinismE0ELb1ES3_N6thrust23THRUST_200600_302600_NS6detail15normal_iteratorINS9_10device_ptrIiEEEENSB_INSC_IsEEEESG_sNS9_4plusIvEENS9_8equal_toIvEEsEE10hipError_tPvRmT2_T3_T4_T5_mT6_T7_P12ihipStream_tbENKUlT_T0_E_clISt17integral_constantIbLb0EES10_IbLb1EEEEDaSW_SX_EUlSW_E_NS1_11comp_targetILNS1_3genE10ELNS1_11target_archE1201ELNS1_3gpuE5ELNS1_3repE0EEENS1_30default_config_static_selectorELNS0_4arch9wavefront6targetE0EEEvT1_
                                        ; -- End function
	.set _ZN7rocprim17ROCPRIM_400000_NS6detail17trampoline_kernelINS0_14default_configENS1_27scan_by_key_config_selectorIisEEZZNS1_16scan_by_key_implILNS1_25lookback_scan_determinismE0ELb1ES3_N6thrust23THRUST_200600_302600_NS6detail15normal_iteratorINS9_10device_ptrIiEEEENSB_INSC_IsEEEESG_sNS9_4plusIvEENS9_8equal_toIvEEsEE10hipError_tPvRmT2_T3_T4_T5_mT6_T7_P12ihipStream_tbENKUlT_T0_E_clISt17integral_constantIbLb0EES10_IbLb1EEEEDaSW_SX_EUlSW_E_NS1_11comp_targetILNS1_3genE10ELNS1_11target_archE1201ELNS1_3gpuE5ELNS1_3repE0EEENS1_30default_config_static_selectorELNS0_4arch9wavefront6targetE0EEEvT1_.num_vgpr, 0
	.set _ZN7rocprim17ROCPRIM_400000_NS6detail17trampoline_kernelINS0_14default_configENS1_27scan_by_key_config_selectorIisEEZZNS1_16scan_by_key_implILNS1_25lookback_scan_determinismE0ELb1ES3_N6thrust23THRUST_200600_302600_NS6detail15normal_iteratorINS9_10device_ptrIiEEEENSB_INSC_IsEEEESG_sNS9_4plusIvEENS9_8equal_toIvEEsEE10hipError_tPvRmT2_T3_T4_T5_mT6_T7_P12ihipStream_tbENKUlT_T0_E_clISt17integral_constantIbLb0EES10_IbLb1EEEEDaSW_SX_EUlSW_E_NS1_11comp_targetILNS1_3genE10ELNS1_11target_archE1201ELNS1_3gpuE5ELNS1_3repE0EEENS1_30default_config_static_selectorELNS0_4arch9wavefront6targetE0EEEvT1_.num_agpr, 0
	.set _ZN7rocprim17ROCPRIM_400000_NS6detail17trampoline_kernelINS0_14default_configENS1_27scan_by_key_config_selectorIisEEZZNS1_16scan_by_key_implILNS1_25lookback_scan_determinismE0ELb1ES3_N6thrust23THRUST_200600_302600_NS6detail15normal_iteratorINS9_10device_ptrIiEEEENSB_INSC_IsEEEESG_sNS9_4plusIvEENS9_8equal_toIvEEsEE10hipError_tPvRmT2_T3_T4_T5_mT6_T7_P12ihipStream_tbENKUlT_T0_E_clISt17integral_constantIbLb0EES10_IbLb1EEEEDaSW_SX_EUlSW_E_NS1_11comp_targetILNS1_3genE10ELNS1_11target_archE1201ELNS1_3gpuE5ELNS1_3repE0EEENS1_30default_config_static_selectorELNS0_4arch9wavefront6targetE0EEEvT1_.numbered_sgpr, 0
	.set _ZN7rocprim17ROCPRIM_400000_NS6detail17trampoline_kernelINS0_14default_configENS1_27scan_by_key_config_selectorIisEEZZNS1_16scan_by_key_implILNS1_25lookback_scan_determinismE0ELb1ES3_N6thrust23THRUST_200600_302600_NS6detail15normal_iteratorINS9_10device_ptrIiEEEENSB_INSC_IsEEEESG_sNS9_4plusIvEENS9_8equal_toIvEEsEE10hipError_tPvRmT2_T3_T4_T5_mT6_T7_P12ihipStream_tbENKUlT_T0_E_clISt17integral_constantIbLb0EES10_IbLb1EEEEDaSW_SX_EUlSW_E_NS1_11comp_targetILNS1_3genE10ELNS1_11target_archE1201ELNS1_3gpuE5ELNS1_3repE0EEENS1_30default_config_static_selectorELNS0_4arch9wavefront6targetE0EEEvT1_.num_named_barrier, 0
	.set _ZN7rocprim17ROCPRIM_400000_NS6detail17trampoline_kernelINS0_14default_configENS1_27scan_by_key_config_selectorIisEEZZNS1_16scan_by_key_implILNS1_25lookback_scan_determinismE0ELb1ES3_N6thrust23THRUST_200600_302600_NS6detail15normal_iteratorINS9_10device_ptrIiEEEENSB_INSC_IsEEEESG_sNS9_4plusIvEENS9_8equal_toIvEEsEE10hipError_tPvRmT2_T3_T4_T5_mT6_T7_P12ihipStream_tbENKUlT_T0_E_clISt17integral_constantIbLb0EES10_IbLb1EEEEDaSW_SX_EUlSW_E_NS1_11comp_targetILNS1_3genE10ELNS1_11target_archE1201ELNS1_3gpuE5ELNS1_3repE0EEENS1_30default_config_static_selectorELNS0_4arch9wavefront6targetE0EEEvT1_.private_seg_size, 0
	.set _ZN7rocprim17ROCPRIM_400000_NS6detail17trampoline_kernelINS0_14default_configENS1_27scan_by_key_config_selectorIisEEZZNS1_16scan_by_key_implILNS1_25lookback_scan_determinismE0ELb1ES3_N6thrust23THRUST_200600_302600_NS6detail15normal_iteratorINS9_10device_ptrIiEEEENSB_INSC_IsEEEESG_sNS9_4plusIvEENS9_8equal_toIvEEsEE10hipError_tPvRmT2_T3_T4_T5_mT6_T7_P12ihipStream_tbENKUlT_T0_E_clISt17integral_constantIbLb0EES10_IbLb1EEEEDaSW_SX_EUlSW_E_NS1_11comp_targetILNS1_3genE10ELNS1_11target_archE1201ELNS1_3gpuE5ELNS1_3repE0EEENS1_30default_config_static_selectorELNS0_4arch9wavefront6targetE0EEEvT1_.uses_vcc, 0
	.set _ZN7rocprim17ROCPRIM_400000_NS6detail17trampoline_kernelINS0_14default_configENS1_27scan_by_key_config_selectorIisEEZZNS1_16scan_by_key_implILNS1_25lookback_scan_determinismE0ELb1ES3_N6thrust23THRUST_200600_302600_NS6detail15normal_iteratorINS9_10device_ptrIiEEEENSB_INSC_IsEEEESG_sNS9_4plusIvEENS9_8equal_toIvEEsEE10hipError_tPvRmT2_T3_T4_T5_mT6_T7_P12ihipStream_tbENKUlT_T0_E_clISt17integral_constantIbLb0EES10_IbLb1EEEEDaSW_SX_EUlSW_E_NS1_11comp_targetILNS1_3genE10ELNS1_11target_archE1201ELNS1_3gpuE5ELNS1_3repE0EEENS1_30default_config_static_selectorELNS0_4arch9wavefront6targetE0EEEvT1_.uses_flat_scratch, 0
	.set _ZN7rocprim17ROCPRIM_400000_NS6detail17trampoline_kernelINS0_14default_configENS1_27scan_by_key_config_selectorIisEEZZNS1_16scan_by_key_implILNS1_25lookback_scan_determinismE0ELb1ES3_N6thrust23THRUST_200600_302600_NS6detail15normal_iteratorINS9_10device_ptrIiEEEENSB_INSC_IsEEEESG_sNS9_4plusIvEENS9_8equal_toIvEEsEE10hipError_tPvRmT2_T3_T4_T5_mT6_T7_P12ihipStream_tbENKUlT_T0_E_clISt17integral_constantIbLb0EES10_IbLb1EEEEDaSW_SX_EUlSW_E_NS1_11comp_targetILNS1_3genE10ELNS1_11target_archE1201ELNS1_3gpuE5ELNS1_3repE0EEENS1_30default_config_static_selectorELNS0_4arch9wavefront6targetE0EEEvT1_.has_dyn_sized_stack, 0
	.set _ZN7rocprim17ROCPRIM_400000_NS6detail17trampoline_kernelINS0_14default_configENS1_27scan_by_key_config_selectorIisEEZZNS1_16scan_by_key_implILNS1_25lookback_scan_determinismE0ELb1ES3_N6thrust23THRUST_200600_302600_NS6detail15normal_iteratorINS9_10device_ptrIiEEEENSB_INSC_IsEEEESG_sNS9_4plusIvEENS9_8equal_toIvEEsEE10hipError_tPvRmT2_T3_T4_T5_mT6_T7_P12ihipStream_tbENKUlT_T0_E_clISt17integral_constantIbLb0EES10_IbLb1EEEEDaSW_SX_EUlSW_E_NS1_11comp_targetILNS1_3genE10ELNS1_11target_archE1201ELNS1_3gpuE5ELNS1_3repE0EEENS1_30default_config_static_selectorELNS0_4arch9wavefront6targetE0EEEvT1_.has_recursion, 0
	.set _ZN7rocprim17ROCPRIM_400000_NS6detail17trampoline_kernelINS0_14default_configENS1_27scan_by_key_config_selectorIisEEZZNS1_16scan_by_key_implILNS1_25lookback_scan_determinismE0ELb1ES3_N6thrust23THRUST_200600_302600_NS6detail15normal_iteratorINS9_10device_ptrIiEEEENSB_INSC_IsEEEESG_sNS9_4plusIvEENS9_8equal_toIvEEsEE10hipError_tPvRmT2_T3_T4_T5_mT6_T7_P12ihipStream_tbENKUlT_T0_E_clISt17integral_constantIbLb0EES10_IbLb1EEEEDaSW_SX_EUlSW_E_NS1_11comp_targetILNS1_3genE10ELNS1_11target_archE1201ELNS1_3gpuE5ELNS1_3repE0EEENS1_30default_config_static_selectorELNS0_4arch9wavefront6targetE0EEEvT1_.has_indirect_call, 0
	.section	.AMDGPU.csdata,"",@progbits
; Kernel info:
; codeLenInByte = 0
; TotalNumSgprs: 0
; NumVgprs: 0
; ScratchSize: 0
; MemoryBound: 0
; FloatMode: 240
; IeeeMode: 1
; LDSByteSize: 0 bytes/workgroup (compile time only)
; SGPRBlocks: 0
; VGPRBlocks: 0
; NumSGPRsForWavesPerEU: 1
; NumVGPRsForWavesPerEU: 1
; Occupancy: 16
; WaveLimiterHint : 0
; COMPUTE_PGM_RSRC2:SCRATCH_EN: 0
; COMPUTE_PGM_RSRC2:USER_SGPR: 6
; COMPUTE_PGM_RSRC2:TRAP_HANDLER: 0
; COMPUTE_PGM_RSRC2:TGID_X_EN: 1
; COMPUTE_PGM_RSRC2:TGID_Y_EN: 0
; COMPUTE_PGM_RSRC2:TGID_Z_EN: 0
; COMPUTE_PGM_RSRC2:TIDIG_COMP_CNT: 0
	.section	.text._ZN7rocprim17ROCPRIM_400000_NS6detail17trampoline_kernelINS0_14default_configENS1_27scan_by_key_config_selectorIisEEZZNS1_16scan_by_key_implILNS1_25lookback_scan_determinismE0ELb1ES3_N6thrust23THRUST_200600_302600_NS6detail15normal_iteratorINS9_10device_ptrIiEEEENSB_INSC_IsEEEESG_sNS9_4plusIvEENS9_8equal_toIvEEsEE10hipError_tPvRmT2_T3_T4_T5_mT6_T7_P12ihipStream_tbENKUlT_T0_E_clISt17integral_constantIbLb0EES10_IbLb1EEEEDaSW_SX_EUlSW_E_NS1_11comp_targetILNS1_3genE5ELNS1_11target_archE942ELNS1_3gpuE9ELNS1_3repE0EEENS1_30default_config_static_selectorELNS0_4arch9wavefront6targetE0EEEvT1_,"axG",@progbits,_ZN7rocprim17ROCPRIM_400000_NS6detail17trampoline_kernelINS0_14default_configENS1_27scan_by_key_config_selectorIisEEZZNS1_16scan_by_key_implILNS1_25lookback_scan_determinismE0ELb1ES3_N6thrust23THRUST_200600_302600_NS6detail15normal_iteratorINS9_10device_ptrIiEEEENSB_INSC_IsEEEESG_sNS9_4plusIvEENS9_8equal_toIvEEsEE10hipError_tPvRmT2_T3_T4_T5_mT6_T7_P12ihipStream_tbENKUlT_T0_E_clISt17integral_constantIbLb0EES10_IbLb1EEEEDaSW_SX_EUlSW_E_NS1_11comp_targetILNS1_3genE5ELNS1_11target_archE942ELNS1_3gpuE9ELNS1_3repE0EEENS1_30default_config_static_selectorELNS0_4arch9wavefront6targetE0EEEvT1_,comdat
	.protected	_ZN7rocprim17ROCPRIM_400000_NS6detail17trampoline_kernelINS0_14default_configENS1_27scan_by_key_config_selectorIisEEZZNS1_16scan_by_key_implILNS1_25lookback_scan_determinismE0ELb1ES3_N6thrust23THRUST_200600_302600_NS6detail15normal_iteratorINS9_10device_ptrIiEEEENSB_INSC_IsEEEESG_sNS9_4plusIvEENS9_8equal_toIvEEsEE10hipError_tPvRmT2_T3_T4_T5_mT6_T7_P12ihipStream_tbENKUlT_T0_E_clISt17integral_constantIbLb0EES10_IbLb1EEEEDaSW_SX_EUlSW_E_NS1_11comp_targetILNS1_3genE5ELNS1_11target_archE942ELNS1_3gpuE9ELNS1_3repE0EEENS1_30default_config_static_selectorELNS0_4arch9wavefront6targetE0EEEvT1_ ; -- Begin function _ZN7rocprim17ROCPRIM_400000_NS6detail17trampoline_kernelINS0_14default_configENS1_27scan_by_key_config_selectorIisEEZZNS1_16scan_by_key_implILNS1_25lookback_scan_determinismE0ELb1ES3_N6thrust23THRUST_200600_302600_NS6detail15normal_iteratorINS9_10device_ptrIiEEEENSB_INSC_IsEEEESG_sNS9_4plusIvEENS9_8equal_toIvEEsEE10hipError_tPvRmT2_T3_T4_T5_mT6_T7_P12ihipStream_tbENKUlT_T0_E_clISt17integral_constantIbLb0EES10_IbLb1EEEEDaSW_SX_EUlSW_E_NS1_11comp_targetILNS1_3genE5ELNS1_11target_archE942ELNS1_3gpuE9ELNS1_3repE0EEENS1_30default_config_static_selectorELNS0_4arch9wavefront6targetE0EEEvT1_
	.globl	_ZN7rocprim17ROCPRIM_400000_NS6detail17trampoline_kernelINS0_14default_configENS1_27scan_by_key_config_selectorIisEEZZNS1_16scan_by_key_implILNS1_25lookback_scan_determinismE0ELb1ES3_N6thrust23THRUST_200600_302600_NS6detail15normal_iteratorINS9_10device_ptrIiEEEENSB_INSC_IsEEEESG_sNS9_4plusIvEENS9_8equal_toIvEEsEE10hipError_tPvRmT2_T3_T4_T5_mT6_T7_P12ihipStream_tbENKUlT_T0_E_clISt17integral_constantIbLb0EES10_IbLb1EEEEDaSW_SX_EUlSW_E_NS1_11comp_targetILNS1_3genE5ELNS1_11target_archE942ELNS1_3gpuE9ELNS1_3repE0EEENS1_30default_config_static_selectorELNS0_4arch9wavefront6targetE0EEEvT1_
	.p2align	8
	.type	_ZN7rocprim17ROCPRIM_400000_NS6detail17trampoline_kernelINS0_14default_configENS1_27scan_by_key_config_selectorIisEEZZNS1_16scan_by_key_implILNS1_25lookback_scan_determinismE0ELb1ES3_N6thrust23THRUST_200600_302600_NS6detail15normal_iteratorINS9_10device_ptrIiEEEENSB_INSC_IsEEEESG_sNS9_4plusIvEENS9_8equal_toIvEEsEE10hipError_tPvRmT2_T3_T4_T5_mT6_T7_P12ihipStream_tbENKUlT_T0_E_clISt17integral_constantIbLb0EES10_IbLb1EEEEDaSW_SX_EUlSW_E_NS1_11comp_targetILNS1_3genE5ELNS1_11target_archE942ELNS1_3gpuE9ELNS1_3repE0EEENS1_30default_config_static_selectorELNS0_4arch9wavefront6targetE0EEEvT1_,@function
_ZN7rocprim17ROCPRIM_400000_NS6detail17trampoline_kernelINS0_14default_configENS1_27scan_by_key_config_selectorIisEEZZNS1_16scan_by_key_implILNS1_25lookback_scan_determinismE0ELb1ES3_N6thrust23THRUST_200600_302600_NS6detail15normal_iteratorINS9_10device_ptrIiEEEENSB_INSC_IsEEEESG_sNS9_4plusIvEENS9_8equal_toIvEEsEE10hipError_tPvRmT2_T3_T4_T5_mT6_T7_P12ihipStream_tbENKUlT_T0_E_clISt17integral_constantIbLb0EES10_IbLb1EEEEDaSW_SX_EUlSW_E_NS1_11comp_targetILNS1_3genE5ELNS1_11target_archE942ELNS1_3gpuE9ELNS1_3repE0EEENS1_30default_config_static_selectorELNS0_4arch9wavefront6targetE0EEEvT1_: ; @_ZN7rocprim17ROCPRIM_400000_NS6detail17trampoline_kernelINS0_14default_configENS1_27scan_by_key_config_selectorIisEEZZNS1_16scan_by_key_implILNS1_25lookback_scan_determinismE0ELb1ES3_N6thrust23THRUST_200600_302600_NS6detail15normal_iteratorINS9_10device_ptrIiEEEENSB_INSC_IsEEEESG_sNS9_4plusIvEENS9_8equal_toIvEEsEE10hipError_tPvRmT2_T3_T4_T5_mT6_T7_P12ihipStream_tbENKUlT_T0_E_clISt17integral_constantIbLb0EES10_IbLb1EEEEDaSW_SX_EUlSW_E_NS1_11comp_targetILNS1_3genE5ELNS1_11target_archE942ELNS1_3gpuE9ELNS1_3repE0EEENS1_30default_config_static_selectorELNS0_4arch9wavefront6targetE0EEEvT1_
; %bb.0:
	.section	.rodata,"a",@progbits
	.p2align	6, 0x0
	.amdhsa_kernel _ZN7rocprim17ROCPRIM_400000_NS6detail17trampoline_kernelINS0_14default_configENS1_27scan_by_key_config_selectorIisEEZZNS1_16scan_by_key_implILNS1_25lookback_scan_determinismE0ELb1ES3_N6thrust23THRUST_200600_302600_NS6detail15normal_iteratorINS9_10device_ptrIiEEEENSB_INSC_IsEEEESG_sNS9_4plusIvEENS9_8equal_toIvEEsEE10hipError_tPvRmT2_T3_T4_T5_mT6_T7_P12ihipStream_tbENKUlT_T0_E_clISt17integral_constantIbLb0EES10_IbLb1EEEEDaSW_SX_EUlSW_E_NS1_11comp_targetILNS1_3genE5ELNS1_11target_archE942ELNS1_3gpuE9ELNS1_3repE0EEENS1_30default_config_static_selectorELNS0_4arch9wavefront6targetE0EEEvT1_
		.amdhsa_group_segment_fixed_size 0
		.amdhsa_private_segment_fixed_size 0
		.amdhsa_kernarg_size 112
		.amdhsa_user_sgpr_count 6
		.amdhsa_user_sgpr_private_segment_buffer 1
		.amdhsa_user_sgpr_dispatch_ptr 0
		.amdhsa_user_sgpr_queue_ptr 0
		.amdhsa_user_sgpr_kernarg_segment_ptr 1
		.amdhsa_user_sgpr_dispatch_id 0
		.amdhsa_user_sgpr_flat_scratch_init 0
		.amdhsa_user_sgpr_private_segment_size 0
		.amdhsa_wavefront_size32 1
		.amdhsa_uses_dynamic_stack 0
		.amdhsa_system_sgpr_private_segment_wavefront_offset 0
		.amdhsa_system_sgpr_workgroup_id_x 1
		.amdhsa_system_sgpr_workgroup_id_y 0
		.amdhsa_system_sgpr_workgroup_id_z 0
		.amdhsa_system_sgpr_workgroup_info 0
		.amdhsa_system_vgpr_workitem_id 0
		.amdhsa_next_free_vgpr 1
		.amdhsa_next_free_sgpr 1
		.amdhsa_reserve_vcc 0
		.amdhsa_reserve_flat_scratch 0
		.amdhsa_float_round_mode_32 0
		.amdhsa_float_round_mode_16_64 0
		.amdhsa_float_denorm_mode_32 3
		.amdhsa_float_denorm_mode_16_64 3
		.amdhsa_dx10_clamp 1
		.amdhsa_ieee_mode 1
		.amdhsa_fp16_overflow 0
		.amdhsa_workgroup_processor_mode 1
		.amdhsa_memory_ordered 1
		.amdhsa_forward_progress 1
		.amdhsa_shared_vgpr_count 0
		.amdhsa_exception_fp_ieee_invalid_op 0
		.amdhsa_exception_fp_denorm_src 0
		.amdhsa_exception_fp_ieee_div_zero 0
		.amdhsa_exception_fp_ieee_overflow 0
		.amdhsa_exception_fp_ieee_underflow 0
		.amdhsa_exception_fp_ieee_inexact 0
		.amdhsa_exception_int_div_zero 0
	.end_amdhsa_kernel
	.section	.text._ZN7rocprim17ROCPRIM_400000_NS6detail17trampoline_kernelINS0_14default_configENS1_27scan_by_key_config_selectorIisEEZZNS1_16scan_by_key_implILNS1_25lookback_scan_determinismE0ELb1ES3_N6thrust23THRUST_200600_302600_NS6detail15normal_iteratorINS9_10device_ptrIiEEEENSB_INSC_IsEEEESG_sNS9_4plusIvEENS9_8equal_toIvEEsEE10hipError_tPvRmT2_T3_T4_T5_mT6_T7_P12ihipStream_tbENKUlT_T0_E_clISt17integral_constantIbLb0EES10_IbLb1EEEEDaSW_SX_EUlSW_E_NS1_11comp_targetILNS1_3genE5ELNS1_11target_archE942ELNS1_3gpuE9ELNS1_3repE0EEENS1_30default_config_static_selectorELNS0_4arch9wavefront6targetE0EEEvT1_,"axG",@progbits,_ZN7rocprim17ROCPRIM_400000_NS6detail17trampoline_kernelINS0_14default_configENS1_27scan_by_key_config_selectorIisEEZZNS1_16scan_by_key_implILNS1_25lookback_scan_determinismE0ELb1ES3_N6thrust23THRUST_200600_302600_NS6detail15normal_iteratorINS9_10device_ptrIiEEEENSB_INSC_IsEEEESG_sNS9_4plusIvEENS9_8equal_toIvEEsEE10hipError_tPvRmT2_T3_T4_T5_mT6_T7_P12ihipStream_tbENKUlT_T0_E_clISt17integral_constantIbLb0EES10_IbLb1EEEEDaSW_SX_EUlSW_E_NS1_11comp_targetILNS1_3genE5ELNS1_11target_archE942ELNS1_3gpuE9ELNS1_3repE0EEENS1_30default_config_static_selectorELNS0_4arch9wavefront6targetE0EEEvT1_,comdat
.Lfunc_end1636:
	.size	_ZN7rocprim17ROCPRIM_400000_NS6detail17trampoline_kernelINS0_14default_configENS1_27scan_by_key_config_selectorIisEEZZNS1_16scan_by_key_implILNS1_25lookback_scan_determinismE0ELb1ES3_N6thrust23THRUST_200600_302600_NS6detail15normal_iteratorINS9_10device_ptrIiEEEENSB_INSC_IsEEEESG_sNS9_4plusIvEENS9_8equal_toIvEEsEE10hipError_tPvRmT2_T3_T4_T5_mT6_T7_P12ihipStream_tbENKUlT_T0_E_clISt17integral_constantIbLb0EES10_IbLb1EEEEDaSW_SX_EUlSW_E_NS1_11comp_targetILNS1_3genE5ELNS1_11target_archE942ELNS1_3gpuE9ELNS1_3repE0EEENS1_30default_config_static_selectorELNS0_4arch9wavefront6targetE0EEEvT1_, .Lfunc_end1636-_ZN7rocprim17ROCPRIM_400000_NS6detail17trampoline_kernelINS0_14default_configENS1_27scan_by_key_config_selectorIisEEZZNS1_16scan_by_key_implILNS1_25lookback_scan_determinismE0ELb1ES3_N6thrust23THRUST_200600_302600_NS6detail15normal_iteratorINS9_10device_ptrIiEEEENSB_INSC_IsEEEESG_sNS9_4plusIvEENS9_8equal_toIvEEsEE10hipError_tPvRmT2_T3_T4_T5_mT6_T7_P12ihipStream_tbENKUlT_T0_E_clISt17integral_constantIbLb0EES10_IbLb1EEEEDaSW_SX_EUlSW_E_NS1_11comp_targetILNS1_3genE5ELNS1_11target_archE942ELNS1_3gpuE9ELNS1_3repE0EEENS1_30default_config_static_selectorELNS0_4arch9wavefront6targetE0EEEvT1_
                                        ; -- End function
	.set _ZN7rocprim17ROCPRIM_400000_NS6detail17trampoline_kernelINS0_14default_configENS1_27scan_by_key_config_selectorIisEEZZNS1_16scan_by_key_implILNS1_25lookback_scan_determinismE0ELb1ES3_N6thrust23THRUST_200600_302600_NS6detail15normal_iteratorINS9_10device_ptrIiEEEENSB_INSC_IsEEEESG_sNS9_4plusIvEENS9_8equal_toIvEEsEE10hipError_tPvRmT2_T3_T4_T5_mT6_T7_P12ihipStream_tbENKUlT_T0_E_clISt17integral_constantIbLb0EES10_IbLb1EEEEDaSW_SX_EUlSW_E_NS1_11comp_targetILNS1_3genE5ELNS1_11target_archE942ELNS1_3gpuE9ELNS1_3repE0EEENS1_30default_config_static_selectorELNS0_4arch9wavefront6targetE0EEEvT1_.num_vgpr, 0
	.set _ZN7rocprim17ROCPRIM_400000_NS6detail17trampoline_kernelINS0_14default_configENS1_27scan_by_key_config_selectorIisEEZZNS1_16scan_by_key_implILNS1_25lookback_scan_determinismE0ELb1ES3_N6thrust23THRUST_200600_302600_NS6detail15normal_iteratorINS9_10device_ptrIiEEEENSB_INSC_IsEEEESG_sNS9_4plusIvEENS9_8equal_toIvEEsEE10hipError_tPvRmT2_T3_T4_T5_mT6_T7_P12ihipStream_tbENKUlT_T0_E_clISt17integral_constantIbLb0EES10_IbLb1EEEEDaSW_SX_EUlSW_E_NS1_11comp_targetILNS1_3genE5ELNS1_11target_archE942ELNS1_3gpuE9ELNS1_3repE0EEENS1_30default_config_static_selectorELNS0_4arch9wavefront6targetE0EEEvT1_.num_agpr, 0
	.set _ZN7rocprim17ROCPRIM_400000_NS6detail17trampoline_kernelINS0_14default_configENS1_27scan_by_key_config_selectorIisEEZZNS1_16scan_by_key_implILNS1_25lookback_scan_determinismE0ELb1ES3_N6thrust23THRUST_200600_302600_NS6detail15normal_iteratorINS9_10device_ptrIiEEEENSB_INSC_IsEEEESG_sNS9_4plusIvEENS9_8equal_toIvEEsEE10hipError_tPvRmT2_T3_T4_T5_mT6_T7_P12ihipStream_tbENKUlT_T0_E_clISt17integral_constantIbLb0EES10_IbLb1EEEEDaSW_SX_EUlSW_E_NS1_11comp_targetILNS1_3genE5ELNS1_11target_archE942ELNS1_3gpuE9ELNS1_3repE0EEENS1_30default_config_static_selectorELNS0_4arch9wavefront6targetE0EEEvT1_.numbered_sgpr, 0
	.set _ZN7rocprim17ROCPRIM_400000_NS6detail17trampoline_kernelINS0_14default_configENS1_27scan_by_key_config_selectorIisEEZZNS1_16scan_by_key_implILNS1_25lookback_scan_determinismE0ELb1ES3_N6thrust23THRUST_200600_302600_NS6detail15normal_iteratorINS9_10device_ptrIiEEEENSB_INSC_IsEEEESG_sNS9_4plusIvEENS9_8equal_toIvEEsEE10hipError_tPvRmT2_T3_T4_T5_mT6_T7_P12ihipStream_tbENKUlT_T0_E_clISt17integral_constantIbLb0EES10_IbLb1EEEEDaSW_SX_EUlSW_E_NS1_11comp_targetILNS1_3genE5ELNS1_11target_archE942ELNS1_3gpuE9ELNS1_3repE0EEENS1_30default_config_static_selectorELNS0_4arch9wavefront6targetE0EEEvT1_.num_named_barrier, 0
	.set _ZN7rocprim17ROCPRIM_400000_NS6detail17trampoline_kernelINS0_14default_configENS1_27scan_by_key_config_selectorIisEEZZNS1_16scan_by_key_implILNS1_25lookback_scan_determinismE0ELb1ES3_N6thrust23THRUST_200600_302600_NS6detail15normal_iteratorINS9_10device_ptrIiEEEENSB_INSC_IsEEEESG_sNS9_4plusIvEENS9_8equal_toIvEEsEE10hipError_tPvRmT2_T3_T4_T5_mT6_T7_P12ihipStream_tbENKUlT_T0_E_clISt17integral_constantIbLb0EES10_IbLb1EEEEDaSW_SX_EUlSW_E_NS1_11comp_targetILNS1_3genE5ELNS1_11target_archE942ELNS1_3gpuE9ELNS1_3repE0EEENS1_30default_config_static_selectorELNS0_4arch9wavefront6targetE0EEEvT1_.private_seg_size, 0
	.set _ZN7rocprim17ROCPRIM_400000_NS6detail17trampoline_kernelINS0_14default_configENS1_27scan_by_key_config_selectorIisEEZZNS1_16scan_by_key_implILNS1_25lookback_scan_determinismE0ELb1ES3_N6thrust23THRUST_200600_302600_NS6detail15normal_iteratorINS9_10device_ptrIiEEEENSB_INSC_IsEEEESG_sNS9_4plusIvEENS9_8equal_toIvEEsEE10hipError_tPvRmT2_T3_T4_T5_mT6_T7_P12ihipStream_tbENKUlT_T0_E_clISt17integral_constantIbLb0EES10_IbLb1EEEEDaSW_SX_EUlSW_E_NS1_11comp_targetILNS1_3genE5ELNS1_11target_archE942ELNS1_3gpuE9ELNS1_3repE0EEENS1_30default_config_static_selectorELNS0_4arch9wavefront6targetE0EEEvT1_.uses_vcc, 0
	.set _ZN7rocprim17ROCPRIM_400000_NS6detail17trampoline_kernelINS0_14default_configENS1_27scan_by_key_config_selectorIisEEZZNS1_16scan_by_key_implILNS1_25lookback_scan_determinismE0ELb1ES3_N6thrust23THRUST_200600_302600_NS6detail15normal_iteratorINS9_10device_ptrIiEEEENSB_INSC_IsEEEESG_sNS9_4plusIvEENS9_8equal_toIvEEsEE10hipError_tPvRmT2_T3_T4_T5_mT6_T7_P12ihipStream_tbENKUlT_T0_E_clISt17integral_constantIbLb0EES10_IbLb1EEEEDaSW_SX_EUlSW_E_NS1_11comp_targetILNS1_3genE5ELNS1_11target_archE942ELNS1_3gpuE9ELNS1_3repE0EEENS1_30default_config_static_selectorELNS0_4arch9wavefront6targetE0EEEvT1_.uses_flat_scratch, 0
	.set _ZN7rocprim17ROCPRIM_400000_NS6detail17trampoline_kernelINS0_14default_configENS1_27scan_by_key_config_selectorIisEEZZNS1_16scan_by_key_implILNS1_25lookback_scan_determinismE0ELb1ES3_N6thrust23THRUST_200600_302600_NS6detail15normal_iteratorINS9_10device_ptrIiEEEENSB_INSC_IsEEEESG_sNS9_4plusIvEENS9_8equal_toIvEEsEE10hipError_tPvRmT2_T3_T4_T5_mT6_T7_P12ihipStream_tbENKUlT_T0_E_clISt17integral_constantIbLb0EES10_IbLb1EEEEDaSW_SX_EUlSW_E_NS1_11comp_targetILNS1_3genE5ELNS1_11target_archE942ELNS1_3gpuE9ELNS1_3repE0EEENS1_30default_config_static_selectorELNS0_4arch9wavefront6targetE0EEEvT1_.has_dyn_sized_stack, 0
	.set _ZN7rocprim17ROCPRIM_400000_NS6detail17trampoline_kernelINS0_14default_configENS1_27scan_by_key_config_selectorIisEEZZNS1_16scan_by_key_implILNS1_25lookback_scan_determinismE0ELb1ES3_N6thrust23THRUST_200600_302600_NS6detail15normal_iteratorINS9_10device_ptrIiEEEENSB_INSC_IsEEEESG_sNS9_4plusIvEENS9_8equal_toIvEEsEE10hipError_tPvRmT2_T3_T4_T5_mT6_T7_P12ihipStream_tbENKUlT_T0_E_clISt17integral_constantIbLb0EES10_IbLb1EEEEDaSW_SX_EUlSW_E_NS1_11comp_targetILNS1_3genE5ELNS1_11target_archE942ELNS1_3gpuE9ELNS1_3repE0EEENS1_30default_config_static_selectorELNS0_4arch9wavefront6targetE0EEEvT1_.has_recursion, 0
	.set _ZN7rocprim17ROCPRIM_400000_NS6detail17trampoline_kernelINS0_14default_configENS1_27scan_by_key_config_selectorIisEEZZNS1_16scan_by_key_implILNS1_25lookback_scan_determinismE0ELb1ES3_N6thrust23THRUST_200600_302600_NS6detail15normal_iteratorINS9_10device_ptrIiEEEENSB_INSC_IsEEEESG_sNS9_4plusIvEENS9_8equal_toIvEEsEE10hipError_tPvRmT2_T3_T4_T5_mT6_T7_P12ihipStream_tbENKUlT_T0_E_clISt17integral_constantIbLb0EES10_IbLb1EEEEDaSW_SX_EUlSW_E_NS1_11comp_targetILNS1_3genE5ELNS1_11target_archE942ELNS1_3gpuE9ELNS1_3repE0EEENS1_30default_config_static_selectorELNS0_4arch9wavefront6targetE0EEEvT1_.has_indirect_call, 0
	.section	.AMDGPU.csdata,"",@progbits
; Kernel info:
; codeLenInByte = 0
; TotalNumSgprs: 0
; NumVgprs: 0
; ScratchSize: 0
; MemoryBound: 0
; FloatMode: 240
; IeeeMode: 1
; LDSByteSize: 0 bytes/workgroup (compile time only)
; SGPRBlocks: 0
; VGPRBlocks: 0
; NumSGPRsForWavesPerEU: 1
; NumVGPRsForWavesPerEU: 1
; Occupancy: 16
; WaveLimiterHint : 0
; COMPUTE_PGM_RSRC2:SCRATCH_EN: 0
; COMPUTE_PGM_RSRC2:USER_SGPR: 6
; COMPUTE_PGM_RSRC2:TRAP_HANDLER: 0
; COMPUTE_PGM_RSRC2:TGID_X_EN: 1
; COMPUTE_PGM_RSRC2:TGID_Y_EN: 0
; COMPUTE_PGM_RSRC2:TGID_Z_EN: 0
; COMPUTE_PGM_RSRC2:TIDIG_COMP_CNT: 0
	.section	.text._ZN7rocprim17ROCPRIM_400000_NS6detail17trampoline_kernelINS0_14default_configENS1_27scan_by_key_config_selectorIisEEZZNS1_16scan_by_key_implILNS1_25lookback_scan_determinismE0ELb1ES3_N6thrust23THRUST_200600_302600_NS6detail15normal_iteratorINS9_10device_ptrIiEEEENSB_INSC_IsEEEESG_sNS9_4plusIvEENS9_8equal_toIvEEsEE10hipError_tPvRmT2_T3_T4_T5_mT6_T7_P12ihipStream_tbENKUlT_T0_E_clISt17integral_constantIbLb0EES10_IbLb1EEEEDaSW_SX_EUlSW_E_NS1_11comp_targetILNS1_3genE4ELNS1_11target_archE910ELNS1_3gpuE8ELNS1_3repE0EEENS1_30default_config_static_selectorELNS0_4arch9wavefront6targetE0EEEvT1_,"axG",@progbits,_ZN7rocprim17ROCPRIM_400000_NS6detail17trampoline_kernelINS0_14default_configENS1_27scan_by_key_config_selectorIisEEZZNS1_16scan_by_key_implILNS1_25lookback_scan_determinismE0ELb1ES3_N6thrust23THRUST_200600_302600_NS6detail15normal_iteratorINS9_10device_ptrIiEEEENSB_INSC_IsEEEESG_sNS9_4plusIvEENS9_8equal_toIvEEsEE10hipError_tPvRmT2_T3_T4_T5_mT6_T7_P12ihipStream_tbENKUlT_T0_E_clISt17integral_constantIbLb0EES10_IbLb1EEEEDaSW_SX_EUlSW_E_NS1_11comp_targetILNS1_3genE4ELNS1_11target_archE910ELNS1_3gpuE8ELNS1_3repE0EEENS1_30default_config_static_selectorELNS0_4arch9wavefront6targetE0EEEvT1_,comdat
	.protected	_ZN7rocprim17ROCPRIM_400000_NS6detail17trampoline_kernelINS0_14default_configENS1_27scan_by_key_config_selectorIisEEZZNS1_16scan_by_key_implILNS1_25lookback_scan_determinismE0ELb1ES3_N6thrust23THRUST_200600_302600_NS6detail15normal_iteratorINS9_10device_ptrIiEEEENSB_INSC_IsEEEESG_sNS9_4plusIvEENS9_8equal_toIvEEsEE10hipError_tPvRmT2_T3_T4_T5_mT6_T7_P12ihipStream_tbENKUlT_T0_E_clISt17integral_constantIbLb0EES10_IbLb1EEEEDaSW_SX_EUlSW_E_NS1_11comp_targetILNS1_3genE4ELNS1_11target_archE910ELNS1_3gpuE8ELNS1_3repE0EEENS1_30default_config_static_selectorELNS0_4arch9wavefront6targetE0EEEvT1_ ; -- Begin function _ZN7rocprim17ROCPRIM_400000_NS6detail17trampoline_kernelINS0_14default_configENS1_27scan_by_key_config_selectorIisEEZZNS1_16scan_by_key_implILNS1_25lookback_scan_determinismE0ELb1ES3_N6thrust23THRUST_200600_302600_NS6detail15normal_iteratorINS9_10device_ptrIiEEEENSB_INSC_IsEEEESG_sNS9_4plusIvEENS9_8equal_toIvEEsEE10hipError_tPvRmT2_T3_T4_T5_mT6_T7_P12ihipStream_tbENKUlT_T0_E_clISt17integral_constantIbLb0EES10_IbLb1EEEEDaSW_SX_EUlSW_E_NS1_11comp_targetILNS1_3genE4ELNS1_11target_archE910ELNS1_3gpuE8ELNS1_3repE0EEENS1_30default_config_static_selectorELNS0_4arch9wavefront6targetE0EEEvT1_
	.globl	_ZN7rocprim17ROCPRIM_400000_NS6detail17trampoline_kernelINS0_14default_configENS1_27scan_by_key_config_selectorIisEEZZNS1_16scan_by_key_implILNS1_25lookback_scan_determinismE0ELb1ES3_N6thrust23THRUST_200600_302600_NS6detail15normal_iteratorINS9_10device_ptrIiEEEENSB_INSC_IsEEEESG_sNS9_4plusIvEENS9_8equal_toIvEEsEE10hipError_tPvRmT2_T3_T4_T5_mT6_T7_P12ihipStream_tbENKUlT_T0_E_clISt17integral_constantIbLb0EES10_IbLb1EEEEDaSW_SX_EUlSW_E_NS1_11comp_targetILNS1_3genE4ELNS1_11target_archE910ELNS1_3gpuE8ELNS1_3repE0EEENS1_30default_config_static_selectorELNS0_4arch9wavefront6targetE0EEEvT1_
	.p2align	8
	.type	_ZN7rocprim17ROCPRIM_400000_NS6detail17trampoline_kernelINS0_14default_configENS1_27scan_by_key_config_selectorIisEEZZNS1_16scan_by_key_implILNS1_25lookback_scan_determinismE0ELb1ES3_N6thrust23THRUST_200600_302600_NS6detail15normal_iteratorINS9_10device_ptrIiEEEENSB_INSC_IsEEEESG_sNS9_4plusIvEENS9_8equal_toIvEEsEE10hipError_tPvRmT2_T3_T4_T5_mT6_T7_P12ihipStream_tbENKUlT_T0_E_clISt17integral_constantIbLb0EES10_IbLb1EEEEDaSW_SX_EUlSW_E_NS1_11comp_targetILNS1_3genE4ELNS1_11target_archE910ELNS1_3gpuE8ELNS1_3repE0EEENS1_30default_config_static_selectorELNS0_4arch9wavefront6targetE0EEEvT1_,@function
_ZN7rocprim17ROCPRIM_400000_NS6detail17trampoline_kernelINS0_14default_configENS1_27scan_by_key_config_selectorIisEEZZNS1_16scan_by_key_implILNS1_25lookback_scan_determinismE0ELb1ES3_N6thrust23THRUST_200600_302600_NS6detail15normal_iteratorINS9_10device_ptrIiEEEENSB_INSC_IsEEEESG_sNS9_4plusIvEENS9_8equal_toIvEEsEE10hipError_tPvRmT2_T3_T4_T5_mT6_T7_P12ihipStream_tbENKUlT_T0_E_clISt17integral_constantIbLb0EES10_IbLb1EEEEDaSW_SX_EUlSW_E_NS1_11comp_targetILNS1_3genE4ELNS1_11target_archE910ELNS1_3gpuE8ELNS1_3repE0EEENS1_30default_config_static_selectorELNS0_4arch9wavefront6targetE0EEEvT1_: ; @_ZN7rocprim17ROCPRIM_400000_NS6detail17trampoline_kernelINS0_14default_configENS1_27scan_by_key_config_selectorIisEEZZNS1_16scan_by_key_implILNS1_25lookback_scan_determinismE0ELb1ES3_N6thrust23THRUST_200600_302600_NS6detail15normal_iteratorINS9_10device_ptrIiEEEENSB_INSC_IsEEEESG_sNS9_4plusIvEENS9_8equal_toIvEEsEE10hipError_tPvRmT2_T3_T4_T5_mT6_T7_P12ihipStream_tbENKUlT_T0_E_clISt17integral_constantIbLb0EES10_IbLb1EEEEDaSW_SX_EUlSW_E_NS1_11comp_targetILNS1_3genE4ELNS1_11target_archE910ELNS1_3gpuE8ELNS1_3repE0EEENS1_30default_config_static_selectorELNS0_4arch9wavefront6targetE0EEEvT1_
; %bb.0:
	.section	.rodata,"a",@progbits
	.p2align	6, 0x0
	.amdhsa_kernel _ZN7rocprim17ROCPRIM_400000_NS6detail17trampoline_kernelINS0_14default_configENS1_27scan_by_key_config_selectorIisEEZZNS1_16scan_by_key_implILNS1_25lookback_scan_determinismE0ELb1ES3_N6thrust23THRUST_200600_302600_NS6detail15normal_iteratorINS9_10device_ptrIiEEEENSB_INSC_IsEEEESG_sNS9_4plusIvEENS9_8equal_toIvEEsEE10hipError_tPvRmT2_T3_T4_T5_mT6_T7_P12ihipStream_tbENKUlT_T0_E_clISt17integral_constantIbLb0EES10_IbLb1EEEEDaSW_SX_EUlSW_E_NS1_11comp_targetILNS1_3genE4ELNS1_11target_archE910ELNS1_3gpuE8ELNS1_3repE0EEENS1_30default_config_static_selectorELNS0_4arch9wavefront6targetE0EEEvT1_
		.amdhsa_group_segment_fixed_size 0
		.amdhsa_private_segment_fixed_size 0
		.amdhsa_kernarg_size 112
		.amdhsa_user_sgpr_count 6
		.amdhsa_user_sgpr_private_segment_buffer 1
		.amdhsa_user_sgpr_dispatch_ptr 0
		.amdhsa_user_sgpr_queue_ptr 0
		.amdhsa_user_sgpr_kernarg_segment_ptr 1
		.amdhsa_user_sgpr_dispatch_id 0
		.amdhsa_user_sgpr_flat_scratch_init 0
		.amdhsa_user_sgpr_private_segment_size 0
		.amdhsa_wavefront_size32 1
		.amdhsa_uses_dynamic_stack 0
		.amdhsa_system_sgpr_private_segment_wavefront_offset 0
		.amdhsa_system_sgpr_workgroup_id_x 1
		.amdhsa_system_sgpr_workgroup_id_y 0
		.amdhsa_system_sgpr_workgroup_id_z 0
		.amdhsa_system_sgpr_workgroup_info 0
		.amdhsa_system_vgpr_workitem_id 0
		.amdhsa_next_free_vgpr 1
		.amdhsa_next_free_sgpr 1
		.amdhsa_reserve_vcc 0
		.amdhsa_reserve_flat_scratch 0
		.amdhsa_float_round_mode_32 0
		.amdhsa_float_round_mode_16_64 0
		.amdhsa_float_denorm_mode_32 3
		.amdhsa_float_denorm_mode_16_64 3
		.amdhsa_dx10_clamp 1
		.amdhsa_ieee_mode 1
		.amdhsa_fp16_overflow 0
		.amdhsa_workgroup_processor_mode 1
		.amdhsa_memory_ordered 1
		.amdhsa_forward_progress 1
		.amdhsa_shared_vgpr_count 0
		.amdhsa_exception_fp_ieee_invalid_op 0
		.amdhsa_exception_fp_denorm_src 0
		.amdhsa_exception_fp_ieee_div_zero 0
		.amdhsa_exception_fp_ieee_overflow 0
		.amdhsa_exception_fp_ieee_underflow 0
		.amdhsa_exception_fp_ieee_inexact 0
		.amdhsa_exception_int_div_zero 0
	.end_amdhsa_kernel
	.section	.text._ZN7rocprim17ROCPRIM_400000_NS6detail17trampoline_kernelINS0_14default_configENS1_27scan_by_key_config_selectorIisEEZZNS1_16scan_by_key_implILNS1_25lookback_scan_determinismE0ELb1ES3_N6thrust23THRUST_200600_302600_NS6detail15normal_iteratorINS9_10device_ptrIiEEEENSB_INSC_IsEEEESG_sNS9_4plusIvEENS9_8equal_toIvEEsEE10hipError_tPvRmT2_T3_T4_T5_mT6_T7_P12ihipStream_tbENKUlT_T0_E_clISt17integral_constantIbLb0EES10_IbLb1EEEEDaSW_SX_EUlSW_E_NS1_11comp_targetILNS1_3genE4ELNS1_11target_archE910ELNS1_3gpuE8ELNS1_3repE0EEENS1_30default_config_static_selectorELNS0_4arch9wavefront6targetE0EEEvT1_,"axG",@progbits,_ZN7rocprim17ROCPRIM_400000_NS6detail17trampoline_kernelINS0_14default_configENS1_27scan_by_key_config_selectorIisEEZZNS1_16scan_by_key_implILNS1_25lookback_scan_determinismE0ELb1ES3_N6thrust23THRUST_200600_302600_NS6detail15normal_iteratorINS9_10device_ptrIiEEEENSB_INSC_IsEEEESG_sNS9_4plusIvEENS9_8equal_toIvEEsEE10hipError_tPvRmT2_T3_T4_T5_mT6_T7_P12ihipStream_tbENKUlT_T0_E_clISt17integral_constantIbLb0EES10_IbLb1EEEEDaSW_SX_EUlSW_E_NS1_11comp_targetILNS1_3genE4ELNS1_11target_archE910ELNS1_3gpuE8ELNS1_3repE0EEENS1_30default_config_static_selectorELNS0_4arch9wavefront6targetE0EEEvT1_,comdat
.Lfunc_end1637:
	.size	_ZN7rocprim17ROCPRIM_400000_NS6detail17trampoline_kernelINS0_14default_configENS1_27scan_by_key_config_selectorIisEEZZNS1_16scan_by_key_implILNS1_25lookback_scan_determinismE0ELb1ES3_N6thrust23THRUST_200600_302600_NS6detail15normal_iteratorINS9_10device_ptrIiEEEENSB_INSC_IsEEEESG_sNS9_4plusIvEENS9_8equal_toIvEEsEE10hipError_tPvRmT2_T3_T4_T5_mT6_T7_P12ihipStream_tbENKUlT_T0_E_clISt17integral_constantIbLb0EES10_IbLb1EEEEDaSW_SX_EUlSW_E_NS1_11comp_targetILNS1_3genE4ELNS1_11target_archE910ELNS1_3gpuE8ELNS1_3repE0EEENS1_30default_config_static_selectorELNS0_4arch9wavefront6targetE0EEEvT1_, .Lfunc_end1637-_ZN7rocprim17ROCPRIM_400000_NS6detail17trampoline_kernelINS0_14default_configENS1_27scan_by_key_config_selectorIisEEZZNS1_16scan_by_key_implILNS1_25lookback_scan_determinismE0ELb1ES3_N6thrust23THRUST_200600_302600_NS6detail15normal_iteratorINS9_10device_ptrIiEEEENSB_INSC_IsEEEESG_sNS9_4plusIvEENS9_8equal_toIvEEsEE10hipError_tPvRmT2_T3_T4_T5_mT6_T7_P12ihipStream_tbENKUlT_T0_E_clISt17integral_constantIbLb0EES10_IbLb1EEEEDaSW_SX_EUlSW_E_NS1_11comp_targetILNS1_3genE4ELNS1_11target_archE910ELNS1_3gpuE8ELNS1_3repE0EEENS1_30default_config_static_selectorELNS0_4arch9wavefront6targetE0EEEvT1_
                                        ; -- End function
	.set _ZN7rocprim17ROCPRIM_400000_NS6detail17trampoline_kernelINS0_14default_configENS1_27scan_by_key_config_selectorIisEEZZNS1_16scan_by_key_implILNS1_25lookback_scan_determinismE0ELb1ES3_N6thrust23THRUST_200600_302600_NS6detail15normal_iteratorINS9_10device_ptrIiEEEENSB_INSC_IsEEEESG_sNS9_4plusIvEENS9_8equal_toIvEEsEE10hipError_tPvRmT2_T3_T4_T5_mT6_T7_P12ihipStream_tbENKUlT_T0_E_clISt17integral_constantIbLb0EES10_IbLb1EEEEDaSW_SX_EUlSW_E_NS1_11comp_targetILNS1_3genE4ELNS1_11target_archE910ELNS1_3gpuE8ELNS1_3repE0EEENS1_30default_config_static_selectorELNS0_4arch9wavefront6targetE0EEEvT1_.num_vgpr, 0
	.set _ZN7rocprim17ROCPRIM_400000_NS6detail17trampoline_kernelINS0_14default_configENS1_27scan_by_key_config_selectorIisEEZZNS1_16scan_by_key_implILNS1_25lookback_scan_determinismE0ELb1ES3_N6thrust23THRUST_200600_302600_NS6detail15normal_iteratorINS9_10device_ptrIiEEEENSB_INSC_IsEEEESG_sNS9_4plusIvEENS9_8equal_toIvEEsEE10hipError_tPvRmT2_T3_T4_T5_mT6_T7_P12ihipStream_tbENKUlT_T0_E_clISt17integral_constantIbLb0EES10_IbLb1EEEEDaSW_SX_EUlSW_E_NS1_11comp_targetILNS1_3genE4ELNS1_11target_archE910ELNS1_3gpuE8ELNS1_3repE0EEENS1_30default_config_static_selectorELNS0_4arch9wavefront6targetE0EEEvT1_.num_agpr, 0
	.set _ZN7rocprim17ROCPRIM_400000_NS6detail17trampoline_kernelINS0_14default_configENS1_27scan_by_key_config_selectorIisEEZZNS1_16scan_by_key_implILNS1_25lookback_scan_determinismE0ELb1ES3_N6thrust23THRUST_200600_302600_NS6detail15normal_iteratorINS9_10device_ptrIiEEEENSB_INSC_IsEEEESG_sNS9_4plusIvEENS9_8equal_toIvEEsEE10hipError_tPvRmT2_T3_T4_T5_mT6_T7_P12ihipStream_tbENKUlT_T0_E_clISt17integral_constantIbLb0EES10_IbLb1EEEEDaSW_SX_EUlSW_E_NS1_11comp_targetILNS1_3genE4ELNS1_11target_archE910ELNS1_3gpuE8ELNS1_3repE0EEENS1_30default_config_static_selectorELNS0_4arch9wavefront6targetE0EEEvT1_.numbered_sgpr, 0
	.set _ZN7rocprim17ROCPRIM_400000_NS6detail17trampoline_kernelINS0_14default_configENS1_27scan_by_key_config_selectorIisEEZZNS1_16scan_by_key_implILNS1_25lookback_scan_determinismE0ELb1ES3_N6thrust23THRUST_200600_302600_NS6detail15normal_iteratorINS9_10device_ptrIiEEEENSB_INSC_IsEEEESG_sNS9_4plusIvEENS9_8equal_toIvEEsEE10hipError_tPvRmT2_T3_T4_T5_mT6_T7_P12ihipStream_tbENKUlT_T0_E_clISt17integral_constantIbLb0EES10_IbLb1EEEEDaSW_SX_EUlSW_E_NS1_11comp_targetILNS1_3genE4ELNS1_11target_archE910ELNS1_3gpuE8ELNS1_3repE0EEENS1_30default_config_static_selectorELNS0_4arch9wavefront6targetE0EEEvT1_.num_named_barrier, 0
	.set _ZN7rocprim17ROCPRIM_400000_NS6detail17trampoline_kernelINS0_14default_configENS1_27scan_by_key_config_selectorIisEEZZNS1_16scan_by_key_implILNS1_25lookback_scan_determinismE0ELb1ES3_N6thrust23THRUST_200600_302600_NS6detail15normal_iteratorINS9_10device_ptrIiEEEENSB_INSC_IsEEEESG_sNS9_4plusIvEENS9_8equal_toIvEEsEE10hipError_tPvRmT2_T3_T4_T5_mT6_T7_P12ihipStream_tbENKUlT_T0_E_clISt17integral_constantIbLb0EES10_IbLb1EEEEDaSW_SX_EUlSW_E_NS1_11comp_targetILNS1_3genE4ELNS1_11target_archE910ELNS1_3gpuE8ELNS1_3repE0EEENS1_30default_config_static_selectorELNS0_4arch9wavefront6targetE0EEEvT1_.private_seg_size, 0
	.set _ZN7rocprim17ROCPRIM_400000_NS6detail17trampoline_kernelINS0_14default_configENS1_27scan_by_key_config_selectorIisEEZZNS1_16scan_by_key_implILNS1_25lookback_scan_determinismE0ELb1ES3_N6thrust23THRUST_200600_302600_NS6detail15normal_iteratorINS9_10device_ptrIiEEEENSB_INSC_IsEEEESG_sNS9_4plusIvEENS9_8equal_toIvEEsEE10hipError_tPvRmT2_T3_T4_T5_mT6_T7_P12ihipStream_tbENKUlT_T0_E_clISt17integral_constantIbLb0EES10_IbLb1EEEEDaSW_SX_EUlSW_E_NS1_11comp_targetILNS1_3genE4ELNS1_11target_archE910ELNS1_3gpuE8ELNS1_3repE0EEENS1_30default_config_static_selectorELNS0_4arch9wavefront6targetE0EEEvT1_.uses_vcc, 0
	.set _ZN7rocprim17ROCPRIM_400000_NS6detail17trampoline_kernelINS0_14default_configENS1_27scan_by_key_config_selectorIisEEZZNS1_16scan_by_key_implILNS1_25lookback_scan_determinismE0ELb1ES3_N6thrust23THRUST_200600_302600_NS6detail15normal_iteratorINS9_10device_ptrIiEEEENSB_INSC_IsEEEESG_sNS9_4plusIvEENS9_8equal_toIvEEsEE10hipError_tPvRmT2_T3_T4_T5_mT6_T7_P12ihipStream_tbENKUlT_T0_E_clISt17integral_constantIbLb0EES10_IbLb1EEEEDaSW_SX_EUlSW_E_NS1_11comp_targetILNS1_3genE4ELNS1_11target_archE910ELNS1_3gpuE8ELNS1_3repE0EEENS1_30default_config_static_selectorELNS0_4arch9wavefront6targetE0EEEvT1_.uses_flat_scratch, 0
	.set _ZN7rocprim17ROCPRIM_400000_NS6detail17trampoline_kernelINS0_14default_configENS1_27scan_by_key_config_selectorIisEEZZNS1_16scan_by_key_implILNS1_25lookback_scan_determinismE0ELb1ES3_N6thrust23THRUST_200600_302600_NS6detail15normal_iteratorINS9_10device_ptrIiEEEENSB_INSC_IsEEEESG_sNS9_4plusIvEENS9_8equal_toIvEEsEE10hipError_tPvRmT2_T3_T4_T5_mT6_T7_P12ihipStream_tbENKUlT_T0_E_clISt17integral_constantIbLb0EES10_IbLb1EEEEDaSW_SX_EUlSW_E_NS1_11comp_targetILNS1_3genE4ELNS1_11target_archE910ELNS1_3gpuE8ELNS1_3repE0EEENS1_30default_config_static_selectorELNS0_4arch9wavefront6targetE0EEEvT1_.has_dyn_sized_stack, 0
	.set _ZN7rocprim17ROCPRIM_400000_NS6detail17trampoline_kernelINS0_14default_configENS1_27scan_by_key_config_selectorIisEEZZNS1_16scan_by_key_implILNS1_25lookback_scan_determinismE0ELb1ES3_N6thrust23THRUST_200600_302600_NS6detail15normal_iteratorINS9_10device_ptrIiEEEENSB_INSC_IsEEEESG_sNS9_4plusIvEENS9_8equal_toIvEEsEE10hipError_tPvRmT2_T3_T4_T5_mT6_T7_P12ihipStream_tbENKUlT_T0_E_clISt17integral_constantIbLb0EES10_IbLb1EEEEDaSW_SX_EUlSW_E_NS1_11comp_targetILNS1_3genE4ELNS1_11target_archE910ELNS1_3gpuE8ELNS1_3repE0EEENS1_30default_config_static_selectorELNS0_4arch9wavefront6targetE0EEEvT1_.has_recursion, 0
	.set _ZN7rocprim17ROCPRIM_400000_NS6detail17trampoline_kernelINS0_14default_configENS1_27scan_by_key_config_selectorIisEEZZNS1_16scan_by_key_implILNS1_25lookback_scan_determinismE0ELb1ES3_N6thrust23THRUST_200600_302600_NS6detail15normal_iteratorINS9_10device_ptrIiEEEENSB_INSC_IsEEEESG_sNS9_4plusIvEENS9_8equal_toIvEEsEE10hipError_tPvRmT2_T3_T4_T5_mT6_T7_P12ihipStream_tbENKUlT_T0_E_clISt17integral_constantIbLb0EES10_IbLb1EEEEDaSW_SX_EUlSW_E_NS1_11comp_targetILNS1_3genE4ELNS1_11target_archE910ELNS1_3gpuE8ELNS1_3repE0EEENS1_30default_config_static_selectorELNS0_4arch9wavefront6targetE0EEEvT1_.has_indirect_call, 0
	.section	.AMDGPU.csdata,"",@progbits
; Kernel info:
; codeLenInByte = 0
; TotalNumSgprs: 0
; NumVgprs: 0
; ScratchSize: 0
; MemoryBound: 0
; FloatMode: 240
; IeeeMode: 1
; LDSByteSize: 0 bytes/workgroup (compile time only)
; SGPRBlocks: 0
; VGPRBlocks: 0
; NumSGPRsForWavesPerEU: 1
; NumVGPRsForWavesPerEU: 1
; Occupancy: 16
; WaveLimiterHint : 0
; COMPUTE_PGM_RSRC2:SCRATCH_EN: 0
; COMPUTE_PGM_RSRC2:USER_SGPR: 6
; COMPUTE_PGM_RSRC2:TRAP_HANDLER: 0
; COMPUTE_PGM_RSRC2:TGID_X_EN: 1
; COMPUTE_PGM_RSRC2:TGID_Y_EN: 0
; COMPUTE_PGM_RSRC2:TGID_Z_EN: 0
; COMPUTE_PGM_RSRC2:TIDIG_COMP_CNT: 0
	.section	.text._ZN7rocprim17ROCPRIM_400000_NS6detail17trampoline_kernelINS0_14default_configENS1_27scan_by_key_config_selectorIisEEZZNS1_16scan_by_key_implILNS1_25lookback_scan_determinismE0ELb1ES3_N6thrust23THRUST_200600_302600_NS6detail15normal_iteratorINS9_10device_ptrIiEEEENSB_INSC_IsEEEESG_sNS9_4plusIvEENS9_8equal_toIvEEsEE10hipError_tPvRmT2_T3_T4_T5_mT6_T7_P12ihipStream_tbENKUlT_T0_E_clISt17integral_constantIbLb0EES10_IbLb1EEEEDaSW_SX_EUlSW_E_NS1_11comp_targetILNS1_3genE3ELNS1_11target_archE908ELNS1_3gpuE7ELNS1_3repE0EEENS1_30default_config_static_selectorELNS0_4arch9wavefront6targetE0EEEvT1_,"axG",@progbits,_ZN7rocprim17ROCPRIM_400000_NS6detail17trampoline_kernelINS0_14default_configENS1_27scan_by_key_config_selectorIisEEZZNS1_16scan_by_key_implILNS1_25lookback_scan_determinismE0ELb1ES3_N6thrust23THRUST_200600_302600_NS6detail15normal_iteratorINS9_10device_ptrIiEEEENSB_INSC_IsEEEESG_sNS9_4plusIvEENS9_8equal_toIvEEsEE10hipError_tPvRmT2_T3_T4_T5_mT6_T7_P12ihipStream_tbENKUlT_T0_E_clISt17integral_constantIbLb0EES10_IbLb1EEEEDaSW_SX_EUlSW_E_NS1_11comp_targetILNS1_3genE3ELNS1_11target_archE908ELNS1_3gpuE7ELNS1_3repE0EEENS1_30default_config_static_selectorELNS0_4arch9wavefront6targetE0EEEvT1_,comdat
	.protected	_ZN7rocprim17ROCPRIM_400000_NS6detail17trampoline_kernelINS0_14default_configENS1_27scan_by_key_config_selectorIisEEZZNS1_16scan_by_key_implILNS1_25lookback_scan_determinismE0ELb1ES3_N6thrust23THRUST_200600_302600_NS6detail15normal_iteratorINS9_10device_ptrIiEEEENSB_INSC_IsEEEESG_sNS9_4plusIvEENS9_8equal_toIvEEsEE10hipError_tPvRmT2_T3_T4_T5_mT6_T7_P12ihipStream_tbENKUlT_T0_E_clISt17integral_constantIbLb0EES10_IbLb1EEEEDaSW_SX_EUlSW_E_NS1_11comp_targetILNS1_3genE3ELNS1_11target_archE908ELNS1_3gpuE7ELNS1_3repE0EEENS1_30default_config_static_selectorELNS0_4arch9wavefront6targetE0EEEvT1_ ; -- Begin function _ZN7rocprim17ROCPRIM_400000_NS6detail17trampoline_kernelINS0_14default_configENS1_27scan_by_key_config_selectorIisEEZZNS1_16scan_by_key_implILNS1_25lookback_scan_determinismE0ELb1ES3_N6thrust23THRUST_200600_302600_NS6detail15normal_iteratorINS9_10device_ptrIiEEEENSB_INSC_IsEEEESG_sNS9_4plusIvEENS9_8equal_toIvEEsEE10hipError_tPvRmT2_T3_T4_T5_mT6_T7_P12ihipStream_tbENKUlT_T0_E_clISt17integral_constantIbLb0EES10_IbLb1EEEEDaSW_SX_EUlSW_E_NS1_11comp_targetILNS1_3genE3ELNS1_11target_archE908ELNS1_3gpuE7ELNS1_3repE0EEENS1_30default_config_static_selectorELNS0_4arch9wavefront6targetE0EEEvT1_
	.globl	_ZN7rocprim17ROCPRIM_400000_NS6detail17trampoline_kernelINS0_14default_configENS1_27scan_by_key_config_selectorIisEEZZNS1_16scan_by_key_implILNS1_25lookback_scan_determinismE0ELb1ES3_N6thrust23THRUST_200600_302600_NS6detail15normal_iteratorINS9_10device_ptrIiEEEENSB_INSC_IsEEEESG_sNS9_4plusIvEENS9_8equal_toIvEEsEE10hipError_tPvRmT2_T3_T4_T5_mT6_T7_P12ihipStream_tbENKUlT_T0_E_clISt17integral_constantIbLb0EES10_IbLb1EEEEDaSW_SX_EUlSW_E_NS1_11comp_targetILNS1_3genE3ELNS1_11target_archE908ELNS1_3gpuE7ELNS1_3repE0EEENS1_30default_config_static_selectorELNS0_4arch9wavefront6targetE0EEEvT1_
	.p2align	8
	.type	_ZN7rocprim17ROCPRIM_400000_NS6detail17trampoline_kernelINS0_14default_configENS1_27scan_by_key_config_selectorIisEEZZNS1_16scan_by_key_implILNS1_25lookback_scan_determinismE0ELb1ES3_N6thrust23THRUST_200600_302600_NS6detail15normal_iteratorINS9_10device_ptrIiEEEENSB_INSC_IsEEEESG_sNS9_4plusIvEENS9_8equal_toIvEEsEE10hipError_tPvRmT2_T3_T4_T5_mT6_T7_P12ihipStream_tbENKUlT_T0_E_clISt17integral_constantIbLb0EES10_IbLb1EEEEDaSW_SX_EUlSW_E_NS1_11comp_targetILNS1_3genE3ELNS1_11target_archE908ELNS1_3gpuE7ELNS1_3repE0EEENS1_30default_config_static_selectorELNS0_4arch9wavefront6targetE0EEEvT1_,@function
_ZN7rocprim17ROCPRIM_400000_NS6detail17trampoline_kernelINS0_14default_configENS1_27scan_by_key_config_selectorIisEEZZNS1_16scan_by_key_implILNS1_25lookback_scan_determinismE0ELb1ES3_N6thrust23THRUST_200600_302600_NS6detail15normal_iteratorINS9_10device_ptrIiEEEENSB_INSC_IsEEEESG_sNS9_4plusIvEENS9_8equal_toIvEEsEE10hipError_tPvRmT2_T3_T4_T5_mT6_T7_P12ihipStream_tbENKUlT_T0_E_clISt17integral_constantIbLb0EES10_IbLb1EEEEDaSW_SX_EUlSW_E_NS1_11comp_targetILNS1_3genE3ELNS1_11target_archE908ELNS1_3gpuE7ELNS1_3repE0EEENS1_30default_config_static_selectorELNS0_4arch9wavefront6targetE0EEEvT1_: ; @_ZN7rocprim17ROCPRIM_400000_NS6detail17trampoline_kernelINS0_14default_configENS1_27scan_by_key_config_selectorIisEEZZNS1_16scan_by_key_implILNS1_25lookback_scan_determinismE0ELb1ES3_N6thrust23THRUST_200600_302600_NS6detail15normal_iteratorINS9_10device_ptrIiEEEENSB_INSC_IsEEEESG_sNS9_4plusIvEENS9_8equal_toIvEEsEE10hipError_tPvRmT2_T3_T4_T5_mT6_T7_P12ihipStream_tbENKUlT_T0_E_clISt17integral_constantIbLb0EES10_IbLb1EEEEDaSW_SX_EUlSW_E_NS1_11comp_targetILNS1_3genE3ELNS1_11target_archE908ELNS1_3gpuE7ELNS1_3repE0EEENS1_30default_config_static_selectorELNS0_4arch9wavefront6targetE0EEEvT1_
; %bb.0:
	.section	.rodata,"a",@progbits
	.p2align	6, 0x0
	.amdhsa_kernel _ZN7rocprim17ROCPRIM_400000_NS6detail17trampoline_kernelINS0_14default_configENS1_27scan_by_key_config_selectorIisEEZZNS1_16scan_by_key_implILNS1_25lookback_scan_determinismE0ELb1ES3_N6thrust23THRUST_200600_302600_NS6detail15normal_iteratorINS9_10device_ptrIiEEEENSB_INSC_IsEEEESG_sNS9_4plusIvEENS9_8equal_toIvEEsEE10hipError_tPvRmT2_T3_T4_T5_mT6_T7_P12ihipStream_tbENKUlT_T0_E_clISt17integral_constantIbLb0EES10_IbLb1EEEEDaSW_SX_EUlSW_E_NS1_11comp_targetILNS1_3genE3ELNS1_11target_archE908ELNS1_3gpuE7ELNS1_3repE0EEENS1_30default_config_static_selectorELNS0_4arch9wavefront6targetE0EEEvT1_
		.amdhsa_group_segment_fixed_size 0
		.amdhsa_private_segment_fixed_size 0
		.amdhsa_kernarg_size 112
		.amdhsa_user_sgpr_count 6
		.amdhsa_user_sgpr_private_segment_buffer 1
		.amdhsa_user_sgpr_dispatch_ptr 0
		.amdhsa_user_sgpr_queue_ptr 0
		.amdhsa_user_sgpr_kernarg_segment_ptr 1
		.amdhsa_user_sgpr_dispatch_id 0
		.amdhsa_user_sgpr_flat_scratch_init 0
		.amdhsa_user_sgpr_private_segment_size 0
		.amdhsa_wavefront_size32 1
		.amdhsa_uses_dynamic_stack 0
		.amdhsa_system_sgpr_private_segment_wavefront_offset 0
		.amdhsa_system_sgpr_workgroup_id_x 1
		.amdhsa_system_sgpr_workgroup_id_y 0
		.amdhsa_system_sgpr_workgroup_id_z 0
		.amdhsa_system_sgpr_workgroup_info 0
		.amdhsa_system_vgpr_workitem_id 0
		.amdhsa_next_free_vgpr 1
		.amdhsa_next_free_sgpr 1
		.amdhsa_reserve_vcc 0
		.amdhsa_reserve_flat_scratch 0
		.amdhsa_float_round_mode_32 0
		.amdhsa_float_round_mode_16_64 0
		.amdhsa_float_denorm_mode_32 3
		.amdhsa_float_denorm_mode_16_64 3
		.amdhsa_dx10_clamp 1
		.amdhsa_ieee_mode 1
		.amdhsa_fp16_overflow 0
		.amdhsa_workgroup_processor_mode 1
		.amdhsa_memory_ordered 1
		.amdhsa_forward_progress 1
		.amdhsa_shared_vgpr_count 0
		.amdhsa_exception_fp_ieee_invalid_op 0
		.amdhsa_exception_fp_denorm_src 0
		.amdhsa_exception_fp_ieee_div_zero 0
		.amdhsa_exception_fp_ieee_overflow 0
		.amdhsa_exception_fp_ieee_underflow 0
		.amdhsa_exception_fp_ieee_inexact 0
		.amdhsa_exception_int_div_zero 0
	.end_amdhsa_kernel
	.section	.text._ZN7rocprim17ROCPRIM_400000_NS6detail17trampoline_kernelINS0_14default_configENS1_27scan_by_key_config_selectorIisEEZZNS1_16scan_by_key_implILNS1_25lookback_scan_determinismE0ELb1ES3_N6thrust23THRUST_200600_302600_NS6detail15normal_iteratorINS9_10device_ptrIiEEEENSB_INSC_IsEEEESG_sNS9_4plusIvEENS9_8equal_toIvEEsEE10hipError_tPvRmT2_T3_T4_T5_mT6_T7_P12ihipStream_tbENKUlT_T0_E_clISt17integral_constantIbLb0EES10_IbLb1EEEEDaSW_SX_EUlSW_E_NS1_11comp_targetILNS1_3genE3ELNS1_11target_archE908ELNS1_3gpuE7ELNS1_3repE0EEENS1_30default_config_static_selectorELNS0_4arch9wavefront6targetE0EEEvT1_,"axG",@progbits,_ZN7rocprim17ROCPRIM_400000_NS6detail17trampoline_kernelINS0_14default_configENS1_27scan_by_key_config_selectorIisEEZZNS1_16scan_by_key_implILNS1_25lookback_scan_determinismE0ELb1ES3_N6thrust23THRUST_200600_302600_NS6detail15normal_iteratorINS9_10device_ptrIiEEEENSB_INSC_IsEEEESG_sNS9_4plusIvEENS9_8equal_toIvEEsEE10hipError_tPvRmT2_T3_T4_T5_mT6_T7_P12ihipStream_tbENKUlT_T0_E_clISt17integral_constantIbLb0EES10_IbLb1EEEEDaSW_SX_EUlSW_E_NS1_11comp_targetILNS1_3genE3ELNS1_11target_archE908ELNS1_3gpuE7ELNS1_3repE0EEENS1_30default_config_static_selectorELNS0_4arch9wavefront6targetE0EEEvT1_,comdat
.Lfunc_end1638:
	.size	_ZN7rocprim17ROCPRIM_400000_NS6detail17trampoline_kernelINS0_14default_configENS1_27scan_by_key_config_selectorIisEEZZNS1_16scan_by_key_implILNS1_25lookback_scan_determinismE0ELb1ES3_N6thrust23THRUST_200600_302600_NS6detail15normal_iteratorINS9_10device_ptrIiEEEENSB_INSC_IsEEEESG_sNS9_4plusIvEENS9_8equal_toIvEEsEE10hipError_tPvRmT2_T3_T4_T5_mT6_T7_P12ihipStream_tbENKUlT_T0_E_clISt17integral_constantIbLb0EES10_IbLb1EEEEDaSW_SX_EUlSW_E_NS1_11comp_targetILNS1_3genE3ELNS1_11target_archE908ELNS1_3gpuE7ELNS1_3repE0EEENS1_30default_config_static_selectorELNS0_4arch9wavefront6targetE0EEEvT1_, .Lfunc_end1638-_ZN7rocprim17ROCPRIM_400000_NS6detail17trampoline_kernelINS0_14default_configENS1_27scan_by_key_config_selectorIisEEZZNS1_16scan_by_key_implILNS1_25lookback_scan_determinismE0ELb1ES3_N6thrust23THRUST_200600_302600_NS6detail15normal_iteratorINS9_10device_ptrIiEEEENSB_INSC_IsEEEESG_sNS9_4plusIvEENS9_8equal_toIvEEsEE10hipError_tPvRmT2_T3_T4_T5_mT6_T7_P12ihipStream_tbENKUlT_T0_E_clISt17integral_constantIbLb0EES10_IbLb1EEEEDaSW_SX_EUlSW_E_NS1_11comp_targetILNS1_3genE3ELNS1_11target_archE908ELNS1_3gpuE7ELNS1_3repE0EEENS1_30default_config_static_selectorELNS0_4arch9wavefront6targetE0EEEvT1_
                                        ; -- End function
	.set _ZN7rocprim17ROCPRIM_400000_NS6detail17trampoline_kernelINS0_14default_configENS1_27scan_by_key_config_selectorIisEEZZNS1_16scan_by_key_implILNS1_25lookback_scan_determinismE0ELb1ES3_N6thrust23THRUST_200600_302600_NS6detail15normal_iteratorINS9_10device_ptrIiEEEENSB_INSC_IsEEEESG_sNS9_4plusIvEENS9_8equal_toIvEEsEE10hipError_tPvRmT2_T3_T4_T5_mT6_T7_P12ihipStream_tbENKUlT_T0_E_clISt17integral_constantIbLb0EES10_IbLb1EEEEDaSW_SX_EUlSW_E_NS1_11comp_targetILNS1_3genE3ELNS1_11target_archE908ELNS1_3gpuE7ELNS1_3repE0EEENS1_30default_config_static_selectorELNS0_4arch9wavefront6targetE0EEEvT1_.num_vgpr, 0
	.set _ZN7rocprim17ROCPRIM_400000_NS6detail17trampoline_kernelINS0_14default_configENS1_27scan_by_key_config_selectorIisEEZZNS1_16scan_by_key_implILNS1_25lookback_scan_determinismE0ELb1ES3_N6thrust23THRUST_200600_302600_NS6detail15normal_iteratorINS9_10device_ptrIiEEEENSB_INSC_IsEEEESG_sNS9_4plusIvEENS9_8equal_toIvEEsEE10hipError_tPvRmT2_T3_T4_T5_mT6_T7_P12ihipStream_tbENKUlT_T0_E_clISt17integral_constantIbLb0EES10_IbLb1EEEEDaSW_SX_EUlSW_E_NS1_11comp_targetILNS1_3genE3ELNS1_11target_archE908ELNS1_3gpuE7ELNS1_3repE0EEENS1_30default_config_static_selectorELNS0_4arch9wavefront6targetE0EEEvT1_.num_agpr, 0
	.set _ZN7rocprim17ROCPRIM_400000_NS6detail17trampoline_kernelINS0_14default_configENS1_27scan_by_key_config_selectorIisEEZZNS1_16scan_by_key_implILNS1_25lookback_scan_determinismE0ELb1ES3_N6thrust23THRUST_200600_302600_NS6detail15normal_iteratorINS9_10device_ptrIiEEEENSB_INSC_IsEEEESG_sNS9_4plusIvEENS9_8equal_toIvEEsEE10hipError_tPvRmT2_T3_T4_T5_mT6_T7_P12ihipStream_tbENKUlT_T0_E_clISt17integral_constantIbLb0EES10_IbLb1EEEEDaSW_SX_EUlSW_E_NS1_11comp_targetILNS1_3genE3ELNS1_11target_archE908ELNS1_3gpuE7ELNS1_3repE0EEENS1_30default_config_static_selectorELNS0_4arch9wavefront6targetE0EEEvT1_.numbered_sgpr, 0
	.set _ZN7rocprim17ROCPRIM_400000_NS6detail17trampoline_kernelINS0_14default_configENS1_27scan_by_key_config_selectorIisEEZZNS1_16scan_by_key_implILNS1_25lookback_scan_determinismE0ELb1ES3_N6thrust23THRUST_200600_302600_NS6detail15normal_iteratorINS9_10device_ptrIiEEEENSB_INSC_IsEEEESG_sNS9_4plusIvEENS9_8equal_toIvEEsEE10hipError_tPvRmT2_T3_T4_T5_mT6_T7_P12ihipStream_tbENKUlT_T0_E_clISt17integral_constantIbLb0EES10_IbLb1EEEEDaSW_SX_EUlSW_E_NS1_11comp_targetILNS1_3genE3ELNS1_11target_archE908ELNS1_3gpuE7ELNS1_3repE0EEENS1_30default_config_static_selectorELNS0_4arch9wavefront6targetE0EEEvT1_.num_named_barrier, 0
	.set _ZN7rocprim17ROCPRIM_400000_NS6detail17trampoline_kernelINS0_14default_configENS1_27scan_by_key_config_selectorIisEEZZNS1_16scan_by_key_implILNS1_25lookback_scan_determinismE0ELb1ES3_N6thrust23THRUST_200600_302600_NS6detail15normal_iteratorINS9_10device_ptrIiEEEENSB_INSC_IsEEEESG_sNS9_4plusIvEENS9_8equal_toIvEEsEE10hipError_tPvRmT2_T3_T4_T5_mT6_T7_P12ihipStream_tbENKUlT_T0_E_clISt17integral_constantIbLb0EES10_IbLb1EEEEDaSW_SX_EUlSW_E_NS1_11comp_targetILNS1_3genE3ELNS1_11target_archE908ELNS1_3gpuE7ELNS1_3repE0EEENS1_30default_config_static_selectorELNS0_4arch9wavefront6targetE0EEEvT1_.private_seg_size, 0
	.set _ZN7rocprim17ROCPRIM_400000_NS6detail17trampoline_kernelINS0_14default_configENS1_27scan_by_key_config_selectorIisEEZZNS1_16scan_by_key_implILNS1_25lookback_scan_determinismE0ELb1ES3_N6thrust23THRUST_200600_302600_NS6detail15normal_iteratorINS9_10device_ptrIiEEEENSB_INSC_IsEEEESG_sNS9_4plusIvEENS9_8equal_toIvEEsEE10hipError_tPvRmT2_T3_T4_T5_mT6_T7_P12ihipStream_tbENKUlT_T0_E_clISt17integral_constantIbLb0EES10_IbLb1EEEEDaSW_SX_EUlSW_E_NS1_11comp_targetILNS1_3genE3ELNS1_11target_archE908ELNS1_3gpuE7ELNS1_3repE0EEENS1_30default_config_static_selectorELNS0_4arch9wavefront6targetE0EEEvT1_.uses_vcc, 0
	.set _ZN7rocprim17ROCPRIM_400000_NS6detail17trampoline_kernelINS0_14default_configENS1_27scan_by_key_config_selectorIisEEZZNS1_16scan_by_key_implILNS1_25lookback_scan_determinismE0ELb1ES3_N6thrust23THRUST_200600_302600_NS6detail15normal_iteratorINS9_10device_ptrIiEEEENSB_INSC_IsEEEESG_sNS9_4plusIvEENS9_8equal_toIvEEsEE10hipError_tPvRmT2_T3_T4_T5_mT6_T7_P12ihipStream_tbENKUlT_T0_E_clISt17integral_constantIbLb0EES10_IbLb1EEEEDaSW_SX_EUlSW_E_NS1_11comp_targetILNS1_3genE3ELNS1_11target_archE908ELNS1_3gpuE7ELNS1_3repE0EEENS1_30default_config_static_selectorELNS0_4arch9wavefront6targetE0EEEvT1_.uses_flat_scratch, 0
	.set _ZN7rocprim17ROCPRIM_400000_NS6detail17trampoline_kernelINS0_14default_configENS1_27scan_by_key_config_selectorIisEEZZNS1_16scan_by_key_implILNS1_25lookback_scan_determinismE0ELb1ES3_N6thrust23THRUST_200600_302600_NS6detail15normal_iteratorINS9_10device_ptrIiEEEENSB_INSC_IsEEEESG_sNS9_4plusIvEENS9_8equal_toIvEEsEE10hipError_tPvRmT2_T3_T4_T5_mT6_T7_P12ihipStream_tbENKUlT_T0_E_clISt17integral_constantIbLb0EES10_IbLb1EEEEDaSW_SX_EUlSW_E_NS1_11comp_targetILNS1_3genE3ELNS1_11target_archE908ELNS1_3gpuE7ELNS1_3repE0EEENS1_30default_config_static_selectorELNS0_4arch9wavefront6targetE0EEEvT1_.has_dyn_sized_stack, 0
	.set _ZN7rocprim17ROCPRIM_400000_NS6detail17trampoline_kernelINS0_14default_configENS1_27scan_by_key_config_selectorIisEEZZNS1_16scan_by_key_implILNS1_25lookback_scan_determinismE0ELb1ES3_N6thrust23THRUST_200600_302600_NS6detail15normal_iteratorINS9_10device_ptrIiEEEENSB_INSC_IsEEEESG_sNS9_4plusIvEENS9_8equal_toIvEEsEE10hipError_tPvRmT2_T3_T4_T5_mT6_T7_P12ihipStream_tbENKUlT_T0_E_clISt17integral_constantIbLb0EES10_IbLb1EEEEDaSW_SX_EUlSW_E_NS1_11comp_targetILNS1_3genE3ELNS1_11target_archE908ELNS1_3gpuE7ELNS1_3repE0EEENS1_30default_config_static_selectorELNS0_4arch9wavefront6targetE0EEEvT1_.has_recursion, 0
	.set _ZN7rocprim17ROCPRIM_400000_NS6detail17trampoline_kernelINS0_14default_configENS1_27scan_by_key_config_selectorIisEEZZNS1_16scan_by_key_implILNS1_25lookback_scan_determinismE0ELb1ES3_N6thrust23THRUST_200600_302600_NS6detail15normal_iteratorINS9_10device_ptrIiEEEENSB_INSC_IsEEEESG_sNS9_4plusIvEENS9_8equal_toIvEEsEE10hipError_tPvRmT2_T3_T4_T5_mT6_T7_P12ihipStream_tbENKUlT_T0_E_clISt17integral_constantIbLb0EES10_IbLb1EEEEDaSW_SX_EUlSW_E_NS1_11comp_targetILNS1_3genE3ELNS1_11target_archE908ELNS1_3gpuE7ELNS1_3repE0EEENS1_30default_config_static_selectorELNS0_4arch9wavefront6targetE0EEEvT1_.has_indirect_call, 0
	.section	.AMDGPU.csdata,"",@progbits
; Kernel info:
; codeLenInByte = 0
; TotalNumSgprs: 0
; NumVgprs: 0
; ScratchSize: 0
; MemoryBound: 0
; FloatMode: 240
; IeeeMode: 1
; LDSByteSize: 0 bytes/workgroup (compile time only)
; SGPRBlocks: 0
; VGPRBlocks: 0
; NumSGPRsForWavesPerEU: 1
; NumVGPRsForWavesPerEU: 1
; Occupancy: 16
; WaveLimiterHint : 0
; COMPUTE_PGM_RSRC2:SCRATCH_EN: 0
; COMPUTE_PGM_RSRC2:USER_SGPR: 6
; COMPUTE_PGM_RSRC2:TRAP_HANDLER: 0
; COMPUTE_PGM_RSRC2:TGID_X_EN: 1
; COMPUTE_PGM_RSRC2:TGID_Y_EN: 0
; COMPUTE_PGM_RSRC2:TGID_Z_EN: 0
; COMPUTE_PGM_RSRC2:TIDIG_COMP_CNT: 0
	.section	.text._ZN7rocprim17ROCPRIM_400000_NS6detail17trampoline_kernelINS0_14default_configENS1_27scan_by_key_config_selectorIisEEZZNS1_16scan_by_key_implILNS1_25lookback_scan_determinismE0ELb1ES3_N6thrust23THRUST_200600_302600_NS6detail15normal_iteratorINS9_10device_ptrIiEEEENSB_INSC_IsEEEESG_sNS9_4plusIvEENS9_8equal_toIvEEsEE10hipError_tPvRmT2_T3_T4_T5_mT6_T7_P12ihipStream_tbENKUlT_T0_E_clISt17integral_constantIbLb0EES10_IbLb1EEEEDaSW_SX_EUlSW_E_NS1_11comp_targetILNS1_3genE2ELNS1_11target_archE906ELNS1_3gpuE6ELNS1_3repE0EEENS1_30default_config_static_selectorELNS0_4arch9wavefront6targetE0EEEvT1_,"axG",@progbits,_ZN7rocprim17ROCPRIM_400000_NS6detail17trampoline_kernelINS0_14default_configENS1_27scan_by_key_config_selectorIisEEZZNS1_16scan_by_key_implILNS1_25lookback_scan_determinismE0ELb1ES3_N6thrust23THRUST_200600_302600_NS6detail15normal_iteratorINS9_10device_ptrIiEEEENSB_INSC_IsEEEESG_sNS9_4plusIvEENS9_8equal_toIvEEsEE10hipError_tPvRmT2_T3_T4_T5_mT6_T7_P12ihipStream_tbENKUlT_T0_E_clISt17integral_constantIbLb0EES10_IbLb1EEEEDaSW_SX_EUlSW_E_NS1_11comp_targetILNS1_3genE2ELNS1_11target_archE906ELNS1_3gpuE6ELNS1_3repE0EEENS1_30default_config_static_selectorELNS0_4arch9wavefront6targetE0EEEvT1_,comdat
	.protected	_ZN7rocprim17ROCPRIM_400000_NS6detail17trampoline_kernelINS0_14default_configENS1_27scan_by_key_config_selectorIisEEZZNS1_16scan_by_key_implILNS1_25lookback_scan_determinismE0ELb1ES3_N6thrust23THRUST_200600_302600_NS6detail15normal_iteratorINS9_10device_ptrIiEEEENSB_INSC_IsEEEESG_sNS9_4plusIvEENS9_8equal_toIvEEsEE10hipError_tPvRmT2_T3_T4_T5_mT6_T7_P12ihipStream_tbENKUlT_T0_E_clISt17integral_constantIbLb0EES10_IbLb1EEEEDaSW_SX_EUlSW_E_NS1_11comp_targetILNS1_3genE2ELNS1_11target_archE906ELNS1_3gpuE6ELNS1_3repE0EEENS1_30default_config_static_selectorELNS0_4arch9wavefront6targetE0EEEvT1_ ; -- Begin function _ZN7rocprim17ROCPRIM_400000_NS6detail17trampoline_kernelINS0_14default_configENS1_27scan_by_key_config_selectorIisEEZZNS1_16scan_by_key_implILNS1_25lookback_scan_determinismE0ELb1ES3_N6thrust23THRUST_200600_302600_NS6detail15normal_iteratorINS9_10device_ptrIiEEEENSB_INSC_IsEEEESG_sNS9_4plusIvEENS9_8equal_toIvEEsEE10hipError_tPvRmT2_T3_T4_T5_mT6_T7_P12ihipStream_tbENKUlT_T0_E_clISt17integral_constantIbLb0EES10_IbLb1EEEEDaSW_SX_EUlSW_E_NS1_11comp_targetILNS1_3genE2ELNS1_11target_archE906ELNS1_3gpuE6ELNS1_3repE0EEENS1_30default_config_static_selectorELNS0_4arch9wavefront6targetE0EEEvT1_
	.globl	_ZN7rocprim17ROCPRIM_400000_NS6detail17trampoline_kernelINS0_14default_configENS1_27scan_by_key_config_selectorIisEEZZNS1_16scan_by_key_implILNS1_25lookback_scan_determinismE0ELb1ES3_N6thrust23THRUST_200600_302600_NS6detail15normal_iteratorINS9_10device_ptrIiEEEENSB_INSC_IsEEEESG_sNS9_4plusIvEENS9_8equal_toIvEEsEE10hipError_tPvRmT2_T3_T4_T5_mT6_T7_P12ihipStream_tbENKUlT_T0_E_clISt17integral_constantIbLb0EES10_IbLb1EEEEDaSW_SX_EUlSW_E_NS1_11comp_targetILNS1_3genE2ELNS1_11target_archE906ELNS1_3gpuE6ELNS1_3repE0EEENS1_30default_config_static_selectorELNS0_4arch9wavefront6targetE0EEEvT1_
	.p2align	8
	.type	_ZN7rocprim17ROCPRIM_400000_NS6detail17trampoline_kernelINS0_14default_configENS1_27scan_by_key_config_selectorIisEEZZNS1_16scan_by_key_implILNS1_25lookback_scan_determinismE0ELb1ES3_N6thrust23THRUST_200600_302600_NS6detail15normal_iteratorINS9_10device_ptrIiEEEENSB_INSC_IsEEEESG_sNS9_4plusIvEENS9_8equal_toIvEEsEE10hipError_tPvRmT2_T3_T4_T5_mT6_T7_P12ihipStream_tbENKUlT_T0_E_clISt17integral_constantIbLb0EES10_IbLb1EEEEDaSW_SX_EUlSW_E_NS1_11comp_targetILNS1_3genE2ELNS1_11target_archE906ELNS1_3gpuE6ELNS1_3repE0EEENS1_30default_config_static_selectorELNS0_4arch9wavefront6targetE0EEEvT1_,@function
_ZN7rocprim17ROCPRIM_400000_NS6detail17trampoline_kernelINS0_14default_configENS1_27scan_by_key_config_selectorIisEEZZNS1_16scan_by_key_implILNS1_25lookback_scan_determinismE0ELb1ES3_N6thrust23THRUST_200600_302600_NS6detail15normal_iteratorINS9_10device_ptrIiEEEENSB_INSC_IsEEEESG_sNS9_4plusIvEENS9_8equal_toIvEEsEE10hipError_tPvRmT2_T3_T4_T5_mT6_T7_P12ihipStream_tbENKUlT_T0_E_clISt17integral_constantIbLb0EES10_IbLb1EEEEDaSW_SX_EUlSW_E_NS1_11comp_targetILNS1_3genE2ELNS1_11target_archE906ELNS1_3gpuE6ELNS1_3repE0EEENS1_30default_config_static_selectorELNS0_4arch9wavefront6targetE0EEEvT1_: ; @_ZN7rocprim17ROCPRIM_400000_NS6detail17trampoline_kernelINS0_14default_configENS1_27scan_by_key_config_selectorIisEEZZNS1_16scan_by_key_implILNS1_25lookback_scan_determinismE0ELb1ES3_N6thrust23THRUST_200600_302600_NS6detail15normal_iteratorINS9_10device_ptrIiEEEENSB_INSC_IsEEEESG_sNS9_4plusIvEENS9_8equal_toIvEEsEE10hipError_tPvRmT2_T3_T4_T5_mT6_T7_P12ihipStream_tbENKUlT_T0_E_clISt17integral_constantIbLb0EES10_IbLb1EEEEDaSW_SX_EUlSW_E_NS1_11comp_targetILNS1_3genE2ELNS1_11target_archE906ELNS1_3gpuE6ELNS1_3repE0EEENS1_30default_config_static_selectorELNS0_4arch9wavefront6targetE0EEEvT1_
; %bb.0:
	.section	.rodata,"a",@progbits
	.p2align	6, 0x0
	.amdhsa_kernel _ZN7rocprim17ROCPRIM_400000_NS6detail17trampoline_kernelINS0_14default_configENS1_27scan_by_key_config_selectorIisEEZZNS1_16scan_by_key_implILNS1_25lookback_scan_determinismE0ELb1ES3_N6thrust23THRUST_200600_302600_NS6detail15normal_iteratorINS9_10device_ptrIiEEEENSB_INSC_IsEEEESG_sNS9_4plusIvEENS9_8equal_toIvEEsEE10hipError_tPvRmT2_T3_T4_T5_mT6_T7_P12ihipStream_tbENKUlT_T0_E_clISt17integral_constantIbLb0EES10_IbLb1EEEEDaSW_SX_EUlSW_E_NS1_11comp_targetILNS1_3genE2ELNS1_11target_archE906ELNS1_3gpuE6ELNS1_3repE0EEENS1_30default_config_static_selectorELNS0_4arch9wavefront6targetE0EEEvT1_
		.amdhsa_group_segment_fixed_size 0
		.amdhsa_private_segment_fixed_size 0
		.amdhsa_kernarg_size 112
		.amdhsa_user_sgpr_count 6
		.amdhsa_user_sgpr_private_segment_buffer 1
		.amdhsa_user_sgpr_dispatch_ptr 0
		.amdhsa_user_sgpr_queue_ptr 0
		.amdhsa_user_sgpr_kernarg_segment_ptr 1
		.amdhsa_user_sgpr_dispatch_id 0
		.amdhsa_user_sgpr_flat_scratch_init 0
		.amdhsa_user_sgpr_private_segment_size 0
		.amdhsa_wavefront_size32 1
		.amdhsa_uses_dynamic_stack 0
		.amdhsa_system_sgpr_private_segment_wavefront_offset 0
		.amdhsa_system_sgpr_workgroup_id_x 1
		.amdhsa_system_sgpr_workgroup_id_y 0
		.amdhsa_system_sgpr_workgroup_id_z 0
		.amdhsa_system_sgpr_workgroup_info 0
		.amdhsa_system_vgpr_workitem_id 0
		.amdhsa_next_free_vgpr 1
		.amdhsa_next_free_sgpr 1
		.amdhsa_reserve_vcc 0
		.amdhsa_reserve_flat_scratch 0
		.amdhsa_float_round_mode_32 0
		.amdhsa_float_round_mode_16_64 0
		.amdhsa_float_denorm_mode_32 3
		.amdhsa_float_denorm_mode_16_64 3
		.amdhsa_dx10_clamp 1
		.amdhsa_ieee_mode 1
		.amdhsa_fp16_overflow 0
		.amdhsa_workgroup_processor_mode 1
		.amdhsa_memory_ordered 1
		.amdhsa_forward_progress 1
		.amdhsa_shared_vgpr_count 0
		.amdhsa_exception_fp_ieee_invalid_op 0
		.amdhsa_exception_fp_denorm_src 0
		.amdhsa_exception_fp_ieee_div_zero 0
		.amdhsa_exception_fp_ieee_overflow 0
		.amdhsa_exception_fp_ieee_underflow 0
		.amdhsa_exception_fp_ieee_inexact 0
		.amdhsa_exception_int_div_zero 0
	.end_amdhsa_kernel
	.section	.text._ZN7rocprim17ROCPRIM_400000_NS6detail17trampoline_kernelINS0_14default_configENS1_27scan_by_key_config_selectorIisEEZZNS1_16scan_by_key_implILNS1_25lookback_scan_determinismE0ELb1ES3_N6thrust23THRUST_200600_302600_NS6detail15normal_iteratorINS9_10device_ptrIiEEEENSB_INSC_IsEEEESG_sNS9_4plusIvEENS9_8equal_toIvEEsEE10hipError_tPvRmT2_T3_T4_T5_mT6_T7_P12ihipStream_tbENKUlT_T0_E_clISt17integral_constantIbLb0EES10_IbLb1EEEEDaSW_SX_EUlSW_E_NS1_11comp_targetILNS1_3genE2ELNS1_11target_archE906ELNS1_3gpuE6ELNS1_3repE0EEENS1_30default_config_static_selectorELNS0_4arch9wavefront6targetE0EEEvT1_,"axG",@progbits,_ZN7rocprim17ROCPRIM_400000_NS6detail17trampoline_kernelINS0_14default_configENS1_27scan_by_key_config_selectorIisEEZZNS1_16scan_by_key_implILNS1_25lookback_scan_determinismE0ELb1ES3_N6thrust23THRUST_200600_302600_NS6detail15normal_iteratorINS9_10device_ptrIiEEEENSB_INSC_IsEEEESG_sNS9_4plusIvEENS9_8equal_toIvEEsEE10hipError_tPvRmT2_T3_T4_T5_mT6_T7_P12ihipStream_tbENKUlT_T0_E_clISt17integral_constantIbLb0EES10_IbLb1EEEEDaSW_SX_EUlSW_E_NS1_11comp_targetILNS1_3genE2ELNS1_11target_archE906ELNS1_3gpuE6ELNS1_3repE0EEENS1_30default_config_static_selectorELNS0_4arch9wavefront6targetE0EEEvT1_,comdat
.Lfunc_end1639:
	.size	_ZN7rocprim17ROCPRIM_400000_NS6detail17trampoline_kernelINS0_14default_configENS1_27scan_by_key_config_selectorIisEEZZNS1_16scan_by_key_implILNS1_25lookback_scan_determinismE0ELb1ES3_N6thrust23THRUST_200600_302600_NS6detail15normal_iteratorINS9_10device_ptrIiEEEENSB_INSC_IsEEEESG_sNS9_4plusIvEENS9_8equal_toIvEEsEE10hipError_tPvRmT2_T3_T4_T5_mT6_T7_P12ihipStream_tbENKUlT_T0_E_clISt17integral_constantIbLb0EES10_IbLb1EEEEDaSW_SX_EUlSW_E_NS1_11comp_targetILNS1_3genE2ELNS1_11target_archE906ELNS1_3gpuE6ELNS1_3repE0EEENS1_30default_config_static_selectorELNS0_4arch9wavefront6targetE0EEEvT1_, .Lfunc_end1639-_ZN7rocprim17ROCPRIM_400000_NS6detail17trampoline_kernelINS0_14default_configENS1_27scan_by_key_config_selectorIisEEZZNS1_16scan_by_key_implILNS1_25lookback_scan_determinismE0ELb1ES3_N6thrust23THRUST_200600_302600_NS6detail15normal_iteratorINS9_10device_ptrIiEEEENSB_INSC_IsEEEESG_sNS9_4plusIvEENS9_8equal_toIvEEsEE10hipError_tPvRmT2_T3_T4_T5_mT6_T7_P12ihipStream_tbENKUlT_T0_E_clISt17integral_constantIbLb0EES10_IbLb1EEEEDaSW_SX_EUlSW_E_NS1_11comp_targetILNS1_3genE2ELNS1_11target_archE906ELNS1_3gpuE6ELNS1_3repE0EEENS1_30default_config_static_selectorELNS0_4arch9wavefront6targetE0EEEvT1_
                                        ; -- End function
	.set _ZN7rocprim17ROCPRIM_400000_NS6detail17trampoline_kernelINS0_14default_configENS1_27scan_by_key_config_selectorIisEEZZNS1_16scan_by_key_implILNS1_25lookback_scan_determinismE0ELb1ES3_N6thrust23THRUST_200600_302600_NS6detail15normal_iteratorINS9_10device_ptrIiEEEENSB_INSC_IsEEEESG_sNS9_4plusIvEENS9_8equal_toIvEEsEE10hipError_tPvRmT2_T3_T4_T5_mT6_T7_P12ihipStream_tbENKUlT_T0_E_clISt17integral_constantIbLb0EES10_IbLb1EEEEDaSW_SX_EUlSW_E_NS1_11comp_targetILNS1_3genE2ELNS1_11target_archE906ELNS1_3gpuE6ELNS1_3repE0EEENS1_30default_config_static_selectorELNS0_4arch9wavefront6targetE0EEEvT1_.num_vgpr, 0
	.set _ZN7rocprim17ROCPRIM_400000_NS6detail17trampoline_kernelINS0_14default_configENS1_27scan_by_key_config_selectorIisEEZZNS1_16scan_by_key_implILNS1_25lookback_scan_determinismE0ELb1ES3_N6thrust23THRUST_200600_302600_NS6detail15normal_iteratorINS9_10device_ptrIiEEEENSB_INSC_IsEEEESG_sNS9_4plusIvEENS9_8equal_toIvEEsEE10hipError_tPvRmT2_T3_T4_T5_mT6_T7_P12ihipStream_tbENKUlT_T0_E_clISt17integral_constantIbLb0EES10_IbLb1EEEEDaSW_SX_EUlSW_E_NS1_11comp_targetILNS1_3genE2ELNS1_11target_archE906ELNS1_3gpuE6ELNS1_3repE0EEENS1_30default_config_static_selectorELNS0_4arch9wavefront6targetE0EEEvT1_.num_agpr, 0
	.set _ZN7rocprim17ROCPRIM_400000_NS6detail17trampoline_kernelINS0_14default_configENS1_27scan_by_key_config_selectorIisEEZZNS1_16scan_by_key_implILNS1_25lookback_scan_determinismE0ELb1ES3_N6thrust23THRUST_200600_302600_NS6detail15normal_iteratorINS9_10device_ptrIiEEEENSB_INSC_IsEEEESG_sNS9_4plusIvEENS9_8equal_toIvEEsEE10hipError_tPvRmT2_T3_T4_T5_mT6_T7_P12ihipStream_tbENKUlT_T0_E_clISt17integral_constantIbLb0EES10_IbLb1EEEEDaSW_SX_EUlSW_E_NS1_11comp_targetILNS1_3genE2ELNS1_11target_archE906ELNS1_3gpuE6ELNS1_3repE0EEENS1_30default_config_static_selectorELNS0_4arch9wavefront6targetE0EEEvT1_.numbered_sgpr, 0
	.set _ZN7rocprim17ROCPRIM_400000_NS6detail17trampoline_kernelINS0_14default_configENS1_27scan_by_key_config_selectorIisEEZZNS1_16scan_by_key_implILNS1_25lookback_scan_determinismE0ELb1ES3_N6thrust23THRUST_200600_302600_NS6detail15normal_iteratorINS9_10device_ptrIiEEEENSB_INSC_IsEEEESG_sNS9_4plusIvEENS9_8equal_toIvEEsEE10hipError_tPvRmT2_T3_T4_T5_mT6_T7_P12ihipStream_tbENKUlT_T0_E_clISt17integral_constantIbLb0EES10_IbLb1EEEEDaSW_SX_EUlSW_E_NS1_11comp_targetILNS1_3genE2ELNS1_11target_archE906ELNS1_3gpuE6ELNS1_3repE0EEENS1_30default_config_static_selectorELNS0_4arch9wavefront6targetE0EEEvT1_.num_named_barrier, 0
	.set _ZN7rocprim17ROCPRIM_400000_NS6detail17trampoline_kernelINS0_14default_configENS1_27scan_by_key_config_selectorIisEEZZNS1_16scan_by_key_implILNS1_25lookback_scan_determinismE0ELb1ES3_N6thrust23THRUST_200600_302600_NS6detail15normal_iteratorINS9_10device_ptrIiEEEENSB_INSC_IsEEEESG_sNS9_4plusIvEENS9_8equal_toIvEEsEE10hipError_tPvRmT2_T3_T4_T5_mT6_T7_P12ihipStream_tbENKUlT_T0_E_clISt17integral_constantIbLb0EES10_IbLb1EEEEDaSW_SX_EUlSW_E_NS1_11comp_targetILNS1_3genE2ELNS1_11target_archE906ELNS1_3gpuE6ELNS1_3repE0EEENS1_30default_config_static_selectorELNS0_4arch9wavefront6targetE0EEEvT1_.private_seg_size, 0
	.set _ZN7rocprim17ROCPRIM_400000_NS6detail17trampoline_kernelINS0_14default_configENS1_27scan_by_key_config_selectorIisEEZZNS1_16scan_by_key_implILNS1_25lookback_scan_determinismE0ELb1ES3_N6thrust23THRUST_200600_302600_NS6detail15normal_iteratorINS9_10device_ptrIiEEEENSB_INSC_IsEEEESG_sNS9_4plusIvEENS9_8equal_toIvEEsEE10hipError_tPvRmT2_T3_T4_T5_mT6_T7_P12ihipStream_tbENKUlT_T0_E_clISt17integral_constantIbLb0EES10_IbLb1EEEEDaSW_SX_EUlSW_E_NS1_11comp_targetILNS1_3genE2ELNS1_11target_archE906ELNS1_3gpuE6ELNS1_3repE0EEENS1_30default_config_static_selectorELNS0_4arch9wavefront6targetE0EEEvT1_.uses_vcc, 0
	.set _ZN7rocprim17ROCPRIM_400000_NS6detail17trampoline_kernelINS0_14default_configENS1_27scan_by_key_config_selectorIisEEZZNS1_16scan_by_key_implILNS1_25lookback_scan_determinismE0ELb1ES3_N6thrust23THRUST_200600_302600_NS6detail15normal_iteratorINS9_10device_ptrIiEEEENSB_INSC_IsEEEESG_sNS9_4plusIvEENS9_8equal_toIvEEsEE10hipError_tPvRmT2_T3_T4_T5_mT6_T7_P12ihipStream_tbENKUlT_T0_E_clISt17integral_constantIbLb0EES10_IbLb1EEEEDaSW_SX_EUlSW_E_NS1_11comp_targetILNS1_3genE2ELNS1_11target_archE906ELNS1_3gpuE6ELNS1_3repE0EEENS1_30default_config_static_selectorELNS0_4arch9wavefront6targetE0EEEvT1_.uses_flat_scratch, 0
	.set _ZN7rocprim17ROCPRIM_400000_NS6detail17trampoline_kernelINS0_14default_configENS1_27scan_by_key_config_selectorIisEEZZNS1_16scan_by_key_implILNS1_25lookback_scan_determinismE0ELb1ES3_N6thrust23THRUST_200600_302600_NS6detail15normal_iteratorINS9_10device_ptrIiEEEENSB_INSC_IsEEEESG_sNS9_4plusIvEENS9_8equal_toIvEEsEE10hipError_tPvRmT2_T3_T4_T5_mT6_T7_P12ihipStream_tbENKUlT_T0_E_clISt17integral_constantIbLb0EES10_IbLb1EEEEDaSW_SX_EUlSW_E_NS1_11comp_targetILNS1_3genE2ELNS1_11target_archE906ELNS1_3gpuE6ELNS1_3repE0EEENS1_30default_config_static_selectorELNS0_4arch9wavefront6targetE0EEEvT1_.has_dyn_sized_stack, 0
	.set _ZN7rocprim17ROCPRIM_400000_NS6detail17trampoline_kernelINS0_14default_configENS1_27scan_by_key_config_selectorIisEEZZNS1_16scan_by_key_implILNS1_25lookback_scan_determinismE0ELb1ES3_N6thrust23THRUST_200600_302600_NS6detail15normal_iteratorINS9_10device_ptrIiEEEENSB_INSC_IsEEEESG_sNS9_4plusIvEENS9_8equal_toIvEEsEE10hipError_tPvRmT2_T3_T4_T5_mT6_T7_P12ihipStream_tbENKUlT_T0_E_clISt17integral_constantIbLb0EES10_IbLb1EEEEDaSW_SX_EUlSW_E_NS1_11comp_targetILNS1_3genE2ELNS1_11target_archE906ELNS1_3gpuE6ELNS1_3repE0EEENS1_30default_config_static_selectorELNS0_4arch9wavefront6targetE0EEEvT1_.has_recursion, 0
	.set _ZN7rocprim17ROCPRIM_400000_NS6detail17trampoline_kernelINS0_14default_configENS1_27scan_by_key_config_selectorIisEEZZNS1_16scan_by_key_implILNS1_25lookback_scan_determinismE0ELb1ES3_N6thrust23THRUST_200600_302600_NS6detail15normal_iteratorINS9_10device_ptrIiEEEENSB_INSC_IsEEEESG_sNS9_4plusIvEENS9_8equal_toIvEEsEE10hipError_tPvRmT2_T3_T4_T5_mT6_T7_P12ihipStream_tbENKUlT_T0_E_clISt17integral_constantIbLb0EES10_IbLb1EEEEDaSW_SX_EUlSW_E_NS1_11comp_targetILNS1_3genE2ELNS1_11target_archE906ELNS1_3gpuE6ELNS1_3repE0EEENS1_30default_config_static_selectorELNS0_4arch9wavefront6targetE0EEEvT1_.has_indirect_call, 0
	.section	.AMDGPU.csdata,"",@progbits
; Kernel info:
; codeLenInByte = 0
; TotalNumSgprs: 0
; NumVgprs: 0
; ScratchSize: 0
; MemoryBound: 0
; FloatMode: 240
; IeeeMode: 1
; LDSByteSize: 0 bytes/workgroup (compile time only)
; SGPRBlocks: 0
; VGPRBlocks: 0
; NumSGPRsForWavesPerEU: 1
; NumVGPRsForWavesPerEU: 1
; Occupancy: 16
; WaveLimiterHint : 0
; COMPUTE_PGM_RSRC2:SCRATCH_EN: 0
; COMPUTE_PGM_RSRC2:USER_SGPR: 6
; COMPUTE_PGM_RSRC2:TRAP_HANDLER: 0
; COMPUTE_PGM_RSRC2:TGID_X_EN: 1
; COMPUTE_PGM_RSRC2:TGID_Y_EN: 0
; COMPUTE_PGM_RSRC2:TGID_Z_EN: 0
; COMPUTE_PGM_RSRC2:TIDIG_COMP_CNT: 0
	.section	.text._ZN7rocprim17ROCPRIM_400000_NS6detail17trampoline_kernelINS0_14default_configENS1_27scan_by_key_config_selectorIisEEZZNS1_16scan_by_key_implILNS1_25lookback_scan_determinismE0ELb1ES3_N6thrust23THRUST_200600_302600_NS6detail15normal_iteratorINS9_10device_ptrIiEEEENSB_INSC_IsEEEESG_sNS9_4plusIvEENS9_8equal_toIvEEsEE10hipError_tPvRmT2_T3_T4_T5_mT6_T7_P12ihipStream_tbENKUlT_T0_E_clISt17integral_constantIbLb0EES10_IbLb1EEEEDaSW_SX_EUlSW_E_NS1_11comp_targetILNS1_3genE10ELNS1_11target_archE1200ELNS1_3gpuE4ELNS1_3repE0EEENS1_30default_config_static_selectorELNS0_4arch9wavefront6targetE0EEEvT1_,"axG",@progbits,_ZN7rocprim17ROCPRIM_400000_NS6detail17trampoline_kernelINS0_14default_configENS1_27scan_by_key_config_selectorIisEEZZNS1_16scan_by_key_implILNS1_25lookback_scan_determinismE0ELb1ES3_N6thrust23THRUST_200600_302600_NS6detail15normal_iteratorINS9_10device_ptrIiEEEENSB_INSC_IsEEEESG_sNS9_4plusIvEENS9_8equal_toIvEEsEE10hipError_tPvRmT2_T3_T4_T5_mT6_T7_P12ihipStream_tbENKUlT_T0_E_clISt17integral_constantIbLb0EES10_IbLb1EEEEDaSW_SX_EUlSW_E_NS1_11comp_targetILNS1_3genE10ELNS1_11target_archE1200ELNS1_3gpuE4ELNS1_3repE0EEENS1_30default_config_static_selectorELNS0_4arch9wavefront6targetE0EEEvT1_,comdat
	.protected	_ZN7rocprim17ROCPRIM_400000_NS6detail17trampoline_kernelINS0_14default_configENS1_27scan_by_key_config_selectorIisEEZZNS1_16scan_by_key_implILNS1_25lookback_scan_determinismE0ELb1ES3_N6thrust23THRUST_200600_302600_NS6detail15normal_iteratorINS9_10device_ptrIiEEEENSB_INSC_IsEEEESG_sNS9_4plusIvEENS9_8equal_toIvEEsEE10hipError_tPvRmT2_T3_T4_T5_mT6_T7_P12ihipStream_tbENKUlT_T0_E_clISt17integral_constantIbLb0EES10_IbLb1EEEEDaSW_SX_EUlSW_E_NS1_11comp_targetILNS1_3genE10ELNS1_11target_archE1200ELNS1_3gpuE4ELNS1_3repE0EEENS1_30default_config_static_selectorELNS0_4arch9wavefront6targetE0EEEvT1_ ; -- Begin function _ZN7rocprim17ROCPRIM_400000_NS6detail17trampoline_kernelINS0_14default_configENS1_27scan_by_key_config_selectorIisEEZZNS1_16scan_by_key_implILNS1_25lookback_scan_determinismE0ELb1ES3_N6thrust23THRUST_200600_302600_NS6detail15normal_iteratorINS9_10device_ptrIiEEEENSB_INSC_IsEEEESG_sNS9_4plusIvEENS9_8equal_toIvEEsEE10hipError_tPvRmT2_T3_T4_T5_mT6_T7_P12ihipStream_tbENKUlT_T0_E_clISt17integral_constantIbLb0EES10_IbLb1EEEEDaSW_SX_EUlSW_E_NS1_11comp_targetILNS1_3genE10ELNS1_11target_archE1200ELNS1_3gpuE4ELNS1_3repE0EEENS1_30default_config_static_selectorELNS0_4arch9wavefront6targetE0EEEvT1_
	.globl	_ZN7rocprim17ROCPRIM_400000_NS6detail17trampoline_kernelINS0_14default_configENS1_27scan_by_key_config_selectorIisEEZZNS1_16scan_by_key_implILNS1_25lookback_scan_determinismE0ELb1ES3_N6thrust23THRUST_200600_302600_NS6detail15normal_iteratorINS9_10device_ptrIiEEEENSB_INSC_IsEEEESG_sNS9_4plusIvEENS9_8equal_toIvEEsEE10hipError_tPvRmT2_T3_T4_T5_mT6_T7_P12ihipStream_tbENKUlT_T0_E_clISt17integral_constantIbLb0EES10_IbLb1EEEEDaSW_SX_EUlSW_E_NS1_11comp_targetILNS1_3genE10ELNS1_11target_archE1200ELNS1_3gpuE4ELNS1_3repE0EEENS1_30default_config_static_selectorELNS0_4arch9wavefront6targetE0EEEvT1_
	.p2align	8
	.type	_ZN7rocprim17ROCPRIM_400000_NS6detail17trampoline_kernelINS0_14default_configENS1_27scan_by_key_config_selectorIisEEZZNS1_16scan_by_key_implILNS1_25lookback_scan_determinismE0ELb1ES3_N6thrust23THRUST_200600_302600_NS6detail15normal_iteratorINS9_10device_ptrIiEEEENSB_INSC_IsEEEESG_sNS9_4plusIvEENS9_8equal_toIvEEsEE10hipError_tPvRmT2_T3_T4_T5_mT6_T7_P12ihipStream_tbENKUlT_T0_E_clISt17integral_constantIbLb0EES10_IbLb1EEEEDaSW_SX_EUlSW_E_NS1_11comp_targetILNS1_3genE10ELNS1_11target_archE1200ELNS1_3gpuE4ELNS1_3repE0EEENS1_30default_config_static_selectorELNS0_4arch9wavefront6targetE0EEEvT1_,@function
_ZN7rocprim17ROCPRIM_400000_NS6detail17trampoline_kernelINS0_14default_configENS1_27scan_by_key_config_selectorIisEEZZNS1_16scan_by_key_implILNS1_25lookback_scan_determinismE0ELb1ES3_N6thrust23THRUST_200600_302600_NS6detail15normal_iteratorINS9_10device_ptrIiEEEENSB_INSC_IsEEEESG_sNS9_4plusIvEENS9_8equal_toIvEEsEE10hipError_tPvRmT2_T3_T4_T5_mT6_T7_P12ihipStream_tbENKUlT_T0_E_clISt17integral_constantIbLb0EES10_IbLb1EEEEDaSW_SX_EUlSW_E_NS1_11comp_targetILNS1_3genE10ELNS1_11target_archE1200ELNS1_3gpuE4ELNS1_3repE0EEENS1_30default_config_static_selectorELNS0_4arch9wavefront6targetE0EEEvT1_: ; @_ZN7rocprim17ROCPRIM_400000_NS6detail17trampoline_kernelINS0_14default_configENS1_27scan_by_key_config_selectorIisEEZZNS1_16scan_by_key_implILNS1_25lookback_scan_determinismE0ELb1ES3_N6thrust23THRUST_200600_302600_NS6detail15normal_iteratorINS9_10device_ptrIiEEEENSB_INSC_IsEEEESG_sNS9_4plusIvEENS9_8equal_toIvEEsEE10hipError_tPvRmT2_T3_T4_T5_mT6_T7_P12ihipStream_tbENKUlT_T0_E_clISt17integral_constantIbLb0EES10_IbLb1EEEEDaSW_SX_EUlSW_E_NS1_11comp_targetILNS1_3genE10ELNS1_11target_archE1200ELNS1_3gpuE4ELNS1_3repE0EEENS1_30default_config_static_selectorELNS0_4arch9wavefront6targetE0EEEvT1_
; %bb.0:
	.section	.rodata,"a",@progbits
	.p2align	6, 0x0
	.amdhsa_kernel _ZN7rocprim17ROCPRIM_400000_NS6detail17trampoline_kernelINS0_14default_configENS1_27scan_by_key_config_selectorIisEEZZNS1_16scan_by_key_implILNS1_25lookback_scan_determinismE0ELb1ES3_N6thrust23THRUST_200600_302600_NS6detail15normal_iteratorINS9_10device_ptrIiEEEENSB_INSC_IsEEEESG_sNS9_4plusIvEENS9_8equal_toIvEEsEE10hipError_tPvRmT2_T3_T4_T5_mT6_T7_P12ihipStream_tbENKUlT_T0_E_clISt17integral_constantIbLb0EES10_IbLb1EEEEDaSW_SX_EUlSW_E_NS1_11comp_targetILNS1_3genE10ELNS1_11target_archE1200ELNS1_3gpuE4ELNS1_3repE0EEENS1_30default_config_static_selectorELNS0_4arch9wavefront6targetE0EEEvT1_
		.amdhsa_group_segment_fixed_size 0
		.amdhsa_private_segment_fixed_size 0
		.amdhsa_kernarg_size 112
		.amdhsa_user_sgpr_count 6
		.amdhsa_user_sgpr_private_segment_buffer 1
		.amdhsa_user_sgpr_dispatch_ptr 0
		.amdhsa_user_sgpr_queue_ptr 0
		.amdhsa_user_sgpr_kernarg_segment_ptr 1
		.amdhsa_user_sgpr_dispatch_id 0
		.amdhsa_user_sgpr_flat_scratch_init 0
		.amdhsa_user_sgpr_private_segment_size 0
		.amdhsa_wavefront_size32 1
		.amdhsa_uses_dynamic_stack 0
		.amdhsa_system_sgpr_private_segment_wavefront_offset 0
		.amdhsa_system_sgpr_workgroup_id_x 1
		.amdhsa_system_sgpr_workgroup_id_y 0
		.amdhsa_system_sgpr_workgroup_id_z 0
		.amdhsa_system_sgpr_workgroup_info 0
		.amdhsa_system_vgpr_workitem_id 0
		.amdhsa_next_free_vgpr 1
		.amdhsa_next_free_sgpr 1
		.amdhsa_reserve_vcc 0
		.amdhsa_reserve_flat_scratch 0
		.amdhsa_float_round_mode_32 0
		.amdhsa_float_round_mode_16_64 0
		.amdhsa_float_denorm_mode_32 3
		.amdhsa_float_denorm_mode_16_64 3
		.amdhsa_dx10_clamp 1
		.amdhsa_ieee_mode 1
		.amdhsa_fp16_overflow 0
		.amdhsa_workgroup_processor_mode 1
		.amdhsa_memory_ordered 1
		.amdhsa_forward_progress 1
		.amdhsa_shared_vgpr_count 0
		.amdhsa_exception_fp_ieee_invalid_op 0
		.amdhsa_exception_fp_denorm_src 0
		.amdhsa_exception_fp_ieee_div_zero 0
		.amdhsa_exception_fp_ieee_overflow 0
		.amdhsa_exception_fp_ieee_underflow 0
		.amdhsa_exception_fp_ieee_inexact 0
		.amdhsa_exception_int_div_zero 0
	.end_amdhsa_kernel
	.section	.text._ZN7rocprim17ROCPRIM_400000_NS6detail17trampoline_kernelINS0_14default_configENS1_27scan_by_key_config_selectorIisEEZZNS1_16scan_by_key_implILNS1_25lookback_scan_determinismE0ELb1ES3_N6thrust23THRUST_200600_302600_NS6detail15normal_iteratorINS9_10device_ptrIiEEEENSB_INSC_IsEEEESG_sNS9_4plusIvEENS9_8equal_toIvEEsEE10hipError_tPvRmT2_T3_T4_T5_mT6_T7_P12ihipStream_tbENKUlT_T0_E_clISt17integral_constantIbLb0EES10_IbLb1EEEEDaSW_SX_EUlSW_E_NS1_11comp_targetILNS1_3genE10ELNS1_11target_archE1200ELNS1_3gpuE4ELNS1_3repE0EEENS1_30default_config_static_selectorELNS0_4arch9wavefront6targetE0EEEvT1_,"axG",@progbits,_ZN7rocprim17ROCPRIM_400000_NS6detail17trampoline_kernelINS0_14default_configENS1_27scan_by_key_config_selectorIisEEZZNS1_16scan_by_key_implILNS1_25lookback_scan_determinismE0ELb1ES3_N6thrust23THRUST_200600_302600_NS6detail15normal_iteratorINS9_10device_ptrIiEEEENSB_INSC_IsEEEESG_sNS9_4plusIvEENS9_8equal_toIvEEsEE10hipError_tPvRmT2_T3_T4_T5_mT6_T7_P12ihipStream_tbENKUlT_T0_E_clISt17integral_constantIbLb0EES10_IbLb1EEEEDaSW_SX_EUlSW_E_NS1_11comp_targetILNS1_3genE10ELNS1_11target_archE1200ELNS1_3gpuE4ELNS1_3repE0EEENS1_30default_config_static_selectorELNS0_4arch9wavefront6targetE0EEEvT1_,comdat
.Lfunc_end1640:
	.size	_ZN7rocprim17ROCPRIM_400000_NS6detail17trampoline_kernelINS0_14default_configENS1_27scan_by_key_config_selectorIisEEZZNS1_16scan_by_key_implILNS1_25lookback_scan_determinismE0ELb1ES3_N6thrust23THRUST_200600_302600_NS6detail15normal_iteratorINS9_10device_ptrIiEEEENSB_INSC_IsEEEESG_sNS9_4plusIvEENS9_8equal_toIvEEsEE10hipError_tPvRmT2_T3_T4_T5_mT6_T7_P12ihipStream_tbENKUlT_T0_E_clISt17integral_constantIbLb0EES10_IbLb1EEEEDaSW_SX_EUlSW_E_NS1_11comp_targetILNS1_3genE10ELNS1_11target_archE1200ELNS1_3gpuE4ELNS1_3repE0EEENS1_30default_config_static_selectorELNS0_4arch9wavefront6targetE0EEEvT1_, .Lfunc_end1640-_ZN7rocprim17ROCPRIM_400000_NS6detail17trampoline_kernelINS0_14default_configENS1_27scan_by_key_config_selectorIisEEZZNS1_16scan_by_key_implILNS1_25lookback_scan_determinismE0ELb1ES3_N6thrust23THRUST_200600_302600_NS6detail15normal_iteratorINS9_10device_ptrIiEEEENSB_INSC_IsEEEESG_sNS9_4plusIvEENS9_8equal_toIvEEsEE10hipError_tPvRmT2_T3_T4_T5_mT6_T7_P12ihipStream_tbENKUlT_T0_E_clISt17integral_constantIbLb0EES10_IbLb1EEEEDaSW_SX_EUlSW_E_NS1_11comp_targetILNS1_3genE10ELNS1_11target_archE1200ELNS1_3gpuE4ELNS1_3repE0EEENS1_30default_config_static_selectorELNS0_4arch9wavefront6targetE0EEEvT1_
                                        ; -- End function
	.set _ZN7rocprim17ROCPRIM_400000_NS6detail17trampoline_kernelINS0_14default_configENS1_27scan_by_key_config_selectorIisEEZZNS1_16scan_by_key_implILNS1_25lookback_scan_determinismE0ELb1ES3_N6thrust23THRUST_200600_302600_NS6detail15normal_iteratorINS9_10device_ptrIiEEEENSB_INSC_IsEEEESG_sNS9_4plusIvEENS9_8equal_toIvEEsEE10hipError_tPvRmT2_T3_T4_T5_mT6_T7_P12ihipStream_tbENKUlT_T0_E_clISt17integral_constantIbLb0EES10_IbLb1EEEEDaSW_SX_EUlSW_E_NS1_11comp_targetILNS1_3genE10ELNS1_11target_archE1200ELNS1_3gpuE4ELNS1_3repE0EEENS1_30default_config_static_selectorELNS0_4arch9wavefront6targetE0EEEvT1_.num_vgpr, 0
	.set _ZN7rocprim17ROCPRIM_400000_NS6detail17trampoline_kernelINS0_14default_configENS1_27scan_by_key_config_selectorIisEEZZNS1_16scan_by_key_implILNS1_25lookback_scan_determinismE0ELb1ES3_N6thrust23THRUST_200600_302600_NS6detail15normal_iteratorINS9_10device_ptrIiEEEENSB_INSC_IsEEEESG_sNS9_4plusIvEENS9_8equal_toIvEEsEE10hipError_tPvRmT2_T3_T4_T5_mT6_T7_P12ihipStream_tbENKUlT_T0_E_clISt17integral_constantIbLb0EES10_IbLb1EEEEDaSW_SX_EUlSW_E_NS1_11comp_targetILNS1_3genE10ELNS1_11target_archE1200ELNS1_3gpuE4ELNS1_3repE0EEENS1_30default_config_static_selectorELNS0_4arch9wavefront6targetE0EEEvT1_.num_agpr, 0
	.set _ZN7rocprim17ROCPRIM_400000_NS6detail17trampoline_kernelINS0_14default_configENS1_27scan_by_key_config_selectorIisEEZZNS1_16scan_by_key_implILNS1_25lookback_scan_determinismE0ELb1ES3_N6thrust23THRUST_200600_302600_NS6detail15normal_iteratorINS9_10device_ptrIiEEEENSB_INSC_IsEEEESG_sNS9_4plusIvEENS9_8equal_toIvEEsEE10hipError_tPvRmT2_T3_T4_T5_mT6_T7_P12ihipStream_tbENKUlT_T0_E_clISt17integral_constantIbLb0EES10_IbLb1EEEEDaSW_SX_EUlSW_E_NS1_11comp_targetILNS1_3genE10ELNS1_11target_archE1200ELNS1_3gpuE4ELNS1_3repE0EEENS1_30default_config_static_selectorELNS0_4arch9wavefront6targetE0EEEvT1_.numbered_sgpr, 0
	.set _ZN7rocprim17ROCPRIM_400000_NS6detail17trampoline_kernelINS0_14default_configENS1_27scan_by_key_config_selectorIisEEZZNS1_16scan_by_key_implILNS1_25lookback_scan_determinismE0ELb1ES3_N6thrust23THRUST_200600_302600_NS6detail15normal_iteratorINS9_10device_ptrIiEEEENSB_INSC_IsEEEESG_sNS9_4plusIvEENS9_8equal_toIvEEsEE10hipError_tPvRmT2_T3_T4_T5_mT6_T7_P12ihipStream_tbENKUlT_T0_E_clISt17integral_constantIbLb0EES10_IbLb1EEEEDaSW_SX_EUlSW_E_NS1_11comp_targetILNS1_3genE10ELNS1_11target_archE1200ELNS1_3gpuE4ELNS1_3repE0EEENS1_30default_config_static_selectorELNS0_4arch9wavefront6targetE0EEEvT1_.num_named_barrier, 0
	.set _ZN7rocprim17ROCPRIM_400000_NS6detail17trampoline_kernelINS0_14default_configENS1_27scan_by_key_config_selectorIisEEZZNS1_16scan_by_key_implILNS1_25lookback_scan_determinismE0ELb1ES3_N6thrust23THRUST_200600_302600_NS6detail15normal_iteratorINS9_10device_ptrIiEEEENSB_INSC_IsEEEESG_sNS9_4plusIvEENS9_8equal_toIvEEsEE10hipError_tPvRmT2_T3_T4_T5_mT6_T7_P12ihipStream_tbENKUlT_T0_E_clISt17integral_constantIbLb0EES10_IbLb1EEEEDaSW_SX_EUlSW_E_NS1_11comp_targetILNS1_3genE10ELNS1_11target_archE1200ELNS1_3gpuE4ELNS1_3repE0EEENS1_30default_config_static_selectorELNS0_4arch9wavefront6targetE0EEEvT1_.private_seg_size, 0
	.set _ZN7rocprim17ROCPRIM_400000_NS6detail17trampoline_kernelINS0_14default_configENS1_27scan_by_key_config_selectorIisEEZZNS1_16scan_by_key_implILNS1_25lookback_scan_determinismE0ELb1ES3_N6thrust23THRUST_200600_302600_NS6detail15normal_iteratorINS9_10device_ptrIiEEEENSB_INSC_IsEEEESG_sNS9_4plusIvEENS9_8equal_toIvEEsEE10hipError_tPvRmT2_T3_T4_T5_mT6_T7_P12ihipStream_tbENKUlT_T0_E_clISt17integral_constantIbLb0EES10_IbLb1EEEEDaSW_SX_EUlSW_E_NS1_11comp_targetILNS1_3genE10ELNS1_11target_archE1200ELNS1_3gpuE4ELNS1_3repE0EEENS1_30default_config_static_selectorELNS0_4arch9wavefront6targetE0EEEvT1_.uses_vcc, 0
	.set _ZN7rocprim17ROCPRIM_400000_NS6detail17trampoline_kernelINS0_14default_configENS1_27scan_by_key_config_selectorIisEEZZNS1_16scan_by_key_implILNS1_25lookback_scan_determinismE0ELb1ES3_N6thrust23THRUST_200600_302600_NS6detail15normal_iteratorINS9_10device_ptrIiEEEENSB_INSC_IsEEEESG_sNS9_4plusIvEENS9_8equal_toIvEEsEE10hipError_tPvRmT2_T3_T4_T5_mT6_T7_P12ihipStream_tbENKUlT_T0_E_clISt17integral_constantIbLb0EES10_IbLb1EEEEDaSW_SX_EUlSW_E_NS1_11comp_targetILNS1_3genE10ELNS1_11target_archE1200ELNS1_3gpuE4ELNS1_3repE0EEENS1_30default_config_static_selectorELNS0_4arch9wavefront6targetE0EEEvT1_.uses_flat_scratch, 0
	.set _ZN7rocprim17ROCPRIM_400000_NS6detail17trampoline_kernelINS0_14default_configENS1_27scan_by_key_config_selectorIisEEZZNS1_16scan_by_key_implILNS1_25lookback_scan_determinismE0ELb1ES3_N6thrust23THRUST_200600_302600_NS6detail15normal_iteratorINS9_10device_ptrIiEEEENSB_INSC_IsEEEESG_sNS9_4plusIvEENS9_8equal_toIvEEsEE10hipError_tPvRmT2_T3_T4_T5_mT6_T7_P12ihipStream_tbENKUlT_T0_E_clISt17integral_constantIbLb0EES10_IbLb1EEEEDaSW_SX_EUlSW_E_NS1_11comp_targetILNS1_3genE10ELNS1_11target_archE1200ELNS1_3gpuE4ELNS1_3repE0EEENS1_30default_config_static_selectorELNS0_4arch9wavefront6targetE0EEEvT1_.has_dyn_sized_stack, 0
	.set _ZN7rocprim17ROCPRIM_400000_NS6detail17trampoline_kernelINS0_14default_configENS1_27scan_by_key_config_selectorIisEEZZNS1_16scan_by_key_implILNS1_25lookback_scan_determinismE0ELb1ES3_N6thrust23THRUST_200600_302600_NS6detail15normal_iteratorINS9_10device_ptrIiEEEENSB_INSC_IsEEEESG_sNS9_4plusIvEENS9_8equal_toIvEEsEE10hipError_tPvRmT2_T3_T4_T5_mT6_T7_P12ihipStream_tbENKUlT_T0_E_clISt17integral_constantIbLb0EES10_IbLb1EEEEDaSW_SX_EUlSW_E_NS1_11comp_targetILNS1_3genE10ELNS1_11target_archE1200ELNS1_3gpuE4ELNS1_3repE0EEENS1_30default_config_static_selectorELNS0_4arch9wavefront6targetE0EEEvT1_.has_recursion, 0
	.set _ZN7rocprim17ROCPRIM_400000_NS6detail17trampoline_kernelINS0_14default_configENS1_27scan_by_key_config_selectorIisEEZZNS1_16scan_by_key_implILNS1_25lookback_scan_determinismE0ELb1ES3_N6thrust23THRUST_200600_302600_NS6detail15normal_iteratorINS9_10device_ptrIiEEEENSB_INSC_IsEEEESG_sNS9_4plusIvEENS9_8equal_toIvEEsEE10hipError_tPvRmT2_T3_T4_T5_mT6_T7_P12ihipStream_tbENKUlT_T0_E_clISt17integral_constantIbLb0EES10_IbLb1EEEEDaSW_SX_EUlSW_E_NS1_11comp_targetILNS1_3genE10ELNS1_11target_archE1200ELNS1_3gpuE4ELNS1_3repE0EEENS1_30default_config_static_selectorELNS0_4arch9wavefront6targetE0EEEvT1_.has_indirect_call, 0
	.section	.AMDGPU.csdata,"",@progbits
; Kernel info:
; codeLenInByte = 0
; TotalNumSgprs: 0
; NumVgprs: 0
; ScratchSize: 0
; MemoryBound: 0
; FloatMode: 240
; IeeeMode: 1
; LDSByteSize: 0 bytes/workgroup (compile time only)
; SGPRBlocks: 0
; VGPRBlocks: 0
; NumSGPRsForWavesPerEU: 1
; NumVGPRsForWavesPerEU: 1
; Occupancy: 16
; WaveLimiterHint : 0
; COMPUTE_PGM_RSRC2:SCRATCH_EN: 0
; COMPUTE_PGM_RSRC2:USER_SGPR: 6
; COMPUTE_PGM_RSRC2:TRAP_HANDLER: 0
; COMPUTE_PGM_RSRC2:TGID_X_EN: 1
; COMPUTE_PGM_RSRC2:TGID_Y_EN: 0
; COMPUTE_PGM_RSRC2:TGID_Z_EN: 0
; COMPUTE_PGM_RSRC2:TIDIG_COMP_CNT: 0
	.section	.text._ZN7rocprim17ROCPRIM_400000_NS6detail17trampoline_kernelINS0_14default_configENS1_27scan_by_key_config_selectorIisEEZZNS1_16scan_by_key_implILNS1_25lookback_scan_determinismE0ELb1ES3_N6thrust23THRUST_200600_302600_NS6detail15normal_iteratorINS9_10device_ptrIiEEEENSB_INSC_IsEEEESG_sNS9_4plusIvEENS9_8equal_toIvEEsEE10hipError_tPvRmT2_T3_T4_T5_mT6_T7_P12ihipStream_tbENKUlT_T0_E_clISt17integral_constantIbLb0EES10_IbLb1EEEEDaSW_SX_EUlSW_E_NS1_11comp_targetILNS1_3genE9ELNS1_11target_archE1100ELNS1_3gpuE3ELNS1_3repE0EEENS1_30default_config_static_selectorELNS0_4arch9wavefront6targetE0EEEvT1_,"axG",@progbits,_ZN7rocprim17ROCPRIM_400000_NS6detail17trampoline_kernelINS0_14default_configENS1_27scan_by_key_config_selectorIisEEZZNS1_16scan_by_key_implILNS1_25lookback_scan_determinismE0ELb1ES3_N6thrust23THRUST_200600_302600_NS6detail15normal_iteratorINS9_10device_ptrIiEEEENSB_INSC_IsEEEESG_sNS9_4plusIvEENS9_8equal_toIvEEsEE10hipError_tPvRmT2_T3_T4_T5_mT6_T7_P12ihipStream_tbENKUlT_T0_E_clISt17integral_constantIbLb0EES10_IbLb1EEEEDaSW_SX_EUlSW_E_NS1_11comp_targetILNS1_3genE9ELNS1_11target_archE1100ELNS1_3gpuE3ELNS1_3repE0EEENS1_30default_config_static_selectorELNS0_4arch9wavefront6targetE0EEEvT1_,comdat
	.protected	_ZN7rocprim17ROCPRIM_400000_NS6detail17trampoline_kernelINS0_14default_configENS1_27scan_by_key_config_selectorIisEEZZNS1_16scan_by_key_implILNS1_25lookback_scan_determinismE0ELb1ES3_N6thrust23THRUST_200600_302600_NS6detail15normal_iteratorINS9_10device_ptrIiEEEENSB_INSC_IsEEEESG_sNS9_4plusIvEENS9_8equal_toIvEEsEE10hipError_tPvRmT2_T3_T4_T5_mT6_T7_P12ihipStream_tbENKUlT_T0_E_clISt17integral_constantIbLb0EES10_IbLb1EEEEDaSW_SX_EUlSW_E_NS1_11comp_targetILNS1_3genE9ELNS1_11target_archE1100ELNS1_3gpuE3ELNS1_3repE0EEENS1_30default_config_static_selectorELNS0_4arch9wavefront6targetE0EEEvT1_ ; -- Begin function _ZN7rocprim17ROCPRIM_400000_NS6detail17trampoline_kernelINS0_14default_configENS1_27scan_by_key_config_selectorIisEEZZNS1_16scan_by_key_implILNS1_25lookback_scan_determinismE0ELb1ES3_N6thrust23THRUST_200600_302600_NS6detail15normal_iteratorINS9_10device_ptrIiEEEENSB_INSC_IsEEEESG_sNS9_4plusIvEENS9_8equal_toIvEEsEE10hipError_tPvRmT2_T3_T4_T5_mT6_T7_P12ihipStream_tbENKUlT_T0_E_clISt17integral_constantIbLb0EES10_IbLb1EEEEDaSW_SX_EUlSW_E_NS1_11comp_targetILNS1_3genE9ELNS1_11target_archE1100ELNS1_3gpuE3ELNS1_3repE0EEENS1_30default_config_static_selectorELNS0_4arch9wavefront6targetE0EEEvT1_
	.globl	_ZN7rocprim17ROCPRIM_400000_NS6detail17trampoline_kernelINS0_14default_configENS1_27scan_by_key_config_selectorIisEEZZNS1_16scan_by_key_implILNS1_25lookback_scan_determinismE0ELb1ES3_N6thrust23THRUST_200600_302600_NS6detail15normal_iteratorINS9_10device_ptrIiEEEENSB_INSC_IsEEEESG_sNS9_4plusIvEENS9_8equal_toIvEEsEE10hipError_tPvRmT2_T3_T4_T5_mT6_T7_P12ihipStream_tbENKUlT_T0_E_clISt17integral_constantIbLb0EES10_IbLb1EEEEDaSW_SX_EUlSW_E_NS1_11comp_targetILNS1_3genE9ELNS1_11target_archE1100ELNS1_3gpuE3ELNS1_3repE0EEENS1_30default_config_static_selectorELNS0_4arch9wavefront6targetE0EEEvT1_
	.p2align	8
	.type	_ZN7rocprim17ROCPRIM_400000_NS6detail17trampoline_kernelINS0_14default_configENS1_27scan_by_key_config_selectorIisEEZZNS1_16scan_by_key_implILNS1_25lookback_scan_determinismE0ELb1ES3_N6thrust23THRUST_200600_302600_NS6detail15normal_iteratorINS9_10device_ptrIiEEEENSB_INSC_IsEEEESG_sNS9_4plusIvEENS9_8equal_toIvEEsEE10hipError_tPvRmT2_T3_T4_T5_mT6_T7_P12ihipStream_tbENKUlT_T0_E_clISt17integral_constantIbLb0EES10_IbLb1EEEEDaSW_SX_EUlSW_E_NS1_11comp_targetILNS1_3genE9ELNS1_11target_archE1100ELNS1_3gpuE3ELNS1_3repE0EEENS1_30default_config_static_selectorELNS0_4arch9wavefront6targetE0EEEvT1_,@function
_ZN7rocprim17ROCPRIM_400000_NS6detail17trampoline_kernelINS0_14default_configENS1_27scan_by_key_config_selectorIisEEZZNS1_16scan_by_key_implILNS1_25lookback_scan_determinismE0ELb1ES3_N6thrust23THRUST_200600_302600_NS6detail15normal_iteratorINS9_10device_ptrIiEEEENSB_INSC_IsEEEESG_sNS9_4plusIvEENS9_8equal_toIvEEsEE10hipError_tPvRmT2_T3_T4_T5_mT6_T7_P12ihipStream_tbENKUlT_T0_E_clISt17integral_constantIbLb0EES10_IbLb1EEEEDaSW_SX_EUlSW_E_NS1_11comp_targetILNS1_3genE9ELNS1_11target_archE1100ELNS1_3gpuE3ELNS1_3repE0EEENS1_30default_config_static_selectorELNS0_4arch9wavefront6targetE0EEEvT1_: ; @_ZN7rocprim17ROCPRIM_400000_NS6detail17trampoline_kernelINS0_14default_configENS1_27scan_by_key_config_selectorIisEEZZNS1_16scan_by_key_implILNS1_25lookback_scan_determinismE0ELb1ES3_N6thrust23THRUST_200600_302600_NS6detail15normal_iteratorINS9_10device_ptrIiEEEENSB_INSC_IsEEEESG_sNS9_4plusIvEENS9_8equal_toIvEEsEE10hipError_tPvRmT2_T3_T4_T5_mT6_T7_P12ihipStream_tbENKUlT_T0_E_clISt17integral_constantIbLb0EES10_IbLb1EEEEDaSW_SX_EUlSW_E_NS1_11comp_targetILNS1_3genE9ELNS1_11target_archE1100ELNS1_3gpuE3ELNS1_3repE0EEENS1_30default_config_static_selectorELNS0_4arch9wavefront6targetE0EEEvT1_
; %bb.0:
	.section	.rodata,"a",@progbits
	.p2align	6, 0x0
	.amdhsa_kernel _ZN7rocprim17ROCPRIM_400000_NS6detail17trampoline_kernelINS0_14default_configENS1_27scan_by_key_config_selectorIisEEZZNS1_16scan_by_key_implILNS1_25lookback_scan_determinismE0ELb1ES3_N6thrust23THRUST_200600_302600_NS6detail15normal_iteratorINS9_10device_ptrIiEEEENSB_INSC_IsEEEESG_sNS9_4plusIvEENS9_8equal_toIvEEsEE10hipError_tPvRmT2_T3_T4_T5_mT6_T7_P12ihipStream_tbENKUlT_T0_E_clISt17integral_constantIbLb0EES10_IbLb1EEEEDaSW_SX_EUlSW_E_NS1_11comp_targetILNS1_3genE9ELNS1_11target_archE1100ELNS1_3gpuE3ELNS1_3repE0EEENS1_30default_config_static_selectorELNS0_4arch9wavefront6targetE0EEEvT1_
		.amdhsa_group_segment_fixed_size 0
		.amdhsa_private_segment_fixed_size 0
		.amdhsa_kernarg_size 112
		.amdhsa_user_sgpr_count 6
		.amdhsa_user_sgpr_private_segment_buffer 1
		.amdhsa_user_sgpr_dispatch_ptr 0
		.amdhsa_user_sgpr_queue_ptr 0
		.amdhsa_user_sgpr_kernarg_segment_ptr 1
		.amdhsa_user_sgpr_dispatch_id 0
		.amdhsa_user_sgpr_flat_scratch_init 0
		.amdhsa_user_sgpr_private_segment_size 0
		.amdhsa_wavefront_size32 1
		.amdhsa_uses_dynamic_stack 0
		.amdhsa_system_sgpr_private_segment_wavefront_offset 0
		.amdhsa_system_sgpr_workgroup_id_x 1
		.amdhsa_system_sgpr_workgroup_id_y 0
		.amdhsa_system_sgpr_workgroup_id_z 0
		.amdhsa_system_sgpr_workgroup_info 0
		.amdhsa_system_vgpr_workitem_id 0
		.amdhsa_next_free_vgpr 1
		.amdhsa_next_free_sgpr 1
		.amdhsa_reserve_vcc 0
		.amdhsa_reserve_flat_scratch 0
		.amdhsa_float_round_mode_32 0
		.amdhsa_float_round_mode_16_64 0
		.amdhsa_float_denorm_mode_32 3
		.amdhsa_float_denorm_mode_16_64 3
		.amdhsa_dx10_clamp 1
		.amdhsa_ieee_mode 1
		.amdhsa_fp16_overflow 0
		.amdhsa_workgroup_processor_mode 1
		.amdhsa_memory_ordered 1
		.amdhsa_forward_progress 1
		.amdhsa_shared_vgpr_count 0
		.amdhsa_exception_fp_ieee_invalid_op 0
		.amdhsa_exception_fp_denorm_src 0
		.amdhsa_exception_fp_ieee_div_zero 0
		.amdhsa_exception_fp_ieee_overflow 0
		.amdhsa_exception_fp_ieee_underflow 0
		.amdhsa_exception_fp_ieee_inexact 0
		.amdhsa_exception_int_div_zero 0
	.end_amdhsa_kernel
	.section	.text._ZN7rocprim17ROCPRIM_400000_NS6detail17trampoline_kernelINS0_14default_configENS1_27scan_by_key_config_selectorIisEEZZNS1_16scan_by_key_implILNS1_25lookback_scan_determinismE0ELb1ES3_N6thrust23THRUST_200600_302600_NS6detail15normal_iteratorINS9_10device_ptrIiEEEENSB_INSC_IsEEEESG_sNS9_4plusIvEENS9_8equal_toIvEEsEE10hipError_tPvRmT2_T3_T4_T5_mT6_T7_P12ihipStream_tbENKUlT_T0_E_clISt17integral_constantIbLb0EES10_IbLb1EEEEDaSW_SX_EUlSW_E_NS1_11comp_targetILNS1_3genE9ELNS1_11target_archE1100ELNS1_3gpuE3ELNS1_3repE0EEENS1_30default_config_static_selectorELNS0_4arch9wavefront6targetE0EEEvT1_,"axG",@progbits,_ZN7rocprim17ROCPRIM_400000_NS6detail17trampoline_kernelINS0_14default_configENS1_27scan_by_key_config_selectorIisEEZZNS1_16scan_by_key_implILNS1_25lookback_scan_determinismE0ELb1ES3_N6thrust23THRUST_200600_302600_NS6detail15normal_iteratorINS9_10device_ptrIiEEEENSB_INSC_IsEEEESG_sNS9_4plusIvEENS9_8equal_toIvEEsEE10hipError_tPvRmT2_T3_T4_T5_mT6_T7_P12ihipStream_tbENKUlT_T0_E_clISt17integral_constantIbLb0EES10_IbLb1EEEEDaSW_SX_EUlSW_E_NS1_11comp_targetILNS1_3genE9ELNS1_11target_archE1100ELNS1_3gpuE3ELNS1_3repE0EEENS1_30default_config_static_selectorELNS0_4arch9wavefront6targetE0EEEvT1_,comdat
.Lfunc_end1641:
	.size	_ZN7rocprim17ROCPRIM_400000_NS6detail17trampoline_kernelINS0_14default_configENS1_27scan_by_key_config_selectorIisEEZZNS1_16scan_by_key_implILNS1_25lookback_scan_determinismE0ELb1ES3_N6thrust23THRUST_200600_302600_NS6detail15normal_iteratorINS9_10device_ptrIiEEEENSB_INSC_IsEEEESG_sNS9_4plusIvEENS9_8equal_toIvEEsEE10hipError_tPvRmT2_T3_T4_T5_mT6_T7_P12ihipStream_tbENKUlT_T0_E_clISt17integral_constantIbLb0EES10_IbLb1EEEEDaSW_SX_EUlSW_E_NS1_11comp_targetILNS1_3genE9ELNS1_11target_archE1100ELNS1_3gpuE3ELNS1_3repE0EEENS1_30default_config_static_selectorELNS0_4arch9wavefront6targetE0EEEvT1_, .Lfunc_end1641-_ZN7rocprim17ROCPRIM_400000_NS6detail17trampoline_kernelINS0_14default_configENS1_27scan_by_key_config_selectorIisEEZZNS1_16scan_by_key_implILNS1_25lookback_scan_determinismE0ELb1ES3_N6thrust23THRUST_200600_302600_NS6detail15normal_iteratorINS9_10device_ptrIiEEEENSB_INSC_IsEEEESG_sNS9_4plusIvEENS9_8equal_toIvEEsEE10hipError_tPvRmT2_T3_T4_T5_mT6_T7_P12ihipStream_tbENKUlT_T0_E_clISt17integral_constantIbLb0EES10_IbLb1EEEEDaSW_SX_EUlSW_E_NS1_11comp_targetILNS1_3genE9ELNS1_11target_archE1100ELNS1_3gpuE3ELNS1_3repE0EEENS1_30default_config_static_selectorELNS0_4arch9wavefront6targetE0EEEvT1_
                                        ; -- End function
	.set _ZN7rocprim17ROCPRIM_400000_NS6detail17trampoline_kernelINS0_14default_configENS1_27scan_by_key_config_selectorIisEEZZNS1_16scan_by_key_implILNS1_25lookback_scan_determinismE0ELb1ES3_N6thrust23THRUST_200600_302600_NS6detail15normal_iteratorINS9_10device_ptrIiEEEENSB_INSC_IsEEEESG_sNS9_4plusIvEENS9_8equal_toIvEEsEE10hipError_tPvRmT2_T3_T4_T5_mT6_T7_P12ihipStream_tbENKUlT_T0_E_clISt17integral_constantIbLb0EES10_IbLb1EEEEDaSW_SX_EUlSW_E_NS1_11comp_targetILNS1_3genE9ELNS1_11target_archE1100ELNS1_3gpuE3ELNS1_3repE0EEENS1_30default_config_static_selectorELNS0_4arch9wavefront6targetE0EEEvT1_.num_vgpr, 0
	.set _ZN7rocprim17ROCPRIM_400000_NS6detail17trampoline_kernelINS0_14default_configENS1_27scan_by_key_config_selectorIisEEZZNS1_16scan_by_key_implILNS1_25lookback_scan_determinismE0ELb1ES3_N6thrust23THRUST_200600_302600_NS6detail15normal_iteratorINS9_10device_ptrIiEEEENSB_INSC_IsEEEESG_sNS9_4plusIvEENS9_8equal_toIvEEsEE10hipError_tPvRmT2_T3_T4_T5_mT6_T7_P12ihipStream_tbENKUlT_T0_E_clISt17integral_constantIbLb0EES10_IbLb1EEEEDaSW_SX_EUlSW_E_NS1_11comp_targetILNS1_3genE9ELNS1_11target_archE1100ELNS1_3gpuE3ELNS1_3repE0EEENS1_30default_config_static_selectorELNS0_4arch9wavefront6targetE0EEEvT1_.num_agpr, 0
	.set _ZN7rocprim17ROCPRIM_400000_NS6detail17trampoline_kernelINS0_14default_configENS1_27scan_by_key_config_selectorIisEEZZNS1_16scan_by_key_implILNS1_25lookback_scan_determinismE0ELb1ES3_N6thrust23THRUST_200600_302600_NS6detail15normal_iteratorINS9_10device_ptrIiEEEENSB_INSC_IsEEEESG_sNS9_4plusIvEENS9_8equal_toIvEEsEE10hipError_tPvRmT2_T3_T4_T5_mT6_T7_P12ihipStream_tbENKUlT_T0_E_clISt17integral_constantIbLb0EES10_IbLb1EEEEDaSW_SX_EUlSW_E_NS1_11comp_targetILNS1_3genE9ELNS1_11target_archE1100ELNS1_3gpuE3ELNS1_3repE0EEENS1_30default_config_static_selectorELNS0_4arch9wavefront6targetE0EEEvT1_.numbered_sgpr, 0
	.set _ZN7rocprim17ROCPRIM_400000_NS6detail17trampoline_kernelINS0_14default_configENS1_27scan_by_key_config_selectorIisEEZZNS1_16scan_by_key_implILNS1_25lookback_scan_determinismE0ELb1ES3_N6thrust23THRUST_200600_302600_NS6detail15normal_iteratorINS9_10device_ptrIiEEEENSB_INSC_IsEEEESG_sNS9_4plusIvEENS9_8equal_toIvEEsEE10hipError_tPvRmT2_T3_T4_T5_mT6_T7_P12ihipStream_tbENKUlT_T0_E_clISt17integral_constantIbLb0EES10_IbLb1EEEEDaSW_SX_EUlSW_E_NS1_11comp_targetILNS1_3genE9ELNS1_11target_archE1100ELNS1_3gpuE3ELNS1_3repE0EEENS1_30default_config_static_selectorELNS0_4arch9wavefront6targetE0EEEvT1_.num_named_barrier, 0
	.set _ZN7rocprim17ROCPRIM_400000_NS6detail17trampoline_kernelINS0_14default_configENS1_27scan_by_key_config_selectorIisEEZZNS1_16scan_by_key_implILNS1_25lookback_scan_determinismE0ELb1ES3_N6thrust23THRUST_200600_302600_NS6detail15normal_iteratorINS9_10device_ptrIiEEEENSB_INSC_IsEEEESG_sNS9_4plusIvEENS9_8equal_toIvEEsEE10hipError_tPvRmT2_T3_T4_T5_mT6_T7_P12ihipStream_tbENKUlT_T0_E_clISt17integral_constantIbLb0EES10_IbLb1EEEEDaSW_SX_EUlSW_E_NS1_11comp_targetILNS1_3genE9ELNS1_11target_archE1100ELNS1_3gpuE3ELNS1_3repE0EEENS1_30default_config_static_selectorELNS0_4arch9wavefront6targetE0EEEvT1_.private_seg_size, 0
	.set _ZN7rocprim17ROCPRIM_400000_NS6detail17trampoline_kernelINS0_14default_configENS1_27scan_by_key_config_selectorIisEEZZNS1_16scan_by_key_implILNS1_25lookback_scan_determinismE0ELb1ES3_N6thrust23THRUST_200600_302600_NS6detail15normal_iteratorINS9_10device_ptrIiEEEENSB_INSC_IsEEEESG_sNS9_4plusIvEENS9_8equal_toIvEEsEE10hipError_tPvRmT2_T3_T4_T5_mT6_T7_P12ihipStream_tbENKUlT_T0_E_clISt17integral_constantIbLb0EES10_IbLb1EEEEDaSW_SX_EUlSW_E_NS1_11comp_targetILNS1_3genE9ELNS1_11target_archE1100ELNS1_3gpuE3ELNS1_3repE0EEENS1_30default_config_static_selectorELNS0_4arch9wavefront6targetE0EEEvT1_.uses_vcc, 0
	.set _ZN7rocprim17ROCPRIM_400000_NS6detail17trampoline_kernelINS0_14default_configENS1_27scan_by_key_config_selectorIisEEZZNS1_16scan_by_key_implILNS1_25lookback_scan_determinismE0ELb1ES3_N6thrust23THRUST_200600_302600_NS6detail15normal_iteratorINS9_10device_ptrIiEEEENSB_INSC_IsEEEESG_sNS9_4plusIvEENS9_8equal_toIvEEsEE10hipError_tPvRmT2_T3_T4_T5_mT6_T7_P12ihipStream_tbENKUlT_T0_E_clISt17integral_constantIbLb0EES10_IbLb1EEEEDaSW_SX_EUlSW_E_NS1_11comp_targetILNS1_3genE9ELNS1_11target_archE1100ELNS1_3gpuE3ELNS1_3repE0EEENS1_30default_config_static_selectorELNS0_4arch9wavefront6targetE0EEEvT1_.uses_flat_scratch, 0
	.set _ZN7rocprim17ROCPRIM_400000_NS6detail17trampoline_kernelINS0_14default_configENS1_27scan_by_key_config_selectorIisEEZZNS1_16scan_by_key_implILNS1_25lookback_scan_determinismE0ELb1ES3_N6thrust23THRUST_200600_302600_NS6detail15normal_iteratorINS9_10device_ptrIiEEEENSB_INSC_IsEEEESG_sNS9_4plusIvEENS9_8equal_toIvEEsEE10hipError_tPvRmT2_T3_T4_T5_mT6_T7_P12ihipStream_tbENKUlT_T0_E_clISt17integral_constantIbLb0EES10_IbLb1EEEEDaSW_SX_EUlSW_E_NS1_11comp_targetILNS1_3genE9ELNS1_11target_archE1100ELNS1_3gpuE3ELNS1_3repE0EEENS1_30default_config_static_selectorELNS0_4arch9wavefront6targetE0EEEvT1_.has_dyn_sized_stack, 0
	.set _ZN7rocprim17ROCPRIM_400000_NS6detail17trampoline_kernelINS0_14default_configENS1_27scan_by_key_config_selectorIisEEZZNS1_16scan_by_key_implILNS1_25lookback_scan_determinismE0ELb1ES3_N6thrust23THRUST_200600_302600_NS6detail15normal_iteratorINS9_10device_ptrIiEEEENSB_INSC_IsEEEESG_sNS9_4plusIvEENS9_8equal_toIvEEsEE10hipError_tPvRmT2_T3_T4_T5_mT6_T7_P12ihipStream_tbENKUlT_T0_E_clISt17integral_constantIbLb0EES10_IbLb1EEEEDaSW_SX_EUlSW_E_NS1_11comp_targetILNS1_3genE9ELNS1_11target_archE1100ELNS1_3gpuE3ELNS1_3repE0EEENS1_30default_config_static_selectorELNS0_4arch9wavefront6targetE0EEEvT1_.has_recursion, 0
	.set _ZN7rocprim17ROCPRIM_400000_NS6detail17trampoline_kernelINS0_14default_configENS1_27scan_by_key_config_selectorIisEEZZNS1_16scan_by_key_implILNS1_25lookback_scan_determinismE0ELb1ES3_N6thrust23THRUST_200600_302600_NS6detail15normal_iteratorINS9_10device_ptrIiEEEENSB_INSC_IsEEEESG_sNS9_4plusIvEENS9_8equal_toIvEEsEE10hipError_tPvRmT2_T3_T4_T5_mT6_T7_P12ihipStream_tbENKUlT_T0_E_clISt17integral_constantIbLb0EES10_IbLb1EEEEDaSW_SX_EUlSW_E_NS1_11comp_targetILNS1_3genE9ELNS1_11target_archE1100ELNS1_3gpuE3ELNS1_3repE0EEENS1_30default_config_static_selectorELNS0_4arch9wavefront6targetE0EEEvT1_.has_indirect_call, 0
	.section	.AMDGPU.csdata,"",@progbits
; Kernel info:
; codeLenInByte = 0
; TotalNumSgprs: 0
; NumVgprs: 0
; ScratchSize: 0
; MemoryBound: 0
; FloatMode: 240
; IeeeMode: 1
; LDSByteSize: 0 bytes/workgroup (compile time only)
; SGPRBlocks: 0
; VGPRBlocks: 0
; NumSGPRsForWavesPerEU: 1
; NumVGPRsForWavesPerEU: 1
; Occupancy: 16
; WaveLimiterHint : 0
; COMPUTE_PGM_RSRC2:SCRATCH_EN: 0
; COMPUTE_PGM_RSRC2:USER_SGPR: 6
; COMPUTE_PGM_RSRC2:TRAP_HANDLER: 0
; COMPUTE_PGM_RSRC2:TGID_X_EN: 1
; COMPUTE_PGM_RSRC2:TGID_Y_EN: 0
; COMPUTE_PGM_RSRC2:TGID_Z_EN: 0
; COMPUTE_PGM_RSRC2:TIDIG_COMP_CNT: 0
	.section	.text._ZN7rocprim17ROCPRIM_400000_NS6detail17trampoline_kernelINS0_14default_configENS1_27scan_by_key_config_selectorIisEEZZNS1_16scan_by_key_implILNS1_25lookback_scan_determinismE0ELb1ES3_N6thrust23THRUST_200600_302600_NS6detail15normal_iteratorINS9_10device_ptrIiEEEENSB_INSC_IsEEEESG_sNS9_4plusIvEENS9_8equal_toIvEEsEE10hipError_tPvRmT2_T3_T4_T5_mT6_T7_P12ihipStream_tbENKUlT_T0_E_clISt17integral_constantIbLb0EES10_IbLb1EEEEDaSW_SX_EUlSW_E_NS1_11comp_targetILNS1_3genE8ELNS1_11target_archE1030ELNS1_3gpuE2ELNS1_3repE0EEENS1_30default_config_static_selectorELNS0_4arch9wavefront6targetE0EEEvT1_,"axG",@progbits,_ZN7rocprim17ROCPRIM_400000_NS6detail17trampoline_kernelINS0_14default_configENS1_27scan_by_key_config_selectorIisEEZZNS1_16scan_by_key_implILNS1_25lookback_scan_determinismE0ELb1ES3_N6thrust23THRUST_200600_302600_NS6detail15normal_iteratorINS9_10device_ptrIiEEEENSB_INSC_IsEEEESG_sNS9_4plusIvEENS9_8equal_toIvEEsEE10hipError_tPvRmT2_T3_T4_T5_mT6_T7_P12ihipStream_tbENKUlT_T0_E_clISt17integral_constantIbLb0EES10_IbLb1EEEEDaSW_SX_EUlSW_E_NS1_11comp_targetILNS1_3genE8ELNS1_11target_archE1030ELNS1_3gpuE2ELNS1_3repE0EEENS1_30default_config_static_selectorELNS0_4arch9wavefront6targetE0EEEvT1_,comdat
	.protected	_ZN7rocprim17ROCPRIM_400000_NS6detail17trampoline_kernelINS0_14default_configENS1_27scan_by_key_config_selectorIisEEZZNS1_16scan_by_key_implILNS1_25lookback_scan_determinismE0ELb1ES3_N6thrust23THRUST_200600_302600_NS6detail15normal_iteratorINS9_10device_ptrIiEEEENSB_INSC_IsEEEESG_sNS9_4plusIvEENS9_8equal_toIvEEsEE10hipError_tPvRmT2_T3_T4_T5_mT6_T7_P12ihipStream_tbENKUlT_T0_E_clISt17integral_constantIbLb0EES10_IbLb1EEEEDaSW_SX_EUlSW_E_NS1_11comp_targetILNS1_3genE8ELNS1_11target_archE1030ELNS1_3gpuE2ELNS1_3repE0EEENS1_30default_config_static_selectorELNS0_4arch9wavefront6targetE0EEEvT1_ ; -- Begin function _ZN7rocprim17ROCPRIM_400000_NS6detail17trampoline_kernelINS0_14default_configENS1_27scan_by_key_config_selectorIisEEZZNS1_16scan_by_key_implILNS1_25lookback_scan_determinismE0ELb1ES3_N6thrust23THRUST_200600_302600_NS6detail15normal_iteratorINS9_10device_ptrIiEEEENSB_INSC_IsEEEESG_sNS9_4plusIvEENS9_8equal_toIvEEsEE10hipError_tPvRmT2_T3_T4_T5_mT6_T7_P12ihipStream_tbENKUlT_T0_E_clISt17integral_constantIbLb0EES10_IbLb1EEEEDaSW_SX_EUlSW_E_NS1_11comp_targetILNS1_3genE8ELNS1_11target_archE1030ELNS1_3gpuE2ELNS1_3repE0EEENS1_30default_config_static_selectorELNS0_4arch9wavefront6targetE0EEEvT1_
	.globl	_ZN7rocprim17ROCPRIM_400000_NS6detail17trampoline_kernelINS0_14default_configENS1_27scan_by_key_config_selectorIisEEZZNS1_16scan_by_key_implILNS1_25lookback_scan_determinismE0ELb1ES3_N6thrust23THRUST_200600_302600_NS6detail15normal_iteratorINS9_10device_ptrIiEEEENSB_INSC_IsEEEESG_sNS9_4plusIvEENS9_8equal_toIvEEsEE10hipError_tPvRmT2_T3_T4_T5_mT6_T7_P12ihipStream_tbENKUlT_T0_E_clISt17integral_constantIbLb0EES10_IbLb1EEEEDaSW_SX_EUlSW_E_NS1_11comp_targetILNS1_3genE8ELNS1_11target_archE1030ELNS1_3gpuE2ELNS1_3repE0EEENS1_30default_config_static_selectorELNS0_4arch9wavefront6targetE0EEEvT1_
	.p2align	8
	.type	_ZN7rocprim17ROCPRIM_400000_NS6detail17trampoline_kernelINS0_14default_configENS1_27scan_by_key_config_selectorIisEEZZNS1_16scan_by_key_implILNS1_25lookback_scan_determinismE0ELb1ES3_N6thrust23THRUST_200600_302600_NS6detail15normal_iteratorINS9_10device_ptrIiEEEENSB_INSC_IsEEEESG_sNS9_4plusIvEENS9_8equal_toIvEEsEE10hipError_tPvRmT2_T3_T4_T5_mT6_T7_P12ihipStream_tbENKUlT_T0_E_clISt17integral_constantIbLb0EES10_IbLb1EEEEDaSW_SX_EUlSW_E_NS1_11comp_targetILNS1_3genE8ELNS1_11target_archE1030ELNS1_3gpuE2ELNS1_3repE0EEENS1_30default_config_static_selectorELNS0_4arch9wavefront6targetE0EEEvT1_,@function
_ZN7rocprim17ROCPRIM_400000_NS6detail17trampoline_kernelINS0_14default_configENS1_27scan_by_key_config_selectorIisEEZZNS1_16scan_by_key_implILNS1_25lookback_scan_determinismE0ELb1ES3_N6thrust23THRUST_200600_302600_NS6detail15normal_iteratorINS9_10device_ptrIiEEEENSB_INSC_IsEEEESG_sNS9_4plusIvEENS9_8equal_toIvEEsEE10hipError_tPvRmT2_T3_T4_T5_mT6_T7_P12ihipStream_tbENKUlT_T0_E_clISt17integral_constantIbLb0EES10_IbLb1EEEEDaSW_SX_EUlSW_E_NS1_11comp_targetILNS1_3genE8ELNS1_11target_archE1030ELNS1_3gpuE2ELNS1_3repE0EEENS1_30default_config_static_selectorELNS0_4arch9wavefront6targetE0EEEvT1_: ; @_ZN7rocprim17ROCPRIM_400000_NS6detail17trampoline_kernelINS0_14default_configENS1_27scan_by_key_config_selectorIisEEZZNS1_16scan_by_key_implILNS1_25lookback_scan_determinismE0ELb1ES3_N6thrust23THRUST_200600_302600_NS6detail15normal_iteratorINS9_10device_ptrIiEEEENSB_INSC_IsEEEESG_sNS9_4plusIvEENS9_8equal_toIvEEsEE10hipError_tPvRmT2_T3_T4_T5_mT6_T7_P12ihipStream_tbENKUlT_T0_E_clISt17integral_constantIbLb0EES10_IbLb1EEEEDaSW_SX_EUlSW_E_NS1_11comp_targetILNS1_3genE8ELNS1_11target_archE1030ELNS1_3gpuE2ELNS1_3repE0EEENS1_30default_config_static_selectorELNS0_4arch9wavefront6targetE0EEEvT1_
; %bb.0:
	s_clause 0x2
	s_load_dword s28, s[4:5], 0x20
	s_load_dwordx4 s[16:19], s[4:5], 0x28
	s_load_dwordx2 s[24:25], s[4:5], 0x38
	v_cmp_eq_u32_e64 s0, 0, v0
	s_and_saveexec_b32 s1, s0
	s_cbranch_execz .LBB1642_4
; %bb.1:
	s_mov_b32 s3, exec_lo
	s_mov_b32 s2, exec_lo
	v_mbcnt_lo_u32_b32 v1, s3, 0
                                        ; implicit-def: $vgpr2
	v_cmpx_eq_u32_e32 0, v1
	s_cbranch_execz .LBB1642_3
; %bb.2:
	s_load_dwordx2 s[6:7], s[4:5], 0x68
	s_bcnt1_i32_b32 s3, s3
	v_mov_b32_e32 v2, 0
	v_mov_b32_e32 v3, s3
	s_waitcnt lgkmcnt(0)
	global_atomic_add v2, v2, v3, s[6:7] glc
.LBB1642_3:
	s_or_b32 exec_lo, exec_lo, s2
	s_waitcnt vmcnt(0)
	v_readfirstlane_b32 s2, v2
	v_mov_b32_e32 v2, 0
	v_add_nc_u32_e32 v1, s2, v1
	ds_write_b32 v2, v1
.LBB1642_4:
	s_or_b32 exec_lo, exec_lo, s1
	v_mov_b32_e32 v1, 0
	s_clause 0x2
	s_load_dwordx8 s[8:15], s[4:5], 0x0
	s_load_dword s1, s[4:5], 0x40
	s_load_dwordx4 s[20:23], s[4:5], 0x48
	s_waitcnt lgkmcnt(0)
	s_barrier
	buffer_gl0_inv
	ds_read_b32 v1, v1
	s_waitcnt lgkmcnt(0)
	s_barrier
	buffer_gl0_inv
	s_barrier
	buffer_gl0_inv
	s_lshl_b64 s[2:3], s[10:11], 2
	s_mul_i32 s6, s25, s1
	s_add_u32 s8, s8, s2
	s_addc_u32 s9, s9, s3
	s_lshl_b64 s[10:11], s[10:11], 1
	s_mov_b32 s3, 0
	v_readfirstlane_b32 s19, v1
	s_mul_hi_u32 s7, s24, s1
	s_add_u32 s29, s12, s10
	s_addc_u32 s30, s13, s11
	s_add_i32 s7, s7, s6
	s_mul_i32 s2, s19, 0x1c0
	s_mul_i32 s1, s24, s1
	s_lshl_b64 s[4:5], s[2:3], 2
	v_add_co_u32 v1, s1, s1, v1
	s_add_u32 s26, s8, s4
	s_addc_u32 s27, s9, s5
	s_lshl_b64 s[12:13], s[2:3], 1
	v_add_co_ci_u32_e64 v2, null, s7, 0, s1
	s_add_u32 s29, s29, s12
	s_addc_u32 s30, s30, s13
	s_add_u32 s4, s20, -1
	s_addc_u32 s5, s21, -1
	s_mul_i32 s9, s4, 0xfffffe40
	v_cmp_le_u64_e64 s1, s[4:5], v[1:2]
	s_and_b32 vcc_lo, exec_lo, s1
	s_cbranch_vccz .LBB1642_44
; %bb.5:
	v_mov_b32_e32 v1, s26
	v_mov_b32_e32 v2, s27
	s_add_i32 s20, s9, s18
	v_cmp_gt_u32_e64 s7, s20, v0
	flat_load_dword v1, v[1:2]
	s_waitcnt vmcnt(0) lgkmcnt(0)
	v_mov_b32_e32 v2, v1
	s_and_saveexec_b32 s2, s7
	s_cbranch_execz .LBB1642_7
; %bb.6:
	v_lshlrev_b32_e32 v2, 2, v0
	v_add_co_u32 v2, s3, s26, v2
	v_add_co_ci_u32_e64 v3, null, s27, 0, s3
	flat_load_dword v2, v[2:3]
.LBB1642_7:
	s_or_b32 exec_lo, exec_lo, s2
	v_or_b32_e32 v3, 64, v0
	v_cmp_gt_u32_e64 s6, s20, v3
	v_mov_b32_e32 v3, v1
	s_and_saveexec_b32 s2, s6
	s_cbranch_execz .LBB1642_9
; %bb.8:
	v_lshlrev_b32_e32 v3, 2, v0
	v_add_co_u32 v3, s3, s26, v3
	v_add_co_ci_u32_e64 v4, null, s27, 0, s3
	flat_load_dword v3, v[3:4] offset:256
.LBB1642_9:
	s_or_b32 exec_lo, exec_lo, s2
	v_or_b32_e32 v4, 0x80, v0
	v_cmp_gt_u32_e64 s5, s20, v4
	v_mov_b32_e32 v4, v1
	s_and_saveexec_b32 s2, s5
	s_cbranch_execz .LBB1642_11
; %bb.10:
	v_lshlrev_b32_e32 v4, 2, v0
	v_add_co_u32 v4, s3, s26, v4
	v_add_co_ci_u32_e64 v5, null, s27, 0, s3
	flat_load_dword v4, v[4:5] offset:512
.LBB1642_11:
	;; [unrolled: 12-line block ×5, first 2 shown]
	s_or_b32 exec_lo, exec_lo, s8
	v_or_b32_e32 v8, 0x180, v0
	v_cmp_le_u32_e64 s8, s20, v8
	v_cmp_gt_u32_e32 vcc_lo, s20, v8
	s_and_saveexec_b32 s21, s8
	s_xor_b32 s8, exec_lo, s21
	s_andn2_saveexec_b32 s8, s8
	s_cbranch_execz .LBB1642_19
; %bb.18:
	v_lshlrev_b32_e32 v1, 2, v0
	v_add_co_u32 v8, s21, s26, v1
	v_add_co_ci_u32_e64 v9, null, s27, 0, s21
	flat_load_dword v1, v[8:9] offset:1536
.LBB1642_19:
	s_or_b32 exec_lo, exec_lo, s8
	v_mov_b32_e32 v8, s26
	v_lshlrev_b32_e32 v10, 2, v0
	v_mov_b32_e32 v9, s27
	s_mov_b32 s21, exec_lo
	s_waitcnt vmcnt(0) lgkmcnt(0)
	ds_write2st64_b32 v10, v2, v3 offset1:1
	ds_write2st64_b32 v10, v4, v5 offset0:2 offset1:3
	ds_write2st64_b32 v10, v6, v7 offset0:4 offset1:5
	ds_write_b32 v10, v1 offset:1536
	s_waitcnt lgkmcnt(0)
	s_barrier
	buffer_gl0_inv
	flat_load_dword v17, v[8:9]
	v_mad_u32_u24 v1, v0, 24, v10
	ds_read_b32 v22, v1
	ds_read2_b32 v[9:10], v1 offset0:1 offset1:2
	ds_read2_b32 v[7:8], v1 offset0:3 offset1:4
	;; [unrolled: 1-line block ×3, first 2 shown]
	v_mad_i32_i24 v11, 0xffffffe8, v0, v1
	s_waitcnt lgkmcnt(3)
	ds_write_b32 v11, v22 offset:2048
	s_waitcnt vmcnt(0) lgkmcnt(0)
	s_barrier
	buffer_gl0_inv
	v_cmpx_ne_u32_e32 63, v0
; %bb.20:
	ds_read_b32 v17, v11 offset:2052
; %bb.21:
	s_or_b32 exec_lo, exec_lo, s21
	v_mov_b32_e32 v1, 0
	v_lshlrev_b32_e32 v12, 1, v0
	s_waitcnt lgkmcnt(0)
	s_barrier
	buffer_gl0_inv
	v_mov_b32_e32 v2, v1
	v_mov_b32_e32 v3, v1
	;; [unrolled: 1-line block ×3, first 2 shown]
	s_and_saveexec_b32 s8, s7
	s_cbranch_execnz .LBB1642_166
; %bb.22:
	s_or_b32 exec_lo, exec_lo, s8
	s_and_saveexec_b32 s7, s6
	s_cbranch_execnz .LBB1642_167
.LBB1642_23:
	s_or_b32 exec_lo, exec_lo, s7
	s_and_saveexec_b32 s6, s5
	s_cbranch_execnz .LBB1642_168
.LBB1642_24:
	s_or_b32 exec_lo, exec_lo, s6
	s_and_saveexec_b32 s5, s4
	s_cbranch_execnz .LBB1642_169
.LBB1642_25:
	s_or_b32 exec_lo, exec_lo, s5
	s_and_saveexec_b32 s4, s3
	s_cbranch_execnz .LBB1642_170
.LBB1642_26:
	s_or_b32 exec_lo, exec_lo, s4
	s_and_saveexec_b32 s3, s2
	s_cbranch_execnz .LBB1642_171
.LBB1642_27:
	s_or_b32 exec_lo, exec_lo, s3
	v_mul_u32_u24_e32 v23, 7, v0
	s_and_saveexec_b32 s2, vcc_lo
	s_cbranch_execz .LBB1642_29
.LBB1642_28:
	v_add_co_u32 v12, s3, s29, v12
	v_add_co_ci_u32_e64 v13, null, s30, 0, s3
	flat_load_short_d16 v4, v[12:13] offset:768
.LBB1642_29:
	s_or_b32 exec_lo, exec_lo, s2
	v_lshlrev_b32_e32 v12, 1, v0
	v_cmp_gt_u32_e32 vcc_lo, s20, v23
	v_mov_b32_e32 v14, 0
	v_mov_b32_e32 v21, 0
	v_mov_b32_e32 v20, 0
	v_sub_nc_u32_e32 v24, v11, v12
	v_mov_b32_e32 v18, 0
	v_mov_b32_e32 v16, 0
	;; [unrolled: 1-line block ×4, first 2 shown]
	s_waitcnt vmcnt(0) lgkmcnt(0)
	ds_write_b16 v24, v1
	ds_write_b16_d16_hi v24, v1 offset:128
	ds_write_b16 v24, v2 offset:256
	ds_write_b16_d16_hi v24, v2 offset:384
	ds_write_b16 v24, v3 offset:512
	;; [unrolled: 2-line block ×3, first 2 shown]
	v_mov_b32_e32 v1, 0
	v_mov_b32_e32 v4, 0
	;; [unrolled: 1-line block ×4, first 2 shown]
	s_mov_b32 s4, 0
	s_mov_b32 s3, 0
	s_waitcnt lgkmcnt(0)
	s_barrier
	buffer_gl0_inv
                                        ; implicit-def: $sgpr5
                                        ; implicit-def: $vgpr19
	s_and_saveexec_b32 s6, vcc_lo
	s_cbranch_execz .LBB1642_43
; %bb.30:
	v_mad_u32_u24 v1, v0, 12, v24
	v_cmp_eq_u32_e32 vcc_lo, v22, v9
	v_add_nc_u32_e32 v3, 1, v23
	v_mov_b32_e32 v21, 0
	v_mov_b32_e32 v20, 0
	ds_read_u16 v2, v1
	v_mov_b32_e32 v1, 0
	v_mov_b32_e32 v18, 0
	;; [unrolled: 1-line block ×6, first 2 shown]
	v_cndmask_b32_e64 v16, 0x10000, 0, vcc_lo
	v_mov_b32_e32 v11, 0
	s_mov_b32 s7, 0
	s_mov_b32 s3, exec_lo
                                        ; implicit-def: $sgpr5
                                        ; implicit-def: $vgpr19
	s_waitcnt lgkmcnt(0)
	v_cndmask_b32_e32 v14, s28, v2, vcc_lo
	v_cmpx_gt_u32_e64 s20, v3
	s_cbranch_execz .LBB1642_42
; %bb.31:
	v_mul_u32_u24_e32 v1, 12, v0
	v_add_nc_u32_e32 v11, 2, v23
	v_cmp_eq_u32_e32 vcc_lo, v9, v10
	v_mov_b32_e32 v21, 0
	v_mov_b32_e32 v20, 0
	v_add_nc_u32_e32 v1, v24, v1
	v_mov_b32_e32 v18, 0
	v_mov_b32_e32 v4, 0
	;; [unrolled: 1-line block ×4, first 2 shown]
	ds_read_b96 v[1:3], v1 offset:2
	v_cmp_gt_u32_e64 s2, s20, v11
	v_cndmask_b32_e64 v15, 0x10000, 0, vcc_lo
	v_mov_b32_e32 v11, 0
	s_mov_b32 s8, 0
                                        ; implicit-def: $sgpr5
                                        ; implicit-def: $vgpr19
	s_waitcnt lgkmcnt(0)
	v_cndmask_b32_e32 v9, s28, v1, vcc_lo
	s_and_saveexec_b32 s7, s2
	s_cbranch_execz .LBB1642_41
; %bb.32:
	v_add_nc_u32_e32 v4, 3, v23
	v_cmp_eq_u32_e32 vcc_lo, v10, v7
	v_mov_b32_e32 v20, 0
	v_mov_b32_e32 v18, 0
	;; [unrolled: 1-line block ×3, first 2 shown]
	v_cmp_gt_u32_e64 s2, s20, v4
	v_cndmask_b32_e64 v10, 0x10000, 0, vcc_lo
	v_cndmask_b32_sdwa v1, s28, v1, vcc_lo dst_sel:DWORD dst_unused:UNUSED_PAD src0_sel:DWORD src1_sel:WORD_1
	v_mov_b32_e32 v4, 0
	v_mov_b32_e32 v11, 0
	s_mov_b32 s21, 0
                                        ; implicit-def: $sgpr5
                                        ; implicit-def: $vgpr19
	s_and_saveexec_b32 s8, s2
	s_cbranch_execz .LBB1642_40
; %bb.33:
	v_cmp_eq_u32_e32 vcc_lo, v7, v8
	v_add_nc_u32_e32 v4, 4, v23
	v_mov_b32_e32 v18, 0
	v_mov_b32_e32 v11, 0
                                        ; implicit-def: $sgpr5
                                        ; implicit-def: $vgpr19
	v_cndmask_b32_e32 v7, s28, v2, vcc_lo
	v_cndmask_b32_e64 v12, 0x10000, 0, vcc_lo
	v_cmp_gt_u32_e32 vcc_lo, s20, v4
	v_mov_b32_e32 v4, 0
	s_and_saveexec_b32 s2, vcc_lo
	s_cbranch_execz .LBB1642_39
; %bb.34:
	v_cmp_eq_u32_e32 vcc_lo, v8, v5
	v_mov_b32_e32 v4, 0
	v_add_nc_u32_e32 v11, 5, v23
	s_mov_b32 s31, 0
	s_mov_b32 s21, exec_lo
	v_cndmask_b32_e64 v8, 0x10000, 0, vcc_lo
	v_cndmask_b32_sdwa v2, s28, v2, vcc_lo dst_sel:DWORD dst_unused:UNUSED_PAD src0_sel:DWORD src1_sel:WORD_1
                                        ; implicit-def: $sgpr5
                                        ; implicit-def: $vgpr19
	v_cmpx_gt_u32_e64 s20, v11
	s_cbranch_execz .LBB1642_38
; %bb.35:
	v_cmp_eq_u32_e32 vcc_lo, v5, v6
	v_add_nc_u32_e32 v11, 6, v23
                                        ; implicit-def: $sgpr5
                                        ; implicit-def: $vgpr19
	v_cndmask_b32_e32 v4, s28, v3, vcc_lo
	v_cndmask_b32_e64 v5, 0x10000, 0, vcc_lo
	v_cmp_gt_u32_e32 vcc_lo, s20, v11
	s_mov_b32 s20, 0
	s_and_saveexec_b32 s31, vcc_lo
	s_xor_b32 s31, exec_lo, s31
; %bb.36:
	v_lshrrev_b32_e32 v3, 16, v3
	v_cmp_ne_u32_e64 s5, v6, v17
	s_mov_b32 s20, exec_lo
	v_cndmask_b32_e64 v19, v3, s28, s5
; %bb.37:
	s_or_b32 exec_lo, exec_lo, s31
	v_or_b32_sdwa v4, v5, v4 dst_sel:DWORD dst_unused:UNUSED_PAD src0_sel:DWORD src1_sel:WORD_0
	s_and_b32 s31, s20, exec_lo
.LBB1642_38:
	s_or_b32 exec_lo, exec_lo, s21
	v_or_b32_sdwa v18, v8, v2 dst_sel:DWORD dst_unused:UNUSED_PAD src0_sel:DWORD src1_sel:WORD_0
	v_mov_b32_e32 v11, v4
	s_and_b32 s21, s31, exec_lo
.LBB1642_39:
	s_or_b32 exec_lo, exec_lo, s2
	v_or_b32_sdwa v20, v12, v7 dst_sel:DWORD dst_unused:UNUSED_PAD src0_sel:DWORD src1_sel:WORD_0
	v_mov_b32_e32 v12, v18
	s_and_b32 s21, s21, exec_lo
.LBB1642_40:
	s_or_b32 exec_lo, exec_lo, s8
	v_or_b32_sdwa v21, v10, v1 dst_sel:DWORD dst_unused:UNUSED_PAD src0_sel:DWORD src1_sel:WORD_0
	v_mov_b32_e32 v13, v20
	s_and_b32 s8, s21, exec_lo
.LBB1642_41:
	s_or_b32 exec_lo, exec_lo, s7
	v_or_b32_sdwa v1, v15, v9 dst_sel:DWORD dst_unused:UNUSED_PAD src0_sel:DWORD src1_sel:WORD_0
	v_mov_b32_e32 v15, v21
	s_and_b32 s7, s8, exec_lo
.LBB1642_42:
	s_or_b32 exec_lo, exec_lo, s3
	v_or_b32_sdwa v14, v16, v14 dst_sel:DWORD dst_unused:UNUSED_PAD src0_sel:DWORD src1_sel:WORD_0
	v_mov_b32_e32 v16, v1
	s_and_b32 s3, s7, exec_lo
.LBB1642_43:
	s_or_b32 exec_lo, exec_lo, s6
	s_and_b32 vcc_lo, exec_lo, s4
	s_cbranch_vccnz .LBB1642_45
	s_branch .LBB1642_48
.LBB1642_44:
                                        ; implicit-def: $sgpr5
                                        ; implicit-def: $vgpr19
                                        ; implicit-def: $vgpr14
                                        ; implicit-def: $vgpr1
                                        ; implicit-def: $vgpr21
                                        ; implicit-def: $vgpr20
                                        ; implicit-def: $vgpr18
                                        ; implicit-def: $vgpr4
                                        ; implicit-def: $vgpr16
                                        ; implicit-def: $vgpr15
                                        ; implicit-def: $vgpr13
                                        ; implicit-def: $vgpr12
                                        ; implicit-def: $vgpr11
	s_cbranch_execz .LBB1642_48
.LBB1642_45:
	v_lshlrev_b32_e32 v3, 2, v0
	v_add_co_u32 v1, s2, s26, v3
	v_add_co_ci_u32_e64 v2, null, s27, 0, s2
	s_mov_b32 s2, exec_lo
	s_clause 0x6
	flat_load_dword v4, v[1:2]
	flat_load_dword v5, v[1:2] offset:256
	flat_load_dword v6, v[1:2] offset:512
	;; [unrolled: 1-line block ×6, first 2 shown]
	v_mov_b32_e32 v1, s26
	v_mov_b32_e32 v2, s27
	s_waitcnt vmcnt(5) lgkmcnt(5)
	ds_write2st64_b32 v3, v4, v5 offset1:1
	s_waitcnt vmcnt(3) lgkmcnt(4)
	ds_write2st64_b32 v3, v6, v7 offset0:2 offset1:3
	s_waitcnt vmcnt(1) lgkmcnt(3)
	ds_write2st64_b32 v3, v8, v9 offset0:4 offset1:5
	s_waitcnt vmcnt(0) lgkmcnt(3)
	ds_write_b32 v3, v10 offset:1536
	s_waitcnt lgkmcnt(0)
	s_barrier
	buffer_gl0_inv
	flat_load_dword v7, v[1:2] offset:1792
	v_mad_u32_u24 v9, v0, 24, v3
	ds_read_b32 v8, v9
	ds_read2_b32 v[3:4], v9 offset0:1 offset1:2
	ds_read2_b32 v[5:6], v9 offset0:3 offset1:4
	;; [unrolled: 1-line block ×3, first 2 shown]
	v_mad_i32_i24 v9, 0xffffffe8, v0, v9
	s_waitcnt lgkmcnt(3)
	ds_write_b32 v9, v8 offset:2048
	s_waitcnt vmcnt(0) lgkmcnt(0)
	s_barrier
	buffer_gl0_inv
	v_cmpx_ne_u32_e32 63, v0
; %bb.46:
	ds_read_b32 v7, v9 offset:2052
; %bb.47:
	s_or_b32 exec_lo, exec_lo, s2
	v_lshlrev_b32_e32 v12, 1, v0
	s_waitcnt lgkmcnt(0)
	s_barrier
	buffer_gl0_inv
	v_cmp_eq_u32_e32 vcc_lo, v3, v4
	v_add_co_u32 v10, s2, s29, v12
	v_add_co_ci_u32_e64 v11, null, s30, 0, s2
	v_sub_nc_u32_e32 v9, v9, v12
	v_cmp_eq_u32_e64 s2, v5, v6
	v_cmp_eq_u32_e64 s4, v1, v2
	s_clause 0x6
	flat_load_ushort v13, v[10:11]
	flat_load_ushort v14, v[10:11] offset:128
	flat_load_ushort v15, v[10:11] offset:256
	;; [unrolled: 1-line block ×6, first 2 shown]
	v_cmp_eq_u32_e64 s5, v4, v5
	v_mad_u32_u24 v12, v0, 12, v9
	v_cmp_eq_u32_e64 s3, v8, v3
	v_cmp_eq_u32_e64 s6, v6, v1
	v_cndmask_b32_e64 v3, 0x10000, 0, s4
	v_cndmask_b32_e64 v8, 0x10000, 0, s5
	s_waitcnt vmcnt(6) lgkmcnt(6)
	ds_write_b16 v9, v13
	s_waitcnt vmcnt(5) lgkmcnt(6)
	ds_write_b16 v9, v14 offset:128
	s_waitcnt vmcnt(4) lgkmcnt(6)
	ds_write_b16 v9, v15 offset:256
	;; [unrolled: 2-line block ×6, first 2 shown]
	s_waitcnt lgkmcnt(0)
	s_barrier
	buffer_gl0_inv
	ds_read_b96 v[9:11], v12
	ds_read_u16 v12, v12 offset:12
	v_cndmask_b32_e64 v13, 0x10000, 0, vcc_lo
	v_cndmask_b32_e64 v15, 0x10000, 0, s2
	v_cndmask_b32_e64 v4, 0x10000, 0, s3
	;; [unrolled: 1-line block ×3, first 2 shown]
	s_waitcnt lgkmcnt(1)
	v_cndmask_b32_sdwa v5, s28, v9, vcc_lo dst_sel:DWORD dst_unused:UNUSED_PAD src0_sel:DWORD src1_sel:WORD_1
	s_mov_b32 vcc_lo, s2
	v_cndmask_b32_e64 v6, s28, v10, s5
	v_cndmask_b32_sdwa v10, s28, v10, vcc_lo dst_sel:DWORD dst_unused:UNUSED_PAD src0_sel:DWORD src1_sel:WORD_1
	s_mov_b32 vcc_lo, s4
	v_cndmask_b32_e64 v1, s28, v9, s3
	v_cndmask_b32_e64 v9, s28, v11, s6
	v_cndmask_b32_sdwa v11, s28, v11, vcc_lo dst_sel:DWORD dst_unused:UNUSED_PAD src0_sel:DWORD src1_sel:WORD_1
	v_or_b32_sdwa v21, v8, v6 dst_sel:DWORD dst_unused:UNUSED_PAD src0_sel:DWORD src1_sel:WORD_0
	v_or_b32_sdwa v20, v15, v10 dst_sel:DWORD dst_unused:UNUSED_PAD src0_sel:DWORD src1_sel:WORD_0
	;; [unrolled: 1-line block ×6, first 2 shown]
	v_cmp_ne_u32_e64 s5, v2, v7
	v_mov_b32_e32 v15, v21
	v_mov_b32_e32 v16, v1
	;; [unrolled: 1-line block ×4, first 2 shown]
	s_waitcnt lgkmcnt(0)
	v_cndmask_b32_e64 v19, v12, s28, s5
	v_mov_b32_e32 v12, v18
	s_mov_b32 s3, -1
.LBB1642_48:
	v_mov_b32_e32 v10, 0
	s_and_saveexec_b32 s2, s3
	s_cbranch_execz .LBB1642_50
; %bb.49:
	v_cndmask_b32_e64 v2, 0, 0x10000, s5
	v_mov_b32_e32 v11, v4
	v_mov_b32_e32 v12, v18
	v_mov_b32_e32 v13, v20
	v_mov_b32_e32 v15, v21
	v_or_b32_sdwa v10, v2, v19 dst_sel:DWORD dst_unused:UNUSED_PAD src0_sel:DWORD src1_sel:WORD_0
	v_mov_b32_e32 v16, v1
.LBB1642_50:
	s_or_b32 exec_lo, exec_lo, s2
	v_or_b32_e32 v1, v11, v10
	v_cmp_gt_u32_e64 s5, 0x10000, v16
	v_and_b32_e32 v17, 0x10000, v14
	v_cmp_gt_u32_e64 s6, 0x10000, v15
	v_cmp_gt_u32_e64 s4, 0x10000, v13
	;; [unrolled: 1-line block ×4, first 2 shown]
	v_or3_b32 v18, v1, v12, v13
	v_mbcnt_lo_u32_b32 v9, -1, 0
	s_cmp_lg_u32 s19, 0
	v_cmp_gt_u32_e32 vcc_lo, 0x10000, v10
	s_barrier
	buffer_gl0_inv
	s_cbranch_scc0 .LBB1642_104
; %bb.51:
	v_cndmask_b32_e64 v1, 0, v14, s5
	v_or3_b32 v2, v18, v15, v16
	v_and_b32_e32 v3, 15, v9
	s_mov_b32 s7, exec_lo
	v_add_nc_u16 v1, v1, v16
	v_and_b32_e32 v2, 0xff0000, v2
	v_cndmask_b32_e64 v1, 0, v1, s6
	v_add_nc_u16 v1, v1, v15
	v_cndmask_b32_e64 v1, 0, v1, s4
	v_add_nc_u16 v1, v1, v13
	;; [unrolled: 2-line block ×4, first 2 shown]
	v_cndmask_b32_e32 v1, 0, v1, vcc_lo
	v_cmp_eq_u32_e32 vcc_lo, 0, v2
	v_add_nc_u16 v1, v1, v10
	v_cndmask_b32_e32 v5, 0x10000, v17, vcc_lo
	v_or_b32_sdwa v4, v5, v1 dst_sel:DWORD dst_unused:UNUSED_PAD src0_sel:DWORD src1_sel:WORD_0
	v_lshrrev_b32_e32 v2, 16, v5
	v_mov_b32_dpp v6, v4 row_shr:1 row_mask:0xf bank_mask:0xf
	v_cmpx_ne_u32_e32 0, v3
	s_cbranch_execz .LBB1642_53
; %bb.52:
	v_mov_b32_e32 v2, 1
	v_and_b32_e32 v4, 0x10000, v5
	v_cmp_eq_u32_e32 vcc_lo, 0, v5
	v_and_b32_sdwa v2, v6, v2 dst_sel:DWORD dst_unused:UNUSED_PAD src0_sel:WORD_1 src1_sel:DWORD
	v_cndmask_b32_e32 v5, 0, v6, vcc_lo
	v_cmp_ne_u32_e32 vcc_lo, 0, v4
	v_add_nc_u16 v1, v5, v1
	v_cndmask_b32_e64 v2, v2, 1, vcc_lo
	v_lshlrev_b32_e32 v4, 16, v2
	v_or_b32_sdwa v4, v4, v1 dst_sel:DWORD dst_unused:UNUSED_PAD src0_sel:DWORD src1_sel:WORD_0
.LBB1642_53:
	s_or_b32 exec_lo, exec_lo, s7
	v_lshrrev_b32_e32 v5, 16, v4
	v_mov_b32_dpp v6, v4 row_shr:2 row_mask:0xf bank_mask:0xf
	s_mov_b32 s7, exec_lo
	v_cmpx_lt_u32_e32 1, v3
	s_cbranch_execz .LBB1642_55
; %bb.54:
	v_mov_b32_e32 v2, 1
	v_and_b32_e32 v5, 0x10000, v4
	v_cmp_gt_u32_e32 vcc_lo, 0x10000, v4
	v_and_b32_sdwa v2, v6, v2 dst_sel:DWORD dst_unused:UNUSED_PAD src0_sel:WORD_1 src1_sel:DWORD
	v_cndmask_b32_e32 v4, 0, v6, vcc_lo
	v_cmp_ne_u32_e32 vcc_lo, 0, v5
	v_add_nc_u16 v1, v4, v1
	v_cndmask_b32_e64 v2, v2, 1, vcc_lo
	v_lshlrev_b32_e32 v4, 16, v2
	v_mov_b32_e32 v5, v2
	v_or_b32_sdwa v4, v4, v1 dst_sel:DWORD dst_unused:UNUSED_PAD src0_sel:DWORD src1_sel:WORD_0
.LBB1642_55:
	s_or_b32 exec_lo, exec_lo, s7
	v_mov_b32_dpp v6, v4 row_shr:4 row_mask:0xf bank_mask:0xf
	s_mov_b32 s7, exec_lo
	v_cmpx_lt_u32_e32 3, v3
	s_cbranch_execz .LBB1642_57
; %bb.56:
	v_mov_b32_e32 v2, 1
	v_and_b32_e32 v4, 1, v5
	v_cmp_eq_u16_e32 vcc_lo, 0, v5
	v_and_b32_sdwa v2, v6, v2 dst_sel:DWORD dst_unused:UNUSED_PAD src0_sel:WORD_1 src1_sel:DWORD
	v_cndmask_b32_e32 v5, 0, v6, vcc_lo
	v_cmp_eq_u32_e32 vcc_lo, 1, v4
	v_add_nc_u16 v1, v5, v1
	v_cndmask_b32_e64 v2, v2, 1, vcc_lo
	v_lshlrev_b32_e32 v4, 16, v2
	v_mov_b32_e32 v5, v2
	v_or_b32_sdwa v4, v4, v1 dst_sel:DWORD dst_unused:UNUSED_PAD src0_sel:DWORD src1_sel:WORD_0
.LBB1642_57:
	s_or_b32 exec_lo, exec_lo, s7
	v_mov_b32_dpp v6, v4 row_shr:8 row_mask:0xf bank_mask:0xf
	s_mov_b32 s7, exec_lo
	v_cmpx_lt_u32_e32 7, v3
	s_cbranch_execz .LBB1642_59
; %bb.58:
	v_mov_b32_e32 v2, 1
	v_and_b32_e32 v3, 1, v5
	v_cmp_eq_u16_e32 vcc_lo, 0, v5
	v_and_b32_sdwa v2, v6, v2 dst_sel:DWORD dst_unused:UNUSED_PAD src0_sel:WORD_1 src1_sel:DWORD
	v_cndmask_b32_e32 v4, 0, v6, vcc_lo
	v_cmp_eq_u32_e32 vcc_lo, 1, v3
	v_add_nc_u16 v1, v4, v1
	v_cndmask_b32_e64 v2, v2, 1, vcc_lo
	v_lshlrev_b32_e32 v3, 16, v2
	v_mov_b32_e32 v5, v2
	v_or_b32_sdwa v4, v3, v1 dst_sel:DWORD dst_unused:UNUSED_PAD src0_sel:DWORD src1_sel:WORD_0
.LBB1642_59:
	s_or_b32 exec_lo, exec_lo, s7
	ds_swizzle_b32 v3, v4 offset:swizzle(BROADCAST,32,15)
	v_and_b32_e32 v4, 16, v9
	s_mov_b32 s7, exec_lo
	v_cmpx_ne_u32_e32 0, v4
	s_cbranch_execz .LBB1642_61
; %bb.60:
	v_mov_b32_e32 v2, 1
	v_cmp_eq_u16_e32 vcc_lo, 0, v5
	v_and_b32_e32 v5, 1, v5
	s_waitcnt lgkmcnt(0)
	v_and_b32_sdwa v2, v3, v2 dst_sel:DWORD dst_unused:UNUSED_PAD src0_sel:WORD_1 src1_sel:DWORD
	v_cndmask_b32_e32 v4, 0, v3, vcc_lo
	v_cmp_eq_u32_e32 vcc_lo, 1, v5
	v_add_nc_u16 v1, v4, v1
	v_cndmask_b32_e64 v2, v2, 1, vcc_lo
.LBB1642_61:
	s_or_b32 exec_lo, exec_lo, s7
	s_waitcnt lgkmcnt(0)
	v_or_b32_e32 v3, 31, v0
	v_lshrrev_b32_e32 v4, 5, v0
	v_cmp_eq_u32_e32 vcc_lo, v0, v3
	v_lshlrev_b32_e32 v3, 2, v4
	s_and_saveexec_b32 s7, vcc_lo
	s_cbranch_execz .LBB1642_63
; %bb.62:
	ds_write_b16 v3, v1
	ds_write_b8 v3, v2 offset:2
.LBB1642_63:
	s_or_b32 exec_lo, exec_lo, s7
	s_mov_b32 s7, exec_lo
	s_waitcnt lgkmcnt(0)
	s_barrier
	buffer_gl0_inv
	v_cmpx_gt_u32_e32 2, v0
	s_cbranch_execz .LBB1642_67
; %bb.64:
	v_lshlrev_b32_e32 v4, 2, v0
	v_and_b32_e32 v8, 1, v9
	s_mov_b32 s8, exec_lo
	ds_read_b32 v5, v4
	s_waitcnt lgkmcnt(0)
	v_lshrrev_b32_e32 v6, 16, v5
	v_mov_b32_dpp v7, v5 row_shr:1 row_mask:0xf bank_mask:0xf
	v_cmpx_eq_u32_e32 1, v8
	s_cbranch_execz .LBB1642_66
; %bb.65:
	v_mov_b32_e32 v8, 0
	v_mov_b32_e32 v19, 1
	v_cmp_eq_u16_sdwa vcc_lo, v6, v8 src0_sel:BYTE_0 src1_sel:DWORD
	v_and_b32_e32 v8, 0x10000, v5
	v_cndmask_b32_e32 v6, 0, v7, vcc_lo
	v_and_b32_sdwa v7, v7, v19 dst_sel:DWORD dst_unused:UNUSED_PAD src0_sel:WORD_1 src1_sel:DWORD
	v_cmp_ne_u32_e32 vcc_lo, 0, v8
	v_add_nc_u16 v5, v6, v5
	v_cndmask_b32_e64 v6, v7, 1, vcc_lo
.LBB1642_66:
	s_or_b32 exec_lo, exec_lo, s8
	ds_write_b16 v4, v5
	ds_write_b8 v4, v6 offset:2
.LBB1642_67:
	s_or_b32 exec_lo, exec_lo, s7
	v_mov_b32_e32 v19, 0
	v_mov_b32_e32 v20, 0
	s_mov_b32 s8, exec_lo
	v_cmp_gt_u32_e32 vcc_lo, 32, v0
	s_waitcnt lgkmcnt(0)
	s_barrier
	buffer_gl0_inv
	v_cmpx_lt_u32_e32 31, v0
	s_cbranch_execz .LBB1642_69
; %bb.68:
	v_add_nc_u32_e32 v4, -4, v3
	v_add_nc_u32_e32 v3, -2, v3
	v_cmp_eq_u16_e64 s7, 0, v2
	v_and_b32_e32 v2, 1, v2
	ds_read_u16 v19, v4
	ds_read_u8 v20, v3
	s_waitcnt lgkmcnt(1)
	v_cndmask_b32_e64 v3, 0, v19, s7
	v_cmp_eq_u32_e64 s7, 1, v2
	v_add_nc_u16 v1, v3, v1
	s_waitcnt lgkmcnt(0)
	v_cndmask_b32_e64 v2, v20, 1, s7
.LBB1642_69:
	s_or_b32 exec_lo, exec_lo, s8
	v_sub_co_u32 v3, s7, v9, 1
	v_and_b32_e32 v2, 0xff, v2
	v_and_b32_e32 v1, 0xffff, v1
	v_cmp_gt_i32_e64 s8, 0, v3
	v_lshl_or_b32 v1, v2, 16, v1
	v_cndmask_b32_e64 v3, v3, v9, s8
	v_lshlrev_b32_e32 v2, 2, v3
	ds_bpermute_b32 v21, v2, v1
	s_and_saveexec_b32 s8, vcc_lo
	s_cbranch_execz .LBB1642_109
; %bb.70:
	v_mov_b32_e32 v6, 0
	ds_read_b32 v1, v6 offset:4
	s_and_saveexec_b32 s20, s7
	s_cbranch_execz .LBB1642_72
; %bb.71:
	s_add_i32 s26, s19, 32
	s_mov_b32 s27, 0
	v_mov_b32_e32 v2, 1
	s_lshl_b64 s[26:27], s[26:27], 3
	s_add_u32 s26, s16, s26
	s_addc_u32 s27, s17, s27
	s_waitcnt lgkmcnt(0)
	global_store_dwordx2 v6, v[1:2], s[26:27]
.LBB1642_72:
	s_or_b32 exec_lo, exec_lo, s20
	v_xad_u32 v2, v9, -1, s19
	s_mov_b32 s21, 0
	v_add_nc_u32_e32 v5, 32, v2
	v_lshlrev_b64 v[3:4], 3, v[5:6]
	v_add_co_u32 v7, vcc_lo, s16, v3
	v_add_co_ci_u32_e64 v8, null, s17, v4, vcc_lo
	global_load_dwordx2 v[4:5], v[7:8], off glc dlc
	s_waitcnt vmcnt(0)
	v_cmp_eq_u16_sdwa s26, v5, v6 src0_sel:BYTE_0 src1_sel:DWORD
	s_and_saveexec_b32 s20, s26
	s_cbranch_execz .LBB1642_76
; %bb.73:
	v_mov_b32_e32 v3, 0
.LBB1642_74:                            ; =>This Inner Loop Header: Depth=1
	global_load_dwordx2 v[4:5], v[7:8], off glc dlc
	s_waitcnt vmcnt(0)
	v_cmp_ne_u16_sdwa s26, v5, v3 src0_sel:BYTE_0 src1_sel:DWORD
	s_or_b32 s21, s26, s21
	s_andn2_b32 exec_lo, exec_lo, s21
	s_cbranch_execnz .LBB1642_74
; %bb.75:
	s_or_b32 exec_lo, exec_lo, s21
.LBB1642_76:
	s_or_b32 exec_lo, exec_lo, s20
	v_cmp_ne_u32_e32 vcc_lo, 31, v9
	v_and_b32_e32 v29, 0xffffff, v4
	v_mov_b32_e32 v6, 2
	v_lshlrev_b32_e64 v22, v9, -1
	v_bfe_u32 v7, v4, 16, 8
	v_add_co_ci_u32_e64 v3, null, 0, v9, vcc_lo
	v_cmp_eq_u16_sdwa s20, v5, v6 src0_sel:BYTE_0 src1_sel:DWORD
	v_lshrrev_b32_e32 v6, 16, v4
	v_lshlrev_b32_e32 v8, 2, v3
	v_and_or_b32 v3, s20, v22, 0x80000000
	s_mov_b32 s20, exec_lo
	ds_bpermute_b32 v23, v8, v29
	v_ffbl_b32_e32 v3, v3
	v_cmpx_lt_u32_e64 v9, v3
	s_cbranch_execz .LBB1642_78
; %bb.77:
	v_and_b32_e32 v6, 0xff0000, v4
	v_mov_b32_e32 v7, 1
	v_and_b32_e32 v24, 0x10000, v6
	v_cmp_eq_u32_e32 vcc_lo, 0, v6
	s_waitcnt lgkmcnt(0)
	v_and_b32_sdwa v7, v23, v7 dst_sel:DWORD dst_unused:UNUSED_PAD src0_sel:WORD_1 src1_sel:DWORD
	v_cndmask_b32_e32 v23, 0, v23, vcc_lo
	v_cmp_ne_u32_e32 vcc_lo, 0, v24
	v_add_nc_u16 v4, v23, v4
	v_cndmask_b32_e64 v6, v7, 1, vcc_lo
	v_lshlrev_b32_e32 v7, 16, v6
	v_or_b32_sdwa v29, v7, v4 dst_sel:DWORD dst_unused:UNUSED_PAD src0_sel:DWORD src1_sel:WORD_0
	v_mov_b32_e32 v7, v6
.LBB1642_78:
	s_or_b32 exec_lo, exec_lo, s20
	v_cmp_gt_u32_e32 vcc_lo, 30, v9
	v_add_nc_u32_e32 v24, 2, v9
	s_mov_b32 s20, exec_lo
	s_waitcnt lgkmcnt(0)
	v_cndmask_b32_e64 v23, 0, 2, vcc_lo
	v_add_lshl_u32 v23, v23, v9, 2
	ds_bpermute_b32 v25, v23, v29
	v_cmpx_le_u32_e64 v24, v3
	s_cbranch_execz .LBB1642_80
; %bb.79:
	v_mov_b32_e32 v6, 1
	v_and_b32_e32 v26, 1, v7
	v_cmp_eq_u16_e32 vcc_lo, 0, v7
	s_waitcnt lgkmcnt(0)
	v_and_b32_sdwa v6, v25, v6 dst_sel:DWORD dst_unused:UNUSED_PAD src0_sel:WORD_1 src1_sel:DWORD
	v_cndmask_b32_e32 v7, 0, v25, vcc_lo
	v_cmp_eq_u32_e32 vcc_lo, 1, v26
	v_add_nc_u16 v4, v7, v4
	v_cndmask_b32_e64 v6, v6, 1, vcc_lo
	v_lshlrev_b32_e32 v7, 16, v6
	v_or_b32_sdwa v29, v7, v4 dst_sel:DWORD dst_unused:UNUSED_PAD src0_sel:DWORD src1_sel:WORD_0
	v_mov_b32_e32 v7, v6
.LBB1642_80:
	s_or_b32 exec_lo, exec_lo, s20
	v_cmp_gt_u32_e32 vcc_lo, 28, v9
	v_add_nc_u32_e32 v26, 4, v9
	s_mov_b32 s20, exec_lo
	s_waitcnt lgkmcnt(0)
	v_cndmask_b32_e64 v25, 0, 4, vcc_lo
	v_add_lshl_u32 v25, v25, v9, 2
	ds_bpermute_b32 v27, v25, v29
	v_cmpx_le_u32_e64 v26, v3
	s_cbranch_execz .LBB1642_82
; %bb.81:
	v_mov_b32_e32 v6, 1
	v_and_b32_e32 v28, 1, v7
	v_cmp_eq_u16_e32 vcc_lo, 0, v7
	s_waitcnt lgkmcnt(0)
	v_and_b32_sdwa v6, v27, v6 dst_sel:DWORD dst_unused:UNUSED_PAD src0_sel:WORD_1 src1_sel:DWORD
	v_cndmask_b32_e32 v7, 0, v27, vcc_lo
	v_cmp_eq_u32_e32 vcc_lo, 1, v28
	v_add_nc_u16 v4, v7, v4
	v_cndmask_b32_e64 v6, v6, 1, vcc_lo
	v_lshlrev_b32_e32 v7, 16, v6
	v_or_b32_sdwa v29, v7, v4 dst_sel:DWORD dst_unused:UNUSED_PAD src0_sel:DWORD src1_sel:WORD_0
	v_mov_b32_e32 v7, v6
.LBB1642_82:
	;; [unrolled: 24-line block ×3, first 2 shown]
	s_or_b32 exec_lo, exec_lo, s20
	v_lshl_or_b32 v31, v9, 2, 64
	v_add_nc_u32_e32 v32, 16, v9
	s_mov_b32 s20, exec_lo
	ds_bpermute_b32 v29, v31, v29
	v_cmpx_le_u32_e64 v32, v3
	s_cbranch_execz .LBB1642_86
; %bb.85:
	v_mov_b32_e32 v3, 1
	v_cmp_eq_u16_e32 vcc_lo, 0, v7
	v_and_b32_e32 v7, 1, v7
	s_waitcnt lgkmcnt(0)
	v_and_b32_sdwa v3, v29, v3 dst_sel:DWORD dst_unused:UNUSED_PAD src0_sel:WORD_1 src1_sel:DWORD
	v_cndmask_b32_e32 v6, 0, v29, vcc_lo
	v_cmp_eq_u32_e32 vcc_lo, 1, v7
	v_add_nc_u16 v4, v6, v4
	v_cndmask_b32_e64 v6, v3, 1, vcc_lo
.LBB1642_86:
	s_or_b32 exec_lo, exec_lo, s20
	v_mov_b32_e32 v3, 0
	v_mov_b32_e32 v33, 2
	;; [unrolled: 1-line block ×3, first 2 shown]
	s_branch .LBB1642_89
.LBB1642_87:                            ;   in Loop: Header=BB1642_89 Depth=1
	s_or_b32 exec_lo, exec_lo, s20
	v_cmp_eq_u16_sdwa vcc_lo, v29, v3 src0_sel:BYTE_0 src1_sel:DWORD
	v_and_b32_e32 v6, 1, v29
	v_and_b32_e32 v7, 1, v7
	v_subrev_nc_u32_e32 v2, 32, v2
	s_mov_b32 s20, 0
	v_cndmask_b32_e32 v4, 0, v4, vcc_lo
	v_cmp_eq_u32_e32 vcc_lo, 1, v6
	v_add_nc_u16 v4, v4, v30
	v_cndmask_b32_e64 v6, v7, 1, vcc_lo
.LBB1642_88:                            ;   in Loop: Header=BB1642_89 Depth=1
	s_and_b32 vcc_lo, exec_lo, s20
	s_cbranch_vccnz .LBB1642_105
.LBB1642_89:                            ; =>This Loop Header: Depth=1
                                        ;     Child Loop BB1642_92 Depth 2
	v_cmp_ne_u16_sdwa s20, v5, v33 src0_sel:BYTE_0 src1_sel:DWORD
	s_waitcnt lgkmcnt(0)
	v_mov_b32_e32 v29, v6
	v_mov_b32_e32 v30, v4
                                        ; implicit-def: $vgpr6
                                        ; implicit-def: $vgpr4
	s_cmp_lg_u32 s20, exec_lo
	s_mov_b32 s20, -1
	s_cbranch_scc1 .LBB1642_88
; %bb.90:                               ;   in Loop: Header=BB1642_89 Depth=1
	v_lshlrev_b64 v[4:5], 3, v[2:3]
	v_add_co_u32 v6, vcc_lo, s16, v4
	v_add_co_ci_u32_e64 v7, null, s17, v5, vcc_lo
	global_load_dwordx2 v[4:5], v[6:7], off glc dlc
	s_waitcnt vmcnt(0)
	v_cmp_eq_u16_sdwa s21, v5, v3 src0_sel:BYTE_0 src1_sel:DWORD
	s_and_saveexec_b32 s20, s21
	s_cbranch_execz .LBB1642_94
; %bb.91:                               ;   in Loop: Header=BB1642_89 Depth=1
	s_mov_b32 s21, 0
.LBB1642_92:                            ;   Parent Loop BB1642_89 Depth=1
                                        ; =>  This Inner Loop Header: Depth=2
	global_load_dwordx2 v[4:5], v[6:7], off glc dlc
	s_waitcnt vmcnt(0)
	v_cmp_ne_u16_sdwa s26, v5, v3 src0_sel:BYTE_0 src1_sel:DWORD
	s_or_b32 s21, s26, s21
	s_andn2_b32 exec_lo, exec_lo, s21
	s_cbranch_execnz .LBB1642_92
; %bb.93:                               ;   in Loop: Header=BB1642_89 Depth=1
	s_or_b32 exec_lo, exec_lo, s21
.LBB1642_94:                            ;   in Loop: Header=BB1642_89 Depth=1
	s_or_b32 exec_lo, exec_lo, s20
	v_and_b32_e32 v36, 0xffffff, v4
	v_cmp_eq_u16_sdwa s20, v5, v33 src0_sel:BYTE_0 src1_sel:DWORD
	v_lshrrev_b32_e32 v7, 16, v4
	v_bfe_u32 v35, v4, 16, 8
	ds_bpermute_b32 v37, v8, v36
	v_and_or_b32 v6, s20, v22, 0x80000000
	s_mov_b32 s20, exec_lo
	v_ffbl_b32_e32 v6, v6
	v_cmpx_lt_u32_e64 v9, v6
	s_cbranch_execz .LBB1642_96
; %bb.95:                               ;   in Loop: Header=BB1642_89 Depth=1
	v_and_b32_e32 v7, 0xff0000, v4
	s_waitcnt lgkmcnt(0)
	v_and_b32_sdwa v36, v37, v34 dst_sel:DWORD dst_unused:UNUSED_PAD src0_sel:WORD_1 src1_sel:DWORD
	v_and_b32_e32 v35, 0x10000, v7
	v_cmp_eq_u32_e32 vcc_lo, 0, v7
	v_cndmask_b32_e32 v37, 0, v37, vcc_lo
	v_cmp_ne_u32_e32 vcc_lo, 0, v35
	v_add_nc_u16 v4, v37, v4
	v_cndmask_b32_e64 v7, v36, 1, vcc_lo
	v_lshlrev_b32_e32 v35, 16, v7
	v_or_b32_sdwa v36, v35, v4 dst_sel:DWORD dst_unused:UNUSED_PAD src0_sel:DWORD src1_sel:WORD_0
	v_mov_b32_e32 v35, v7
.LBB1642_96:                            ;   in Loop: Header=BB1642_89 Depth=1
	s_or_b32 exec_lo, exec_lo, s20
	s_waitcnt lgkmcnt(0)
	ds_bpermute_b32 v37, v23, v36
	s_mov_b32 s20, exec_lo
	v_cmpx_le_u32_e64 v24, v6
	s_cbranch_execz .LBB1642_98
; %bb.97:                               ;   in Loop: Header=BB1642_89 Depth=1
	v_and_b32_e32 v7, 1, v35
	v_cmp_eq_u16_e32 vcc_lo, 0, v35
	s_waitcnt lgkmcnt(0)
	v_and_b32_sdwa v36, v37, v34 dst_sel:DWORD dst_unused:UNUSED_PAD src0_sel:WORD_1 src1_sel:DWORD
	v_cndmask_b32_e32 v35, 0, v37, vcc_lo
	v_cmp_eq_u32_e32 vcc_lo, 1, v7
	v_add_nc_u16 v4, v35, v4
	v_cndmask_b32_e64 v7, v36, 1, vcc_lo
	v_lshlrev_b32_e32 v35, 16, v7
	v_or_b32_sdwa v36, v35, v4 dst_sel:DWORD dst_unused:UNUSED_PAD src0_sel:DWORD src1_sel:WORD_0
	v_mov_b32_e32 v35, v7
.LBB1642_98:                            ;   in Loop: Header=BB1642_89 Depth=1
	s_or_b32 exec_lo, exec_lo, s20
	s_waitcnt lgkmcnt(0)
	ds_bpermute_b32 v37, v25, v36
	s_mov_b32 s20, exec_lo
	v_cmpx_le_u32_e64 v26, v6
	s_cbranch_execz .LBB1642_100
; %bb.99:                               ;   in Loop: Header=BB1642_89 Depth=1
	v_and_b32_e32 v7, 1, v35
	v_cmp_eq_u16_e32 vcc_lo, 0, v35
	s_waitcnt lgkmcnt(0)
	v_and_b32_sdwa v36, v37, v34 dst_sel:DWORD dst_unused:UNUSED_PAD src0_sel:WORD_1 src1_sel:DWORD
	v_cndmask_b32_e32 v35, 0, v37, vcc_lo
	v_cmp_eq_u32_e32 vcc_lo, 1, v7
	v_add_nc_u16 v4, v35, v4
	v_cndmask_b32_e64 v7, v36, 1, vcc_lo
	v_lshlrev_b32_e32 v35, 16, v7
	v_or_b32_sdwa v36, v35, v4 dst_sel:DWORD dst_unused:UNUSED_PAD src0_sel:DWORD src1_sel:WORD_0
	v_mov_b32_e32 v35, v7
.LBB1642_100:                           ;   in Loop: Header=BB1642_89 Depth=1
	s_or_b32 exec_lo, exec_lo, s20
	s_waitcnt lgkmcnt(0)
	ds_bpermute_b32 v37, v27, v36
	s_mov_b32 s20, exec_lo
	v_cmpx_le_u32_e64 v28, v6
	s_cbranch_execz .LBB1642_102
; %bb.101:                              ;   in Loop: Header=BB1642_89 Depth=1
	v_and_b32_e32 v7, 1, v35
	v_cmp_eq_u16_e32 vcc_lo, 0, v35
	s_waitcnt lgkmcnt(0)
	v_and_b32_sdwa v36, v37, v34 dst_sel:DWORD dst_unused:UNUSED_PAD src0_sel:WORD_1 src1_sel:DWORD
	v_cndmask_b32_e32 v35, 0, v37, vcc_lo
	v_cmp_eq_u32_e32 vcc_lo, 1, v7
	v_add_nc_u16 v4, v35, v4
	v_cndmask_b32_e64 v7, v36, 1, vcc_lo
	v_lshlrev_b32_e32 v35, 16, v7
	v_or_b32_sdwa v36, v35, v4 dst_sel:DWORD dst_unused:UNUSED_PAD src0_sel:DWORD src1_sel:WORD_0
	v_mov_b32_e32 v35, v7
.LBB1642_102:                           ;   in Loop: Header=BB1642_89 Depth=1
	s_or_b32 exec_lo, exec_lo, s20
	ds_bpermute_b32 v36, v31, v36
	s_mov_b32 s20, exec_lo
	v_cmpx_le_u32_e64 v32, v6
	s_cbranch_execz .LBB1642_87
; %bb.103:                              ;   in Loop: Header=BB1642_89 Depth=1
	v_cmp_eq_u16_e32 vcc_lo, 0, v35
	v_and_b32_e32 v7, 1, v35
	s_waitcnt lgkmcnt(0)
	v_lshrrev_b32_e32 v35, 16, v36
	v_cndmask_b32_e32 v6, 0, v36, vcc_lo
	v_cmp_eq_u32_e32 vcc_lo, 1, v7
	v_add_nc_u16 v4, v6, v4
	v_cndmask_b32_e64 v7, v35, 1, vcc_lo
	s_branch .LBB1642_87
.LBB1642_104:
                                        ; implicit-def: $vgpr5
                                        ; implicit-def: $vgpr4
                                        ; implicit-def: $vgpr6
                                        ; implicit-def: $vgpr7
                                        ; implicit-def: $vgpr8
                                        ; implicit-def: $vgpr19
                                        ; implicit-def: $vgpr20
	s_cbranch_execnz .LBB1642_110
	s_branch .LBB1642_133
.LBB1642_105:
	s_and_saveexec_b32 s20, s7
	s_cbranch_execz .LBB1642_107
; %bb.106:
	v_and_b32_e32 v2, 0xff0000, v1
	v_mov_b32_e32 v3, 1
	v_and_b32_e32 v4, 0x10000, v1
	s_mov_b32 s27, 0
	s_add_i32 s26, s19, 32
	v_cmp_eq_u32_e32 vcc_lo, 0, v2
	v_and_b32_sdwa v3, v29, v3 dst_sel:WORD_1 dst_unused:UNUSED_PAD src0_sel:DWORD src1_sel:DWORD
	s_lshl_b64 s[26:27], s[26:27], 3
	s_add_u32 s26, s16, s26
	v_cndmask_b32_e32 v2, 0, v30, vcc_lo
	v_cmp_eq_u32_e32 vcc_lo, 0, v4
	s_addc_u32 s27, s17, s27
	v_add_nc_u16 v1, v2, v1
	v_cndmask_b32_e32 v2, 0x10000, v3, vcc_lo
	v_mov_b32_e32 v3, 0
	v_or_b32_sdwa v1, v2, v1 dst_sel:DWORD dst_unused:UNUSED_PAD src0_sel:DWORD src1_sel:WORD_0
	v_mov_b32_e32 v2, 2
	global_store_dwordx2 v3, v[1:2], s[26:27]
.LBB1642_107:
	s_or_b32 exec_lo, exec_lo, s20
	s_and_b32 exec_lo, exec_lo, s0
	s_cbranch_execz .LBB1642_109
; %bb.108:
	v_mov_b32_e32 v1, 0
	ds_write_b16 v1, v30 offset:4
	ds_write_b8 v1, v29 offset:6
.LBB1642_109:
	s_or_b32 exec_lo, exec_lo, s8
	v_mov_b32_e32 v1, 0
	s_waitcnt lgkmcnt(0)
	s_waitcnt_vscnt null, 0x0
	s_barrier
	buffer_gl0_inv
	s_mov_b32 vcc_lo, s7
	ds_read_b32 v2, v1 offset:4
	v_cndmask_b32_sdwa v3, v21, v20, vcc_lo dst_sel:DWORD dst_unused:UNUSED_PAD src0_sel:WORD_1 src1_sel:DWORD
	v_cndmask_b32_e64 v4, v21, v19, s7
	v_cmp_eq_u16_sdwa vcc_lo, v3, v1 src0_sel:BYTE_0 src1_sel:DWORD
	v_and_b32_e32 v3, 0xff0000, v14
	s_waitcnt lgkmcnt(0)
	v_cndmask_b32_e32 v1, 0, v2, vcc_lo
	v_cmp_eq_u32_e32 vcc_lo, 0, v3
	v_add_nc_u16 v1, v1, v4
	v_cndmask_b32_e64 v5, v1, v2, s0
	v_cndmask_b32_e32 v1, 0, v5, vcc_lo
	v_add_nc_u16 v4, v1, v14
	v_cndmask_b32_e64 v1, 0, v4, s5
	v_add_nc_u16 v6, v1, v16
	v_cndmask_b32_e64 v1, 0, v6, s6
	;; [unrolled: 2-line block ×5, first 2 shown]
	v_add_nc_u16 v20, v1, v11
	s_branch .LBB1642_133
.LBB1642_110:
	s_cmp_eq_u64 s[24:25], 0
	v_mov_b32_e32 v1, s28
	s_cselect_b32 s2, -1, 0
	s_cmp_eq_u64 s[22:23], 0
	s_cselect_b32 s3, -1, 0
	s_or_b32 s2, s2, s3
	s_and_b32 vcc_lo, exec_lo, s2
	s_cbranch_vccnz .LBB1642_112
; %bb.111:
	v_mov_b32_e32 v1, 0
	global_load_ushort v1, v1, s[22:23]
.LBB1642_112:
	v_cmp_gt_u32_e32 vcc_lo, 0x10000, v16
	v_cmp_gt_u32_e64 s2, 0x10000, v15
	v_cmp_gt_u32_e64 s3, 0x10000, v13
	;; [unrolled: 1-line block ×4, first 2 shown]
	v_cndmask_b32_e32 v2, 0, v14, vcc_lo
	v_or3_b32 v3, v18, v15, v16
	v_cmp_gt_u32_e64 s6, 0x10000, v10
	v_and_b32_e32 v4, 15, v9
	s_mov_b32 s7, exec_lo
	v_add_nc_u16 v2, v2, v16
	v_and_b32_e32 v3, 0xff0000, v3
	v_cndmask_b32_e64 v2, 0, v2, s2
	v_add_nc_u16 v2, v2, v15
	v_cndmask_b32_e64 v2, 0, v2, s3
	v_add_nc_u16 v2, v2, v13
	;; [unrolled: 2-line block ×4, first 2 shown]
	v_cndmask_b32_e64 v2, 0, v2, s6
	v_cmp_eq_u32_e64 s6, 0, v3
	v_add_nc_u16 v2, v2, v10
	v_cndmask_b32_e64 v5, 0x10000, v17, s6
	v_or_b32_sdwa v6, v5, v2 dst_sel:DWORD dst_unused:UNUSED_PAD src0_sel:DWORD src1_sel:WORD_0
	v_lshrrev_b32_e32 v3, 16, v5
	v_mov_b32_dpp v7, v6 row_shr:1 row_mask:0xf bank_mask:0xf
	v_cmpx_ne_u32_e32 0, v4
	s_cbranch_execz .LBB1642_114
; %bb.113:
	v_mov_b32_e32 v3, 1
	v_and_b32_e32 v6, 0x10000, v5
	v_cmp_eq_u32_e64 s6, 0, v5
	v_and_b32_sdwa v3, v7, v3 dst_sel:DWORD dst_unused:UNUSED_PAD src0_sel:WORD_1 src1_sel:DWORD
	v_cndmask_b32_e64 v5, 0, v7, s6
	v_cmp_ne_u32_e64 s6, 0, v6
	v_add_nc_u16 v2, v5, v2
	v_cndmask_b32_e64 v3, v3, 1, s6
	v_lshlrev_b32_e32 v5, 16, v3
	v_or_b32_sdwa v6, v5, v2 dst_sel:DWORD dst_unused:UNUSED_PAD src0_sel:DWORD src1_sel:WORD_0
.LBB1642_114:
	s_or_b32 exec_lo, exec_lo, s7
	v_lshrrev_b32_e32 v5, 16, v6
	v_mov_b32_dpp v7, v6 row_shr:2 row_mask:0xf bank_mask:0xf
	s_mov_b32 s7, exec_lo
	v_cmpx_lt_u32_e32 1, v4
	s_cbranch_execz .LBB1642_116
; %bb.115:
	v_mov_b32_e32 v3, 1
	v_and_b32_e32 v5, 0x10000, v6
	v_cmp_gt_u32_e64 s6, 0x10000, v6
	v_and_b32_sdwa v3, v7, v3 dst_sel:DWORD dst_unused:UNUSED_PAD src0_sel:WORD_1 src1_sel:DWORD
	v_cndmask_b32_e64 v6, 0, v7, s6
	v_cmp_ne_u32_e64 s6, 0, v5
	v_add_nc_u16 v2, v6, v2
	v_cndmask_b32_e64 v3, v3, 1, s6
	v_lshlrev_b32_e32 v5, 16, v3
	v_or_b32_sdwa v6, v5, v2 dst_sel:DWORD dst_unused:UNUSED_PAD src0_sel:DWORD src1_sel:WORD_0
	v_mov_b32_e32 v5, v3
.LBB1642_116:
	s_or_b32 exec_lo, exec_lo, s7
	v_mov_b32_dpp v7, v6 row_shr:4 row_mask:0xf bank_mask:0xf
	s_mov_b32 s7, exec_lo
	v_cmpx_lt_u32_e32 3, v4
	s_cbranch_execz .LBB1642_118
; %bb.117:
	v_mov_b32_e32 v3, 1
	v_and_b32_e32 v6, 1, v5
	v_cmp_eq_u16_e64 s6, 0, v5
	v_and_b32_sdwa v3, v7, v3 dst_sel:DWORD dst_unused:UNUSED_PAD src0_sel:WORD_1 src1_sel:DWORD
	v_cndmask_b32_e64 v5, 0, v7, s6
	v_cmp_eq_u32_e64 s6, 1, v6
	v_add_nc_u16 v2, v5, v2
	v_cndmask_b32_e64 v3, v3, 1, s6
	v_lshlrev_b32_e32 v5, 16, v3
	v_or_b32_sdwa v6, v5, v2 dst_sel:DWORD dst_unused:UNUSED_PAD src0_sel:DWORD src1_sel:WORD_0
	v_mov_b32_e32 v5, v3
.LBB1642_118:
	s_or_b32 exec_lo, exec_lo, s7
	v_mov_b32_dpp v7, v6 row_shr:8 row_mask:0xf bank_mask:0xf
	s_mov_b32 s7, exec_lo
	v_cmpx_lt_u32_e32 7, v4
	s_cbranch_execz .LBB1642_120
; %bb.119:
	v_mov_b32_e32 v3, 1
	v_and_b32_e32 v4, 1, v5
	v_cmp_eq_u16_e64 s6, 0, v5
	v_and_b32_sdwa v3, v7, v3 dst_sel:DWORD dst_unused:UNUSED_PAD src0_sel:WORD_1 src1_sel:DWORD
	v_cndmask_b32_e64 v5, 0, v7, s6
	v_cmp_eq_u32_e64 s6, 1, v4
	v_add_nc_u16 v2, v5, v2
	v_cndmask_b32_e64 v3, v3, 1, s6
	v_lshlrev_b32_e32 v4, 16, v3
	v_mov_b32_e32 v5, v3
	v_or_b32_sdwa v6, v4, v2 dst_sel:DWORD dst_unused:UNUSED_PAD src0_sel:DWORD src1_sel:WORD_0
.LBB1642_120:
	s_or_b32 exec_lo, exec_lo, s7
	ds_swizzle_b32 v4, v6 offset:swizzle(BROADCAST,32,15)
	v_and_b32_e32 v6, 16, v9
	s_mov_b32 s7, exec_lo
	v_cmpx_ne_u32_e32 0, v6
	s_cbranch_execz .LBB1642_122
; %bb.121:
	v_mov_b32_e32 v3, 1
	v_cmp_eq_u16_e64 s6, 0, v5
	v_and_b32_e32 v5, 1, v5
	s_waitcnt lgkmcnt(0)
	v_and_b32_sdwa v3, v4, v3 dst_sel:DWORD dst_unused:UNUSED_PAD src0_sel:WORD_1 src1_sel:DWORD
	v_cndmask_b32_e64 v6, 0, v4, s6
	v_cmp_eq_u32_e64 s6, 1, v5
	v_add_nc_u16 v2, v6, v2
	v_cndmask_b32_e64 v3, v3, 1, s6
.LBB1642_122:
	s_or_b32 exec_lo, exec_lo, s7
	s_waitcnt lgkmcnt(0)
	v_or_b32_e32 v4, 31, v0
	v_lshrrev_b32_e32 v5, 5, v0
	v_cmp_eq_u32_e64 s6, v0, v4
	v_lshlrev_b32_e32 v4, 2, v5
	s_and_saveexec_b32 s7, s6
	s_cbranch_execz .LBB1642_124
; %bb.123:
	ds_write_b16 v4, v2
	ds_write_b8 v4, v3 offset:2
.LBB1642_124:
	s_or_b32 exec_lo, exec_lo, s7
	s_mov_b32 s7, exec_lo
	s_waitcnt vmcnt(0) lgkmcnt(0)
	s_barrier
	buffer_gl0_inv
	v_cmpx_gt_u32_e32 2, v0
	s_cbranch_execz .LBB1642_128
; %bb.125:
	v_lshlrev_b32_e32 v5, 2, v0
	v_and_b32_e32 v10, 1, v9
	s_mov_b32 s8, exec_lo
	ds_read_b32 v6, v5
	s_waitcnt lgkmcnt(0)
	v_lshrrev_b32_e32 v7, 16, v6
	v_mov_b32_dpp v8, v6 row_shr:1 row_mask:0xf bank_mask:0xf
	v_cmpx_eq_u32_e32 1, v10
	s_cbranch_execz .LBB1642_127
; %bb.126:
	v_mov_b32_e32 v10, 0
	v_mov_b32_e32 v17, 1
	v_cmp_eq_u16_sdwa s6, v7, v10 src0_sel:BYTE_0 src1_sel:DWORD
	v_and_b32_e32 v10, 0x10000, v6
	v_cndmask_b32_e64 v7, 0, v8, s6
	v_and_b32_sdwa v8, v8, v17 dst_sel:DWORD dst_unused:UNUSED_PAD src0_sel:WORD_1 src1_sel:DWORD
	v_cmp_ne_u32_e64 s6, 0, v10
	v_add_nc_u16 v6, v7, v6
	v_cndmask_b32_e64 v7, v8, 1, s6
.LBB1642_127:
	s_or_b32 exec_lo, exec_lo, s8
	ds_write_b16 v5, v6
	ds_write_b8 v5, v7 offset:2
.LBB1642_128:
	s_or_b32 exec_lo, exec_lo, s7
	v_mov_b32_e32 v6, 0
	v_mov_b32_e32 v5, v1
	s_mov_b32 s7, exec_lo
	s_waitcnt lgkmcnt(0)
	s_barrier
	buffer_gl0_inv
	v_cmpx_lt_u32_e32 31, v0
	s_cbranch_execz .LBB1642_130
; %bb.129:
	v_add_nc_u32_e32 v5, -2, v4
	v_add_nc_u32_e32 v4, -4, v4
	ds_read_u8 v6, v5
	ds_read_u16 v4, v4
	s_waitcnt lgkmcnt(1)
	v_cmp_eq_u32_e64 s6, 0, v6
	v_lshlrev_b32_e32 v6, 16, v6
	v_cndmask_b32_e64 v5, 0, v1, s6
	s_waitcnt lgkmcnt(0)
	v_add_nc_u16 v5, v5, v4
.LBB1642_130:
	s_or_b32 exec_lo, exec_lo, s7
	v_cmp_eq_u16_e64 s6, 0, v3
	v_and_b32_e32 v3, 1, v3
	v_cndmask_b32_e64 v4, 0, v5, s6
	v_sub_co_u32 v7, s6, v9, 1
	v_cmp_eq_u32_e64 s7, 1, v3
	v_add_nc_u16 v2, v4, v2
	v_cndmask_b32_e64 v3, v6, 0x10000, s7
	v_cmp_gt_i32_e64 s7, 0, v7
	v_or_b32_sdwa v2, v3, v2 dst_sel:DWORD dst_unused:UNUSED_PAD src0_sel:DWORD src1_sel:WORD_0
	v_cndmask_b32_e64 v4, v7, v9, s7
	v_lshlrev_b32_e32 v3, 2, v4
	ds_bpermute_b32 v2, v3, v2
	s_waitcnt lgkmcnt(0)
	v_cndmask_b32_e64 v5, v2, v5, s6
	v_and_b32_e32 v2, 0xff0000, v14
	v_cndmask_b32_e64 v3, v5, v1, s0
	v_cmp_eq_u32_e64 s6, 0, v2
	v_cndmask_b32_e64 v2, 0, v3, s6
	v_add_nc_u16 v4, v2, v14
	v_cndmask_b32_e32 v2, 0, v4, vcc_lo
	v_add_nc_u16 v6, v2, v16
	v_cndmask_b32_e64 v2, 0, v6, s2
	v_add_nc_u16 v7, v2, v15
	v_cndmask_b32_e64 v2, 0, v7, s3
	;; [unrolled: 2-line block ×4, first 2 shown]
	s_and_saveexec_b32 s2, s0
	s_cbranch_execz .LBB1642_132
; %bb.131:
	v_mov_b32_e32 v3, 0
	ds_read_u8 v5, v3 offset:6
	ds_read_u16 v9, v3 offset:4
	s_waitcnt lgkmcnt(1)
	v_cmp_eq_u32_e32 vcc_lo, 0, v5
	v_lshlrev_b32_e32 v5, 16, v5
	v_cndmask_b32_e32 v10, 0, v1, vcc_lo
	s_waitcnt lgkmcnt(0)
	v_add_nc_u32_e32 v9, v10, v9
	v_mov_b32_e32 v10, 2
	v_or_b32_sdwa v9, v5, v9 dst_sel:DWORD dst_unused:UNUSED_PAD src0_sel:DWORD src1_sel:WORD_0
	v_mov_b32_e32 v5, v1
	global_store_dwordx2 v3, v[9:10], s[16:17] offset:256
.LBB1642_132:
	s_or_b32 exec_lo, exec_lo, s2
	v_add_nc_u16 v20, v2, v11
.LBB1642_133:
	s_add_u32 s0, s14, s10
	v_mov_b32_e32 v10, 0
	s_addc_u32 s2, s15, s11
	s_add_u32 s0, s0, s12
	s_addc_u32 s2, s2, s13
	s_and_b32 vcc_lo, exec_lo, s1
	s_cbranch_vccz .LBB1642_161
; %bb.134:
	v_mov_b32_e32 v1, 0
	v_mul_u32_u24_e32 v9, 7, v0
	s_add_i32 s9, s9, s18
	s_mov_b32 s1, exec_lo
	v_mov_b32_e32 v2, v1
	v_mov_b32_e32 v3, v1
	v_cmpx_gt_u32_e64 s9, v9
	s_cbranch_execz .LBB1642_148
; %bb.135:
	v_add_nc_u32_e32 v3, 1, v9
	v_and_b32_e32 v1, 0xffff, v5
	v_mov_b32_e32 v10, 0
	v_mov_b32_e32 v2, 0
	v_cmp_gt_u32_e32 vcc_lo, s9, v3
	v_mov_b32_e32 v3, 0
	s_and_saveexec_b32 s3, vcc_lo
	s_cbranch_execz .LBB1642_147
; %bb.136:
	v_add_nc_u32_e32 v10, 2, v9
	v_perm_b32 v1, v4, v1, 0x5040100
	v_mov_b32_e32 v3, 0
	v_mov_b32_e32 v2, 0
	v_cmp_gt_u32_e32 vcc_lo, s9, v10
	v_mov_b32_e32 v10, 0
	s_and_saveexec_b32 s4, vcc_lo
	s_cbranch_execz .LBB1642_146
; %bb.137:
	v_add_nc_u32_e32 v10, 3, v9
	v_bfi_b32 v2, 0xffff, v6, 0
	v_mov_b32_e32 v3, 0
	v_cmp_gt_u32_e32 vcc_lo, s9, v10
	v_mov_b32_e32 v10, 0
	s_and_saveexec_b32 s5, vcc_lo
	s_cbranch_execz .LBB1642_145
; %bb.138:
	v_add_nc_u32_e32 v10, 4, v9
	v_perm_b32 v2, v7, v2, 0x5040100
	v_mov_b32_e32 v3, 0
	v_cmp_gt_u32_e32 vcc_lo, s9, v10
	v_mov_b32_e32 v10, 0
	s_and_saveexec_b32 s6, vcc_lo
	s_cbranch_execz .LBB1642_144
; %bb.139:
	v_add_nc_u32_e32 v10, 5, v9
	v_bfi_b32 v3, 0xffff, v8, 0
	v_cmp_gt_u32_e32 vcc_lo, s9, v10
	v_mov_b32_e32 v10, 0
	s_and_saveexec_b32 s7, vcc_lo
	s_cbranch_execz .LBB1642_143
; %bb.140:
	v_add_nc_u32_e32 v10, 6, v9
	v_perm_b32 v3, v19, v3, 0x5040100
	v_cmp_gt_u32_e32 vcc_lo, s9, v10
	v_mov_b32_e32 v10, 0
	s_and_saveexec_b32 s8, vcc_lo
; %bb.141:
	v_mov_b32_e32 v10, v20
; %bb.142:
	s_or_b32 exec_lo, exec_lo, s8
.LBB1642_143:
	s_or_b32 exec_lo, exec_lo, s7
.LBB1642_144:
	s_or_b32 exec_lo, exec_lo, s6
.LBB1642_145:
	s_or_b32 exec_lo, exec_lo, s5
.LBB1642_146:
	s_or_b32 exec_lo, exec_lo, s4
.LBB1642_147:
	s_or_b32 exec_lo, exec_lo, s3
.LBB1642_148:
	s_or_b32 exec_lo, exec_lo, s1
	v_lshlrev_b32_e32 v13, 1, v9
	s_waitcnt_vscnt null, 0x0
	s_barrier
	buffer_gl0_inv
	ds_write_b96 v13, v[1:3]
	v_mad_i32_i24 v1, v0, -12, v13
	ds_write_b16 v13, v10 offset:12
	s_waitcnt lgkmcnt(0)
	s_barrier
	buffer_gl0_inv
	ds_read_u16 v14, v1 offset:128
	ds_read_u16 v12, v1 offset:256
	;; [unrolled: 1-line block ×6, first 2 shown]
	v_lshlrev_b32_e32 v1, 1, v0
	v_add_co_u32 v1, s1, s0, v1
	v_add_co_ci_u32_e64 v2, null, s2, 0, s1
	s_mov_b32 s1, exec_lo
	v_cmpx_gt_u32_e64 s9, v0
	s_cbranch_execz .LBB1642_150
; %bb.149:
	v_mul_i32_i24_e32 v15, -12, v0
	v_add_nc_u32_e32 v13, v13, v15
	ds_read_u16 v13, v13
	s_waitcnt lgkmcnt(0)
	flat_store_short v[1:2], v13
.LBB1642_150:
	s_or_b32 exec_lo, exec_lo, s1
	v_or_b32_e32 v13, 64, v0
	s_mov_b32 s1, exec_lo
	v_cmpx_gt_u32_e64 s9, v13
	s_cbranch_execz .LBB1642_152
; %bb.151:
	s_waitcnt lgkmcnt(5)
	flat_store_short v[1:2], v14 offset:128
.LBB1642_152:
	s_or_b32 exec_lo, exec_lo, s1
	v_or_b32_e32 v13, 0x80, v0
	s_mov_b32 s1, exec_lo
	v_cmpx_gt_u32_e64 s9, v13
	s_cbranch_execz .LBB1642_154
; %bb.153:
	s_waitcnt lgkmcnt(4)
	flat_store_short v[1:2], v12 offset:256
.LBB1642_154:
	s_or_b32 exec_lo, exec_lo, s1
	s_waitcnt lgkmcnt(4)
	v_or_b32_e32 v12, 0xc0, v0
	s_mov_b32 s1, exec_lo
	v_cmpx_gt_u32_e64 s9, v12
	s_cbranch_execz .LBB1642_156
; %bb.155:
	s_waitcnt lgkmcnt(3)
	flat_store_short v[1:2], v11 offset:384
.LBB1642_156:
	s_or_b32 exec_lo, exec_lo, s1
	s_waitcnt lgkmcnt(3)
	;; [unrolled: 10-line block ×3, first 2 shown]
	v_or_b32_e32 v10, 0x140, v0
	s_mov_b32 s1, exec_lo
	v_cmpx_gt_u32_e64 s9, v10
	s_cbranch_execz .LBB1642_160
; %bb.159:
	s_waitcnt lgkmcnt(1)
	flat_store_short v[1:2], v9 offset:640
.LBB1642_160:
	s_or_b32 exec_lo, exec_lo, s1
	v_or_b32_e32 v1, 0x180, v0
	v_cmp_gt_u32_e64 s1, s9, v1
	s_branch .LBB1642_163
.LBB1642_161:
	s_mov_b32 s1, 0
                                        ; implicit-def: $vgpr3
	s_cbranch_execz .LBB1642_163
; %bb.162:
	s_waitcnt lgkmcnt(1)
	v_mul_u32_u24_e32 v9, 14, v0
	s_waitcnt lgkmcnt(0)
	v_perm_b32 v3, v19, v8, 0x5040100
	v_perm_b32 v2, v7, v6, 0x5040100
	;; [unrolled: 1-line block ×3, first 2 shown]
	v_mul_i32_i24_e32 v4, -12, v0
	s_waitcnt_vscnt null, 0x0
	s_barrier
	buffer_gl0_inv
	ds_write_b96 v9, v[1:3]
	v_mad_u32_u24 v1, v0, 14, v4
	ds_write_b16 v9, v20 offset:12
	s_waitcnt lgkmcnt(0)
	s_barrier
	buffer_gl0_inv
	ds_read_u16 v4, v1
	ds_read_u16 v5, v1 offset:128
	ds_read_u16 v6, v1 offset:256
	;; [unrolled: 1-line block ×6, first 2 shown]
	v_lshlrev_b32_e32 v1, 1, v0
	s_or_b32 s1, s1, exec_lo
	v_add_co_u32 v1, s3, s0, v1
	v_add_co_ci_u32_e64 v2, null, s2, 0, s3
	s_waitcnt lgkmcnt(6)
	flat_store_short v[1:2], v4
	s_waitcnt lgkmcnt(6)
	flat_store_short v[1:2], v5 offset:128
	s_waitcnt lgkmcnt(6)
	flat_store_short v[1:2], v6 offset:256
	;; [unrolled: 2-line block ×5, first 2 shown]
.LBB1642_163:
	s_and_saveexec_b32 s3, s1
	s_cbranch_execnz .LBB1642_165
; %bb.164:
	s_endpgm
.LBB1642_165:
	v_lshlrev_b32_e32 v0, 1, v0
	v_add_co_u32 v0, s0, s0, v0
	v_add_co_ci_u32_e64 v1, null, s2, 0, s0
	s_waitcnt lgkmcnt(0)
	flat_store_short v[0:1], v3 offset:768
	s_endpgm
.LBB1642_166:
	v_add_co_u32 v2, s7, s29, v12
	v_add_co_ci_u32_e64 v3, null, s30, 0, s7
	v_mov_b32_e32 v13, v1
	v_mov_b32_e32 v14, v1
	;; [unrolled: 1-line block ×4, first 2 shown]
	flat_load_short_d16 v13, v[2:3]
	s_waitcnt vmcnt(0) lgkmcnt(0)
	v_mov_b32_e32 v1, v13
	v_mov_b32_e32 v2, v14
	;; [unrolled: 1-line block ×4, first 2 shown]
	s_or_b32 exec_lo, exec_lo, s8
	s_and_saveexec_b32 s7, s6
	s_cbranch_execz .LBB1642_23
.LBB1642_167:
	v_add_co_u32 v13, s6, s29, v12
	v_add_co_ci_u32_e64 v14, null, s30, 0, s6
	flat_load_short_d16_hi v1, v[13:14] offset:128
	s_or_b32 exec_lo, exec_lo, s7
	s_and_saveexec_b32 s6, s5
	s_cbranch_execz .LBB1642_24
.LBB1642_168:
	v_add_co_u32 v13, s5, s29, v12
	v_add_co_ci_u32_e64 v14, null, s30, 0, s5
	flat_load_short_d16 v2, v[13:14] offset:256
	s_or_b32 exec_lo, exec_lo, s6
	s_and_saveexec_b32 s5, s4
	s_cbranch_execz .LBB1642_25
.LBB1642_169:
	v_add_co_u32 v13, s4, s29, v12
	v_add_co_ci_u32_e64 v14, null, s30, 0, s4
	s_waitcnt vmcnt(0) lgkmcnt(0)
	flat_load_short_d16_hi v2, v[13:14] offset:384
	s_or_b32 exec_lo, exec_lo, s5
	s_and_saveexec_b32 s4, s3
	s_cbranch_execz .LBB1642_26
.LBB1642_170:
	v_add_co_u32 v13, s3, s29, v12
	v_add_co_ci_u32_e64 v14, null, s30, 0, s3
	flat_load_short_d16 v3, v[13:14] offset:512
	s_or_b32 exec_lo, exec_lo, s4
	s_and_saveexec_b32 s3, s2
	s_cbranch_execz .LBB1642_27
.LBB1642_171:
	v_add_co_u32 v13, s2, s29, v12
	v_add_co_ci_u32_e64 v14, null, s30, 0, s2
	s_waitcnt vmcnt(0) lgkmcnt(0)
	flat_load_short_d16_hi v3, v[13:14] offset:640
	s_or_b32 exec_lo, exec_lo, s3
	v_mul_u32_u24_e32 v23, 7, v0
	s_and_saveexec_b32 s2, vcc_lo
	s_cbranch_execnz .LBB1642_28
	s_branch .LBB1642_29
	.section	.rodata,"a",@progbits
	.p2align	6, 0x0
	.amdhsa_kernel _ZN7rocprim17ROCPRIM_400000_NS6detail17trampoline_kernelINS0_14default_configENS1_27scan_by_key_config_selectorIisEEZZNS1_16scan_by_key_implILNS1_25lookback_scan_determinismE0ELb1ES3_N6thrust23THRUST_200600_302600_NS6detail15normal_iteratorINS9_10device_ptrIiEEEENSB_INSC_IsEEEESG_sNS9_4plusIvEENS9_8equal_toIvEEsEE10hipError_tPvRmT2_T3_T4_T5_mT6_T7_P12ihipStream_tbENKUlT_T0_E_clISt17integral_constantIbLb0EES10_IbLb1EEEEDaSW_SX_EUlSW_E_NS1_11comp_targetILNS1_3genE8ELNS1_11target_archE1030ELNS1_3gpuE2ELNS1_3repE0EEENS1_30default_config_static_selectorELNS0_4arch9wavefront6targetE0EEEvT1_
		.amdhsa_group_segment_fixed_size 2304
		.amdhsa_private_segment_fixed_size 0
		.amdhsa_kernarg_size 112
		.amdhsa_user_sgpr_count 6
		.amdhsa_user_sgpr_private_segment_buffer 1
		.amdhsa_user_sgpr_dispatch_ptr 0
		.amdhsa_user_sgpr_queue_ptr 0
		.amdhsa_user_sgpr_kernarg_segment_ptr 1
		.amdhsa_user_sgpr_dispatch_id 0
		.amdhsa_user_sgpr_flat_scratch_init 0
		.amdhsa_user_sgpr_private_segment_size 0
		.amdhsa_wavefront_size32 1
		.amdhsa_uses_dynamic_stack 0
		.amdhsa_system_sgpr_private_segment_wavefront_offset 0
		.amdhsa_system_sgpr_workgroup_id_x 1
		.amdhsa_system_sgpr_workgroup_id_y 0
		.amdhsa_system_sgpr_workgroup_id_z 0
		.amdhsa_system_sgpr_workgroup_info 0
		.amdhsa_system_vgpr_workitem_id 0
		.amdhsa_next_free_vgpr 38
		.amdhsa_next_free_sgpr 32
		.amdhsa_reserve_vcc 1
		.amdhsa_reserve_flat_scratch 1
		.amdhsa_float_round_mode_32 0
		.amdhsa_float_round_mode_16_64 0
		.amdhsa_float_denorm_mode_32 3
		.amdhsa_float_denorm_mode_16_64 3
		.amdhsa_dx10_clamp 1
		.amdhsa_ieee_mode 1
		.amdhsa_fp16_overflow 0
		.amdhsa_workgroup_processor_mode 1
		.amdhsa_memory_ordered 1
		.amdhsa_forward_progress 1
		.amdhsa_shared_vgpr_count 0
		.amdhsa_exception_fp_ieee_invalid_op 0
		.amdhsa_exception_fp_denorm_src 0
		.amdhsa_exception_fp_ieee_div_zero 0
		.amdhsa_exception_fp_ieee_overflow 0
		.amdhsa_exception_fp_ieee_underflow 0
		.amdhsa_exception_fp_ieee_inexact 0
		.amdhsa_exception_int_div_zero 0
	.end_amdhsa_kernel
	.section	.text._ZN7rocprim17ROCPRIM_400000_NS6detail17trampoline_kernelINS0_14default_configENS1_27scan_by_key_config_selectorIisEEZZNS1_16scan_by_key_implILNS1_25lookback_scan_determinismE0ELb1ES3_N6thrust23THRUST_200600_302600_NS6detail15normal_iteratorINS9_10device_ptrIiEEEENSB_INSC_IsEEEESG_sNS9_4plusIvEENS9_8equal_toIvEEsEE10hipError_tPvRmT2_T3_T4_T5_mT6_T7_P12ihipStream_tbENKUlT_T0_E_clISt17integral_constantIbLb0EES10_IbLb1EEEEDaSW_SX_EUlSW_E_NS1_11comp_targetILNS1_3genE8ELNS1_11target_archE1030ELNS1_3gpuE2ELNS1_3repE0EEENS1_30default_config_static_selectorELNS0_4arch9wavefront6targetE0EEEvT1_,"axG",@progbits,_ZN7rocprim17ROCPRIM_400000_NS6detail17trampoline_kernelINS0_14default_configENS1_27scan_by_key_config_selectorIisEEZZNS1_16scan_by_key_implILNS1_25lookback_scan_determinismE0ELb1ES3_N6thrust23THRUST_200600_302600_NS6detail15normal_iteratorINS9_10device_ptrIiEEEENSB_INSC_IsEEEESG_sNS9_4plusIvEENS9_8equal_toIvEEsEE10hipError_tPvRmT2_T3_T4_T5_mT6_T7_P12ihipStream_tbENKUlT_T0_E_clISt17integral_constantIbLb0EES10_IbLb1EEEEDaSW_SX_EUlSW_E_NS1_11comp_targetILNS1_3genE8ELNS1_11target_archE1030ELNS1_3gpuE2ELNS1_3repE0EEENS1_30default_config_static_selectorELNS0_4arch9wavefront6targetE0EEEvT1_,comdat
.Lfunc_end1642:
	.size	_ZN7rocprim17ROCPRIM_400000_NS6detail17trampoline_kernelINS0_14default_configENS1_27scan_by_key_config_selectorIisEEZZNS1_16scan_by_key_implILNS1_25lookback_scan_determinismE0ELb1ES3_N6thrust23THRUST_200600_302600_NS6detail15normal_iteratorINS9_10device_ptrIiEEEENSB_INSC_IsEEEESG_sNS9_4plusIvEENS9_8equal_toIvEEsEE10hipError_tPvRmT2_T3_T4_T5_mT6_T7_P12ihipStream_tbENKUlT_T0_E_clISt17integral_constantIbLb0EES10_IbLb1EEEEDaSW_SX_EUlSW_E_NS1_11comp_targetILNS1_3genE8ELNS1_11target_archE1030ELNS1_3gpuE2ELNS1_3repE0EEENS1_30default_config_static_selectorELNS0_4arch9wavefront6targetE0EEEvT1_, .Lfunc_end1642-_ZN7rocprim17ROCPRIM_400000_NS6detail17trampoline_kernelINS0_14default_configENS1_27scan_by_key_config_selectorIisEEZZNS1_16scan_by_key_implILNS1_25lookback_scan_determinismE0ELb1ES3_N6thrust23THRUST_200600_302600_NS6detail15normal_iteratorINS9_10device_ptrIiEEEENSB_INSC_IsEEEESG_sNS9_4plusIvEENS9_8equal_toIvEEsEE10hipError_tPvRmT2_T3_T4_T5_mT6_T7_P12ihipStream_tbENKUlT_T0_E_clISt17integral_constantIbLb0EES10_IbLb1EEEEDaSW_SX_EUlSW_E_NS1_11comp_targetILNS1_3genE8ELNS1_11target_archE1030ELNS1_3gpuE2ELNS1_3repE0EEENS1_30default_config_static_selectorELNS0_4arch9wavefront6targetE0EEEvT1_
                                        ; -- End function
	.set _ZN7rocprim17ROCPRIM_400000_NS6detail17trampoline_kernelINS0_14default_configENS1_27scan_by_key_config_selectorIisEEZZNS1_16scan_by_key_implILNS1_25lookback_scan_determinismE0ELb1ES3_N6thrust23THRUST_200600_302600_NS6detail15normal_iteratorINS9_10device_ptrIiEEEENSB_INSC_IsEEEESG_sNS9_4plusIvEENS9_8equal_toIvEEsEE10hipError_tPvRmT2_T3_T4_T5_mT6_T7_P12ihipStream_tbENKUlT_T0_E_clISt17integral_constantIbLb0EES10_IbLb1EEEEDaSW_SX_EUlSW_E_NS1_11comp_targetILNS1_3genE8ELNS1_11target_archE1030ELNS1_3gpuE2ELNS1_3repE0EEENS1_30default_config_static_selectorELNS0_4arch9wavefront6targetE0EEEvT1_.num_vgpr, 38
	.set _ZN7rocprim17ROCPRIM_400000_NS6detail17trampoline_kernelINS0_14default_configENS1_27scan_by_key_config_selectorIisEEZZNS1_16scan_by_key_implILNS1_25lookback_scan_determinismE0ELb1ES3_N6thrust23THRUST_200600_302600_NS6detail15normal_iteratorINS9_10device_ptrIiEEEENSB_INSC_IsEEEESG_sNS9_4plusIvEENS9_8equal_toIvEEsEE10hipError_tPvRmT2_T3_T4_T5_mT6_T7_P12ihipStream_tbENKUlT_T0_E_clISt17integral_constantIbLb0EES10_IbLb1EEEEDaSW_SX_EUlSW_E_NS1_11comp_targetILNS1_3genE8ELNS1_11target_archE1030ELNS1_3gpuE2ELNS1_3repE0EEENS1_30default_config_static_selectorELNS0_4arch9wavefront6targetE0EEEvT1_.num_agpr, 0
	.set _ZN7rocprim17ROCPRIM_400000_NS6detail17trampoline_kernelINS0_14default_configENS1_27scan_by_key_config_selectorIisEEZZNS1_16scan_by_key_implILNS1_25lookback_scan_determinismE0ELb1ES3_N6thrust23THRUST_200600_302600_NS6detail15normal_iteratorINS9_10device_ptrIiEEEENSB_INSC_IsEEEESG_sNS9_4plusIvEENS9_8equal_toIvEEsEE10hipError_tPvRmT2_T3_T4_T5_mT6_T7_P12ihipStream_tbENKUlT_T0_E_clISt17integral_constantIbLb0EES10_IbLb1EEEEDaSW_SX_EUlSW_E_NS1_11comp_targetILNS1_3genE8ELNS1_11target_archE1030ELNS1_3gpuE2ELNS1_3repE0EEENS1_30default_config_static_selectorELNS0_4arch9wavefront6targetE0EEEvT1_.numbered_sgpr, 32
	.set _ZN7rocprim17ROCPRIM_400000_NS6detail17trampoline_kernelINS0_14default_configENS1_27scan_by_key_config_selectorIisEEZZNS1_16scan_by_key_implILNS1_25lookback_scan_determinismE0ELb1ES3_N6thrust23THRUST_200600_302600_NS6detail15normal_iteratorINS9_10device_ptrIiEEEENSB_INSC_IsEEEESG_sNS9_4plusIvEENS9_8equal_toIvEEsEE10hipError_tPvRmT2_T3_T4_T5_mT6_T7_P12ihipStream_tbENKUlT_T0_E_clISt17integral_constantIbLb0EES10_IbLb1EEEEDaSW_SX_EUlSW_E_NS1_11comp_targetILNS1_3genE8ELNS1_11target_archE1030ELNS1_3gpuE2ELNS1_3repE0EEENS1_30default_config_static_selectorELNS0_4arch9wavefront6targetE0EEEvT1_.num_named_barrier, 0
	.set _ZN7rocprim17ROCPRIM_400000_NS6detail17trampoline_kernelINS0_14default_configENS1_27scan_by_key_config_selectorIisEEZZNS1_16scan_by_key_implILNS1_25lookback_scan_determinismE0ELb1ES3_N6thrust23THRUST_200600_302600_NS6detail15normal_iteratorINS9_10device_ptrIiEEEENSB_INSC_IsEEEESG_sNS9_4plusIvEENS9_8equal_toIvEEsEE10hipError_tPvRmT2_T3_T4_T5_mT6_T7_P12ihipStream_tbENKUlT_T0_E_clISt17integral_constantIbLb0EES10_IbLb1EEEEDaSW_SX_EUlSW_E_NS1_11comp_targetILNS1_3genE8ELNS1_11target_archE1030ELNS1_3gpuE2ELNS1_3repE0EEENS1_30default_config_static_selectorELNS0_4arch9wavefront6targetE0EEEvT1_.private_seg_size, 0
	.set _ZN7rocprim17ROCPRIM_400000_NS6detail17trampoline_kernelINS0_14default_configENS1_27scan_by_key_config_selectorIisEEZZNS1_16scan_by_key_implILNS1_25lookback_scan_determinismE0ELb1ES3_N6thrust23THRUST_200600_302600_NS6detail15normal_iteratorINS9_10device_ptrIiEEEENSB_INSC_IsEEEESG_sNS9_4plusIvEENS9_8equal_toIvEEsEE10hipError_tPvRmT2_T3_T4_T5_mT6_T7_P12ihipStream_tbENKUlT_T0_E_clISt17integral_constantIbLb0EES10_IbLb1EEEEDaSW_SX_EUlSW_E_NS1_11comp_targetILNS1_3genE8ELNS1_11target_archE1030ELNS1_3gpuE2ELNS1_3repE0EEENS1_30default_config_static_selectorELNS0_4arch9wavefront6targetE0EEEvT1_.uses_vcc, 1
	.set _ZN7rocprim17ROCPRIM_400000_NS6detail17trampoline_kernelINS0_14default_configENS1_27scan_by_key_config_selectorIisEEZZNS1_16scan_by_key_implILNS1_25lookback_scan_determinismE0ELb1ES3_N6thrust23THRUST_200600_302600_NS6detail15normal_iteratorINS9_10device_ptrIiEEEENSB_INSC_IsEEEESG_sNS9_4plusIvEENS9_8equal_toIvEEsEE10hipError_tPvRmT2_T3_T4_T5_mT6_T7_P12ihipStream_tbENKUlT_T0_E_clISt17integral_constantIbLb0EES10_IbLb1EEEEDaSW_SX_EUlSW_E_NS1_11comp_targetILNS1_3genE8ELNS1_11target_archE1030ELNS1_3gpuE2ELNS1_3repE0EEENS1_30default_config_static_selectorELNS0_4arch9wavefront6targetE0EEEvT1_.uses_flat_scratch, 1
	.set _ZN7rocprim17ROCPRIM_400000_NS6detail17trampoline_kernelINS0_14default_configENS1_27scan_by_key_config_selectorIisEEZZNS1_16scan_by_key_implILNS1_25lookback_scan_determinismE0ELb1ES3_N6thrust23THRUST_200600_302600_NS6detail15normal_iteratorINS9_10device_ptrIiEEEENSB_INSC_IsEEEESG_sNS9_4plusIvEENS9_8equal_toIvEEsEE10hipError_tPvRmT2_T3_T4_T5_mT6_T7_P12ihipStream_tbENKUlT_T0_E_clISt17integral_constantIbLb0EES10_IbLb1EEEEDaSW_SX_EUlSW_E_NS1_11comp_targetILNS1_3genE8ELNS1_11target_archE1030ELNS1_3gpuE2ELNS1_3repE0EEENS1_30default_config_static_selectorELNS0_4arch9wavefront6targetE0EEEvT1_.has_dyn_sized_stack, 0
	.set _ZN7rocprim17ROCPRIM_400000_NS6detail17trampoline_kernelINS0_14default_configENS1_27scan_by_key_config_selectorIisEEZZNS1_16scan_by_key_implILNS1_25lookback_scan_determinismE0ELb1ES3_N6thrust23THRUST_200600_302600_NS6detail15normal_iteratorINS9_10device_ptrIiEEEENSB_INSC_IsEEEESG_sNS9_4plusIvEENS9_8equal_toIvEEsEE10hipError_tPvRmT2_T3_T4_T5_mT6_T7_P12ihipStream_tbENKUlT_T0_E_clISt17integral_constantIbLb0EES10_IbLb1EEEEDaSW_SX_EUlSW_E_NS1_11comp_targetILNS1_3genE8ELNS1_11target_archE1030ELNS1_3gpuE2ELNS1_3repE0EEENS1_30default_config_static_selectorELNS0_4arch9wavefront6targetE0EEEvT1_.has_recursion, 0
	.set _ZN7rocprim17ROCPRIM_400000_NS6detail17trampoline_kernelINS0_14default_configENS1_27scan_by_key_config_selectorIisEEZZNS1_16scan_by_key_implILNS1_25lookback_scan_determinismE0ELb1ES3_N6thrust23THRUST_200600_302600_NS6detail15normal_iteratorINS9_10device_ptrIiEEEENSB_INSC_IsEEEESG_sNS9_4plusIvEENS9_8equal_toIvEEsEE10hipError_tPvRmT2_T3_T4_T5_mT6_T7_P12ihipStream_tbENKUlT_T0_E_clISt17integral_constantIbLb0EES10_IbLb1EEEEDaSW_SX_EUlSW_E_NS1_11comp_targetILNS1_3genE8ELNS1_11target_archE1030ELNS1_3gpuE2ELNS1_3repE0EEENS1_30default_config_static_selectorELNS0_4arch9wavefront6targetE0EEEvT1_.has_indirect_call, 0
	.section	.AMDGPU.csdata,"",@progbits
; Kernel info:
; codeLenInByte = 8160
; TotalNumSgprs: 34
; NumVgprs: 38
; ScratchSize: 0
; MemoryBound: 0
; FloatMode: 240
; IeeeMode: 1
; LDSByteSize: 2304 bytes/workgroup (compile time only)
; SGPRBlocks: 0
; VGPRBlocks: 4
; NumSGPRsForWavesPerEU: 34
; NumVGPRsForWavesPerEU: 38
; Occupancy: 16
; WaveLimiterHint : 1
; COMPUTE_PGM_RSRC2:SCRATCH_EN: 0
; COMPUTE_PGM_RSRC2:USER_SGPR: 6
; COMPUTE_PGM_RSRC2:TRAP_HANDLER: 0
; COMPUTE_PGM_RSRC2:TGID_X_EN: 1
; COMPUTE_PGM_RSRC2:TGID_Y_EN: 0
; COMPUTE_PGM_RSRC2:TGID_Z_EN: 0
; COMPUTE_PGM_RSRC2:TIDIG_COMP_CNT: 0
	.section	.text._ZN6thrust23THRUST_200600_302600_NS11hip_rocprim14__parallel_for6kernelILj256ENS1_20__uninitialized_fill7functorINS0_10device_ptrIfEEfEEmLj1EEEvT0_T1_SA_,"axG",@progbits,_ZN6thrust23THRUST_200600_302600_NS11hip_rocprim14__parallel_for6kernelILj256ENS1_20__uninitialized_fill7functorINS0_10device_ptrIfEEfEEmLj1EEEvT0_T1_SA_,comdat
	.protected	_ZN6thrust23THRUST_200600_302600_NS11hip_rocprim14__parallel_for6kernelILj256ENS1_20__uninitialized_fill7functorINS0_10device_ptrIfEEfEEmLj1EEEvT0_T1_SA_ ; -- Begin function _ZN6thrust23THRUST_200600_302600_NS11hip_rocprim14__parallel_for6kernelILj256ENS1_20__uninitialized_fill7functorINS0_10device_ptrIfEEfEEmLj1EEEvT0_T1_SA_
	.globl	_ZN6thrust23THRUST_200600_302600_NS11hip_rocprim14__parallel_for6kernelILj256ENS1_20__uninitialized_fill7functorINS0_10device_ptrIfEEfEEmLj1EEEvT0_T1_SA_
	.p2align	8
	.type	_ZN6thrust23THRUST_200600_302600_NS11hip_rocprim14__parallel_for6kernelILj256ENS1_20__uninitialized_fill7functorINS0_10device_ptrIfEEfEEmLj1EEEvT0_T1_SA_,@function
_ZN6thrust23THRUST_200600_302600_NS11hip_rocprim14__parallel_for6kernelILj256ENS1_20__uninitialized_fill7functorINS0_10device_ptrIfEEfEEmLj1EEEvT0_T1_SA_: ; @_ZN6thrust23THRUST_200600_302600_NS11hip_rocprim14__parallel_for6kernelILj256ENS1_20__uninitialized_fill7functorINS0_10device_ptrIfEEfEEmLj1EEEvT0_T1_SA_
; %bb.0:
	s_clause 0x2
	s_load_dwordx4 s[8:11], s[4:5], 0x10
	s_load_dwordx2 s[0:1], s[4:5], 0x0
	s_load_dword s7, s[4:5], 0x8
	s_lshl_b32 s2, s6, 8
	s_waitcnt lgkmcnt(0)
	s_add_u32 s2, s10, s2
	s_addc_u32 s3, s11, 0
	s_sub_u32 s4, s8, s2
	s_subb_u32 s5, s9, s3
	v_cmp_lt_u64_e64 s5, 0xff, s[4:5]
	s_and_b32 vcc_lo, exec_lo, s5
	s_mov_b32 s5, -1
	s_cbranch_vccz .LBB1643_3
; %bb.1:
	s_andn2_b32 vcc_lo, exec_lo, s5
	s_cbranch_vccz .LBB1643_6
.LBB1643_2:
	s_endpgm
.LBB1643_3:
	v_cmp_gt_u32_e32 vcc_lo, s4, v0
	s_and_saveexec_b32 s4, vcc_lo
	s_cbranch_execz .LBB1643_5
; %bb.4:
	v_lshlrev_b32_e32 v1, 2, v0
	s_lshl_b64 s[8:9], s[2:3], 2
	v_mov_b32_e32 v3, s7
	s_add_u32 s5, s0, s8
	s_addc_u32 s6, s1, s9
	v_add_co_u32 v1, s5, s5, v1
	v_add_co_ci_u32_e64 v2, null, s6, 0, s5
	flat_store_dword v[1:2], v3
.LBB1643_5:
	s_or_b32 exec_lo, exec_lo, s4
	s_cbranch_execnz .LBB1643_2
.LBB1643_6:
	v_lshlrev_b32_e32 v0, 2, v0
	s_lshl_b64 s[2:3], s[2:3], 2
	v_mov_b32_e32 v2, s7
	s_add_u32 s0, s0, s2
	s_addc_u32 s1, s1, s3
	v_add_co_u32 v0, s0, s0, v0
	v_add_co_ci_u32_e64 v1, null, s1, 0, s0
	flat_store_dword v[0:1], v2
	s_endpgm
	.section	.rodata,"a",@progbits
	.p2align	6, 0x0
	.amdhsa_kernel _ZN6thrust23THRUST_200600_302600_NS11hip_rocprim14__parallel_for6kernelILj256ENS1_20__uninitialized_fill7functorINS0_10device_ptrIfEEfEEmLj1EEEvT0_T1_SA_
		.amdhsa_group_segment_fixed_size 0
		.amdhsa_private_segment_fixed_size 0
		.amdhsa_kernarg_size 32
		.amdhsa_user_sgpr_count 6
		.amdhsa_user_sgpr_private_segment_buffer 1
		.amdhsa_user_sgpr_dispatch_ptr 0
		.amdhsa_user_sgpr_queue_ptr 0
		.amdhsa_user_sgpr_kernarg_segment_ptr 1
		.amdhsa_user_sgpr_dispatch_id 0
		.amdhsa_user_sgpr_flat_scratch_init 0
		.amdhsa_user_sgpr_private_segment_size 0
		.amdhsa_wavefront_size32 1
		.amdhsa_uses_dynamic_stack 0
		.amdhsa_system_sgpr_private_segment_wavefront_offset 0
		.amdhsa_system_sgpr_workgroup_id_x 1
		.amdhsa_system_sgpr_workgroup_id_y 0
		.amdhsa_system_sgpr_workgroup_id_z 0
		.amdhsa_system_sgpr_workgroup_info 0
		.amdhsa_system_vgpr_workitem_id 0
		.amdhsa_next_free_vgpr 4
		.amdhsa_next_free_sgpr 12
		.amdhsa_reserve_vcc 1
		.amdhsa_reserve_flat_scratch 0
		.amdhsa_float_round_mode_32 0
		.amdhsa_float_round_mode_16_64 0
		.amdhsa_float_denorm_mode_32 3
		.amdhsa_float_denorm_mode_16_64 3
		.amdhsa_dx10_clamp 1
		.amdhsa_ieee_mode 1
		.amdhsa_fp16_overflow 0
		.amdhsa_workgroup_processor_mode 1
		.amdhsa_memory_ordered 1
		.amdhsa_forward_progress 1
		.amdhsa_shared_vgpr_count 0
		.amdhsa_exception_fp_ieee_invalid_op 0
		.amdhsa_exception_fp_denorm_src 0
		.amdhsa_exception_fp_ieee_div_zero 0
		.amdhsa_exception_fp_ieee_overflow 0
		.amdhsa_exception_fp_ieee_underflow 0
		.amdhsa_exception_fp_ieee_inexact 0
		.amdhsa_exception_int_div_zero 0
	.end_amdhsa_kernel
	.section	.text._ZN6thrust23THRUST_200600_302600_NS11hip_rocprim14__parallel_for6kernelILj256ENS1_20__uninitialized_fill7functorINS0_10device_ptrIfEEfEEmLj1EEEvT0_T1_SA_,"axG",@progbits,_ZN6thrust23THRUST_200600_302600_NS11hip_rocprim14__parallel_for6kernelILj256ENS1_20__uninitialized_fill7functorINS0_10device_ptrIfEEfEEmLj1EEEvT0_T1_SA_,comdat
.Lfunc_end1643:
	.size	_ZN6thrust23THRUST_200600_302600_NS11hip_rocprim14__parallel_for6kernelILj256ENS1_20__uninitialized_fill7functorINS0_10device_ptrIfEEfEEmLj1EEEvT0_T1_SA_, .Lfunc_end1643-_ZN6thrust23THRUST_200600_302600_NS11hip_rocprim14__parallel_for6kernelILj256ENS1_20__uninitialized_fill7functorINS0_10device_ptrIfEEfEEmLj1EEEvT0_T1_SA_
                                        ; -- End function
	.set _ZN6thrust23THRUST_200600_302600_NS11hip_rocprim14__parallel_for6kernelILj256ENS1_20__uninitialized_fill7functorINS0_10device_ptrIfEEfEEmLj1EEEvT0_T1_SA_.num_vgpr, 4
	.set _ZN6thrust23THRUST_200600_302600_NS11hip_rocprim14__parallel_for6kernelILj256ENS1_20__uninitialized_fill7functorINS0_10device_ptrIfEEfEEmLj1EEEvT0_T1_SA_.num_agpr, 0
	.set _ZN6thrust23THRUST_200600_302600_NS11hip_rocprim14__parallel_for6kernelILj256ENS1_20__uninitialized_fill7functorINS0_10device_ptrIfEEfEEmLj1EEEvT0_T1_SA_.numbered_sgpr, 12
	.set _ZN6thrust23THRUST_200600_302600_NS11hip_rocprim14__parallel_for6kernelILj256ENS1_20__uninitialized_fill7functorINS0_10device_ptrIfEEfEEmLj1EEEvT0_T1_SA_.num_named_barrier, 0
	.set _ZN6thrust23THRUST_200600_302600_NS11hip_rocprim14__parallel_for6kernelILj256ENS1_20__uninitialized_fill7functorINS0_10device_ptrIfEEfEEmLj1EEEvT0_T1_SA_.private_seg_size, 0
	.set _ZN6thrust23THRUST_200600_302600_NS11hip_rocprim14__parallel_for6kernelILj256ENS1_20__uninitialized_fill7functorINS0_10device_ptrIfEEfEEmLj1EEEvT0_T1_SA_.uses_vcc, 1
	.set _ZN6thrust23THRUST_200600_302600_NS11hip_rocprim14__parallel_for6kernelILj256ENS1_20__uninitialized_fill7functorINS0_10device_ptrIfEEfEEmLj1EEEvT0_T1_SA_.uses_flat_scratch, 0
	.set _ZN6thrust23THRUST_200600_302600_NS11hip_rocprim14__parallel_for6kernelILj256ENS1_20__uninitialized_fill7functorINS0_10device_ptrIfEEfEEmLj1EEEvT0_T1_SA_.has_dyn_sized_stack, 0
	.set _ZN6thrust23THRUST_200600_302600_NS11hip_rocprim14__parallel_for6kernelILj256ENS1_20__uninitialized_fill7functorINS0_10device_ptrIfEEfEEmLj1EEEvT0_T1_SA_.has_recursion, 0
	.set _ZN6thrust23THRUST_200600_302600_NS11hip_rocprim14__parallel_for6kernelILj256ENS1_20__uninitialized_fill7functorINS0_10device_ptrIfEEfEEmLj1EEEvT0_T1_SA_.has_indirect_call, 0
	.section	.AMDGPU.csdata,"",@progbits
; Kernel info:
; codeLenInByte = 200
; TotalNumSgprs: 14
; NumVgprs: 4
; ScratchSize: 0
; MemoryBound: 0
; FloatMode: 240
; IeeeMode: 1
; LDSByteSize: 0 bytes/workgroup (compile time only)
; SGPRBlocks: 0
; VGPRBlocks: 0
; NumSGPRsForWavesPerEU: 14
; NumVGPRsForWavesPerEU: 4
; Occupancy: 16
; WaveLimiterHint : 0
; COMPUTE_PGM_RSRC2:SCRATCH_EN: 0
; COMPUTE_PGM_RSRC2:USER_SGPR: 6
; COMPUTE_PGM_RSRC2:TRAP_HANDLER: 0
; COMPUTE_PGM_RSRC2:TGID_X_EN: 1
; COMPUTE_PGM_RSRC2:TGID_Y_EN: 0
; COMPUTE_PGM_RSRC2:TGID_Z_EN: 0
; COMPUTE_PGM_RSRC2:TIDIG_COMP_CNT: 0
	.section	.text._ZN7rocprim17ROCPRIM_400000_NS6detail17trampoline_kernelINS0_14default_configENS1_27scan_by_key_config_selectorIijEEZZNS1_16scan_by_key_implILNS1_25lookback_scan_determinismE0ELb0ES3_N6thrust23THRUST_200600_302600_NS6detail15normal_iteratorINS9_10device_ptrIiEEEENSB_INSC_IjEEEENSB_INSC_IfEEEEjNS9_4plusIvEENS9_8equal_toIvEEjEE10hipError_tPvRmT2_T3_T4_T5_mT6_T7_P12ihipStream_tbENKUlT_T0_E_clISt17integral_constantIbLb0EES13_EEDaSY_SZ_EUlSY_E_NS1_11comp_targetILNS1_3genE0ELNS1_11target_archE4294967295ELNS1_3gpuE0ELNS1_3repE0EEENS1_30default_config_static_selectorELNS0_4arch9wavefront6targetE0EEEvT1_,"axG",@progbits,_ZN7rocprim17ROCPRIM_400000_NS6detail17trampoline_kernelINS0_14default_configENS1_27scan_by_key_config_selectorIijEEZZNS1_16scan_by_key_implILNS1_25lookback_scan_determinismE0ELb0ES3_N6thrust23THRUST_200600_302600_NS6detail15normal_iteratorINS9_10device_ptrIiEEEENSB_INSC_IjEEEENSB_INSC_IfEEEEjNS9_4plusIvEENS9_8equal_toIvEEjEE10hipError_tPvRmT2_T3_T4_T5_mT6_T7_P12ihipStream_tbENKUlT_T0_E_clISt17integral_constantIbLb0EES13_EEDaSY_SZ_EUlSY_E_NS1_11comp_targetILNS1_3genE0ELNS1_11target_archE4294967295ELNS1_3gpuE0ELNS1_3repE0EEENS1_30default_config_static_selectorELNS0_4arch9wavefront6targetE0EEEvT1_,comdat
	.protected	_ZN7rocprim17ROCPRIM_400000_NS6detail17trampoline_kernelINS0_14default_configENS1_27scan_by_key_config_selectorIijEEZZNS1_16scan_by_key_implILNS1_25lookback_scan_determinismE0ELb0ES3_N6thrust23THRUST_200600_302600_NS6detail15normal_iteratorINS9_10device_ptrIiEEEENSB_INSC_IjEEEENSB_INSC_IfEEEEjNS9_4plusIvEENS9_8equal_toIvEEjEE10hipError_tPvRmT2_T3_T4_T5_mT6_T7_P12ihipStream_tbENKUlT_T0_E_clISt17integral_constantIbLb0EES13_EEDaSY_SZ_EUlSY_E_NS1_11comp_targetILNS1_3genE0ELNS1_11target_archE4294967295ELNS1_3gpuE0ELNS1_3repE0EEENS1_30default_config_static_selectorELNS0_4arch9wavefront6targetE0EEEvT1_ ; -- Begin function _ZN7rocprim17ROCPRIM_400000_NS6detail17trampoline_kernelINS0_14default_configENS1_27scan_by_key_config_selectorIijEEZZNS1_16scan_by_key_implILNS1_25lookback_scan_determinismE0ELb0ES3_N6thrust23THRUST_200600_302600_NS6detail15normal_iteratorINS9_10device_ptrIiEEEENSB_INSC_IjEEEENSB_INSC_IfEEEEjNS9_4plusIvEENS9_8equal_toIvEEjEE10hipError_tPvRmT2_T3_T4_T5_mT6_T7_P12ihipStream_tbENKUlT_T0_E_clISt17integral_constantIbLb0EES13_EEDaSY_SZ_EUlSY_E_NS1_11comp_targetILNS1_3genE0ELNS1_11target_archE4294967295ELNS1_3gpuE0ELNS1_3repE0EEENS1_30default_config_static_selectorELNS0_4arch9wavefront6targetE0EEEvT1_
	.globl	_ZN7rocprim17ROCPRIM_400000_NS6detail17trampoline_kernelINS0_14default_configENS1_27scan_by_key_config_selectorIijEEZZNS1_16scan_by_key_implILNS1_25lookback_scan_determinismE0ELb0ES3_N6thrust23THRUST_200600_302600_NS6detail15normal_iteratorINS9_10device_ptrIiEEEENSB_INSC_IjEEEENSB_INSC_IfEEEEjNS9_4plusIvEENS9_8equal_toIvEEjEE10hipError_tPvRmT2_T3_T4_T5_mT6_T7_P12ihipStream_tbENKUlT_T0_E_clISt17integral_constantIbLb0EES13_EEDaSY_SZ_EUlSY_E_NS1_11comp_targetILNS1_3genE0ELNS1_11target_archE4294967295ELNS1_3gpuE0ELNS1_3repE0EEENS1_30default_config_static_selectorELNS0_4arch9wavefront6targetE0EEEvT1_
	.p2align	8
	.type	_ZN7rocprim17ROCPRIM_400000_NS6detail17trampoline_kernelINS0_14default_configENS1_27scan_by_key_config_selectorIijEEZZNS1_16scan_by_key_implILNS1_25lookback_scan_determinismE0ELb0ES3_N6thrust23THRUST_200600_302600_NS6detail15normal_iteratorINS9_10device_ptrIiEEEENSB_INSC_IjEEEENSB_INSC_IfEEEEjNS9_4plusIvEENS9_8equal_toIvEEjEE10hipError_tPvRmT2_T3_T4_T5_mT6_T7_P12ihipStream_tbENKUlT_T0_E_clISt17integral_constantIbLb0EES13_EEDaSY_SZ_EUlSY_E_NS1_11comp_targetILNS1_3genE0ELNS1_11target_archE4294967295ELNS1_3gpuE0ELNS1_3repE0EEENS1_30default_config_static_selectorELNS0_4arch9wavefront6targetE0EEEvT1_,@function
_ZN7rocprim17ROCPRIM_400000_NS6detail17trampoline_kernelINS0_14default_configENS1_27scan_by_key_config_selectorIijEEZZNS1_16scan_by_key_implILNS1_25lookback_scan_determinismE0ELb0ES3_N6thrust23THRUST_200600_302600_NS6detail15normal_iteratorINS9_10device_ptrIiEEEENSB_INSC_IjEEEENSB_INSC_IfEEEEjNS9_4plusIvEENS9_8equal_toIvEEjEE10hipError_tPvRmT2_T3_T4_T5_mT6_T7_P12ihipStream_tbENKUlT_T0_E_clISt17integral_constantIbLb0EES13_EEDaSY_SZ_EUlSY_E_NS1_11comp_targetILNS1_3genE0ELNS1_11target_archE4294967295ELNS1_3gpuE0ELNS1_3repE0EEENS1_30default_config_static_selectorELNS0_4arch9wavefront6targetE0EEEvT1_: ; @_ZN7rocprim17ROCPRIM_400000_NS6detail17trampoline_kernelINS0_14default_configENS1_27scan_by_key_config_selectorIijEEZZNS1_16scan_by_key_implILNS1_25lookback_scan_determinismE0ELb0ES3_N6thrust23THRUST_200600_302600_NS6detail15normal_iteratorINS9_10device_ptrIiEEEENSB_INSC_IjEEEENSB_INSC_IfEEEEjNS9_4plusIvEENS9_8equal_toIvEEjEE10hipError_tPvRmT2_T3_T4_T5_mT6_T7_P12ihipStream_tbENKUlT_T0_E_clISt17integral_constantIbLb0EES13_EEDaSY_SZ_EUlSY_E_NS1_11comp_targetILNS1_3genE0ELNS1_11target_archE4294967295ELNS1_3gpuE0ELNS1_3repE0EEENS1_30default_config_static_selectorELNS0_4arch9wavefront6targetE0EEEvT1_
; %bb.0:
	.section	.rodata,"a",@progbits
	.p2align	6, 0x0
	.amdhsa_kernel _ZN7rocprim17ROCPRIM_400000_NS6detail17trampoline_kernelINS0_14default_configENS1_27scan_by_key_config_selectorIijEEZZNS1_16scan_by_key_implILNS1_25lookback_scan_determinismE0ELb0ES3_N6thrust23THRUST_200600_302600_NS6detail15normal_iteratorINS9_10device_ptrIiEEEENSB_INSC_IjEEEENSB_INSC_IfEEEEjNS9_4plusIvEENS9_8equal_toIvEEjEE10hipError_tPvRmT2_T3_T4_T5_mT6_T7_P12ihipStream_tbENKUlT_T0_E_clISt17integral_constantIbLb0EES13_EEDaSY_SZ_EUlSY_E_NS1_11comp_targetILNS1_3genE0ELNS1_11target_archE4294967295ELNS1_3gpuE0ELNS1_3repE0EEENS1_30default_config_static_selectorELNS0_4arch9wavefront6targetE0EEEvT1_
		.amdhsa_group_segment_fixed_size 0
		.amdhsa_private_segment_fixed_size 0
		.amdhsa_kernarg_size 112
		.amdhsa_user_sgpr_count 6
		.amdhsa_user_sgpr_private_segment_buffer 1
		.amdhsa_user_sgpr_dispatch_ptr 0
		.amdhsa_user_sgpr_queue_ptr 0
		.amdhsa_user_sgpr_kernarg_segment_ptr 1
		.amdhsa_user_sgpr_dispatch_id 0
		.amdhsa_user_sgpr_flat_scratch_init 0
		.amdhsa_user_sgpr_private_segment_size 0
		.amdhsa_wavefront_size32 1
		.amdhsa_uses_dynamic_stack 0
		.amdhsa_system_sgpr_private_segment_wavefront_offset 0
		.amdhsa_system_sgpr_workgroup_id_x 1
		.amdhsa_system_sgpr_workgroup_id_y 0
		.amdhsa_system_sgpr_workgroup_id_z 0
		.amdhsa_system_sgpr_workgroup_info 0
		.amdhsa_system_vgpr_workitem_id 0
		.amdhsa_next_free_vgpr 1
		.amdhsa_next_free_sgpr 1
		.amdhsa_reserve_vcc 0
		.amdhsa_reserve_flat_scratch 0
		.amdhsa_float_round_mode_32 0
		.amdhsa_float_round_mode_16_64 0
		.amdhsa_float_denorm_mode_32 3
		.amdhsa_float_denorm_mode_16_64 3
		.amdhsa_dx10_clamp 1
		.amdhsa_ieee_mode 1
		.amdhsa_fp16_overflow 0
		.amdhsa_workgroup_processor_mode 1
		.amdhsa_memory_ordered 1
		.amdhsa_forward_progress 1
		.amdhsa_shared_vgpr_count 0
		.amdhsa_exception_fp_ieee_invalid_op 0
		.amdhsa_exception_fp_denorm_src 0
		.amdhsa_exception_fp_ieee_div_zero 0
		.amdhsa_exception_fp_ieee_overflow 0
		.amdhsa_exception_fp_ieee_underflow 0
		.amdhsa_exception_fp_ieee_inexact 0
		.amdhsa_exception_int_div_zero 0
	.end_amdhsa_kernel
	.section	.text._ZN7rocprim17ROCPRIM_400000_NS6detail17trampoline_kernelINS0_14default_configENS1_27scan_by_key_config_selectorIijEEZZNS1_16scan_by_key_implILNS1_25lookback_scan_determinismE0ELb0ES3_N6thrust23THRUST_200600_302600_NS6detail15normal_iteratorINS9_10device_ptrIiEEEENSB_INSC_IjEEEENSB_INSC_IfEEEEjNS9_4plusIvEENS9_8equal_toIvEEjEE10hipError_tPvRmT2_T3_T4_T5_mT6_T7_P12ihipStream_tbENKUlT_T0_E_clISt17integral_constantIbLb0EES13_EEDaSY_SZ_EUlSY_E_NS1_11comp_targetILNS1_3genE0ELNS1_11target_archE4294967295ELNS1_3gpuE0ELNS1_3repE0EEENS1_30default_config_static_selectorELNS0_4arch9wavefront6targetE0EEEvT1_,"axG",@progbits,_ZN7rocprim17ROCPRIM_400000_NS6detail17trampoline_kernelINS0_14default_configENS1_27scan_by_key_config_selectorIijEEZZNS1_16scan_by_key_implILNS1_25lookback_scan_determinismE0ELb0ES3_N6thrust23THRUST_200600_302600_NS6detail15normal_iteratorINS9_10device_ptrIiEEEENSB_INSC_IjEEEENSB_INSC_IfEEEEjNS9_4plusIvEENS9_8equal_toIvEEjEE10hipError_tPvRmT2_T3_T4_T5_mT6_T7_P12ihipStream_tbENKUlT_T0_E_clISt17integral_constantIbLb0EES13_EEDaSY_SZ_EUlSY_E_NS1_11comp_targetILNS1_3genE0ELNS1_11target_archE4294967295ELNS1_3gpuE0ELNS1_3repE0EEENS1_30default_config_static_selectorELNS0_4arch9wavefront6targetE0EEEvT1_,comdat
.Lfunc_end1644:
	.size	_ZN7rocprim17ROCPRIM_400000_NS6detail17trampoline_kernelINS0_14default_configENS1_27scan_by_key_config_selectorIijEEZZNS1_16scan_by_key_implILNS1_25lookback_scan_determinismE0ELb0ES3_N6thrust23THRUST_200600_302600_NS6detail15normal_iteratorINS9_10device_ptrIiEEEENSB_INSC_IjEEEENSB_INSC_IfEEEEjNS9_4plusIvEENS9_8equal_toIvEEjEE10hipError_tPvRmT2_T3_T4_T5_mT6_T7_P12ihipStream_tbENKUlT_T0_E_clISt17integral_constantIbLb0EES13_EEDaSY_SZ_EUlSY_E_NS1_11comp_targetILNS1_3genE0ELNS1_11target_archE4294967295ELNS1_3gpuE0ELNS1_3repE0EEENS1_30default_config_static_selectorELNS0_4arch9wavefront6targetE0EEEvT1_, .Lfunc_end1644-_ZN7rocprim17ROCPRIM_400000_NS6detail17trampoline_kernelINS0_14default_configENS1_27scan_by_key_config_selectorIijEEZZNS1_16scan_by_key_implILNS1_25lookback_scan_determinismE0ELb0ES3_N6thrust23THRUST_200600_302600_NS6detail15normal_iteratorINS9_10device_ptrIiEEEENSB_INSC_IjEEEENSB_INSC_IfEEEEjNS9_4plusIvEENS9_8equal_toIvEEjEE10hipError_tPvRmT2_T3_T4_T5_mT6_T7_P12ihipStream_tbENKUlT_T0_E_clISt17integral_constantIbLb0EES13_EEDaSY_SZ_EUlSY_E_NS1_11comp_targetILNS1_3genE0ELNS1_11target_archE4294967295ELNS1_3gpuE0ELNS1_3repE0EEENS1_30default_config_static_selectorELNS0_4arch9wavefront6targetE0EEEvT1_
                                        ; -- End function
	.set _ZN7rocprim17ROCPRIM_400000_NS6detail17trampoline_kernelINS0_14default_configENS1_27scan_by_key_config_selectorIijEEZZNS1_16scan_by_key_implILNS1_25lookback_scan_determinismE0ELb0ES3_N6thrust23THRUST_200600_302600_NS6detail15normal_iteratorINS9_10device_ptrIiEEEENSB_INSC_IjEEEENSB_INSC_IfEEEEjNS9_4plusIvEENS9_8equal_toIvEEjEE10hipError_tPvRmT2_T3_T4_T5_mT6_T7_P12ihipStream_tbENKUlT_T0_E_clISt17integral_constantIbLb0EES13_EEDaSY_SZ_EUlSY_E_NS1_11comp_targetILNS1_3genE0ELNS1_11target_archE4294967295ELNS1_3gpuE0ELNS1_3repE0EEENS1_30default_config_static_selectorELNS0_4arch9wavefront6targetE0EEEvT1_.num_vgpr, 0
	.set _ZN7rocprim17ROCPRIM_400000_NS6detail17trampoline_kernelINS0_14default_configENS1_27scan_by_key_config_selectorIijEEZZNS1_16scan_by_key_implILNS1_25lookback_scan_determinismE0ELb0ES3_N6thrust23THRUST_200600_302600_NS6detail15normal_iteratorINS9_10device_ptrIiEEEENSB_INSC_IjEEEENSB_INSC_IfEEEEjNS9_4plusIvEENS9_8equal_toIvEEjEE10hipError_tPvRmT2_T3_T4_T5_mT6_T7_P12ihipStream_tbENKUlT_T0_E_clISt17integral_constantIbLb0EES13_EEDaSY_SZ_EUlSY_E_NS1_11comp_targetILNS1_3genE0ELNS1_11target_archE4294967295ELNS1_3gpuE0ELNS1_3repE0EEENS1_30default_config_static_selectorELNS0_4arch9wavefront6targetE0EEEvT1_.num_agpr, 0
	.set _ZN7rocprim17ROCPRIM_400000_NS6detail17trampoline_kernelINS0_14default_configENS1_27scan_by_key_config_selectorIijEEZZNS1_16scan_by_key_implILNS1_25lookback_scan_determinismE0ELb0ES3_N6thrust23THRUST_200600_302600_NS6detail15normal_iteratorINS9_10device_ptrIiEEEENSB_INSC_IjEEEENSB_INSC_IfEEEEjNS9_4plusIvEENS9_8equal_toIvEEjEE10hipError_tPvRmT2_T3_T4_T5_mT6_T7_P12ihipStream_tbENKUlT_T0_E_clISt17integral_constantIbLb0EES13_EEDaSY_SZ_EUlSY_E_NS1_11comp_targetILNS1_3genE0ELNS1_11target_archE4294967295ELNS1_3gpuE0ELNS1_3repE0EEENS1_30default_config_static_selectorELNS0_4arch9wavefront6targetE0EEEvT1_.numbered_sgpr, 0
	.set _ZN7rocprim17ROCPRIM_400000_NS6detail17trampoline_kernelINS0_14default_configENS1_27scan_by_key_config_selectorIijEEZZNS1_16scan_by_key_implILNS1_25lookback_scan_determinismE0ELb0ES3_N6thrust23THRUST_200600_302600_NS6detail15normal_iteratorINS9_10device_ptrIiEEEENSB_INSC_IjEEEENSB_INSC_IfEEEEjNS9_4plusIvEENS9_8equal_toIvEEjEE10hipError_tPvRmT2_T3_T4_T5_mT6_T7_P12ihipStream_tbENKUlT_T0_E_clISt17integral_constantIbLb0EES13_EEDaSY_SZ_EUlSY_E_NS1_11comp_targetILNS1_3genE0ELNS1_11target_archE4294967295ELNS1_3gpuE0ELNS1_3repE0EEENS1_30default_config_static_selectorELNS0_4arch9wavefront6targetE0EEEvT1_.num_named_barrier, 0
	.set _ZN7rocprim17ROCPRIM_400000_NS6detail17trampoline_kernelINS0_14default_configENS1_27scan_by_key_config_selectorIijEEZZNS1_16scan_by_key_implILNS1_25lookback_scan_determinismE0ELb0ES3_N6thrust23THRUST_200600_302600_NS6detail15normal_iteratorINS9_10device_ptrIiEEEENSB_INSC_IjEEEENSB_INSC_IfEEEEjNS9_4plusIvEENS9_8equal_toIvEEjEE10hipError_tPvRmT2_T3_T4_T5_mT6_T7_P12ihipStream_tbENKUlT_T0_E_clISt17integral_constantIbLb0EES13_EEDaSY_SZ_EUlSY_E_NS1_11comp_targetILNS1_3genE0ELNS1_11target_archE4294967295ELNS1_3gpuE0ELNS1_3repE0EEENS1_30default_config_static_selectorELNS0_4arch9wavefront6targetE0EEEvT1_.private_seg_size, 0
	.set _ZN7rocprim17ROCPRIM_400000_NS6detail17trampoline_kernelINS0_14default_configENS1_27scan_by_key_config_selectorIijEEZZNS1_16scan_by_key_implILNS1_25lookback_scan_determinismE0ELb0ES3_N6thrust23THRUST_200600_302600_NS6detail15normal_iteratorINS9_10device_ptrIiEEEENSB_INSC_IjEEEENSB_INSC_IfEEEEjNS9_4plusIvEENS9_8equal_toIvEEjEE10hipError_tPvRmT2_T3_T4_T5_mT6_T7_P12ihipStream_tbENKUlT_T0_E_clISt17integral_constantIbLb0EES13_EEDaSY_SZ_EUlSY_E_NS1_11comp_targetILNS1_3genE0ELNS1_11target_archE4294967295ELNS1_3gpuE0ELNS1_3repE0EEENS1_30default_config_static_selectorELNS0_4arch9wavefront6targetE0EEEvT1_.uses_vcc, 0
	.set _ZN7rocprim17ROCPRIM_400000_NS6detail17trampoline_kernelINS0_14default_configENS1_27scan_by_key_config_selectorIijEEZZNS1_16scan_by_key_implILNS1_25lookback_scan_determinismE0ELb0ES3_N6thrust23THRUST_200600_302600_NS6detail15normal_iteratorINS9_10device_ptrIiEEEENSB_INSC_IjEEEENSB_INSC_IfEEEEjNS9_4plusIvEENS9_8equal_toIvEEjEE10hipError_tPvRmT2_T3_T4_T5_mT6_T7_P12ihipStream_tbENKUlT_T0_E_clISt17integral_constantIbLb0EES13_EEDaSY_SZ_EUlSY_E_NS1_11comp_targetILNS1_3genE0ELNS1_11target_archE4294967295ELNS1_3gpuE0ELNS1_3repE0EEENS1_30default_config_static_selectorELNS0_4arch9wavefront6targetE0EEEvT1_.uses_flat_scratch, 0
	.set _ZN7rocprim17ROCPRIM_400000_NS6detail17trampoline_kernelINS0_14default_configENS1_27scan_by_key_config_selectorIijEEZZNS1_16scan_by_key_implILNS1_25lookback_scan_determinismE0ELb0ES3_N6thrust23THRUST_200600_302600_NS6detail15normal_iteratorINS9_10device_ptrIiEEEENSB_INSC_IjEEEENSB_INSC_IfEEEEjNS9_4plusIvEENS9_8equal_toIvEEjEE10hipError_tPvRmT2_T3_T4_T5_mT6_T7_P12ihipStream_tbENKUlT_T0_E_clISt17integral_constantIbLb0EES13_EEDaSY_SZ_EUlSY_E_NS1_11comp_targetILNS1_3genE0ELNS1_11target_archE4294967295ELNS1_3gpuE0ELNS1_3repE0EEENS1_30default_config_static_selectorELNS0_4arch9wavefront6targetE0EEEvT1_.has_dyn_sized_stack, 0
	.set _ZN7rocprim17ROCPRIM_400000_NS6detail17trampoline_kernelINS0_14default_configENS1_27scan_by_key_config_selectorIijEEZZNS1_16scan_by_key_implILNS1_25lookback_scan_determinismE0ELb0ES3_N6thrust23THRUST_200600_302600_NS6detail15normal_iteratorINS9_10device_ptrIiEEEENSB_INSC_IjEEEENSB_INSC_IfEEEEjNS9_4plusIvEENS9_8equal_toIvEEjEE10hipError_tPvRmT2_T3_T4_T5_mT6_T7_P12ihipStream_tbENKUlT_T0_E_clISt17integral_constantIbLb0EES13_EEDaSY_SZ_EUlSY_E_NS1_11comp_targetILNS1_3genE0ELNS1_11target_archE4294967295ELNS1_3gpuE0ELNS1_3repE0EEENS1_30default_config_static_selectorELNS0_4arch9wavefront6targetE0EEEvT1_.has_recursion, 0
	.set _ZN7rocprim17ROCPRIM_400000_NS6detail17trampoline_kernelINS0_14default_configENS1_27scan_by_key_config_selectorIijEEZZNS1_16scan_by_key_implILNS1_25lookback_scan_determinismE0ELb0ES3_N6thrust23THRUST_200600_302600_NS6detail15normal_iteratorINS9_10device_ptrIiEEEENSB_INSC_IjEEEENSB_INSC_IfEEEEjNS9_4plusIvEENS9_8equal_toIvEEjEE10hipError_tPvRmT2_T3_T4_T5_mT6_T7_P12ihipStream_tbENKUlT_T0_E_clISt17integral_constantIbLb0EES13_EEDaSY_SZ_EUlSY_E_NS1_11comp_targetILNS1_3genE0ELNS1_11target_archE4294967295ELNS1_3gpuE0ELNS1_3repE0EEENS1_30default_config_static_selectorELNS0_4arch9wavefront6targetE0EEEvT1_.has_indirect_call, 0
	.section	.AMDGPU.csdata,"",@progbits
; Kernel info:
; codeLenInByte = 0
; TotalNumSgprs: 0
; NumVgprs: 0
; ScratchSize: 0
; MemoryBound: 0
; FloatMode: 240
; IeeeMode: 1
; LDSByteSize: 0 bytes/workgroup (compile time only)
; SGPRBlocks: 0
; VGPRBlocks: 0
; NumSGPRsForWavesPerEU: 1
; NumVGPRsForWavesPerEU: 1
; Occupancy: 16
; WaveLimiterHint : 0
; COMPUTE_PGM_RSRC2:SCRATCH_EN: 0
; COMPUTE_PGM_RSRC2:USER_SGPR: 6
; COMPUTE_PGM_RSRC2:TRAP_HANDLER: 0
; COMPUTE_PGM_RSRC2:TGID_X_EN: 1
; COMPUTE_PGM_RSRC2:TGID_Y_EN: 0
; COMPUTE_PGM_RSRC2:TGID_Z_EN: 0
; COMPUTE_PGM_RSRC2:TIDIG_COMP_CNT: 0
	.section	.text._ZN7rocprim17ROCPRIM_400000_NS6detail17trampoline_kernelINS0_14default_configENS1_27scan_by_key_config_selectorIijEEZZNS1_16scan_by_key_implILNS1_25lookback_scan_determinismE0ELb0ES3_N6thrust23THRUST_200600_302600_NS6detail15normal_iteratorINS9_10device_ptrIiEEEENSB_INSC_IjEEEENSB_INSC_IfEEEEjNS9_4plusIvEENS9_8equal_toIvEEjEE10hipError_tPvRmT2_T3_T4_T5_mT6_T7_P12ihipStream_tbENKUlT_T0_E_clISt17integral_constantIbLb0EES13_EEDaSY_SZ_EUlSY_E_NS1_11comp_targetILNS1_3genE10ELNS1_11target_archE1201ELNS1_3gpuE5ELNS1_3repE0EEENS1_30default_config_static_selectorELNS0_4arch9wavefront6targetE0EEEvT1_,"axG",@progbits,_ZN7rocprim17ROCPRIM_400000_NS6detail17trampoline_kernelINS0_14default_configENS1_27scan_by_key_config_selectorIijEEZZNS1_16scan_by_key_implILNS1_25lookback_scan_determinismE0ELb0ES3_N6thrust23THRUST_200600_302600_NS6detail15normal_iteratorINS9_10device_ptrIiEEEENSB_INSC_IjEEEENSB_INSC_IfEEEEjNS9_4plusIvEENS9_8equal_toIvEEjEE10hipError_tPvRmT2_T3_T4_T5_mT6_T7_P12ihipStream_tbENKUlT_T0_E_clISt17integral_constantIbLb0EES13_EEDaSY_SZ_EUlSY_E_NS1_11comp_targetILNS1_3genE10ELNS1_11target_archE1201ELNS1_3gpuE5ELNS1_3repE0EEENS1_30default_config_static_selectorELNS0_4arch9wavefront6targetE0EEEvT1_,comdat
	.protected	_ZN7rocprim17ROCPRIM_400000_NS6detail17trampoline_kernelINS0_14default_configENS1_27scan_by_key_config_selectorIijEEZZNS1_16scan_by_key_implILNS1_25lookback_scan_determinismE0ELb0ES3_N6thrust23THRUST_200600_302600_NS6detail15normal_iteratorINS9_10device_ptrIiEEEENSB_INSC_IjEEEENSB_INSC_IfEEEEjNS9_4plusIvEENS9_8equal_toIvEEjEE10hipError_tPvRmT2_T3_T4_T5_mT6_T7_P12ihipStream_tbENKUlT_T0_E_clISt17integral_constantIbLb0EES13_EEDaSY_SZ_EUlSY_E_NS1_11comp_targetILNS1_3genE10ELNS1_11target_archE1201ELNS1_3gpuE5ELNS1_3repE0EEENS1_30default_config_static_selectorELNS0_4arch9wavefront6targetE0EEEvT1_ ; -- Begin function _ZN7rocprim17ROCPRIM_400000_NS6detail17trampoline_kernelINS0_14default_configENS1_27scan_by_key_config_selectorIijEEZZNS1_16scan_by_key_implILNS1_25lookback_scan_determinismE0ELb0ES3_N6thrust23THRUST_200600_302600_NS6detail15normal_iteratorINS9_10device_ptrIiEEEENSB_INSC_IjEEEENSB_INSC_IfEEEEjNS9_4plusIvEENS9_8equal_toIvEEjEE10hipError_tPvRmT2_T3_T4_T5_mT6_T7_P12ihipStream_tbENKUlT_T0_E_clISt17integral_constantIbLb0EES13_EEDaSY_SZ_EUlSY_E_NS1_11comp_targetILNS1_3genE10ELNS1_11target_archE1201ELNS1_3gpuE5ELNS1_3repE0EEENS1_30default_config_static_selectorELNS0_4arch9wavefront6targetE0EEEvT1_
	.globl	_ZN7rocprim17ROCPRIM_400000_NS6detail17trampoline_kernelINS0_14default_configENS1_27scan_by_key_config_selectorIijEEZZNS1_16scan_by_key_implILNS1_25lookback_scan_determinismE0ELb0ES3_N6thrust23THRUST_200600_302600_NS6detail15normal_iteratorINS9_10device_ptrIiEEEENSB_INSC_IjEEEENSB_INSC_IfEEEEjNS9_4plusIvEENS9_8equal_toIvEEjEE10hipError_tPvRmT2_T3_T4_T5_mT6_T7_P12ihipStream_tbENKUlT_T0_E_clISt17integral_constantIbLb0EES13_EEDaSY_SZ_EUlSY_E_NS1_11comp_targetILNS1_3genE10ELNS1_11target_archE1201ELNS1_3gpuE5ELNS1_3repE0EEENS1_30default_config_static_selectorELNS0_4arch9wavefront6targetE0EEEvT1_
	.p2align	8
	.type	_ZN7rocprim17ROCPRIM_400000_NS6detail17trampoline_kernelINS0_14default_configENS1_27scan_by_key_config_selectorIijEEZZNS1_16scan_by_key_implILNS1_25lookback_scan_determinismE0ELb0ES3_N6thrust23THRUST_200600_302600_NS6detail15normal_iteratorINS9_10device_ptrIiEEEENSB_INSC_IjEEEENSB_INSC_IfEEEEjNS9_4plusIvEENS9_8equal_toIvEEjEE10hipError_tPvRmT2_T3_T4_T5_mT6_T7_P12ihipStream_tbENKUlT_T0_E_clISt17integral_constantIbLb0EES13_EEDaSY_SZ_EUlSY_E_NS1_11comp_targetILNS1_3genE10ELNS1_11target_archE1201ELNS1_3gpuE5ELNS1_3repE0EEENS1_30default_config_static_selectorELNS0_4arch9wavefront6targetE0EEEvT1_,@function
_ZN7rocprim17ROCPRIM_400000_NS6detail17trampoline_kernelINS0_14default_configENS1_27scan_by_key_config_selectorIijEEZZNS1_16scan_by_key_implILNS1_25lookback_scan_determinismE0ELb0ES3_N6thrust23THRUST_200600_302600_NS6detail15normal_iteratorINS9_10device_ptrIiEEEENSB_INSC_IjEEEENSB_INSC_IfEEEEjNS9_4plusIvEENS9_8equal_toIvEEjEE10hipError_tPvRmT2_T3_T4_T5_mT6_T7_P12ihipStream_tbENKUlT_T0_E_clISt17integral_constantIbLb0EES13_EEDaSY_SZ_EUlSY_E_NS1_11comp_targetILNS1_3genE10ELNS1_11target_archE1201ELNS1_3gpuE5ELNS1_3repE0EEENS1_30default_config_static_selectorELNS0_4arch9wavefront6targetE0EEEvT1_: ; @_ZN7rocprim17ROCPRIM_400000_NS6detail17trampoline_kernelINS0_14default_configENS1_27scan_by_key_config_selectorIijEEZZNS1_16scan_by_key_implILNS1_25lookback_scan_determinismE0ELb0ES3_N6thrust23THRUST_200600_302600_NS6detail15normal_iteratorINS9_10device_ptrIiEEEENSB_INSC_IjEEEENSB_INSC_IfEEEEjNS9_4plusIvEENS9_8equal_toIvEEjEE10hipError_tPvRmT2_T3_T4_T5_mT6_T7_P12ihipStream_tbENKUlT_T0_E_clISt17integral_constantIbLb0EES13_EEDaSY_SZ_EUlSY_E_NS1_11comp_targetILNS1_3genE10ELNS1_11target_archE1201ELNS1_3gpuE5ELNS1_3repE0EEENS1_30default_config_static_selectorELNS0_4arch9wavefront6targetE0EEEvT1_
; %bb.0:
	.section	.rodata,"a",@progbits
	.p2align	6, 0x0
	.amdhsa_kernel _ZN7rocprim17ROCPRIM_400000_NS6detail17trampoline_kernelINS0_14default_configENS1_27scan_by_key_config_selectorIijEEZZNS1_16scan_by_key_implILNS1_25lookback_scan_determinismE0ELb0ES3_N6thrust23THRUST_200600_302600_NS6detail15normal_iteratorINS9_10device_ptrIiEEEENSB_INSC_IjEEEENSB_INSC_IfEEEEjNS9_4plusIvEENS9_8equal_toIvEEjEE10hipError_tPvRmT2_T3_T4_T5_mT6_T7_P12ihipStream_tbENKUlT_T0_E_clISt17integral_constantIbLb0EES13_EEDaSY_SZ_EUlSY_E_NS1_11comp_targetILNS1_3genE10ELNS1_11target_archE1201ELNS1_3gpuE5ELNS1_3repE0EEENS1_30default_config_static_selectorELNS0_4arch9wavefront6targetE0EEEvT1_
		.amdhsa_group_segment_fixed_size 0
		.amdhsa_private_segment_fixed_size 0
		.amdhsa_kernarg_size 112
		.amdhsa_user_sgpr_count 6
		.amdhsa_user_sgpr_private_segment_buffer 1
		.amdhsa_user_sgpr_dispatch_ptr 0
		.amdhsa_user_sgpr_queue_ptr 0
		.amdhsa_user_sgpr_kernarg_segment_ptr 1
		.amdhsa_user_sgpr_dispatch_id 0
		.amdhsa_user_sgpr_flat_scratch_init 0
		.amdhsa_user_sgpr_private_segment_size 0
		.amdhsa_wavefront_size32 1
		.amdhsa_uses_dynamic_stack 0
		.amdhsa_system_sgpr_private_segment_wavefront_offset 0
		.amdhsa_system_sgpr_workgroup_id_x 1
		.amdhsa_system_sgpr_workgroup_id_y 0
		.amdhsa_system_sgpr_workgroup_id_z 0
		.amdhsa_system_sgpr_workgroup_info 0
		.amdhsa_system_vgpr_workitem_id 0
		.amdhsa_next_free_vgpr 1
		.amdhsa_next_free_sgpr 1
		.amdhsa_reserve_vcc 0
		.amdhsa_reserve_flat_scratch 0
		.amdhsa_float_round_mode_32 0
		.amdhsa_float_round_mode_16_64 0
		.amdhsa_float_denorm_mode_32 3
		.amdhsa_float_denorm_mode_16_64 3
		.amdhsa_dx10_clamp 1
		.amdhsa_ieee_mode 1
		.amdhsa_fp16_overflow 0
		.amdhsa_workgroup_processor_mode 1
		.amdhsa_memory_ordered 1
		.amdhsa_forward_progress 1
		.amdhsa_shared_vgpr_count 0
		.amdhsa_exception_fp_ieee_invalid_op 0
		.amdhsa_exception_fp_denorm_src 0
		.amdhsa_exception_fp_ieee_div_zero 0
		.amdhsa_exception_fp_ieee_overflow 0
		.amdhsa_exception_fp_ieee_underflow 0
		.amdhsa_exception_fp_ieee_inexact 0
		.amdhsa_exception_int_div_zero 0
	.end_amdhsa_kernel
	.section	.text._ZN7rocprim17ROCPRIM_400000_NS6detail17trampoline_kernelINS0_14default_configENS1_27scan_by_key_config_selectorIijEEZZNS1_16scan_by_key_implILNS1_25lookback_scan_determinismE0ELb0ES3_N6thrust23THRUST_200600_302600_NS6detail15normal_iteratorINS9_10device_ptrIiEEEENSB_INSC_IjEEEENSB_INSC_IfEEEEjNS9_4plusIvEENS9_8equal_toIvEEjEE10hipError_tPvRmT2_T3_T4_T5_mT6_T7_P12ihipStream_tbENKUlT_T0_E_clISt17integral_constantIbLb0EES13_EEDaSY_SZ_EUlSY_E_NS1_11comp_targetILNS1_3genE10ELNS1_11target_archE1201ELNS1_3gpuE5ELNS1_3repE0EEENS1_30default_config_static_selectorELNS0_4arch9wavefront6targetE0EEEvT1_,"axG",@progbits,_ZN7rocprim17ROCPRIM_400000_NS6detail17trampoline_kernelINS0_14default_configENS1_27scan_by_key_config_selectorIijEEZZNS1_16scan_by_key_implILNS1_25lookback_scan_determinismE0ELb0ES3_N6thrust23THRUST_200600_302600_NS6detail15normal_iteratorINS9_10device_ptrIiEEEENSB_INSC_IjEEEENSB_INSC_IfEEEEjNS9_4plusIvEENS9_8equal_toIvEEjEE10hipError_tPvRmT2_T3_T4_T5_mT6_T7_P12ihipStream_tbENKUlT_T0_E_clISt17integral_constantIbLb0EES13_EEDaSY_SZ_EUlSY_E_NS1_11comp_targetILNS1_3genE10ELNS1_11target_archE1201ELNS1_3gpuE5ELNS1_3repE0EEENS1_30default_config_static_selectorELNS0_4arch9wavefront6targetE0EEEvT1_,comdat
.Lfunc_end1645:
	.size	_ZN7rocprim17ROCPRIM_400000_NS6detail17trampoline_kernelINS0_14default_configENS1_27scan_by_key_config_selectorIijEEZZNS1_16scan_by_key_implILNS1_25lookback_scan_determinismE0ELb0ES3_N6thrust23THRUST_200600_302600_NS6detail15normal_iteratorINS9_10device_ptrIiEEEENSB_INSC_IjEEEENSB_INSC_IfEEEEjNS9_4plusIvEENS9_8equal_toIvEEjEE10hipError_tPvRmT2_T3_T4_T5_mT6_T7_P12ihipStream_tbENKUlT_T0_E_clISt17integral_constantIbLb0EES13_EEDaSY_SZ_EUlSY_E_NS1_11comp_targetILNS1_3genE10ELNS1_11target_archE1201ELNS1_3gpuE5ELNS1_3repE0EEENS1_30default_config_static_selectorELNS0_4arch9wavefront6targetE0EEEvT1_, .Lfunc_end1645-_ZN7rocprim17ROCPRIM_400000_NS6detail17trampoline_kernelINS0_14default_configENS1_27scan_by_key_config_selectorIijEEZZNS1_16scan_by_key_implILNS1_25lookback_scan_determinismE0ELb0ES3_N6thrust23THRUST_200600_302600_NS6detail15normal_iteratorINS9_10device_ptrIiEEEENSB_INSC_IjEEEENSB_INSC_IfEEEEjNS9_4plusIvEENS9_8equal_toIvEEjEE10hipError_tPvRmT2_T3_T4_T5_mT6_T7_P12ihipStream_tbENKUlT_T0_E_clISt17integral_constantIbLb0EES13_EEDaSY_SZ_EUlSY_E_NS1_11comp_targetILNS1_3genE10ELNS1_11target_archE1201ELNS1_3gpuE5ELNS1_3repE0EEENS1_30default_config_static_selectorELNS0_4arch9wavefront6targetE0EEEvT1_
                                        ; -- End function
	.set _ZN7rocprim17ROCPRIM_400000_NS6detail17trampoline_kernelINS0_14default_configENS1_27scan_by_key_config_selectorIijEEZZNS1_16scan_by_key_implILNS1_25lookback_scan_determinismE0ELb0ES3_N6thrust23THRUST_200600_302600_NS6detail15normal_iteratorINS9_10device_ptrIiEEEENSB_INSC_IjEEEENSB_INSC_IfEEEEjNS9_4plusIvEENS9_8equal_toIvEEjEE10hipError_tPvRmT2_T3_T4_T5_mT6_T7_P12ihipStream_tbENKUlT_T0_E_clISt17integral_constantIbLb0EES13_EEDaSY_SZ_EUlSY_E_NS1_11comp_targetILNS1_3genE10ELNS1_11target_archE1201ELNS1_3gpuE5ELNS1_3repE0EEENS1_30default_config_static_selectorELNS0_4arch9wavefront6targetE0EEEvT1_.num_vgpr, 0
	.set _ZN7rocprim17ROCPRIM_400000_NS6detail17trampoline_kernelINS0_14default_configENS1_27scan_by_key_config_selectorIijEEZZNS1_16scan_by_key_implILNS1_25lookback_scan_determinismE0ELb0ES3_N6thrust23THRUST_200600_302600_NS6detail15normal_iteratorINS9_10device_ptrIiEEEENSB_INSC_IjEEEENSB_INSC_IfEEEEjNS9_4plusIvEENS9_8equal_toIvEEjEE10hipError_tPvRmT2_T3_T4_T5_mT6_T7_P12ihipStream_tbENKUlT_T0_E_clISt17integral_constantIbLb0EES13_EEDaSY_SZ_EUlSY_E_NS1_11comp_targetILNS1_3genE10ELNS1_11target_archE1201ELNS1_3gpuE5ELNS1_3repE0EEENS1_30default_config_static_selectorELNS0_4arch9wavefront6targetE0EEEvT1_.num_agpr, 0
	.set _ZN7rocprim17ROCPRIM_400000_NS6detail17trampoline_kernelINS0_14default_configENS1_27scan_by_key_config_selectorIijEEZZNS1_16scan_by_key_implILNS1_25lookback_scan_determinismE0ELb0ES3_N6thrust23THRUST_200600_302600_NS6detail15normal_iteratorINS9_10device_ptrIiEEEENSB_INSC_IjEEEENSB_INSC_IfEEEEjNS9_4plusIvEENS9_8equal_toIvEEjEE10hipError_tPvRmT2_T3_T4_T5_mT6_T7_P12ihipStream_tbENKUlT_T0_E_clISt17integral_constantIbLb0EES13_EEDaSY_SZ_EUlSY_E_NS1_11comp_targetILNS1_3genE10ELNS1_11target_archE1201ELNS1_3gpuE5ELNS1_3repE0EEENS1_30default_config_static_selectorELNS0_4arch9wavefront6targetE0EEEvT1_.numbered_sgpr, 0
	.set _ZN7rocprim17ROCPRIM_400000_NS6detail17trampoline_kernelINS0_14default_configENS1_27scan_by_key_config_selectorIijEEZZNS1_16scan_by_key_implILNS1_25lookback_scan_determinismE0ELb0ES3_N6thrust23THRUST_200600_302600_NS6detail15normal_iteratorINS9_10device_ptrIiEEEENSB_INSC_IjEEEENSB_INSC_IfEEEEjNS9_4plusIvEENS9_8equal_toIvEEjEE10hipError_tPvRmT2_T3_T4_T5_mT6_T7_P12ihipStream_tbENKUlT_T0_E_clISt17integral_constantIbLb0EES13_EEDaSY_SZ_EUlSY_E_NS1_11comp_targetILNS1_3genE10ELNS1_11target_archE1201ELNS1_3gpuE5ELNS1_3repE0EEENS1_30default_config_static_selectorELNS0_4arch9wavefront6targetE0EEEvT1_.num_named_barrier, 0
	.set _ZN7rocprim17ROCPRIM_400000_NS6detail17trampoline_kernelINS0_14default_configENS1_27scan_by_key_config_selectorIijEEZZNS1_16scan_by_key_implILNS1_25lookback_scan_determinismE0ELb0ES3_N6thrust23THRUST_200600_302600_NS6detail15normal_iteratorINS9_10device_ptrIiEEEENSB_INSC_IjEEEENSB_INSC_IfEEEEjNS9_4plusIvEENS9_8equal_toIvEEjEE10hipError_tPvRmT2_T3_T4_T5_mT6_T7_P12ihipStream_tbENKUlT_T0_E_clISt17integral_constantIbLb0EES13_EEDaSY_SZ_EUlSY_E_NS1_11comp_targetILNS1_3genE10ELNS1_11target_archE1201ELNS1_3gpuE5ELNS1_3repE0EEENS1_30default_config_static_selectorELNS0_4arch9wavefront6targetE0EEEvT1_.private_seg_size, 0
	.set _ZN7rocprim17ROCPRIM_400000_NS6detail17trampoline_kernelINS0_14default_configENS1_27scan_by_key_config_selectorIijEEZZNS1_16scan_by_key_implILNS1_25lookback_scan_determinismE0ELb0ES3_N6thrust23THRUST_200600_302600_NS6detail15normal_iteratorINS9_10device_ptrIiEEEENSB_INSC_IjEEEENSB_INSC_IfEEEEjNS9_4plusIvEENS9_8equal_toIvEEjEE10hipError_tPvRmT2_T3_T4_T5_mT6_T7_P12ihipStream_tbENKUlT_T0_E_clISt17integral_constantIbLb0EES13_EEDaSY_SZ_EUlSY_E_NS1_11comp_targetILNS1_3genE10ELNS1_11target_archE1201ELNS1_3gpuE5ELNS1_3repE0EEENS1_30default_config_static_selectorELNS0_4arch9wavefront6targetE0EEEvT1_.uses_vcc, 0
	.set _ZN7rocprim17ROCPRIM_400000_NS6detail17trampoline_kernelINS0_14default_configENS1_27scan_by_key_config_selectorIijEEZZNS1_16scan_by_key_implILNS1_25lookback_scan_determinismE0ELb0ES3_N6thrust23THRUST_200600_302600_NS6detail15normal_iteratorINS9_10device_ptrIiEEEENSB_INSC_IjEEEENSB_INSC_IfEEEEjNS9_4plusIvEENS9_8equal_toIvEEjEE10hipError_tPvRmT2_T3_T4_T5_mT6_T7_P12ihipStream_tbENKUlT_T0_E_clISt17integral_constantIbLb0EES13_EEDaSY_SZ_EUlSY_E_NS1_11comp_targetILNS1_3genE10ELNS1_11target_archE1201ELNS1_3gpuE5ELNS1_3repE0EEENS1_30default_config_static_selectorELNS0_4arch9wavefront6targetE0EEEvT1_.uses_flat_scratch, 0
	.set _ZN7rocprim17ROCPRIM_400000_NS6detail17trampoline_kernelINS0_14default_configENS1_27scan_by_key_config_selectorIijEEZZNS1_16scan_by_key_implILNS1_25lookback_scan_determinismE0ELb0ES3_N6thrust23THRUST_200600_302600_NS6detail15normal_iteratorINS9_10device_ptrIiEEEENSB_INSC_IjEEEENSB_INSC_IfEEEEjNS9_4plusIvEENS9_8equal_toIvEEjEE10hipError_tPvRmT2_T3_T4_T5_mT6_T7_P12ihipStream_tbENKUlT_T0_E_clISt17integral_constantIbLb0EES13_EEDaSY_SZ_EUlSY_E_NS1_11comp_targetILNS1_3genE10ELNS1_11target_archE1201ELNS1_3gpuE5ELNS1_3repE0EEENS1_30default_config_static_selectorELNS0_4arch9wavefront6targetE0EEEvT1_.has_dyn_sized_stack, 0
	.set _ZN7rocprim17ROCPRIM_400000_NS6detail17trampoline_kernelINS0_14default_configENS1_27scan_by_key_config_selectorIijEEZZNS1_16scan_by_key_implILNS1_25lookback_scan_determinismE0ELb0ES3_N6thrust23THRUST_200600_302600_NS6detail15normal_iteratorINS9_10device_ptrIiEEEENSB_INSC_IjEEEENSB_INSC_IfEEEEjNS9_4plusIvEENS9_8equal_toIvEEjEE10hipError_tPvRmT2_T3_T4_T5_mT6_T7_P12ihipStream_tbENKUlT_T0_E_clISt17integral_constantIbLb0EES13_EEDaSY_SZ_EUlSY_E_NS1_11comp_targetILNS1_3genE10ELNS1_11target_archE1201ELNS1_3gpuE5ELNS1_3repE0EEENS1_30default_config_static_selectorELNS0_4arch9wavefront6targetE0EEEvT1_.has_recursion, 0
	.set _ZN7rocprim17ROCPRIM_400000_NS6detail17trampoline_kernelINS0_14default_configENS1_27scan_by_key_config_selectorIijEEZZNS1_16scan_by_key_implILNS1_25lookback_scan_determinismE0ELb0ES3_N6thrust23THRUST_200600_302600_NS6detail15normal_iteratorINS9_10device_ptrIiEEEENSB_INSC_IjEEEENSB_INSC_IfEEEEjNS9_4plusIvEENS9_8equal_toIvEEjEE10hipError_tPvRmT2_T3_T4_T5_mT6_T7_P12ihipStream_tbENKUlT_T0_E_clISt17integral_constantIbLb0EES13_EEDaSY_SZ_EUlSY_E_NS1_11comp_targetILNS1_3genE10ELNS1_11target_archE1201ELNS1_3gpuE5ELNS1_3repE0EEENS1_30default_config_static_selectorELNS0_4arch9wavefront6targetE0EEEvT1_.has_indirect_call, 0
	.section	.AMDGPU.csdata,"",@progbits
; Kernel info:
; codeLenInByte = 0
; TotalNumSgprs: 0
; NumVgprs: 0
; ScratchSize: 0
; MemoryBound: 0
; FloatMode: 240
; IeeeMode: 1
; LDSByteSize: 0 bytes/workgroup (compile time only)
; SGPRBlocks: 0
; VGPRBlocks: 0
; NumSGPRsForWavesPerEU: 1
; NumVGPRsForWavesPerEU: 1
; Occupancy: 16
; WaveLimiterHint : 0
; COMPUTE_PGM_RSRC2:SCRATCH_EN: 0
; COMPUTE_PGM_RSRC2:USER_SGPR: 6
; COMPUTE_PGM_RSRC2:TRAP_HANDLER: 0
; COMPUTE_PGM_RSRC2:TGID_X_EN: 1
; COMPUTE_PGM_RSRC2:TGID_Y_EN: 0
; COMPUTE_PGM_RSRC2:TGID_Z_EN: 0
; COMPUTE_PGM_RSRC2:TIDIG_COMP_CNT: 0
	.section	.text._ZN7rocprim17ROCPRIM_400000_NS6detail17trampoline_kernelINS0_14default_configENS1_27scan_by_key_config_selectorIijEEZZNS1_16scan_by_key_implILNS1_25lookback_scan_determinismE0ELb0ES3_N6thrust23THRUST_200600_302600_NS6detail15normal_iteratorINS9_10device_ptrIiEEEENSB_INSC_IjEEEENSB_INSC_IfEEEEjNS9_4plusIvEENS9_8equal_toIvEEjEE10hipError_tPvRmT2_T3_T4_T5_mT6_T7_P12ihipStream_tbENKUlT_T0_E_clISt17integral_constantIbLb0EES13_EEDaSY_SZ_EUlSY_E_NS1_11comp_targetILNS1_3genE5ELNS1_11target_archE942ELNS1_3gpuE9ELNS1_3repE0EEENS1_30default_config_static_selectorELNS0_4arch9wavefront6targetE0EEEvT1_,"axG",@progbits,_ZN7rocprim17ROCPRIM_400000_NS6detail17trampoline_kernelINS0_14default_configENS1_27scan_by_key_config_selectorIijEEZZNS1_16scan_by_key_implILNS1_25lookback_scan_determinismE0ELb0ES3_N6thrust23THRUST_200600_302600_NS6detail15normal_iteratorINS9_10device_ptrIiEEEENSB_INSC_IjEEEENSB_INSC_IfEEEEjNS9_4plusIvEENS9_8equal_toIvEEjEE10hipError_tPvRmT2_T3_T4_T5_mT6_T7_P12ihipStream_tbENKUlT_T0_E_clISt17integral_constantIbLb0EES13_EEDaSY_SZ_EUlSY_E_NS1_11comp_targetILNS1_3genE5ELNS1_11target_archE942ELNS1_3gpuE9ELNS1_3repE0EEENS1_30default_config_static_selectorELNS0_4arch9wavefront6targetE0EEEvT1_,comdat
	.protected	_ZN7rocprim17ROCPRIM_400000_NS6detail17trampoline_kernelINS0_14default_configENS1_27scan_by_key_config_selectorIijEEZZNS1_16scan_by_key_implILNS1_25lookback_scan_determinismE0ELb0ES3_N6thrust23THRUST_200600_302600_NS6detail15normal_iteratorINS9_10device_ptrIiEEEENSB_INSC_IjEEEENSB_INSC_IfEEEEjNS9_4plusIvEENS9_8equal_toIvEEjEE10hipError_tPvRmT2_T3_T4_T5_mT6_T7_P12ihipStream_tbENKUlT_T0_E_clISt17integral_constantIbLb0EES13_EEDaSY_SZ_EUlSY_E_NS1_11comp_targetILNS1_3genE5ELNS1_11target_archE942ELNS1_3gpuE9ELNS1_3repE0EEENS1_30default_config_static_selectorELNS0_4arch9wavefront6targetE0EEEvT1_ ; -- Begin function _ZN7rocprim17ROCPRIM_400000_NS6detail17trampoline_kernelINS0_14default_configENS1_27scan_by_key_config_selectorIijEEZZNS1_16scan_by_key_implILNS1_25lookback_scan_determinismE0ELb0ES3_N6thrust23THRUST_200600_302600_NS6detail15normal_iteratorINS9_10device_ptrIiEEEENSB_INSC_IjEEEENSB_INSC_IfEEEEjNS9_4plusIvEENS9_8equal_toIvEEjEE10hipError_tPvRmT2_T3_T4_T5_mT6_T7_P12ihipStream_tbENKUlT_T0_E_clISt17integral_constantIbLb0EES13_EEDaSY_SZ_EUlSY_E_NS1_11comp_targetILNS1_3genE5ELNS1_11target_archE942ELNS1_3gpuE9ELNS1_3repE0EEENS1_30default_config_static_selectorELNS0_4arch9wavefront6targetE0EEEvT1_
	.globl	_ZN7rocprim17ROCPRIM_400000_NS6detail17trampoline_kernelINS0_14default_configENS1_27scan_by_key_config_selectorIijEEZZNS1_16scan_by_key_implILNS1_25lookback_scan_determinismE0ELb0ES3_N6thrust23THRUST_200600_302600_NS6detail15normal_iteratorINS9_10device_ptrIiEEEENSB_INSC_IjEEEENSB_INSC_IfEEEEjNS9_4plusIvEENS9_8equal_toIvEEjEE10hipError_tPvRmT2_T3_T4_T5_mT6_T7_P12ihipStream_tbENKUlT_T0_E_clISt17integral_constantIbLb0EES13_EEDaSY_SZ_EUlSY_E_NS1_11comp_targetILNS1_3genE5ELNS1_11target_archE942ELNS1_3gpuE9ELNS1_3repE0EEENS1_30default_config_static_selectorELNS0_4arch9wavefront6targetE0EEEvT1_
	.p2align	8
	.type	_ZN7rocprim17ROCPRIM_400000_NS6detail17trampoline_kernelINS0_14default_configENS1_27scan_by_key_config_selectorIijEEZZNS1_16scan_by_key_implILNS1_25lookback_scan_determinismE0ELb0ES3_N6thrust23THRUST_200600_302600_NS6detail15normal_iteratorINS9_10device_ptrIiEEEENSB_INSC_IjEEEENSB_INSC_IfEEEEjNS9_4plusIvEENS9_8equal_toIvEEjEE10hipError_tPvRmT2_T3_T4_T5_mT6_T7_P12ihipStream_tbENKUlT_T0_E_clISt17integral_constantIbLb0EES13_EEDaSY_SZ_EUlSY_E_NS1_11comp_targetILNS1_3genE5ELNS1_11target_archE942ELNS1_3gpuE9ELNS1_3repE0EEENS1_30default_config_static_selectorELNS0_4arch9wavefront6targetE0EEEvT1_,@function
_ZN7rocprim17ROCPRIM_400000_NS6detail17trampoline_kernelINS0_14default_configENS1_27scan_by_key_config_selectorIijEEZZNS1_16scan_by_key_implILNS1_25lookback_scan_determinismE0ELb0ES3_N6thrust23THRUST_200600_302600_NS6detail15normal_iteratorINS9_10device_ptrIiEEEENSB_INSC_IjEEEENSB_INSC_IfEEEEjNS9_4plusIvEENS9_8equal_toIvEEjEE10hipError_tPvRmT2_T3_T4_T5_mT6_T7_P12ihipStream_tbENKUlT_T0_E_clISt17integral_constantIbLb0EES13_EEDaSY_SZ_EUlSY_E_NS1_11comp_targetILNS1_3genE5ELNS1_11target_archE942ELNS1_3gpuE9ELNS1_3repE0EEENS1_30default_config_static_selectorELNS0_4arch9wavefront6targetE0EEEvT1_: ; @_ZN7rocprim17ROCPRIM_400000_NS6detail17trampoline_kernelINS0_14default_configENS1_27scan_by_key_config_selectorIijEEZZNS1_16scan_by_key_implILNS1_25lookback_scan_determinismE0ELb0ES3_N6thrust23THRUST_200600_302600_NS6detail15normal_iteratorINS9_10device_ptrIiEEEENSB_INSC_IjEEEENSB_INSC_IfEEEEjNS9_4plusIvEENS9_8equal_toIvEEjEE10hipError_tPvRmT2_T3_T4_T5_mT6_T7_P12ihipStream_tbENKUlT_T0_E_clISt17integral_constantIbLb0EES13_EEDaSY_SZ_EUlSY_E_NS1_11comp_targetILNS1_3genE5ELNS1_11target_archE942ELNS1_3gpuE9ELNS1_3repE0EEENS1_30default_config_static_selectorELNS0_4arch9wavefront6targetE0EEEvT1_
; %bb.0:
	.section	.rodata,"a",@progbits
	.p2align	6, 0x0
	.amdhsa_kernel _ZN7rocprim17ROCPRIM_400000_NS6detail17trampoline_kernelINS0_14default_configENS1_27scan_by_key_config_selectorIijEEZZNS1_16scan_by_key_implILNS1_25lookback_scan_determinismE0ELb0ES3_N6thrust23THRUST_200600_302600_NS6detail15normal_iteratorINS9_10device_ptrIiEEEENSB_INSC_IjEEEENSB_INSC_IfEEEEjNS9_4plusIvEENS9_8equal_toIvEEjEE10hipError_tPvRmT2_T3_T4_T5_mT6_T7_P12ihipStream_tbENKUlT_T0_E_clISt17integral_constantIbLb0EES13_EEDaSY_SZ_EUlSY_E_NS1_11comp_targetILNS1_3genE5ELNS1_11target_archE942ELNS1_3gpuE9ELNS1_3repE0EEENS1_30default_config_static_selectorELNS0_4arch9wavefront6targetE0EEEvT1_
		.amdhsa_group_segment_fixed_size 0
		.amdhsa_private_segment_fixed_size 0
		.amdhsa_kernarg_size 112
		.amdhsa_user_sgpr_count 6
		.amdhsa_user_sgpr_private_segment_buffer 1
		.amdhsa_user_sgpr_dispatch_ptr 0
		.amdhsa_user_sgpr_queue_ptr 0
		.amdhsa_user_sgpr_kernarg_segment_ptr 1
		.amdhsa_user_sgpr_dispatch_id 0
		.amdhsa_user_sgpr_flat_scratch_init 0
		.amdhsa_user_sgpr_private_segment_size 0
		.amdhsa_wavefront_size32 1
		.amdhsa_uses_dynamic_stack 0
		.amdhsa_system_sgpr_private_segment_wavefront_offset 0
		.amdhsa_system_sgpr_workgroup_id_x 1
		.amdhsa_system_sgpr_workgroup_id_y 0
		.amdhsa_system_sgpr_workgroup_id_z 0
		.amdhsa_system_sgpr_workgroup_info 0
		.amdhsa_system_vgpr_workitem_id 0
		.amdhsa_next_free_vgpr 1
		.amdhsa_next_free_sgpr 1
		.amdhsa_reserve_vcc 0
		.amdhsa_reserve_flat_scratch 0
		.amdhsa_float_round_mode_32 0
		.amdhsa_float_round_mode_16_64 0
		.amdhsa_float_denorm_mode_32 3
		.amdhsa_float_denorm_mode_16_64 3
		.amdhsa_dx10_clamp 1
		.amdhsa_ieee_mode 1
		.amdhsa_fp16_overflow 0
		.amdhsa_workgroup_processor_mode 1
		.amdhsa_memory_ordered 1
		.amdhsa_forward_progress 1
		.amdhsa_shared_vgpr_count 0
		.amdhsa_exception_fp_ieee_invalid_op 0
		.amdhsa_exception_fp_denorm_src 0
		.amdhsa_exception_fp_ieee_div_zero 0
		.amdhsa_exception_fp_ieee_overflow 0
		.amdhsa_exception_fp_ieee_underflow 0
		.amdhsa_exception_fp_ieee_inexact 0
		.amdhsa_exception_int_div_zero 0
	.end_amdhsa_kernel
	.section	.text._ZN7rocprim17ROCPRIM_400000_NS6detail17trampoline_kernelINS0_14default_configENS1_27scan_by_key_config_selectorIijEEZZNS1_16scan_by_key_implILNS1_25lookback_scan_determinismE0ELb0ES3_N6thrust23THRUST_200600_302600_NS6detail15normal_iteratorINS9_10device_ptrIiEEEENSB_INSC_IjEEEENSB_INSC_IfEEEEjNS9_4plusIvEENS9_8equal_toIvEEjEE10hipError_tPvRmT2_T3_T4_T5_mT6_T7_P12ihipStream_tbENKUlT_T0_E_clISt17integral_constantIbLb0EES13_EEDaSY_SZ_EUlSY_E_NS1_11comp_targetILNS1_3genE5ELNS1_11target_archE942ELNS1_3gpuE9ELNS1_3repE0EEENS1_30default_config_static_selectorELNS0_4arch9wavefront6targetE0EEEvT1_,"axG",@progbits,_ZN7rocprim17ROCPRIM_400000_NS6detail17trampoline_kernelINS0_14default_configENS1_27scan_by_key_config_selectorIijEEZZNS1_16scan_by_key_implILNS1_25lookback_scan_determinismE0ELb0ES3_N6thrust23THRUST_200600_302600_NS6detail15normal_iteratorINS9_10device_ptrIiEEEENSB_INSC_IjEEEENSB_INSC_IfEEEEjNS9_4plusIvEENS9_8equal_toIvEEjEE10hipError_tPvRmT2_T3_T4_T5_mT6_T7_P12ihipStream_tbENKUlT_T0_E_clISt17integral_constantIbLb0EES13_EEDaSY_SZ_EUlSY_E_NS1_11comp_targetILNS1_3genE5ELNS1_11target_archE942ELNS1_3gpuE9ELNS1_3repE0EEENS1_30default_config_static_selectorELNS0_4arch9wavefront6targetE0EEEvT1_,comdat
.Lfunc_end1646:
	.size	_ZN7rocprim17ROCPRIM_400000_NS6detail17trampoline_kernelINS0_14default_configENS1_27scan_by_key_config_selectorIijEEZZNS1_16scan_by_key_implILNS1_25lookback_scan_determinismE0ELb0ES3_N6thrust23THRUST_200600_302600_NS6detail15normal_iteratorINS9_10device_ptrIiEEEENSB_INSC_IjEEEENSB_INSC_IfEEEEjNS9_4plusIvEENS9_8equal_toIvEEjEE10hipError_tPvRmT2_T3_T4_T5_mT6_T7_P12ihipStream_tbENKUlT_T0_E_clISt17integral_constantIbLb0EES13_EEDaSY_SZ_EUlSY_E_NS1_11comp_targetILNS1_3genE5ELNS1_11target_archE942ELNS1_3gpuE9ELNS1_3repE0EEENS1_30default_config_static_selectorELNS0_4arch9wavefront6targetE0EEEvT1_, .Lfunc_end1646-_ZN7rocprim17ROCPRIM_400000_NS6detail17trampoline_kernelINS0_14default_configENS1_27scan_by_key_config_selectorIijEEZZNS1_16scan_by_key_implILNS1_25lookback_scan_determinismE0ELb0ES3_N6thrust23THRUST_200600_302600_NS6detail15normal_iteratorINS9_10device_ptrIiEEEENSB_INSC_IjEEEENSB_INSC_IfEEEEjNS9_4plusIvEENS9_8equal_toIvEEjEE10hipError_tPvRmT2_T3_T4_T5_mT6_T7_P12ihipStream_tbENKUlT_T0_E_clISt17integral_constantIbLb0EES13_EEDaSY_SZ_EUlSY_E_NS1_11comp_targetILNS1_3genE5ELNS1_11target_archE942ELNS1_3gpuE9ELNS1_3repE0EEENS1_30default_config_static_selectorELNS0_4arch9wavefront6targetE0EEEvT1_
                                        ; -- End function
	.set _ZN7rocprim17ROCPRIM_400000_NS6detail17trampoline_kernelINS0_14default_configENS1_27scan_by_key_config_selectorIijEEZZNS1_16scan_by_key_implILNS1_25lookback_scan_determinismE0ELb0ES3_N6thrust23THRUST_200600_302600_NS6detail15normal_iteratorINS9_10device_ptrIiEEEENSB_INSC_IjEEEENSB_INSC_IfEEEEjNS9_4plusIvEENS9_8equal_toIvEEjEE10hipError_tPvRmT2_T3_T4_T5_mT6_T7_P12ihipStream_tbENKUlT_T0_E_clISt17integral_constantIbLb0EES13_EEDaSY_SZ_EUlSY_E_NS1_11comp_targetILNS1_3genE5ELNS1_11target_archE942ELNS1_3gpuE9ELNS1_3repE0EEENS1_30default_config_static_selectorELNS0_4arch9wavefront6targetE0EEEvT1_.num_vgpr, 0
	.set _ZN7rocprim17ROCPRIM_400000_NS6detail17trampoline_kernelINS0_14default_configENS1_27scan_by_key_config_selectorIijEEZZNS1_16scan_by_key_implILNS1_25lookback_scan_determinismE0ELb0ES3_N6thrust23THRUST_200600_302600_NS6detail15normal_iteratorINS9_10device_ptrIiEEEENSB_INSC_IjEEEENSB_INSC_IfEEEEjNS9_4plusIvEENS9_8equal_toIvEEjEE10hipError_tPvRmT2_T3_T4_T5_mT6_T7_P12ihipStream_tbENKUlT_T0_E_clISt17integral_constantIbLb0EES13_EEDaSY_SZ_EUlSY_E_NS1_11comp_targetILNS1_3genE5ELNS1_11target_archE942ELNS1_3gpuE9ELNS1_3repE0EEENS1_30default_config_static_selectorELNS0_4arch9wavefront6targetE0EEEvT1_.num_agpr, 0
	.set _ZN7rocprim17ROCPRIM_400000_NS6detail17trampoline_kernelINS0_14default_configENS1_27scan_by_key_config_selectorIijEEZZNS1_16scan_by_key_implILNS1_25lookback_scan_determinismE0ELb0ES3_N6thrust23THRUST_200600_302600_NS6detail15normal_iteratorINS9_10device_ptrIiEEEENSB_INSC_IjEEEENSB_INSC_IfEEEEjNS9_4plusIvEENS9_8equal_toIvEEjEE10hipError_tPvRmT2_T3_T4_T5_mT6_T7_P12ihipStream_tbENKUlT_T0_E_clISt17integral_constantIbLb0EES13_EEDaSY_SZ_EUlSY_E_NS1_11comp_targetILNS1_3genE5ELNS1_11target_archE942ELNS1_3gpuE9ELNS1_3repE0EEENS1_30default_config_static_selectorELNS0_4arch9wavefront6targetE0EEEvT1_.numbered_sgpr, 0
	.set _ZN7rocprim17ROCPRIM_400000_NS6detail17trampoline_kernelINS0_14default_configENS1_27scan_by_key_config_selectorIijEEZZNS1_16scan_by_key_implILNS1_25lookback_scan_determinismE0ELb0ES3_N6thrust23THRUST_200600_302600_NS6detail15normal_iteratorINS9_10device_ptrIiEEEENSB_INSC_IjEEEENSB_INSC_IfEEEEjNS9_4plusIvEENS9_8equal_toIvEEjEE10hipError_tPvRmT2_T3_T4_T5_mT6_T7_P12ihipStream_tbENKUlT_T0_E_clISt17integral_constantIbLb0EES13_EEDaSY_SZ_EUlSY_E_NS1_11comp_targetILNS1_3genE5ELNS1_11target_archE942ELNS1_3gpuE9ELNS1_3repE0EEENS1_30default_config_static_selectorELNS0_4arch9wavefront6targetE0EEEvT1_.num_named_barrier, 0
	.set _ZN7rocprim17ROCPRIM_400000_NS6detail17trampoline_kernelINS0_14default_configENS1_27scan_by_key_config_selectorIijEEZZNS1_16scan_by_key_implILNS1_25lookback_scan_determinismE0ELb0ES3_N6thrust23THRUST_200600_302600_NS6detail15normal_iteratorINS9_10device_ptrIiEEEENSB_INSC_IjEEEENSB_INSC_IfEEEEjNS9_4plusIvEENS9_8equal_toIvEEjEE10hipError_tPvRmT2_T3_T4_T5_mT6_T7_P12ihipStream_tbENKUlT_T0_E_clISt17integral_constantIbLb0EES13_EEDaSY_SZ_EUlSY_E_NS1_11comp_targetILNS1_3genE5ELNS1_11target_archE942ELNS1_3gpuE9ELNS1_3repE0EEENS1_30default_config_static_selectorELNS0_4arch9wavefront6targetE0EEEvT1_.private_seg_size, 0
	.set _ZN7rocprim17ROCPRIM_400000_NS6detail17trampoline_kernelINS0_14default_configENS1_27scan_by_key_config_selectorIijEEZZNS1_16scan_by_key_implILNS1_25lookback_scan_determinismE0ELb0ES3_N6thrust23THRUST_200600_302600_NS6detail15normal_iteratorINS9_10device_ptrIiEEEENSB_INSC_IjEEEENSB_INSC_IfEEEEjNS9_4plusIvEENS9_8equal_toIvEEjEE10hipError_tPvRmT2_T3_T4_T5_mT6_T7_P12ihipStream_tbENKUlT_T0_E_clISt17integral_constantIbLb0EES13_EEDaSY_SZ_EUlSY_E_NS1_11comp_targetILNS1_3genE5ELNS1_11target_archE942ELNS1_3gpuE9ELNS1_3repE0EEENS1_30default_config_static_selectorELNS0_4arch9wavefront6targetE0EEEvT1_.uses_vcc, 0
	.set _ZN7rocprim17ROCPRIM_400000_NS6detail17trampoline_kernelINS0_14default_configENS1_27scan_by_key_config_selectorIijEEZZNS1_16scan_by_key_implILNS1_25lookback_scan_determinismE0ELb0ES3_N6thrust23THRUST_200600_302600_NS6detail15normal_iteratorINS9_10device_ptrIiEEEENSB_INSC_IjEEEENSB_INSC_IfEEEEjNS9_4plusIvEENS9_8equal_toIvEEjEE10hipError_tPvRmT2_T3_T4_T5_mT6_T7_P12ihipStream_tbENKUlT_T0_E_clISt17integral_constantIbLb0EES13_EEDaSY_SZ_EUlSY_E_NS1_11comp_targetILNS1_3genE5ELNS1_11target_archE942ELNS1_3gpuE9ELNS1_3repE0EEENS1_30default_config_static_selectorELNS0_4arch9wavefront6targetE0EEEvT1_.uses_flat_scratch, 0
	.set _ZN7rocprim17ROCPRIM_400000_NS6detail17trampoline_kernelINS0_14default_configENS1_27scan_by_key_config_selectorIijEEZZNS1_16scan_by_key_implILNS1_25lookback_scan_determinismE0ELb0ES3_N6thrust23THRUST_200600_302600_NS6detail15normal_iteratorINS9_10device_ptrIiEEEENSB_INSC_IjEEEENSB_INSC_IfEEEEjNS9_4plusIvEENS9_8equal_toIvEEjEE10hipError_tPvRmT2_T3_T4_T5_mT6_T7_P12ihipStream_tbENKUlT_T0_E_clISt17integral_constantIbLb0EES13_EEDaSY_SZ_EUlSY_E_NS1_11comp_targetILNS1_3genE5ELNS1_11target_archE942ELNS1_3gpuE9ELNS1_3repE0EEENS1_30default_config_static_selectorELNS0_4arch9wavefront6targetE0EEEvT1_.has_dyn_sized_stack, 0
	.set _ZN7rocprim17ROCPRIM_400000_NS6detail17trampoline_kernelINS0_14default_configENS1_27scan_by_key_config_selectorIijEEZZNS1_16scan_by_key_implILNS1_25lookback_scan_determinismE0ELb0ES3_N6thrust23THRUST_200600_302600_NS6detail15normal_iteratorINS9_10device_ptrIiEEEENSB_INSC_IjEEEENSB_INSC_IfEEEEjNS9_4plusIvEENS9_8equal_toIvEEjEE10hipError_tPvRmT2_T3_T4_T5_mT6_T7_P12ihipStream_tbENKUlT_T0_E_clISt17integral_constantIbLb0EES13_EEDaSY_SZ_EUlSY_E_NS1_11comp_targetILNS1_3genE5ELNS1_11target_archE942ELNS1_3gpuE9ELNS1_3repE0EEENS1_30default_config_static_selectorELNS0_4arch9wavefront6targetE0EEEvT1_.has_recursion, 0
	.set _ZN7rocprim17ROCPRIM_400000_NS6detail17trampoline_kernelINS0_14default_configENS1_27scan_by_key_config_selectorIijEEZZNS1_16scan_by_key_implILNS1_25lookback_scan_determinismE0ELb0ES3_N6thrust23THRUST_200600_302600_NS6detail15normal_iteratorINS9_10device_ptrIiEEEENSB_INSC_IjEEEENSB_INSC_IfEEEEjNS9_4plusIvEENS9_8equal_toIvEEjEE10hipError_tPvRmT2_T3_T4_T5_mT6_T7_P12ihipStream_tbENKUlT_T0_E_clISt17integral_constantIbLb0EES13_EEDaSY_SZ_EUlSY_E_NS1_11comp_targetILNS1_3genE5ELNS1_11target_archE942ELNS1_3gpuE9ELNS1_3repE0EEENS1_30default_config_static_selectorELNS0_4arch9wavefront6targetE0EEEvT1_.has_indirect_call, 0
	.section	.AMDGPU.csdata,"",@progbits
; Kernel info:
; codeLenInByte = 0
; TotalNumSgprs: 0
; NumVgprs: 0
; ScratchSize: 0
; MemoryBound: 0
; FloatMode: 240
; IeeeMode: 1
; LDSByteSize: 0 bytes/workgroup (compile time only)
; SGPRBlocks: 0
; VGPRBlocks: 0
; NumSGPRsForWavesPerEU: 1
; NumVGPRsForWavesPerEU: 1
; Occupancy: 16
; WaveLimiterHint : 0
; COMPUTE_PGM_RSRC2:SCRATCH_EN: 0
; COMPUTE_PGM_RSRC2:USER_SGPR: 6
; COMPUTE_PGM_RSRC2:TRAP_HANDLER: 0
; COMPUTE_PGM_RSRC2:TGID_X_EN: 1
; COMPUTE_PGM_RSRC2:TGID_Y_EN: 0
; COMPUTE_PGM_RSRC2:TGID_Z_EN: 0
; COMPUTE_PGM_RSRC2:TIDIG_COMP_CNT: 0
	.section	.text._ZN7rocprim17ROCPRIM_400000_NS6detail17trampoline_kernelINS0_14default_configENS1_27scan_by_key_config_selectorIijEEZZNS1_16scan_by_key_implILNS1_25lookback_scan_determinismE0ELb0ES3_N6thrust23THRUST_200600_302600_NS6detail15normal_iteratorINS9_10device_ptrIiEEEENSB_INSC_IjEEEENSB_INSC_IfEEEEjNS9_4plusIvEENS9_8equal_toIvEEjEE10hipError_tPvRmT2_T3_T4_T5_mT6_T7_P12ihipStream_tbENKUlT_T0_E_clISt17integral_constantIbLb0EES13_EEDaSY_SZ_EUlSY_E_NS1_11comp_targetILNS1_3genE4ELNS1_11target_archE910ELNS1_3gpuE8ELNS1_3repE0EEENS1_30default_config_static_selectorELNS0_4arch9wavefront6targetE0EEEvT1_,"axG",@progbits,_ZN7rocprim17ROCPRIM_400000_NS6detail17trampoline_kernelINS0_14default_configENS1_27scan_by_key_config_selectorIijEEZZNS1_16scan_by_key_implILNS1_25lookback_scan_determinismE0ELb0ES3_N6thrust23THRUST_200600_302600_NS6detail15normal_iteratorINS9_10device_ptrIiEEEENSB_INSC_IjEEEENSB_INSC_IfEEEEjNS9_4plusIvEENS9_8equal_toIvEEjEE10hipError_tPvRmT2_T3_T4_T5_mT6_T7_P12ihipStream_tbENKUlT_T0_E_clISt17integral_constantIbLb0EES13_EEDaSY_SZ_EUlSY_E_NS1_11comp_targetILNS1_3genE4ELNS1_11target_archE910ELNS1_3gpuE8ELNS1_3repE0EEENS1_30default_config_static_selectorELNS0_4arch9wavefront6targetE0EEEvT1_,comdat
	.protected	_ZN7rocprim17ROCPRIM_400000_NS6detail17trampoline_kernelINS0_14default_configENS1_27scan_by_key_config_selectorIijEEZZNS1_16scan_by_key_implILNS1_25lookback_scan_determinismE0ELb0ES3_N6thrust23THRUST_200600_302600_NS6detail15normal_iteratorINS9_10device_ptrIiEEEENSB_INSC_IjEEEENSB_INSC_IfEEEEjNS9_4plusIvEENS9_8equal_toIvEEjEE10hipError_tPvRmT2_T3_T4_T5_mT6_T7_P12ihipStream_tbENKUlT_T0_E_clISt17integral_constantIbLb0EES13_EEDaSY_SZ_EUlSY_E_NS1_11comp_targetILNS1_3genE4ELNS1_11target_archE910ELNS1_3gpuE8ELNS1_3repE0EEENS1_30default_config_static_selectorELNS0_4arch9wavefront6targetE0EEEvT1_ ; -- Begin function _ZN7rocprim17ROCPRIM_400000_NS6detail17trampoline_kernelINS0_14default_configENS1_27scan_by_key_config_selectorIijEEZZNS1_16scan_by_key_implILNS1_25lookback_scan_determinismE0ELb0ES3_N6thrust23THRUST_200600_302600_NS6detail15normal_iteratorINS9_10device_ptrIiEEEENSB_INSC_IjEEEENSB_INSC_IfEEEEjNS9_4plusIvEENS9_8equal_toIvEEjEE10hipError_tPvRmT2_T3_T4_T5_mT6_T7_P12ihipStream_tbENKUlT_T0_E_clISt17integral_constantIbLb0EES13_EEDaSY_SZ_EUlSY_E_NS1_11comp_targetILNS1_3genE4ELNS1_11target_archE910ELNS1_3gpuE8ELNS1_3repE0EEENS1_30default_config_static_selectorELNS0_4arch9wavefront6targetE0EEEvT1_
	.globl	_ZN7rocprim17ROCPRIM_400000_NS6detail17trampoline_kernelINS0_14default_configENS1_27scan_by_key_config_selectorIijEEZZNS1_16scan_by_key_implILNS1_25lookback_scan_determinismE0ELb0ES3_N6thrust23THRUST_200600_302600_NS6detail15normal_iteratorINS9_10device_ptrIiEEEENSB_INSC_IjEEEENSB_INSC_IfEEEEjNS9_4plusIvEENS9_8equal_toIvEEjEE10hipError_tPvRmT2_T3_T4_T5_mT6_T7_P12ihipStream_tbENKUlT_T0_E_clISt17integral_constantIbLb0EES13_EEDaSY_SZ_EUlSY_E_NS1_11comp_targetILNS1_3genE4ELNS1_11target_archE910ELNS1_3gpuE8ELNS1_3repE0EEENS1_30default_config_static_selectorELNS0_4arch9wavefront6targetE0EEEvT1_
	.p2align	8
	.type	_ZN7rocprim17ROCPRIM_400000_NS6detail17trampoline_kernelINS0_14default_configENS1_27scan_by_key_config_selectorIijEEZZNS1_16scan_by_key_implILNS1_25lookback_scan_determinismE0ELb0ES3_N6thrust23THRUST_200600_302600_NS6detail15normal_iteratorINS9_10device_ptrIiEEEENSB_INSC_IjEEEENSB_INSC_IfEEEEjNS9_4plusIvEENS9_8equal_toIvEEjEE10hipError_tPvRmT2_T3_T4_T5_mT6_T7_P12ihipStream_tbENKUlT_T0_E_clISt17integral_constantIbLb0EES13_EEDaSY_SZ_EUlSY_E_NS1_11comp_targetILNS1_3genE4ELNS1_11target_archE910ELNS1_3gpuE8ELNS1_3repE0EEENS1_30default_config_static_selectorELNS0_4arch9wavefront6targetE0EEEvT1_,@function
_ZN7rocprim17ROCPRIM_400000_NS6detail17trampoline_kernelINS0_14default_configENS1_27scan_by_key_config_selectorIijEEZZNS1_16scan_by_key_implILNS1_25lookback_scan_determinismE0ELb0ES3_N6thrust23THRUST_200600_302600_NS6detail15normal_iteratorINS9_10device_ptrIiEEEENSB_INSC_IjEEEENSB_INSC_IfEEEEjNS9_4plusIvEENS9_8equal_toIvEEjEE10hipError_tPvRmT2_T3_T4_T5_mT6_T7_P12ihipStream_tbENKUlT_T0_E_clISt17integral_constantIbLb0EES13_EEDaSY_SZ_EUlSY_E_NS1_11comp_targetILNS1_3genE4ELNS1_11target_archE910ELNS1_3gpuE8ELNS1_3repE0EEENS1_30default_config_static_selectorELNS0_4arch9wavefront6targetE0EEEvT1_: ; @_ZN7rocprim17ROCPRIM_400000_NS6detail17trampoline_kernelINS0_14default_configENS1_27scan_by_key_config_selectorIijEEZZNS1_16scan_by_key_implILNS1_25lookback_scan_determinismE0ELb0ES3_N6thrust23THRUST_200600_302600_NS6detail15normal_iteratorINS9_10device_ptrIiEEEENSB_INSC_IjEEEENSB_INSC_IfEEEEjNS9_4plusIvEENS9_8equal_toIvEEjEE10hipError_tPvRmT2_T3_T4_T5_mT6_T7_P12ihipStream_tbENKUlT_T0_E_clISt17integral_constantIbLb0EES13_EEDaSY_SZ_EUlSY_E_NS1_11comp_targetILNS1_3genE4ELNS1_11target_archE910ELNS1_3gpuE8ELNS1_3repE0EEENS1_30default_config_static_selectorELNS0_4arch9wavefront6targetE0EEEvT1_
; %bb.0:
	.section	.rodata,"a",@progbits
	.p2align	6, 0x0
	.amdhsa_kernel _ZN7rocprim17ROCPRIM_400000_NS6detail17trampoline_kernelINS0_14default_configENS1_27scan_by_key_config_selectorIijEEZZNS1_16scan_by_key_implILNS1_25lookback_scan_determinismE0ELb0ES3_N6thrust23THRUST_200600_302600_NS6detail15normal_iteratorINS9_10device_ptrIiEEEENSB_INSC_IjEEEENSB_INSC_IfEEEEjNS9_4plusIvEENS9_8equal_toIvEEjEE10hipError_tPvRmT2_T3_T4_T5_mT6_T7_P12ihipStream_tbENKUlT_T0_E_clISt17integral_constantIbLb0EES13_EEDaSY_SZ_EUlSY_E_NS1_11comp_targetILNS1_3genE4ELNS1_11target_archE910ELNS1_3gpuE8ELNS1_3repE0EEENS1_30default_config_static_selectorELNS0_4arch9wavefront6targetE0EEEvT1_
		.amdhsa_group_segment_fixed_size 0
		.amdhsa_private_segment_fixed_size 0
		.amdhsa_kernarg_size 112
		.amdhsa_user_sgpr_count 6
		.amdhsa_user_sgpr_private_segment_buffer 1
		.amdhsa_user_sgpr_dispatch_ptr 0
		.amdhsa_user_sgpr_queue_ptr 0
		.amdhsa_user_sgpr_kernarg_segment_ptr 1
		.amdhsa_user_sgpr_dispatch_id 0
		.amdhsa_user_sgpr_flat_scratch_init 0
		.amdhsa_user_sgpr_private_segment_size 0
		.amdhsa_wavefront_size32 1
		.amdhsa_uses_dynamic_stack 0
		.amdhsa_system_sgpr_private_segment_wavefront_offset 0
		.amdhsa_system_sgpr_workgroup_id_x 1
		.amdhsa_system_sgpr_workgroup_id_y 0
		.amdhsa_system_sgpr_workgroup_id_z 0
		.amdhsa_system_sgpr_workgroup_info 0
		.amdhsa_system_vgpr_workitem_id 0
		.amdhsa_next_free_vgpr 1
		.amdhsa_next_free_sgpr 1
		.amdhsa_reserve_vcc 0
		.amdhsa_reserve_flat_scratch 0
		.amdhsa_float_round_mode_32 0
		.amdhsa_float_round_mode_16_64 0
		.amdhsa_float_denorm_mode_32 3
		.amdhsa_float_denorm_mode_16_64 3
		.amdhsa_dx10_clamp 1
		.amdhsa_ieee_mode 1
		.amdhsa_fp16_overflow 0
		.amdhsa_workgroup_processor_mode 1
		.amdhsa_memory_ordered 1
		.amdhsa_forward_progress 1
		.amdhsa_shared_vgpr_count 0
		.amdhsa_exception_fp_ieee_invalid_op 0
		.amdhsa_exception_fp_denorm_src 0
		.amdhsa_exception_fp_ieee_div_zero 0
		.amdhsa_exception_fp_ieee_overflow 0
		.amdhsa_exception_fp_ieee_underflow 0
		.amdhsa_exception_fp_ieee_inexact 0
		.amdhsa_exception_int_div_zero 0
	.end_amdhsa_kernel
	.section	.text._ZN7rocprim17ROCPRIM_400000_NS6detail17trampoline_kernelINS0_14default_configENS1_27scan_by_key_config_selectorIijEEZZNS1_16scan_by_key_implILNS1_25lookback_scan_determinismE0ELb0ES3_N6thrust23THRUST_200600_302600_NS6detail15normal_iteratorINS9_10device_ptrIiEEEENSB_INSC_IjEEEENSB_INSC_IfEEEEjNS9_4plusIvEENS9_8equal_toIvEEjEE10hipError_tPvRmT2_T3_T4_T5_mT6_T7_P12ihipStream_tbENKUlT_T0_E_clISt17integral_constantIbLb0EES13_EEDaSY_SZ_EUlSY_E_NS1_11comp_targetILNS1_3genE4ELNS1_11target_archE910ELNS1_3gpuE8ELNS1_3repE0EEENS1_30default_config_static_selectorELNS0_4arch9wavefront6targetE0EEEvT1_,"axG",@progbits,_ZN7rocprim17ROCPRIM_400000_NS6detail17trampoline_kernelINS0_14default_configENS1_27scan_by_key_config_selectorIijEEZZNS1_16scan_by_key_implILNS1_25lookback_scan_determinismE0ELb0ES3_N6thrust23THRUST_200600_302600_NS6detail15normal_iteratorINS9_10device_ptrIiEEEENSB_INSC_IjEEEENSB_INSC_IfEEEEjNS9_4plusIvEENS9_8equal_toIvEEjEE10hipError_tPvRmT2_T3_T4_T5_mT6_T7_P12ihipStream_tbENKUlT_T0_E_clISt17integral_constantIbLb0EES13_EEDaSY_SZ_EUlSY_E_NS1_11comp_targetILNS1_3genE4ELNS1_11target_archE910ELNS1_3gpuE8ELNS1_3repE0EEENS1_30default_config_static_selectorELNS0_4arch9wavefront6targetE0EEEvT1_,comdat
.Lfunc_end1647:
	.size	_ZN7rocprim17ROCPRIM_400000_NS6detail17trampoline_kernelINS0_14default_configENS1_27scan_by_key_config_selectorIijEEZZNS1_16scan_by_key_implILNS1_25lookback_scan_determinismE0ELb0ES3_N6thrust23THRUST_200600_302600_NS6detail15normal_iteratorINS9_10device_ptrIiEEEENSB_INSC_IjEEEENSB_INSC_IfEEEEjNS9_4plusIvEENS9_8equal_toIvEEjEE10hipError_tPvRmT2_T3_T4_T5_mT6_T7_P12ihipStream_tbENKUlT_T0_E_clISt17integral_constantIbLb0EES13_EEDaSY_SZ_EUlSY_E_NS1_11comp_targetILNS1_3genE4ELNS1_11target_archE910ELNS1_3gpuE8ELNS1_3repE0EEENS1_30default_config_static_selectorELNS0_4arch9wavefront6targetE0EEEvT1_, .Lfunc_end1647-_ZN7rocprim17ROCPRIM_400000_NS6detail17trampoline_kernelINS0_14default_configENS1_27scan_by_key_config_selectorIijEEZZNS1_16scan_by_key_implILNS1_25lookback_scan_determinismE0ELb0ES3_N6thrust23THRUST_200600_302600_NS6detail15normal_iteratorINS9_10device_ptrIiEEEENSB_INSC_IjEEEENSB_INSC_IfEEEEjNS9_4plusIvEENS9_8equal_toIvEEjEE10hipError_tPvRmT2_T3_T4_T5_mT6_T7_P12ihipStream_tbENKUlT_T0_E_clISt17integral_constantIbLb0EES13_EEDaSY_SZ_EUlSY_E_NS1_11comp_targetILNS1_3genE4ELNS1_11target_archE910ELNS1_3gpuE8ELNS1_3repE0EEENS1_30default_config_static_selectorELNS0_4arch9wavefront6targetE0EEEvT1_
                                        ; -- End function
	.set _ZN7rocprim17ROCPRIM_400000_NS6detail17trampoline_kernelINS0_14default_configENS1_27scan_by_key_config_selectorIijEEZZNS1_16scan_by_key_implILNS1_25lookback_scan_determinismE0ELb0ES3_N6thrust23THRUST_200600_302600_NS6detail15normal_iteratorINS9_10device_ptrIiEEEENSB_INSC_IjEEEENSB_INSC_IfEEEEjNS9_4plusIvEENS9_8equal_toIvEEjEE10hipError_tPvRmT2_T3_T4_T5_mT6_T7_P12ihipStream_tbENKUlT_T0_E_clISt17integral_constantIbLb0EES13_EEDaSY_SZ_EUlSY_E_NS1_11comp_targetILNS1_3genE4ELNS1_11target_archE910ELNS1_3gpuE8ELNS1_3repE0EEENS1_30default_config_static_selectorELNS0_4arch9wavefront6targetE0EEEvT1_.num_vgpr, 0
	.set _ZN7rocprim17ROCPRIM_400000_NS6detail17trampoline_kernelINS0_14default_configENS1_27scan_by_key_config_selectorIijEEZZNS1_16scan_by_key_implILNS1_25lookback_scan_determinismE0ELb0ES3_N6thrust23THRUST_200600_302600_NS6detail15normal_iteratorINS9_10device_ptrIiEEEENSB_INSC_IjEEEENSB_INSC_IfEEEEjNS9_4plusIvEENS9_8equal_toIvEEjEE10hipError_tPvRmT2_T3_T4_T5_mT6_T7_P12ihipStream_tbENKUlT_T0_E_clISt17integral_constantIbLb0EES13_EEDaSY_SZ_EUlSY_E_NS1_11comp_targetILNS1_3genE4ELNS1_11target_archE910ELNS1_3gpuE8ELNS1_3repE0EEENS1_30default_config_static_selectorELNS0_4arch9wavefront6targetE0EEEvT1_.num_agpr, 0
	.set _ZN7rocprim17ROCPRIM_400000_NS6detail17trampoline_kernelINS0_14default_configENS1_27scan_by_key_config_selectorIijEEZZNS1_16scan_by_key_implILNS1_25lookback_scan_determinismE0ELb0ES3_N6thrust23THRUST_200600_302600_NS6detail15normal_iteratorINS9_10device_ptrIiEEEENSB_INSC_IjEEEENSB_INSC_IfEEEEjNS9_4plusIvEENS9_8equal_toIvEEjEE10hipError_tPvRmT2_T3_T4_T5_mT6_T7_P12ihipStream_tbENKUlT_T0_E_clISt17integral_constantIbLb0EES13_EEDaSY_SZ_EUlSY_E_NS1_11comp_targetILNS1_3genE4ELNS1_11target_archE910ELNS1_3gpuE8ELNS1_3repE0EEENS1_30default_config_static_selectorELNS0_4arch9wavefront6targetE0EEEvT1_.numbered_sgpr, 0
	.set _ZN7rocprim17ROCPRIM_400000_NS6detail17trampoline_kernelINS0_14default_configENS1_27scan_by_key_config_selectorIijEEZZNS1_16scan_by_key_implILNS1_25lookback_scan_determinismE0ELb0ES3_N6thrust23THRUST_200600_302600_NS6detail15normal_iteratorINS9_10device_ptrIiEEEENSB_INSC_IjEEEENSB_INSC_IfEEEEjNS9_4plusIvEENS9_8equal_toIvEEjEE10hipError_tPvRmT2_T3_T4_T5_mT6_T7_P12ihipStream_tbENKUlT_T0_E_clISt17integral_constantIbLb0EES13_EEDaSY_SZ_EUlSY_E_NS1_11comp_targetILNS1_3genE4ELNS1_11target_archE910ELNS1_3gpuE8ELNS1_3repE0EEENS1_30default_config_static_selectorELNS0_4arch9wavefront6targetE0EEEvT1_.num_named_barrier, 0
	.set _ZN7rocprim17ROCPRIM_400000_NS6detail17trampoline_kernelINS0_14default_configENS1_27scan_by_key_config_selectorIijEEZZNS1_16scan_by_key_implILNS1_25lookback_scan_determinismE0ELb0ES3_N6thrust23THRUST_200600_302600_NS6detail15normal_iteratorINS9_10device_ptrIiEEEENSB_INSC_IjEEEENSB_INSC_IfEEEEjNS9_4plusIvEENS9_8equal_toIvEEjEE10hipError_tPvRmT2_T3_T4_T5_mT6_T7_P12ihipStream_tbENKUlT_T0_E_clISt17integral_constantIbLb0EES13_EEDaSY_SZ_EUlSY_E_NS1_11comp_targetILNS1_3genE4ELNS1_11target_archE910ELNS1_3gpuE8ELNS1_3repE0EEENS1_30default_config_static_selectorELNS0_4arch9wavefront6targetE0EEEvT1_.private_seg_size, 0
	.set _ZN7rocprim17ROCPRIM_400000_NS6detail17trampoline_kernelINS0_14default_configENS1_27scan_by_key_config_selectorIijEEZZNS1_16scan_by_key_implILNS1_25lookback_scan_determinismE0ELb0ES3_N6thrust23THRUST_200600_302600_NS6detail15normal_iteratorINS9_10device_ptrIiEEEENSB_INSC_IjEEEENSB_INSC_IfEEEEjNS9_4plusIvEENS9_8equal_toIvEEjEE10hipError_tPvRmT2_T3_T4_T5_mT6_T7_P12ihipStream_tbENKUlT_T0_E_clISt17integral_constantIbLb0EES13_EEDaSY_SZ_EUlSY_E_NS1_11comp_targetILNS1_3genE4ELNS1_11target_archE910ELNS1_3gpuE8ELNS1_3repE0EEENS1_30default_config_static_selectorELNS0_4arch9wavefront6targetE0EEEvT1_.uses_vcc, 0
	.set _ZN7rocprim17ROCPRIM_400000_NS6detail17trampoline_kernelINS0_14default_configENS1_27scan_by_key_config_selectorIijEEZZNS1_16scan_by_key_implILNS1_25lookback_scan_determinismE0ELb0ES3_N6thrust23THRUST_200600_302600_NS6detail15normal_iteratorINS9_10device_ptrIiEEEENSB_INSC_IjEEEENSB_INSC_IfEEEEjNS9_4plusIvEENS9_8equal_toIvEEjEE10hipError_tPvRmT2_T3_T4_T5_mT6_T7_P12ihipStream_tbENKUlT_T0_E_clISt17integral_constantIbLb0EES13_EEDaSY_SZ_EUlSY_E_NS1_11comp_targetILNS1_3genE4ELNS1_11target_archE910ELNS1_3gpuE8ELNS1_3repE0EEENS1_30default_config_static_selectorELNS0_4arch9wavefront6targetE0EEEvT1_.uses_flat_scratch, 0
	.set _ZN7rocprim17ROCPRIM_400000_NS6detail17trampoline_kernelINS0_14default_configENS1_27scan_by_key_config_selectorIijEEZZNS1_16scan_by_key_implILNS1_25lookback_scan_determinismE0ELb0ES3_N6thrust23THRUST_200600_302600_NS6detail15normal_iteratorINS9_10device_ptrIiEEEENSB_INSC_IjEEEENSB_INSC_IfEEEEjNS9_4plusIvEENS9_8equal_toIvEEjEE10hipError_tPvRmT2_T3_T4_T5_mT6_T7_P12ihipStream_tbENKUlT_T0_E_clISt17integral_constantIbLb0EES13_EEDaSY_SZ_EUlSY_E_NS1_11comp_targetILNS1_3genE4ELNS1_11target_archE910ELNS1_3gpuE8ELNS1_3repE0EEENS1_30default_config_static_selectorELNS0_4arch9wavefront6targetE0EEEvT1_.has_dyn_sized_stack, 0
	.set _ZN7rocprim17ROCPRIM_400000_NS6detail17trampoline_kernelINS0_14default_configENS1_27scan_by_key_config_selectorIijEEZZNS1_16scan_by_key_implILNS1_25lookback_scan_determinismE0ELb0ES3_N6thrust23THRUST_200600_302600_NS6detail15normal_iteratorINS9_10device_ptrIiEEEENSB_INSC_IjEEEENSB_INSC_IfEEEEjNS9_4plusIvEENS9_8equal_toIvEEjEE10hipError_tPvRmT2_T3_T4_T5_mT6_T7_P12ihipStream_tbENKUlT_T0_E_clISt17integral_constantIbLb0EES13_EEDaSY_SZ_EUlSY_E_NS1_11comp_targetILNS1_3genE4ELNS1_11target_archE910ELNS1_3gpuE8ELNS1_3repE0EEENS1_30default_config_static_selectorELNS0_4arch9wavefront6targetE0EEEvT1_.has_recursion, 0
	.set _ZN7rocprim17ROCPRIM_400000_NS6detail17trampoline_kernelINS0_14default_configENS1_27scan_by_key_config_selectorIijEEZZNS1_16scan_by_key_implILNS1_25lookback_scan_determinismE0ELb0ES3_N6thrust23THRUST_200600_302600_NS6detail15normal_iteratorINS9_10device_ptrIiEEEENSB_INSC_IjEEEENSB_INSC_IfEEEEjNS9_4plusIvEENS9_8equal_toIvEEjEE10hipError_tPvRmT2_T3_T4_T5_mT6_T7_P12ihipStream_tbENKUlT_T0_E_clISt17integral_constantIbLb0EES13_EEDaSY_SZ_EUlSY_E_NS1_11comp_targetILNS1_3genE4ELNS1_11target_archE910ELNS1_3gpuE8ELNS1_3repE0EEENS1_30default_config_static_selectorELNS0_4arch9wavefront6targetE0EEEvT1_.has_indirect_call, 0
	.section	.AMDGPU.csdata,"",@progbits
; Kernel info:
; codeLenInByte = 0
; TotalNumSgprs: 0
; NumVgprs: 0
; ScratchSize: 0
; MemoryBound: 0
; FloatMode: 240
; IeeeMode: 1
; LDSByteSize: 0 bytes/workgroup (compile time only)
; SGPRBlocks: 0
; VGPRBlocks: 0
; NumSGPRsForWavesPerEU: 1
; NumVGPRsForWavesPerEU: 1
; Occupancy: 16
; WaveLimiterHint : 0
; COMPUTE_PGM_RSRC2:SCRATCH_EN: 0
; COMPUTE_PGM_RSRC2:USER_SGPR: 6
; COMPUTE_PGM_RSRC2:TRAP_HANDLER: 0
; COMPUTE_PGM_RSRC2:TGID_X_EN: 1
; COMPUTE_PGM_RSRC2:TGID_Y_EN: 0
; COMPUTE_PGM_RSRC2:TGID_Z_EN: 0
; COMPUTE_PGM_RSRC2:TIDIG_COMP_CNT: 0
	.section	.text._ZN7rocprim17ROCPRIM_400000_NS6detail17trampoline_kernelINS0_14default_configENS1_27scan_by_key_config_selectorIijEEZZNS1_16scan_by_key_implILNS1_25lookback_scan_determinismE0ELb0ES3_N6thrust23THRUST_200600_302600_NS6detail15normal_iteratorINS9_10device_ptrIiEEEENSB_INSC_IjEEEENSB_INSC_IfEEEEjNS9_4plusIvEENS9_8equal_toIvEEjEE10hipError_tPvRmT2_T3_T4_T5_mT6_T7_P12ihipStream_tbENKUlT_T0_E_clISt17integral_constantIbLb0EES13_EEDaSY_SZ_EUlSY_E_NS1_11comp_targetILNS1_3genE3ELNS1_11target_archE908ELNS1_3gpuE7ELNS1_3repE0EEENS1_30default_config_static_selectorELNS0_4arch9wavefront6targetE0EEEvT1_,"axG",@progbits,_ZN7rocprim17ROCPRIM_400000_NS6detail17trampoline_kernelINS0_14default_configENS1_27scan_by_key_config_selectorIijEEZZNS1_16scan_by_key_implILNS1_25lookback_scan_determinismE0ELb0ES3_N6thrust23THRUST_200600_302600_NS6detail15normal_iteratorINS9_10device_ptrIiEEEENSB_INSC_IjEEEENSB_INSC_IfEEEEjNS9_4plusIvEENS9_8equal_toIvEEjEE10hipError_tPvRmT2_T3_T4_T5_mT6_T7_P12ihipStream_tbENKUlT_T0_E_clISt17integral_constantIbLb0EES13_EEDaSY_SZ_EUlSY_E_NS1_11comp_targetILNS1_3genE3ELNS1_11target_archE908ELNS1_3gpuE7ELNS1_3repE0EEENS1_30default_config_static_selectorELNS0_4arch9wavefront6targetE0EEEvT1_,comdat
	.protected	_ZN7rocprim17ROCPRIM_400000_NS6detail17trampoline_kernelINS0_14default_configENS1_27scan_by_key_config_selectorIijEEZZNS1_16scan_by_key_implILNS1_25lookback_scan_determinismE0ELb0ES3_N6thrust23THRUST_200600_302600_NS6detail15normal_iteratorINS9_10device_ptrIiEEEENSB_INSC_IjEEEENSB_INSC_IfEEEEjNS9_4plusIvEENS9_8equal_toIvEEjEE10hipError_tPvRmT2_T3_T4_T5_mT6_T7_P12ihipStream_tbENKUlT_T0_E_clISt17integral_constantIbLb0EES13_EEDaSY_SZ_EUlSY_E_NS1_11comp_targetILNS1_3genE3ELNS1_11target_archE908ELNS1_3gpuE7ELNS1_3repE0EEENS1_30default_config_static_selectorELNS0_4arch9wavefront6targetE0EEEvT1_ ; -- Begin function _ZN7rocprim17ROCPRIM_400000_NS6detail17trampoline_kernelINS0_14default_configENS1_27scan_by_key_config_selectorIijEEZZNS1_16scan_by_key_implILNS1_25lookback_scan_determinismE0ELb0ES3_N6thrust23THRUST_200600_302600_NS6detail15normal_iteratorINS9_10device_ptrIiEEEENSB_INSC_IjEEEENSB_INSC_IfEEEEjNS9_4plusIvEENS9_8equal_toIvEEjEE10hipError_tPvRmT2_T3_T4_T5_mT6_T7_P12ihipStream_tbENKUlT_T0_E_clISt17integral_constantIbLb0EES13_EEDaSY_SZ_EUlSY_E_NS1_11comp_targetILNS1_3genE3ELNS1_11target_archE908ELNS1_3gpuE7ELNS1_3repE0EEENS1_30default_config_static_selectorELNS0_4arch9wavefront6targetE0EEEvT1_
	.globl	_ZN7rocprim17ROCPRIM_400000_NS6detail17trampoline_kernelINS0_14default_configENS1_27scan_by_key_config_selectorIijEEZZNS1_16scan_by_key_implILNS1_25lookback_scan_determinismE0ELb0ES3_N6thrust23THRUST_200600_302600_NS6detail15normal_iteratorINS9_10device_ptrIiEEEENSB_INSC_IjEEEENSB_INSC_IfEEEEjNS9_4plusIvEENS9_8equal_toIvEEjEE10hipError_tPvRmT2_T3_T4_T5_mT6_T7_P12ihipStream_tbENKUlT_T0_E_clISt17integral_constantIbLb0EES13_EEDaSY_SZ_EUlSY_E_NS1_11comp_targetILNS1_3genE3ELNS1_11target_archE908ELNS1_3gpuE7ELNS1_3repE0EEENS1_30default_config_static_selectorELNS0_4arch9wavefront6targetE0EEEvT1_
	.p2align	8
	.type	_ZN7rocprim17ROCPRIM_400000_NS6detail17trampoline_kernelINS0_14default_configENS1_27scan_by_key_config_selectorIijEEZZNS1_16scan_by_key_implILNS1_25lookback_scan_determinismE0ELb0ES3_N6thrust23THRUST_200600_302600_NS6detail15normal_iteratorINS9_10device_ptrIiEEEENSB_INSC_IjEEEENSB_INSC_IfEEEEjNS9_4plusIvEENS9_8equal_toIvEEjEE10hipError_tPvRmT2_T3_T4_T5_mT6_T7_P12ihipStream_tbENKUlT_T0_E_clISt17integral_constantIbLb0EES13_EEDaSY_SZ_EUlSY_E_NS1_11comp_targetILNS1_3genE3ELNS1_11target_archE908ELNS1_3gpuE7ELNS1_3repE0EEENS1_30default_config_static_selectorELNS0_4arch9wavefront6targetE0EEEvT1_,@function
_ZN7rocprim17ROCPRIM_400000_NS6detail17trampoline_kernelINS0_14default_configENS1_27scan_by_key_config_selectorIijEEZZNS1_16scan_by_key_implILNS1_25lookback_scan_determinismE0ELb0ES3_N6thrust23THRUST_200600_302600_NS6detail15normal_iteratorINS9_10device_ptrIiEEEENSB_INSC_IjEEEENSB_INSC_IfEEEEjNS9_4plusIvEENS9_8equal_toIvEEjEE10hipError_tPvRmT2_T3_T4_T5_mT6_T7_P12ihipStream_tbENKUlT_T0_E_clISt17integral_constantIbLb0EES13_EEDaSY_SZ_EUlSY_E_NS1_11comp_targetILNS1_3genE3ELNS1_11target_archE908ELNS1_3gpuE7ELNS1_3repE0EEENS1_30default_config_static_selectorELNS0_4arch9wavefront6targetE0EEEvT1_: ; @_ZN7rocprim17ROCPRIM_400000_NS6detail17trampoline_kernelINS0_14default_configENS1_27scan_by_key_config_selectorIijEEZZNS1_16scan_by_key_implILNS1_25lookback_scan_determinismE0ELb0ES3_N6thrust23THRUST_200600_302600_NS6detail15normal_iteratorINS9_10device_ptrIiEEEENSB_INSC_IjEEEENSB_INSC_IfEEEEjNS9_4plusIvEENS9_8equal_toIvEEjEE10hipError_tPvRmT2_T3_T4_T5_mT6_T7_P12ihipStream_tbENKUlT_T0_E_clISt17integral_constantIbLb0EES13_EEDaSY_SZ_EUlSY_E_NS1_11comp_targetILNS1_3genE3ELNS1_11target_archE908ELNS1_3gpuE7ELNS1_3repE0EEENS1_30default_config_static_selectorELNS0_4arch9wavefront6targetE0EEEvT1_
; %bb.0:
	.section	.rodata,"a",@progbits
	.p2align	6, 0x0
	.amdhsa_kernel _ZN7rocprim17ROCPRIM_400000_NS6detail17trampoline_kernelINS0_14default_configENS1_27scan_by_key_config_selectorIijEEZZNS1_16scan_by_key_implILNS1_25lookback_scan_determinismE0ELb0ES3_N6thrust23THRUST_200600_302600_NS6detail15normal_iteratorINS9_10device_ptrIiEEEENSB_INSC_IjEEEENSB_INSC_IfEEEEjNS9_4plusIvEENS9_8equal_toIvEEjEE10hipError_tPvRmT2_T3_T4_T5_mT6_T7_P12ihipStream_tbENKUlT_T0_E_clISt17integral_constantIbLb0EES13_EEDaSY_SZ_EUlSY_E_NS1_11comp_targetILNS1_3genE3ELNS1_11target_archE908ELNS1_3gpuE7ELNS1_3repE0EEENS1_30default_config_static_selectorELNS0_4arch9wavefront6targetE0EEEvT1_
		.amdhsa_group_segment_fixed_size 0
		.amdhsa_private_segment_fixed_size 0
		.amdhsa_kernarg_size 112
		.amdhsa_user_sgpr_count 6
		.amdhsa_user_sgpr_private_segment_buffer 1
		.amdhsa_user_sgpr_dispatch_ptr 0
		.amdhsa_user_sgpr_queue_ptr 0
		.amdhsa_user_sgpr_kernarg_segment_ptr 1
		.amdhsa_user_sgpr_dispatch_id 0
		.amdhsa_user_sgpr_flat_scratch_init 0
		.amdhsa_user_sgpr_private_segment_size 0
		.amdhsa_wavefront_size32 1
		.amdhsa_uses_dynamic_stack 0
		.amdhsa_system_sgpr_private_segment_wavefront_offset 0
		.amdhsa_system_sgpr_workgroup_id_x 1
		.amdhsa_system_sgpr_workgroup_id_y 0
		.amdhsa_system_sgpr_workgroup_id_z 0
		.amdhsa_system_sgpr_workgroup_info 0
		.amdhsa_system_vgpr_workitem_id 0
		.amdhsa_next_free_vgpr 1
		.amdhsa_next_free_sgpr 1
		.amdhsa_reserve_vcc 0
		.amdhsa_reserve_flat_scratch 0
		.amdhsa_float_round_mode_32 0
		.amdhsa_float_round_mode_16_64 0
		.amdhsa_float_denorm_mode_32 3
		.amdhsa_float_denorm_mode_16_64 3
		.amdhsa_dx10_clamp 1
		.amdhsa_ieee_mode 1
		.amdhsa_fp16_overflow 0
		.amdhsa_workgroup_processor_mode 1
		.amdhsa_memory_ordered 1
		.amdhsa_forward_progress 1
		.amdhsa_shared_vgpr_count 0
		.amdhsa_exception_fp_ieee_invalid_op 0
		.amdhsa_exception_fp_denorm_src 0
		.amdhsa_exception_fp_ieee_div_zero 0
		.amdhsa_exception_fp_ieee_overflow 0
		.amdhsa_exception_fp_ieee_underflow 0
		.amdhsa_exception_fp_ieee_inexact 0
		.amdhsa_exception_int_div_zero 0
	.end_amdhsa_kernel
	.section	.text._ZN7rocprim17ROCPRIM_400000_NS6detail17trampoline_kernelINS0_14default_configENS1_27scan_by_key_config_selectorIijEEZZNS1_16scan_by_key_implILNS1_25lookback_scan_determinismE0ELb0ES3_N6thrust23THRUST_200600_302600_NS6detail15normal_iteratorINS9_10device_ptrIiEEEENSB_INSC_IjEEEENSB_INSC_IfEEEEjNS9_4plusIvEENS9_8equal_toIvEEjEE10hipError_tPvRmT2_T3_T4_T5_mT6_T7_P12ihipStream_tbENKUlT_T0_E_clISt17integral_constantIbLb0EES13_EEDaSY_SZ_EUlSY_E_NS1_11comp_targetILNS1_3genE3ELNS1_11target_archE908ELNS1_3gpuE7ELNS1_3repE0EEENS1_30default_config_static_selectorELNS0_4arch9wavefront6targetE0EEEvT1_,"axG",@progbits,_ZN7rocprim17ROCPRIM_400000_NS6detail17trampoline_kernelINS0_14default_configENS1_27scan_by_key_config_selectorIijEEZZNS1_16scan_by_key_implILNS1_25lookback_scan_determinismE0ELb0ES3_N6thrust23THRUST_200600_302600_NS6detail15normal_iteratorINS9_10device_ptrIiEEEENSB_INSC_IjEEEENSB_INSC_IfEEEEjNS9_4plusIvEENS9_8equal_toIvEEjEE10hipError_tPvRmT2_T3_T4_T5_mT6_T7_P12ihipStream_tbENKUlT_T0_E_clISt17integral_constantIbLb0EES13_EEDaSY_SZ_EUlSY_E_NS1_11comp_targetILNS1_3genE3ELNS1_11target_archE908ELNS1_3gpuE7ELNS1_3repE0EEENS1_30default_config_static_selectorELNS0_4arch9wavefront6targetE0EEEvT1_,comdat
.Lfunc_end1648:
	.size	_ZN7rocprim17ROCPRIM_400000_NS6detail17trampoline_kernelINS0_14default_configENS1_27scan_by_key_config_selectorIijEEZZNS1_16scan_by_key_implILNS1_25lookback_scan_determinismE0ELb0ES3_N6thrust23THRUST_200600_302600_NS6detail15normal_iteratorINS9_10device_ptrIiEEEENSB_INSC_IjEEEENSB_INSC_IfEEEEjNS9_4plusIvEENS9_8equal_toIvEEjEE10hipError_tPvRmT2_T3_T4_T5_mT6_T7_P12ihipStream_tbENKUlT_T0_E_clISt17integral_constantIbLb0EES13_EEDaSY_SZ_EUlSY_E_NS1_11comp_targetILNS1_3genE3ELNS1_11target_archE908ELNS1_3gpuE7ELNS1_3repE0EEENS1_30default_config_static_selectorELNS0_4arch9wavefront6targetE0EEEvT1_, .Lfunc_end1648-_ZN7rocprim17ROCPRIM_400000_NS6detail17trampoline_kernelINS0_14default_configENS1_27scan_by_key_config_selectorIijEEZZNS1_16scan_by_key_implILNS1_25lookback_scan_determinismE0ELb0ES3_N6thrust23THRUST_200600_302600_NS6detail15normal_iteratorINS9_10device_ptrIiEEEENSB_INSC_IjEEEENSB_INSC_IfEEEEjNS9_4plusIvEENS9_8equal_toIvEEjEE10hipError_tPvRmT2_T3_T4_T5_mT6_T7_P12ihipStream_tbENKUlT_T0_E_clISt17integral_constantIbLb0EES13_EEDaSY_SZ_EUlSY_E_NS1_11comp_targetILNS1_3genE3ELNS1_11target_archE908ELNS1_3gpuE7ELNS1_3repE0EEENS1_30default_config_static_selectorELNS0_4arch9wavefront6targetE0EEEvT1_
                                        ; -- End function
	.set _ZN7rocprim17ROCPRIM_400000_NS6detail17trampoline_kernelINS0_14default_configENS1_27scan_by_key_config_selectorIijEEZZNS1_16scan_by_key_implILNS1_25lookback_scan_determinismE0ELb0ES3_N6thrust23THRUST_200600_302600_NS6detail15normal_iteratorINS9_10device_ptrIiEEEENSB_INSC_IjEEEENSB_INSC_IfEEEEjNS9_4plusIvEENS9_8equal_toIvEEjEE10hipError_tPvRmT2_T3_T4_T5_mT6_T7_P12ihipStream_tbENKUlT_T0_E_clISt17integral_constantIbLb0EES13_EEDaSY_SZ_EUlSY_E_NS1_11comp_targetILNS1_3genE3ELNS1_11target_archE908ELNS1_3gpuE7ELNS1_3repE0EEENS1_30default_config_static_selectorELNS0_4arch9wavefront6targetE0EEEvT1_.num_vgpr, 0
	.set _ZN7rocprim17ROCPRIM_400000_NS6detail17trampoline_kernelINS0_14default_configENS1_27scan_by_key_config_selectorIijEEZZNS1_16scan_by_key_implILNS1_25lookback_scan_determinismE0ELb0ES3_N6thrust23THRUST_200600_302600_NS6detail15normal_iteratorINS9_10device_ptrIiEEEENSB_INSC_IjEEEENSB_INSC_IfEEEEjNS9_4plusIvEENS9_8equal_toIvEEjEE10hipError_tPvRmT2_T3_T4_T5_mT6_T7_P12ihipStream_tbENKUlT_T0_E_clISt17integral_constantIbLb0EES13_EEDaSY_SZ_EUlSY_E_NS1_11comp_targetILNS1_3genE3ELNS1_11target_archE908ELNS1_3gpuE7ELNS1_3repE0EEENS1_30default_config_static_selectorELNS0_4arch9wavefront6targetE0EEEvT1_.num_agpr, 0
	.set _ZN7rocprim17ROCPRIM_400000_NS6detail17trampoline_kernelINS0_14default_configENS1_27scan_by_key_config_selectorIijEEZZNS1_16scan_by_key_implILNS1_25lookback_scan_determinismE0ELb0ES3_N6thrust23THRUST_200600_302600_NS6detail15normal_iteratorINS9_10device_ptrIiEEEENSB_INSC_IjEEEENSB_INSC_IfEEEEjNS9_4plusIvEENS9_8equal_toIvEEjEE10hipError_tPvRmT2_T3_T4_T5_mT6_T7_P12ihipStream_tbENKUlT_T0_E_clISt17integral_constantIbLb0EES13_EEDaSY_SZ_EUlSY_E_NS1_11comp_targetILNS1_3genE3ELNS1_11target_archE908ELNS1_3gpuE7ELNS1_3repE0EEENS1_30default_config_static_selectorELNS0_4arch9wavefront6targetE0EEEvT1_.numbered_sgpr, 0
	.set _ZN7rocprim17ROCPRIM_400000_NS6detail17trampoline_kernelINS0_14default_configENS1_27scan_by_key_config_selectorIijEEZZNS1_16scan_by_key_implILNS1_25lookback_scan_determinismE0ELb0ES3_N6thrust23THRUST_200600_302600_NS6detail15normal_iteratorINS9_10device_ptrIiEEEENSB_INSC_IjEEEENSB_INSC_IfEEEEjNS9_4plusIvEENS9_8equal_toIvEEjEE10hipError_tPvRmT2_T3_T4_T5_mT6_T7_P12ihipStream_tbENKUlT_T0_E_clISt17integral_constantIbLb0EES13_EEDaSY_SZ_EUlSY_E_NS1_11comp_targetILNS1_3genE3ELNS1_11target_archE908ELNS1_3gpuE7ELNS1_3repE0EEENS1_30default_config_static_selectorELNS0_4arch9wavefront6targetE0EEEvT1_.num_named_barrier, 0
	.set _ZN7rocprim17ROCPRIM_400000_NS6detail17trampoline_kernelINS0_14default_configENS1_27scan_by_key_config_selectorIijEEZZNS1_16scan_by_key_implILNS1_25lookback_scan_determinismE0ELb0ES3_N6thrust23THRUST_200600_302600_NS6detail15normal_iteratorINS9_10device_ptrIiEEEENSB_INSC_IjEEEENSB_INSC_IfEEEEjNS9_4plusIvEENS9_8equal_toIvEEjEE10hipError_tPvRmT2_T3_T4_T5_mT6_T7_P12ihipStream_tbENKUlT_T0_E_clISt17integral_constantIbLb0EES13_EEDaSY_SZ_EUlSY_E_NS1_11comp_targetILNS1_3genE3ELNS1_11target_archE908ELNS1_3gpuE7ELNS1_3repE0EEENS1_30default_config_static_selectorELNS0_4arch9wavefront6targetE0EEEvT1_.private_seg_size, 0
	.set _ZN7rocprim17ROCPRIM_400000_NS6detail17trampoline_kernelINS0_14default_configENS1_27scan_by_key_config_selectorIijEEZZNS1_16scan_by_key_implILNS1_25lookback_scan_determinismE0ELb0ES3_N6thrust23THRUST_200600_302600_NS6detail15normal_iteratorINS9_10device_ptrIiEEEENSB_INSC_IjEEEENSB_INSC_IfEEEEjNS9_4plusIvEENS9_8equal_toIvEEjEE10hipError_tPvRmT2_T3_T4_T5_mT6_T7_P12ihipStream_tbENKUlT_T0_E_clISt17integral_constantIbLb0EES13_EEDaSY_SZ_EUlSY_E_NS1_11comp_targetILNS1_3genE3ELNS1_11target_archE908ELNS1_3gpuE7ELNS1_3repE0EEENS1_30default_config_static_selectorELNS0_4arch9wavefront6targetE0EEEvT1_.uses_vcc, 0
	.set _ZN7rocprim17ROCPRIM_400000_NS6detail17trampoline_kernelINS0_14default_configENS1_27scan_by_key_config_selectorIijEEZZNS1_16scan_by_key_implILNS1_25lookback_scan_determinismE0ELb0ES3_N6thrust23THRUST_200600_302600_NS6detail15normal_iteratorINS9_10device_ptrIiEEEENSB_INSC_IjEEEENSB_INSC_IfEEEEjNS9_4plusIvEENS9_8equal_toIvEEjEE10hipError_tPvRmT2_T3_T4_T5_mT6_T7_P12ihipStream_tbENKUlT_T0_E_clISt17integral_constantIbLb0EES13_EEDaSY_SZ_EUlSY_E_NS1_11comp_targetILNS1_3genE3ELNS1_11target_archE908ELNS1_3gpuE7ELNS1_3repE0EEENS1_30default_config_static_selectorELNS0_4arch9wavefront6targetE0EEEvT1_.uses_flat_scratch, 0
	.set _ZN7rocprim17ROCPRIM_400000_NS6detail17trampoline_kernelINS0_14default_configENS1_27scan_by_key_config_selectorIijEEZZNS1_16scan_by_key_implILNS1_25lookback_scan_determinismE0ELb0ES3_N6thrust23THRUST_200600_302600_NS6detail15normal_iteratorINS9_10device_ptrIiEEEENSB_INSC_IjEEEENSB_INSC_IfEEEEjNS9_4plusIvEENS9_8equal_toIvEEjEE10hipError_tPvRmT2_T3_T4_T5_mT6_T7_P12ihipStream_tbENKUlT_T0_E_clISt17integral_constantIbLb0EES13_EEDaSY_SZ_EUlSY_E_NS1_11comp_targetILNS1_3genE3ELNS1_11target_archE908ELNS1_3gpuE7ELNS1_3repE0EEENS1_30default_config_static_selectorELNS0_4arch9wavefront6targetE0EEEvT1_.has_dyn_sized_stack, 0
	.set _ZN7rocprim17ROCPRIM_400000_NS6detail17trampoline_kernelINS0_14default_configENS1_27scan_by_key_config_selectorIijEEZZNS1_16scan_by_key_implILNS1_25lookback_scan_determinismE0ELb0ES3_N6thrust23THRUST_200600_302600_NS6detail15normal_iteratorINS9_10device_ptrIiEEEENSB_INSC_IjEEEENSB_INSC_IfEEEEjNS9_4plusIvEENS9_8equal_toIvEEjEE10hipError_tPvRmT2_T3_T4_T5_mT6_T7_P12ihipStream_tbENKUlT_T0_E_clISt17integral_constantIbLb0EES13_EEDaSY_SZ_EUlSY_E_NS1_11comp_targetILNS1_3genE3ELNS1_11target_archE908ELNS1_3gpuE7ELNS1_3repE0EEENS1_30default_config_static_selectorELNS0_4arch9wavefront6targetE0EEEvT1_.has_recursion, 0
	.set _ZN7rocprim17ROCPRIM_400000_NS6detail17trampoline_kernelINS0_14default_configENS1_27scan_by_key_config_selectorIijEEZZNS1_16scan_by_key_implILNS1_25lookback_scan_determinismE0ELb0ES3_N6thrust23THRUST_200600_302600_NS6detail15normal_iteratorINS9_10device_ptrIiEEEENSB_INSC_IjEEEENSB_INSC_IfEEEEjNS9_4plusIvEENS9_8equal_toIvEEjEE10hipError_tPvRmT2_T3_T4_T5_mT6_T7_P12ihipStream_tbENKUlT_T0_E_clISt17integral_constantIbLb0EES13_EEDaSY_SZ_EUlSY_E_NS1_11comp_targetILNS1_3genE3ELNS1_11target_archE908ELNS1_3gpuE7ELNS1_3repE0EEENS1_30default_config_static_selectorELNS0_4arch9wavefront6targetE0EEEvT1_.has_indirect_call, 0
	.section	.AMDGPU.csdata,"",@progbits
; Kernel info:
; codeLenInByte = 0
; TotalNumSgprs: 0
; NumVgprs: 0
; ScratchSize: 0
; MemoryBound: 0
; FloatMode: 240
; IeeeMode: 1
; LDSByteSize: 0 bytes/workgroup (compile time only)
; SGPRBlocks: 0
; VGPRBlocks: 0
; NumSGPRsForWavesPerEU: 1
; NumVGPRsForWavesPerEU: 1
; Occupancy: 16
; WaveLimiterHint : 0
; COMPUTE_PGM_RSRC2:SCRATCH_EN: 0
; COMPUTE_PGM_RSRC2:USER_SGPR: 6
; COMPUTE_PGM_RSRC2:TRAP_HANDLER: 0
; COMPUTE_PGM_RSRC2:TGID_X_EN: 1
; COMPUTE_PGM_RSRC2:TGID_Y_EN: 0
; COMPUTE_PGM_RSRC2:TGID_Z_EN: 0
; COMPUTE_PGM_RSRC2:TIDIG_COMP_CNT: 0
	.section	.text._ZN7rocprim17ROCPRIM_400000_NS6detail17trampoline_kernelINS0_14default_configENS1_27scan_by_key_config_selectorIijEEZZNS1_16scan_by_key_implILNS1_25lookback_scan_determinismE0ELb0ES3_N6thrust23THRUST_200600_302600_NS6detail15normal_iteratorINS9_10device_ptrIiEEEENSB_INSC_IjEEEENSB_INSC_IfEEEEjNS9_4plusIvEENS9_8equal_toIvEEjEE10hipError_tPvRmT2_T3_T4_T5_mT6_T7_P12ihipStream_tbENKUlT_T0_E_clISt17integral_constantIbLb0EES13_EEDaSY_SZ_EUlSY_E_NS1_11comp_targetILNS1_3genE2ELNS1_11target_archE906ELNS1_3gpuE6ELNS1_3repE0EEENS1_30default_config_static_selectorELNS0_4arch9wavefront6targetE0EEEvT1_,"axG",@progbits,_ZN7rocprim17ROCPRIM_400000_NS6detail17trampoline_kernelINS0_14default_configENS1_27scan_by_key_config_selectorIijEEZZNS1_16scan_by_key_implILNS1_25lookback_scan_determinismE0ELb0ES3_N6thrust23THRUST_200600_302600_NS6detail15normal_iteratorINS9_10device_ptrIiEEEENSB_INSC_IjEEEENSB_INSC_IfEEEEjNS9_4plusIvEENS9_8equal_toIvEEjEE10hipError_tPvRmT2_T3_T4_T5_mT6_T7_P12ihipStream_tbENKUlT_T0_E_clISt17integral_constantIbLb0EES13_EEDaSY_SZ_EUlSY_E_NS1_11comp_targetILNS1_3genE2ELNS1_11target_archE906ELNS1_3gpuE6ELNS1_3repE0EEENS1_30default_config_static_selectorELNS0_4arch9wavefront6targetE0EEEvT1_,comdat
	.protected	_ZN7rocprim17ROCPRIM_400000_NS6detail17trampoline_kernelINS0_14default_configENS1_27scan_by_key_config_selectorIijEEZZNS1_16scan_by_key_implILNS1_25lookback_scan_determinismE0ELb0ES3_N6thrust23THRUST_200600_302600_NS6detail15normal_iteratorINS9_10device_ptrIiEEEENSB_INSC_IjEEEENSB_INSC_IfEEEEjNS9_4plusIvEENS9_8equal_toIvEEjEE10hipError_tPvRmT2_T3_T4_T5_mT6_T7_P12ihipStream_tbENKUlT_T0_E_clISt17integral_constantIbLb0EES13_EEDaSY_SZ_EUlSY_E_NS1_11comp_targetILNS1_3genE2ELNS1_11target_archE906ELNS1_3gpuE6ELNS1_3repE0EEENS1_30default_config_static_selectorELNS0_4arch9wavefront6targetE0EEEvT1_ ; -- Begin function _ZN7rocprim17ROCPRIM_400000_NS6detail17trampoline_kernelINS0_14default_configENS1_27scan_by_key_config_selectorIijEEZZNS1_16scan_by_key_implILNS1_25lookback_scan_determinismE0ELb0ES3_N6thrust23THRUST_200600_302600_NS6detail15normal_iteratorINS9_10device_ptrIiEEEENSB_INSC_IjEEEENSB_INSC_IfEEEEjNS9_4plusIvEENS9_8equal_toIvEEjEE10hipError_tPvRmT2_T3_T4_T5_mT6_T7_P12ihipStream_tbENKUlT_T0_E_clISt17integral_constantIbLb0EES13_EEDaSY_SZ_EUlSY_E_NS1_11comp_targetILNS1_3genE2ELNS1_11target_archE906ELNS1_3gpuE6ELNS1_3repE0EEENS1_30default_config_static_selectorELNS0_4arch9wavefront6targetE0EEEvT1_
	.globl	_ZN7rocprim17ROCPRIM_400000_NS6detail17trampoline_kernelINS0_14default_configENS1_27scan_by_key_config_selectorIijEEZZNS1_16scan_by_key_implILNS1_25lookback_scan_determinismE0ELb0ES3_N6thrust23THRUST_200600_302600_NS6detail15normal_iteratorINS9_10device_ptrIiEEEENSB_INSC_IjEEEENSB_INSC_IfEEEEjNS9_4plusIvEENS9_8equal_toIvEEjEE10hipError_tPvRmT2_T3_T4_T5_mT6_T7_P12ihipStream_tbENKUlT_T0_E_clISt17integral_constantIbLb0EES13_EEDaSY_SZ_EUlSY_E_NS1_11comp_targetILNS1_3genE2ELNS1_11target_archE906ELNS1_3gpuE6ELNS1_3repE0EEENS1_30default_config_static_selectorELNS0_4arch9wavefront6targetE0EEEvT1_
	.p2align	8
	.type	_ZN7rocprim17ROCPRIM_400000_NS6detail17trampoline_kernelINS0_14default_configENS1_27scan_by_key_config_selectorIijEEZZNS1_16scan_by_key_implILNS1_25lookback_scan_determinismE0ELb0ES3_N6thrust23THRUST_200600_302600_NS6detail15normal_iteratorINS9_10device_ptrIiEEEENSB_INSC_IjEEEENSB_INSC_IfEEEEjNS9_4plusIvEENS9_8equal_toIvEEjEE10hipError_tPvRmT2_T3_T4_T5_mT6_T7_P12ihipStream_tbENKUlT_T0_E_clISt17integral_constantIbLb0EES13_EEDaSY_SZ_EUlSY_E_NS1_11comp_targetILNS1_3genE2ELNS1_11target_archE906ELNS1_3gpuE6ELNS1_3repE0EEENS1_30default_config_static_selectorELNS0_4arch9wavefront6targetE0EEEvT1_,@function
_ZN7rocprim17ROCPRIM_400000_NS6detail17trampoline_kernelINS0_14default_configENS1_27scan_by_key_config_selectorIijEEZZNS1_16scan_by_key_implILNS1_25lookback_scan_determinismE0ELb0ES3_N6thrust23THRUST_200600_302600_NS6detail15normal_iteratorINS9_10device_ptrIiEEEENSB_INSC_IjEEEENSB_INSC_IfEEEEjNS9_4plusIvEENS9_8equal_toIvEEjEE10hipError_tPvRmT2_T3_T4_T5_mT6_T7_P12ihipStream_tbENKUlT_T0_E_clISt17integral_constantIbLb0EES13_EEDaSY_SZ_EUlSY_E_NS1_11comp_targetILNS1_3genE2ELNS1_11target_archE906ELNS1_3gpuE6ELNS1_3repE0EEENS1_30default_config_static_selectorELNS0_4arch9wavefront6targetE0EEEvT1_: ; @_ZN7rocprim17ROCPRIM_400000_NS6detail17trampoline_kernelINS0_14default_configENS1_27scan_by_key_config_selectorIijEEZZNS1_16scan_by_key_implILNS1_25lookback_scan_determinismE0ELb0ES3_N6thrust23THRUST_200600_302600_NS6detail15normal_iteratorINS9_10device_ptrIiEEEENSB_INSC_IjEEEENSB_INSC_IfEEEEjNS9_4plusIvEENS9_8equal_toIvEEjEE10hipError_tPvRmT2_T3_T4_T5_mT6_T7_P12ihipStream_tbENKUlT_T0_E_clISt17integral_constantIbLb0EES13_EEDaSY_SZ_EUlSY_E_NS1_11comp_targetILNS1_3genE2ELNS1_11target_archE906ELNS1_3gpuE6ELNS1_3repE0EEENS1_30default_config_static_selectorELNS0_4arch9wavefront6targetE0EEEvT1_
; %bb.0:
	.section	.rodata,"a",@progbits
	.p2align	6, 0x0
	.amdhsa_kernel _ZN7rocprim17ROCPRIM_400000_NS6detail17trampoline_kernelINS0_14default_configENS1_27scan_by_key_config_selectorIijEEZZNS1_16scan_by_key_implILNS1_25lookback_scan_determinismE0ELb0ES3_N6thrust23THRUST_200600_302600_NS6detail15normal_iteratorINS9_10device_ptrIiEEEENSB_INSC_IjEEEENSB_INSC_IfEEEEjNS9_4plusIvEENS9_8equal_toIvEEjEE10hipError_tPvRmT2_T3_T4_T5_mT6_T7_P12ihipStream_tbENKUlT_T0_E_clISt17integral_constantIbLb0EES13_EEDaSY_SZ_EUlSY_E_NS1_11comp_targetILNS1_3genE2ELNS1_11target_archE906ELNS1_3gpuE6ELNS1_3repE0EEENS1_30default_config_static_selectorELNS0_4arch9wavefront6targetE0EEEvT1_
		.amdhsa_group_segment_fixed_size 0
		.amdhsa_private_segment_fixed_size 0
		.amdhsa_kernarg_size 112
		.amdhsa_user_sgpr_count 6
		.amdhsa_user_sgpr_private_segment_buffer 1
		.amdhsa_user_sgpr_dispatch_ptr 0
		.amdhsa_user_sgpr_queue_ptr 0
		.amdhsa_user_sgpr_kernarg_segment_ptr 1
		.amdhsa_user_sgpr_dispatch_id 0
		.amdhsa_user_sgpr_flat_scratch_init 0
		.amdhsa_user_sgpr_private_segment_size 0
		.amdhsa_wavefront_size32 1
		.amdhsa_uses_dynamic_stack 0
		.amdhsa_system_sgpr_private_segment_wavefront_offset 0
		.amdhsa_system_sgpr_workgroup_id_x 1
		.amdhsa_system_sgpr_workgroup_id_y 0
		.amdhsa_system_sgpr_workgroup_id_z 0
		.amdhsa_system_sgpr_workgroup_info 0
		.amdhsa_system_vgpr_workitem_id 0
		.amdhsa_next_free_vgpr 1
		.amdhsa_next_free_sgpr 1
		.amdhsa_reserve_vcc 0
		.amdhsa_reserve_flat_scratch 0
		.amdhsa_float_round_mode_32 0
		.amdhsa_float_round_mode_16_64 0
		.amdhsa_float_denorm_mode_32 3
		.amdhsa_float_denorm_mode_16_64 3
		.amdhsa_dx10_clamp 1
		.amdhsa_ieee_mode 1
		.amdhsa_fp16_overflow 0
		.amdhsa_workgroup_processor_mode 1
		.amdhsa_memory_ordered 1
		.amdhsa_forward_progress 1
		.amdhsa_shared_vgpr_count 0
		.amdhsa_exception_fp_ieee_invalid_op 0
		.amdhsa_exception_fp_denorm_src 0
		.amdhsa_exception_fp_ieee_div_zero 0
		.amdhsa_exception_fp_ieee_overflow 0
		.amdhsa_exception_fp_ieee_underflow 0
		.amdhsa_exception_fp_ieee_inexact 0
		.amdhsa_exception_int_div_zero 0
	.end_amdhsa_kernel
	.section	.text._ZN7rocprim17ROCPRIM_400000_NS6detail17trampoline_kernelINS0_14default_configENS1_27scan_by_key_config_selectorIijEEZZNS1_16scan_by_key_implILNS1_25lookback_scan_determinismE0ELb0ES3_N6thrust23THRUST_200600_302600_NS6detail15normal_iteratorINS9_10device_ptrIiEEEENSB_INSC_IjEEEENSB_INSC_IfEEEEjNS9_4plusIvEENS9_8equal_toIvEEjEE10hipError_tPvRmT2_T3_T4_T5_mT6_T7_P12ihipStream_tbENKUlT_T0_E_clISt17integral_constantIbLb0EES13_EEDaSY_SZ_EUlSY_E_NS1_11comp_targetILNS1_3genE2ELNS1_11target_archE906ELNS1_3gpuE6ELNS1_3repE0EEENS1_30default_config_static_selectorELNS0_4arch9wavefront6targetE0EEEvT1_,"axG",@progbits,_ZN7rocprim17ROCPRIM_400000_NS6detail17trampoline_kernelINS0_14default_configENS1_27scan_by_key_config_selectorIijEEZZNS1_16scan_by_key_implILNS1_25lookback_scan_determinismE0ELb0ES3_N6thrust23THRUST_200600_302600_NS6detail15normal_iteratorINS9_10device_ptrIiEEEENSB_INSC_IjEEEENSB_INSC_IfEEEEjNS9_4plusIvEENS9_8equal_toIvEEjEE10hipError_tPvRmT2_T3_T4_T5_mT6_T7_P12ihipStream_tbENKUlT_T0_E_clISt17integral_constantIbLb0EES13_EEDaSY_SZ_EUlSY_E_NS1_11comp_targetILNS1_3genE2ELNS1_11target_archE906ELNS1_3gpuE6ELNS1_3repE0EEENS1_30default_config_static_selectorELNS0_4arch9wavefront6targetE0EEEvT1_,comdat
.Lfunc_end1649:
	.size	_ZN7rocprim17ROCPRIM_400000_NS6detail17trampoline_kernelINS0_14default_configENS1_27scan_by_key_config_selectorIijEEZZNS1_16scan_by_key_implILNS1_25lookback_scan_determinismE0ELb0ES3_N6thrust23THRUST_200600_302600_NS6detail15normal_iteratorINS9_10device_ptrIiEEEENSB_INSC_IjEEEENSB_INSC_IfEEEEjNS9_4plusIvEENS9_8equal_toIvEEjEE10hipError_tPvRmT2_T3_T4_T5_mT6_T7_P12ihipStream_tbENKUlT_T0_E_clISt17integral_constantIbLb0EES13_EEDaSY_SZ_EUlSY_E_NS1_11comp_targetILNS1_3genE2ELNS1_11target_archE906ELNS1_3gpuE6ELNS1_3repE0EEENS1_30default_config_static_selectorELNS0_4arch9wavefront6targetE0EEEvT1_, .Lfunc_end1649-_ZN7rocprim17ROCPRIM_400000_NS6detail17trampoline_kernelINS0_14default_configENS1_27scan_by_key_config_selectorIijEEZZNS1_16scan_by_key_implILNS1_25lookback_scan_determinismE0ELb0ES3_N6thrust23THRUST_200600_302600_NS6detail15normal_iteratorINS9_10device_ptrIiEEEENSB_INSC_IjEEEENSB_INSC_IfEEEEjNS9_4plusIvEENS9_8equal_toIvEEjEE10hipError_tPvRmT2_T3_T4_T5_mT6_T7_P12ihipStream_tbENKUlT_T0_E_clISt17integral_constantIbLb0EES13_EEDaSY_SZ_EUlSY_E_NS1_11comp_targetILNS1_3genE2ELNS1_11target_archE906ELNS1_3gpuE6ELNS1_3repE0EEENS1_30default_config_static_selectorELNS0_4arch9wavefront6targetE0EEEvT1_
                                        ; -- End function
	.set _ZN7rocprim17ROCPRIM_400000_NS6detail17trampoline_kernelINS0_14default_configENS1_27scan_by_key_config_selectorIijEEZZNS1_16scan_by_key_implILNS1_25lookback_scan_determinismE0ELb0ES3_N6thrust23THRUST_200600_302600_NS6detail15normal_iteratorINS9_10device_ptrIiEEEENSB_INSC_IjEEEENSB_INSC_IfEEEEjNS9_4plusIvEENS9_8equal_toIvEEjEE10hipError_tPvRmT2_T3_T4_T5_mT6_T7_P12ihipStream_tbENKUlT_T0_E_clISt17integral_constantIbLb0EES13_EEDaSY_SZ_EUlSY_E_NS1_11comp_targetILNS1_3genE2ELNS1_11target_archE906ELNS1_3gpuE6ELNS1_3repE0EEENS1_30default_config_static_selectorELNS0_4arch9wavefront6targetE0EEEvT1_.num_vgpr, 0
	.set _ZN7rocprim17ROCPRIM_400000_NS6detail17trampoline_kernelINS0_14default_configENS1_27scan_by_key_config_selectorIijEEZZNS1_16scan_by_key_implILNS1_25lookback_scan_determinismE0ELb0ES3_N6thrust23THRUST_200600_302600_NS6detail15normal_iteratorINS9_10device_ptrIiEEEENSB_INSC_IjEEEENSB_INSC_IfEEEEjNS9_4plusIvEENS9_8equal_toIvEEjEE10hipError_tPvRmT2_T3_T4_T5_mT6_T7_P12ihipStream_tbENKUlT_T0_E_clISt17integral_constantIbLb0EES13_EEDaSY_SZ_EUlSY_E_NS1_11comp_targetILNS1_3genE2ELNS1_11target_archE906ELNS1_3gpuE6ELNS1_3repE0EEENS1_30default_config_static_selectorELNS0_4arch9wavefront6targetE0EEEvT1_.num_agpr, 0
	.set _ZN7rocprim17ROCPRIM_400000_NS6detail17trampoline_kernelINS0_14default_configENS1_27scan_by_key_config_selectorIijEEZZNS1_16scan_by_key_implILNS1_25lookback_scan_determinismE0ELb0ES3_N6thrust23THRUST_200600_302600_NS6detail15normal_iteratorINS9_10device_ptrIiEEEENSB_INSC_IjEEEENSB_INSC_IfEEEEjNS9_4plusIvEENS9_8equal_toIvEEjEE10hipError_tPvRmT2_T3_T4_T5_mT6_T7_P12ihipStream_tbENKUlT_T0_E_clISt17integral_constantIbLb0EES13_EEDaSY_SZ_EUlSY_E_NS1_11comp_targetILNS1_3genE2ELNS1_11target_archE906ELNS1_3gpuE6ELNS1_3repE0EEENS1_30default_config_static_selectorELNS0_4arch9wavefront6targetE0EEEvT1_.numbered_sgpr, 0
	.set _ZN7rocprim17ROCPRIM_400000_NS6detail17trampoline_kernelINS0_14default_configENS1_27scan_by_key_config_selectorIijEEZZNS1_16scan_by_key_implILNS1_25lookback_scan_determinismE0ELb0ES3_N6thrust23THRUST_200600_302600_NS6detail15normal_iteratorINS9_10device_ptrIiEEEENSB_INSC_IjEEEENSB_INSC_IfEEEEjNS9_4plusIvEENS9_8equal_toIvEEjEE10hipError_tPvRmT2_T3_T4_T5_mT6_T7_P12ihipStream_tbENKUlT_T0_E_clISt17integral_constantIbLb0EES13_EEDaSY_SZ_EUlSY_E_NS1_11comp_targetILNS1_3genE2ELNS1_11target_archE906ELNS1_3gpuE6ELNS1_3repE0EEENS1_30default_config_static_selectorELNS0_4arch9wavefront6targetE0EEEvT1_.num_named_barrier, 0
	.set _ZN7rocprim17ROCPRIM_400000_NS6detail17trampoline_kernelINS0_14default_configENS1_27scan_by_key_config_selectorIijEEZZNS1_16scan_by_key_implILNS1_25lookback_scan_determinismE0ELb0ES3_N6thrust23THRUST_200600_302600_NS6detail15normal_iteratorINS9_10device_ptrIiEEEENSB_INSC_IjEEEENSB_INSC_IfEEEEjNS9_4plusIvEENS9_8equal_toIvEEjEE10hipError_tPvRmT2_T3_T4_T5_mT6_T7_P12ihipStream_tbENKUlT_T0_E_clISt17integral_constantIbLb0EES13_EEDaSY_SZ_EUlSY_E_NS1_11comp_targetILNS1_3genE2ELNS1_11target_archE906ELNS1_3gpuE6ELNS1_3repE0EEENS1_30default_config_static_selectorELNS0_4arch9wavefront6targetE0EEEvT1_.private_seg_size, 0
	.set _ZN7rocprim17ROCPRIM_400000_NS6detail17trampoline_kernelINS0_14default_configENS1_27scan_by_key_config_selectorIijEEZZNS1_16scan_by_key_implILNS1_25lookback_scan_determinismE0ELb0ES3_N6thrust23THRUST_200600_302600_NS6detail15normal_iteratorINS9_10device_ptrIiEEEENSB_INSC_IjEEEENSB_INSC_IfEEEEjNS9_4plusIvEENS9_8equal_toIvEEjEE10hipError_tPvRmT2_T3_T4_T5_mT6_T7_P12ihipStream_tbENKUlT_T0_E_clISt17integral_constantIbLb0EES13_EEDaSY_SZ_EUlSY_E_NS1_11comp_targetILNS1_3genE2ELNS1_11target_archE906ELNS1_3gpuE6ELNS1_3repE0EEENS1_30default_config_static_selectorELNS0_4arch9wavefront6targetE0EEEvT1_.uses_vcc, 0
	.set _ZN7rocprim17ROCPRIM_400000_NS6detail17trampoline_kernelINS0_14default_configENS1_27scan_by_key_config_selectorIijEEZZNS1_16scan_by_key_implILNS1_25lookback_scan_determinismE0ELb0ES3_N6thrust23THRUST_200600_302600_NS6detail15normal_iteratorINS9_10device_ptrIiEEEENSB_INSC_IjEEEENSB_INSC_IfEEEEjNS9_4plusIvEENS9_8equal_toIvEEjEE10hipError_tPvRmT2_T3_T4_T5_mT6_T7_P12ihipStream_tbENKUlT_T0_E_clISt17integral_constantIbLb0EES13_EEDaSY_SZ_EUlSY_E_NS1_11comp_targetILNS1_3genE2ELNS1_11target_archE906ELNS1_3gpuE6ELNS1_3repE0EEENS1_30default_config_static_selectorELNS0_4arch9wavefront6targetE0EEEvT1_.uses_flat_scratch, 0
	.set _ZN7rocprim17ROCPRIM_400000_NS6detail17trampoline_kernelINS0_14default_configENS1_27scan_by_key_config_selectorIijEEZZNS1_16scan_by_key_implILNS1_25lookback_scan_determinismE0ELb0ES3_N6thrust23THRUST_200600_302600_NS6detail15normal_iteratorINS9_10device_ptrIiEEEENSB_INSC_IjEEEENSB_INSC_IfEEEEjNS9_4plusIvEENS9_8equal_toIvEEjEE10hipError_tPvRmT2_T3_T4_T5_mT6_T7_P12ihipStream_tbENKUlT_T0_E_clISt17integral_constantIbLb0EES13_EEDaSY_SZ_EUlSY_E_NS1_11comp_targetILNS1_3genE2ELNS1_11target_archE906ELNS1_3gpuE6ELNS1_3repE0EEENS1_30default_config_static_selectorELNS0_4arch9wavefront6targetE0EEEvT1_.has_dyn_sized_stack, 0
	.set _ZN7rocprim17ROCPRIM_400000_NS6detail17trampoline_kernelINS0_14default_configENS1_27scan_by_key_config_selectorIijEEZZNS1_16scan_by_key_implILNS1_25lookback_scan_determinismE0ELb0ES3_N6thrust23THRUST_200600_302600_NS6detail15normal_iteratorINS9_10device_ptrIiEEEENSB_INSC_IjEEEENSB_INSC_IfEEEEjNS9_4plusIvEENS9_8equal_toIvEEjEE10hipError_tPvRmT2_T3_T4_T5_mT6_T7_P12ihipStream_tbENKUlT_T0_E_clISt17integral_constantIbLb0EES13_EEDaSY_SZ_EUlSY_E_NS1_11comp_targetILNS1_3genE2ELNS1_11target_archE906ELNS1_3gpuE6ELNS1_3repE0EEENS1_30default_config_static_selectorELNS0_4arch9wavefront6targetE0EEEvT1_.has_recursion, 0
	.set _ZN7rocprim17ROCPRIM_400000_NS6detail17trampoline_kernelINS0_14default_configENS1_27scan_by_key_config_selectorIijEEZZNS1_16scan_by_key_implILNS1_25lookback_scan_determinismE0ELb0ES3_N6thrust23THRUST_200600_302600_NS6detail15normal_iteratorINS9_10device_ptrIiEEEENSB_INSC_IjEEEENSB_INSC_IfEEEEjNS9_4plusIvEENS9_8equal_toIvEEjEE10hipError_tPvRmT2_T3_T4_T5_mT6_T7_P12ihipStream_tbENKUlT_T0_E_clISt17integral_constantIbLb0EES13_EEDaSY_SZ_EUlSY_E_NS1_11comp_targetILNS1_3genE2ELNS1_11target_archE906ELNS1_3gpuE6ELNS1_3repE0EEENS1_30default_config_static_selectorELNS0_4arch9wavefront6targetE0EEEvT1_.has_indirect_call, 0
	.section	.AMDGPU.csdata,"",@progbits
; Kernel info:
; codeLenInByte = 0
; TotalNumSgprs: 0
; NumVgprs: 0
; ScratchSize: 0
; MemoryBound: 0
; FloatMode: 240
; IeeeMode: 1
; LDSByteSize: 0 bytes/workgroup (compile time only)
; SGPRBlocks: 0
; VGPRBlocks: 0
; NumSGPRsForWavesPerEU: 1
; NumVGPRsForWavesPerEU: 1
; Occupancy: 16
; WaveLimiterHint : 0
; COMPUTE_PGM_RSRC2:SCRATCH_EN: 0
; COMPUTE_PGM_RSRC2:USER_SGPR: 6
; COMPUTE_PGM_RSRC2:TRAP_HANDLER: 0
; COMPUTE_PGM_RSRC2:TGID_X_EN: 1
; COMPUTE_PGM_RSRC2:TGID_Y_EN: 0
; COMPUTE_PGM_RSRC2:TGID_Z_EN: 0
; COMPUTE_PGM_RSRC2:TIDIG_COMP_CNT: 0
	.section	.text._ZN7rocprim17ROCPRIM_400000_NS6detail17trampoline_kernelINS0_14default_configENS1_27scan_by_key_config_selectorIijEEZZNS1_16scan_by_key_implILNS1_25lookback_scan_determinismE0ELb0ES3_N6thrust23THRUST_200600_302600_NS6detail15normal_iteratorINS9_10device_ptrIiEEEENSB_INSC_IjEEEENSB_INSC_IfEEEEjNS9_4plusIvEENS9_8equal_toIvEEjEE10hipError_tPvRmT2_T3_T4_T5_mT6_T7_P12ihipStream_tbENKUlT_T0_E_clISt17integral_constantIbLb0EES13_EEDaSY_SZ_EUlSY_E_NS1_11comp_targetILNS1_3genE10ELNS1_11target_archE1200ELNS1_3gpuE4ELNS1_3repE0EEENS1_30default_config_static_selectorELNS0_4arch9wavefront6targetE0EEEvT1_,"axG",@progbits,_ZN7rocprim17ROCPRIM_400000_NS6detail17trampoline_kernelINS0_14default_configENS1_27scan_by_key_config_selectorIijEEZZNS1_16scan_by_key_implILNS1_25lookback_scan_determinismE0ELb0ES3_N6thrust23THRUST_200600_302600_NS6detail15normal_iteratorINS9_10device_ptrIiEEEENSB_INSC_IjEEEENSB_INSC_IfEEEEjNS9_4plusIvEENS9_8equal_toIvEEjEE10hipError_tPvRmT2_T3_T4_T5_mT6_T7_P12ihipStream_tbENKUlT_T0_E_clISt17integral_constantIbLb0EES13_EEDaSY_SZ_EUlSY_E_NS1_11comp_targetILNS1_3genE10ELNS1_11target_archE1200ELNS1_3gpuE4ELNS1_3repE0EEENS1_30default_config_static_selectorELNS0_4arch9wavefront6targetE0EEEvT1_,comdat
	.protected	_ZN7rocprim17ROCPRIM_400000_NS6detail17trampoline_kernelINS0_14default_configENS1_27scan_by_key_config_selectorIijEEZZNS1_16scan_by_key_implILNS1_25lookback_scan_determinismE0ELb0ES3_N6thrust23THRUST_200600_302600_NS6detail15normal_iteratorINS9_10device_ptrIiEEEENSB_INSC_IjEEEENSB_INSC_IfEEEEjNS9_4plusIvEENS9_8equal_toIvEEjEE10hipError_tPvRmT2_T3_T4_T5_mT6_T7_P12ihipStream_tbENKUlT_T0_E_clISt17integral_constantIbLb0EES13_EEDaSY_SZ_EUlSY_E_NS1_11comp_targetILNS1_3genE10ELNS1_11target_archE1200ELNS1_3gpuE4ELNS1_3repE0EEENS1_30default_config_static_selectorELNS0_4arch9wavefront6targetE0EEEvT1_ ; -- Begin function _ZN7rocprim17ROCPRIM_400000_NS6detail17trampoline_kernelINS0_14default_configENS1_27scan_by_key_config_selectorIijEEZZNS1_16scan_by_key_implILNS1_25lookback_scan_determinismE0ELb0ES3_N6thrust23THRUST_200600_302600_NS6detail15normal_iteratorINS9_10device_ptrIiEEEENSB_INSC_IjEEEENSB_INSC_IfEEEEjNS9_4plusIvEENS9_8equal_toIvEEjEE10hipError_tPvRmT2_T3_T4_T5_mT6_T7_P12ihipStream_tbENKUlT_T0_E_clISt17integral_constantIbLb0EES13_EEDaSY_SZ_EUlSY_E_NS1_11comp_targetILNS1_3genE10ELNS1_11target_archE1200ELNS1_3gpuE4ELNS1_3repE0EEENS1_30default_config_static_selectorELNS0_4arch9wavefront6targetE0EEEvT1_
	.globl	_ZN7rocprim17ROCPRIM_400000_NS6detail17trampoline_kernelINS0_14default_configENS1_27scan_by_key_config_selectorIijEEZZNS1_16scan_by_key_implILNS1_25lookback_scan_determinismE0ELb0ES3_N6thrust23THRUST_200600_302600_NS6detail15normal_iteratorINS9_10device_ptrIiEEEENSB_INSC_IjEEEENSB_INSC_IfEEEEjNS9_4plusIvEENS9_8equal_toIvEEjEE10hipError_tPvRmT2_T3_T4_T5_mT6_T7_P12ihipStream_tbENKUlT_T0_E_clISt17integral_constantIbLb0EES13_EEDaSY_SZ_EUlSY_E_NS1_11comp_targetILNS1_3genE10ELNS1_11target_archE1200ELNS1_3gpuE4ELNS1_3repE0EEENS1_30default_config_static_selectorELNS0_4arch9wavefront6targetE0EEEvT1_
	.p2align	8
	.type	_ZN7rocprim17ROCPRIM_400000_NS6detail17trampoline_kernelINS0_14default_configENS1_27scan_by_key_config_selectorIijEEZZNS1_16scan_by_key_implILNS1_25lookback_scan_determinismE0ELb0ES3_N6thrust23THRUST_200600_302600_NS6detail15normal_iteratorINS9_10device_ptrIiEEEENSB_INSC_IjEEEENSB_INSC_IfEEEEjNS9_4plusIvEENS9_8equal_toIvEEjEE10hipError_tPvRmT2_T3_T4_T5_mT6_T7_P12ihipStream_tbENKUlT_T0_E_clISt17integral_constantIbLb0EES13_EEDaSY_SZ_EUlSY_E_NS1_11comp_targetILNS1_3genE10ELNS1_11target_archE1200ELNS1_3gpuE4ELNS1_3repE0EEENS1_30default_config_static_selectorELNS0_4arch9wavefront6targetE0EEEvT1_,@function
_ZN7rocprim17ROCPRIM_400000_NS6detail17trampoline_kernelINS0_14default_configENS1_27scan_by_key_config_selectorIijEEZZNS1_16scan_by_key_implILNS1_25lookback_scan_determinismE0ELb0ES3_N6thrust23THRUST_200600_302600_NS6detail15normal_iteratorINS9_10device_ptrIiEEEENSB_INSC_IjEEEENSB_INSC_IfEEEEjNS9_4plusIvEENS9_8equal_toIvEEjEE10hipError_tPvRmT2_T3_T4_T5_mT6_T7_P12ihipStream_tbENKUlT_T0_E_clISt17integral_constantIbLb0EES13_EEDaSY_SZ_EUlSY_E_NS1_11comp_targetILNS1_3genE10ELNS1_11target_archE1200ELNS1_3gpuE4ELNS1_3repE0EEENS1_30default_config_static_selectorELNS0_4arch9wavefront6targetE0EEEvT1_: ; @_ZN7rocprim17ROCPRIM_400000_NS6detail17trampoline_kernelINS0_14default_configENS1_27scan_by_key_config_selectorIijEEZZNS1_16scan_by_key_implILNS1_25lookback_scan_determinismE0ELb0ES3_N6thrust23THRUST_200600_302600_NS6detail15normal_iteratorINS9_10device_ptrIiEEEENSB_INSC_IjEEEENSB_INSC_IfEEEEjNS9_4plusIvEENS9_8equal_toIvEEjEE10hipError_tPvRmT2_T3_T4_T5_mT6_T7_P12ihipStream_tbENKUlT_T0_E_clISt17integral_constantIbLb0EES13_EEDaSY_SZ_EUlSY_E_NS1_11comp_targetILNS1_3genE10ELNS1_11target_archE1200ELNS1_3gpuE4ELNS1_3repE0EEENS1_30default_config_static_selectorELNS0_4arch9wavefront6targetE0EEEvT1_
; %bb.0:
	.section	.rodata,"a",@progbits
	.p2align	6, 0x0
	.amdhsa_kernel _ZN7rocprim17ROCPRIM_400000_NS6detail17trampoline_kernelINS0_14default_configENS1_27scan_by_key_config_selectorIijEEZZNS1_16scan_by_key_implILNS1_25lookback_scan_determinismE0ELb0ES3_N6thrust23THRUST_200600_302600_NS6detail15normal_iteratorINS9_10device_ptrIiEEEENSB_INSC_IjEEEENSB_INSC_IfEEEEjNS9_4plusIvEENS9_8equal_toIvEEjEE10hipError_tPvRmT2_T3_T4_T5_mT6_T7_P12ihipStream_tbENKUlT_T0_E_clISt17integral_constantIbLb0EES13_EEDaSY_SZ_EUlSY_E_NS1_11comp_targetILNS1_3genE10ELNS1_11target_archE1200ELNS1_3gpuE4ELNS1_3repE0EEENS1_30default_config_static_selectorELNS0_4arch9wavefront6targetE0EEEvT1_
		.amdhsa_group_segment_fixed_size 0
		.amdhsa_private_segment_fixed_size 0
		.amdhsa_kernarg_size 112
		.amdhsa_user_sgpr_count 6
		.amdhsa_user_sgpr_private_segment_buffer 1
		.amdhsa_user_sgpr_dispatch_ptr 0
		.amdhsa_user_sgpr_queue_ptr 0
		.amdhsa_user_sgpr_kernarg_segment_ptr 1
		.amdhsa_user_sgpr_dispatch_id 0
		.amdhsa_user_sgpr_flat_scratch_init 0
		.amdhsa_user_sgpr_private_segment_size 0
		.amdhsa_wavefront_size32 1
		.amdhsa_uses_dynamic_stack 0
		.amdhsa_system_sgpr_private_segment_wavefront_offset 0
		.amdhsa_system_sgpr_workgroup_id_x 1
		.amdhsa_system_sgpr_workgroup_id_y 0
		.amdhsa_system_sgpr_workgroup_id_z 0
		.amdhsa_system_sgpr_workgroup_info 0
		.amdhsa_system_vgpr_workitem_id 0
		.amdhsa_next_free_vgpr 1
		.amdhsa_next_free_sgpr 1
		.amdhsa_reserve_vcc 0
		.amdhsa_reserve_flat_scratch 0
		.amdhsa_float_round_mode_32 0
		.amdhsa_float_round_mode_16_64 0
		.amdhsa_float_denorm_mode_32 3
		.amdhsa_float_denorm_mode_16_64 3
		.amdhsa_dx10_clamp 1
		.amdhsa_ieee_mode 1
		.amdhsa_fp16_overflow 0
		.amdhsa_workgroup_processor_mode 1
		.amdhsa_memory_ordered 1
		.amdhsa_forward_progress 1
		.amdhsa_shared_vgpr_count 0
		.amdhsa_exception_fp_ieee_invalid_op 0
		.amdhsa_exception_fp_denorm_src 0
		.amdhsa_exception_fp_ieee_div_zero 0
		.amdhsa_exception_fp_ieee_overflow 0
		.amdhsa_exception_fp_ieee_underflow 0
		.amdhsa_exception_fp_ieee_inexact 0
		.amdhsa_exception_int_div_zero 0
	.end_amdhsa_kernel
	.section	.text._ZN7rocprim17ROCPRIM_400000_NS6detail17trampoline_kernelINS0_14default_configENS1_27scan_by_key_config_selectorIijEEZZNS1_16scan_by_key_implILNS1_25lookback_scan_determinismE0ELb0ES3_N6thrust23THRUST_200600_302600_NS6detail15normal_iteratorINS9_10device_ptrIiEEEENSB_INSC_IjEEEENSB_INSC_IfEEEEjNS9_4plusIvEENS9_8equal_toIvEEjEE10hipError_tPvRmT2_T3_T4_T5_mT6_T7_P12ihipStream_tbENKUlT_T0_E_clISt17integral_constantIbLb0EES13_EEDaSY_SZ_EUlSY_E_NS1_11comp_targetILNS1_3genE10ELNS1_11target_archE1200ELNS1_3gpuE4ELNS1_3repE0EEENS1_30default_config_static_selectorELNS0_4arch9wavefront6targetE0EEEvT1_,"axG",@progbits,_ZN7rocprim17ROCPRIM_400000_NS6detail17trampoline_kernelINS0_14default_configENS1_27scan_by_key_config_selectorIijEEZZNS1_16scan_by_key_implILNS1_25lookback_scan_determinismE0ELb0ES3_N6thrust23THRUST_200600_302600_NS6detail15normal_iteratorINS9_10device_ptrIiEEEENSB_INSC_IjEEEENSB_INSC_IfEEEEjNS9_4plusIvEENS9_8equal_toIvEEjEE10hipError_tPvRmT2_T3_T4_T5_mT6_T7_P12ihipStream_tbENKUlT_T0_E_clISt17integral_constantIbLb0EES13_EEDaSY_SZ_EUlSY_E_NS1_11comp_targetILNS1_3genE10ELNS1_11target_archE1200ELNS1_3gpuE4ELNS1_3repE0EEENS1_30default_config_static_selectorELNS0_4arch9wavefront6targetE0EEEvT1_,comdat
.Lfunc_end1650:
	.size	_ZN7rocprim17ROCPRIM_400000_NS6detail17trampoline_kernelINS0_14default_configENS1_27scan_by_key_config_selectorIijEEZZNS1_16scan_by_key_implILNS1_25lookback_scan_determinismE0ELb0ES3_N6thrust23THRUST_200600_302600_NS6detail15normal_iteratorINS9_10device_ptrIiEEEENSB_INSC_IjEEEENSB_INSC_IfEEEEjNS9_4plusIvEENS9_8equal_toIvEEjEE10hipError_tPvRmT2_T3_T4_T5_mT6_T7_P12ihipStream_tbENKUlT_T0_E_clISt17integral_constantIbLb0EES13_EEDaSY_SZ_EUlSY_E_NS1_11comp_targetILNS1_3genE10ELNS1_11target_archE1200ELNS1_3gpuE4ELNS1_3repE0EEENS1_30default_config_static_selectorELNS0_4arch9wavefront6targetE0EEEvT1_, .Lfunc_end1650-_ZN7rocprim17ROCPRIM_400000_NS6detail17trampoline_kernelINS0_14default_configENS1_27scan_by_key_config_selectorIijEEZZNS1_16scan_by_key_implILNS1_25lookback_scan_determinismE0ELb0ES3_N6thrust23THRUST_200600_302600_NS6detail15normal_iteratorINS9_10device_ptrIiEEEENSB_INSC_IjEEEENSB_INSC_IfEEEEjNS9_4plusIvEENS9_8equal_toIvEEjEE10hipError_tPvRmT2_T3_T4_T5_mT6_T7_P12ihipStream_tbENKUlT_T0_E_clISt17integral_constantIbLb0EES13_EEDaSY_SZ_EUlSY_E_NS1_11comp_targetILNS1_3genE10ELNS1_11target_archE1200ELNS1_3gpuE4ELNS1_3repE0EEENS1_30default_config_static_selectorELNS0_4arch9wavefront6targetE0EEEvT1_
                                        ; -- End function
	.set _ZN7rocprim17ROCPRIM_400000_NS6detail17trampoline_kernelINS0_14default_configENS1_27scan_by_key_config_selectorIijEEZZNS1_16scan_by_key_implILNS1_25lookback_scan_determinismE0ELb0ES3_N6thrust23THRUST_200600_302600_NS6detail15normal_iteratorINS9_10device_ptrIiEEEENSB_INSC_IjEEEENSB_INSC_IfEEEEjNS9_4plusIvEENS9_8equal_toIvEEjEE10hipError_tPvRmT2_T3_T4_T5_mT6_T7_P12ihipStream_tbENKUlT_T0_E_clISt17integral_constantIbLb0EES13_EEDaSY_SZ_EUlSY_E_NS1_11comp_targetILNS1_3genE10ELNS1_11target_archE1200ELNS1_3gpuE4ELNS1_3repE0EEENS1_30default_config_static_selectorELNS0_4arch9wavefront6targetE0EEEvT1_.num_vgpr, 0
	.set _ZN7rocprim17ROCPRIM_400000_NS6detail17trampoline_kernelINS0_14default_configENS1_27scan_by_key_config_selectorIijEEZZNS1_16scan_by_key_implILNS1_25lookback_scan_determinismE0ELb0ES3_N6thrust23THRUST_200600_302600_NS6detail15normal_iteratorINS9_10device_ptrIiEEEENSB_INSC_IjEEEENSB_INSC_IfEEEEjNS9_4plusIvEENS9_8equal_toIvEEjEE10hipError_tPvRmT2_T3_T4_T5_mT6_T7_P12ihipStream_tbENKUlT_T0_E_clISt17integral_constantIbLb0EES13_EEDaSY_SZ_EUlSY_E_NS1_11comp_targetILNS1_3genE10ELNS1_11target_archE1200ELNS1_3gpuE4ELNS1_3repE0EEENS1_30default_config_static_selectorELNS0_4arch9wavefront6targetE0EEEvT1_.num_agpr, 0
	.set _ZN7rocprim17ROCPRIM_400000_NS6detail17trampoline_kernelINS0_14default_configENS1_27scan_by_key_config_selectorIijEEZZNS1_16scan_by_key_implILNS1_25lookback_scan_determinismE0ELb0ES3_N6thrust23THRUST_200600_302600_NS6detail15normal_iteratorINS9_10device_ptrIiEEEENSB_INSC_IjEEEENSB_INSC_IfEEEEjNS9_4plusIvEENS9_8equal_toIvEEjEE10hipError_tPvRmT2_T3_T4_T5_mT6_T7_P12ihipStream_tbENKUlT_T0_E_clISt17integral_constantIbLb0EES13_EEDaSY_SZ_EUlSY_E_NS1_11comp_targetILNS1_3genE10ELNS1_11target_archE1200ELNS1_3gpuE4ELNS1_3repE0EEENS1_30default_config_static_selectorELNS0_4arch9wavefront6targetE0EEEvT1_.numbered_sgpr, 0
	.set _ZN7rocprim17ROCPRIM_400000_NS6detail17trampoline_kernelINS0_14default_configENS1_27scan_by_key_config_selectorIijEEZZNS1_16scan_by_key_implILNS1_25lookback_scan_determinismE0ELb0ES3_N6thrust23THRUST_200600_302600_NS6detail15normal_iteratorINS9_10device_ptrIiEEEENSB_INSC_IjEEEENSB_INSC_IfEEEEjNS9_4plusIvEENS9_8equal_toIvEEjEE10hipError_tPvRmT2_T3_T4_T5_mT6_T7_P12ihipStream_tbENKUlT_T0_E_clISt17integral_constantIbLb0EES13_EEDaSY_SZ_EUlSY_E_NS1_11comp_targetILNS1_3genE10ELNS1_11target_archE1200ELNS1_3gpuE4ELNS1_3repE0EEENS1_30default_config_static_selectorELNS0_4arch9wavefront6targetE0EEEvT1_.num_named_barrier, 0
	.set _ZN7rocprim17ROCPRIM_400000_NS6detail17trampoline_kernelINS0_14default_configENS1_27scan_by_key_config_selectorIijEEZZNS1_16scan_by_key_implILNS1_25lookback_scan_determinismE0ELb0ES3_N6thrust23THRUST_200600_302600_NS6detail15normal_iteratorINS9_10device_ptrIiEEEENSB_INSC_IjEEEENSB_INSC_IfEEEEjNS9_4plusIvEENS9_8equal_toIvEEjEE10hipError_tPvRmT2_T3_T4_T5_mT6_T7_P12ihipStream_tbENKUlT_T0_E_clISt17integral_constantIbLb0EES13_EEDaSY_SZ_EUlSY_E_NS1_11comp_targetILNS1_3genE10ELNS1_11target_archE1200ELNS1_3gpuE4ELNS1_3repE0EEENS1_30default_config_static_selectorELNS0_4arch9wavefront6targetE0EEEvT1_.private_seg_size, 0
	.set _ZN7rocprim17ROCPRIM_400000_NS6detail17trampoline_kernelINS0_14default_configENS1_27scan_by_key_config_selectorIijEEZZNS1_16scan_by_key_implILNS1_25lookback_scan_determinismE0ELb0ES3_N6thrust23THRUST_200600_302600_NS6detail15normal_iteratorINS9_10device_ptrIiEEEENSB_INSC_IjEEEENSB_INSC_IfEEEEjNS9_4plusIvEENS9_8equal_toIvEEjEE10hipError_tPvRmT2_T3_T4_T5_mT6_T7_P12ihipStream_tbENKUlT_T0_E_clISt17integral_constantIbLb0EES13_EEDaSY_SZ_EUlSY_E_NS1_11comp_targetILNS1_3genE10ELNS1_11target_archE1200ELNS1_3gpuE4ELNS1_3repE0EEENS1_30default_config_static_selectorELNS0_4arch9wavefront6targetE0EEEvT1_.uses_vcc, 0
	.set _ZN7rocprim17ROCPRIM_400000_NS6detail17trampoline_kernelINS0_14default_configENS1_27scan_by_key_config_selectorIijEEZZNS1_16scan_by_key_implILNS1_25lookback_scan_determinismE0ELb0ES3_N6thrust23THRUST_200600_302600_NS6detail15normal_iteratorINS9_10device_ptrIiEEEENSB_INSC_IjEEEENSB_INSC_IfEEEEjNS9_4plusIvEENS9_8equal_toIvEEjEE10hipError_tPvRmT2_T3_T4_T5_mT6_T7_P12ihipStream_tbENKUlT_T0_E_clISt17integral_constantIbLb0EES13_EEDaSY_SZ_EUlSY_E_NS1_11comp_targetILNS1_3genE10ELNS1_11target_archE1200ELNS1_3gpuE4ELNS1_3repE0EEENS1_30default_config_static_selectorELNS0_4arch9wavefront6targetE0EEEvT1_.uses_flat_scratch, 0
	.set _ZN7rocprim17ROCPRIM_400000_NS6detail17trampoline_kernelINS0_14default_configENS1_27scan_by_key_config_selectorIijEEZZNS1_16scan_by_key_implILNS1_25lookback_scan_determinismE0ELb0ES3_N6thrust23THRUST_200600_302600_NS6detail15normal_iteratorINS9_10device_ptrIiEEEENSB_INSC_IjEEEENSB_INSC_IfEEEEjNS9_4plusIvEENS9_8equal_toIvEEjEE10hipError_tPvRmT2_T3_T4_T5_mT6_T7_P12ihipStream_tbENKUlT_T0_E_clISt17integral_constantIbLb0EES13_EEDaSY_SZ_EUlSY_E_NS1_11comp_targetILNS1_3genE10ELNS1_11target_archE1200ELNS1_3gpuE4ELNS1_3repE0EEENS1_30default_config_static_selectorELNS0_4arch9wavefront6targetE0EEEvT1_.has_dyn_sized_stack, 0
	.set _ZN7rocprim17ROCPRIM_400000_NS6detail17trampoline_kernelINS0_14default_configENS1_27scan_by_key_config_selectorIijEEZZNS1_16scan_by_key_implILNS1_25lookback_scan_determinismE0ELb0ES3_N6thrust23THRUST_200600_302600_NS6detail15normal_iteratorINS9_10device_ptrIiEEEENSB_INSC_IjEEEENSB_INSC_IfEEEEjNS9_4plusIvEENS9_8equal_toIvEEjEE10hipError_tPvRmT2_T3_T4_T5_mT6_T7_P12ihipStream_tbENKUlT_T0_E_clISt17integral_constantIbLb0EES13_EEDaSY_SZ_EUlSY_E_NS1_11comp_targetILNS1_3genE10ELNS1_11target_archE1200ELNS1_3gpuE4ELNS1_3repE0EEENS1_30default_config_static_selectorELNS0_4arch9wavefront6targetE0EEEvT1_.has_recursion, 0
	.set _ZN7rocprim17ROCPRIM_400000_NS6detail17trampoline_kernelINS0_14default_configENS1_27scan_by_key_config_selectorIijEEZZNS1_16scan_by_key_implILNS1_25lookback_scan_determinismE0ELb0ES3_N6thrust23THRUST_200600_302600_NS6detail15normal_iteratorINS9_10device_ptrIiEEEENSB_INSC_IjEEEENSB_INSC_IfEEEEjNS9_4plusIvEENS9_8equal_toIvEEjEE10hipError_tPvRmT2_T3_T4_T5_mT6_T7_P12ihipStream_tbENKUlT_T0_E_clISt17integral_constantIbLb0EES13_EEDaSY_SZ_EUlSY_E_NS1_11comp_targetILNS1_3genE10ELNS1_11target_archE1200ELNS1_3gpuE4ELNS1_3repE0EEENS1_30default_config_static_selectorELNS0_4arch9wavefront6targetE0EEEvT1_.has_indirect_call, 0
	.section	.AMDGPU.csdata,"",@progbits
; Kernel info:
; codeLenInByte = 0
; TotalNumSgprs: 0
; NumVgprs: 0
; ScratchSize: 0
; MemoryBound: 0
; FloatMode: 240
; IeeeMode: 1
; LDSByteSize: 0 bytes/workgroup (compile time only)
; SGPRBlocks: 0
; VGPRBlocks: 0
; NumSGPRsForWavesPerEU: 1
; NumVGPRsForWavesPerEU: 1
; Occupancy: 16
; WaveLimiterHint : 0
; COMPUTE_PGM_RSRC2:SCRATCH_EN: 0
; COMPUTE_PGM_RSRC2:USER_SGPR: 6
; COMPUTE_PGM_RSRC2:TRAP_HANDLER: 0
; COMPUTE_PGM_RSRC2:TGID_X_EN: 1
; COMPUTE_PGM_RSRC2:TGID_Y_EN: 0
; COMPUTE_PGM_RSRC2:TGID_Z_EN: 0
; COMPUTE_PGM_RSRC2:TIDIG_COMP_CNT: 0
	.section	.text._ZN7rocprim17ROCPRIM_400000_NS6detail17trampoline_kernelINS0_14default_configENS1_27scan_by_key_config_selectorIijEEZZNS1_16scan_by_key_implILNS1_25lookback_scan_determinismE0ELb0ES3_N6thrust23THRUST_200600_302600_NS6detail15normal_iteratorINS9_10device_ptrIiEEEENSB_INSC_IjEEEENSB_INSC_IfEEEEjNS9_4plusIvEENS9_8equal_toIvEEjEE10hipError_tPvRmT2_T3_T4_T5_mT6_T7_P12ihipStream_tbENKUlT_T0_E_clISt17integral_constantIbLb0EES13_EEDaSY_SZ_EUlSY_E_NS1_11comp_targetILNS1_3genE9ELNS1_11target_archE1100ELNS1_3gpuE3ELNS1_3repE0EEENS1_30default_config_static_selectorELNS0_4arch9wavefront6targetE0EEEvT1_,"axG",@progbits,_ZN7rocprim17ROCPRIM_400000_NS6detail17trampoline_kernelINS0_14default_configENS1_27scan_by_key_config_selectorIijEEZZNS1_16scan_by_key_implILNS1_25lookback_scan_determinismE0ELb0ES3_N6thrust23THRUST_200600_302600_NS6detail15normal_iteratorINS9_10device_ptrIiEEEENSB_INSC_IjEEEENSB_INSC_IfEEEEjNS9_4plusIvEENS9_8equal_toIvEEjEE10hipError_tPvRmT2_T3_T4_T5_mT6_T7_P12ihipStream_tbENKUlT_T0_E_clISt17integral_constantIbLb0EES13_EEDaSY_SZ_EUlSY_E_NS1_11comp_targetILNS1_3genE9ELNS1_11target_archE1100ELNS1_3gpuE3ELNS1_3repE0EEENS1_30default_config_static_selectorELNS0_4arch9wavefront6targetE0EEEvT1_,comdat
	.protected	_ZN7rocprim17ROCPRIM_400000_NS6detail17trampoline_kernelINS0_14default_configENS1_27scan_by_key_config_selectorIijEEZZNS1_16scan_by_key_implILNS1_25lookback_scan_determinismE0ELb0ES3_N6thrust23THRUST_200600_302600_NS6detail15normal_iteratorINS9_10device_ptrIiEEEENSB_INSC_IjEEEENSB_INSC_IfEEEEjNS9_4plusIvEENS9_8equal_toIvEEjEE10hipError_tPvRmT2_T3_T4_T5_mT6_T7_P12ihipStream_tbENKUlT_T0_E_clISt17integral_constantIbLb0EES13_EEDaSY_SZ_EUlSY_E_NS1_11comp_targetILNS1_3genE9ELNS1_11target_archE1100ELNS1_3gpuE3ELNS1_3repE0EEENS1_30default_config_static_selectorELNS0_4arch9wavefront6targetE0EEEvT1_ ; -- Begin function _ZN7rocprim17ROCPRIM_400000_NS6detail17trampoline_kernelINS0_14default_configENS1_27scan_by_key_config_selectorIijEEZZNS1_16scan_by_key_implILNS1_25lookback_scan_determinismE0ELb0ES3_N6thrust23THRUST_200600_302600_NS6detail15normal_iteratorINS9_10device_ptrIiEEEENSB_INSC_IjEEEENSB_INSC_IfEEEEjNS9_4plusIvEENS9_8equal_toIvEEjEE10hipError_tPvRmT2_T3_T4_T5_mT6_T7_P12ihipStream_tbENKUlT_T0_E_clISt17integral_constantIbLb0EES13_EEDaSY_SZ_EUlSY_E_NS1_11comp_targetILNS1_3genE9ELNS1_11target_archE1100ELNS1_3gpuE3ELNS1_3repE0EEENS1_30default_config_static_selectorELNS0_4arch9wavefront6targetE0EEEvT1_
	.globl	_ZN7rocprim17ROCPRIM_400000_NS6detail17trampoline_kernelINS0_14default_configENS1_27scan_by_key_config_selectorIijEEZZNS1_16scan_by_key_implILNS1_25lookback_scan_determinismE0ELb0ES3_N6thrust23THRUST_200600_302600_NS6detail15normal_iteratorINS9_10device_ptrIiEEEENSB_INSC_IjEEEENSB_INSC_IfEEEEjNS9_4plusIvEENS9_8equal_toIvEEjEE10hipError_tPvRmT2_T3_T4_T5_mT6_T7_P12ihipStream_tbENKUlT_T0_E_clISt17integral_constantIbLb0EES13_EEDaSY_SZ_EUlSY_E_NS1_11comp_targetILNS1_3genE9ELNS1_11target_archE1100ELNS1_3gpuE3ELNS1_3repE0EEENS1_30default_config_static_selectorELNS0_4arch9wavefront6targetE0EEEvT1_
	.p2align	8
	.type	_ZN7rocprim17ROCPRIM_400000_NS6detail17trampoline_kernelINS0_14default_configENS1_27scan_by_key_config_selectorIijEEZZNS1_16scan_by_key_implILNS1_25lookback_scan_determinismE0ELb0ES3_N6thrust23THRUST_200600_302600_NS6detail15normal_iteratorINS9_10device_ptrIiEEEENSB_INSC_IjEEEENSB_INSC_IfEEEEjNS9_4plusIvEENS9_8equal_toIvEEjEE10hipError_tPvRmT2_T3_T4_T5_mT6_T7_P12ihipStream_tbENKUlT_T0_E_clISt17integral_constantIbLb0EES13_EEDaSY_SZ_EUlSY_E_NS1_11comp_targetILNS1_3genE9ELNS1_11target_archE1100ELNS1_3gpuE3ELNS1_3repE0EEENS1_30default_config_static_selectorELNS0_4arch9wavefront6targetE0EEEvT1_,@function
_ZN7rocprim17ROCPRIM_400000_NS6detail17trampoline_kernelINS0_14default_configENS1_27scan_by_key_config_selectorIijEEZZNS1_16scan_by_key_implILNS1_25lookback_scan_determinismE0ELb0ES3_N6thrust23THRUST_200600_302600_NS6detail15normal_iteratorINS9_10device_ptrIiEEEENSB_INSC_IjEEEENSB_INSC_IfEEEEjNS9_4plusIvEENS9_8equal_toIvEEjEE10hipError_tPvRmT2_T3_T4_T5_mT6_T7_P12ihipStream_tbENKUlT_T0_E_clISt17integral_constantIbLb0EES13_EEDaSY_SZ_EUlSY_E_NS1_11comp_targetILNS1_3genE9ELNS1_11target_archE1100ELNS1_3gpuE3ELNS1_3repE0EEENS1_30default_config_static_selectorELNS0_4arch9wavefront6targetE0EEEvT1_: ; @_ZN7rocprim17ROCPRIM_400000_NS6detail17trampoline_kernelINS0_14default_configENS1_27scan_by_key_config_selectorIijEEZZNS1_16scan_by_key_implILNS1_25lookback_scan_determinismE0ELb0ES3_N6thrust23THRUST_200600_302600_NS6detail15normal_iteratorINS9_10device_ptrIiEEEENSB_INSC_IjEEEENSB_INSC_IfEEEEjNS9_4plusIvEENS9_8equal_toIvEEjEE10hipError_tPvRmT2_T3_T4_T5_mT6_T7_P12ihipStream_tbENKUlT_T0_E_clISt17integral_constantIbLb0EES13_EEDaSY_SZ_EUlSY_E_NS1_11comp_targetILNS1_3genE9ELNS1_11target_archE1100ELNS1_3gpuE3ELNS1_3repE0EEENS1_30default_config_static_selectorELNS0_4arch9wavefront6targetE0EEEvT1_
; %bb.0:
	.section	.rodata,"a",@progbits
	.p2align	6, 0x0
	.amdhsa_kernel _ZN7rocprim17ROCPRIM_400000_NS6detail17trampoline_kernelINS0_14default_configENS1_27scan_by_key_config_selectorIijEEZZNS1_16scan_by_key_implILNS1_25lookback_scan_determinismE0ELb0ES3_N6thrust23THRUST_200600_302600_NS6detail15normal_iteratorINS9_10device_ptrIiEEEENSB_INSC_IjEEEENSB_INSC_IfEEEEjNS9_4plusIvEENS9_8equal_toIvEEjEE10hipError_tPvRmT2_T3_T4_T5_mT6_T7_P12ihipStream_tbENKUlT_T0_E_clISt17integral_constantIbLb0EES13_EEDaSY_SZ_EUlSY_E_NS1_11comp_targetILNS1_3genE9ELNS1_11target_archE1100ELNS1_3gpuE3ELNS1_3repE0EEENS1_30default_config_static_selectorELNS0_4arch9wavefront6targetE0EEEvT1_
		.amdhsa_group_segment_fixed_size 0
		.amdhsa_private_segment_fixed_size 0
		.amdhsa_kernarg_size 112
		.amdhsa_user_sgpr_count 6
		.amdhsa_user_sgpr_private_segment_buffer 1
		.amdhsa_user_sgpr_dispatch_ptr 0
		.amdhsa_user_sgpr_queue_ptr 0
		.amdhsa_user_sgpr_kernarg_segment_ptr 1
		.amdhsa_user_sgpr_dispatch_id 0
		.amdhsa_user_sgpr_flat_scratch_init 0
		.amdhsa_user_sgpr_private_segment_size 0
		.amdhsa_wavefront_size32 1
		.amdhsa_uses_dynamic_stack 0
		.amdhsa_system_sgpr_private_segment_wavefront_offset 0
		.amdhsa_system_sgpr_workgroup_id_x 1
		.amdhsa_system_sgpr_workgroup_id_y 0
		.amdhsa_system_sgpr_workgroup_id_z 0
		.amdhsa_system_sgpr_workgroup_info 0
		.amdhsa_system_vgpr_workitem_id 0
		.amdhsa_next_free_vgpr 1
		.amdhsa_next_free_sgpr 1
		.amdhsa_reserve_vcc 0
		.amdhsa_reserve_flat_scratch 0
		.amdhsa_float_round_mode_32 0
		.amdhsa_float_round_mode_16_64 0
		.amdhsa_float_denorm_mode_32 3
		.amdhsa_float_denorm_mode_16_64 3
		.amdhsa_dx10_clamp 1
		.amdhsa_ieee_mode 1
		.amdhsa_fp16_overflow 0
		.amdhsa_workgroup_processor_mode 1
		.amdhsa_memory_ordered 1
		.amdhsa_forward_progress 1
		.amdhsa_shared_vgpr_count 0
		.amdhsa_exception_fp_ieee_invalid_op 0
		.amdhsa_exception_fp_denorm_src 0
		.amdhsa_exception_fp_ieee_div_zero 0
		.amdhsa_exception_fp_ieee_overflow 0
		.amdhsa_exception_fp_ieee_underflow 0
		.amdhsa_exception_fp_ieee_inexact 0
		.amdhsa_exception_int_div_zero 0
	.end_amdhsa_kernel
	.section	.text._ZN7rocprim17ROCPRIM_400000_NS6detail17trampoline_kernelINS0_14default_configENS1_27scan_by_key_config_selectorIijEEZZNS1_16scan_by_key_implILNS1_25lookback_scan_determinismE0ELb0ES3_N6thrust23THRUST_200600_302600_NS6detail15normal_iteratorINS9_10device_ptrIiEEEENSB_INSC_IjEEEENSB_INSC_IfEEEEjNS9_4plusIvEENS9_8equal_toIvEEjEE10hipError_tPvRmT2_T3_T4_T5_mT6_T7_P12ihipStream_tbENKUlT_T0_E_clISt17integral_constantIbLb0EES13_EEDaSY_SZ_EUlSY_E_NS1_11comp_targetILNS1_3genE9ELNS1_11target_archE1100ELNS1_3gpuE3ELNS1_3repE0EEENS1_30default_config_static_selectorELNS0_4arch9wavefront6targetE0EEEvT1_,"axG",@progbits,_ZN7rocprim17ROCPRIM_400000_NS6detail17trampoline_kernelINS0_14default_configENS1_27scan_by_key_config_selectorIijEEZZNS1_16scan_by_key_implILNS1_25lookback_scan_determinismE0ELb0ES3_N6thrust23THRUST_200600_302600_NS6detail15normal_iteratorINS9_10device_ptrIiEEEENSB_INSC_IjEEEENSB_INSC_IfEEEEjNS9_4plusIvEENS9_8equal_toIvEEjEE10hipError_tPvRmT2_T3_T4_T5_mT6_T7_P12ihipStream_tbENKUlT_T0_E_clISt17integral_constantIbLb0EES13_EEDaSY_SZ_EUlSY_E_NS1_11comp_targetILNS1_3genE9ELNS1_11target_archE1100ELNS1_3gpuE3ELNS1_3repE0EEENS1_30default_config_static_selectorELNS0_4arch9wavefront6targetE0EEEvT1_,comdat
.Lfunc_end1651:
	.size	_ZN7rocprim17ROCPRIM_400000_NS6detail17trampoline_kernelINS0_14default_configENS1_27scan_by_key_config_selectorIijEEZZNS1_16scan_by_key_implILNS1_25lookback_scan_determinismE0ELb0ES3_N6thrust23THRUST_200600_302600_NS6detail15normal_iteratorINS9_10device_ptrIiEEEENSB_INSC_IjEEEENSB_INSC_IfEEEEjNS9_4plusIvEENS9_8equal_toIvEEjEE10hipError_tPvRmT2_T3_T4_T5_mT6_T7_P12ihipStream_tbENKUlT_T0_E_clISt17integral_constantIbLb0EES13_EEDaSY_SZ_EUlSY_E_NS1_11comp_targetILNS1_3genE9ELNS1_11target_archE1100ELNS1_3gpuE3ELNS1_3repE0EEENS1_30default_config_static_selectorELNS0_4arch9wavefront6targetE0EEEvT1_, .Lfunc_end1651-_ZN7rocprim17ROCPRIM_400000_NS6detail17trampoline_kernelINS0_14default_configENS1_27scan_by_key_config_selectorIijEEZZNS1_16scan_by_key_implILNS1_25lookback_scan_determinismE0ELb0ES3_N6thrust23THRUST_200600_302600_NS6detail15normal_iteratorINS9_10device_ptrIiEEEENSB_INSC_IjEEEENSB_INSC_IfEEEEjNS9_4plusIvEENS9_8equal_toIvEEjEE10hipError_tPvRmT2_T3_T4_T5_mT6_T7_P12ihipStream_tbENKUlT_T0_E_clISt17integral_constantIbLb0EES13_EEDaSY_SZ_EUlSY_E_NS1_11comp_targetILNS1_3genE9ELNS1_11target_archE1100ELNS1_3gpuE3ELNS1_3repE0EEENS1_30default_config_static_selectorELNS0_4arch9wavefront6targetE0EEEvT1_
                                        ; -- End function
	.set _ZN7rocprim17ROCPRIM_400000_NS6detail17trampoline_kernelINS0_14default_configENS1_27scan_by_key_config_selectorIijEEZZNS1_16scan_by_key_implILNS1_25lookback_scan_determinismE0ELb0ES3_N6thrust23THRUST_200600_302600_NS6detail15normal_iteratorINS9_10device_ptrIiEEEENSB_INSC_IjEEEENSB_INSC_IfEEEEjNS9_4plusIvEENS9_8equal_toIvEEjEE10hipError_tPvRmT2_T3_T4_T5_mT6_T7_P12ihipStream_tbENKUlT_T0_E_clISt17integral_constantIbLb0EES13_EEDaSY_SZ_EUlSY_E_NS1_11comp_targetILNS1_3genE9ELNS1_11target_archE1100ELNS1_3gpuE3ELNS1_3repE0EEENS1_30default_config_static_selectorELNS0_4arch9wavefront6targetE0EEEvT1_.num_vgpr, 0
	.set _ZN7rocprim17ROCPRIM_400000_NS6detail17trampoline_kernelINS0_14default_configENS1_27scan_by_key_config_selectorIijEEZZNS1_16scan_by_key_implILNS1_25lookback_scan_determinismE0ELb0ES3_N6thrust23THRUST_200600_302600_NS6detail15normal_iteratorINS9_10device_ptrIiEEEENSB_INSC_IjEEEENSB_INSC_IfEEEEjNS9_4plusIvEENS9_8equal_toIvEEjEE10hipError_tPvRmT2_T3_T4_T5_mT6_T7_P12ihipStream_tbENKUlT_T0_E_clISt17integral_constantIbLb0EES13_EEDaSY_SZ_EUlSY_E_NS1_11comp_targetILNS1_3genE9ELNS1_11target_archE1100ELNS1_3gpuE3ELNS1_3repE0EEENS1_30default_config_static_selectorELNS0_4arch9wavefront6targetE0EEEvT1_.num_agpr, 0
	.set _ZN7rocprim17ROCPRIM_400000_NS6detail17trampoline_kernelINS0_14default_configENS1_27scan_by_key_config_selectorIijEEZZNS1_16scan_by_key_implILNS1_25lookback_scan_determinismE0ELb0ES3_N6thrust23THRUST_200600_302600_NS6detail15normal_iteratorINS9_10device_ptrIiEEEENSB_INSC_IjEEEENSB_INSC_IfEEEEjNS9_4plusIvEENS9_8equal_toIvEEjEE10hipError_tPvRmT2_T3_T4_T5_mT6_T7_P12ihipStream_tbENKUlT_T0_E_clISt17integral_constantIbLb0EES13_EEDaSY_SZ_EUlSY_E_NS1_11comp_targetILNS1_3genE9ELNS1_11target_archE1100ELNS1_3gpuE3ELNS1_3repE0EEENS1_30default_config_static_selectorELNS0_4arch9wavefront6targetE0EEEvT1_.numbered_sgpr, 0
	.set _ZN7rocprim17ROCPRIM_400000_NS6detail17trampoline_kernelINS0_14default_configENS1_27scan_by_key_config_selectorIijEEZZNS1_16scan_by_key_implILNS1_25lookback_scan_determinismE0ELb0ES3_N6thrust23THRUST_200600_302600_NS6detail15normal_iteratorINS9_10device_ptrIiEEEENSB_INSC_IjEEEENSB_INSC_IfEEEEjNS9_4plusIvEENS9_8equal_toIvEEjEE10hipError_tPvRmT2_T3_T4_T5_mT6_T7_P12ihipStream_tbENKUlT_T0_E_clISt17integral_constantIbLb0EES13_EEDaSY_SZ_EUlSY_E_NS1_11comp_targetILNS1_3genE9ELNS1_11target_archE1100ELNS1_3gpuE3ELNS1_3repE0EEENS1_30default_config_static_selectorELNS0_4arch9wavefront6targetE0EEEvT1_.num_named_barrier, 0
	.set _ZN7rocprim17ROCPRIM_400000_NS6detail17trampoline_kernelINS0_14default_configENS1_27scan_by_key_config_selectorIijEEZZNS1_16scan_by_key_implILNS1_25lookback_scan_determinismE0ELb0ES3_N6thrust23THRUST_200600_302600_NS6detail15normal_iteratorINS9_10device_ptrIiEEEENSB_INSC_IjEEEENSB_INSC_IfEEEEjNS9_4plusIvEENS9_8equal_toIvEEjEE10hipError_tPvRmT2_T3_T4_T5_mT6_T7_P12ihipStream_tbENKUlT_T0_E_clISt17integral_constantIbLb0EES13_EEDaSY_SZ_EUlSY_E_NS1_11comp_targetILNS1_3genE9ELNS1_11target_archE1100ELNS1_3gpuE3ELNS1_3repE0EEENS1_30default_config_static_selectorELNS0_4arch9wavefront6targetE0EEEvT1_.private_seg_size, 0
	.set _ZN7rocprim17ROCPRIM_400000_NS6detail17trampoline_kernelINS0_14default_configENS1_27scan_by_key_config_selectorIijEEZZNS1_16scan_by_key_implILNS1_25lookback_scan_determinismE0ELb0ES3_N6thrust23THRUST_200600_302600_NS6detail15normal_iteratorINS9_10device_ptrIiEEEENSB_INSC_IjEEEENSB_INSC_IfEEEEjNS9_4plusIvEENS9_8equal_toIvEEjEE10hipError_tPvRmT2_T3_T4_T5_mT6_T7_P12ihipStream_tbENKUlT_T0_E_clISt17integral_constantIbLb0EES13_EEDaSY_SZ_EUlSY_E_NS1_11comp_targetILNS1_3genE9ELNS1_11target_archE1100ELNS1_3gpuE3ELNS1_3repE0EEENS1_30default_config_static_selectorELNS0_4arch9wavefront6targetE0EEEvT1_.uses_vcc, 0
	.set _ZN7rocprim17ROCPRIM_400000_NS6detail17trampoline_kernelINS0_14default_configENS1_27scan_by_key_config_selectorIijEEZZNS1_16scan_by_key_implILNS1_25lookback_scan_determinismE0ELb0ES3_N6thrust23THRUST_200600_302600_NS6detail15normal_iteratorINS9_10device_ptrIiEEEENSB_INSC_IjEEEENSB_INSC_IfEEEEjNS9_4plusIvEENS9_8equal_toIvEEjEE10hipError_tPvRmT2_T3_T4_T5_mT6_T7_P12ihipStream_tbENKUlT_T0_E_clISt17integral_constantIbLb0EES13_EEDaSY_SZ_EUlSY_E_NS1_11comp_targetILNS1_3genE9ELNS1_11target_archE1100ELNS1_3gpuE3ELNS1_3repE0EEENS1_30default_config_static_selectorELNS0_4arch9wavefront6targetE0EEEvT1_.uses_flat_scratch, 0
	.set _ZN7rocprim17ROCPRIM_400000_NS6detail17trampoline_kernelINS0_14default_configENS1_27scan_by_key_config_selectorIijEEZZNS1_16scan_by_key_implILNS1_25lookback_scan_determinismE0ELb0ES3_N6thrust23THRUST_200600_302600_NS6detail15normal_iteratorINS9_10device_ptrIiEEEENSB_INSC_IjEEEENSB_INSC_IfEEEEjNS9_4plusIvEENS9_8equal_toIvEEjEE10hipError_tPvRmT2_T3_T4_T5_mT6_T7_P12ihipStream_tbENKUlT_T0_E_clISt17integral_constantIbLb0EES13_EEDaSY_SZ_EUlSY_E_NS1_11comp_targetILNS1_3genE9ELNS1_11target_archE1100ELNS1_3gpuE3ELNS1_3repE0EEENS1_30default_config_static_selectorELNS0_4arch9wavefront6targetE0EEEvT1_.has_dyn_sized_stack, 0
	.set _ZN7rocprim17ROCPRIM_400000_NS6detail17trampoline_kernelINS0_14default_configENS1_27scan_by_key_config_selectorIijEEZZNS1_16scan_by_key_implILNS1_25lookback_scan_determinismE0ELb0ES3_N6thrust23THRUST_200600_302600_NS6detail15normal_iteratorINS9_10device_ptrIiEEEENSB_INSC_IjEEEENSB_INSC_IfEEEEjNS9_4plusIvEENS9_8equal_toIvEEjEE10hipError_tPvRmT2_T3_T4_T5_mT6_T7_P12ihipStream_tbENKUlT_T0_E_clISt17integral_constantIbLb0EES13_EEDaSY_SZ_EUlSY_E_NS1_11comp_targetILNS1_3genE9ELNS1_11target_archE1100ELNS1_3gpuE3ELNS1_3repE0EEENS1_30default_config_static_selectorELNS0_4arch9wavefront6targetE0EEEvT1_.has_recursion, 0
	.set _ZN7rocprim17ROCPRIM_400000_NS6detail17trampoline_kernelINS0_14default_configENS1_27scan_by_key_config_selectorIijEEZZNS1_16scan_by_key_implILNS1_25lookback_scan_determinismE0ELb0ES3_N6thrust23THRUST_200600_302600_NS6detail15normal_iteratorINS9_10device_ptrIiEEEENSB_INSC_IjEEEENSB_INSC_IfEEEEjNS9_4plusIvEENS9_8equal_toIvEEjEE10hipError_tPvRmT2_T3_T4_T5_mT6_T7_P12ihipStream_tbENKUlT_T0_E_clISt17integral_constantIbLb0EES13_EEDaSY_SZ_EUlSY_E_NS1_11comp_targetILNS1_3genE9ELNS1_11target_archE1100ELNS1_3gpuE3ELNS1_3repE0EEENS1_30default_config_static_selectorELNS0_4arch9wavefront6targetE0EEEvT1_.has_indirect_call, 0
	.section	.AMDGPU.csdata,"",@progbits
; Kernel info:
; codeLenInByte = 0
; TotalNumSgprs: 0
; NumVgprs: 0
; ScratchSize: 0
; MemoryBound: 0
; FloatMode: 240
; IeeeMode: 1
; LDSByteSize: 0 bytes/workgroup (compile time only)
; SGPRBlocks: 0
; VGPRBlocks: 0
; NumSGPRsForWavesPerEU: 1
; NumVGPRsForWavesPerEU: 1
; Occupancy: 16
; WaveLimiterHint : 0
; COMPUTE_PGM_RSRC2:SCRATCH_EN: 0
; COMPUTE_PGM_RSRC2:USER_SGPR: 6
; COMPUTE_PGM_RSRC2:TRAP_HANDLER: 0
; COMPUTE_PGM_RSRC2:TGID_X_EN: 1
; COMPUTE_PGM_RSRC2:TGID_Y_EN: 0
; COMPUTE_PGM_RSRC2:TGID_Z_EN: 0
; COMPUTE_PGM_RSRC2:TIDIG_COMP_CNT: 0
	.section	.text._ZN7rocprim17ROCPRIM_400000_NS6detail17trampoline_kernelINS0_14default_configENS1_27scan_by_key_config_selectorIijEEZZNS1_16scan_by_key_implILNS1_25lookback_scan_determinismE0ELb0ES3_N6thrust23THRUST_200600_302600_NS6detail15normal_iteratorINS9_10device_ptrIiEEEENSB_INSC_IjEEEENSB_INSC_IfEEEEjNS9_4plusIvEENS9_8equal_toIvEEjEE10hipError_tPvRmT2_T3_T4_T5_mT6_T7_P12ihipStream_tbENKUlT_T0_E_clISt17integral_constantIbLb0EES13_EEDaSY_SZ_EUlSY_E_NS1_11comp_targetILNS1_3genE8ELNS1_11target_archE1030ELNS1_3gpuE2ELNS1_3repE0EEENS1_30default_config_static_selectorELNS0_4arch9wavefront6targetE0EEEvT1_,"axG",@progbits,_ZN7rocprim17ROCPRIM_400000_NS6detail17trampoline_kernelINS0_14default_configENS1_27scan_by_key_config_selectorIijEEZZNS1_16scan_by_key_implILNS1_25lookback_scan_determinismE0ELb0ES3_N6thrust23THRUST_200600_302600_NS6detail15normal_iteratorINS9_10device_ptrIiEEEENSB_INSC_IjEEEENSB_INSC_IfEEEEjNS9_4plusIvEENS9_8equal_toIvEEjEE10hipError_tPvRmT2_T3_T4_T5_mT6_T7_P12ihipStream_tbENKUlT_T0_E_clISt17integral_constantIbLb0EES13_EEDaSY_SZ_EUlSY_E_NS1_11comp_targetILNS1_3genE8ELNS1_11target_archE1030ELNS1_3gpuE2ELNS1_3repE0EEENS1_30default_config_static_selectorELNS0_4arch9wavefront6targetE0EEEvT1_,comdat
	.protected	_ZN7rocprim17ROCPRIM_400000_NS6detail17trampoline_kernelINS0_14default_configENS1_27scan_by_key_config_selectorIijEEZZNS1_16scan_by_key_implILNS1_25lookback_scan_determinismE0ELb0ES3_N6thrust23THRUST_200600_302600_NS6detail15normal_iteratorINS9_10device_ptrIiEEEENSB_INSC_IjEEEENSB_INSC_IfEEEEjNS9_4plusIvEENS9_8equal_toIvEEjEE10hipError_tPvRmT2_T3_T4_T5_mT6_T7_P12ihipStream_tbENKUlT_T0_E_clISt17integral_constantIbLb0EES13_EEDaSY_SZ_EUlSY_E_NS1_11comp_targetILNS1_3genE8ELNS1_11target_archE1030ELNS1_3gpuE2ELNS1_3repE0EEENS1_30default_config_static_selectorELNS0_4arch9wavefront6targetE0EEEvT1_ ; -- Begin function _ZN7rocprim17ROCPRIM_400000_NS6detail17trampoline_kernelINS0_14default_configENS1_27scan_by_key_config_selectorIijEEZZNS1_16scan_by_key_implILNS1_25lookback_scan_determinismE0ELb0ES3_N6thrust23THRUST_200600_302600_NS6detail15normal_iteratorINS9_10device_ptrIiEEEENSB_INSC_IjEEEENSB_INSC_IfEEEEjNS9_4plusIvEENS9_8equal_toIvEEjEE10hipError_tPvRmT2_T3_T4_T5_mT6_T7_P12ihipStream_tbENKUlT_T0_E_clISt17integral_constantIbLb0EES13_EEDaSY_SZ_EUlSY_E_NS1_11comp_targetILNS1_3genE8ELNS1_11target_archE1030ELNS1_3gpuE2ELNS1_3repE0EEENS1_30default_config_static_selectorELNS0_4arch9wavefront6targetE0EEEvT1_
	.globl	_ZN7rocprim17ROCPRIM_400000_NS6detail17trampoline_kernelINS0_14default_configENS1_27scan_by_key_config_selectorIijEEZZNS1_16scan_by_key_implILNS1_25lookback_scan_determinismE0ELb0ES3_N6thrust23THRUST_200600_302600_NS6detail15normal_iteratorINS9_10device_ptrIiEEEENSB_INSC_IjEEEENSB_INSC_IfEEEEjNS9_4plusIvEENS9_8equal_toIvEEjEE10hipError_tPvRmT2_T3_T4_T5_mT6_T7_P12ihipStream_tbENKUlT_T0_E_clISt17integral_constantIbLb0EES13_EEDaSY_SZ_EUlSY_E_NS1_11comp_targetILNS1_3genE8ELNS1_11target_archE1030ELNS1_3gpuE2ELNS1_3repE0EEENS1_30default_config_static_selectorELNS0_4arch9wavefront6targetE0EEEvT1_
	.p2align	8
	.type	_ZN7rocprim17ROCPRIM_400000_NS6detail17trampoline_kernelINS0_14default_configENS1_27scan_by_key_config_selectorIijEEZZNS1_16scan_by_key_implILNS1_25lookback_scan_determinismE0ELb0ES3_N6thrust23THRUST_200600_302600_NS6detail15normal_iteratorINS9_10device_ptrIiEEEENSB_INSC_IjEEEENSB_INSC_IfEEEEjNS9_4plusIvEENS9_8equal_toIvEEjEE10hipError_tPvRmT2_T3_T4_T5_mT6_T7_P12ihipStream_tbENKUlT_T0_E_clISt17integral_constantIbLb0EES13_EEDaSY_SZ_EUlSY_E_NS1_11comp_targetILNS1_3genE8ELNS1_11target_archE1030ELNS1_3gpuE2ELNS1_3repE0EEENS1_30default_config_static_selectorELNS0_4arch9wavefront6targetE0EEEvT1_,@function
_ZN7rocprim17ROCPRIM_400000_NS6detail17trampoline_kernelINS0_14default_configENS1_27scan_by_key_config_selectorIijEEZZNS1_16scan_by_key_implILNS1_25lookback_scan_determinismE0ELb0ES3_N6thrust23THRUST_200600_302600_NS6detail15normal_iteratorINS9_10device_ptrIiEEEENSB_INSC_IjEEEENSB_INSC_IfEEEEjNS9_4plusIvEENS9_8equal_toIvEEjEE10hipError_tPvRmT2_T3_T4_T5_mT6_T7_P12ihipStream_tbENKUlT_T0_E_clISt17integral_constantIbLb0EES13_EEDaSY_SZ_EUlSY_E_NS1_11comp_targetILNS1_3genE8ELNS1_11target_archE1030ELNS1_3gpuE2ELNS1_3repE0EEENS1_30default_config_static_selectorELNS0_4arch9wavefront6targetE0EEEvT1_: ; @_ZN7rocprim17ROCPRIM_400000_NS6detail17trampoline_kernelINS0_14default_configENS1_27scan_by_key_config_selectorIijEEZZNS1_16scan_by_key_implILNS1_25lookback_scan_determinismE0ELb0ES3_N6thrust23THRUST_200600_302600_NS6detail15normal_iteratorINS9_10device_ptrIiEEEENSB_INSC_IjEEEENSB_INSC_IfEEEEjNS9_4plusIvEENS9_8equal_toIvEEjEE10hipError_tPvRmT2_T3_T4_T5_mT6_T7_P12ihipStream_tbENKUlT_T0_E_clISt17integral_constantIbLb0EES13_EEDaSY_SZ_EUlSY_E_NS1_11comp_targetILNS1_3genE8ELNS1_11target_archE1030ELNS1_3gpuE2ELNS1_3repE0EEENS1_30default_config_static_selectorELNS0_4arch9wavefront6targetE0EEEvT1_
; %bb.0:
	s_clause 0x4
	s_load_dwordx8 s[8:15], s[4:5], 0x0
	s_load_dwordx2 s[28:29], s[4:5], 0x38
	s_load_dword s2, s[4:5], 0x40
	s_load_dwordx8 s[16:23], s[4:5], 0x48
	s_load_dwordx4 s[24:27], s[4:5], 0x28
	s_mov_b32 s1, 0
	s_waitcnt lgkmcnt(0)
	s_barrier
	buffer_gl0_inv
	s_lshl_b64 s[10:11], s[10:11], 2
	s_add_u32 s4, s8, s10
	s_mul_i32 s0, s29, s2
	s_mul_hi_u32 s3, s28, s2
	s_addc_u32 s5, s9, s11
	s_add_u32 s7, s12, s10
	s_addc_u32 s12, s13, s11
	s_add_i32 s13, s3, s0
	s_cmp_lg_u64 s[20:21], 0
	s_mul_i32 s0, s6, 0x300
	s_cselect_b32 s27, -1, 0
	s_lshl_b64 s[8:9], s[0:1], 2
	s_mul_i32 s0, s28, s2
	s_add_u32 s4, s4, s8
	s_addc_u32 s5, s5, s9
	s_add_u32 s3, s7, s8
	s_addc_u32 s21, s12, s9
	;; [unrolled: 2-line block ×3, first 2 shown]
	s_add_u32 s16, s16, -1
	s_addc_u32 s17, s17, -1
	s_mul_i32 s20, s16, 0xfffffd00
	v_cmp_ge_u64_e64 s7, s[12:13], s[16:17]
	s_and_b32 vcc_lo, exec_lo, s7
	s_cbranch_vccz .LBB1652_22
; %bb.1:
	v_mov_b32_e32 v1, s4
	v_mov_b32_e32 v2, s5
	s_add_i32 s30, s20, s26
	v_cmp_gt_u32_e64 s0, s30, v0
	flat_load_dword v2, v[1:2]
	s_waitcnt vmcnt(0) lgkmcnt(0)
	v_mov_b32_e32 v3, v2
	s_and_saveexec_b32 s1, s0
	s_cbranch_execz .LBB1652_3
; %bb.2:
	v_lshlrev_b32_e32 v1, 2, v0
	v_add_co_u32 v3, s2, s4, v1
	v_add_co_ci_u32_e64 v4, null, s5, 0, s2
	flat_load_dword v3, v[3:4]
.LBB1652_3:
	s_or_b32 exec_lo, exec_lo, s1
	v_or_b32_e32 v1, 0x100, v0
	v_mov_b32_e32 v4, v2
	v_cmp_gt_u32_e64 s1, s30, v1
	s_and_saveexec_b32 s2, s1
	s_cbranch_execz .LBB1652_5
; %bb.4:
	v_lshlrev_b32_e32 v1, 2, v0
	v_add_co_u32 v4, s16, s4, v1
	v_add_co_ci_u32_e64 v5, null, s5, 0, s16
	flat_load_dword v4, v[4:5] offset:1024
.LBB1652_5:
	s_or_b32 exec_lo, exec_lo, s2
	v_or_b32_e32 v1, 0x200, v0
	v_cmp_gt_u32_e64 s2, s30, v1
	v_lshlrev_b32_e32 v8, 2, v1
	s_and_saveexec_b32 s16, s2
	s_cbranch_execz .LBB1652_7
; %bb.6:
	v_add_co_u32 v1, s17, s4, v8
	v_add_co_ci_u32_e64 v2, null, s5, 0, s17
	flat_load_dword v2, v[1:2]
.LBB1652_7:
	s_or_b32 exec_lo, exec_lo, s16
	v_lshlrev_b32_e32 v9, 2, v0
	v_lshlrev_b32_e32 v1, 3, v0
	s_cmp_eq_u64 s[12:13], 0
	s_mov_b64 s[16:17], s[4:5]
	s_waitcnt vmcnt(0) lgkmcnt(0)
	ds_write2st64_b32 v9, v3, v4 offset1:4
	v_add_nc_u32_e32 v7, v9, v1
	ds_write_b32 v9, v2 offset:2048
	s_waitcnt lgkmcnt(0)
	s_barrier
	buffer_gl0_inv
	ds_read2_b32 v[4:5], v7 offset1:1
	ds_read_b32 v6, v7 offset:8
	s_cbranch_scc1 .LBB1652_11
; %bb.8:
	s_andn2_b32 vcc_lo, exec_lo, s27
	s_cbranch_vccnz .LBB1652_101
; %bb.9:
	s_lshl_b64 s[16:17], s[12:13], 2
	s_add_u32 s16, s22, s16
	s_addc_u32 s17, s23, s17
	s_add_u32 s16, s16, -4
	s_addc_u32 s17, s17, -1
	s_cbranch_execnz .LBB1652_11
.LBB1652_10:
	s_add_u32 s16, s4, -4
	s_addc_u32 s17, s5, -1
.LBB1652_11:
	v_mov_b32_e32 v2, s16
	v_mov_b32_e32 v3, s17
	s_mov_b32 s16, exec_lo
	flat_load_dword v13, v[2:3]
	v_sub_nc_u32_e32 v2, v7, v1
	s_waitcnt lgkmcnt(1)
	ds_write_b32 v2, v6 offset:3072
	s_waitcnt vmcnt(0) lgkmcnt(0)
	s_barrier
	buffer_gl0_inv
	v_cmpx_ne_u32_e32 0, v0
; %bb.12:
	v_sub_nc_u32_e32 v1, 0, v1
	v_add_nc_u32_e32 v1, v7, v1
	ds_read_b32 v13, v1 offset:3068
; %bb.13:
	s_or_b32 exec_lo, exec_lo, s16
	v_mov_b32_e32 v1, 0
	s_waitcnt lgkmcnt(0)
	s_barrier
	buffer_gl0_inv
	v_mov_b32_e32 v2, v1
	v_mov_b32_e32 v3, v1
	s_and_saveexec_b32 s16, s0
	s_cbranch_execnz .LBB1652_99
; %bb.14:
	s_or_b32 exec_lo, exec_lo, s16
	s_and_saveexec_b32 s0, s1
	s_cbranch_execnz .LBB1652_100
.LBB1652_15:
	s_or_b32 exec_lo, exec_lo, s0
	s_and_saveexec_b32 s0, s2
	s_cbranch_execz .LBB1652_17
.LBB1652_16:
	v_add_co_u32 v10, s1, s3, v8
	v_add_co_ci_u32_e64 v11, null, s21, 0, s1
	flat_load_dword v3, v[10:11]
.LBB1652_17:
	s_or_b32 exec_lo, exec_lo, s0
	s_waitcnt vmcnt(0) lgkmcnt(0)
	ds_write2st64_b32 v9, v1, v2 offset1:4
	ds_write_b32 v9, v3 offset:2048
	v_mov_b32_e32 v9, 0
	v_mov_b32_e32 v11, 0
	v_mul_u32_u24_e32 v8, 3, v0
	v_mov_b32_e32 v10, 0
	v_mov_b32_e32 v12, 0
	s_mov_b32 s16, 0
	s_mov_b32 s1, 0
	s_mov_b32 s17, exec_lo
	s_waitcnt lgkmcnt(0)
	s_barrier
	buffer_gl0_inv
                                        ; implicit-def: $sgpr2
                                        ; implicit-def: $vgpr2
	v_cmpx_gt_u32_e64 s30, v8
	s_cbranch_execz .LBB1652_21
; %bb.18:
	ds_read_b32 v9, v7
	v_cmp_ne_u32_e32 vcc_lo, v13, v4
	v_mov_b32_e32 v11, 0
	v_add_nc_u32_e32 v1, 1, v8
	v_mov_b32_e32 v12, 0
	s_mov_b32 s0, 0
	v_cndmask_b32_e64 v10, 0, 1, vcc_lo
	s_mov_b32 s1, exec_lo
                                        ; implicit-def: $sgpr2
                                        ; implicit-def: $vgpr2
	v_cmpx_gt_u32_e64 s30, v1
	s_xor_b32 s1, exec_lo, s1
	s_cbranch_execz .LBB1652_20
; %bb.19:
	ds_read2_b32 v[1:2], v7 offset0:1 offset1:2
	v_add_nc_u32_e32 v3, 2, v8
	v_cmp_ne_u32_e64 s0, v4, v5
	v_cmp_ne_u32_e64 s2, v5, v6
	v_cmp_gt_u32_e32 vcc_lo, s30, v3
	v_cndmask_b32_e64 v12, 0, 1, s0
	s_and_b32 s0, vcc_lo, exec_lo
	s_waitcnt lgkmcnt(0)
	v_mov_b32_e32 v11, v1
.LBB1652_20:
	s_or_b32 exec_lo, exec_lo, s1
	s_and_b32 s1, s0, exec_lo
.LBB1652_21:
	s_or_b32 exec_lo, exec_lo, s17
	v_lshlrev_b32_e32 v18, 2, v0
	v_lshlrev_b32_e32 v19, 3, v0
	s_and_b32 vcc_lo, exec_lo, s16
	s_cbranch_vccnz .LBB1652_23
	s_branch .LBB1652_31
.LBB1652_22:
                                        ; implicit-def: $sgpr2
                                        ; implicit-def: $vgpr2
                                        ; implicit-def: $vgpr9_vgpr10
                                        ; implicit-def: $vgpr11_vgpr12
	v_lshlrev_b32_e32 v18, 2, v0
	v_lshlrev_b32_e32 v19, 3, v0
	s_cbranch_execz .LBB1652_31
.LBB1652_23:
	v_add_co_u32 v1, s0, s4, v18
	v_add_co_ci_u32_e64 v2, null, s5, 0, s0
	s_cmp_eq_u64 s[12:13], 0
	v_add_co_u32 v3, vcc_lo, 0x800, v1
	v_add_co_ci_u32_e64 v4, null, 0, v2, vcc_lo
	s_clause 0x2
	flat_load_dword v5, v[1:2]
	flat_load_dword v2, v[1:2] offset:1024
	flat_load_dword v3, v[3:4]
	v_add_nc_u32_e32 v1, v18, v19
	s_waitcnt vmcnt(1) lgkmcnt(1)
	ds_write2st64_b32 v18, v5, v2 offset1:4
	s_waitcnt vmcnt(0) lgkmcnt(1)
	ds_write_b32 v18, v3 offset:2048
	s_waitcnt lgkmcnt(0)
	s_barrier
	buffer_gl0_inv
	ds_read2_b32 v[3:4], v1 offset1:1
	ds_read_b32 v5, v1 offset:8
	s_cbranch_scc1 .LBB1652_28
; %bb.24:
	s_andn2_b32 vcc_lo, exec_lo, s27
	s_cbranch_vccnz .LBB1652_102
; %bb.25:
	s_lshl_b64 s[0:1], s[12:13], 2
	s_add_u32 s0, s22, s0
	s_addc_u32 s1, s23, s1
	s_add_u32 s0, s0, -4
	s_addc_u32 s1, s1, -1
	s_cbranch_execnz .LBB1652_27
.LBB1652_26:
	s_add_u32 s0, s4, -4
	s_addc_u32 s1, s5, -1
.LBB1652_27:
	s_mov_b64 s[4:5], s[0:1]
.LBB1652_28:
	v_mov_b32_e32 v7, s5
	v_mov_b32_e32 v6, s4
	v_sub_nc_u32_e32 v2, v1, v19
	s_mov_b32 s0, exec_lo
	flat_load_dword v6, v[6:7]
	s_waitcnt lgkmcnt(1)
	ds_write_b32 v2, v5 offset:3072
	s_waitcnt vmcnt(0) lgkmcnt(0)
	s_barrier
	buffer_gl0_inv
	v_cmpx_ne_u32_e32 0, v0
; %bb.29:
	v_sub_nc_u32_e32 v2, 0, v19
	v_add_nc_u32_e32 v2, v1, v2
	ds_read_b32 v6, v2 offset:3068
; %bb.30:
	s_or_b32 exec_lo, exec_lo, s0
	v_add_co_u32 v7, s0, s3, v18
	v_add_co_ci_u32_e64 v8, null, s21, 0, s0
	s_waitcnt lgkmcnt(0)
	v_add_co_u32 v9, vcc_lo, 0x800, v7
	v_add_co_ci_u32_e64 v10, null, 0, v8, vcc_lo
	s_barrier
	buffer_gl0_inv
	s_clause 0x2
	flat_load_dword v2, v[7:8]
	flat_load_dword v7, v[7:8] offset:1024
	flat_load_dword v8, v[9:10]
	v_cmp_ne_u32_e32 vcc_lo, v6, v3
	v_cmp_ne_u32_e64 s2, v4, v5
	s_mov_b32 s1, -1
	s_waitcnt vmcnt(1) lgkmcnt(1)
	ds_write2st64_b32 v18, v2, v7 offset1:4
	s_waitcnt vmcnt(0) lgkmcnt(1)
	ds_write_b32 v18, v8 offset:2048
	s_waitcnt lgkmcnt(0)
	s_barrier
	buffer_gl0_inv
	ds_read2_b32 v[7:8], v1 offset1:1
	ds_read_b32 v2, v1 offset:8
	v_cndmask_b32_e64 v10, 0, 1, vcc_lo
	v_cmp_ne_u32_e32 vcc_lo, v3, v4
	v_cndmask_b32_e64 v12, 0, 1, vcc_lo
	s_waitcnt lgkmcnt(1)
	v_mov_b32_e32 v9, v7
	v_mov_b32_e32 v11, v8
.LBB1652_31:
	v_mov_b32_e32 v13, 0
	v_mov_b32_e32 v14, 0
	s_and_saveexec_b32 s0, s1
	s_cbranch_execz .LBB1652_33
; %bb.32:
	v_cndmask_b32_e64 v14, 0, 1, s2
	s_waitcnt lgkmcnt(0)
	v_mov_b32_e32 v13, v2
.LBB1652_33:
	s_or_b32 exec_lo, exec_lo, s0
	v_or_b32_e32 v23, v12, v14
	v_mbcnt_lo_u32_b32 v20, -1, 0
	v_lshrrev_b32_e32 v21, 5, v0
	v_or_b32_e32 v22, 31, v0
	s_cmp_lg_u32 s6, 0
	s_mov_b32 s2, 0
	s_waitcnt lgkmcnt(0)
	s_barrier
	buffer_gl0_inv
	s_cbranch_scc0 .LBB1652_59
; %bb.34:
	v_and_b32_e32 v2, 0xff, v23
	v_mov_b32_e32 v1, 0
	s_mov_b32 s3, 1
	v_and_b32_e32 v8, 15, v20
	v_cmp_gt_u64_e64 s0, s[2:3], v[11:12]
	v_cmp_gt_u64_e64 s1, s[2:3], v[13:14]
	v_cmp_eq_u64_e32 vcc_lo, 0, v[1:2]
	v_cndmask_b32_e64 v3, 0, v9, s0
	v_cndmask_b32_e32 v2, 1, v10, vcc_lo
	v_add_nc_u32_e32 v3, v3, v11
	v_and_b32_e32 v4, 0xff, v2
	v_and_b32_e32 v6, 1, v2
	v_cndmask_b32_e64 v3, 0, v3, s1
	v_mov_b32_dpp v5, v4 row_shr:1 row_mask:0xf bank_mask:0xf
	v_cmp_eq_u32_e32 vcc_lo, 1, v6
	v_add_nc_u32_e32 v3, v3, v13
	v_and_b32_e32 v5, 1, v5
	v_mov_b32_dpp v7, v3 row_shr:1 row_mask:0xf bank_mask:0xf
	v_cndmask_b32_e64 v5, v5, 1, vcc_lo
	v_cmp_eq_u16_e32 vcc_lo, 0, v4
	v_cndmask_b32_e32 v6, 0, v7, vcc_lo
	v_cmp_eq_u32_e32 vcc_lo, 0, v8
	v_cndmask_b32_e32 v4, v5, v4, vcc_lo
	v_cndmask_b32_e32 v2, v5, v2, vcc_lo
	v_cndmask_b32_e64 v6, v6, 0, vcc_lo
	v_mov_b32_dpp v5, v4 row_shr:2 row_mask:0xf bank_mask:0xf
	v_and_b32_e32 v7, 1, v2
	v_add_nc_u32_e32 v3, v6, v3
	v_cmp_eq_u16_sdwa s2, v2, v1 src0_sel:BYTE_0 src1_sel:DWORD
	v_and_b32_e32 v5, 1, v5
	v_cmp_eq_u32_e32 vcc_lo, 1, v7
	v_cndmask_b32_e64 v5, v5, 1, vcc_lo
	v_cmp_lt_u32_e32 vcc_lo, 1, v8
	v_cndmask_b32_e32 v7, v2, v5, vcc_lo
	v_cndmask_b32_e32 v4, v4, v5, vcc_lo
	v_mov_b32_dpp v2, v3 row_shr:2 row_mask:0xf bank_mask:0xf
	s_and_b32 vcc_lo, vcc_lo, s2
	v_and_b32_e32 v6, 1, v7
	v_mov_b32_dpp v5, v4 row_shr:4 row_mask:0xf bank_mask:0xf
	v_cndmask_b32_e32 v2, 0, v2, vcc_lo
	v_cmp_eq_u16_sdwa s2, v7, v1 src0_sel:BYTE_0 src1_sel:DWORD
	v_cmp_eq_u32_e32 vcc_lo, 1, v6
	v_and_b32_e32 v5, 1, v5
	v_add_nc_u32_e32 v2, v2, v3
	v_cndmask_b32_e64 v5, v5, 1, vcc_lo
	v_cmp_lt_u32_e32 vcc_lo, 3, v8
	v_cndmask_b32_e32 v3, v7, v5, vcc_lo
	v_cndmask_b32_e32 v4, v4, v5, vcc_lo
	v_mov_b32_dpp v5, v2 row_shr:4 row_mask:0xf bank_mask:0xf
	s_and_b32 vcc_lo, vcc_lo, s2
	v_and_b32_e32 v7, 1, v3
	v_mov_b32_dpp v6, v4 row_shr:8 row_mask:0xf bank_mask:0xf
	v_cndmask_b32_e32 v5, 0, v5, vcc_lo
	v_cmp_eq_u16_sdwa s2, v3, v1 src0_sel:BYTE_0 src1_sel:DWORD
	v_cmp_eq_u32_e32 vcc_lo, 1, v7
	v_and_b32_e32 v6, 1, v6
	v_add_nc_u32_e32 v2, v5, v2
	v_bfe_i32 v7, v20, 4, 1
	v_cndmask_b32_e64 v5, v6, 1, vcc_lo
	v_cmp_lt_u32_e32 vcc_lo, 7, v8
	v_mov_b32_dpp v6, v2 row_shr:8 row_mask:0xf bank_mask:0xf
	s_and_b32 s2, vcc_lo, s2
	v_cndmask_b32_e32 v4, v4, v5, vcc_lo
	v_cndmask_b32_e64 v6, 0, v6, s2
	v_cndmask_b32_e32 v3, v3, v5, vcc_lo
	ds_swizzle_b32 v5, v4 offset:swizzle(BROADCAST,32,15)
	v_add_nc_u32_e32 v2, v6, v2
	v_and_b32_e32 v8, 1, v3
	v_cmp_eq_u16_sdwa vcc_lo, v3, v1 src0_sel:BYTE_0 src1_sel:DWORD
	v_and_b32_e32 v3, 16, v20
	ds_swizzle_b32 v6, v2 offset:swizzle(BROADCAST,32,15)
	v_cmp_eq_u32_e64 s2, 0, v3
	s_waitcnt lgkmcnt(1)
	v_and_b32_e32 v5, 1, v5
	s_waitcnt lgkmcnt(0)
	v_cndmask_b32_e32 v1, 0, v6, vcc_lo
	v_cmp_eq_u32_e32 vcc_lo, 1, v8
	v_and_b32_e32 v1, v7, v1
	v_cndmask_b32_e64 v5, v5, 1, vcc_lo
	v_add_nc_u32_e32 v3, v1, v2
	v_cndmask_b32_e64 v4, v5, v4, s2
	v_lshlrev_b32_e32 v5, 3, v21
	s_mov_b32 s2, exec_lo
	v_cmpx_eq_u32_e64 v0, v22
	s_cbranch_execz .LBB1652_36
; %bb.35:
	ds_write_b32 v5, v3
	ds_write_b8 v5, v4 offset:4
.LBB1652_36:
	s_or_b32 exec_lo, exec_lo, s2
	s_mov_b32 s2, exec_lo
	s_waitcnt lgkmcnt(0)
	s_barrier
	buffer_gl0_inv
	v_cmpx_gt_u32_e32 8, v0
	s_cbranch_execz .LBB1652_42
; %bb.37:
	ds_read_b64 v[1:2], v19
	v_and_b32_e32 v6, 7, v20
	s_mov_b32 s3, exec_lo
	s_waitcnt lgkmcnt(0)
	v_and_b32_e32 v7, 0xffffff00, v2
	v_mov_b32_dpp v15, v1 row_shr:1 row_mask:0xf bank_mask:0xf
	v_mov_b32_dpp v16, v2 row_shr:1 row_mask:0xf bank_mask:0xf
	v_mov_b32_e32 v8, v2
	v_cmpx_ne_u32_e32 0, v6
	s_cbranch_execz .LBB1652_39
; %bb.38:
	v_mov_b32_e32 v8, 0
	v_and_b32_e32 v17, 1, v2
	v_and_b32_e32 v16, 1, v16
	v_cmp_eq_u16_sdwa vcc_lo, v2, v8 src0_sel:BYTE_0 src1_sel:DWORD
	v_cndmask_b32_e32 v2, 0, v15, vcc_lo
	v_cmp_eq_u32_e32 vcc_lo, 1, v17
	v_add_nc_u32_e32 v1, v2, v1
	v_cndmask_b32_e64 v15, v16, 1, vcc_lo
	v_or_b32_sdwa v8, v7, v15 dst_sel:DWORD dst_unused:UNUSED_PAD src0_sel:DWORD src1_sel:WORD_0
	v_mov_b32_e32 v2, v15
.LBB1652_39:
	s_or_b32 exec_lo, exec_lo, s3
	v_mov_b32_dpp v15, v1 row_shr:2 row_mask:0xf bank_mask:0xf
	v_mov_b32_dpp v16, v8 row_shr:2 row_mask:0xf bank_mask:0xf
	s_mov_b32 s3, exec_lo
	v_cmpx_lt_u32_e32 1, v6
	s_cbranch_execz .LBB1652_41
; %bb.40:
	v_mov_b32_e32 v8, 0
	v_and_b32_e32 v17, 1, v2
	v_and_b32_e32 v16, 1, v16
	v_cmp_eq_u16_sdwa vcc_lo, v2, v8 src0_sel:BYTE_0 src1_sel:DWORD
	v_cndmask_b32_e32 v2, 0, v15, vcc_lo
	v_cmp_eq_u32_e32 vcc_lo, 1, v17
	v_add_nc_u32_e32 v1, v2, v1
	v_cndmask_b32_e64 v15, v16, 1, vcc_lo
	v_or_b32_sdwa v8, v7, v15 dst_sel:DWORD dst_unused:UNUSED_PAD src0_sel:DWORD src1_sel:WORD_0
	v_mov_b32_e32 v2, v15
.LBB1652_41:
	s_or_b32 exec_lo, exec_lo, s3
	v_mov_b32_dpp v7, v8 row_shr:4 row_mask:0xf bank_mask:0xf
	v_and_b32_e32 v15, 1, v2
	v_mov_b32_e32 v8, 0
	v_and_b32_e32 v7, 1, v7
	v_cmp_eq_u32_e32 vcc_lo, 1, v15
	v_cmp_eq_u16_sdwa s3, v2, v8 src0_sel:BYTE_0 src1_sel:DWORD
	v_cndmask_b32_e64 v7, v7, 1, vcc_lo
	v_cmp_lt_u32_e32 vcc_lo, 3, v6
	v_mov_b32_dpp v6, v1 row_shr:4 row_mask:0xf bank_mask:0xf
	v_cndmask_b32_e32 v2, v2, v7, vcc_lo
	s_and_b32 vcc_lo, vcc_lo, s3
	v_cndmask_b32_e32 v6, 0, v6, vcc_lo
	v_add_nc_u32_e32 v1, v6, v1
	ds_write_b32 v19, v1
	ds_write_b8 v19, v2 offset:4
.LBB1652_42:
	s_or_b32 exec_lo, exec_lo, s2
	v_mov_b32_e32 v24, 0
	v_mov_b32_e32 v25, 0
	s_mov_b32 s3, exec_lo
	v_cmp_gt_u32_e32 vcc_lo, 32, v0
	s_waitcnt lgkmcnt(0)
	s_barrier
	buffer_gl0_inv
	v_cmpx_lt_u32_e32 31, v0
	s_cbranch_execz .LBB1652_44
; %bb.43:
	v_add_nc_u32_e32 v1, -8, v5
	v_cmp_eq_u32_e64 s2, 0, v4
	v_and_b32_e32 v2, 1, v4
	ds_read_b32 v24, v1
	v_add_nc_u32_e32 v1, -4, v5
	ds_read_u8 v25, v1
	s_waitcnt lgkmcnt(1)
	v_cndmask_b32_e64 v1, 0, v24, s2
	v_cmp_eq_u32_e64 s2, 1, v2
	v_add_nc_u32_e32 v3, v1, v3
	s_waitcnt lgkmcnt(0)
	v_cndmask_b32_e64 v4, v25, 1, s2
.LBB1652_44:
	s_or_b32 exec_lo, exec_lo, s3
	v_sub_co_u32 v1, s2, v20, 1
	v_cmp_gt_i32_e64 s3, 0, v1
	v_cndmask_b32_e64 v1, v1, v20, s3
	v_lshlrev_b32_e32 v1, 2, v1
	ds_bpermute_b32 v26, v1, v3
	ds_bpermute_b32 v27, v1, v4
	s_and_saveexec_b32 s12, vcc_lo
	s_cbranch_execz .LBB1652_64
; %bb.45:
	v_mov_b32_e32 v4, 0
	ds_read_b64 v[1:2], v4 offset:56
	s_and_saveexec_b32 s3, s2
	s_cbranch_execz .LBB1652_47
; %bb.46:
	s_add_i32 s4, s6, 32
	s_mov_b32 s5, 0
	v_mov_b32_e32 v3, 1
	s_lshl_b64 s[4:5], s[4:5], 4
	s_add_u32 s4, s24, s4
	s_addc_u32 s5, s25, s5
	v_mov_b32_e32 v6, s5
	v_mov_b32_e32 v5, s4
	s_waitcnt lgkmcnt(0)
	;;#ASMSTART
	global_store_dwordx4 v[5:6], v[1:4] off	
s_waitcnt vmcnt(0)
	;;#ASMEND
.LBB1652_47:
	s_or_b32 exec_lo, exec_lo, s3
	v_xad_u32 v15, v20, -1, s6
	s_mov_b32 s4, 0
	v_add_nc_u32_e32 v3, 32, v15
	v_lshlrev_b64 v[5:6], 4, v[3:4]
	v_add_co_u32 v16, vcc_lo, s24, v5
	v_add_co_ci_u32_e64 v17, null, s25, v6, vcc_lo
	;;#ASMSTART
	global_load_dwordx4 v[5:8], v[16:17] off glc dlc	
s_waitcnt vmcnt(0)
	;;#ASMEND
	v_and_b32_e32 v6, 0xff, v6
	v_cmp_eq_u16_sdwa s5, v7, v4 src0_sel:BYTE_0 src1_sel:DWORD
	s_and_saveexec_b32 s3, s5
	s_cbranch_execz .LBB1652_51
; %bb.48:
	v_mov_b32_e32 v3, 0
.LBB1652_49:                            ; =>This Inner Loop Header: Depth=1
	;;#ASMSTART
	global_load_dwordx4 v[5:8], v[16:17] off glc dlc	
s_waitcnt vmcnt(0)
	;;#ASMEND
	v_cmp_ne_u16_sdwa s5, v7, v3 src0_sel:BYTE_0 src1_sel:DWORD
	s_or_b32 s4, s5, s4
	s_andn2_b32 exec_lo, exec_lo, s4
	s_cbranch_execnz .LBB1652_49
; %bb.50:
	s_or_b32 exec_lo, exec_lo, s4
	v_and_b32_e32 v6, 0xff, v6
.LBB1652_51:
	s_or_b32 exec_lo, exec_lo, s3
	v_cmp_ne_u32_e32 vcc_lo, 31, v20
	v_mov_b32_e32 v28, 2
	v_lshlrev_b32_e64 v29, v20, -1
	v_and_b32_e32 v8, 1, v6
	s_mov_b32 s4, 0
	v_add_co_ci_u32_e64 v3, null, 0, v20, vcc_lo
	v_cmp_eq_u16_sdwa s3, v7, v28 src0_sel:BYTE_0 src1_sel:DWORD
	v_cmp_eq_u32_e32 vcc_lo, 1, v8
	s_mov_b32 s5, 1
	v_lshlrev_b32_e32 v17, 2, v3
	v_add_nc_u32_e32 v37, 8, v20
	v_and_or_b32 v4, s3, v29, 0x80000000
	v_cmp_gt_u64_e64 s3, s[4:5], v[5:6]
	v_lshl_or_b32 v38, v20, 2, 64
	ds_bpermute_b32 v3, v17, v6
	ds_bpermute_b32 v16, v17, v5
	v_ffbl_b32_e32 v4, v4
	v_add_nc_u32_e32 v39, 16, v20
	s_waitcnt lgkmcnt(1)
	v_and_b32_e32 v3, 1, v3
	v_cndmask_b32_e64 v3, v3, 1, vcc_lo
	v_cmp_gt_u32_e32 vcc_lo, 30, v20
	v_and_b32_e32 v31, 0xffff, v3
	v_cndmask_b32_e64 v8, 0, 2, vcc_lo
	v_cmp_lt_u32_e32 vcc_lo, v20, v4
	v_add_lshl_u32 v30, v8, v20, 2
	v_cndmask_b32_e32 v8, v6, v31, vcc_lo
	v_cndmask_b32_e32 v3, v6, v3, vcc_lo
	s_and_b32 vcc_lo, vcc_lo, s3
	s_waitcnt lgkmcnt(0)
	v_cndmask_b32_e32 v6, 0, v16, vcc_lo
	ds_bpermute_b32 v31, v30, v8
	v_and_b32_e32 v16, 1, v3
	v_add_nc_u32_e32 v5, v6, v5
	v_cmp_eq_u32_e32 vcc_lo, 1, v16
	v_mov_b32_e32 v16, 0
	ds_bpermute_b32 v6, v30, v5
	v_cmp_eq_u16_sdwa s3, v3, v16 src0_sel:BYTE_0 src1_sel:DWORD
	s_waitcnt lgkmcnt(1)
	v_and_b32_e32 v32, 1, v31
	v_add_nc_u32_e32 v31, 2, v20
	v_cndmask_b32_e64 v33, v32, 1, vcc_lo
	v_cmp_gt_u32_e32 vcc_lo, 28, v20
	v_and_b32_e32 v34, 0xffff, v33
	v_cndmask_b32_e64 v32, 0, 4, vcc_lo
	v_cmp_gt_u32_e32 vcc_lo, v31, v4
	v_add_lshl_u32 v32, v32, v20, 2
	v_cndmask_b32_e32 v8, v34, v8, vcc_lo
	v_cndmask_b32_e32 v35, v33, v3, vcc_lo
	s_waitcnt lgkmcnt(0)
	v_cndmask_b32_e64 v3, 0, v6, s3
	v_add_nc_u32_e32 v33, 4, v20
	ds_bpermute_b32 v6, v32, v8
	v_and_b32_e32 v34, 1, v35
	v_cndmask_b32_e64 v3, v3, 0, vcc_lo
	v_cmp_eq_u16_sdwa s3, v35, v16 src0_sel:BYTE_0 src1_sel:DWORD
	v_cmp_eq_u32_e32 vcc_lo, 1, v34
	v_add_nc_u32_e32 v3, v3, v5
	ds_bpermute_b32 v5, v32, v3
	s_waitcnt lgkmcnt(1)
	v_and_b32_e32 v6, 1, v6
	v_cndmask_b32_e64 v6, v6, 1, vcc_lo
	v_cmp_gt_u32_e32 vcc_lo, 24, v20
	v_and_b32_e32 v36, 0xffff, v6
	v_cndmask_b32_e64 v34, 0, 8, vcc_lo
	v_cmp_gt_u32_e32 vcc_lo, v33, v4
	s_waitcnt lgkmcnt(0)
	v_cndmask_b32_e64 v5, 0, v5, s3
	v_add_lshl_u32 v34, v34, v20, 2
	v_cndmask_b32_e32 v8, v36, v8, vcc_lo
	v_cndmask_b32_e32 v6, v6, v35, vcc_lo
	v_cndmask_b32_e64 v5, v5, 0, vcc_lo
	ds_bpermute_b32 v35, v34, v8
	v_and_b32_e32 v36, 1, v6
	v_add_nc_u32_e32 v3, v5, v3
	v_cmp_eq_u32_e32 vcc_lo, 1, v36
	ds_bpermute_b32 v5, v34, v3
	s_waitcnt lgkmcnt(1)
	v_and_b32_e32 v35, 1, v35
	v_cndmask_b32_e64 v35, v35, 1, vcc_lo
	v_cmp_eq_u16_sdwa vcc_lo, v6, v16 src0_sel:BYTE_0 src1_sel:DWORD
	v_and_b32_e32 v36, 0xffff, v35
	s_waitcnt lgkmcnt(0)
	v_cndmask_b32_e32 v5, 0, v5, vcc_lo
	v_cmp_gt_u32_e32 vcc_lo, v37, v4
	v_cndmask_b32_e64 v5, v5, 0, vcc_lo
	v_cndmask_b32_e32 v8, v36, v8, vcc_lo
	v_cndmask_b32_e32 v6, v35, v6, vcc_lo
	v_add_nc_u32_e32 v3, v5, v3
	ds_bpermute_b32 v5, v38, v8
	v_and_b32_e32 v35, 1, v6
	v_cmp_eq_u16_sdwa vcc_lo, v6, v16 src0_sel:BYTE_0 src1_sel:DWORD
	ds_bpermute_b32 v8, v38, v3
	s_waitcnt lgkmcnt(1)
	v_and_b32_e32 v5, 1, v5
	s_waitcnt lgkmcnt(0)
	v_cndmask_b32_e32 v8, 0, v8, vcc_lo
	v_cmp_eq_u32_e32 vcc_lo, 1, v35
	v_cndmask_b32_e64 v5, v5, 1, vcc_lo
	v_cmp_gt_u32_e32 vcc_lo, v39, v4
	v_cndmask_b32_e32 v4, v5, v6, vcc_lo
	v_cndmask_b32_e64 v5, v8, 0, vcc_lo
	v_add_nc_u32_e32 v3, v5, v3
	s_branch .LBB1652_55
.LBB1652_52:                            ;   in Loop: Header=BB1652_55 Depth=1
	s_or_b32 exec_lo, exec_lo, s13
	v_and_b32_e32 v6, 0xff, v6
.LBB1652_53:                            ;   in Loop: Header=BB1652_55 Depth=1
	s_or_b32 exec_lo, exec_lo, s3
	ds_bpermute_b32 v3, v17, v6
	v_cmp_eq_u16_sdwa s3, v7, v28 src0_sel:BYTE_0 src1_sel:DWORD
	v_and_b32_e32 v4, 1, v6
	v_subrev_nc_u32_e32 v15, 32, v15
	v_and_or_b32 v8, s3, v29, 0x80000000
	v_cmp_eq_u32_e32 vcc_lo, 1, v4
	v_cmp_gt_u64_e64 s3, s[4:5], v[5:6]
	v_ffbl_b32_e32 v4, v8
	ds_bpermute_b32 v8, v17, v5
	s_waitcnt lgkmcnt(1)
	v_and_b32_e32 v3, 1, v3
	v_cndmask_b32_e64 v3, v3, 1, vcc_lo
	v_cmp_lt_u32_e32 vcc_lo, v20, v4
	v_and_b32_e32 v40, 0xffff, v3
	v_cndmask_b32_e32 v3, v6, v3, vcc_lo
	v_cndmask_b32_e32 v40, v6, v40, vcc_lo
	s_and_b32 vcc_lo, vcc_lo, s3
	v_cmp_eq_u16_sdwa s3, v3, v16 src0_sel:BYTE_0 src1_sel:DWORD
	s_waitcnt lgkmcnt(0)
	v_cndmask_b32_e32 v6, 0, v8, vcc_lo
	v_and_b32_e32 v8, 1, v3
	ds_bpermute_b32 v41, v30, v40
	v_add_nc_u32_e32 v5, v6, v5
	v_cmp_eq_u32_e32 vcc_lo, 1, v8
	ds_bpermute_b32 v6, v30, v5
	s_waitcnt lgkmcnt(1)
	v_and_b32_e32 v41, 1, v41
	v_cndmask_b32_e64 v8, v41, 1, vcc_lo
	v_cmp_gt_u32_e32 vcc_lo, v31, v4
	v_and_b32_e32 v41, 0xffff, v8
	v_cndmask_b32_e32 v8, v8, v3, vcc_lo
	s_waitcnt lgkmcnt(0)
	v_cndmask_b32_e64 v3, 0, v6, s3
	v_cndmask_b32_e32 v40, v41, v40, vcc_lo
	v_and_b32_e32 v41, 1, v8
	v_cndmask_b32_e64 v3, v3, 0, vcc_lo
	v_cmp_eq_u16_sdwa s3, v8, v16 src0_sel:BYTE_0 src1_sel:DWORD
	ds_bpermute_b32 v6, v32, v40
	v_cmp_eq_u32_e32 vcc_lo, 1, v41
	v_add_nc_u32_e32 v3, v3, v5
	ds_bpermute_b32 v5, v32, v3
	s_waitcnt lgkmcnt(1)
	v_and_b32_e32 v6, 1, v6
	v_cndmask_b32_e64 v6, v6, 1, vcc_lo
	v_cmp_gt_u32_e32 vcc_lo, v33, v4
	s_waitcnt lgkmcnt(0)
	v_cndmask_b32_e64 v5, 0, v5, s3
	s_mov_b32 s3, 0
	v_and_b32_e32 v41, 0xffff, v6
	v_cndmask_b32_e32 v6, v6, v8, vcc_lo
	v_cndmask_b32_e64 v5, v5, 0, vcc_lo
	v_cndmask_b32_e32 v8, v41, v40, vcc_lo
	v_and_b32_e32 v41, 1, v6
	v_add_nc_u32_e32 v3, v5, v3
	ds_bpermute_b32 v40, v34, v8
	v_cmp_eq_u32_e32 vcc_lo, 1, v41
	ds_bpermute_b32 v5, v34, v3
	s_waitcnt lgkmcnt(1)
	v_and_b32_e32 v40, 1, v40
	v_cndmask_b32_e64 v40, v40, 1, vcc_lo
	v_cmp_eq_u16_sdwa vcc_lo, v6, v16 src0_sel:BYTE_0 src1_sel:DWORD
	v_and_b32_e32 v41, 0xffff, v40
	s_waitcnt lgkmcnt(0)
	v_cndmask_b32_e32 v5, 0, v5, vcc_lo
	v_cmp_gt_u32_e32 vcc_lo, v37, v4
	v_cndmask_b32_e64 v5, v5, 0, vcc_lo
	v_cndmask_b32_e32 v8, v41, v8, vcc_lo
	v_cndmask_b32_e32 v6, v40, v6, vcc_lo
	v_add_nc_u32_e32 v3, v5, v3
	ds_bpermute_b32 v5, v38, v8
	v_and_b32_e32 v40, 1, v6
	ds_bpermute_b32 v8, v38, v3
	v_cmp_eq_u32_e32 vcc_lo, 1, v40
	s_waitcnt lgkmcnt(1)
	v_cndmask_b32_e64 v5, v5, 1, vcc_lo
	v_cmp_eq_u16_sdwa vcc_lo, v6, v16 src0_sel:BYTE_0 src1_sel:DWORD
	s_waitcnt lgkmcnt(0)
	v_cndmask_b32_e32 v8, 0, v8, vcc_lo
	v_cmp_gt_u32_e32 vcc_lo, v39, v4
	v_cndmask_b32_e32 v4, v5, v6, vcc_lo
	v_cndmask_b32_e64 v5, v8, 0, vcc_lo
	v_cmp_eq_u16_sdwa vcc_lo, v35, v16 src0_sel:BYTE_0 src1_sel:DWORD
	v_and_b32_e32 v4, 1, v4
	v_add_nc_u32_e32 v3, v5, v3
	v_and_b32_e32 v5, 1, v35
	v_cndmask_b32_e32 v3, 0, v3, vcc_lo
	v_cmp_eq_u32_e32 vcc_lo, 1, v5
	v_add_nc_u32_e32 v3, v3, v36
	v_cndmask_b32_e64 v4, v4, 1, vcc_lo
.LBB1652_54:                            ;   in Loop: Header=BB1652_55 Depth=1
	s_and_b32 vcc_lo, exec_lo, s3
	s_cbranch_vccnz .LBB1652_60
.LBB1652_55:                            ; =>This Loop Header: Depth=1
                                        ;     Child Loop BB1652_58 Depth 2
	v_cmp_ne_u16_sdwa s3, v7, v28 src0_sel:BYTE_0 src1_sel:DWORD
	v_mov_b32_e32 v35, v4
	v_mov_b32_e32 v36, v3
                                        ; implicit-def: $vgpr4
                                        ; implicit-def: $vgpr3
                                        ; implicit-def: $vgpr7
	s_cmp_lg_u32 s3, exec_lo
	s_mov_b32 s3, -1
	s_cbranch_scc1 .LBB1652_54
; %bb.56:                               ;   in Loop: Header=BB1652_55 Depth=1
	v_lshlrev_b64 v[3:4], 4, v[15:16]
	v_add_co_u32 v3, vcc_lo, s24, v3
	v_add_co_ci_u32_e64 v4, null, s25, v4, vcc_lo
	;;#ASMSTART
	global_load_dwordx4 v[5:8], v[3:4] off glc dlc	
s_waitcnt vmcnt(0)
	;;#ASMEND
	v_and_b32_e32 v6, 0xff, v6
	v_cmp_eq_u16_sdwa s13, v7, v16 src0_sel:BYTE_0 src1_sel:DWORD
	s_and_saveexec_b32 s3, s13
	s_cbranch_execz .LBB1652_53
; %bb.57:                               ;   in Loop: Header=BB1652_55 Depth=1
	s_mov_b32 s13, 0
.LBB1652_58:                            ;   Parent Loop BB1652_55 Depth=1
                                        ; =>  This Inner Loop Header: Depth=2
	;;#ASMSTART
	global_load_dwordx4 v[5:8], v[3:4] off glc dlc	
s_waitcnt vmcnt(0)
	;;#ASMEND
	v_cmp_ne_u16_sdwa s16, v7, v16 src0_sel:BYTE_0 src1_sel:DWORD
	s_or_b32 s13, s16, s13
	s_andn2_b32 exec_lo, exec_lo, s13
	s_cbranch_execnz .LBB1652_58
	s_branch .LBB1652_52
.LBB1652_59:
                                        ; implicit-def: $vgpr7
                                        ; implicit-def: $vgpr5
                                        ; implicit-def: $vgpr6
	s_cbranch_execnz .LBB1652_65
	s_branch .LBB1652_82
.LBB1652_60:
	s_and_saveexec_b32 s3, s2
	s_cbranch_execz .LBB1652_62
; %bb.61:
	v_mov_b32_e32 v4, 0
	v_and_b32_e32 v3, 1, v2
	s_mov_b32 s5, 0
	s_add_i32 s4, s6, 32
	v_and_b32_e32 v5, 1, v35
	v_cmp_eq_u32_sdwa vcc_lo, v2, v4 src0_sel:BYTE_0 src1_sel:DWORD
	s_lshl_b64 s[4:5], s[4:5], 4
	s_add_u32 s4, s24, s4
	s_addc_u32 s5, s25, s5
	v_cndmask_b32_e32 v2, 0, v36, vcc_lo
	v_cmp_eq_u32_e32 vcc_lo, 1, v3
	v_mov_b32_e32 v3, 2
	v_add_nc_u32_e32 v1, v2, v1
	v_cndmask_b32_e64 v2, v5, 1, vcc_lo
	v_mov_b32_e32 v6, s5
	v_mov_b32_e32 v5, s4
	;;#ASMSTART
	global_store_dwordx4 v[5:6], v[1:4] off	
s_waitcnt vmcnt(0)
	;;#ASMEND
.LBB1652_62:
	s_or_b32 exec_lo, exec_lo, s3
	v_cmp_eq_u32_e32 vcc_lo, 0, v0
	s_and_b32 exec_lo, exec_lo, vcc_lo
	s_cbranch_execz .LBB1652_64
; %bb.63:
	v_mov_b32_e32 v1, 0
	ds_write_b32 v1, v36 offset:56
	ds_write_b8 v1, v35 offset:60
.LBB1652_64:
	s_or_b32 exec_lo, exec_lo, s12
	s_waitcnt lgkmcnt(0)
	v_cndmask_b32_e64 v2, v27, v25, s2
	v_and_b32_e32 v4, 1, v10
	v_mov_b32_e32 v1, 0
	v_cndmask_b32_e64 v5, v26, v24, s2
	s_mov_b32 s2, 0
	v_and_b32_e32 v2, 1, v2
	v_cmp_eq_u32_e32 vcc_lo, 1, v4
	s_mov_b32 s3, 1
	s_barrier
	buffer_gl0_inv
	v_cndmask_b32_e64 v2, v2, 1, vcc_lo
	v_cmp_gt_u64_e32 vcc_lo, s[2:3], v[9:10]
	ds_read_b32 v3, v1 offset:56
	v_cndmask_b32_e32 v4, 0, v5, vcc_lo
	v_cmp_eq_u32_e32 vcc_lo, 0, v0
	v_cndmask_b32_e32 v2, v2, v10, vcc_lo
	v_cndmask_b32_e64 v4, v4, 0, vcc_lo
	v_cmp_eq_u16_sdwa vcc_lo, v2, v1 src0_sel:BYTE_0 src1_sel:DWORD
	s_waitcnt lgkmcnt(0)
	v_cndmask_b32_e32 v1, 0, v3, vcc_lo
	v_add3_u32 v7, v4, v9, v1
	v_cndmask_b32_e64 v1, 0, v7, s0
	v_add_nc_u32_e32 v5, v1, v11
	v_cndmask_b32_e64 v1, 0, v5, s1
	v_add_nc_u32_e32 v6, v1, v13
	s_branch .LBB1652_82
.LBB1652_65:
	s_cmp_lg_u64 s[28:29], 0
	v_cmp_eq_u32_e32 vcc_lo, 0, v0
	s_cselect_b32 s1, -1, 0
	s_cmp_lg_u64 s[18:19], 0
	v_cmp_ne_u32_e64 s0, 0, v0
	s_cselect_b32 s2, -1, 0
	s_mov_b32 s4, 0
	s_and_b32 s1, s1, s2
	s_and_b32 s1, vcc_lo, s1
	s_and_saveexec_b32 s2, s1
	s_cbranch_execz .LBB1652_67
; %bb.66:
	v_mov_b32_e32 v1, 0
	s_mov_b32 s5, 1
	s_clause 0x1
	global_load_dword v2, v1, s[18:19]
	global_load_ubyte v3, v1, s[18:19] offset:4
	v_cmp_gt_u64_e64 s1, s[4:5], v[9:10]
	s_waitcnt vmcnt(1)
	v_cndmask_b32_e64 v4, 0, v2, s1
	v_and_b32_e32 v2, 1, v10
	s_waitcnt vmcnt(0)
	v_and_b32_e32 v3, 1, v3
	v_add_nc_u32_e32 v9, v4, v9
	v_cmp_eq_u64_e64 s1, 0, v[1:2]
	v_cndmask_b32_e64 v10, 1, v3, s1
.LBB1652_67:
	s_or_b32 exec_lo, exec_lo, s2
	v_and_b32_e32 v2, 0xff, v23
	v_mov_b32_e32 v1, 0
	s_mov_b32 s5, 1
	v_and_b32_e32 v7, 15, v20
	v_cmp_eq_u64_e64 s1, 0, v[1:2]
	v_cmp_eq_u32_e64 s3, 0, v7
	v_cndmask_b32_e64 v2, 1, v10, s1
	v_cmp_gt_u64_e64 s1, s[4:5], v[11:12]
	v_and_b32_e32 v3, 0xff, v2
	v_and_b32_e32 v6, 1, v2
	v_cndmask_b32_e64 v5, 0, v9, s1
	v_mov_b32_dpp v4, v3 row_shr:1 row_mask:0xf bank_mask:0xf
	v_cmp_eq_u32_e64 s2, 1, v6
	v_add_nc_u32_e32 v5, v5, v11
	v_and_b32_e32 v4, 1, v4
	v_cndmask_b32_e64 v4, v4, 1, s2
	v_cmp_gt_u64_e64 s2, s[4:5], v[13:14]
	v_cmp_eq_u16_e64 s4, 0, v3
	v_cndmask_b32_e64 v8, v4, v3, s3
	v_cndmask_b32_e64 v2, v4, v2, s3
	;; [unrolled: 1-line block ×3, first 2 shown]
	v_mov_b32_dpp v4, v8 row_shr:2 row_mask:0xf bank_mask:0xf
	v_and_b32_e32 v14, 1, v2
	v_add_nc_u32_e32 v6, v6, v13
	v_and_b32_e32 v4, 1, v4
	v_mov_b32_dpp v12, v6 row_shr:1 row_mask:0xf bank_mask:0xf
	v_cndmask_b32_e64 v3, 0, v12, s4
	v_cmp_eq_u32_e64 s4, 1, v14
	v_cndmask_b32_e64 v3, v3, 0, s3
	v_cndmask_b32_e64 v4, v4, 1, s4
	v_cmp_lt_u32_e64 s4, 1, v7
	v_cmp_eq_u16_sdwa s3, v2, v1 src0_sel:BYTE_0 src1_sel:DWORD
	v_add_nc_u32_e32 v3, v3, v6
	v_cndmask_b32_e64 v12, v2, v4, s4
	v_cndmask_b32_e64 v4, v8, v4, s4
	s_and_b32 s3, s4, s3
	v_mov_b32_dpp v2, v3 row_shr:2 row_mask:0xf bank_mask:0xf
	v_and_b32_e32 v14, 1, v12
	v_mov_b32_dpp v8, v4 row_shr:4 row_mask:0xf bank_mask:0xf
	v_cmp_eq_u16_sdwa s4, v12, v1 src0_sel:BYTE_0 src1_sel:DWORD
	v_cndmask_b32_e64 v2, 0, v2, s3
	v_cmp_eq_u32_e64 s3, 1, v14
	v_and_b32_e32 v8, 1, v8
	v_add_nc_u32_e32 v2, v2, v3
	v_cndmask_b32_e64 v8, v8, 1, s3
	v_cmp_lt_u32_e64 s3, 3, v7
	v_cndmask_b32_e64 v3, v12, v8, s3
	v_cndmask_b32_e64 v4, v4, v8, s3
	v_mov_b32_dpp v8, v2 row_shr:4 row_mask:0xf bank_mask:0xf
	s_and_b32 s3, s3, s4
	v_and_b32_e32 v14, 1, v3
	v_mov_b32_dpp v12, v4 row_shr:8 row_mask:0xf bank_mask:0xf
	v_cndmask_b32_e64 v8, 0, v8, s3
	v_cmp_eq_u16_sdwa s4, v3, v1 src0_sel:BYTE_0 src1_sel:DWORD
	v_cmp_eq_u32_e64 s3, 1, v14
	v_and_b32_e32 v12, 1, v12
	v_add_nc_u32_e32 v2, v8, v2
	v_cndmask_b32_e64 v8, v12, 1, s3
	v_cmp_lt_u32_e64 s3, 7, v7
	v_mov_b32_dpp v7, v2 row_shr:8 row_mask:0xf bank_mask:0xf
	v_bfe_i32 v12, v20, 4, 1
	s_and_b32 s4, s3, s4
	v_cndmask_b32_e64 v4, v4, v8, s3
	v_cndmask_b32_e64 v7, 0, v7, s4
	;; [unrolled: 1-line block ×3, first 2 shown]
	s_mov_b32 s4, exec_lo
	v_add_nc_u32_e32 v2, v7, v2
	ds_swizzle_b32 v7, v4 offset:swizzle(BROADCAST,32,15)
	v_and_b32_e32 v14, 1, v3
	v_cmp_eq_u16_sdwa s3, v3, v1 src0_sel:BYTE_0 src1_sel:DWORD
	v_and_b32_e32 v3, 16, v20
	ds_swizzle_b32 v8, v2 offset:swizzle(BROADCAST,32,15)
	s_waitcnt lgkmcnt(1)
	v_and_b32_e32 v7, 1, v7
	s_waitcnt lgkmcnt(0)
	v_cndmask_b32_e64 v1, 0, v8, s3
	v_cmp_eq_u32_e64 s3, 1, v14
	v_and_b32_e32 v1, v12, v1
	v_cndmask_b32_e64 v7, v7, 1, s3
	v_cmp_eq_u32_e64 s3, 0, v3
	v_add_nc_u32_e32 v3, v1, v2
	v_cndmask_b32_e64 v4, v7, v4, s3
	v_cmpx_eq_u32_e64 v0, v22
	s_cbranch_execz .LBB1652_69
; %bb.68:
	v_lshlrev_b32_e32 v1, 3, v21
	ds_write_b32 v1, v3
	ds_write_b8 v1, v4 offset:4
.LBB1652_69:
	s_or_b32 exec_lo, exec_lo, s4
	s_mov_b32 s4, exec_lo
	s_waitcnt lgkmcnt(0)
	s_barrier
	buffer_gl0_inv
	v_cmpx_gt_u32_e32 8, v0
	s_cbranch_execz .LBB1652_75
; %bb.70:
	ds_read_b64 v[1:2], v19
	v_and_b32_e32 v7, 7, v20
	s_mov_b32 s5, exec_lo
	s_waitcnt lgkmcnt(0)
	v_and_b32_e32 v8, 0xffffff00, v2
	v_mov_b32_dpp v14, v1 row_shr:1 row_mask:0xf bank_mask:0xf
	v_mov_b32_dpp v15, v2 row_shr:1 row_mask:0xf bank_mask:0xf
	v_mov_b32_e32 v12, v2
	v_cmpx_ne_u32_e32 0, v7
	s_cbranch_execz .LBB1652_72
; %bb.71:
	v_mov_b32_e32 v12, 0
	v_and_b32_e32 v16, 1, v2
	v_and_b32_e32 v15, 1, v15
	v_cmp_eq_u16_sdwa s3, v2, v12 src0_sel:BYTE_0 src1_sel:DWORD
	v_cndmask_b32_e64 v2, 0, v14, s3
	v_cmp_eq_u32_e64 s3, 1, v16
	v_add_nc_u32_e32 v1, v2, v1
	v_cndmask_b32_e64 v14, v15, 1, s3
	v_or_b32_sdwa v12, v8, v14 dst_sel:DWORD dst_unused:UNUSED_PAD src0_sel:DWORD src1_sel:WORD_0
	v_mov_b32_e32 v2, v14
.LBB1652_72:
	s_or_b32 exec_lo, exec_lo, s5
	v_mov_b32_dpp v14, v1 row_shr:2 row_mask:0xf bank_mask:0xf
	v_mov_b32_dpp v15, v12 row_shr:2 row_mask:0xf bank_mask:0xf
	s_mov_b32 s5, exec_lo
	v_cmpx_lt_u32_e32 1, v7
	s_cbranch_execz .LBB1652_74
; %bb.73:
	v_mov_b32_e32 v12, 0
	v_and_b32_e32 v16, 1, v2
	v_and_b32_e32 v15, 1, v15
	v_cmp_eq_u16_sdwa s3, v2, v12 src0_sel:BYTE_0 src1_sel:DWORD
	v_cndmask_b32_e64 v2, 0, v14, s3
	v_cmp_eq_u32_e64 s3, 1, v16
	v_add_nc_u32_e32 v1, v2, v1
	v_cndmask_b32_e64 v14, v15, 1, s3
	v_or_b32_sdwa v12, v8, v14 dst_sel:DWORD dst_unused:UNUSED_PAD src0_sel:DWORD src1_sel:WORD_0
	v_mov_b32_e32 v2, v14
.LBB1652_74:
	s_or_b32 exec_lo, exec_lo, s5
	v_mov_b32_dpp v8, v12 row_shr:4 row_mask:0xf bank_mask:0xf
	v_and_b32_e32 v14, 1, v2
	v_mov_b32_e32 v12, 0
	v_and_b32_e32 v8, 1, v8
	v_cmp_eq_u32_e64 s3, 1, v14
	v_cmp_eq_u16_sdwa s5, v2, v12 src0_sel:BYTE_0 src1_sel:DWORD
	v_cndmask_b32_e64 v8, v8, 1, s3
	v_cmp_lt_u32_e64 s3, 3, v7
	v_mov_b32_dpp v7, v1 row_shr:4 row_mask:0xf bank_mask:0xf
	v_cndmask_b32_e64 v2, v2, v8, s3
	s_and_b32 s3, s3, s5
	v_cndmask_b32_e64 v7, 0, v7, s3
	v_add_nc_u32_e32 v1, v7, v1
	ds_write_b32 v19, v1
	ds_write_b8 v19, v2 offset:4
.LBB1652_75:
	s_or_b32 exec_lo, exec_lo, s4
	v_mov_b32_e32 v1, 0
	s_mov_b32 s4, exec_lo
	s_waitcnt lgkmcnt(0)
	s_barrier
	buffer_gl0_inv
	v_cmpx_lt_u32_e32 31, v0
	s_cbranch_execz .LBB1652_77
; %bb.76:
	v_lshl_add_u32 v1, v21, 3, -8
	v_cmp_eq_u32_e64 s3, 0, v4
	ds_read_b32 v1, v1
	s_waitcnt lgkmcnt(0)
	v_cndmask_b32_e64 v2, 0, v1, s3
	v_add_nc_u32_e32 v3, v2, v3
.LBB1652_77:
	s_or_b32 exec_lo, exec_lo, s4
	v_add_nc_u32_e32 v2, -1, v20
	s_mov_b32 s4, 0
	v_cmp_gt_i32_e64 s3, 0, v2
	v_cndmask_b32_e64 v2, v2, v20, s3
	v_lshlrev_b32_e32 v2, 2, v2
	ds_bpermute_b32 v2, v2, v3
	s_and_saveexec_b32 s3, s0
	s_cbranch_execz .LBB1652_79
; %bb.78:
	v_cmp_eq_u32_e64 s0, 0, v20
	s_mov_b32 s5, 1
	;;#ASMSTART
	;;#ASMEND
	s_waitcnt lgkmcnt(0)
	v_cndmask_b32_e64 v1, v2, v1, s0
	v_cmp_gt_u64_e64 s0, s[4:5], v[9:10]
	v_cndmask_b32_e64 v1, 0, v1, s0
	v_add_nc_u32_e32 v9, v1, v9
	v_cndmask_b32_e64 v1, 0, v9, s1
	v_add_nc_u32_e32 v5, v1, v11
	v_cndmask_b32_e64 v1, 0, v5, s2
	v_add_nc_u32_e32 v6, v1, v13
.LBB1652_79:
	s_or_b32 exec_lo, exec_lo, s3
	s_and_saveexec_b32 s0, vcc_lo
	s_cbranch_execz .LBB1652_81
; %bb.80:
	v_mov_b32_e32 v4, 0
	s_add_u32 s2, s24, 0x200
	s_addc_u32 s3, s25, 0
	v_mov_b32_e32 v3, 2
	v_mov_b32_e32 v8, s3
	ds_read_b32 v1, v4 offset:56
	s_waitcnt lgkmcnt(1)
	ds_read_u8 v2, v4 offset:60
	v_mov_b32_e32 v7, s2
	s_waitcnt lgkmcnt(0)
	;;#ASMSTART
	global_store_dwordx4 v[7:8], v[1:4] off	
s_waitcnt vmcnt(0)
	;;#ASMEND
.LBB1652_81:
	s_or_b32 exec_lo, exec_lo, s0
	v_mov_b32_e32 v7, v9
.LBB1652_82:
	s_add_u32 s0, s14, s10
	v_mov_b32_e32 v3, 0
	s_addc_u32 s1, s15, s11
	s_add_u32 s0, s0, s8
	s_addc_u32 s1, s1, s9
	s_and_b32 vcc_lo, exec_lo, s7
	s_cbranch_vccz .LBB1652_94
; %bb.83:
	v_mul_u32_u24_e32 v1, 3, v0
	v_mov_b32_e32 v4, 0
	s_waitcnt lgkmcnt(0)
	v_mov_b32_e32 v2, 0
	s_add_i32 s20, s20, s26
	s_mov_b32 s2, exec_lo
	v_cmpx_gt_u32_e64 s20, v1
	s_cbranch_execz .LBB1652_89
; %bb.84:
	v_add_nc_u32_e32 v3, 1, v1
	v_mov_b32_e32 v2, 0
	v_mov_b32_e32 v4, 0
	s_mov_b32 s3, exec_lo
	v_cmpx_gt_u32_e64 s20, v3
	s_cbranch_execz .LBB1652_88
; %bb.85:
	v_add_nc_u32_e32 v2, 2, v1
	v_cmp_gt_u32_e32 vcc_lo, s20, v2
	v_mov_b32_e32 v2, 0
	s_and_saveexec_b32 s4, vcc_lo
; %bb.86:
	v_mov_b32_e32 v2, v6
; %bb.87:
	s_or_b32 exec_lo, exec_lo, s4
	v_mov_b32_e32 v4, v5
.LBB1652_88:
	s_or_b32 exec_lo, exec_lo, s3
	v_mov_b32_e32 v3, v7
.LBB1652_89:
	s_or_b32 exec_lo, exec_lo, s2
	v_lshlrev_b32_e32 v8, 2, v1
	s_barrier
	buffer_gl0_inv
	v_sub_nc_u32_e32 v1, v8, v19
	ds_write2_b32 v8, v3, v4 offset1:1
	ds_write_b32 v8, v2 offset:8
	s_waitcnt lgkmcnt(0)
	s_barrier
	buffer_gl0_inv
	ds_read2st64_b32 v[1:2], v1 offset0:4 offset1:8
	v_add_co_u32 v3, s2, s0, v18
	v_add_co_ci_u32_e64 v4, null, s1, 0, s2
	s_mov_b32 s2, exec_lo
	v_cmpx_gt_u32_e64 s20, v0
	s_cbranch_execz .LBB1652_91
; %bb.90:
	v_sub_nc_u32_e32 v9, 0, v19
	v_add_nc_u32_e32 v8, v8, v9
	ds_read_b32 v8, v8
	s_waitcnt lgkmcnt(0)
	v_cvt_f32_u32_e32 v8, v8
	flat_store_dword v[3:4], v8
.LBB1652_91:
	s_or_b32 exec_lo, exec_lo, s2
	v_or_b32_e32 v8, 0x100, v0
	s_mov_b32 s2, exec_lo
	v_cmpx_gt_u32_e64 s20, v8
	s_cbranch_execz .LBB1652_93
; %bb.92:
	s_waitcnt lgkmcnt(0)
	v_cvt_f32_u32_e32 v1, v1
	flat_store_dword v[3:4], v1 offset:1024
.LBB1652_93:
	s_or_b32 exec_lo, exec_lo, s2
	s_waitcnt lgkmcnt(0)
	v_or_b32_e32 v1, 0x200, v0
	v_cmp_gt_u32_e64 s2, s20, v1
	s_branch .LBB1652_96
.LBB1652_94:
	s_mov_b32 s2, 0
                                        ; implicit-def: $vgpr2
	s_cbranch_execz .LBB1652_96
; %bb.95:
	v_mul_u32_u24_e32 v1, 12, v0
	s_waitcnt lgkmcnt(0)
	s_waitcnt_vscnt null, 0x0
	s_barrier
	buffer_gl0_inv
	s_or_b32 s2, s2, exec_lo
	v_sub_nc_u32_e32 v2, v1, v19
	ds_write2_b32 v1, v7, v5 offset1:1
	ds_write_b32 v1, v6 offset:8
	s_waitcnt lgkmcnt(0)
	s_barrier
	buffer_gl0_inv
	ds_read2st64_b32 v[3:4], v2 offset1:4
	ds_read_b32 v2, v2 offset:2048
	v_add_co_u32 v5, s3, s0, v18
	v_add_co_ci_u32_e64 v6, null, s1, 0, s3
	s_waitcnt lgkmcnt(1)
	v_cvt_f32_u32_e32 v1, v3
	v_cvt_f32_u32_e32 v3, v4
	flat_store_dword v[5:6], v1
	flat_store_dword v[5:6], v3 offset:1024
.LBB1652_96:
	s_and_saveexec_b32 s3, s2
	s_cbranch_execnz .LBB1652_98
; %bb.97:
	s_endpgm
.LBB1652_98:
	v_lshlrev_b32_e32 v0, 2, v0
	s_waitcnt lgkmcnt(0)
	v_cvt_f32_u32_e32 v2, v2
	v_add_co_u32 v0, s0, s0, v0
	v_add_co_ci_u32_e64 v1, null, s1, 0, s0
	v_add_co_u32 v0, vcc_lo, 0x800, v0
	v_add_co_ci_u32_e64 v1, null, 0, v1, vcc_lo
	flat_store_dword v[0:1], v2
	s_endpgm
.LBB1652_99:
	v_add_co_u32 v2, s0, s3, v9
	v_add_co_ci_u32_e64 v3, null, s21, 0, s0
	v_mov_b32_e32 v11, v1
	v_mov_b32_e32 v12, v1
	flat_load_dword v10, v[2:3]
	s_waitcnt vmcnt(0) lgkmcnt(0)
	v_mov_b32_e32 v1, v10
	v_mov_b32_e32 v2, v11
	;; [unrolled: 1-line block ×3, first 2 shown]
	s_or_b32 exec_lo, exec_lo, s16
	s_and_saveexec_b32 s0, s1
	s_cbranch_execz .LBB1652_15
.LBB1652_100:
	v_add_co_u32 v10, s1, s3, v9
	v_add_co_ci_u32_e64 v11, null, s21, 0, s1
	flat_load_dword v2, v[10:11] offset:1024
	s_or_b32 exec_lo, exec_lo, s0
	s_and_saveexec_b32 s0, s2
	s_cbranch_execnz .LBB1652_16
	s_branch .LBB1652_17
.LBB1652_101:
                                        ; implicit-def: $sgpr16_sgpr17
	s_branch .LBB1652_10
.LBB1652_102:
                                        ; implicit-def: $sgpr0_sgpr1
	s_branch .LBB1652_26
	.section	.rodata,"a",@progbits
	.p2align	6, 0x0
	.amdhsa_kernel _ZN7rocprim17ROCPRIM_400000_NS6detail17trampoline_kernelINS0_14default_configENS1_27scan_by_key_config_selectorIijEEZZNS1_16scan_by_key_implILNS1_25lookback_scan_determinismE0ELb0ES3_N6thrust23THRUST_200600_302600_NS6detail15normal_iteratorINS9_10device_ptrIiEEEENSB_INSC_IjEEEENSB_INSC_IfEEEEjNS9_4plusIvEENS9_8equal_toIvEEjEE10hipError_tPvRmT2_T3_T4_T5_mT6_T7_P12ihipStream_tbENKUlT_T0_E_clISt17integral_constantIbLb0EES13_EEDaSY_SZ_EUlSY_E_NS1_11comp_targetILNS1_3genE8ELNS1_11target_archE1030ELNS1_3gpuE2ELNS1_3repE0EEENS1_30default_config_static_selectorELNS0_4arch9wavefront6targetE0EEEvT1_
		.amdhsa_group_segment_fixed_size 5120
		.amdhsa_private_segment_fixed_size 0
		.amdhsa_kernarg_size 112
		.amdhsa_user_sgpr_count 6
		.amdhsa_user_sgpr_private_segment_buffer 1
		.amdhsa_user_sgpr_dispatch_ptr 0
		.amdhsa_user_sgpr_queue_ptr 0
		.amdhsa_user_sgpr_kernarg_segment_ptr 1
		.amdhsa_user_sgpr_dispatch_id 0
		.amdhsa_user_sgpr_flat_scratch_init 0
		.amdhsa_user_sgpr_private_segment_size 0
		.amdhsa_wavefront_size32 1
		.amdhsa_uses_dynamic_stack 0
		.amdhsa_system_sgpr_private_segment_wavefront_offset 0
		.amdhsa_system_sgpr_workgroup_id_x 1
		.amdhsa_system_sgpr_workgroup_id_y 0
		.amdhsa_system_sgpr_workgroup_id_z 0
		.amdhsa_system_sgpr_workgroup_info 0
		.amdhsa_system_vgpr_workitem_id 0
		.amdhsa_next_free_vgpr 42
		.amdhsa_next_free_sgpr 31
		.amdhsa_reserve_vcc 1
		.amdhsa_reserve_flat_scratch 1
		.amdhsa_float_round_mode_32 0
		.amdhsa_float_round_mode_16_64 0
		.amdhsa_float_denorm_mode_32 3
		.amdhsa_float_denorm_mode_16_64 3
		.amdhsa_dx10_clamp 1
		.amdhsa_ieee_mode 1
		.amdhsa_fp16_overflow 0
		.amdhsa_workgroup_processor_mode 1
		.amdhsa_memory_ordered 1
		.amdhsa_forward_progress 1
		.amdhsa_shared_vgpr_count 0
		.amdhsa_exception_fp_ieee_invalid_op 0
		.amdhsa_exception_fp_denorm_src 0
		.amdhsa_exception_fp_ieee_div_zero 0
		.amdhsa_exception_fp_ieee_overflow 0
		.amdhsa_exception_fp_ieee_underflow 0
		.amdhsa_exception_fp_ieee_inexact 0
		.amdhsa_exception_int_div_zero 0
	.end_amdhsa_kernel
	.section	.text._ZN7rocprim17ROCPRIM_400000_NS6detail17trampoline_kernelINS0_14default_configENS1_27scan_by_key_config_selectorIijEEZZNS1_16scan_by_key_implILNS1_25lookback_scan_determinismE0ELb0ES3_N6thrust23THRUST_200600_302600_NS6detail15normal_iteratorINS9_10device_ptrIiEEEENSB_INSC_IjEEEENSB_INSC_IfEEEEjNS9_4plusIvEENS9_8equal_toIvEEjEE10hipError_tPvRmT2_T3_T4_T5_mT6_T7_P12ihipStream_tbENKUlT_T0_E_clISt17integral_constantIbLb0EES13_EEDaSY_SZ_EUlSY_E_NS1_11comp_targetILNS1_3genE8ELNS1_11target_archE1030ELNS1_3gpuE2ELNS1_3repE0EEENS1_30default_config_static_selectorELNS0_4arch9wavefront6targetE0EEEvT1_,"axG",@progbits,_ZN7rocprim17ROCPRIM_400000_NS6detail17trampoline_kernelINS0_14default_configENS1_27scan_by_key_config_selectorIijEEZZNS1_16scan_by_key_implILNS1_25lookback_scan_determinismE0ELb0ES3_N6thrust23THRUST_200600_302600_NS6detail15normal_iteratorINS9_10device_ptrIiEEEENSB_INSC_IjEEEENSB_INSC_IfEEEEjNS9_4plusIvEENS9_8equal_toIvEEjEE10hipError_tPvRmT2_T3_T4_T5_mT6_T7_P12ihipStream_tbENKUlT_T0_E_clISt17integral_constantIbLb0EES13_EEDaSY_SZ_EUlSY_E_NS1_11comp_targetILNS1_3genE8ELNS1_11target_archE1030ELNS1_3gpuE2ELNS1_3repE0EEENS1_30default_config_static_selectorELNS0_4arch9wavefront6targetE0EEEvT1_,comdat
.Lfunc_end1652:
	.size	_ZN7rocprim17ROCPRIM_400000_NS6detail17trampoline_kernelINS0_14default_configENS1_27scan_by_key_config_selectorIijEEZZNS1_16scan_by_key_implILNS1_25lookback_scan_determinismE0ELb0ES3_N6thrust23THRUST_200600_302600_NS6detail15normal_iteratorINS9_10device_ptrIiEEEENSB_INSC_IjEEEENSB_INSC_IfEEEEjNS9_4plusIvEENS9_8equal_toIvEEjEE10hipError_tPvRmT2_T3_T4_T5_mT6_T7_P12ihipStream_tbENKUlT_T0_E_clISt17integral_constantIbLb0EES13_EEDaSY_SZ_EUlSY_E_NS1_11comp_targetILNS1_3genE8ELNS1_11target_archE1030ELNS1_3gpuE2ELNS1_3repE0EEENS1_30default_config_static_selectorELNS0_4arch9wavefront6targetE0EEEvT1_, .Lfunc_end1652-_ZN7rocprim17ROCPRIM_400000_NS6detail17trampoline_kernelINS0_14default_configENS1_27scan_by_key_config_selectorIijEEZZNS1_16scan_by_key_implILNS1_25lookback_scan_determinismE0ELb0ES3_N6thrust23THRUST_200600_302600_NS6detail15normal_iteratorINS9_10device_ptrIiEEEENSB_INSC_IjEEEENSB_INSC_IfEEEEjNS9_4plusIvEENS9_8equal_toIvEEjEE10hipError_tPvRmT2_T3_T4_T5_mT6_T7_P12ihipStream_tbENKUlT_T0_E_clISt17integral_constantIbLb0EES13_EEDaSY_SZ_EUlSY_E_NS1_11comp_targetILNS1_3genE8ELNS1_11target_archE1030ELNS1_3gpuE2ELNS1_3repE0EEENS1_30default_config_static_selectorELNS0_4arch9wavefront6targetE0EEEvT1_
                                        ; -- End function
	.set _ZN7rocprim17ROCPRIM_400000_NS6detail17trampoline_kernelINS0_14default_configENS1_27scan_by_key_config_selectorIijEEZZNS1_16scan_by_key_implILNS1_25lookback_scan_determinismE0ELb0ES3_N6thrust23THRUST_200600_302600_NS6detail15normal_iteratorINS9_10device_ptrIiEEEENSB_INSC_IjEEEENSB_INSC_IfEEEEjNS9_4plusIvEENS9_8equal_toIvEEjEE10hipError_tPvRmT2_T3_T4_T5_mT6_T7_P12ihipStream_tbENKUlT_T0_E_clISt17integral_constantIbLb0EES13_EEDaSY_SZ_EUlSY_E_NS1_11comp_targetILNS1_3genE8ELNS1_11target_archE1030ELNS1_3gpuE2ELNS1_3repE0EEENS1_30default_config_static_selectorELNS0_4arch9wavefront6targetE0EEEvT1_.num_vgpr, 42
	.set _ZN7rocprim17ROCPRIM_400000_NS6detail17trampoline_kernelINS0_14default_configENS1_27scan_by_key_config_selectorIijEEZZNS1_16scan_by_key_implILNS1_25lookback_scan_determinismE0ELb0ES3_N6thrust23THRUST_200600_302600_NS6detail15normal_iteratorINS9_10device_ptrIiEEEENSB_INSC_IjEEEENSB_INSC_IfEEEEjNS9_4plusIvEENS9_8equal_toIvEEjEE10hipError_tPvRmT2_T3_T4_T5_mT6_T7_P12ihipStream_tbENKUlT_T0_E_clISt17integral_constantIbLb0EES13_EEDaSY_SZ_EUlSY_E_NS1_11comp_targetILNS1_3genE8ELNS1_11target_archE1030ELNS1_3gpuE2ELNS1_3repE0EEENS1_30default_config_static_selectorELNS0_4arch9wavefront6targetE0EEEvT1_.num_agpr, 0
	.set _ZN7rocprim17ROCPRIM_400000_NS6detail17trampoline_kernelINS0_14default_configENS1_27scan_by_key_config_selectorIijEEZZNS1_16scan_by_key_implILNS1_25lookback_scan_determinismE0ELb0ES3_N6thrust23THRUST_200600_302600_NS6detail15normal_iteratorINS9_10device_ptrIiEEEENSB_INSC_IjEEEENSB_INSC_IfEEEEjNS9_4plusIvEENS9_8equal_toIvEEjEE10hipError_tPvRmT2_T3_T4_T5_mT6_T7_P12ihipStream_tbENKUlT_T0_E_clISt17integral_constantIbLb0EES13_EEDaSY_SZ_EUlSY_E_NS1_11comp_targetILNS1_3genE8ELNS1_11target_archE1030ELNS1_3gpuE2ELNS1_3repE0EEENS1_30default_config_static_selectorELNS0_4arch9wavefront6targetE0EEEvT1_.numbered_sgpr, 31
	.set _ZN7rocprim17ROCPRIM_400000_NS6detail17trampoline_kernelINS0_14default_configENS1_27scan_by_key_config_selectorIijEEZZNS1_16scan_by_key_implILNS1_25lookback_scan_determinismE0ELb0ES3_N6thrust23THRUST_200600_302600_NS6detail15normal_iteratorINS9_10device_ptrIiEEEENSB_INSC_IjEEEENSB_INSC_IfEEEEjNS9_4plusIvEENS9_8equal_toIvEEjEE10hipError_tPvRmT2_T3_T4_T5_mT6_T7_P12ihipStream_tbENKUlT_T0_E_clISt17integral_constantIbLb0EES13_EEDaSY_SZ_EUlSY_E_NS1_11comp_targetILNS1_3genE8ELNS1_11target_archE1030ELNS1_3gpuE2ELNS1_3repE0EEENS1_30default_config_static_selectorELNS0_4arch9wavefront6targetE0EEEvT1_.num_named_barrier, 0
	.set _ZN7rocprim17ROCPRIM_400000_NS6detail17trampoline_kernelINS0_14default_configENS1_27scan_by_key_config_selectorIijEEZZNS1_16scan_by_key_implILNS1_25lookback_scan_determinismE0ELb0ES3_N6thrust23THRUST_200600_302600_NS6detail15normal_iteratorINS9_10device_ptrIiEEEENSB_INSC_IjEEEENSB_INSC_IfEEEEjNS9_4plusIvEENS9_8equal_toIvEEjEE10hipError_tPvRmT2_T3_T4_T5_mT6_T7_P12ihipStream_tbENKUlT_T0_E_clISt17integral_constantIbLb0EES13_EEDaSY_SZ_EUlSY_E_NS1_11comp_targetILNS1_3genE8ELNS1_11target_archE1030ELNS1_3gpuE2ELNS1_3repE0EEENS1_30default_config_static_selectorELNS0_4arch9wavefront6targetE0EEEvT1_.private_seg_size, 0
	.set _ZN7rocprim17ROCPRIM_400000_NS6detail17trampoline_kernelINS0_14default_configENS1_27scan_by_key_config_selectorIijEEZZNS1_16scan_by_key_implILNS1_25lookback_scan_determinismE0ELb0ES3_N6thrust23THRUST_200600_302600_NS6detail15normal_iteratorINS9_10device_ptrIiEEEENSB_INSC_IjEEEENSB_INSC_IfEEEEjNS9_4plusIvEENS9_8equal_toIvEEjEE10hipError_tPvRmT2_T3_T4_T5_mT6_T7_P12ihipStream_tbENKUlT_T0_E_clISt17integral_constantIbLb0EES13_EEDaSY_SZ_EUlSY_E_NS1_11comp_targetILNS1_3genE8ELNS1_11target_archE1030ELNS1_3gpuE2ELNS1_3repE0EEENS1_30default_config_static_selectorELNS0_4arch9wavefront6targetE0EEEvT1_.uses_vcc, 1
	.set _ZN7rocprim17ROCPRIM_400000_NS6detail17trampoline_kernelINS0_14default_configENS1_27scan_by_key_config_selectorIijEEZZNS1_16scan_by_key_implILNS1_25lookback_scan_determinismE0ELb0ES3_N6thrust23THRUST_200600_302600_NS6detail15normal_iteratorINS9_10device_ptrIiEEEENSB_INSC_IjEEEENSB_INSC_IfEEEEjNS9_4plusIvEENS9_8equal_toIvEEjEE10hipError_tPvRmT2_T3_T4_T5_mT6_T7_P12ihipStream_tbENKUlT_T0_E_clISt17integral_constantIbLb0EES13_EEDaSY_SZ_EUlSY_E_NS1_11comp_targetILNS1_3genE8ELNS1_11target_archE1030ELNS1_3gpuE2ELNS1_3repE0EEENS1_30default_config_static_selectorELNS0_4arch9wavefront6targetE0EEEvT1_.uses_flat_scratch, 1
	.set _ZN7rocprim17ROCPRIM_400000_NS6detail17trampoline_kernelINS0_14default_configENS1_27scan_by_key_config_selectorIijEEZZNS1_16scan_by_key_implILNS1_25lookback_scan_determinismE0ELb0ES3_N6thrust23THRUST_200600_302600_NS6detail15normal_iteratorINS9_10device_ptrIiEEEENSB_INSC_IjEEEENSB_INSC_IfEEEEjNS9_4plusIvEENS9_8equal_toIvEEjEE10hipError_tPvRmT2_T3_T4_T5_mT6_T7_P12ihipStream_tbENKUlT_T0_E_clISt17integral_constantIbLb0EES13_EEDaSY_SZ_EUlSY_E_NS1_11comp_targetILNS1_3genE8ELNS1_11target_archE1030ELNS1_3gpuE2ELNS1_3repE0EEENS1_30default_config_static_selectorELNS0_4arch9wavefront6targetE0EEEvT1_.has_dyn_sized_stack, 0
	.set _ZN7rocprim17ROCPRIM_400000_NS6detail17trampoline_kernelINS0_14default_configENS1_27scan_by_key_config_selectorIijEEZZNS1_16scan_by_key_implILNS1_25lookback_scan_determinismE0ELb0ES3_N6thrust23THRUST_200600_302600_NS6detail15normal_iteratorINS9_10device_ptrIiEEEENSB_INSC_IjEEEENSB_INSC_IfEEEEjNS9_4plusIvEENS9_8equal_toIvEEjEE10hipError_tPvRmT2_T3_T4_T5_mT6_T7_P12ihipStream_tbENKUlT_T0_E_clISt17integral_constantIbLb0EES13_EEDaSY_SZ_EUlSY_E_NS1_11comp_targetILNS1_3genE8ELNS1_11target_archE1030ELNS1_3gpuE2ELNS1_3repE0EEENS1_30default_config_static_selectorELNS0_4arch9wavefront6targetE0EEEvT1_.has_recursion, 0
	.set _ZN7rocprim17ROCPRIM_400000_NS6detail17trampoline_kernelINS0_14default_configENS1_27scan_by_key_config_selectorIijEEZZNS1_16scan_by_key_implILNS1_25lookback_scan_determinismE0ELb0ES3_N6thrust23THRUST_200600_302600_NS6detail15normal_iteratorINS9_10device_ptrIiEEEENSB_INSC_IjEEEENSB_INSC_IfEEEEjNS9_4plusIvEENS9_8equal_toIvEEjEE10hipError_tPvRmT2_T3_T4_T5_mT6_T7_P12ihipStream_tbENKUlT_T0_E_clISt17integral_constantIbLb0EES13_EEDaSY_SZ_EUlSY_E_NS1_11comp_targetILNS1_3genE8ELNS1_11target_archE1030ELNS1_3gpuE2ELNS1_3repE0EEENS1_30default_config_static_selectorELNS0_4arch9wavefront6targetE0EEEvT1_.has_indirect_call, 0
	.section	.AMDGPU.csdata,"",@progbits
; Kernel info:
; codeLenInByte = 6248
; TotalNumSgprs: 33
; NumVgprs: 42
; ScratchSize: 0
; MemoryBound: 0
; FloatMode: 240
; IeeeMode: 1
; LDSByteSize: 5120 bytes/workgroup (compile time only)
; SGPRBlocks: 0
; VGPRBlocks: 5
; NumSGPRsForWavesPerEU: 33
; NumVGPRsForWavesPerEU: 42
; Occupancy: 16
; WaveLimiterHint : 1
; COMPUTE_PGM_RSRC2:SCRATCH_EN: 0
; COMPUTE_PGM_RSRC2:USER_SGPR: 6
; COMPUTE_PGM_RSRC2:TRAP_HANDLER: 0
; COMPUTE_PGM_RSRC2:TGID_X_EN: 1
; COMPUTE_PGM_RSRC2:TGID_Y_EN: 0
; COMPUTE_PGM_RSRC2:TGID_Z_EN: 0
; COMPUTE_PGM_RSRC2:TIDIG_COMP_CNT: 0
	.section	.text._ZN7rocprim17ROCPRIM_400000_NS6detail17trampoline_kernelINS0_14default_configENS1_27scan_by_key_config_selectorIijEEZZNS1_16scan_by_key_implILNS1_25lookback_scan_determinismE0ELb0ES3_N6thrust23THRUST_200600_302600_NS6detail15normal_iteratorINS9_10device_ptrIiEEEENSB_INSC_IjEEEENSB_INSC_IfEEEEjNS9_4plusIvEENS9_8equal_toIvEEjEE10hipError_tPvRmT2_T3_T4_T5_mT6_T7_P12ihipStream_tbENKUlT_T0_E_clISt17integral_constantIbLb1EES13_EEDaSY_SZ_EUlSY_E_NS1_11comp_targetILNS1_3genE0ELNS1_11target_archE4294967295ELNS1_3gpuE0ELNS1_3repE0EEENS1_30default_config_static_selectorELNS0_4arch9wavefront6targetE0EEEvT1_,"axG",@progbits,_ZN7rocprim17ROCPRIM_400000_NS6detail17trampoline_kernelINS0_14default_configENS1_27scan_by_key_config_selectorIijEEZZNS1_16scan_by_key_implILNS1_25lookback_scan_determinismE0ELb0ES3_N6thrust23THRUST_200600_302600_NS6detail15normal_iteratorINS9_10device_ptrIiEEEENSB_INSC_IjEEEENSB_INSC_IfEEEEjNS9_4plusIvEENS9_8equal_toIvEEjEE10hipError_tPvRmT2_T3_T4_T5_mT6_T7_P12ihipStream_tbENKUlT_T0_E_clISt17integral_constantIbLb1EES13_EEDaSY_SZ_EUlSY_E_NS1_11comp_targetILNS1_3genE0ELNS1_11target_archE4294967295ELNS1_3gpuE0ELNS1_3repE0EEENS1_30default_config_static_selectorELNS0_4arch9wavefront6targetE0EEEvT1_,comdat
	.protected	_ZN7rocprim17ROCPRIM_400000_NS6detail17trampoline_kernelINS0_14default_configENS1_27scan_by_key_config_selectorIijEEZZNS1_16scan_by_key_implILNS1_25lookback_scan_determinismE0ELb0ES3_N6thrust23THRUST_200600_302600_NS6detail15normal_iteratorINS9_10device_ptrIiEEEENSB_INSC_IjEEEENSB_INSC_IfEEEEjNS9_4plusIvEENS9_8equal_toIvEEjEE10hipError_tPvRmT2_T3_T4_T5_mT6_T7_P12ihipStream_tbENKUlT_T0_E_clISt17integral_constantIbLb1EES13_EEDaSY_SZ_EUlSY_E_NS1_11comp_targetILNS1_3genE0ELNS1_11target_archE4294967295ELNS1_3gpuE0ELNS1_3repE0EEENS1_30default_config_static_selectorELNS0_4arch9wavefront6targetE0EEEvT1_ ; -- Begin function _ZN7rocprim17ROCPRIM_400000_NS6detail17trampoline_kernelINS0_14default_configENS1_27scan_by_key_config_selectorIijEEZZNS1_16scan_by_key_implILNS1_25lookback_scan_determinismE0ELb0ES3_N6thrust23THRUST_200600_302600_NS6detail15normal_iteratorINS9_10device_ptrIiEEEENSB_INSC_IjEEEENSB_INSC_IfEEEEjNS9_4plusIvEENS9_8equal_toIvEEjEE10hipError_tPvRmT2_T3_T4_T5_mT6_T7_P12ihipStream_tbENKUlT_T0_E_clISt17integral_constantIbLb1EES13_EEDaSY_SZ_EUlSY_E_NS1_11comp_targetILNS1_3genE0ELNS1_11target_archE4294967295ELNS1_3gpuE0ELNS1_3repE0EEENS1_30default_config_static_selectorELNS0_4arch9wavefront6targetE0EEEvT1_
	.globl	_ZN7rocprim17ROCPRIM_400000_NS6detail17trampoline_kernelINS0_14default_configENS1_27scan_by_key_config_selectorIijEEZZNS1_16scan_by_key_implILNS1_25lookback_scan_determinismE0ELb0ES3_N6thrust23THRUST_200600_302600_NS6detail15normal_iteratorINS9_10device_ptrIiEEEENSB_INSC_IjEEEENSB_INSC_IfEEEEjNS9_4plusIvEENS9_8equal_toIvEEjEE10hipError_tPvRmT2_T3_T4_T5_mT6_T7_P12ihipStream_tbENKUlT_T0_E_clISt17integral_constantIbLb1EES13_EEDaSY_SZ_EUlSY_E_NS1_11comp_targetILNS1_3genE0ELNS1_11target_archE4294967295ELNS1_3gpuE0ELNS1_3repE0EEENS1_30default_config_static_selectorELNS0_4arch9wavefront6targetE0EEEvT1_
	.p2align	8
	.type	_ZN7rocprim17ROCPRIM_400000_NS6detail17trampoline_kernelINS0_14default_configENS1_27scan_by_key_config_selectorIijEEZZNS1_16scan_by_key_implILNS1_25lookback_scan_determinismE0ELb0ES3_N6thrust23THRUST_200600_302600_NS6detail15normal_iteratorINS9_10device_ptrIiEEEENSB_INSC_IjEEEENSB_INSC_IfEEEEjNS9_4plusIvEENS9_8equal_toIvEEjEE10hipError_tPvRmT2_T3_T4_T5_mT6_T7_P12ihipStream_tbENKUlT_T0_E_clISt17integral_constantIbLb1EES13_EEDaSY_SZ_EUlSY_E_NS1_11comp_targetILNS1_3genE0ELNS1_11target_archE4294967295ELNS1_3gpuE0ELNS1_3repE0EEENS1_30default_config_static_selectorELNS0_4arch9wavefront6targetE0EEEvT1_,@function
_ZN7rocprim17ROCPRIM_400000_NS6detail17trampoline_kernelINS0_14default_configENS1_27scan_by_key_config_selectorIijEEZZNS1_16scan_by_key_implILNS1_25lookback_scan_determinismE0ELb0ES3_N6thrust23THRUST_200600_302600_NS6detail15normal_iteratorINS9_10device_ptrIiEEEENSB_INSC_IjEEEENSB_INSC_IfEEEEjNS9_4plusIvEENS9_8equal_toIvEEjEE10hipError_tPvRmT2_T3_T4_T5_mT6_T7_P12ihipStream_tbENKUlT_T0_E_clISt17integral_constantIbLb1EES13_EEDaSY_SZ_EUlSY_E_NS1_11comp_targetILNS1_3genE0ELNS1_11target_archE4294967295ELNS1_3gpuE0ELNS1_3repE0EEENS1_30default_config_static_selectorELNS0_4arch9wavefront6targetE0EEEvT1_: ; @_ZN7rocprim17ROCPRIM_400000_NS6detail17trampoline_kernelINS0_14default_configENS1_27scan_by_key_config_selectorIijEEZZNS1_16scan_by_key_implILNS1_25lookback_scan_determinismE0ELb0ES3_N6thrust23THRUST_200600_302600_NS6detail15normal_iteratorINS9_10device_ptrIiEEEENSB_INSC_IjEEEENSB_INSC_IfEEEEjNS9_4plusIvEENS9_8equal_toIvEEjEE10hipError_tPvRmT2_T3_T4_T5_mT6_T7_P12ihipStream_tbENKUlT_T0_E_clISt17integral_constantIbLb1EES13_EEDaSY_SZ_EUlSY_E_NS1_11comp_targetILNS1_3genE0ELNS1_11target_archE4294967295ELNS1_3gpuE0ELNS1_3repE0EEENS1_30default_config_static_selectorELNS0_4arch9wavefront6targetE0EEEvT1_
; %bb.0:
	.section	.rodata,"a",@progbits
	.p2align	6, 0x0
	.amdhsa_kernel _ZN7rocprim17ROCPRIM_400000_NS6detail17trampoline_kernelINS0_14default_configENS1_27scan_by_key_config_selectorIijEEZZNS1_16scan_by_key_implILNS1_25lookback_scan_determinismE0ELb0ES3_N6thrust23THRUST_200600_302600_NS6detail15normal_iteratorINS9_10device_ptrIiEEEENSB_INSC_IjEEEENSB_INSC_IfEEEEjNS9_4plusIvEENS9_8equal_toIvEEjEE10hipError_tPvRmT2_T3_T4_T5_mT6_T7_P12ihipStream_tbENKUlT_T0_E_clISt17integral_constantIbLb1EES13_EEDaSY_SZ_EUlSY_E_NS1_11comp_targetILNS1_3genE0ELNS1_11target_archE4294967295ELNS1_3gpuE0ELNS1_3repE0EEENS1_30default_config_static_selectorELNS0_4arch9wavefront6targetE0EEEvT1_
		.amdhsa_group_segment_fixed_size 0
		.amdhsa_private_segment_fixed_size 0
		.amdhsa_kernarg_size 112
		.amdhsa_user_sgpr_count 6
		.amdhsa_user_sgpr_private_segment_buffer 1
		.amdhsa_user_sgpr_dispatch_ptr 0
		.amdhsa_user_sgpr_queue_ptr 0
		.amdhsa_user_sgpr_kernarg_segment_ptr 1
		.amdhsa_user_sgpr_dispatch_id 0
		.amdhsa_user_sgpr_flat_scratch_init 0
		.amdhsa_user_sgpr_private_segment_size 0
		.amdhsa_wavefront_size32 1
		.amdhsa_uses_dynamic_stack 0
		.amdhsa_system_sgpr_private_segment_wavefront_offset 0
		.amdhsa_system_sgpr_workgroup_id_x 1
		.amdhsa_system_sgpr_workgroup_id_y 0
		.amdhsa_system_sgpr_workgroup_id_z 0
		.amdhsa_system_sgpr_workgroup_info 0
		.amdhsa_system_vgpr_workitem_id 0
		.amdhsa_next_free_vgpr 1
		.amdhsa_next_free_sgpr 1
		.amdhsa_reserve_vcc 0
		.amdhsa_reserve_flat_scratch 0
		.amdhsa_float_round_mode_32 0
		.amdhsa_float_round_mode_16_64 0
		.amdhsa_float_denorm_mode_32 3
		.amdhsa_float_denorm_mode_16_64 3
		.amdhsa_dx10_clamp 1
		.amdhsa_ieee_mode 1
		.amdhsa_fp16_overflow 0
		.amdhsa_workgroup_processor_mode 1
		.amdhsa_memory_ordered 1
		.amdhsa_forward_progress 1
		.amdhsa_shared_vgpr_count 0
		.amdhsa_exception_fp_ieee_invalid_op 0
		.amdhsa_exception_fp_denorm_src 0
		.amdhsa_exception_fp_ieee_div_zero 0
		.amdhsa_exception_fp_ieee_overflow 0
		.amdhsa_exception_fp_ieee_underflow 0
		.amdhsa_exception_fp_ieee_inexact 0
		.amdhsa_exception_int_div_zero 0
	.end_amdhsa_kernel
	.section	.text._ZN7rocprim17ROCPRIM_400000_NS6detail17trampoline_kernelINS0_14default_configENS1_27scan_by_key_config_selectorIijEEZZNS1_16scan_by_key_implILNS1_25lookback_scan_determinismE0ELb0ES3_N6thrust23THRUST_200600_302600_NS6detail15normal_iteratorINS9_10device_ptrIiEEEENSB_INSC_IjEEEENSB_INSC_IfEEEEjNS9_4plusIvEENS9_8equal_toIvEEjEE10hipError_tPvRmT2_T3_T4_T5_mT6_T7_P12ihipStream_tbENKUlT_T0_E_clISt17integral_constantIbLb1EES13_EEDaSY_SZ_EUlSY_E_NS1_11comp_targetILNS1_3genE0ELNS1_11target_archE4294967295ELNS1_3gpuE0ELNS1_3repE0EEENS1_30default_config_static_selectorELNS0_4arch9wavefront6targetE0EEEvT1_,"axG",@progbits,_ZN7rocprim17ROCPRIM_400000_NS6detail17trampoline_kernelINS0_14default_configENS1_27scan_by_key_config_selectorIijEEZZNS1_16scan_by_key_implILNS1_25lookback_scan_determinismE0ELb0ES3_N6thrust23THRUST_200600_302600_NS6detail15normal_iteratorINS9_10device_ptrIiEEEENSB_INSC_IjEEEENSB_INSC_IfEEEEjNS9_4plusIvEENS9_8equal_toIvEEjEE10hipError_tPvRmT2_T3_T4_T5_mT6_T7_P12ihipStream_tbENKUlT_T0_E_clISt17integral_constantIbLb1EES13_EEDaSY_SZ_EUlSY_E_NS1_11comp_targetILNS1_3genE0ELNS1_11target_archE4294967295ELNS1_3gpuE0ELNS1_3repE0EEENS1_30default_config_static_selectorELNS0_4arch9wavefront6targetE0EEEvT1_,comdat
.Lfunc_end1653:
	.size	_ZN7rocprim17ROCPRIM_400000_NS6detail17trampoline_kernelINS0_14default_configENS1_27scan_by_key_config_selectorIijEEZZNS1_16scan_by_key_implILNS1_25lookback_scan_determinismE0ELb0ES3_N6thrust23THRUST_200600_302600_NS6detail15normal_iteratorINS9_10device_ptrIiEEEENSB_INSC_IjEEEENSB_INSC_IfEEEEjNS9_4plusIvEENS9_8equal_toIvEEjEE10hipError_tPvRmT2_T3_T4_T5_mT6_T7_P12ihipStream_tbENKUlT_T0_E_clISt17integral_constantIbLb1EES13_EEDaSY_SZ_EUlSY_E_NS1_11comp_targetILNS1_3genE0ELNS1_11target_archE4294967295ELNS1_3gpuE0ELNS1_3repE0EEENS1_30default_config_static_selectorELNS0_4arch9wavefront6targetE0EEEvT1_, .Lfunc_end1653-_ZN7rocprim17ROCPRIM_400000_NS6detail17trampoline_kernelINS0_14default_configENS1_27scan_by_key_config_selectorIijEEZZNS1_16scan_by_key_implILNS1_25lookback_scan_determinismE0ELb0ES3_N6thrust23THRUST_200600_302600_NS6detail15normal_iteratorINS9_10device_ptrIiEEEENSB_INSC_IjEEEENSB_INSC_IfEEEEjNS9_4plusIvEENS9_8equal_toIvEEjEE10hipError_tPvRmT2_T3_T4_T5_mT6_T7_P12ihipStream_tbENKUlT_T0_E_clISt17integral_constantIbLb1EES13_EEDaSY_SZ_EUlSY_E_NS1_11comp_targetILNS1_3genE0ELNS1_11target_archE4294967295ELNS1_3gpuE0ELNS1_3repE0EEENS1_30default_config_static_selectorELNS0_4arch9wavefront6targetE0EEEvT1_
                                        ; -- End function
	.set _ZN7rocprim17ROCPRIM_400000_NS6detail17trampoline_kernelINS0_14default_configENS1_27scan_by_key_config_selectorIijEEZZNS1_16scan_by_key_implILNS1_25lookback_scan_determinismE0ELb0ES3_N6thrust23THRUST_200600_302600_NS6detail15normal_iteratorINS9_10device_ptrIiEEEENSB_INSC_IjEEEENSB_INSC_IfEEEEjNS9_4plusIvEENS9_8equal_toIvEEjEE10hipError_tPvRmT2_T3_T4_T5_mT6_T7_P12ihipStream_tbENKUlT_T0_E_clISt17integral_constantIbLb1EES13_EEDaSY_SZ_EUlSY_E_NS1_11comp_targetILNS1_3genE0ELNS1_11target_archE4294967295ELNS1_3gpuE0ELNS1_3repE0EEENS1_30default_config_static_selectorELNS0_4arch9wavefront6targetE0EEEvT1_.num_vgpr, 0
	.set _ZN7rocprim17ROCPRIM_400000_NS6detail17trampoline_kernelINS0_14default_configENS1_27scan_by_key_config_selectorIijEEZZNS1_16scan_by_key_implILNS1_25lookback_scan_determinismE0ELb0ES3_N6thrust23THRUST_200600_302600_NS6detail15normal_iteratorINS9_10device_ptrIiEEEENSB_INSC_IjEEEENSB_INSC_IfEEEEjNS9_4plusIvEENS9_8equal_toIvEEjEE10hipError_tPvRmT2_T3_T4_T5_mT6_T7_P12ihipStream_tbENKUlT_T0_E_clISt17integral_constantIbLb1EES13_EEDaSY_SZ_EUlSY_E_NS1_11comp_targetILNS1_3genE0ELNS1_11target_archE4294967295ELNS1_3gpuE0ELNS1_3repE0EEENS1_30default_config_static_selectorELNS0_4arch9wavefront6targetE0EEEvT1_.num_agpr, 0
	.set _ZN7rocprim17ROCPRIM_400000_NS6detail17trampoline_kernelINS0_14default_configENS1_27scan_by_key_config_selectorIijEEZZNS1_16scan_by_key_implILNS1_25lookback_scan_determinismE0ELb0ES3_N6thrust23THRUST_200600_302600_NS6detail15normal_iteratorINS9_10device_ptrIiEEEENSB_INSC_IjEEEENSB_INSC_IfEEEEjNS9_4plusIvEENS9_8equal_toIvEEjEE10hipError_tPvRmT2_T3_T4_T5_mT6_T7_P12ihipStream_tbENKUlT_T0_E_clISt17integral_constantIbLb1EES13_EEDaSY_SZ_EUlSY_E_NS1_11comp_targetILNS1_3genE0ELNS1_11target_archE4294967295ELNS1_3gpuE0ELNS1_3repE0EEENS1_30default_config_static_selectorELNS0_4arch9wavefront6targetE0EEEvT1_.numbered_sgpr, 0
	.set _ZN7rocprim17ROCPRIM_400000_NS6detail17trampoline_kernelINS0_14default_configENS1_27scan_by_key_config_selectorIijEEZZNS1_16scan_by_key_implILNS1_25lookback_scan_determinismE0ELb0ES3_N6thrust23THRUST_200600_302600_NS6detail15normal_iteratorINS9_10device_ptrIiEEEENSB_INSC_IjEEEENSB_INSC_IfEEEEjNS9_4plusIvEENS9_8equal_toIvEEjEE10hipError_tPvRmT2_T3_T4_T5_mT6_T7_P12ihipStream_tbENKUlT_T0_E_clISt17integral_constantIbLb1EES13_EEDaSY_SZ_EUlSY_E_NS1_11comp_targetILNS1_3genE0ELNS1_11target_archE4294967295ELNS1_3gpuE0ELNS1_3repE0EEENS1_30default_config_static_selectorELNS0_4arch9wavefront6targetE0EEEvT1_.num_named_barrier, 0
	.set _ZN7rocprim17ROCPRIM_400000_NS6detail17trampoline_kernelINS0_14default_configENS1_27scan_by_key_config_selectorIijEEZZNS1_16scan_by_key_implILNS1_25lookback_scan_determinismE0ELb0ES3_N6thrust23THRUST_200600_302600_NS6detail15normal_iteratorINS9_10device_ptrIiEEEENSB_INSC_IjEEEENSB_INSC_IfEEEEjNS9_4plusIvEENS9_8equal_toIvEEjEE10hipError_tPvRmT2_T3_T4_T5_mT6_T7_P12ihipStream_tbENKUlT_T0_E_clISt17integral_constantIbLb1EES13_EEDaSY_SZ_EUlSY_E_NS1_11comp_targetILNS1_3genE0ELNS1_11target_archE4294967295ELNS1_3gpuE0ELNS1_3repE0EEENS1_30default_config_static_selectorELNS0_4arch9wavefront6targetE0EEEvT1_.private_seg_size, 0
	.set _ZN7rocprim17ROCPRIM_400000_NS6detail17trampoline_kernelINS0_14default_configENS1_27scan_by_key_config_selectorIijEEZZNS1_16scan_by_key_implILNS1_25lookback_scan_determinismE0ELb0ES3_N6thrust23THRUST_200600_302600_NS6detail15normal_iteratorINS9_10device_ptrIiEEEENSB_INSC_IjEEEENSB_INSC_IfEEEEjNS9_4plusIvEENS9_8equal_toIvEEjEE10hipError_tPvRmT2_T3_T4_T5_mT6_T7_P12ihipStream_tbENKUlT_T0_E_clISt17integral_constantIbLb1EES13_EEDaSY_SZ_EUlSY_E_NS1_11comp_targetILNS1_3genE0ELNS1_11target_archE4294967295ELNS1_3gpuE0ELNS1_3repE0EEENS1_30default_config_static_selectorELNS0_4arch9wavefront6targetE0EEEvT1_.uses_vcc, 0
	.set _ZN7rocprim17ROCPRIM_400000_NS6detail17trampoline_kernelINS0_14default_configENS1_27scan_by_key_config_selectorIijEEZZNS1_16scan_by_key_implILNS1_25lookback_scan_determinismE0ELb0ES3_N6thrust23THRUST_200600_302600_NS6detail15normal_iteratorINS9_10device_ptrIiEEEENSB_INSC_IjEEEENSB_INSC_IfEEEEjNS9_4plusIvEENS9_8equal_toIvEEjEE10hipError_tPvRmT2_T3_T4_T5_mT6_T7_P12ihipStream_tbENKUlT_T0_E_clISt17integral_constantIbLb1EES13_EEDaSY_SZ_EUlSY_E_NS1_11comp_targetILNS1_3genE0ELNS1_11target_archE4294967295ELNS1_3gpuE0ELNS1_3repE0EEENS1_30default_config_static_selectorELNS0_4arch9wavefront6targetE0EEEvT1_.uses_flat_scratch, 0
	.set _ZN7rocprim17ROCPRIM_400000_NS6detail17trampoline_kernelINS0_14default_configENS1_27scan_by_key_config_selectorIijEEZZNS1_16scan_by_key_implILNS1_25lookback_scan_determinismE0ELb0ES3_N6thrust23THRUST_200600_302600_NS6detail15normal_iteratorINS9_10device_ptrIiEEEENSB_INSC_IjEEEENSB_INSC_IfEEEEjNS9_4plusIvEENS9_8equal_toIvEEjEE10hipError_tPvRmT2_T3_T4_T5_mT6_T7_P12ihipStream_tbENKUlT_T0_E_clISt17integral_constantIbLb1EES13_EEDaSY_SZ_EUlSY_E_NS1_11comp_targetILNS1_3genE0ELNS1_11target_archE4294967295ELNS1_3gpuE0ELNS1_3repE0EEENS1_30default_config_static_selectorELNS0_4arch9wavefront6targetE0EEEvT1_.has_dyn_sized_stack, 0
	.set _ZN7rocprim17ROCPRIM_400000_NS6detail17trampoline_kernelINS0_14default_configENS1_27scan_by_key_config_selectorIijEEZZNS1_16scan_by_key_implILNS1_25lookback_scan_determinismE0ELb0ES3_N6thrust23THRUST_200600_302600_NS6detail15normal_iteratorINS9_10device_ptrIiEEEENSB_INSC_IjEEEENSB_INSC_IfEEEEjNS9_4plusIvEENS9_8equal_toIvEEjEE10hipError_tPvRmT2_T3_T4_T5_mT6_T7_P12ihipStream_tbENKUlT_T0_E_clISt17integral_constantIbLb1EES13_EEDaSY_SZ_EUlSY_E_NS1_11comp_targetILNS1_3genE0ELNS1_11target_archE4294967295ELNS1_3gpuE0ELNS1_3repE0EEENS1_30default_config_static_selectorELNS0_4arch9wavefront6targetE0EEEvT1_.has_recursion, 0
	.set _ZN7rocprim17ROCPRIM_400000_NS6detail17trampoline_kernelINS0_14default_configENS1_27scan_by_key_config_selectorIijEEZZNS1_16scan_by_key_implILNS1_25lookback_scan_determinismE0ELb0ES3_N6thrust23THRUST_200600_302600_NS6detail15normal_iteratorINS9_10device_ptrIiEEEENSB_INSC_IjEEEENSB_INSC_IfEEEEjNS9_4plusIvEENS9_8equal_toIvEEjEE10hipError_tPvRmT2_T3_T4_T5_mT6_T7_P12ihipStream_tbENKUlT_T0_E_clISt17integral_constantIbLb1EES13_EEDaSY_SZ_EUlSY_E_NS1_11comp_targetILNS1_3genE0ELNS1_11target_archE4294967295ELNS1_3gpuE0ELNS1_3repE0EEENS1_30default_config_static_selectorELNS0_4arch9wavefront6targetE0EEEvT1_.has_indirect_call, 0
	.section	.AMDGPU.csdata,"",@progbits
; Kernel info:
; codeLenInByte = 0
; TotalNumSgprs: 0
; NumVgprs: 0
; ScratchSize: 0
; MemoryBound: 0
; FloatMode: 240
; IeeeMode: 1
; LDSByteSize: 0 bytes/workgroup (compile time only)
; SGPRBlocks: 0
; VGPRBlocks: 0
; NumSGPRsForWavesPerEU: 1
; NumVGPRsForWavesPerEU: 1
; Occupancy: 16
; WaveLimiterHint : 0
; COMPUTE_PGM_RSRC2:SCRATCH_EN: 0
; COMPUTE_PGM_RSRC2:USER_SGPR: 6
; COMPUTE_PGM_RSRC2:TRAP_HANDLER: 0
; COMPUTE_PGM_RSRC2:TGID_X_EN: 1
; COMPUTE_PGM_RSRC2:TGID_Y_EN: 0
; COMPUTE_PGM_RSRC2:TGID_Z_EN: 0
; COMPUTE_PGM_RSRC2:TIDIG_COMP_CNT: 0
	.section	.text._ZN7rocprim17ROCPRIM_400000_NS6detail17trampoline_kernelINS0_14default_configENS1_27scan_by_key_config_selectorIijEEZZNS1_16scan_by_key_implILNS1_25lookback_scan_determinismE0ELb0ES3_N6thrust23THRUST_200600_302600_NS6detail15normal_iteratorINS9_10device_ptrIiEEEENSB_INSC_IjEEEENSB_INSC_IfEEEEjNS9_4plusIvEENS9_8equal_toIvEEjEE10hipError_tPvRmT2_T3_T4_T5_mT6_T7_P12ihipStream_tbENKUlT_T0_E_clISt17integral_constantIbLb1EES13_EEDaSY_SZ_EUlSY_E_NS1_11comp_targetILNS1_3genE10ELNS1_11target_archE1201ELNS1_3gpuE5ELNS1_3repE0EEENS1_30default_config_static_selectorELNS0_4arch9wavefront6targetE0EEEvT1_,"axG",@progbits,_ZN7rocprim17ROCPRIM_400000_NS6detail17trampoline_kernelINS0_14default_configENS1_27scan_by_key_config_selectorIijEEZZNS1_16scan_by_key_implILNS1_25lookback_scan_determinismE0ELb0ES3_N6thrust23THRUST_200600_302600_NS6detail15normal_iteratorINS9_10device_ptrIiEEEENSB_INSC_IjEEEENSB_INSC_IfEEEEjNS9_4plusIvEENS9_8equal_toIvEEjEE10hipError_tPvRmT2_T3_T4_T5_mT6_T7_P12ihipStream_tbENKUlT_T0_E_clISt17integral_constantIbLb1EES13_EEDaSY_SZ_EUlSY_E_NS1_11comp_targetILNS1_3genE10ELNS1_11target_archE1201ELNS1_3gpuE5ELNS1_3repE0EEENS1_30default_config_static_selectorELNS0_4arch9wavefront6targetE0EEEvT1_,comdat
	.protected	_ZN7rocprim17ROCPRIM_400000_NS6detail17trampoline_kernelINS0_14default_configENS1_27scan_by_key_config_selectorIijEEZZNS1_16scan_by_key_implILNS1_25lookback_scan_determinismE0ELb0ES3_N6thrust23THRUST_200600_302600_NS6detail15normal_iteratorINS9_10device_ptrIiEEEENSB_INSC_IjEEEENSB_INSC_IfEEEEjNS9_4plusIvEENS9_8equal_toIvEEjEE10hipError_tPvRmT2_T3_T4_T5_mT6_T7_P12ihipStream_tbENKUlT_T0_E_clISt17integral_constantIbLb1EES13_EEDaSY_SZ_EUlSY_E_NS1_11comp_targetILNS1_3genE10ELNS1_11target_archE1201ELNS1_3gpuE5ELNS1_3repE0EEENS1_30default_config_static_selectorELNS0_4arch9wavefront6targetE0EEEvT1_ ; -- Begin function _ZN7rocprim17ROCPRIM_400000_NS6detail17trampoline_kernelINS0_14default_configENS1_27scan_by_key_config_selectorIijEEZZNS1_16scan_by_key_implILNS1_25lookback_scan_determinismE0ELb0ES3_N6thrust23THRUST_200600_302600_NS6detail15normal_iteratorINS9_10device_ptrIiEEEENSB_INSC_IjEEEENSB_INSC_IfEEEEjNS9_4plusIvEENS9_8equal_toIvEEjEE10hipError_tPvRmT2_T3_T4_T5_mT6_T7_P12ihipStream_tbENKUlT_T0_E_clISt17integral_constantIbLb1EES13_EEDaSY_SZ_EUlSY_E_NS1_11comp_targetILNS1_3genE10ELNS1_11target_archE1201ELNS1_3gpuE5ELNS1_3repE0EEENS1_30default_config_static_selectorELNS0_4arch9wavefront6targetE0EEEvT1_
	.globl	_ZN7rocprim17ROCPRIM_400000_NS6detail17trampoline_kernelINS0_14default_configENS1_27scan_by_key_config_selectorIijEEZZNS1_16scan_by_key_implILNS1_25lookback_scan_determinismE0ELb0ES3_N6thrust23THRUST_200600_302600_NS6detail15normal_iteratorINS9_10device_ptrIiEEEENSB_INSC_IjEEEENSB_INSC_IfEEEEjNS9_4plusIvEENS9_8equal_toIvEEjEE10hipError_tPvRmT2_T3_T4_T5_mT6_T7_P12ihipStream_tbENKUlT_T0_E_clISt17integral_constantIbLb1EES13_EEDaSY_SZ_EUlSY_E_NS1_11comp_targetILNS1_3genE10ELNS1_11target_archE1201ELNS1_3gpuE5ELNS1_3repE0EEENS1_30default_config_static_selectorELNS0_4arch9wavefront6targetE0EEEvT1_
	.p2align	8
	.type	_ZN7rocprim17ROCPRIM_400000_NS6detail17trampoline_kernelINS0_14default_configENS1_27scan_by_key_config_selectorIijEEZZNS1_16scan_by_key_implILNS1_25lookback_scan_determinismE0ELb0ES3_N6thrust23THRUST_200600_302600_NS6detail15normal_iteratorINS9_10device_ptrIiEEEENSB_INSC_IjEEEENSB_INSC_IfEEEEjNS9_4plusIvEENS9_8equal_toIvEEjEE10hipError_tPvRmT2_T3_T4_T5_mT6_T7_P12ihipStream_tbENKUlT_T0_E_clISt17integral_constantIbLb1EES13_EEDaSY_SZ_EUlSY_E_NS1_11comp_targetILNS1_3genE10ELNS1_11target_archE1201ELNS1_3gpuE5ELNS1_3repE0EEENS1_30default_config_static_selectorELNS0_4arch9wavefront6targetE0EEEvT1_,@function
_ZN7rocprim17ROCPRIM_400000_NS6detail17trampoline_kernelINS0_14default_configENS1_27scan_by_key_config_selectorIijEEZZNS1_16scan_by_key_implILNS1_25lookback_scan_determinismE0ELb0ES3_N6thrust23THRUST_200600_302600_NS6detail15normal_iteratorINS9_10device_ptrIiEEEENSB_INSC_IjEEEENSB_INSC_IfEEEEjNS9_4plusIvEENS9_8equal_toIvEEjEE10hipError_tPvRmT2_T3_T4_T5_mT6_T7_P12ihipStream_tbENKUlT_T0_E_clISt17integral_constantIbLb1EES13_EEDaSY_SZ_EUlSY_E_NS1_11comp_targetILNS1_3genE10ELNS1_11target_archE1201ELNS1_3gpuE5ELNS1_3repE0EEENS1_30default_config_static_selectorELNS0_4arch9wavefront6targetE0EEEvT1_: ; @_ZN7rocprim17ROCPRIM_400000_NS6detail17trampoline_kernelINS0_14default_configENS1_27scan_by_key_config_selectorIijEEZZNS1_16scan_by_key_implILNS1_25lookback_scan_determinismE0ELb0ES3_N6thrust23THRUST_200600_302600_NS6detail15normal_iteratorINS9_10device_ptrIiEEEENSB_INSC_IjEEEENSB_INSC_IfEEEEjNS9_4plusIvEENS9_8equal_toIvEEjEE10hipError_tPvRmT2_T3_T4_T5_mT6_T7_P12ihipStream_tbENKUlT_T0_E_clISt17integral_constantIbLb1EES13_EEDaSY_SZ_EUlSY_E_NS1_11comp_targetILNS1_3genE10ELNS1_11target_archE1201ELNS1_3gpuE5ELNS1_3repE0EEENS1_30default_config_static_selectorELNS0_4arch9wavefront6targetE0EEEvT1_
; %bb.0:
	.section	.rodata,"a",@progbits
	.p2align	6, 0x0
	.amdhsa_kernel _ZN7rocprim17ROCPRIM_400000_NS6detail17trampoline_kernelINS0_14default_configENS1_27scan_by_key_config_selectorIijEEZZNS1_16scan_by_key_implILNS1_25lookback_scan_determinismE0ELb0ES3_N6thrust23THRUST_200600_302600_NS6detail15normal_iteratorINS9_10device_ptrIiEEEENSB_INSC_IjEEEENSB_INSC_IfEEEEjNS9_4plusIvEENS9_8equal_toIvEEjEE10hipError_tPvRmT2_T3_T4_T5_mT6_T7_P12ihipStream_tbENKUlT_T0_E_clISt17integral_constantIbLb1EES13_EEDaSY_SZ_EUlSY_E_NS1_11comp_targetILNS1_3genE10ELNS1_11target_archE1201ELNS1_3gpuE5ELNS1_3repE0EEENS1_30default_config_static_selectorELNS0_4arch9wavefront6targetE0EEEvT1_
		.amdhsa_group_segment_fixed_size 0
		.amdhsa_private_segment_fixed_size 0
		.amdhsa_kernarg_size 112
		.amdhsa_user_sgpr_count 6
		.amdhsa_user_sgpr_private_segment_buffer 1
		.amdhsa_user_sgpr_dispatch_ptr 0
		.amdhsa_user_sgpr_queue_ptr 0
		.amdhsa_user_sgpr_kernarg_segment_ptr 1
		.amdhsa_user_sgpr_dispatch_id 0
		.amdhsa_user_sgpr_flat_scratch_init 0
		.amdhsa_user_sgpr_private_segment_size 0
		.amdhsa_wavefront_size32 1
		.amdhsa_uses_dynamic_stack 0
		.amdhsa_system_sgpr_private_segment_wavefront_offset 0
		.amdhsa_system_sgpr_workgroup_id_x 1
		.amdhsa_system_sgpr_workgroup_id_y 0
		.amdhsa_system_sgpr_workgroup_id_z 0
		.amdhsa_system_sgpr_workgroup_info 0
		.amdhsa_system_vgpr_workitem_id 0
		.amdhsa_next_free_vgpr 1
		.amdhsa_next_free_sgpr 1
		.amdhsa_reserve_vcc 0
		.amdhsa_reserve_flat_scratch 0
		.amdhsa_float_round_mode_32 0
		.amdhsa_float_round_mode_16_64 0
		.amdhsa_float_denorm_mode_32 3
		.amdhsa_float_denorm_mode_16_64 3
		.amdhsa_dx10_clamp 1
		.amdhsa_ieee_mode 1
		.amdhsa_fp16_overflow 0
		.amdhsa_workgroup_processor_mode 1
		.amdhsa_memory_ordered 1
		.amdhsa_forward_progress 1
		.amdhsa_shared_vgpr_count 0
		.amdhsa_exception_fp_ieee_invalid_op 0
		.amdhsa_exception_fp_denorm_src 0
		.amdhsa_exception_fp_ieee_div_zero 0
		.amdhsa_exception_fp_ieee_overflow 0
		.amdhsa_exception_fp_ieee_underflow 0
		.amdhsa_exception_fp_ieee_inexact 0
		.amdhsa_exception_int_div_zero 0
	.end_amdhsa_kernel
	.section	.text._ZN7rocprim17ROCPRIM_400000_NS6detail17trampoline_kernelINS0_14default_configENS1_27scan_by_key_config_selectorIijEEZZNS1_16scan_by_key_implILNS1_25lookback_scan_determinismE0ELb0ES3_N6thrust23THRUST_200600_302600_NS6detail15normal_iteratorINS9_10device_ptrIiEEEENSB_INSC_IjEEEENSB_INSC_IfEEEEjNS9_4plusIvEENS9_8equal_toIvEEjEE10hipError_tPvRmT2_T3_T4_T5_mT6_T7_P12ihipStream_tbENKUlT_T0_E_clISt17integral_constantIbLb1EES13_EEDaSY_SZ_EUlSY_E_NS1_11comp_targetILNS1_3genE10ELNS1_11target_archE1201ELNS1_3gpuE5ELNS1_3repE0EEENS1_30default_config_static_selectorELNS0_4arch9wavefront6targetE0EEEvT1_,"axG",@progbits,_ZN7rocprim17ROCPRIM_400000_NS6detail17trampoline_kernelINS0_14default_configENS1_27scan_by_key_config_selectorIijEEZZNS1_16scan_by_key_implILNS1_25lookback_scan_determinismE0ELb0ES3_N6thrust23THRUST_200600_302600_NS6detail15normal_iteratorINS9_10device_ptrIiEEEENSB_INSC_IjEEEENSB_INSC_IfEEEEjNS9_4plusIvEENS9_8equal_toIvEEjEE10hipError_tPvRmT2_T3_T4_T5_mT6_T7_P12ihipStream_tbENKUlT_T0_E_clISt17integral_constantIbLb1EES13_EEDaSY_SZ_EUlSY_E_NS1_11comp_targetILNS1_3genE10ELNS1_11target_archE1201ELNS1_3gpuE5ELNS1_3repE0EEENS1_30default_config_static_selectorELNS0_4arch9wavefront6targetE0EEEvT1_,comdat
.Lfunc_end1654:
	.size	_ZN7rocprim17ROCPRIM_400000_NS6detail17trampoline_kernelINS0_14default_configENS1_27scan_by_key_config_selectorIijEEZZNS1_16scan_by_key_implILNS1_25lookback_scan_determinismE0ELb0ES3_N6thrust23THRUST_200600_302600_NS6detail15normal_iteratorINS9_10device_ptrIiEEEENSB_INSC_IjEEEENSB_INSC_IfEEEEjNS9_4plusIvEENS9_8equal_toIvEEjEE10hipError_tPvRmT2_T3_T4_T5_mT6_T7_P12ihipStream_tbENKUlT_T0_E_clISt17integral_constantIbLb1EES13_EEDaSY_SZ_EUlSY_E_NS1_11comp_targetILNS1_3genE10ELNS1_11target_archE1201ELNS1_3gpuE5ELNS1_3repE0EEENS1_30default_config_static_selectorELNS0_4arch9wavefront6targetE0EEEvT1_, .Lfunc_end1654-_ZN7rocprim17ROCPRIM_400000_NS6detail17trampoline_kernelINS0_14default_configENS1_27scan_by_key_config_selectorIijEEZZNS1_16scan_by_key_implILNS1_25lookback_scan_determinismE0ELb0ES3_N6thrust23THRUST_200600_302600_NS6detail15normal_iteratorINS9_10device_ptrIiEEEENSB_INSC_IjEEEENSB_INSC_IfEEEEjNS9_4plusIvEENS9_8equal_toIvEEjEE10hipError_tPvRmT2_T3_T4_T5_mT6_T7_P12ihipStream_tbENKUlT_T0_E_clISt17integral_constantIbLb1EES13_EEDaSY_SZ_EUlSY_E_NS1_11comp_targetILNS1_3genE10ELNS1_11target_archE1201ELNS1_3gpuE5ELNS1_3repE0EEENS1_30default_config_static_selectorELNS0_4arch9wavefront6targetE0EEEvT1_
                                        ; -- End function
	.set _ZN7rocprim17ROCPRIM_400000_NS6detail17trampoline_kernelINS0_14default_configENS1_27scan_by_key_config_selectorIijEEZZNS1_16scan_by_key_implILNS1_25lookback_scan_determinismE0ELb0ES3_N6thrust23THRUST_200600_302600_NS6detail15normal_iteratorINS9_10device_ptrIiEEEENSB_INSC_IjEEEENSB_INSC_IfEEEEjNS9_4plusIvEENS9_8equal_toIvEEjEE10hipError_tPvRmT2_T3_T4_T5_mT6_T7_P12ihipStream_tbENKUlT_T0_E_clISt17integral_constantIbLb1EES13_EEDaSY_SZ_EUlSY_E_NS1_11comp_targetILNS1_3genE10ELNS1_11target_archE1201ELNS1_3gpuE5ELNS1_3repE0EEENS1_30default_config_static_selectorELNS0_4arch9wavefront6targetE0EEEvT1_.num_vgpr, 0
	.set _ZN7rocprim17ROCPRIM_400000_NS6detail17trampoline_kernelINS0_14default_configENS1_27scan_by_key_config_selectorIijEEZZNS1_16scan_by_key_implILNS1_25lookback_scan_determinismE0ELb0ES3_N6thrust23THRUST_200600_302600_NS6detail15normal_iteratorINS9_10device_ptrIiEEEENSB_INSC_IjEEEENSB_INSC_IfEEEEjNS9_4plusIvEENS9_8equal_toIvEEjEE10hipError_tPvRmT2_T3_T4_T5_mT6_T7_P12ihipStream_tbENKUlT_T0_E_clISt17integral_constantIbLb1EES13_EEDaSY_SZ_EUlSY_E_NS1_11comp_targetILNS1_3genE10ELNS1_11target_archE1201ELNS1_3gpuE5ELNS1_3repE0EEENS1_30default_config_static_selectorELNS0_4arch9wavefront6targetE0EEEvT1_.num_agpr, 0
	.set _ZN7rocprim17ROCPRIM_400000_NS6detail17trampoline_kernelINS0_14default_configENS1_27scan_by_key_config_selectorIijEEZZNS1_16scan_by_key_implILNS1_25lookback_scan_determinismE0ELb0ES3_N6thrust23THRUST_200600_302600_NS6detail15normal_iteratorINS9_10device_ptrIiEEEENSB_INSC_IjEEEENSB_INSC_IfEEEEjNS9_4plusIvEENS9_8equal_toIvEEjEE10hipError_tPvRmT2_T3_T4_T5_mT6_T7_P12ihipStream_tbENKUlT_T0_E_clISt17integral_constantIbLb1EES13_EEDaSY_SZ_EUlSY_E_NS1_11comp_targetILNS1_3genE10ELNS1_11target_archE1201ELNS1_3gpuE5ELNS1_3repE0EEENS1_30default_config_static_selectorELNS0_4arch9wavefront6targetE0EEEvT1_.numbered_sgpr, 0
	.set _ZN7rocprim17ROCPRIM_400000_NS6detail17trampoline_kernelINS0_14default_configENS1_27scan_by_key_config_selectorIijEEZZNS1_16scan_by_key_implILNS1_25lookback_scan_determinismE0ELb0ES3_N6thrust23THRUST_200600_302600_NS6detail15normal_iteratorINS9_10device_ptrIiEEEENSB_INSC_IjEEEENSB_INSC_IfEEEEjNS9_4plusIvEENS9_8equal_toIvEEjEE10hipError_tPvRmT2_T3_T4_T5_mT6_T7_P12ihipStream_tbENKUlT_T0_E_clISt17integral_constantIbLb1EES13_EEDaSY_SZ_EUlSY_E_NS1_11comp_targetILNS1_3genE10ELNS1_11target_archE1201ELNS1_3gpuE5ELNS1_3repE0EEENS1_30default_config_static_selectorELNS0_4arch9wavefront6targetE0EEEvT1_.num_named_barrier, 0
	.set _ZN7rocprim17ROCPRIM_400000_NS6detail17trampoline_kernelINS0_14default_configENS1_27scan_by_key_config_selectorIijEEZZNS1_16scan_by_key_implILNS1_25lookback_scan_determinismE0ELb0ES3_N6thrust23THRUST_200600_302600_NS6detail15normal_iteratorINS9_10device_ptrIiEEEENSB_INSC_IjEEEENSB_INSC_IfEEEEjNS9_4plusIvEENS9_8equal_toIvEEjEE10hipError_tPvRmT2_T3_T4_T5_mT6_T7_P12ihipStream_tbENKUlT_T0_E_clISt17integral_constantIbLb1EES13_EEDaSY_SZ_EUlSY_E_NS1_11comp_targetILNS1_3genE10ELNS1_11target_archE1201ELNS1_3gpuE5ELNS1_3repE0EEENS1_30default_config_static_selectorELNS0_4arch9wavefront6targetE0EEEvT1_.private_seg_size, 0
	.set _ZN7rocprim17ROCPRIM_400000_NS6detail17trampoline_kernelINS0_14default_configENS1_27scan_by_key_config_selectorIijEEZZNS1_16scan_by_key_implILNS1_25lookback_scan_determinismE0ELb0ES3_N6thrust23THRUST_200600_302600_NS6detail15normal_iteratorINS9_10device_ptrIiEEEENSB_INSC_IjEEEENSB_INSC_IfEEEEjNS9_4plusIvEENS9_8equal_toIvEEjEE10hipError_tPvRmT2_T3_T4_T5_mT6_T7_P12ihipStream_tbENKUlT_T0_E_clISt17integral_constantIbLb1EES13_EEDaSY_SZ_EUlSY_E_NS1_11comp_targetILNS1_3genE10ELNS1_11target_archE1201ELNS1_3gpuE5ELNS1_3repE0EEENS1_30default_config_static_selectorELNS0_4arch9wavefront6targetE0EEEvT1_.uses_vcc, 0
	.set _ZN7rocprim17ROCPRIM_400000_NS6detail17trampoline_kernelINS0_14default_configENS1_27scan_by_key_config_selectorIijEEZZNS1_16scan_by_key_implILNS1_25lookback_scan_determinismE0ELb0ES3_N6thrust23THRUST_200600_302600_NS6detail15normal_iteratorINS9_10device_ptrIiEEEENSB_INSC_IjEEEENSB_INSC_IfEEEEjNS9_4plusIvEENS9_8equal_toIvEEjEE10hipError_tPvRmT2_T3_T4_T5_mT6_T7_P12ihipStream_tbENKUlT_T0_E_clISt17integral_constantIbLb1EES13_EEDaSY_SZ_EUlSY_E_NS1_11comp_targetILNS1_3genE10ELNS1_11target_archE1201ELNS1_3gpuE5ELNS1_3repE0EEENS1_30default_config_static_selectorELNS0_4arch9wavefront6targetE0EEEvT1_.uses_flat_scratch, 0
	.set _ZN7rocprim17ROCPRIM_400000_NS6detail17trampoline_kernelINS0_14default_configENS1_27scan_by_key_config_selectorIijEEZZNS1_16scan_by_key_implILNS1_25lookback_scan_determinismE0ELb0ES3_N6thrust23THRUST_200600_302600_NS6detail15normal_iteratorINS9_10device_ptrIiEEEENSB_INSC_IjEEEENSB_INSC_IfEEEEjNS9_4plusIvEENS9_8equal_toIvEEjEE10hipError_tPvRmT2_T3_T4_T5_mT6_T7_P12ihipStream_tbENKUlT_T0_E_clISt17integral_constantIbLb1EES13_EEDaSY_SZ_EUlSY_E_NS1_11comp_targetILNS1_3genE10ELNS1_11target_archE1201ELNS1_3gpuE5ELNS1_3repE0EEENS1_30default_config_static_selectorELNS0_4arch9wavefront6targetE0EEEvT1_.has_dyn_sized_stack, 0
	.set _ZN7rocprim17ROCPRIM_400000_NS6detail17trampoline_kernelINS0_14default_configENS1_27scan_by_key_config_selectorIijEEZZNS1_16scan_by_key_implILNS1_25lookback_scan_determinismE0ELb0ES3_N6thrust23THRUST_200600_302600_NS6detail15normal_iteratorINS9_10device_ptrIiEEEENSB_INSC_IjEEEENSB_INSC_IfEEEEjNS9_4plusIvEENS9_8equal_toIvEEjEE10hipError_tPvRmT2_T3_T4_T5_mT6_T7_P12ihipStream_tbENKUlT_T0_E_clISt17integral_constantIbLb1EES13_EEDaSY_SZ_EUlSY_E_NS1_11comp_targetILNS1_3genE10ELNS1_11target_archE1201ELNS1_3gpuE5ELNS1_3repE0EEENS1_30default_config_static_selectorELNS0_4arch9wavefront6targetE0EEEvT1_.has_recursion, 0
	.set _ZN7rocprim17ROCPRIM_400000_NS6detail17trampoline_kernelINS0_14default_configENS1_27scan_by_key_config_selectorIijEEZZNS1_16scan_by_key_implILNS1_25lookback_scan_determinismE0ELb0ES3_N6thrust23THRUST_200600_302600_NS6detail15normal_iteratorINS9_10device_ptrIiEEEENSB_INSC_IjEEEENSB_INSC_IfEEEEjNS9_4plusIvEENS9_8equal_toIvEEjEE10hipError_tPvRmT2_T3_T4_T5_mT6_T7_P12ihipStream_tbENKUlT_T0_E_clISt17integral_constantIbLb1EES13_EEDaSY_SZ_EUlSY_E_NS1_11comp_targetILNS1_3genE10ELNS1_11target_archE1201ELNS1_3gpuE5ELNS1_3repE0EEENS1_30default_config_static_selectorELNS0_4arch9wavefront6targetE0EEEvT1_.has_indirect_call, 0
	.section	.AMDGPU.csdata,"",@progbits
; Kernel info:
; codeLenInByte = 0
; TotalNumSgprs: 0
; NumVgprs: 0
; ScratchSize: 0
; MemoryBound: 0
; FloatMode: 240
; IeeeMode: 1
; LDSByteSize: 0 bytes/workgroup (compile time only)
; SGPRBlocks: 0
; VGPRBlocks: 0
; NumSGPRsForWavesPerEU: 1
; NumVGPRsForWavesPerEU: 1
; Occupancy: 16
; WaveLimiterHint : 0
; COMPUTE_PGM_RSRC2:SCRATCH_EN: 0
; COMPUTE_PGM_RSRC2:USER_SGPR: 6
; COMPUTE_PGM_RSRC2:TRAP_HANDLER: 0
; COMPUTE_PGM_RSRC2:TGID_X_EN: 1
; COMPUTE_PGM_RSRC2:TGID_Y_EN: 0
; COMPUTE_PGM_RSRC2:TGID_Z_EN: 0
; COMPUTE_PGM_RSRC2:TIDIG_COMP_CNT: 0
	.section	.text._ZN7rocprim17ROCPRIM_400000_NS6detail17trampoline_kernelINS0_14default_configENS1_27scan_by_key_config_selectorIijEEZZNS1_16scan_by_key_implILNS1_25lookback_scan_determinismE0ELb0ES3_N6thrust23THRUST_200600_302600_NS6detail15normal_iteratorINS9_10device_ptrIiEEEENSB_INSC_IjEEEENSB_INSC_IfEEEEjNS9_4plusIvEENS9_8equal_toIvEEjEE10hipError_tPvRmT2_T3_T4_T5_mT6_T7_P12ihipStream_tbENKUlT_T0_E_clISt17integral_constantIbLb1EES13_EEDaSY_SZ_EUlSY_E_NS1_11comp_targetILNS1_3genE5ELNS1_11target_archE942ELNS1_3gpuE9ELNS1_3repE0EEENS1_30default_config_static_selectorELNS0_4arch9wavefront6targetE0EEEvT1_,"axG",@progbits,_ZN7rocprim17ROCPRIM_400000_NS6detail17trampoline_kernelINS0_14default_configENS1_27scan_by_key_config_selectorIijEEZZNS1_16scan_by_key_implILNS1_25lookback_scan_determinismE0ELb0ES3_N6thrust23THRUST_200600_302600_NS6detail15normal_iteratorINS9_10device_ptrIiEEEENSB_INSC_IjEEEENSB_INSC_IfEEEEjNS9_4plusIvEENS9_8equal_toIvEEjEE10hipError_tPvRmT2_T3_T4_T5_mT6_T7_P12ihipStream_tbENKUlT_T0_E_clISt17integral_constantIbLb1EES13_EEDaSY_SZ_EUlSY_E_NS1_11comp_targetILNS1_3genE5ELNS1_11target_archE942ELNS1_3gpuE9ELNS1_3repE0EEENS1_30default_config_static_selectorELNS0_4arch9wavefront6targetE0EEEvT1_,comdat
	.protected	_ZN7rocprim17ROCPRIM_400000_NS6detail17trampoline_kernelINS0_14default_configENS1_27scan_by_key_config_selectorIijEEZZNS1_16scan_by_key_implILNS1_25lookback_scan_determinismE0ELb0ES3_N6thrust23THRUST_200600_302600_NS6detail15normal_iteratorINS9_10device_ptrIiEEEENSB_INSC_IjEEEENSB_INSC_IfEEEEjNS9_4plusIvEENS9_8equal_toIvEEjEE10hipError_tPvRmT2_T3_T4_T5_mT6_T7_P12ihipStream_tbENKUlT_T0_E_clISt17integral_constantIbLb1EES13_EEDaSY_SZ_EUlSY_E_NS1_11comp_targetILNS1_3genE5ELNS1_11target_archE942ELNS1_3gpuE9ELNS1_3repE0EEENS1_30default_config_static_selectorELNS0_4arch9wavefront6targetE0EEEvT1_ ; -- Begin function _ZN7rocprim17ROCPRIM_400000_NS6detail17trampoline_kernelINS0_14default_configENS1_27scan_by_key_config_selectorIijEEZZNS1_16scan_by_key_implILNS1_25lookback_scan_determinismE0ELb0ES3_N6thrust23THRUST_200600_302600_NS6detail15normal_iteratorINS9_10device_ptrIiEEEENSB_INSC_IjEEEENSB_INSC_IfEEEEjNS9_4plusIvEENS9_8equal_toIvEEjEE10hipError_tPvRmT2_T3_T4_T5_mT6_T7_P12ihipStream_tbENKUlT_T0_E_clISt17integral_constantIbLb1EES13_EEDaSY_SZ_EUlSY_E_NS1_11comp_targetILNS1_3genE5ELNS1_11target_archE942ELNS1_3gpuE9ELNS1_3repE0EEENS1_30default_config_static_selectorELNS0_4arch9wavefront6targetE0EEEvT1_
	.globl	_ZN7rocprim17ROCPRIM_400000_NS6detail17trampoline_kernelINS0_14default_configENS1_27scan_by_key_config_selectorIijEEZZNS1_16scan_by_key_implILNS1_25lookback_scan_determinismE0ELb0ES3_N6thrust23THRUST_200600_302600_NS6detail15normal_iteratorINS9_10device_ptrIiEEEENSB_INSC_IjEEEENSB_INSC_IfEEEEjNS9_4plusIvEENS9_8equal_toIvEEjEE10hipError_tPvRmT2_T3_T4_T5_mT6_T7_P12ihipStream_tbENKUlT_T0_E_clISt17integral_constantIbLb1EES13_EEDaSY_SZ_EUlSY_E_NS1_11comp_targetILNS1_3genE5ELNS1_11target_archE942ELNS1_3gpuE9ELNS1_3repE0EEENS1_30default_config_static_selectorELNS0_4arch9wavefront6targetE0EEEvT1_
	.p2align	8
	.type	_ZN7rocprim17ROCPRIM_400000_NS6detail17trampoline_kernelINS0_14default_configENS1_27scan_by_key_config_selectorIijEEZZNS1_16scan_by_key_implILNS1_25lookback_scan_determinismE0ELb0ES3_N6thrust23THRUST_200600_302600_NS6detail15normal_iteratorINS9_10device_ptrIiEEEENSB_INSC_IjEEEENSB_INSC_IfEEEEjNS9_4plusIvEENS9_8equal_toIvEEjEE10hipError_tPvRmT2_T3_T4_T5_mT6_T7_P12ihipStream_tbENKUlT_T0_E_clISt17integral_constantIbLb1EES13_EEDaSY_SZ_EUlSY_E_NS1_11comp_targetILNS1_3genE5ELNS1_11target_archE942ELNS1_3gpuE9ELNS1_3repE0EEENS1_30default_config_static_selectorELNS0_4arch9wavefront6targetE0EEEvT1_,@function
_ZN7rocprim17ROCPRIM_400000_NS6detail17trampoline_kernelINS0_14default_configENS1_27scan_by_key_config_selectorIijEEZZNS1_16scan_by_key_implILNS1_25lookback_scan_determinismE0ELb0ES3_N6thrust23THRUST_200600_302600_NS6detail15normal_iteratorINS9_10device_ptrIiEEEENSB_INSC_IjEEEENSB_INSC_IfEEEEjNS9_4plusIvEENS9_8equal_toIvEEjEE10hipError_tPvRmT2_T3_T4_T5_mT6_T7_P12ihipStream_tbENKUlT_T0_E_clISt17integral_constantIbLb1EES13_EEDaSY_SZ_EUlSY_E_NS1_11comp_targetILNS1_3genE5ELNS1_11target_archE942ELNS1_3gpuE9ELNS1_3repE0EEENS1_30default_config_static_selectorELNS0_4arch9wavefront6targetE0EEEvT1_: ; @_ZN7rocprim17ROCPRIM_400000_NS6detail17trampoline_kernelINS0_14default_configENS1_27scan_by_key_config_selectorIijEEZZNS1_16scan_by_key_implILNS1_25lookback_scan_determinismE0ELb0ES3_N6thrust23THRUST_200600_302600_NS6detail15normal_iteratorINS9_10device_ptrIiEEEENSB_INSC_IjEEEENSB_INSC_IfEEEEjNS9_4plusIvEENS9_8equal_toIvEEjEE10hipError_tPvRmT2_T3_T4_T5_mT6_T7_P12ihipStream_tbENKUlT_T0_E_clISt17integral_constantIbLb1EES13_EEDaSY_SZ_EUlSY_E_NS1_11comp_targetILNS1_3genE5ELNS1_11target_archE942ELNS1_3gpuE9ELNS1_3repE0EEENS1_30default_config_static_selectorELNS0_4arch9wavefront6targetE0EEEvT1_
; %bb.0:
	.section	.rodata,"a",@progbits
	.p2align	6, 0x0
	.amdhsa_kernel _ZN7rocprim17ROCPRIM_400000_NS6detail17trampoline_kernelINS0_14default_configENS1_27scan_by_key_config_selectorIijEEZZNS1_16scan_by_key_implILNS1_25lookback_scan_determinismE0ELb0ES3_N6thrust23THRUST_200600_302600_NS6detail15normal_iteratorINS9_10device_ptrIiEEEENSB_INSC_IjEEEENSB_INSC_IfEEEEjNS9_4plusIvEENS9_8equal_toIvEEjEE10hipError_tPvRmT2_T3_T4_T5_mT6_T7_P12ihipStream_tbENKUlT_T0_E_clISt17integral_constantIbLb1EES13_EEDaSY_SZ_EUlSY_E_NS1_11comp_targetILNS1_3genE5ELNS1_11target_archE942ELNS1_3gpuE9ELNS1_3repE0EEENS1_30default_config_static_selectorELNS0_4arch9wavefront6targetE0EEEvT1_
		.amdhsa_group_segment_fixed_size 0
		.amdhsa_private_segment_fixed_size 0
		.amdhsa_kernarg_size 112
		.amdhsa_user_sgpr_count 6
		.amdhsa_user_sgpr_private_segment_buffer 1
		.amdhsa_user_sgpr_dispatch_ptr 0
		.amdhsa_user_sgpr_queue_ptr 0
		.amdhsa_user_sgpr_kernarg_segment_ptr 1
		.amdhsa_user_sgpr_dispatch_id 0
		.amdhsa_user_sgpr_flat_scratch_init 0
		.amdhsa_user_sgpr_private_segment_size 0
		.amdhsa_wavefront_size32 1
		.amdhsa_uses_dynamic_stack 0
		.amdhsa_system_sgpr_private_segment_wavefront_offset 0
		.amdhsa_system_sgpr_workgroup_id_x 1
		.amdhsa_system_sgpr_workgroup_id_y 0
		.amdhsa_system_sgpr_workgroup_id_z 0
		.amdhsa_system_sgpr_workgroup_info 0
		.amdhsa_system_vgpr_workitem_id 0
		.amdhsa_next_free_vgpr 1
		.amdhsa_next_free_sgpr 1
		.amdhsa_reserve_vcc 0
		.amdhsa_reserve_flat_scratch 0
		.amdhsa_float_round_mode_32 0
		.amdhsa_float_round_mode_16_64 0
		.amdhsa_float_denorm_mode_32 3
		.amdhsa_float_denorm_mode_16_64 3
		.amdhsa_dx10_clamp 1
		.amdhsa_ieee_mode 1
		.amdhsa_fp16_overflow 0
		.amdhsa_workgroup_processor_mode 1
		.amdhsa_memory_ordered 1
		.amdhsa_forward_progress 1
		.amdhsa_shared_vgpr_count 0
		.amdhsa_exception_fp_ieee_invalid_op 0
		.amdhsa_exception_fp_denorm_src 0
		.amdhsa_exception_fp_ieee_div_zero 0
		.amdhsa_exception_fp_ieee_overflow 0
		.amdhsa_exception_fp_ieee_underflow 0
		.amdhsa_exception_fp_ieee_inexact 0
		.amdhsa_exception_int_div_zero 0
	.end_amdhsa_kernel
	.section	.text._ZN7rocprim17ROCPRIM_400000_NS6detail17trampoline_kernelINS0_14default_configENS1_27scan_by_key_config_selectorIijEEZZNS1_16scan_by_key_implILNS1_25lookback_scan_determinismE0ELb0ES3_N6thrust23THRUST_200600_302600_NS6detail15normal_iteratorINS9_10device_ptrIiEEEENSB_INSC_IjEEEENSB_INSC_IfEEEEjNS9_4plusIvEENS9_8equal_toIvEEjEE10hipError_tPvRmT2_T3_T4_T5_mT6_T7_P12ihipStream_tbENKUlT_T0_E_clISt17integral_constantIbLb1EES13_EEDaSY_SZ_EUlSY_E_NS1_11comp_targetILNS1_3genE5ELNS1_11target_archE942ELNS1_3gpuE9ELNS1_3repE0EEENS1_30default_config_static_selectorELNS0_4arch9wavefront6targetE0EEEvT1_,"axG",@progbits,_ZN7rocprim17ROCPRIM_400000_NS6detail17trampoline_kernelINS0_14default_configENS1_27scan_by_key_config_selectorIijEEZZNS1_16scan_by_key_implILNS1_25lookback_scan_determinismE0ELb0ES3_N6thrust23THRUST_200600_302600_NS6detail15normal_iteratorINS9_10device_ptrIiEEEENSB_INSC_IjEEEENSB_INSC_IfEEEEjNS9_4plusIvEENS9_8equal_toIvEEjEE10hipError_tPvRmT2_T3_T4_T5_mT6_T7_P12ihipStream_tbENKUlT_T0_E_clISt17integral_constantIbLb1EES13_EEDaSY_SZ_EUlSY_E_NS1_11comp_targetILNS1_3genE5ELNS1_11target_archE942ELNS1_3gpuE9ELNS1_3repE0EEENS1_30default_config_static_selectorELNS0_4arch9wavefront6targetE0EEEvT1_,comdat
.Lfunc_end1655:
	.size	_ZN7rocprim17ROCPRIM_400000_NS6detail17trampoline_kernelINS0_14default_configENS1_27scan_by_key_config_selectorIijEEZZNS1_16scan_by_key_implILNS1_25lookback_scan_determinismE0ELb0ES3_N6thrust23THRUST_200600_302600_NS6detail15normal_iteratorINS9_10device_ptrIiEEEENSB_INSC_IjEEEENSB_INSC_IfEEEEjNS9_4plusIvEENS9_8equal_toIvEEjEE10hipError_tPvRmT2_T3_T4_T5_mT6_T7_P12ihipStream_tbENKUlT_T0_E_clISt17integral_constantIbLb1EES13_EEDaSY_SZ_EUlSY_E_NS1_11comp_targetILNS1_3genE5ELNS1_11target_archE942ELNS1_3gpuE9ELNS1_3repE0EEENS1_30default_config_static_selectorELNS0_4arch9wavefront6targetE0EEEvT1_, .Lfunc_end1655-_ZN7rocprim17ROCPRIM_400000_NS6detail17trampoline_kernelINS0_14default_configENS1_27scan_by_key_config_selectorIijEEZZNS1_16scan_by_key_implILNS1_25lookback_scan_determinismE0ELb0ES3_N6thrust23THRUST_200600_302600_NS6detail15normal_iteratorINS9_10device_ptrIiEEEENSB_INSC_IjEEEENSB_INSC_IfEEEEjNS9_4plusIvEENS9_8equal_toIvEEjEE10hipError_tPvRmT2_T3_T4_T5_mT6_T7_P12ihipStream_tbENKUlT_T0_E_clISt17integral_constantIbLb1EES13_EEDaSY_SZ_EUlSY_E_NS1_11comp_targetILNS1_3genE5ELNS1_11target_archE942ELNS1_3gpuE9ELNS1_3repE0EEENS1_30default_config_static_selectorELNS0_4arch9wavefront6targetE0EEEvT1_
                                        ; -- End function
	.set _ZN7rocprim17ROCPRIM_400000_NS6detail17trampoline_kernelINS0_14default_configENS1_27scan_by_key_config_selectorIijEEZZNS1_16scan_by_key_implILNS1_25lookback_scan_determinismE0ELb0ES3_N6thrust23THRUST_200600_302600_NS6detail15normal_iteratorINS9_10device_ptrIiEEEENSB_INSC_IjEEEENSB_INSC_IfEEEEjNS9_4plusIvEENS9_8equal_toIvEEjEE10hipError_tPvRmT2_T3_T4_T5_mT6_T7_P12ihipStream_tbENKUlT_T0_E_clISt17integral_constantIbLb1EES13_EEDaSY_SZ_EUlSY_E_NS1_11comp_targetILNS1_3genE5ELNS1_11target_archE942ELNS1_3gpuE9ELNS1_3repE0EEENS1_30default_config_static_selectorELNS0_4arch9wavefront6targetE0EEEvT1_.num_vgpr, 0
	.set _ZN7rocprim17ROCPRIM_400000_NS6detail17trampoline_kernelINS0_14default_configENS1_27scan_by_key_config_selectorIijEEZZNS1_16scan_by_key_implILNS1_25lookback_scan_determinismE0ELb0ES3_N6thrust23THRUST_200600_302600_NS6detail15normal_iteratorINS9_10device_ptrIiEEEENSB_INSC_IjEEEENSB_INSC_IfEEEEjNS9_4plusIvEENS9_8equal_toIvEEjEE10hipError_tPvRmT2_T3_T4_T5_mT6_T7_P12ihipStream_tbENKUlT_T0_E_clISt17integral_constantIbLb1EES13_EEDaSY_SZ_EUlSY_E_NS1_11comp_targetILNS1_3genE5ELNS1_11target_archE942ELNS1_3gpuE9ELNS1_3repE0EEENS1_30default_config_static_selectorELNS0_4arch9wavefront6targetE0EEEvT1_.num_agpr, 0
	.set _ZN7rocprim17ROCPRIM_400000_NS6detail17trampoline_kernelINS0_14default_configENS1_27scan_by_key_config_selectorIijEEZZNS1_16scan_by_key_implILNS1_25lookback_scan_determinismE0ELb0ES3_N6thrust23THRUST_200600_302600_NS6detail15normal_iteratorINS9_10device_ptrIiEEEENSB_INSC_IjEEEENSB_INSC_IfEEEEjNS9_4plusIvEENS9_8equal_toIvEEjEE10hipError_tPvRmT2_T3_T4_T5_mT6_T7_P12ihipStream_tbENKUlT_T0_E_clISt17integral_constantIbLb1EES13_EEDaSY_SZ_EUlSY_E_NS1_11comp_targetILNS1_3genE5ELNS1_11target_archE942ELNS1_3gpuE9ELNS1_3repE0EEENS1_30default_config_static_selectorELNS0_4arch9wavefront6targetE0EEEvT1_.numbered_sgpr, 0
	.set _ZN7rocprim17ROCPRIM_400000_NS6detail17trampoline_kernelINS0_14default_configENS1_27scan_by_key_config_selectorIijEEZZNS1_16scan_by_key_implILNS1_25lookback_scan_determinismE0ELb0ES3_N6thrust23THRUST_200600_302600_NS6detail15normal_iteratorINS9_10device_ptrIiEEEENSB_INSC_IjEEEENSB_INSC_IfEEEEjNS9_4plusIvEENS9_8equal_toIvEEjEE10hipError_tPvRmT2_T3_T4_T5_mT6_T7_P12ihipStream_tbENKUlT_T0_E_clISt17integral_constantIbLb1EES13_EEDaSY_SZ_EUlSY_E_NS1_11comp_targetILNS1_3genE5ELNS1_11target_archE942ELNS1_3gpuE9ELNS1_3repE0EEENS1_30default_config_static_selectorELNS0_4arch9wavefront6targetE0EEEvT1_.num_named_barrier, 0
	.set _ZN7rocprim17ROCPRIM_400000_NS6detail17trampoline_kernelINS0_14default_configENS1_27scan_by_key_config_selectorIijEEZZNS1_16scan_by_key_implILNS1_25lookback_scan_determinismE0ELb0ES3_N6thrust23THRUST_200600_302600_NS6detail15normal_iteratorINS9_10device_ptrIiEEEENSB_INSC_IjEEEENSB_INSC_IfEEEEjNS9_4plusIvEENS9_8equal_toIvEEjEE10hipError_tPvRmT2_T3_T4_T5_mT6_T7_P12ihipStream_tbENKUlT_T0_E_clISt17integral_constantIbLb1EES13_EEDaSY_SZ_EUlSY_E_NS1_11comp_targetILNS1_3genE5ELNS1_11target_archE942ELNS1_3gpuE9ELNS1_3repE0EEENS1_30default_config_static_selectorELNS0_4arch9wavefront6targetE0EEEvT1_.private_seg_size, 0
	.set _ZN7rocprim17ROCPRIM_400000_NS6detail17trampoline_kernelINS0_14default_configENS1_27scan_by_key_config_selectorIijEEZZNS1_16scan_by_key_implILNS1_25lookback_scan_determinismE0ELb0ES3_N6thrust23THRUST_200600_302600_NS6detail15normal_iteratorINS9_10device_ptrIiEEEENSB_INSC_IjEEEENSB_INSC_IfEEEEjNS9_4plusIvEENS9_8equal_toIvEEjEE10hipError_tPvRmT2_T3_T4_T5_mT6_T7_P12ihipStream_tbENKUlT_T0_E_clISt17integral_constantIbLb1EES13_EEDaSY_SZ_EUlSY_E_NS1_11comp_targetILNS1_3genE5ELNS1_11target_archE942ELNS1_3gpuE9ELNS1_3repE0EEENS1_30default_config_static_selectorELNS0_4arch9wavefront6targetE0EEEvT1_.uses_vcc, 0
	.set _ZN7rocprim17ROCPRIM_400000_NS6detail17trampoline_kernelINS0_14default_configENS1_27scan_by_key_config_selectorIijEEZZNS1_16scan_by_key_implILNS1_25lookback_scan_determinismE0ELb0ES3_N6thrust23THRUST_200600_302600_NS6detail15normal_iteratorINS9_10device_ptrIiEEEENSB_INSC_IjEEEENSB_INSC_IfEEEEjNS9_4plusIvEENS9_8equal_toIvEEjEE10hipError_tPvRmT2_T3_T4_T5_mT6_T7_P12ihipStream_tbENKUlT_T0_E_clISt17integral_constantIbLb1EES13_EEDaSY_SZ_EUlSY_E_NS1_11comp_targetILNS1_3genE5ELNS1_11target_archE942ELNS1_3gpuE9ELNS1_3repE0EEENS1_30default_config_static_selectorELNS0_4arch9wavefront6targetE0EEEvT1_.uses_flat_scratch, 0
	.set _ZN7rocprim17ROCPRIM_400000_NS6detail17trampoline_kernelINS0_14default_configENS1_27scan_by_key_config_selectorIijEEZZNS1_16scan_by_key_implILNS1_25lookback_scan_determinismE0ELb0ES3_N6thrust23THRUST_200600_302600_NS6detail15normal_iteratorINS9_10device_ptrIiEEEENSB_INSC_IjEEEENSB_INSC_IfEEEEjNS9_4plusIvEENS9_8equal_toIvEEjEE10hipError_tPvRmT2_T3_T4_T5_mT6_T7_P12ihipStream_tbENKUlT_T0_E_clISt17integral_constantIbLb1EES13_EEDaSY_SZ_EUlSY_E_NS1_11comp_targetILNS1_3genE5ELNS1_11target_archE942ELNS1_3gpuE9ELNS1_3repE0EEENS1_30default_config_static_selectorELNS0_4arch9wavefront6targetE0EEEvT1_.has_dyn_sized_stack, 0
	.set _ZN7rocprim17ROCPRIM_400000_NS6detail17trampoline_kernelINS0_14default_configENS1_27scan_by_key_config_selectorIijEEZZNS1_16scan_by_key_implILNS1_25lookback_scan_determinismE0ELb0ES3_N6thrust23THRUST_200600_302600_NS6detail15normal_iteratorINS9_10device_ptrIiEEEENSB_INSC_IjEEEENSB_INSC_IfEEEEjNS9_4plusIvEENS9_8equal_toIvEEjEE10hipError_tPvRmT2_T3_T4_T5_mT6_T7_P12ihipStream_tbENKUlT_T0_E_clISt17integral_constantIbLb1EES13_EEDaSY_SZ_EUlSY_E_NS1_11comp_targetILNS1_3genE5ELNS1_11target_archE942ELNS1_3gpuE9ELNS1_3repE0EEENS1_30default_config_static_selectorELNS0_4arch9wavefront6targetE0EEEvT1_.has_recursion, 0
	.set _ZN7rocprim17ROCPRIM_400000_NS6detail17trampoline_kernelINS0_14default_configENS1_27scan_by_key_config_selectorIijEEZZNS1_16scan_by_key_implILNS1_25lookback_scan_determinismE0ELb0ES3_N6thrust23THRUST_200600_302600_NS6detail15normal_iteratorINS9_10device_ptrIiEEEENSB_INSC_IjEEEENSB_INSC_IfEEEEjNS9_4plusIvEENS9_8equal_toIvEEjEE10hipError_tPvRmT2_T3_T4_T5_mT6_T7_P12ihipStream_tbENKUlT_T0_E_clISt17integral_constantIbLb1EES13_EEDaSY_SZ_EUlSY_E_NS1_11comp_targetILNS1_3genE5ELNS1_11target_archE942ELNS1_3gpuE9ELNS1_3repE0EEENS1_30default_config_static_selectorELNS0_4arch9wavefront6targetE0EEEvT1_.has_indirect_call, 0
	.section	.AMDGPU.csdata,"",@progbits
; Kernel info:
; codeLenInByte = 0
; TotalNumSgprs: 0
; NumVgprs: 0
; ScratchSize: 0
; MemoryBound: 0
; FloatMode: 240
; IeeeMode: 1
; LDSByteSize: 0 bytes/workgroup (compile time only)
; SGPRBlocks: 0
; VGPRBlocks: 0
; NumSGPRsForWavesPerEU: 1
; NumVGPRsForWavesPerEU: 1
; Occupancy: 16
; WaveLimiterHint : 0
; COMPUTE_PGM_RSRC2:SCRATCH_EN: 0
; COMPUTE_PGM_RSRC2:USER_SGPR: 6
; COMPUTE_PGM_RSRC2:TRAP_HANDLER: 0
; COMPUTE_PGM_RSRC2:TGID_X_EN: 1
; COMPUTE_PGM_RSRC2:TGID_Y_EN: 0
; COMPUTE_PGM_RSRC2:TGID_Z_EN: 0
; COMPUTE_PGM_RSRC2:TIDIG_COMP_CNT: 0
	.section	.text._ZN7rocprim17ROCPRIM_400000_NS6detail17trampoline_kernelINS0_14default_configENS1_27scan_by_key_config_selectorIijEEZZNS1_16scan_by_key_implILNS1_25lookback_scan_determinismE0ELb0ES3_N6thrust23THRUST_200600_302600_NS6detail15normal_iteratorINS9_10device_ptrIiEEEENSB_INSC_IjEEEENSB_INSC_IfEEEEjNS9_4plusIvEENS9_8equal_toIvEEjEE10hipError_tPvRmT2_T3_T4_T5_mT6_T7_P12ihipStream_tbENKUlT_T0_E_clISt17integral_constantIbLb1EES13_EEDaSY_SZ_EUlSY_E_NS1_11comp_targetILNS1_3genE4ELNS1_11target_archE910ELNS1_3gpuE8ELNS1_3repE0EEENS1_30default_config_static_selectorELNS0_4arch9wavefront6targetE0EEEvT1_,"axG",@progbits,_ZN7rocprim17ROCPRIM_400000_NS6detail17trampoline_kernelINS0_14default_configENS1_27scan_by_key_config_selectorIijEEZZNS1_16scan_by_key_implILNS1_25lookback_scan_determinismE0ELb0ES3_N6thrust23THRUST_200600_302600_NS6detail15normal_iteratorINS9_10device_ptrIiEEEENSB_INSC_IjEEEENSB_INSC_IfEEEEjNS9_4plusIvEENS9_8equal_toIvEEjEE10hipError_tPvRmT2_T3_T4_T5_mT6_T7_P12ihipStream_tbENKUlT_T0_E_clISt17integral_constantIbLb1EES13_EEDaSY_SZ_EUlSY_E_NS1_11comp_targetILNS1_3genE4ELNS1_11target_archE910ELNS1_3gpuE8ELNS1_3repE0EEENS1_30default_config_static_selectorELNS0_4arch9wavefront6targetE0EEEvT1_,comdat
	.protected	_ZN7rocprim17ROCPRIM_400000_NS6detail17trampoline_kernelINS0_14default_configENS1_27scan_by_key_config_selectorIijEEZZNS1_16scan_by_key_implILNS1_25lookback_scan_determinismE0ELb0ES3_N6thrust23THRUST_200600_302600_NS6detail15normal_iteratorINS9_10device_ptrIiEEEENSB_INSC_IjEEEENSB_INSC_IfEEEEjNS9_4plusIvEENS9_8equal_toIvEEjEE10hipError_tPvRmT2_T3_T4_T5_mT6_T7_P12ihipStream_tbENKUlT_T0_E_clISt17integral_constantIbLb1EES13_EEDaSY_SZ_EUlSY_E_NS1_11comp_targetILNS1_3genE4ELNS1_11target_archE910ELNS1_3gpuE8ELNS1_3repE0EEENS1_30default_config_static_selectorELNS0_4arch9wavefront6targetE0EEEvT1_ ; -- Begin function _ZN7rocprim17ROCPRIM_400000_NS6detail17trampoline_kernelINS0_14default_configENS1_27scan_by_key_config_selectorIijEEZZNS1_16scan_by_key_implILNS1_25lookback_scan_determinismE0ELb0ES3_N6thrust23THRUST_200600_302600_NS6detail15normal_iteratorINS9_10device_ptrIiEEEENSB_INSC_IjEEEENSB_INSC_IfEEEEjNS9_4plusIvEENS9_8equal_toIvEEjEE10hipError_tPvRmT2_T3_T4_T5_mT6_T7_P12ihipStream_tbENKUlT_T0_E_clISt17integral_constantIbLb1EES13_EEDaSY_SZ_EUlSY_E_NS1_11comp_targetILNS1_3genE4ELNS1_11target_archE910ELNS1_3gpuE8ELNS1_3repE0EEENS1_30default_config_static_selectorELNS0_4arch9wavefront6targetE0EEEvT1_
	.globl	_ZN7rocprim17ROCPRIM_400000_NS6detail17trampoline_kernelINS0_14default_configENS1_27scan_by_key_config_selectorIijEEZZNS1_16scan_by_key_implILNS1_25lookback_scan_determinismE0ELb0ES3_N6thrust23THRUST_200600_302600_NS6detail15normal_iteratorINS9_10device_ptrIiEEEENSB_INSC_IjEEEENSB_INSC_IfEEEEjNS9_4plusIvEENS9_8equal_toIvEEjEE10hipError_tPvRmT2_T3_T4_T5_mT6_T7_P12ihipStream_tbENKUlT_T0_E_clISt17integral_constantIbLb1EES13_EEDaSY_SZ_EUlSY_E_NS1_11comp_targetILNS1_3genE4ELNS1_11target_archE910ELNS1_3gpuE8ELNS1_3repE0EEENS1_30default_config_static_selectorELNS0_4arch9wavefront6targetE0EEEvT1_
	.p2align	8
	.type	_ZN7rocprim17ROCPRIM_400000_NS6detail17trampoline_kernelINS0_14default_configENS1_27scan_by_key_config_selectorIijEEZZNS1_16scan_by_key_implILNS1_25lookback_scan_determinismE0ELb0ES3_N6thrust23THRUST_200600_302600_NS6detail15normal_iteratorINS9_10device_ptrIiEEEENSB_INSC_IjEEEENSB_INSC_IfEEEEjNS9_4plusIvEENS9_8equal_toIvEEjEE10hipError_tPvRmT2_T3_T4_T5_mT6_T7_P12ihipStream_tbENKUlT_T0_E_clISt17integral_constantIbLb1EES13_EEDaSY_SZ_EUlSY_E_NS1_11comp_targetILNS1_3genE4ELNS1_11target_archE910ELNS1_3gpuE8ELNS1_3repE0EEENS1_30default_config_static_selectorELNS0_4arch9wavefront6targetE0EEEvT1_,@function
_ZN7rocprim17ROCPRIM_400000_NS6detail17trampoline_kernelINS0_14default_configENS1_27scan_by_key_config_selectorIijEEZZNS1_16scan_by_key_implILNS1_25lookback_scan_determinismE0ELb0ES3_N6thrust23THRUST_200600_302600_NS6detail15normal_iteratorINS9_10device_ptrIiEEEENSB_INSC_IjEEEENSB_INSC_IfEEEEjNS9_4plusIvEENS9_8equal_toIvEEjEE10hipError_tPvRmT2_T3_T4_T5_mT6_T7_P12ihipStream_tbENKUlT_T0_E_clISt17integral_constantIbLb1EES13_EEDaSY_SZ_EUlSY_E_NS1_11comp_targetILNS1_3genE4ELNS1_11target_archE910ELNS1_3gpuE8ELNS1_3repE0EEENS1_30default_config_static_selectorELNS0_4arch9wavefront6targetE0EEEvT1_: ; @_ZN7rocprim17ROCPRIM_400000_NS6detail17trampoline_kernelINS0_14default_configENS1_27scan_by_key_config_selectorIijEEZZNS1_16scan_by_key_implILNS1_25lookback_scan_determinismE0ELb0ES3_N6thrust23THRUST_200600_302600_NS6detail15normal_iteratorINS9_10device_ptrIiEEEENSB_INSC_IjEEEENSB_INSC_IfEEEEjNS9_4plusIvEENS9_8equal_toIvEEjEE10hipError_tPvRmT2_T3_T4_T5_mT6_T7_P12ihipStream_tbENKUlT_T0_E_clISt17integral_constantIbLb1EES13_EEDaSY_SZ_EUlSY_E_NS1_11comp_targetILNS1_3genE4ELNS1_11target_archE910ELNS1_3gpuE8ELNS1_3repE0EEENS1_30default_config_static_selectorELNS0_4arch9wavefront6targetE0EEEvT1_
; %bb.0:
	.section	.rodata,"a",@progbits
	.p2align	6, 0x0
	.amdhsa_kernel _ZN7rocprim17ROCPRIM_400000_NS6detail17trampoline_kernelINS0_14default_configENS1_27scan_by_key_config_selectorIijEEZZNS1_16scan_by_key_implILNS1_25lookback_scan_determinismE0ELb0ES3_N6thrust23THRUST_200600_302600_NS6detail15normal_iteratorINS9_10device_ptrIiEEEENSB_INSC_IjEEEENSB_INSC_IfEEEEjNS9_4plusIvEENS9_8equal_toIvEEjEE10hipError_tPvRmT2_T3_T4_T5_mT6_T7_P12ihipStream_tbENKUlT_T0_E_clISt17integral_constantIbLb1EES13_EEDaSY_SZ_EUlSY_E_NS1_11comp_targetILNS1_3genE4ELNS1_11target_archE910ELNS1_3gpuE8ELNS1_3repE0EEENS1_30default_config_static_selectorELNS0_4arch9wavefront6targetE0EEEvT1_
		.amdhsa_group_segment_fixed_size 0
		.amdhsa_private_segment_fixed_size 0
		.amdhsa_kernarg_size 112
		.amdhsa_user_sgpr_count 6
		.amdhsa_user_sgpr_private_segment_buffer 1
		.amdhsa_user_sgpr_dispatch_ptr 0
		.amdhsa_user_sgpr_queue_ptr 0
		.amdhsa_user_sgpr_kernarg_segment_ptr 1
		.amdhsa_user_sgpr_dispatch_id 0
		.amdhsa_user_sgpr_flat_scratch_init 0
		.amdhsa_user_sgpr_private_segment_size 0
		.amdhsa_wavefront_size32 1
		.amdhsa_uses_dynamic_stack 0
		.amdhsa_system_sgpr_private_segment_wavefront_offset 0
		.amdhsa_system_sgpr_workgroup_id_x 1
		.amdhsa_system_sgpr_workgroup_id_y 0
		.amdhsa_system_sgpr_workgroup_id_z 0
		.amdhsa_system_sgpr_workgroup_info 0
		.amdhsa_system_vgpr_workitem_id 0
		.amdhsa_next_free_vgpr 1
		.amdhsa_next_free_sgpr 1
		.amdhsa_reserve_vcc 0
		.amdhsa_reserve_flat_scratch 0
		.amdhsa_float_round_mode_32 0
		.amdhsa_float_round_mode_16_64 0
		.amdhsa_float_denorm_mode_32 3
		.amdhsa_float_denorm_mode_16_64 3
		.amdhsa_dx10_clamp 1
		.amdhsa_ieee_mode 1
		.amdhsa_fp16_overflow 0
		.amdhsa_workgroup_processor_mode 1
		.amdhsa_memory_ordered 1
		.amdhsa_forward_progress 1
		.amdhsa_shared_vgpr_count 0
		.amdhsa_exception_fp_ieee_invalid_op 0
		.amdhsa_exception_fp_denorm_src 0
		.amdhsa_exception_fp_ieee_div_zero 0
		.amdhsa_exception_fp_ieee_overflow 0
		.amdhsa_exception_fp_ieee_underflow 0
		.amdhsa_exception_fp_ieee_inexact 0
		.amdhsa_exception_int_div_zero 0
	.end_amdhsa_kernel
	.section	.text._ZN7rocprim17ROCPRIM_400000_NS6detail17trampoline_kernelINS0_14default_configENS1_27scan_by_key_config_selectorIijEEZZNS1_16scan_by_key_implILNS1_25lookback_scan_determinismE0ELb0ES3_N6thrust23THRUST_200600_302600_NS6detail15normal_iteratorINS9_10device_ptrIiEEEENSB_INSC_IjEEEENSB_INSC_IfEEEEjNS9_4plusIvEENS9_8equal_toIvEEjEE10hipError_tPvRmT2_T3_T4_T5_mT6_T7_P12ihipStream_tbENKUlT_T0_E_clISt17integral_constantIbLb1EES13_EEDaSY_SZ_EUlSY_E_NS1_11comp_targetILNS1_3genE4ELNS1_11target_archE910ELNS1_3gpuE8ELNS1_3repE0EEENS1_30default_config_static_selectorELNS0_4arch9wavefront6targetE0EEEvT1_,"axG",@progbits,_ZN7rocprim17ROCPRIM_400000_NS6detail17trampoline_kernelINS0_14default_configENS1_27scan_by_key_config_selectorIijEEZZNS1_16scan_by_key_implILNS1_25lookback_scan_determinismE0ELb0ES3_N6thrust23THRUST_200600_302600_NS6detail15normal_iteratorINS9_10device_ptrIiEEEENSB_INSC_IjEEEENSB_INSC_IfEEEEjNS9_4plusIvEENS9_8equal_toIvEEjEE10hipError_tPvRmT2_T3_T4_T5_mT6_T7_P12ihipStream_tbENKUlT_T0_E_clISt17integral_constantIbLb1EES13_EEDaSY_SZ_EUlSY_E_NS1_11comp_targetILNS1_3genE4ELNS1_11target_archE910ELNS1_3gpuE8ELNS1_3repE0EEENS1_30default_config_static_selectorELNS0_4arch9wavefront6targetE0EEEvT1_,comdat
.Lfunc_end1656:
	.size	_ZN7rocprim17ROCPRIM_400000_NS6detail17trampoline_kernelINS0_14default_configENS1_27scan_by_key_config_selectorIijEEZZNS1_16scan_by_key_implILNS1_25lookback_scan_determinismE0ELb0ES3_N6thrust23THRUST_200600_302600_NS6detail15normal_iteratorINS9_10device_ptrIiEEEENSB_INSC_IjEEEENSB_INSC_IfEEEEjNS9_4plusIvEENS9_8equal_toIvEEjEE10hipError_tPvRmT2_T3_T4_T5_mT6_T7_P12ihipStream_tbENKUlT_T0_E_clISt17integral_constantIbLb1EES13_EEDaSY_SZ_EUlSY_E_NS1_11comp_targetILNS1_3genE4ELNS1_11target_archE910ELNS1_3gpuE8ELNS1_3repE0EEENS1_30default_config_static_selectorELNS0_4arch9wavefront6targetE0EEEvT1_, .Lfunc_end1656-_ZN7rocprim17ROCPRIM_400000_NS6detail17trampoline_kernelINS0_14default_configENS1_27scan_by_key_config_selectorIijEEZZNS1_16scan_by_key_implILNS1_25lookback_scan_determinismE0ELb0ES3_N6thrust23THRUST_200600_302600_NS6detail15normal_iteratorINS9_10device_ptrIiEEEENSB_INSC_IjEEEENSB_INSC_IfEEEEjNS9_4plusIvEENS9_8equal_toIvEEjEE10hipError_tPvRmT2_T3_T4_T5_mT6_T7_P12ihipStream_tbENKUlT_T0_E_clISt17integral_constantIbLb1EES13_EEDaSY_SZ_EUlSY_E_NS1_11comp_targetILNS1_3genE4ELNS1_11target_archE910ELNS1_3gpuE8ELNS1_3repE0EEENS1_30default_config_static_selectorELNS0_4arch9wavefront6targetE0EEEvT1_
                                        ; -- End function
	.set _ZN7rocprim17ROCPRIM_400000_NS6detail17trampoline_kernelINS0_14default_configENS1_27scan_by_key_config_selectorIijEEZZNS1_16scan_by_key_implILNS1_25lookback_scan_determinismE0ELb0ES3_N6thrust23THRUST_200600_302600_NS6detail15normal_iteratorINS9_10device_ptrIiEEEENSB_INSC_IjEEEENSB_INSC_IfEEEEjNS9_4plusIvEENS9_8equal_toIvEEjEE10hipError_tPvRmT2_T3_T4_T5_mT6_T7_P12ihipStream_tbENKUlT_T0_E_clISt17integral_constantIbLb1EES13_EEDaSY_SZ_EUlSY_E_NS1_11comp_targetILNS1_3genE4ELNS1_11target_archE910ELNS1_3gpuE8ELNS1_3repE0EEENS1_30default_config_static_selectorELNS0_4arch9wavefront6targetE0EEEvT1_.num_vgpr, 0
	.set _ZN7rocprim17ROCPRIM_400000_NS6detail17trampoline_kernelINS0_14default_configENS1_27scan_by_key_config_selectorIijEEZZNS1_16scan_by_key_implILNS1_25lookback_scan_determinismE0ELb0ES3_N6thrust23THRUST_200600_302600_NS6detail15normal_iteratorINS9_10device_ptrIiEEEENSB_INSC_IjEEEENSB_INSC_IfEEEEjNS9_4plusIvEENS9_8equal_toIvEEjEE10hipError_tPvRmT2_T3_T4_T5_mT6_T7_P12ihipStream_tbENKUlT_T0_E_clISt17integral_constantIbLb1EES13_EEDaSY_SZ_EUlSY_E_NS1_11comp_targetILNS1_3genE4ELNS1_11target_archE910ELNS1_3gpuE8ELNS1_3repE0EEENS1_30default_config_static_selectorELNS0_4arch9wavefront6targetE0EEEvT1_.num_agpr, 0
	.set _ZN7rocprim17ROCPRIM_400000_NS6detail17trampoline_kernelINS0_14default_configENS1_27scan_by_key_config_selectorIijEEZZNS1_16scan_by_key_implILNS1_25lookback_scan_determinismE0ELb0ES3_N6thrust23THRUST_200600_302600_NS6detail15normal_iteratorINS9_10device_ptrIiEEEENSB_INSC_IjEEEENSB_INSC_IfEEEEjNS9_4plusIvEENS9_8equal_toIvEEjEE10hipError_tPvRmT2_T3_T4_T5_mT6_T7_P12ihipStream_tbENKUlT_T0_E_clISt17integral_constantIbLb1EES13_EEDaSY_SZ_EUlSY_E_NS1_11comp_targetILNS1_3genE4ELNS1_11target_archE910ELNS1_3gpuE8ELNS1_3repE0EEENS1_30default_config_static_selectorELNS0_4arch9wavefront6targetE0EEEvT1_.numbered_sgpr, 0
	.set _ZN7rocprim17ROCPRIM_400000_NS6detail17trampoline_kernelINS0_14default_configENS1_27scan_by_key_config_selectorIijEEZZNS1_16scan_by_key_implILNS1_25lookback_scan_determinismE0ELb0ES3_N6thrust23THRUST_200600_302600_NS6detail15normal_iteratorINS9_10device_ptrIiEEEENSB_INSC_IjEEEENSB_INSC_IfEEEEjNS9_4plusIvEENS9_8equal_toIvEEjEE10hipError_tPvRmT2_T3_T4_T5_mT6_T7_P12ihipStream_tbENKUlT_T0_E_clISt17integral_constantIbLb1EES13_EEDaSY_SZ_EUlSY_E_NS1_11comp_targetILNS1_3genE4ELNS1_11target_archE910ELNS1_3gpuE8ELNS1_3repE0EEENS1_30default_config_static_selectorELNS0_4arch9wavefront6targetE0EEEvT1_.num_named_barrier, 0
	.set _ZN7rocprim17ROCPRIM_400000_NS6detail17trampoline_kernelINS0_14default_configENS1_27scan_by_key_config_selectorIijEEZZNS1_16scan_by_key_implILNS1_25lookback_scan_determinismE0ELb0ES3_N6thrust23THRUST_200600_302600_NS6detail15normal_iteratorINS9_10device_ptrIiEEEENSB_INSC_IjEEEENSB_INSC_IfEEEEjNS9_4plusIvEENS9_8equal_toIvEEjEE10hipError_tPvRmT2_T3_T4_T5_mT6_T7_P12ihipStream_tbENKUlT_T0_E_clISt17integral_constantIbLb1EES13_EEDaSY_SZ_EUlSY_E_NS1_11comp_targetILNS1_3genE4ELNS1_11target_archE910ELNS1_3gpuE8ELNS1_3repE0EEENS1_30default_config_static_selectorELNS0_4arch9wavefront6targetE0EEEvT1_.private_seg_size, 0
	.set _ZN7rocprim17ROCPRIM_400000_NS6detail17trampoline_kernelINS0_14default_configENS1_27scan_by_key_config_selectorIijEEZZNS1_16scan_by_key_implILNS1_25lookback_scan_determinismE0ELb0ES3_N6thrust23THRUST_200600_302600_NS6detail15normal_iteratorINS9_10device_ptrIiEEEENSB_INSC_IjEEEENSB_INSC_IfEEEEjNS9_4plusIvEENS9_8equal_toIvEEjEE10hipError_tPvRmT2_T3_T4_T5_mT6_T7_P12ihipStream_tbENKUlT_T0_E_clISt17integral_constantIbLb1EES13_EEDaSY_SZ_EUlSY_E_NS1_11comp_targetILNS1_3genE4ELNS1_11target_archE910ELNS1_3gpuE8ELNS1_3repE0EEENS1_30default_config_static_selectorELNS0_4arch9wavefront6targetE0EEEvT1_.uses_vcc, 0
	.set _ZN7rocprim17ROCPRIM_400000_NS6detail17trampoline_kernelINS0_14default_configENS1_27scan_by_key_config_selectorIijEEZZNS1_16scan_by_key_implILNS1_25lookback_scan_determinismE0ELb0ES3_N6thrust23THRUST_200600_302600_NS6detail15normal_iteratorINS9_10device_ptrIiEEEENSB_INSC_IjEEEENSB_INSC_IfEEEEjNS9_4plusIvEENS9_8equal_toIvEEjEE10hipError_tPvRmT2_T3_T4_T5_mT6_T7_P12ihipStream_tbENKUlT_T0_E_clISt17integral_constantIbLb1EES13_EEDaSY_SZ_EUlSY_E_NS1_11comp_targetILNS1_3genE4ELNS1_11target_archE910ELNS1_3gpuE8ELNS1_3repE0EEENS1_30default_config_static_selectorELNS0_4arch9wavefront6targetE0EEEvT1_.uses_flat_scratch, 0
	.set _ZN7rocprim17ROCPRIM_400000_NS6detail17trampoline_kernelINS0_14default_configENS1_27scan_by_key_config_selectorIijEEZZNS1_16scan_by_key_implILNS1_25lookback_scan_determinismE0ELb0ES3_N6thrust23THRUST_200600_302600_NS6detail15normal_iteratorINS9_10device_ptrIiEEEENSB_INSC_IjEEEENSB_INSC_IfEEEEjNS9_4plusIvEENS9_8equal_toIvEEjEE10hipError_tPvRmT2_T3_T4_T5_mT6_T7_P12ihipStream_tbENKUlT_T0_E_clISt17integral_constantIbLb1EES13_EEDaSY_SZ_EUlSY_E_NS1_11comp_targetILNS1_3genE4ELNS1_11target_archE910ELNS1_3gpuE8ELNS1_3repE0EEENS1_30default_config_static_selectorELNS0_4arch9wavefront6targetE0EEEvT1_.has_dyn_sized_stack, 0
	.set _ZN7rocprim17ROCPRIM_400000_NS6detail17trampoline_kernelINS0_14default_configENS1_27scan_by_key_config_selectorIijEEZZNS1_16scan_by_key_implILNS1_25lookback_scan_determinismE0ELb0ES3_N6thrust23THRUST_200600_302600_NS6detail15normal_iteratorINS9_10device_ptrIiEEEENSB_INSC_IjEEEENSB_INSC_IfEEEEjNS9_4plusIvEENS9_8equal_toIvEEjEE10hipError_tPvRmT2_T3_T4_T5_mT6_T7_P12ihipStream_tbENKUlT_T0_E_clISt17integral_constantIbLb1EES13_EEDaSY_SZ_EUlSY_E_NS1_11comp_targetILNS1_3genE4ELNS1_11target_archE910ELNS1_3gpuE8ELNS1_3repE0EEENS1_30default_config_static_selectorELNS0_4arch9wavefront6targetE0EEEvT1_.has_recursion, 0
	.set _ZN7rocprim17ROCPRIM_400000_NS6detail17trampoline_kernelINS0_14default_configENS1_27scan_by_key_config_selectorIijEEZZNS1_16scan_by_key_implILNS1_25lookback_scan_determinismE0ELb0ES3_N6thrust23THRUST_200600_302600_NS6detail15normal_iteratorINS9_10device_ptrIiEEEENSB_INSC_IjEEEENSB_INSC_IfEEEEjNS9_4plusIvEENS9_8equal_toIvEEjEE10hipError_tPvRmT2_T3_T4_T5_mT6_T7_P12ihipStream_tbENKUlT_T0_E_clISt17integral_constantIbLb1EES13_EEDaSY_SZ_EUlSY_E_NS1_11comp_targetILNS1_3genE4ELNS1_11target_archE910ELNS1_3gpuE8ELNS1_3repE0EEENS1_30default_config_static_selectorELNS0_4arch9wavefront6targetE0EEEvT1_.has_indirect_call, 0
	.section	.AMDGPU.csdata,"",@progbits
; Kernel info:
; codeLenInByte = 0
; TotalNumSgprs: 0
; NumVgprs: 0
; ScratchSize: 0
; MemoryBound: 0
; FloatMode: 240
; IeeeMode: 1
; LDSByteSize: 0 bytes/workgroup (compile time only)
; SGPRBlocks: 0
; VGPRBlocks: 0
; NumSGPRsForWavesPerEU: 1
; NumVGPRsForWavesPerEU: 1
; Occupancy: 16
; WaveLimiterHint : 0
; COMPUTE_PGM_RSRC2:SCRATCH_EN: 0
; COMPUTE_PGM_RSRC2:USER_SGPR: 6
; COMPUTE_PGM_RSRC2:TRAP_HANDLER: 0
; COMPUTE_PGM_RSRC2:TGID_X_EN: 1
; COMPUTE_PGM_RSRC2:TGID_Y_EN: 0
; COMPUTE_PGM_RSRC2:TGID_Z_EN: 0
; COMPUTE_PGM_RSRC2:TIDIG_COMP_CNT: 0
	.section	.text._ZN7rocprim17ROCPRIM_400000_NS6detail17trampoline_kernelINS0_14default_configENS1_27scan_by_key_config_selectorIijEEZZNS1_16scan_by_key_implILNS1_25lookback_scan_determinismE0ELb0ES3_N6thrust23THRUST_200600_302600_NS6detail15normal_iteratorINS9_10device_ptrIiEEEENSB_INSC_IjEEEENSB_INSC_IfEEEEjNS9_4plusIvEENS9_8equal_toIvEEjEE10hipError_tPvRmT2_T3_T4_T5_mT6_T7_P12ihipStream_tbENKUlT_T0_E_clISt17integral_constantIbLb1EES13_EEDaSY_SZ_EUlSY_E_NS1_11comp_targetILNS1_3genE3ELNS1_11target_archE908ELNS1_3gpuE7ELNS1_3repE0EEENS1_30default_config_static_selectorELNS0_4arch9wavefront6targetE0EEEvT1_,"axG",@progbits,_ZN7rocprim17ROCPRIM_400000_NS6detail17trampoline_kernelINS0_14default_configENS1_27scan_by_key_config_selectorIijEEZZNS1_16scan_by_key_implILNS1_25lookback_scan_determinismE0ELb0ES3_N6thrust23THRUST_200600_302600_NS6detail15normal_iteratorINS9_10device_ptrIiEEEENSB_INSC_IjEEEENSB_INSC_IfEEEEjNS9_4plusIvEENS9_8equal_toIvEEjEE10hipError_tPvRmT2_T3_T4_T5_mT6_T7_P12ihipStream_tbENKUlT_T0_E_clISt17integral_constantIbLb1EES13_EEDaSY_SZ_EUlSY_E_NS1_11comp_targetILNS1_3genE3ELNS1_11target_archE908ELNS1_3gpuE7ELNS1_3repE0EEENS1_30default_config_static_selectorELNS0_4arch9wavefront6targetE0EEEvT1_,comdat
	.protected	_ZN7rocprim17ROCPRIM_400000_NS6detail17trampoline_kernelINS0_14default_configENS1_27scan_by_key_config_selectorIijEEZZNS1_16scan_by_key_implILNS1_25lookback_scan_determinismE0ELb0ES3_N6thrust23THRUST_200600_302600_NS6detail15normal_iteratorINS9_10device_ptrIiEEEENSB_INSC_IjEEEENSB_INSC_IfEEEEjNS9_4plusIvEENS9_8equal_toIvEEjEE10hipError_tPvRmT2_T3_T4_T5_mT6_T7_P12ihipStream_tbENKUlT_T0_E_clISt17integral_constantIbLb1EES13_EEDaSY_SZ_EUlSY_E_NS1_11comp_targetILNS1_3genE3ELNS1_11target_archE908ELNS1_3gpuE7ELNS1_3repE0EEENS1_30default_config_static_selectorELNS0_4arch9wavefront6targetE0EEEvT1_ ; -- Begin function _ZN7rocprim17ROCPRIM_400000_NS6detail17trampoline_kernelINS0_14default_configENS1_27scan_by_key_config_selectorIijEEZZNS1_16scan_by_key_implILNS1_25lookback_scan_determinismE0ELb0ES3_N6thrust23THRUST_200600_302600_NS6detail15normal_iteratorINS9_10device_ptrIiEEEENSB_INSC_IjEEEENSB_INSC_IfEEEEjNS9_4plusIvEENS9_8equal_toIvEEjEE10hipError_tPvRmT2_T3_T4_T5_mT6_T7_P12ihipStream_tbENKUlT_T0_E_clISt17integral_constantIbLb1EES13_EEDaSY_SZ_EUlSY_E_NS1_11comp_targetILNS1_3genE3ELNS1_11target_archE908ELNS1_3gpuE7ELNS1_3repE0EEENS1_30default_config_static_selectorELNS0_4arch9wavefront6targetE0EEEvT1_
	.globl	_ZN7rocprim17ROCPRIM_400000_NS6detail17trampoline_kernelINS0_14default_configENS1_27scan_by_key_config_selectorIijEEZZNS1_16scan_by_key_implILNS1_25lookback_scan_determinismE0ELb0ES3_N6thrust23THRUST_200600_302600_NS6detail15normal_iteratorINS9_10device_ptrIiEEEENSB_INSC_IjEEEENSB_INSC_IfEEEEjNS9_4plusIvEENS9_8equal_toIvEEjEE10hipError_tPvRmT2_T3_T4_T5_mT6_T7_P12ihipStream_tbENKUlT_T0_E_clISt17integral_constantIbLb1EES13_EEDaSY_SZ_EUlSY_E_NS1_11comp_targetILNS1_3genE3ELNS1_11target_archE908ELNS1_3gpuE7ELNS1_3repE0EEENS1_30default_config_static_selectorELNS0_4arch9wavefront6targetE0EEEvT1_
	.p2align	8
	.type	_ZN7rocprim17ROCPRIM_400000_NS6detail17trampoline_kernelINS0_14default_configENS1_27scan_by_key_config_selectorIijEEZZNS1_16scan_by_key_implILNS1_25lookback_scan_determinismE0ELb0ES3_N6thrust23THRUST_200600_302600_NS6detail15normal_iteratorINS9_10device_ptrIiEEEENSB_INSC_IjEEEENSB_INSC_IfEEEEjNS9_4plusIvEENS9_8equal_toIvEEjEE10hipError_tPvRmT2_T3_T4_T5_mT6_T7_P12ihipStream_tbENKUlT_T0_E_clISt17integral_constantIbLb1EES13_EEDaSY_SZ_EUlSY_E_NS1_11comp_targetILNS1_3genE3ELNS1_11target_archE908ELNS1_3gpuE7ELNS1_3repE0EEENS1_30default_config_static_selectorELNS0_4arch9wavefront6targetE0EEEvT1_,@function
_ZN7rocprim17ROCPRIM_400000_NS6detail17trampoline_kernelINS0_14default_configENS1_27scan_by_key_config_selectorIijEEZZNS1_16scan_by_key_implILNS1_25lookback_scan_determinismE0ELb0ES3_N6thrust23THRUST_200600_302600_NS6detail15normal_iteratorINS9_10device_ptrIiEEEENSB_INSC_IjEEEENSB_INSC_IfEEEEjNS9_4plusIvEENS9_8equal_toIvEEjEE10hipError_tPvRmT2_T3_T4_T5_mT6_T7_P12ihipStream_tbENKUlT_T0_E_clISt17integral_constantIbLb1EES13_EEDaSY_SZ_EUlSY_E_NS1_11comp_targetILNS1_3genE3ELNS1_11target_archE908ELNS1_3gpuE7ELNS1_3repE0EEENS1_30default_config_static_selectorELNS0_4arch9wavefront6targetE0EEEvT1_: ; @_ZN7rocprim17ROCPRIM_400000_NS6detail17trampoline_kernelINS0_14default_configENS1_27scan_by_key_config_selectorIijEEZZNS1_16scan_by_key_implILNS1_25lookback_scan_determinismE0ELb0ES3_N6thrust23THRUST_200600_302600_NS6detail15normal_iteratorINS9_10device_ptrIiEEEENSB_INSC_IjEEEENSB_INSC_IfEEEEjNS9_4plusIvEENS9_8equal_toIvEEjEE10hipError_tPvRmT2_T3_T4_T5_mT6_T7_P12ihipStream_tbENKUlT_T0_E_clISt17integral_constantIbLb1EES13_EEDaSY_SZ_EUlSY_E_NS1_11comp_targetILNS1_3genE3ELNS1_11target_archE908ELNS1_3gpuE7ELNS1_3repE0EEENS1_30default_config_static_selectorELNS0_4arch9wavefront6targetE0EEEvT1_
; %bb.0:
	.section	.rodata,"a",@progbits
	.p2align	6, 0x0
	.amdhsa_kernel _ZN7rocprim17ROCPRIM_400000_NS6detail17trampoline_kernelINS0_14default_configENS1_27scan_by_key_config_selectorIijEEZZNS1_16scan_by_key_implILNS1_25lookback_scan_determinismE0ELb0ES3_N6thrust23THRUST_200600_302600_NS6detail15normal_iteratorINS9_10device_ptrIiEEEENSB_INSC_IjEEEENSB_INSC_IfEEEEjNS9_4plusIvEENS9_8equal_toIvEEjEE10hipError_tPvRmT2_T3_T4_T5_mT6_T7_P12ihipStream_tbENKUlT_T0_E_clISt17integral_constantIbLb1EES13_EEDaSY_SZ_EUlSY_E_NS1_11comp_targetILNS1_3genE3ELNS1_11target_archE908ELNS1_3gpuE7ELNS1_3repE0EEENS1_30default_config_static_selectorELNS0_4arch9wavefront6targetE0EEEvT1_
		.amdhsa_group_segment_fixed_size 0
		.amdhsa_private_segment_fixed_size 0
		.amdhsa_kernarg_size 112
		.amdhsa_user_sgpr_count 6
		.amdhsa_user_sgpr_private_segment_buffer 1
		.amdhsa_user_sgpr_dispatch_ptr 0
		.amdhsa_user_sgpr_queue_ptr 0
		.amdhsa_user_sgpr_kernarg_segment_ptr 1
		.amdhsa_user_sgpr_dispatch_id 0
		.amdhsa_user_sgpr_flat_scratch_init 0
		.amdhsa_user_sgpr_private_segment_size 0
		.amdhsa_wavefront_size32 1
		.amdhsa_uses_dynamic_stack 0
		.amdhsa_system_sgpr_private_segment_wavefront_offset 0
		.amdhsa_system_sgpr_workgroup_id_x 1
		.amdhsa_system_sgpr_workgroup_id_y 0
		.amdhsa_system_sgpr_workgroup_id_z 0
		.amdhsa_system_sgpr_workgroup_info 0
		.amdhsa_system_vgpr_workitem_id 0
		.amdhsa_next_free_vgpr 1
		.amdhsa_next_free_sgpr 1
		.amdhsa_reserve_vcc 0
		.amdhsa_reserve_flat_scratch 0
		.amdhsa_float_round_mode_32 0
		.amdhsa_float_round_mode_16_64 0
		.amdhsa_float_denorm_mode_32 3
		.amdhsa_float_denorm_mode_16_64 3
		.amdhsa_dx10_clamp 1
		.amdhsa_ieee_mode 1
		.amdhsa_fp16_overflow 0
		.amdhsa_workgroup_processor_mode 1
		.amdhsa_memory_ordered 1
		.amdhsa_forward_progress 1
		.amdhsa_shared_vgpr_count 0
		.amdhsa_exception_fp_ieee_invalid_op 0
		.amdhsa_exception_fp_denorm_src 0
		.amdhsa_exception_fp_ieee_div_zero 0
		.amdhsa_exception_fp_ieee_overflow 0
		.amdhsa_exception_fp_ieee_underflow 0
		.amdhsa_exception_fp_ieee_inexact 0
		.amdhsa_exception_int_div_zero 0
	.end_amdhsa_kernel
	.section	.text._ZN7rocprim17ROCPRIM_400000_NS6detail17trampoline_kernelINS0_14default_configENS1_27scan_by_key_config_selectorIijEEZZNS1_16scan_by_key_implILNS1_25lookback_scan_determinismE0ELb0ES3_N6thrust23THRUST_200600_302600_NS6detail15normal_iteratorINS9_10device_ptrIiEEEENSB_INSC_IjEEEENSB_INSC_IfEEEEjNS9_4plusIvEENS9_8equal_toIvEEjEE10hipError_tPvRmT2_T3_T4_T5_mT6_T7_P12ihipStream_tbENKUlT_T0_E_clISt17integral_constantIbLb1EES13_EEDaSY_SZ_EUlSY_E_NS1_11comp_targetILNS1_3genE3ELNS1_11target_archE908ELNS1_3gpuE7ELNS1_3repE0EEENS1_30default_config_static_selectorELNS0_4arch9wavefront6targetE0EEEvT1_,"axG",@progbits,_ZN7rocprim17ROCPRIM_400000_NS6detail17trampoline_kernelINS0_14default_configENS1_27scan_by_key_config_selectorIijEEZZNS1_16scan_by_key_implILNS1_25lookback_scan_determinismE0ELb0ES3_N6thrust23THRUST_200600_302600_NS6detail15normal_iteratorINS9_10device_ptrIiEEEENSB_INSC_IjEEEENSB_INSC_IfEEEEjNS9_4plusIvEENS9_8equal_toIvEEjEE10hipError_tPvRmT2_T3_T4_T5_mT6_T7_P12ihipStream_tbENKUlT_T0_E_clISt17integral_constantIbLb1EES13_EEDaSY_SZ_EUlSY_E_NS1_11comp_targetILNS1_3genE3ELNS1_11target_archE908ELNS1_3gpuE7ELNS1_3repE0EEENS1_30default_config_static_selectorELNS0_4arch9wavefront6targetE0EEEvT1_,comdat
.Lfunc_end1657:
	.size	_ZN7rocprim17ROCPRIM_400000_NS6detail17trampoline_kernelINS0_14default_configENS1_27scan_by_key_config_selectorIijEEZZNS1_16scan_by_key_implILNS1_25lookback_scan_determinismE0ELb0ES3_N6thrust23THRUST_200600_302600_NS6detail15normal_iteratorINS9_10device_ptrIiEEEENSB_INSC_IjEEEENSB_INSC_IfEEEEjNS9_4plusIvEENS9_8equal_toIvEEjEE10hipError_tPvRmT2_T3_T4_T5_mT6_T7_P12ihipStream_tbENKUlT_T0_E_clISt17integral_constantIbLb1EES13_EEDaSY_SZ_EUlSY_E_NS1_11comp_targetILNS1_3genE3ELNS1_11target_archE908ELNS1_3gpuE7ELNS1_3repE0EEENS1_30default_config_static_selectorELNS0_4arch9wavefront6targetE0EEEvT1_, .Lfunc_end1657-_ZN7rocprim17ROCPRIM_400000_NS6detail17trampoline_kernelINS0_14default_configENS1_27scan_by_key_config_selectorIijEEZZNS1_16scan_by_key_implILNS1_25lookback_scan_determinismE0ELb0ES3_N6thrust23THRUST_200600_302600_NS6detail15normal_iteratorINS9_10device_ptrIiEEEENSB_INSC_IjEEEENSB_INSC_IfEEEEjNS9_4plusIvEENS9_8equal_toIvEEjEE10hipError_tPvRmT2_T3_T4_T5_mT6_T7_P12ihipStream_tbENKUlT_T0_E_clISt17integral_constantIbLb1EES13_EEDaSY_SZ_EUlSY_E_NS1_11comp_targetILNS1_3genE3ELNS1_11target_archE908ELNS1_3gpuE7ELNS1_3repE0EEENS1_30default_config_static_selectorELNS0_4arch9wavefront6targetE0EEEvT1_
                                        ; -- End function
	.set _ZN7rocprim17ROCPRIM_400000_NS6detail17trampoline_kernelINS0_14default_configENS1_27scan_by_key_config_selectorIijEEZZNS1_16scan_by_key_implILNS1_25lookback_scan_determinismE0ELb0ES3_N6thrust23THRUST_200600_302600_NS6detail15normal_iteratorINS9_10device_ptrIiEEEENSB_INSC_IjEEEENSB_INSC_IfEEEEjNS9_4plusIvEENS9_8equal_toIvEEjEE10hipError_tPvRmT2_T3_T4_T5_mT6_T7_P12ihipStream_tbENKUlT_T0_E_clISt17integral_constantIbLb1EES13_EEDaSY_SZ_EUlSY_E_NS1_11comp_targetILNS1_3genE3ELNS1_11target_archE908ELNS1_3gpuE7ELNS1_3repE0EEENS1_30default_config_static_selectorELNS0_4arch9wavefront6targetE0EEEvT1_.num_vgpr, 0
	.set _ZN7rocprim17ROCPRIM_400000_NS6detail17trampoline_kernelINS0_14default_configENS1_27scan_by_key_config_selectorIijEEZZNS1_16scan_by_key_implILNS1_25lookback_scan_determinismE0ELb0ES3_N6thrust23THRUST_200600_302600_NS6detail15normal_iteratorINS9_10device_ptrIiEEEENSB_INSC_IjEEEENSB_INSC_IfEEEEjNS9_4plusIvEENS9_8equal_toIvEEjEE10hipError_tPvRmT2_T3_T4_T5_mT6_T7_P12ihipStream_tbENKUlT_T0_E_clISt17integral_constantIbLb1EES13_EEDaSY_SZ_EUlSY_E_NS1_11comp_targetILNS1_3genE3ELNS1_11target_archE908ELNS1_3gpuE7ELNS1_3repE0EEENS1_30default_config_static_selectorELNS0_4arch9wavefront6targetE0EEEvT1_.num_agpr, 0
	.set _ZN7rocprim17ROCPRIM_400000_NS6detail17trampoline_kernelINS0_14default_configENS1_27scan_by_key_config_selectorIijEEZZNS1_16scan_by_key_implILNS1_25lookback_scan_determinismE0ELb0ES3_N6thrust23THRUST_200600_302600_NS6detail15normal_iteratorINS9_10device_ptrIiEEEENSB_INSC_IjEEEENSB_INSC_IfEEEEjNS9_4plusIvEENS9_8equal_toIvEEjEE10hipError_tPvRmT2_T3_T4_T5_mT6_T7_P12ihipStream_tbENKUlT_T0_E_clISt17integral_constantIbLb1EES13_EEDaSY_SZ_EUlSY_E_NS1_11comp_targetILNS1_3genE3ELNS1_11target_archE908ELNS1_3gpuE7ELNS1_3repE0EEENS1_30default_config_static_selectorELNS0_4arch9wavefront6targetE0EEEvT1_.numbered_sgpr, 0
	.set _ZN7rocprim17ROCPRIM_400000_NS6detail17trampoline_kernelINS0_14default_configENS1_27scan_by_key_config_selectorIijEEZZNS1_16scan_by_key_implILNS1_25lookback_scan_determinismE0ELb0ES3_N6thrust23THRUST_200600_302600_NS6detail15normal_iteratorINS9_10device_ptrIiEEEENSB_INSC_IjEEEENSB_INSC_IfEEEEjNS9_4plusIvEENS9_8equal_toIvEEjEE10hipError_tPvRmT2_T3_T4_T5_mT6_T7_P12ihipStream_tbENKUlT_T0_E_clISt17integral_constantIbLb1EES13_EEDaSY_SZ_EUlSY_E_NS1_11comp_targetILNS1_3genE3ELNS1_11target_archE908ELNS1_3gpuE7ELNS1_3repE0EEENS1_30default_config_static_selectorELNS0_4arch9wavefront6targetE0EEEvT1_.num_named_barrier, 0
	.set _ZN7rocprim17ROCPRIM_400000_NS6detail17trampoline_kernelINS0_14default_configENS1_27scan_by_key_config_selectorIijEEZZNS1_16scan_by_key_implILNS1_25lookback_scan_determinismE0ELb0ES3_N6thrust23THRUST_200600_302600_NS6detail15normal_iteratorINS9_10device_ptrIiEEEENSB_INSC_IjEEEENSB_INSC_IfEEEEjNS9_4plusIvEENS9_8equal_toIvEEjEE10hipError_tPvRmT2_T3_T4_T5_mT6_T7_P12ihipStream_tbENKUlT_T0_E_clISt17integral_constantIbLb1EES13_EEDaSY_SZ_EUlSY_E_NS1_11comp_targetILNS1_3genE3ELNS1_11target_archE908ELNS1_3gpuE7ELNS1_3repE0EEENS1_30default_config_static_selectorELNS0_4arch9wavefront6targetE0EEEvT1_.private_seg_size, 0
	.set _ZN7rocprim17ROCPRIM_400000_NS6detail17trampoline_kernelINS0_14default_configENS1_27scan_by_key_config_selectorIijEEZZNS1_16scan_by_key_implILNS1_25lookback_scan_determinismE0ELb0ES3_N6thrust23THRUST_200600_302600_NS6detail15normal_iteratorINS9_10device_ptrIiEEEENSB_INSC_IjEEEENSB_INSC_IfEEEEjNS9_4plusIvEENS9_8equal_toIvEEjEE10hipError_tPvRmT2_T3_T4_T5_mT6_T7_P12ihipStream_tbENKUlT_T0_E_clISt17integral_constantIbLb1EES13_EEDaSY_SZ_EUlSY_E_NS1_11comp_targetILNS1_3genE3ELNS1_11target_archE908ELNS1_3gpuE7ELNS1_3repE0EEENS1_30default_config_static_selectorELNS0_4arch9wavefront6targetE0EEEvT1_.uses_vcc, 0
	.set _ZN7rocprim17ROCPRIM_400000_NS6detail17trampoline_kernelINS0_14default_configENS1_27scan_by_key_config_selectorIijEEZZNS1_16scan_by_key_implILNS1_25lookback_scan_determinismE0ELb0ES3_N6thrust23THRUST_200600_302600_NS6detail15normal_iteratorINS9_10device_ptrIiEEEENSB_INSC_IjEEEENSB_INSC_IfEEEEjNS9_4plusIvEENS9_8equal_toIvEEjEE10hipError_tPvRmT2_T3_T4_T5_mT6_T7_P12ihipStream_tbENKUlT_T0_E_clISt17integral_constantIbLb1EES13_EEDaSY_SZ_EUlSY_E_NS1_11comp_targetILNS1_3genE3ELNS1_11target_archE908ELNS1_3gpuE7ELNS1_3repE0EEENS1_30default_config_static_selectorELNS0_4arch9wavefront6targetE0EEEvT1_.uses_flat_scratch, 0
	.set _ZN7rocprim17ROCPRIM_400000_NS6detail17trampoline_kernelINS0_14default_configENS1_27scan_by_key_config_selectorIijEEZZNS1_16scan_by_key_implILNS1_25lookback_scan_determinismE0ELb0ES3_N6thrust23THRUST_200600_302600_NS6detail15normal_iteratorINS9_10device_ptrIiEEEENSB_INSC_IjEEEENSB_INSC_IfEEEEjNS9_4plusIvEENS9_8equal_toIvEEjEE10hipError_tPvRmT2_T3_T4_T5_mT6_T7_P12ihipStream_tbENKUlT_T0_E_clISt17integral_constantIbLb1EES13_EEDaSY_SZ_EUlSY_E_NS1_11comp_targetILNS1_3genE3ELNS1_11target_archE908ELNS1_3gpuE7ELNS1_3repE0EEENS1_30default_config_static_selectorELNS0_4arch9wavefront6targetE0EEEvT1_.has_dyn_sized_stack, 0
	.set _ZN7rocprim17ROCPRIM_400000_NS6detail17trampoline_kernelINS0_14default_configENS1_27scan_by_key_config_selectorIijEEZZNS1_16scan_by_key_implILNS1_25lookback_scan_determinismE0ELb0ES3_N6thrust23THRUST_200600_302600_NS6detail15normal_iteratorINS9_10device_ptrIiEEEENSB_INSC_IjEEEENSB_INSC_IfEEEEjNS9_4plusIvEENS9_8equal_toIvEEjEE10hipError_tPvRmT2_T3_T4_T5_mT6_T7_P12ihipStream_tbENKUlT_T0_E_clISt17integral_constantIbLb1EES13_EEDaSY_SZ_EUlSY_E_NS1_11comp_targetILNS1_3genE3ELNS1_11target_archE908ELNS1_3gpuE7ELNS1_3repE0EEENS1_30default_config_static_selectorELNS0_4arch9wavefront6targetE0EEEvT1_.has_recursion, 0
	.set _ZN7rocprim17ROCPRIM_400000_NS6detail17trampoline_kernelINS0_14default_configENS1_27scan_by_key_config_selectorIijEEZZNS1_16scan_by_key_implILNS1_25lookback_scan_determinismE0ELb0ES3_N6thrust23THRUST_200600_302600_NS6detail15normal_iteratorINS9_10device_ptrIiEEEENSB_INSC_IjEEEENSB_INSC_IfEEEEjNS9_4plusIvEENS9_8equal_toIvEEjEE10hipError_tPvRmT2_T3_T4_T5_mT6_T7_P12ihipStream_tbENKUlT_T0_E_clISt17integral_constantIbLb1EES13_EEDaSY_SZ_EUlSY_E_NS1_11comp_targetILNS1_3genE3ELNS1_11target_archE908ELNS1_3gpuE7ELNS1_3repE0EEENS1_30default_config_static_selectorELNS0_4arch9wavefront6targetE0EEEvT1_.has_indirect_call, 0
	.section	.AMDGPU.csdata,"",@progbits
; Kernel info:
; codeLenInByte = 0
; TotalNumSgprs: 0
; NumVgprs: 0
; ScratchSize: 0
; MemoryBound: 0
; FloatMode: 240
; IeeeMode: 1
; LDSByteSize: 0 bytes/workgroup (compile time only)
; SGPRBlocks: 0
; VGPRBlocks: 0
; NumSGPRsForWavesPerEU: 1
; NumVGPRsForWavesPerEU: 1
; Occupancy: 16
; WaveLimiterHint : 0
; COMPUTE_PGM_RSRC2:SCRATCH_EN: 0
; COMPUTE_PGM_RSRC2:USER_SGPR: 6
; COMPUTE_PGM_RSRC2:TRAP_HANDLER: 0
; COMPUTE_PGM_RSRC2:TGID_X_EN: 1
; COMPUTE_PGM_RSRC2:TGID_Y_EN: 0
; COMPUTE_PGM_RSRC2:TGID_Z_EN: 0
; COMPUTE_PGM_RSRC2:TIDIG_COMP_CNT: 0
	.section	.text._ZN7rocprim17ROCPRIM_400000_NS6detail17trampoline_kernelINS0_14default_configENS1_27scan_by_key_config_selectorIijEEZZNS1_16scan_by_key_implILNS1_25lookback_scan_determinismE0ELb0ES3_N6thrust23THRUST_200600_302600_NS6detail15normal_iteratorINS9_10device_ptrIiEEEENSB_INSC_IjEEEENSB_INSC_IfEEEEjNS9_4plusIvEENS9_8equal_toIvEEjEE10hipError_tPvRmT2_T3_T4_T5_mT6_T7_P12ihipStream_tbENKUlT_T0_E_clISt17integral_constantIbLb1EES13_EEDaSY_SZ_EUlSY_E_NS1_11comp_targetILNS1_3genE2ELNS1_11target_archE906ELNS1_3gpuE6ELNS1_3repE0EEENS1_30default_config_static_selectorELNS0_4arch9wavefront6targetE0EEEvT1_,"axG",@progbits,_ZN7rocprim17ROCPRIM_400000_NS6detail17trampoline_kernelINS0_14default_configENS1_27scan_by_key_config_selectorIijEEZZNS1_16scan_by_key_implILNS1_25lookback_scan_determinismE0ELb0ES3_N6thrust23THRUST_200600_302600_NS6detail15normal_iteratorINS9_10device_ptrIiEEEENSB_INSC_IjEEEENSB_INSC_IfEEEEjNS9_4plusIvEENS9_8equal_toIvEEjEE10hipError_tPvRmT2_T3_T4_T5_mT6_T7_P12ihipStream_tbENKUlT_T0_E_clISt17integral_constantIbLb1EES13_EEDaSY_SZ_EUlSY_E_NS1_11comp_targetILNS1_3genE2ELNS1_11target_archE906ELNS1_3gpuE6ELNS1_3repE0EEENS1_30default_config_static_selectorELNS0_4arch9wavefront6targetE0EEEvT1_,comdat
	.protected	_ZN7rocprim17ROCPRIM_400000_NS6detail17trampoline_kernelINS0_14default_configENS1_27scan_by_key_config_selectorIijEEZZNS1_16scan_by_key_implILNS1_25lookback_scan_determinismE0ELb0ES3_N6thrust23THRUST_200600_302600_NS6detail15normal_iteratorINS9_10device_ptrIiEEEENSB_INSC_IjEEEENSB_INSC_IfEEEEjNS9_4plusIvEENS9_8equal_toIvEEjEE10hipError_tPvRmT2_T3_T4_T5_mT6_T7_P12ihipStream_tbENKUlT_T0_E_clISt17integral_constantIbLb1EES13_EEDaSY_SZ_EUlSY_E_NS1_11comp_targetILNS1_3genE2ELNS1_11target_archE906ELNS1_3gpuE6ELNS1_3repE0EEENS1_30default_config_static_selectorELNS0_4arch9wavefront6targetE0EEEvT1_ ; -- Begin function _ZN7rocprim17ROCPRIM_400000_NS6detail17trampoline_kernelINS0_14default_configENS1_27scan_by_key_config_selectorIijEEZZNS1_16scan_by_key_implILNS1_25lookback_scan_determinismE0ELb0ES3_N6thrust23THRUST_200600_302600_NS6detail15normal_iteratorINS9_10device_ptrIiEEEENSB_INSC_IjEEEENSB_INSC_IfEEEEjNS9_4plusIvEENS9_8equal_toIvEEjEE10hipError_tPvRmT2_T3_T4_T5_mT6_T7_P12ihipStream_tbENKUlT_T0_E_clISt17integral_constantIbLb1EES13_EEDaSY_SZ_EUlSY_E_NS1_11comp_targetILNS1_3genE2ELNS1_11target_archE906ELNS1_3gpuE6ELNS1_3repE0EEENS1_30default_config_static_selectorELNS0_4arch9wavefront6targetE0EEEvT1_
	.globl	_ZN7rocprim17ROCPRIM_400000_NS6detail17trampoline_kernelINS0_14default_configENS1_27scan_by_key_config_selectorIijEEZZNS1_16scan_by_key_implILNS1_25lookback_scan_determinismE0ELb0ES3_N6thrust23THRUST_200600_302600_NS6detail15normal_iteratorINS9_10device_ptrIiEEEENSB_INSC_IjEEEENSB_INSC_IfEEEEjNS9_4plusIvEENS9_8equal_toIvEEjEE10hipError_tPvRmT2_T3_T4_T5_mT6_T7_P12ihipStream_tbENKUlT_T0_E_clISt17integral_constantIbLb1EES13_EEDaSY_SZ_EUlSY_E_NS1_11comp_targetILNS1_3genE2ELNS1_11target_archE906ELNS1_3gpuE6ELNS1_3repE0EEENS1_30default_config_static_selectorELNS0_4arch9wavefront6targetE0EEEvT1_
	.p2align	8
	.type	_ZN7rocprim17ROCPRIM_400000_NS6detail17trampoline_kernelINS0_14default_configENS1_27scan_by_key_config_selectorIijEEZZNS1_16scan_by_key_implILNS1_25lookback_scan_determinismE0ELb0ES3_N6thrust23THRUST_200600_302600_NS6detail15normal_iteratorINS9_10device_ptrIiEEEENSB_INSC_IjEEEENSB_INSC_IfEEEEjNS9_4plusIvEENS9_8equal_toIvEEjEE10hipError_tPvRmT2_T3_T4_T5_mT6_T7_P12ihipStream_tbENKUlT_T0_E_clISt17integral_constantIbLb1EES13_EEDaSY_SZ_EUlSY_E_NS1_11comp_targetILNS1_3genE2ELNS1_11target_archE906ELNS1_3gpuE6ELNS1_3repE0EEENS1_30default_config_static_selectorELNS0_4arch9wavefront6targetE0EEEvT1_,@function
_ZN7rocprim17ROCPRIM_400000_NS6detail17trampoline_kernelINS0_14default_configENS1_27scan_by_key_config_selectorIijEEZZNS1_16scan_by_key_implILNS1_25lookback_scan_determinismE0ELb0ES3_N6thrust23THRUST_200600_302600_NS6detail15normal_iteratorINS9_10device_ptrIiEEEENSB_INSC_IjEEEENSB_INSC_IfEEEEjNS9_4plusIvEENS9_8equal_toIvEEjEE10hipError_tPvRmT2_T3_T4_T5_mT6_T7_P12ihipStream_tbENKUlT_T0_E_clISt17integral_constantIbLb1EES13_EEDaSY_SZ_EUlSY_E_NS1_11comp_targetILNS1_3genE2ELNS1_11target_archE906ELNS1_3gpuE6ELNS1_3repE0EEENS1_30default_config_static_selectorELNS0_4arch9wavefront6targetE0EEEvT1_: ; @_ZN7rocprim17ROCPRIM_400000_NS6detail17trampoline_kernelINS0_14default_configENS1_27scan_by_key_config_selectorIijEEZZNS1_16scan_by_key_implILNS1_25lookback_scan_determinismE0ELb0ES3_N6thrust23THRUST_200600_302600_NS6detail15normal_iteratorINS9_10device_ptrIiEEEENSB_INSC_IjEEEENSB_INSC_IfEEEEjNS9_4plusIvEENS9_8equal_toIvEEjEE10hipError_tPvRmT2_T3_T4_T5_mT6_T7_P12ihipStream_tbENKUlT_T0_E_clISt17integral_constantIbLb1EES13_EEDaSY_SZ_EUlSY_E_NS1_11comp_targetILNS1_3genE2ELNS1_11target_archE906ELNS1_3gpuE6ELNS1_3repE0EEENS1_30default_config_static_selectorELNS0_4arch9wavefront6targetE0EEEvT1_
; %bb.0:
	.section	.rodata,"a",@progbits
	.p2align	6, 0x0
	.amdhsa_kernel _ZN7rocprim17ROCPRIM_400000_NS6detail17trampoline_kernelINS0_14default_configENS1_27scan_by_key_config_selectorIijEEZZNS1_16scan_by_key_implILNS1_25lookback_scan_determinismE0ELb0ES3_N6thrust23THRUST_200600_302600_NS6detail15normal_iteratorINS9_10device_ptrIiEEEENSB_INSC_IjEEEENSB_INSC_IfEEEEjNS9_4plusIvEENS9_8equal_toIvEEjEE10hipError_tPvRmT2_T3_T4_T5_mT6_T7_P12ihipStream_tbENKUlT_T0_E_clISt17integral_constantIbLb1EES13_EEDaSY_SZ_EUlSY_E_NS1_11comp_targetILNS1_3genE2ELNS1_11target_archE906ELNS1_3gpuE6ELNS1_3repE0EEENS1_30default_config_static_selectorELNS0_4arch9wavefront6targetE0EEEvT1_
		.amdhsa_group_segment_fixed_size 0
		.amdhsa_private_segment_fixed_size 0
		.amdhsa_kernarg_size 112
		.amdhsa_user_sgpr_count 6
		.amdhsa_user_sgpr_private_segment_buffer 1
		.amdhsa_user_sgpr_dispatch_ptr 0
		.amdhsa_user_sgpr_queue_ptr 0
		.amdhsa_user_sgpr_kernarg_segment_ptr 1
		.amdhsa_user_sgpr_dispatch_id 0
		.amdhsa_user_sgpr_flat_scratch_init 0
		.amdhsa_user_sgpr_private_segment_size 0
		.amdhsa_wavefront_size32 1
		.amdhsa_uses_dynamic_stack 0
		.amdhsa_system_sgpr_private_segment_wavefront_offset 0
		.amdhsa_system_sgpr_workgroup_id_x 1
		.amdhsa_system_sgpr_workgroup_id_y 0
		.amdhsa_system_sgpr_workgroup_id_z 0
		.amdhsa_system_sgpr_workgroup_info 0
		.amdhsa_system_vgpr_workitem_id 0
		.amdhsa_next_free_vgpr 1
		.amdhsa_next_free_sgpr 1
		.amdhsa_reserve_vcc 0
		.amdhsa_reserve_flat_scratch 0
		.amdhsa_float_round_mode_32 0
		.amdhsa_float_round_mode_16_64 0
		.amdhsa_float_denorm_mode_32 3
		.amdhsa_float_denorm_mode_16_64 3
		.amdhsa_dx10_clamp 1
		.amdhsa_ieee_mode 1
		.amdhsa_fp16_overflow 0
		.amdhsa_workgroup_processor_mode 1
		.amdhsa_memory_ordered 1
		.amdhsa_forward_progress 1
		.amdhsa_shared_vgpr_count 0
		.amdhsa_exception_fp_ieee_invalid_op 0
		.amdhsa_exception_fp_denorm_src 0
		.amdhsa_exception_fp_ieee_div_zero 0
		.amdhsa_exception_fp_ieee_overflow 0
		.amdhsa_exception_fp_ieee_underflow 0
		.amdhsa_exception_fp_ieee_inexact 0
		.amdhsa_exception_int_div_zero 0
	.end_amdhsa_kernel
	.section	.text._ZN7rocprim17ROCPRIM_400000_NS6detail17trampoline_kernelINS0_14default_configENS1_27scan_by_key_config_selectorIijEEZZNS1_16scan_by_key_implILNS1_25lookback_scan_determinismE0ELb0ES3_N6thrust23THRUST_200600_302600_NS6detail15normal_iteratorINS9_10device_ptrIiEEEENSB_INSC_IjEEEENSB_INSC_IfEEEEjNS9_4plusIvEENS9_8equal_toIvEEjEE10hipError_tPvRmT2_T3_T4_T5_mT6_T7_P12ihipStream_tbENKUlT_T0_E_clISt17integral_constantIbLb1EES13_EEDaSY_SZ_EUlSY_E_NS1_11comp_targetILNS1_3genE2ELNS1_11target_archE906ELNS1_3gpuE6ELNS1_3repE0EEENS1_30default_config_static_selectorELNS0_4arch9wavefront6targetE0EEEvT1_,"axG",@progbits,_ZN7rocprim17ROCPRIM_400000_NS6detail17trampoline_kernelINS0_14default_configENS1_27scan_by_key_config_selectorIijEEZZNS1_16scan_by_key_implILNS1_25lookback_scan_determinismE0ELb0ES3_N6thrust23THRUST_200600_302600_NS6detail15normal_iteratorINS9_10device_ptrIiEEEENSB_INSC_IjEEEENSB_INSC_IfEEEEjNS9_4plusIvEENS9_8equal_toIvEEjEE10hipError_tPvRmT2_T3_T4_T5_mT6_T7_P12ihipStream_tbENKUlT_T0_E_clISt17integral_constantIbLb1EES13_EEDaSY_SZ_EUlSY_E_NS1_11comp_targetILNS1_3genE2ELNS1_11target_archE906ELNS1_3gpuE6ELNS1_3repE0EEENS1_30default_config_static_selectorELNS0_4arch9wavefront6targetE0EEEvT1_,comdat
.Lfunc_end1658:
	.size	_ZN7rocprim17ROCPRIM_400000_NS6detail17trampoline_kernelINS0_14default_configENS1_27scan_by_key_config_selectorIijEEZZNS1_16scan_by_key_implILNS1_25lookback_scan_determinismE0ELb0ES3_N6thrust23THRUST_200600_302600_NS6detail15normal_iteratorINS9_10device_ptrIiEEEENSB_INSC_IjEEEENSB_INSC_IfEEEEjNS9_4plusIvEENS9_8equal_toIvEEjEE10hipError_tPvRmT2_T3_T4_T5_mT6_T7_P12ihipStream_tbENKUlT_T0_E_clISt17integral_constantIbLb1EES13_EEDaSY_SZ_EUlSY_E_NS1_11comp_targetILNS1_3genE2ELNS1_11target_archE906ELNS1_3gpuE6ELNS1_3repE0EEENS1_30default_config_static_selectorELNS0_4arch9wavefront6targetE0EEEvT1_, .Lfunc_end1658-_ZN7rocprim17ROCPRIM_400000_NS6detail17trampoline_kernelINS0_14default_configENS1_27scan_by_key_config_selectorIijEEZZNS1_16scan_by_key_implILNS1_25lookback_scan_determinismE0ELb0ES3_N6thrust23THRUST_200600_302600_NS6detail15normal_iteratorINS9_10device_ptrIiEEEENSB_INSC_IjEEEENSB_INSC_IfEEEEjNS9_4plusIvEENS9_8equal_toIvEEjEE10hipError_tPvRmT2_T3_T4_T5_mT6_T7_P12ihipStream_tbENKUlT_T0_E_clISt17integral_constantIbLb1EES13_EEDaSY_SZ_EUlSY_E_NS1_11comp_targetILNS1_3genE2ELNS1_11target_archE906ELNS1_3gpuE6ELNS1_3repE0EEENS1_30default_config_static_selectorELNS0_4arch9wavefront6targetE0EEEvT1_
                                        ; -- End function
	.set _ZN7rocprim17ROCPRIM_400000_NS6detail17trampoline_kernelINS0_14default_configENS1_27scan_by_key_config_selectorIijEEZZNS1_16scan_by_key_implILNS1_25lookback_scan_determinismE0ELb0ES3_N6thrust23THRUST_200600_302600_NS6detail15normal_iteratorINS9_10device_ptrIiEEEENSB_INSC_IjEEEENSB_INSC_IfEEEEjNS9_4plusIvEENS9_8equal_toIvEEjEE10hipError_tPvRmT2_T3_T4_T5_mT6_T7_P12ihipStream_tbENKUlT_T0_E_clISt17integral_constantIbLb1EES13_EEDaSY_SZ_EUlSY_E_NS1_11comp_targetILNS1_3genE2ELNS1_11target_archE906ELNS1_3gpuE6ELNS1_3repE0EEENS1_30default_config_static_selectorELNS0_4arch9wavefront6targetE0EEEvT1_.num_vgpr, 0
	.set _ZN7rocprim17ROCPRIM_400000_NS6detail17trampoline_kernelINS0_14default_configENS1_27scan_by_key_config_selectorIijEEZZNS1_16scan_by_key_implILNS1_25lookback_scan_determinismE0ELb0ES3_N6thrust23THRUST_200600_302600_NS6detail15normal_iteratorINS9_10device_ptrIiEEEENSB_INSC_IjEEEENSB_INSC_IfEEEEjNS9_4plusIvEENS9_8equal_toIvEEjEE10hipError_tPvRmT2_T3_T4_T5_mT6_T7_P12ihipStream_tbENKUlT_T0_E_clISt17integral_constantIbLb1EES13_EEDaSY_SZ_EUlSY_E_NS1_11comp_targetILNS1_3genE2ELNS1_11target_archE906ELNS1_3gpuE6ELNS1_3repE0EEENS1_30default_config_static_selectorELNS0_4arch9wavefront6targetE0EEEvT1_.num_agpr, 0
	.set _ZN7rocprim17ROCPRIM_400000_NS6detail17trampoline_kernelINS0_14default_configENS1_27scan_by_key_config_selectorIijEEZZNS1_16scan_by_key_implILNS1_25lookback_scan_determinismE0ELb0ES3_N6thrust23THRUST_200600_302600_NS6detail15normal_iteratorINS9_10device_ptrIiEEEENSB_INSC_IjEEEENSB_INSC_IfEEEEjNS9_4plusIvEENS9_8equal_toIvEEjEE10hipError_tPvRmT2_T3_T4_T5_mT6_T7_P12ihipStream_tbENKUlT_T0_E_clISt17integral_constantIbLb1EES13_EEDaSY_SZ_EUlSY_E_NS1_11comp_targetILNS1_3genE2ELNS1_11target_archE906ELNS1_3gpuE6ELNS1_3repE0EEENS1_30default_config_static_selectorELNS0_4arch9wavefront6targetE0EEEvT1_.numbered_sgpr, 0
	.set _ZN7rocprim17ROCPRIM_400000_NS6detail17trampoline_kernelINS0_14default_configENS1_27scan_by_key_config_selectorIijEEZZNS1_16scan_by_key_implILNS1_25lookback_scan_determinismE0ELb0ES3_N6thrust23THRUST_200600_302600_NS6detail15normal_iteratorINS9_10device_ptrIiEEEENSB_INSC_IjEEEENSB_INSC_IfEEEEjNS9_4plusIvEENS9_8equal_toIvEEjEE10hipError_tPvRmT2_T3_T4_T5_mT6_T7_P12ihipStream_tbENKUlT_T0_E_clISt17integral_constantIbLb1EES13_EEDaSY_SZ_EUlSY_E_NS1_11comp_targetILNS1_3genE2ELNS1_11target_archE906ELNS1_3gpuE6ELNS1_3repE0EEENS1_30default_config_static_selectorELNS0_4arch9wavefront6targetE0EEEvT1_.num_named_barrier, 0
	.set _ZN7rocprim17ROCPRIM_400000_NS6detail17trampoline_kernelINS0_14default_configENS1_27scan_by_key_config_selectorIijEEZZNS1_16scan_by_key_implILNS1_25lookback_scan_determinismE0ELb0ES3_N6thrust23THRUST_200600_302600_NS6detail15normal_iteratorINS9_10device_ptrIiEEEENSB_INSC_IjEEEENSB_INSC_IfEEEEjNS9_4plusIvEENS9_8equal_toIvEEjEE10hipError_tPvRmT2_T3_T4_T5_mT6_T7_P12ihipStream_tbENKUlT_T0_E_clISt17integral_constantIbLb1EES13_EEDaSY_SZ_EUlSY_E_NS1_11comp_targetILNS1_3genE2ELNS1_11target_archE906ELNS1_3gpuE6ELNS1_3repE0EEENS1_30default_config_static_selectorELNS0_4arch9wavefront6targetE0EEEvT1_.private_seg_size, 0
	.set _ZN7rocprim17ROCPRIM_400000_NS6detail17trampoline_kernelINS0_14default_configENS1_27scan_by_key_config_selectorIijEEZZNS1_16scan_by_key_implILNS1_25lookback_scan_determinismE0ELb0ES3_N6thrust23THRUST_200600_302600_NS6detail15normal_iteratorINS9_10device_ptrIiEEEENSB_INSC_IjEEEENSB_INSC_IfEEEEjNS9_4plusIvEENS9_8equal_toIvEEjEE10hipError_tPvRmT2_T3_T4_T5_mT6_T7_P12ihipStream_tbENKUlT_T0_E_clISt17integral_constantIbLb1EES13_EEDaSY_SZ_EUlSY_E_NS1_11comp_targetILNS1_3genE2ELNS1_11target_archE906ELNS1_3gpuE6ELNS1_3repE0EEENS1_30default_config_static_selectorELNS0_4arch9wavefront6targetE0EEEvT1_.uses_vcc, 0
	.set _ZN7rocprim17ROCPRIM_400000_NS6detail17trampoline_kernelINS0_14default_configENS1_27scan_by_key_config_selectorIijEEZZNS1_16scan_by_key_implILNS1_25lookback_scan_determinismE0ELb0ES3_N6thrust23THRUST_200600_302600_NS6detail15normal_iteratorINS9_10device_ptrIiEEEENSB_INSC_IjEEEENSB_INSC_IfEEEEjNS9_4plusIvEENS9_8equal_toIvEEjEE10hipError_tPvRmT2_T3_T4_T5_mT6_T7_P12ihipStream_tbENKUlT_T0_E_clISt17integral_constantIbLb1EES13_EEDaSY_SZ_EUlSY_E_NS1_11comp_targetILNS1_3genE2ELNS1_11target_archE906ELNS1_3gpuE6ELNS1_3repE0EEENS1_30default_config_static_selectorELNS0_4arch9wavefront6targetE0EEEvT1_.uses_flat_scratch, 0
	.set _ZN7rocprim17ROCPRIM_400000_NS6detail17trampoline_kernelINS0_14default_configENS1_27scan_by_key_config_selectorIijEEZZNS1_16scan_by_key_implILNS1_25lookback_scan_determinismE0ELb0ES3_N6thrust23THRUST_200600_302600_NS6detail15normal_iteratorINS9_10device_ptrIiEEEENSB_INSC_IjEEEENSB_INSC_IfEEEEjNS9_4plusIvEENS9_8equal_toIvEEjEE10hipError_tPvRmT2_T3_T4_T5_mT6_T7_P12ihipStream_tbENKUlT_T0_E_clISt17integral_constantIbLb1EES13_EEDaSY_SZ_EUlSY_E_NS1_11comp_targetILNS1_3genE2ELNS1_11target_archE906ELNS1_3gpuE6ELNS1_3repE0EEENS1_30default_config_static_selectorELNS0_4arch9wavefront6targetE0EEEvT1_.has_dyn_sized_stack, 0
	.set _ZN7rocprim17ROCPRIM_400000_NS6detail17trampoline_kernelINS0_14default_configENS1_27scan_by_key_config_selectorIijEEZZNS1_16scan_by_key_implILNS1_25lookback_scan_determinismE0ELb0ES3_N6thrust23THRUST_200600_302600_NS6detail15normal_iteratorINS9_10device_ptrIiEEEENSB_INSC_IjEEEENSB_INSC_IfEEEEjNS9_4plusIvEENS9_8equal_toIvEEjEE10hipError_tPvRmT2_T3_T4_T5_mT6_T7_P12ihipStream_tbENKUlT_T0_E_clISt17integral_constantIbLb1EES13_EEDaSY_SZ_EUlSY_E_NS1_11comp_targetILNS1_3genE2ELNS1_11target_archE906ELNS1_3gpuE6ELNS1_3repE0EEENS1_30default_config_static_selectorELNS0_4arch9wavefront6targetE0EEEvT1_.has_recursion, 0
	.set _ZN7rocprim17ROCPRIM_400000_NS6detail17trampoline_kernelINS0_14default_configENS1_27scan_by_key_config_selectorIijEEZZNS1_16scan_by_key_implILNS1_25lookback_scan_determinismE0ELb0ES3_N6thrust23THRUST_200600_302600_NS6detail15normal_iteratorINS9_10device_ptrIiEEEENSB_INSC_IjEEEENSB_INSC_IfEEEEjNS9_4plusIvEENS9_8equal_toIvEEjEE10hipError_tPvRmT2_T3_T4_T5_mT6_T7_P12ihipStream_tbENKUlT_T0_E_clISt17integral_constantIbLb1EES13_EEDaSY_SZ_EUlSY_E_NS1_11comp_targetILNS1_3genE2ELNS1_11target_archE906ELNS1_3gpuE6ELNS1_3repE0EEENS1_30default_config_static_selectorELNS0_4arch9wavefront6targetE0EEEvT1_.has_indirect_call, 0
	.section	.AMDGPU.csdata,"",@progbits
; Kernel info:
; codeLenInByte = 0
; TotalNumSgprs: 0
; NumVgprs: 0
; ScratchSize: 0
; MemoryBound: 0
; FloatMode: 240
; IeeeMode: 1
; LDSByteSize: 0 bytes/workgroup (compile time only)
; SGPRBlocks: 0
; VGPRBlocks: 0
; NumSGPRsForWavesPerEU: 1
; NumVGPRsForWavesPerEU: 1
; Occupancy: 16
; WaveLimiterHint : 0
; COMPUTE_PGM_RSRC2:SCRATCH_EN: 0
; COMPUTE_PGM_RSRC2:USER_SGPR: 6
; COMPUTE_PGM_RSRC2:TRAP_HANDLER: 0
; COMPUTE_PGM_RSRC2:TGID_X_EN: 1
; COMPUTE_PGM_RSRC2:TGID_Y_EN: 0
; COMPUTE_PGM_RSRC2:TGID_Z_EN: 0
; COMPUTE_PGM_RSRC2:TIDIG_COMP_CNT: 0
	.section	.text._ZN7rocprim17ROCPRIM_400000_NS6detail17trampoline_kernelINS0_14default_configENS1_27scan_by_key_config_selectorIijEEZZNS1_16scan_by_key_implILNS1_25lookback_scan_determinismE0ELb0ES3_N6thrust23THRUST_200600_302600_NS6detail15normal_iteratorINS9_10device_ptrIiEEEENSB_INSC_IjEEEENSB_INSC_IfEEEEjNS9_4plusIvEENS9_8equal_toIvEEjEE10hipError_tPvRmT2_T3_T4_T5_mT6_T7_P12ihipStream_tbENKUlT_T0_E_clISt17integral_constantIbLb1EES13_EEDaSY_SZ_EUlSY_E_NS1_11comp_targetILNS1_3genE10ELNS1_11target_archE1200ELNS1_3gpuE4ELNS1_3repE0EEENS1_30default_config_static_selectorELNS0_4arch9wavefront6targetE0EEEvT1_,"axG",@progbits,_ZN7rocprim17ROCPRIM_400000_NS6detail17trampoline_kernelINS0_14default_configENS1_27scan_by_key_config_selectorIijEEZZNS1_16scan_by_key_implILNS1_25lookback_scan_determinismE0ELb0ES3_N6thrust23THRUST_200600_302600_NS6detail15normal_iteratorINS9_10device_ptrIiEEEENSB_INSC_IjEEEENSB_INSC_IfEEEEjNS9_4plusIvEENS9_8equal_toIvEEjEE10hipError_tPvRmT2_T3_T4_T5_mT6_T7_P12ihipStream_tbENKUlT_T0_E_clISt17integral_constantIbLb1EES13_EEDaSY_SZ_EUlSY_E_NS1_11comp_targetILNS1_3genE10ELNS1_11target_archE1200ELNS1_3gpuE4ELNS1_3repE0EEENS1_30default_config_static_selectorELNS0_4arch9wavefront6targetE0EEEvT1_,comdat
	.protected	_ZN7rocprim17ROCPRIM_400000_NS6detail17trampoline_kernelINS0_14default_configENS1_27scan_by_key_config_selectorIijEEZZNS1_16scan_by_key_implILNS1_25lookback_scan_determinismE0ELb0ES3_N6thrust23THRUST_200600_302600_NS6detail15normal_iteratorINS9_10device_ptrIiEEEENSB_INSC_IjEEEENSB_INSC_IfEEEEjNS9_4plusIvEENS9_8equal_toIvEEjEE10hipError_tPvRmT2_T3_T4_T5_mT6_T7_P12ihipStream_tbENKUlT_T0_E_clISt17integral_constantIbLb1EES13_EEDaSY_SZ_EUlSY_E_NS1_11comp_targetILNS1_3genE10ELNS1_11target_archE1200ELNS1_3gpuE4ELNS1_3repE0EEENS1_30default_config_static_selectorELNS0_4arch9wavefront6targetE0EEEvT1_ ; -- Begin function _ZN7rocprim17ROCPRIM_400000_NS6detail17trampoline_kernelINS0_14default_configENS1_27scan_by_key_config_selectorIijEEZZNS1_16scan_by_key_implILNS1_25lookback_scan_determinismE0ELb0ES3_N6thrust23THRUST_200600_302600_NS6detail15normal_iteratorINS9_10device_ptrIiEEEENSB_INSC_IjEEEENSB_INSC_IfEEEEjNS9_4plusIvEENS9_8equal_toIvEEjEE10hipError_tPvRmT2_T3_T4_T5_mT6_T7_P12ihipStream_tbENKUlT_T0_E_clISt17integral_constantIbLb1EES13_EEDaSY_SZ_EUlSY_E_NS1_11comp_targetILNS1_3genE10ELNS1_11target_archE1200ELNS1_3gpuE4ELNS1_3repE0EEENS1_30default_config_static_selectorELNS0_4arch9wavefront6targetE0EEEvT1_
	.globl	_ZN7rocprim17ROCPRIM_400000_NS6detail17trampoline_kernelINS0_14default_configENS1_27scan_by_key_config_selectorIijEEZZNS1_16scan_by_key_implILNS1_25lookback_scan_determinismE0ELb0ES3_N6thrust23THRUST_200600_302600_NS6detail15normal_iteratorINS9_10device_ptrIiEEEENSB_INSC_IjEEEENSB_INSC_IfEEEEjNS9_4plusIvEENS9_8equal_toIvEEjEE10hipError_tPvRmT2_T3_T4_T5_mT6_T7_P12ihipStream_tbENKUlT_T0_E_clISt17integral_constantIbLb1EES13_EEDaSY_SZ_EUlSY_E_NS1_11comp_targetILNS1_3genE10ELNS1_11target_archE1200ELNS1_3gpuE4ELNS1_3repE0EEENS1_30default_config_static_selectorELNS0_4arch9wavefront6targetE0EEEvT1_
	.p2align	8
	.type	_ZN7rocprim17ROCPRIM_400000_NS6detail17trampoline_kernelINS0_14default_configENS1_27scan_by_key_config_selectorIijEEZZNS1_16scan_by_key_implILNS1_25lookback_scan_determinismE0ELb0ES3_N6thrust23THRUST_200600_302600_NS6detail15normal_iteratorINS9_10device_ptrIiEEEENSB_INSC_IjEEEENSB_INSC_IfEEEEjNS9_4plusIvEENS9_8equal_toIvEEjEE10hipError_tPvRmT2_T3_T4_T5_mT6_T7_P12ihipStream_tbENKUlT_T0_E_clISt17integral_constantIbLb1EES13_EEDaSY_SZ_EUlSY_E_NS1_11comp_targetILNS1_3genE10ELNS1_11target_archE1200ELNS1_3gpuE4ELNS1_3repE0EEENS1_30default_config_static_selectorELNS0_4arch9wavefront6targetE0EEEvT1_,@function
_ZN7rocprim17ROCPRIM_400000_NS6detail17trampoline_kernelINS0_14default_configENS1_27scan_by_key_config_selectorIijEEZZNS1_16scan_by_key_implILNS1_25lookback_scan_determinismE0ELb0ES3_N6thrust23THRUST_200600_302600_NS6detail15normal_iteratorINS9_10device_ptrIiEEEENSB_INSC_IjEEEENSB_INSC_IfEEEEjNS9_4plusIvEENS9_8equal_toIvEEjEE10hipError_tPvRmT2_T3_T4_T5_mT6_T7_P12ihipStream_tbENKUlT_T0_E_clISt17integral_constantIbLb1EES13_EEDaSY_SZ_EUlSY_E_NS1_11comp_targetILNS1_3genE10ELNS1_11target_archE1200ELNS1_3gpuE4ELNS1_3repE0EEENS1_30default_config_static_selectorELNS0_4arch9wavefront6targetE0EEEvT1_: ; @_ZN7rocprim17ROCPRIM_400000_NS6detail17trampoline_kernelINS0_14default_configENS1_27scan_by_key_config_selectorIijEEZZNS1_16scan_by_key_implILNS1_25lookback_scan_determinismE0ELb0ES3_N6thrust23THRUST_200600_302600_NS6detail15normal_iteratorINS9_10device_ptrIiEEEENSB_INSC_IjEEEENSB_INSC_IfEEEEjNS9_4plusIvEENS9_8equal_toIvEEjEE10hipError_tPvRmT2_T3_T4_T5_mT6_T7_P12ihipStream_tbENKUlT_T0_E_clISt17integral_constantIbLb1EES13_EEDaSY_SZ_EUlSY_E_NS1_11comp_targetILNS1_3genE10ELNS1_11target_archE1200ELNS1_3gpuE4ELNS1_3repE0EEENS1_30default_config_static_selectorELNS0_4arch9wavefront6targetE0EEEvT1_
; %bb.0:
	.section	.rodata,"a",@progbits
	.p2align	6, 0x0
	.amdhsa_kernel _ZN7rocprim17ROCPRIM_400000_NS6detail17trampoline_kernelINS0_14default_configENS1_27scan_by_key_config_selectorIijEEZZNS1_16scan_by_key_implILNS1_25lookback_scan_determinismE0ELb0ES3_N6thrust23THRUST_200600_302600_NS6detail15normal_iteratorINS9_10device_ptrIiEEEENSB_INSC_IjEEEENSB_INSC_IfEEEEjNS9_4plusIvEENS9_8equal_toIvEEjEE10hipError_tPvRmT2_T3_T4_T5_mT6_T7_P12ihipStream_tbENKUlT_T0_E_clISt17integral_constantIbLb1EES13_EEDaSY_SZ_EUlSY_E_NS1_11comp_targetILNS1_3genE10ELNS1_11target_archE1200ELNS1_3gpuE4ELNS1_3repE0EEENS1_30default_config_static_selectorELNS0_4arch9wavefront6targetE0EEEvT1_
		.amdhsa_group_segment_fixed_size 0
		.amdhsa_private_segment_fixed_size 0
		.amdhsa_kernarg_size 112
		.amdhsa_user_sgpr_count 6
		.amdhsa_user_sgpr_private_segment_buffer 1
		.amdhsa_user_sgpr_dispatch_ptr 0
		.amdhsa_user_sgpr_queue_ptr 0
		.amdhsa_user_sgpr_kernarg_segment_ptr 1
		.amdhsa_user_sgpr_dispatch_id 0
		.amdhsa_user_sgpr_flat_scratch_init 0
		.amdhsa_user_sgpr_private_segment_size 0
		.amdhsa_wavefront_size32 1
		.amdhsa_uses_dynamic_stack 0
		.amdhsa_system_sgpr_private_segment_wavefront_offset 0
		.amdhsa_system_sgpr_workgroup_id_x 1
		.amdhsa_system_sgpr_workgroup_id_y 0
		.amdhsa_system_sgpr_workgroup_id_z 0
		.amdhsa_system_sgpr_workgroup_info 0
		.amdhsa_system_vgpr_workitem_id 0
		.amdhsa_next_free_vgpr 1
		.amdhsa_next_free_sgpr 1
		.amdhsa_reserve_vcc 0
		.amdhsa_reserve_flat_scratch 0
		.amdhsa_float_round_mode_32 0
		.amdhsa_float_round_mode_16_64 0
		.amdhsa_float_denorm_mode_32 3
		.amdhsa_float_denorm_mode_16_64 3
		.amdhsa_dx10_clamp 1
		.amdhsa_ieee_mode 1
		.amdhsa_fp16_overflow 0
		.amdhsa_workgroup_processor_mode 1
		.amdhsa_memory_ordered 1
		.amdhsa_forward_progress 1
		.amdhsa_shared_vgpr_count 0
		.amdhsa_exception_fp_ieee_invalid_op 0
		.amdhsa_exception_fp_denorm_src 0
		.amdhsa_exception_fp_ieee_div_zero 0
		.amdhsa_exception_fp_ieee_overflow 0
		.amdhsa_exception_fp_ieee_underflow 0
		.amdhsa_exception_fp_ieee_inexact 0
		.amdhsa_exception_int_div_zero 0
	.end_amdhsa_kernel
	.section	.text._ZN7rocprim17ROCPRIM_400000_NS6detail17trampoline_kernelINS0_14default_configENS1_27scan_by_key_config_selectorIijEEZZNS1_16scan_by_key_implILNS1_25lookback_scan_determinismE0ELb0ES3_N6thrust23THRUST_200600_302600_NS6detail15normal_iteratorINS9_10device_ptrIiEEEENSB_INSC_IjEEEENSB_INSC_IfEEEEjNS9_4plusIvEENS9_8equal_toIvEEjEE10hipError_tPvRmT2_T3_T4_T5_mT6_T7_P12ihipStream_tbENKUlT_T0_E_clISt17integral_constantIbLb1EES13_EEDaSY_SZ_EUlSY_E_NS1_11comp_targetILNS1_3genE10ELNS1_11target_archE1200ELNS1_3gpuE4ELNS1_3repE0EEENS1_30default_config_static_selectorELNS0_4arch9wavefront6targetE0EEEvT1_,"axG",@progbits,_ZN7rocprim17ROCPRIM_400000_NS6detail17trampoline_kernelINS0_14default_configENS1_27scan_by_key_config_selectorIijEEZZNS1_16scan_by_key_implILNS1_25lookback_scan_determinismE0ELb0ES3_N6thrust23THRUST_200600_302600_NS6detail15normal_iteratorINS9_10device_ptrIiEEEENSB_INSC_IjEEEENSB_INSC_IfEEEEjNS9_4plusIvEENS9_8equal_toIvEEjEE10hipError_tPvRmT2_T3_T4_T5_mT6_T7_P12ihipStream_tbENKUlT_T0_E_clISt17integral_constantIbLb1EES13_EEDaSY_SZ_EUlSY_E_NS1_11comp_targetILNS1_3genE10ELNS1_11target_archE1200ELNS1_3gpuE4ELNS1_3repE0EEENS1_30default_config_static_selectorELNS0_4arch9wavefront6targetE0EEEvT1_,comdat
.Lfunc_end1659:
	.size	_ZN7rocprim17ROCPRIM_400000_NS6detail17trampoline_kernelINS0_14default_configENS1_27scan_by_key_config_selectorIijEEZZNS1_16scan_by_key_implILNS1_25lookback_scan_determinismE0ELb0ES3_N6thrust23THRUST_200600_302600_NS6detail15normal_iteratorINS9_10device_ptrIiEEEENSB_INSC_IjEEEENSB_INSC_IfEEEEjNS9_4plusIvEENS9_8equal_toIvEEjEE10hipError_tPvRmT2_T3_T4_T5_mT6_T7_P12ihipStream_tbENKUlT_T0_E_clISt17integral_constantIbLb1EES13_EEDaSY_SZ_EUlSY_E_NS1_11comp_targetILNS1_3genE10ELNS1_11target_archE1200ELNS1_3gpuE4ELNS1_3repE0EEENS1_30default_config_static_selectorELNS0_4arch9wavefront6targetE0EEEvT1_, .Lfunc_end1659-_ZN7rocprim17ROCPRIM_400000_NS6detail17trampoline_kernelINS0_14default_configENS1_27scan_by_key_config_selectorIijEEZZNS1_16scan_by_key_implILNS1_25lookback_scan_determinismE0ELb0ES3_N6thrust23THRUST_200600_302600_NS6detail15normal_iteratorINS9_10device_ptrIiEEEENSB_INSC_IjEEEENSB_INSC_IfEEEEjNS9_4plusIvEENS9_8equal_toIvEEjEE10hipError_tPvRmT2_T3_T4_T5_mT6_T7_P12ihipStream_tbENKUlT_T0_E_clISt17integral_constantIbLb1EES13_EEDaSY_SZ_EUlSY_E_NS1_11comp_targetILNS1_3genE10ELNS1_11target_archE1200ELNS1_3gpuE4ELNS1_3repE0EEENS1_30default_config_static_selectorELNS0_4arch9wavefront6targetE0EEEvT1_
                                        ; -- End function
	.set _ZN7rocprim17ROCPRIM_400000_NS6detail17trampoline_kernelINS0_14default_configENS1_27scan_by_key_config_selectorIijEEZZNS1_16scan_by_key_implILNS1_25lookback_scan_determinismE0ELb0ES3_N6thrust23THRUST_200600_302600_NS6detail15normal_iteratorINS9_10device_ptrIiEEEENSB_INSC_IjEEEENSB_INSC_IfEEEEjNS9_4plusIvEENS9_8equal_toIvEEjEE10hipError_tPvRmT2_T3_T4_T5_mT6_T7_P12ihipStream_tbENKUlT_T0_E_clISt17integral_constantIbLb1EES13_EEDaSY_SZ_EUlSY_E_NS1_11comp_targetILNS1_3genE10ELNS1_11target_archE1200ELNS1_3gpuE4ELNS1_3repE0EEENS1_30default_config_static_selectorELNS0_4arch9wavefront6targetE0EEEvT1_.num_vgpr, 0
	.set _ZN7rocprim17ROCPRIM_400000_NS6detail17trampoline_kernelINS0_14default_configENS1_27scan_by_key_config_selectorIijEEZZNS1_16scan_by_key_implILNS1_25lookback_scan_determinismE0ELb0ES3_N6thrust23THRUST_200600_302600_NS6detail15normal_iteratorINS9_10device_ptrIiEEEENSB_INSC_IjEEEENSB_INSC_IfEEEEjNS9_4plusIvEENS9_8equal_toIvEEjEE10hipError_tPvRmT2_T3_T4_T5_mT6_T7_P12ihipStream_tbENKUlT_T0_E_clISt17integral_constantIbLb1EES13_EEDaSY_SZ_EUlSY_E_NS1_11comp_targetILNS1_3genE10ELNS1_11target_archE1200ELNS1_3gpuE4ELNS1_3repE0EEENS1_30default_config_static_selectorELNS0_4arch9wavefront6targetE0EEEvT1_.num_agpr, 0
	.set _ZN7rocprim17ROCPRIM_400000_NS6detail17trampoline_kernelINS0_14default_configENS1_27scan_by_key_config_selectorIijEEZZNS1_16scan_by_key_implILNS1_25lookback_scan_determinismE0ELb0ES3_N6thrust23THRUST_200600_302600_NS6detail15normal_iteratorINS9_10device_ptrIiEEEENSB_INSC_IjEEEENSB_INSC_IfEEEEjNS9_4plusIvEENS9_8equal_toIvEEjEE10hipError_tPvRmT2_T3_T4_T5_mT6_T7_P12ihipStream_tbENKUlT_T0_E_clISt17integral_constantIbLb1EES13_EEDaSY_SZ_EUlSY_E_NS1_11comp_targetILNS1_3genE10ELNS1_11target_archE1200ELNS1_3gpuE4ELNS1_3repE0EEENS1_30default_config_static_selectorELNS0_4arch9wavefront6targetE0EEEvT1_.numbered_sgpr, 0
	.set _ZN7rocprim17ROCPRIM_400000_NS6detail17trampoline_kernelINS0_14default_configENS1_27scan_by_key_config_selectorIijEEZZNS1_16scan_by_key_implILNS1_25lookback_scan_determinismE0ELb0ES3_N6thrust23THRUST_200600_302600_NS6detail15normal_iteratorINS9_10device_ptrIiEEEENSB_INSC_IjEEEENSB_INSC_IfEEEEjNS9_4plusIvEENS9_8equal_toIvEEjEE10hipError_tPvRmT2_T3_T4_T5_mT6_T7_P12ihipStream_tbENKUlT_T0_E_clISt17integral_constantIbLb1EES13_EEDaSY_SZ_EUlSY_E_NS1_11comp_targetILNS1_3genE10ELNS1_11target_archE1200ELNS1_3gpuE4ELNS1_3repE0EEENS1_30default_config_static_selectorELNS0_4arch9wavefront6targetE0EEEvT1_.num_named_barrier, 0
	.set _ZN7rocprim17ROCPRIM_400000_NS6detail17trampoline_kernelINS0_14default_configENS1_27scan_by_key_config_selectorIijEEZZNS1_16scan_by_key_implILNS1_25lookback_scan_determinismE0ELb0ES3_N6thrust23THRUST_200600_302600_NS6detail15normal_iteratorINS9_10device_ptrIiEEEENSB_INSC_IjEEEENSB_INSC_IfEEEEjNS9_4plusIvEENS9_8equal_toIvEEjEE10hipError_tPvRmT2_T3_T4_T5_mT6_T7_P12ihipStream_tbENKUlT_T0_E_clISt17integral_constantIbLb1EES13_EEDaSY_SZ_EUlSY_E_NS1_11comp_targetILNS1_3genE10ELNS1_11target_archE1200ELNS1_3gpuE4ELNS1_3repE0EEENS1_30default_config_static_selectorELNS0_4arch9wavefront6targetE0EEEvT1_.private_seg_size, 0
	.set _ZN7rocprim17ROCPRIM_400000_NS6detail17trampoline_kernelINS0_14default_configENS1_27scan_by_key_config_selectorIijEEZZNS1_16scan_by_key_implILNS1_25lookback_scan_determinismE0ELb0ES3_N6thrust23THRUST_200600_302600_NS6detail15normal_iteratorINS9_10device_ptrIiEEEENSB_INSC_IjEEEENSB_INSC_IfEEEEjNS9_4plusIvEENS9_8equal_toIvEEjEE10hipError_tPvRmT2_T3_T4_T5_mT6_T7_P12ihipStream_tbENKUlT_T0_E_clISt17integral_constantIbLb1EES13_EEDaSY_SZ_EUlSY_E_NS1_11comp_targetILNS1_3genE10ELNS1_11target_archE1200ELNS1_3gpuE4ELNS1_3repE0EEENS1_30default_config_static_selectorELNS0_4arch9wavefront6targetE0EEEvT1_.uses_vcc, 0
	.set _ZN7rocprim17ROCPRIM_400000_NS6detail17trampoline_kernelINS0_14default_configENS1_27scan_by_key_config_selectorIijEEZZNS1_16scan_by_key_implILNS1_25lookback_scan_determinismE0ELb0ES3_N6thrust23THRUST_200600_302600_NS6detail15normal_iteratorINS9_10device_ptrIiEEEENSB_INSC_IjEEEENSB_INSC_IfEEEEjNS9_4plusIvEENS9_8equal_toIvEEjEE10hipError_tPvRmT2_T3_T4_T5_mT6_T7_P12ihipStream_tbENKUlT_T0_E_clISt17integral_constantIbLb1EES13_EEDaSY_SZ_EUlSY_E_NS1_11comp_targetILNS1_3genE10ELNS1_11target_archE1200ELNS1_3gpuE4ELNS1_3repE0EEENS1_30default_config_static_selectorELNS0_4arch9wavefront6targetE0EEEvT1_.uses_flat_scratch, 0
	.set _ZN7rocprim17ROCPRIM_400000_NS6detail17trampoline_kernelINS0_14default_configENS1_27scan_by_key_config_selectorIijEEZZNS1_16scan_by_key_implILNS1_25lookback_scan_determinismE0ELb0ES3_N6thrust23THRUST_200600_302600_NS6detail15normal_iteratorINS9_10device_ptrIiEEEENSB_INSC_IjEEEENSB_INSC_IfEEEEjNS9_4plusIvEENS9_8equal_toIvEEjEE10hipError_tPvRmT2_T3_T4_T5_mT6_T7_P12ihipStream_tbENKUlT_T0_E_clISt17integral_constantIbLb1EES13_EEDaSY_SZ_EUlSY_E_NS1_11comp_targetILNS1_3genE10ELNS1_11target_archE1200ELNS1_3gpuE4ELNS1_3repE0EEENS1_30default_config_static_selectorELNS0_4arch9wavefront6targetE0EEEvT1_.has_dyn_sized_stack, 0
	.set _ZN7rocprim17ROCPRIM_400000_NS6detail17trampoline_kernelINS0_14default_configENS1_27scan_by_key_config_selectorIijEEZZNS1_16scan_by_key_implILNS1_25lookback_scan_determinismE0ELb0ES3_N6thrust23THRUST_200600_302600_NS6detail15normal_iteratorINS9_10device_ptrIiEEEENSB_INSC_IjEEEENSB_INSC_IfEEEEjNS9_4plusIvEENS9_8equal_toIvEEjEE10hipError_tPvRmT2_T3_T4_T5_mT6_T7_P12ihipStream_tbENKUlT_T0_E_clISt17integral_constantIbLb1EES13_EEDaSY_SZ_EUlSY_E_NS1_11comp_targetILNS1_3genE10ELNS1_11target_archE1200ELNS1_3gpuE4ELNS1_3repE0EEENS1_30default_config_static_selectorELNS0_4arch9wavefront6targetE0EEEvT1_.has_recursion, 0
	.set _ZN7rocprim17ROCPRIM_400000_NS6detail17trampoline_kernelINS0_14default_configENS1_27scan_by_key_config_selectorIijEEZZNS1_16scan_by_key_implILNS1_25lookback_scan_determinismE0ELb0ES3_N6thrust23THRUST_200600_302600_NS6detail15normal_iteratorINS9_10device_ptrIiEEEENSB_INSC_IjEEEENSB_INSC_IfEEEEjNS9_4plusIvEENS9_8equal_toIvEEjEE10hipError_tPvRmT2_T3_T4_T5_mT6_T7_P12ihipStream_tbENKUlT_T0_E_clISt17integral_constantIbLb1EES13_EEDaSY_SZ_EUlSY_E_NS1_11comp_targetILNS1_3genE10ELNS1_11target_archE1200ELNS1_3gpuE4ELNS1_3repE0EEENS1_30default_config_static_selectorELNS0_4arch9wavefront6targetE0EEEvT1_.has_indirect_call, 0
	.section	.AMDGPU.csdata,"",@progbits
; Kernel info:
; codeLenInByte = 0
; TotalNumSgprs: 0
; NumVgprs: 0
; ScratchSize: 0
; MemoryBound: 0
; FloatMode: 240
; IeeeMode: 1
; LDSByteSize: 0 bytes/workgroup (compile time only)
; SGPRBlocks: 0
; VGPRBlocks: 0
; NumSGPRsForWavesPerEU: 1
; NumVGPRsForWavesPerEU: 1
; Occupancy: 16
; WaveLimiterHint : 0
; COMPUTE_PGM_RSRC2:SCRATCH_EN: 0
; COMPUTE_PGM_RSRC2:USER_SGPR: 6
; COMPUTE_PGM_RSRC2:TRAP_HANDLER: 0
; COMPUTE_PGM_RSRC2:TGID_X_EN: 1
; COMPUTE_PGM_RSRC2:TGID_Y_EN: 0
; COMPUTE_PGM_RSRC2:TGID_Z_EN: 0
; COMPUTE_PGM_RSRC2:TIDIG_COMP_CNT: 0
	.section	.text._ZN7rocprim17ROCPRIM_400000_NS6detail17trampoline_kernelINS0_14default_configENS1_27scan_by_key_config_selectorIijEEZZNS1_16scan_by_key_implILNS1_25lookback_scan_determinismE0ELb0ES3_N6thrust23THRUST_200600_302600_NS6detail15normal_iteratorINS9_10device_ptrIiEEEENSB_INSC_IjEEEENSB_INSC_IfEEEEjNS9_4plusIvEENS9_8equal_toIvEEjEE10hipError_tPvRmT2_T3_T4_T5_mT6_T7_P12ihipStream_tbENKUlT_T0_E_clISt17integral_constantIbLb1EES13_EEDaSY_SZ_EUlSY_E_NS1_11comp_targetILNS1_3genE9ELNS1_11target_archE1100ELNS1_3gpuE3ELNS1_3repE0EEENS1_30default_config_static_selectorELNS0_4arch9wavefront6targetE0EEEvT1_,"axG",@progbits,_ZN7rocprim17ROCPRIM_400000_NS6detail17trampoline_kernelINS0_14default_configENS1_27scan_by_key_config_selectorIijEEZZNS1_16scan_by_key_implILNS1_25lookback_scan_determinismE0ELb0ES3_N6thrust23THRUST_200600_302600_NS6detail15normal_iteratorINS9_10device_ptrIiEEEENSB_INSC_IjEEEENSB_INSC_IfEEEEjNS9_4plusIvEENS9_8equal_toIvEEjEE10hipError_tPvRmT2_T3_T4_T5_mT6_T7_P12ihipStream_tbENKUlT_T0_E_clISt17integral_constantIbLb1EES13_EEDaSY_SZ_EUlSY_E_NS1_11comp_targetILNS1_3genE9ELNS1_11target_archE1100ELNS1_3gpuE3ELNS1_3repE0EEENS1_30default_config_static_selectorELNS0_4arch9wavefront6targetE0EEEvT1_,comdat
	.protected	_ZN7rocprim17ROCPRIM_400000_NS6detail17trampoline_kernelINS0_14default_configENS1_27scan_by_key_config_selectorIijEEZZNS1_16scan_by_key_implILNS1_25lookback_scan_determinismE0ELb0ES3_N6thrust23THRUST_200600_302600_NS6detail15normal_iteratorINS9_10device_ptrIiEEEENSB_INSC_IjEEEENSB_INSC_IfEEEEjNS9_4plusIvEENS9_8equal_toIvEEjEE10hipError_tPvRmT2_T3_T4_T5_mT6_T7_P12ihipStream_tbENKUlT_T0_E_clISt17integral_constantIbLb1EES13_EEDaSY_SZ_EUlSY_E_NS1_11comp_targetILNS1_3genE9ELNS1_11target_archE1100ELNS1_3gpuE3ELNS1_3repE0EEENS1_30default_config_static_selectorELNS0_4arch9wavefront6targetE0EEEvT1_ ; -- Begin function _ZN7rocprim17ROCPRIM_400000_NS6detail17trampoline_kernelINS0_14default_configENS1_27scan_by_key_config_selectorIijEEZZNS1_16scan_by_key_implILNS1_25lookback_scan_determinismE0ELb0ES3_N6thrust23THRUST_200600_302600_NS6detail15normal_iteratorINS9_10device_ptrIiEEEENSB_INSC_IjEEEENSB_INSC_IfEEEEjNS9_4plusIvEENS9_8equal_toIvEEjEE10hipError_tPvRmT2_T3_T4_T5_mT6_T7_P12ihipStream_tbENKUlT_T0_E_clISt17integral_constantIbLb1EES13_EEDaSY_SZ_EUlSY_E_NS1_11comp_targetILNS1_3genE9ELNS1_11target_archE1100ELNS1_3gpuE3ELNS1_3repE0EEENS1_30default_config_static_selectorELNS0_4arch9wavefront6targetE0EEEvT1_
	.globl	_ZN7rocprim17ROCPRIM_400000_NS6detail17trampoline_kernelINS0_14default_configENS1_27scan_by_key_config_selectorIijEEZZNS1_16scan_by_key_implILNS1_25lookback_scan_determinismE0ELb0ES3_N6thrust23THRUST_200600_302600_NS6detail15normal_iteratorINS9_10device_ptrIiEEEENSB_INSC_IjEEEENSB_INSC_IfEEEEjNS9_4plusIvEENS9_8equal_toIvEEjEE10hipError_tPvRmT2_T3_T4_T5_mT6_T7_P12ihipStream_tbENKUlT_T0_E_clISt17integral_constantIbLb1EES13_EEDaSY_SZ_EUlSY_E_NS1_11comp_targetILNS1_3genE9ELNS1_11target_archE1100ELNS1_3gpuE3ELNS1_3repE0EEENS1_30default_config_static_selectorELNS0_4arch9wavefront6targetE0EEEvT1_
	.p2align	8
	.type	_ZN7rocprim17ROCPRIM_400000_NS6detail17trampoline_kernelINS0_14default_configENS1_27scan_by_key_config_selectorIijEEZZNS1_16scan_by_key_implILNS1_25lookback_scan_determinismE0ELb0ES3_N6thrust23THRUST_200600_302600_NS6detail15normal_iteratorINS9_10device_ptrIiEEEENSB_INSC_IjEEEENSB_INSC_IfEEEEjNS9_4plusIvEENS9_8equal_toIvEEjEE10hipError_tPvRmT2_T3_T4_T5_mT6_T7_P12ihipStream_tbENKUlT_T0_E_clISt17integral_constantIbLb1EES13_EEDaSY_SZ_EUlSY_E_NS1_11comp_targetILNS1_3genE9ELNS1_11target_archE1100ELNS1_3gpuE3ELNS1_3repE0EEENS1_30default_config_static_selectorELNS0_4arch9wavefront6targetE0EEEvT1_,@function
_ZN7rocprim17ROCPRIM_400000_NS6detail17trampoline_kernelINS0_14default_configENS1_27scan_by_key_config_selectorIijEEZZNS1_16scan_by_key_implILNS1_25lookback_scan_determinismE0ELb0ES3_N6thrust23THRUST_200600_302600_NS6detail15normal_iteratorINS9_10device_ptrIiEEEENSB_INSC_IjEEEENSB_INSC_IfEEEEjNS9_4plusIvEENS9_8equal_toIvEEjEE10hipError_tPvRmT2_T3_T4_T5_mT6_T7_P12ihipStream_tbENKUlT_T0_E_clISt17integral_constantIbLb1EES13_EEDaSY_SZ_EUlSY_E_NS1_11comp_targetILNS1_3genE9ELNS1_11target_archE1100ELNS1_3gpuE3ELNS1_3repE0EEENS1_30default_config_static_selectorELNS0_4arch9wavefront6targetE0EEEvT1_: ; @_ZN7rocprim17ROCPRIM_400000_NS6detail17trampoline_kernelINS0_14default_configENS1_27scan_by_key_config_selectorIijEEZZNS1_16scan_by_key_implILNS1_25lookback_scan_determinismE0ELb0ES3_N6thrust23THRUST_200600_302600_NS6detail15normal_iteratorINS9_10device_ptrIiEEEENSB_INSC_IjEEEENSB_INSC_IfEEEEjNS9_4plusIvEENS9_8equal_toIvEEjEE10hipError_tPvRmT2_T3_T4_T5_mT6_T7_P12ihipStream_tbENKUlT_T0_E_clISt17integral_constantIbLb1EES13_EEDaSY_SZ_EUlSY_E_NS1_11comp_targetILNS1_3genE9ELNS1_11target_archE1100ELNS1_3gpuE3ELNS1_3repE0EEENS1_30default_config_static_selectorELNS0_4arch9wavefront6targetE0EEEvT1_
; %bb.0:
	.section	.rodata,"a",@progbits
	.p2align	6, 0x0
	.amdhsa_kernel _ZN7rocprim17ROCPRIM_400000_NS6detail17trampoline_kernelINS0_14default_configENS1_27scan_by_key_config_selectorIijEEZZNS1_16scan_by_key_implILNS1_25lookback_scan_determinismE0ELb0ES3_N6thrust23THRUST_200600_302600_NS6detail15normal_iteratorINS9_10device_ptrIiEEEENSB_INSC_IjEEEENSB_INSC_IfEEEEjNS9_4plusIvEENS9_8equal_toIvEEjEE10hipError_tPvRmT2_T3_T4_T5_mT6_T7_P12ihipStream_tbENKUlT_T0_E_clISt17integral_constantIbLb1EES13_EEDaSY_SZ_EUlSY_E_NS1_11comp_targetILNS1_3genE9ELNS1_11target_archE1100ELNS1_3gpuE3ELNS1_3repE0EEENS1_30default_config_static_selectorELNS0_4arch9wavefront6targetE0EEEvT1_
		.amdhsa_group_segment_fixed_size 0
		.amdhsa_private_segment_fixed_size 0
		.amdhsa_kernarg_size 112
		.amdhsa_user_sgpr_count 6
		.amdhsa_user_sgpr_private_segment_buffer 1
		.amdhsa_user_sgpr_dispatch_ptr 0
		.amdhsa_user_sgpr_queue_ptr 0
		.amdhsa_user_sgpr_kernarg_segment_ptr 1
		.amdhsa_user_sgpr_dispatch_id 0
		.amdhsa_user_sgpr_flat_scratch_init 0
		.amdhsa_user_sgpr_private_segment_size 0
		.amdhsa_wavefront_size32 1
		.amdhsa_uses_dynamic_stack 0
		.amdhsa_system_sgpr_private_segment_wavefront_offset 0
		.amdhsa_system_sgpr_workgroup_id_x 1
		.amdhsa_system_sgpr_workgroup_id_y 0
		.amdhsa_system_sgpr_workgroup_id_z 0
		.amdhsa_system_sgpr_workgroup_info 0
		.amdhsa_system_vgpr_workitem_id 0
		.amdhsa_next_free_vgpr 1
		.amdhsa_next_free_sgpr 1
		.amdhsa_reserve_vcc 0
		.amdhsa_reserve_flat_scratch 0
		.amdhsa_float_round_mode_32 0
		.amdhsa_float_round_mode_16_64 0
		.amdhsa_float_denorm_mode_32 3
		.amdhsa_float_denorm_mode_16_64 3
		.amdhsa_dx10_clamp 1
		.amdhsa_ieee_mode 1
		.amdhsa_fp16_overflow 0
		.amdhsa_workgroup_processor_mode 1
		.amdhsa_memory_ordered 1
		.amdhsa_forward_progress 1
		.amdhsa_shared_vgpr_count 0
		.amdhsa_exception_fp_ieee_invalid_op 0
		.amdhsa_exception_fp_denorm_src 0
		.amdhsa_exception_fp_ieee_div_zero 0
		.amdhsa_exception_fp_ieee_overflow 0
		.amdhsa_exception_fp_ieee_underflow 0
		.amdhsa_exception_fp_ieee_inexact 0
		.amdhsa_exception_int_div_zero 0
	.end_amdhsa_kernel
	.section	.text._ZN7rocprim17ROCPRIM_400000_NS6detail17trampoline_kernelINS0_14default_configENS1_27scan_by_key_config_selectorIijEEZZNS1_16scan_by_key_implILNS1_25lookback_scan_determinismE0ELb0ES3_N6thrust23THRUST_200600_302600_NS6detail15normal_iteratorINS9_10device_ptrIiEEEENSB_INSC_IjEEEENSB_INSC_IfEEEEjNS9_4plusIvEENS9_8equal_toIvEEjEE10hipError_tPvRmT2_T3_T4_T5_mT6_T7_P12ihipStream_tbENKUlT_T0_E_clISt17integral_constantIbLb1EES13_EEDaSY_SZ_EUlSY_E_NS1_11comp_targetILNS1_3genE9ELNS1_11target_archE1100ELNS1_3gpuE3ELNS1_3repE0EEENS1_30default_config_static_selectorELNS0_4arch9wavefront6targetE0EEEvT1_,"axG",@progbits,_ZN7rocprim17ROCPRIM_400000_NS6detail17trampoline_kernelINS0_14default_configENS1_27scan_by_key_config_selectorIijEEZZNS1_16scan_by_key_implILNS1_25lookback_scan_determinismE0ELb0ES3_N6thrust23THRUST_200600_302600_NS6detail15normal_iteratorINS9_10device_ptrIiEEEENSB_INSC_IjEEEENSB_INSC_IfEEEEjNS9_4plusIvEENS9_8equal_toIvEEjEE10hipError_tPvRmT2_T3_T4_T5_mT6_T7_P12ihipStream_tbENKUlT_T0_E_clISt17integral_constantIbLb1EES13_EEDaSY_SZ_EUlSY_E_NS1_11comp_targetILNS1_3genE9ELNS1_11target_archE1100ELNS1_3gpuE3ELNS1_3repE0EEENS1_30default_config_static_selectorELNS0_4arch9wavefront6targetE0EEEvT1_,comdat
.Lfunc_end1660:
	.size	_ZN7rocprim17ROCPRIM_400000_NS6detail17trampoline_kernelINS0_14default_configENS1_27scan_by_key_config_selectorIijEEZZNS1_16scan_by_key_implILNS1_25lookback_scan_determinismE0ELb0ES3_N6thrust23THRUST_200600_302600_NS6detail15normal_iteratorINS9_10device_ptrIiEEEENSB_INSC_IjEEEENSB_INSC_IfEEEEjNS9_4plusIvEENS9_8equal_toIvEEjEE10hipError_tPvRmT2_T3_T4_T5_mT6_T7_P12ihipStream_tbENKUlT_T0_E_clISt17integral_constantIbLb1EES13_EEDaSY_SZ_EUlSY_E_NS1_11comp_targetILNS1_3genE9ELNS1_11target_archE1100ELNS1_3gpuE3ELNS1_3repE0EEENS1_30default_config_static_selectorELNS0_4arch9wavefront6targetE0EEEvT1_, .Lfunc_end1660-_ZN7rocprim17ROCPRIM_400000_NS6detail17trampoline_kernelINS0_14default_configENS1_27scan_by_key_config_selectorIijEEZZNS1_16scan_by_key_implILNS1_25lookback_scan_determinismE0ELb0ES3_N6thrust23THRUST_200600_302600_NS6detail15normal_iteratorINS9_10device_ptrIiEEEENSB_INSC_IjEEEENSB_INSC_IfEEEEjNS9_4plusIvEENS9_8equal_toIvEEjEE10hipError_tPvRmT2_T3_T4_T5_mT6_T7_P12ihipStream_tbENKUlT_T0_E_clISt17integral_constantIbLb1EES13_EEDaSY_SZ_EUlSY_E_NS1_11comp_targetILNS1_3genE9ELNS1_11target_archE1100ELNS1_3gpuE3ELNS1_3repE0EEENS1_30default_config_static_selectorELNS0_4arch9wavefront6targetE0EEEvT1_
                                        ; -- End function
	.set _ZN7rocprim17ROCPRIM_400000_NS6detail17trampoline_kernelINS0_14default_configENS1_27scan_by_key_config_selectorIijEEZZNS1_16scan_by_key_implILNS1_25lookback_scan_determinismE0ELb0ES3_N6thrust23THRUST_200600_302600_NS6detail15normal_iteratorINS9_10device_ptrIiEEEENSB_INSC_IjEEEENSB_INSC_IfEEEEjNS9_4plusIvEENS9_8equal_toIvEEjEE10hipError_tPvRmT2_T3_T4_T5_mT6_T7_P12ihipStream_tbENKUlT_T0_E_clISt17integral_constantIbLb1EES13_EEDaSY_SZ_EUlSY_E_NS1_11comp_targetILNS1_3genE9ELNS1_11target_archE1100ELNS1_3gpuE3ELNS1_3repE0EEENS1_30default_config_static_selectorELNS0_4arch9wavefront6targetE0EEEvT1_.num_vgpr, 0
	.set _ZN7rocprim17ROCPRIM_400000_NS6detail17trampoline_kernelINS0_14default_configENS1_27scan_by_key_config_selectorIijEEZZNS1_16scan_by_key_implILNS1_25lookback_scan_determinismE0ELb0ES3_N6thrust23THRUST_200600_302600_NS6detail15normal_iteratorINS9_10device_ptrIiEEEENSB_INSC_IjEEEENSB_INSC_IfEEEEjNS9_4plusIvEENS9_8equal_toIvEEjEE10hipError_tPvRmT2_T3_T4_T5_mT6_T7_P12ihipStream_tbENKUlT_T0_E_clISt17integral_constantIbLb1EES13_EEDaSY_SZ_EUlSY_E_NS1_11comp_targetILNS1_3genE9ELNS1_11target_archE1100ELNS1_3gpuE3ELNS1_3repE0EEENS1_30default_config_static_selectorELNS0_4arch9wavefront6targetE0EEEvT1_.num_agpr, 0
	.set _ZN7rocprim17ROCPRIM_400000_NS6detail17trampoline_kernelINS0_14default_configENS1_27scan_by_key_config_selectorIijEEZZNS1_16scan_by_key_implILNS1_25lookback_scan_determinismE0ELb0ES3_N6thrust23THRUST_200600_302600_NS6detail15normal_iteratorINS9_10device_ptrIiEEEENSB_INSC_IjEEEENSB_INSC_IfEEEEjNS9_4plusIvEENS9_8equal_toIvEEjEE10hipError_tPvRmT2_T3_T4_T5_mT6_T7_P12ihipStream_tbENKUlT_T0_E_clISt17integral_constantIbLb1EES13_EEDaSY_SZ_EUlSY_E_NS1_11comp_targetILNS1_3genE9ELNS1_11target_archE1100ELNS1_3gpuE3ELNS1_3repE0EEENS1_30default_config_static_selectorELNS0_4arch9wavefront6targetE0EEEvT1_.numbered_sgpr, 0
	.set _ZN7rocprim17ROCPRIM_400000_NS6detail17trampoline_kernelINS0_14default_configENS1_27scan_by_key_config_selectorIijEEZZNS1_16scan_by_key_implILNS1_25lookback_scan_determinismE0ELb0ES3_N6thrust23THRUST_200600_302600_NS6detail15normal_iteratorINS9_10device_ptrIiEEEENSB_INSC_IjEEEENSB_INSC_IfEEEEjNS9_4plusIvEENS9_8equal_toIvEEjEE10hipError_tPvRmT2_T3_T4_T5_mT6_T7_P12ihipStream_tbENKUlT_T0_E_clISt17integral_constantIbLb1EES13_EEDaSY_SZ_EUlSY_E_NS1_11comp_targetILNS1_3genE9ELNS1_11target_archE1100ELNS1_3gpuE3ELNS1_3repE0EEENS1_30default_config_static_selectorELNS0_4arch9wavefront6targetE0EEEvT1_.num_named_barrier, 0
	.set _ZN7rocprim17ROCPRIM_400000_NS6detail17trampoline_kernelINS0_14default_configENS1_27scan_by_key_config_selectorIijEEZZNS1_16scan_by_key_implILNS1_25lookback_scan_determinismE0ELb0ES3_N6thrust23THRUST_200600_302600_NS6detail15normal_iteratorINS9_10device_ptrIiEEEENSB_INSC_IjEEEENSB_INSC_IfEEEEjNS9_4plusIvEENS9_8equal_toIvEEjEE10hipError_tPvRmT2_T3_T4_T5_mT6_T7_P12ihipStream_tbENKUlT_T0_E_clISt17integral_constantIbLb1EES13_EEDaSY_SZ_EUlSY_E_NS1_11comp_targetILNS1_3genE9ELNS1_11target_archE1100ELNS1_3gpuE3ELNS1_3repE0EEENS1_30default_config_static_selectorELNS0_4arch9wavefront6targetE0EEEvT1_.private_seg_size, 0
	.set _ZN7rocprim17ROCPRIM_400000_NS6detail17trampoline_kernelINS0_14default_configENS1_27scan_by_key_config_selectorIijEEZZNS1_16scan_by_key_implILNS1_25lookback_scan_determinismE0ELb0ES3_N6thrust23THRUST_200600_302600_NS6detail15normal_iteratorINS9_10device_ptrIiEEEENSB_INSC_IjEEEENSB_INSC_IfEEEEjNS9_4plusIvEENS9_8equal_toIvEEjEE10hipError_tPvRmT2_T3_T4_T5_mT6_T7_P12ihipStream_tbENKUlT_T0_E_clISt17integral_constantIbLb1EES13_EEDaSY_SZ_EUlSY_E_NS1_11comp_targetILNS1_3genE9ELNS1_11target_archE1100ELNS1_3gpuE3ELNS1_3repE0EEENS1_30default_config_static_selectorELNS0_4arch9wavefront6targetE0EEEvT1_.uses_vcc, 0
	.set _ZN7rocprim17ROCPRIM_400000_NS6detail17trampoline_kernelINS0_14default_configENS1_27scan_by_key_config_selectorIijEEZZNS1_16scan_by_key_implILNS1_25lookback_scan_determinismE0ELb0ES3_N6thrust23THRUST_200600_302600_NS6detail15normal_iteratorINS9_10device_ptrIiEEEENSB_INSC_IjEEEENSB_INSC_IfEEEEjNS9_4plusIvEENS9_8equal_toIvEEjEE10hipError_tPvRmT2_T3_T4_T5_mT6_T7_P12ihipStream_tbENKUlT_T0_E_clISt17integral_constantIbLb1EES13_EEDaSY_SZ_EUlSY_E_NS1_11comp_targetILNS1_3genE9ELNS1_11target_archE1100ELNS1_3gpuE3ELNS1_3repE0EEENS1_30default_config_static_selectorELNS0_4arch9wavefront6targetE0EEEvT1_.uses_flat_scratch, 0
	.set _ZN7rocprim17ROCPRIM_400000_NS6detail17trampoline_kernelINS0_14default_configENS1_27scan_by_key_config_selectorIijEEZZNS1_16scan_by_key_implILNS1_25lookback_scan_determinismE0ELb0ES3_N6thrust23THRUST_200600_302600_NS6detail15normal_iteratorINS9_10device_ptrIiEEEENSB_INSC_IjEEEENSB_INSC_IfEEEEjNS9_4plusIvEENS9_8equal_toIvEEjEE10hipError_tPvRmT2_T3_T4_T5_mT6_T7_P12ihipStream_tbENKUlT_T0_E_clISt17integral_constantIbLb1EES13_EEDaSY_SZ_EUlSY_E_NS1_11comp_targetILNS1_3genE9ELNS1_11target_archE1100ELNS1_3gpuE3ELNS1_3repE0EEENS1_30default_config_static_selectorELNS0_4arch9wavefront6targetE0EEEvT1_.has_dyn_sized_stack, 0
	.set _ZN7rocprim17ROCPRIM_400000_NS6detail17trampoline_kernelINS0_14default_configENS1_27scan_by_key_config_selectorIijEEZZNS1_16scan_by_key_implILNS1_25lookback_scan_determinismE0ELb0ES3_N6thrust23THRUST_200600_302600_NS6detail15normal_iteratorINS9_10device_ptrIiEEEENSB_INSC_IjEEEENSB_INSC_IfEEEEjNS9_4plusIvEENS9_8equal_toIvEEjEE10hipError_tPvRmT2_T3_T4_T5_mT6_T7_P12ihipStream_tbENKUlT_T0_E_clISt17integral_constantIbLb1EES13_EEDaSY_SZ_EUlSY_E_NS1_11comp_targetILNS1_3genE9ELNS1_11target_archE1100ELNS1_3gpuE3ELNS1_3repE0EEENS1_30default_config_static_selectorELNS0_4arch9wavefront6targetE0EEEvT1_.has_recursion, 0
	.set _ZN7rocprim17ROCPRIM_400000_NS6detail17trampoline_kernelINS0_14default_configENS1_27scan_by_key_config_selectorIijEEZZNS1_16scan_by_key_implILNS1_25lookback_scan_determinismE0ELb0ES3_N6thrust23THRUST_200600_302600_NS6detail15normal_iteratorINS9_10device_ptrIiEEEENSB_INSC_IjEEEENSB_INSC_IfEEEEjNS9_4plusIvEENS9_8equal_toIvEEjEE10hipError_tPvRmT2_T3_T4_T5_mT6_T7_P12ihipStream_tbENKUlT_T0_E_clISt17integral_constantIbLb1EES13_EEDaSY_SZ_EUlSY_E_NS1_11comp_targetILNS1_3genE9ELNS1_11target_archE1100ELNS1_3gpuE3ELNS1_3repE0EEENS1_30default_config_static_selectorELNS0_4arch9wavefront6targetE0EEEvT1_.has_indirect_call, 0
	.section	.AMDGPU.csdata,"",@progbits
; Kernel info:
; codeLenInByte = 0
; TotalNumSgprs: 0
; NumVgprs: 0
; ScratchSize: 0
; MemoryBound: 0
; FloatMode: 240
; IeeeMode: 1
; LDSByteSize: 0 bytes/workgroup (compile time only)
; SGPRBlocks: 0
; VGPRBlocks: 0
; NumSGPRsForWavesPerEU: 1
; NumVGPRsForWavesPerEU: 1
; Occupancy: 16
; WaveLimiterHint : 0
; COMPUTE_PGM_RSRC2:SCRATCH_EN: 0
; COMPUTE_PGM_RSRC2:USER_SGPR: 6
; COMPUTE_PGM_RSRC2:TRAP_HANDLER: 0
; COMPUTE_PGM_RSRC2:TGID_X_EN: 1
; COMPUTE_PGM_RSRC2:TGID_Y_EN: 0
; COMPUTE_PGM_RSRC2:TGID_Z_EN: 0
; COMPUTE_PGM_RSRC2:TIDIG_COMP_CNT: 0
	.section	.text._ZN7rocprim17ROCPRIM_400000_NS6detail17trampoline_kernelINS0_14default_configENS1_27scan_by_key_config_selectorIijEEZZNS1_16scan_by_key_implILNS1_25lookback_scan_determinismE0ELb0ES3_N6thrust23THRUST_200600_302600_NS6detail15normal_iteratorINS9_10device_ptrIiEEEENSB_INSC_IjEEEENSB_INSC_IfEEEEjNS9_4plusIvEENS9_8equal_toIvEEjEE10hipError_tPvRmT2_T3_T4_T5_mT6_T7_P12ihipStream_tbENKUlT_T0_E_clISt17integral_constantIbLb1EES13_EEDaSY_SZ_EUlSY_E_NS1_11comp_targetILNS1_3genE8ELNS1_11target_archE1030ELNS1_3gpuE2ELNS1_3repE0EEENS1_30default_config_static_selectorELNS0_4arch9wavefront6targetE0EEEvT1_,"axG",@progbits,_ZN7rocprim17ROCPRIM_400000_NS6detail17trampoline_kernelINS0_14default_configENS1_27scan_by_key_config_selectorIijEEZZNS1_16scan_by_key_implILNS1_25lookback_scan_determinismE0ELb0ES3_N6thrust23THRUST_200600_302600_NS6detail15normal_iteratorINS9_10device_ptrIiEEEENSB_INSC_IjEEEENSB_INSC_IfEEEEjNS9_4plusIvEENS9_8equal_toIvEEjEE10hipError_tPvRmT2_T3_T4_T5_mT6_T7_P12ihipStream_tbENKUlT_T0_E_clISt17integral_constantIbLb1EES13_EEDaSY_SZ_EUlSY_E_NS1_11comp_targetILNS1_3genE8ELNS1_11target_archE1030ELNS1_3gpuE2ELNS1_3repE0EEENS1_30default_config_static_selectorELNS0_4arch9wavefront6targetE0EEEvT1_,comdat
	.protected	_ZN7rocprim17ROCPRIM_400000_NS6detail17trampoline_kernelINS0_14default_configENS1_27scan_by_key_config_selectorIijEEZZNS1_16scan_by_key_implILNS1_25lookback_scan_determinismE0ELb0ES3_N6thrust23THRUST_200600_302600_NS6detail15normal_iteratorINS9_10device_ptrIiEEEENSB_INSC_IjEEEENSB_INSC_IfEEEEjNS9_4plusIvEENS9_8equal_toIvEEjEE10hipError_tPvRmT2_T3_T4_T5_mT6_T7_P12ihipStream_tbENKUlT_T0_E_clISt17integral_constantIbLb1EES13_EEDaSY_SZ_EUlSY_E_NS1_11comp_targetILNS1_3genE8ELNS1_11target_archE1030ELNS1_3gpuE2ELNS1_3repE0EEENS1_30default_config_static_selectorELNS0_4arch9wavefront6targetE0EEEvT1_ ; -- Begin function _ZN7rocprim17ROCPRIM_400000_NS6detail17trampoline_kernelINS0_14default_configENS1_27scan_by_key_config_selectorIijEEZZNS1_16scan_by_key_implILNS1_25lookback_scan_determinismE0ELb0ES3_N6thrust23THRUST_200600_302600_NS6detail15normal_iteratorINS9_10device_ptrIiEEEENSB_INSC_IjEEEENSB_INSC_IfEEEEjNS9_4plusIvEENS9_8equal_toIvEEjEE10hipError_tPvRmT2_T3_T4_T5_mT6_T7_P12ihipStream_tbENKUlT_T0_E_clISt17integral_constantIbLb1EES13_EEDaSY_SZ_EUlSY_E_NS1_11comp_targetILNS1_3genE8ELNS1_11target_archE1030ELNS1_3gpuE2ELNS1_3repE0EEENS1_30default_config_static_selectorELNS0_4arch9wavefront6targetE0EEEvT1_
	.globl	_ZN7rocprim17ROCPRIM_400000_NS6detail17trampoline_kernelINS0_14default_configENS1_27scan_by_key_config_selectorIijEEZZNS1_16scan_by_key_implILNS1_25lookback_scan_determinismE0ELb0ES3_N6thrust23THRUST_200600_302600_NS6detail15normal_iteratorINS9_10device_ptrIiEEEENSB_INSC_IjEEEENSB_INSC_IfEEEEjNS9_4plusIvEENS9_8equal_toIvEEjEE10hipError_tPvRmT2_T3_T4_T5_mT6_T7_P12ihipStream_tbENKUlT_T0_E_clISt17integral_constantIbLb1EES13_EEDaSY_SZ_EUlSY_E_NS1_11comp_targetILNS1_3genE8ELNS1_11target_archE1030ELNS1_3gpuE2ELNS1_3repE0EEENS1_30default_config_static_selectorELNS0_4arch9wavefront6targetE0EEEvT1_
	.p2align	8
	.type	_ZN7rocprim17ROCPRIM_400000_NS6detail17trampoline_kernelINS0_14default_configENS1_27scan_by_key_config_selectorIijEEZZNS1_16scan_by_key_implILNS1_25lookback_scan_determinismE0ELb0ES3_N6thrust23THRUST_200600_302600_NS6detail15normal_iteratorINS9_10device_ptrIiEEEENSB_INSC_IjEEEENSB_INSC_IfEEEEjNS9_4plusIvEENS9_8equal_toIvEEjEE10hipError_tPvRmT2_T3_T4_T5_mT6_T7_P12ihipStream_tbENKUlT_T0_E_clISt17integral_constantIbLb1EES13_EEDaSY_SZ_EUlSY_E_NS1_11comp_targetILNS1_3genE8ELNS1_11target_archE1030ELNS1_3gpuE2ELNS1_3repE0EEENS1_30default_config_static_selectorELNS0_4arch9wavefront6targetE0EEEvT1_,@function
_ZN7rocprim17ROCPRIM_400000_NS6detail17trampoline_kernelINS0_14default_configENS1_27scan_by_key_config_selectorIijEEZZNS1_16scan_by_key_implILNS1_25lookback_scan_determinismE0ELb0ES3_N6thrust23THRUST_200600_302600_NS6detail15normal_iteratorINS9_10device_ptrIiEEEENSB_INSC_IjEEEENSB_INSC_IfEEEEjNS9_4plusIvEENS9_8equal_toIvEEjEE10hipError_tPvRmT2_T3_T4_T5_mT6_T7_P12ihipStream_tbENKUlT_T0_E_clISt17integral_constantIbLb1EES13_EEDaSY_SZ_EUlSY_E_NS1_11comp_targetILNS1_3genE8ELNS1_11target_archE1030ELNS1_3gpuE2ELNS1_3repE0EEENS1_30default_config_static_selectorELNS0_4arch9wavefront6targetE0EEEvT1_: ; @_ZN7rocprim17ROCPRIM_400000_NS6detail17trampoline_kernelINS0_14default_configENS1_27scan_by_key_config_selectorIijEEZZNS1_16scan_by_key_implILNS1_25lookback_scan_determinismE0ELb0ES3_N6thrust23THRUST_200600_302600_NS6detail15normal_iteratorINS9_10device_ptrIiEEEENSB_INSC_IjEEEENSB_INSC_IfEEEEjNS9_4plusIvEENS9_8equal_toIvEEjEE10hipError_tPvRmT2_T3_T4_T5_mT6_T7_P12ihipStream_tbENKUlT_T0_E_clISt17integral_constantIbLb1EES13_EEDaSY_SZ_EUlSY_E_NS1_11comp_targetILNS1_3genE8ELNS1_11target_archE1030ELNS1_3gpuE2ELNS1_3repE0EEENS1_30default_config_static_selectorELNS0_4arch9wavefront6targetE0EEEvT1_
; %bb.0:
	s_endpgm
	.section	.rodata,"a",@progbits
	.p2align	6, 0x0
	.amdhsa_kernel _ZN7rocprim17ROCPRIM_400000_NS6detail17trampoline_kernelINS0_14default_configENS1_27scan_by_key_config_selectorIijEEZZNS1_16scan_by_key_implILNS1_25lookback_scan_determinismE0ELb0ES3_N6thrust23THRUST_200600_302600_NS6detail15normal_iteratorINS9_10device_ptrIiEEEENSB_INSC_IjEEEENSB_INSC_IfEEEEjNS9_4plusIvEENS9_8equal_toIvEEjEE10hipError_tPvRmT2_T3_T4_T5_mT6_T7_P12ihipStream_tbENKUlT_T0_E_clISt17integral_constantIbLb1EES13_EEDaSY_SZ_EUlSY_E_NS1_11comp_targetILNS1_3genE8ELNS1_11target_archE1030ELNS1_3gpuE2ELNS1_3repE0EEENS1_30default_config_static_selectorELNS0_4arch9wavefront6targetE0EEEvT1_
		.amdhsa_group_segment_fixed_size 0
		.amdhsa_private_segment_fixed_size 0
		.amdhsa_kernarg_size 112
		.amdhsa_user_sgpr_count 6
		.amdhsa_user_sgpr_private_segment_buffer 1
		.amdhsa_user_sgpr_dispatch_ptr 0
		.amdhsa_user_sgpr_queue_ptr 0
		.amdhsa_user_sgpr_kernarg_segment_ptr 1
		.amdhsa_user_sgpr_dispatch_id 0
		.amdhsa_user_sgpr_flat_scratch_init 0
		.amdhsa_user_sgpr_private_segment_size 0
		.amdhsa_wavefront_size32 1
		.amdhsa_uses_dynamic_stack 0
		.amdhsa_system_sgpr_private_segment_wavefront_offset 0
		.amdhsa_system_sgpr_workgroup_id_x 1
		.amdhsa_system_sgpr_workgroup_id_y 0
		.amdhsa_system_sgpr_workgroup_id_z 0
		.amdhsa_system_sgpr_workgroup_info 0
		.amdhsa_system_vgpr_workitem_id 0
		.amdhsa_next_free_vgpr 1
		.amdhsa_next_free_sgpr 1
		.amdhsa_reserve_vcc 0
		.amdhsa_reserve_flat_scratch 0
		.amdhsa_float_round_mode_32 0
		.amdhsa_float_round_mode_16_64 0
		.amdhsa_float_denorm_mode_32 3
		.amdhsa_float_denorm_mode_16_64 3
		.amdhsa_dx10_clamp 1
		.amdhsa_ieee_mode 1
		.amdhsa_fp16_overflow 0
		.amdhsa_workgroup_processor_mode 1
		.amdhsa_memory_ordered 1
		.amdhsa_forward_progress 1
		.amdhsa_shared_vgpr_count 0
		.amdhsa_exception_fp_ieee_invalid_op 0
		.amdhsa_exception_fp_denorm_src 0
		.amdhsa_exception_fp_ieee_div_zero 0
		.amdhsa_exception_fp_ieee_overflow 0
		.amdhsa_exception_fp_ieee_underflow 0
		.amdhsa_exception_fp_ieee_inexact 0
		.amdhsa_exception_int_div_zero 0
	.end_amdhsa_kernel
	.section	.text._ZN7rocprim17ROCPRIM_400000_NS6detail17trampoline_kernelINS0_14default_configENS1_27scan_by_key_config_selectorIijEEZZNS1_16scan_by_key_implILNS1_25lookback_scan_determinismE0ELb0ES3_N6thrust23THRUST_200600_302600_NS6detail15normal_iteratorINS9_10device_ptrIiEEEENSB_INSC_IjEEEENSB_INSC_IfEEEEjNS9_4plusIvEENS9_8equal_toIvEEjEE10hipError_tPvRmT2_T3_T4_T5_mT6_T7_P12ihipStream_tbENKUlT_T0_E_clISt17integral_constantIbLb1EES13_EEDaSY_SZ_EUlSY_E_NS1_11comp_targetILNS1_3genE8ELNS1_11target_archE1030ELNS1_3gpuE2ELNS1_3repE0EEENS1_30default_config_static_selectorELNS0_4arch9wavefront6targetE0EEEvT1_,"axG",@progbits,_ZN7rocprim17ROCPRIM_400000_NS6detail17trampoline_kernelINS0_14default_configENS1_27scan_by_key_config_selectorIijEEZZNS1_16scan_by_key_implILNS1_25lookback_scan_determinismE0ELb0ES3_N6thrust23THRUST_200600_302600_NS6detail15normal_iteratorINS9_10device_ptrIiEEEENSB_INSC_IjEEEENSB_INSC_IfEEEEjNS9_4plusIvEENS9_8equal_toIvEEjEE10hipError_tPvRmT2_T3_T4_T5_mT6_T7_P12ihipStream_tbENKUlT_T0_E_clISt17integral_constantIbLb1EES13_EEDaSY_SZ_EUlSY_E_NS1_11comp_targetILNS1_3genE8ELNS1_11target_archE1030ELNS1_3gpuE2ELNS1_3repE0EEENS1_30default_config_static_selectorELNS0_4arch9wavefront6targetE0EEEvT1_,comdat
.Lfunc_end1661:
	.size	_ZN7rocprim17ROCPRIM_400000_NS6detail17trampoline_kernelINS0_14default_configENS1_27scan_by_key_config_selectorIijEEZZNS1_16scan_by_key_implILNS1_25lookback_scan_determinismE0ELb0ES3_N6thrust23THRUST_200600_302600_NS6detail15normal_iteratorINS9_10device_ptrIiEEEENSB_INSC_IjEEEENSB_INSC_IfEEEEjNS9_4plusIvEENS9_8equal_toIvEEjEE10hipError_tPvRmT2_T3_T4_T5_mT6_T7_P12ihipStream_tbENKUlT_T0_E_clISt17integral_constantIbLb1EES13_EEDaSY_SZ_EUlSY_E_NS1_11comp_targetILNS1_3genE8ELNS1_11target_archE1030ELNS1_3gpuE2ELNS1_3repE0EEENS1_30default_config_static_selectorELNS0_4arch9wavefront6targetE0EEEvT1_, .Lfunc_end1661-_ZN7rocprim17ROCPRIM_400000_NS6detail17trampoline_kernelINS0_14default_configENS1_27scan_by_key_config_selectorIijEEZZNS1_16scan_by_key_implILNS1_25lookback_scan_determinismE0ELb0ES3_N6thrust23THRUST_200600_302600_NS6detail15normal_iteratorINS9_10device_ptrIiEEEENSB_INSC_IjEEEENSB_INSC_IfEEEEjNS9_4plusIvEENS9_8equal_toIvEEjEE10hipError_tPvRmT2_T3_T4_T5_mT6_T7_P12ihipStream_tbENKUlT_T0_E_clISt17integral_constantIbLb1EES13_EEDaSY_SZ_EUlSY_E_NS1_11comp_targetILNS1_3genE8ELNS1_11target_archE1030ELNS1_3gpuE2ELNS1_3repE0EEENS1_30default_config_static_selectorELNS0_4arch9wavefront6targetE0EEEvT1_
                                        ; -- End function
	.set _ZN7rocprim17ROCPRIM_400000_NS6detail17trampoline_kernelINS0_14default_configENS1_27scan_by_key_config_selectorIijEEZZNS1_16scan_by_key_implILNS1_25lookback_scan_determinismE0ELb0ES3_N6thrust23THRUST_200600_302600_NS6detail15normal_iteratorINS9_10device_ptrIiEEEENSB_INSC_IjEEEENSB_INSC_IfEEEEjNS9_4plusIvEENS9_8equal_toIvEEjEE10hipError_tPvRmT2_T3_T4_T5_mT6_T7_P12ihipStream_tbENKUlT_T0_E_clISt17integral_constantIbLb1EES13_EEDaSY_SZ_EUlSY_E_NS1_11comp_targetILNS1_3genE8ELNS1_11target_archE1030ELNS1_3gpuE2ELNS1_3repE0EEENS1_30default_config_static_selectorELNS0_4arch9wavefront6targetE0EEEvT1_.num_vgpr, 0
	.set _ZN7rocprim17ROCPRIM_400000_NS6detail17trampoline_kernelINS0_14default_configENS1_27scan_by_key_config_selectorIijEEZZNS1_16scan_by_key_implILNS1_25lookback_scan_determinismE0ELb0ES3_N6thrust23THRUST_200600_302600_NS6detail15normal_iteratorINS9_10device_ptrIiEEEENSB_INSC_IjEEEENSB_INSC_IfEEEEjNS9_4plusIvEENS9_8equal_toIvEEjEE10hipError_tPvRmT2_T3_T4_T5_mT6_T7_P12ihipStream_tbENKUlT_T0_E_clISt17integral_constantIbLb1EES13_EEDaSY_SZ_EUlSY_E_NS1_11comp_targetILNS1_3genE8ELNS1_11target_archE1030ELNS1_3gpuE2ELNS1_3repE0EEENS1_30default_config_static_selectorELNS0_4arch9wavefront6targetE0EEEvT1_.num_agpr, 0
	.set _ZN7rocprim17ROCPRIM_400000_NS6detail17trampoline_kernelINS0_14default_configENS1_27scan_by_key_config_selectorIijEEZZNS1_16scan_by_key_implILNS1_25lookback_scan_determinismE0ELb0ES3_N6thrust23THRUST_200600_302600_NS6detail15normal_iteratorINS9_10device_ptrIiEEEENSB_INSC_IjEEEENSB_INSC_IfEEEEjNS9_4plusIvEENS9_8equal_toIvEEjEE10hipError_tPvRmT2_T3_T4_T5_mT6_T7_P12ihipStream_tbENKUlT_T0_E_clISt17integral_constantIbLb1EES13_EEDaSY_SZ_EUlSY_E_NS1_11comp_targetILNS1_3genE8ELNS1_11target_archE1030ELNS1_3gpuE2ELNS1_3repE0EEENS1_30default_config_static_selectorELNS0_4arch9wavefront6targetE0EEEvT1_.numbered_sgpr, 0
	.set _ZN7rocprim17ROCPRIM_400000_NS6detail17trampoline_kernelINS0_14default_configENS1_27scan_by_key_config_selectorIijEEZZNS1_16scan_by_key_implILNS1_25lookback_scan_determinismE0ELb0ES3_N6thrust23THRUST_200600_302600_NS6detail15normal_iteratorINS9_10device_ptrIiEEEENSB_INSC_IjEEEENSB_INSC_IfEEEEjNS9_4plusIvEENS9_8equal_toIvEEjEE10hipError_tPvRmT2_T3_T4_T5_mT6_T7_P12ihipStream_tbENKUlT_T0_E_clISt17integral_constantIbLb1EES13_EEDaSY_SZ_EUlSY_E_NS1_11comp_targetILNS1_3genE8ELNS1_11target_archE1030ELNS1_3gpuE2ELNS1_3repE0EEENS1_30default_config_static_selectorELNS0_4arch9wavefront6targetE0EEEvT1_.num_named_barrier, 0
	.set _ZN7rocprim17ROCPRIM_400000_NS6detail17trampoline_kernelINS0_14default_configENS1_27scan_by_key_config_selectorIijEEZZNS1_16scan_by_key_implILNS1_25lookback_scan_determinismE0ELb0ES3_N6thrust23THRUST_200600_302600_NS6detail15normal_iteratorINS9_10device_ptrIiEEEENSB_INSC_IjEEEENSB_INSC_IfEEEEjNS9_4plusIvEENS9_8equal_toIvEEjEE10hipError_tPvRmT2_T3_T4_T5_mT6_T7_P12ihipStream_tbENKUlT_T0_E_clISt17integral_constantIbLb1EES13_EEDaSY_SZ_EUlSY_E_NS1_11comp_targetILNS1_3genE8ELNS1_11target_archE1030ELNS1_3gpuE2ELNS1_3repE0EEENS1_30default_config_static_selectorELNS0_4arch9wavefront6targetE0EEEvT1_.private_seg_size, 0
	.set _ZN7rocprim17ROCPRIM_400000_NS6detail17trampoline_kernelINS0_14default_configENS1_27scan_by_key_config_selectorIijEEZZNS1_16scan_by_key_implILNS1_25lookback_scan_determinismE0ELb0ES3_N6thrust23THRUST_200600_302600_NS6detail15normal_iteratorINS9_10device_ptrIiEEEENSB_INSC_IjEEEENSB_INSC_IfEEEEjNS9_4plusIvEENS9_8equal_toIvEEjEE10hipError_tPvRmT2_T3_T4_T5_mT6_T7_P12ihipStream_tbENKUlT_T0_E_clISt17integral_constantIbLb1EES13_EEDaSY_SZ_EUlSY_E_NS1_11comp_targetILNS1_3genE8ELNS1_11target_archE1030ELNS1_3gpuE2ELNS1_3repE0EEENS1_30default_config_static_selectorELNS0_4arch9wavefront6targetE0EEEvT1_.uses_vcc, 0
	.set _ZN7rocprim17ROCPRIM_400000_NS6detail17trampoline_kernelINS0_14default_configENS1_27scan_by_key_config_selectorIijEEZZNS1_16scan_by_key_implILNS1_25lookback_scan_determinismE0ELb0ES3_N6thrust23THRUST_200600_302600_NS6detail15normal_iteratorINS9_10device_ptrIiEEEENSB_INSC_IjEEEENSB_INSC_IfEEEEjNS9_4plusIvEENS9_8equal_toIvEEjEE10hipError_tPvRmT2_T3_T4_T5_mT6_T7_P12ihipStream_tbENKUlT_T0_E_clISt17integral_constantIbLb1EES13_EEDaSY_SZ_EUlSY_E_NS1_11comp_targetILNS1_3genE8ELNS1_11target_archE1030ELNS1_3gpuE2ELNS1_3repE0EEENS1_30default_config_static_selectorELNS0_4arch9wavefront6targetE0EEEvT1_.uses_flat_scratch, 0
	.set _ZN7rocprim17ROCPRIM_400000_NS6detail17trampoline_kernelINS0_14default_configENS1_27scan_by_key_config_selectorIijEEZZNS1_16scan_by_key_implILNS1_25lookback_scan_determinismE0ELb0ES3_N6thrust23THRUST_200600_302600_NS6detail15normal_iteratorINS9_10device_ptrIiEEEENSB_INSC_IjEEEENSB_INSC_IfEEEEjNS9_4plusIvEENS9_8equal_toIvEEjEE10hipError_tPvRmT2_T3_T4_T5_mT6_T7_P12ihipStream_tbENKUlT_T0_E_clISt17integral_constantIbLb1EES13_EEDaSY_SZ_EUlSY_E_NS1_11comp_targetILNS1_3genE8ELNS1_11target_archE1030ELNS1_3gpuE2ELNS1_3repE0EEENS1_30default_config_static_selectorELNS0_4arch9wavefront6targetE0EEEvT1_.has_dyn_sized_stack, 0
	.set _ZN7rocprim17ROCPRIM_400000_NS6detail17trampoline_kernelINS0_14default_configENS1_27scan_by_key_config_selectorIijEEZZNS1_16scan_by_key_implILNS1_25lookback_scan_determinismE0ELb0ES3_N6thrust23THRUST_200600_302600_NS6detail15normal_iteratorINS9_10device_ptrIiEEEENSB_INSC_IjEEEENSB_INSC_IfEEEEjNS9_4plusIvEENS9_8equal_toIvEEjEE10hipError_tPvRmT2_T3_T4_T5_mT6_T7_P12ihipStream_tbENKUlT_T0_E_clISt17integral_constantIbLb1EES13_EEDaSY_SZ_EUlSY_E_NS1_11comp_targetILNS1_3genE8ELNS1_11target_archE1030ELNS1_3gpuE2ELNS1_3repE0EEENS1_30default_config_static_selectorELNS0_4arch9wavefront6targetE0EEEvT1_.has_recursion, 0
	.set _ZN7rocprim17ROCPRIM_400000_NS6detail17trampoline_kernelINS0_14default_configENS1_27scan_by_key_config_selectorIijEEZZNS1_16scan_by_key_implILNS1_25lookback_scan_determinismE0ELb0ES3_N6thrust23THRUST_200600_302600_NS6detail15normal_iteratorINS9_10device_ptrIiEEEENSB_INSC_IjEEEENSB_INSC_IfEEEEjNS9_4plusIvEENS9_8equal_toIvEEjEE10hipError_tPvRmT2_T3_T4_T5_mT6_T7_P12ihipStream_tbENKUlT_T0_E_clISt17integral_constantIbLb1EES13_EEDaSY_SZ_EUlSY_E_NS1_11comp_targetILNS1_3genE8ELNS1_11target_archE1030ELNS1_3gpuE2ELNS1_3repE0EEENS1_30default_config_static_selectorELNS0_4arch9wavefront6targetE0EEEvT1_.has_indirect_call, 0
	.section	.AMDGPU.csdata,"",@progbits
; Kernel info:
; codeLenInByte = 4
; TotalNumSgprs: 0
; NumVgprs: 0
; ScratchSize: 0
; MemoryBound: 0
; FloatMode: 240
; IeeeMode: 1
; LDSByteSize: 0 bytes/workgroup (compile time only)
; SGPRBlocks: 0
; VGPRBlocks: 0
; NumSGPRsForWavesPerEU: 1
; NumVGPRsForWavesPerEU: 1
; Occupancy: 16
; WaveLimiterHint : 0
; COMPUTE_PGM_RSRC2:SCRATCH_EN: 0
; COMPUTE_PGM_RSRC2:USER_SGPR: 6
; COMPUTE_PGM_RSRC2:TRAP_HANDLER: 0
; COMPUTE_PGM_RSRC2:TGID_X_EN: 1
; COMPUTE_PGM_RSRC2:TGID_Y_EN: 0
; COMPUTE_PGM_RSRC2:TGID_Z_EN: 0
; COMPUTE_PGM_RSRC2:TIDIG_COMP_CNT: 0
	.section	.text._ZN7rocprim17ROCPRIM_400000_NS6detail17trampoline_kernelINS0_14default_configENS1_27scan_by_key_config_selectorIijEEZZNS1_16scan_by_key_implILNS1_25lookback_scan_determinismE0ELb0ES3_N6thrust23THRUST_200600_302600_NS6detail15normal_iteratorINS9_10device_ptrIiEEEENSB_INSC_IjEEEENSB_INSC_IfEEEEjNS9_4plusIvEENS9_8equal_toIvEEjEE10hipError_tPvRmT2_T3_T4_T5_mT6_T7_P12ihipStream_tbENKUlT_T0_E_clISt17integral_constantIbLb1EES12_IbLb0EEEEDaSY_SZ_EUlSY_E_NS1_11comp_targetILNS1_3genE0ELNS1_11target_archE4294967295ELNS1_3gpuE0ELNS1_3repE0EEENS1_30default_config_static_selectorELNS0_4arch9wavefront6targetE0EEEvT1_,"axG",@progbits,_ZN7rocprim17ROCPRIM_400000_NS6detail17trampoline_kernelINS0_14default_configENS1_27scan_by_key_config_selectorIijEEZZNS1_16scan_by_key_implILNS1_25lookback_scan_determinismE0ELb0ES3_N6thrust23THRUST_200600_302600_NS6detail15normal_iteratorINS9_10device_ptrIiEEEENSB_INSC_IjEEEENSB_INSC_IfEEEEjNS9_4plusIvEENS9_8equal_toIvEEjEE10hipError_tPvRmT2_T3_T4_T5_mT6_T7_P12ihipStream_tbENKUlT_T0_E_clISt17integral_constantIbLb1EES12_IbLb0EEEEDaSY_SZ_EUlSY_E_NS1_11comp_targetILNS1_3genE0ELNS1_11target_archE4294967295ELNS1_3gpuE0ELNS1_3repE0EEENS1_30default_config_static_selectorELNS0_4arch9wavefront6targetE0EEEvT1_,comdat
	.protected	_ZN7rocprim17ROCPRIM_400000_NS6detail17trampoline_kernelINS0_14default_configENS1_27scan_by_key_config_selectorIijEEZZNS1_16scan_by_key_implILNS1_25lookback_scan_determinismE0ELb0ES3_N6thrust23THRUST_200600_302600_NS6detail15normal_iteratorINS9_10device_ptrIiEEEENSB_INSC_IjEEEENSB_INSC_IfEEEEjNS9_4plusIvEENS9_8equal_toIvEEjEE10hipError_tPvRmT2_T3_T4_T5_mT6_T7_P12ihipStream_tbENKUlT_T0_E_clISt17integral_constantIbLb1EES12_IbLb0EEEEDaSY_SZ_EUlSY_E_NS1_11comp_targetILNS1_3genE0ELNS1_11target_archE4294967295ELNS1_3gpuE0ELNS1_3repE0EEENS1_30default_config_static_selectorELNS0_4arch9wavefront6targetE0EEEvT1_ ; -- Begin function _ZN7rocprim17ROCPRIM_400000_NS6detail17trampoline_kernelINS0_14default_configENS1_27scan_by_key_config_selectorIijEEZZNS1_16scan_by_key_implILNS1_25lookback_scan_determinismE0ELb0ES3_N6thrust23THRUST_200600_302600_NS6detail15normal_iteratorINS9_10device_ptrIiEEEENSB_INSC_IjEEEENSB_INSC_IfEEEEjNS9_4plusIvEENS9_8equal_toIvEEjEE10hipError_tPvRmT2_T3_T4_T5_mT6_T7_P12ihipStream_tbENKUlT_T0_E_clISt17integral_constantIbLb1EES12_IbLb0EEEEDaSY_SZ_EUlSY_E_NS1_11comp_targetILNS1_3genE0ELNS1_11target_archE4294967295ELNS1_3gpuE0ELNS1_3repE0EEENS1_30default_config_static_selectorELNS0_4arch9wavefront6targetE0EEEvT1_
	.globl	_ZN7rocprim17ROCPRIM_400000_NS6detail17trampoline_kernelINS0_14default_configENS1_27scan_by_key_config_selectorIijEEZZNS1_16scan_by_key_implILNS1_25lookback_scan_determinismE0ELb0ES3_N6thrust23THRUST_200600_302600_NS6detail15normal_iteratorINS9_10device_ptrIiEEEENSB_INSC_IjEEEENSB_INSC_IfEEEEjNS9_4plusIvEENS9_8equal_toIvEEjEE10hipError_tPvRmT2_T3_T4_T5_mT6_T7_P12ihipStream_tbENKUlT_T0_E_clISt17integral_constantIbLb1EES12_IbLb0EEEEDaSY_SZ_EUlSY_E_NS1_11comp_targetILNS1_3genE0ELNS1_11target_archE4294967295ELNS1_3gpuE0ELNS1_3repE0EEENS1_30default_config_static_selectorELNS0_4arch9wavefront6targetE0EEEvT1_
	.p2align	8
	.type	_ZN7rocprim17ROCPRIM_400000_NS6detail17trampoline_kernelINS0_14default_configENS1_27scan_by_key_config_selectorIijEEZZNS1_16scan_by_key_implILNS1_25lookback_scan_determinismE0ELb0ES3_N6thrust23THRUST_200600_302600_NS6detail15normal_iteratorINS9_10device_ptrIiEEEENSB_INSC_IjEEEENSB_INSC_IfEEEEjNS9_4plusIvEENS9_8equal_toIvEEjEE10hipError_tPvRmT2_T3_T4_T5_mT6_T7_P12ihipStream_tbENKUlT_T0_E_clISt17integral_constantIbLb1EES12_IbLb0EEEEDaSY_SZ_EUlSY_E_NS1_11comp_targetILNS1_3genE0ELNS1_11target_archE4294967295ELNS1_3gpuE0ELNS1_3repE0EEENS1_30default_config_static_selectorELNS0_4arch9wavefront6targetE0EEEvT1_,@function
_ZN7rocprim17ROCPRIM_400000_NS6detail17trampoline_kernelINS0_14default_configENS1_27scan_by_key_config_selectorIijEEZZNS1_16scan_by_key_implILNS1_25lookback_scan_determinismE0ELb0ES3_N6thrust23THRUST_200600_302600_NS6detail15normal_iteratorINS9_10device_ptrIiEEEENSB_INSC_IjEEEENSB_INSC_IfEEEEjNS9_4plusIvEENS9_8equal_toIvEEjEE10hipError_tPvRmT2_T3_T4_T5_mT6_T7_P12ihipStream_tbENKUlT_T0_E_clISt17integral_constantIbLb1EES12_IbLb0EEEEDaSY_SZ_EUlSY_E_NS1_11comp_targetILNS1_3genE0ELNS1_11target_archE4294967295ELNS1_3gpuE0ELNS1_3repE0EEENS1_30default_config_static_selectorELNS0_4arch9wavefront6targetE0EEEvT1_: ; @_ZN7rocprim17ROCPRIM_400000_NS6detail17trampoline_kernelINS0_14default_configENS1_27scan_by_key_config_selectorIijEEZZNS1_16scan_by_key_implILNS1_25lookback_scan_determinismE0ELb0ES3_N6thrust23THRUST_200600_302600_NS6detail15normal_iteratorINS9_10device_ptrIiEEEENSB_INSC_IjEEEENSB_INSC_IfEEEEjNS9_4plusIvEENS9_8equal_toIvEEjEE10hipError_tPvRmT2_T3_T4_T5_mT6_T7_P12ihipStream_tbENKUlT_T0_E_clISt17integral_constantIbLb1EES12_IbLb0EEEEDaSY_SZ_EUlSY_E_NS1_11comp_targetILNS1_3genE0ELNS1_11target_archE4294967295ELNS1_3gpuE0ELNS1_3repE0EEENS1_30default_config_static_selectorELNS0_4arch9wavefront6targetE0EEEvT1_
; %bb.0:
	.section	.rodata,"a",@progbits
	.p2align	6, 0x0
	.amdhsa_kernel _ZN7rocprim17ROCPRIM_400000_NS6detail17trampoline_kernelINS0_14default_configENS1_27scan_by_key_config_selectorIijEEZZNS1_16scan_by_key_implILNS1_25lookback_scan_determinismE0ELb0ES3_N6thrust23THRUST_200600_302600_NS6detail15normal_iteratorINS9_10device_ptrIiEEEENSB_INSC_IjEEEENSB_INSC_IfEEEEjNS9_4plusIvEENS9_8equal_toIvEEjEE10hipError_tPvRmT2_T3_T4_T5_mT6_T7_P12ihipStream_tbENKUlT_T0_E_clISt17integral_constantIbLb1EES12_IbLb0EEEEDaSY_SZ_EUlSY_E_NS1_11comp_targetILNS1_3genE0ELNS1_11target_archE4294967295ELNS1_3gpuE0ELNS1_3repE0EEENS1_30default_config_static_selectorELNS0_4arch9wavefront6targetE0EEEvT1_
		.amdhsa_group_segment_fixed_size 0
		.amdhsa_private_segment_fixed_size 0
		.amdhsa_kernarg_size 112
		.amdhsa_user_sgpr_count 6
		.amdhsa_user_sgpr_private_segment_buffer 1
		.amdhsa_user_sgpr_dispatch_ptr 0
		.amdhsa_user_sgpr_queue_ptr 0
		.amdhsa_user_sgpr_kernarg_segment_ptr 1
		.amdhsa_user_sgpr_dispatch_id 0
		.amdhsa_user_sgpr_flat_scratch_init 0
		.amdhsa_user_sgpr_private_segment_size 0
		.amdhsa_wavefront_size32 1
		.amdhsa_uses_dynamic_stack 0
		.amdhsa_system_sgpr_private_segment_wavefront_offset 0
		.amdhsa_system_sgpr_workgroup_id_x 1
		.amdhsa_system_sgpr_workgroup_id_y 0
		.amdhsa_system_sgpr_workgroup_id_z 0
		.amdhsa_system_sgpr_workgroup_info 0
		.amdhsa_system_vgpr_workitem_id 0
		.amdhsa_next_free_vgpr 1
		.amdhsa_next_free_sgpr 1
		.amdhsa_reserve_vcc 0
		.amdhsa_reserve_flat_scratch 0
		.amdhsa_float_round_mode_32 0
		.amdhsa_float_round_mode_16_64 0
		.amdhsa_float_denorm_mode_32 3
		.amdhsa_float_denorm_mode_16_64 3
		.amdhsa_dx10_clamp 1
		.amdhsa_ieee_mode 1
		.amdhsa_fp16_overflow 0
		.amdhsa_workgroup_processor_mode 1
		.amdhsa_memory_ordered 1
		.amdhsa_forward_progress 1
		.amdhsa_shared_vgpr_count 0
		.amdhsa_exception_fp_ieee_invalid_op 0
		.amdhsa_exception_fp_denorm_src 0
		.amdhsa_exception_fp_ieee_div_zero 0
		.amdhsa_exception_fp_ieee_overflow 0
		.amdhsa_exception_fp_ieee_underflow 0
		.amdhsa_exception_fp_ieee_inexact 0
		.amdhsa_exception_int_div_zero 0
	.end_amdhsa_kernel
	.section	.text._ZN7rocprim17ROCPRIM_400000_NS6detail17trampoline_kernelINS0_14default_configENS1_27scan_by_key_config_selectorIijEEZZNS1_16scan_by_key_implILNS1_25lookback_scan_determinismE0ELb0ES3_N6thrust23THRUST_200600_302600_NS6detail15normal_iteratorINS9_10device_ptrIiEEEENSB_INSC_IjEEEENSB_INSC_IfEEEEjNS9_4plusIvEENS9_8equal_toIvEEjEE10hipError_tPvRmT2_T3_T4_T5_mT6_T7_P12ihipStream_tbENKUlT_T0_E_clISt17integral_constantIbLb1EES12_IbLb0EEEEDaSY_SZ_EUlSY_E_NS1_11comp_targetILNS1_3genE0ELNS1_11target_archE4294967295ELNS1_3gpuE0ELNS1_3repE0EEENS1_30default_config_static_selectorELNS0_4arch9wavefront6targetE0EEEvT1_,"axG",@progbits,_ZN7rocprim17ROCPRIM_400000_NS6detail17trampoline_kernelINS0_14default_configENS1_27scan_by_key_config_selectorIijEEZZNS1_16scan_by_key_implILNS1_25lookback_scan_determinismE0ELb0ES3_N6thrust23THRUST_200600_302600_NS6detail15normal_iteratorINS9_10device_ptrIiEEEENSB_INSC_IjEEEENSB_INSC_IfEEEEjNS9_4plusIvEENS9_8equal_toIvEEjEE10hipError_tPvRmT2_T3_T4_T5_mT6_T7_P12ihipStream_tbENKUlT_T0_E_clISt17integral_constantIbLb1EES12_IbLb0EEEEDaSY_SZ_EUlSY_E_NS1_11comp_targetILNS1_3genE0ELNS1_11target_archE4294967295ELNS1_3gpuE0ELNS1_3repE0EEENS1_30default_config_static_selectorELNS0_4arch9wavefront6targetE0EEEvT1_,comdat
.Lfunc_end1662:
	.size	_ZN7rocprim17ROCPRIM_400000_NS6detail17trampoline_kernelINS0_14default_configENS1_27scan_by_key_config_selectorIijEEZZNS1_16scan_by_key_implILNS1_25lookback_scan_determinismE0ELb0ES3_N6thrust23THRUST_200600_302600_NS6detail15normal_iteratorINS9_10device_ptrIiEEEENSB_INSC_IjEEEENSB_INSC_IfEEEEjNS9_4plusIvEENS9_8equal_toIvEEjEE10hipError_tPvRmT2_T3_T4_T5_mT6_T7_P12ihipStream_tbENKUlT_T0_E_clISt17integral_constantIbLb1EES12_IbLb0EEEEDaSY_SZ_EUlSY_E_NS1_11comp_targetILNS1_3genE0ELNS1_11target_archE4294967295ELNS1_3gpuE0ELNS1_3repE0EEENS1_30default_config_static_selectorELNS0_4arch9wavefront6targetE0EEEvT1_, .Lfunc_end1662-_ZN7rocprim17ROCPRIM_400000_NS6detail17trampoline_kernelINS0_14default_configENS1_27scan_by_key_config_selectorIijEEZZNS1_16scan_by_key_implILNS1_25lookback_scan_determinismE0ELb0ES3_N6thrust23THRUST_200600_302600_NS6detail15normal_iteratorINS9_10device_ptrIiEEEENSB_INSC_IjEEEENSB_INSC_IfEEEEjNS9_4plusIvEENS9_8equal_toIvEEjEE10hipError_tPvRmT2_T3_T4_T5_mT6_T7_P12ihipStream_tbENKUlT_T0_E_clISt17integral_constantIbLb1EES12_IbLb0EEEEDaSY_SZ_EUlSY_E_NS1_11comp_targetILNS1_3genE0ELNS1_11target_archE4294967295ELNS1_3gpuE0ELNS1_3repE0EEENS1_30default_config_static_selectorELNS0_4arch9wavefront6targetE0EEEvT1_
                                        ; -- End function
	.set _ZN7rocprim17ROCPRIM_400000_NS6detail17trampoline_kernelINS0_14default_configENS1_27scan_by_key_config_selectorIijEEZZNS1_16scan_by_key_implILNS1_25lookback_scan_determinismE0ELb0ES3_N6thrust23THRUST_200600_302600_NS6detail15normal_iteratorINS9_10device_ptrIiEEEENSB_INSC_IjEEEENSB_INSC_IfEEEEjNS9_4plusIvEENS9_8equal_toIvEEjEE10hipError_tPvRmT2_T3_T4_T5_mT6_T7_P12ihipStream_tbENKUlT_T0_E_clISt17integral_constantIbLb1EES12_IbLb0EEEEDaSY_SZ_EUlSY_E_NS1_11comp_targetILNS1_3genE0ELNS1_11target_archE4294967295ELNS1_3gpuE0ELNS1_3repE0EEENS1_30default_config_static_selectorELNS0_4arch9wavefront6targetE0EEEvT1_.num_vgpr, 0
	.set _ZN7rocprim17ROCPRIM_400000_NS6detail17trampoline_kernelINS0_14default_configENS1_27scan_by_key_config_selectorIijEEZZNS1_16scan_by_key_implILNS1_25lookback_scan_determinismE0ELb0ES3_N6thrust23THRUST_200600_302600_NS6detail15normal_iteratorINS9_10device_ptrIiEEEENSB_INSC_IjEEEENSB_INSC_IfEEEEjNS9_4plusIvEENS9_8equal_toIvEEjEE10hipError_tPvRmT2_T3_T4_T5_mT6_T7_P12ihipStream_tbENKUlT_T0_E_clISt17integral_constantIbLb1EES12_IbLb0EEEEDaSY_SZ_EUlSY_E_NS1_11comp_targetILNS1_3genE0ELNS1_11target_archE4294967295ELNS1_3gpuE0ELNS1_3repE0EEENS1_30default_config_static_selectorELNS0_4arch9wavefront6targetE0EEEvT1_.num_agpr, 0
	.set _ZN7rocprim17ROCPRIM_400000_NS6detail17trampoline_kernelINS0_14default_configENS1_27scan_by_key_config_selectorIijEEZZNS1_16scan_by_key_implILNS1_25lookback_scan_determinismE0ELb0ES3_N6thrust23THRUST_200600_302600_NS6detail15normal_iteratorINS9_10device_ptrIiEEEENSB_INSC_IjEEEENSB_INSC_IfEEEEjNS9_4plusIvEENS9_8equal_toIvEEjEE10hipError_tPvRmT2_T3_T4_T5_mT6_T7_P12ihipStream_tbENKUlT_T0_E_clISt17integral_constantIbLb1EES12_IbLb0EEEEDaSY_SZ_EUlSY_E_NS1_11comp_targetILNS1_3genE0ELNS1_11target_archE4294967295ELNS1_3gpuE0ELNS1_3repE0EEENS1_30default_config_static_selectorELNS0_4arch9wavefront6targetE0EEEvT1_.numbered_sgpr, 0
	.set _ZN7rocprim17ROCPRIM_400000_NS6detail17trampoline_kernelINS0_14default_configENS1_27scan_by_key_config_selectorIijEEZZNS1_16scan_by_key_implILNS1_25lookback_scan_determinismE0ELb0ES3_N6thrust23THRUST_200600_302600_NS6detail15normal_iteratorINS9_10device_ptrIiEEEENSB_INSC_IjEEEENSB_INSC_IfEEEEjNS9_4plusIvEENS9_8equal_toIvEEjEE10hipError_tPvRmT2_T3_T4_T5_mT6_T7_P12ihipStream_tbENKUlT_T0_E_clISt17integral_constantIbLb1EES12_IbLb0EEEEDaSY_SZ_EUlSY_E_NS1_11comp_targetILNS1_3genE0ELNS1_11target_archE4294967295ELNS1_3gpuE0ELNS1_3repE0EEENS1_30default_config_static_selectorELNS0_4arch9wavefront6targetE0EEEvT1_.num_named_barrier, 0
	.set _ZN7rocprim17ROCPRIM_400000_NS6detail17trampoline_kernelINS0_14default_configENS1_27scan_by_key_config_selectorIijEEZZNS1_16scan_by_key_implILNS1_25lookback_scan_determinismE0ELb0ES3_N6thrust23THRUST_200600_302600_NS6detail15normal_iteratorINS9_10device_ptrIiEEEENSB_INSC_IjEEEENSB_INSC_IfEEEEjNS9_4plusIvEENS9_8equal_toIvEEjEE10hipError_tPvRmT2_T3_T4_T5_mT6_T7_P12ihipStream_tbENKUlT_T0_E_clISt17integral_constantIbLb1EES12_IbLb0EEEEDaSY_SZ_EUlSY_E_NS1_11comp_targetILNS1_3genE0ELNS1_11target_archE4294967295ELNS1_3gpuE0ELNS1_3repE0EEENS1_30default_config_static_selectorELNS0_4arch9wavefront6targetE0EEEvT1_.private_seg_size, 0
	.set _ZN7rocprim17ROCPRIM_400000_NS6detail17trampoline_kernelINS0_14default_configENS1_27scan_by_key_config_selectorIijEEZZNS1_16scan_by_key_implILNS1_25lookback_scan_determinismE0ELb0ES3_N6thrust23THRUST_200600_302600_NS6detail15normal_iteratorINS9_10device_ptrIiEEEENSB_INSC_IjEEEENSB_INSC_IfEEEEjNS9_4plusIvEENS9_8equal_toIvEEjEE10hipError_tPvRmT2_T3_T4_T5_mT6_T7_P12ihipStream_tbENKUlT_T0_E_clISt17integral_constantIbLb1EES12_IbLb0EEEEDaSY_SZ_EUlSY_E_NS1_11comp_targetILNS1_3genE0ELNS1_11target_archE4294967295ELNS1_3gpuE0ELNS1_3repE0EEENS1_30default_config_static_selectorELNS0_4arch9wavefront6targetE0EEEvT1_.uses_vcc, 0
	.set _ZN7rocprim17ROCPRIM_400000_NS6detail17trampoline_kernelINS0_14default_configENS1_27scan_by_key_config_selectorIijEEZZNS1_16scan_by_key_implILNS1_25lookback_scan_determinismE0ELb0ES3_N6thrust23THRUST_200600_302600_NS6detail15normal_iteratorINS9_10device_ptrIiEEEENSB_INSC_IjEEEENSB_INSC_IfEEEEjNS9_4plusIvEENS9_8equal_toIvEEjEE10hipError_tPvRmT2_T3_T4_T5_mT6_T7_P12ihipStream_tbENKUlT_T0_E_clISt17integral_constantIbLb1EES12_IbLb0EEEEDaSY_SZ_EUlSY_E_NS1_11comp_targetILNS1_3genE0ELNS1_11target_archE4294967295ELNS1_3gpuE0ELNS1_3repE0EEENS1_30default_config_static_selectorELNS0_4arch9wavefront6targetE0EEEvT1_.uses_flat_scratch, 0
	.set _ZN7rocprim17ROCPRIM_400000_NS6detail17trampoline_kernelINS0_14default_configENS1_27scan_by_key_config_selectorIijEEZZNS1_16scan_by_key_implILNS1_25lookback_scan_determinismE0ELb0ES3_N6thrust23THRUST_200600_302600_NS6detail15normal_iteratorINS9_10device_ptrIiEEEENSB_INSC_IjEEEENSB_INSC_IfEEEEjNS9_4plusIvEENS9_8equal_toIvEEjEE10hipError_tPvRmT2_T3_T4_T5_mT6_T7_P12ihipStream_tbENKUlT_T0_E_clISt17integral_constantIbLb1EES12_IbLb0EEEEDaSY_SZ_EUlSY_E_NS1_11comp_targetILNS1_3genE0ELNS1_11target_archE4294967295ELNS1_3gpuE0ELNS1_3repE0EEENS1_30default_config_static_selectorELNS0_4arch9wavefront6targetE0EEEvT1_.has_dyn_sized_stack, 0
	.set _ZN7rocprim17ROCPRIM_400000_NS6detail17trampoline_kernelINS0_14default_configENS1_27scan_by_key_config_selectorIijEEZZNS1_16scan_by_key_implILNS1_25lookback_scan_determinismE0ELb0ES3_N6thrust23THRUST_200600_302600_NS6detail15normal_iteratorINS9_10device_ptrIiEEEENSB_INSC_IjEEEENSB_INSC_IfEEEEjNS9_4plusIvEENS9_8equal_toIvEEjEE10hipError_tPvRmT2_T3_T4_T5_mT6_T7_P12ihipStream_tbENKUlT_T0_E_clISt17integral_constantIbLb1EES12_IbLb0EEEEDaSY_SZ_EUlSY_E_NS1_11comp_targetILNS1_3genE0ELNS1_11target_archE4294967295ELNS1_3gpuE0ELNS1_3repE0EEENS1_30default_config_static_selectorELNS0_4arch9wavefront6targetE0EEEvT1_.has_recursion, 0
	.set _ZN7rocprim17ROCPRIM_400000_NS6detail17trampoline_kernelINS0_14default_configENS1_27scan_by_key_config_selectorIijEEZZNS1_16scan_by_key_implILNS1_25lookback_scan_determinismE0ELb0ES3_N6thrust23THRUST_200600_302600_NS6detail15normal_iteratorINS9_10device_ptrIiEEEENSB_INSC_IjEEEENSB_INSC_IfEEEEjNS9_4plusIvEENS9_8equal_toIvEEjEE10hipError_tPvRmT2_T3_T4_T5_mT6_T7_P12ihipStream_tbENKUlT_T0_E_clISt17integral_constantIbLb1EES12_IbLb0EEEEDaSY_SZ_EUlSY_E_NS1_11comp_targetILNS1_3genE0ELNS1_11target_archE4294967295ELNS1_3gpuE0ELNS1_3repE0EEENS1_30default_config_static_selectorELNS0_4arch9wavefront6targetE0EEEvT1_.has_indirect_call, 0
	.section	.AMDGPU.csdata,"",@progbits
; Kernel info:
; codeLenInByte = 0
; TotalNumSgprs: 0
; NumVgprs: 0
; ScratchSize: 0
; MemoryBound: 0
; FloatMode: 240
; IeeeMode: 1
; LDSByteSize: 0 bytes/workgroup (compile time only)
; SGPRBlocks: 0
; VGPRBlocks: 0
; NumSGPRsForWavesPerEU: 1
; NumVGPRsForWavesPerEU: 1
; Occupancy: 16
; WaveLimiterHint : 0
; COMPUTE_PGM_RSRC2:SCRATCH_EN: 0
; COMPUTE_PGM_RSRC2:USER_SGPR: 6
; COMPUTE_PGM_RSRC2:TRAP_HANDLER: 0
; COMPUTE_PGM_RSRC2:TGID_X_EN: 1
; COMPUTE_PGM_RSRC2:TGID_Y_EN: 0
; COMPUTE_PGM_RSRC2:TGID_Z_EN: 0
; COMPUTE_PGM_RSRC2:TIDIG_COMP_CNT: 0
	.section	.text._ZN7rocprim17ROCPRIM_400000_NS6detail17trampoline_kernelINS0_14default_configENS1_27scan_by_key_config_selectorIijEEZZNS1_16scan_by_key_implILNS1_25lookback_scan_determinismE0ELb0ES3_N6thrust23THRUST_200600_302600_NS6detail15normal_iteratorINS9_10device_ptrIiEEEENSB_INSC_IjEEEENSB_INSC_IfEEEEjNS9_4plusIvEENS9_8equal_toIvEEjEE10hipError_tPvRmT2_T3_T4_T5_mT6_T7_P12ihipStream_tbENKUlT_T0_E_clISt17integral_constantIbLb1EES12_IbLb0EEEEDaSY_SZ_EUlSY_E_NS1_11comp_targetILNS1_3genE10ELNS1_11target_archE1201ELNS1_3gpuE5ELNS1_3repE0EEENS1_30default_config_static_selectorELNS0_4arch9wavefront6targetE0EEEvT1_,"axG",@progbits,_ZN7rocprim17ROCPRIM_400000_NS6detail17trampoline_kernelINS0_14default_configENS1_27scan_by_key_config_selectorIijEEZZNS1_16scan_by_key_implILNS1_25lookback_scan_determinismE0ELb0ES3_N6thrust23THRUST_200600_302600_NS6detail15normal_iteratorINS9_10device_ptrIiEEEENSB_INSC_IjEEEENSB_INSC_IfEEEEjNS9_4plusIvEENS9_8equal_toIvEEjEE10hipError_tPvRmT2_T3_T4_T5_mT6_T7_P12ihipStream_tbENKUlT_T0_E_clISt17integral_constantIbLb1EES12_IbLb0EEEEDaSY_SZ_EUlSY_E_NS1_11comp_targetILNS1_3genE10ELNS1_11target_archE1201ELNS1_3gpuE5ELNS1_3repE0EEENS1_30default_config_static_selectorELNS0_4arch9wavefront6targetE0EEEvT1_,comdat
	.protected	_ZN7rocprim17ROCPRIM_400000_NS6detail17trampoline_kernelINS0_14default_configENS1_27scan_by_key_config_selectorIijEEZZNS1_16scan_by_key_implILNS1_25lookback_scan_determinismE0ELb0ES3_N6thrust23THRUST_200600_302600_NS6detail15normal_iteratorINS9_10device_ptrIiEEEENSB_INSC_IjEEEENSB_INSC_IfEEEEjNS9_4plusIvEENS9_8equal_toIvEEjEE10hipError_tPvRmT2_T3_T4_T5_mT6_T7_P12ihipStream_tbENKUlT_T0_E_clISt17integral_constantIbLb1EES12_IbLb0EEEEDaSY_SZ_EUlSY_E_NS1_11comp_targetILNS1_3genE10ELNS1_11target_archE1201ELNS1_3gpuE5ELNS1_3repE0EEENS1_30default_config_static_selectorELNS0_4arch9wavefront6targetE0EEEvT1_ ; -- Begin function _ZN7rocprim17ROCPRIM_400000_NS6detail17trampoline_kernelINS0_14default_configENS1_27scan_by_key_config_selectorIijEEZZNS1_16scan_by_key_implILNS1_25lookback_scan_determinismE0ELb0ES3_N6thrust23THRUST_200600_302600_NS6detail15normal_iteratorINS9_10device_ptrIiEEEENSB_INSC_IjEEEENSB_INSC_IfEEEEjNS9_4plusIvEENS9_8equal_toIvEEjEE10hipError_tPvRmT2_T3_T4_T5_mT6_T7_P12ihipStream_tbENKUlT_T0_E_clISt17integral_constantIbLb1EES12_IbLb0EEEEDaSY_SZ_EUlSY_E_NS1_11comp_targetILNS1_3genE10ELNS1_11target_archE1201ELNS1_3gpuE5ELNS1_3repE0EEENS1_30default_config_static_selectorELNS0_4arch9wavefront6targetE0EEEvT1_
	.globl	_ZN7rocprim17ROCPRIM_400000_NS6detail17trampoline_kernelINS0_14default_configENS1_27scan_by_key_config_selectorIijEEZZNS1_16scan_by_key_implILNS1_25lookback_scan_determinismE0ELb0ES3_N6thrust23THRUST_200600_302600_NS6detail15normal_iteratorINS9_10device_ptrIiEEEENSB_INSC_IjEEEENSB_INSC_IfEEEEjNS9_4plusIvEENS9_8equal_toIvEEjEE10hipError_tPvRmT2_T3_T4_T5_mT6_T7_P12ihipStream_tbENKUlT_T0_E_clISt17integral_constantIbLb1EES12_IbLb0EEEEDaSY_SZ_EUlSY_E_NS1_11comp_targetILNS1_3genE10ELNS1_11target_archE1201ELNS1_3gpuE5ELNS1_3repE0EEENS1_30default_config_static_selectorELNS0_4arch9wavefront6targetE0EEEvT1_
	.p2align	8
	.type	_ZN7rocprim17ROCPRIM_400000_NS6detail17trampoline_kernelINS0_14default_configENS1_27scan_by_key_config_selectorIijEEZZNS1_16scan_by_key_implILNS1_25lookback_scan_determinismE0ELb0ES3_N6thrust23THRUST_200600_302600_NS6detail15normal_iteratorINS9_10device_ptrIiEEEENSB_INSC_IjEEEENSB_INSC_IfEEEEjNS9_4plusIvEENS9_8equal_toIvEEjEE10hipError_tPvRmT2_T3_T4_T5_mT6_T7_P12ihipStream_tbENKUlT_T0_E_clISt17integral_constantIbLb1EES12_IbLb0EEEEDaSY_SZ_EUlSY_E_NS1_11comp_targetILNS1_3genE10ELNS1_11target_archE1201ELNS1_3gpuE5ELNS1_3repE0EEENS1_30default_config_static_selectorELNS0_4arch9wavefront6targetE0EEEvT1_,@function
_ZN7rocprim17ROCPRIM_400000_NS6detail17trampoline_kernelINS0_14default_configENS1_27scan_by_key_config_selectorIijEEZZNS1_16scan_by_key_implILNS1_25lookback_scan_determinismE0ELb0ES3_N6thrust23THRUST_200600_302600_NS6detail15normal_iteratorINS9_10device_ptrIiEEEENSB_INSC_IjEEEENSB_INSC_IfEEEEjNS9_4plusIvEENS9_8equal_toIvEEjEE10hipError_tPvRmT2_T3_T4_T5_mT6_T7_P12ihipStream_tbENKUlT_T0_E_clISt17integral_constantIbLb1EES12_IbLb0EEEEDaSY_SZ_EUlSY_E_NS1_11comp_targetILNS1_3genE10ELNS1_11target_archE1201ELNS1_3gpuE5ELNS1_3repE0EEENS1_30default_config_static_selectorELNS0_4arch9wavefront6targetE0EEEvT1_: ; @_ZN7rocprim17ROCPRIM_400000_NS6detail17trampoline_kernelINS0_14default_configENS1_27scan_by_key_config_selectorIijEEZZNS1_16scan_by_key_implILNS1_25lookback_scan_determinismE0ELb0ES3_N6thrust23THRUST_200600_302600_NS6detail15normal_iteratorINS9_10device_ptrIiEEEENSB_INSC_IjEEEENSB_INSC_IfEEEEjNS9_4plusIvEENS9_8equal_toIvEEjEE10hipError_tPvRmT2_T3_T4_T5_mT6_T7_P12ihipStream_tbENKUlT_T0_E_clISt17integral_constantIbLb1EES12_IbLb0EEEEDaSY_SZ_EUlSY_E_NS1_11comp_targetILNS1_3genE10ELNS1_11target_archE1201ELNS1_3gpuE5ELNS1_3repE0EEENS1_30default_config_static_selectorELNS0_4arch9wavefront6targetE0EEEvT1_
; %bb.0:
	.section	.rodata,"a",@progbits
	.p2align	6, 0x0
	.amdhsa_kernel _ZN7rocprim17ROCPRIM_400000_NS6detail17trampoline_kernelINS0_14default_configENS1_27scan_by_key_config_selectorIijEEZZNS1_16scan_by_key_implILNS1_25lookback_scan_determinismE0ELb0ES3_N6thrust23THRUST_200600_302600_NS6detail15normal_iteratorINS9_10device_ptrIiEEEENSB_INSC_IjEEEENSB_INSC_IfEEEEjNS9_4plusIvEENS9_8equal_toIvEEjEE10hipError_tPvRmT2_T3_T4_T5_mT6_T7_P12ihipStream_tbENKUlT_T0_E_clISt17integral_constantIbLb1EES12_IbLb0EEEEDaSY_SZ_EUlSY_E_NS1_11comp_targetILNS1_3genE10ELNS1_11target_archE1201ELNS1_3gpuE5ELNS1_3repE0EEENS1_30default_config_static_selectorELNS0_4arch9wavefront6targetE0EEEvT1_
		.amdhsa_group_segment_fixed_size 0
		.amdhsa_private_segment_fixed_size 0
		.amdhsa_kernarg_size 112
		.amdhsa_user_sgpr_count 6
		.amdhsa_user_sgpr_private_segment_buffer 1
		.amdhsa_user_sgpr_dispatch_ptr 0
		.amdhsa_user_sgpr_queue_ptr 0
		.amdhsa_user_sgpr_kernarg_segment_ptr 1
		.amdhsa_user_sgpr_dispatch_id 0
		.amdhsa_user_sgpr_flat_scratch_init 0
		.amdhsa_user_sgpr_private_segment_size 0
		.amdhsa_wavefront_size32 1
		.amdhsa_uses_dynamic_stack 0
		.amdhsa_system_sgpr_private_segment_wavefront_offset 0
		.amdhsa_system_sgpr_workgroup_id_x 1
		.amdhsa_system_sgpr_workgroup_id_y 0
		.amdhsa_system_sgpr_workgroup_id_z 0
		.amdhsa_system_sgpr_workgroup_info 0
		.amdhsa_system_vgpr_workitem_id 0
		.amdhsa_next_free_vgpr 1
		.amdhsa_next_free_sgpr 1
		.amdhsa_reserve_vcc 0
		.amdhsa_reserve_flat_scratch 0
		.amdhsa_float_round_mode_32 0
		.amdhsa_float_round_mode_16_64 0
		.amdhsa_float_denorm_mode_32 3
		.amdhsa_float_denorm_mode_16_64 3
		.amdhsa_dx10_clamp 1
		.amdhsa_ieee_mode 1
		.amdhsa_fp16_overflow 0
		.amdhsa_workgroup_processor_mode 1
		.amdhsa_memory_ordered 1
		.amdhsa_forward_progress 1
		.amdhsa_shared_vgpr_count 0
		.amdhsa_exception_fp_ieee_invalid_op 0
		.amdhsa_exception_fp_denorm_src 0
		.amdhsa_exception_fp_ieee_div_zero 0
		.amdhsa_exception_fp_ieee_overflow 0
		.amdhsa_exception_fp_ieee_underflow 0
		.amdhsa_exception_fp_ieee_inexact 0
		.amdhsa_exception_int_div_zero 0
	.end_amdhsa_kernel
	.section	.text._ZN7rocprim17ROCPRIM_400000_NS6detail17trampoline_kernelINS0_14default_configENS1_27scan_by_key_config_selectorIijEEZZNS1_16scan_by_key_implILNS1_25lookback_scan_determinismE0ELb0ES3_N6thrust23THRUST_200600_302600_NS6detail15normal_iteratorINS9_10device_ptrIiEEEENSB_INSC_IjEEEENSB_INSC_IfEEEEjNS9_4plusIvEENS9_8equal_toIvEEjEE10hipError_tPvRmT2_T3_T4_T5_mT6_T7_P12ihipStream_tbENKUlT_T0_E_clISt17integral_constantIbLb1EES12_IbLb0EEEEDaSY_SZ_EUlSY_E_NS1_11comp_targetILNS1_3genE10ELNS1_11target_archE1201ELNS1_3gpuE5ELNS1_3repE0EEENS1_30default_config_static_selectorELNS0_4arch9wavefront6targetE0EEEvT1_,"axG",@progbits,_ZN7rocprim17ROCPRIM_400000_NS6detail17trampoline_kernelINS0_14default_configENS1_27scan_by_key_config_selectorIijEEZZNS1_16scan_by_key_implILNS1_25lookback_scan_determinismE0ELb0ES3_N6thrust23THRUST_200600_302600_NS6detail15normal_iteratorINS9_10device_ptrIiEEEENSB_INSC_IjEEEENSB_INSC_IfEEEEjNS9_4plusIvEENS9_8equal_toIvEEjEE10hipError_tPvRmT2_T3_T4_T5_mT6_T7_P12ihipStream_tbENKUlT_T0_E_clISt17integral_constantIbLb1EES12_IbLb0EEEEDaSY_SZ_EUlSY_E_NS1_11comp_targetILNS1_3genE10ELNS1_11target_archE1201ELNS1_3gpuE5ELNS1_3repE0EEENS1_30default_config_static_selectorELNS0_4arch9wavefront6targetE0EEEvT1_,comdat
.Lfunc_end1663:
	.size	_ZN7rocprim17ROCPRIM_400000_NS6detail17trampoline_kernelINS0_14default_configENS1_27scan_by_key_config_selectorIijEEZZNS1_16scan_by_key_implILNS1_25lookback_scan_determinismE0ELb0ES3_N6thrust23THRUST_200600_302600_NS6detail15normal_iteratorINS9_10device_ptrIiEEEENSB_INSC_IjEEEENSB_INSC_IfEEEEjNS9_4plusIvEENS9_8equal_toIvEEjEE10hipError_tPvRmT2_T3_T4_T5_mT6_T7_P12ihipStream_tbENKUlT_T0_E_clISt17integral_constantIbLb1EES12_IbLb0EEEEDaSY_SZ_EUlSY_E_NS1_11comp_targetILNS1_3genE10ELNS1_11target_archE1201ELNS1_3gpuE5ELNS1_3repE0EEENS1_30default_config_static_selectorELNS0_4arch9wavefront6targetE0EEEvT1_, .Lfunc_end1663-_ZN7rocprim17ROCPRIM_400000_NS6detail17trampoline_kernelINS0_14default_configENS1_27scan_by_key_config_selectorIijEEZZNS1_16scan_by_key_implILNS1_25lookback_scan_determinismE0ELb0ES3_N6thrust23THRUST_200600_302600_NS6detail15normal_iteratorINS9_10device_ptrIiEEEENSB_INSC_IjEEEENSB_INSC_IfEEEEjNS9_4plusIvEENS9_8equal_toIvEEjEE10hipError_tPvRmT2_T3_T4_T5_mT6_T7_P12ihipStream_tbENKUlT_T0_E_clISt17integral_constantIbLb1EES12_IbLb0EEEEDaSY_SZ_EUlSY_E_NS1_11comp_targetILNS1_3genE10ELNS1_11target_archE1201ELNS1_3gpuE5ELNS1_3repE0EEENS1_30default_config_static_selectorELNS0_4arch9wavefront6targetE0EEEvT1_
                                        ; -- End function
	.set _ZN7rocprim17ROCPRIM_400000_NS6detail17trampoline_kernelINS0_14default_configENS1_27scan_by_key_config_selectorIijEEZZNS1_16scan_by_key_implILNS1_25lookback_scan_determinismE0ELb0ES3_N6thrust23THRUST_200600_302600_NS6detail15normal_iteratorINS9_10device_ptrIiEEEENSB_INSC_IjEEEENSB_INSC_IfEEEEjNS9_4plusIvEENS9_8equal_toIvEEjEE10hipError_tPvRmT2_T3_T4_T5_mT6_T7_P12ihipStream_tbENKUlT_T0_E_clISt17integral_constantIbLb1EES12_IbLb0EEEEDaSY_SZ_EUlSY_E_NS1_11comp_targetILNS1_3genE10ELNS1_11target_archE1201ELNS1_3gpuE5ELNS1_3repE0EEENS1_30default_config_static_selectorELNS0_4arch9wavefront6targetE0EEEvT1_.num_vgpr, 0
	.set _ZN7rocprim17ROCPRIM_400000_NS6detail17trampoline_kernelINS0_14default_configENS1_27scan_by_key_config_selectorIijEEZZNS1_16scan_by_key_implILNS1_25lookback_scan_determinismE0ELb0ES3_N6thrust23THRUST_200600_302600_NS6detail15normal_iteratorINS9_10device_ptrIiEEEENSB_INSC_IjEEEENSB_INSC_IfEEEEjNS9_4plusIvEENS9_8equal_toIvEEjEE10hipError_tPvRmT2_T3_T4_T5_mT6_T7_P12ihipStream_tbENKUlT_T0_E_clISt17integral_constantIbLb1EES12_IbLb0EEEEDaSY_SZ_EUlSY_E_NS1_11comp_targetILNS1_3genE10ELNS1_11target_archE1201ELNS1_3gpuE5ELNS1_3repE0EEENS1_30default_config_static_selectorELNS0_4arch9wavefront6targetE0EEEvT1_.num_agpr, 0
	.set _ZN7rocprim17ROCPRIM_400000_NS6detail17trampoline_kernelINS0_14default_configENS1_27scan_by_key_config_selectorIijEEZZNS1_16scan_by_key_implILNS1_25lookback_scan_determinismE0ELb0ES3_N6thrust23THRUST_200600_302600_NS6detail15normal_iteratorINS9_10device_ptrIiEEEENSB_INSC_IjEEEENSB_INSC_IfEEEEjNS9_4plusIvEENS9_8equal_toIvEEjEE10hipError_tPvRmT2_T3_T4_T5_mT6_T7_P12ihipStream_tbENKUlT_T0_E_clISt17integral_constantIbLb1EES12_IbLb0EEEEDaSY_SZ_EUlSY_E_NS1_11comp_targetILNS1_3genE10ELNS1_11target_archE1201ELNS1_3gpuE5ELNS1_3repE0EEENS1_30default_config_static_selectorELNS0_4arch9wavefront6targetE0EEEvT1_.numbered_sgpr, 0
	.set _ZN7rocprim17ROCPRIM_400000_NS6detail17trampoline_kernelINS0_14default_configENS1_27scan_by_key_config_selectorIijEEZZNS1_16scan_by_key_implILNS1_25lookback_scan_determinismE0ELb0ES3_N6thrust23THRUST_200600_302600_NS6detail15normal_iteratorINS9_10device_ptrIiEEEENSB_INSC_IjEEEENSB_INSC_IfEEEEjNS9_4plusIvEENS9_8equal_toIvEEjEE10hipError_tPvRmT2_T3_T4_T5_mT6_T7_P12ihipStream_tbENKUlT_T0_E_clISt17integral_constantIbLb1EES12_IbLb0EEEEDaSY_SZ_EUlSY_E_NS1_11comp_targetILNS1_3genE10ELNS1_11target_archE1201ELNS1_3gpuE5ELNS1_3repE0EEENS1_30default_config_static_selectorELNS0_4arch9wavefront6targetE0EEEvT1_.num_named_barrier, 0
	.set _ZN7rocprim17ROCPRIM_400000_NS6detail17trampoline_kernelINS0_14default_configENS1_27scan_by_key_config_selectorIijEEZZNS1_16scan_by_key_implILNS1_25lookback_scan_determinismE0ELb0ES3_N6thrust23THRUST_200600_302600_NS6detail15normal_iteratorINS9_10device_ptrIiEEEENSB_INSC_IjEEEENSB_INSC_IfEEEEjNS9_4plusIvEENS9_8equal_toIvEEjEE10hipError_tPvRmT2_T3_T4_T5_mT6_T7_P12ihipStream_tbENKUlT_T0_E_clISt17integral_constantIbLb1EES12_IbLb0EEEEDaSY_SZ_EUlSY_E_NS1_11comp_targetILNS1_3genE10ELNS1_11target_archE1201ELNS1_3gpuE5ELNS1_3repE0EEENS1_30default_config_static_selectorELNS0_4arch9wavefront6targetE0EEEvT1_.private_seg_size, 0
	.set _ZN7rocprim17ROCPRIM_400000_NS6detail17trampoline_kernelINS0_14default_configENS1_27scan_by_key_config_selectorIijEEZZNS1_16scan_by_key_implILNS1_25lookback_scan_determinismE0ELb0ES3_N6thrust23THRUST_200600_302600_NS6detail15normal_iteratorINS9_10device_ptrIiEEEENSB_INSC_IjEEEENSB_INSC_IfEEEEjNS9_4plusIvEENS9_8equal_toIvEEjEE10hipError_tPvRmT2_T3_T4_T5_mT6_T7_P12ihipStream_tbENKUlT_T0_E_clISt17integral_constantIbLb1EES12_IbLb0EEEEDaSY_SZ_EUlSY_E_NS1_11comp_targetILNS1_3genE10ELNS1_11target_archE1201ELNS1_3gpuE5ELNS1_3repE0EEENS1_30default_config_static_selectorELNS0_4arch9wavefront6targetE0EEEvT1_.uses_vcc, 0
	.set _ZN7rocprim17ROCPRIM_400000_NS6detail17trampoline_kernelINS0_14default_configENS1_27scan_by_key_config_selectorIijEEZZNS1_16scan_by_key_implILNS1_25lookback_scan_determinismE0ELb0ES3_N6thrust23THRUST_200600_302600_NS6detail15normal_iteratorINS9_10device_ptrIiEEEENSB_INSC_IjEEEENSB_INSC_IfEEEEjNS9_4plusIvEENS9_8equal_toIvEEjEE10hipError_tPvRmT2_T3_T4_T5_mT6_T7_P12ihipStream_tbENKUlT_T0_E_clISt17integral_constantIbLb1EES12_IbLb0EEEEDaSY_SZ_EUlSY_E_NS1_11comp_targetILNS1_3genE10ELNS1_11target_archE1201ELNS1_3gpuE5ELNS1_3repE0EEENS1_30default_config_static_selectorELNS0_4arch9wavefront6targetE0EEEvT1_.uses_flat_scratch, 0
	.set _ZN7rocprim17ROCPRIM_400000_NS6detail17trampoline_kernelINS0_14default_configENS1_27scan_by_key_config_selectorIijEEZZNS1_16scan_by_key_implILNS1_25lookback_scan_determinismE0ELb0ES3_N6thrust23THRUST_200600_302600_NS6detail15normal_iteratorINS9_10device_ptrIiEEEENSB_INSC_IjEEEENSB_INSC_IfEEEEjNS9_4plusIvEENS9_8equal_toIvEEjEE10hipError_tPvRmT2_T3_T4_T5_mT6_T7_P12ihipStream_tbENKUlT_T0_E_clISt17integral_constantIbLb1EES12_IbLb0EEEEDaSY_SZ_EUlSY_E_NS1_11comp_targetILNS1_3genE10ELNS1_11target_archE1201ELNS1_3gpuE5ELNS1_3repE0EEENS1_30default_config_static_selectorELNS0_4arch9wavefront6targetE0EEEvT1_.has_dyn_sized_stack, 0
	.set _ZN7rocprim17ROCPRIM_400000_NS6detail17trampoline_kernelINS0_14default_configENS1_27scan_by_key_config_selectorIijEEZZNS1_16scan_by_key_implILNS1_25lookback_scan_determinismE0ELb0ES3_N6thrust23THRUST_200600_302600_NS6detail15normal_iteratorINS9_10device_ptrIiEEEENSB_INSC_IjEEEENSB_INSC_IfEEEEjNS9_4plusIvEENS9_8equal_toIvEEjEE10hipError_tPvRmT2_T3_T4_T5_mT6_T7_P12ihipStream_tbENKUlT_T0_E_clISt17integral_constantIbLb1EES12_IbLb0EEEEDaSY_SZ_EUlSY_E_NS1_11comp_targetILNS1_3genE10ELNS1_11target_archE1201ELNS1_3gpuE5ELNS1_3repE0EEENS1_30default_config_static_selectorELNS0_4arch9wavefront6targetE0EEEvT1_.has_recursion, 0
	.set _ZN7rocprim17ROCPRIM_400000_NS6detail17trampoline_kernelINS0_14default_configENS1_27scan_by_key_config_selectorIijEEZZNS1_16scan_by_key_implILNS1_25lookback_scan_determinismE0ELb0ES3_N6thrust23THRUST_200600_302600_NS6detail15normal_iteratorINS9_10device_ptrIiEEEENSB_INSC_IjEEEENSB_INSC_IfEEEEjNS9_4plusIvEENS9_8equal_toIvEEjEE10hipError_tPvRmT2_T3_T4_T5_mT6_T7_P12ihipStream_tbENKUlT_T0_E_clISt17integral_constantIbLb1EES12_IbLb0EEEEDaSY_SZ_EUlSY_E_NS1_11comp_targetILNS1_3genE10ELNS1_11target_archE1201ELNS1_3gpuE5ELNS1_3repE0EEENS1_30default_config_static_selectorELNS0_4arch9wavefront6targetE0EEEvT1_.has_indirect_call, 0
	.section	.AMDGPU.csdata,"",@progbits
; Kernel info:
; codeLenInByte = 0
; TotalNumSgprs: 0
; NumVgprs: 0
; ScratchSize: 0
; MemoryBound: 0
; FloatMode: 240
; IeeeMode: 1
; LDSByteSize: 0 bytes/workgroup (compile time only)
; SGPRBlocks: 0
; VGPRBlocks: 0
; NumSGPRsForWavesPerEU: 1
; NumVGPRsForWavesPerEU: 1
; Occupancy: 16
; WaveLimiterHint : 0
; COMPUTE_PGM_RSRC2:SCRATCH_EN: 0
; COMPUTE_PGM_RSRC2:USER_SGPR: 6
; COMPUTE_PGM_RSRC2:TRAP_HANDLER: 0
; COMPUTE_PGM_RSRC2:TGID_X_EN: 1
; COMPUTE_PGM_RSRC2:TGID_Y_EN: 0
; COMPUTE_PGM_RSRC2:TGID_Z_EN: 0
; COMPUTE_PGM_RSRC2:TIDIG_COMP_CNT: 0
	.section	.text._ZN7rocprim17ROCPRIM_400000_NS6detail17trampoline_kernelINS0_14default_configENS1_27scan_by_key_config_selectorIijEEZZNS1_16scan_by_key_implILNS1_25lookback_scan_determinismE0ELb0ES3_N6thrust23THRUST_200600_302600_NS6detail15normal_iteratorINS9_10device_ptrIiEEEENSB_INSC_IjEEEENSB_INSC_IfEEEEjNS9_4plusIvEENS9_8equal_toIvEEjEE10hipError_tPvRmT2_T3_T4_T5_mT6_T7_P12ihipStream_tbENKUlT_T0_E_clISt17integral_constantIbLb1EES12_IbLb0EEEEDaSY_SZ_EUlSY_E_NS1_11comp_targetILNS1_3genE5ELNS1_11target_archE942ELNS1_3gpuE9ELNS1_3repE0EEENS1_30default_config_static_selectorELNS0_4arch9wavefront6targetE0EEEvT1_,"axG",@progbits,_ZN7rocprim17ROCPRIM_400000_NS6detail17trampoline_kernelINS0_14default_configENS1_27scan_by_key_config_selectorIijEEZZNS1_16scan_by_key_implILNS1_25lookback_scan_determinismE0ELb0ES3_N6thrust23THRUST_200600_302600_NS6detail15normal_iteratorINS9_10device_ptrIiEEEENSB_INSC_IjEEEENSB_INSC_IfEEEEjNS9_4plusIvEENS9_8equal_toIvEEjEE10hipError_tPvRmT2_T3_T4_T5_mT6_T7_P12ihipStream_tbENKUlT_T0_E_clISt17integral_constantIbLb1EES12_IbLb0EEEEDaSY_SZ_EUlSY_E_NS1_11comp_targetILNS1_3genE5ELNS1_11target_archE942ELNS1_3gpuE9ELNS1_3repE0EEENS1_30default_config_static_selectorELNS0_4arch9wavefront6targetE0EEEvT1_,comdat
	.protected	_ZN7rocprim17ROCPRIM_400000_NS6detail17trampoline_kernelINS0_14default_configENS1_27scan_by_key_config_selectorIijEEZZNS1_16scan_by_key_implILNS1_25lookback_scan_determinismE0ELb0ES3_N6thrust23THRUST_200600_302600_NS6detail15normal_iteratorINS9_10device_ptrIiEEEENSB_INSC_IjEEEENSB_INSC_IfEEEEjNS9_4plusIvEENS9_8equal_toIvEEjEE10hipError_tPvRmT2_T3_T4_T5_mT6_T7_P12ihipStream_tbENKUlT_T0_E_clISt17integral_constantIbLb1EES12_IbLb0EEEEDaSY_SZ_EUlSY_E_NS1_11comp_targetILNS1_3genE5ELNS1_11target_archE942ELNS1_3gpuE9ELNS1_3repE0EEENS1_30default_config_static_selectorELNS0_4arch9wavefront6targetE0EEEvT1_ ; -- Begin function _ZN7rocprim17ROCPRIM_400000_NS6detail17trampoline_kernelINS0_14default_configENS1_27scan_by_key_config_selectorIijEEZZNS1_16scan_by_key_implILNS1_25lookback_scan_determinismE0ELb0ES3_N6thrust23THRUST_200600_302600_NS6detail15normal_iteratorINS9_10device_ptrIiEEEENSB_INSC_IjEEEENSB_INSC_IfEEEEjNS9_4plusIvEENS9_8equal_toIvEEjEE10hipError_tPvRmT2_T3_T4_T5_mT6_T7_P12ihipStream_tbENKUlT_T0_E_clISt17integral_constantIbLb1EES12_IbLb0EEEEDaSY_SZ_EUlSY_E_NS1_11comp_targetILNS1_3genE5ELNS1_11target_archE942ELNS1_3gpuE9ELNS1_3repE0EEENS1_30default_config_static_selectorELNS0_4arch9wavefront6targetE0EEEvT1_
	.globl	_ZN7rocprim17ROCPRIM_400000_NS6detail17trampoline_kernelINS0_14default_configENS1_27scan_by_key_config_selectorIijEEZZNS1_16scan_by_key_implILNS1_25lookback_scan_determinismE0ELb0ES3_N6thrust23THRUST_200600_302600_NS6detail15normal_iteratorINS9_10device_ptrIiEEEENSB_INSC_IjEEEENSB_INSC_IfEEEEjNS9_4plusIvEENS9_8equal_toIvEEjEE10hipError_tPvRmT2_T3_T4_T5_mT6_T7_P12ihipStream_tbENKUlT_T0_E_clISt17integral_constantIbLb1EES12_IbLb0EEEEDaSY_SZ_EUlSY_E_NS1_11comp_targetILNS1_3genE5ELNS1_11target_archE942ELNS1_3gpuE9ELNS1_3repE0EEENS1_30default_config_static_selectorELNS0_4arch9wavefront6targetE0EEEvT1_
	.p2align	8
	.type	_ZN7rocprim17ROCPRIM_400000_NS6detail17trampoline_kernelINS0_14default_configENS1_27scan_by_key_config_selectorIijEEZZNS1_16scan_by_key_implILNS1_25lookback_scan_determinismE0ELb0ES3_N6thrust23THRUST_200600_302600_NS6detail15normal_iteratorINS9_10device_ptrIiEEEENSB_INSC_IjEEEENSB_INSC_IfEEEEjNS9_4plusIvEENS9_8equal_toIvEEjEE10hipError_tPvRmT2_T3_T4_T5_mT6_T7_P12ihipStream_tbENKUlT_T0_E_clISt17integral_constantIbLb1EES12_IbLb0EEEEDaSY_SZ_EUlSY_E_NS1_11comp_targetILNS1_3genE5ELNS1_11target_archE942ELNS1_3gpuE9ELNS1_3repE0EEENS1_30default_config_static_selectorELNS0_4arch9wavefront6targetE0EEEvT1_,@function
_ZN7rocprim17ROCPRIM_400000_NS6detail17trampoline_kernelINS0_14default_configENS1_27scan_by_key_config_selectorIijEEZZNS1_16scan_by_key_implILNS1_25lookback_scan_determinismE0ELb0ES3_N6thrust23THRUST_200600_302600_NS6detail15normal_iteratorINS9_10device_ptrIiEEEENSB_INSC_IjEEEENSB_INSC_IfEEEEjNS9_4plusIvEENS9_8equal_toIvEEjEE10hipError_tPvRmT2_T3_T4_T5_mT6_T7_P12ihipStream_tbENKUlT_T0_E_clISt17integral_constantIbLb1EES12_IbLb0EEEEDaSY_SZ_EUlSY_E_NS1_11comp_targetILNS1_3genE5ELNS1_11target_archE942ELNS1_3gpuE9ELNS1_3repE0EEENS1_30default_config_static_selectorELNS0_4arch9wavefront6targetE0EEEvT1_: ; @_ZN7rocprim17ROCPRIM_400000_NS6detail17trampoline_kernelINS0_14default_configENS1_27scan_by_key_config_selectorIijEEZZNS1_16scan_by_key_implILNS1_25lookback_scan_determinismE0ELb0ES3_N6thrust23THRUST_200600_302600_NS6detail15normal_iteratorINS9_10device_ptrIiEEEENSB_INSC_IjEEEENSB_INSC_IfEEEEjNS9_4plusIvEENS9_8equal_toIvEEjEE10hipError_tPvRmT2_T3_T4_T5_mT6_T7_P12ihipStream_tbENKUlT_T0_E_clISt17integral_constantIbLb1EES12_IbLb0EEEEDaSY_SZ_EUlSY_E_NS1_11comp_targetILNS1_3genE5ELNS1_11target_archE942ELNS1_3gpuE9ELNS1_3repE0EEENS1_30default_config_static_selectorELNS0_4arch9wavefront6targetE0EEEvT1_
; %bb.0:
	.section	.rodata,"a",@progbits
	.p2align	6, 0x0
	.amdhsa_kernel _ZN7rocprim17ROCPRIM_400000_NS6detail17trampoline_kernelINS0_14default_configENS1_27scan_by_key_config_selectorIijEEZZNS1_16scan_by_key_implILNS1_25lookback_scan_determinismE0ELb0ES3_N6thrust23THRUST_200600_302600_NS6detail15normal_iteratorINS9_10device_ptrIiEEEENSB_INSC_IjEEEENSB_INSC_IfEEEEjNS9_4plusIvEENS9_8equal_toIvEEjEE10hipError_tPvRmT2_T3_T4_T5_mT6_T7_P12ihipStream_tbENKUlT_T0_E_clISt17integral_constantIbLb1EES12_IbLb0EEEEDaSY_SZ_EUlSY_E_NS1_11comp_targetILNS1_3genE5ELNS1_11target_archE942ELNS1_3gpuE9ELNS1_3repE0EEENS1_30default_config_static_selectorELNS0_4arch9wavefront6targetE0EEEvT1_
		.amdhsa_group_segment_fixed_size 0
		.amdhsa_private_segment_fixed_size 0
		.amdhsa_kernarg_size 112
		.amdhsa_user_sgpr_count 6
		.amdhsa_user_sgpr_private_segment_buffer 1
		.amdhsa_user_sgpr_dispatch_ptr 0
		.amdhsa_user_sgpr_queue_ptr 0
		.amdhsa_user_sgpr_kernarg_segment_ptr 1
		.amdhsa_user_sgpr_dispatch_id 0
		.amdhsa_user_sgpr_flat_scratch_init 0
		.amdhsa_user_sgpr_private_segment_size 0
		.amdhsa_wavefront_size32 1
		.amdhsa_uses_dynamic_stack 0
		.amdhsa_system_sgpr_private_segment_wavefront_offset 0
		.amdhsa_system_sgpr_workgroup_id_x 1
		.amdhsa_system_sgpr_workgroup_id_y 0
		.amdhsa_system_sgpr_workgroup_id_z 0
		.amdhsa_system_sgpr_workgroup_info 0
		.amdhsa_system_vgpr_workitem_id 0
		.amdhsa_next_free_vgpr 1
		.amdhsa_next_free_sgpr 1
		.amdhsa_reserve_vcc 0
		.amdhsa_reserve_flat_scratch 0
		.amdhsa_float_round_mode_32 0
		.amdhsa_float_round_mode_16_64 0
		.amdhsa_float_denorm_mode_32 3
		.amdhsa_float_denorm_mode_16_64 3
		.amdhsa_dx10_clamp 1
		.amdhsa_ieee_mode 1
		.amdhsa_fp16_overflow 0
		.amdhsa_workgroup_processor_mode 1
		.amdhsa_memory_ordered 1
		.amdhsa_forward_progress 1
		.amdhsa_shared_vgpr_count 0
		.amdhsa_exception_fp_ieee_invalid_op 0
		.amdhsa_exception_fp_denorm_src 0
		.amdhsa_exception_fp_ieee_div_zero 0
		.amdhsa_exception_fp_ieee_overflow 0
		.amdhsa_exception_fp_ieee_underflow 0
		.amdhsa_exception_fp_ieee_inexact 0
		.amdhsa_exception_int_div_zero 0
	.end_amdhsa_kernel
	.section	.text._ZN7rocprim17ROCPRIM_400000_NS6detail17trampoline_kernelINS0_14default_configENS1_27scan_by_key_config_selectorIijEEZZNS1_16scan_by_key_implILNS1_25lookback_scan_determinismE0ELb0ES3_N6thrust23THRUST_200600_302600_NS6detail15normal_iteratorINS9_10device_ptrIiEEEENSB_INSC_IjEEEENSB_INSC_IfEEEEjNS9_4plusIvEENS9_8equal_toIvEEjEE10hipError_tPvRmT2_T3_T4_T5_mT6_T7_P12ihipStream_tbENKUlT_T0_E_clISt17integral_constantIbLb1EES12_IbLb0EEEEDaSY_SZ_EUlSY_E_NS1_11comp_targetILNS1_3genE5ELNS1_11target_archE942ELNS1_3gpuE9ELNS1_3repE0EEENS1_30default_config_static_selectorELNS0_4arch9wavefront6targetE0EEEvT1_,"axG",@progbits,_ZN7rocprim17ROCPRIM_400000_NS6detail17trampoline_kernelINS0_14default_configENS1_27scan_by_key_config_selectorIijEEZZNS1_16scan_by_key_implILNS1_25lookback_scan_determinismE0ELb0ES3_N6thrust23THRUST_200600_302600_NS6detail15normal_iteratorINS9_10device_ptrIiEEEENSB_INSC_IjEEEENSB_INSC_IfEEEEjNS9_4plusIvEENS9_8equal_toIvEEjEE10hipError_tPvRmT2_T3_T4_T5_mT6_T7_P12ihipStream_tbENKUlT_T0_E_clISt17integral_constantIbLb1EES12_IbLb0EEEEDaSY_SZ_EUlSY_E_NS1_11comp_targetILNS1_3genE5ELNS1_11target_archE942ELNS1_3gpuE9ELNS1_3repE0EEENS1_30default_config_static_selectorELNS0_4arch9wavefront6targetE0EEEvT1_,comdat
.Lfunc_end1664:
	.size	_ZN7rocprim17ROCPRIM_400000_NS6detail17trampoline_kernelINS0_14default_configENS1_27scan_by_key_config_selectorIijEEZZNS1_16scan_by_key_implILNS1_25lookback_scan_determinismE0ELb0ES3_N6thrust23THRUST_200600_302600_NS6detail15normal_iteratorINS9_10device_ptrIiEEEENSB_INSC_IjEEEENSB_INSC_IfEEEEjNS9_4plusIvEENS9_8equal_toIvEEjEE10hipError_tPvRmT2_T3_T4_T5_mT6_T7_P12ihipStream_tbENKUlT_T0_E_clISt17integral_constantIbLb1EES12_IbLb0EEEEDaSY_SZ_EUlSY_E_NS1_11comp_targetILNS1_3genE5ELNS1_11target_archE942ELNS1_3gpuE9ELNS1_3repE0EEENS1_30default_config_static_selectorELNS0_4arch9wavefront6targetE0EEEvT1_, .Lfunc_end1664-_ZN7rocprim17ROCPRIM_400000_NS6detail17trampoline_kernelINS0_14default_configENS1_27scan_by_key_config_selectorIijEEZZNS1_16scan_by_key_implILNS1_25lookback_scan_determinismE0ELb0ES3_N6thrust23THRUST_200600_302600_NS6detail15normal_iteratorINS9_10device_ptrIiEEEENSB_INSC_IjEEEENSB_INSC_IfEEEEjNS9_4plusIvEENS9_8equal_toIvEEjEE10hipError_tPvRmT2_T3_T4_T5_mT6_T7_P12ihipStream_tbENKUlT_T0_E_clISt17integral_constantIbLb1EES12_IbLb0EEEEDaSY_SZ_EUlSY_E_NS1_11comp_targetILNS1_3genE5ELNS1_11target_archE942ELNS1_3gpuE9ELNS1_3repE0EEENS1_30default_config_static_selectorELNS0_4arch9wavefront6targetE0EEEvT1_
                                        ; -- End function
	.set _ZN7rocprim17ROCPRIM_400000_NS6detail17trampoline_kernelINS0_14default_configENS1_27scan_by_key_config_selectorIijEEZZNS1_16scan_by_key_implILNS1_25lookback_scan_determinismE0ELb0ES3_N6thrust23THRUST_200600_302600_NS6detail15normal_iteratorINS9_10device_ptrIiEEEENSB_INSC_IjEEEENSB_INSC_IfEEEEjNS9_4plusIvEENS9_8equal_toIvEEjEE10hipError_tPvRmT2_T3_T4_T5_mT6_T7_P12ihipStream_tbENKUlT_T0_E_clISt17integral_constantIbLb1EES12_IbLb0EEEEDaSY_SZ_EUlSY_E_NS1_11comp_targetILNS1_3genE5ELNS1_11target_archE942ELNS1_3gpuE9ELNS1_3repE0EEENS1_30default_config_static_selectorELNS0_4arch9wavefront6targetE0EEEvT1_.num_vgpr, 0
	.set _ZN7rocprim17ROCPRIM_400000_NS6detail17trampoline_kernelINS0_14default_configENS1_27scan_by_key_config_selectorIijEEZZNS1_16scan_by_key_implILNS1_25lookback_scan_determinismE0ELb0ES3_N6thrust23THRUST_200600_302600_NS6detail15normal_iteratorINS9_10device_ptrIiEEEENSB_INSC_IjEEEENSB_INSC_IfEEEEjNS9_4plusIvEENS9_8equal_toIvEEjEE10hipError_tPvRmT2_T3_T4_T5_mT6_T7_P12ihipStream_tbENKUlT_T0_E_clISt17integral_constantIbLb1EES12_IbLb0EEEEDaSY_SZ_EUlSY_E_NS1_11comp_targetILNS1_3genE5ELNS1_11target_archE942ELNS1_3gpuE9ELNS1_3repE0EEENS1_30default_config_static_selectorELNS0_4arch9wavefront6targetE0EEEvT1_.num_agpr, 0
	.set _ZN7rocprim17ROCPRIM_400000_NS6detail17trampoline_kernelINS0_14default_configENS1_27scan_by_key_config_selectorIijEEZZNS1_16scan_by_key_implILNS1_25lookback_scan_determinismE0ELb0ES3_N6thrust23THRUST_200600_302600_NS6detail15normal_iteratorINS9_10device_ptrIiEEEENSB_INSC_IjEEEENSB_INSC_IfEEEEjNS9_4plusIvEENS9_8equal_toIvEEjEE10hipError_tPvRmT2_T3_T4_T5_mT6_T7_P12ihipStream_tbENKUlT_T0_E_clISt17integral_constantIbLb1EES12_IbLb0EEEEDaSY_SZ_EUlSY_E_NS1_11comp_targetILNS1_3genE5ELNS1_11target_archE942ELNS1_3gpuE9ELNS1_3repE0EEENS1_30default_config_static_selectorELNS0_4arch9wavefront6targetE0EEEvT1_.numbered_sgpr, 0
	.set _ZN7rocprim17ROCPRIM_400000_NS6detail17trampoline_kernelINS0_14default_configENS1_27scan_by_key_config_selectorIijEEZZNS1_16scan_by_key_implILNS1_25lookback_scan_determinismE0ELb0ES3_N6thrust23THRUST_200600_302600_NS6detail15normal_iteratorINS9_10device_ptrIiEEEENSB_INSC_IjEEEENSB_INSC_IfEEEEjNS9_4plusIvEENS9_8equal_toIvEEjEE10hipError_tPvRmT2_T3_T4_T5_mT6_T7_P12ihipStream_tbENKUlT_T0_E_clISt17integral_constantIbLb1EES12_IbLb0EEEEDaSY_SZ_EUlSY_E_NS1_11comp_targetILNS1_3genE5ELNS1_11target_archE942ELNS1_3gpuE9ELNS1_3repE0EEENS1_30default_config_static_selectorELNS0_4arch9wavefront6targetE0EEEvT1_.num_named_barrier, 0
	.set _ZN7rocprim17ROCPRIM_400000_NS6detail17trampoline_kernelINS0_14default_configENS1_27scan_by_key_config_selectorIijEEZZNS1_16scan_by_key_implILNS1_25lookback_scan_determinismE0ELb0ES3_N6thrust23THRUST_200600_302600_NS6detail15normal_iteratorINS9_10device_ptrIiEEEENSB_INSC_IjEEEENSB_INSC_IfEEEEjNS9_4plusIvEENS9_8equal_toIvEEjEE10hipError_tPvRmT2_T3_T4_T5_mT6_T7_P12ihipStream_tbENKUlT_T0_E_clISt17integral_constantIbLb1EES12_IbLb0EEEEDaSY_SZ_EUlSY_E_NS1_11comp_targetILNS1_3genE5ELNS1_11target_archE942ELNS1_3gpuE9ELNS1_3repE0EEENS1_30default_config_static_selectorELNS0_4arch9wavefront6targetE0EEEvT1_.private_seg_size, 0
	.set _ZN7rocprim17ROCPRIM_400000_NS6detail17trampoline_kernelINS0_14default_configENS1_27scan_by_key_config_selectorIijEEZZNS1_16scan_by_key_implILNS1_25lookback_scan_determinismE0ELb0ES3_N6thrust23THRUST_200600_302600_NS6detail15normal_iteratorINS9_10device_ptrIiEEEENSB_INSC_IjEEEENSB_INSC_IfEEEEjNS9_4plusIvEENS9_8equal_toIvEEjEE10hipError_tPvRmT2_T3_T4_T5_mT6_T7_P12ihipStream_tbENKUlT_T0_E_clISt17integral_constantIbLb1EES12_IbLb0EEEEDaSY_SZ_EUlSY_E_NS1_11comp_targetILNS1_3genE5ELNS1_11target_archE942ELNS1_3gpuE9ELNS1_3repE0EEENS1_30default_config_static_selectorELNS0_4arch9wavefront6targetE0EEEvT1_.uses_vcc, 0
	.set _ZN7rocprim17ROCPRIM_400000_NS6detail17trampoline_kernelINS0_14default_configENS1_27scan_by_key_config_selectorIijEEZZNS1_16scan_by_key_implILNS1_25lookback_scan_determinismE0ELb0ES3_N6thrust23THRUST_200600_302600_NS6detail15normal_iteratorINS9_10device_ptrIiEEEENSB_INSC_IjEEEENSB_INSC_IfEEEEjNS9_4plusIvEENS9_8equal_toIvEEjEE10hipError_tPvRmT2_T3_T4_T5_mT6_T7_P12ihipStream_tbENKUlT_T0_E_clISt17integral_constantIbLb1EES12_IbLb0EEEEDaSY_SZ_EUlSY_E_NS1_11comp_targetILNS1_3genE5ELNS1_11target_archE942ELNS1_3gpuE9ELNS1_3repE0EEENS1_30default_config_static_selectorELNS0_4arch9wavefront6targetE0EEEvT1_.uses_flat_scratch, 0
	.set _ZN7rocprim17ROCPRIM_400000_NS6detail17trampoline_kernelINS0_14default_configENS1_27scan_by_key_config_selectorIijEEZZNS1_16scan_by_key_implILNS1_25lookback_scan_determinismE0ELb0ES3_N6thrust23THRUST_200600_302600_NS6detail15normal_iteratorINS9_10device_ptrIiEEEENSB_INSC_IjEEEENSB_INSC_IfEEEEjNS9_4plusIvEENS9_8equal_toIvEEjEE10hipError_tPvRmT2_T3_T4_T5_mT6_T7_P12ihipStream_tbENKUlT_T0_E_clISt17integral_constantIbLb1EES12_IbLb0EEEEDaSY_SZ_EUlSY_E_NS1_11comp_targetILNS1_3genE5ELNS1_11target_archE942ELNS1_3gpuE9ELNS1_3repE0EEENS1_30default_config_static_selectorELNS0_4arch9wavefront6targetE0EEEvT1_.has_dyn_sized_stack, 0
	.set _ZN7rocprim17ROCPRIM_400000_NS6detail17trampoline_kernelINS0_14default_configENS1_27scan_by_key_config_selectorIijEEZZNS1_16scan_by_key_implILNS1_25lookback_scan_determinismE0ELb0ES3_N6thrust23THRUST_200600_302600_NS6detail15normal_iteratorINS9_10device_ptrIiEEEENSB_INSC_IjEEEENSB_INSC_IfEEEEjNS9_4plusIvEENS9_8equal_toIvEEjEE10hipError_tPvRmT2_T3_T4_T5_mT6_T7_P12ihipStream_tbENKUlT_T0_E_clISt17integral_constantIbLb1EES12_IbLb0EEEEDaSY_SZ_EUlSY_E_NS1_11comp_targetILNS1_3genE5ELNS1_11target_archE942ELNS1_3gpuE9ELNS1_3repE0EEENS1_30default_config_static_selectorELNS0_4arch9wavefront6targetE0EEEvT1_.has_recursion, 0
	.set _ZN7rocprim17ROCPRIM_400000_NS6detail17trampoline_kernelINS0_14default_configENS1_27scan_by_key_config_selectorIijEEZZNS1_16scan_by_key_implILNS1_25lookback_scan_determinismE0ELb0ES3_N6thrust23THRUST_200600_302600_NS6detail15normal_iteratorINS9_10device_ptrIiEEEENSB_INSC_IjEEEENSB_INSC_IfEEEEjNS9_4plusIvEENS9_8equal_toIvEEjEE10hipError_tPvRmT2_T3_T4_T5_mT6_T7_P12ihipStream_tbENKUlT_T0_E_clISt17integral_constantIbLb1EES12_IbLb0EEEEDaSY_SZ_EUlSY_E_NS1_11comp_targetILNS1_3genE5ELNS1_11target_archE942ELNS1_3gpuE9ELNS1_3repE0EEENS1_30default_config_static_selectorELNS0_4arch9wavefront6targetE0EEEvT1_.has_indirect_call, 0
	.section	.AMDGPU.csdata,"",@progbits
; Kernel info:
; codeLenInByte = 0
; TotalNumSgprs: 0
; NumVgprs: 0
; ScratchSize: 0
; MemoryBound: 0
; FloatMode: 240
; IeeeMode: 1
; LDSByteSize: 0 bytes/workgroup (compile time only)
; SGPRBlocks: 0
; VGPRBlocks: 0
; NumSGPRsForWavesPerEU: 1
; NumVGPRsForWavesPerEU: 1
; Occupancy: 16
; WaveLimiterHint : 0
; COMPUTE_PGM_RSRC2:SCRATCH_EN: 0
; COMPUTE_PGM_RSRC2:USER_SGPR: 6
; COMPUTE_PGM_RSRC2:TRAP_HANDLER: 0
; COMPUTE_PGM_RSRC2:TGID_X_EN: 1
; COMPUTE_PGM_RSRC2:TGID_Y_EN: 0
; COMPUTE_PGM_RSRC2:TGID_Z_EN: 0
; COMPUTE_PGM_RSRC2:TIDIG_COMP_CNT: 0
	.section	.text._ZN7rocprim17ROCPRIM_400000_NS6detail17trampoline_kernelINS0_14default_configENS1_27scan_by_key_config_selectorIijEEZZNS1_16scan_by_key_implILNS1_25lookback_scan_determinismE0ELb0ES3_N6thrust23THRUST_200600_302600_NS6detail15normal_iteratorINS9_10device_ptrIiEEEENSB_INSC_IjEEEENSB_INSC_IfEEEEjNS9_4plusIvEENS9_8equal_toIvEEjEE10hipError_tPvRmT2_T3_T4_T5_mT6_T7_P12ihipStream_tbENKUlT_T0_E_clISt17integral_constantIbLb1EES12_IbLb0EEEEDaSY_SZ_EUlSY_E_NS1_11comp_targetILNS1_3genE4ELNS1_11target_archE910ELNS1_3gpuE8ELNS1_3repE0EEENS1_30default_config_static_selectorELNS0_4arch9wavefront6targetE0EEEvT1_,"axG",@progbits,_ZN7rocprim17ROCPRIM_400000_NS6detail17trampoline_kernelINS0_14default_configENS1_27scan_by_key_config_selectorIijEEZZNS1_16scan_by_key_implILNS1_25lookback_scan_determinismE0ELb0ES3_N6thrust23THRUST_200600_302600_NS6detail15normal_iteratorINS9_10device_ptrIiEEEENSB_INSC_IjEEEENSB_INSC_IfEEEEjNS9_4plusIvEENS9_8equal_toIvEEjEE10hipError_tPvRmT2_T3_T4_T5_mT6_T7_P12ihipStream_tbENKUlT_T0_E_clISt17integral_constantIbLb1EES12_IbLb0EEEEDaSY_SZ_EUlSY_E_NS1_11comp_targetILNS1_3genE4ELNS1_11target_archE910ELNS1_3gpuE8ELNS1_3repE0EEENS1_30default_config_static_selectorELNS0_4arch9wavefront6targetE0EEEvT1_,comdat
	.protected	_ZN7rocprim17ROCPRIM_400000_NS6detail17trampoline_kernelINS0_14default_configENS1_27scan_by_key_config_selectorIijEEZZNS1_16scan_by_key_implILNS1_25lookback_scan_determinismE0ELb0ES3_N6thrust23THRUST_200600_302600_NS6detail15normal_iteratorINS9_10device_ptrIiEEEENSB_INSC_IjEEEENSB_INSC_IfEEEEjNS9_4plusIvEENS9_8equal_toIvEEjEE10hipError_tPvRmT2_T3_T4_T5_mT6_T7_P12ihipStream_tbENKUlT_T0_E_clISt17integral_constantIbLb1EES12_IbLb0EEEEDaSY_SZ_EUlSY_E_NS1_11comp_targetILNS1_3genE4ELNS1_11target_archE910ELNS1_3gpuE8ELNS1_3repE0EEENS1_30default_config_static_selectorELNS0_4arch9wavefront6targetE0EEEvT1_ ; -- Begin function _ZN7rocprim17ROCPRIM_400000_NS6detail17trampoline_kernelINS0_14default_configENS1_27scan_by_key_config_selectorIijEEZZNS1_16scan_by_key_implILNS1_25lookback_scan_determinismE0ELb0ES3_N6thrust23THRUST_200600_302600_NS6detail15normal_iteratorINS9_10device_ptrIiEEEENSB_INSC_IjEEEENSB_INSC_IfEEEEjNS9_4plusIvEENS9_8equal_toIvEEjEE10hipError_tPvRmT2_T3_T4_T5_mT6_T7_P12ihipStream_tbENKUlT_T0_E_clISt17integral_constantIbLb1EES12_IbLb0EEEEDaSY_SZ_EUlSY_E_NS1_11comp_targetILNS1_3genE4ELNS1_11target_archE910ELNS1_3gpuE8ELNS1_3repE0EEENS1_30default_config_static_selectorELNS0_4arch9wavefront6targetE0EEEvT1_
	.globl	_ZN7rocprim17ROCPRIM_400000_NS6detail17trampoline_kernelINS0_14default_configENS1_27scan_by_key_config_selectorIijEEZZNS1_16scan_by_key_implILNS1_25lookback_scan_determinismE0ELb0ES3_N6thrust23THRUST_200600_302600_NS6detail15normal_iteratorINS9_10device_ptrIiEEEENSB_INSC_IjEEEENSB_INSC_IfEEEEjNS9_4plusIvEENS9_8equal_toIvEEjEE10hipError_tPvRmT2_T3_T4_T5_mT6_T7_P12ihipStream_tbENKUlT_T0_E_clISt17integral_constantIbLb1EES12_IbLb0EEEEDaSY_SZ_EUlSY_E_NS1_11comp_targetILNS1_3genE4ELNS1_11target_archE910ELNS1_3gpuE8ELNS1_3repE0EEENS1_30default_config_static_selectorELNS0_4arch9wavefront6targetE0EEEvT1_
	.p2align	8
	.type	_ZN7rocprim17ROCPRIM_400000_NS6detail17trampoline_kernelINS0_14default_configENS1_27scan_by_key_config_selectorIijEEZZNS1_16scan_by_key_implILNS1_25lookback_scan_determinismE0ELb0ES3_N6thrust23THRUST_200600_302600_NS6detail15normal_iteratorINS9_10device_ptrIiEEEENSB_INSC_IjEEEENSB_INSC_IfEEEEjNS9_4plusIvEENS9_8equal_toIvEEjEE10hipError_tPvRmT2_T3_T4_T5_mT6_T7_P12ihipStream_tbENKUlT_T0_E_clISt17integral_constantIbLb1EES12_IbLb0EEEEDaSY_SZ_EUlSY_E_NS1_11comp_targetILNS1_3genE4ELNS1_11target_archE910ELNS1_3gpuE8ELNS1_3repE0EEENS1_30default_config_static_selectorELNS0_4arch9wavefront6targetE0EEEvT1_,@function
_ZN7rocprim17ROCPRIM_400000_NS6detail17trampoline_kernelINS0_14default_configENS1_27scan_by_key_config_selectorIijEEZZNS1_16scan_by_key_implILNS1_25lookback_scan_determinismE0ELb0ES3_N6thrust23THRUST_200600_302600_NS6detail15normal_iteratorINS9_10device_ptrIiEEEENSB_INSC_IjEEEENSB_INSC_IfEEEEjNS9_4plusIvEENS9_8equal_toIvEEjEE10hipError_tPvRmT2_T3_T4_T5_mT6_T7_P12ihipStream_tbENKUlT_T0_E_clISt17integral_constantIbLb1EES12_IbLb0EEEEDaSY_SZ_EUlSY_E_NS1_11comp_targetILNS1_3genE4ELNS1_11target_archE910ELNS1_3gpuE8ELNS1_3repE0EEENS1_30default_config_static_selectorELNS0_4arch9wavefront6targetE0EEEvT1_: ; @_ZN7rocprim17ROCPRIM_400000_NS6detail17trampoline_kernelINS0_14default_configENS1_27scan_by_key_config_selectorIijEEZZNS1_16scan_by_key_implILNS1_25lookback_scan_determinismE0ELb0ES3_N6thrust23THRUST_200600_302600_NS6detail15normal_iteratorINS9_10device_ptrIiEEEENSB_INSC_IjEEEENSB_INSC_IfEEEEjNS9_4plusIvEENS9_8equal_toIvEEjEE10hipError_tPvRmT2_T3_T4_T5_mT6_T7_P12ihipStream_tbENKUlT_T0_E_clISt17integral_constantIbLb1EES12_IbLb0EEEEDaSY_SZ_EUlSY_E_NS1_11comp_targetILNS1_3genE4ELNS1_11target_archE910ELNS1_3gpuE8ELNS1_3repE0EEENS1_30default_config_static_selectorELNS0_4arch9wavefront6targetE0EEEvT1_
; %bb.0:
	.section	.rodata,"a",@progbits
	.p2align	6, 0x0
	.amdhsa_kernel _ZN7rocprim17ROCPRIM_400000_NS6detail17trampoline_kernelINS0_14default_configENS1_27scan_by_key_config_selectorIijEEZZNS1_16scan_by_key_implILNS1_25lookback_scan_determinismE0ELb0ES3_N6thrust23THRUST_200600_302600_NS6detail15normal_iteratorINS9_10device_ptrIiEEEENSB_INSC_IjEEEENSB_INSC_IfEEEEjNS9_4plusIvEENS9_8equal_toIvEEjEE10hipError_tPvRmT2_T3_T4_T5_mT6_T7_P12ihipStream_tbENKUlT_T0_E_clISt17integral_constantIbLb1EES12_IbLb0EEEEDaSY_SZ_EUlSY_E_NS1_11comp_targetILNS1_3genE4ELNS1_11target_archE910ELNS1_3gpuE8ELNS1_3repE0EEENS1_30default_config_static_selectorELNS0_4arch9wavefront6targetE0EEEvT1_
		.amdhsa_group_segment_fixed_size 0
		.amdhsa_private_segment_fixed_size 0
		.amdhsa_kernarg_size 112
		.amdhsa_user_sgpr_count 6
		.amdhsa_user_sgpr_private_segment_buffer 1
		.amdhsa_user_sgpr_dispatch_ptr 0
		.amdhsa_user_sgpr_queue_ptr 0
		.amdhsa_user_sgpr_kernarg_segment_ptr 1
		.amdhsa_user_sgpr_dispatch_id 0
		.amdhsa_user_sgpr_flat_scratch_init 0
		.amdhsa_user_sgpr_private_segment_size 0
		.amdhsa_wavefront_size32 1
		.amdhsa_uses_dynamic_stack 0
		.amdhsa_system_sgpr_private_segment_wavefront_offset 0
		.amdhsa_system_sgpr_workgroup_id_x 1
		.amdhsa_system_sgpr_workgroup_id_y 0
		.amdhsa_system_sgpr_workgroup_id_z 0
		.amdhsa_system_sgpr_workgroup_info 0
		.amdhsa_system_vgpr_workitem_id 0
		.amdhsa_next_free_vgpr 1
		.amdhsa_next_free_sgpr 1
		.amdhsa_reserve_vcc 0
		.amdhsa_reserve_flat_scratch 0
		.amdhsa_float_round_mode_32 0
		.amdhsa_float_round_mode_16_64 0
		.amdhsa_float_denorm_mode_32 3
		.amdhsa_float_denorm_mode_16_64 3
		.amdhsa_dx10_clamp 1
		.amdhsa_ieee_mode 1
		.amdhsa_fp16_overflow 0
		.amdhsa_workgroup_processor_mode 1
		.amdhsa_memory_ordered 1
		.amdhsa_forward_progress 1
		.amdhsa_shared_vgpr_count 0
		.amdhsa_exception_fp_ieee_invalid_op 0
		.amdhsa_exception_fp_denorm_src 0
		.amdhsa_exception_fp_ieee_div_zero 0
		.amdhsa_exception_fp_ieee_overflow 0
		.amdhsa_exception_fp_ieee_underflow 0
		.amdhsa_exception_fp_ieee_inexact 0
		.amdhsa_exception_int_div_zero 0
	.end_amdhsa_kernel
	.section	.text._ZN7rocprim17ROCPRIM_400000_NS6detail17trampoline_kernelINS0_14default_configENS1_27scan_by_key_config_selectorIijEEZZNS1_16scan_by_key_implILNS1_25lookback_scan_determinismE0ELb0ES3_N6thrust23THRUST_200600_302600_NS6detail15normal_iteratorINS9_10device_ptrIiEEEENSB_INSC_IjEEEENSB_INSC_IfEEEEjNS9_4plusIvEENS9_8equal_toIvEEjEE10hipError_tPvRmT2_T3_T4_T5_mT6_T7_P12ihipStream_tbENKUlT_T0_E_clISt17integral_constantIbLb1EES12_IbLb0EEEEDaSY_SZ_EUlSY_E_NS1_11comp_targetILNS1_3genE4ELNS1_11target_archE910ELNS1_3gpuE8ELNS1_3repE0EEENS1_30default_config_static_selectorELNS0_4arch9wavefront6targetE0EEEvT1_,"axG",@progbits,_ZN7rocprim17ROCPRIM_400000_NS6detail17trampoline_kernelINS0_14default_configENS1_27scan_by_key_config_selectorIijEEZZNS1_16scan_by_key_implILNS1_25lookback_scan_determinismE0ELb0ES3_N6thrust23THRUST_200600_302600_NS6detail15normal_iteratorINS9_10device_ptrIiEEEENSB_INSC_IjEEEENSB_INSC_IfEEEEjNS9_4plusIvEENS9_8equal_toIvEEjEE10hipError_tPvRmT2_T3_T4_T5_mT6_T7_P12ihipStream_tbENKUlT_T0_E_clISt17integral_constantIbLb1EES12_IbLb0EEEEDaSY_SZ_EUlSY_E_NS1_11comp_targetILNS1_3genE4ELNS1_11target_archE910ELNS1_3gpuE8ELNS1_3repE0EEENS1_30default_config_static_selectorELNS0_4arch9wavefront6targetE0EEEvT1_,comdat
.Lfunc_end1665:
	.size	_ZN7rocprim17ROCPRIM_400000_NS6detail17trampoline_kernelINS0_14default_configENS1_27scan_by_key_config_selectorIijEEZZNS1_16scan_by_key_implILNS1_25lookback_scan_determinismE0ELb0ES3_N6thrust23THRUST_200600_302600_NS6detail15normal_iteratorINS9_10device_ptrIiEEEENSB_INSC_IjEEEENSB_INSC_IfEEEEjNS9_4plusIvEENS9_8equal_toIvEEjEE10hipError_tPvRmT2_T3_T4_T5_mT6_T7_P12ihipStream_tbENKUlT_T0_E_clISt17integral_constantIbLb1EES12_IbLb0EEEEDaSY_SZ_EUlSY_E_NS1_11comp_targetILNS1_3genE4ELNS1_11target_archE910ELNS1_3gpuE8ELNS1_3repE0EEENS1_30default_config_static_selectorELNS0_4arch9wavefront6targetE0EEEvT1_, .Lfunc_end1665-_ZN7rocprim17ROCPRIM_400000_NS6detail17trampoline_kernelINS0_14default_configENS1_27scan_by_key_config_selectorIijEEZZNS1_16scan_by_key_implILNS1_25lookback_scan_determinismE0ELb0ES3_N6thrust23THRUST_200600_302600_NS6detail15normal_iteratorINS9_10device_ptrIiEEEENSB_INSC_IjEEEENSB_INSC_IfEEEEjNS9_4plusIvEENS9_8equal_toIvEEjEE10hipError_tPvRmT2_T3_T4_T5_mT6_T7_P12ihipStream_tbENKUlT_T0_E_clISt17integral_constantIbLb1EES12_IbLb0EEEEDaSY_SZ_EUlSY_E_NS1_11comp_targetILNS1_3genE4ELNS1_11target_archE910ELNS1_3gpuE8ELNS1_3repE0EEENS1_30default_config_static_selectorELNS0_4arch9wavefront6targetE0EEEvT1_
                                        ; -- End function
	.set _ZN7rocprim17ROCPRIM_400000_NS6detail17trampoline_kernelINS0_14default_configENS1_27scan_by_key_config_selectorIijEEZZNS1_16scan_by_key_implILNS1_25lookback_scan_determinismE0ELb0ES3_N6thrust23THRUST_200600_302600_NS6detail15normal_iteratorINS9_10device_ptrIiEEEENSB_INSC_IjEEEENSB_INSC_IfEEEEjNS9_4plusIvEENS9_8equal_toIvEEjEE10hipError_tPvRmT2_T3_T4_T5_mT6_T7_P12ihipStream_tbENKUlT_T0_E_clISt17integral_constantIbLb1EES12_IbLb0EEEEDaSY_SZ_EUlSY_E_NS1_11comp_targetILNS1_3genE4ELNS1_11target_archE910ELNS1_3gpuE8ELNS1_3repE0EEENS1_30default_config_static_selectorELNS0_4arch9wavefront6targetE0EEEvT1_.num_vgpr, 0
	.set _ZN7rocprim17ROCPRIM_400000_NS6detail17trampoline_kernelINS0_14default_configENS1_27scan_by_key_config_selectorIijEEZZNS1_16scan_by_key_implILNS1_25lookback_scan_determinismE0ELb0ES3_N6thrust23THRUST_200600_302600_NS6detail15normal_iteratorINS9_10device_ptrIiEEEENSB_INSC_IjEEEENSB_INSC_IfEEEEjNS9_4plusIvEENS9_8equal_toIvEEjEE10hipError_tPvRmT2_T3_T4_T5_mT6_T7_P12ihipStream_tbENKUlT_T0_E_clISt17integral_constantIbLb1EES12_IbLb0EEEEDaSY_SZ_EUlSY_E_NS1_11comp_targetILNS1_3genE4ELNS1_11target_archE910ELNS1_3gpuE8ELNS1_3repE0EEENS1_30default_config_static_selectorELNS0_4arch9wavefront6targetE0EEEvT1_.num_agpr, 0
	.set _ZN7rocprim17ROCPRIM_400000_NS6detail17trampoline_kernelINS0_14default_configENS1_27scan_by_key_config_selectorIijEEZZNS1_16scan_by_key_implILNS1_25lookback_scan_determinismE0ELb0ES3_N6thrust23THRUST_200600_302600_NS6detail15normal_iteratorINS9_10device_ptrIiEEEENSB_INSC_IjEEEENSB_INSC_IfEEEEjNS9_4plusIvEENS9_8equal_toIvEEjEE10hipError_tPvRmT2_T3_T4_T5_mT6_T7_P12ihipStream_tbENKUlT_T0_E_clISt17integral_constantIbLb1EES12_IbLb0EEEEDaSY_SZ_EUlSY_E_NS1_11comp_targetILNS1_3genE4ELNS1_11target_archE910ELNS1_3gpuE8ELNS1_3repE0EEENS1_30default_config_static_selectorELNS0_4arch9wavefront6targetE0EEEvT1_.numbered_sgpr, 0
	.set _ZN7rocprim17ROCPRIM_400000_NS6detail17trampoline_kernelINS0_14default_configENS1_27scan_by_key_config_selectorIijEEZZNS1_16scan_by_key_implILNS1_25lookback_scan_determinismE0ELb0ES3_N6thrust23THRUST_200600_302600_NS6detail15normal_iteratorINS9_10device_ptrIiEEEENSB_INSC_IjEEEENSB_INSC_IfEEEEjNS9_4plusIvEENS9_8equal_toIvEEjEE10hipError_tPvRmT2_T3_T4_T5_mT6_T7_P12ihipStream_tbENKUlT_T0_E_clISt17integral_constantIbLb1EES12_IbLb0EEEEDaSY_SZ_EUlSY_E_NS1_11comp_targetILNS1_3genE4ELNS1_11target_archE910ELNS1_3gpuE8ELNS1_3repE0EEENS1_30default_config_static_selectorELNS0_4arch9wavefront6targetE0EEEvT1_.num_named_barrier, 0
	.set _ZN7rocprim17ROCPRIM_400000_NS6detail17trampoline_kernelINS0_14default_configENS1_27scan_by_key_config_selectorIijEEZZNS1_16scan_by_key_implILNS1_25lookback_scan_determinismE0ELb0ES3_N6thrust23THRUST_200600_302600_NS6detail15normal_iteratorINS9_10device_ptrIiEEEENSB_INSC_IjEEEENSB_INSC_IfEEEEjNS9_4plusIvEENS9_8equal_toIvEEjEE10hipError_tPvRmT2_T3_T4_T5_mT6_T7_P12ihipStream_tbENKUlT_T0_E_clISt17integral_constantIbLb1EES12_IbLb0EEEEDaSY_SZ_EUlSY_E_NS1_11comp_targetILNS1_3genE4ELNS1_11target_archE910ELNS1_3gpuE8ELNS1_3repE0EEENS1_30default_config_static_selectorELNS0_4arch9wavefront6targetE0EEEvT1_.private_seg_size, 0
	.set _ZN7rocprim17ROCPRIM_400000_NS6detail17trampoline_kernelINS0_14default_configENS1_27scan_by_key_config_selectorIijEEZZNS1_16scan_by_key_implILNS1_25lookback_scan_determinismE0ELb0ES3_N6thrust23THRUST_200600_302600_NS6detail15normal_iteratorINS9_10device_ptrIiEEEENSB_INSC_IjEEEENSB_INSC_IfEEEEjNS9_4plusIvEENS9_8equal_toIvEEjEE10hipError_tPvRmT2_T3_T4_T5_mT6_T7_P12ihipStream_tbENKUlT_T0_E_clISt17integral_constantIbLb1EES12_IbLb0EEEEDaSY_SZ_EUlSY_E_NS1_11comp_targetILNS1_3genE4ELNS1_11target_archE910ELNS1_3gpuE8ELNS1_3repE0EEENS1_30default_config_static_selectorELNS0_4arch9wavefront6targetE0EEEvT1_.uses_vcc, 0
	.set _ZN7rocprim17ROCPRIM_400000_NS6detail17trampoline_kernelINS0_14default_configENS1_27scan_by_key_config_selectorIijEEZZNS1_16scan_by_key_implILNS1_25lookback_scan_determinismE0ELb0ES3_N6thrust23THRUST_200600_302600_NS6detail15normal_iteratorINS9_10device_ptrIiEEEENSB_INSC_IjEEEENSB_INSC_IfEEEEjNS9_4plusIvEENS9_8equal_toIvEEjEE10hipError_tPvRmT2_T3_T4_T5_mT6_T7_P12ihipStream_tbENKUlT_T0_E_clISt17integral_constantIbLb1EES12_IbLb0EEEEDaSY_SZ_EUlSY_E_NS1_11comp_targetILNS1_3genE4ELNS1_11target_archE910ELNS1_3gpuE8ELNS1_3repE0EEENS1_30default_config_static_selectorELNS0_4arch9wavefront6targetE0EEEvT1_.uses_flat_scratch, 0
	.set _ZN7rocprim17ROCPRIM_400000_NS6detail17trampoline_kernelINS0_14default_configENS1_27scan_by_key_config_selectorIijEEZZNS1_16scan_by_key_implILNS1_25lookback_scan_determinismE0ELb0ES3_N6thrust23THRUST_200600_302600_NS6detail15normal_iteratorINS9_10device_ptrIiEEEENSB_INSC_IjEEEENSB_INSC_IfEEEEjNS9_4plusIvEENS9_8equal_toIvEEjEE10hipError_tPvRmT2_T3_T4_T5_mT6_T7_P12ihipStream_tbENKUlT_T0_E_clISt17integral_constantIbLb1EES12_IbLb0EEEEDaSY_SZ_EUlSY_E_NS1_11comp_targetILNS1_3genE4ELNS1_11target_archE910ELNS1_3gpuE8ELNS1_3repE0EEENS1_30default_config_static_selectorELNS0_4arch9wavefront6targetE0EEEvT1_.has_dyn_sized_stack, 0
	.set _ZN7rocprim17ROCPRIM_400000_NS6detail17trampoline_kernelINS0_14default_configENS1_27scan_by_key_config_selectorIijEEZZNS1_16scan_by_key_implILNS1_25lookback_scan_determinismE0ELb0ES3_N6thrust23THRUST_200600_302600_NS6detail15normal_iteratorINS9_10device_ptrIiEEEENSB_INSC_IjEEEENSB_INSC_IfEEEEjNS9_4plusIvEENS9_8equal_toIvEEjEE10hipError_tPvRmT2_T3_T4_T5_mT6_T7_P12ihipStream_tbENKUlT_T0_E_clISt17integral_constantIbLb1EES12_IbLb0EEEEDaSY_SZ_EUlSY_E_NS1_11comp_targetILNS1_3genE4ELNS1_11target_archE910ELNS1_3gpuE8ELNS1_3repE0EEENS1_30default_config_static_selectorELNS0_4arch9wavefront6targetE0EEEvT1_.has_recursion, 0
	.set _ZN7rocprim17ROCPRIM_400000_NS6detail17trampoline_kernelINS0_14default_configENS1_27scan_by_key_config_selectorIijEEZZNS1_16scan_by_key_implILNS1_25lookback_scan_determinismE0ELb0ES3_N6thrust23THRUST_200600_302600_NS6detail15normal_iteratorINS9_10device_ptrIiEEEENSB_INSC_IjEEEENSB_INSC_IfEEEEjNS9_4plusIvEENS9_8equal_toIvEEjEE10hipError_tPvRmT2_T3_T4_T5_mT6_T7_P12ihipStream_tbENKUlT_T0_E_clISt17integral_constantIbLb1EES12_IbLb0EEEEDaSY_SZ_EUlSY_E_NS1_11comp_targetILNS1_3genE4ELNS1_11target_archE910ELNS1_3gpuE8ELNS1_3repE0EEENS1_30default_config_static_selectorELNS0_4arch9wavefront6targetE0EEEvT1_.has_indirect_call, 0
	.section	.AMDGPU.csdata,"",@progbits
; Kernel info:
; codeLenInByte = 0
; TotalNumSgprs: 0
; NumVgprs: 0
; ScratchSize: 0
; MemoryBound: 0
; FloatMode: 240
; IeeeMode: 1
; LDSByteSize: 0 bytes/workgroup (compile time only)
; SGPRBlocks: 0
; VGPRBlocks: 0
; NumSGPRsForWavesPerEU: 1
; NumVGPRsForWavesPerEU: 1
; Occupancy: 16
; WaveLimiterHint : 0
; COMPUTE_PGM_RSRC2:SCRATCH_EN: 0
; COMPUTE_PGM_RSRC2:USER_SGPR: 6
; COMPUTE_PGM_RSRC2:TRAP_HANDLER: 0
; COMPUTE_PGM_RSRC2:TGID_X_EN: 1
; COMPUTE_PGM_RSRC2:TGID_Y_EN: 0
; COMPUTE_PGM_RSRC2:TGID_Z_EN: 0
; COMPUTE_PGM_RSRC2:TIDIG_COMP_CNT: 0
	.section	.text._ZN7rocprim17ROCPRIM_400000_NS6detail17trampoline_kernelINS0_14default_configENS1_27scan_by_key_config_selectorIijEEZZNS1_16scan_by_key_implILNS1_25lookback_scan_determinismE0ELb0ES3_N6thrust23THRUST_200600_302600_NS6detail15normal_iteratorINS9_10device_ptrIiEEEENSB_INSC_IjEEEENSB_INSC_IfEEEEjNS9_4plusIvEENS9_8equal_toIvEEjEE10hipError_tPvRmT2_T3_T4_T5_mT6_T7_P12ihipStream_tbENKUlT_T0_E_clISt17integral_constantIbLb1EES12_IbLb0EEEEDaSY_SZ_EUlSY_E_NS1_11comp_targetILNS1_3genE3ELNS1_11target_archE908ELNS1_3gpuE7ELNS1_3repE0EEENS1_30default_config_static_selectorELNS0_4arch9wavefront6targetE0EEEvT1_,"axG",@progbits,_ZN7rocprim17ROCPRIM_400000_NS6detail17trampoline_kernelINS0_14default_configENS1_27scan_by_key_config_selectorIijEEZZNS1_16scan_by_key_implILNS1_25lookback_scan_determinismE0ELb0ES3_N6thrust23THRUST_200600_302600_NS6detail15normal_iteratorINS9_10device_ptrIiEEEENSB_INSC_IjEEEENSB_INSC_IfEEEEjNS9_4plusIvEENS9_8equal_toIvEEjEE10hipError_tPvRmT2_T3_T4_T5_mT6_T7_P12ihipStream_tbENKUlT_T0_E_clISt17integral_constantIbLb1EES12_IbLb0EEEEDaSY_SZ_EUlSY_E_NS1_11comp_targetILNS1_3genE3ELNS1_11target_archE908ELNS1_3gpuE7ELNS1_3repE0EEENS1_30default_config_static_selectorELNS0_4arch9wavefront6targetE0EEEvT1_,comdat
	.protected	_ZN7rocprim17ROCPRIM_400000_NS6detail17trampoline_kernelINS0_14default_configENS1_27scan_by_key_config_selectorIijEEZZNS1_16scan_by_key_implILNS1_25lookback_scan_determinismE0ELb0ES3_N6thrust23THRUST_200600_302600_NS6detail15normal_iteratorINS9_10device_ptrIiEEEENSB_INSC_IjEEEENSB_INSC_IfEEEEjNS9_4plusIvEENS9_8equal_toIvEEjEE10hipError_tPvRmT2_T3_T4_T5_mT6_T7_P12ihipStream_tbENKUlT_T0_E_clISt17integral_constantIbLb1EES12_IbLb0EEEEDaSY_SZ_EUlSY_E_NS1_11comp_targetILNS1_3genE3ELNS1_11target_archE908ELNS1_3gpuE7ELNS1_3repE0EEENS1_30default_config_static_selectorELNS0_4arch9wavefront6targetE0EEEvT1_ ; -- Begin function _ZN7rocprim17ROCPRIM_400000_NS6detail17trampoline_kernelINS0_14default_configENS1_27scan_by_key_config_selectorIijEEZZNS1_16scan_by_key_implILNS1_25lookback_scan_determinismE0ELb0ES3_N6thrust23THRUST_200600_302600_NS6detail15normal_iteratorINS9_10device_ptrIiEEEENSB_INSC_IjEEEENSB_INSC_IfEEEEjNS9_4plusIvEENS9_8equal_toIvEEjEE10hipError_tPvRmT2_T3_T4_T5_mT6_T7_P12ihipStream_tbENKUlT_T0_E_clISt17integral_constantIbLb1EES12_IbLb0EEEEDaSY_SZ_EUlSY_E_NS1_11comp_targetILNS1_3genE3ELNS1_11target_archE908ELNS1_3gpuE7ELNS1_3repE0EEENS1_30default_config_static_selectorELNS0_4arch9wavefront6targetE0EEEvT1_
	.globl	_ZN7rocprim17ROCPRIM_400000_NS6detail17trampoline_kernelINS0_14default_configENS1_27scan_by_key_config_selectorIijEEZZNS1_16scan_by_key_implILNS1_25lookback_scan_determinismE0ELb0ES3_N6thrust23THRUST_200600_302600_NS6detail15normal_iteratorINS9_10device_ptrIiEEEENSB_INSC_IjEEEENSB_INSC_IfEEEEjNS9_4plusIvEENS9_8equal_toIvEEjEE10hipError_tPvRmT2_T3_T4_T5_mT6_T7_P12ihipStream_tbENKUlT_T0_E_clISt17integral_constantIbLb1EES12_IbLb0EEEEDaSY_SZ_EUlSY_E_NS1_11comp_targetILNS1_3genE3ELNS1_11target_archE908ELNS1_3gpuE7ELNS1_3repE0EEENS1_30default_config_static_selectorELNS0_4arch9wavefront6targetE0EEEvT1_
	.p2align	8
	.type	_ZN7rocprim17ROCPRIM_400000_NS6detail17trampoline_kernelINS0_14default_configENS1_27scan_by_key_config_selectorIijEEZZNS1_16scan_by_key_implILNS1_25lookback_scan_determinismE0ELb0ES3_N6thrust23THRUST_200600_302600_NS6detail15normal_iteratorINS9_10device_ptrIiEEEENSB_INSC_IjEEEENSB_INSC_IfEEEEjNS9_4plusIvEENS9_8equal_toIvEEjEE10hipError_tPvRmT2_T3_T4_T5_mT6_T7_P12ihipStream_tbENKUlT_T0_E_clISt17integral_constantIbLb1EES12_IbLb0EEEEDaSY_SZ_EUlSY_E_NS1_11comp_targetILNS1_3genE3ELNS1_11target_archE908ELNS1_3gpuE7ELNS1_3repE0EEENS1_30default_config_static_selectorELNS0_4arch9wavefront6targetE0EEEvT1_,@function
_ZN7rocprim17ROCPRIM_400000_NS6detail17trampoline_kernelINS0_14default_configENS1_27scan_by_key_config_selectorIijEEZZNS1_16scan_by_key_implILNS1_25lookback_scan_determinismE0ELb0ES3_N6thrust23THRUST_200600_302600_NS6detail15normal_iteratorINS9_10device_ptrIiEEEENSB_INSC_IjEEEENSB_INSC_IfEEEEjNS9_4plusIvEENS9_8equal_toIvEEjEE10hipError_tPvRmT2_T3_T4_T5_mT6_T7_P12ihipStream_tbENKUlT_T0_E_clISt17integral_constantIbLb1EES12_IbLb0EEEEDaSY_SZ_EUlSY_E_NS1_11comp_targetILNS1_3genE3ELNS1_11target_archE908ELNS1_3gpuE7ELNS1_3repE0EEENS1_30default_config_static_selectorELNS0_4arch9wavefront6targetE0EEEvT1_: ; @_ZN7rocprim17ROCPRIM_400000_NS6detail17trampoline_kernelINS0_14default_configENS1_27scan_by_key_config_selectorIijEEZZNS1_16scan_by_key_implILNS1_25lookback_scan_determinismE0ELb0ES3_N6thrust23THRUST_200600_302600_NS6detail15normal_iteratorINS9_10device_ptrIiEEEENSB_INSC_IjEEEENSB_INSC_IfEEEEjNS9_4plusIvEENS9_8equal_toIvEEjEE10hipError_tPvRmT2_T3_T4_T5_mT6_T7_P12ihipStream_tbENKUlT_T0_E_clISt17integral_constantIbLb1EES12_IbLb0EEEEDaSY_SZ_EUlSY_E_NS1_11comp_targetILNS1_3genE3ELNS1_11target_archE908ELNS1_3gpuE7ELNS1_3repE0EEENS1_30default_config_static_selectorELNS0_4arch9wavefront6targetE0EEEvT1_
; %bb.0:
	.section	.rodata,"a",@progbits
	.p2align	6, 0x0
	.amdhsa_kernel _ZN7rocprim17ROCPRIM_400000_NS6detail17trampoline_kernelINS0_14default_configENS1_27scan_by_key_config_selectorIijEEZZNS1_16scan_by_key_implILNS1_25lookback_scan_determinismE0ELb0ES3_N6thrust23THRUST_200600_302600_NS6detail15normal_iteratorINS9_10device_ptrIiEEEENSB_INSC_IjEEEENSB_INSC_IfEEEEjNS9_4plusIvEENS9_8equal_toIvEEjEE10hipError_tPvRmT2_T3_T4_T5_mT6_T7_P12ihipStream_tbENKUlT_T0_E_clISt17integral_constantIbLb1EES12_IbLb0EEEEDaSY_SZ_EUlSY_E_NS1_11comp_targetILNS1_3genE3ELNS1_11target_archE908ELNS1_3gpuE7ELNS1_3repE0EEENS1_30default_config_static_selectorELNS0_4arch9wavefront6targetE0EEEvT1_
		.amdhsa_group_segment_fixed_size 0
		.amdhsa_private_segment_fixed_size 0
		.amdhsa_kernarg_size 112
		.amdhsa_user_sgpr_count 6
		.amdhsa_user_sgpr_private_segment_buffer 1
		.amdhsa_user_sgpr_dispatch_ptr 0
		.amdhsa_user_sgpr_queue_ptr 0
		.amdhsa_user_sgpr_kernarg_segment_ptr 1
		.amdhsa_user_sgpr_dispatch_id 0
		.amdhsa_user_sgpr_flat_scratch_init 0
		.amdhsa_user_sgpr_private_segment_size 0
		.amdhsa_wavefront_size32 1
		.amdhsa_uses_dynamic_stack 0
		.amdhsa_system_sgpr_private_segment_wavefront_offset 0
		.amdhsa_system_sgpr_workgroup_id_x 1
		.amdhsa_system_sgpr_workgroup_id_y 0
		.amdhsa_system_sgpr_workgroup_id_z 0
		.amdhsa_system_sgpr_workgroup_info 0
		.amdhsa_system_vgpr_workitem_id 0
		.amdhsa_next_free_vgpr 1
		.amdhsa_next_free_sgpr 1
		.amdhsa_reserve_vcc 0
		.amdhsa_reserve_flat_scratch 0
		.amdhsa_float_round_mode_32 0
		.amdhsa_float_round_mode_16_64 0
		.amdhsa_float_denorm_mode_32 3
		.amdhsa_float_denorm_mode_16_64 3
		.amdhsa_dx10_clamp 1
		.amdhsa_ieee_mode 1
		.amdhsa_fp16_overflow 0
		.amdhsa_workgroup_processor_mode 1
		.amdhsa_memory_ordered 1
		.amdhsa_forward_progress 1
		.amdhsa_shared_vgpr_count 0
		.amdhsa_exception_fp_ieee_invalid_op 0
		.amdhsa_exception_fp_denorm_src 0
		.amdhsa_exception_fp_ieee_div_zero 0
		.amdhsa_exception_fp_ieee_overflow 0
		.amdhsa_exception_fp_ieee_underflow 0
		.amdhsa_exception_fp_ieee_inexact 0
		.amdhsa_exception_int_div_zero 0
	.end_amdhsa_kernel
	.section	.text._ZN7rocprim17ROCPRIM_400000_NS6detail17trampoline_kernelINS0_14default_configENS1_27scan_by_key_config_selectorIijEEZZNS1_16scan_by_key_implILNS1_25lookback_scan_determinismE0ELb0ES3_N6thrust23THRUST_200600_302600_NS6detail15normal_iteratorINS9_10device_ptrIiEEEENSB_INSC_IjEEEENSB_INSC_IfEEEEjNS9_4plusIvEENS9_8equal_toIvEEjEE10hipError_tPvRmT2_T3_T4_T5_mT6_T7_P12ihipStream_tbENKUlT_T0_E_clISt17integral_constantIbLb1EES12_IbLb0EEEEDaSY_SZ_EUlSY_E_NS1_11comp_targetILNS1_3genE3ELNS1_11target_archE908ELNS1_3gpuE7ELNS1_3repE0EEENS1_30default_config_static_selectorELNS0_4arch9wavefront6targetE0EEEvT1_,"axG",@progbits,_ZN7rocprim17ROCPRIM_400000_NS6detail17trampoline_kernelINS0_14default_configENS1_27scan_by_key_config_selectorIijEEZZNS1_16scan_by_key_implILNS1_25lookback_scan_determinismE0ELb0ES3_N6thrust23THRUST_200600_302600_NS6detail15normal_iteratorINS9_10device_ptrIiEEEENSB_INSC_IjEEEENSB_INSC_IfEEEEjNS9_4plusIvEENS9_8equal_toIvEEjEE10hipError_tPvRmT2_T3_T4_T5_mT6_T7_P12ihipStream_tbENKUlT_T0_E_clISt17integral_constantIbLb1EES12_IbLb0EEEEDaSY_SZ_EUlSY_E_NS1_11comp_targetILNS1_3genE3ELNS1_11target_archE908ELNS1_3gpuE7ELNS1_3repE0EEENS1_30default_config_static_selectorELNS0_4arch9wavefront6targetE0EEEvT1_,comdat
.Lfunc_end1666:
	.size	_ZN7rocprim17ROCPRIM_400000_NS6detail17trampoline_kernelINS0_14default_configENS1_27scan_by_key_config_selectorIijEEZZNS1_16scan_by_key_implILNS1_25lookback_scan_determinismE0ELb0ES3_N6thrust23THRUST_200600_302600_NS6detail15normal_iteratorINS9_10device_ptrIiEEEENSB_INSC_IjEEEENSB_INSC_IfEEEEjNS9_4plusIvEENS9_8equal_toIvEEjEE10hipError_tPvRmT2_T3_T4_T5_mT6_T7_P12ihipStream_tbENKUlT_T0_E_clISt17integral_constantIbLb1EES12_IbLb0EEEEDaSY_SZ_EUlSY_E_NS1_11comp_targetILNS1_3genE3ELNS1_11target_archE908ELNS1_3gpuE7ELNS1_3repE0EEENS1_30default_config_static_selectorELNS0_4arch9wavefront6targetE0EEEvT1_, .Lfunc_end1666-_ZN7rocprim17ROCPRIM_400000_NS6detail17trampoline_kernelINS0_14default_configENS1_27scan_by_key_config_selectorIijEEZZNS1_16scan_by_key_implILNS1_25lookback_scan_determinismE0ELb0ES3_N6thrust23THRUST_200600_302600_NS6detail15normal_iteratorINS9_10device_ptrIiEEEENSB_INSC_IjEEEENSB_INSC_IfEEEEjNS9_4plusIvEENS9_8equal_toIvEEjEE10hipError_tPvRmT2_T3_T4_T5_mT6_T7_P12ihipStream_tbENKUlT_T0_E_clISt17integral_constantIbLb1EES12_IbLb0EEEEDaSY_SZ_EUlSY_E_NS1_11comp_targetILNS1_3genE3ELNS1_11target_archE908ELNS1_3gpuE7ELNS1_3repE0EEENS1_30default_config_static_selectorELNS0_4arch9wavefront6targetE0EEEvT1_
                                        ; -- End function
	.set _ZN7rocprim17ROCPRIM_400000_NS6detail17trampoline_kernelINS0_14default_configENS1_27scan_by_key_config_selectorIijEEZZNS1_16scan_by_key_implILNS1_25lookback_scan_determinismE0ELb0ES3_N6thrust23THRUST_200600_302600_NS6detail15normal_iteratorINS9_10device_ptrIiEEEENSB_INSC_IjEEEENSB_INSC_IfEEEEjNS9_4plusIvEENS9_8equal_toIvEEjEE10hipError_tPvRmT2_T3_T4_T5_mT6_T7_P12ihipStream_tbENKUlT_T0_E_clISt17integral_constantIbLb1EES12_IbLb0EEEEDaSY_SZ_EUlSY_E_NS1_11comp_targetILNS1_3genE3ELNS1_11target_archE908ELNS1_3gpuE7ELNS1_3repE0EEENS1_30default_config_static_selectorELNS0_4arch9wavefront6targetE0EEEvT1_.num_vgpr, 0
	.set _ZN7rocprim17ROCPRIM_400000_NS6detail17trampoline_kernelINS0_14default_configENS1_27scan_by_key_config_selectorIijEEZZNS1_16scan_by_key_implILNS1_25lookback_scan_determinismE0ELb0ES3_N6thrust23THRUST_200600_302600_NS6detail15normal_iteratorINS9_10device_ptrIiEEEENSB_INSC_IjEEEENSB_INSC_IfEEEEjNS9_4plusIvEENS9_8equal_toIvEEjEE10hipError_tPvRmT2_T3_T4_T5_mT6_T7_P12ihipStream_tbENKUlT_T0_E_clISt17integral_constantIbLb1EES12_IbLb0EEEEDaSY_SZ_EUlSY_E_NS1_11comp_targetILNS1_3genE3ELNS1_11target_archE908ELNS1_3gpuE7ELNS1_3repE0EEENS1_30default_config_static_selectorELNS0_4arch9wavefront6targetE0EEEvT1_.num_agpr, 0
	.set _ZN7rocprim17ROCPRIM_400000_NS6detail17trampoline_kernelINS0_14default_configENS1_27scan_by_key_config_selectorIijEEZZNS1_16scan_by_key_implILNS1_25lookback_scan_determinismE0ELb0ES3_N6thrust23THRUST_200600_302600_NS6detail15normal_iteratorINS9_10device_ptrIiEEEENSB_INSC_IjEEEENSB_INSC_IfEEEEjNS9_4plusIvEENS9_8equal_toIvEEjEE10hipError_tPvRmT2_T3_T4_T5_mT6_T7_P12ihipStream_tbENKUlT_T0_E_clISt17integral_constantIbLb1EES12_IbLb0EEEEDaSY_SZ_EUlSY_E_NS1_11comp_targetILNS1_3genE3ELNS1_11target_archE908ELNS1_3gpuE7ELNS1_3repE0EEENS1_30default_config_static_selectorELNS0_4arch9wavefront6targetE0EEEvT1_.numbered_sgpr, 0
	.set _ZN7rocprim17ROCPRIM_400000_NS6detail17trampoline_kernelINS0_14default_configENS1_27scan_by_key_config_selectorIijEEZZNS1_16scan_by_key_implILNS1_25lookback_scan_determinismE0ELb0ES3_N6thrust23THRUST_200600_302600_NS6detail15normal_iteratorINS9_10device_ptrIiEEEENSB_INSC_IjEEEENSB_INSC_IfEEEEjNS9_4plusIvEENS9_8equal_toIvEEjEE10hipError_tPvRmT2_T3_T4_T5_mT6_T7_P12ihipStream_tbENKUlT_T0_E_clISt17integral_constantIbLb1EES12_IbLb0EEEEDaSY_SZ_EUlSY_E_NS1_11comp_targetILNS1_3genE3ELNS1_11target_archE908ELNS1_3gpuE7ELNS1_3repE0EEENS1_30default_config_static_selectorELNS0_4arch9wavefront6targetE0EEEvT1_.num_named_barrier, 0
	.set _ZN7rocprim17ROCPRIM_400000_NS6detail17trampoline_kernelINS0_14default_configENS1_27scan_by_key_config_selectorIijEEZZNS1_16scan_by_key_implILNS1_25lookback_scan_determinismE0ELb0ES3_N6thrust23THRUST_200600_302600_NS6detail15normal_iteratorINS9_10device_ptrIiEEEENSB_INSC_IjEEEENSB_INSC_IfEEEEjNS9_4plusIvEENS9_8equal_toIvEEjEE10hipError_tPvRmT2_T3_T4_T5_mT6_T7_P12ihipStream_tbENKUlT_T0_E_clISt17integral_constantIbLb1EES12_IbLb0EEEEDaSY_SZ_EUlSY_E_NS1_11comp_targetILNS1_3genE3ELNS1_11target_archE908ELNS1_3gpuE7ELNS1_3repE0EEENS1_30default_config_static_selectorELNS0_4arch9wavefront6targetE0EEEvT1_.private_seg_size, 0
	.set _ZN7rocprim17ROCPRIM_400000_NS6detail17trampoline_kernelINS0_14default_configENS1_27scan_by_key_config_selectorIijEEZZNS1_16scan_by_key_implILNS1_25lookback_scan_determinismE0ELb0ES3_N6thrust23THRUST_200600_302600_NS6detail15normal_iteratorINS9_10device_ptrIiEEEENSB_INSC_IjEEEENSB_INSC_IfEEEEjNS9_4plusIvEENS9_8equal_toIvEEjEE10hipError_tPvRmT2_T3_T4_T5_mT6_T7_P12ihipStream_tbENKUlT_T0_E_clISt17integral_constantIbLb1EES12_IbLb0EEEEDaSY_SZ_EUlSY_E_NS1_11comp_targetILNS1_3genE3ELNS1_11target_archE908ELNS1_3gpuE7ELNS1_3repE0EEENS1_30default_config_static_selectorELNS0_4arch9wavefront6targetE0EEEvT1_.uses_vcc, 0
	.set _ZN7rocprim17ROCPRIM_400000_NS6detail17trampoline_kernelINS0_14default_configENS1_27scan_by_key_config_selectorIijEEZZNS1_16scan_by_key_implILNS1_25lookback_scan_determinismE0ELb0ES3_N6thrust23THRUST_200600_302600_NS6detail15normal_iteratorINS9_10device_ptrIiEEEENSB_INSC_IjEEEENSB_INSC_IfEEEEjNS9_4plusIvEENS9_8equal_toIvEEjEE10hipError_tPvRmT2_T3_T4_T5_mT6_T7_P12ihipStream_tbENKUlT_T0_E_clISt17integral_constantIbLb1EES12_IbLb0EEEEDaSY_SZ_EUlSY_E_NS1_11comp_targetILNS1_3genE3ELNS1_11target_archE908ELNS1_3gpuE7ELNS1_3repE0EEENS1_30default_config_static_selectorELNS0_4arch9wavefront6targetE0EEEvT1_.uses_flat_scratch, 0
	.set _ZN7rocprim17ROCPRIM_400000_NS6detail17trampoline_kernelINS0_14default_configENS1_27scan_by_key_config_selectorIijEEZZNS1_16scan_by_key_implILNS1_25lookback_scan_determinismE0ELb0ES3_N6thrust23THRUST_200600_302600_NS6detail15normal_iteratorINS9_10device_ptrIiEEEENSB_INSC_IjEEEENSB_INSC_IfEEEEjNS9_4plusIvEENS9_8equal_toIvEEjEE10hipError_tPvRmT2_T3_T4_T5_mT6_T7_P12ihipStream_tbENKUlT_T0_E_clISt17integral_constantIbLb1EES12_IbLb0EEEEDaSY_SZ_EUlSY_E_NS1_11comp_targetILNS1_3genE3ELNS1_11target_archE908ELNS1_3gpuE7ELNS1_3repE0EEENS1_30default_config_static_selectorELNS0_4arch9wavefront6targetE0EEEvT1_.has_dyn_sized_stack, 0
	.set _ZN7rocprim17ROCPRIM_400000_NS6detail17trampoline_kernelINS0_14default_configENS1_27scan_by_key_config_selectorIijEEZZNS1_16scan_by_key_implILNS1_25lookback_scan_determinismE0ELb0ES3_N6thrust23THRUST_200600_302600_NS6detail15normal_iteratorINS9_10device_ptrIiEEEENSB_INSC_IjEEEENSB_INSC_IfEEEEjNS9_4plusIvEENS9_8equal_toIvEEjEE10hipError_tPvRmT2_T3_T4_T5_mT6_T7_P12ihipStream_tbENKUlT_T0_E_clISt17integral_constantIbLb1EES12_IbLb0EEEEDaSY_SZ_EUlSY_E_NS1_11comp_targetILNS1_3genE3ELNS1_11target_archE908ELNS1_3gpuE7ELNS1_3repE0EEENS1_30default_config_static_selectorELNS0_4arch9wavefront6targetE0EEEvT1_.has_recursion, 0
	.set _ZN7rocprim17ROCPRIM_400000_NS6detail17trampoline_kernelINS0_14default_configENS1_27scan_by_key_config_selectorIijEEZZNS1_16scan_by_key_implILNS1_25lookback_scan_determinismE0ELb0ES3_N6thrust23THRUST_200600_302600_NS6detail15normal_iteratorINS9_10device_ptrIiEEEENSB_INSC_IjEEEENSB_INSC_IfEEEEjNS9_4plusIvEENS9_8equal_toIvEEjEE10hipError_tPvRmT2_T3_T4_T5_mT6_T7_P12ihipStream_tbENKUlT_T0_E_clISt17integral_constantIbLb1EES12_IbLb0EEEEDaSY_SZ_EUlSY_E_NS1_11comp_targetILNS1_3genE3ELNS1_11target_archE908ELNS1_3gpuE7ELNS1_3repE0EEENS1_30default_config_static_selectorELNS0_4arch9wavefront6targetE0EEEvT1_.has_indirect_call, 0
	.section	.AMDGPU.csdata,"",@progbits
; Kernel info:
; codeLenInByte = 0
; TotalNumSgprs: 0
; NumVgprs: 0
; ScratchSize: 0
; MemoryBound: 0
; FloatMode: 240
; IeeeMode: 1
; LDSByteSize: 0 bytes/workgroup (compile time only)
; SGPRBlocks: 0
; VGPRBlocks: 0
; NumSGPRsForWavesPerEU: 1
; NumVGPRsForWavesPerEU: 1
; Occupancy: 16
; WaveLimiterHint : 0
; COMPUTE_PGM_RSRC2:SCRATCH_EN: 0
; COMPUTE_PGM_RSRC2:USER_SGPR: 6
; COMPUTE_PGM_RSRC2:TRAP_HANDLER: 0
; COMPUTE_PGM_RSRC2:TGID_X_EN: 1
; COMPUTE_PGM_RSRC2:TGID_Y_EN: 0
; COMPUTE_PGM_RSRC2:TGID_Z_EN: 0
; COMPUTE_PGM_RSRC2:TIDIG_COMP_CNT: 0
	.section	.text._ZN7rocprim17ROCPRIM_400000_NS6detail17trampoline_kernelINS0_14default_configENS1_27scan_by_key_config_selectorIijEEZZNS1_16scan_by_key_implILNS1_25lookback_scan_determinismE0ELb0ES3_N6thrust23THRUST_200600_302600_NS6detail15normal_iteratorINS9_10device_ptrIiEEEENSB_INSC_IjEEEENSB_INSC_IfEEEEjNS9_4plusIvEENS9_8equal_toIvEEjEE10hipError_tPvRmT2_T3_T4_T5_mT6_T7_P12ihipStream_tbENKUlT_T0_E_clISt17integral_constantIbLb1EES12_IbLb0EEEEDaSY_SZ_EUlSY_E_NS1_11comp_targetILNS1_3genE2ELNS1_11target_archE906ELNS1_3gpuE6ELNS1_3repE0EEENS1_30default_config_static_selectorELNS0_4arch9wavefront6targetE0EEEvT1_,"axG",@progbits,_ZN7rocprim17ROCPRIM_400000_NS6detail17trampoline_kernelINS0_14default_configENS1_27scan_by_key_config_selectorIijEEZZNS1_16scan_by_key_implILNS1_25lookback_scan_determinismE0ELb0ES3_N6thrust23THRUST_200600_302600_NS6detail15normal_iteratorINS9_10device_ptrIiEEEENSB_INSC_IjEEEENSB_INSC_IfEEEEjNS9_4plusIvEENS9_8equal_toIvEEjEE10hipError_tPvRmT2_T3_T4_T5_mT6_T7_P12ihipStream_tbENKUlT_T0_E_clISt17integral_constantIbLb1EES12_IbLb0EEEEDaSY_SZ_EUlSY_E_NS1_11comp_targetILNS1_3genE2ELNS1_11target_archE906ELNS1_3gpuE6ELNS1_3repE0EEENS1_30default_config_static_selectorELNS0_4arch9wavefront6targetE0EEEvT1_,comdat
	.protected	_ZN7rocprim17ROCPRIM_400000_NS6detail17trampoline_kernelINS0_14default_configENS1_27scan_by_key_config_selectorIijEEZZNS1_16scan_by_key_implILNS1_25lookback_scan_determinismE0ELb0ES3_N6thrust23THRUST_200600_302600_NS6detail15normal_iteratorINS9_10device_ptrIiEEEENSB_INSC_IjEEEENSB_INSC_IfEEEEjNS9_4plusIvEENS9_8equal_toIvEEjEE10hipError_tPvRmT2_T3_T4_T5_mT6_T7_P12ihipStream_tbENKUlT_T0_E_clISt17integral_constantIbLb1EES12_IbLb0EEEEDaSY_SZ_EUlSY_E_NS1_11comp_targetILNS1_3genE2ELNS1_11target_archE906ELNS1_3gpuE6ELNS1_3repE0EEENS1_30default_config_static_selectorELNS0_4arch9wavefront6targetE0EEEvT1_ ; -- Begin function _ZN7rocprim17ROCPRIM_400000_NS6detail17trampoline_kernelINS0_14default_configENS1_27scan_by_key_config_selectorIijEEZZNS1_16scan_by_key_implILNS1_25lookback_scan_determinismE0ELb0ES3_N6thrust23THRUST_200600_302600_NS6detail15normal_iteratorINS9_10device_ptrIiEEEENSB_INSC_IjEEEENSB_INSC_IfEEEEjNS9_4plusIvEENS9_8equal_toIvEEjEE10hipError_tPvRmT2_T3_T4_T5_mT6_T7_P12ihipStream_tbENKUlT_T0_E_clISt17integral_constantIbLb1EES12_IbLb0EEEEDaSY_SZ_EUlSY_E_NS1_11comp_targetILNS1_3genE2ELNS1_11target_archE906ELNS1_3gpuE6ELNS1_3repE0EEENS1_30default_config_static_selectorELNS0_4arch9wavefront6targetE0EEEvT1_
	.globl	_ZN7rocprim17ROCPRIM_400000_NS6detail17trampoline_kernelINS0_14default_configENS1_27scan_by_key_config_selectorIijEEZZNS1_16scan_by_key_implILNS1_25lookback_scan_determinismE0ELb0ES3_N6thrust23THRUST_200600_302600_NS6detail15normal_iteratorINS9_10device_ptrIiEEEENSB_INSC_IjEEEENSB_INSC_IfEEEEjNS9_4plusIvEENS9_8equal_toIvEEjEE10hipError_tPvRmT2_T3_T4_T5_mT6_T7_P12ihipStream_tbENKUlT_T0_E_clISt17integral_constantIbLb1EES12_IbLb0EEEEDaSY_SZ_EUlSY_E_NS1_11comp_targetILNS1_3genE2ELNS1_11target_archE906ELNS1_3gpuE6ELNS1_3repE0EEENS1_30default_config_static_selectorELNS0_4arch9wavefront6targetE0EEEvT1_
	.p2align	8
	.type	_ZN7rocprim17ROCPRIM_400000_NS6detail17trampoline_kernelINS0_14default_configENS1_27scan_by_key_config_selectorIijEEZZNS1_16scan_by_key_implILNS1_25lookback_scan_determinismE0ELb0ES3_N6thrust23THRUST_200600_302600_NS6detail15normal_iteratorINS9_10device_ptrIiEEEENSB_INSC_IjEEEENSB_INSC_IfEEEEjNS9_4plusIvEENS9_8equal_toIvEEjEE10hipError_tPvRmT2_T3_T4_T5_mT6_T7_P12ihipStream_tbENKUlT_T0_E_clISt17integral_constantIbLb1EES12_IbLb0EEEEDaSY_SZ_EUlSY_E_NS1_11comp_targetILNS1_3genE2ELNS1_11target_archE906ELNS1_3gpuE6ELNS1_3repE0EEENS1_30default_config_static_selectorELNS0_4arch9wavefront6targetE0EEEvT1_,@function
_ZN7rocprim17ROCPRIM_400000_NS6detail17trampoline_kernelINS0_14default_configENS1_27scan_by_key_config_selectorIijEEZZNS1_16scan_by_key_implILNS1_25lookback_scan_determinismE0ELb0ES3_N6thrust23THRUST_200600_302600_NS6detail15normal_iteratorINS9_10device_ptrIiEEEENSB_INSC_IjEEEENSB_INSC_IfEEEEjNS9_4plusIvEENS9_8equal_toIvEEjEE10hipError_tPvRmT2_T3_T4_T5_mT6_T7_P12ihipStream_tbENKUlT_T0_E_clISt17integral_constantIbLb1EES12_IbLb0EEEEDaSY_SZ_EUlSY_E_NS1_11comp_targetILNS1_3genE2ELNS1_11target_archE906ELNS1_3gpuE6ELNS1_3repE0EEENS1_30default_config_static_selectorELNS0_4arch9wavefront6targetE0EEEvT1_: ; @_ZN7rocprim17ROCPRIM_400000_NS6detail17trampoline_kernelINS0_14default_configENS1_27scan_by_key_config_selectorIijEEZZNS1_16scan_by_key_implILNS1_25lookback_scan_determinismE0ELb0ES3_N6thrust23THRUST_200600_302600_NS6detail15normal_iteratorINS9_10device_ptrIiEEEENSB_INSC_IjEEEENSB_INSC_IfEEEEjNS9_4plusIvEENS9_8equal_toIvEEjEE10hipError_tPvRmT2_T3_T4_T5_mT6_T7_P12ihipStream_tbENKUlT_T0_E_clISt17integral_constantIbLb1EES12_IbLb0EEEEDaSY_SZ_EUlSY_E_NS1_11comp_targetILNS1_3genE2ELNS1_11target_archE906ELNS1_3gpuE6ELNS1_3repE0EEENS1_30default_config_static_selectorELNS0_4arch9wavefront6targetE0EEEvT1_
; %bb.0:
	.section	.rodata,"a",@progbits
	.p2align	6, 0x0
	.amdhsa_kernel _ZN7rocprim17ROCPRIM_400000_NS6detail17trampoline_kernelINS0_14default_configENS1_27scan_by_key_config_selectorIijEEZZNS1_16scan_by_key_implILNS1_25lookback_scan_determinismE0ELb0ES3_N6thrust23THRUST_200600_302600_NS6detail15normal_iteratorINS9_10device_ptrIiEEEENSB_INSC_IjEEEENSB_INSC_IfEEEEjNS9_4plusIvEENS9_8equal_toIvEEjEE10hipError_tPvRmT2_T3_T4_T5_mT6_T7_P12ihipStream_tbENKUlT_T0_E_clISt17integral_constantIbLb1EES12_IbLb0EEEEDaSY_SZ_EUlSY_E_NS1_11comp_targetILNS1_3genE2ELNS1_11target_archE906ELNS1_3gpuE6ELNS1_3repE0EEENS1_30default_config_static_selectorELNS0_4arch9wavefront6targetE0EEEvT1_
		.amdhsa_group_segment_fixed_size 0
		.amdhsa_private_segment_fixed_size 0
		.amdhsa_kernarg_size 112
		.amdhsa_user_sgpr_count 6
		.amdhsa_user_sgpr_private_segment_buffer 1
		.amdhsa_user_sgpr_dispatch_ptr 0
		.amdhsa_user_sgpr_queue_ptr 0
		.amdhsa_user_sgpr_kernarg_segment_ptr 1
		.amdhsa_user_sgpr_dispatch_id 0
		.amdhsa_user_sgpr_flat_scratch_init 0
		.amdhsa_user_sgpr_private_segment_size 0
		.amdhsa_wavefront_size32 1
		.amdhsa_uses_dynamic_stack 0
		.amdhsa_system_sgpr_private_segment_wavefront_offset 0
		.amdhsa_system_sgpr_workgroup_id_x 1
		.amdhsa_system_sgpr_workgroup_id_y 0
		.amdhsa_system_sgpr_workgroup_id_z 0
		.amdhsa_system_sgpr_workgroup_info 0
		.amdhsa_system_vgpr_workitem_id 0
		.amdhsa_next_free_vgpr 1
		.amdhsa_next_free_sgpr 1
		.amdhsa_reserve_vcc 0
		.amdhsa_reserve_flat_scratch 0
		.amdhsa_float_round_mode_32 0
		.amdhsa_float_round_mode_16_64 0
		.amdhsa_float_denorm_mode_32 3
		.amdhsa_float_denorm_mode_16_64 3
		.amdhsa_dx10_clamp 1
		.amdhsa_ieee_mode 1
		.amdhsa_fp16_overflow 0
		.amdhsa_workgroup_processor_mode 1
		.amdhsa_memory_ordered 1
		.amdhsa_forward_progress 1
		.amdhsa_shared_vgpr_count 0
		.amdhsa_exception_fp_ieee_invalid_op 0
		.amdhsa_exception_fp_denorm_src 0
		.amdhsa_exception_fp_ieee_div_zero 0
		.amdhsa_exception_fp_ieee_overflow 0
		.amdhsa_exception_fp_ieee_underflow 0
		.amdhsa_exception_fp_ieee_inexact 0
		.amdhsa_exception_int_div_zero 0
	.end_amdhsa_kernel
	.section	.text._ZN7rocprim17ROCPRIM_400000_NS6detail17trampoline_kernelINS0_14default_configENS1_27scan_by_key_config_selectorIijEEZZNS1_16scan_by_key_implILNS1_25lookback_scan_determinismE0ELb0ES3_N6thrust23THRUST_200600_302600_NS6detail15normal_iteratorINS9_10device_ptrIiEEEENSB_INSC_IjEEEENSB_INSC_IfEEEEjNS9_4plusIvEENS9_8equal_toIvEEjEE10hipError_tPvRmT2_T3_T4_T5_mT6_T7_P12ihipStream_tbENKUlT_T0_E_clISt17integral_constantIbLb1EES12_IbLb0EEEEDaSY_SZ_EUlSY_E_NS1_11comp_targetILNS1_3genE2ELNS1_11target_archE906ELNS1_3gpuE6ELNS1_3repE0EEENS1_30default_config_static_selectorELNS0_4arch9wavefront6targetE0EEEvT1_,"axG",@progbits,_ZN7rocprim17ROCPRIM_400000_NS6detail17trampoline_kernelINS0_14default_configENS1_27scan_by_key_config_selectorIijEEZZNS1_16scan_by_key_implILNS1_25lookback_scan_determinismE0ELb0ES3_N6thrust23THRUST_200600_302600_NS6detail15normal_iteratorINS9_10device_ptrIiEEEENSB_INSC_IjEEEENSB_INSC_IfEEEEjNS9_4plusIvEENS9_8equal_toIvEEjEE10hipError_tPvRmT2_T3_T4_T5_mT6_T7_P12ihipStream_tbENKUlT_T0_E_clISt17integral_constantIbLb1EES12_IbLb0EEEEDaSY_SZ_EUlSY_E_NS1_11comp_targetILNS1_3genE2ELNS1_11target_archE906ELNS1_3gpuE6ELNS1_3repE0EEENS1_30default_config_static_selectorELNS0_4arch9wavefront6targetE0EEEvT1_,comdat
.Lfunc_end1667:
	.size	_ZN7rocprim17ROCPRIM_400000_NS6detail17trampoline_kernelINS0_14default_configENS1_27scan_by_key_config_selectorIijEEZZNS1_16scan_by_key_implILNS1_25lookback_scan_determinismE0ELb0ES3_N6thrust23THRUST_200600_302600_NS6detail15normal_iteratorINS9_10device_ptrIiEEEENSB_INSC_IjEEEENSB_INSC_IfEEEEjNS9_4plusIvEENS9_8equal_toIvEEjEE10hipError_tPvRmT2_T3_T4_T5_mT6_T7_P12ihipStream_tbENKUlT_T0_E_clISt17integral_constantIbLb1EES12_IbLb0EEEEDaSY_SZ_EUlSY_E_NS1_11comp_targetILNS1_3genE2ELNS1_11target_archE906ELNS1_3gpuE6ELNS1_3repE0EEENS1_30default_config_static_selectorELNS0_4arch9wavefront6targetE0EEEvT1_, .Lfunc_end1667-_ZN7rocprim17ROCPRIM_400000_NS6detail17trampoline_kernelINS0_14default_configENS1_27scan_by_key_config_selectorIijEEZZNS1_16scan_by_key_implILNS1_25lookback_scan_determinismE0ELb0ES3_N6thrust23THRUST_200600_302600_NS6detail15normal_iteratorINS9_10device_ptrIiEEEENSB_INSC_IjEEEENSB_INSC_IfEEEEjNS9_4plusIvEENS9_8equal_toIvEEjEE10hipError_tPvRmT2_T3_T4_T5_mT6_T7_P12ihipStream_tbENKUlT_T0_E_clISt17integral_constantIbLb1EES12_IbLb0EEEEDaSY_SZ_EUlSY_E_NS1_11comp_targetILNS1_3genE2ELNS1_11target_archE906ELNS1_3gpuE6ELNS1_3repE0EEENS1_30default_config_static_selectorELNS0_4arch9wavefront6targetE0EEEvT1_
                                        ; -- End function
	.set _ZN7rocprim17ROCPRIM_400000_NS6detail17trampoline_kernelINS0_14default_configENS1_27scan_by_key_config_selectorIijEEZZNS1_16scan_by_key_implILNS1_25lookback_scan_determinismE0ELb0ES3_N6thrust23THRUST_200600_302600_NS6detail15normal_iteratorINS9_10device_ptrIiEEEENSB_INSC_IjEEEENSB_INSC_IfEEEEjNS9_4plusIvEENS9_8equal_toIvEEjEE10hipError_tPvRmT2_T3_T4_T5_mT6_T7_P12ihipStream_tbENKUlT_T0_E_clISt17integral_constantIbLb1EES12_IbLb0EEEEDaSY_SZ_EUlSY_E_NS1_11comp_targetILNS1_3genE2ELNS1_11target_archE906ELNS1_3gpuE6ELNS1_3repE0EEENS1_30default_config_static_selectorELNS0_4arch9wavefront6targetE0EEEvT1_.num_vgpr, 0
	.set _ZN7rocprim17ROCPRIM_400000_NS6detail17trampoline_kernelINS0_14default_configENS1_27scan_by_key_config_selectorIijEEZZNS1_16scan_by_key_implILNS1_25lookback_scan_determinismE0ELb0ES3_N6thrust23THRUST_200600_302600_NS6detail15normal_iteratorINS9_10device_ptrIiEEEENSB_INSC_IjEEEENSB_INSC_IfEEEEjNS9_4plusIvEENS9_8equal_toIvEEjEE10hipError_tPvRmT2_T3_T4_T5_mT6_T7_P12ihipStream_tbENKUlT_T0_E_clISt17integral_constantIbLb1EES12_IbLb0EEEEDaSY_SZ_EUlSY_E_NS1_11comp_targetILNS1_3genE2ELNS1_11target_archE906ELNS1_3gpuE6ELNS1_3repE0EEENS1_30default_config_static_selectorELNS0_4arch9wavefront6targetE0EEEvT1_.num_agpr, 0
	.set _ZN7rocprim17ROCPRIM_400000_NS6detail17trampoline_kernelINS0_14default_configENS1_27scan_by_key_config_selectorIijEEZZNS1_16scan_by_key_implILNS1_25lookback_scan_determinismE0ELb0ES3_N6thrust23THRUST_200600_302600_NS6detail15normal_iteratorINS9_10device_ptrIiEEEENSB_INSC_IjEEEENSB_INSC_IfEEEEjNS9_4plusIvEENS9_8equal_toIvEEjEE10hipError_tPvRmT2_T3_T4_T5_mT6_T7_P12ihipStream_tbENKUlT_T0_E_clISt17integral_constantIbLb1EES12_IbLb0EEEEDaSY_SZ_EUlSY_E_NS1_11comp_targetILNS1_3genE2ELNS1_11target_archE906ELNS1_3gpuE6ELNS1_3repE0EEENS1_30default_config_static_selectorELNS0_4arch9wavefront6targetE0EEEvT1_.numbered_sgpr, 0
	.set _ZN7rocprim17ROCPRIM_400000_NS6detail17trampoline_kernelINS0_14default_configENS1_27scan_by_key_config_selectorIijEEZZNS1_16scan_by_key_implILNS1_25lookback_scan_determinismE0ELb0ES3_N6thrust23THRUST_200600_302600_NS6detail15normal_iteratorINS9_10device_ptrIiEEEENSB_INSC_IjEEEENSB_INSC_IfEEEEjNS9_4plusIvEENS9_8equal_toIvEEjEE10hipError_tPvRmT2_T3_T4_T5_mT6_T7_P12ihipStream_tbENKUlT_T0_E_clISt17integral_constantIbLb1EES12_IbLb0EEEEDaSY_SZ_EUlSY_E_NS1_11comp_targetILNS1_3genE2ELNS1_11target_archE906ELNS1_3gpuE6ELNS1_3repE0EEENS1_30default_config_static_selectorELNS0_4arch9wavefront6targetE0EEEvT1_.num_named_barrier, 0
	.set _ZN7rocprim17ROCPRIM_400000_NS6detail17trampoline_kernelINS0_14default_configENS1_27scan_by_key_config_selectorIijEEZZNS1_16scan_by_key_implILNS1_25lookback_scan_determinismE0ELb0ES3_N6thrust23THRUST_200600_302600_NS6detail15normal_iteratorINS9_10device_ptrIiEEEENSB_INSC_IjEEEENSB_INSC_IfEEEEjNS9_4plusIvEENS9_8equal_toIvEEjEE10hipError_tPvRmT2_T3_T4_T5_mT6_T7_P12ihipStream_tbENKUlT_T0_E_clISt17integral_constantIbLb1EES12_IbLb0EEEEDaSY_SZ_EUlSY_E_NS1_11comp_targetILNS1_3genE2ELNS1_11target_archE906ELNS1_3gpuE6ELNS1_3repE0EEENS1_30default_config_static_selectorELNS0_4arch9wavefront6targetE0EEEvT1_.private_seg_size, 0
	.set _ZN7rocprim17ROCPRIM_400000_NS6detail17trampoline_kernelINS0_14default_configENS1_27scan_by_key_config_selectorIijEEZZNS1_16scan_by_key_implILNS1_25lookback_scan_determinismE0ELb0ES3_N6thrust23THRUST_200600_302600_NS6detail15normal_iteratorINS9_10device_ptrIiEEEENSB_INSC_IjEEEENSB_INSC_IfEEEEjNS9_4plusIvEENS9_8equal_toIvEEjEE10hipError_tPvRmT2_T3_T4_T5_mT6_T7_P12ihipStream_tbENKUlT_T0_E_clISt17integral_constantIbLb1EES12_IbLb0EEEEDaSY_SZ_EUlSY_E_NS1_11comp_targetILNS1_3genE2ELNS1_11target_archE906ELNS1_3gpuE6ELNS1_3repE0EEENS1_30default_config_static_selectorELNS0_4arch9wavefront6targetE0EEEvT1_.uses_vcc, 0
	.set _ZN7rocprim17ROCPRIM_400000_NS6detail17trampoline_kernelINS0_14default_configENS1_27scan_by_key_config_selectorIijEEZZNS1_16scan_by_key_implILNS1_25lookback_scan_determinismE0ELb0ES3_N6thrust23THRUST_200600_302600_NS6detail15normal_iteratorINS9_10device_ptrIiEEEENSB_INSC_IjEEEENSB_INSC_IfEEEEjNS9_4plusIvEENS9_8equal_toIvEEjEE10hipError_tPvRmT2_T3_T4_T5_mT6_T7_P12ihipStream_tbENKUlT_T0_E_clISt17integral_constantIbLb1EES12_IbLb0EEEEDaSY_SZ_EUlSY_E_NS1_11comp_targetILNS1_3genE2ELNS1_11target_archE906ELNS1_3gpuE6ELNS1_3repE0EEENS1_30default_config_static_selectorELNS0_4arch9wavefront6targetE0EEEvT1_.uses_flat_scratch, 0
	.set _ZN7rocprim17ROCPRIM_400000_NS6detail17trampoline_kernelINS0_14default_configENS1_27scan_by_key_config_selectorIijEEZZNS1_16scan_by_key_implILNS1_25lookback_scan_determinismE0ELb0ES3_N6thrust23THRUST_200600_302600_NS6detail15normal_iteratorINS9_10device_ptrIiEEEENSB_INSC_IjEEEENSB_INSC_IfEEEEjNS9_4plusIvEENS9_8equal_toIvEEjEE10hipError_tPvRmT2_T3_T4_T5_mT6_T7_P12ihipStream_tbENKUlT_T0_E_clISt17integral_constantIbLb1EES12_IbLb0EEEEDaSY_SZ_EUlSY_E_NS1_11comp_targetILNS1_3genE2ELNS1_11target_archE906ELNS1_3gpuE6ELNS1_3repE0EEENS1_30default_config_static_selectorELNS0_4arch9wavefront6targetE0EEEvT1_.has_dyn_sized_stack, 0
	.set _ZN7rocprim17ROCPRIM_400000_NS6detail17trampoline_kernelINS0_14default_configENS1_27scan_by_key_config_selectorIijEEZZNS1_16scan_by_key_implILNS1_25lookback_scan_determinismE0ELb0ES3_N6thrust23THRUST_200600_302600_NS6detail15normal_iteratorINS9_10device_ptrIiEEEENSB_INSC_IjEEEENSB_INSC_IfEEEEjNS9_4plusIvEENS9_8equal_toIvEEjEE10hipError_tPvRmT2_T3_T4_T5_mT6_T7_P12ihipStream_tbENKUlT_T0_E_clISt17integral_constantIbLb1EES12_IbLb0EEEEDaSY_SZ_EUlSY_E_NS1_11comp_targetILNS1_3genE2ELNS1_11target_archE906ELNS1_3gpuE6ELNS1_3repE0EEENS1_30default_config_static_selectorELNS0_4arch9wavefront6targetE0EEEvT1_.has_recursion, 0
	.set _ZN7rocprim17ROCPRIM_400000_NS6detail17trampoline_kernelINS0_14default_configENS1_27scan_by_key_config_selectorIijEEZZNS1_16scan_by_key_implILNS1_25lookback_scan_determinismE0ELb0ES3_N6thrust23THRUST_200600_302600_NS6detail15normal_iteratorINS9_10device_ptrIiEEEENSB_INSC_IjEEEENSB_INSC_IfEEEEjNS9_4plusIvEENS9_8equal_toIvEEjEE10hipError_tPvRmT2_T3_T4_T5_mT6_T7_P12ihipStream_tbENKUlT_T0_E_clISt17integral_constantIbLb1EES12_IbLb0EEEEDaSY_SZ_EUlSY_E_NS1_11comp_targetILNS1_3genE2ELNS1_11target_archE906ELNS1_3gpuE6ELNS1_3repE0EEENS1_30default_config_static_selectorELNS0_4arch9wavefront6targetE0EEEvT1_.has_indirect_call, 0
	.section	.AMDGPU.csdata,"",@progbits
; Kernel info:
; codeLenInByte = 0
; TotalNumSgprs: 0
; NumVgprs: 0
; ScratchSize: 0
; MemoryBound: 0
; FloatMode: 240
; IeeeMode: 1
; LDSByteSize: 0 bytes/workgroup (compile time only)
; SGPRBlocks: 0
; VGPRBlocks: 0
; NumSGPRsForWavesPerEU: 1
; NumVGPRsForWavesPerEU: 1
; Occupancy: 16
; WaveLimiterHint : 0
; COMPUTE_PGM_RSRC2:SCRATCH_EN: 0
; COMPUTE_PGM_RSRC2:USER_SGPR: 6
; COMPUTE_PGM_RSRC2:TRAP_HANDLER: 0
; COMPUTE_PGM_RSRC2:TGID_X_EN: 1
; COMPUTE_PGM_RSRC2:TGID_Y_EN: 0
; COMPUTE_PGM_RSRC2:TGID_Z_EN: 0
; COMPUTE_PGM_RSRC2:TIDIG_COMP_CNT: 0
	.section	.text._ZN7rocprim17ROCPRIM_400000_NS6detail17trampoline_kernelINS0_14default_configENS1_27scan_by_key_config_selectorIijEEZZNS1_16scan_by_key_implILNS1_25lookback_scan_determinismE0ELb0ES3_N6thrust23THRUST_200600_302600_NS6detail15normal_iteratorINS9_10device_ptrIiEEEENSB_INSC_IjEEEENSB_INSC_IfEEEEjNS9_4plusIvEENS9_8equal_toIvEEjEE10hipError_tPvRmT2_T3_T4_T5_mT6_T7_P12ihipStream_tbENKUlT_T0_E_clISt17integral_constantIbLb1EES12_IbLb0EEEEDaSY_SZ_EUlSY_E_NS1_11comp_targetILNS1_3genE10ELNS1_11target_archE1200ELNS1_3gpuE4ELNS1_3repE0EEENS1_30default_config_static_selectorELNS0_4arch9wavefront6targetE0EEEvT1_,"axG",@progbits,_ZN7rocprim17ROCPRIM_400000_NS6detail17trampoline_kernelINS0_14default_configENS1_27scan_by_key_config_selectorIijEEZZNS1_16scan_by_key_implILNS1_25lookback_scan_determinismE0ELb0ES3_N6thrust23THRUST_200600_302600_NS6detail15normal_iteratorINS9_10device_ptrIiEEEENSB_INSC_IjEEEENSB_INSC_IfEEEEjNS9_4plusIvEENS9_8equal_toIvEEjEE10hipError_tPvRmT2_T3_T4_T5_mT6_T7_P12ihipStream_tbENKUlT_T0_E_clISt17integral_constantIbLb1EES12_IbLb0EEEEDaSY_SZ_EUlSY_E_NS1_11comp_targetILNS1_3genE10ELNS1_11target_archE1200ELNS1_3gpuE4ELNS1_3repE0EEENS1_30default_config_static_selectorELNS0_4arch9wavefront6targetE0EEEvT1_,comdat
	.protected	_ZN7rocprim17ROCPRIM_400000_NS6detail17trampoline_kernelINS0_14default_configENS1_27scan_by_key_config_selectorIijEEZZNS1_16scan_by_key_implILNS1_25lookback_scan_determinismE0ELb0ES3_N6thrust23THRUST_200600_302600_NS6detail15normal_iteratorINS9_10device_ptrIiEEEENSB_INSC_IjEEEENSB_INSC_IfEEEEjNS9_4plusIvEENS9_8equal_toIvEEjEE10hipError_tPvRmT2_T3_T4_T5_mT6_T7_P12ihipStream_tbENKUlT_T0_E_clISt17integral_constantIbLb1EES12_IbLb0EEEEDaSY_SZ_EUlSY_E_NS1_11comp_targetILNS1_3genE10ELNS1_11target_archE1200ELNS1_3gpuE4ELNS1_3repE0EEENS1_30default_config_static_selectorELNS0_4arch9wavefront6targetE0EEEvT1_ ; -- Begin function _ZN7rocprim17ROCPRIM_400000_NS6detail17trampoline_kernelINS0_14default_configENS1_27scan_by_key_config_selectorIijEEZZNS1_16scan_by_key_implILNS1_25lookback_scan_determinismE0ELb0ES3_N6thrust23THRUST_200600_302600_NS6detail15normal_iteratorINS9_10device_ptrIiEEEENSB_INSC_IjEEEENSB_INSC_IfEEEEjNS9_4plusIvEENS9_8equal_toIvEEjEE10hipError_tPvRmT2_T3_T4_T5_mT6_T7_P12ihipStream_tbENKUlT_T0_E_clISt17integral_constantIbLb1EES12_IbLb0EEEEDaSY_SZ_EUlSY_E_NS1_11comp_targetILNS1_3genE10ELNS1_11target_archE1200ELNS1_3gpuE4ELNS1_3repE0EEENS1_30default_config_static_selectorELNS0_4arch9wavefront6targetE0EEEvT1_
	.globl	_ZN7rocprim17ROCPRIM_400000_NS6detail17trampoline_kernelINS0_14default_configENS1_27scan_by_key_config_selectorIijEEZZNS1_16scan_by_key_implILNS1_25lookback_scan_determinismE0ELb0ES3_N6thrust23THRUST_200600_302600_NS6detail15normal_iteratorINS9_10device_ptrIiEEEENSB_INSC_IjEEEENSB_INSC_IfEEEEjNS9_4plusIvEENS9_8equal_toIvEEjEE10hipError_tPvRmT2_T3_T4_T5_mT6_T7_P12ihipStream_tbENKUlT_T0_E_clISt17integral_constantIbLb1EES12_IbLb0EEEEDaSY_SZ_EUlSY_E_NS1_11comp_targetILNS1_3genE10ELNS1_11target_archE1200ELNS1_3gpuE4ELNS1_3repE0EEENS1_30default_config_static_selectorELNS0_4arch9wavefront6targetE0EEEvT1_
	.p2align	8
	.type	_ZN7rocprim17ROCPRIM_400000_NS6detail17trampoline_kernelINS0_14default_configENS1_27scan_by_key_config_selectorIijEEZZNS1_16scan_by_key_implILNS1_25lookback_scan_determinismE0ELb0ES3_N6thrust23THRUST_200600_302600_NS6detail15normal_iteratorINS9_10device_ptrIiEEEENSB_INSC_IjEEEENSB_INSC_IfEEEEjNS9_4plusIvEENS9_8equal_toIvEEjEE10hipError_tPvRmT2_T3_T4_T5_mT6_T7_P12ihipStream_tbENKUlT_T0_E_clISt17integral_constantIbLb1EES12_IbLb0EEEEDaSY_SZ_EUlSY_E_NS1_11comp_targetILNS1_3genE10ELNS1_11target_archE1200ELNS1_3gpuE4ELNS1_3repE0EEENS1_30default_config_static_selectorELNS0_4arch9wavefront6targetE0EEEvT1_,@function
_ZN7rocprim17ROCPRIM_400000_NS6detail17trampoline_kernelINS0_14default_configENS1_27scan_by_key_config_selectorIijEEZZNS1_16scan_by_key_implILNS1_25lookback_scan_determinismE0ELb0ES3_N6thrust23THRUST_200600_302600_NS6detail15normal_iteratorINS9_10device_ptrIiEEEENSB_INSC_IjEEEENSB_INSC_IfEEEEjNS9_4plusIvEENS9_8equal_toIvEEjEE10hipError_tPvRmT2_T3_T4_T5_mT6_T7_P12ihipStream_tbENKUlT_T0_E_clISt17integral_constantIbLb1EES12_IbLb0EEEEDaSY_SZ_EUlSY_E_NS1_11comp_targetILNS1_3genE10ELNS1_11target_archE1200ELNS1_3gpuE4ELNS1_3repE0EEENS1_30default_config_static_selectorELNS0_4arch9wavefront6targetE0EEEvT1_: ; @_ZN7rocprim17ROCPRIM_400000_NS6detail17trampoline_kernelINS0_14default_configENS1_27scan_by_key_config_selectorIijEEZZNS1_16scan_by_key_implILNS1_25lookback_scan_determinismE0ELb0ES3_N6thrust23THRUST_200600_302600_NS6detail15normal_iteratorINS9_10device_ptrIiEEEENSB_INSC_IjEEEENSB_INSC_IfEEEEjNS9_4plusIvEENS9_8equal_toIvEEjEE10hipError_tPvRmT2_T3_T4_T5_mT6_T7_P12ihipStream_tbENKUlT_T0_E_clISt17integral_constantIbLb1EES12_IbLb0EEEEDaSY_SZ_EUlSY_E_NS1_11comp_targetILNS1_3genE10ELNS1_11target_archE1200ELNS1_3gpuE4ELNS1_3repE0EEENS1_30default_config_static_selectorELNS0_4arch9wavefront6targetE0EEEvT1_
; %bb.0:
	.section	.rodata,"a",@progbits
	.p2align	6, 0x0
	.amdhsa_kernel _ZN7rocprim17ROCPRIM_400000_NS6detail17trampoline_kernelINS0_14default_configENS1_27scan_by_key_config_selectorIijEEZZNS1_16scan_by_key_implILNS1_25lookback_scan_determinismE0ELb0ES3_N6thrust23THRUST_200600_302600_NS6detail15normal_iteratorINS9_10device_ptrIiEEEENSB_INSC_IjEEEENSB_INSC_IfEEEEjNS9_4plusIvEENS9_8equal_toIvEEjEE10hipError_tPvRmT2_T3_T4_T5_mT6_T7_P12ihipStream_tbENKUlT_T0_E_clISt17integral_constantIbLb1EES12_IbLb0EEEEDaSY_SZ_EUlSY_E_NS1_11comp_targetILNS1_3genE10ELNS1_11target_archE1200ELNS1_3gpuE4ELNS1_3repE0EEENS1_30default_config_static_selectorELNS0_4arch9wavefront6targetE0EEEvT1_
		.amdhsa_group_segment_fixed_size 0
		.amdhsa_private_segment_fixed_size 0
		.amdhsa_kernarg_size 112
		.amdhsa_user_sgpr_count 6
		.amdhsa_user_sgpr_private_segment_buffer 1
		.amdhsa_user_sgpr_dispatch_ptr 0
		.amdhsa_user_sgpr_queue_ptr 0
		.amdhsa_user_sgpr_kernarg_segment_ptr 1
		.amdhsa_user_sgpr_dispatch_id 0
		.amdhsa_user_sgpr_flat_scratch_init 0
		.amdhsa_user_sgpr_private_segment_size 0
		.amdhsa_wavefront_size32 1
		.amdhsa_uses_dynamic_stack 0
		.amdhsa_system_sgpr_private_segment_wavefront_offset 0
		.amdhsa_system_sgpr_workgroup_id_x 1
		.amdhsa_system_sgpr_workgroup_id_y 0
		.amdhsa_system_sgpr_workgroup_id_z 0
		.amdhsa_system_sgpr_workgroup_info 0
		.amdhsa_system_vgpr_workitem_id 0
		.amdhsa_next_free_vgpr 1
		.amdhsa_next_free_sgpr 1
		.amdhsa_reserve_vcc 0
		.amdhsa_reserve_flat_scratch 0
		.amdhsa_float_round_mode_32 0
		.amdhsa_float_round_mode_16_64 0
		.amdhsa_float_denorm_mode_32 3
		.amdhsa_float_denorm_mode_16_64 3
		.amdhsa_dx10_clamp 1
		.amdhsa_ieee_mode 1
		.amdhsa_fp16_overflow 0
		.amdhsa_workgroup_processor_mode 1
		.amdhsa_memory_ordered 1
		.amdhsa_forward_progress 1
		.amdhsa_shared_vgpr_count 0
		.amdhsa_exception_fp_ieee_invalid_op 0
		.amdhsa_exception_fp_denorm_src 0
		.amdhsa_exception_fp_ieee_div_zero 0
		.amdhsa_exception_fp_ieee_overflow 0
		.amdhsa_exception_fp_ieee_underflow 0
		.amdhsa_exception_fp_ieee_inexact 0
		.amdhsa_exception_int_div_zero 0
	.end_amdhsa_kernel
	.section	.text._ZN7rocprim17ROCPRIM_400000_NS6detail17trampoline_kernelINS0_14default_configENS1_27scan_by_key_config_selectorIijEEZZNS1_16scan_by_key_implILNS1_25lookback_scan_determinismE0ELb0ES3_N6thrust23THRUST_200600_302600_NS6detail15normal_iteratorINS9_10device_ptrIiEEEENSB_INSC_IjEEEENSB_INSC_IfEEEEjNS9_4plusIvEENS9_8equal_toIvEEjEE10hipError_tPvRmT2_T3_T4_T5_mT6_T7_P12ihipStream_tbENKUlT_T0_E_clISt17integral_constantIbLb1EES12_IbLb0EEEEDaSY_SZ_EUlSY_E_NS1_11comp_targetILNS1_3genE10ELNS1_11target_archE1200ELNS1_3gpuE4ELNS1_3repE0EEENS1_30default_config_static_selectorELNS0_4arch9wavefront6targetE0EEEvT1_,"axG",@progbits,_ZN7rocprim17ROCPRIM_400000_NS6detail17trampoline_kernelINS0_14default_configENS1_27scan_by_key_config_selectorIijEEZZNS1_16scan_by_key_implILNS1_25lookback_scan_determinismE0ELb0ES3_N6thrust23THRUST_200600_302600_NS6detail15normal_iteratorINS9_10device_ptrIiEEEENSB_INSC_IjEEEENSB_INSC_IfEEEEjNS9_4plusIvEENS9_8equal_toIvEEjEE10hipError_tPvRmT2_T3_T4_T5_mT6_T7_P12ihipStream_tbENKUlT_T0_E_clISt17integral_constantIbLb1EES12_IbLb0EEEEDaSY_SZ_EUlSY_E_NS1_11comp_targetILNS1_3genE10ELNS1_11target_archE1200ELNS1_3gpuE4ELNS1_3repE0EEENS1_30default_config_static_selectorELNS0_4arch9wavefront6targetE0EEEvT1_,comdat
.Lfunc_end1668:
	.size	_ZN7rocprim17ROCPRIM_400000_NS6detail17trampoline_kernelINS0_14default_configENS1_27scan_by_key_config_selectorIijEEZZNS1_16scan_by_key_implILNS1_25lookback_scan_determinismE0ELb0ES3_N6thrust23THRUST_200600_302600_NS6detail15normal_iteratorINS9_10device_ptrIiEEEENSB_INSC_IjEEEENSB_INSC_IfEEEEjNS9_4plusIvEENS9_8equal_toIvEEjEE10hipError_tPvRmT2_T3_T4_T5_mT6_T7_P12ihipStream_tbENKUlT_T0_E_clISt17integral_constantIbLb1EES12_IbLb0EEEEDaSY_SZ_EUlSY_E_NS1_11comp_targetILNS1_3genE10ELNS1_11target_archE1200ELNS1_3gpuE4ELNS1_3repE0EEENS1_30default_config_static_selectorELNS0_4arch9wavefront6targetE0EEEvT1_, .Lfunc_end1668-_ZN7rocprim17ROCPRIM_400000_NS6detail17trampoline_kernelINS0_14default_configENS1_27scan_by_key_config_selectorIijEEZZNS1_16scan_by_key_implILNS1_25lookback_scan_determinismE0ELb0ES3_N6thrust23THRUST_200600_302600_NS6detail15normal_iteratorINS9_10device_ptrIiEEEENSB_INSC_IjEEEENSB_INSC_IfEEEEjNS9_4plusIvEENS9_8equal_toIvEEjEE10hipError_tPvRmT2_T3_T4_T5_mT6_T7_P12ihipStream_tbENKUlT_T0_E_clISt17integral_constantIbLb1EES12_IbLb0EEEEDaSY_SZ_EUlSY_E_NS1_11comp_targetILNS1_3genE10ELNS1_11target_archE1200ELNS1_3gpuE4ELNS1_3repE0EEENS1_30default_config_static_selectorELNS0_4arch9wavefront6targetE0EEEvT1_
                                        ; -- End function
	.set _ZN7rocprim17ROCPRIM_400000_NS6detail17trampoline_kernelINS0_14default_configENS1_27scan_by_key_config_selectorIijEEZZNS1_16scan_by_key_implILNS1_25lookback_scan_determinismE0ELb0ES3_N6thrust23THRUST_200600_302600_NS6detail15normal_iteratorINS9_10device_ptrIiEEEENSB_INSC_IjEEEENSB_INSC_IfEEEEjNS9_4plusIvEENS9_8equal_toIvEEjEE10hipError_tPvRmT2_T3_T4_T5_mT6_T7_P12ihipStream_tbENKUlT_T0_E_clISt17integral_constantIbLb1EES12_IbLb0EEEEDaSY_SZ_EUlSY_E_NS1_11comp_targetILNS1_3genE10ELNS1_11target_archE1200ELNS1_3gpuE4ELNS1_3repE0EEENS1_30default_config_static_selectorELNS0_4arch9wavefront6targetE0EEEvT1_.num_vgpr, 0
	.set _ZN7rocprim17ROCPRIM_400000_NS6detail17trampoline_kernelINS0_14default_configENS1_27scan_by_key_config_selectorIijEEZZNS1_16scan_by_key_implILNS1_25lookback_scan_determinismE0ELb0ES3_N6thrust23THRUST_200600_302600_NS6detail15normal_iteratorINS9_10device_ptrIiEEEENSB_INSC_IjEEEENSB_INSC_IfEEEEjNS9_4plusIvEENS9_8equal_toIvEEjEE10hipError_tPvRmT2_T3_T4_T5_mT6_T7_P12ihipStream_tbENKUlT_T0_E_clISt17integral_constantIbLb1EES12_IbLb0EEEEDaSY_SZ_EUlSY_E_NS1_11comp_targetILNS1_3genE10ELNS1_11target_archE1200ELNS1_3gpuE4ELNS1_3repE0EEENS1_30default_config_static_selectorELNS0_4arch9wavefront6targetE0EEEvT1_.num_agpr, 0
	.set _ZN7rocprim17ROCPRIM_400000_NS6detail17trampoline_kernelINS0_14default_configENS1_27scan_by_key_config_selectorIijEEZZNS1_16scan_by_key_implILNS1_25lookback_scan_determinismE0ELb0ES3_N6thrust23THRUST_200600_302600_NS6detail15normal_iteratorINS9_10device_ptrIiEEEENSB_INSC_IjEEEENSB_INSC_IfEEEEjNS9_4plusIvEENS9_8equal_toIvEEjEE10hipError_tPvRmT2_T3_T4_T5_mT6_T7_P12ihipStream_tbENKUlT_T0_E_clISt17integral_constantIbLb1EES12_IbLb0EEEEDaSY_SZ_EUlSY_E_NS1_11comp_targetILNS1_3genE10ELNS1_11target_archE1200ELNS1_3gpuE4ELNS1_3repE0EEENS1_30default_config_static_selectorELNS0_4arch9wavefront6targetE0EEEvT1_.numbered_sgpr, 0
	.set _ZN7rocprim17ROCPRIM_400000_NS6detail17trampoline_kernelINS0_14default_configENS1_27scan_by_key_config_selectorIijEEZZNS1_16scan_by_key_implILNS1_25lookback_scan_determinismE0ELb0ES3_N6thrust23THRUST_200600_302600_NS6detail15normal_iteratorINS9_10device_ptrIiEEEENSB_INSC_IjEEEENSB_INSC_IfEEEEjNS9_4plusIvEENS9_8equal_toIvEEjEE10hipError_tPvRmT2_T3_T4_T5_mT6_T7_P12ihipStream_tbENKUlT_T0_E_clISt17integral_constantIbLb1EES12_IbLb0EEEEDaSY_SZ_EUlSY_E_NS1_11comp_targetILNS1_3genE10ELNS1_11target_archE1200ELNS1_3gpuE4ELNS1_3repE0EEENS1_30default_config_static_selectorELNS0_4arch9wavefront6targetE0EEEvT1_.num_named_barrier, 0
	.set _ZN7rocprim17ROCPRIM_400000_NS6detail17trampoline_kernelINS0_14default_configENS1_27scan_by_key_config_selectorIijEEZZNS1_16scan_by_key_implILNS1_25lookback_scan_determinismE0ELb0ES3_N6thrust23THRUST_200600_302600_NS6detail15normal_iteratorINS9_10device_ptrIiEEEENSB_INSC_IjEEEENSB_INSC_IfEEEEjNS9_4plusIvEENS9_8equal_toIvEEjEE10hipError_tPvRmT2_T3_T4_T5_mT6_T7_P12ihipStream_tbENKUlT_T0_E_clISt17integral_constantIbLb1EES12_IbLb0EEEEDaSY_SZ_EUlSY_E_NS1_11comp_targetILNS1_3genE10ELNS1_11target_archE1200ELNS1_3gpuE4ELNS1_3repE0EEENS1_30default_config_static_selectorELNS0_4arch9wavefront6targetE0EEEvT1_.private_seg_size, 0
	.set _ZN7rocprim17ROCPRIM_400000_NS6detail17trampoline_kernelINS0_14default_configENS1_27scan_by_key_config_selectorIijEEZZNS1_16scan_by_key_implILNS1_25lookback_scan_determinismE0ELb0ES3_N6thrust23THRUST_200600_302600_NS6detail15normal_iteratorINS9_10device_ptrIiEEEENSB_INSC_IjEEEENSB_INSC_IfEEEEjNS9_4plusIvEENS9_8equal_toIvEEjEE10hipError_tPvRmT2_T3_T4_T5_mT6_T7_P12ihipStream_tbENKUlT_T0_E_clISt17integral_constantIbLb1EES12_IbLb0EEEEDaSY_SZ_EUlSY_E_NS1_11comp_targetILNS1_3genE10ELNS1_11target_archE1200ELNS1_3gpuE4ELNS1_3repE0EEENS1_30default_config_static_selectorELNS0_4arch9wavefront6targetE0EEEvT1_.uses_vcc, 0
	.set _ZN7rocprim17ROCPRIM_400000_NS6detail17trampoline_kernelINS0_14default_configENS1_27scan_by_key_config_selectorIijEEZZNS1_16scan_by_key_implILNS1_25lookback_scan_determinismE0ELb0ES3_N6thrust23THRUST_200600_302600_NS6detail15normal_iteratorINS9_10device_ptrIiEEEENSB_INSC_IjEEEENSB_INSC_IfEEEEjNS9_4plusIvEENS9_8equal_toIvEEjEE10hipError_tPvRmT2_T3_T4_T5_mT6_T7_P12ihipStream_tbENKUlT_T0_E_clISt17integral_constantIbLb1EES12_IbLb0EEEEDaSY_SZ_EUlSY_E_NS1_11comp_targetILNS1_3genE10ELNS1_11target_archE1200ELNS1_3gpuE4ELNS1_3repE0EEENS1_30default_config_static_selectorELNS0_4arch9wavefront6targetE0EEEvT1_.uses_flat_scratch, 0
	.set _ZN7rocprim17ROCPRIM_400000_NS6detail17trampoline_kernelINS0_14default_configENS1_27scan_by_key_config_selectorIijEEZZNS1_16scan_by_key_implILNS1_25lookback_scan_determinismE0ELb0ES3_N6thrust23THRUST_200600_302600_NS6detail15normal_iteratorINS9_10device_ptrIiEEEENSB_INSC_IjEEEENSB_INSC_IfEEEEjNS9_4plusIvEENS9_8equal_toIvEEjEE10hipError_tPvRmT2_T3_T4_T5_mT6_T7_P12ihipStream_tbENKUlT_T0_E_clISt17integral_constantIbLb1EES12_IbLb0EEEEDaSY_SZ_EUlSY_E_NS1_11comp_targetILNS1_3genE10ELNS1_11target_archE1200ELNS1_3gpuE4ELNS1_3repE0EEENS1_30default_config_static_selectorELNS0_4arch9wavefront6targetE0EEEvT1_.has_dyn_sized_stack, 0
	.set _ZN7rocprim17ROCPRIM_400000_NS6detail17trampoline_kernelINS0_14default_configENS1_27scan_by_key_config_selectorIijEEZZNS1_16scan_by_key_implILNS1_25lookback_scan_determinismE0ELb0ES3_N6thrust23THRUST_200600_302600_NS6detail15normal_iteratorINS9_10device_ptrIiEEEENSB_INSC_IjEEEENSB_INSC_IfEEEEjNS9_4plusIvEENS9_8equal_toIvEEjEE10hipError_tPvRmT2_T3_T4_T5_mT6_T7_P12ihipStream_tbENKUlT_T0_E_clISt17integral_constantIbLb1EES12_IbLb0EEEEDaSY_SZ_EUlSY_E_NS1_11comp_targetILNS1_3genE10ELNS1_11target_archE1200ELNS1_3gpuE4ELNS1_3repE0EEENS1_30default_config_static_selectorELNS0_4arch9wavefront6targetE0EEEvT1_.has_recursion, 0
	.set _ZN7rocprim17ROCPRIM_400000_NS6detail17trampoline_kernelINS0_14default_configENS1_27scan_by_key_config_selectorIijEEZZNS1_16scan_by_key_implILNS1_25lookback_scan_determinismE0ELb0ES3_N6thrust23THRUST_200600_302600_NS6detail15normal_iteratorINS9_10device_ptrIiEEEENSB_INSC_IjEEEENSB_INSC_IfEEEEjNS9_4plusIvEENS9_8equal_toIvEEjEE10hipError_tPvRmT2_T3_T4_T5_mT6_T7_P12ihipStream_tbENKUlT_T0_E_clISt17integral_constantIbLb1EES12_IbLb0EEEEDaSY_SZ_EUlSY_E_NS1_11comp_targetILNS1_3genE10ELNS1_11target_archE1200ELNS1_3gpuE4ELNS1_3repE0EEENS1_30default_config_static_selectorELNS0_4arch9wavefront6targetE0EEEvT1_.has_indirect_call, 0
	.section	.AMDGPU.csdata,"",@progbits
; Kernel info:
; codeLenInByte = 0
; TotalNumSgprs: 0
; NumVgprs: 0
; ScratchSize: 0
; MemoryBound: 0
; FloatMode: 240
; IeeeMode: 1
; LDSByteSize: 0 bytes/workgroup (compile time only)
; SGPRBlocks: 0
; VGPRBlocks: 0
; NumSGPRsForWavesPerEU: 1
; NumVGPRsForWavesPerEU: 1
; Occupancy: 16
; WaveLimiterHint : 0
; COMPUTE_PGM_RSRC2:SCRATCH_EN: 0
; COMPUTE_PGM_RSRC2:USER_SGPR: 6
; COMPUTE_PGM_RSRC2:TRAP_HANDLER: 0
; COMPUTE_PGM_RSRC2:TGID_X_EN: 1
; COMPUTE_PGM_RSRC2:TGID_Y_EN: 0
; COMPUTE_PGM_RSRC2:TGID_Z_EN: 0
; COMPUTE_PGM_RSRC2:TIDIG_COMP_CNT: 0
	.section	.text._ZN7rocprim17ROCPRIM_400000_NS6detail17trampoline_kernelINS0_14default_configENS1_27scan_by_key_config_selectorIijEEZZNS1_16scan_by_key_implILNS1_25lookback_scan_determinismE0ELb0ES3_N6thrust23THRUST_200600_302600_NS6detail15normal_iteratorINS9_10device_ptrIiEEEENSB_INSC_IjEEEENSB_INSC_IfEEEEjNS9_4plusIvEENS9_8equal_toIvEEjEE10hipError_tPvRmT2_T3_T4_T5_mT6_T7_P12ihipStream_tbENKUlT_T0_E_clISt17integral_constantIbLb1EES12_IbLb0EEEEDaSY_SZ_EUlSY_E_NS1_11comp_targetILNS1_3genE9ELNS1_11target_archE1100ELNS1_3gpuE3ELNS1_3repE0EEENS1_30default_config_static_selectorELNS0_4arch9wavefront6targetE0EEEvT1_,"axG",@progbits,_ZN7rocprim17ROCPRIM_400000_NS6detail17trampoline_kernelINS0_14default_configENS1_27scan_by_key_config_selectorIijEEZZNS1_16scan_by_key_implILNS1_25lookback_scan_determinismE0ELb0ES3_N6thrust23THRUST_200600_302600_NS6detail15normal_iteratorINS9_10device_ptrIiEEEENSB_INSC_IjEEEENSB_INSC_IfEEEEjNS9_4plusIvEENS9_8equal_toIvEEjEE10hipError_tPvRmT2_T3_T4_T5_mT6_T7_P12ihipStream_tbENKUlT_T0_E_clISt17integral_constantIbLb1EES12_IbLb0EEEEDaSY_SZ_EUlSY_E_NS1_11comp_targetILNS1_3genE9ELNS1_11target_archE1100ELNS1_3gpuE3ELNS1_3repE0EEENS1_30default_config_static_selectorELNS0_4arch9wavefront6targetE0EEEvT1_,comdat
	.protected	_ZN7rocprim17ROCPRIM_400000_NS6detail17trampoline_kernelINS0_14default_configENS1_27scan_by_key_config_selectorIijEEZZNS1_16scan_by_key_implILNS1_25lookback_scan_determinismE0ELb0ES3_N6thrust23THRUST_200600_302600_NS6detail15normal_iteratorINS9_10device_ptrIiEEEENSB_INSC_IjEEEENSB_INSC_IfEEEEjNS9_4plusIvEENS9_8equal_toIvEEjEE10hipError_tPvRmT2_T3_T4_T5_mT6_T7_P12ihipStream_tbENKUlT_T0_E_clISt17integral_constantIbLb1EES12_IbLb0EEEEDaSY_SZ_EUlSY_E_NS1_11comp_targetILNS1_3genE9ELNS1_11target_archE1100ELNS1_3gpuE3ELNS1_3repE0EEENS1_30default_config_static_selectorELNS0_4arch9wavefront6targetE0EEEvT1_ ; -- Begin function _ZN7rocprim17ROCPRIM_400000_NS6detail17trampoline_kernelINS0_14default_configENS1_27scan_by_key_config_selectorIijEEZZNS1_16scan_by_key_implILNS1_25lookback_scan_determinismE0ELb0ES3_N6thrust23THRUST_200600_302600_NS6detail15normal_iteratorINS9_10device_ptrIiEEEENSB_INSC_IjEEEENSB_INSC_IfEEEEjNS9_4plusIvEENS9_8equal_toIvEEjEE10hipError_tPvRmT2_T3_T4_T5_mT6_T7_P12ihipStream_tbENKUlT_T0_E_clISt17integral_constantIbLb1EES12_IbLb0EEEEDaSY_SZ_EUlSY_E_NS1_11comp_targetILNS1_3genE9ELNS1_11target_archE1100ELNS1_3gpuE3ELNS1_3repE0EEENS1_30default_config_static_selectorELNS0_4arch9wavefront6targetE0EEEvT1_
	.globl	_ZN7rocprim17ROCPRIM_400000_NS6detail17trampoline_kernelINS0_14default_configENS1_27scan_by_key_config_selectorIijEEZZNS1_16scan_by_key_implILNS1_25lookback_scan_determinismE0ELb0ES3_N6thrust23THRUST_200600_302600_NS6detail15normal_iteratorINS9_10device_ptrIiEEEENSB_INSC_IjEEEENSB_INSC_IfEEEEjNS9_4plusIvEENS9_8equal_toIvEEjEE10hipError_tPvRmT2_T3_T4_T5_mT6_T7_P12ihipStream_tbENKUlT_T0_E_clISt17integral_constantIbLb1EES12_IbLb0EEEEDaSY_SZ_EUlSY_E_NS1_11comp_targetILNS1_3genE9ELNS1_11target_archE1100ELNS1_3gpuE3ELNS1_3repE0EEENS1_30default_config_static_selectorELNS0_4arch9wavefront6targetE0EEEvT1_
	.p2align	8
	.type	_ZN7rocprim17ROCPRIM_400000_NS6detail17trampoline_kernelINS0_14default_configENS1_27scan_by_key_config_selectorIijEEZZNS1_16scan_by_key_implILNS1_25lookback_scan_determinismE0ELb0ES3_N6thrust23THRUST_200600_302600_NS6detail15normal_iteratorINS9_10device_ptrIiEEEENSB_INSC_IjEEEENSB_INSC_IfEEEEjNS9_4plusIvEENS9_8equal_toIvEEjEE10hipError_tPvRmT2_T3_T4_T5_mT6_T7_P12ihipStream_tbENKUlT_T0_E_clISt17integral_constantIbLb1EES12_IbLb0EEEEDaSY_SZ_EUlSY_E_NS1_11comp_targetILNS1_3genE9ELNS1_11target_archE1100ELNS1_3gpuE3ELNS1_3repE0EEENS1_30default_config_static_selectorELNS0_4arch9wavefront6targetE0EEEvT1_,@function
_ZN7rocprim17ROCPRIM_400000_NS6detail17trampoline_kernelINS0_14default_configENS1_27scan_by_key_config_selectorIijEEZZNS1_16scan_by_key_implILNS1_25lookback_scan_determinismE0ELb0ES3_N6thrust23THRUST_200600_302600_NS6detail15normal_iteratorINS9_10device_ptrIiEEEENSB_INSC_IjEEEENSB_INSC_IfEEEEjNS9_4plusIvEENS9_8equal_toIvEEjEE10hipError_tPvRmT2_T3_T4_T5_mT6_T7_P12ihipStream_tbENKUlT_T0_E_clISt17integral_constantIbLb1EES12_IbLb0EEEEDaSY_SZ_EUlSY_E_NS1_11comp_targetILNS1_3genE9ELNS1_11target_archE1100ELNS1_3gpuE3ELNS1_3repE0EEENS1_30default_config_static_selectorELNS0_4arch9wavefront6targetE0EEEvT1_: ; @_ZN7rocprim17ROCPRIM_400000_NS6detail17trampoline_kernelINS0_14default_configENS1_27scan_by_key_config_selectorIijEEZZNS1_16scan_by_key_implILNS1_25lookback_scan_determinismE0ELb0ES3_N6thrust23THRUST_200600_302600_NS6detail15normal_iteratorINS9_10device_ptrIiEEEENSB_INSC_IjEEEENSB_INSC_IfEEEEjNS9_4plusIvEENS9_8equal_toIvEEjEE10hipError_tPvRmT2_T3_T4_T5_mT6_T7_P12ihipStream_tbENKUlT_T0_E_clISt17integral_constantIbLb1EES12_IbLb0EEEEDaSY_SZ_EUlSY_E_NS1_11comp_targetILNS1_3genE9ELNS1_11target_archE1100ELNS1_3gpuE3ELNS1_3repE0EEENS1_30default_config_static_selectorELNS0_4arch9wavefront6targetE0EEEvT1_
; %bb.0:
	.section	.rodata,"a",@progbits
	.p2align	6, 0x0
	.amdhsa_kernel _ZN7rocprim17ROCPRIM_400000_NS6detail17trampoline_kernelINS0_14default_configENS1_27scan_by_key_config_selectorIijEEZZNS1_16scan_by_key_implILNS1_25lookback_scan_determinismE0ELb0ES3_N6thrust23THRUST_200600_302600_NS6detail15normal_iteratorINS9_10device_ptrIiEEEENSB_INSC_IjEEEENSB_INSC_IfEEEEjNS9_4plusIvEENS9_8equal_toIvEEjEE10hipError_tPvRmT2_T3_T4_T5_mT6_T7_P12ihipStream_tbENKUlT_T0_E_clISt17integral_constantIbLb1EES12_IbLb0EEEEDaSY_SZ_EUlSY_E_NS1_11comp_targetILNS1_3genE9ELNS1_11target_archE1100ELNS1_3gpuE3ELNS1_3repE0EEENS1_30default_config_static_selectorELNS0_4arch9wavefront6targetE0EEEvT1_
		.amdhsa_group_segment_fixed_size 0
		.amdhsa_private_segment_fixed_size 0
		.amdhsa_kernarg_size 112
		.amdhsa_user_sgpr_count 6
		.amdhsa_user_sgpr_private_segment_buffer 1
		.amdhsa_user_sgpr_dispatch_ptr 0
		.amdhsa_user_sgpr_queue_ptr 0
		.amdhsa_user_sgpr_kernarg_segment_ptr 1
		.amdhsa_user_sgpr_dispatch_id 0
		.amdhsa_user_sgpr_flat_scratch_init 0
		.amdhsa_user_sgpr_private_segment_size 0
		.amdhsa_wavefront_size32 1
		.amdhsa_uses_dynamic_stack 0
		.amdhsa_system_sgpr_private_segment_wavefront_offset 0
		.amdhsa_system_sgpr_workgroup_id_x 1
		.amdhsa_system_sgpr_workgroup_id_y 0
		.amdhsa_system_sgpr_workgroup_id_z 0
		.amdhsa_system_sgpr_workgroup_info 0
		.amdhsa_system_vgpr_workitem_id 0
		.amdhsa_next_free_vgpr 1
		.amdhsa_next_free_sgpr 1
		.amdhsa_reserve_vcc 0
		.amdhsa_reserve_flat_scratch 0
		.amdhsa_float_round_mode_32 0
		.amdhsa_float_round_mode_16_64 0
		.amdhsa_float_denorm_mode_32 3
		.amdhsa_float_denorm_mode_16_64 3
		.amdhsa_dx10_clamp 1
		.amdhsa_ieee_mode 1
		.amdhsa_fp16_overflow 0
		.amdhsa_workgroup_processor_mode 1
		.amdhsa_memory_ordered 1
		.amdhsa_forward_progress 1
		.amdhsa_shared_vgpr_count 0
		.amdhsa_exception_fp_ieee_invalid_op 0
		.amdhsa_exception_fp_denorm_src 0
		.amdhsa_exception_fp_ieee_div_zero 0
		.amdhsa_exception_fp_ieee_overflow 0
		.amdhsa_exception_fp_ieee_underflow 0
		.amdhsa_exception_fp_ieee_inexact 0
		.amdhsa_exception_int_div_zero 0
	.end_amdhsa_kernel
	.section	.text._ZN7rocprim17ROCPRIM_400000_NS6detail17trampoline_kernelINS0_14default_configENS1_27scan_by_key_config_selectorIijEEZZNS1_16scan_by_key_implILNS1_25lookback_scan_determinismE0ELb0ES3_N6thrust23THRUST_200600_302600_NS6detail15normal_iteratorINS9_10device_ptrIiEEEENSB_INSC_IjEEEENSB_INSC_IfEEEEjNS9_4plusIvEENS9_8equal_toIvEEjEE10hipError_tPvRmT2_T3_T4_T5_mT6_T7_P12ihipStream_tbENKUlT_T0_E_clISt17integral_constantIbLb1EES12_IbLb0EEEEDaSY_SZ_EUlSY_E_NS1_11comp_targetILNS1_3genE9ELNS1_11target_archE1100ELNS1_3gpuE3ELNS1_3repE0EEENS1_30default_config_static_selectorELNS0_4arch9wavefront6targetE0EEEvT1_,"axG",@progbits,_ZN7rocprim17ROCPRIM_400000_NS6detail17trampoline_kernelINS0_14default_configENS1_27scan_by_key_config_selectorIijEEZZNS1_16scan_by_key_implILNS1_25lookback_scan_determinismE0ELb0ES3_N6thrust23THRUST_200600_302600_NS6detail15normal_iteratorINS9_10device_ptrIiEEEENSB_INSC_IjEEEENSB_INSC_IfEEEEjNS9_4plusIvEENS9_8equal_toIvEEjEE10hipError_tPvRmT2_T3_T4_T5_mT6_T7_P12ihipStream_tbENKUlT_T0_E_clISt17integral_constantIbLb1EES12_IbLb0EEEEDaSY_SZ_EUlSY_E_NS1_11comp_targetILNS1_3genE9ELNS1_11target_archE1100ELNS1_3gpuE3ELNS1_3repE0EEENS1_30default_config_static_selectorELNS0_4arch9wavefront6targetE0EEEvT1_,comdat
.Lfunc_end1669:
	.size	_ZN7rocprim17ROCPRIM_400000_NS6detail17trampoline_kernelINS0_14default_configENS1_27scan_by_key_config_selectorIijEEZZNS1_16scan_by_key_implILNS1_25lookback_scan_determinismE0ELb0ES3_N6thrust23THRUST_200600_302600_NS6detail15normal_iteratorINS9_10device_ptrIiEEEENSB_INSC_IjEEEENSB_INSC_IfEEEEjNS9_4plusIvEENS9_8equal_toIvEEjEE10hipError_tPvRmT2_T3_T4_T5_mT6_T7_P12ihipStream_tbENKUlT_T0_E_clISt17integral_constantIbLb1EES12_IbLb0EEEEDaSY_SZ_EUlSY_E_NS1_11comp_targetILNS1_3genE9ELNS1_11target_archE1100ELNS1_3gpuE3ELNS1_3repE0EEENS1_30default_config_static_selectorELNS0_4arch9wavefront6targetE0EEEvT1_, .Lfunc_end1669-_ZN7rocprim17ROCPRIM_400000_NS6detail17trampoline_kernelINS0_14default_configENS1_27scan_by_key_config_selectorIijEEZZNS1_16scan_by_key_implILNS1_25lookback_scan_determinismE0ELb0ES3_N6thrust23THRUST_200600_302600_NS6detail15normal_iteratorINS9_10device_ptrIiEEEENSB_INSC_IjEEEENSB_INSC_IfEEEEjNS9_4plusIvEENS9_8equal_toIvEEjEE10hipError_tPvRmT2_T3_T4_T5_mT6_T7_P12ihipStream_tbENKUlT_T0_E_clISt17integral_constantIbLb1EES12_IbLb0EEEEDaSY_SZ_EUlSY_E_NS1_11comp_targetILNS1_3genE9ELNS1_11target_archE1100ELNS1_3gpuE3ELNS1_3repE0EEENS1_30default_config_static_selectorELNS0_4arch9wavefront6targetE0EEEvT1_
                                        ; -- End function
	.set _ZN7rocprim17ROCPRIM_400000_NS6detail17trampoline_kernelINS0_14default_configENS1_27scan_by_key_config_selectorIijEEZZNS1_16scan_by_key_implILNS1_25lookback_scan_determinismE0ELb0ES3_N6thrust23THRUST_200600_302600_NS6detail15normal_iteratorINS9_10device_ptrIiEEEENSB_INSC_IjEEEENSB_INSC_IfEEEEjNS9_4plusIvEENS9_8equal_toIvEEjEE10hipError_tPvRmT2_T3_T4_T5_mT6_T7_P12ihipStream_tbENKUlT_T0_E_clISt17integral_constantIbLb1EES12_IbLb0EEEEDaSY_SZ_EUlSY_E_NS1_11comp_targetILNS1_3genE9ELNS1_11target_archE1100ELNS1_3gpuE3ELNS1_3repE0EEENS1_30default_config_static_selectorELNS0_4arch9wavefront6targetE0EEEvT1_.num_vgpr, 0
	.set _ZN7rocprim17ROCPRIM_400000_NS6detail17trampoline_kernelINS0_14default_configENS1_27scan_by_key_config_selectorIijEEZZNS1_16scan_by_key_implILNS1_25lookback_scan_determinismE0ELb0ES3_N6thrust23THRUST_200600_302600_NS6detail15normal_iteratorINS9_10device_ptrIiEEEENSB_INSC_IjEEEENSB_INSC_IfEEEEjNS9_4plusIvEENS9_8equal_toIvEEjEE10hipError_tPvRmT2_T3_T4_T5_mT6_T7_P12ihipStream_tbENKUlT_T0_E_clISt17integral_constantIbLb1EES12_IbLb0EEEEDaSY_SZ_EUlSY_E_NS1_11comp_targetILNS1_3genE9ELNS1_11target_archE1100ELNS1_3gpuE3ELNS1_3repE0EEENS1_30default_config_static_selectorELNS0_4arch9wavefront6targetE0EEEvT1_.num_agpr, 0
	.set _ZN7rocprim17ROCPRIM_400000_NS6detail17trampoline_kernelINS0_14default_configENS1_27scan_by_key_config_selectorIijEEZZNS1_16scan_by_key_implILNS1_25lookback_scan_determinismE0ELb0ES3_N6thrust23THRUST_200600_302600_NS6detail15normal_iteratorINS9_10device_ptrIiEEEENSB_INSC_IjEEEENSB_INSC_IfEEEEjNS9_4plusIvEENS9_8equal_toIvEEjEE10hipError_tPvRmT2_T3_T4_T5_mT6_T7_P12ihipStream_tbENKUlT_T0_E_clISt17integral_constantIbLb1EES12_IbLb0EEEEDaSY_SZ_EUlSY_E_NS1_11comp_targetILNS1_3genE9ELNS1_11target_archE1100ELNS1_3gpuE3ELNS1_3repE0EEENS1_30default_config_static_selectorELNS0_4arch9wavefront6targetE0EEEvT1_.numbered_sgpr, 0
	.set _ZN7rocprim17ROCPRIM_400000_NS6detail17trampoline_kernelINS0_14default_configENS1_27scan_by_key_config_selectorIijEEZZNS1_16scan_by_key_implILNS1_25lookback_scan_determinismE0ELb0ES3_N6thrust23THRUST_200600_302600_NS6detail15normal_iteratorINS9_10device_ptrIiEEEENSB_INSC_IjEEEENSB_INSC_IfEEEEjNS9_4plusIvEENS9_8equal_toIvEEjEE10hipError_tPvRmT2_T3_T4_T5_mT6_T7_P12ihipStream_tbENKUlT_T0_E_clISt17integral_constantIbLb1EES12_IbLb0EEEEDaSY_SZ_EUlSY_E_NS1_11comp_targetILNS1_3genE9ELNS1_11target_archE1100ELNS1_3gpuE3ELNS1_3repE0EEENS1_30default_config_static_selectorELNS0_4arch9wavefront6targetE0EEEvT1_.num_named_barrier, 0
	.set _ZN7rocprim17ROCPRIM_400000_NS6detail17trampoline_kernelINS0_14default_configENS1_27scan_by_key_config_selectorIijEEZZNS1_16scan_by_key_implILNS1_25lookback_scan_determinismE0ELb0ES3_N6thrust23THRUST_200600_302600_NS6detail15normal_iteratorINS9_10device_ptrIiEEEENSB_INSC_IjEEEENSB_INSC_IfEEEEjNS9_4plusIvEENS9_8equal_toIvEEjEE10hipError_tPvRmT2_T3_T4_T5_mT6_T7_P12ihipStream_tbENKUlT_T0_E_clISt17integral_constantIbLb1EES12_IbLb0EEEEDaSY_SZ_EUlSY_E_NS1_11comp_targetILNS1_3genE9ELNS1_11target_archE1100ELNS1_3gpuE3ELNS1_3repE0EEENS1_30default_config_static_selectorELNS0_4arch9wavefront6targetE0EEEvT1_.private_seg_size, 0
	.set _ZN7rocprim17ROCPRIM_400000_NS6detail17trampoline_kernelINS0_14default_configENS1_27scan_by_key_config_selectorIijEEZZNS1_16scan_by_key_implILNS1_25lookback_scan_determinismE0ELb0ES3_N6thrust23THRUST_200600_302600_NS6detail15normal_iteratorINS9_10device_ptrIiEEEENSB_INSC_IjEEEENSB_INSC_IfEEEEjNS9_4plusIvEENS9_8equal_toIvEEjEE10hipError_tPvRmT2_T3_T4_T5_mT6_T7_P12ihipStream_tbENKUlT_T0_E_clISt17integral_constantIbLb1EES12_IbLb0EEEEDaSY_SZ_EUlSY_E_NS1_11comp_targetILNS1_3genE9ELNS1_11target_archE1100ELNS1_3gpuE3ELNS1_3repE0EEENS1_30default_config_static_selectorELNS0_4arch9wavefront6targetE0EEEvT1_.uses_vcc, 0
	.set _ZN7rocprim17ROCPRIM_400000_NS6detail17trampoline_kernelINS0_14default_configENS1_27scan_by_key_config_selectorIijEEZZNS1_16scan_by_key_implILNS1_25lookback_scan_determinismE0ELb0ES3_N6thrust23THRUST_200600_302600_NS6detail15normal_iteratorINS9_10device_ptrIiEEEENSB_INSC_IjEEEENSB_INSC_IfEEEEjNS9_4plusIvEENS9_8equal_toIvEEjEE10hipError_tPvRmT2_T3_T4_T5_mT6_T7_P12ihipStream_tbENKUlT_T0_E_clISt17integral_constantIbLb1EES12_IbLb0EEEEDaSY_SZ_EUlSY_E_NS1_11comp_targetILNS1_3genE9ELNS1_11target_archE1100ELNS1_3gpuE3ELNS1_3repE0EEENS1_30default_config_static_selectorELNS0_4arch9wavefront6targetE0EEEvT1_.uses_flat_scratch, 0
	.set _ZN7rocprim17ROCPRIM_400000_NS6detail17trampoline_kernelINS0_14default_configENS1_27scan_by_key_config_selectorIijEEZZNS1_16scan_by_key_implILNS1_25lookback_scan_determinismE0ELb0ES3_N6thrust23THRUST_200600_302600_NS6detail15normal_iteratorINS9_10device_ptrIiEEEENSB_INSC_IjEEEENSB_INSC_IfEEEEjNS9_4plusIvEENS9_8equal_toIvEEjEE10hipError_tPvRmT2_T3_T4_T5_mT6_T7_P12ihipStream_tbENKUlT_T0_E_clISt17integral_constantIbLb1EES12_IbLb0EEEEDaSY_SZ_EUlSY_E_NS1_11comp_targetILNS1_3genE9ELNS1_11target_archE1100ELNS1_3gpuE3ELNS1_3repE0EEENS1_30default_config_static_selectorELNS0_4arch9wavefront6targetE0EEEvT1_.has_dyn_sized_stack, 0
	.set _ZN7rocprim17ROCPRIM_400000_NS6detail17trampoline_kernelINS0_14default_configENS1_27scan_by_key_config_selectorIijEEZZNS1_16scan_by_key_implILNS1_25lookback_scan_determinismE0ELb0ES3_N6thrust23THRUST_200600_302600_NS6detail15normal_iteratorINS9_10device_ptrIiEEEENSB_INSC_IjEEEENSB_INSC_IfEEEEjNS9_4plusIvEENS9_8equal_toIvEEjEE10hipError_tPvRmT2_T3_T4_T5_mT6_T7_P12ihipStream_tbENKUlT_T0_E_clISt17integral_constantIbLb1EES12_IbLb0EEEEDaSY_SZ_EUlSY_E_NS1_11comp_targetILNS1_3genE9ELNS1_11target_archE1100ELNS1_3gpuE3ELNS1_3repE0EEENS1_30default_config_static_selectorELNS0_4arch9wavefront6targetE0EEEvT1_.has_recursion, 0
	.set _ZN7rocprim17ROCPRIM_400000_NS6detail17trampoline_kernelINS0_14default_configENS1_27scan_by_key_config_selectorIijEEZZNS1_16scan_by_key_implILNS1_25lookback_scan_determinismE0ELb0ES3_N6thrust23THRUST_200600_302600_NS6detail15normal_iteratorINS9_10device_ptrIiEEEENSB_INSC_IjEEEENSB_INSC_IfEEEEjNS9_4plusIvEENS9_8equal_toIvEEjEE10hipError_tPvRmT2_T3_T4_T5_mT6_T7_P12ihipStream_tbENKUlT_T0_E_clISt17integral_constantIbLb1EES12_IbLb0EEEEDaSY_SZ_EUlSY_E_NS1_11comp_targetILNS1_3genE9ELNS1_11target_archE1100ELNS1_3gpuE3ELNS1_3repE0EEENS1_30default_config_static_selectorELNS0_4arch9wavefront6targetE0EEEvT1_.has_indirect_call, 0
	.section	.AMDGPU.csdata,"",@progbits
; Kernel info:
; codeLenInByte = 0
; TotalNumSgprs: 0
; NumVgprs: 0
; ScratchSize: 0
; MemoryBound: 0
; FloatMode: 240
; IeeeMode: 1
; LDSByteSize: 0 bytes/workgroup (compile time only)
; SGPRBlocks: 0
; VGPRBlocks: 0
; NumSGPRsForWavesPerEU: 1
; NumVGPRsForWavesPerEU: 1
; Occupancy: 16
; WaveLimiterHint : 0
; COMPUTE_PGM_RSRC2:SCRATCH_EN: 0
; COMPUTE_PGM_RSRC2:USER_SGPR: 6
; COMPUTE_PGM_RSRC2:TRAP_HANDLER: 0
; COMPUTE_PGM_RSRC2:TGID_X_EN: 1
; COMPUTE_PGM_RSRC2:TGID_Y_EN: 0
; COMPUTE_PGM_RSRC2:TGID_Z_EN: 0
; COMPUTE_PGM_RSRC2:TIDIG_COMP_CNT: 0
	.section	.text._ZN7rocprim17ROCPRIM_400000_NS6detail17trampoline_kernelINS0_14default_configENS1_27scan_by_key_config_selectorIijEEZZNS1_16scan_by_key_implILNS1_25lookback_scan_determinismE0ELb0ES3_N6thrust23THRUST_200600_302600_NS6detail15normal_iteratorINS9_10device_ptrIiEEEENSB_INSC_IjEEEENSB_INSC_IfEEEEjNS9_4plusIvEENS9_8equal_toIvEEjEE10hipError_tPvRmT2_T3_T4_T5_mT6_T7_P12ihipStream_tbENKUlT_T0_E_clISt17integral_constantIbLb1EES12_IbLb0EEEEDaSY_SZ_EUlSY_E_NS1_11comp_targetILNS1_3genE8ELNS1_11target_archE1030ELNS1_3gpuE2ELNS1_3repE0EEENS1_30default_config_static_selectorELNS0_4arch9wavefront6targetE0EEEvT1_,"axG",@progbits,_ZN7rocprim17ROCPRIM_400000_NS6detail17trampoline_kernelINS0_14default_configENS1_27scan_by_key_config_selectorIijEEZZNS1_16scan_by_key_implILNS1_25lookback_scan_determinismE0ELb0ES3_N6thrust23THRUST_200600_302600_NS6detail15normal_iteratorINS9_10device_ptrIiEEEENSB_INSC_IjEEEENSB_INSC_IfEEEEjNS9_4plusIvEENS9_8equal_toIvEEjEE10hipError_tPvRmT2_T3_T4_T5_mT6_T7_P12ihipStream_tbENKUlT_T0_E_clISt17integral_constantIbLb1EES12_IbLb0EEEEDaSY_SZ_EUlSY_E_NS1_11comp_targetILNS1_3genE8ELNS1_11target_archE1030ELNS1_3gpuE2ELNS1_3repE0EEENS1_30default_config_static_selectorELNS0_4arch9wavefront6targetE0EEEvT1_,comdat
	.protected	_ZN7rocprim17ROCPRIM_400000_NS6detail17trampoline_kernelINS0_14default_configENS1_27scan_by_key_config_selectorIijEEZZNS1_16scan_by_key_implILNS1_25lookback_scan_determinismE0ELb0ES3_N6thrust23THRUST_200600_302600_NS6detail15normal_iteratorINS9_10device_ptrIiEEEENSB_INSC_IjEEEENSB_INSC_IfEEEEjNS9_4plusIvEENS9_8equal_toIvEEjEE10hipError_tPvRmT2_T3_T4_T5_mT6_T7_P12ihipStream_tbENKUlT_T0_E_clISt17integral_constantIbLb1EES12_IbLb0EEEEDaSY_SZ_EUlSY_E_NS1_11comp_targetILNS1_3genE8ELNS1_11target_archE1030ELNS1_3gpuE2ELNS1_3repE0EEENS1_30default_config_static_selectorELNS0_4arch9wavefront6targetE0EEEvT1_ ; -- Begin function _ZN7rocprim17ROCPRIM_400000_NS6detail17trampoline_kernelINS0_14default_configENS1_27scan_by_key_config_selectorIijEEZZNS1_16scan_by_key_implILNS1_25lookback_scan_determinismE0ELb0ES3_N6thrust23THRUST_200600_302600_NS6detail15normal_iteratorINS9_10device_ptrIiEEEENSB_INSC_IjEEEENSB_INSC_IfEEEEjNS9_4plusIvEENS9_8equal_toIvEEjEE10hipError_tPvRmT2_T3_T4_T5_mT6_T7_P12ihipStream_tbENKUlT_T0_E_clISt17integral_constantIbLb1EES12_IbLb0EEEEDaSY_SZ_EUlSY_E_NS1_11comp_targetILNS1_3genE8ELNS1_11target_archE1030ELNS1_3gpuE2ELNS1_3repE0EEENS1_30default_config_static_selectorELNS0_4arch9wavefront6targetE0EEEvT1_
	.globl	_ZN7rocprim17ROCPRIM_400000_NS6detail17trampoline_kernelINS0_14default_configENS1_27scan_by_key_config_selectorIijEEZZNS1_16scan_by_key_implILNS1_25lookback_scan_determinismE0ELb0ES3_N6thrust23THRUST_200600_302600_NS6detail15normal_iteratorINS9_10device_ptrIiEEEENSB_INSC_IjEEEENSB_INSC_IfEEEEjNS9_4plusIvEENS9_8equal_toIvEEjEE10hipError_tPvRmT2_T3_T4_T5_mT6_T7_P12ihipStream_tbENKUlT_T0_E_clISt17integral_constantIbLb1EES12_IbLb0EEEEDaSY_SZ_EUlSY_E_NS1_11comp_targetILNS1_3genE8ELNS1_11target_archE1030ELNS1_3gpuE2ELNS1_3repE0EEENS1_30default_config_static_selectorELNS0_4arch9wavefront6targetE0EEEvT1_
	.p2align	8
	.type	_ZN7rocprim17ROCPRIM_400000_NS6detail17trampoline_kernelINS0_14default_configENS1_27scan_by_key_config_selectorIijEEZZNS1_16scan_by_key_implILNS1_25lookback_scan_determinismE0ELb0ES3_N6thrust23THRUST_200600_302600_NS6detail15normal_iteratorINS9_10device_ptrIiEEEENSB_INSC_IjEEEENSB_INSC_IfEEEEjNS9_4plusIvEENS9_8equal_toIvEEjEE10hipError_tPvRmT2_T3_T4_T5_mT6_T7_P12ihipStream_tbENKUlT_T0_E_clISt17integral_constantIbLb1EES12_IbLb0EEEEDaSY_SZ_EUlSY_E_NS1_11comp_targetILNS1_3genE8ELNS1_11target_archE1030ELNS1_3gpuE2ELNS1_3repE0EEENS1_30default_config_static_selectorELNS0_4arch9wavefront6targetE0EEEvT1_,@function
_ZN7rocprim17ROCPRIM_400000_NS6detail17trampoline_kernelINS0_14default_configENS1_27scan_by_key_config_selectorIijEEZZNS1_16scan_by_key_implILNS1_25lookback_scan_determinismE0ELb0ES3_N6thrust23THRUST_200600_302600_NS6detail15normal_iteratorINS9_10device_ptrIiEEEENSB_INSC_IjEEEENSB_INSC_IfEEEEjNS9_4plusIvEENS9_8equal_toIvEEjEE10hipError_tPvRmT2_T3_T4_T5_mT6_T7_P12ihipStream_tbENKUlT_T0_E_clISt17integral_constantIbLb1EES12_IbLb0EEEEDaSY_SZ_EUlSY_E_NS1_11comp_targetILNS1_3genE8ELNS1_11target_archE1030ELNS1_3gpuE2ELNS1_3repE0EEENS1_30default_config_static_selectorELNS0_4arch9wavefront6targetE0EEEvT1_: ; @_ZN7rocprim17ROCPRIM_400000_NS6detail17trampoline_kernelINS0_14default_configENS1_27scan_by_key_config_selectorIijEEZZNS1_16scan_by_key_implILNS1_25lookback_scan_determinismE0ELb0ES3_N6thrust23THRUST_200600_302600_NS6detail15normal_iteratorINS9_10device_ptrIiEEEENSB_INSC_IjEEEENSB_INSC_IfEEEEjNS9_4plusIvEENS9_8equal_toIvEEjEE10hipError_tPvRmT2_T3_T4_T5_mT6_T7_P12ihipStream_tbENKUlT_T0_E_clISt17integral_constantIbLb1EES12_IbLb0EEEEDaSY_SZ_EUlSY_E_NS1_11comp_targetILNS1_3genE8ELNS1_11target_archE1030ELNS1_3gpuE2ELNS1_3repE0EEENS1_30default_config_static_selectorELNS0_4arch9wavefront6targetE0EEEvT1_
; %bb.0:
	s_endpgm
	.section	.rodata,"a",@progbits
	.p2align	6, 0x0
	.amdhsa_kernel _ZN7rocprim17ROCPRIM_400000_NS6detail17trampoline_kernelINS0_14default_configENS1_27scan_by_key_config_selectorIijEEZZNS1_16scan_by_key_implILNS1_25lookback_scan_determinismE0ELb0ES3_N6thrust23THRUST_200600_302600_NS6detail15normal_iteratorINS9_10device_ptrIiEEEENSB_INSC_IjEEEENSB_INSC_IfEEEEjNS9_4plusIvEENS9_8equal_toIvEEjEE10hipError_tPvRmT2_T3_T4_T5_mT6_T7_P12ihipStream_tbENKUlT_T0_E_clISt17integral_constantIbLb1EES12_IbLb0EEEEDaSY_SZ_EUlSY_E_NS1_11comp_targetILNS1_3genE8ELNS1_11target_archE1030ELNS1_3gpuE2ELNS1_3repE0EEENS1_30default_config_static_selectorELNS0_4arch9wavefront6targetE0EEEvT1_
		.amdhsa_group_segment_fixed_size 0
		.amdhsa_private_segment_fixed_size 0
		.amdhsa_kernarg_size 112
		.amdhsa_user_sgpr_count 6
		.amdhsa_user_sgpr_private_segment_buffer 1
		.amdhsa_user_sgpr_dispatch_ptr 0
		.amdhsa_user_sgpr_queue_ptr 0
		.amdhsa_user_sgpr_kernarg_segment_ptr 1
		.amdhsa_user_sgpr_dispatch_id 0
		.amdhsa_user_sgpr_flat_scratch_init 0
		.amdhsa_user_sgpr_private_segment_size 0
		.amdhsa_wavefront_size32 1
		.amdhsa_uses_dynamic_stack 0
		.amdhsa_system_sgpr_private_segment_wavefront_offset 0
		.amdhsa_system_sgpr_workgroup_id_x 1
		.amdhsa_system_sgpr_workgroup_id_y 0
		.amdhsa_system_sgpr_workgroup_id_z 0
		.amdhsa_system_sgpr_workgroup_info 0
		.amdhsa_system_vgpr_workitem_id 0
		.amdhsa_next_free_vgpr 1
		.amdhsa_next_free_sgpr 1
		.amdhsa_reserve_vcc 0
		.amdhsa_reserve_flat_scratch 0
		.amdhsa_float_round_mode_32 0
		.amdhsa_float_round_mode_16_64 0
		.amdhsa_float_denorm_mode_32 3
		.amdhsa_float_denorm_mode_16_64 3
		.amdhsa_dx10_clamp 1
		.amdhsa_ieee_mode 1
		.amdhsa_fp16_overflow 0
		.amdhsa_workgroup_processor_mode 1
		.amdhsa_memory_ordered 1
		.amdhsa_forward_progress 1
		.amdhsa_shared_vgpr_count 0
		.amdhsa_exception_fp_ieee_invalid_op 0
		.amdhsa_exception_fp_denorm_src 0
		.amdhsa_exception_fp_ieee_div_zero 0
		.amdhsa_exception_fp_ieee_overflow 0
		.amdhsa_exception_fp_ieee_underflow 0
		.amdhsa_exception_fp_ieee_inexact 0
		.amdhsa_exception_int_div_zero 0
	.end_amdhsa_kernel
	.section	.text._ZN7rocprim17ROCPRIM_400000_NS6detail17trampoline_kernelINS0_14default_configENS1_27scan_by_key_config_selectorIijEEZZNS1_16scan_by_key_implILNS1_25lookback_scan_determinismE0ELb0ES3_N6thrust23THRUST_200600_302600_NS6detail15normal_iteratorINS9_10device_ptrIiEEEENSB_INSC_IjEEEENSB_INSC_IfEEEEjNS9_4plusIvEENS9_8equal_toIvEEjEE10hipError_tPvRmT2_T3_T4_T5_mT6_T7_P12ihipStream_tbENKUlT_T0_E_clISt17integral_constantIbLb1EES12_IbLb0EEEEDaSY_SZ_EUlSY_E_NS1_11comp_targetILNS1_3genE8ELNS1_11target_archE1030ELNS1_3gpuE2ELNS1_3repE0EEENS1_30default_config_static_selectorELNS0_4arch9wavefront6targetE0EEEvT1_,"axG",@progbits,_ZN7rocprim17ROCPRIM_400000_NS6detail17trampoline_kernelINS0_14default_configENS1_27scan_by_key_config_selectorIijEEZZNS1_16scan_by_key_implILNS1_25lookback_scan_determinismE0ELb0ES3_N6thrust23THRUST_200600_302600_NS6detail15normal_iteratorINS9_10device_ptrIiEEEENSB_INSC_IjEEEENSB_INSC_IfEEEEjNS9_4plusIvEENS9_8equal_toIvEEjEE10hipError_tPvRmT2_T3_T4_T5_mT6_T7_P12ihipStream_tbENKUlT_T0_E_clISt17integral_constantIbLb1EES12_IbLb0EEEEDaSY_SZ_EUlSY_E_NS1_11comp_targetILNS1_3genE8ELNS1_11target_archE1030ELNS1_3gpuE2ELNS1_3repE0EEENS1_30default_config_static_selectorELNS0_4arch9wavefront6targetE0EEEvT1_,comdat
.Lfunc_end1670:
	.size	_ZN7rocprim17ROCPRIM_400000_NS6detail17trampoline_kernelINS0_14default_configENS1_27scan_by_key_config_selectorIijEEZZNS1_16scan_by_key_implILNS1_25lookback_scan_determinismE0ELb0ES3_N6thrust23THRUST_200600_302600_NS6detail15normal_iteratorINS9_10device_ptrIiEEEENSB_INSC_IjEEEENSB_INSC_IfEEEEjNS9_4plusIvEENS9_8equal_toIvEEjEE10hipError_tPvRmT2_T3_T4_T5_mT6_T7_P12ihipStream_tbENKUlT_T0_E_clISt17integral_constantIbLb1EES12_IbLb0EEEEDaSY_SZ_EUlSY_E_NS1_11comp_targetILNS1_3genE8ELNS1_11target_archE1030ELNS1_3gpuE2ELNS1_3repE0EEENS1_30default_config_static_selectorELNS0_4arch9wavefront6targetE0EEEvT1_, .Lfunc_end1670-_ZN7rocprim17ROCPRIM_400000_NS6detail17trampoline_kernelINS0_14default_configENS1_27scan_by_key_config_selectorIijEEZZNS1_16scan_by_key_implILNS1_25lookback_scan_determinismE0ELb0ES3_N6thrust23THRUST_200600_302600_NS6detail15normal_iteratorINS9_10device_ptrIiEEEENSB_INSC_IjEEEENSB_INSC_IfEEEEjNS9_4plusIvEENS9_8equal_toIvEEjEE10hipError_tPvRmT2_T3_T4_T5_mT6_T7_P12ihipStream_tbENKUlT_T0_E_clISt17integral_constantIbLb1EES12_IbLb0EEEEDaSY_SZ_EUlSY_E_NS1_11comp_targetILNS1_3genE8ELNS1_11target_archE1030ELNS1_3gpuE2ELNS1_3repE0EEENS1_30default_config_static_selectorELNS0_4arch9wavefront6targetE0EEEvT1_
                                        ; -- End function
	.set _ZN7rocprim17ROCPRIM_400000_NS6detail17trampoline_kernelINS0_14default_configENS1_27scan_by_key_config_selectorIijEEZZNS1_16scan_by_key_implILNS1_25lookback_scan_determinismE0ELb0ES3_N6thrust23THRUST_200600_302600_NS6detail15normal_iteratorINS9_10device_ptrIiEEEENSB_INSC_IjEEEENSB_INSC_IfEEEEjNS9_4plusIvEENS9_8equal_toIvEEjEE10hipError_tPvRmT2_T3_T4_T5_mT6_T7_P12ihipStream_tbENKUlT_T0_E_clISt17integral_constantIbLb1EES12_IbLb0EEEEDaSY_SZ_EUlSY_E_NS1_11comp_targetILNS1_3genE8ELNS1_11target_archE1030ELNS1_3gpuE2ELNS1_3repE0EEENS1_30default_config_static_selectorELNS0_4arch9wavefront6targetE0EEEvT1_.num_vgpr, 0
	.set _ZN7rocprim17ROCPRIM_400000_NS6detail17trampoline_kernelINS0_14default_configENS1_27scan_by_key_config_selectorIijEEZZNS1_16scan_by_key_implILNS1_25lookback_scan_determinismE0ELb0ES3_N6thrust23THRUST_200600_302600_NS6detail15normal_iteratorINS9_10device_ptrIiEEEENSB_INSC_IjEEEENSB_INSC_IfEEEEjNS9_4plusIvEENS9_8equal_toIvEEjEE10hipError_tPvRmT2_T3_T4_T5_mT6_T7_P12ihipStream_tbENKUlT_T0_E_clISt17integral_constantIbLb1EES12_IbLb0EEEEDaSY_SZ_EUlSY_E_NS1_11comp_targetILNS1_3genE8ELNS1_11target_archE1030ELNS1_3gpuE2ELNS1_3repE0EEENS1_30default_config_static_selectorELNS0_4arch9wavefront6targetE0EEEvT1_.num_agpr, 0
	.set _ZN7rocprim17ROCPRIM_400000_NS6detail17trampoline_kernelINS0_14default_configENS1_27scan_by_key_config_selectorIijEEZZNS1_16scan_by_key_implILNS1_25lookback_scan_determinismE0ELb0ES3_N6thrust23THRUST_200600_302600_NS6detail15normal_iteratorINS9_10device_ptrIiEEEENSB_INSC_IjEEEENSB_INSC_IfEEEEjNS9_4plusIvEENS9_8equal_toIvEEjEE10hipError_tPvRmT2_T3_T4_T5_mT6_T7_P12ihipStream_tbENKUlT_T0_E_clISt17integral_constantIbLb1EES12_IbLb0EEEEDaSY_SZ_EUlSY_E_NS1_11comp_targetILNS1_3genE8ELNS1_11target_archE1030ELNS1_3gpuE2ELNS1_3repE0EEENS1_30default_config_static_selectorELNS0_4arch9wavefront6targetE0EEEvT1_.numbered_sgpr, 0
	.set _ZN7rocprim17ROCPRIM_400000_NS6detail17trampoline_kernelINS0_14default_configENS1_27scan_by_key_config_selectorIijEEZZNS1_16scan_by_key_implILNS1_25lookback_scan_determinismE0ELb0ES3_N6thrust23THRUST_200600_302600_NS6detail15normal_iteratorINS9_10device_ptrIiEEEENSB_INSC_IjEEEENSB_INSC_IfEEEEjNS9_4plusIvEENS9_8equal_toIvEEjEE10hipError_tPvRmT2_T3_T4_T5_mT6_T7_P12ihipStream_tbENKUlT_T0_E_clISt17integral_constantIbLb1EES12_IbLb0EEEEDaSY_SZ_EUlSY_E_NS1_11comp_targetILNS1_3genE8ELNS1_11target_archE1030ELNS1_3gpuE2ELNS1_3repE0EEENS1_30default_config_static_selectorELNS0_4arch9wavefront6targetE0EEEvT1_.num_named_barrier, 0
	.set _ZN7rocprim17ROCPRIM_400000_NS6detail17trampoline_kernelINS0_14default_configENS1_27scan_by_key_config_selectorIijEEZZNS1_16scan_by_key_implILNS1_25lookback_scan_determinismE0ELb0ES3_N6thrust23THRUST_200600_302600_NS6detail15normal_iteratorINS9_10device_ptrIiEEEENSB_INSC_IjEEEENSB_INSC_IfEEEEjNS9_4plusIvEENS9_8equal_toIvEEjEE10hipError_tPvRmT2_T3_T4_T5_mT6_T7_P12ihipStream_tbENKUlT_T0_E_clISt17integral_constantIbLb1EES12_IbLb0EEEEDaSY_SZ_EUlSY_E_NS1_11comp_targetILNS1_3genE8ELNS1_11target_archE1030ELNS1_3gpuE2ELNS1_3repE0EEENS1_30default_config_static_selectorELNS0_4arch9wavefront6targetE0EEEvT1_.private_seg_size, 0
	.set _ZN7rocprim17ROCPRIM_400000_NS6detail17trampoline_kernelINS0_14default_configENS1_27scan_by_key_config_selectorIijEEZZNS1_16scan_by_key_implILNS1_25lookback_scan_determinismE0ELb0ES3_N6thrust23THRUST_200600_302600_NS6detail15normal_iteratorINS9_10device_ptrIiEEEENSB_INSC_IjEEEENSB_INSC_IfEEEEjNS9_4plusIvEENS9_8equal_toIvEEjEE10hipError_tPvRmT2_T3_T4_T5_mT6_T7_P12ihipStream_tbENKUlT_T0_E_clISt17integral_constantIbLb1EES12_IbLb0EEEEDaSY_SZ_EUlSY_E_NS1_11comp_targetILNS1_3genE8ELNS1_11target_archE1030ELNS1_3gpuE2ELNS1_3repE0EEENS1_30default_config_static_selectorELNS0_4arch9wavefront6targetE0EEEvT1_.uses_vcc, 0
	.set _ZN7rocprim17ROCPRIM_400000_NS6detail17trampoline_kernelINS0_14default_configENS1_27scan_by_key_config_selectorIijEEZZNS1_16scan_by_key_implILNS1_25lookback_scan_determinismE0ELb0ES3_N6thrust23THRUST_200600_302600_NS6detail15normal_iteratorINS9_10device_ptrIiEEEENSB_INSC_IjEEEENSB_INSC_IfEEEEjNS9_4plusIvEENS9_8equal_toIvEEjEE10hipError_tPvRmT2_T3_T4_T5_mT6_T7_P12ihipStream_tbENKUlT_T0_E_clISt17integral_constantIbLb1EES12_IbLb0EEEEDaSY_SZ_EUlSY_E_NS1_11comp_targetILNS1_3genE8ELNS1_11target_archE1030ELNS1_3gpuE2ELNS1_3repE0EEENS1_30default_config_static_selectorELNS0_4arch9wavefront6targetE0EEEvT1_.uses_flat_scratch, 0
	.set _ZN7rocprim17ROCPRIM_400000_NS6detail17trampoline_kernelINS0_14default_configENS1_27scan_by_key_config_selectorIijEEZZNS1_16scan_by_key_implILNS1_25lookback_scan_determinismE0ELb0ES3_N6thrust23THRUST_200600_302600_NS6detail15normal_iteratorINS9_10device_ptrIiEEEENSB_INSC_IjEEEENSB_INSC_IfEEEEjNS9_4plusIvEENS9_8equal_toIvEEjEE10hipError_tPvRmT2_T3_T4_T5_mT6_T7_P12ihipStream_tbENKUlT_T0_E_clISt17integral_constantIbLb1EES12_IbLb0EEEEDaSY_SZ_EUlSY_E_NS1_11comp_targetILNS1_3genE8ELNS1_11target_archE1030ELNS1_3gpuE2ELNS1_3repE0EEENS1_30default_config_static_selectorELNS0_4arch9wavefront6targetE0EEEvT1_.has_dyn_sized_stack, 0
	.set _ZN7rocprim17ROCPRIM_400000_NS6detail17trampoline_kernelINS0_14default_configENS1_27scan_by_key_config_selectorIijEEZZNS1_16scan_by_key_implILNS1_25lookback_scan_determinismE0ELb0ES3_N6thrust23THRUST_200600_302600_NS6detail15normal_iteratorINS9_10device_ptrIiEEEENSB_INSC_IjEEEENSB_INSC_IfEEEEjNS9_4plusIvEENS9_8equal_toIvEEjEE10hipError_tPvRmT2_T3_T4_T5_mT6_T7_P12ihipStream_tbENKUlT_T0_E_clISt17integral_constantIbLb1EES12_IbLb0EEEEDaSY_SZ_EUlSY_E_NS1_11comp_targetILNS1_3genE8ELNS1_11target_archE1030ELNS1_3gpuE2ELNS1_3repE0EEENS1_30default_config_static_selectorELNS0_4arch9wavefront6targetE0EEEvT1_.has_recursion, 0
	.set _ZN7rocprim17ROCPRIM_400000_NS6detail17trampoline_kernelINS0_14default_configENS1_27scan_by_key_config_selectorIijEEZZNS1_16scan_by_key_implILNS1_25lookback_scan_determinismE0ELb0ES3_N6thrust23THRUST_200600_302600_NS6detail15normal_iteratorINS9_10device_ptrIiEEEENSB_INSC_IjEEEENSB_INSC_IfEEEEjNS9_4plusIvEENS9_8equal_toIvEEjEE10hipError_tPvRmT2_T3_T4_T5_mT6_T7_P12ihipStream_tbENKUlT_T0_E_clISt17integral_constantIbLb1EES12_IbLb0EEEEDaSY_SZ_EUlSY_E_NS1_11comp_targetILNS1_3genE8ELNS1_11target_archE1030ELNS1_3gpuE2ELNS1_3repE0EEENS1_30default_config_static_selectorELNS0_4arch9wavefront6targetE0EEEvT1_.has_indirect_call, 0
	.section	.AMDGPU.csdata,"",@progbits
; Kernel info:
; codeLenInByte = 4
; TotalNumSgprs: 0
; NumVgprs: 0
; ScratchSize: 0
; MemoryBound: 0
; FloatMode: 240
; IeeeMode: 1
; LDSByteSize: 0 bytes/workgroup (compile time only)
; SGPRBlocks: 0
; VGPRBlocks: 0
; NumSGPRsForWavesPerEU: 1
; NumVGPRsForWavesPerEU: 1
; Occupancy: 16
; WaveLimiterHint : 0
; COMPUTE_PGM_RSRC2:SCRATCH_EN: 0
; COMPUTE_PGM_RSRC2:USER_SGPR: 6
; COMPUTE_PGM_RSRC2:TRAP_HANDLER: 0
; COMPUTE_PGM_RSRC2:TGID_X_EN: 1
; COMPUTE_PGM_RSRC2:TGID_Y_EN: 0
; COMPUTE_PGM_RSRC2:TGID_Z_EN: 0
; COMPUTE_PGM_RSRC2:TIDIG_COMP_CNT: 0
	.section	.text._ZN7rocprim17ROCPRIM_400000_NS6detail17trampoline_kernelINS0_14default_configENS1_27scan_by_key_config_selectorIijEEZZNS1_16scan_by_key_implILNS1_25lookback_scan_determinismE0ELb0ES3_N6thrust23THRUST_200600_302600_NS6detail15normal_iteratorINS9_10device_ptrIiEEEENSB_INSC_IjEEEENSB_INSC_IfEEEEjNS9_4plusIvEENS9_8equal_toIvEEjEE10hipError_tPvRmT2_T3_T4_T5_mT6_T7_P12ihipStream_tbENKUlT_T0_E_clISt17integral_constantIbLb0EES12_IbLb1EEEEDaSY_SZ_EUlSY_E_NS1_11comp_targetILNS1_3genE0ELNS1_11target_archE4294967295ELNS1_3gpuE0ELNS1_3repE0EEENS1_30default_config_static_selectorELNS0_4arch9wavefront6targetE0EEEvT1_,"axG",@progbits,_ZN7rocprim17ROCPRIM_400000_NS6detail17trampoline_kernelINS0_14default_configENS1_27scan_by_key_config_selectorIijEEZZNS1_16scan_by_key_implILNS1_25lookback_scan_determinismE0ELb0ES3_N6thrust23THRUST_200600_302600_NS6detail15normal_iteratorINS9_10device_ptrIiEEEENSB_INSC_IjEEEENSB_INSC_IfEEEEjNS9_4plusIvEENS9_8equal_toIvEEjEE10hipError_tPvRmT2_T3_T4_T5_mT6_T7_P12ihipStream_tbENKUlT_T0_E_clISt17integral_constantIbLb0EES12_IbLb1EEEEDaSY_SZ_EUlSY_E_NS1_11comp_targetILNS1_3genE0ELNS1_11target_archE4294967295ELNS1_3gpuE0ELNS1_3repE0EEENS1_30default_config_static_selectorELNS0_4arch9wavefront6targetE0EEEvT1_,comdat
	.protected	_ZN7rocprim17ROCPRIM_400000_NS6detail17trampoline_kernelINS0_14default_configENS1_27scan_by_key_config_selectorIijEEZZNS1_16scan_by_key_implILNS1_25lookback_scan_determinismE0ELb0ES3_N6thrust23THRUST_200600_302600_NS6detail15normal_iteratorINS9_10device_ptrIiEEEENSB_INSC_IjEEEENSB_INSC_IfEEEEjNS9_4plusIvEENS9_8equal_toIvEEjEE10hipError_tPvRmT2_T3_T4_T5_mT6_T7_P12ihipStream_tbENKUlT_T0_E_clISt17integral_constantIbLb0EES12_IbLb1EEEEDaSY_SZ_EUlSY_E_NS1_11comp_targetILNS1_3genE0ELNS1_11target_archE4294967295ELNS1_3gpuE0ELNS1_3repE0EEENS1_30default_config_static_selectorELNS0_4arch9wavefront6targetE0EEEvT1_ ; -- Begin function _ZN7rocprim17ROCPRIM_400000_NS6detail17trampoline_kernelINS0_14default_configENS1_27scan_by_key_config_selectorIijEEZZNS1_16scan_by_key_implILNS1_25lookback_scan_determinismE0ELb0ES3_N6thrust23THRUST_200600_302600_NS6detail15normal_iteratorINS9_10device_ptrIiEEEENSB_INSC_IjEEEENSB_INSC_IfEEEEjNS9_4plusIvEENS9_8equal_toIvEEjEE10hipError_tPvRmT2_T3_T4_T5_mT6_T7_P12ihipStream_tbENKUlT_T0_E_clISt17integral_constantIbLb0EES12_IbLb1EEEEDaSY_SZ_EUlSY_E_NS1_11comp_targetILNS1_3genE0ELNS1_11target_archE4294967295ELNS1_3gpuE0ELNS1_3repE0EEENS1_30default_config_static_selectorELNS0_4arch9wavefront6targetE0EEEvT1_
	.globl	_ZN7rocprim17ROCPRIM_400000_NS6detail17trampoline_kernelINS0_14default_configENS1_27scan_by_key_config_selectorIijEEZZNS1_16scan_by_key_implILNS1_25lookback_scan_determinismE0ELb0ES3_N6thrust23THRUST_200600_302600_NS6detail15normal_iteratorINS9_10device_ptrIiEEEENSB_INSC_IjEEEENSB_INSC_IfEEEEjNS9_4plusIvEENS9_8equal_toIvEEjEE10hipError_tPvRmT2_T3_T4_T5_mT6_T7_P12ihipStream_tbENKUlT_T0_E_clISt17integral_constantIbLb0EES12_IbLb1EEEEDaSY_SZ_EUlSY_E_NS1_11comp_targetILNS1_3genE0ELNS1_11target_archE4294967295ELNS1_3gpuE0ELNS1_3repE0EEENS1_30default_config_static_selectorELNS0_4arch9wavefront6targetE0EEEvT1_
	.p2align	8
	.type	_ZN7rocprim17ROCPRIM_400000_NS6detail17trampoline_kernelINS0_14default_configENS1_27scan_by_key_config_selectorIijEEZZNS1_16scan_by_key_implILNS1_25lookback_scan_determinismE0ELb0ES3_N6thrust23THRUST_200600_302600_NS6detail15normal_iteratorINS9_10device_ptrIiEEEENSB_INSC_IjEEEENSB_INSC_IfEEEEjNS9_4plusIvEENS9_8equal_toIvEEjEE10hipError_tPvRmT2_T3_T4_T5_mT6_T7_P12ihipStream_tbENKUlT_T0_E_clISt17integral_constantIbLb0EES12_IbLb1EEEEDaSY_SZ_EUlSY_E_NS1_11comp_targetILNS1_3genE0ELNS1_11target_archE4294967295ELNS1_3gpuE0ELNS1_3repE0EEENS1_30default_config_static_selectorELNS0_4arch9wavefront6targetE0EEEvT1_,@function
_ZN7rocprim17ROCPRIM_400000_NS6detail17trampoline_kernelINS0_14default_configENS1_27scan_by_key_config_selectorIijEEZZNS1_16scan_by_key_implILNS1_25lookback_scan_determinismE0ELb0ES3_N6thrust23THRUST_200600_302600_NS6detail15normal_iteratorINS9_10device_ptrIiEEEENSB_INSC_IjEEEENSB_INSC_IfEEEEjNS9_4plusIvEENS9_8equal_toIvEEjEE10hipError_tPvRmT2_T3_T4_T5_mT6_T7_P12ihipStream_tbENKUlT_T0_E_clISt17integral_constantIbLb0EES12_IbLb1EEEEDaSY_SZ_EUlSY_E_NS1_11comp_targetILNS1_3genE0ELNS1_11target_archE4294967295ELNS1_3gpuE0ELNS1_3repE0EEENS1_30default_config_static_selectorELNS0_4arch9wavefront6targetE0EEEvT1_: ; @_ZN7rocprim17ROCPRIM_400000_NS6detail17trampoline_kernelINS0_14default_configENS1_27scan_by_key_config_selectorIijEEZZNS1_16scan_by_key_implILNS1_25lookback_scan_determinismE0ELb0ES3_N6thrust23THRUST_200600_302600_NS6detail15normal_iteratorINS9_10device_ptrIiEEEENSB_INSC_IjEEEENSB_INSC_IfEEEEjNS9_4plusIvEENS9_8equal_toIvEEjEE10hipError_tPvRmT2_T3_T4_T5_mT6_T7_P12ihipStream_tbENKUlT_T0_E_clISt17integral_constantIbLb0EES12_IbLb1EEEEDaSY_SZ_EUlSY_E_NS1_11comp_targetILNS1_3genE0ELNS1_11target_archE4294967295ELNS1_3gpuE0ELNS1_3repE0EEENS1_30default_config_static_selectorELNS0_4arch9wavefront6targetE0EEEvT1_
; %bb.0:
	.section	.rodata,"a",@progbits
	.p2align	6, 0x0
	.amdhsa_kernel _ZN7rocprim17ROCPRIM_400000_NS6detail17trampoline_kernelINS0_14default_configENS1_27scan_by_key_config_selectorIijEEZZNS1_16scan_by_key_implILNS1_25lookback_scan_determinismE0ELb0ES3_N6thrust23THRUST_200600_302600_NS6detail15normal_iteratorINS9_10device_ptrIiEEEENSB_INSC_IjEEEENSB_INSC_IfEEEEjNS9_4plusIvEENS9_8equal_toIvEEjEE10hipError_tPvRmT2_T3_T4_T5_mT6_T7_P12ihipStream_tbENKUlT_T0_E_clISt17integral_constantIbLb0EES12_IbLb1EEEEDaSY_SZ_EUlSY_E_NS1_11comp_targetILNS1_3genE0ELNS1_11target_archE4294967295ELNS1_3gpuE0ELNS1_3repE0EEENS1_30default_config_static_selectorELNS0_4arch9wavefront6targetE0EEEvT1_
		.amdhsa_group_segment_fixed_size 0
		.amdhsa_private_segment_fixed_size 0
		.amdhsa_kernarg_size 112
		.amdhsa_user_sgpr_count 6
		.amdhsa_user_sgpr_private_segment_buffer 1
		.amdhsa_user_sgpr_dispatch_ptr 0
		.amdhsa_user_sgpr_queue_ptr 0
		.amdhsa_user_sgpr_kernarg_segment_ptr 1
		.amdhsa_user_sgpr_dispatch_id 0
		.amdhsa_user_sgpr_flat_scratch_init 0
		.amdhsa_user_sgpr_private_segment_size 0
		.amdhsa_wavefront_size32 1
		.amdhsa_uses_dynamic_stack 0
		.amdhsa_system_sgpr_private_segment_wavefront_offset 0
		.amdhsa_system_sgpr_workgroup_id_x 1
		.amdhsa_system_sgpr_workgroup_id_y 0
		.amdhsa_system_sgpr_workgroup_id_z 0
		.amdhsa_system_sgpr_workgroup_info 0
		.amdhsa_system_vgpr_workitem_id 0
		.amdhsa_next_free_vgpr 1
		.amdhsa_next_free_sgpr 1
		.amdhsa_reserve_vcc 0
		.amdhsa_reserve_flat_scratch 0
		.amdhsa_float_round_mode_32 0
		.amdhsa_float_round_mode_16_64 0
		.amdhsa_float_denorm_mode_32 3
		.amdhsa_float_denorm_mode_16_64 3
		.amdhsa_dx10_clamp 1
		.amdhsa_ieee_mode 1
		.amdhsa_fp16_overflow 0
		.amdhsa_workgroup_processor_mode 1
		.amdhsa_memory_ordered 1
		.amdhsa_forward_progress 1
		.amdhsa_shared_vgpr_count 0
		.amdhsa_exception_fp_ieee_invalid_op 0
		.amdhsa_exception_fp_denorm_src 0
		.amdhsa_exception_fp_ieee_div_zero 0
		.amdhsa_exception_fp_ieee_overflow 0
		.amdhsa_exception_fp_ieee_underflow 0
		.amdhsa_exception_fp_ieee_inexact 0
		.amdhsa_exception_int_div_zero 0
	.end_amdhsa_kernel
	.section	.text._ZN7rocprim17ROCPRIM_400000_NS6detail17trampoline_kernelINS0_14default_configENS1_27scan_by_key_config_selectorIijEEZZNS1_16scan_by_key_implILNS1_25lookback_scan_determinismE0ELb0ES3_N6thrust23THRUST_200600_302600_NS6detail15normal_iteratorINS9_10device_ptrIiEEEENSB_INSC_IjEEEENSB_INSC_IfEEEEjNS9_4plusIvEENS9_8equal_toIvEEjEE10hipError_tPvRmT2_T3_T4_T5_mT6_T7_P12ihipStream_tbENKUlT_T0_E_clISt17integral_constantIbLb0EES12_IbLb1EEEEDaSY_SZ_EUlSY_E_NS1_11comp_targetILNS1_3genE0ELNS1_11target_archE4294967295ELNS1_3gpuE0ELNS1_3repE0EEENS1_30default_config_static_selectorELNS0_4arch9wavefront6targetE0EEEvT1_,"axG",@progbits,_ZN7rocprim17ROCPRIM_400000_NS6detail17trampoline_kernelINS0_14default_configENS1_27scan_by_key_config_selectorIijEEZZNS1_16scan_by_key_implILNS1_25lookback_scan_determinismE0ELb0ES3_N6thrust23THRUST_200600_302600_NS6detail15normal_iteratorINS9_10device_ptrIiEEEENSB_INSC_IjEEEENSB_INSC_IfEEEEjNS9_4plusIvEENS9_8equal_toIvEEjEE10hipError_tPvRmT2_T3_T4_T5_mT6_T7_P12ihipStream_tbENKUlT_T0_E_clISt17integral_constantIbLb0EES12_IbLb1EEEEDaSY_SZ_EUlSY_E_NS1_11comp_targetILNS1_3genE0ELNS1_11target_archE4294967295ELNS1_3gpuE0ELNS1_3repE0EEENS1_30default_config_static_selectorELNS0_4arch9wavefront6targetE0EEEvT1_,comdat
.Lfunc_end1671:
	.size	_ZN7rocprim17ROCPRIM_400000_NS6detail17trampoline_kernelINS0_14default_configENS1_27scan_by_key_config_selectorIijEEZZNS1_16scan_by_key_implILNS1_25lookback_scan_determinismE0ELb0ES3_N6thrust23THRUST_200600_302600_NS6detail15normal_iteratorINS9_10device_ptrIiEEEENSB_INSC_IjEEEENSB_INSC_IfEEEEjNS9_4plusIvEENS9_8equal_toIvEEjEE10hipError_tPvRmT2_T3_T4_T5_mT6_T7_P12ihipStream_tbENKUlT_T0_E_clISt17integral_constantIbLb0EES12_IbLb1EEEEDaSY_SZ_EUlSY_E_NS1_11comp_targetILNS1_3genE0ELNS1_11target_archE4294967295ELNS1_3gpuE0ELNS1_3repE0EEENS1_30default_config_static_selectorELNS0_4arch9wavefront6targetE0EEEvT1_, .Lfunc_end1671-_ZN7rocprim17ROCPRIM_400000_NS6detail17trampoline_kernelINS0_14default_configENS1_27scan_by_key_config_selectorIijEEZZNS1_16scan_by_key_implILNS1_25lookback_scan_determinismE0ELb0ES3_N6thrust23THRUST_200600_302600_NS6detail15normal_iteratorINS9_10device_ptrIiEEEENSB_INSC_IjEEEENSB_INSC_IfEEEEjNS9_4plusIvEENS9_8equal_toIvEEjEE10hipError_tPvRmT2_T3_T4_T5_mT6_T7_P12ihipStream_tbENKUlT_T0_E_clISt17integral_constantIbLb0EES12_IbLb1EEEEDaSY_SZ_EUlSY_E_NS1_11comp_targetILNS1_3genE0ELNS1_11target_archE4294967295ELNS1_3gpuE0ELNS1_3repE0EEENS1_30default_config_static_selectorELNS0_4arch9wavefront6targetE0EEEvT1_
                                        ; -- End function
	.set _ZN7rocprim17ROCPRIM_400000_NS6detail17trampoline_kernelINS0_14default_configENS1_27scan_by_key_config_selectorIijEEZZNS1_16scan_by_key_implILNS1_25lookback_scan_determinismE0ELb0ES3_N6thrust23THRUST_200600_302600_NS6detail15normal_iteratorINS9_10device_ptrIiEEEENSB_INSC_IjEEEENSB_INSC_IfEEEEjNS9_4plusIvEENS9_8equal_toIvEEjEE10hipError_tPvRmT2_T3_T4_T5_mT6_T7_P12ihipStream_tbENKUlT_T0_E_clISt17integral_constantIbLb0EES12_IbLb1EEEEDaSY_SZ_EUlSY_E_NS1_11comp_targetILNS1_3genE0ELNS1_11target_archE4294967295ELNS1_3gpuE0ELNS1_3repE0EEENS1_30default_config_static_selectorELNS0_4arch9wavefront6targetE0EEEvT1_.num_vgpr, 0
	.set _ZN7rocprim17ROCPRIM_400000_NS6detail17trampoline_kernelINS0_14default_configENS1_27scan_by_key_config_selectorIijEEZZNS1_16scan_by_key_implILNS1_25lookback_scan_determinismE0ELb0ES3_N6thrust23THRUST_200600_302600_NS6detail15normal_iteratorINS9_10device_ptrIiEEEENSB_INSC_IjEEEENSB_INSC_IfEEEEjNS9_4plusIvEENS9_8equal_toIvEEjEE10hipError_tPvRmT2_T3_T4_T5_mT6_T7_P12ihipStream_tbENKUlT_T0_E_clISt17integral_constantIbLb0EES12_IbLb1EEEEDaSY_SZ_EUlSY_E_NS1_11comp_targetILNS1_3genE0ELNS1_11target_archE4294967295ELNS1_3gpuE0ELNS1_3repE0EEENS1_30default_config_static_selectorELNS0_4arch9wavefront6targetE0EEEvT1_.num_agpr, 0
	.set _ZN7rocprim17ROCPRIM_400000_NS6detail17trampoline_kernelINS0_14default_configENS1_27scan_by_key_config_selectorIijEEZZNS1_16scan_by_key_implILNS1_25lookback_scan_determinismE0ELb0ES3_N6thrust23THRUST_200600_302600_NS6detail15normal_iteratorINS9_10device_ptrIiEEEENSB_INSC_IjEEEENSB_INSC_IfEEEEjNS9_4plusIvEENS9_8equal_toIvEEjEE10hipError_tPvRmT2_T3_T4_T5_mT6_T7_P12ihipStream_tbENKUlT_T0_E_clISt17integral_constantIbLb0EES12_IbLb1EEEEDaSY_SZ_EUlSY_E_NS1_11comp_targetILNS1_3genE0ELNS1_11target_archE4294967295ELNS1_3gpuE0ELNS1_3repE0EEENS1_30default_config_static_selectorELNS0_4arch9wavefront6targetE0EEEvT1_.numbered_sgpr, 0
	.set _ZN7rocprim17ROCPRIM_400000_NS6detail17trampoline_kernelINS0_14default_configENS1_27scan_by_key_config_selectorIijEEZZNS1_16scan_by_key_implILNS1_25lookback_scan_determinismE0ELb0ES3_N6thrust23THRUST_200600_302600_NS6detail15normal_iteratorINS9_10device_ptrIiEEEENSB_INSC_IjEEEENSB_INSC_IfEEEEjNS9_4plusIvEENS9_8equal_toIvEEjEE10hipError_tPvRmT2_T3_T4_T5_mT6_T7_P12ihipStream_tbENKUlT_T0_E_clISt17integral_constantIbLb0EES12_IbLb1EEEEDaSY_SZ_EUlSY_E_NS1_11comp_targetILNS1_3genE0ELNS1_11target_archE4294967295ELNS1_3gpuE0ELNS1_3repE0EEENS1_30default_config_static_selectorELNS0_4arch9wavefront6targetE0EEEvT1_.num_named_barrier, 0
	.set _ZN7rocprim17ROCPRIM_400000_NS6detail17trampoline_kernelINS0_14default_configENS1_27scan_by_key_config_selectorIijEEZZNS1_16scan_by_key_implILNS1_25lookback_scan_determinismE0ELb0ES3_N6thrust23THRUST_200600_302600_NS6detail15normal_iteratorINS9_10device_ptrIiEEEENSB_INSC_IjEEEENSB_INSC_IfEEEEjNS9_4plusIvEENS9_8equal_toIvEEjEE10hipError_tPvRmT2_T3_T4_T5_mT6_T7_P12ihipStream_tbENKUlT_T0_E_clISt17integral_constantIbLb0EES12_IbLb1EEEEDaSY_SZ_EUlSY_E_NS1_11comp_targetILNS1_3genE0ELNS1_11target_archE4294967295ELNS1_3gpuE0ELNS1_3repE0EEENS1_30default_config_static_selectorELNS0_4arch9wavefront6targetE0EEEvT1_.private_seg_size, 0
	.set _ZN7rocprim17ROCPRIM_400000_NS6detail17trampoline_kernelINS0_14default_configENS1_27scan_by_key_config_selectorIijEEZZNS1_16scan_by_key_implILNS1_25lookback_scan_determinismE0ELb0ES3_N6thrust23THRUST_200600_302600_NS6detail15normal_iteratorINS9_10device_ptrIiEEEENSB_INSC_IjEEEENSB_INSC_IfEEEEjNS9_4plusIvEENS9_8equal_toIvEEjEE10hipError_tPvRmT2_T3_T4_T5_mT6_T7_P12ihipStream_tbENKUlT_T0_E_clISt17integral_constantIbLb0EES12_IbLb1EEEEDaSY_SZ_EUlSY_E_NS1_11comp_targetILNS1_3genE0ELNS1_11target_archE4294967295ELNS1_3gpuE0ELNS1_3repE0EEENS1_30default_config_static_selectorELNS0_4arch9wavefront6targetE0EEEvT1_.uses_vcc, 0
	.set _ZN7rocprim17ROCPRIM_400000_NS6detail17trampoline_kernelINS0_14default_configENS1_27scan_by_key_config_selectorIijEEZZNS1_16scan_by_key_implILNS1_25lookback_scan_determinismE0ELb0ES3_N6thrust23THRUST_200600_302600_NS6detail15normal_iteratorINS9_10device_ptrIiEEEENSB_INSC_IjEEEENSB_INSC_IfEEEEjNS9_4plusIvEENS9_8equal_toIvEEjEE10hipError_tPvRmT2_T3_T4_T5_mT6_T7_P12ihipStream_tbENKUlT_T0_E_clISt17integral_constantIbLb0EES12_IbLb1EEEEDaSY_SZ_EUlSY_E_NS1_11comp_targetILNS1_3genE0ELNS1_11target_archE4294967295ELNS1_3gpuE0ELNS1_3repE0EEENS1_30default_config_static_selectorELNS0_4arch9wavefront6targetE0EEEvT1_.uses_flat_scratch, 0
	.set _ZN7rocprim17ROCPRIM_400000_NS6detail17trampoline_kernelINS0_14default_configENS1_27scan_by_key_config_selectorIijEEZZNS1_16scan_by_key_implILNS1_25lookback_scan_determinismE0ELb0ES3_N6thrust23THRUST_200600_302600_NS6detail15normal_iteratorINS9_10device_ptrIiEEEENSB_INSC_IjEEEENSB_INSC_IfEEEEjNS9_4plusIvEENS9_8equal_toIvEEjEE10hipError_tPvRmT2_T3_T4_T5_mT6_T7_P12ihipStream_tbENKUlT_T0_E_clISt17integral_constantIbLb0EES12_IbLb1EEEEDaSY_SZ_EUlSY_E_NS1_11comp_targetILNS1_3genE0ELNS1_11target_archE4294967295ELNS1_3gpuE0ELNS1_3repE0EEENS1_30default_config_static_selectorELNS0_4arch9wavefront6targetE0EEEvT1_.has_dyn_sized_stack, 0
	.set _ZN7rocprim17ROCPRIM_400000_NS6detail17trampoline_kernelINS0_14default_configENS1_27scan_by_key_config_selectorIijEEZZNS1_16scan_by_key_implILNS1_25lookback_scan_determinismE0ELb0ES3_N6thrust23THRUST_200600_302600_NS6detail15normal_iteratorINS9_10device_ptrIiEEEENSB_INSC_IjEEEENSB_INSC_IfEEEEjNS9_4plusIvEENS9_8equal_toIvEEjEE10hipError_tPvRmT2_T3_T4_T5_mT6_T7_P12ihipStream_tbENKUlT_T0_E_clISt17integral_constantIbLb0EES12_IbLb1EEEEDaSY_SZ_EUlSY_E_NS1_11comp_targetILNS1_3genE0ELNS1_11target_archE4294967295ELNS1_3gpuE0ELNS1_3repE0EEENS1_30default_config_static_selectorELNS0_4arch9wavefront6targetE0EEEvT1_.has_recursion, 0
	.set _ZN7rocprim17ROCPRIM_400000_NS6detail17trampoline_kernelINS0_14default_configENS1_27scan_by_key_config_selectorIijEEZZNS1_16scan_by_key_implILNS1_25lookback_scan_determinismE0ELb0ES3_N6thrust23THRUST_200600_302600_NS6detail15normal_iteratorINS9_10device_ptrIiEEEENSB_INSC_IjEEEENSB_INSC_IfEEEEjNS9_4plusIvEENS9_8equal_toIvEEjEE10hipError_tPvRmT2_T3_T4_T5_mT6_T7_P12ihipStream_tbENKUlT_T0_E_clISt17integral_constantIbLb0EES12_IbLb1EEEEDaSY_SZ_EUlSY_E_NS1_11comp_targetILNS1_3genE0ELNS1_11target_archE4294967295ELNS1_3gpuE0ELNS1_3repE0EEENS1_30default_config_static_selectorELNS0_4arch9wavefront6targetE0EEEvT1_.has_indirect_call, 0
	.section	.AMDGPU.csdata,"",@progbits
; Kernel info:
; codeLenInByte = 0
; TotalNumSgprs: 0
; NumVgprs: 0
; ScratchSize: 0
; MemoryBound: 0
; FloatMode: 240
; IeeeMode: 1
; LDSByteSize: 0 bytes/workgroup (compile time only)
; SGPRBlocks: 0
; VGPRBlocks: 0
; NumSGPRsForWavesPerEU: 1
; NumVGPRsForWavesPerEU: 1
; Occupancy: 16
; WaveLimiterHint : 0
; COMPUTE_PGM_RSRC2:SCRATCH_EN: 0
; COMPUTE_PGM_RSRC2:USER_SGPR: 6
; COMPUTE_PGM_RSRC2:TRAP_HANDLER: 0
; COMPUTE_PGM_RSRC2:TGID_X_EN: 1
; COMPUTE_PGM_RSRC2:TGID_Y_EN: 0
; COMPUTE_PGM_RSRC2:TGID_Z_EN: 0
; COMPUTE_PGM_RSRC2:TIDIG_COMP_CNT: 0
	.section	.text._ZN7rocprim17ROCPRIM_400000_NS6detail17trampoline_kernelINS0_14default_configENS1_27scan_by_key_config_selectorIijEEZZNS1_16scan_by_key_implILNS1_25lookback_scan_determinismE0ELb0ES3_N6thrust23THRUST_200600_302600_NS6detail15normal_iteratorINS9_10device_ptrIiEEEENSB_INSC_IjEEEENSB_INSC_IfEEEEjNS9_4plusIvEENS9_8equal_toIvEEjEE10hipError_tPvRmT2_T3_T4_T5_mT6_T7_P12ihipStream_tbENKUlT_T0_E_clISt17integral_constantIbLb0EES12_IbLb1EEEEDaSY_SZ_EUlSY_E_NS1_11comp_targetILNS1_3genE10ELNS1_11target_archE1201ELNS1_3gpuE5ELNS1_3repE0EEENS1_30default_config_static_selectorELNS0_4arch9wavefront6targetE0EEEvT1_,"axG",@progbits,_ZN7rocprim17ROCPRIM_400000_NS6detail17trampoline_kernelINS0_14default_configENS1_27scan_by_key_config_selectorIijEEZZNS1_16scan_by_key_implILNS1_25lookback_scan_determinismE0ELb0ES3_N6thrust23THRUST_200600_302600_NS6detail15normal_iteratorINS9_10device_ptrIiEEEENSB_INSC_IjEEEENSB_INSC_IfEEEEjNS9_4plusIvEENS9_8equal_toIvEEjEE10hipError_tPvRmT2_T3_T4_T5_mT6_T7_P12ihipStream_tbENKUlT_T0_E_clISt17integral_constantIbLb0EES12_IbLb1EEEEDaSY_SZ_EUlSY_E_NS1_11comp_targetILNS1_3genE10ELNS1_11target_archE1201ELNS1_3gpuE5ELNS1_3repE0EEENS1_30default_config_static_selectorELNS0_4arch9wavefront6targetE0EEEvT1_,comdat
	.protected	_ZN7rocprim17ROCPRIM_400000_NS6detail17trampoline_kernelINS0_14default_configENS1_27scan_by_key_config_selectorIijEEZZNS1_16scan_by_key_implILNS1_25lookback_scan_determinismE0ELb0ES3_N6thrust23THRUST_200600_302600_NS6detail15normal_iteratorINS9_10device_ptrIiEEEENSB_INSC_IjEEEENSB_INSC_IfEEEEjNS9_4plusIvEENS9_8equal_toIvEEjEE10hipError_tPvRmT2_T3_T4_T5_mT6_T7_P12ihipStream_tbENKUlT_T0_E_clISt17integral_constantIbLb0EES12_IbLb1EEEEDaSY_SZ_EUlSY_E_NS1_11comp_targetILNS1_3genE10ELNS1_11target_archE1201ELNS1_3gpuE5ELNS1_3repE0EEENS1_30default_config_static_selectorELNS0_4arch9wavefront6targetE0EEEvT1_ ; -- Begin function _ZN7rocprim17ROCPRIM_400000_NS6detail17trampoline_kernelINS0_14default_configENS1_27scan_by_key_config_selectorIijEEZZNS1_16scan_by_key_implILNS1_25lookback_scan_determinismE0ELb0ES3_N6thrust23THRUST_200600_302600_NS6detail15normal_iteratorINS9_10device_ptrIiEEEENSB_INSC_IjEEEENSB_INSC_IfEEEEjNS9_4plusIvEENS9_8equal_toIvEEjEE10hipError_tPvRmT2_T3_T4_T5_mT6_T7_P12ihipStream_tbENKUlT_T0_E_clISt17integral_constantIbLb0EES12_IbLb1EEEEDaSY_SZ_EUlSY_E_NS1_11comp_targetILNS1_3genE10ELNS1_11target_archE1201ELNS1_3gpuE5ELNS1_3repE0EEENS1_30default_config_static_selectorELNS0_4arch9wavefront6targetE0EEEvT1_
	.globl	_ZN7rocprim17ROCPRIM_400000_NS6detail17trampoline_kernelINS0_14default_configENS1_27scan_by_key_config_selectorIijEEZZNS1_16scan_by_key_implILNS1_25lookback_scan_determinismE0ELb0ES3_N6thrust23THRUST_200600_302600_NS6detail15normal_iteratorINS9_10device_ptrIiEEEENSB_INSC_IjEEEENSB_INSC_IfEEEEjNS9_4plusIvEENS9_8equal_toIvEEjEE10hipError_tPvRmT2_T3_T4_T5_mT6_T7_P12ihipStream_tbENKUlT_T0_E_clISt17integral_constantIbLb0EES12_IbLb1EEEEDaSY_SZ_EUlSY_E_NS1_11comp_targetILNS1_3genE10ELNS1_11target_archE1201ELNS1_3gpuE5ELNS1_3repE0EEENS1_30default_config_static_selectorELNS0_4arch9wavefront6targetE0EEEvT1_
	.p2align	8
	.type	_ZN7rocprim17ROCPRIM_400000_NS6detail17trampoline_kernelINS0_14default_configENS1_27scan_by_key_config_selectorIijEEZZNS1_16scan_by_key_implILNS1_25lookback_scan_determinismE0ELb0ES3_N6thrust23THRUST_200600_302600_NS6detail15normal_iteratorINS9_10device_ptrIiEEEENSB_INSC_IjEEEENSB_INSC_IfEEEEjNS9_4plusIvEENS9_8equal_toIvEEjEE10hipError_tPvRmT2_T3_T4_T5_mT6_T7_P12ihipStream_tbENKUlT_T0_E_clISt17integral_constantIbLb0EES12_IbLb1EEEEDaSY_SZ_EUlSY_E_NS1_11comp_targetILNS1_3genE10ELNS1_11target_archE1201ELNS1_3gpuE5ELNS1_3repE0EEENS1_30default_config_static_selectorELNS0_4arch9wavefront6targetE0EEEvT1_,@function
_ZN7rocprim17ROCPRIM_400000_NS6detail17trampoline_kernelINS0_14default_configENS1_27scan_by_key_config_selectorIijEEZZNS1_16scan_by_key_implILNS1_25lookback_scan_determinismE0ELb0ES3_N6thrust23THRUST_200600_302600_NS6detail15normal_iteratorINS9_10device_ptrIiEEEENSB_INSC_IjEEEENSB_INSC_IfEEEEjNS9_4plusIvEENS9_8equal_toIvEEjEE10hipError_tPvRmT2_T3_T4_T5_mT6_T7_P12ihipStream_tbENKUlT_T0_E_clISt17integral_constantIbLb0EES12_IbLb1EEEEDaSY_SZ_EUlSY_E_NS1_11comp_targetILNS1_3genE10ELNS1_11target_archE1201ELNS1_3gpuE5ELNS1_3repE0EEENS1_30default_config_static_selectorELNS0_4arch9wavefront6targetE0EEEvT1_: ; @_ZN7rocprim17ROCPRIM_400000_NS6detail17trampoline_kernelINS0_14default_configENS1_27scan_by_key_config_selectorIijEEZZNS1_16scan_by_key_implILNS1_25lookback_scan_determinismE0ELb0ES3_N6thrust23THRUST_200600_302600_NS6detail15normal_iteratorINS9_10device_ptrIiEEEENSB_INSC_IjEEEENSB_INSC_IfEEEEjNS9_4plusIvEENS9_8equal_toIvEEjEE10hipError_tPvRmT2_T3_T4_T5_mT6_T7_P12ihipStream_tbENKUlT_T0_E_clISt17integral_constantIbLb0EES12_IbLb1EEEEDaSY_SZ_EUlSY_E_NS1_11comp_targetILNS1_3genE10ELNS1_11target_archE1201ELNS1_3gpuE5ELNS1_3repE0EEENS1_30default_config_static_selectorELNS0_4arch9wavefront6targetE0EEEvT1_
; %bb.0:
	.section	.rodata,"a",@progbits
	.p2align	6, 0x0
	.amdhsa_kernel _ZN7rocprim17ROCPRIM_400000_NS6detail17trampoline_kernelINS0_14default_configENS1_27scan_by_key_config_selectorIijEEZZNS1_16scan_by_key_implILNS1_25lookback_scan_determinismE0ELb0ES3_N6thrust23THRUST_200600_302600_NS6detail15normal_iteratorINS9_10device_ptrIiEEEENSB_INSC_IjEEEENSB_INSC_IfEEEEjNS9_4plusIvEENS9_8equal_toIvEEjEE10hipError_tPvRmT2_T3_T4_T5_mT6_T7_P12ihipStream_tbENKUlT_T0_E_clISt17integral_constantIbLb0EES12_IbLb1EEEEDaSY_SZ_EUlSY_E_NS1_11comp_targetILNS1_3genE10ELNS1_11target_archE1201ELNS1_3gpuE5ELNS1_3repE0EEENS1_30default_config_static_selectorELNS0_4arch9wavefront6targetE0EEEvT1_
		.amdhsa_group_segment_fixed_size 0
		.amdhsa_private_segment_fixed_size 0
		.amdhsa_kernarg_size 112
		.amdhsa_user_sgpr_count 6
		.amdhsa_user_sgpr_private_segment_buffer 1
		.amdhsa_user_sgpr_dispatch_ptr 0
		.amdhsa_user_sgpr_queue_ptr 0
		.amdhsa_user_sgpr_kernarg_segment_ptr 1
		.amdhsa_user_sgpr_dispatch_id 0
		.amdhsa_user_sgpr_flat_scratch_init 0
		.amdhsa_user_sgpr_private_segment_size 0
		.amdhsa_wavefront_size32 1
		.amdhsa_uses_dynamic_stack 0
		.amdhsa_system_sgpr_private_segment_wavefront_offset 0
		.amdhsa_system_sgpr_workgroup_id_x 1
		.amdhsa_system_sgpr_workgroup_id_y 0
		.amdhsa_system_sgpr_workgroup_id_z 0
		.amdhsa_system_sgpr_workgroup_info 0
		.amdhsa_system_vgpr_workitem_id 0
		.amdhsa_next_free_vgpr 1
		.amdhsa_next_free_sgpr 1
		.amdhsa_reserve_vcc 0
		.amdhsa_reserve_flat_scratch 0
		.amdhsa_float_round_mode_32 0
		.amdhsa_float_round_mode_16_64 0
		.amdhsa_float_denorm_mode_32 3
		.amdhsa_float_denorm_mode_16_64 3
		.amdhsa_dx10_clamp 1
		.amdhsa_ieee_mode 1
		.amdhsa_fp16_overflow 0
		.amdhsa_workgroup_processor_mode 1
		.amdhsa_memory_ordered 1
		.amdhsa_forward_progress 1
		.amdhsa_shared_vgpr_count 0
		.amdhsa_exception_fp_ieee_invalid_op 0
		.amdhsa_exception_fp_denorm_src 0
		.amdhsa_exception_fp_ieee_div_zero 0
		.amdhsa_exception_fp_ieee_overflow 0
		.amdhsa_exception_fp_ieee_underflow 0
		.amdhsa_exception_fp_ieee_inexact 0
		.amdhsa_exception_int_div_zero 0
	.end_amdhsa_kernel
	.section	.text._ZN7rocprim17ROCPRIM_400000_NS6detail17trampoline_kernelINS0_14default_configENS1_27scan_by_key_config_selectorIijEEZZNS1_16scan_by_key_implILNS1_25lookback_scan_determinismE0ELb0ES3_N6thrust23THRUST_200600_302600_NS6detail15normal_iteratorINS9_10device_ptrIiEEEENSB_INSC_IjEEEENSB_INSC_IfEEEEjNS9_4plusIvEENS9_8equal_toIvEEjEE10hipError_tPvRmT2_T3_T4_T5_mT6_T7_P12ihipStream_tbENKUlT_T0_E_clISt17integral_constantIbLb0EES12_IbLb1EEEEDaSY_SZ_EUlSY_E_NS1_11comp_targetILNS1_3genE10ELNS1_11target_archE1201ELNS1_3gpuE5ELNS1_3repE0EEENS1_30default_config_static_selectorELNS0_4arch9wavefront6targetE0EEEvT1_,"axG",@progbits,_ZN7rocprim17ROCPRIM_400000_NS6detail17trampoline_kernelINS0_14default_configENS1_27scan_by_key_config_selectorIijEEZZNS1_16scan_by_key_implILNS1_25lookback_scan_determinismE0ELb0ES3_N6thrust23THRUST_200600_302600_NS6detail15normal_iteratorINS9_10device_ptrIiEEEENSB_INSC_IjEEEENSB_INSC_IfEEEEjNS9_4plusIvEENS9_8equal_toIvEEjEE10hipError_tPvRmT2_T3_T4_T5_mT6_T7_P12ihipStream_tbENKUlT_T0_E_clISt17integral_constantIbLb0EES12_IbLb1EEEEDaSY_SZ_EUlSY_E_NS1_11comp_targetILNS1_3genE10ELNS1_11target_archE1201ELNS1_3gpuE5ELNS1_3repE0EEENS1_30default_config_static_selectorELNS0_4arch9wavefront6targetE0EEEvT1_,comdat
.Lfunc_end1672:
	.size	_ZN7rocprim17ROCPRIM_400000_NS6detail17trampoline_kernelINS0_14default_configENS1_27scan_by_key_config_selectorIijEEZZNS1_16scan_by_key_implILNS1_25lookback_scan_determinismE0ELb0ES3_N6thrust23THRUST_200600_302600_NS6detail15normal_iteratorINS9_10device_ptrIiEEEENSB_INSC_IjEEEENSB_INSC_IfEEEEjNS9_4plusIvEENS9_8equal_toIvEEjEE10hipError_tPvRmT2_T3_T4_T5_mT6_T7_P12ihipStream_tbENKUlT_T0_E_clISt17integral_constantIbLb0EES12_IbLb1EEEEDaSY_SZ_EUlSY_E_NS1_11comp_targetILNS1_3genE10ELNS1_11target_archE1201ELNS1_3gpuE5ELNS1_3repE0EEENS1_30default_config_static_selectorELNS0_4arch9wavefront6targetE0EEEvT1_, .Lfunc_end1672-_ZN7rocprim17ROCPRIM_400000_NS6detail17trampoline_kernelINS0_14default_configENS1_27scan_by_key_config_selectorIijEEZZNS1_16scan_by_key_implILNS1_25lookback_scan_determinismE0ELb0ES3_N6thrust23THRUST_200600_302600_NS6detail15normal_iteratorINS9_10device_ptrIiEEEENSB_INSC_IjEEEENSB_INSC_IfEEEEjNS9_4plusIvEENS9_8equal_toIvEEjEE10hipError_tPvRmT2_T3_T4_T5_mT6_T7_P12ihipStream_tbENKUlT_T0_E_clISt17integral_constantIbLb0EES12_IbLb1EEEEDaSY_SZ_EUlSY_E_NS1_11comp_targetILNS1_3genE10ELNS1_11target_archE1201ELNS1_3gpuE5ELNS1_3repE0EEENS1_30default_config_static_selectorELNS0_4arch9wavefront6targetE0EEEvT1_
                                        ; -- End function
	.set _ZN7rocprim17ROCPRIM_400000_NS6detail17trampoline_kernelINS0_14default_configENS1_27scan_by_key_config_selectorIijEEZZNS1_16scan_by_key_implILNS1_25lookback_scan_determinismE0ELb0ES3_N6thrust23THRUST_200600_302600_NS6detail15normal_iteratorINS9_10device_ptrIiEEEENSB_INSC_IjEEEENSB_INSC_IfEEEEjNS9_4plusIvEENS9_8equal_toIvEEjEE10hipError_tPvRmT2_T3_T4_T5_mT6_T7_P12ihipStream_tbENKUlT_T0_E_clISt17integral_constantIbLb0EES12_IbLb1EEEEDaSY_SZ_EUlSY_E_NS1_11comp_targetILNS1_3genE10ELNS1_11target_archE1201ELNS1_3gpuE5ELNS1_3repE0EEENS1_30default_config_static_selectorELNS0_4arch9wavefront6targetE0EEEvT1_.num_vgpr, 0
	.set _ZN7rocprim17ROCPRIM_400000_NS6detail17trampoline_kernelINS0_14default_configENS1_27scan_by_key_config_selectorIijEEZZNS1_16scan_by_key_implILNS1_25lookback_scan_determinismE0ELb0ES3_N6thrust23THRUST_200600_302600_NS6detail15normal_iteratorINS9_10device_ptrIiEEEENSB_INSC_IjEEEENSB_INSC_IfEEEEjNS9_4plusIvEENS9_8equal_toIvEEjEE10hipError_tPvRmT2_T3_T4_T5_mT6_T7_P12ihipStream_tbENKUlT_T0_E_clISt17integral_constantIbLb0EES12_IbLb1EEEEDaSY_SZ_EUlSY_E_NS1_11comp_targetILNS1_3genE10ELNS1_11target_archE1201ELNS1_3gpuE5ELNS1_3repE0EEENS1_30default_config_static_selectorELNS0_4arch9wavefront6targetE0EEEvT1_.num_agpr, 0
	.set _ZN7rocprim17ROCPRIM_400000_NS6detail17trampoline_kernelINS0_14default_configENS1_27scan_by_key_config_selectorIijEEZZNS1_16scan_by_key_implILNS1_25lookback_scan_determinismE0ELb0ES3_N6thrust23THRUST_200600_302600_NS6detail15normal_iteratorINS9_10device_ptrIiEEEENSB_INSC_IjEEEENSB_INSC_IfEEEEjNS9_4plusIvEENS9_8equal_toIvEEjEE10hipError_tPvRmT2_T3_T4_T5_mT6_T7_P12ihipStream_tbENKUlT_T0_E_clISt17integral_constantIbLb0EES12_IbLb1EEEEDaSY_SZ_EUlSY_E_NS1_11comp_targetILNS1_3genE10ELNS1_11target_archE1201ELNS1_3gpuE5ELNS1_3repE0EEENS1_30default_config_static_selectorELNS0_4arch9wavefront6targetE0EEEvT1_.numbered_sgpr, 0
	.set _ZN7rocprim17ROCPRIM_400000_NS6detail17trampoline_kernelINS0_14default_configENS1_27scan_by_key_config_selectorIijEEZZNS1_16scan_by_key_implILNS1_25lookback_scan_determinismE0ELb0ES3_N6thrust23THRUST_200600_302600_NS6detail15normal_iteratorINS9_10device_ptrIiEEEENSB_INSC_IjEEEENSB_INSC_IfEEEEjNS9_4plusIvEENS9_8equal_toIvEEjEE10hipError_tPvRmT2_T3_T4_T5_mT6_T7_P12ihipStream_tbENKUlT_T0_E_clISt17integral_constantIbLb0EES12_IbLb1EEEEDaSY_SZ_EUlSY_E_NS1_11comp_targetILNS1_3genE10ELNS1_11target_archE1201ELNS1_3gpuE5ELNS1_3repE0EEENS1_30default_config_static_selectorELNS0_4arch9wavefront6targetE0EEEvT1_.num_named_barrier, 0
	.set _ZN7rocprim17ROCPRIM_400000_NS6detail17trampoline_kernelINS0_14default_configENS1_27scan_by_key_config_selectorIijEEZZNS1_16scan_by_key_implILNS1_25lookback_scan_determinismE0ELb0ES3_N6thrust23THRUST_200600_302600_NS6detail15normal_iteratorINS9_10device_ptrIiEEEENSB_INSC_IjEEEENSB_INSC_IfEEEEjNS9_4plusIvEENS9_8equal_toIvEEjEE10hipError_tPvRmT2_T3_T4_T5_mT6_T7_P12ihipStream_tbENKUlT_T0_E_clISt17integral_constantIbLb0EES12_IbLb1EEEEDaSY_SZ_EUlSY_E_NS1_11comp_targetILNS1_3genE10ELNS1_11target_archE1201ELNS1_3gpuE5ELNS1_3repE0EEENS1_30default_config_static_selectorELNS0_4arch9wavefront6targetE0EEEvT1_.private_seg_size, 0
	.set _ZN7rocprim17ROCPRIM_400000_NS6detail17trampoline_kernelINS0_14default_configENS1_27scan_by_key_config_selectorIijEEZZNS1_16scan_by_key_implILNS1_25lookback_scan_determinismE0ELb0ES3_N6thrust23THRUST_200600_302600_NS6detail15normal_iteratorINS9_10device_ptrIiEEEENSB_INSC_IjEEEENSB_INSC_IfEEEEjNS9_4plusIvEENS9_8equal_toIvEEjEE10hipError_tPvRmT2_T3_T4_T5_mT6_T7_P12ihipStream_tbENKUlT_T0_E_clISt17integral_constantIbLb0EES12_IbLb1EEEEDaSY_SZ_EUlSY_E_NS1_11comp_targetILNS1_3genE10ELNS1_11target_archE1201ELNS1_3gpuE5ELNS1_3repE0EEENS1_30default_config_static_selectorELNS0_4arch9wavefront6targetE0EEEvT1_.uses_vcc, 0
	.set _ZN7rocprim17ROCPRIM_400000_NS6detail17trampoline_kernelINS0_14default_configENS1_27scan_by_key_config_selectorIijEEZZNS1_16scan_by_key_implILNS1_25lookback_scan_determinismE0ELb0ES3_N6thrust23THRUST_200600_302600_NS6detail15normal_iteratorINS9_10device_ptrIiEEEENSB_INSC_IjEEEENSB_INSC_IfEEEEjNS9_4plusIvEENS9_8equal_toIvEEjEE10hipError_tPvRmT2_T3_T4_T5_mT6_T7_P12ihipStream_tbENKUlT_T0_E_clISt17integral_constantIbLb0EES12_IbLb1EEEEDaSY_SZ_EUlSY_E_NS1_11comp_targetILNS1_3genE10ELNS1_11target_archE1201ELNS1_3gpuE5ELNS1_3repE0EEENS1_30default_config_static_selectorELNS0_4arch9wavefront6targetE0EEEvT1_.uses_flat_scratch, 0
	.set _ZN7rocprim17ROCPRIM_400000_NS6detail17trampoline_kernelINS0_14default_configENS1_27scan_by_key_config_selectorIijEEZZNS1_16scan_by_key_implILNS1_25lookback_scan_determinismE0ELb0ES3_N6thrust23THRUST_200600_302600_NS6detail15normal_iteratorINS9_10device_ptrIiEEEENSB_INSC_IjEEEENSB_INSC_IfEEEEjNS9_4plusIvEENS9_8equal_toIvEEjEE10hipError_tPvRmT2_T3_T4_T5_mT6_T7_P12ihipStream_tbENKUlT_T0_E_clISt17integral_constantIbLb0EES12_IbLb1EEEEDaSY_SZ_EUlSY_E_NS1_11comp_targetILNS1_3genE10ELNS1_11target_archE1201ELNS1_3gpuE5ELNS1_3repE0EEENS1_30default_config_static_selectorELNS0_4arch9wavefront6targetE0EEEvT1_.has_dyn_sized_stack, 0
	.set _ZN7rocprim17ROCPRIM_400000_NS6detail17trampoline_kernelINS0_14default_configENS1_27scan_by_key_config_selectorIijEEZZNS1_16scan_by_key_implILNS1_25lookback_scan_determinismE0ELb0ES3_N6thrust23THRUST_200600_302600_NS6detail15normal_iteratorINS9_10device_ptrIiEEEENSB_INSC_IjEEEENSB_INSC_IfEEEEjNS9_4plusIvEENS9_8equal_toIvEEjEE10hipError_tPvRmT2_T3_T4_T5_mT6_T7_P12ihipStream_tbENKUlT_T0_E_clISt17integral_constantIbLb0EES12_IbLb1EEEEDaSY_SZ_EUlSY_E_NS1_11comp_targetILNS1_3genE10ELNS1_11target_archE1201ELNS1_3gpuE5ELNS1_3repE0EEENS1_30default_config_static_selectorELNS0_4arch9wavefront6targetE0EEEvT1_.has_recursion, 0
	.set _ZN7rocprim17ROCPRIM_400000_NS6detail17trampoline_kernelINS0_14default_configENS1_27scan_by_key_config_selectorIijEEZZNS1_16scan_by_key_implILNS1_25lookback_scan_determinismE0ELb0ES3_N6thrust23THRUST_200600_302600_NS6detail15normal_iteratorINS9_10device_ptrIiEEEENSB_INSC_IjEEEENSB_INSC_IfEEEEjNS9_4plusIvEENS9_8equal_toIvEEjEE10hipError_tPvRmT2_T3_T4_T5_mT6_T7_P12ihipStream_tbENKUlT_T0_E_clISt17integral_constantIbLb0EES12_IbLb1EEEEDaSY_SZ_EUlSY_E_NS1_11comp_targetILNS1_3genE10ELNS1_11target_archE1201ELNS1_3gpuE5ELNS1_3repE0EEENS1_30default_config_static_selectorELNS0_4arch9wavefront6targetE0EEEvT1_.has_indirect_call, 0
	.section	.AMDGPU.csdata,"",@progbits
; Kernel info:
; codeLenInByte = 0
; TotalNumSgprs: 0
; NumVgprs: 0
; ScratchSize: 0
; MemoryBound: 0
; FloatMode: 240
; IeeeMode: 1
; LDSByteSize: 0 bytes/workgroup (compile time only)
; SGPRBlocks: 0
; VGPRBlocks: 0
; NumSGPRsForWavesPerEU: 1
; NumVGPRsForWavesPerEU: 1
; Occupancy: 16
; WaveLimiterHint : 0
; COMPUTE_PGM_RSRC2:SCRATCH_EN: 0
; COMPUTE_PGM_RSRC2:USER_SGPR: 6
; COMPUTE_PGM_RSRC2:TRAP_HANDLER: 0
; COMPUTE_PGM_RSRC2:TGID_X_EN: 1
; COMPUTE_PGM_RSRC2:TGID_Y_EN: 0
; COMPUTE_PGM_RSRC2:TGID_Z_EN: 0
; COMPUTE_PGM_RSRC2:TIDIG_COMP_CNT: 0
	.section	.text._ZN7rocprim17ROCPRIM_400000_NS6detail17trampoline_kernelINS0_14default_configENS1_27scan_by_key_config_selectorIijEEZZNS1_16scan_by_key_implILNS1_25lookback_scan_determinismE0ELb0ES3_N6thrust23THRUST_200600_302600_NS6detail15normal_iteratorINS9_10device_ptrIiEEEENSB_INSC_IjEEEENSB_INSC_IfEEEEjNS9_4plusIvEENS9_8equal_toIvEEjEE10hipError_tPvRmT2_T3_T4_T5_mT6_T7_P12ihipStream_tbENKUlT_T0_E_clISt17integral_constantIbLb0EES12_IbLb1EEEEDaSY_SZ_EUlSY_E_NS1_11comp_targetILNS1_3genE5ELNS1_11target_archE942ELNS1_3gpuE9ELNS1_3repE0EEENS1_30default_config_static_selectorELNS0_4arch9wavefront6targetE0EEEvT1_,"axG",@progbits,_ZN7rocprim17ROCPRIM_400000_NS6detail17trampoline_kernelINS0_14default_configENS1_27scan_by_key_config_selectorIijEEZZNS1_16scan_by_key_implILNS1_25lookback_scan_determinismE0ELb0ES3_N6thrust23THRUST_200600_302600_NS6detail15normal_iteratorINS9_10device_ptrIiEEEENSB_INSC_IjEEEENSB_INSC_IfEEEEjNS9_4plusIvEENS9_8equal_toIvEEjEE10hipError_tPvRmT2_T3_T4_T5_mT6_T7_P12ihipStream_tbENKUlT_T0_E_clISt17integral_constantIbLb0EES12_IbLb1EEEEDaSY_SZ_EUlSY_E_NS1_11comp_targetILNS1_3genE5ELNS1_11target_archE942ELNS1_3gpuE9ELNS1_3repE0EEENS1_30default_config_static_selectorELNS0_4arch9wavefront6targetE0EEEvT1_,comdat
	.protected	_ZN7rocprim17ROCPRIM_400000_NS6detail17trampoline_kernelINS0_14default_configENS1_27scan_by_key_config_selectorIijEEZZNS1_16scan_by_key_implILNS1_25lookback_scan_determinismE0ELb0ES3_N6thrust23THRUST_200600_302600_NS6detail15normal_iteratorINS9_10device_ptrIiEEEENSB_INSC_IjEEEENSB_INSC_IfEEEEjNS9_4plusIvEENS9_8equal_toIvEEjEE10hipError_tPvRmT2_T3_T4_T5_mT6_T7_P12ihipStream_tbENKUlT_T0_E_clISt17integral_constantIbLb0EES12_IbLb1EEEEDaSY_SZ_EUlSY_E_NS1_11comp_targetILNS1_3genE5ELNS1_11target_archE942ELNS1_3gpuE9ELNS1_3repE0EEENS1_30default_config_static_selectorELNS0_4arch9wavefront6targetE0EEEvT1_ ; -- Begin function _ZN7rocprim17ROCPRIM_400000_NS6detail17trampoline_kernelINS0_14default_configENS1_27scan_by_key_config_selectorIijEEZZNS1_16scan_by_key_implILNS1_25lookback_scan_determinismE0ELb0ES3_N6thrust23THRUST_200600_302600_NS6detail15normal_iteratorINS9_10device_ptrIiEEEENSB_INSC_IjEEEENSB_INSC_IfEEEEjNS9_4plusIvEENS9_8equal_toIvEEjEE10hipError_tPvRmT2_T3_T4_T5_mT6_T7_P12ihipStream_tbENKUlT_T0_E_clISt17integral_constantIbLb0EES12_IbLb1EEEEDaSY_SZ_EUlSY_E_NS1_11comp_targetILNS1_3genE5ELNS1_11target_archE942ELNS1_3gpuE9ELNS1_3repE0EEENS1_30default_config_static_selectorELNS0_4arch9wavefront6targetE0EEEvT1_
	.globl	_ZN7rocprim17ROCPRIM_400000_NS6detail17trampoline_kernelINS0_14default_configENS1_27scan_by_key_config_selectorIijEEZZNS1_16scan_by_key_implILNS1_25lookback_scan_determinismE0ELb0ES3_N6thrust23THRUST_200600_302600_NS6detail15normal_iteratorINS9_10device_ptrIiEEEENSB_INSC_IjEEEENSB_INSC_IfEEEEjNS9_4plusIvEENS9_8equal_toIvEEjEE10hipError_tPvRmT2_T3_T4_T5_mT6_T7_P12ihipStream_tbENKUlT_T0_E_clISt17integral_constantIbLb0EES12_IbLb1EEEEDaSY_SZ_EUlSY_E_NS1_11comp_targetILNS1_3genE5ELNS1_11target_archE942ELNS1_3gpuE9ELNS1_3repE0EEENS1_30default_config_static_selectorELNS0_4arch9wavefront6targetE0EEEvT1_
	.p2align	8
	.type	_ZN7rocprim17ROCPRIM_400000_NS6detail17trampoline_kernelINS0_14default_configENS1_27scan_by_key_config_selectorIijEEZZNS1_16scan_by_key_implILNS1_25lookback_scan_determinismE0ELb0ES3_N6thrust23THRUST_200600_302600_NS6detail15normal_iteratorINS9_10device_ptrIiEEEENSB_INSC_IjEEEENSB_INSC_IfEEEEjNS9_4plusIvEENS9_8equal_toIvEEjEE10hipError_tPvRmT2_T3_T4_T5_mT6_T7_P12ihipStream_tbENKUlT_T0_E_clISt17integral_constantIbLb0EES12_IbLb1EEEEDaSY_SZ_EUlSY_E_NS1_11comp_targetILNS1_3genE5ELNS1_11target_archE942ELNS1_3gpuE9ELNS1_3repE0EEENS1_30default_config_static_selectorELNS0_4arch9wavefront6targetE0EEEvT1_,@function
_ZN7rocprim17ROCPRIM_400000_NS6detail17trampoline_kernelINS0_14default_configENS1_27scan_by_key_config_selectorIijEEZZNS1_16scan_by_key_implILNS1_25lookback_scan_determinismE0ELb0ES3_N6thrust23THRUST_200600_302600_NS6detail15normal_iteratorINS9_10device_ptrIiEEEENSB_INSC_IjEEEENSB_INSC_IfEEEEjNS9_4plusIvEENS9_8equal_toIvEEjEE10hipError_tPvRmT2_T3_T4_T5_mT6_T7_P12ihipStream_tbENKUlT_T0_E_clISt17integral_constantIbLb0EES12_IbLb1EEEEDaSY_SZ_EUlSY_E_NS1_11comp_targetILNS1_3genE5ELNS1_11target_archE942ELNS1_3gpuE9ELNS1_3repE0EEENS1_30default_config_static_selectorELNS0_4arch9wavefront6targetE0EEEvT1_: ; @_ZN7rocprim17ROCPRIM_400000_NS6detail17trampoline_kernelINS0_14default_configENS1_27scan_by_key_config_selectorIijEEZZNS1_16scan_by_key_implILNS1_25lookback_scan_determinismE0ELb0ES3_N6thrust23THRUST_200600_302600_NS6detail15normal_iteratorINS9_10device_ptrIiEEEENSB_INSC_IjEEEENSB_INSC_IfEEEEjNS9_4plusIvEENS9_8equal_toIvEEjEE10hipError_tPvRmT2_T3_T4_T5_mT6_T7_P12ihipStream_tbENKUlT_T0_E_clISt17integral_constantIbLb0EES12_IbLb1EEEEDaSY_SZ_EUlSY_E_NS1_11comp_targetILNS1_3genE5ELNS1_11target_archE942ELNS1_3gpuE9ELNS1_3repE0EEENS1_30default_config_static_selectorELNS0_4arch9wavefront6targetE0EEEvT1_
; %bb.0:
	.section	.rodata,"a",@progbits
	.p2align	6, 0x0
	.amdhsa_kernel _ZN7rocprim17ROCPRIM_400000_NS6detail17trampoline_kernelINS0_14default_configENS1_27scan_by_key_config_selectorIijEEZZNS1_16scan_by_key_implILNS1_25lookback_scan_determinismE0ELb0ES3_N6thrust23THRUST_200600_302600_NS6detail15normal_iteratorINS9_10device_ptrIiEEEENSB_INSC_IjEEEENSB_INSC_IfEEEEjNS9_4plusIvEENS9_8equal_toIvEEjEE10hipError_tPvRmT2_T3_T4_T5_mT6_T7_P12ihipStream_tbENKUlT_T0_E_clISt17integral_constantIbLb0EES12_IbLb1EEEEDaSY_SZ_EUlSY_E_NS1_11comp_targetILNS1_3genE5ELNS1_11target_archE942ELNS1_3gpuE9ELNS1_3repE0EEENS1_30default_config_static_selectorELNS0_4arch9wavefront6targetE0EEEvT1_
		.amdhsa_group_segment_fixed_size 0
		.amdhsa_private_segment_fixed_size 0
		.amdhsa_kernarg_size 112
		.amdhsa_user_sgpr_count 6
		.amdhsa_user_sgpr_private_segment_buffer 1
		.amdhsa_user_sgpr_dispatch_ptr 0
		.amdhsa_user_sgpr_queue_ptr 0
		.amdhsa_user_sgpr_kernarg_segment_ptr 1
		.amdhsa_user_sgpr_dispatch_id 0
		.amdhsa_user_sgpr_flat_scratch_init 0
		.amdhsa_user_sgpr_private_segment_size 0
		.amdhsa_wavefront_size32 1
		.amdhsa_uses_dynamic_stack 0
		.amdhsa_system_sgpr_private_segment_wavefront_offset 0
		.amdhsa_system_sgpr_workgroup_id_x 1
		.amdhsa_system_sgpr_workgroup_id_y 0
		.amdhsa_system_sgpr_workgroup_id_z 0
		.amdhsa_system_sgpr_workgroup_info 0
		.amdhsa_system_vgpr_workitem_id 0
		.amdhsa_next_free_vgpr 1
		.amdhsa_next_free_sgpr 1
		.amdhsa_reserve_vcc 0
		.amdhsa_reserve_flat_scratch 0
		.amdhsa_float_round_mode_32 0
		.amdhsa_float_round_mode_16_64 0
		.amdhsa_float_denorm_mode_32 3
		.amdhsa_float_denorm_mode_16_64 3
		.amdhsa_dx10_clamp 1
		.amdhsa_ieee_mode 1
		.amdhsa_fp16_overflow 0
		.amdhsa_workgroup_processor_mode 1
		.amdhsa_memory_ordered 1
		.amdhsa_forward_progress 1
		.amdhsa_shared_vgpr_count 0
		.amdhsa_exception_fp_ieee_invalid_op 0
		.amdhsa_exception_fp_denorm_src 0
		.amdhsa_exception_fp_ieee_div_zero 0
		.amdhsa_exception_fp_ieee_overflow 0
		.amdhsa_exception_fp_ieee_underflow 0
		.amdhsa_exception_fp_ieee_inexact 0
		.amdhsa_exception_int_div_zero 0
	.end_amdhsa_kernel
	.section	.text._ZN7rocprim17ROCPRIM_400000_NS6detail17trampoline_kernelINS0_14default_configENS1_27scan_by_key_config_selectorIijEEZZNS1_16scan_by_key_implILNS1_25lookback_scan_determinismE0ELb0ES3_N6thrust23THRUST_200600_302600_NS6detail15normal_iteratorINS9_10device_ptrIiEEEENSB_INSC_IjEEEENSB_INSC_IfEEEEjNS9_4plusIvEENS9_8equal_toIvEEjEE10hipError_tPvRmT2_T3_T4_T5_mT6_T7_P12ihipStream_tbENKUlT_T0_E_clISt17integral_constantIbLb0EES12_IbLb1EEEEDaSY_SZ_EUlSY_E_NS1_11comp_targetILNS1_3genE5ELNS1_11target_archE942ELNS1_3gpuE9ELNS1_3repE0EEENS1_30default_config_static_selectorELNS0_4arch9wavefront6targetE0EEEvT1_,"axG",@progbits,_ZN7rocprim17ROCPRIM_400000_NS6detail17trampoline_kernelINS0_14default_configENS1_27scan_by_key_config_selectorIijEEZZNS1_16scan_by_key_implILNS1_25lookback_scan_determinismE0ELb0ES3_N6thrust23THRUST_200600_302600_NS6detail15normal_iteratorINS9_10device_ptrIiEEEENSB_INSC_IjEEEENSB_INSC_IfEEEEjNS9_4plusIvEENS9_8equal_toIvEEjEE10hipError_tPvRmT2_T3_T4_T5_mT6_T7_P12ihipStream_tbENKUlT_T0_E_clISt17integral_constantIbLb0EES12_IbLb1EEEEDaSY_SZ_EUlSY_E_NS1_11comp_targetILNS1_3genE5ELNS1_11target_archE942ELNS1_3gpuE9ELNS1_3repE0EEENS1_30default_config_static_selectorELNS0_4arch9wavefront6targetE0EEEvT1_,comdat
.Lfunc_end1673:
	.size	_ZN7rocprim17ROCPRIM_400000_NS6detail17trampoline_kernelINS0_14default_configENS1_27scan_by_key_config_selectorIijEEZZNS1_16scan_by_key_implILNS1_25lookback_scan_determinismE0ELb0ES3_N6thrust23THRUST_200600_302600_NS6detail15normal_iteratorINS9_10device_ptrIiEEEENSB_INSC_IjEEEENSB_INSC_IfEEEEjNS9_4plusIvEENS9_8equal_toIvEEjEE10hipError_tPvRmT2_T3_T4_T5_mT6_T7_P12ihipStream_tbENKUlT_T0_E_clISt17integral_constantIbLb0EES12_IbLb1EEEEDaSY_SZ_EUlSY_E_NS1_11comp_targetILNS1_3genE5ELNS1_11target_archE942ELNS1_3gpuE9ELNS1_3repE0EEENS1_30default_config_static_selectorELNS0_4arch9wavefront6targetE0EEEvT1_, .Lfunc_end1673-_ZN7rocprim17ROCPRIM_400000_NS6detail17trampoline_kernelINS0_14default_configENS1_27scan_by_key_config_selectorIijEEZZNS1_16scan_by_key_implILNS1_25lookback_scan_determinismE0ELb0ES3_N6thrust23THRUST_200600_302600_NS6detail15normal_iteratorINS9_10device_ptrIiEEEENSB_INSC_IjEEEENSB_INSC_IfEEEEjNS9_4plusIvEENS9_8equal_toIvEEjEE10hipError_tPvRmT2_T3_T4_T5_mT6_T7_P12ihipStream_tbENKUlT_T0_E_clISt17integral_constantIbLb0EES12_IbLb1EEEEDaSY_SZ_EUlSY_E_NS1_11comp_targetILNS1_3genE5ELNS1_11target_archE942ELNS1_3gpuE9ELNS1_3repE0EEENS1_30default_config_static_selectorELNS0_4arch9wavefront6targetE0EEEvT1_
                                        ; -- End function
	.set _ZN7rocprim17ROCPRIM_400000_NS6detail17trampoline_kernelINS0_14default_configENS1_27scan_by_key_config_selectorIijEEZZNS1_16scan_by_key_implILNS1_25lookback_scan_determinismE0ELb0ES3_N6thrust23THRUST_200600_302600_NS6detail15normal_iteratorINS9_10device_ptrIiEEEENSB_INSC_IjEEEENSB_INSC_IfEEEEjNS9_4plusIvEENS9_8equal_toIvEEjEE10hipError_tPvRmT2_T3_T4_T5_mT6_T7_P12ihipStream_tbENKUlT_T0_E_clISt17integral_constantIbLb0EES12_IbLb1EEEEDaSY_SZ_EUlSY_E_NS1_11comp_targetILNS1_3genE5ELNS1_11target_archE942ELNS1_3gpuE9ELNS1_3repE0EEENS1_30default_config_static_selectorELNS0_4arch9wavefront6targetE0EEEvT1_.num_vgpr, 0
	.set _ZN7rocprim17ROCPRIM_400000_NS6detail17trampoline_kernelINS0_14default_configENS1_27scan_by_key_config_selectorIijEEZZNS1_16scan_by_key_implILNS1_25lookback_scan_determinismE0ELb0ES3_N6thrust23THRUST_200600_302600_NS6detail15normal_iteratorINS9_10device_ptrIiEEEENSB_INSC_IjEEEENSB_INSC_IfEEEEjNS9_4plusIvEENS9_8equal_toIvEEjEE10hipError_tPvRmT2_T3_T4_T5_mT6_T7_P12ihipStream_tbENKUlT_T0_E_clISt17integral_constantIbLb0EES12_IbLb1EEEEDaSY_SZ_EUlSY_E_NS1_11comp_targetILNS1_3genE5ELNS1_11target_archE942ELNS1_3gpuE9ELNS1_3repE0EEENS1_30default_config_static_selectorELNS0_4arch9wavefront6targetE0EEEvT1_.num_agpr, 0
	.set _ZN7rocprim17ROCPRIM_400000_NS6detail17trampoline_kernelINS0_14default_configENS1_27scan_by_key_config_selectorIijEEZZNS1_16scan_by_key_implILNS1_25lookback_scan_determinismE0ELb0ES3_N6thrust23THRUST_200600_302600_NS6detail15normal_iteratorINS9_10device_ptrIiEEEENSB_INSC_IjEEEENSB_INSC_IfEEEEjNS9_4plusIvEENS9_8equal_toIvEEjEE10hipError_tPvRmT2_T3_T4_T5_mT6_T7_P12ihipStream_tbENKUlT_T0_E_clISt17integral_constantIbLb0EES12_IbLb1EEEEDaSY_SZ_EUlSY_E_NS1_11comp_targetILNS1_3genE5ELNS1_11target_archE942ELNS1_3gpuE9ELNS1_3repE0EEENS1_30default_config_static_selectorELNS0_4arch9wavefront6targetE0EEEvT1_.numbered_sgpr, 0
	.set _ZN7rocprim17ROCPRIM_400000_NS6detail17trampoline_kernelINS0_14default_configENS1_27scan_by_key_config_selectorIijEEZZNS1_16scan_by_key_implILNS1_25lookback_scan_determinismE0ELb0ES3_N6thrust23THRUST_200600_302600_NS6detail15normal_iteratorINS9_10device_ptrIiEEEENSB_INSC_IjEEEENSB_INSC_IfEEEEjNS9_4plusIvEENS9_8equal_toIvEEjEE10hipError_tPvRmT2_T3_T4_T5_mT6_T7_P12ihipStream_tbENKUlT_T0_E_clISt17integral_constantIbLb0EES12_IbLb1EEEEDaSY_SZ_EUlSY_E_NS1_11comp_targetILNS1_3genE5ELNS1_11target_archE942ELNS1_3gpuE9ELNS1_3repE0EEENS1_30default_config_static_selectorELNS0_4arch9wavefront6targetE0EEEvT1_.num_named_barrier, 0
	.set _ZN7rocprim17ROCPRIM_400000_NS6detail17trampoline_kernelINS0_14default_configENS1_27scan_by_key_config_selectorIijEEZZNS1_16scan_by_key_implILNS1_25lookback_scan_determinismE0ELb0ES3_N6thrust23THRUST_200600_302600_NS6detail15normal_iteratorINS9_10device_ptrIiEEEENSB_INSC_IjEEEENSB_INSC_IfEEEEjNS9_4plusIvEENS9_8equal_toIvEEjEE10hipError_tPvRmT2_T3_T4_T5_mT6_T7_P12ihipStream_tbENKUlT_T0_E_clISt17integral_constantIbLb0EES12_IbLb1EEEEDaSY_SZ_EUlSY_E_NS1_11comp_targetILNS1_3genE5ELNS1_11target_archE942ELNS1_3gpuE9ELNS1_3repE0EEENS1_30default_config_static_selectorELNS0_4arch9wavefront6targetE0EEEvT1_.private_seg_size, 0
	.set _ZN7rocprim17ROCPRIM_400000_NS6detail17trampoline_kernelINS0_14default_configENS1_27scan_by_key_config_selectorIijEEZZNS1_16scan_by_key_implILNS1_25lookback_scan_determinismE0ELb0ES3_N6thrust23THRUST_200600_302600_NS6detail15normal_iteratorINS9_10device_ptrIiEEEENSB_INSC_IjEEEENSB_INSC_IfEEEEjNS9_4plusIvEENS9_8equal_toIvEEjEE10hipError_tPvRmT2_T3_T4_T5_mT6_T7_P12ihipStream_tbENKUlT_T0_E_clISt17integral_constantIbLb0EES12_IbLb1EEEEDaSY_SZ_EUlSY_E_NS1_11comp_targetILNS1_3genE5ELNS1_11target_archE942ELNS1_3gpuE9ELNS1_3repE0EEENS1_30default_config_static_selectorELNS0_4arch9wavefront6targetE0EEEvT1_.uses_vcc, 0
	.set _ZN7rocprim17ROCPRIM_400000_NS6detail17trampoline_kernelINS0_14default_configENS1_27scan_by_key_config_selectorIijEEZZNS1_16scan_by_key_implILNS1_25lookback_scan_determinismE0ELb0ES3_N6thrust23THRUST_200600_302600_NS6detail15normal_iteratorINS9_10device_ptrIiEEEENSB_INSC_IjEEEENSB_INSC_IfEEEEjNS9_4plusIvEENS9_8equal_toIvEEjEE10hipError_tPvRmT2_T3_T4_T5_mT6_T7_P12ihipStream_tbENKUlT_T0_E_clISt17integral_constantIbLb0EES12_IbLb1EEEEDaSY_SZ_EUlSY_E_NS1_11comp_targetILNS1_3genE5ELNS1_11target_archE942ELNS1_3gpuE9ELNS1_3repE0EEENS1_30default_config_static_selectorELNS0_4arch9wavefront6targetE0EEEvT1_.uses_flat_scratch, 0
	.set _ZN7rocprim17ROCPRIM_400000_NS6detail17trampoline_kernelINS0_14default_configENS1_27scan_by_key_config_selectorIijEEZZNS1_16scan_by_key_implILNS1_25lookback_scan_determinismE0ELb0ES3_N6thrust23THRUST_200600_302600_NS6detail15normal_iteratorINS9_10device_ptrIiEEEENSB_INSC_IjEEEENSB_INSC_IfEEEEjNS9_4plusIvEENS9_8equal_toIvEEjEE10hipError_tPvRmT2_T3_T4_T5_mT6_T7_P12ihipStream_tbENKUlT_T0_E_clISt17integral_constantIbLb0EES12_IbLb1EEEEDaSY_SZ_EUlSY_E_NS1_11comp_targetILNS1_3genE5ELNS1_11target_archE942ELNS1_3gpuE9ELNS1_3repE0EEENS1_30default_config_static_selectorELNS0_4arch9wavefront6targetE0EEEvT1_.has_dyn_sized_stack, 0
	.set _ZN7rocprim17ROCPRIM_400000_NS6detail17trampoline_kernelINS0_14default_configENS1_27scan_by_key_config_selectorIijEEZZNS1_16scan_by_key_implILNS1_25lookback_scan_determinismE0ELb0ES3_N6thrust23THRUST_200600_302600_NS6detail15normal_iteratorINS9_10device_ptrIiEEEENSB_INSC_IjEEEENSB_INSC_IfEEEEjNS9_4plusIvEENS9_8equal_toIvEEjEE10hipError_tPvRmT2_T3_T4_T5_mT6_T7_P12ihipStream_tbENKUlT_T0_E_clISt17integral_constantIbLb0EES12_IbLb1EEEEDaSY_SZ_EUlSY_E_NS1_11comp_targetILNS1_3genE5ELNS1_11target_archE942ELNS1_3gpuE9ELNS1_3repE0EEENS1_30default_config_static_selectorELNS0_4arch9wavefront6targetE0EEEvT1_.has_recursion, 0
	.set _ZN7rocprim17ROCPRIM_400000_NS6detail17trampoline_kernelINS0_14default_configENS1_27scan_by_key_config_selectorIijEEZZNS1_16scan_by_key_implILNS1_25lookback_scan_determinismE0ELb0ES3_N6thrust23THRUST_200600_302600_NS6detail15normal_iteratorINS9_10device_ptrIiEEEENSB_INSC_IjEEEENSB_INSC_IfEEEEjNS9_4plusIvEENS9_8equal_toIvEEjEE10hipError_tPvRmT2_T3_T4_T5_mT6_T7_P12ihipStream_tbENKUlT_T0_E_clISt17integral_constantIbLb0EES12_IbLb1EEEEDaSY_SZ_EUlSY_E_NS1_11comp_targetILNS1_3genE5ELNS1_11target_archE942ELNS1_3gpuE9ELNS1_3repE0EEENS1_30default_config_static_selectorELNS0_4arch9wavefront6targetE0EEEvT1_.has_indirect_call, 0
	.section	.AMDGPU.csdata,"",@progbits
; Kernel info:
; codeLenInByte = 0
; TotalNumSgprs: 0
; NumVgprs: 0
; ScratchSize: 0
; MemoryBound: 0
; FloatMode: 240
; IeeeMode: 1
; LDSByteSize: 0 bytes/workgroup (compile time only)
; SGPRBlocks: 0
; VGPRBlocks: 0
; NumSGPRsForWavesPerEU: 1
; NumVGPRsForWavesPerEU: 1
; Occupancy: 16
; WaveLimiterHint : 0
; COMPUTE_PGM_RSRC2:SCRATCH_EN: 0
; COMPUTE_PGM_RSRC2:USER_SGPR: 6
; COMPUTE_PGM_RSRC2:TRAP_HANDLER: 0
; COMPUTE_PGM_RSRC2:TGID_X_EN: 1
; COMPUTE_PGM_RSRC2:TGID_Y_EN: 0
; COMPUTE_PGM_RSRC2:TGID_Z_EN: 0
; COMPUTE_PGM_RSRC2:TIDIG_COMP_CNT: 0
	.section	.text._ZN7rocprim17ROCPRIM_400000_NS6detail17trampoline_kernelINS0_14default_configENS1_27scan_by_key_config_selectorIijEEZZNS1_16scan_by_key_implILNS1_25lookback_scan_determinismE0ELb0ES3_N6thrust23THRUST_200600_302600_NS6detail15normal_iteratorINS9_10device_ptrIiEEEENSB_INSC_IjEEEENSB_INSC_IfEEEEjNS9_4plusIvEENS9_8equal_toIvEEjEE10hipError_tPvRmT2_T3_T4_T5_mT6_T7_P12ihipStream_tbENKUlT_T0_E_clISt17integral_constantIbLb0EES12_IbLb1EEEEDaSY_SZ_EUlSY_E_NS1_11comp_targetILNS1_3genE4ELNS1_11target_archE910ELNS1_3gpuE8ELNS1_3repE0EEENS1_30default_config_static_selectorELNS0_4arch9wavefront6targetE0EEEvT1_,"axG",@progbits,_ZN7rocprim17ROCPRIM_400000_NS6detail17trampoline_kernelINS0_14default_configENS1_27scan_by_key_config_selectorIijEEZZNS1_16scan_by_key_implILNS1_25lookback_scan_determinismE0ELb0ES3_N6thrust23THRUST_200600_302600_NS6detail15normal_iteratorINS9_10device_ptrIiEEEENSB_INSC_IjEEEENSB_INSC_IfEEEEjNS9_4plusIvEENS9_8equal_toIvEEjEE10hipError_tPvRmT2_T3_T4_T5_mT6_T7_P12ihipStream_tbENKUlT_T0_E_clISt17integral_constantIbLb0EES12_IbLb1EEEEDaSY_SZ_EUlSY_E_NS1_11comp_targetILNS1_3genE4ELNS1_11target_archE910ELNS1_3gpuE8ELNS1_3repE0EEENS1_30default_config_static_selectorELNS0_4arch9wavefront6targetE0EEEvT1_,comdat
	.protected	_ZN7rocprim17ROCPRIM_400000_NS6detail17trampoline_kernelINS0_14default_configENS1_27scan_by_key_config_selectorIijEEZZNS1_16scan_by_key_implILNS1_25lookback_scan_determinismE0ELb0ES3_N6thrust23THRUST_200600_302600_NS6detail15normal_iteratorINS9_10device_ptrIiEEEENSB_INSC_IjEEEENSB_INSC_IfEEEEjNS9_4plusIvEENS9_8equal_toIvEEjEE10hipError_tPvRmT2_T3_T4_T5_mT6_T7_P12ihipStream_tbENKUlT_T0_E_clISt17integral_constantIbLb0EES12_IbLb1EEEEDaSY_SZ_EUlSY_E_NS1_11comp_targetILNS1_3genE4ELNS1_11target_archE910ELNS1_3gpuE8ELNS1_3repE0EEENS1_30default_config_static_selectorELNS0_4arch9wavefront6targetE0EEEvT1_ ; -- Begin function _ZN7rocprim17ROCPRIM_400000_NS6detail17trampoline_kernelINS0_14default_configENS1_27scan_by_key_config_selectorIijEEZZNS1_16scan_by_key_implILNS1_25lookback_scan_determinismE0ELb0ES3_N6thrust23THRUST_200600_302600_NS6detail15normal_iteratorINS9_10device_ptrIiEEEENSB_INSC_IjEEEENSB_INSC_IfEEEEjNS9_4plusIvEENS9_8equal_toIvEEjEE10hipError_tPvRmT2_T3_T4_T5_mT6_T7_P12ihipStream_tbENKUlT_T0_E_clISt17integral_constantIbLb0EES12_IbLb1EEEEDaSY_SZ_EUlSY_E_NS1_11comp_targetILNS1_3genE4ELNS1_11target_archE910ELNS1_3gpuE8ELNS1_3repE0EEENS1_30default_config_static_selectorELNS0_4arch9wavefront6targetE0EEEvT1_
	.globl	_ZN7rocprim17ROCPRIM_400000_NS6detail17trampoline_kernelINS0_14default_configENS1_27scan_by_key_config_selectorIijEEZZNS1_16scan_by_key_implILNS1_25lookback_scan_determinismE0ELb0ES3_N6thrust23THRUST_200600_302600_NS6detail15normal_iteratorINS9_10device_ptrIiEEEENSB_INSC_IjEEEENSB_INSC_IfEEEEjNS9_4plusIvEENS9_8equal_toIvEEjEE10hipError_tPvRmT2_T3_T4_T5_mT6_T7_P12ihipStream_tbENKUlT_T0_E_clISt17integral_constantIbLb0EES12_IbLb1EEEEDaSY_SZ_EUlSY_E_NS1_11comp_targetILNS1_3genE4ELNS1_11target_archE910ELNS1_3gpuE8ELNS1_3repE0EEENS1_30default_config_static_selectorELNS0_4arch9wavefront6targetE0EEEvT1_
	.p2align	8
	.type	_ZN7rocprim17ROCPRIM_400000_NS6detail17trampoline_kernelINS0_14default_configENS1_27scan_by_key_config_selectorIijEEZZNS1_16scan_by_key_implILNS1_25lookback_scan_determinismE0ELb0ES3_N6thrust23THRUST_200600_302600_NS6detail15normal_iteratorINS9_10device_ptrIiEEEENSB_INSC_IjEEEENSB_INSC_IfEEEEjNS9_4plusIvEENS9_8equal_toIvEEjEE10hipError_tPvRmT2_T3_T4_T5_mT6_T7_P12ihipStream_tbENKUlT_T0_E_clISt17integral_constantIbLb0EES12_IbLb1EEEEDaSY_SZ_EUlSY_E_NS1_11comp_targetILNS1_3genE4ELNS1_11target_archE910ELNS1_3gpuE8ELNS1_3repE0EEENS1_30default_config_static_selectorELNS0_4arch9wavefront6targetE0EEEvT1_,@function
_ZN7rocprim17ROCPRIM_400000_NS6detail17trampoline_kernelINS0_14default_configENS1_27scan_by_key_config_selectorIijEEZZNS1_16scan_by_key_implILNS1_25lookback_scan_determinismE0ELb0ES3_N6thrust23THRUST_200600_302600_NS6detail15normal_iteratorINS9_10device_ptrIiEEEENSB_INSC_IjEEEENSB_INSC_IfEEEEjNS9_4plusIvEENS9_8equal_toIvEEjEE10hipError_tPvRmT2_T3_T4_T5_mT6_T7_P12ihipStream_tbENKUlT_T0_E_clISt17integral_constantIbLb0EES12_IbLb1EEEEDaSY_SZ_EUlSY_E_NS1_11comp_targetILNS1_3genE4ELNS1_11target_archE910ELNS1_3gpuE8ELNS1_3repE0EEENS1_30default_config_static_selectorELNS0_4arch9wavefront6targetE0EEEvT1_: ; @_ZN7rocprim17ROCPRIM_400000_NS6detail17trampoline_kernelINS0_14default_configENS1_27scan_by_key_config_selectorIijEEZZNS1_16scan_by_key_implILNS1_25lookback_scan_determinismE0ELb0ES3_N6thrust23THRUST_200600_302600_NS6detail15normal_iteratorINS9_10device_ptrIiEEEENSB_INSC_IjEEEENSB_INSC_IfEEEEjNS9_4plusIvEENS9_8equal_toIvEEjEE10hipError_tPvRmT2_T3_T4_T5_mT6_T7_P12ihipStream_tbENKUlT_T0_E_clISt17integral_constantIbLb0EES12_IbLb1EEEEDaSY_SZ_EUlSY_E_NS1_11comp_targetILNS1_3genE4ELNS1_11target_archE910ELNS1_3gpuE8ELNS1_3repE0EEENS1_30default_config_static_selectorELNS0_4arch9wavefront6targetE0EEEvT1_
; %bb.0:
	.section	.rodata,"a",@progbits
	.p2align	6, 0x0
	.amdhsa_kernel _ZN7rocprim17ROCPRIM_400000_NS6detail17trampoline_kernelINS0_14default_configENS1_27scan_by_key_config_selectorIijEEZZNS1_16scan_by_key_implILNS1_25lookback_scan_determinismE0ELb0ES3_N6thrust23THRUST_200600_302600_NS6detail15normal_iteratorINS9_10device_ptrIiEEEENSB_INSC_IjEEEENSB_INSC_IfEEEEjNS9_4plusIvEENS9_8equal_toIvEEjEE10hipError_tPvRmT2_T3_T4_T5_mT6_T7_P12ihipStream_tbENKUlT_T0_E_clISt17integral_constantIbLb0EES12_IbLb1EEEEDaSY_SZ_EUlSY_E_NS1_11comp_targetILNS1_3genE4ELNS1_11target_archE910ELNS1_3gpuE8ELNS1_3repE0EEENS1_30default_config_static_selectorELNS0_4arch9wavefront6targetE0EEEvT1_
		.amdhsa_group_segment_fixed_size 0
		.amdhsa_private_segment_fixed_size 0
		.amdhsa_kernarg_size 112
		.amdhsa_user_sgpr_count 6
		.amdhsa_user_sgpr_private_segment_buffer 1
		.amdhsa_user_sgpr_dispatch_ptr 0
		.amdhsa_user_sgpr_queue_ptr 0
		.amdhsa_user_sgpr_kernarg_segment_ptr 1
		.amdhsa_user_sgpr_dispatch_id 0
		.amdhsa_user_sgpr_flat_scratch_init 0
		.amdhsa_user_sgpr_private_segment_size 0
		.amdhsa_wavefront_size32 1
		.amdhsa_uses_dynamic_stack 0
		.amdhsa_system_sgpr_private_segment_wavefront_offset 0
		.amdhsa_system_sgpr_workgroup_id_x 1
		.amdhsa_system_sgpr_workgroup_id_y 0
		.amdhsa_system_sgpr_workgroup_id_z 0
		.amdhsa_system_sgpr_workgroup_info 0
		.amdhsa_system_vgpr_workitem_id 0
		.amdhsa_next_free_vgpr 1
		.amdhsa_next_free_sgpr 1
		.amdhsa_reserve_vcc 0
		.amdhsa_reserve_flat_scratch 0
		.amdhsa_float_round_mode_32 0
		.amdhsa_float_round_mode_16_64 0
		.amdhsa_float_denorm_mode_32 3
		.amdhsa_float_denorm_mode_16_64 3
		.amdhsa_dx10_clamp 1
		.amdhsa_ieee_mode 1
		.amdhsa_fp16_overflow 0
		.amdhsa_workgroup_processor_mode 1
		.amdhsa_memory_ordered 1
		.amdhsa_forward_progress 1
		.amdhsa_shared_vgpr_count 0
		.amdhsa_exception_fp_ieee_invalid_op 0
		.amdhsa_exception_fp_denorm_src 0
		.amdhsa_exception_fp_ieee_div_zero 0
		.amdhsa_exception_fp_ieee_overflow 0
		.amdhsa_exception_fp_ieee_underflow 0
		.amdhsa_exception_fp_ieee_inexact 0
		.amdhsa_exception_int_div_zero 0
	.end_amdhsa_kernel
	.section	.text._ZN7rocprim17ROCPRIM_400000_NS6detail17trampoline_kernelINS0_14default_configENS1_27scan_by_key_config_selectorIijEEZZNS1_16scan_by_key_implILNS1_25lookback_scan_determinismE0ELb0ES3_N6thrust23THRUST_200600_302600_NS6detail15normal_iteratorINS9_10device_ptrIiEEEENSB_INSC_IjEEEENSB_INSC_IfEEEEjNS9_4plusIvEENS9_8equal_toIvEEjEE10hipError_tPvRmT2_T3_T4_T5_mT6_T7_P12ihipStream_tbENKUlT_T0_E_clISt17integral_constantIbLb0EES12_IbLb1EEEEDaSY_SZ_EUlSY_E_NS1_11comp_targetILNS1_3genE4ELNS1_11target_archE910ELNS1_3gpuE8ELNS1_3repE0EEENS1_30default_config_static_selectorELNS0_4arch9wavefront6targetE0EEEvT1_,"axG",@progbits,_ZN7rocprim17ROCPRIM_400000_NS6detail17trampoline_kernelINS0_14default_configENS1_27scan_by_key_config_selectorIijEEZZNS1_16scan_by_key_implILNS1_25lookback_scan_determinismE0ELb0ES3_N6thrust23THRUST_200600_302600_NS6detail15normal_iteratorINS9_10device_ptrIiEEEENSB_INSC_IjEEEENSB_INSC_IfEEEEjNS9_4plusIvEENS9_8equal_toIvEEjEE10hipError_tPvRmT2_T3_T4_T5_mT6_T7_P12ihipStream_tbENKUlT_T0_E_clISt17integral_constantIbLb0EES12_IbLb1EEEEDaSY_SZ_EUlSY_E_NS1_11comp_targetILNS1_3genE4ELNS1_11target_archE910ELNS1_3gpuE8ELNS1_3repE0EEENS1_30default_config_static_selectorELNS0_4arch9wavefront6targetE0EEEvT1_,comdat
.Lfunc_end1674:
	.size	_ZN7rocprim17ROCPRIM_400000_NS6detail17trampoline_kernelINS0_14default_configENS1_27scan_by_key_config_selectorIijEEZZNS1_16scan_by_key_implILNS1_25lookback_scan_determinismE0ELb0ES3_N6thrust23THRUST_200600_302600_NS6detail15normal_iteratorINS9_10device_ptrIiEEEENSB_INSC_IjEEEENSB_INSC_IfEEEEjNS9_4plusIvEENS9_8equal_toIvEEjEE10hipError_tPvRmT2_T3_T4_T5_mT6_T7_P12ihipStream_tbENKUlT_T0_E_clISt17integral_constantIbLb0EES12_IbLb1EEEEDaSY_SZ_EUlSY_E_NS1_11comp_targetILNS1_3genE4ELNS1_11target_archE910ELNS1_3gpuE8ELNS1_3repE0EEENS1_30default_config_static_selectorELNS0_4arch9wavefront6targetE0EEEvT1_, .Lfunc_end1674-_ZN7rocprim17ROCPRIM_400000_NS6detail17trampoline_kernelINS0_14default_configENS1_27scan_by_key_config_selectorIijEEZZNS1_16scan_by_key_implILNS1_25lookback_scan_determinismE0ELb0ES3_N6thrust23THRUST_200600_302600_NS6detail15normal_iteratorINS9_10device_ptrIiEEEENSB_INSC_IjEEEENSB_INSC_IfEEEEjNS9_4plusIvEENS9_8equal_toIvEEjEE10hipError_tPvRmT2_T3_T4_T5_mT6_T7_P12ihipStream_tbENKUlT_T0_E_clISt17integral_constantIbLb0EES12_IbLb1EEEEDaSY_SZ_EUlSY_E_NS1_11comp_targetILNS1_3genE4ELNS1_11target_archE910ELNS1_3gpuE8ELNS1_3repE0EEENS1_30default_config_static_selectorELNS0_4arch9wavefront6targetE0EEEvT1_
                                        ; -- End function
	.set _ZN7rocprim17ROCPRIM_400000_NS6detail17trampoline_kernelINS0_14default_configENS1_27scan_by_key_config_selectorIijEEZZNS1_16scan_by_key_implILNS1_25lookback_scan_determinismE0ELb0ES3_N6thrust23THRUST_200600_302600_NS6detail15normal_iteratorINS9_10device_ptrIiEEEENSB_INSC_IjEEEENSB_INSC_IfEEEEjNS9_4plusIvEENS9_8equal_toIvEEjEE10hipError_tPvRmT2_T3_T4_T5_mT6_T7_P12ihipStream_tbENKUlT_T0_E_clISt17integral_constantIbLb0EES12_IbLb1EEEEDaSY_SZ_EUlSY_E_NS1_11comp_targetILNS1_3genE4ELNS1_11target_archE910ELNS1_3gpuE8ELNS1_3repE0EEENS1_30default_config_static_selectorELNS0_4arch9wavefront6targetE0EEEvT1_.num_vgpr, 0
	.set _ZN7rocprim17ROCPRIM_400000_NS6detail17trampoline_kernelINS0_14default_configENS1_27scan_by_key_config_selectorIijEEZZNS1_16scan_by_key_implILNS1_25lookback_scan_determinismE0ELb0ES3_N6thrust23THRUST_200600_302600_NS6detail15normal_iteratorINS9_10device_ptrIiEEEENSB_INSC_IjEEEENSB_INSC_IfEEEEjNS9_4plusIvEENS9_8equal_toIvEEjEE10hipError_tPvRmT2_T3_T4_T5_mT6_T7_P12ihipStream_tbENKUlT_T0_E_clISt17integral_constantIbLb0EES12_IbLb1EEEEDaSY_SZ_EUlSY_E_NS1_11comp_targetILNS1_3genE4ELNS1_11target_archE910ELNS1_3gpuE8ELNS1_3repE0EEENS1_30default_config_static_selectorELNS0_4arch9wavefront6targetE0EEEvT1_.num_agpr, 0
	.set _ZN7rocprim17ROCPRIM_400000_NS6detail17trampoline_kernelINS0_14default_configENS1_27scan_by_key_config_selectorIijEEZZNS1_16scan_by_key_implILNS1_25lookback_scan_determinismE0ELb0ES3_N6thrust23THRUST_200600_302600_NS6detail15normal_iteratorINS9_10device_ptrIiEEEENSB_INSC_IjEEEENSB_INSC_IfEEEEjNS9_4plusIvEENS9_8equal_toIvEEjEE10hipError_tPvRmT2_T3_T4_T5_mT6_T7_P12ihipStream_tbENKUlT_T0_E_clISt17integral_constantIbLb0EES12_IbLb1EEEEDaSY_SZ_EUlSY_E_NS1_11comp_targetILNS1_3genE4ELNS1_11target_archE910ELNS1_3gpuE8ELNS1_3repE0EEENS1_30default_config_static_selectorELNS0_4arch9wavefront6targetE0EEEvT1_.numbered_sgpr, 0
	.set _ZN7rocprim17ROCPRIM_400000_NS6detail17trampoline_kernelINS0_14default_configENS1_27scan_by_key_config_selectorIijEEZZNS1_16scan_by_key_implILNS1_25lookback_scan_determinismE0ELb0ES3_N6thrust23THRUST_200600_302600_NS6detail15normal_iteratorINS9_10device_ptrIiEEEENSB_INSC_IjEEEENSB_INSC_IfEEEEjNS9_4plusIvEENS9_8equal_toIvEEjEE10hipError_tPvRmT2_T3_T4_T5_mT6_T7_P12ihipStream_tbENKUlT_T0_E_clISt17integral_constantIbLb0EES12_IbLb1EEEEDaSY_SZ_EUlSY_E_NS1_11comp_targetILNS1_3genE4ELNS1_11target_archE910ELNS1_3gpuE8ELNS1_3repE0EEENS1_30default_config_static_selectorELNS0_4arch9wavefront6targetE0EEEvT1_.num_named_barrier, 0
	.set _ZN7rocprim17ROCPRIM_400000_NS6detail17trampoline_kernelINS0_14default_configENS1_27scan_by_key_config_selectorIijEEZZNS1_16scan_by_key_implILNS1_25lookback_scan_determinismE0ELb0ES3_N6thrust23THRUST_200600_302600_NS6detail15normal_iteratorINS9_10device_ptrIiEEEENSB_INSC_IjEEEENSB_INSC_IfEEEEjNS9_4plusIvEENS9_8equal_toIvEEjEE10hipError_tPvRmT2_T3_T4_T5_mT6_T7_P12ihipStream_tbENKUlT_T0_E_clISt17integral_constantIbLb0EES12_IbLb1EEEEDaSY_SZ_EUlSY_E_NS1_11comp_targetILNS1_3genE4ELNS1_11target_archE910ELNS1_3gpuE8ELNS1_3repE0EEENS1_30default_config_static_selectorELNS0_4arch9wavefront6targetE0EEEvT1_.private_seg_size, 0
	.set _ZN7rocprim17ROCPRIM_400000_NS6detail17trampoline_kernelINS0_14default_configENS1_27scan_by_key_config_selectorIijEEZZNS1_16scan_by_key_implILNS1_25lookback_scan_determinismE0ELb0ES3_N6thrust23THRUST_200600_302600_NS6detail15normal_iteratorINS9_10device_ptrIiEEEENSB_INSC_IjEEEENSB_INSC_IfEEEEjNS9_4plusIvEENS9_8equal_toIvEEjEE10hipError_tPvRmT2_T3_T4_T5_mT6_T7_P12ihipStream_tbENKUlT_T0_E_clISt17integral_constantIbLb0EES12_IbLb1EEEEDaSY_SZ_EUlSY_E_NS1_11comp_targetILNS1_3genE4ELNS1_11target_archE910ELNS1_3gpuE8ELNS1_3repE0EEENS1_30default_config_static_selectorELNS0_4arch9wavefront6targetE0EEEvT1_.uses_vcc, 0
	.set _ZN7rocprim17ROCPRIM_400000_NS6detail17trampoline_kernelINS0_14default_configENS1_27scan_by_key_config_selectorIijEEZZNS1_16scan_by_key_implILNS1_25lookback_scan_determinismE0ELb0ES3_N6thrust23THRUST_200600_302600_NS6detail15normal_iteratorINS9_10device_ptrIiEEEENSB_INSC_IjEEEENSB_INSC_IfEEEEjNS9_4plusIvEENS9_8equal_toIvEEjEE10hipError_tPvRmT2_T3_T4_T5_mT6_T7_P12ihipStream_tbENKUlT_T0_E_clISt17integral_constantIbLb0EES12_IbLb1EEEEDaSY_SZ_EUlSY_E_NS1_11comp_targetILNS1_3genE4ELNS1_11target_archE910ELNS1_3gpuE8ELNS1_3repE0EEENS1_30default_config_static_selectorELNS0_4arch9wavefront6targetE0EEEvT1_.uses_flat_scratch, 0
	.set _ZN7rocprim17ROCPRIM_400000_NS6detail17trampoline_kernelINS0_14default_configENS1_27scan_by_key_config_selectorIijEEZZNS1_16scan_by_key_implILNS1_25lookback_scan_determinismE0ELb0ES3_N6thrust23THRUST_200600_302600_NS6detail15normal_iteratorINS9_10device_ptrIiEEEENSB_INSC_IjEEEENSB_INSC_IfEEEEjNS9_4plusIvEENS9_8equal_toIvEEjEE10hipError_tPvRmT2_T3_T4_T5_mT6_T7_P12ihipStream_tbENKUlT_T0_E_clISt17integral_constantIbLb0EES12_IbLb1EEEEDaSY_SZ_EUlSY_E_NS1_11comp_targetILNS1_3genE4ELNS1_11target_archE910ELNS1_3gpuE8ELNS1_3repE0EEENS1_30default_config_static_selectorELNS0_4arch9wavefront6targetE0EEEvT1_.has_dyn_sized_stack, 0
	.set _ZN7rocprim17ROCPRIM_400000_NS6detail17trampoline_kernelINS0_14default_configENS1_27scan_by_key_config_selectorIijEEZZNS1_16scan_by_key_implILNS1_25lookback_scan_determinismE0ELb0ES3_N6thrust23THRUST_200600_302600_NS6detail15normal_iteratorINS9_10device_ptrIiEEEENSB_INSC_IjEEEENSB_INSC_IfEEEEjNS9_4plusIvEENS9_8equal_toIvEEjEE10hipError_tPvRmT2_T3_T4_T5_mT6_T7_P12ihipStream_tbENKUlT_T0_E_clISt17integral_constantIbLb0EES12_IbLb1EEEEDaSY_SZ_EUlSY_E_NS1_11comp_targetILNS1_3genE4ELNS1_11target_archE910ELNS1_3gpuE8ELNS1_3repE0EEENS1_30default_config_static_selectorELNS0_4arch9wavefront6targetE0EEEvT1_.has_recursion, 0
	.set _ZN7rocprim17ROCPRIM_400000_NS6detail17trampoline_kernelINS0_14default_configENS1_27scan_by_key_config_selectorIijEEZZNS1_16scan_by_key_implILNS1_25lookback_scan_determinismE0ELb0ES3_N6thrust23THRUST_200600_302600_NS6detail15normal_iteratorINS9_10device_ptrIiEEEENSB_INSC_IjEEEENSB_INSC_IfEEEEjNS9_4plusIvEENS9_8equal_toIvEEjEE10hipError_tPvRmT2_T3_T4_T5_mT6_T7_P12ihipStream_tbENKUlT_T0_E_clISt17integral_constantIbLb0EES12_IbLb1EEEEDaSY_SZ_EUlSY_E_NS1_11comp_targetILNS1_3genE4ELNS1_11target_archE910ELNS1_3gpuE8ELNS1_3repE0EEENS1_30default_config_static_selectorELNS0_4arch9wavefront6targetE0EEEvT1_.has_indirect_call, 0
	.section	.AMDGPU.csdata,"",@progbits
; Kernel info:
; codeLenInByte = 0
; TotalNumSgprs: 0
; NumVgprs: 0
; ScratchSize: 0
; MemoryBound: 0
; FloatMode: 240
; IeeeMode: 1
; LDSByteSize: 0 bytes/workgroup (compile time only)
; SGPRBlocks: 0
; VGPRBlocks: 0
; NumSGPRsForWavesPerEU: 1
; NumVGPRsForWavesPerEU: 1
; Occupancy: 16
; WaveLimiterHint : 0
; COMPUTE_PGM_RSRC2:SCRATCH_EN: 0
; COMPUTE_PGM_RSRC2:USER_SGPR: 6
; COMPUTE_PGM_RSRC2:TRAP_HANDLER: 0
; COMPUTE_PGM_RSRC2:TGID_X_EN: 1
; COMPUTE_PGM_RSRC2:TGID_Y_EN: 0
; COMPUTE_PGM_RSRC2:TGID_Z_EN: 0
; COMPUTE_PGM_RSRC2:TIDIG_COMP_CNT: 0
	.section	.text._ZN7rocprim17ROCPRIM_400000_NS6detail17trampoline_kernelINS0_14default_configENS1_27scan_by_key_config_selectorIijEEZZNS1_16scan_by_key_implILNS1_25lookback_scan_determinismE0ELb0ES3_N6thrust23THRUST_200600_302600_NS6detail15normal_iteratorINS9_10device_ptrIiEEEENSB_INSC_IjEEEENSB_INSC_IfEEEEjNS9_4plusIvEENS9_8equal_toIvEEjEE10hipError_tPvRmT2_T3_T4_T5_mT6_T7_P12ihipStream_tbENKUlT_T0_E_clISt17integral_constantIbLb0EES12_IbLb1EEEEDaSY_SZ_EUlSY_E_NS1_11comp_targetILNS1_3genE3ELNS1_11target_archE908ELNS1_3gpuE7ELNS1_3repE0EEENS1_30default_config_static_selectorELNS0_4arch9wavefront6targetE0EEEvT1_,"axG",@progbits,_ZN7rocprim17ROCPRIM_400000_NS6detail17trampoline_kernelINS0_14default_configENS1_27scan_by_key_config_selectorIijEEZZNS1_16scan_by_key_implILNS1_25lookback_scan_determinismE0ELb0ES3_N6thrust23THRUST_200600_302600_NS6detail15normal_iteratorINS9_10device_ptrIiEEEENSB_INSC_IjEEEENSB_INSC_IfEEEEjNS9_4plusIvEENS9_8equal_toIvEEjEE10hipError_tPvRmT2_T3_T4_T5_mT6_T7_P12ihipStream_tbENKUlT_T0_E_clISt17integral_constantIbLb0EES12_IbLb1EEEEDaSY_SZ_EUlSY_E_NS1_11comp_targetILNS1_3genE3ELNS1_11target_archE908ELNS1_3gpuE7ELNS1_3repE0EEENS1_30default_config_static_selectorELNS0_4arch9wavefront6targetE0EEEvT1_,comdat
	.protected	_ZN7rocprim17ROCPRIM_400000_NS6detail17trampoline_kernelINS0_14default_configENS1_27scan_by_key_config_selectorIijEEZZNS1_16scan_by_key_implILNS1_25lookback_scan_determinismE0ELb0ES3_N6thrust23THRUST_200600_302600_NS6detail15normal_iteratorINS9_10device_ptrIiEEEENSB_INSC_IjEEEENSB_INSC_IfEEEEjNS9_4plusIvEENS9_8equal_toIvEEjEE10hipError_tPvRmT2_T3_T4_T5_mT6_T7_P12ihipStream_tbENKUlT_T0_E_clISt17integral_constantIbLb0EES12_IbLb1EEEEDaSY_SZ_EUlSY_E_NS1_11comp_targetILNS1_3genE3ELNS1_11target_archE908ELNS1_3gpuE7ELNS1_3repE0EEENS1_30default_config_static_selectorELNS0_4arch9wavefront6targetE0EEEvT1_ ; -- Begin function _ZN7rocprim17ROCPRIM_400000_NS6detail17trampoline_kernelINS0_14default_configENS1_27scan_by_key_config_selectorIijEEZZNS1_16scan_by_key_implILNS1_25lookback_scan_determinismE0ELb0ES3_N6thrust23THRUST_200600_302600_NS6detail15normal_iteratorINS9_10device_ptrIiEEEENSB_INSC_IjEEEENSB_INSC_IfEEEEjNS9_4plusIvEENS9_8equal_toIvEEjEE10hipError_tPvRmT2_T3_T4_T5_mT6_T7_P12ihipStream_tbENKUlT_T0_E_clISt17integral_constantIbLb0EES12_IbLb1EEEEDaSY_SZ_EUlSY_E_NS1_11comp_targetILNS1_3genE3ELNS1_11target_archE908ELNS1_3gpuE7ELNS1_3repE0EEENS1_30default_config_static_selectorELNS0_4arch9wavefront6targetE0EEEvT1_
	.globl	_ZN7rocprim17ROCPRIM_400000_NS6detail17trampoline_kernelINS0_14default_configENS1_27scan_by_key_config_selectorIijEEZZNS1_16scan_by_key_implILNS1_25lookback_scan_determinismE0ELb0ES3_N6thrust23THRUST_200600_302600_NS6detail15normal_iteratorINS9_10device_ptrIiEEEENSB_INSC_IjEEEENSB_INSC_IfEEEEjNS9_4plusIvEENS9_8equal_toIvEEjEE10hipError_tPvRmT2_T3_T4_T5_mT6_T7_P12ihipStream_tbENKUlT_T0_E_clISt17integral_constantIbLb0EES12_IbLb1EEEEDaSY_SZ_EUlSY_E_NS1_11comp_targetILNS1_3genE3ELNS1_11target_archE908ELNS1_3gpuE7ELNS1_3repE0EEENS1_30default_config_static_selectorELNS0_4arch9wavefront6targetE0EEEvT1_
	.p2align	8
	.type	_ZN7rocprim17ROCPRIM_400000_NS6detail17trampoline_kernelINS0_14default_configENS1_27scan_by_key_config_selectorIijEEZZNS1_16scan_by_key_implILNS1_25lookback_scan_determinismE0ELb0ES3_N6thrust23THRUST_200600_302600_NS6detail15normal_iteratorINS9_10device_ptrIiEEEENSB_INSC_IjEEEENSB_INSC_IfEEEEjNS9_4plusIvEENS9_8equal_toIvEEjEE10hipError_tPvRmT2_T3_T4_T5_mT6_T7_P12ihipStream_tbENKUlT_T0_E_clISt17integral_constantIbLb0EES12_IbLb1EEEEDaSY_SZ_EUlSY_E_NS1_11comp_targetILNS1_3genE3ELNS1_11target_archE908ELNS1_3gpuE7ELNS1_3repE0EEENS1_30default_config_static_selectorELNS0_4arch9wavefront6targetE0EEEvT1_,@function
_ZN7rocprim17ROCPRIM_400000_NS6detail17trampoline_kernelINS0_14default_configENS1_27scan_by_key_config_selectorIijEEZZNS1_16scan_by_key_implILNS1_25lookback_scan_determinismE0ELb0ES3_N6thrust23THRUST_200600_302600_NS6detail15normal_iteratorINS9_10device_ptrIiEEEENSB_INSC_IjEEEENSB_INSC_IfEEEEjNS9_4plusIvEENS9_8equal_toIvEEjEE10hipError_tPvRmT2_T3_T4_T5_mT6_T7_P12ihipStream_tbENKUlT_T0_E_clISt17integral_constantIbLb0EES12_IbLb1EEEEDaSY_SZ_EUlSY_E_NS1_11comp_targetILNS1_3genE3ELNS1_11target_archE908ELNS1_3gpuE7ELNS1_3repE0EEENS1_30default_config_static_selectorELNS0_4arch9wavefront6targetE0EEEvT1_: ; @_ZN7rocprim17ROCPRIM_400000_NS6detail17trampoline_kernelINS0_14default_configENS1_27scan_by_key_config_selectorIijEEZZNS1_16scan_by_key_implILNS1_25lookback_scan_determinismE0ELb0ES3_N6thrust23THRUST_200600_302600_NS6detail15normal_iteratorINS9_10device_ptrIiEEEENSB_INSC_IjEEEENSB_INSC_IfEEEEjNS9_4plusIvEENS9_8equal_toIvEEjEE10hipError_tPvRmT2_T3_T4_T5_mT6_T7_P12ihipStream_tbENKUlT_T0_E_clISt17integral_constantIbLb0EES12_IbLb1EEEEDaSY_SZ_EUlSY_E_NS1_11comp_targetILNS1_3genE3ELNS1_11target_archE908ELNS1_3gpuE7ELNS1_3repE0EEENS1_30default_config_static_selectorELNS0_4arch9wavefront6targetE0EEEvT1_
; %bb.0:
	.section	.rodata,"a",@progbits
	.p2align	6, 0x0
	.amdhsa_kernel _ZN7rocprim17ROCPRIM_400000_NS6detail17trampoline_kernelINS0_14default_configENS1_27scan_by_key_config_selectorIijEEZZNS1_16scan_by_key_implILNS1_25lookback_scan_determinismE0ELb0ES3_N6thrust23THRUST_200600_302600_NS6detail15normal_iteratorINS9_10device_ptrIiEEEENSB_INSC_IjEEEENSB_INSC_IfEEEEjNS9_4plusIvEENS9_8equal_toIvEEjEE10hipError_tPvRmT2_T3_T4_T5_mT6_T7_P12ihipStream_tbENKUlT_T0_E_clISt17integral_constantIbLb0EES12_IbLb1EEEEDaSY_SZ_EUlSY_E_NS1_11comp_targetILNS1_3genE3ELNS1_11target_archE908ELNS1_3gpuE7ELNS1_3repE0EEENS1_30default_config_static_selectorELNS0_4arch9wavefront6targetE0EEEvT1_
		.amdhsa_group_segment_fixed_size 0
		.amdhsa_private_segment_fixed_size 0
		.amdhsa_kernarg_size 112
		.amdhsa_user_sgpr_count 6
		.amdhsa_user_sgpr_private_segment_buffer 1
		.amdhsa_user_sgpr_dispatch_ptr 0
		.amdhsa_user_sgpr_queue_ptr 0
		.amdhsa_user_sgpr_kernarg_segment_ptr 1
		.amdhsa_user_sgpr_dispatch_id 0
		.amdhsa_user_sgpr_flat_scratch_init 0
		.amdhsa_user_sgpr_private_segment_size 0
		.amdhsa_wavefront_size32 1
		.amdhsa_uses_dynamic_stack 0
		.amdhsa_system_sgpr_private_segment_wavefront_offset 0
		.amdhsa_system_sgpr_workgroup_id_x 1
		.amdhsa_system_sgpr_workgroup_id_y 0
		.amdhsa_system_sgpr_workgroup_id_z 0
		.amdhsa_system_sgpr_workgroup_info 0
		.amdhsa_system_vgpr_workitem_id 0
		.amdhsa_next_free_vgpr 1
		.amdhsa_next_free_sgpr 1
		.amdhsa_reserve_vcc 0
		.amdhsa_reserve_flat_scratch 0
		.amdhsa_float_round_mode_32 0
		.amdhsa_float_round_mode_16_64 0
		.amdhsa_float_denorm_mode_32 3
		.amdhsa_float_denorm_mode_16_64 3
		.amdhsa_dx10_clamp 1
		.amdhsa_ieee_mode 1
		.amdhsa_fp16_overflow 0
		.amdhsa_workgroup_processor_mode 1
		.amdhsa_memory_ordered 1
		.amdhsa_forward_progress 1
		.amdhsa_shared_vgpr_count 0
		.amdhsa_exception_fp_ieee_invalid_op 0
		.amdhsa_exception_fp_denorm_src 0
		.amdhsa_exception_fp_ieee_div_zero 0
		.amdhsa_exception_fp_ieee_overflow 0
		.amdhsa_exception_fp_ieee_underflow 0
		.amdhsa_exception_fp_ieee_inexact 0
		.amdhsa_exception_int_div_zero 0
	.end_amdhsa_kernel
	.section	.text._ZN7rocprim17ROCPRIM_400000_NS6detail17trampoline_kernelINS0_14default_configENS1_27scan_by_key_config_selectorIijEEZZNS1_16scan_by_key_implILNS1_25lookback_scan_determinismE0ELb0ES3_N6thrust23THRUST_200600_302600_NS6detail15normal_iteratorINS9_10device_ptrIiEEEENSB_INSC_IjEEEENSB_INSC_IfEEEEjNS9_4plusIvEENS9_8equal_toIvEEjEE10hipError_tPvRmT2_T3_T4_T5_mT6_T7_P12ihipStream_tbENKUlT_T0_E_clISt17integral_constantIbLb0EES12_IbLb1EEEEDaSY_SZ_EUlSY_E_NS1_11comp_targetILNS1_3genE3ELNS1_11target_archE908ELNS1_3gpuE7ELNS1_3repE0EEENS1_30default_config_static_selectorELNS0_4arch9wavefront6targetE0EEEvT1_,"axG",@progbits,_ZN7rocprim17ROCPRIM_400000_NS6detail17trampoline_kernelINS0_14default_configENS1_27scan_by_key_config_selectorIijEEZZNS1_16scan_by_key_implILNS1_25lookback_scan_determinismE0ELb0ES3_N6thrust23THRUST_200600_302600_NS6detail15normal_iteratorINS9_10device_ptrIiEEEENSB_INSC_IjEEEENSB_INSC_IfEEEEjNS9_4plusIvEENS9_8equal_toIvEEjEE10hipError_tPvRmT2_T3_T4_T5_mT6_T7_P12ihipStream_tbENKUlT_T0_E_clISt17integral_constantIbLb0EES12_IbLb1EEEEDaSY_SZ_EUlSY_E_NS1_11comp_targetILNS1_3genE3ELNS1_11target_archE908ELNS1_3gpuE7ELNS1_3repE0EEENS1_30default_config_static_selectorELNS0_4arch9wavefront6targetE0EEEvT1_,comdat
.Lfunc_end1675:
	.size	_ZN7rocprim17ROCPRIM_400000_NS6detail17trampoline_kernelINS0_14default_configENS1_27scan_by_key_config_selectorIijEEZZNS1_16scan_by_key_implILNS1_25lookback_scan_determinismE0ELb0ES3_N6thrust23THRUST_200600_302600_NS6detail15normal_iteratorINS9_10device_ptrIiEEEENSB_INSC_IjEEEENSB_INSC_IfEEEEjNS9_4plusIvEENS9_8equal_toIvEEjEE10hipError_tPvRmT2_T3_T4_T5_mT6_T7_P12ihipStream_tbENKUlT_T0_E_clISt17integral_constantIbLb0EES12_IbLb1EEEEDaSY_SZ_EUlSY_E_NS1_11comp_targetILNS1_3genE3ELNS1_11target_archE908ELNS1_3gpuE7ELNS1_3repE0EEENS1_30default_config_static_selectorELNS0_4arch9wavefront6targetE0EEEvT1_, .Lfunc_end1675-_ZN7rocprim17ROCPRIM_400000_NS6detail17trampoline_kernelINS0_14default_configENS1_27scan_by_key_config_selectorIijEEZZNS1_16scan_by_key_implILNS1_25lookback_scan_determinismE0ELb0ES3_N6thrust23THRUST_200600_302600_NS6detail15normal_iteratorINS9_10device_ptrIiEEEENSB_INSC_IjEEEENSB_INSC_IfEEEEjNS9_4plusIvEENS9_8equal_toIvEEjEE10hipError_tPvRmT2_T3_T4_T5_mT6_T7_P12ihipStream_tbENKUlT_T0_E_clISt17integral_constantIbLb0EES12_IbLb1EEEEDaSY_SZ_EUlSY_E_NS1_11comp_targetILNS1_3genE3ELNS1_11target_archE908ELNS1_3gpuE7ELNS1_3repE0EEENS1_30default_config_static_selectorELNS0_4arch9wavefront6targetE0EEEvT1_
                                        ; -- End function
	.set _ZN7rocprim17ROCPRIM_400000_NS6detail17trampoline_kernelINS0_14default_configENS1_27scan_by_key_config_selectorIijEEZZNS1_16scan_by_key_implILNS1_25lookback_scan_determinismE0ELb0ES3_N6thrust23THRUST_200600_302600_NS6detail15normal_iteratorINS9_10device_ptrIiEEEENSB_INSC_IjEEEENSB_INSC_IfEEEEjNS9_4plusIvEENS9_8equal_toIvEEjEE10hipError_tPvRmT2_T3_T4_T5_mT6_T7_P12ihipStream_tbENKUlT_T0_E_clISt17integral_constantIbLb0EES12_IbLb1EEEEDaSY_SZ_EUlSY_E_NS1_11comp_targetILNS1_3genE3ELNS1_11target_archE908ELNS1_3gpuE7ELNS1_3repE0EEENS1_30default_config_static_selectorELNS0_4arch9wavefront6targetE0EEEvT1_.num_vgpr, 0
	.set _ZN7rocprim17ROCPRIM_400000_NS6detail17trampoline_kernelINS0_14default_configENS1_27scan_by_key_config_selectorIijEEZZNS1_16scan_by_key_implILNS1_25lookback_scan_determinismE0ELb0ES3_N6thrust23THRUST_200600_302600_NS6detail15normal_iteratorINS9_10device_ptrIiEEEENSB_INSC_IjEEEENSB_INSC_IfEEEEjNS9_4plusIvEENS9_8equal_toIvEEjEE10hipError_tPvRmT2_T3_T4_T5_mT6_T7_P12ihipStream_tbENKUlT_T0_E_clISt17integral_constantIbLb0EES12_IbLb1EEEEDaSY_SZ_EUlSY_E_NS1_11comp_targetILNS1_3genE3ELNS1_11target_archE908ELNS1_3gpuE7ELNS1_3repE0EEENS1_30default_config_static_selectorELNS0_4arch9wavefront6targetE0EEEvT1_.num_agpr, 0
	.set _ZN7rocprim17ROCPRIM_400000_NS6detail17trampoline_kernelINS0_14default_configENS1_27scan_by_key_config_selectorIijEEZZNS1_16scan_by_key_implILNS1_25lookback_scan_determinismE0ELb0ES3_N6thrust23THRUST_200600_302600_NS6detail15normal_iteratorINS9_10device_ptrIiEEEENSB_INSC_IjEEEENSB_INSC_IfEEEEjNS9_4plusIvEENS9_8equal_toIvEEjEE10hipError_tPvRmT2_T3_T4_T5_mT6_T7_P12ihipStream_tbENKUlT_T0_E_clISt17integral_constantIbLb0EES12_IbLb1EEEEDaSY_SZ_EUlSY_E_NS1_11comp_targetILNS1_3genE3ELNS1_11target_archE908ELNS1_3gpuE7ELNS1_3repE0EEENS1_30default_config_static_selectorELNS0_4arch9wavefront6targetE0EEEvT1_.numbered_sgpr, 0
	.set _ZN7rocprim17ROCPRIM_400000_NS6detail17trampoline_kernelINS0_14default_configENS1_27scan_by_key_config_selectorIijEEZZNS1_16scan_by_key_implILNS1_25lookback_scan_determinismE0ELb0ES3_N6thrust23THRUST_200600_302600_NS6detail15normal_iteratorINS9_10device_ptrIiEEEENSB_INSC_IjEEEENSB_INSC_IfEEEEjNS9_4plusIvEENS9_8equal_toIvEEjEE10hipError_tPvRmT2_T3_T4_T5_mT6_T7_P12ihipStream_tbENKUlT_T0_E_clISt17integral_constantIbLb0EES12_IbLb1EEEEDaSY_SZ_EUlSY_E_NS1_11comp_targetILNS1_3genE3ELNS1_11target_archE908ELNS1_3gpuE7ELNS1_3repE0EEENS1_30default_config_static_selectorELNS0_4arch9wavefront6targetE0EEEvT1_.num_named_barrier, 0
	.set _ZN7rocprim17ROCPRIM_400000_NS6detail17trampoline_kernelINS0_14default_configENS1_27scan_by_key_config_selectorIijEEZZNS1_16scan_by_key_implILNS1_25lookback_scan_determinismE0ELb0ES3_N6thrust23THRUST_200600_302600_NS6detail15normal_iteratorINS9_10device_ptrIiEEEENSB_INSC_IjEEEENSB_INSC_IfEEEEjNS9_4plusIvEENS9_8equal_toIvEEjEE10hipError_tPvRmT2_T3_T4_T5_mT6_T7_P12ihipStream_tbENKUlT_T0_E_clISt17integral_constantIbLb0EES12_IbLb1EEEEDaSY_SZ_EUlSY_E_NS1_11comp_targetILNS1_3genE3ELNS1_11target_archE908ELNS1_3gpuE7ELNS1_3repE0EEENS1_30default_config_static_selectorELNS0_4arch9wavefront6targetE0EEEvT1_.private_seg_size, 0
	.set _ZN7rocprim17ROCPRIM_400000_NS6detail17trampoline_kernelINS0_14default_configENS1_27scan_by_key_config_selectorIijEEZZNS1_16scan_by_key_implILNS1_25lookback_scan_determinismE0ELb0ES3_N6thrust23THRUST_200600_302600_NS6detail15normal_iteratorINS9_10device_ptrIiEEEENSB_INSC_IjEEEENSB_INSC_IfEEEEjNS9_4plusIvEENS9_8equal_toIvEEjEE10hipError_tPvRmT2_T3_T4_T5_mT6_T7_P12ihipStream_tbENKUlT_T0_E_clISt17integral_constantIbLb0EES12_IbLb1EEEEDaSY_SZ_EUlSY_E_NS1_11comp_targetILNS1_3genE3ELNS1_11target_archE908ELNS1_3gpuE7ELNS1_3repE0EEENS1_30default_config_static_selectorELNS0_4arch9wavefront6targetE0EEEvT1_.uses_vcc, 0
	.set _ZN7rocprim17ROCPRIM_400000_NS6detail17trampoline_kernelINS0_14default_configENS1_27scan_by_key_config_selectorIijEEZZNS1_16scan_by_key_implILNS1_25lookback_scan_determinismE0ELb0ES3_N6thrust23THRUST_200600_302600_NS6detail15normal_iteratorINS9_10device_ptrIiEEEENSB_INSC_IjEEEENSB_INSC_IfEEEEjNS9_4plusIvEENS9_8equal_toIvEEjEE10hipError_tPvRmT2_T3_T4_T5_mT6_T7_P12ihipStream_tbENKUlT_T0_E_clISt17integral_constantIbLb0EES12_IbLb1EEEEDaSY_SZ_EUlSY_E_NS1_11comp_targetILNS1_3genE3ELNS1_11target_archE908ELNS1_3gpuE7ELNS1_3repE0EEENS1_30default_config_static_selectorELNS0_4arch9wavefront6targetE0EEEvT1_.uses_flat_scratch, 0
	.set _ZN7rocprim17ROCPRIM_400000_NS6detail17trampoline_kernelINS0_14default_configENS1_27scan_by_key_config_selectorIijEEZZNS1_16scan_by_key_implILNS1_25lookback_scan_determinismE0ELb0ES3_N6thrust23THRUST_200600_302600_NS6detail15normal_iteratorINS9_10device_ptrIiEEEENSB_INSC_IjEEEENSB_INSC_IfEEEEjNS9_4plusIvEENS9_8equal_toIvEEjEE10hipError_tPvRmT2_T3_T4_T5_mT6_T7_P12ihipStream_tbENKUlT_T0_E_clISt17integral_constantIbLb0EES12_IbLb1EEEEDaSY_SZ_EUlSY_E_NS1_11comp_targetILNS1_3genE3ELNS1_11target_archE908ELNS1_3gpuE7ELNS1_3repE0EEENS1_30default_config_static_selectorELNS0_4arch9wavefront6targetE0EEEvT1_.has_dyn_sized_stack, 0
	.set _ZN7rocprim17ROCPRIM_400000_NS6detail17trampoline_kernelINS0_14default_configENS1_27scan_by_key_config_selectorIijEEZZNS1_16scan_by_key_implILNS1_25lookback_scan_determinismE0ELb0ES3_N6thrust23THRUST_200600_302600_NS6detail15normal_iteratorINS9_10device_ptrIiEEEENSB_INSC_IjEEEENSB_INSC_IfEEEEjNS9_4plusIvEENS9_8equal_toIvEEjEE10hipError_tPvRmT2_T3_T4_T5_mT6_T7_P12ihipStream_tbENKUlT_T0_E_clISt17integral_constantIbLb0EES12_IbLb1EEEEDaSY_SZ_EUlSY_E_NS1_11comp_targetILNS1_3genE3ELNS1_11target_archE908ELNS1_3gpuE7ELNS1_3repE0EEENS1_30default_config_static_selectorELNS0_4arch9wavefront6targetE0EEEvT1_.has_recursion, 0
	.set _ZN7rocprim17ROCPRIM_400000_NS6detail17trampoline_kernelINS0_14default_configENS1_27scan_by_key_config_selectorIijEEZZNS1_16scan_by_key_implILNS1_25lookback_scan_determinismE0ELb0ES3_N6thrust23THRUST_200600_302600_NS6detail15normal_iteratorINS9_10device_ptrIiEEEENSB_INSC_IjEEEENSB_INSC_IfEEEEjNS9_4plusIvEENS9_8equal_toIvEEjEE10hipError_tPvRmT2_T3_T4_T5_mT6_T7_P12ihipStream_tbENKUlT_T0_E_clISt17integral_constantIbLb0EES12_IbLb1EEEEDaSY_SZ_EUlSY_E_NS1_11comp_targetILNS1_3genE3ELNS1_11target_archE908ELNS1_3gpuE7ELNS1_3repE0EEENS1_30default_config_static_selectorELNS0_4arch9wavefront6targetE0EEEvT1_.has_indirect_call, 0
	.section	.AMDGPU.csdata,"",@progbits
; Kernel info:
; codeLenInByte = 0
; TotalNumSgprs: 0
; NumVgprs: 0
; ScratchSize: 0
; MemoryBound: 0
; FloatMode: 240
; IeeeMode: 1
; LDSByteSize: 0 bytes/workgroup (compile time only)
; SGPRBlocks: 0
; VGPRBlocks: 0
; NumSGPRsForWavesPerEU: 1
; NumVGPRsForWavesPerEU: 1
; Occupancy: 16
; WaveLimiterHint : 0
; COMPUTE_PGM_RSRC2:SCRATCH_EN: 0
; COMPUTE_PGM_RSRC2:USER_SGPR: 6
; COMPUTE_PGM_RSRC2:TRAP_HANDLER: 0
; COMPUTE_PGM_RSRC2:TGID_X_EN: 1
; COMPUTE_PGM_RSRC2:TGID_Y_EN: 0
; COMPUTE_PGM_RSRC2:TGID_Z_EN: 0
; COMPUTE_PGM_RSRC2:TIDIG_COMP_CNT: 0
	.section	.text._ZN7rocprim17ROCPRIM_400000_NS6detail17trampoline_kernelINS0_14default_configENS1_27scan_by_key_config_selectorIijEEZZNS1_16scan_by_key_implILNS1_25lookback_scan_determinismE0ELb0ES3_N6thrust23THRUST_200600_302600_NS6detail15normal_iteratorINS9_10device_ptrIiEEEENSB_INSC_IjEEEENSB_INSC_IfEEEEjNS9_4plusIvEENS9_8equal_toIvEEjEE10hipError_tPvRmT2_T3_T4_T5_mT6_T7_P12ihipStream_tbENKUlT_T0_E_clISt17integral_constantIbLb0EES12_IbLb1EEEEDaSY_SZ_EUlSY_E_NS1_11comp_targetILNS1_3genE2ELNS1_11target_archE906ELNS1_3gpuE6ELNS1_3repE0EEENS1_30default_config_static_selectorELNS0_4arch9wavefront6targetE0EEEvT1_,"axG",@progbits,_ZN7rocprim17ROCPRIM_400000_NS6detail17trampoline_kernelINS0_14default_configENS1_27scan_by_key_config_selectorIijEEZZNS1_16scan_by_key_implILNS1_25lookback_scan_determinismE0ELb0ES3_N6thrust23THRUST_200600_302600_NS6detail15normal_iteratorINS9_10device_ptrIiEEEENSB_INSC_IjEEEENSB_INSC_IfEEEEjNS9_4plusIvEENS9_8equal_toIvEEjEE10hipError_tPvRmT2_T3_T4_T5_mT6_T7_P12ihipStream_tbENKUlT_T0_E_clISt17integral_constantIbLb0EES12_IbLb1EEEEDaSY_SZ_EUlSY_E_NS1_11comp_targetILNS1_3genE2ELNS1_11target_archE906ELNS1_3gpuE6ELNS1_3repE0EEENS1_30default_config_static_selectorELNS0_4arch9wavefront6targetE0EEEvT1_,comdat
	.protected	_ZN7rocprim17ROCPRIM_400000_NS6detail17trampoline_kernelINS0_14default_configENS1_27scan_by_key_config_selectorIijEEZZNS1_16scan_by_key_implILNS1_25lookback_scan_determinismE0ELb0ES3_N6thrust23THRUST_200600_302600_NS6detail15normal_iteratorINS9_10device_ptrIiEEEENSB_INSC_IjEEEENSB_INSC_IfEEEEjNS9_4plusIvEENS9_8equal_toIvEEjEE10hipError_tPvRmT2_T3_T4_T5_mT6_T7_P12ihipStream_tbENKUlT_T0_E_clISt17integral_constantIbLb0EES12_IbLb1EEEEDaSY_SZ_EUlSY_E_NS1_11comp_targetILNS1_3genE2ELNS1_11target_archE906ELNS1_3gpuE6ELNS1_3repE0EEENS1_30default_config_static_selectorELNS0_4arch9wavefront6targetE0EEEvT1_ ; -- Begin function _ZN7rocprim17ROCPRIM_400000_NS6detail17trampoline_kernelINS0_14default_configENS1_27scan_by_key_config_selectorIijEEZZNS1_16scan_by_key_implILNS1_25lookback_scan_determinismE0ELb0ES3_N6thrust23THRUST_200600_302600_NS6detail15normal_iteratorINS9_10device_ptrIiEEEENSB_INSC_IjEEEENSB_INSC_IfEEEEjNS9_4plusIvEENS9_8equal_toIvEEjEE10hipError_tPvRmT2_T3_T4_T5_mT6_T7_P12ihipStream_tbENKUlT_T0_E_clISt17integral_constantIbLb0EES12_IbLb1EEEEDaSY_SZ_EUlSY_E_NS1_11comp_targetILNS1_3genE2ELNS1_11target_archE906ELNS1_3gpuE6ELNS1_3repE0EEENS1_30default_config_static_selectorELNS0_4arch9wavefront6targetE0EEEvT1_
	.globl	_ZN7rocprim17ROCPRIM_400000_NS6detail17trampoline_kernelINS0_14default_configENS1_27scan_by_key_config_selectorIijEEZZNS1_16scan_by_key_implILNS1_25lookback_scan_determinismE0ELb0ES3_N6thrust23THRUST_200600_302600_NS6detail15normal_iteratorINS9_10device_ptrIiEEEENSB_INSC_IjEEEENSB_INSC_IfEEEEjNS9_4plusIvEENS9_8equal_toIvEEjEE10hipError_tPvRmT2_T3_T4_T5_mT6_T7_P12ihipStream_tbENKUlT_T0_E_clISt17integral_constantIbLb0EES12_IbLb1EEEEDaSY_SZ_EUlSY_E_NS1_11comp_targetILNS1_3genE2ELNS1_11target_archE906ELNS1_3gpuE6ELNS1_3repE0EEENS1_30default_config_static_selectorELNS0_4arch9wavefront6targetE0EEEvT1_
	.p2align	8
	.type	_ZN7rocprim17ROCPRIM_400000_NS6detail17trampoline_kernelINS0_14default_configENS1_27scan_by_key_config_selectorIijEEZZNS1_16scan_by_key_implILNS1_25lookback_scan_determinismE0ELb0ES3_N6thrust23THRUST_200600_302600_NS6detail15normal_iteratorINS9_10device_ptrIiEEEENSB_INSC_IjEEEENSB_INSC_IfEEEEjNS9_4plusIvEENS9_8equal_toIvEEjEE10hipError_tPvRmT2_T3_T4_T5_mT6_T7_P12ihipStream_tbENKUlT_T0_E_clISt17integral_constantIbLb0EES12_IbLb1EEEEDaSY_SZ_EUlSY_E_NS1_11comp_targetILNS1_3genE2ELNS1_11target_archE906ELNS1_3gpuE6ELNS1_3repE0EEENS1_30default_config_static_selectorELNS0_4arch9wavefront6targetE0EEEvT1_,@function
_ZN7rocprim17ROCPRIM_400000_NS6detail17trampoline_kernelINS0_14default_configENS1_27scan_by_key_config_selectorIijEEZZNS1_16scan_by_key_implILNS1_25lookback_scan_determinismE0ELb0ES3_N6thrust23THRUST_200600_302600_NS6detail15normal_iteratorINS9_10device_ptrIiEEEENSB_INSC_IjEEEENSB_INSC_IfEEEEjNS9_4plusIvEENS9_8equal_toIvEEjEE10hipError_tPvRmT2_T3_T4_T5_mT6_T7_P12ihipStream_tbENKUlT_T0_E_clISt17integral_constantIbLb0EES12_IbLb1EEEEDaSY_SZ_EUlSY_E_NS1_11comp_targetILNS1_3genE2ELNS1_11target_archE906ELNS1_3gpuE6ELNS1_3repE0EEENS1_30default_config_static_selectorELNS0_4arch9wavefront6targetE0EEEvT1_: ; @_ZN7rocprim17ROCPRIM_400000_NS6detail17trampoline_kernelINS0_14default_configENS1_27scan_by_key_config_selectorIijEEZZNS1_16scan_by_key_implILNS1_25lookback_scan_determinismE0ELb0ES3_N6thrust23THRUST_200600_302600_NS6detail15normal_iteratorINS9_10device_ptrIiEEEENSB_INSC_IjEEEENSB_INSC_IfEEEEjNS9_4plusIvEENS9_8equal_toIvEEjEE10hipError_tPvRmT2_T3_T4_T5_mT6_T7_P12ihipStream_tbENKUlT_T0_E_clISt17integral_constantIbLb0EES12_IbLb1EEEEDaSY_SZ_EUlSY_E_NS1_11comp_targetILNS1_3genE2ELNS1_11target_archE906ELNS1_3gpuE6ELNS1_3repE0EEENS1_30default_config_static_selectorELNS0_4arch9wavefront6targetE0EEEvT1_
; %bb.0:
	.section	.rodata,"a",@progbits
	.p2align	6, 0x0
	.amdhsa_kernel _ZN7rocprim17ROCPRIM_400000_NS6detail17trampoline_kernelINS0_14default_configENS1_27scan_by_key_config_selectorIijEEZZNS1_16scan_by_key_implILNS1_25lookback_scan_determinismE0ELb0ES3_N6thrust23THRUST_200600_302600_NS6detail15normal_iteratorINS9_10device_ptrIiEEEENSB_INSC_IjEEEENSB_INSC_IfEEEEjNS9_4plusIvEENS9_8equal_toIvEEjEE10hipError_tPvRmT2_T3_T4_T5_mT6_T7_P12ihipStream_tbENKUlT_T0_E_clISt17integral_constantIbLb0EES12_IbLb1EEEEDaSY_SZ_EUlSY_E_NS1_11comp_targetILNS1_3genE2ELNS1_11target_archE906ELNS1_3gpuE6ELNS1_3repE0EEENS1_30default_config_static_selectorELNS0_4arch9wavefront6targetE0EEEvT1_
		.amdhsa_group_segment_fixed_size 0
		.amdhsa_private_segment_fixed_size 0
		.amdhsa_kernarg_size 112
		.amdhsa_user_sgpr_count 6
		.amdhsa_user_sgpr_private_segment_buffer 1
		.amdhsa_user_sgpr_dispatch_ptr 0
		.amdhsa_user_sgpr_queue_ptr 0
		.amdhsa_user_sgpr_kernarg_segment_ptr 1
		.amdhsa_user_sgpr_dispatch_id 0
		.amdhsa_user_sgpr_flat_scratch_init 0
		.amdhsa_user_sgpr_private_segment_size 0
		.amdhsa_wavefront_size32 1
		.amdhsa_uses_dynamic_stack 0
		.amdhsa_system_sgpr_private_segment_wavefront_offset 0
		.amdhsa_system_sgpr_workgroup_id_x 1
		.amdhsa_system_sgpr_workgroup_id_y 0
		.amdhsa_system_sgpr_workgroup_id_z 0
		.amdhsa_system_sgpr_workgroup_info 0
		.amdhsa_system_vgpr_workitem_id 0
		.amdhsa_next_free_vgpr 1
		.amdhsa_next_free_sgpr 1
		.amdhsa_reserve_vcc 0
		.amdhsa_reserve_flat_scratch 0
		.amdhsa_float_round_mode_32 0
		.amdhsa_float_round_mode_16_64 0
		.amdhsa_float_denorm_mode_32 3
		.amdhsa_float_denorm_mode_16_64 3
		.amdhsa_dx10_clamp 1
		.amdhsa_ieee_mode 1
		.amdhsa_fp16_overflow 0
		.amdhsa_workgroup_processor_mode 1
		.amdhsa_memory_ordered 1
		.amdhsa_forward_progress 1
		.amdhsa_shared_vgpr_count 0
		.amdhsa_exception_fp_ieee_invalid_op 0
		.amdhsa_exception_fp_denorm_src 0
		.amdhsa_exception_fp_ieee_div_zero 0
		.amdhsa_exception_fp_ieee_overflow 0
		.amdhsa_exception_fp_ieee_underflow 0
		.amdhsa_exception_fp_ieee_inexact 0
		.amdhsa_exception_int_div_zero 0
	.end_amdhsa_kernel
	.section	.text._ZN7rocprim17ROCPRIM_400000_NS6detail17trampoline_kernelINS0_14default_configENS1_27scan_by_key_config_selectorIijEEZZNS1_16scan_by_key_implILNS1_25lookback_scan_determinismE0ELb0ES3_N6thrust23THRUST_200600_302600_NS6detail15normal_iteratorINS9_10device_ptrIiEEEENSB_INSC_IjEEEENSB_INSC_IfEEEEjNS9_4plusIvEENS9_8equal_toIvEEjEE10hipError_tPvRmT2_T3_T4_T5_mT6_T7_P12ihipStream_tbENKUlT_T0_E_clISt17integral_constantIbLb0EES12_IbLb1EEEEDaSY_SZ_EUlSY_E_NS1_11comp_targetILNS1_3genE2ELNS1_11target_archE906ELNS1_3gpuE6ELNS1_3repE0EEENS1_30default_config_static_selectorELNS0_4arch9wavefront6targetE0EEEvT1_,"axG",@progbits,_ZN7rocprim17ROCPRIM_400000_NS6detail17trampoline_kernelINS0_14default_configENS1_27scan_by_key_config_selectorIijEEZZNS1_16scan_by_key_implILNS1_25lookback_scan_determinismE0ELb0ES3_N6thrust23THRUST_200600_302600_NS6detail15normal_iteratorINS9_10device_ptrIiEEEENSB_INSC_IjEEEENSB_INSC_IfEEEEjNS9_4plusIvEENS9_8equal_toIvEEjEE10hipError_tPvRmT2_T3_T4_T5_mT6_T7_P12ihipStream_tbENKUlT_T0_E_clISt17integral_constantIbLb0EES12_IbLb1EEEEDaSY_SZ_EUlSY_E_NS1_11comp_targetILNS1_3genE2ELNS1_11target_archE906ELNS1_3gpuE6ELNS1_3repE0EEENS1_30default_config_static_selectorELNS0_4arch9wavefront6targetE0EEEvT1_,comdat
.Lfunc_end1676:
	.size	_ZN7rocprim17ROCPRIM_400000_NS6detail17trampoline_kernelINS0_14default_configENS1_27scan_by_key_config_selectorIijEEZZNS1_16scan_by_key_implILNS1_25lookback_scan_determinismE0ELb0ES3_N6thrust23THRUST_200600_302600_NS6detail15normal_iteratorINS9_10device_ptrIiEEEENSB_INSC_IjEEEENSB_INSC_IfEEEEjNS9_4plusIvEENS9_8equal_toIvEEjEE10hipError_tPvRmT2_T3_T4_T5_mT6_T7_P12ihipStream_tbENKUlT_T0_E_clISt17integral_constantIbLb0EES12_IbLb1EEEEDaSY_SZ_EUlSY_E_NS1_11comp_targetILNS1_3genE2ELNS1_11target_archE906ELNS1_3gpuE6ELNS1_3repE0EEENS1_30default_config_static_selectorELNS0_4arch9wavefront6targetE0EEEvT1_, .Lfunc_end1676-_ZN7rocprim17ROCPRIM_400000_NS6detail17trampoline_kernelINS0_14default_configENS1_27scan_by_key_config_selectorIijEEZZNS1_16scan_by_key_implILNS1_25lookback_scan_determinismE0ELb0ES3_N6thrust23THRUST_200600_302600_NS6detail15normal_iteratorINS9_10device_ptrIiEEEENSB_INSC_IjEEEENSB_INSC_IfEEEEjNS9_4plusIvEENS9_8equal_toIvEEjEE10hipError_tPvRmT2_T3_T4_T5_mT6_T7_P12ihipStream_tbENKUlT_T0_E_clISt17integral_constantIbLb0EES12_IbLb1EEEEDaSY_SZ_EUlSY_E_NS1_11comp_targetILNS1_3genE2ELNS1_11target_archE906ELNS1_3gpuE6ELNS1_3repE0EEENS1_30default_config_static_selectorELNS0_4arch9wavefront6targetE0EEEvT1_
                                        ; -- End function
	.set _ZN7rocprim17ROCPRIM_400000_NS6detail17trampoline_kernelINS0_14default_configENS1_27scan_by_key_config_selectorIijEEZZNS1_16scan_by_key_implILNS1_25lookback_scan_determinismE0ELb0ES3_N6thrust23THRUST_200600_302600_NS6detail15normal_iteratorINS9_10device_ptrIiEEEENSB_INSC_IjEEEENSB_INSC_IfEEEEjNS9_4plusIvEENS9_8equal_toIvEEjEE10hipError_tPvRmT2_T3_T4_T5_mT6_T7_P12ihipStream_tbENKUlT_T0_E_clISt17integral_constantIbLb0EES12_IbLb1EEEEDaSY_SZ_EUlSY_E_NS1_11comp_targetILNS1_3genE2ELNS1_11target_archE906ELNS1_3gpuE6ELNS1_3repE0EEENS1_30default_config_static_selectorELNS0_4arch9wavefront6targetE0EEEvT1_.num_vgpr, 0
	.set _ZN7rocprim17ROCPRIM_400000_NS6detail17trampoline_kernelINS0_14default_configENS1_27scan_by_key_config_selectorIijEEZZNS1_16scan_by_key_implILNS1_25lookback_scan_determinismE0ELb0ES3_N6thrust23THRUST_200600_302600_NS6detail15normal_iteratorINS9_10device_ptrIiEEEENSB_INSC_IjEEEENSB_INSC_IfEEEEjNS9_4plusIvEENS9_8equal_toIvEEjEE10hipError_tPvRmT2_T3_T4_T5_mT6_T7_P12ihipStream_tbENKUlT_T0_E_clISt17integral_constantIbLb0EES12_IbLb1EEEEDaSY_SZ_EUlSY_E_NS1_11comp_targetILNS1_3genE2ELNS1_11target_archE906ELNS1_3gpuE6ELNS1_3repE0EEENS1_30default_config_static_selectorELNS0_4arch9wavefront6targetE0EEEvT1_.num_agpr, 0
	.set _ZN7rocprim17ROCPRIM_400000_NS6detail17trampoline_kernelINS0_14default_configENS1_27scan_by_key_config_selectorIijEEZZNS1_16scan_by_key_implILNS1_25lookback_scan_determinismE0ELb0ES3_N6thrust23THRUST_200600_302600_NS6detail15normal_iteratorINS9_10device_ptrIiEEEENSB_INSC_IjEEEENSB_INSC_IfEEEEjNS9_4plusIvEENS9_8equal_toIvEEjEE10hipError_tPvRmT2_T3_T4_T5_mT6_T7_P12ihipStream_tbENKUlT_T0_E_clISt17integral_constantIbLb0EES12_IbLb1EEEEDaSY_SZ_EUlSY_E_NS1_11comp_targetILNS1_3genE2ELNS1_11target_archE906ELNS1_3gpuE6ELNS1_3repE0EEENS1_30default_config_static_selectorELNS0_4arch9wavefront6targetE0EEEvT1_.numbered_sgpr, 0
	.set _ZN7rocprim17ROCPRIM_400000_NS6detail17trampoline_kernelINS0_14default_configENS1_27scan_by_key_config_selectorIijEEZZNS1_16scan_by_key_implILNS1_25lookback_scan_determinismE0ELb0ES3_N6thrust23THRUST_200600_302600_NS6detail15normal_iteratorINS9_10device_ptrIiEEEENSB_INSC_IjEEEENSB_INSC_IfEEEEjNS9_4plusIvEENS9_8equal_toIvEEjEE10hipError_tPvRmT2_T3_T4_T5_mT6_T7_P12ihipStream_tbENKUlT_T0_E_clISt17integral_constantIbLb0EES12_IbLb1EEEEDaSY_SZ_EUlSY_E_NS1_11comp_targetILNS1_3genE2ELNS1_11target_archE906ELNS1_3gpuE6ELNS1_3repE0EEENS1_30default_config_static_selectorELNS0_4arch9wavefront6targetE0EEEvT1_.num_named_barrier, 0
	.set _ZN7rocprim17ROCPRIM_400000_NS6detail17trampoline_kernelINS0_14default_configENS1_27scan_by_key_config_selectorIijEEZZNS1_16scan_by_key_implILNS1_25lookback_scan_determinismE0ELb0ES3_N6thrust23THRUST_200600_302600_NS6detail15normal_iteratorINS9_10device_ptrIiEEEENSB_INSC_IjEEEENSB_INSC_IfEEEEjNS9_4plusIvEENS9_8equal_toIvEEjEE10hipError_tPvRmT2_T3_T4_T5_mT6_T7_P12ihipStream_tbENKUlT_T0_E_clISt17integral_constantIbLb0EES12_IbLb1EEEEDaSY_SZ_EUlSY_E_NS1_11comp_targetILNS1_3genE2ELNS1_11target_archE906ELNS1_3gpuE6ELNS1_3repE0EEENS1_30default_config_static_selectorELNS0_4arch9wavefront6targetE0EEEvT1_.private_seg_size, 0
	.set _ZN7rocprim17ROCPRIM_400000_NS6detail17trampoline_kernelINS0_14default_configENS1_27scan_by_key_config_selectorIijEEZZNS1_16scan_by_key_implILNS1_25lookback_scan_determinismE0ELb0ES3_N6thrust23THRUST_200600_302600_NS6detail15normal_iteratorINS9_10device_ptrIiEEEENSB_INSC_IjEEEENSB_INSC_IfEEEEjNS9_4plusIvEENS9_8equal_toIvEEjEE10hipError_tPvRmT2_T3_T4_T5_mT6_T7_P12ihipStream_tbENKUlT_T0_E_clISt17integral_constantIbLb0EES12_IbLb1EEEEDaSY_SZ_EUlSY_E_NS1_11comp_targetILNS1_3genE2ELNS1_11target_archE906ELNS1_3gpuE6ELNS1_3repE0EEENS1_30default_config_static_selectorELNS0_4arch9wavefront6targetE0EEEvT1_.uses_vcc, 0
	.set _ZN7rocprim17ROCPRIM_400000_NS6detail17trampoline_kernelINS0_14default_configENS1_27scan_by_key_config_selectorIijEEZZNS1_16scan_by_key_implILNS1_25lookback_scan_determinismE0ELb0ES3_N6thrust23THRUST_200600_302600_NS6detail15normal_iteratorINS9_10device_ptrIiEEEENSB_INSC_IjEEEENSB_INSC_IfEEEEjNS9_4plusIvEENS9_8equal_toIvEEjEE10hipError_tPvRmT2_T3_T4_T5_mT6_T7_P12ihipStream_tbENKUlT_T0_E_clISt17integral_constantIbLb0EES12_IbLb1EEEEDaSY_SZ_EUlSY_E_NS1_11comp_targetILNS1_3genE2ELNS1_11target_archE906ELNS1_3gpuE6ELNS1_3repE0EEENS1_30default_config_static_selectorELNS0_4arch9wavefront6targetE0EEEvT1_.uses_flat_scratch, 0
	.set _ZN7rocprim17ROCPRIM_400000_NS6detail17trampoline_kernelINS0_14default_configENS1_27scan_by_key_config_selectorIijEEZZNS1_16scan_by_key_implILNS1_25lookback_scan_determinismE0ELb0ES3_N6thrust23THRUST_200600_302600_NS6detail15normal_iteratorINS9_10device_ptrIiEEEENSB_INSC_IjEEEENSB_INSC_IfEEEEjNS9_4plusIvEENS9_8equal_toIvEEjEE10hipError_tPvRmT2_T3_T4_T5_mT6_T7_P12ihipStream_tbENKUlT_T0_E_clISt17integral_constantIbLb0EES12_IbLb1EEEEDaSY_SZ_EUlSY_E_NS1_11comp_targetILNS1_3genE2ELNS1_11target_archE906ELNS1_3gpuE6ELNS1_3repE0EEENS1_30default_config_static_selectorELNS0_4arch9wavefront6targetE0EEEvT1_.has_dyn_sized_stack, 0
	.set _ZN7rocprim17ROCPRIM_400000_NS6detail17trampoline_kernelINS0_14default_configENS1_27scan_by_key_config_selectorIijEEZZNS1_16scan_by_key_implILNS1_25lookback_scan_determinismE0ELb0ES3_N6thrust23THRUST_200600_302600_NS6detail15normal_iteratorINS9_10device_ptrIiEEEENSB_INSC_IjEEEENSB_INSC_IfEEEEjNS9_4plusIvEENS9_8equal_toIvEEjEE10hipError_tPvRmT2_T3_T4_T5_mT6_T7_P12ihipStream_tbENKUlT_T0_E_clISt17integral_constantIbLb0EES12_IbLb1EEEEDaSY_SZ_EUlSY_E_NS1_11comp_targetILNS1_3genE2ELNS1_11target_archE906ELNS1_3gpuE6ELNS1_3repE0EEENS1_30default_config_static_selectorELNS0_4arch9wavefront6targetE0EEEvT1_.has_recursion, 0
	.set _ZN7rocprim17ROCPRIM_400000_NS6detail17trampoline_kernelINS0_14default_configENS1_27scan_by_key_config_selectorIijEEZZNS1_16scan_by_key_implILNS1_25lookback_scan_determinismE0ELb0ES3_N6thrust23THRUST_200600_302600_NS6detail15normal_iteratorINS9_10device_ptrIiEEEENSB_INSC_IjEEEENSB_INSC_IfEEEEjNS9_4plusIvEENS9_8equal_toIvEEjEE10hipError_tPvRmT2_T3_T4_T5_mT6_T7_P12ihipStream_tbENKUlT_T0_E_clISt17integral_constantIbLb0EES12_IbLb1EEEEDaSY_SZ_EUlSY_E_NS1_11comp_targetILNS1_3genE2ELNS1_11target_archE906ELNS1_3gpuE6ELNS1_3repE0EEENS1_30default_config_static_selectorELNS0_4arch9wavefront6targetE0EEEvT1_.has_indirect_call, 0
	.section	.AMDGPU.csdata,"",@progbits
; Kernel info:
; codeLenInByte = 0
; TotalNumSgprs: 0
; NumVgprs: 0
; ScratchSize: 0
; MemoryBound: 0
; FloatMode: 240
; IeeeMode: 1
; LDSByteSize: 0 bytes/workgroup (compile time only)
; SGPRBlocks: 0
; VGPRBlocks: 0
; NumSGPRsForWavesPerEU: 1
; NumVGPRsForWavesPerEU: 1
; Occupancy: 16
; WaveLimiterHint : 0
; COMPUTE_PGM_RSRC2:SCRATCH_EN: 0
; COMPUTE_PGM_RSRC2:USER_SGPR: 6
; COMPUTE_PGM_RSRC2:TRAP_HANDLER: 0
; COMPUTE_PGM_RSRC2:TGID_X_EN: 1
; COMPUTE_PGM_RSRC2:TGID_Y_EN: 0
; COMPUTE_PGM_RSRC2:TGID_Z_EN: 0
; COMPUTE_PGM_RSRC2:TIDIG_COMP_CNT: 0
	.section	.text._ZN7rocprim17ROCPRIM_400000_NS6detail17trampoline_kernelINS0_14default_configENS1_27scan_by_key_config_selectorIijEEZZNS1_16scan_by_key_implILNS1_25lookback_scan_determinismE0ELb0ES3_N6thrust23THRUST_200600_302600_NS6detail15normal_iteratorINS9_10device_ptrIiEEEENSB_INSC_IjEEEENSB_INSC_IfEEEEjNS9_4plusIvEENS9_8equal_toIvEEjEE10hipError_tPvRmT2_T3_T4_T5_mT6_T7_P12ihipStream_tbENKUlT_T0_E_clISt17integral_constantIbLb0EES12_IbLb1EEEEDaSY_SZ_EUlSY_E_NS1_11comp_targetILNS1_3genE10ELNS1_11target_archE1200ELNS1_3gpuE4ELNS1_3repE0EEENS1_30default_config_static_selectorELNS0_4arch9wavefront6targetE0EEEvT1_,"axG",@progbits,_ZN7rocprim17ROCPRIM_400000_NS6detail17trampoline_kernelINS0_14default_configENS1_27scan_by_key_config_selectorIijEEZZNS1_16scan_by_key_implILNS1_25lookback_scan_determinismE0ELb0ES3_N6thrust23THRUST_200600_302600_NS6detail15normal_iteratorINS9_10device_ptrIiEEEENSB_INSC_IjEEEENSB_INSC_IfEEEEjNS9_4plusIvEENS9_8equal_toIvEEjEE10hipError_tPvRmT2_T3_T4_T5_mT6_T7_P12ihipStream_tbENKUlT_T0_E_clISt17integral_constantIbLb0EES12_IbLb1EEEEDaSY_SZ_EUlSY_E_NS1_11comp_targetILNS1_3genE10ELNS1_11target_archE1200ELNS1_3gpuE4ELNS1_3repE0EEENS1_30default_config_static_selectorELNS0_4arch9wavefront6targetE0EEEvT1_,comdat
	.protected	_ZN7rocprim17ROCPRIM_400000_NS6detail17trampoline_kernelINS0_14default_configENS1_27scan_by_key_config_selectorIijEEZZNS1_16scan_by_key_implILNS1_25lookback_scan_determinismE0ELb0ES3_N6thrust23THRUST_200600_302600_NS6detail15normal_iteratorINS9_10device_ptrIiEEEENSB_INSC_IjEEEENSB_INSC_IfEEEEjNS9_4plusIvEENS9_8equal_toIvEEjEE10hipError_tPvRmT2_T3_T4_T5_mT6_T7_P12ihipStream_tbENKUlT_T0_E_clISt17integral_constantIbLb0EES12_IbLb1EEEEDaSY_SZ_EUlSY_E_NS1_11comp_targetILNS1_3genE10ELNS1_11target_archE1200ELNS1_3gpuE4ELNS1_3repE0EEENS1_30default_config_static_selectorELNS0_4arch9wavefront6targetE0EEEvT1_ ; -- Begin function _ZN7rocprim17ROCPRIM_400000_NS6detail17trampoline_kernelINS0_14default_configENS1_27scan_by_key_config_selectorIijEEZZNS1_16scan_by_key_implILNS1_25lookback_scan_determinismE0ELb0ES3_N6thrust23THRUST_200600_302600_NS6detail15normal_iteratorINS9_10device_ptrIiEEEENSB_INSC_IjEEEENSB_INSC_IfEEEEjNS9_4plusIvEENS9_8equal_toIvEEjEE10hipError_tPvRmT2_T3_T4_T5_mT6_T7_P12ihipStream_tbENKUlT_T0_E_clISt17integral_constantIbLb0EES12_IbLb1EEEEDaSY_SZ_EUlSY_E_NS1_11comp_targetILNS1_3genE10ELNS1_11target_archE1200ELNS1_3gpuE4ELNS1_3repE0EEENS1_30default_config_static_selectorELNS0_4arch9wavefront6targetE0EEEvT1_
	.globl	_ZN7rocprim17ROCPRIM_400000_NS6detail17trampoline_kernelINS0_14default_configENS1_27scan_by_key_config_selectorIijEEZZNS1_16scan_by_key_implILNS1_25lookback_scan_determinismE0ELb0ES3_N6thrust23THRUST_200600_302600_NS6detail15normal_iteratorINS9_10device_ptrIiEEEENSB_INSC_IjEEEENSB_INSC_IfEEEEjNS9_4plusIvEENS9_8equal_toIvEEjEE10hipError_tPvRmT2_T3_T4_T5_mT6_T7_P12ihipStream_tbENKUlT_T0_E_clISt17integral_constantIbLb0EES12_IbLb1EEEEDaSY_SZ_EUlSY_E_NS1_11comp_targetILNS1_3genE10ELNS1_11target_archE1200ELNS1_3gpuE4ELNS1_3repE0EEENS1_30default_config_static_selectorELNS0_4arch9wavefront6targetE0EEEvT1_
	.p2align	8
	.type	_ZN7rocprim17ROCPRIM_400000_NS6detail17trampoline_kernelINS0_14default_configENS1_27scan_by_key_config_selectorIijEEZZNS1_16scan_by_key_implILNS1_25lookback_scan_determinismE0ELb0ES3_N6thrust23THRUST_200600_302600_NS6detail15normal_iteratorINS9_10device_ptrIiEEEENSB_INSC_IjEEEENSB_INSC_IfEEEEjNS9_4plusIvEENS9_8equal_toIvEEjEE10hipError_tPvRmT2_T3_T4_T5_mT6_T7_P12ihipStream_tbENKUlT_T0_E_clISt17integral_constantIbLb0EES12_IbLb1EEEEDaSY_SZ_EUlSY_E_NS1_11comp_targetILNS1_3genE10ELNS1_11target_archE1200ELNS1_3gpuE4ELNS1_3repE0EEENS1_30default_config_static_selectorELNS0_4arch9wavefront6targetE0EEEvT1_,@function
_ZN7rocprim17ROCPRIM_400000_NS6detail17trampoline_kernelINS0_14default_configENS1_27scan_by_key_config_selectorIijEEZZNS1_16scan_by_key_implILNS1_25lookback_scan_determinismE0ELb0ES3_N6thrust23THRUST_200600_302600_NS6detail15normal_iteratorINS9_10device_ptrIiEEEENSB_INSC_IjEEEENSB_INSC_IfEEEEjNS9_4plusIvEENS9_8equal_toIvEEjEE10hipError_tPvRmT2_T3_T4_T5_mT6_T7_P12ihipStream_tbENKUlT_T0_E_clISt17integral_constantIbLb0EES12_IbLb1EEEEDaSY_SZ_EUlSY_E_NS1_11comp_targetILNS1_3genE10ELNS1_11target_archE1200ELNS1_3gpuE4ELNS1_3repE0EEENS1_30default_config_static_selectorELNS0_4arch9wavefront6targetE0EEEvT1_: ; @_ZN7rocprim17ROCPRIM_400000_NS6detail17trampoline_kernelINS0_14default_configENS1_27scan_by_key_config_selectorIijEEZZNS1_16scan_by_key_implILNS1_25lookback_scan_determinismE0ELb0ES3_N6thrust23THRUST_200600_302600_NS6detail15normal_iteratorINS9_10device_ptrIiEEEENSB_INSC_IjEEEENSB_INSC_IfEEEEjNS9_4plusIvEENS9_8equal_toIvEEjEE10hipError_tPvRmT2_T3_T4_T5_mT6_T7_P12ihipStream_tbENKUlT_T0_E_clISt17integral_constantIbLb0EES12_IbLb1EEEEDaSY_SZ_EUlSY_E_NS1_11comp_targetILNS1_3genE10ELNS1_11target_archE1200ELNS1_3gpuE4ELNS1_3repE0EEENS1_30default_config_static_selectorELNS0_4arch9wavefront6targetE0EEEvT1_
; %bb.0:
	.section	.rodata,"a",@progbits
	.p2align	6, 0x0
	.amdhsa_kernel _ZN7rocprim17ROCPRIM_400000_NS6detail17trampoline_kernelINS0_14default_configENS1_27scan_by_key_config_selectorIijEEZZNS1_16scan_by_key_implILNS1_25lookback_scan_determinismE0ELb0ES3_N6thrust23THRUST_200600_302600_NS6detail15normal_iteratorINS9_10device_ptrIiEEEENSB_INSC_IjEEEENSB_INSC_IfEEEEjNS9_4plusIvEENS9_8equal_toIvEEjEE10hipError_tPvRmT2_T3_T4_T5_mT6_T7_P12ihipStream_tbENKUlT_T0_E_clISt17integral_constantIbLb0EES12_IbLb1EEEEDaSY_SZ_EUlSY_E_NS1_11comp_targetILNS1_3genE10ELNS1_11target_archE1200ELNS1_3gpuE4ELNS1_3repE0EEENS1_30default_config_static_selectorELNS0_4arch9wavefront6targetE0EEEvT1_
		.amdhsa_group_segment_fixed_size 0
		.amdhsa_private_segment_fixed_size 0
		.amdhsa_kernarg_size 112
		.amdhsa_user_sgpr_count 6
		.amdhsa_user_sgpr_private_segment_buffer 1
		.amdhsa_user_sgpr_dispatch_ptr 0
		.amdhsa_user_sgpr_queue_ptr 0
		.amdhsa_user_sgpr_kernarg_segment_ptr 1
		.amdhsa_user_sgpr_dispatch_id 0
		.amdhsa_user_sgpr_flat_scratch_init 0
		.amdhsa_user_sgpr_private_segment_size 0
		.amdhsa_wavefront_size32 1
		.amdhsa_uses_dynamic_stack 0
		.amdhsa_system_sgpr_private_segment_wavefront_offset 0
		.amdhsa_system_sgpr_workgroup_id_x 1
		.amdhsa_system_sgpr_workgroup_id_y 0
		.amdhsa_system_sgpr_workgroup_id_z 0
		.amdhsa_system_sgpr_workgroup_info 0
		.amdhsa_system_vgpr_workitem_id 0
		.amdhsa_next_free_vgpr 1
		.amdhsa_next_free_sgpr 1
		.amdhsa_reserve_vcc 0
		.amdhsa_reserve_flat_scratch 0
		.amdhsa_float_round_mode_32 0
		.amdhsa_float_round_mode_16_64 0
		.amdhsa_float_denorm_mode_32 3
		.amdhsa_float_denorm_mode_16_64 3
		.amdhsa_dx10_clamp 1
		.amdhsa_ieee_mode 1
		.amdhsa_fp16_overflow 0
		.amdhsa_workgroup_processor_mode 1
		.amdhsa_memory_ordered 1
		.amdhsa_forward_progress 1
		.amdhsa_shared_vgpr_count 0
		.amdhsa_exception_fp_ieee_invalid_op 0
		.amdhsa_exception_fp_denorm_src 0
		.amdhsa_exception_fp_ieee_div_zero 0
		.amdhsa_exception_fp_ieee_overflow 0
		.amdhsa_exception_fp_ieee_underflow 0
		.amdhsa_exception_fp_ieee_inexact 0
		.amdhsa_exception_int_div_zero 0
	.end_amdhsa_kernel
	.section	.text._ZN7rocprim17ROCPRIM_400000_NS6detail17trampoline_kernelINS0_14default_configENS1_27scan_by_key_config_selectorIijEEZZNS1_16scan_by_key_implILNS1_25lookback_scan_determinismE0ELb0ES3_N6thrust23THRUST_200600_302600_NS6detail15normal_iteratorINS9_10device_ptrIiEEEENSB_INSC_IjEEEENSB_INSC_IfEEEEjNS9_4plusIvEENS9_8equal_toIvEEjEE10hipError_tPvRmT2_T3_T4_T5_mT6_T7_P12ihipStream_tbENKUlT_T0_E_clISt17integral_constantIbLb0EES12_IbLb1EEEEDaSY_SZ_EUlSY_E_NS1_11comp_targetILNS1_3genE10ELNS1_11target_archE1200ELNS1_3gpuE4ELNS1_3repE0EEENS1_30default_config_static_selectorELNS0_4arch9wavefront6targetE0EEEvT1_,"axG",@progbits,_ZN7rocprim17ROCPRIM_400000_NS6detail17trampoline_kernelINS0_14default_configENS1_27scan_by_key_config_selectorIijEEZZNS1_16scan_by_key_implILNS1_25lookback_scan_determinismE0ELb0ES3_N6thrust23THRUST_200600_302600_NS6detail15normal_iteratorINS9_10device_ptrIiEEEENSB_INSC_IjEEEENSB_INSC_IfEEEEjNS9_4plusIvEENS9_8equal_toIvEEjEE10hipError_tPvRmT2_T3_T4_T5_mT6_T7_P12ihipStream_tbENKUlT_T0_E_clISt17integral_constantIbLb0EES12_IbLb1EEEEDaSY_SZ_EUlSY_E_NS1_11comp_targetILNS1_3genE10ELNS1_11target_archE1200ELNS1_3gpuE4ELNS1_3repE0EEENS1_30default_config_static_selectorELNS0_4arch9wavefront6targetE0EEEvT1_,comdat
.Lfunc_end1677:
	.size	_ZN7rocprim17ROCPRIM_400000_NS6detail17trampoline_kernelINS0_14default_configENS1_27scan_by_key_config_selectorIijEEZZNS1_16scan_by_key_implILNS1_25lookback_scan_determinismE0ELb0ES3_N6thrust23THRUST_200600_302600_NS6detail15normal_iteratorINS9_10device_ptrIiEEEENSB_INSC_IjEEEENSB_INSC_IfEEEEjNS9_4plusIvEENS9_8equal_toIvEEjEE10hipError_tPvRmT2_T3_T4_T5_mT6_T7_P12ihipStream_tbENKUlT_T0_E_clISt17integral_constantIbLb0EES12_IbLb1EEEEDaSY_SZ_EUlSY_E_NS1_11comp_targetILNS1_3genE10ELNS1_11target_archE1200ELNS1_3gpuE4ELNS1_3repE0EEENS1_30default_config_static_selectorELNS0_4arch9wavefront6targetE0EEEvT1_, .Lfunc_end1677-_ZN7rocprim17ROCPRIM_400000_NS6detail17trampoline_kernelINS0_14default_configENS1_27scan_by_key_config_selectorIijEEZZNS1_16scan_by_key_implILNS1_25lookback_scan_determinismE0ELb0ES3_N6thrust23THRUST_200600_302600_NS6detail15normal_iteratorINS9_10device_ptrIiEEEENSB_INSC_IjEEEENSB_INSC_IfEEEEjNS9_4plusIvEENS9_8equal_toIvEEjEE10hipError_tPvRmT2_T3_T4_T5_mT6_T7_P12ihipStream_tbENKUlT_T0_E_clISt17integral_constantIbLb0EES12_IbLb1EEEEDaSY_SZ_EUlSY_E_NS1_11comp_targetILNS1_3genE10ELNS1_11target_archE1200ELNS1_3gpuE4ELNS1_3repE0EEENS1_30default_config_static_selectorELNS0_4arch9wavefront6targetE0EEEvT1_
                                        ; -- End function
	.set _ZN7rocprim17ROCPRIM_400000_NS6detail17trampoline_kernelINS0_14default_configENS1_27scan_by_key_config_selectorIijEEZZNS1_16scan_by_key_implILNS1_25lookback_scan_determinismE0ELb0ES3_N6thrust23THRUST_200600_302600_NS6detail15normal_iteratorINS9_10device_ptrIiEEEENSB_INSC_IjEEEENSB_INSC_IfEEEEjNS9_4plusIvEENS9_8equal_toIvEEjEE10hipError_tPvRmT2_T3_T4_T5_mT6_T7_P12ihipStream_tbENKUlT_T0_E_clISt17integral_constantIbLb0EES12_IbLb1EEEEDaSY_SZ_EUlSY_E_NS1_11comp_targetILNS1_3genE10ELNS1_11target_archE1200ELNS1_3gpuE4ELNS1_3repE0EEENS1_30default_config_static_selectorELNS0_4arch9wavefront6targetE0EEEvT1_.num_vgpr, 0
	.set _ZN7rocprim17ROCPRIM_400000_NS6detail17trampoline_kernelINS0_14default_configENS1_27scan_by_key_config_selectorIijEEZZNS1_16scan_by_key_implILNS1_25lookback_scan_determinismE0ELb0ES3_N6thrust23THRUST_200600_302600_NS6detail15normal_iteratorINS9_10device_ptrIiEEEENSB_INSC_IjEEEENSB_INSC_IfEEEEjNS9_4plusIvEENS9_8equal_toIvEEjEE10hipError_tPvRmT2_T3_T4_T5_mT6_T7_P12ihipStream_tbENKUlT_T0_E_clISt17integral_constantIbLb0EES12_IbLb1EEEEDaSY_SZ_EUlSY_E_NS1_11comp_targetILNS1_3genE10ELNS1_11target_archE1200ELNS1_3gpuE4ELNS1_3repE0EEENS1_30default_config_static_selectorELNS0_4arch9wavefront6targetE0EEEvT1_.num_agpr, 0
	.set _ZN7rocprim17ROCPRIM_400000_NS6detail17trampoline_kernelINS0_14default_configENS1_27scan_by_key_config_selectorIijEEZZNS1_16scan_by_key_implILNS1_25lookback_scan_determinismE0ELb0ES3_N6thrust23THRUST_200600_302600_NS6detail15normal_iteratorINS9_10device_ptrIiEEEENSB_INSC_IjEEEENSB_INSC_IfEEEEjNS9_4plusIvEENS9_8equal_toIvEEjEE10hipError_tPvRmT2_T3_T4_T5_mT6_T7_P12ihipStream_tbENKUlT_T0_E_clISt17integral_constantIbLb0EES12_IbLb1EEEEDaSY_SZ_EUlSY_E_NS1_11comp_targetILNS1_3genE10ELNS1_11target_archE1200ELNS1_3gpuE4ELNS1_3repE0EEENS1_30default_config_static_selectorELNS0_4arch9wavefront6targetE0EEEvT1_.numbered_sgpr, 0
	.set _ZN7rocprim17ROCPRIM_400000_NS6detail17trampoline_kernelINS0_14default_configENS1_27scan_by_key_config_selectorIijEEZZNS1_16scan_by_key_implILNS1_25lookback_scan_determinismE0ELb0ES3_N6thrust23THRUST_200600_302600_NS6detail15normal_iteratorINS9_10device_ptrIiEEEENSB_INSC_IjEEEENSB_INSC_IfEEEEjNS9_4plusIvEENS9_8equal_toIvEEjEE10hipError_tPvRmT2_T3_T4_T5_mT6_T7_P12ihipStream_tbENKUlT_T0_E_clISt17integral_constantIbLb0EES12_IbLb1EEEEDaSY_SZ_EUlSY_E_NS1_11comp_targetILNS1_3genE10ELNS1_11target_archE1200ELNS1_3gpuE4ELNS1_3repE0EEENS1_30default_config_static_selectorELNS0_4arch9wavefront6targetE0EEEvT1_.num_named_barrier, 0
	.set _ZN7rocprim17ROCPRIM_400000_NS6detail17trampoline_kernelINS0_14default_configENS1_27scan_by_key_config_selectorIijEEZZNS1_16scan_by_key_implILNS1_25lookback_scan_determinismE0ELb0ES3_N6thrust23THRUST_200600_302600_NS6detail15normal_iteratorINS9_10device_ptrIiEEEENSB_INSC_IjEEEENSB_INSC_IfEEEEjNS9_4plusIvEENS9_8equal_toIvEEjEE10hipError_tPvRmT2_T3_T4_T5_mT6_T7_P12ihipStream_tbENKUlT_T0_E_clISt17integral_constantIbLb0EES12_IbLb1EEEEDaSY_SZ_EUlSY_E_NS1_11comp_targetILNS1_3genE10ELNS1_11target_archE1200ELNS1_3gpuE4ELNS1_3repE0EEENS1_30default_config_static_selectorELNS0_4arch9wavefront6targetE0EEEvT1_.private_seg_size, 0
	.set _ZN7rocprim17ROCPRIM_400000_NS6detail17trampoline_kernelINS0_14default_configENS1_27scan_by_key_config_selectorIijEEZZNS1_16scan_by_key_implILNS1_25lookback_scan_determinismE0ELb0ES3_N6thrust23THRUST_200600_302600_NS6detail15normal_iteratorINS9_10device_ptrIiEEEENSB_INSC_IjEEEENSB_INSC_IfEEEEjNS9_4plusIvEENS9_8equal_toIvEEjEE10hipError_tPvRmT2_T3_T4_T5_mT6_T7_P12ihipStream_tbENKUlT_T0_E_clISt17integral_constantIbLb0EES12_IbLb1EEEEDaSY_SZ_EUlSY_E_NS1_11comp_targetILNS1_3genE10ELNS1_11target_archE1200ELNS1_3gpuE4ELNS1_3repE0EEENS1_30default_config_static_selectorELNS0_4arch9wavefront6targetE0EEEvT1_.uses_vcc, 0
	.set _ZN7rocprim17ROCPRIM_400000_NS6detail17trampoline_kernelINS0_14default_configENS1_27scan_by_key_config_selectorIijEEZZNS1_16scan_by_key_implILNS1_25lookback_scan_determinismE0ELb0ES3_N6thrust23THRUST_200600_302600_NS6detail15normal_iteratorINS9_10device_ptrIiEEEENSB_INSC_IjEEEENSB_INSC_IfEEEEjNS9_4plusIvEENS9_8equal_toIvEEjEE10hipError_tPvRmT2_T3_T4_T5_mT6_T7_P12ihipStream_tbENKUlT_T0_E_clISt17integral_constantIbLb0EES12_IbLb1EEEEDaSY_SZ_EUlSY_E_NS1_11comp_targetILNS1_3genE10ELNS1_11target_archE1200ELNS1_3gpuE4ELNS1_3repE0EEENS1_30default_config_static_selectorELNS0_4arch9wavefront6targetE0EEEvT1_.uses_flat_scratch, 0
	.set _ZN7rocprim17ROCPRIM_400000_NS6detail17trampoline_kernelINS0_14default_configENS1_27scan_by_key_config_selectorIijEEZZNS1_16scan_by_key_implILNS1_25lookback_scan_determinismE0ELb0ES3_N6thrust23THRUST_200600_302600_NS6detail15normal_iteratorINS9_10device_ptrIiEEEENSB_INSC_IjEEEENSB_INSC_IfEEEEjNS9_4plusIvEENS9_8equal_toIvEEjEE10hipError_tPvRmT2_T3_T4_T5_mT6_T7_P12ihipStream_tbENKUlT_T0_E_clISt17integral_constantIbLb0EES12_IbLb1EEEEDaSY_SZ_EUlSY_E_NS1_11comp_targetILNS1_3genE10ELNS1_11target_archE1200ELNS1_3gpuE4ELNS1_3repE0EEENS1_30default_config_static_selectorELNS0_4arch9wavefront6targetE0EEEvT1_.has_dyn_sized_stack, 0
	.set _ZN7rocprim17ROCPRIM_400000_NS6detail17trampoline_kernelINS0_14default_configENS1_27scan_by_key_config_selectorIijEEZZNS1_16scan_by_key_implILNS1_25lookback_scan_determinismE0ELb0ES3_N6thrust23THRUST_200600_302600_NS6detail15normal_iteratorINS9_10device_ptrIiEEEENSB_INSC_IjEEEENSB_INSC_IfEEEEjNS9_4plusIvEENS9_8equal_toIvEEjEE10hipError_tPvRmT2_T3_T4_T5_mT6_T7_P12ihipStream_tbENKUlT_T0_E_clISt17integral_constantIbLb0EES12_IbLb1EEEEDaSY_SZ_EUlSY_E_NS1_11comp_targetILNS1_3genE10ELNS1_11target_archE1200ELNS1_3gpuE4ELNS1_3repE0EEENS1_30default_config_static_selectorELNS0_4arch9wavefront6targetE0EEEvT1_.has_recursion, 0
	.set _ZN7rocprim17ROCPRIM_400000_NS6detail17trampoline_kernelINS0_14default_configENS1_27scan_by_key_config_selectorIijEEZZNS1_16scan_by_key_implILNS1_25lookback_scan_determinismE0ELb0ES3_N6thrust23THRUST_200600_302600_NS6detail15normal_iteratorINS9_10device_ptrIiEEEENSB_INSC_IjEEEENSB_INSC_IfEEEEjNS9_4plusIvEENS9_8equal_toIvEEjEE10hipError_tPvRmT2_T3_T4_T5_mT6_T7_P12ihipStream_tbENKUlT_T0_E_clISt17integral_constantIbLb0EES12_IbLb1EEEEDaSY_SZ_EUlSY_E_NS1_11comp_targetILNS1_3genE10ELNS1_11target_archE1200ELNS1_3gpuE4ELNS1_3repE0EEENS1_30default_config_static_selectorELNS0_4arch9wavefront6targetE0EEEvT1_.has_indirect_call, 0
	.section	.AMDGPU.csdata,"",@progbits
; Kernel info:
; codeLenInByte = 0
; TotalNumSgprs: 0
; NumVgprs: 0
; ScratchSize: 0
; MemoryBound: 0
; FloatMode: 240
; IeeeMode: 1
; LDSByteSize: 0 bytes/workgroup (compile time only)
; SGPRBlocks: 0
; VGPRBlocks: 0
; NumSGPRsForWavesPerEU: 1
; NumVGPRsForWavesPerEU: 1
; Occupancy: 16
; WaveLimiterHint : 0
; COMPUTE_PGM_RSRC2:SCRATCH_EN: 0
; COMPUTE_PGM_RSRC2:USER_SGPR: 6
; COMPUTE_PGM_RSRC2:TRAP_HANDLER: 0
; COMPUTE_PGM_RSRC2:TGID_X_EN: 1
; COMPUTE_PGM_RSRC2:TGID_Y_EN: 0
; COMPUTE_PGM_RSRC2:TGID_Z_EN: 0
; COMPUTE_PGM_RSRC2:TIDIG_COMP_CNT: 0
	.section	.text._ZN7rocprim17ROCPRIM_400000_NS6detail17trampoline_kernelINS0_14default_configENS1_27scan_by_key_config_selectorIijEEZZNS1_16scan_by_key_implILNS1_25lookback_scan_determinismE0ELb0ES3_N6thrust23THRUST_200600_302600_NS6detail15normal_iteratorINS9_10device_ptrIiEEEENSB_INSC_IjEEEENSB_INSC_IfEEEEjNS9_4plusIvEENS9_8equal_toIvEEjEE10hipError_tPvRmT2_T3_T4_T5_mT6_T7_P12ihipStream_tbENKUlT_T0_E_clISt17integral_constantIbLb0EES12_IbLb1EEEEDaSY_SZ_EUlSY_E_NS1_11comp_targetILNS1_3genE9ELNS1_11target_archE1100ELNS1_3gpuE3ELNS1_3repE0EEENS1_30default_config_static_selectorELNS0_4arch9wavefront6targetE0EEEvT1_,"axG",@progbits,_ZN7rocprim17ROCPRIM_400000_NS6detail17trampoline_kernelINS0_14default_configENS1_27scan_by_key_config_selectorIijEEZZNS1_16scan_by_key_implILNS1_25lookback_scan_determinismE0ELb0ES3_N6thrust23THRUST_200600_302600_NS6detail15normal_iteratorINS9_10device_ptrIiEEEENSB_INSC_IjEEEENSB_INSC_IfEEEEjNS9_4plusIvEENS9_8equal_toIvEEjEE10hipError_tPvRmT2_T3_T4_T5_mT6_T7_P12ihipStream_tbENKUlT_T0_E_clISt17integral_constantIbLb0EES12_IbLb1EEEEDaSY_SZ_EUlSY_E_NS1_11comp_targetILNS1_3genE9ELNS1_11target_archE1100ELNS1_3gpuE3ELNS1_3repE0EEENS1_30default_config_static_selectorELNS0_4arch9wavefront6targetE0EEEvT1_,comdat
	.protected	_ZN7rocprim17ROCPRIM_400000_NS6detail17trampoline_kernelINS0_14default_configENS1_27scan_by_key_config_selectorIijEEZZNS1_16scan_by_key_implILNS1_25lookback_scan_determinismE0ELb0ES3_N6thrust23THRUST_200600_302600_NS6detail15normal_iteratorINS9_10device_ptrIiEEEENSB_INSC_IjEEEENSB_INSC_IfEEEEjNS9_4plusIvEENS9_8equal_toIvEEjEE10hipError_tPvRmT2_T3_T4_T5_mT6_T7_P12ihipStream_tbENKUlT_T0_E_clISt17integral_constantIbLb0EES12_IbLb1EEEEDaSY_SZ_EUlSY_E_NS1_11comp_targetILNS1_3genE9ELNS1_11target_archE1100ELNS1_3gpuE3ELNS1_3repE0EEENS1_30default_config_static_selectorELNS0_4arch9wavefront6targetE0EEEvT1_ ; -- Begin function _ZN7rocprim17ROCPRIM_400000_NS6detail17trampoline_kernelINS0_14default_configENS1_27scan_by_key_config_selectorIijEEZZNS1_16scan_by_key_implILNS1_25lookback_scan_determinismE0ELb0ES3_N6thrust23THRUST_200600_302600_NS6detail15normal_iteratorINS9_10device_ptrIiEEEENSB_INSC_IjEEEENSB_INSC_IfEEEEjNS9_4plusIvEENS9_8equal_toIvEEjEE10hipError_tPvRmT2_T3_T4_T5_mT6_T7_P12ihipStream_tbENKUlT_T0_E_clISt17integral_constantIbLb0EES12_IbLb1EEEEDaSY_SZ_EUlSY_E_NS1_11comp_targetILNS1_3genE9ELNS1_11target_archE1100ELNS1_3gpuE3ELNS1_3repE0EEENS1_30default_config_static_selectorELNS0_4arch9wavefront6targetE0EEEvT1_
	.globl	_ZN7rocprim17ROCPRIM_400000_NS6detail17trampoline_kernelINS0_14default_configENS1_27scan_by_key_config_selectorIijEEZZNS1_16scan_by_key_implILNS1_25lookback_scan_determinismE0ELb0ES3_N6thrust23THRUST_200600_302600_NS6detail15normal_iteratorINS9_10device_ptrIiEEEENSB_INSC_IjEEEENSB_INSC_IfEEEEjNS9_4plusIvEENS9_8equal_toIvEEjEE10hipError_tPvRmT2_T3_T4_T5_mT6_T7_P12ihipStream_tbENKUlT_T0_E_clISt17integral_constantIbLb0EES12_IbLb1EEEEDaSY_SZ_EUlSY_E_NS1_11comp_targetILNS1_3genE9ELNS1_11target_archE1100ELNS1_3gpuE3ELNS1_3repE0EEENS1_30default_config_static_selectorELNS0_4arch9wavefront6targetE0EEEvT1_
	.p2align	8
	.type	_ZN7rocprim17ROCPRIM_400000_NS6detail17trampoline_kernelINS0_14default_configENS1_27scan_by_key_config_selectorIijEEZZNS1_16scan_by_key_implILNS1_25lookback_scan_determinismE0ELb0ES3_N6thrust23THRUST_200600_302600_NS6detail15normal_iteratorINS9_10device_ptrIiEEEENSB_INSC_IjEEEENSB_INSC_IfEEEEjNS9_4plusIvEENS9_8equal_toIvEEjEE10hipError_tPvRmT2_T3_T4_T5_mT6_T7_P12ihipStream_tbENKUlT_T0_E_clISt17integral_constantIbLb0EES12_IbLb1EEEEDaSY_SZ_EUlSY_E_NS1_11comp_targetILNS1_3genE9ELNS1_11target_archE1100ELNS1_3gpuE3ELNS1_3repE0EEENS1_30default_config_static_selectorELNS0_4arch9wavefront6targetE0EEEvT1_,@function
_ZN7rocprim17ROCPRIM_400000_NS6detail17trampoline_kernelINS0_14default_configENS1_27scan_by_key_config_selectorIijEEZZNS1_16scan_by_key_implILNS1_25lookback_scan_determinismE0ELb0ES3_N6thrust23THRUST_200600_302600_NS6detail15normal_iteratorINS9_10device_ptrIiEEEENSB_INSC_IjEEEENSB_INSC_IfEEEEjNS9_4plusIvEENS9_8equal_toIvEEjEE10hipError_tPvRmT2_T3_T4_T5_mT6_T7_P12ihipStream_tbENKUlT_T0_E_clISt17integral_constantIbLb0EES12_IbLb1EEEEDaSY_SZ_EUlSY_E_NS1_11comp_targetILNS1_3genE9ELNS1_11target_archE1100ELNS1_3gpuE3ELNS1_3repE0EEENS1_30default_config_static_selectorELNS0_4arch9wavefront6targetE0EEEvT1_: ; @_ZN7rocprim17ROCPRIM_400000_NS6detail17trampoline_kernelINS0_14default_configENS1_27scan_by_key_config_selectorIijEEZZNS1_16scan_by_key_implILNS1_25lookback_scan_determinismE0ELb0ES3_N6thrust23THRUST_200600_302600_NS6detail15normal_iteratorINS9_10device_ptrIiEEEENSB_INSC_IjEEEENSB_INSC_IfEEEEjNS9_4plusIvEENS9_8equal_toIvEEjEE10hipError_tPvRmT2_T3_T4_T5_mT6_T7_P12ihipStream_tbENKUlT_T0_E_clISt17integral_constantIbLb0EES12_IbLb1EEEEDaSY_SZ_EUlSY_E_NS1_11comp_targetILNS1_3genE9ELNS1_11target_archE1100ELNS1_3gpuE3ELNS1_3repE0EEENS1_30default_config_static_selectorELNS0_4arch9wavefront6targetE0EEEvT1_
; %bb.0:
	.section	.rodata,"a",@progbits
	.p2align	6, 0x0
	.amdhsa_kernel _ZN7rocprim17ROCPRIM_400000_NS6detail17trampoline_kernelINS0_14default_configENS1_27scan_by_key_config_selectorIijEEZZNS1_16scan_by_key_implILNS1_25lookback_scan_determinismE0ELb0ES3_N6thrust23THRUST_200600_302600_NS6detail15normal_iteratorINS9_10device_ptrIiEEEENSB_INSC_IjEEEENSB_INSC_IfEEEEjNS9_4plusIvEENS9_8equal_toIvEEjEE10hipError_tPvRmT2_T3_T4_T5_mT6_T7_P12ihipStream_tbENKUlT_T0_E_clISt17integral_constantIbLb0EES12_IbLb1EEEEDaSY_SZ_EUlSY_E_NS1_11comp_targetILNS1_3genE9ELNS1_11target_archE1100ELNS1_3gpuE3ELNS1_3repE0EEENS1_30default_config_static_selectorELNS0_4arch9wavefront6targetE0EEEvT1_
		.amdhsa_group_segment_fixed_size 0
		.amdhsa_private_segment_fixed_size 0
		.amdhsa_kernarg_size 112
		.amdhsa_user_sgpr_count 6
		.amdhsa_user_sgpr_private_segment_buffer 1
		.amdhsa_user_sgpr_dispatch_ptr 0
		.amdhsa_user_sgpr_queue_ptr 0
		.amdhsa_user_sgpr_kernarg_segment_ptr 1
		.amdhsa_user_sgpr_dispatch_id 0
		.amdhsa_user_sgpr_flat_scratch_init 0
		.amdhsa_user_sgpr_private_segment_size 0
		.amdhsa_wavefront_size32 1
		.amdhsa_uses_dynamic_stack 0
		.amdhsa_system_sgpr_private_segment_wavefront_offset 0
		.amdhsa_system_sgpr_workgroup_id_x 1
		.amdhsa_system_sgpr_workgroup_id_y 0
		.amdhsa_system_sgpr_workgroup_id_z 0
		.amdhsa_system_sgpr_workgroup_info 0
		.amdhsa_system_vgpr_workitem_id 0
		.amdhsa_next_free_vgpr 1
		.amdhsa_next_free_sgpr 1
		.amdhsa_reserve_vcc 0
		.amdhsa_reserve_flat_scratch 0
		.amdhsa_float_round_mode_32 0
		.amdhsa_float_round_mode_16_64 0
		.amdhsa_float_denorm_mode_32 3
		.amdhsa_float_denorm_mode_16_64 3
		.amdhsa_dx10_clamp 1
		.amdhsa_ieee_mode 1
		.amdhsa_fp16_overflow 0
		.amdhsa_workgroup_processor_mode 1
		.amdhsa_memory_ordered 1
		.amdhsa_forward_progress 1
		.amdhsa_shared_vgpr_count 0
		.amdhsa_exception_fp_ieee_invalid_op 0
		.amdhsa_exception_fp_denorm_src 0
		.amdhsa_exception_fp_ieee_div_zero 0
		.amdhsa_exception_fp_ieee_overflow 0
		.amdhsa_exception_fp_ieee_underflow 0
		.amdhsa_exception_fp_ieee_inexact 0
		.amdhsa_exception_int_div_zero 0
	.end_amdhsa_kernel
	.section	.text._ZN7rocprim17ROCPRIM_400000_NS6detail17trampoline_kernelINS0_14default_configENS1_27scan_by_key_config_selectorIijEEZZNS1_16scan_by_key_implILNS1_25lookback_scan_determinismE0ELb0ES3_N6thrust23THRUST_200600_302600_NS6detail15normal_iteratorINS9_10device_ptrIiEEEENSB_INSC_IjEEEENSB_INSC_IfEEEEjNS9_4plusIvEENS9_8equal_toIvEEjEE10hipError_tPvRmT2_T3_T4_T5_mT6_T7_P12ihipStream_tbENKUlT_T0_E_clISt17integral_constantIbLb0EES12_IbLb1EEEEDaSY_SZ_EUlSY_E_NS1_11comp_targetILNS1_3genE9ELNS1_11target_archE1100ELNS1_3gpuE3ELNS1_3repE0EEENS1_30default_config_static_selectorELNS0_4arch9wavefront6targetE0EEEvT1_,"axG",@progbits,_ZN7rocprim17ROCPRIM_400000_NS6detail17trampoline_kernelINS0_14default_configENS1_27scan_by_key_config_selectorIijEEZZNS1_16scan_by_key_implILNS1_25lookback_scan_determinismE0ELb0ES3_N6thrust23THRUST_200600_302600_NS6detail15normal_iteratorINS9_10device_ptrIiEEEENSB_INSC_IjEEEENSB_INSC_IfEEEEjNS9_4plusIvEENS9_8equal_toIvEEjEE10hipError_tPvRmT2_T3_T4_T5_mT6_T7_P12ihipStream_tbENKUlT_T0_E_clISt17integral_constantIbLb0EES12_IbLb1EEEEDaSY_SZ_EUlSY_E_NS1_11comp_targetILNS1_3genE9ELNS1_11target_archE1100ELNS1_3gpuE3ELNS1_3repE0EEENS1_30default_config_static_selectorELNS0_4arch9wavefront6targetE0EEEvT1_,comdat
.Lfunc_end1678:
	.size	_ZN7rocprim17ROCPRIM_400000_NS6detail17trampoline_kernelINS0_14default_configENS1_27scan_by_key_config_selectorIijEEZZNS1_16scan_by_key_implILNS1_25lookback_scan_determinismE0ELb0ES3_N6thrust23THRUST_200600_302600_NS6detail15normal_iteratorINS9_10device_ptrIiEEEENSB_INSC_IjEEEENSB_INSC_IfEEEEjNS9_4plusIvEENS9_8equal_toIvEEjEE10hipError_tPvRmT2_T3_T4_T5_mT6_T7_P12ihipStream_tbENKUlT_T0_E_clISt17integral_constantIbLb0EES12_IbLb1EEEEDaSY_SZ_EUlSY_E_NS1_11comp_targetILNS1_3genE9ELNS1_11target_archE1100ELNS1_3gpuE3ELNS1_3repE0EEENS1_30default_config_static_selectorELNS0_4arch9wavefront6targetE0EEEvT1_, .Lfunc_end1678-_ZN7rocprim17ROCPRIM_400000_NS6detail17trampoline_kernelINS0_14default_configENS1_27scan_by_key_config_selectorIijEEZZNS1_16scan_by_key_implILNS1_25lookback_scan_determinismE0ELb0ES3_N6thrust23THRUST_200600_302600_NS6detail15normal_iteratorINS9_10device_ptrIiEEEENSB_INSC_IjEEEENSB_INSC_IfEEEEjNS9_4plusIvEENS9_8equal_toIvEEjEE10hipError_tPvRmT2_T3_T4_T5_mT6_T7_P12ihipStream_tbENKUlT_T0_E_clISt17integral_constantIbLb0EES12_IbLb1EEEEDaSY_SZ_EUlSY_E_NS1_11comp_targetILNS1_3genE9ELNS1_11target_archE1100ELNS1_3gpuE3ELNS1_3repE0EEENS1_30default_config_static_selectorELNS0_4arch9wavefront6targetE0EEEvT1_
                                        ; -- End function
	.set _ZN7rocprim17ROCPRIM_400000_NS6detail17trampoline_kernelINS0_14default_configENS1_27scan_by_key_config_selectorIijEEZZNS1_16scan_by_key_implILNS1_25lookback_scan_determinismE0ELb0ES3_N6thrust23THRUST_200600_302600_NS6detail15normal_iteratorINS9_10device_ptrIiEEEENSB_INSC_IjEEEENSB_INSC_IfEEEEjNS9_4plusIvEENS9_8equal_toIvEEjEE10hipError_tPvRmT2_T3_T4_T5_mT6_T7_P12ihipStream_tbENKUlT_T0_E_clISt17integral_constantIbLb0EES12_IbLb1EEEEDaSY_SZ_EUlSY_E_NS1_11comp_targetILNS1_3genE9ELNS1_11target_archE1100ELNS1_3gpuE3ELNS1_3repE0EEENS1_30default_config_static_selectorELNS0_4arch9wavefront6targetE0EEEvT1_.num_vgpr, 0
	.set _ZN7rocprim17ROCPRIM_400000_NS6detail17trampoline_kernelINS0_14default_configENS1_27scan_by_key_config_selectorIijEEZZNS1_16scan_by_key_implILNS1_25lookback_scan_determinismE0ELb0ES3_N6thrust23THRUST_200600_302600_NS6detail15normal_iteratorINS9_10device_ptrIiEEEENSB_INSC_IjEEEENSB_INSC_IfEEEEjNS9_4plusIvEENS9_8equal_toIvEEjEE10hipError_tPvRmT2_T3_T4_T5_mT6_T7_P12ihipStream_tbENKUlT_T0_E_clISt17integral_constantIbLb0EES12_IbLb1EEEEDaSY_SZ_EUlSY_E_NS1_11comp_targetILNS1_3genE9ELNS1_11target_archE1100ELNS1_3gpuE3ELNS1_3repE0EEENS1_30default_config_static_selectorELNS0_4arch9wavefront6targetE0EEEvT1_.num_agpr, 0
	.set _ZN7rocprim17ROCPRIM_400000_NS6detail17trampoline_kernelINS0_14default_configENS1_27scan_by_key_config_selectorIijEEZZNS1_16scan_by_key_implILNS1_25lookback_scan_determinismE0ELb0ES3_N6thrust23THRUST_200600_302600_NS6detail15normal_iteratorINS9_10device_ptrIiEEEENSB_INSC_IjEEEENSB_INSC_IfEEEEjNS9_4plusIvEENS9_8equal_toIvEEjEE10hipError_tPvRmT2_T3_T4_T5_mT6_T7_P12ihipStream_tbENKUlT_T0_E_clISt17integral_constantIbLb0EES12_IbLb1EEEEDaSY_SZ_EUlSY_E_NS1_11comp_targetILNS1_3genE9ELNS1_11target_archE1100ELNS1_3gpuE3ELNS1_3repE0EEENS1_30default_config_static_selectorELNS0_4arch9wavefront6targetE0EEEvT1_.numbered_sgpr, 0
	.set _ZN7rocprim17ROCPRIM_400000_NS6detail17trampoline_kernelINS0_14default_configENS1_27scan_by_key_config_selectorIijEEZZNS1_16scan_by_key_implILNS1_25lookback_scan_determinismE0ELb0ES3_N6thrust23THRUST_200600_302600_NS6detail15normal_iteratorINS9_10device_ptrIiEEEENSB_INSC_IjEEEENSB_INSC_IfEEEEjNS9_4plusIvEENS9_8equal_toIvEEjEE10hipError_tPvRmT2_T3_T4_T5_mT6_T7_P12ihipStream_tbENKUlT_T0_E_clISt17integral_constantIbLb0EES12_IbLb1EEEEDaSY_SZ_EUlSY_E_NS1_11comp_targetILNS1_3genE9ELNS1_11target_archE1100ELNS1_3gpuE3ELNS1_3repE0EEENS1_30default_config_static_selectorELNS0_4arch9wavefront6targetE0EEEvT1_.num_named_barrier, 0
	.set _ZN7rocprim17ROCPRIM_400000_NS6detail17trampoline_kernelINS0_14default_configENS1_27scan_by_key_config_selectorIijEEZZNS1_16scan_by_key_implILNS1_25lookback_scan_determinismE0ELb0ES3_N6thrust23THRUST_200600_302600_NS6detail15normal_iteratorINS9_10device_ptrIiEEEENSB_INSC_IjEEEENSB_INSC_IfEEEEjNS9_4plusIvEENS9_8equal_toIvEEjEE10hipError_tPvRmT2_T3_T4_T5_mT6_T7_P12ihipStream_tbENKUlT_T0_E_clISt17integral_constantIbLb0EES12_IbLb1EEEEDaSY_SZ_EUlSY_E_NS1_11comp_targetILNS1_3genE9ELNS1_11target_archE1100ELNS1_3gpuE3ELNS1_3repE0EEENS1_30default_config_static_selectorELNS0_4arch9wavefront6targetE0EEEvT1_.private_seg_size, 0
	.set _ZN7rocprim17ROCPRIM_400000_NS6detail17trampoline_kernelINS0_14default_configENS1_27scan_by_key_config_selectorIijEEZZNS1_16scan_by_key_implILNS1_25lookback_scan_determinismE0ELb0ES3_N6thrust23THRUST_200600_302600_NS6detail15normal_iteratorINS9_10device_ptrIiEEEENSB_INSC_IjEEEENSB_INSC_IfEEEEjNS9_4plusIvEENS9_8equal_toIvEEjEE10hipError_tPvRmT2_T3_T4_T5_mT6_T7_P12ihipStream_tbENKUlT_T0_E_clISt17integral_constantIbLb0EES12_IbLb1EEEEDaSY_SZ_EUlSY_E_NS1_11comp_targetILNS1_3genE9ELNS1_11target_archE1100ELNS1_3gpuE3ELNS1_3repE0EEENS1_30default_config_static_selectorELNS0_4arch9wavefront6targetE0EEEvT1_.uses_vcc, 0
	.set _ZN7rocprim17ROCPRIM_400000_NS6detail17trampoline_kernelINS0_14default_configENS1_27scan_by_key_config_selectorIijEEZZNS1_16scan_by_key_implILNS1_25lookback_scan_determinismE0ELb0ES3_N6thrust23THRUST_200600_302600_NS6detail15normal_iteratorINS9_10device_ptrIiEEEENSB_INSC_IjEEEENSB_INSC_IfEEEEjNS9_4plusIvEENS9_8equal_toIvEEjEE10hipError_tPvRmT2_T3_T4_T5_mT6_T7_P12ihipStream_tbENKUlT_T0_E_clISt17integral_constantIbLb0EES12_IbLb1EEEEDaSY_SZ_EUlSY_E_NS1_11comp_targetILNS1_3genE9ELNS1_11target_archE1100ELNS1_3gpuE3ELNS1_3repE0EEENS1_30default_config_static_selectorELNS0_4arch9wavefront6targetE0EEEvT1_.uses_flat_scratch, 0
	.set _ZN7rocprim17ROCPRIM_400000_NS6detail17trampoline_kernelINS0_14default_configENS1_27scan_by_key_config_selectorIijEEZZNS1_16scan_by_key_implILNS1_25lookback_scan_determinismE0ELb0ES3_N6thrust23THRUST_200600_302600_NS6detail15normal_iteratorINS9_10device_ptrIiEEEENSB_INSC_IjEEEENSB_INSC_IfEEEEjNS9_4plusIvEENS9_8equal_toIvEEjEE10hipError_tPvRmT2_T3_T4_T5_mT6_T7_P12ihipStream_tbENKUlT_T0_E_clISt17integral_constantIbLb0EES12_IbLb1EEEEDaSY_SZ_EUlSY_E_NS1_11comp_targetILNS1_3genE9ELNS1_11target_archE1100ELNS1_3gpuE3ELNS1_3repE0EEENS1_30default_config_static_selectorELNS0_4arch9wavefront6targetE0EEEvT1_.has_dyn_sized_stack, 0
	.set _ZN7rocprim17ROCPRIM_400000_NS6detail17trampoline_kernelINS0_14default_configENS1_27scan_by_key_config_selectorIijEEZZNS1_16scan_by_key_implILNS1_25lookback_scan_determinismE0ELb0ES3_N6thrust23THRUST_200600_302600_NS6detail15normal_iteratorINS9_10device_ptrIiEEEENSB_INSC_IjEEEENSB_INSC_IfEEEEjNS9_4plusIvEENS9_8equal_toIvEEjEE10hipError_tPvRmT2_T3_T4_T5_mT6_T7_P12ihipStream_tbENKUlT_T0_E_clISt17integral_constantIbLb0EES12_IbLb1EEEEDaSY_SZ_EUlSY_E_NS1_11comp_targetILNS1_3genE9ELNS1_11target_archE1100ELNS1_3gpuE3ELNS1_3repE0EEENS1_30default_config_static_selectorELNS0_4arch9wavefront6targetE0EEEvT1_.has_recursion, 0
	.set _ZN7rocprim17ROCPRIM_400000_NS6detail17trampoline_kernelINS0_14default_configENS1_27scan_by_key_config_selectorIijEEZZNS1_16scan_by_key_implILNS1_25lookback_scan_determinismE0ELb0ES3_N6thrust23THRUST_200600_302600_NS6detail15normal_iteratorINS9_10device_ptrIiEEEENSB_INSC_IjEEEENSB_INSC_IfEEEEjNS9_4plusIvEENS9_8equal_toIvEEjEE10hipError_tPvRmT2_T3_T4_T5_mT6_T7_P12ihipStream_tbENKUlT_T0_E_clISt17integral_constantIbLb0EES12_IbLb1EEEEDaSY_SZ_EUlSY_E_NS1_11comp_targetILNS1_3genE9ELNS1_11target_archE1100ELNS1_3gpuE3ELNS1_3repE0EEENS1_30default_config_static_selectorELNS0_4arch9wavefront6targetE0EEEvT1_.has_indirect_call, 0
	.section	.AMDGPU.csdata,"",@progbits
; Kernel info:
; codeLenInByte = 0
; TotalNumSgprs: 0
; NumVgprs: 0
; ScratchSize: 0
; MemoryBound: 0
; FloatMode: 240
; IeeeMode: 1
; LDSByteSize: 0 bytes/workgroup (compile time only)
; SGPRBlocks: 0
; VGPRBlocks: 0
; NumSGPRsForWavesPerEU: 1
; NumVGPRsForWavesPerEU: 1
; Occupancy: 16
; WaveLimiterHint : 0
; COMPUTE_PGM_RSRC2:SCRATCH_EN: 0
; COMPUTE_PGM_RSRC2:USER_SGPR: 6
; COMPUTE_PGM_RSRC2:TRAP_HANDLER: 0
; COMPUTE_PGM_RSRC2:TGID_X_EN: 1
; COMPUTE_PGM_RSRC2:TGID_Y_EN: 0
; COMPUTE_PGM_RSRC2:TGID_Z_EN: 0
; COMPUTE_PGM_RSRC2:TIDIG_COMP_CNT: 0
	.section	.text._ZN7rocprim17ROCPRIM_400000_NS6detail17trampoline_kernelINS0_14default_configENS1_27scan_by_key_config_selectorIijEEZZNS1_16scan_by_key_implILNS1_25lookback_scan_determinismE0ELb0ES3_N6thrust23THRUST_200600_302600_NS6detail15normal_iteratorINS9_10device_ptrIiEEEENSB_INSC_IjEEEENSB_INSC_IfEEEEjNS9_4plusIvEENS9_8equal_toIvEEjEE10hipError_tPvRmT2_T3_T4_T5_mT6_T7_P12ihipStream_tbENKUlT_T0_E_clISt17integral_constantIbLb0EES12_IbLb1EEEEDaSY_SZ_EUlSY_E_NS1_11comp_targetILNS1_3genE8ELNS1_11target_archE1030ELNS1_3gpuE2ELNS1_3repE0EEENS1_30default_config_static_selectorELNS0_4arch9wavefront6targetE0EEEvT1_,"axG",@progbits,_ZN7rocprim17ROCPRIM_400000_NS6detail17trampoline_kernelINS0_14default_configENS1_27scan_by_key_config_selectorIijEEZZNS1_16scan_by_key_implILNS1_25lookback_scan_determinismE0ELb0ES3_N6thrust23THRUST_200600_302600_NS6detail15normal_iteratorINS9_10device_ptrIiEEEENSB_INSC_IjEEEENSB_INSC_IfEEEEjNS9_4plusIvEENS9_8equal_toIvEEjEE10hipError_tPvRmT2_T3_T4_T5_mT6_T7_P12ihipStream_tbENKUlT_T0_E_clISt17integral_constantIbLb0EES12_IbLb1EEEEDaSY_SZ_EUlSY_E_NS1_11comp_targetILNS1_3genE8ELNS1_11target_archE1030ELNS1_3gpuE2ELNS1_3repE0EEENS1_30default_config_static_selectorELNS0_4arch9wavefront6targetE0EEEvT1_,comdat
	.protected	_ZN7rocprim17ROCPRIM_400000_NS6detail17trampoline_kernelINS0_14default_configENS1_27scan_by_key_config_selectorIijEEZZNS1_16scan_by_key_implILNS1_25lookback_scan_determinismE0ELb0ES3_N6thrust23THRUST_200600_302600_NS6detail15normal_iteratorINS9_10device_ptrIiEEEENSB_INSC_IjEEEENSB_INSC_IfEEEEjNS9_4plusIvEENS9_8equal_toIvEEjEE10hipError_tPvRmT2_T3_T4_T5_mT6_T7_P12ihipStream_tbENKUlT_T0_E_clISt17integral_constantIbLb0EES12_IbLb1EEEEDaSY_SZ_EUlSY_E_NS1_11comp_targetILNS1_3genE8ELNS1_11target_archE1030ELNS1_3gpuE2ELNS1_3repE0EEENS1_30default_config_static_selectorELNS0_4arch9wavefront6targetE0EEEvT1_ ; -- Begin function _ZN7rocprim17ROCPRIM_400000_NS6detail17trampoline_kernelINS0_14default_configENS1_27scan_by_key_config_selectorIijEEZZNS1_16scan_by_key_implILNS1_25lookback_scan_determinismE0ELb0ES3_N6thrust23THRUST_200600_302600_NS6detail15normal_iteratorINS9_10device_ptrIiEEEENSB_INSC_IjEEEENSB_INSC_IfEEEEjNS9_4plusIvEENS9_8equal_toIvEEjEE10hipError_tPvRmT2_T3_T4_T5_mT6_T7_P12ihipStream_tbENKUlT_T0_E_clISt17integral_constantIbLb0EES12_IbLb1EEEEDaSY_SZ_EUlSY_E_NS1_11comp_targetILNS1_3genE8ELNS1_11target_archE1030ELNS1_3gpuE2ELNS1_3repE0EEENS1_30default_config_static_selectorELNS0_4arch9wavefront6targetE0EEEvT1_
	.globl	_ZN7rocprim17ROCPRIM_400000_NS6detail17trampoline_kernelINS0_14default_configENS1_27scan_by_key_config_selectorIijEEZZNS1_16scan_by_key_implILNS1_25lookback_scan_determinismE0ELb0ES3_N6thrust23THRUST_200600_302600_NS6detail15normal_iteratorINS9_10device_ptrIiEEEENSB_INSC_IjEEEENSB_INSC_IfEEEEjNS9_4plusIvEENS9_8equal_toIvEEjEE10hipError_tPvRmT2_T3_T4_T5_mT6_T7_P12ihipStream_tbENKUlT_T0_E_clISt17integral_constantIbLb0EES12_IbLb1EEEEDaSY_SZ_EUlSY_E_NS1_11comp_targetILNS1_3genE8ELNS1_11target_archE1030ELNS1_3gpuE2ELNS1_3repE0EEENS1_30default_config_static_selectorELNS0_4arch9wavefront6targetE0EEEvT1_
	.p2align	8
	.type	_ZN7rocprim17ROCPRIM_400000_NS6detail17trampoline_kernelINS0_14default_configENS1_27scan_by_key_config_selectorIijEEZZNS1_16scan_by_key_implILNS1_25lookback_scan_determinismE0ELb0ES3_N6thrust23THRUST_200600_302600_NS6detail15normal_iteratorINS9_10device_ptrIiEEEENSB_INSC_IjEEEENSB_INSC_IfEEEEjNS9_4plusIvEENS9_8equal_toIvEEjEE10hipError_tPvRmT2_T3_T4_T5_mT6_T7_P12ihipStream_tbENKUlT_T0_E_clISt17integral_constantIbLb0EES12_IbLb1EEEEDaSY_SZ_EUlSY_E_NS1_11comp_targetILNS1_3genE8ELNS1_11target_archE1030ELNS1_3gpuE2ELNS1_3repE0EEENS1_30default_config_static_selectorELNS0_4arch9wavefront6targetE0EEEvT1_,@function
_ZN7rocprim17ROCPRIM_400000_NS6detail17trampoline_kernelINS0_14default_configENS1_27scan_by_key_config_selectorIijEEZZNS1_16scan_by_key_implILNS1_25lookback_scan_determinismE0ELb0ES3_N6thrust23THRUST_200600_302600_NS6detail15normal_iteratorINS9_10device_ptrIiEEEENSB_INSC_IjEEEENSB_INSC_IfEEEEjNS9_4plusIvEENS9_8equal_toIvEEjEE10hipError_tPvRmT2_T3_T4_T5_mT6_T7_P12ihipStream_tbENKUlT_T0_E_clISt17integral_constantIbLb0EES12_IbLb1EEEEDaSY_SZ_EUlSY_E_NS1_11comp_targetILNS1_3genE8ELNS1_11target_archE1030ELNS1_3gpuE2ELNS1_3repE0EEENS1_30default_config_static_selectorELNS0_4arch9wavefront6targetE0EEEvT1_: ; @_ZN7rocprim17ROCPRIM_400000_NS6detail17trampoline_kernelINS0_14default_configENS1_27scan_by_key_config_selectorIijEEZZNS1_16scan_by_key_implILNS1_25lookback_scan_determinismE0ELb0ES3_N6thrust23THRUST_200600_302600_NS6detail15normal_iteratorINS9_10device_ptrIiEEEENSB_INSC_IjEEEENSB_INSC_IfEEEEjNS9_4plusIvEENS9_8equal_toIvEEjEE10hipError_tPvRmT2_T3_T4_T5_mT6_T7_P12ihipStream_tbENKUlT_T0_E_clISt17integral_constantIbLb0EES12_IbLb1EEEEDaSY_SZ_EUlSY_E_NS1_11comp_targetILNS1_3genE8ELNS1_11target_archE1030ELNS1_3gpuE2ELNS1_3repE0EEENS1_30default_config_static_selectorELNS0_4arch9wavefront6targetE0EEEvT1_
; %bb.0:
	s_clause 0x1
	s_load_dwordx4 s[24:27], s[4:5], 0x28
	s_load_dwordx2 s[28:29], s[4:5], 0x38
	v_cmp_ne_u32_e64 s1, 0, v0
	v_cmp_eq_u32_e64 s0, 0, v0
	s_and_saveexec_b32 s2, s0
	s_cbranch_execz .LBB1679_4
; %bb.1:
	s_mov_b32 s6, exec_lo
	s_mov_b32 s3, exec_lo
	v_mbcnt_lo_u32_b32 v1, s6, 0
                                        ; implicit-def: $vgpr2
	v_cmpx_eq_u32_e32 0, v1
	s_cbranch_execz .LBB1679_3
; %bb.2:
	s_load_dwordx2 s[8:9], s[4:5], 0x68
	s_bcnt1_i32_b32 s6, s6
	v_mov_b32_e32 v2, 0
	v_mov_b32_e32 v3, s6
	s_waitcnt lgkmcnt(0)
	global_atomic_add v2, v2, v3, s[8:9] glc
.LBB1679_3:
	s_or_b32 exec_lo, exec_lo, s3
	s_waitcnt vmcnt(0)
	v_readfirstlane_b32 s3, v2
	v_mov_b32_e32 v2, 0
	v_add_nc_u32_e32 v1, s3, v1
	ds_write_b32 v2, v1
.LBB1679_4:
	s_or_b32 exec_lo, exec_lo, s2
	v_mov_b32_e32 v1, 0
	s_clause 0x2
	s_load_dwordx8 s[8:15], s[4:5], 0x0
	s_load_dword s30, s[4:5], 0x40
	s_load_dwordx8 s[16:23], s[4:5], 0x48
	s_waitcnt lgkmcnt(0)
	s_barrier
	buffer_gl0_inv
	ds_read_b32 v1, v1
	s_waitcnt lgkmcnt(0)
	s_barrier
	buffer_gl0_inv
	s_barrier
	buffer_gl0_inv
	s_lshl_b64 s[6:7], s[10:11], 2
	s_mul_i32 s2, s29, s30
	s_add_u32 s4, s8, s6
	s_addc_u32 s5, s9, s7
	s_mul_hi_u32 s3, s28, s30
	s_add_u32 s12, s12, s6
	v_readfirstlane_b32 s27, v1
	s_addc_u32 s13, s13, s7
	s_add_i32 s33, s3, s2
	s_cmp_lg_u64 s[20:21], 0
	s_mov_b32 s3, 0
	s_mul_i32 s2, s27, 0x300
	s_cselect_b32 s31, -1, 0
	s_lshl_b64 s[8:9], s[2:3], 2
	s_mul_i32 s2, s28, s30
	s_add_u32 s10, s4, s8
	s_addc_u32 s11, s5, s9
	s_add_u32 s5, s12, s8
	s_addc_u32 s30, s13, s9
	;; [unrolled: 2-line block ×3, first 2 shown]
	s_add_u32 s16, s16, -1
	s_addc_u32 s17, s17, -1
	s_mul_i32 s21, s16, 0xfffffd00
	v_cmp_ge_u64_e64 s20, s[12:13], s[16:17]
	s_and_b32 vcc_lo, exec_lo, s20
	s_cbranch_vccz .LBB1679_26
; %bb.5:
	v_mov_b32_e32 v1, s10
	v_mov_b32_e32 v2, s11
	s_add_i32 s33, s21, s26
	v_cmp_gt_u32_e64 s2, s33, v0
	flat_load_dword v2, v[1:2]
	s_waitcnt vmcnt(0) lgkmcnt(0)
	v_mov_b32_e32 v3, v2
	s_and_saveexec_b32 s3, s2
	s_cbranch_execz .LBB1679_7
; %bb.6:
	v_lshlrev_b32_e32 v1, 2, v0
	v_add_co_u32 v3, s4, s10, v1
	v_add_co_ci_u32_e64 v4, null, s11, 0, s4
	flat_load_dword v3, v[3:4]
.LBB1679_7:
	s_or_b32 exec_lo, exec_lo, s3
	v_or_b32_e32 v1, 0x100, v0
	v_mov_b32_e32 v4, v2
	v_cmp_gt_u32_e64 s3, s33, v1
	s_and_saveexec_b32 s4, s3
	s_cbranch_execz .LBB1679_9
; %bb.8:
	v_lshlrev_b32_e32 v1, 2, v0
	v_add_co_u32 v4, s16, s10, v1
	v_add_co_ci_u32_e64 v5, null, s11, 0, s16
	flat_load_dword v4, v[4:5] offset:1024
.LBB1679_9:
	s_or_b32 exec_lo, exec_lo, s4
	v_or_b32_e32 v1, 0x200, v0
	v_cmp_gt_u32_e64 s4, s33, v1
	v_lshlrev_b32_e32 v8, 2, v1
	s_and_saveexec_b32 s16, s4
	s_cbranch_execz .LBB1679_11
; %bb.10:
	v_add_co_u32 v1, s17, s10, v8
	v_add_co_ci_u32_e64 v2, null, s11, 0, s17
	flat_load_dword v2, v[1:2]
.LBB1679_11:
	s_or_b32 exec_lo, exec_lo, s16
	v_lshlrev_b32_e32 v9, 2, v0
	v_lshlrev_b32_e32 v1, 3, v0
	s_cmp_eq_u64 s[12:13], 0
	s_mov_b64 s[16:17], s[10:11]
	s_waitcnt vmcnt(0) lgkmcnt(0)
	ds_write2st64_b32 v9, v3, v4 offset1:4
	v_add_nc_u32_e32 v7, v9, v1
	ds_write_b32 v9, v2 offset:2048
	s_waitcnt lgkmcnt(0)
	s_barrier
	buffer_gl0_inv
	ds_read2_b32 v[4:5], v7 offset1:1
	ds_read_b32 v6, v7 offset:8
	s_cbranch_scc1 .LBB1679_15
; %bb.12:
	s_andn2_b32 vcc_lo, exec_lo, s31
	s_cbranch_vccnz .LBB1679_105
; %bb.13:
	s_lshl_b64 s[16:17], s[12:13], 2
	s_add_u32 s16, s22, s16
	s_addc_u32 s17, s23, s17
	s_add_u32 s16, s16, -4
	s_addc_u32 s17, s17, -1
	s_cbranch_execnz .LBB1679_15
.LBB1679_14:
	s_add_u32 s16, s10, -4
	s_addc_u32 s17, s11, -1
.LBB1679_15:
	v_mov_b32_e32 v2, s16
	v_mov_b32_e32 v3, s17
	flat_load_dword v13, v[2:3]
	v_sub_nc_u32_e32 v2, v7, v1
	s_waitcnt lgkmcnt(1)
	ds_write_b32 v2, v6 offset:3072
	s_waitcnt vmcnt(0) lgkmcnt(0)
	s_barrier
	buffer_gl0_inv
	s_and_saveexec_b32 s16, s1
; %bb.16:
	v_sub_nc_u32_e32 v1, 0, v1
	v_add_nc_u32_e32 v1, v7, v1
	ds_read_b32 v13, v1 offset:3068
; %bb.17:
	s_or_b32 exec_lo, exec_lo, s16
	v_mov_b32_e32 v1, 0
	s_waitcnt lgkmcnt(0)
	s_barrier
	buffer_gl0_inv
	v_mov_b32_e32 v2, v1
	v_mov_b32_e32 v3, v1
	s_and_saveexec_b32 s16, s2
	s_cbranch_execnz .LBB1679_103
; %bb.18:
	s_or_b32 exec_lo, exec_lo, s16
	s_and_saveexec_b32 s2, s3
	s_cbranch_execnz .LBB1679_104
.LBB1679_19:
	s_or_b32 exec_lo, exec_lo, s2
	s_and_saveexec_b32 s2, s4
	s_cbranch_execz .LBB1679_21
.LBB1679_20:
	v_add_co_u32 v10, s3, s5, v8
	v_add_co_ci_u32_e64 v11, null, s30, 0, s3
	flat_load_dword v3, v[10:11]
.LBB1679_21:
	s_or_b32 exec_lo, exec_lo, s2
	s_waitcnt vmcnt(0) lgkmcnt(0)
	ds_write2st64_b32 v9, v1, v2 offset1:4
	ds_write_b32 v9, v3 offset:2048
	v_mov_b32_e32 v9, 0
	v_mov_b32_e32 v11, 0
	v_mul_u32_u24_e32 v8, 3, v0
	v_mov_b32_e32 v10, 0
	v_mov_b32_e32 v12, 0
	s_mov_b32 s16, 0
	s_mov_b32 s3, 0
	s_mov_b32 s17, exec_lo
	s_waitcnt lgkmcnt(0)
	s_barrier
	buffer_gl0_inv
                                        ; implicit-def: $sgpr4
                                        ; implicit-def: $vgpr2
	v_cmpx_gt_u32_e64 s33, v8
	s_cbranch_execz .LBB1679_25
; %bb.22:
	ds_read_b32 v9, v7
	v_cmp_ne_u32_e32 vcc_lo, v13, v4
	v_mov_b32_e32 v11, 0
	v_add_nc_u32_e32 v1, 1, v8
	v_mov_b32_e32 v12, 0
	s_mov_b32 s2, 0
	v_cndmask_b32_e64 v10, 0, 1, vcc_lo
	s_mov_b32 s3, exec_lo
                                        ; implicit-def: $sgpr4
                                        ; implicit-def: $vgpr2
	v_cmpx_gt_u32_e64 s33, v1
	s_xor_b32 s3, exec_lo, s3
	s_cbranch_execz .LBB1679_24
; %bb.23:
	ds_read2_b32 v[1:2], v7 offset0:1 offset1:2
	v_add_nc_u32_e32 v3, 2, v8
	v_cmp_ne_u32_e64 s2, v4, v5
	v_cmp_ne_u32_e64 s4, v5, v6
	v_cmp_gt_u32_e32 vcc_lo, s33, v3
	v_cndmask_b32_e64 v12, 0, 1, s2
	s_and_b32 s2, vcc_lo, exec_lo
	s_waitcnt lgkmcnt(0)
	v_mov_b32_e32 v11, v1
.LBB1679_24:
	s_or_b32 exec_lo, exec_lo, s3
	s_and_b32 s3, s2, exec_lo
.LBB1679_25:
	s_or_b32 exec_lo, exec_lo, s17
	v_lshlrev_b32_e32 v18, 2, v0
	v_lshlrev_b32_e32 v19, 3, v0
	s_and_b32 vcc_lo, exec_lo, s16
	s_cbranch_vccnz .LBB1679_27
	s_branch .LBB1679_35
.LBB1679_26:
                                        ; implicit-def: $sgpr4
                                        ; implicit-def: $vgpr2
                                        ; implicit-def: $vgpr9_vgpr10
                                        ; implicit-def: $vgpr11_vgpr12
	v_lshlrev_b32_e32 v18, 2, v0
	v_lshlrev_b32_e32 v19, 3, v0
	s_cbranch_execz .LBB1679_35
.LBB1679_27:
	v_add_co_u32 v1, s2, s10, v18
	v_add_co_ci_u32_e64 v2, null, s11, 0, s2
	s_cmp_eq_u64 s[12:13], 0
	v_add_co_u32 v3, vcc_lo, 0x800, v1
	v_add_co_ci_u32_e64 v4, null, 0, v2, vcc_lo
	s_clause 0x2
	flat_load_dword v5, v[1:2]
	flat_load_dword v2, v[1:2] offset:1024
	flat_load_dword v3, v[3:4]
	v_add_nc_u32_e32 v1, v18, v19
	s_waitcnt vmcnt(1) lgkmcnt(1)
	ds_write2st64_b32 v18, v5, v2 offset1:4
	s_waitcnt vmcnt(0) lgkmcnt(1)
	ds_write_b32 v18, v3 offset:2048
	s_waitcnt lgkmcnt(0)
	s_barrier
	buffer_gl0_inv
	ds_read2_b32 v[3:4], v1 offset1:1
	ds_read_b32 v5, v1 offset:8
	s_cbranch_scc1 .LBB1679_32
; %bb.28:
	s_andn2_b32 vcc_lo, exec_lo, s31
	s_cbranch_vccnz .LBB1679_106
; %bb.29:
	s_lshl_b64 s[2:3], s[12:13], 2
	s_add_u32 s2, s22, s2
	s_addc_u32 s3, s23, s3
	s_add_u32 s2, s2, -4
	s_addc_u32 s3, s3, -1
	s_cbranch_execnz .LBB1679_31
.LBB1679_30:
	s_add_u32 s2, s10, -4
	s_addc_u32 s3, s11, -1
.LBB1679_31:
	s_mov_b64 s[10:11], s[2:3]
.LBB1679_32:
	v_mov_b32_e32 v6, s10
	v_mov_b32_e32 v7, s11
	v_sub_nc_u32_e32 v2, v1, v19
	flat_load_dword v6, v[6:7]
	s_waitcnt lgkmcnt(1)
	ds_write_b32 v2, v5 offset:3072
	s_waitcnt vmcnt(0) lgkmcnt(0)
	s_barrier
	buffer_gl0_inv
	s_and_saveexec_b32 s2, s1
; %bb.33:
	v_sub_nc_u32_e32 v2, 0, v19
	v_add_nc_u32_e32 v2, v1, v2
	ds_read_b32 v6, v2 offset:3068
; %bb.34:
	s_or_b32 exec_lo, exec_lo, s2
	v_add_co_u32 v7, s2, s5, v18
	v_add_co_ci_u32_e64 v8, null, s30, 0, s2
	s_waitcnt lgkmcnt(0)
	v_add_co_u32 v9, vcc_lo, 0x800, v7
	v_add_co_ci_u32_e64 v10, null, 0, v8, vcc_lo
	s_barrier
	buffer_gl0_inv
	s_clause 0x2
	flat_load_dword v2, v[7:8]
	flat_load_dword v7, v[7:8] offset:1024
	flat_load_dword v8, v[9:10]
	v_cmp_ne_u32_e32 vcc_lo, v6, v3
	v_cmp_ne_u32_e64 s4, v4, v5
	s_mov_b32 s3, -1
	s_waitcnt vmcnt(1) lgkmcnt(1)
	ds_write2st64_b32 v18, v2, v7 offset1:4
	s_waitcnt vmcnt(0) lgkmcnt(1)
	ds_write_b32 v18, v8 offset:2048
	s_waitcnt lgkmcnt(0)
	s_barrier
	buffer_gl0_inv
	ds_read2_b32 v[7:8], v1 offset1:1
	ds_read_b32 v2, v1 offset:8
	v_cndmask_b32_e64 v10, 0, 1, vcc_lo
	v_cmp_ne_u32_e32 vcc_lo, v3, v4
	v_cndmask_b32_e64 v12, 0, 1, vcc_lo
	s_waitcnt lgkmcnt(1)
	v_mov_b32_e32 v9, v7
	v_mov_b32_e32 v11, v8
.LBB1679_35:
	v_mov_b32_e32 v13, 0
	v_mov_b32_e32 v14, 0
	s_and_saveexec_b32 s2, s3
	s_cbranch_execz .LBB1679_37
; %bb.36:
	v_cndmask_b32_e64 v14, 0, 1, s4
	s_waitcnt lgkmcnt(0)
	v_mov_b32_e32 v13, v2
.LBB1679_37:
	s_or_b32 exec_lo, exec_lo, s2
	v_or_b32_e32 v23, v12, v14
	v_mbcnt_lo_u32_b32 v20, -1, 0
	v_lshrrev_b32_e32 v21, 5, v0
	v_or_b32_e32 v22, 31, v0
	s_cmp_lg_u32 s27, 0
	s_mov_b32 s4, 0
	s_waitcnt lgkmcnt(0)
	s_barrier
	buffer_gl0_inv
	s_cbranch_scc0 .LBB1679_63
; %bb.38:
	v_and_b32_e32 v2, 0xff, v23
	v_mov_b32_e32 v1, 0
	s_mov_b32 s5, 1
	v_and_b32_e32 v8, 15, v20
	v_cmp_gt_u64_e64 s2, s[4:5], v[11:12]
	v_cmp_gt_u64_e64 s3, s[4:5], v[13:14]
	v_cmp_eq_u64_e32 vcc_lo, 0, v[1:2]
	v_cndmask_b32_e64 v3, 0, v9, s2
	v_cndmask_b32_e32 v2, 1, v10, vcc_lo
	v_add_nc_u32_e32 v3, v3, v11
	v_and_b32_e32 v4, 0xff, v2
	v_and_b32_e32 v6, 1, v2
	v_cndmask_b32_e64 v3, 0, v3, s3
	v_mov_b32_dpp v5, v4 row_shr:1 row_mask:0xf bank_mask:0xf
	v_cmp_eq_u32_e32 vcc_lo, 1, v6
	v_add_nc_u32_e32 v3, v3, v13
	v_and_b32_e32 v5, 1, v5
	v_mov_b32_dpp v7, v3 row_shr:1 row_mask:0xf bank_mask:0xf
	v_cndmask_b32_e64 v5, v5, 1, vcc_lo
	v_cmp_eq_u16_e32 vcc_lo, 0, v4
	v_cndmask_b32_e32 v6, 0, v7, vcc_lo
	v_cmp_eq_u32_e32 vcc_lo, 0, v8
	v_cndmask_b32_e32 v4, v5, v4, vcc_lo
	v_cndmask_b32_e32 v2, v5, v2, vcc_lo
	v_cndmask_b32_e64 v6, v6, 0, vcc_lo
	v_mov_b32_dpp v5, v4 row_shr:2 row_mask:0xf bank_mask:0xf
	v_and_b32_e32 v7, 1, v2
	v_add_nc_u32_e32 v3, v6, v3
	v_cmp_eq_u16_sdwa s4, v2, v1 src0_sel:BYTE_0 src1_sel:DWORD
	v_and_b32_e32 v5, 1, v5
	v_cmp_eq_u32_e32 vcc_lo, 1, v7
	v_cndmask_b32_e64 v5, v5, 1, vcc_lo
	v_cmp_lt_u32_e32 vcc_lo, 1, v8
	v_cndmask_b32_e32 v7, v2, v5, vcc_lo
	v_cndmask_b32_e32 v4, v4, v5, vcc_lo
	v_mov_b32_dpp v2, v3 row_shr:2 row_mask:0xf bank_mask:0xf
	s_and_b32 vcc_lo, vcc_lo, s4
	v_and_b32_e32 v6, 1, v7
	v_mov_b32_dpp v5, v4 row_shr:4 row_mask:0xf bank_mask:0xf
	v_cndmask_b32_e32 v2, 0, v2, vcc_lo
	v_cmp_eq_u16_sdwa s4, v7, v1 src0_sel:BYTE_0 src1_sel:DWORD
	v_cmp_eq_u32_e32 vcc_lo, 1, v6
	v_and_b32_e32 v5, 1, v5
	v_add_nc_u32_e32 v2, v2, v3
	v_cndmask_b32_e64 v5, v5, 1, vcc_lo
	v_cmp_lt_u32_e32 vcc_lo, 3, v8
	v_cndmask_b32_e32 v3, v7, v5, vcc_lo
	v_cndmask_b32_e32 v4, v4, v5, vcc_lo
	v_mov_b32_dpp v5, v2 row_shr:4 row_mask:0xf bank_mask:0xf
	s_and_b32 vcc_lo, vcc_lo, s4
	v_and_b32_e32 v7, 1, v3
	v_mov_b32_dpp v6, v4 row_shr:8 row_mask:0xf bank_mask:0xf
	v_cndmask_b32_e32 v5, 0, v5, vcc_lo
	v_cmp_eq_u16_sdwa s4, v3, v1 src0_sel:BYTE_0 src1_sel:DWORD
	v_cmp_eq_u32_e32 vcc_lo, 1, v7
	v_and_b32_e32 v6, 1, v6
	v_add_nc_u32_e32 v2, v5, v2
	v_bfe_i32 v7, v20, 4, 1
	v_cndmask_b32_e64 v5, v6, 1, vcc_lo
	v_cmp_lt_u32_e32 vcc_lo, 7, v8
	v_mov_b32_dpp v6, v2 row_shr:8 row_mask:0xf bank_mask:0xf
	s_and_b32 s4, vcc_lo, s4
	v_cndmask_b32_e32 v4, v4, v5, vcc_lo
	v_cndmask_b32_e64 v6, 0, v6, s4
	v_cndmask_b32_e32 v3, v3, v5, vcc_lo
	ds_swizzle_b32 v5, v4 offset:swizzle(BROADCAST,32,15)
	v_add_nc_u32_e32 v2, v6, v2
	v_and_b32_e32 v8, 1, v3
	v_cmp_eq_u16_sdwa vcc_lo, v3, v1 src0_sel:BYTE_0 src1_sel:DWORD
	v_and_b32_e32 v3, 16, v20
	ds_swizzle_b32 v6, v2 offset:swizzle(BROADCAST,32,15)
	v_cmp_eq_u32_e64 s4, 0, v3
	s_waitcnt lgkmcnt(1)
	v_and_b32_e32 v5, 1, v5
	s_waitcnt lgkmcnt(0)
	v_cndmask_b32_e32 v1, 0, v6, vcc_lo
	v_cmp_eq_u32_e32 vcc_lo, 1, v8
	v_and_b32_e32 v1, v7, v1
	v_cndmask_b32_e64 v5, v5, 1, vcc_lo
	v_add_nc_u32_e32 v3, v1, v2
	v_cndmask_b32_e64 v4, v5, v4, s4
	v_lshlrev_b32_e32 v5, 3, v21
	s_mov_b32 s4, exec_lo
	v_cmpx_eq_u32_e64 v0, v22
	s_cbranch_execz .LBB1679_40
; %bb.39:
	ds_write_b32 v5, v3
	ds_write_b8 v5, v4 offset:4
.LBB1679_40:
	s_or_b32 exec_lo, exec_lo, s4
	s_mov_b32 s4, exec_lo
	s_waitcnt lgkmcnt(0)
	s_barrier
	buffer_gl0_inv
	v_cmpx_gt_u32_e32 8, v0
	s_cbranch_execz .LBB1679_46
; %bb.41:
	ds_read_b64 v[1:2], v19
	v_and_b32_e32 v6, 7, v20
	s_mov_b32 s5, exec_lo
	s_waitcnt lgkmcnt(0)
	v_and_b32_e32 v7, 0xffffff00, v2
	v_mov_b32_dpp v15, v1 row_shr:1 row_mask:0xf bank_mask:0xf
	v_mov_b32_dpp v16, v2 row_shr:1 row_mask:0xf bank_mask:0xf
	v_mov_b32_e32 v8, v2
	v_cmpx_ne_u32_e32 0, v6
	s_cbranch_execz .LBB1679_43
; %bb.42:
	v_mov_b32_e32 v8, 0
	v_and_b32_e32 v17, 1, v2
	v_and_b32_e32 v16, 1, v16
	v_cmp_eq_u16_sdwa vcc_lo, v2, v8 src0_sel:BYTE_0 src1_sel:DWORD
	v_cndmask_b32_e32 v2, 0, v15, vcc_lo
	v_cmp_eq_u32_e32 vcc_lo, 1, v17
	v_add_nc_u32_e32 v1, v2, v1
	v_cndmask_b32_e64 v15, v16, 1, vcc_lo
	v_or_b32_sdwa v8, v7, v15 dst_sel:DWORD dst_unused:UNUSED_PAD src0_sel:DWORD src1_sel:WORD_0
	v_mov_b32_e32 v2, v15
.LBB1679_43:
	s_or_b32 exec_lo, exec_lo, s5
	v_mov_b32_dpp v15, v1 row_shr:2 row_mask:0xf bank_mask:0xf
	v_mov_b32_dpp v16, v8 row_shr:2 row_mask:0xf bank_mask:0xf
	s_mov_b32 s5, exec_lo
	v_cmpx_lt_u32_e32 1, v6
	s_cbranch_execz .LBB1679_45
; %bb.44:
	v_mov_b32_e32 v8, 0
	v_and_b32_e32 v17, 1, v2
	v_and_b32_e32 v16, 1, v16
	v_cmp_eq_u16_sdwa vcc_lo, v2, v8 src0_sel:BYTE_0 src1_sel:DWORD
	v_cndmask_b32_e32 v2, 0, v15, vcc_lo
	v_cmp_eq_u32_e32 vcc_lo, 1, v17
	v_add_nc_u32_e32 v1, v2, v1
	v_cndmask_b32_e64 v15, v16, 1, vcc_lo
	v_or_b32_sdwa v8, v7, v15 dst_sel:DWORD dst_unused:UNUSED_PAD src0_sel:DWORD src1_sel:WORD_0
	v_mov_b32_e32 v2, v15
.LBB1679_45:
	s_or_b32 exec_lo, exec_lo, s5
	v_mov_b32_dpp v7, v8 row_shr:4 row_mask:0xf bank_mask:0xf
	v_and_b32_e32 v15, 1, v2
	v_mov_b32_e32 v8, 0
	v_and_b32_e32 v7, 1, v7
	v_cmp_eq_u32_e32 vcc_lo, 1, v15
	v_cmp_eq_u16_sdwa s5, v2, v8 src0_sel:BYTE_0 src1_sel:DWORD
	v_cndmask_b32_e64 v7, v7, 1, vcc_lo
	v_cmp_lt_u32_e32 vcc_lo, 3, v6
	v_mov_b32_dpp v6, v1 row_shr:4 row_mask:0xf bank_mask:0xf
	v_cndmask_b32_e32 v2, v2, v7, vcc_lo
	s_and_b32 vcc_lo, vcc_lo, s5
	v_cndmask_b32_e32 v6, 0, v6, vcc_lo
	v_add_nc_u32_e32 v1, v6, v1
	ds_write_b32 v19, v1
	ds_write_b8 v19, v2 offset:4
.LBB1679_46:
	s_or_b32 exec_lo, exec_lo, s4
	v_mov_b32_e32 v24, 0
	v_mov_b32_e32 v25, 0
	s_mov_b32 s5, exec_lo
	v_cmp_gt_u32_e32 vcc_lo, 32, v0
	s_waitcnt lgkmcnt(0)
	s_barrier
	buffer_gl0_inv
	v_cmpx_lt_u32_e32 31, v0
	s_cbranch_execz .LBB1679_48
; %bb.47:
	v_add_nc_u32_e32 v1, -8, v5
	v_cmp_eq_u32_e64 s4, 0, v4
	v_and_b32_e32 v2, 1, v4
	ds_read_b32 v24, v1
	v_add_nc_u32_e32 v1, -4, v5
	ds_read_u8 v25, v1
	s_waitcnt lgkmcnt(1)
	v_cndmask_b32_e64 v1, 0, v24, s4
	v_cmp_eq_u32_e64 s4, 1, v2
	v_add_nc_u32_e32 v3, v1, v3
	s_waitcnt lgkmcnt(0)
	v_cndmask_b32_e64 v4, v25, 1, s4
.LBB1679_48:
	s_or_b32 exec_lo, exec_lo, s5
	v_sub_co_u32 v1, s4, v20, 1
	v_cmp_gt_i32_e64 s5, 0, v1
	v_cndmask_b32_e64 v1, v1, v20, s5
	v_lshlrev_b32_e32 v1, 2, v1
	ds_bpermute_b32 v26, v1, v3
	ds_bpermute_b32 v27, v1, v4
	s_and_saveexec_b32 s12, vcc_lo
	s_cbranch_execz .LBB1679_68
; %bb.49:
	v_mov_b32_e32 v4, 0
	ds_read_b64 v[1:2], v4 offset:56
	s_and_saveexec_b32 s5, s4
	s_cbranch_execz .LBB1679_51
; %bb.50:
	s_add_i32 s10, s27, 32
	s_mov_b32 s11, 0
	v_mov_b32_e32 v3, 1
	s_lshl_b64 s[10:11], s[10:11], 4
	s_add_u32 s10, s24, s10
	s_addc_u32 s11, s25, s11
	v_mov_b32_e32 v5, s10
	v_mov_b32_e32 v6, s11
	s_waitcnt lgkmcnt(0)
	;;#ASMSTART
	global_store_dwordx4 v[5:6], v[1:4] off	
s_waitcnt vmcnt(0)
	;;#ASMEND
.LBB1679_51:
	s_or_b32 exec_lo, exec_lo, s5
	v_xad_u32 v15, v20, -1, s27
	s_mov_b32 s10, 0
	v_add_nc_u32_e32 v3, 32, v15
	v_lshlrev_b64 v[5:6], 4, v[3:4]
	v_add_co_u32 v16, vcc_lo, s24, v5
	v_add_co_ci_u32_e64 v17, null, s25, v6, vcc_lo
	;;#ASMSTART
	global_load_dwordx4 v[5:8], v[16:17] off glc dlc	
s_waitcnt vmcnt(0)
	;;#ASMEND
	v_and_b32_e32 v6, 0xff, v6
	v_cmp_eq_u16_sdwa s11, v7, v4 src0_sel:BYTE_0 src1_sel:DWORD
	s_and_saveexec_b32 s5, s11
	s_cbranch_execz .LBB1679_55
; %bb.52:
	v_mov_b32_e32 v3, 0
.LBB1679_53:                            ; =>This Inner Loop Header: Depth=1
	;;#ASMSTART
	global_load_dwordx4 v[5:8], v[16:17] off glc dlc	
s_waitcnt vmcnt(0)
	;;#ASMEND
	v_cmp_ne_u16_sdwa s11, v7, v3 src0_sel:BYTE_0 src1_sel:DWORD
	s_or_b32 s10, s11, s10
	s_andn2_b32 exec_lo, exec_lo, s10
	s_cbranch_execnz .LBB1679_53
; %bb.54:
	s_or_b32 exec_lo, exec_lo, s10
	v_and_b32_e32 v6, 0xff, v6
.LBB1679_55:
	s_or_b32 exec_lo, exec_lo, s5
	v_cmp_ne_u32_e32 vcc_lo, 31, v20
	v_mov_b32_e32 v28, 2
	v_lshlrev_b32_e64 v29, v20, -1
	v_and_b32_e32 v8, 1, v6
	s_mov_b32 s10, 0
	v_add_co_ci_u32_e64 v3, null, 0, v20, vcc_lo
	v_cmp_eq_u16_sdwa s5, v7, v28 src0_sel:BYTE_0 src1_sel:DWORD
	v_cmp_eq_u32_e32 vcc_lo, 1, v8
	s_mov_b32 s11, 1
	v_lshlrev_b32_e32 v17, 2, v3
	v_add_nc_u32_e32 v37, 8, v20
	v_and_or_b32 v4, s5, v29, 0x80000000
	v_cmp_gt_u64_e64 s5, s[10:11], v[5:6]
	v_lshl_or_b32 v38, v20, 2, 64
	ds_bpermute_b32 v3, v17, v6
	ds_bpermute_b32 v16, v17, v5
	v_ffbl_b32_e32 v4, v4
	v_add_nc_u32_e32 v39, 16, v20
	s_waitcnt lgkmcnt(1)
	v_and_b32_e32 v3, 1, v3
	v_cndmask_b32_e64 v3, v3, 1, vcc_lo
	v_cmp_gt_u32_e32 vcc_lo, 30, v20
	v_and_b32_e32 v31, 0xffff, v3
	v_cndmask_b32_e64 v8, 0, 2, vcc_lo
	v_cmp_lt_u32_e32 vcc_lo, v20, v4
	v_add_lshl_u32 v30, v8, v20, 2
	v_cndmask_b32_e32 v8, v6, v31, vcc_lo
	v_cndmask_b32_e32 v3, v6, v3, vcc_lo
	s_and_b32 vcc_lo, vcc_lo, s5
	s_waitcnt lgkmcnt(0)
	v_cndmask_b32_e32 v6, 0, v16, vcc_lo
	ds_bpermute_b32 v31, v30, v8
	v_and_b32_e32 v16, 1, v3
	v_add_nc_u32_e32 v5, v6, v5
	v_cmp_eq_u32_e32 vcc_lo, 1, v16
	v_mov_b32_e32 v16, 0
	ds_bpermute_b32 v6, v30, v5
	v_cmp_eq_u16_sdwa s5, v3, v16 src0_sel:BYTE_0 src1_sel:DWORD
	s_waitcnt lgkmcnt(1)
	v_and_b32_e32 v32, 1, v31
	v_add_nc_u32_e32 v31, 2, v20
	v_cndmask_b32_e64 v33, v32, 1, vcc_lo
	v_cmp_gt_u32_e32 vcc_lo, 28, v20
	v_and_b32_e32 v34, 0xffff, v33
	v_cndmask_b32_e64 v32, 0, 4, vcc_lo
	v_cmp_gt_u32_e32 vcc_lo, v31, v4
	v_add_lshl_u32 v32, v32, v20, 2
	v_cndmask_b32_e32 v8, v34, v8, vcc_lo
	v_cndmask_b32_e32 v35, v33, v3, vcc_lo
	s_waitcnt lgkmcnt(0)
	v_cndmask_b32_e64 v3, 0, v6, s5
	v_add_nc_u32_e32 v33, 4, v20
	ds_bpermute_b32 v6, v32, v8
	v_and_b32_e32 v34, 1, v35
	v_cndmask_b32_e64 v3, v3, 0, vcc_lo
	v_cmp_eq_u16_sdwa s5, v35, v16 src0_sel:BYTE_0 src1_sel:DWORD
	v_cmp_eq_u32_e32 vcc_lo, 1, v34
	v_add_nc_u32_e32 v3, v3, v5
	ds_bpermute_b32 v5, v32, v3
	s_waitcnt lgkmcnt(1)
	v_and_b32_e32 v6, 1, v6
	v_cndmask_b32_e64 v6, v6, 1, vcc_lo
	v_cmp_gt_u32_e32 vcc_lo, 24, v20
	v_and_b32_e32 v36, 0xffff, v6
	v_cndmask_b32_e64 v34, 0, 8, vcc_lo
	v_cmp_gt_u32_e32 vcc_lo, v33, v4
	s_waitcnt lgkmcnt(0)
	v_cndmask_b32_e64 v5, 0, v5, s5
	v_add_lshl_u32 v34, v34, v20, 2
	v_cndmask_b32_e32 v8, v36, v8, vcc_lo
	v_cndmask_b32_e32 v6, v6, v35, vcc_lo
	v_cndmask_b32_e64 v5, v5, 0, vcc_lo
	ds_bpermute_b32 v35, v34, v8
	v_and_b32_e32 v36, 1, v6
	v_add_nc_u32_e32 v3, v5, v3
	v_cmp_eq_u32_e32 vcc_lo, 1, v36
	ds_bpermute_b32 v5, v34, v3
	s_waitcnt lgkmcnt(1)
	v_and_b32_e32 v35, 1, v35
	v_cndmask_b32_e64 v35, v35, 1, vcc_lo
	v_cmp_eq_u16_sdwa vcc_lo, v6, v16 src0_sel:BYTE_0 src1_sel:DWORD
	v_and_b32_e32 v36, 0xffff, v35
	s_waitcnt lgkmcnt(0)
	v_cndmask_b32_e32 v5, 0, v5, vcc_lo
	v_cmp_gt_u32_e32 vcc_lo, v37, v4
	v_cndmask_b32_e64 v5, v5, 0, vcc_lo
	v_cndmask_b32_e32 v8, v36, v8, vcc_lo
	v_cndmask_b32_e32 v6, v35, v6, vcc_lo
	v_add_nc_u32_e32 v3, v5, v3
	ds_bpermute_b32 v5, v38, v8
	v_and_b32_e32 v35, 1, v6
	v_cmp_eq_u16_sdwa vcc_lo, v6, v16 src0_sel:BYTE_0 src1_sel:DWORD
	ds_bpermute_b32 v8, v38, v3
	s_waitcnt lgkmcnt(1)
	v_and_b32_e32 v5, 1, v5
	s_waitcnt lgkmcnt(0)
	v_cndmask_b32_e32 v8, 0, v8, vcc_lo
	v_cmp_eq_u32_e32 vcc_lo, 1, v35
	v_cndmask_b32_e64 v5, v5, 1, vcc_lo
	v_cmp_gt_u32_e32 vcc_lo, v39, v4
	v_cndmask_b32_e32 v4, v5, v6, vcc_lo
	v_cndmask_b32_e64 v5, v8, 0, vcc_lo
	v_add_nc_u32_e32 v3, v5, v3
	s_branch .LBB1679_59
.LBB1679_56:                            ;   in Loop: Header=BB1679_59 Depth=1
	s_or_b32 exec_lo, exec_lo, s13
	v_and_b32_e32 v6, 0xff, v6
.LBB1679_57:                            ;   in Loop: Header=BB1679_59 Depth=1
	s_or_b32 exec_lo, exec_lo, s5
	ds_bpermute_b32 v3, v17, v6
	v_cmp_eq_u16_sdwa s5, v7, v28 src0_sel:BYTE_0 src1_sel:DWORD
	v_and_b32_e32 v4, 1, v6
	v_subrev_nc_u32_e32 v15, 32, v15
	v_and_or_b32 v8, s5, v29, 0x80000000
	v_cmp_eq_u32_e32 vcc_lo, 1, v4
	v_cmp_gt_u64_e64 s5, s[10:11], v[5:6]
	v_ffbl_b32_e32 v4, v8
	ds_bpermute_b32 v8, v17, v5
	s_waitcnt lgkmcnt(1)
	v_and_b32_e32 v3, 1, v3
	v_cndmask_b32_e64 v3, v3, 1, vcc_lo
	v_cmp_lt_u32_e32 vcc_lo, v20, v4
	v_and_b32_e32 v40, 0xffff, v3
	v_cndmask_b32_e32 v3, v6, v3, vcc_lo
	v_cndmask_b32_e32 v40, v6, v40, vcc_lo
	s_and_b32 vcc_lo, vcc_lo, s5
	v_cmp_eq_u16_sdwa s5, v3, v16 src0_sel:BYTE_0 src1_sel:DWORD
	s_waitcnt lgkmcnt(0)
	v_cndmask_b32_e32 v6, 0, v8, vcc_lo
	v_and_b32_e32 v8, 1, v3
	ds_bpermute_b32 v41, v30, v40
	v_add_nc_u32_e32 v5, v6, v5
	v_cmp_eq_u32_e32 vcc_lo, 1, v8
	ds_bpermute_b32 v6, v30, v5
	s_waitcnt lgkmcnt(1)
	v_and_b32_e32 v41, 1, v41
	v_cndmask_b32_e64 v8, v41, 1, vcc_lo
	v_cmp_gt_u32_e32 vcc_lo, v31, v4
	v_and_b32_e32 v41, 0xffff, v8
	v_cndmask_b32_e32 v8, v8, v3, vcc_lo
	s_waitcnt lgkmcnt(0)
	v_cndmask_b32_e64 v3, 0, v6, s5
	v_cndmask_b32_e32 v40, v41, v40, vcc_lo
	v_and_b32_e32 v41, 1, v8
	v_cndmask_b32_e64 v3, v3, 0, vcc_lo
	v_cmp_eq_u16_sdwa s5, v8, v16 src0_sel:BYTE_0 src1_sel:DWORD
	ds_bpermute_b32 v6, v32, v40
	v_cmp_eq_u32_e32 vcc_lo, 1, v41
	v_add_nc_u32_e32 v3, v3, v5
	ds_bpermute_b32 v5, v32, v3
	s_waitcnt lgkmcnt(1)
	v_and_b32_e32 v6, 1, v6
	v_cndmask_b32_e64 v6, v6, 1, vcc_lo
	v_cmp_gt_u32_e32 vcc_lo, v33, v4
	s_waitcnt lgkmcnt(0)
	v_cndmask_b32_e64 v5, 0, v5, s5
	s_mov_b32 s5, 0
	v_and_b32_e32 v41, 0xffff, v6
	v_cndmask_b32_e32 v6, v6, v8, vcc_lo
	v_cndmask_b32_e64 v5, v5, 0, vcc_lo
	v_cndmask_b32_e32 v8, v41, v40, vcc_lo
	v_and_b32_e32 v41, 1, v6
	v_add_nc_u32_e32 v3, v5, v3
	ds_bpermute_b32 v40, v34, v8
	v_cmp_eq_u32_e32 vcc_lo, 1, v41
	ds_bpermute_b32 v5, v34, v3
	s_waitcnt lgkmcnt(1)
	v_and_b32_e32 v40, 1, v40
	v_cndmask_b32_e64 v40, v40, 1, vcc_lo
	v_cmp_eq_u16_sdwa vcc_lo, v6, v16 src0_sel:BYTE_0 src1_sel:DWORD
	v_and_b32_e32 v41, 0xffff, v40
	s_waitcnt lgkmcnt(0)
	v_cndmask_b32_e32 v5, 0, v5, vcc_lo
	v_cmp_gt_u32_e32 vcc_lo, v37, v4
	v_cndmask_b32_e64 v5, v5, 0, vcc_lo
	v_cndmask_b32_e32 v8, v41, v8, vcc_lo
	v_cndmask_b32_e32 v6, v40, v6, vcc_lo
	v_add_nc_u32_e32 v3, v5, v3
	ds_bpermute_b32 v5, v38, v8
	v_and_b32_e32 v40, 1, v6
	ds_bpermute_b32 v8, v38, v3
	v_cmp_eq_u32_e32 vcc_lo, 1, v40
	s_waitcnt lgkmcnt(1)
	v_cndmask_b32_e64 v5, v5, 1, vcc_lo
	v_cmp_eq_u16_sdwa vcc_lo, v6, v16 src0_sel:BYTE_0 src1_sel:DWORD
	s_waitcnt lgkmcnt(0)
	v_cndmask_b32_e32 v8, 0, v8, vcc_lo
	v_cmp_gt_u32_e32 vcc_lo, v39, v4
	v_cndmask_b32_e32 v4, v5, v6, vcc_lo
	v_cndmask_b32_e64 v5, v8, 0, vcc_lo
	v_cmp_eq_u16_sdwa vcc_lo, v35, v16 src0_sel:BYTE_0 src1_sel:DWORD
	v_and_b32_e32 v4, 1, v4
	v_add_nc_u32_e32 v3, v5, v3
	v_and_b32_e32 v5, 1, v35
	v_cndmask_b32_e32 v3, 0, v3, vcc_lo
	v_cmp_eq_u32_e32 vcc_lo, 1, v5
	v_add_nc_u32_e32 v3, v3, v36
	v_cndmask_b32_e64 v4, v4, 1, vcc_lo
.LBB1679_58:                            ;   in Loop: Header=BB1679_59 Depth=1
	s_and_b32 vcc_lo, exec_lo, s5
	s_cbranch_vccnz .LBB1679_64
.LBB1679_59:                            ; =>This Loop Header: Depth=1
                                        ;     Child Loop BB1679_62 Depth 2
	v_cmp_ne_u16_sdwa s5, v7, v28 src0_sel:BYTE_0 src1_sel:DWORD
	v_mov_b32_e32 v35, v4
	v_mov_b32_e32 v36, v3
                                        ; implicit-def: $vgpr4
                                        ; implicit-def: $vgpr3
                                        ; implicit-def: $vgpr7
	s_cmp_lg_u32 s5, exec_lo
	s_mov_b32 s5, -1
	s_cbranch_scc1 .LBB1679_58
; %bb.60:                               ;   in Loop: Header=BB1679_59 Depth=1
	v_lshlrev_b64 v[3:4], 4, v[15:16]
	v_add_co_u32 v3, vcc_lo, s24, v3
	v_add_co_ci_u32_e64 v4, null, s25, v4, vcc_lo
	;;#ASMSTART
	global_load_dwordx4 v[5:8], v[3:4] off glc dlc	
s_waitcnt vmcnt(0)
	;;#ASMEND
	v_and_b32_e32 v6, 0xff, v6
	v_cmp_eq_u16_sdwa s13, v7, v16 src0_sel:BYTE_0 src1_sel:DWORD
	s_and_saveexec_b32 s5, s13
	s_cbranch_execz .LBB1679_57
; %bb.61:                               ;   in Loop: Header=BB1679_59 Depth=1
	s_mov_b32 s13, 0
.LBB1679_62:                            ;   Parent Loop BB1679_59 Depth=1
                                        ; =>  This Inner Loop Header: Depth=2
	;;#ASMSTART
	global_load_dwordx4 v[5:8], v[3:4] off glc dlc	
s_waitcnt vmcnt(0)
	;;#ASMEND
	v_cmp_ne_u16_sdwa s16, v7, v16 src0_sel:BYTE_0 src1_sel:DWORD
	s_or_b32 s13, s16, s13
	s_andn2_b32 exec_lo, exec_lo, s13
	s_cbranch_execnz .LBB1679_62
	s_branch .LBB1679_56
.LBB1679_63:
                                        ; implicit-def: $vgpr7
                                        ; implicit-def: $vgpr5
                                        ; implicit-def: $vgpr6
	s_cbranch_execnz .LBB1679_69
	s_branch .LBB1679_86
.LBB1679_64:
	s_and_saveexec_b32 s5, s4
	s_cbranch_execz .LBB1679_66
; %bb.65:
	v_mov_b32_e32 v4, 0
	v_and_b32_e32 v3, 1, v2
	s_mov_b32 s11, 0
	s_add_i32 s10, s27, 32
	v_and_b32_e32 v5, 1, v35
	v_cmp_eq_u32_sdwa vcc_lo, v2, v4 src0_sel:BYTE_0 src1_sel:DWORD
	s_lshl_b64 s[10:11], s[10:11], 4
	s_add_u32 s10, s24, s10
	s_addc_u32 s11, s25, s11
	v_cndmask_b32_e32 v2, 0, v36, vcc_lo
	v_cmp_eq_u32_e32 vcc_lo, 1, v3
	v_mov_b32_e32 v3, 2
	v_add_nc_u32_e32 v1, v2, v1
	v_cndmask_b32_e64 v2, v5, 1, vcc_lo
	v_mov_b32_e32 v5, s10
	v_mov_b32_e32 v6, s11
	;;#ASMSTART
	global_store_dwordx4 v[5:6], v[1:4] off	
s_waitcnt vmcnt(0)
	;;#ASMEND
.LBB1679_66:
	s_or_b32 exec_lo, exec_lo, s5
	s_and_b32 exec_lo, exec_lo, s0
	s_cbranch_execz .LBB1679_68
; %bb.67:
	v_mov_b32_e32 v1, 0
	ds_write_b32 v1, v36 offset:56
	ds_write_b8 v1, v35 offset:60
.LBB1679_68:
	s_or_b32 exec_lo, exec_lo, s12
	v_mov_b32_e32 v1, 0
	s_waitcnt lgkmcnt(0)
	v_cndmask_b32_e64 v2, v27, v25, s4
	v_and_b32_e32 v4, 1, v10
	s_barrier
	buffer_gl0_inv
	ds_read_b32 v3, v1 offset:56
	v_and_b32_e32 v2, 1, v2
	v_cmp_eq_u32_e32 vcc_lo, 1, v4
	v_cndmask_b32_e64 v5, v26, v24, s4
	s_mov_b32 s5, 1
	s_mov_b32 s4, 0
	v_cndmask_b32_e64 v2, v2, 1, vcc_lo
	v_cmp_gt_u64_e32 vcc_lo, s[4:5], v[9:10]
	v_cndmask_b32_e64 v2, v2, v10, s0
	v_cndmask_b32_e32 v4, 0, v5, vcc_lo
	v_cmp_eq_u16_sdwa vcc_lo, v2, v1 src0_sel:BYTE_0 src1_sel:DWORD
	v_cndmask_b32_e64 v4, v4, 0, s0
	s_waitcnt lgkmcnt(0)
	v_cndmask_b32_e32 v1, 0, v3, vcc_lo
	v_add3_u32 v7, v4, v9, v1
	v_cndmask_b32_e64 v1, 0, v7, s2
	v_add_nc_u32_e32 v5, v1, v11
	v_cndmask_b32_e64 v1, 0, v5, s3
	v_add_nc_u32_e32 v6, v1, v13
	s_branch .LBB1679_86
.LBB1679_69:
	s_cmp_lg_u64 s[28:29], 0
	s_cselect_b32 s2, -1, 0
	s_cmp_lg_u64 s[18:19], 0
	s_cselect_b32 s3, -1, 0
	s_and_b32 s2, s2, s3
	s_and_b32 s3, s0, s2
	s_and_saveexec_b32 s2, s3
	s_cbranch_execz .LBB1679_71
; %bb.70:
	v_mov_b32_e32 v1, 0
	s_mov_b32 s4, 0
	s_mov_b32 s5, 1
	s_clause 0x1
	global_load_dword v2, v1, s[18:19]
	global_load_ubyte v3, v1, s[18:19] offset:4
	v_cmp_gt_u64_e32 vcc_lo, s[4:5], v[9:10]
	s_waitcnt vmcnt(1)
	v_cndmask_b32_e32 v4, 0, v2, vcc_lo
	v_and_b32_e32 v2, 1, v10
	s_waitcnt vmcnt(0)
	v_and_b32_e32 v3, 1, v3
	v_add_nc_u32_e32 v9, v4, v9
	v_cmp_eq_u64_e32 vcc_lo, 0, v[1:2]
	v_cndmask_b32_e32 v10, 1, v3, vcc_lo
.LBB1679_71:
	s_or_b32 exec_lo, exec_lo, s2
	v_and_b32_e32 v2, 0xff, v23
	v_mov_b32_e32 v1, 0
	s_mov_b32 s4, 0
	s_mov_b32 s5, 1
	v_and_b32_e32 v7, 15, v20
	v_cmp_eq_u64_e32 vcc_lo, 0, v[1:2]
	v_cmp_eq_u32_e64 s3, 0, v7
	v_cndmask_b32_e32 v2, 1, v10, vcc_lo
	v_cmp_gt_u64_e32 vcc_lo, s[4:5], v[11:12]
	v_and_b32_e32 v3, 0xff, v2
	v_and_b32_e32 v6, 1, v2
	v_cndmask_b32_e32 v5, 0, v9, vcc_lo
	v_mov_b32_dpp v4, v3 row_shr:1 row_mask:0xf bank_mask:0xf
	v_cmp_eq_u32_e64 s2, 1, v6
	v_add_nc_u32_e32 v5, v5, v11
	v_and_b32_e32 v4, 1, v4
	v_cndmask_b32_e64 v4, v4, 1, s2
	v_cmp_gt_u64_e64 s2, s[4:5], v[13:14]
	v_cmp_eq_u16_e64 s4, 0, v3
	v_cndmask_b32_e64 v8, v4, v3, s3
	v_cndmask_b32_e64 v2, v4, v2, s3
	;; [unrolled: 1-line block ×3, first 2 shown]
	v_mov_b32_dpp v4, v8 row_shr:2 row_mask:0xf bank_mask:0xf
	v_and_b32_e32 v14, 1, v2
	v_add_nc_u32_e32 v6, v6, v13
	v_and_b32_e32 v4, 1, v4
	v_mov_b32_dpp v12, v6 row_shr:1 row_mask:0xf bank_mask:0xf
	v_cndmask_b32_e64 v3, 0, v12, s4
	v_cmp_eq_u32_e64 s4, 1, v14
	v_cndmask_b32_e64 v3, v3, 0, s3
	v_cndmask_b32_e64 v4, v4, 1, s4
	v_cmp_lt_u32_e64 s4, 1, v7
	v_cmp_eq_u16_sdwa s3, v2, v1 src0_sel:BYTE_0 src1_sel:DWORD
	v_add_nc_u32_e32 v3, v3, v6
	v_cndmask_b32_e64 v12, v2, v4, s4
	v_cndmask_b32_e64 v4, v8, v4, s4
	s_and_b32 s3, s4, s3
	v_mov_b32_dpp v2, v3 row_shr:2 row_mask:0xf bank_mask:0xf
	v_and_b32_e32 v14, 1, v12
	v_mov_b32_dpp v8, v4 row_shr:4 row_mask:0xf bank_mask:0xf
	v_cmp_eq_u16_sdwa s4, v12, v1 src0_sel:BYTE_0 src1_sel:DWORD
	v_cndmask_b32_e64 v2, 0, v2, s3
	v_cmp_eq_u32_e64 s3, 1, v14
	v_and_b32_e32 v8, 1, v8
	v_add_nc_u32_e32 v2, v2, v3
	v_cndmask_b32_e64 v8, v8, 1, s3
	v_cmp_lt_u32_e64 s3, 3, v7
	v_cndmask_b32_e64 v3, v12, v8, s3
	v_cndmask_b32_e64 v4, v4, v8, s3
	v_mov_b32_dpp v8, v2 row_shr:4 row_mask:0xf bank_mask:0xf
	s_and_b32 s3, s3, s4
	v_and_b32_e32 v14, 1, v3
	v_mov_b32_dpp v12, v4 row_shr:8 row_mask:0xf bank_mask:0xf
	v_cndmask_b32_e64 v8, 0, v8, s3
	v_cmp_eq_u16_sdwa s4, v3, v1 src0_sel:BYTE_0 src1_sel:DWORD
	v_cmp_eq_u32_e64 s3, 1, v14
	v_and_b32_e32 v12, 1, v12
	v_add_nc_u32_e32 v2, v8, v2
	v_cndmask_b32_e64 v8, v12, 1, s3
	v_cmp_lt_u32_e64 s3, 7, v7
	v_mov_b32_dpp v7, v2 row_shr:8 row_mask:0xf bank_mask:0xf
	v_bfe_i32 v12, v20, 4, 1
	s_and_b32 s4, s3, s4
	v_cndmask_b32_e64 v4, v4, v8, s3
	v_cndmask_b32_e64 v7, 0, v7, s4
	;; [unrolled: 1-line block ×3, first 2 shown]
	s_mov_b32 s4, exec_lo
	v_add_nc_u32_e32 v2, v7, v2
	ds_swizzle_b32 v7, v4 offset:swizzle(BROADCAST,32,15)
	v_and_b32_e32 v14, 1, v3
	v_cmp_eq_u16_sdwa s3, v3, v1 src0_sel:BYTE_0 src1_sel:DWORD
	v_and_b32_e32 v3, 16, v20
	ds_swizzle_b32 v8, v2 offset:swizzle(BROADCAST,32,15)
	s_waitcnt lgkmcnt(1)
	v_and_b32_e32 v7, 1, v7
	s_waitcnt lgkmcnt(0)
	v_cndmask_b32_e64 v1, 0, v8, s3
	v_cmp_eq_u32_e64 s3, 1, v14
	v_and_b32_e32 v1, v12, v1
	v_cndmask_b32_e64 v7, v7, 1, s3
	v_cmp_eq_u32_e64 s3, 0, v3
	v_add_nc_u32_e32 v3, v1, v2
	v_cndmask_b32_e64 v4, v7, v4, s3
	v_cmpx_eq_u32_e64 v0, v22
	s_cbranch_execz .LBB1679_73
; %bb.72:
	v_lshlrev_b32_e32 v1, 3, v21
	ds_write_b32 v1, v3
	ds_write_b8 v1, v4 offset:4
.LBB1679_73:
	s_or_b32 exec_lo, exec_lo, s4
	s_mov_b32 s4, exec_lo
	s_waitcnt lgkmcnt(0)
	s_barrier
	buffer_gl0_inv
	v_cmpx_gt_u32_e32 8, v0
	s_cbranch_execz .LBB1679_79
; %bb.74:
	ds_read_b64 v[1:2], v19
	v_and_b32_e32 v7, 7, v20
	s_mov_b32 s5, exec_lo
	s_waitcnt lgkmcnt(0)
	v_and_b32_e32 v8, 0xffffff00, v2
	v_mov_b32_dpp v14, v1 row_shr:1 row_mask:0xf bank_mask:0xf
	v_mov_b32_dpp v15, v2 row_shr:1 row_mask:0xf bank_mask:0xf
	v_mov_b32_e32 v12, v2
	v_cmpx_ne_u32_e32 0, v7
	s_cbranch_execz .LBB1679_76
; %bb.75:
	v_mov_b32_e32 v12, 0
	v_and_b32_e32 v16, 1, v2
	v_and_b32_e32 v15, 1, v15
	v_cmp_eq_u16_sdwa s3, v2, v12 src0_sel:BYTE_0 src1_sel:DWORD
	v_cndmask_b32_e64 v2, 0, v14, s3
	v_cmp_eq_u32_e64 s3, 1, v16
	v_add_nc_u32_e32 v1, v2, v1
	v_cndmask_b32_e64 v14, v15, 1, s3
	v_or_b32_sdwa v12, v8, v14 dst_sel:DWORD dst_unused:UNUSED_PAD src0_sel:DWORD src1_sel:WORD_0
	v_mov_b32_e32 v2, v14
.LBB1679_76:
	s_or_b32 exec_lo, exec_lo, s5
	v_mov_b32_dpp v14, v1 row_shr:2 row_mask:0xf bank_mask:0xf
	v_mov_b32_dpp v15, v12 row_shr:2 row_mask:0xf bank_mask:0xf
	s_mov_b32 s5, exec_lo
	v_cmpx_lt_u32_e32 1, v7
	s_cbranch_execz .LBB1679_78
; %bb.77:
	v_mov_b32_e32 v12, 0
	v_and_b32_e32 v16, 1, v2
	v_and_b32_e32 v15, 1, v15
	v_cmp_eq_u16_sdwa s3, v2, v12 src0_sel:BYTE_0 src1_sel:DWORD
	v_cndmask_b32_e64 v2, 0, v14, s3
	v_cmp_eq_u32_e64 s3, 1, v16
	v_add_nc_u32_e32 v1, v2, v1
	v_cndmask_b32_e64 v14, v15, 1, s3
	v_or_b32_sdwa v12, v8, v14 dst_sel:DWORD dst_unused:UNUSED_PAD src0_sel:DWORD src1_sel:WORD_0
	v_mov_b32_e32 v2, v14
.LBB1679_78:
	s_or_b32 exec_lo, exec_lo, s5
	v_mov_b32_dpp v8, v12 row_shr:4 row_mask:0xf bank_mask:0xf
	v_and_b32_e32 v14, 1, v2
	v_mov_b32_e32 v12, 0
	v_and_b32_e32 v8, 1, v8
	v_cmp_eq_u32_e64 s3, 1, v14
	v_cmp_eq_u16_sdwa s5, v2, v12 src0_sel:BYTE_0 src1_sel:DWORD
	v_cndmask_b32_e64 v8, v8, 1, s3
	v_cmp_lt_u32_e64 s3, 3, v7
	v_mov_b32_dpp v7, v1 row_shr:4 row_mask:0xf bank_mask:0xf
	v_cndmask_b32_e64 v2, v2, v8, s3
	s_and_b32 s3, s3, s5
	v_cndmask_b32_e64 v7, 0, v7, s3
	v_add_nc_u32_e32 v1, v7, v1
	ds_write_b32 v19, v1
	ds_write_b8 v19, v2 offset:4
.LBB1679_79:
	s_or_b32 exec_lo, exec_lo, s4
	v_mov_b32_e32 v1, 0
	s_mov_b32 s4, exec_lo
	s_waitcnt lgkmcnt(0)
	s_barrier
	buffer_gl0_inv
	v_cmpx_lt_u32_e32 31, v0
	s_cbranch_execz .LBB1679_81
; %bb.80:
	v_lshl_add_u32 v1, v21, 3, -8
	v_cmp_eq_u32_e64 s3, 0, v4
	ds_read_b32 v1, v1
	s_waitcnt lgkmcnt(0)
	v_cndmask_b32_e64 v2, 0, v1, s3
	v_add_nc_u32_e32 v3, v2, v3
.LBB1679_81:
	s_or_b32 exec_lo, exec_lo, s4
	v_add_nc_u32_e32 v2, -1, v20
	s_mov_b32 s4, 0
	v_cmp_gt_i32_e64 s3, 0, v2
	v_cndmask_b32_e64 v2, v2, v20, s3
	v_lshlrev_b32_e32 v2, 2, v2
	ds_bpermute_b32 v2, v2, v3
	s_and_saveexec_b32 s3, s1
	s_cbranch_execz .LBB1679_83
; %bb.82:
	v_cmp_eq_u32_e64 s1, 0, v20
	s_mov_b32 s5, 1
	;;#ASMSTART
	;;#ASMEND
	s_waitcnt lgkmcnt(0)
	v_cndmask_b32_e64 v1, v2, v1, s1
	v_cmp_gt_u64_e64 s1, s[4:5], v[9:10]
	v_cndmask_b32_e64 v1, 0, v1, s1
	v_add_nc_u32_e32 v9, v1, v9
	v_cndmask_b32_e32 v1, 0, v9, vcc_lo
	v_add_nc_u32_e32 v5, v1, v11
	v_cndmask_b32_e64 v1, 0, v5, s2
	v_add_nc_u32_e32 v6, v1, v13
.LBB1679_83:
	s_or_b32 exec_lo, exec_lo, s3
	s_and_saveexec_b32 s1, s0
	s_cbranch_execz .LBB1679_85
; %bb.84:
	v_mov_b32_e32 v4, 0
	s_add_u32 s2, s24, 0x200
	s_addc_u32 s3, s25, 0
	v_mov_b32_e32 v3, 2
	v_mov_b32_e32 v8, s3
	ds_read_b32 v1, v4 offset:56
	s_waitcnt lgkmcnt(1)
	ds_read_u8 v2, v4 offset:60
	v_mov_b32_e32 v7, s2
	s_waitcnt lgkmcnt(0)
	;;#ASMSTART
	global_store_dwordx4 v[7:8], v[1:4] off	
s_waitcnt vmcnt(0)
	;;#ASMEND
.LBB1679_85:
	s_or_b32 exec_lo, exec_lo, s1
	v_mov_b32_e32 v7, v9
.LBB1679_86:
	s_add_u32 s0, s14, s6
	v_mov_b32_e32 v3, 0
	s_addc_u32 s1, s15, s7
	s_add_u32 s0, s0, s8
	s_addc_u32 s1, s1, s9
	s_and_b32 vcc_lo, exec_lo, s20
	s_cbranch_vccz .LBB1679_98
; %bb.87:
	v_mul_u32_u24_e32 v1, 3, v0
	v_mov_b32_e32 v4, 0
	s_waitcnt lgkmcnt(0)
	v_mov_b32_e32 v2, 0
	s_add_i32 s21, s21, s26
	s_mov_b32 s2, exec_lo
	v_cmpx_gt_u32_e64 s21, v1
	s_cbranch_execz .LBB1679_93
; %bb.88:
	v_add_nc_u32_e32 v3, 1, v1
	v_mov_b32_e32 v2, 0
	v_mov_b32_e32 v4, 0
	s_mov_b32 s3, exec_lo
	v_cmpx_gt_u32_e64 s21, v3
	s_cbranch_execz .LBB1679_92
; %bb.89:
	v_add_nc_u32_e32 v2, 2, v1
	v_cmp_gt_u32_e32 vcc_lo, s21, v2
	v_mov_b32_e32 v2, 0
	s_and_saveexec_b32 s4, vcc_lo
; %bb.90:
	v_mov_b32_e32 v2, v6
; %bb.91:
	s_or_b32 exec_lo, exec_lo, s4
	v_mov_b32_e32 v4, v5
.LBB1679_92:
	s_or_b32 exec_lo, exec_lo, s3
	v_mov_b32_e32 v3, v7
.LBB1679_93:
	s_or_b32 exec_lo, exec_lo, s2
	v_lshlrev_b32_e32 v8, 2, v1
	s_barrier
	buffer_gl0_inv
	v_sub_nc_u32_e32 v1, v8, v19
	ds_write2_b32 v8, v3, v4 offset1:1
	ds_write_b32 v8, v2 offset:8
	s_waitcnt lgkmcnt(0)
	s_barrier
	buffer_gl0_inv
	ds_read2st64_b32 v[1:2], v1 offset0:4 offset1:8
	v_add_co_u32 v3, s2, s0, v18
	v_add_co_ci_u32_e64 v4, null, s1, 0, s2
	s_mov_b32 s2, exec_lo
	v_cmpx_gt_u32_e64 s21, v0
	s_cbranch_execz .LBB1679_95
; %bb.94:
	v_sub_nc_u32_e32 v9, 0, v19
	v_add_nc_u32_e32 v8, v8, v9
	ds_read_b32 v8, v8
	s_waitcnt lgkmcnt(0)
	v_cvt_f32_u32_e32 v8, v8
	flat_store_dword v[3:4], v8
.LBB1679_95:
	s_or_b32 exec_lo, exec_lo, s2
	v_or_b32_e32 v8, 0x100, v0
	s_mov_b32 s2, exec_lo
	v_cmpx_gt_u32_e64 s21, v8
	s_cbranch_execz .LBB1679_97
; %bb.96:
	s_waitcnt lgkmcnt(0)
	v_cvt_f32_u32_e32 v1, v1
	flat_store_dword v[3:4], v1 offset:1024
.LBB1679_97:
	s_or_b32 exec_lo, exec_lo, s2
	s_waitcnt lgkmcnt(0)
	v_or_b32_e32 v1, 0x200, v0
	v_cmp_gt_u32_e64 s2, s21, v1
	s_branch .LBB1679_100
.LBB1679_98:
	s_mov_b32 s2, 0
                                        ; implicit-def: $vgpr2
	s_cbranch_execz .LBB1679_100
; %bb.99:
	v_mul_u32_u24_e32 v1, 12, v0
	s_waitcnt lgkmcnt(0)
	s_waitcnt_vscnt null, 0x0
	s_barrier
	buffer_gl0_inv
	s_or_b32 s2, s2, exec_lo
	v_sub_nc_u32_e32 v2, v1, v19
	ds_write2_b32 v1, v7, v5 offset1:1
	ds_write_b32 v1, v6 offset:8
	s_waitcnt lgkmcnt(0)
	s_barrier
	buffer_gl0_inv
	ds_read2st64_b32 v[3:4], v2 offset1:4
	ds_read_b32 v2, v2 offset:2048
	v_add_co_u32 v5, s3, s0, v18
	v_add_co_ci_u32_e64 v6, null, s1, 0, s3
	s_waitcnt lgkmcnt(1)
	v_cvt_f32_u32_e32 v1, v3
	v_cvt_f32_u32_e32 v3, v4
	flat_store_dword v[5:6], v1
	flat_store_dword v[5:6], v3 offset:1024
.LBB1679_100:
	s_and_saveexec_b32 s3, s2
	s_cbranch_execnz .LBB1679_102
; %bb.101:
	s_endpgm
.LBB1679_102:
	v_lshlrev_b32_e32 v0, 2, v0
	s_waitcnt lgkmcnt(0)
	v_cvt_f32_u32_e32 v2, v2
	v_add_co_u32 v0, s0, s0, v0
	v_add_co_ci_u32_e64 v1, null, s1, 0, s0
	v_add_co_u32 v0, vcc_lo, 0x800, v0
	v_add_co_ci_u32_e64 v1, null, 0, v1, vcc_lo
	flat_store_dword v[0:1], v2
	s_endpgm
.LBB1679_103:
	v_add_co_u32 v2, s2, s5, v9
	v_add_co_ci_u32_e64 v3, null, s30, 0, s2
	v_mov_b32_e32 v11, v1
	v_mov_b32_e32 v12, v1
	flat_load_dword v10, v[2:3]
	s_waitcnt vmcnt(0) lgkmcnt(0)
	v_mov_b32_e32 v1, v10
	v_mov_b32_e32 v2, v11
	v_mov_b32_e32 v3, v12
	s_or_b32 exec_lo, exec_lo, s16
	s_and_saveexec_b32 s2, s3
	s_cbranch_execz .LBB1679_19
.LBB1679_104:
	v_add_co_u32 v10, s3, s5, v9
	v_add_co_ci_u32_e64 v11, null, s30, 0, s3
	flat_load_dword v2, v[10:11] offset:1024
	s_or_b32 exec_lo, exec_lo, s2
	s_and_saveexec_b32 s2, s4
	s_cbranch_execnz .LBB1679_20
	s_branch .LBB1679_21
.LBB1679_105:
                                        ; implicit-def: $sgpr16_sgpr17
	s_branch .LBB1679_14
.LBB1679_106:
                                        ; implicit-def: $sgpr2_sgpr3
	s_branch .LBB1679_30
	.section	.rodata,"a",@progbits
	.p2align	6, 0x0
	.amdhsa_kernel _ZN7rocprim17ROCPRIM_400000_NS6detail17trampoline_kernelINS0_14default_configENS1_27scan_by_key_config_selectorIijEEZZNS1_16scan_by_key_implILNS1_25lookback_scan_determinismE0ELb0ES3_N6thrust23THRUST_200600_302600_NS6detail15normal_iteratorINS9_10device_ptrIiEEEENSB_INSC_IjEEEENSB_INSC_IfEEEEjNS9_4plusIvEENS9_8equal_toIvEEjEE10hipError_tPvRmT2_T3_T4_T5_mT6_T7_P12ihipStream_tbENKUlT_T0_E_clISt17integral_constantIbLb0EES12_IbLb1EEEEDaSY_SZ_EUlSY_E_NS1_11comp_targetILNS1_3genE8ELNS1_11target_archE1030ELNS1_3gpuE2ELNS1_3repE0EEENS1_30default_config_static_selectorELNS0_4arch9wavefront6targetE0EEEvT1_
		.amdhsa_group_segment_fixed_size 5120
		.amdhsa_private_segment_fixed_size 0
		.amdhsa_kernarg_size 112
		.amdhsa_user_sgpr_count 6
		.amdhsa_user_sgpr_private_segment_buffer 1
		.amdhsa_user_sgpr_dispatch_ptr 0
		.amdhsa_user_sgpr_queue_ptr 0
		.amdhsa_user_sgpr_kernarg_segment_ptr 1
		.amdhsa_user_sgpr_dispatch_id 0
		.amdhsa_user_sgpr_flat_scratch_init 0
		.amdhsa_user_sgpr_private_segment_size 0
		.amdhsa_wavefront_size32 1
		.amdhsa_uses_dynamic_stack 0
		.amdhsa_system_sgpr_private_segment_wavefront_offset 0
		.amdhsa_system_sgpr_workgroup_id_x 1
		.amdhsa_system_sgpr_workgroup_id_y 0
		.amdhsa_system_sgpr_workgroup_id_z 0
		.amdhsa_system_sgpr_workgroup_info 0
		.amdhsa_system_vgpr_workitem_id 0
		.amdhsa_next_free_vgpr 42
		.amdhsa_next_free_sgpr 34
		.amdhsa_reserve_vcc 1
		.amdhsa_reserve_flat_scratch 1
		.amdhsa_float_round_mode_32 0
		.amdhsa_float_round_mode_16_64 0
		.amdhsa_float_denorm_mode_32 3
		.amdhsa_float_denorm_mode_16_64 3
		.amdhsa_dx10_clamp 1
		.amdhsa_ieee_mode 1
		.amdhsa_fp16_overflow 0
		.amdhsa_workgroup_processor_mode 1
		.amdhsa_memory_ordered 1
		.amdhsa_forward_progress 1
		.amdhsa_shared_vgpr_count 0
		.amdhsa_exception_fp_ieee_invalid_op 0
		.amdhsa_exception_fp_denorm_src 0
		.amdhsa_exception_fp_ieee_div_zero 0
		.amdhsa_exception_fp_ieee_overflow 0
		.amdhsa_exception_fp_ieee_underflow 0
		.amdhsa_exception_fp_ieee_inexact 0
		.amdhsa_exception_int_div_zero 0
	.end_amdhsa_kernel
	.section	.text._ZN7rocprim17ROCPRIM_400000_NS6detail17trampoline_kernelINS0_14default_configENS1_27scan_by_key_config_selectorIijEEZZNS1_16scan_by_key_implILNS1_25lookback_scan_determinismE0ELb0ES3_N6thrust23THRUST_200600_302600_NS6detail15normal_iteratorINS9_10device_ptrIiEEEENSB_INSC_IjEEEENSB_INSC_IfEEEEjNS9_4plusIvEENS9_8equal_toIvEEjEE10hipError_tPvRmT2_T3_T4_T5_mT6_T7_P12ihipStream_tbENKUlT_T0_E_clISt17integral_constantIbLb0EES12_IbLb1EEEEDaSY_SZ_EUlSY_E_NS1_11comp_targetILNS1_3genE8ELNS1_11target_archE1030ELNS1_3gpuE2ELNS1_3repE0EEENS1_30default_config_static_selectorELNS0_4arch9wavefront6targetE0EEEvT1_,"axG",@progbits,_ZN7rocprim17ROCPRIM_400000_NS6detail17trampoline_kernelINS0_14default_configENS1_27scan_by_key_config_selectorIijEEZZNS1_16scan_by_key_implILNS1_25lookback_scan_determinismE0ELb0ES3_N6thrust23THRUST_200600_302600_NS6detail15normal_iteratorINS9_10device_ptrIiEEEENSB_INSC_IjEEEENSB_INSC_IfEEEEjNS9_4plusIvEENS9_8equal_toIvEEjEE10hipError_tPvRmT2_T3_T4_T5_mT6_T7_P12ihipStream_tbENKUlT_T0_E_clISt17integral_constantIbLb0EES12_IbLb1EEEEDaSY_SZ_EUlSY_E_NS1_11comp_targetILNS1_3genE8ELNS1_11target_archE1030ELNS1_3gpuE2ELNS1_3repE0EEENS1_30default_config_static_selectorELNS0_4arch9wavefront6targetE0EEEvT1_,comdat
.Lfunc_end1679:
	.size	_ZN7rocprim17ROCPRIM_400000_NS6detail17trampoline_kernelINS0_14default_configENS1_27scan_by_key_config_selectorIijEEZZNS1_16scan_by_key_implILNS1_25lookback_scan_determinismE0ELb0ES3_N6thrust23THRUST_200600_302600_NS6detail15normal_iteratorINS9_10device_ptrIiEEEENSB_INSC_IjEEEENSB_INSC_IfEEEEjNS9_4plusIvEENS9_8equal_toIvEEjEE10hipError_tPvRmT2_T3_T4_T5_mT6_T7_P12ihipStream_tbENKUlT_T0_E_clISt17integral_constantIbLb0EES12_IbLb1EEEEDaSY_SZ_EUlSY_E_NS1_11comp_targetILNS1_3genE8ELNS1_11target_archE1030ELNS1_3gpuE2ELNS1_3repE0EEENS1_30default_config_static_selectorELNS0_4arch9wavefront6targetE0EEEvT1_, .Lfunc_end1679-_ZN7rocprim17ROCPRIM_400000_NS6detail17trampoline_kernelINS0_14default_configENS1_27scan_by_key_config_selectorIijEEZZNS1_16scan_by_key_implILNS1_25lookback_scan_determinismE0ELb0ES3_N6thrust23THRUST_200600_302600_NS6detail15normal_iteratorINS9_10device_ptrIiEEEENSB_INSC_IjEEEENSB_INSC_IfEEEEjNS9_4plusIvEENS9_8equal_toIvEEjEE10hipError_tPvRmT2_T3_T4_T5_mT6_T7_P12ihipStream_tbENKUlT_T0_E_clISt17integral_constantIbLb0EES12_IbLb1EEEEDaSY_SZ_EUlSY_E_NS1_11comp_targetILNS1_3genE8ELNS1_11target_archE1030ELNS1_3gpuE2ELNS1_3repE0EEENS1_30default_config_static_selectorELNS0_4arch9wavefront6targetE0EEEvT1_
                                        ; -- End function
	.set _ZN7rocprim17ROCPRIM_400000_NS6detail17trampoline_kernelINS0_14default_configENS1_27scan_by_key_config_selectorIijEEZZNS1_16scan_by_key_implILNS1_25lookback_scan_determinismE0ELb0ES3_N6thrust23THRUST_200600_302600_NS6detail15normal_iteratorINS9_10device_ptrIiEEEENSB_INSC_IjEEEENSB_INSC_IfEEEEjNS9_4plusIvEENS9_8equal_toIvEEjEE10hipError_tPvRmT2_T3_T4_T5_mT6_T7_P12ihipStream_tbENKUlT_T0_E_clISt17integral_constantIbLb0EES12_IbLb1EEEEDaSY_SZ_EUlSY_E_NS1_11comp_targetILNS1_3genE8ELNS1_11target_archE1030ELNS1_3gpuE2ELNS1_3repE0EEENS1_30default_config_static_selectorELNS0_4arch9wavefront6targetE0EEEvT1_.num_vgpr, 42
	.set _ZN7rocprim17ROCPRIM_400000_NS6detail17trampoline_kernelINS0_14default_configENS1_27scan_by_key_config_selectorIijEEZZNS1_16scan_by_key_implILNS1_25lookback_scan_determinismE0ELb0ES3_N6thrust23THRUST_200600_302600_NS6detail15normal_iteratorINS9_10device_ptrIiEEEENSB_INSC_IjEEEENSB_INSC_IfEEEEjNS9_4plusIvEENS9_8equal_toIvEEjEE10hipError_tPvRmT2_T3_T4_T5_mT6_T7_P12ihipStream_tbENKUlT_T0_E_clISt17integral_constantIbLb0EES12_IbLb1EEEEDaSY_SZ_EUlSY_E_NS1_11comp_targetILNS1_3genE8ELNS1_11target_archE1030ELNS1_3gpuE2ELNS1_3repE0EEENS1_30default_config_static_selectorELNS0_4arch9wavefront6targetE0EEEvT1_.num_agpr, 0
	.set _ZN7rocprim17ROCPRIM_400000_NS6detail17trampoline_kernelINS0_14default_configENS1_27scan_by_key_config_selectorIijEEZZNS1_16scan_by_key_implILNS1_25lookback_scan_determinismE0ELb0ES3_N6thrust23THRUST_200600_302600_NS6detail15normal_iteratorINS9_10device_ptrIiEEEENSB_INSC_IjEEEENSB_INSC_IfEEEEjNS9_4plusIvEENS9_8equal_toIvEEjEE10hipError_tPvRmT2_T3_T4_T5_mT6_T7_P12ihipStream_tbENKUlT_T0_E_clISt17integral_constantIbLb0EES12_IbLb1EEEEDaSY_SZ_EUlSY_E_NS1_11comp_targetILNS1_3genE8ELNS1_11target_archE1030ELNS1_3gpuE2ELNS1_3repE0EEENS1_30default_config_static_selectorELNS0_4arch9wavefront6targetE0EEEvT1_.numbered_sgpr, 34
	.set _ZN7rocprim17ROCPRIM_400000_NS6detail17trampoline_kernelINS0_14default_configENS1_27scan_by_key_config_selectorIijEEZZNS1_16scan_by_key_implILNS1_25lookback_scan_determinismE0ELb0ES3_N6thrust23THRUST_200600_302600_NS6detail15normal_iteratorINS9_10device_ptrIiEEEENSB_INSC_IjEEEENSB_INSC_IfEEEEjNS9_4plusIvEENS9_8equal_toIvEEjEE10hipError_tPvRmT2_T3_T4_T5_mT6_T7_P12ihipStream_tbENKUlT_T0_E_clISt17integral_constantIbLb0EES12_IbLb1EEEEDaSY_SZ_EUlSY_E_NS1_11comp_targetILNS1_3genE8ELNS1_11target_archE1030ELNS1_3gpuE2ELNS1_3repE0EEENS1_30default_config_static_selectorELNS0_4arch9wavefront6targetE0EEEvT1_.num_named_barrier, 0
	.set _ZN7rocprim17ROCPRIM_400000_NS6detail17trampoline_kernelINS0_14default_configENS1_27scan_by_key_config_selectorIijEEZZNS1_16scan_by_key_implILNS1_25lookback_scan_determinismE0ELb0ES3_N6thrust23THRUST_200600_302600_NS6detail15normal_iteratorINS9_10device_ptrIiEEEENSB_INSC_IjEEEENSB_INSC_IfEEEEjNS9_4plusIvEENS9_8equal_toIvEEjEE10hipError_tPvRmT2_T3_T4_T5_mT6_T7_P12ihipStream_tbENKUlT_T0_E_clISt17integral_constantIbLb0EES12_IbLb1EEEEDaSY_SZ_EUlSY_E_NS1_11comp_targetILNS1_3genE8ELNS1_11target_archE1030ELNS1_3gpuE2ELNS1_3repE0EEENS1_30default_config_static_selectorELNS0_4arch9wavefront6targetE0EEEvT1_.private_seg_size, 0
	.set _ZN7rocprim17ROCPRIM_400000_NS6detail17trampoline_kernelINS0_14default_configENS1_27scan_by_key_config_selectorIijEEZZNS1_16scan_by_key_implILNS1_25lookback_scan_determinismE0ELb0ES3_N6thrust23THRUST_200600_302600_NS6detail15normal_iteratorINS9_10device_ptrIiEEEENSB_INSC_IjEEEENSB_INSC_IfEEEEjNS9_4plusIvEENS9_8equal_toIvEEjEE10hipError_tPvRmT2_T3_T4_T5_mT6_T7_P12ihipStream_tbENKUlT_T0_E_clISt17integral_constantIbLb0EES12_IbLb1EEEEDaSY_SZ_EUlSY_E_NS1_11comp_targetILNS1_3genE8ELNS1_11target_archE1030ELNS1_3gpuE2ELNS1_3repE0EEENS1_30default_config_static_selectorELNS0_4arch9wavefront6targetE0EEEvT1_.uses_vcc, 1
	.set _ZN7rocprim17ROCPRIM_400000_NS6detail17trampoline_kernelINS0_14default_configENS1_27scan_by_key_config_selectorIijEEZZNS1_16scan_by_key_implILNS1_25lookback_scan_determinismE0ELb0ES3_N6thrust23THRUST_200600_302600_NS6detail15normal_iteratorINS9_10device_ptrIiEEEENSB_INSC_IjEEEENSB_INSC_IfEEEEjNS9_4plusIvEENS9_8equal_toIvEEjEE10hipError_tPvRmT2_T3_T4_T5_mT6_T7_P12ihipStream_tbENKUlT_T0_E_clISt17integral_constantIbLb0EES12_IbLb1EEEEDaSY_SZ_EUlSY_E_NS1_11comp_targetILNS1_3genE8ELNS1_11target_archE1030ELNS1_3gpuE2ELNS1_3repE0EEENS1_30default_config_static_selectorELNS0_4arch9wavefront6targetE0EEEvT1_.uses_flat_scratch, 1
	.set _ZN7rocprim17ROCPRIM_400000_NS6detail17trampoline_kernelINS0_14default_configENS1_27scan_by_key_config_selectorIijEEZZNS1_16scan_by_key_implILNS1_25lookback_scan_determinismE0ELb0ES3_N6thrust23THRUST_200600_302600_NS6detail15normal_iteratorINS9_10device_ptrIiEEEENSB_INSC_IjEEEENSB_INSC_IfEEEEjNS9_4plusIvEENS9_8equal_toIvEEjEE10hipError_tPvRmT2_T3_T4_T5_mT6_T7_P12ihipStream_tbENKUlT_T0_E_clISt17integral_constantIbLb0EES12_IbLb1EEEEDaSY_SZ_EUlSY_E_NS1_11comp_targetILNS1_3genE8ELNS1_11target_archE1030ELNS1_3gpuE2ELNS1_3repE0EEENS1_30default_config_static_selectorELNS0_4arch9wavefront6targetE0EEEvT1_.has_dyn_sized_stack, 0
	.set _ZN7rocprim17ROCPRIM_400000_NS6detail17trampoline_kernelINS0_14default_configENS1_27scan_by_key_config_selectorIijEEZZNS1_16scan_by_key_implILNS1_25lookback_scan_determinismE0ELb0ES3_N6thrust23THRUST_200600_302600_NS6detail15normal_iteratorINS9_10device_ptrIiEEEENSB_INSC_IjEEEENSB_INSC_IfEEEEjNS9_4plusIvEENS9_8equal_toIvEEjEE10hipError_tPvRmT2_T3_T4_T5_mT6_T7_P12ihipStream_tbENKUlT_T0_E_clISt17integral_constantIbLb0EES12_IbLb1EEEEDaSY_SZ_EUlSY_E_NS1_11comp_targetILNS1_3genE8ELNS1_11target_archE1030ELNS1_3gpuE2ELNS1_3repE0EEENS1_30default_config_static_selectorELNS0_4arch9wavefront6targetE0EEEvT1_.has_recursion, 0
	.set _ZN7rocprim17ROCPRIM_400000_NS6detail17trampoline_kernelINS0_14default_configENS1_27scan_by_key_config_selectorIijEEZZNS1_16scan_by_key_implILNS1_25lookback_scan_determinismE0ELb0ES3_N6thrust23THRUST_200600_302600_NS6detail15normal_iteratorINS9_10device_ptrIiEEEENSB_INSC_IjEEEENSB_INSC_IfEEEEjNS9_4plusIvEENS9_8equal_toIvEEjEE10hipError_tPvRmT2_T3_T4_T5_mT6_T7_P12ihipStream_tbENKUlT_T0_E_clISt17integral_constantIbLb0EES12_IbLb1EEEEDaSY_SZ_EUlSY_E_NS1_11comp_targetILNS1_3genE8ELNS1_11target_archE1030ELNS1_3gpuE2ELNS1_3repE0EEENS1_30default_config_static_selectorELNS0_4arch9wavefront6targetE0EEEvT1_.has_indirect_call, 0
	.section	.AMDGPU.csdata,"",@progbits
; Kernel info:
; codeLenInByte = 6352
; TotalNumSgprs: 36
; NumVgprs: 42
; ScratchSize: 0
; MemoryBound: 0
; FloatMode: 240
; IeeeMode: 1
; LDSByteSize: 5120 bytes/workgroup (compile time only)
; SGPRBlocks: 0
; VGPRBlocks: 5
; NumSGPRsForWavesPerEU: 36
; NumVGPRsForWavesPerEU: 42
; Occupancy: 16
; WaveLimiterHint : 1
; COMPUTE_PGM_RSRC2:SCRATCH_EN: 0
; COMPUTE_PGM_RSRC2:USER_SGPR: 6
; COMPUTE_PGM_RSRC2:TRAP_HANDLER: 0
; COMPUTE_PGM_RSRC2:TGID_X_EN: 1
; COMPUTE_PGM_RSRC2:TGID_Y_EN: 0
; COMPUTE_PGM_RSRC2:TGID_Z_EN: 0
; COMPUTE_PGM_RSRC2:TIDIG_COMP_CNT: 0
	.section	.text._ZN7rocprim17ROCPRIM_400000_NS6detail17trampoline_kernelINS0_14default_configENS1_27scan_by_key_config_selectorIifEEZZNS1_16scan_by_key_implILNS1_25lookback_scan_determinismE0ELb1ES3_N6thrust23THRUST_200600_302600_NS6detail15normal_iteratorINS9_10device_ptrIiEEEENSB_INSC_IjEEEENSB_INSC_IfEEEEfNS9_4plusIvEENS9_8equal_toIvEEfEE10hipError_tPvRmT2_T3_T4_T5_mT6_T7_P12ihipStream_tbENKUlT_T0_E_clISt17integral_constantIbLb0EES13_EEDaSY_SZ_EUlSY_E_NS1_11comp_targetILNS1_3genE0ELNS1_11target_archE4294967295ELNS1_3gpuE0ELNS1_3repE0EEENS1_30default_config_static_selectorELNS0_4arch9wavefront6targetE0EEEvT1_,"axG",@progbits,_ZN7rocprim17ROCPRIM_400000_NS6detail17trampoline_kernelINS0_14default_configENS1_27scan_by_key_config_selectorIifEEZZNS1_16scan_by_key_implILNS1_25lookback_scan_determinismE0ELb1ES3_N6thrust23THRUST_200600_302600_NS6detail15normal_iteratorINS9_10device_ptrIiEEEENSB_INSC_IjEEEENSB_INSC_IfEEEEfNS9_4plusIvEENS9_8equal_toIvEEfEE10hipError_tPvRmT2_T3_T4_T5_mT6_T7_P12ihipStream_tbENKUlT_T0_E_clISt17integral_constantIbLb0EES13_EEDaSY_SZ_EUlSY_E_NS1_11comp_targetILNS1_3genE0ELNS1_11target_archE4294967295ELNS1_3gpuE0ELNS1_3repE0EEENS1_30default_config_static_selectorELNS0_4arch9wavefront6targetE0EEEvT1_,comdat
	.protected	_ZN7rocprim17ROCPRIM_400000_NS6detail17trampoline_kernelINS0_14default_configENS1_27scan_by_key_config_selectorIifEEZZNS1_16scan_by_key_implILNS1_25lookback_scan_determinismE0ELb1ES3_N6thrust23THRUST_200600_302600_NS6detail15normal_iteratorINS9_10device_ptrIiEEEENSB_INSC_IjEEEENSB_INSC_IfEEEEfNS9_4plusIvEENS9_8equal_toIvEEfEE10hipError_tPvRmT2_T3_T4_T5_mT6_T7_P12ihipStream_tbENKUlT_T0_E_clISt17integral_constantIbLb0EES13_EEDaSY_SZ_EUlSY_E_NS1_11comp_targetILNS1_3genE0ELNS1_11target_archE4294967295ELNS1_3gpuE0ELNS1_3repE0EEENS1_30default_config_static_selectorELNS0_4arch9wavefront6targetE0EEEvT1_ ; -- Begin function _ZN7rocprim17ROCPRIM_400000_NS6detail17trampoline_kernelINS0_14default_configENS1_27scan_by_key_config_selectorIifEEZZNS1_16scan_by_key_implILNS1_25lookback_scan_determinismE0ELb1ES3_N6thrust23THRUST_200600_302600_NS6detail15normal_iteratorINS9_10device_ptrIiEEEENSB_INSC_IjEEEENSB_INSC_IfEEEEfNS9_4plusIvEENS9_8equal_toIvEEfEE10hipError_tPvRmT2_T3_T4_T5_mT6_T7_P12ihipStream_tbENKUlT_T0_E_clISt17integral_constantIbLb0EES13_EEDaSY_SZ_EUlSY_E_NS1_11comp_targetILNS1_3genE0ELNS1_11target_archE4294967295ELNS1_3gpuE0ELNS1_3repE0EEENS1_30default_config_static_selectorELNS0_4arch9wavefront6targetE0EEEvT1_
	.globl	_ZN7rocprim17ROCPRIM_400000_NS6detail17trampoline_kernelINS0_14default_configENS1_27scan_by_key_config_selectorIifEEZZNS1_16scan_by_key_implILNS1_25lookback_scan_determinismE0ELb1ES3_N6thrust23THRUST_200600_302600_NS6detail15normal_iteratorINS9_10device_ptrIiEEEENSB_INSC_IjEEEENSB_INSC_IfEEEEfNS9_4plusIvEENS9_8equal_toIvEEfEE10hipError_tPvRmT2_T3_T4_T5_mT6_T7_P12ihipStream_tbENKUlT_T0_E_clISt17integral_constantIbLb0EES13_EEDaSY_SZ_EUlSY_E_NS1_11comp_targetILNS1_3genE0ELNS1_11target_archE4294967295ELNS1_3gpuE0ELNS1_3repE0EEENS1_30default_config_static_selectorELNS0_4arch9wavefront6targetE0EEEvT1_
	.p2align	8
	.type	_ZN7rocprim17ROCPRIM_400000_NS6detail17trampoline_kernelINS0_14default_configENS1_27scan_by_key_config_selectorIifEEZZNS1_16scan_by_key_implILNS1_25lookback_scan_determinismE0ELb1ES3_N6thrust23THRUST_200600_302600_NS6detail15normal_iteratorINS9_10device_ptrIiEEEENSB_INSC_IjEEEENSB_INSC_IfEEEEfNS9_4plusIvEENS9_8equal_toIvEEfEE10hipError_tPvRmT2_T3_T4_T5_mT6_T7_P12ihipStream_tbENKUlT_T0_E_clISt17integral_constantIbLb0EES13_EEDaSY_SZ_EUlSY_E_NS1_11comp_targetILNS1_3genE0ELNS1_11target_archE4294967295ELNS1_3gpuE0ELNS1_3repE0EEENS1_30default_config_static_selectorELNS0_4arch9wavefront6targetE0EEEvT1_,@function
_ZN7rocprim17ROCPRIM_400000_NS6detail17trampoline_kernelINS0_14default_configENS1_27scan_by_key_config_selectorIifEEZZNS1_16scan_by_key_implILNS1_25lookback_scan_determinismE0ELb1ES3_N6thrust23THRUST_200600_302600_NS6detail15normal_iteratorINS9_10device_ptrIiEEEENSB_INSC_IjEEEENSB_INSC_IfEEEEfNS9_4plusIvEENS9_8equal_toIvEEfEE10hipError_tPvRmT2_T3_T4_T5_mT6_T7_P12ihipStream_tbENKUlT_T0_E_clISt17integral_constantIbLb0EES13_EEDaSY_SZ_EUlSY_E_NS1_11comp_targetILNS1_3genE0ELNS1_11target_archE4294967295ELNS1_3gpuE0ELNS1_3repE0EEENS1_30default_config_static_selectorELNS0_4arch9wavefront6targetE0EEEvT1_: ; @_ZN7rocprim17ROCPRIM_400000_NS6detail17trampoline_kernelINS0_14default_configENS1_27scan_by_key_config_selectorIifEEZZNS1_16scan_by_key_implILNS1_25lookback_scan_determinismE0ELb1ES3_N6thrust23THRUST_200600_302600_NS6detail15normal_iteratorINS9_10device_ptrIiEEEENSB_INSC_IjEEEENSB_INSC_IfEEEEfNS9_4plusIvEENS9_8equal_toIvEEfEE10hipError_tPvRmT2_T3_T4_T5_mT6_T7_P12ihipStream_tbENKUlT_T0_E_clISt17integral_constantIbLb0EES13_EEDaSY_SZ_EUlSY_E_NS1_11comp_targetILNS1_3genE0ELNS1_11target_archE4294967295ELNS1_3gpuE0ELNS1_3repE0EEENS1_30default_config_static_selectorELNS0_4arch9wavefront6targetE0EEEvT1_
; %bb.0:
	.section	.rodata,"a",@progbits
	.p2align	6, 0x0
	.amdhsa_kernel _ZN7rocprim17ROCPRIM_400000_NS6detail17trampoline_kernelINS0_14default_configENS1_27scan_by_key_config_selectorIifEEZZNS1_16scan_by_key_implILNS1_25lookback_scan_determinismE0ELb1ES3_N6thrust23THRUST_200600_302600_NS6detail15normal_iteratorINS9_10device_ptrIiEEEENSB_INSC_IjEEEENSB_INSC_IfEEEEfNS9_4plusIvEENS9_8equal_toIvEEfEE10hipError_tPvRmT2_T3_T4_T5_mT6_T7_P12ihipStream_tbENKUlT_T0_E_clISt17integral_constantIbLb0EES13_EEDaSY_SZ_EUlSY_E_NS1_11comp_targetILNS1_3genE0ELNS1_11target_archE4294967295ELNS1_3gpuE0ELNS1_3repE0EEENS1_30default_config_static_selectorELNS0_4arch9wavefront6targetE0EEEvT1_
		.amdhsa_group_segment_fixed_size 0
		.amdhsa_private_segment_fixed_size 0
		.amdhsa_kernarg_size 112
		.amdhsa_user_sgpr_count 6
		.amdhsa_user_sgpr_private_segment_buffer 1
		.amdhsa_user_sgpr_dispatch_ptr 0
		.amdhsa_user_sgpr_queue_ptr 0
		.amdhsa_user_sgpr_kernarg_segment_ptr 1
		.amdhsa_user_sgpr_dispatch_id 0
		.amdhsa_user_sgpr_flat_scratch_init 0
		.amdhsa_user_sgpr_private_segment_size 0
		.amdhsa_wavefront_size32 1
		.amdhsa_uses_dynamic_stack 0
		.amdhsa_system_sgpr_private_segment_wavefront_offset 0
		.amdhsa_system_sgpr_workgroup_id_x 1
		.amdhsa_system_sgpr_workgroup_id_y 0
		.amdhsa_system_sgpr_workgroup_id_z 0
		.amdhsa_system_sgpr_workgroup_info 0
		.amdhsa_system_vgpr_workitem_id 0
		.amdhsa_next_free_vgpr 1
		.amdhsa_next_free_sgpr 1
		.amdhsa_reserve_vcc 0
		.amdhsa_reserve_flat_scratch 0
		.amdhsa_float_round_mode_32 0
		.amdhsa_float_round_mode_16_64 0
		.amdhsa_float_denorm_mode_32 3
		.amdhsa_float_denorm_mode_16_64 3
		.amdhsa_dx10_clamp 1
		.amdhsa_ieee_mode 1
		.amdhsa_fp16_overflow 0
		.amdhsa_workgroup_processor_mode 1
		.amdhsa_memory_ordered 1
		.amdhsa_forward_progress 1
		.amdhsa_shared_vgpr_count 0
		.amdhsa_exception_fp_ieee_invalid_op 0
		.amdhsa_exception_fp_denorm_src 0
		.amdhsa_exception_fp_ieee_div_zero 0
		.amdhsa_exception_fp_ieee_overflow 0
		.amdhsa_exception_fp_ieee_underflow 0
		.amdhsa_exception_fp_ieee_inexact 0
		.amdhsa_exception_int_div_zero 0
	.end_amdhsa_kernel
	.section	.text._ZN7rocprim17ROCPRIM_400000_NS6detail17trampoline_kernelINS0_14default_configENS1_27scan_by_key_config_selectorIifEEZZNS1_16scan_by_key_implILNS1_25lookback_scan_determinismE0ELb1ES3_N6thrust23THRUST_200600_302600_NS6detail15normal_iteratorINS9_10device_ptrIiEEEENSB_INSC_IjEEEENSB_INSC_IfEEEEfNS9_4plusIvEENS9_8equal_toIvEEfEE10hipError_tPvRmT2_T3_T4_T5_mT6_T7_P12ihipStream_tbENKUlT_T0_E_clISt17integral_constantIbLb0EES13_EEDaSY_SZ_EUlSY_E_NS1_11comp_targetILNS1_3genE0ELNS1_11target_archE4294967295ELNS1_3gpuE0ELNS1_3repE0EEENS1_30default_config_static_selectorELNS0_4arch9wavefront6targetE0EEEvT1_,"axG",@progbits,_ZN7rocprim17ROCPRIM_400000_NS6detail17trampoline_kernelINS0_14default_configENS1_27scan_by_key_config_selectorIifEEZZNS1_16scan_by_key_implILNS1_25lookback_scan_determinismE0ELb1ES3_N6thrust23THRUST_200600_302600_NS6detail15normal_iteratorINS9_10device_ptrIiEEEENSB_INSC_IjEEEENSB_INSC_IfEEEEfNS9_4plusIvEENS9_8equal_toIvEEfEE10hipError_tPvRmT2_T3_T4_T5_mT6_T7_P12ihipStream_tbENKUlT_T0_E_clISt17integral_constantIbLb0EES13_EEDaSY_SZ_EUlSY_E_NS1_11comp_targetILNS1_3genE0ELNS1_11target_archE4294967295ELNS1_3gpuE0ELNS1_3repE0EEENS1_30default_config_static_selectorELNS0_4arch9wavefront6targetE0EEEvT1_,comdat
.Lfunc_end1680:
	.size	_ZN7rocprim17ROCPRIM_400000_NS6detail17trampoline_kernelINS0_14default_configENS1_27scan_by_key_config_selectorIifEEZZNS1_16scan_by_key_implILNS1_25lookback_scan_determinismE0ELb1ES3_N6thrust23THRUST_200600_302600_NS6detail15normal_iteratorINS9_10device_ptrIiEEEENSB_INSC_IjEEEENSB_INSC_IfEEEEfNS9_4plusIvEENS9_8equal_toIvEEfEE10hipError_tPvRmT2_T3_T4_T5_mT6_T7_P12ihipStream_tbENKUlT_T0_E_clISt17integral_constantIbLb0EES13_EEDaSY_SZ_EUlSY_E_NS1_11comp_targetILNS1_3genE0ELNS1_11target_archE4294967295ELNS1_3gpuE0ELNS1_3repE0EEENS1_30default_config_static_selectorELNS0_4arch9wavefront6targetE0EEEvT1_, .Lfunc_end1680-_ZN7rocprim17ROCPRIM_400000_NS6detail17trampoline_kernelINS0_14default_configENS1_27scan_by_key_config_selectorIifEEZZNS1_16scan_by_key_implILNS1_25lookback_scan_determinismE0ELb1ES3_N6thrust23THRUST_200600_302600_NS6detail15normal_iteratorINS9_10device_ptrIiEEEENSB_INSC_IjEEEENSB_INSC_IfEEEEfNS9_4plusIvEENS9_8equal_toIvEEfEE10hipError_tPvRmT2_T3_T4_T5_mT6_T7_P12ihipStream_tbENKUlT_T0_E_clISt17integral_constantIbLb0EES13_EEDaSY_SZ_EUlSY_E_NS1_11comp_targetILNS1_3genE0ELNS1_11target_archE4294967295ELNS1_3gpuE0ELNS1_3repE0EEENS1_30default_config_static_selectorELNS0_4arch9wavefront6targetE0EEEvT1_
                                        ; -- End function
	.set _ZN7rocprim17ROCPRIM_400000_NS6detail17trampoline_kernelINS0_14default_configENS1_27scan_by_key_config_selectorIifEEZZNS1_16scan_by_key_implILNS1_25lookback_scan_determinismE0ELb1ES3_N6thrust23THRUST_200600_302600_NS6detail15normal_iteratorINS9_10device_ptrIiEEEENSB_INSC_IjEEEENSB_INSC_IfEEEEfNS9_4plusIvEENS9_8equal_toIvEEfEE10hipError_tPvRmT2_T3_T4_T5_mT6_T7_P12ihipStream_tbENKUlT_T0_E_clISt17integral_constantIbLb0EES13_EEDaSY_SZ_EUlSY_E_NS1_11comp_targetILNS1_3genE0ELNS1_11target_archE4294967295ELNS1_3gpuE0ELNS1_3repE0EEENS1_30default_config_static_selectorELNS0_4arch9wavefront6targetE0EEEvT1_.num_vgpr, 0
	.set _ZN7rocprim17ROCPRIM_400000_NS6detail17trampoline_kernelINS0_14default_configENS1_27scan_by_key_config_selectorIifEEZZNS1_16scan_by_key_implILNS1_25lookback_scan_determinismE0ELb1ES3_N6thrust23THRUST_200600_302600_NS6detail15normal_iteratorINS9_10device_ptrIiEEEENSB_INSC_IjEEEENSB_INSC_IfEEEEfNS9_4plusIvEENS9_8equal_toIvEEfEE10hipError_tPvRmT2_T3_T4_T5_mT6_T7_P12ihipStream_tbENKUlT_T0_E_clISt17integral_constantIbLb0EES13_EEDaSY_SZ_EUlSY_E_NS1_11comp_targetILNS1_3genE0ELNS1_11target_archE4294967295ELNS1_3gpuE0ELNS1_3repE0EEENS1_30default_config_static_selectorELNS0_4arch9wavefront6targetE0EEEvT1_.num_agpr, 0
	.set _ZN7rocprim17ROCPRIM_400000_NS6detail17trampoline_kernelINS0_14default_configENS1_27scan_by_key_config_selectorIifEEZZNS1_16scan_by_key_implILNS1_25lookback_scan_determinismE0ELb1ES3_N6thrust23THRUST_200600_302600_NS6detail15normal_iteratorINS9_10device_ptrIiEEEENSB_INSC_IjEEEENSB_INSC_IfEEEEfNS9_4plusIvEENS9_8equal_toIvEEfEE10hipError_tPvRmT2_T3_T4_T5_mT6_T7_P12ihipStream_tbENKUlT_T0_E_clISt17integral_constantIbLb0EES13_EEDaSY_SZ_EUlSY_E_NS1_11comp_targetILNS1_3genE0ELNS1_11target_archE4294967295ELNS1_3gpuE0ELNS1_3repE0EEENS1_30default_config_static_selectorELNS0_4arch9wavefront6targetE0EEEvT1_.numbered_sgpr, 0
	.set _ZN7rocprim17ROCPRIM_400000_NS6detail17trampoline_kernelINS0_14default_configENS1_27scan_by_key_config_selectorIifEEZZNS1_16scan_by_key_implILNS1_25lookback_scan_determinismE0ELb1ES3_N6thrust23THRUST_200600_302600_NS6detail15normal_iteratorINS9_10device_ptrIiEEEENSB_INSC_IjEEEENSB_INSC_IfEEEEfNS9_4plusIvEENS9_8equal_toIvEEfEE10hipError_tPvRmT2_T3_T4_T5_mT6_T7_P12ihipStream_tbENKUlT_T0_E_clISt17integral_constantIbLb0EES13_EEDaSY_SZ_EUlSY_E_NS1_11comp_targetILNS1_3genE0ELNS1_11target_archE4294967295ELNS1_3gpuE0ELNS1_3repE0EEENS1_30default_config_static_selectorELNS0_4arch9wavefront6targetE0EEEvT1_.num_named_barrier, 0
	.set _ZN7rocprim17ROCPRIM_400000_NS6detail17trampoline_kernelINS0_14default_configENS1_27scan_by_key_config_selectorIifEEZZNS1_16scan_by_key_implILNS1_25lookback_scan_determinismE0ELb1ES3_N6thrust23THRUST_200600_302600_NS6detail15normal_iteratorINS9_10device_ptrIiEEEENSB_INSC_IjEEEENSB_INSC_IfEEEEfNS9_4plusIvEENS9_8equal_toIvEEfEE10hipError_tPvRmT2_T3_T4_T5_mT6_T7_P12ihipStream_tbENKUlT_T0_E_clISt17integral_constantIbLb0EES13_EEDaSY_SZ_EUlSY_E_NS1_11comp_targetILNS1_3genE0ELNS1_11target_archE4294967295ELNS1_3gpuE0ELNS1_3repE0EEENS1_30default_config_static_selectorELNS0_4arch9wavefront6targetE0EEEvT1_.private_seg_size, 0
	.set _ZN7rocprim17ROCPRIM_400000_NS6detail17trampoline_kernelINS0_14default_configENS1_27scan_by_key_config_selectorIifEEZZNS1_16scan_by_key_implILNS1_25lookback_scan_determinismE0ELb1ES3_N6thrust23THRUST_200600_302600_NS6detail15normal_iteratorINS9_10device_ptrIiEEEENSB_INSC_IjEEEENSB_INSC_IfEEEEfNS9_4plusIvEENS9_8equal_toIvEEfEE10hipError_tPvRmT2_T3_T4_T5_mT6_T7_P12ihipStream_tbENKUlT_T0_E_clISt17integral_constantIbLb0EES13_EEDaSY_SZ_EUlSY_E_NS1_11comp_targetILNS1_3genE0ELNS1_11target_archE4294967295ELNS1_3gpuE0ELNS1_3repE0EEENS1_30default_config_static_selectorELNS0_4arch9wavefront6targetE0EEEvT1_.uses_vcc, 0
	.set _ZN7rocprim17ROCPRIM_400000_NS6detail17trampoline_kernelINS0_14default_configENS1_27scan_by_key_config_selectorIifEEZZNS1_16scan_by_key_implILNS1_25lookback_scan_determinismE0ELb1ES3_N6thrust23THRUST_200600_302600_NS6detail15normal_iteratorINS9_10device_ptrIiEEEENSB_INSC_IjEEEENSB_INSC_IfEEEEfNS9_4plusIvEENS9_8equal_toIvEEfEE10hipError_tPvRmT2_T3_T4_T5_mT6_T7_P12ihipStream_tbENKUlT_T0_E_clISt17integral_constantIbLb0EES13_EEDaSY_SZ_EUlSY_E_NS1_11comp_targetILNS1_3genE0ELNS1_11target_archE4294967295ELNS1_3gpuE0ELNS1_3repE0EEENS1_30default_config_static_selectorELNS0_4arch9wavefront6targetE0EEEvT1_.uses_flat_scratch, 0
	.set _ZN7rocprim17ROCPRIM_400000_NS6detail17trampoline_kernelINS0_14default_configENS1_27scan_by_key_config_selectorIifEEZZNS1_16scan_by_key_implILNS1_25lookback_scan_determinismE0ELb1ES3_N6thrust23THRUST_200600_302600_NS6detail15normal_iteratorINS9_10device_ptrIiEEEENSB_INSC_IjEEEENSB_INSC_IfEEEEfNS9_4plusIvEENS9_8equal_toIvEEfEE10hipError_tPvRmT2_T3_T4_T5_mT6_T7_P12ihipStream_tbENKUlT_T0_E_clISt17integral_constantIbLb0EES13_EEDaSY_SZ_EUlSY_E_NS1_11comp_targetILNS1_3genE0ELNS1_11target_archE4294967295ELNS1_3gpuE0ELNS1_3repE0EEENS1_30default_config_static_selectorELNS0_4arch9wavefront6targetE0EEEvT1_.has_dyn_sized_stack, 0
	.set _ZN7rocprim17ROCPRIM_400000_NS6detail17trampoline_kernelINS0_14default_configENS1_27scan_by_key_config_selectorIifEEZZNS1_16scan_by_key_implILNS1_25lookback_scan_determinismE0ELb1ES3_N6thrust23THRUST_200600_302600_NS6detail15normal_iteratorINS9_10device_ptrIiEEEENSB_INSC_IjEEEENSB_INSC_IfEEEEfNS9_4plusIvEENS9_8equal_toIvEEfEE10hipError_tPvRmT2_T3_T4_T5_mT6_T7_P12ihipStream_tbENKUlT_T0_E_clISt17integral_constantIbLb0EES13_EEDaSY_SZ_EUlSY_E_NS1_11comp_targetILNS1_3genE0ELNS1_11target_archE4294967295ELNS1_3gpuE0ELNS1_3repE0EEENS1_30default_config_static_selectorELNS0_4arch9wavefront6targetE0EEEvT1_.has_recursion, 0
	.set _ZN7rocprim17ROCPRIM_400000_NS6detail17trampoline_kernelINS0_14default_configENS1_27scan_by_key_config_selectorIifEEZZNS1_16scan_by_key_implILNS1_25lookback_scan_determinismE0ELb1ES3_N6thrust23THRUST_200600_302600_NS6detail15normal_iteratorINS9_10device_ptrIiEEEENSB_INSC_IjEEEENSB_INSC_IfEEEEfNS9_4plusIvEENS9_8equal_toIvEEfEE10hipError_tPvRmT2_T3_T4_T5_mT6_T7_P12ihipStream_tbENKUlT_T0_E_clISt17integral_constantIbLb0EES13_EEDaSY_SZ_EUlSY_E_NS1_11comp_targetILNS1_3genE0ELNS1_11target_archE4294967295ELNS1_3gpuE0ELNS1_3repE0EEENS1_30default_config_static_selectorELNS0_4arch9wavefront6targetE0EEEvT1_.has_indirect_call, 0
	.section	.AMDGPU.csdata,"",@progbits
; Kernel info:
; codeLenInByte = 0
; TotalNumSgprs: 0
; NumVgprs: 0
; ScratchSize: 0
; MemoryBound: 0
; FloatMode: 240
; IeeeMode: 1
; LDSByteSize: 0 bytes/workgroup (compile time only)
; SGPRBlocks: 0
; VGPRBlocks: 0
; NumSGPRsForWavesPerEU: 1
; NumVGPRsForWavesPerEU: 1
; Occupancy: 16
; WaveLimiterHint : 0
; COMPUTE_PGM_RSRC2:SCRATCH_EN: 0
; COMPUTE_PGM_RSRC2:USER_SGPR: 6
; COMPUTE_PGM_RSRC2:TRAP_HANDLER: 0
; COMPUTE_PGM_RSRC2:TGID_X_EN: 1
; COMPUTE_PGM_RSRC2:TGID_Y_EN: 0
; COMPUTE_PGM_RSRC2:TGID_Z_EN: 0
; COMPUTE_PGM_RSRC2:TIDIG_COMP_CNT: 0
	.section	.text._ZN7rocprim17ROCPRIM_400000_NS6detail17trampoline_kernelINS0_14default_configENS1_27scan_by_key_config_selectorIifEEZZNS1_16scan_by_key_implILNS1_25lookback_scan_determinismE0ELb1ES3_N6thrust23THRUST_200600_302600_NS6detail15normal_iteratorINS9_10device_ptrIiEEEENSB_INSC_IjEEEENSB_INSC_IfEEEEfNS9_4plusIvEENS9_8equal_toIvEEfEE10hipError_tPvRmT2_T3_T4_T5_mT6_T7_P12ihipStream_tbENKUlT_T0_E_clISt17integral_constantIbLb0EES13_EEDaSY_SZ_EUlSY_E_NS1_11comp_targetILNS1_3genE10ELNS1_11target_archE1201ELNS1_3gpuE5ELNS1_3repE0EEENS1_30default_config_static_selectorELNS0_4arch9wavefront6targetE0EEEvT1_,"axG",@progbits,_ZN7rocprim17ROCPRIM_400000_NS6detail17trampoline_kernelINS0_14default_configENS1_27scan_by_key_config_selectorIifEEZZNS1_16scan_by_key_implILNS1_25lookback_scan_determinismE0ELb1ES3_N6thrust23THRUST_200600_302600_NS6detail15normal_iteratorINS9_10device_ptrIiEEEENSB_INSC_IjEEEENSB_INSC_IfEEEEfNS9_4plusIvEENS9_8equal_toIvEEfEE10hipError_tPvRmT2_T3_T4_T5_mT6_T7_P12ihipStream_tbENKUlT_T0_E_clISt17integral_constantIbLb0EES13_EEDaSY_SZ_EUlSY_E_NS1_11comp_targetILNS1_3genE10ELNS1_11target_archE1201ELNS1_3gpuE5ELNS1_3repE0EEENS1_30default_config_static_selectorELNS0_4arch9wavefront6targetE0EEEvT1_,comdat
	.protected	_ZN7rocprim17ROCPRIM_400000_NS6detail17trampoline_kernelINS0_14default_configENS1_27scan_by_key_config_selectorIifEEZZNS1_16scan_by_key_implILNS1_25lookback_scan_determinismE0ELb1ES3_N6thrust23THRUST_200600_302600_NS6detail15normal_iteratorINS9_10device_ptrIiEEEENSB_INSC_IjEEEENSB_INSC_IfEEEEfNS9_4plusIvEENS9_8equal_toIvEEfEE10hipError_tPvRmT2_T3_T4_T5_mT6_T7_P12ihipStream_tbENKUlT_T0_E_clISt17integral_constantIbLb0EES13_EEDaSY_SZ_EUlSY_E_NS1_11comp_targetILNS1_3genE10ELNS1_11target_archE1201ELNS1_3gpuE5ELNS1_3repE0EEENS1_30default_config_static_selectorELNS0_4arch9wavefront6targetE0EEEvT1_ ; -- Begin function _ZN7rocprim17ROCPRIM_400000_NS6detail17trampoline_kernelINS0_14default_configENS1_27scan_by_key_config_selectorIifEEZZNS1_16scan_by_key_implILNS1_25lookback_scan_determinismE0ELb1ES3_N6thrust23THRUST_200600_302600_NS6detail15normal_iteratorINS9_10device_ptrIiEEEENSB_INSC_IjEEEENSB_INSC_IfEEEEfNS9_4plusIvEENS9_8equal_toIvEEfEE10hipError_tPvRmT2_T3_T4_T5_mT6_T7_P12ihipStream_tbENKUlT_T0_E_clISt17integral_constantIbLb0EES13_EEDaSY_SZ_EUlSY_E_NS1_11comp_targetILNS1_3genE10ELNS1_11target_archE1201ELNS1_3gpuE5ELNS1_3repE0EEENS1_30default_config_static_selectorELNS0_4arch9wavefront6targetE0EEEvT1_
	.globl	_ZN7rocprim17ROCPRIM_400000_NS6detail17trampoline_kernelINS0_14default_configENS1_27scan_by_key_config_selectorIifEEZZNS1_16scan_by_key_implILNS1_25lookback_scan_determinismE0ELb1ES3_N6thrust23THRUST_200600_302600_NS6detail15normal_iteratorINS9_10device_ptrIiEEEENSB_INSC_IjEEEENSB_INSC_IfEEEEfNS9_4plusIvEENS9_8equal_toIvEEfEE10hipError_tPvRmT2_T3_T4_T5_mT6_T7_P12ihipStream_tbENKUlT_T0_E_clISt17integral_constantIbLb0EES13_EEDaSY_SZ_EUlSY_E_NS1_11comp_targetILNS1_3genE10ELNS1_11target_archE1201ELNS1_3gpuE5ELNS1_3repE0EEENS1_30default_config_static_selectorELNS0_4arch9wavefront6targetE0EEEvT1_
	.p2align	8
	.type	_ZN7rocprim17ROCPRIM_400000_NS6detail17trampoline_kernelINS0_14default_configENS1_27scan_by_key_config_selectorIifEEZZNS1_16scan_by_key_implILNS1_25lookback_scan_determinismE0ELb1ES3_N6thrust23THRUST_200600_302600_NS6detail15normal_iteratorINS9_10device_ptrIiEEEENSB_INSC_IjEEEENSB_INSC_IfEEEEfNS9_4plusIvEENS9_8equal_toIvEEfEE10hipError_tPvRmT2_T3_T4_T5_mT6_T7_P12ihipStream_tbENKUlT_T0_E_clISt17integral_constantIbLb0EES13_EEDaSY_SZ_EUlSY_E_NS1_11comp_targetILNS1_3genE10ELNS1_11target_archE1201ELNS1_3gpuE5ELNS1_3repE0EEENS1_30default_config_static_selectorELNS0_4arch9wavefront6targetE0EEEvT1_,@function
_ZN7rocprim17ROCPRIM_400000_NS6detail17trampoline_kernelINS0_14default_configENS1_27scan_by_key_config_selectorIifEEZZNS1_16scan_by_key_implILNS1_25lookback_scan_determinismE0ELb1ES3_N6thrust23THRUST_200600_302600_NS6detail15normal_iteratorINS9_10device_ptrIiEEEENSB_INSC_IjEEEENSB_INSC_IfEEEEfNS9_4plusIvEENS9_8equal_toIvEEfEE10hipError_tPvRmT2_T3_T4_T5_mT6_T7_P12ihipStream_tbENKUlT_T0_E_clISt17integral_constantIbLb0EES13_EEDaSY_SZ_EUlSY_E_NS1_11comp_targetILNS1_3genE10ELNS1_11target_archE1201ELNS1_3gpuE5ELNS1_3repE0EEENS1_30default_config_static_selectorELNS0_4arch9wavefront6targetE0EEEvT1_: ; @_ZN7rocprim17ROCPRIM_400000_NS6detail17trampoline_kernelINS0_14default_configENS1_27scan_by_key_config_selectorIifEEZZNS1_16scan_by_key_implILNS1_25lookback_scan_determinismE0ELb1ES3_N6thrust23THRUST_200600_302600_NS6detail15normal_iteratorINS9_10device_ptrIiEEEENSB_INSC_IjEEEENSB_INSC_IfEEEEfNS9_4plusIvEENS9_8equal_toIvEEfEE10hipError_tPvRmT2_T3_T4_T5_mT6_T7_P12ihipStream_tbENKUlT_T0_E_clISt17integral_constantIbLb0EES13_EEDaSY_SZ_EUlSY_E_NS1_11comp_targetILNS1_3genE10ELNS1_11target_archE1201ELNS1_3gpuE5ELNS1_3repE0EEENS1_30default_config_static_selectorELNS0_4arch9wavefront6targetE0EEEvT1_
; %bb.0:
	.section	.rodata,"a",@progbits
	.p2align	6, 0x0
	.amdhsa_kernel _ZN7rocprim17ROCPRIM_400000_NS6detail17trampoline_kernelINS0_14default_configENS1_27scan_by_key_config_selectorIifEEZZNS1_16scan_by_key_implILNS1_25lookback_scan_determinismE0ELb1ES3_N6thrust23THRUST_200600_302600_NS6detail15normal_iteratorINS9_10device_ptrIiEEEENSB_INSC_IjEEEENSB_INSC_IfEEEEfNS9_4plusIvEENS9_8equal_toIvEEfEE10hipError_tPvRmT2_T3_T4_T5_mT6_T7_P12ihipStream_tbENKUlT_T0_E_clISt17integral_constantIbLb0EES13_EEDaSY_SZ_EUlSY_E_NS1_11comp_targetILNS1_3genE10ELNS1_11target_archE1201ELNS1_3gpuE5ELNS1_3repE0EEENS1_30default_config_static_selectorELNS0_4arch9wavefront6targetE0EEEvT1_
		.amdhsa_group_segment_fixed_size 0
		.amdhsa_private_segment_fixed_size 0
		.amdhsa_kernarg_size 112
		.amdhsa_user_sgpr_count 6
		.amdhsa_user_sgpr_private_segment_buffer 1
		.amdhsa_user_sgpr_dispatch_ptr 0
		.amdhsa_user_sgpr_queue_ptr 0
		.amdhsa_user_sgpr_kernarg_segment_ptr 1
		.amdhsa_user_sgpr_dispatch_id 0
		.amdhsa_user_sgpr_flat_scratch_init 0
		.amdhsa_user_sgpr_private_segment_size 0
		.amdhsa_wavefront_size32 1
		.amdhsa_uses_dynamic_stack 0
		.amdhsa_system_sgpr_private_segment_wavefront_offset 0
		.amdhsa_system_sgpr_workgroup_id_x 1
		.amdhsa_system_sgpr_workgroup_id_y 0
		.amdhsa_system_sgpr_workgroup_id_z 0
		.amdhsa_system_sgpr_workgroup_info 0
		.amdhsa_system_vgpr_workitem_id 0
		.amdhsa_next_free_vgpr 1
		.amdhsa_next_free_sgpr 1
		.amdhsa_reserve_vcc 0
		.amdhsa_reserve_flat_scratch 0
		.amdhsa_float_round_mode_32 0
		.amdhsa_float_round_mode_16_64 0
		.amdhsa_float_denorm_mode_32 3
		.amdhsa_float_denorm_mode_16_64 3
		.amdhsa_dx10_clamp 1
		.amdhsa_ieee_mode 1
		.amdhsa_fp16_overflow 0
		.amdhsa_workgroup_processor_mode 1
		.amdhsa_memory_ordered 1
		.amdhsa_forward_progress 1
		.amdhsa_shared_vgpr_count 0
		.amdhsa_exception_fp_ieee_invalid_op 0
		.amdhsa_exception_fp_denorm_src 0
		.amdhsa_exception_fp_ieee_div_zero 0
		.amdhsa_exception_fp_ieee_overflow 0
		.amdhsa_exception_fp_ieee_underflow 0
		.amdhsa_exception_fp_ieee_inexact 0
		.amdhsa_exception_int_div_zero 0
	.end_amdhsa_kernel
	.section	.text._ZN7rocprim17ROCPRIM_400000_NS6detail17trampoline_kernelINS0_14default_configENS1_27scan_by_key_config_selectorIifEEZZNS1_16scan_by_key_implILNS1_25lookback_scan_determinismE0ELb1ES3_N6thrust23THRUST_200600_302600_NS6detail15normal_iteratorINS9_10device_ptrIiEEEENSB_INSC_IjEEEENSB_INSC_IfEEEEfNS9_4plusIvEENS9_8equal_toIvEEfEE10hipError_tPvRmT2_T3_T4_T5_mT6_T7_P12ihipStream_tbENKUlT_T0_E_clISt17integral_constantIbLb0EES13_EEDaSY_SZ_EUlSY_E_NS1_11comp_targetILNS1_3genE10ELNS1_11target_archE1201ELNS1_3gpuE5ELNS1_3repE0EEENS1_30default_config_static_selectorELNS0_4arch9wavefront6targetE0EEEvT1_,"axG",@progbits,_ZN7rocprim17ROCPRIM_400000_NS6detail17trampoline_kernelINS0_14default_configENS1_27scan_by_key_config_selectorIifEEZZNS1_16scan_by_key_implILNS1_25lookback_scan_determinismE0ELb1ES3_N6thrust23THRUST_200600_302600_NS6detail15normal_iteratorINS9_10device_ptrIiEEEENSB_INSC_IjEEEENSB_INSC_IfEEEEfNS9_4plusIvEENS9_8equal_toIvEEfEE10hipError_tPvRmT2_T3_T4_T5_mT6_T7_P12ihipStream_tbENKUlT_T0_E_clISt17integral_constantIbLb0EES13_EEDaSY_SZ_EUlSY_E_NS1_11comp_targetILNS1_3genE10ELNS1_11target_archE1201ELNS1_3gpuE5ELNS1_3repE0EEENS1_30default_config_static_selectorELNS0_4arch9wavefront6targetE0EEEvT1_,comdat
.Lfunc_end1681:
	.size	_ZN7rocprim17ROCPRIM_400000_NS6detail17trampoline_kernelINS0_14default_configENS1_27scan_by_key_config_selectorIifEEZZNS1_16scan_by_key_implILNS1_25lookback_scan_determinismE0ELb1ES3_N6thrust23THRUST_200600_302600_NS6detail15normal_iteratorINS9_10device_ptrIiEEEENSB_INSC_IjEEEENSB_INSC_IfEEEEfNS9_4plusIvEENS9_8equal_toIvEEfEE10hipError_tPvRmT2_T3_T4_T5_mT6_T7_P12ihipStream_tbENKUlT_T0_E_clISt17integral_constantIbLb0EES13_EEDaSY_SZ_EUlSY_E_NS1_11comp_targetILNS1_3genE10ELNS1_11target_archE1201ELNS1_3gpuE5ELNS1_3repE0EEENS1_30default_config_static_selectorELNS0_4arch9wavefront6targetE0EEEvT1_, .Lfunc_end1681-_ZN7rocprim17ROCPRIM_400000_NS6detail17trampoline_kernelINS0_14default_configENS1_27scan_by_key_config_selectorIifEEZZNS1_16scan_by_key_implILNS1_25lookback_scan_determinismE0ELb1ES3_N6thrust23THRUST_200600_302600_NS6detail15normal_iteratorINS9_10device_ptrIiEEEENSB_INSC_IjEEEENSB_INSC_IfEEEEfNS9_4plusIvEENS9_8equal_toIvEEfEE10hipError_tPvRmT2_T3_T4_T5_mT6_T7_P12ihipStream_tbENKUlT_T0_E_clISt17integral_constantIbLb0EES13_EEDaSY_SZ_EUlSY_E_NS1_11comp_targetILNS1_3genE10ELNS1_11target_archE1201ELNS1_3gpuE5ELNS1_3repE0EEENS1_30default_config_static_selectorELNS0_4arch9wavefront6targetE0EEEvT1_
                                        ; -- End function
	.set _ZN7rocprim17ROCPRIM_400000_NS6detail17trampoline_kernelINS0_14default_configENS1_27scan_by_key_config_selectorIifEEZZNS1_16scan_by_key_implILNS1_25lookback_scan_determinismE0ELb1ES3_N6thrust23THRUST_200600_302600_NS6detail15normal_iteratorINS9_10device_ptrIiEEEENSB_INSC_IjEEEENSB_INSC_IfEEEEfNS9_4plusIvEENS9_8equal_toIvEEfEE10hipError_tPvRmT2_T3_T4_T5_mT6_T7_P12ihipStream_tbENKUlT_T0_E_clISt17integral_constantIbLb0EES13_EEDaSY_SZ_EUlSY_E_NS1_11comp_targetILNS1_3genE10ELNS1_11target_archE1201ELNS1_3gpuE5ELNS1_3repE0EEENS1_30default_config_static_selectorELNS0_4arch9wavefront6targetE0EEEvT1_.num_vgpr, 0
	.set _ZN7rocprim17ROCPRIM_400000_NS6detail17trampoline_kernelINS0_14default_configENS1_27scan_by_key_config_selectorIifEEZZNS1_16scan_by_key_implILNS1_25lookback_scan_determinismE0ELb1ES3_N6thrust23THRUST_200600_302600_NS6detail15normal_iteratorINS9_10device_ptrIiEEEENSB_INSC_IjEEEENSB_INSC_IfEEEEfNS9_4plusIvEENS9_8equal_toIvEEfEE10hipError_tPvRmT2_T3_T4_T5_mT6_T7_P12ihipStream_tbENKUlT_T0_E_clISt17integral_constantIbLb0EES13_EEDaSY_SZ_EUlSY_E_NS1_11comp_targetILNS1_3genE10ELNS1_11target_archE1201ELNS1_3gpuE5ELNS1_3repE0EEENS1_30default_config_static_selectorELNS0_4arch9wavefront6targetE0EEEvT1_.num_agpr, 0
	.set _ZN7rocprim17ROCPRIM_400000_NS6detail17trampoline_kernelINS0_14default_configENS1_27scan_by_key_config_selectorIifEEZZNS1_16scan_by_key_implILNS1_25lookback_scan_determinismE0ELb1ES3_N6thrust23THRUST_200600_302600_NS6detail15normal_iteratorINS9_10device_ptrIiEEEENSB_INSC_IjEEEENSB_INSC_IfEEEEfNS9_4plusIvEENS9_8equal_toIvEEfEE10hipError_tPvRmT2_T3_T4_T5_mT6_T7_P12ihipStream_tbENKUlT_T0_E_clISt17integral_constantIbLb0EES13_EEDaSY_SZ_EUlSY_E_NS1_11comp_targetILNS1_3genE10ELNS1_11target_archE1201ELNS1_3gpuE5ELNS1_3repE0EEENS1_30default_config_static_selectorELNS0_4arch9wavefront6targetE0EEEvT1_.numbered_sgpr, 0
	.set _ZN7rocprim17ROCPRIM_400000_NS6detail17trampoline_kernelINS0_14default_configENS1_27scan_by_key_config_selectorIifEEZZNS1_16scan_by_key_implILNS1_25lookback_scan_determinismE0ELb1ES3_N6thrust23THRUST_200600_302600_NS6detail15normal_iteratorINS9_10device_ptrIiEEEENSB_INSC_IjEEEENSB_INSC_IfEEEEfNS9_4plusIvEENS9_8equal_toIvEEfEE10hipError_tPvRmT2_T3_T4_T5_mT6_T7_P12ihipStream_tbENKUlT_T0_E_clISt17integral_constantIbLb0EES13_EEDaSY_SZ_EUlSY_E_NS1_11comp_targetILNS1_3genE10ELNS1_11target_archE1201ELNS1_3gpuE5ELNS1_3repE0EEENS1_30default_config_static_selectorELNS0_4arch9wavefront6targetE0EEEvT1_.num_named_barrier, 0
	.set _ZN7rocprim17ROCPRIM_400000_NS6detail17trampoline_kernelINS0_14default_configENS1_27scan_by_key_config_selectorIifEEZZNS1_16scan_by_key_implILNS1_25lookback_scan_determinismE0ELb1ES3_N6thrust23THRUST_200600_302600_NS6detail15normal_iteratorINS9_10device_ptrIiEEEENSB_INSC_IjEEEENSB_INSC_IfEEEEfNS9_4plusIvEENS9_8equal_toIvEEfEE10hipError_tPvRmT2_T3_T4_T5_mT6_T7_P12ihipStream_tbENKUlT_T0_E_clISt17integral_constantIbLb0EES13_EEDaSY_SZ_EUlSY_E_NS1_11comp_targetILNS1_3genE10ELNS1_11target_archE1201ELNS1_3gpuE5ELNS1_3repE0EEENS1_30default_config_static_selectorELNS0_4arch9wavefront6targetE0EEEvT1_.private_seg_size, 0
	.set _ZN7rocprim17ROCPRIM_400000_NS6detail17trampoline_kernelINS0_14default_configENS1_27scan_by_key_config_selectorIifEEZZNS1_16scan_by_key_implILNS1_25lookback_scan_determinismE0ELb1ES3_N6thrust23THRUST_200600_302600_NS6detail15normal_iteratorINS9_10device_ptrIiEEEENSB_INSC_IjEEEENSB_INSC_IfEEEEfNS9_4plusIvEENS9_8equal_toIvEEfEE10hipError_tPvRmT2_T3_T4_T5_mT6_T7_P12ihipStream_tbENKUlT_T0_E_clISt17integral_constantIbLb0EES13_EEDaSY_SZ_EUlSY_E_NS1_11comp_targetILNS1_3genE10ELNS1_11target_archE1201ELNS1_3gpuE5ELNS1_3repE0EEENS1_30default_config_static_selectorELNS0_4arch9wavefront6targetE0EEEvT1_.uses_vcc, 0
	.set _ZN7rocprim17ROCPRIM_400000_NS6detail17trampoline_kernelINS0_14default_configENS1_27scan_by_key_config_selectorIifEEZZNS1_16scan_by_key_implILNS1_25lookback_scan_determinismE0ELb1ES3_N6thrust23THRUST_200600_302600_NS6detail15normal_iteratorINS9_10device_ptrIiEEEENSB_INSC_IjEEEENSB_INSC_IfEEEEfNS9_4plusIvEENS9_8equal_toIvEEfEE10hipError_tPvRmT2_T3_T4_T5_mT6_T7_P12ihipStream_tbENKUlT_T0_E_clISt17integral_constantIbLb0EES13_EEDaSY_SZ_EUlSY_E_NS1_11comp_targetILNS1_3genE10ELNS1_11target_archE1201ELNS1_3gpuE5ELNS1_3repE0EEENS1_30default_config_static_selectorELNS0_4arch9wavefront6targetE0EEEvT1_.uses_flat_scratch, 0
	.set _ZN7rocprim17ROCPRIM_400000_NS6detail17trampoline_kernelINS0_14default_configENS1_27scan_by_key_config_selectorIifEEZZNS1_16scan_by_key_implILNS1_25lookback_scan_determinismE0ELb1ES3_N6thrust23THRUST_200600_302600_NS6detail15normal_iteratorINS9_10device_ptrIiEEEENSB_INSC_IjEEEENSB_INSC_IfEEEEfNS9_4plusIvEENS9_8equal_toIvEEfEE10hipError_tPvRmT2_T3_T4_T5_mT6_T7_P12ihipStream_tbENKUlT_T0_E_clISt17integral_constantIbLb0EES13_EEDaSY_SZ_EUlSY_E_NS1_11comp_targetILNS1_3genE10ELNS1_11target_archE1201ELNS1_3gpuE5ELNS1_3repE0EEENS1_30default_config_static_selectorELNS0_4arch9wavefront6targetE0EEEvT1_.has_dyn_sized_stack, 0
	.set _ZN7rocprim17ROCPRIM_400000_NS6detail17trampoline_kernelINS0_14default_configENS1_27scan_by_key_config_selectorIifEEZZNS1_16scan_by_key_implILNS1_25lookback_scan_determinismE0ELb1ES3_N6thrust23THRUST_200600_302600_NS6detail15normal_iteratorINS9_10device_ptrIiEEEENSB_INSC_IjEEEENSB_INSC_IfEEEEfNS9_4plusIvEENS9_8equal_toIvEEfEE10hipError_tPvRmT2_T3_T4_T5_mT6_T7_P12ihipStream_tbENKUlT_T0_E_clISt17integral_constantIbLb0EES13_EEDaSY_SZ_EUlSY_E_NS1_11comp_targetILNS1_3genE10ELNS1_11target_archE1201ELNS1_3gpuE5ELNS1_3repE0EEENS1_30default_config_static_selectorELNS0_4arch9wavefront6targetE0EEEvT1_.has_recursion, 0
	.set _ZN7rocprim17ROCPRIM_400000_NS6detail17trampoline_kernelINS0_14default_configENS1_27scan_by_key_config_selectorIifEEZZNS1_16scan_by_key_implILNS1_25lookback_scan_determinismE0ELb1ES3_N6thrust23THRUST_200600_302600_NS6detail15normal_iteratorINS9_10device_ptrIiEEEENSB_INSC_IjEEEENSB_INSC_IfEEEEfNS9_4plusIvEENS9_8equal_toIvEEfEE10hipError_tPvRmT2_T3_T4_T5_mT6_T7_P12ihipStream_tbENKUlT_T0_E_clISt17integral_constantIbLb0EES13_EEDaSY_SZ_EUlSY_E_NS1_11comp_targetILNS1_3genE10ELNS1_11target_archE1201ELNS1_3gpuE5ELNS1_3repE0EEENS1_30default_config_static_selectorELNS0_4arch9wavefront6targetE0EEEvT1_.has_indirect_call, 0
	.section	.AMDGPU.csdata,"",@progbits
; Kernel info:
; codeLenInByte = 0
; TotalNumSgprs: 0
; NumVgprs: 0
; ScratchSize: 0
; MemoryBound: 0
; FloatMode: 240
; IeeeMode: 1
; LDSByteSize: 0 bytes/workgroup (compile time only)
; SGPRBlocks: 0
; VGPRBlocks: 0
; NumSGPRsForWavesPerEU: 1
; NumVGPRsForWavesPerEU: 1
; Occupancy: 16
; WaveLimiterHint : 0
; COMPUTE_PGM_RSRC2:SCRATCH_EN: 0
; COMPUTE_PGM_RSRC2:USER_SGPR: 6
; COMPUTE_PGM_RSRC2:TRAP_HANDLER: 0
; COMPUTE_PGM_RSRC2:TGID_X_EN: 1
; COMPUTE_PGM_RSRC2:TGID_Y_EN: 0
; COMPUTE_PGM_RSRC2:TGID_Z_EN: 0
; COMPUTE_PGM_RSRC2:TIDIG_COMP_CNT: 0
	.section	.text._ZN7rocprim17ROCPRIM_400000_NS6detail17trampoline_kernelINS0_14default_configENS1_27scan_by_key_config_selectorIifEEZZNS1_16scan_by_key_implILNS1_25lookback_scan_determinismE0ELb1ES3_N6thrust23THRUST_200600_302600_NS6detail15normal_iteratorINS9_10device_ptrIiEEEENSB_INSC_IjEEEENSB_INSC_IfEEEEfNS9_4plusIvEENS9_8equal_toIvEEfEE10hipError_tPvRmT2_T3_T4_T5_mT6_T7_P12ihipStream_tbENKUlT_T0_E_clISt17integral_constantIbLb0EES13_EEDaSY_SZ_EUlSY_E_NS1_11comp_targetILNS1_3genE5ELNS1_11target_archE942ELNS1_3gpuE9ELNS1_3repE0EEENS1_30default_config_static_selectorELNS0_4arch9wavefront6targetE0EEEvT1_,"axG",@progbits,_ZN7rocprim17ROCPRIM_400000_NS6detail17trampoline_kernelINS0_14default_configENS1_27scan_by_key_config_selectorIifEEZZNS1_16scan_by_key_implILNS1_25lookback_scan_determinismE0ELb1ES3_N6thrust23THRUST_200600_302600_NS6detail15normal_iteratorINS9_10device_ptrIiEEEENSB_INSC_IjEEEENSB_INSC_IfEEEEfNS9_4plusIvEENS9_8equal_toIvEEfEE10hipError_tPvRmT2_T3_T4_T5_mT6_T7_P12ihipStream_tbENKUlT_T0_E_clISt17integral_constantIbLb0EES13_EEDaSY_SZ_EUlSY_E_NS1_11comp_targetILNS1_3genE5ELNS1_11target_archE942ELNS1_3gpuE9ELNS1_3repE0EEENS1_30default_config_static_selectorELNS0_4arch9wavefront6targetE0EEEvT1_,comdat
	.protected	_ZN7rocprim17ROCPRIM_400000_NS6detail17trampoline_kernelINS0_14default_configENS1_27scan_by_key_config_selectorIifEEZZNS1_16scan_by_key_implILNS1_25lookback_scan_determinismE0ELb1ES3_N6thrust23THRUST_200600_302600_NS6detail15normal_iteratorINS9_10device_ptrIiEEEENSB_INSC_IjEEEENSB_INSC_IfEEEEfNS9_4plusIvEENS9_8equal_toIvEEfEE10hipError_tPvRmT2_T3_T4_T5_mT6_T7_P12ihipStream_tbENKUlT_T0_E_clISt17integral_constantIbLb0EES13_EEDaSY_SZ_EUlSY_E_NS1_11comp_targetILNS1_3genE5ELNS1_11target_archE942ELNS1_3gpuE9ELNS1_3repE0EEENS1_30default_config_static_selectorELNS0_4arch9wavefront6targetE0EEEvT1_ ; -- Begin function _ZN7rocprim17ROCPRIM_400000_NS6detail17trampoline_kernelINS0_14default_configENS1_27scan_by_key_config_selectorIifEEZZNS1_16scan_by_key_implILNS1_25lookback_scan_determinismE0ELb1ES3_N6thrust23THRUST_200600_302600_NS6detail15normal_iteratorINS9_10device_ptrIiEEEENSB_INSC_IjEEEENSB_INSC_IfEEEEfNS9_4plusIvEENS9_8equal_toIvEEfEE10hipError_tPvRmT2_T3_T4_T5_mT6_T7_P12ihipStream_tbENKUlT_T0_E_clISt17integral_constantIbLb0EES13_EEDaSY_SZ_EUlSY_E_NS1_11comp_targetILNS1_3genE5ELNS1_11target_archE942ELNS1_3gpuE9ELNS1_3repE0EEENS1_30default_config_static_selectorELNS0_4arch9wavefront6targetE0EEEvT1_
	.globl	_ZN7rocprim17ROCPRIM_400000_NS6detail17trampoline_kernelINS0_14default_configENS1_27scan_by_key_config_selectorIifEEZZNS1_16scan_by_key_implILNS1_25lookback_scan_determinismE0ELb1ES3_N6thrust23THRUST_200600_302600_NS6detail15normal_iteratorINS9_10device_ptrIiEEEENSB_INSC_IjEEEENSB_INSC_IfEEEEfNS9_4plusIvEENS9_8equal_toIvEEfEE10hipError_tPvRmT2_T3_T4_T5_mT6_T7_P12ihipStream_tbENKUlT_T0_E_clISt17integral_constantIbLb0EES13_EEDaSY_SZ_EUlSY_E_NS1_11comp_targetILNS1_3genE5ELNS1_11target_archE942ELNS1_3gpuE9ELNS1_3repE0EEENS1_30default_config_static_selectorELNS0_4arch9wavefront6targetE0EEEvT1_
	.p2align	8
	.type	_ZN7rocprim17ROCPRIM_400000_NS6detail17trampoline_kernelINS0_14default_configENS1_27scan_by_key_config_selectorIifEEZZNS1_16scan_by_key_implILNS1_25lookback_scan_determinismE0ELb1ES3_N6thrust23THRUST_200600_302600_NS6detail15normal_iteratorINS9_10device_ptrIiEEEENSB_INSC_IjEEEENSB_INSC_IfEEEEfNS9_4plusIvEENS9_8equal_toIvEEfEE10hipError_tPvRmT2_T3_T4_T5_mT6_T7_P12ihipStream_tbENKUlT_T0_E_clISt17integral_constantIbLb0EES13_EEDaSY_SZ_EUlSY_E_NS1_11comp_targetILNS1_3genE5ELNS1_11target_archE942ELNS1_3gpuE9ELNS1_3repE0EEENS1_30default_config_static_selectorELNS0_4arch9wavefront6targetE0EEEvT1_,@function
_ZN7rocprim17ROCPRIM_400000_NS6detail17trampoline_kernelINS0_14default_configENS1_27scan_by_key_config_selectorIifEEZZNS1_16scan_by_key_implILNS1_25lookback_scan_determinismE0ELb1ES3_N6thrust23THRUST_200600_302600_NS6detail15normal_iteratorINS9_10device_ptrIiEEEENSB_INSC_IjEEEENSB_INSC_IfEEEEfNS9_4plusIvEENS9_8equal_toIvEEfEE10hipError_tPvRmT2_T3_T4_T5_mT6_T7_P12ihipStream_tbENKUlT_T0_E_clISt17integral_constantIbLb0EES13_EEDaSY_SZ_EUlSY_E_NS1_11comp_targetILNS1_3genE5ELNS1_11target_archE942ELNS1_3gpuE9ELNS1_3repE0EEENS1_30default_config_static_selectorELNS0_4arch9wavefront6targetE0EEEvT1_: ; @_ZN7rocprim17ROCPRIM_400000_NS6detail17trampoline_kernelINS0_14default_configENS1_27scan_by_key_config_selectorIifEEZZNS1_16scan_by_key_implILNS1_25lookback_scan_determinismE0ELb1ES3_N6thrust23THRUST_200600_302600_NS6detail15normal_iteratorINS9_10device_ptrIiEEEENSB_INSC_IjEEEENSB_INSC_IfEEEEfNS9_4plusIvEENS9_8equal_toIvEEfEE10hipError_tPvRmT2_T3_T4_T5_mT6_T7_P12ihipStream_tbENKUlT_T0_E_clISt17integral_constantIbLb0EES13_EEDaSY_SZ_EUlSY_E_NS1_11comp_targetILNS1_3genE5ELNS1_11target_archE942ELNS1_3gpuE9ELNS1_3repE0EEENS1_30default_config_static_selectorELNS0_4arch9wavefront6targetE0EEEvT1_
; %bb.0:
	.section	.rodata,"a",@progbits
	.p2align	6, 0x0
	.amdhsa_kernel _ZN7rocprim17ROCPRIM_400000_NS6detail17trampoline_kernelINS0_14default_configENS1_27scan_by_key_config_selectorIifEEZZNS1_16scan_by_key_implILNS1_25lookback_scan_determinismE0ELb1ES3_N6thrust23THRUST_200600_302600_NS6detail15normal_iteratorINS9_10device_ptrIiEEEENSB_INSC_IjEEEENSB_INSC_IfEEEEfNS9_4plusIvEENS9_8equal_toIvEEfEE10hipError_tPvRmT2_T3_T4_T5_mT6_T7_P12ihipStream_tbENKUlT_T0_E_clISt17integral_constantIbLb0EES13_EEDaSY_SZ_EUlSY_E_NS1_11comp_targetILNS1_3genE5ELNS1_11target_archE942ELNS1_3gpuE9ELNS1_3repE0EEENS1_30default_config_static_selectorELNS0_4arch9wavefront6targetE0EEEvT1_
		.amdhsa_group_segment_fixed_size 0
		.amdhsa_private_segment_fixed_size 0
		.amdhsa_kernarg_size 112
		.amdhsa_user_sgpr_count 6
		.amdhsa_user_sgpr_private_segment_buffer 1
		.amdhsa_user_sgpr_dispatch_ptr 0
		.amdhsa_user_sgpr_queue_ptr 0
		.amdhsa_user_sgpr_kernarg_segment_ptr 1
		.amdhsa_user_sgpr_dispatch_id 0
		.amdhsa_user_sgpr_flat_scratch_init 0
		.amdhsa_user_sgpr_private_segment_size 0
		.amdhsa_wavefront_size32 1
		.amdhsa_uses_dynamic_stack 0
		.amdhsa_system_sgpr_private_segment_wavefront_offset 0
		.amdhsa_system_sgpr_workgroup_id_x 1
		.amdhsa_system_sgpr_workgroup_id_y 0
		.amdhsa_system_sgpr_workgroup_id_z 0
		.amdhsa_system_sgpr_workgroup_info 0
		.amdhsa_system_vgpr_workitem_id 0
		.amdhsa_next_free_vgpr 1
		.amdhsa_next_free_sgpr 1
		.amdhsa_reserve_vcc 0
		.amdhsa_reserve_flat_scratch 0
		.amdhsa_float_round_mode_32 0
		.amdhsa_float_round_mode_16_64 0
		.amdhsa_float_denorm_mode_32 3
		.amdhsa_float_denorm_mode_16_64 3
		.amdhsa_dx10_clamp 1
		.amdhsa_ieee_mode 1
		.amdhsa_fp16_overflow 0
		.amdhsa_workgroup_processor_mode 1
		.amdhsa_memory_ordered 1
		.amdhsa_forward_progress 1
		.amdhsa_shared_vgpr_count 0
		.amdhsa_exception_fp_ieee_invalid_op 0
		.amdhsa_exception_fp_denorm_src 0
		.amdhsa_exception_fp_ieee_div_zero 0
		.amdhsa_exception_fp_ieee_overflow 0
		.amdhsa_exception_fp_ieee_underflow 0
		.amdhsa_exception_fp_ieee_inexact 0
		.amdhsa_exception_int_div_zero 0
	.end_amdhsa_kernel
	.section	.text._ZN7rocprim17ROCPRIM_400000_NS6detail17trampoline_kernelINS0_14default_configENS1_27scan_by_key_config_selectorIifEEZZNS1_16scan_by_key_implILNS1_25lookback_scan_determinismE0ELb1ES3_N6thrust23THRUST_200600_302600_NS6detail15normal_iteratorINS9_10device_ptrIiEEEENSB_INSC_IjEEEENSB_INSC_IfEEEEfNS9_4plusIvEENS9_8equal_toIvEEfEE10hipError_tPvRmT2_T3_T4_T5_mT6_T7_P12ihipStream_tbENKUlT_T0_E_clISt17integral_constantIbLb0EES13_EEDaSY_SZ_EUlSY_E_NS1_11comp_targetILNS1_3genE5ELNS1_11target_archE942ELNS1_3gpuE9ELNS1_3repE0EEENS1_30default_config_static_selectorELNS0_4arch9wavefront6targetE0EEEvT1_,"axG",@progbits,_ZN7rocprim17ROCPRIM_400000_NS6detail17trampoline_kernelINS0_14default_configENS1_27scan_by_key_config_selectorIifEEZZNS1_16scan_by_key_implILNS1_25lookback_scan_determinismE0ELb1ES3_N6thrust23THRUST_200600_302600_NS6detail15normal_iteratorINS9_10device_ptrIiEEEENSB_INSC_IjEEEENSB_INSC_IfEEEEfNS9_4plusIvEENS9_8equal_toIvEEfEE10hipError_tPvRmT2_T3_T4_T5_mT6_T7_P12ihipStream_tbENKUlT_T0_E_clISt17integral_constantIbLb0EES13_EEDaSY_SZ_EUlSY_E_NS1_11comp_targetILNS1_3genE5ELNS1_11target_archE942ELNS1_3gpuE9ELNS1_3repE0EEENS1_30default_config_static_selectorELNS0_4arch9wavefront6targetE0EEEvT1_,comdat
.Lfunc_end1682:
	.size	_ZN7rocprim17ROCPRIM_400000_NS6detail17trampoline_kernelINS0_14default_configENS1_27scan_by_key_config_selectorIifEEZZNS1_16scan_by_key_implILNS1_25lookback_scan_determinismE0ELb1ES3_N6thrust23THRUST_200600_302600_NS6detail15normal_iteratorINS9_10device_ptrIiEEEENSB_INSC_IjEEEENSB_INSC_IfEEEEfNS9_4plusIvEENS9_8equal_toIvEEfEE10hipError_tPvRmT2_T3_T4_T5_mT6_T7_P12ihipStream_tbENKUlT_T0_E_clISt17integral_constantIbLb0EES13_EEDaSY_SZ_EUlSY_E_NS1_11comp_targetILNS1_3genE5ELNS1_11target_archE942ELNS1_3gpuE9ELNS1_3repE0EEENS1_30default_config_static_selectorELNS0_4arch9wavefront6targetE0EEEvT1_, .Lfunc_end1682-_ZN7rocprim17ROCPRIM_400000_NS6detail17trampoline_kernelINS0_14default_configENS1_27scan_by_key_config_selectorIifEEZZNS1_16scan_by_key_implILNS1_25lookback_scan_determinismE0ELb1ES3_N6thrust23THRUST_200600_302600_NS6detail15normal_iteratorINS9_10device_ptrIiEEEENSB_INSC_IjEEEENSB_INSC_IfEEEEfNS9_4plusIvEENS9_8equal_toIvEEfEE10hipError_tPvRmT2_T3_T4_T5_mT6_T7_P12ihipStream_tbENKUlT_T0_E_clISt17integral_constantIbLb0EES13_EEDaSY_SZ_EUlSY_E_NS1_11comp_targetILNS1_3genE5ELNS1_11target_archE942ELNS1_3gpuE9ELNS1_3repE0EEENS1_30default_config_static_selectorELNS0_4arch9wavefront6targetE0EEEvT1_
                                        ; -- End function
	.set _ZN7rocprim17ROCPRIM_400000_NS6detail17trampoline_kernelINS0_14default_configENS1_27scan_by_key_config_selectorIifEEZZNS1_16scan_by_key_implILNS1_25lookback_scan_determinismE0ELb1ES3_N6thrust23THRUST_200600_302600_NS6detail15normal_iteratorINS9_10device_ptrIiEEEENSB_INSC_IjEEEENSB_INSC_IfEEEEfNS9_4plusIvEENS9_8equal_toIvEEfEE10hipError_tPvRmT2_T3_T4_T5_mT6_T7_P12ihipStream_tbENKUlT_T0_E_clISt17integral_constantIbLb0EES13_EEDaSY_SZ_EUlSY_E_NS1_11comp_targetILNS1_3genE5ELNS1_11target_archE942ELNS1_3gpuE9ELNS1_3repE0EEENS1_30default_config_static_selectorELNS0_4arch9wavefront6targetE0EEEvT1_.num_vgpr, 0
	.set _ZN7rocprim17ROCPRIM_400000_NS6detail17trampoline_kernelINS0_14default_configENS1_27scan_by_key_config_selectorIifEEZZNS1_16scan_by_key_implILNS1_25lookback_scan_determinismE0ELb1ES3_N6thrust23THRUST_200600_302600_NS6detail15normal_iteratorINS9_10device_ptrIiEEEENSB_INSC_IjEEEENSB_INSC_IfEEEEfNS9_4plusIvEENS9_8equal_toIvEEfEE10hipError_tPvRmT2_T3_T4_T5_mT6_T7_P12ihipStream_tbENKUlT_T0_E_clISt17integral_constantIbLb0EES13_EEDaSY_SZ_EUlSY_E_NS1_11comp_targetILNS1_3genE5ELNS1_11target_archE942ELNS1_3gpuE9ELNS1_3repE0EEENS1_30default_config_static_selectorELNS0_4arch9wavefront6targetE0EEEvT1_.num_agpr, 0
	.set _ZN7rocprim17ROCPRIM_400000_NS6detail17trampoline_kernelINS0_14default_configENS1_27scan_by_key_config_selectorIifEEZZNS1_16scan_by_key_implILNS1_25lookback_scan_determinismE0ELb1ES3_N6thrust23THRUST_200600_302600_NS6detail15normal_iteratorINS9_10device_ptrIiEEEENSB_INSC_IjEEEENSB_INSC_IfEEEEfNS9_4plusIvEENS9_8equal_toIvEEfEE10hipError_tPvRmT2_T3_T4_T5_mT6_T7_P12ihipStream_tbENKUlT_T0_E_clISt17integral_constantIbLb0EES13_EEDaSY_SZ_EUlSY_E_NS1_11comp_targetILNS1_3genE5ELNS1_11target_archE942ELNS1_3gpuE9ELNS1_3repE0EEENS1_30default_config_static_selectorELNS0_4arch9wavefront6targetE0EEEvT1_.numbered_sgpr, 0
	.set _ZN7rocprim17ROCPRIM_400000_NS6detail17trampoline_kernelINS0_14default_configENS1_27scan_by_key_config_selectorIifEEZZNS1_16scan_by_key_implILNS1_25lookback_scan_determinismE0ELb1ES3_N6thrust23THRUST_200600_302600_NS6detail15normal_iteratorINS9_10device_ptrIiEEEENSB_INSC_IjEEEENSB_INSC_IfEEEEfNS9_4plusIvEENS9_8equal_toIvEEfEE10hipError_tPvRmT2_T3_T4_T5_mT6_T7_P12ihipStream_tbENKUlT_T0_E_clISt17integral_constantIbLb0EES13_EEDaSY_SZ_EUlSY_E_NS1_11comp_targetILNS1_3genE5ELNS1_11target_archE942ELNS1_3gpuE9ELNS1_3repE0EEENS1_30default_config_static_selectorELNS0_4arch9wavefront6targetE0EEEvT1_.num_named_barrier, 0
	.set _ZN7rocprim17ROCPRIM_400000_NS6detail17trampoline_kernelINS0_14default_configENS1_27scan_by_key_config_selectorIifEEZZNS1_16scan_by_key_implILNS1_25lookback_scan_determinismE0ELb1ES3_N6thrust23THRUST_200600_302600_NS6detail15normal_iteratorINS9_10device_ptrIiEEEENSB_INSC_IjEEEENSB_INSC_IfEEEEfNS9_4plusIvEENS9_8equal_toIvEEfEE10hipError_tPvRmT2_T3_T4_T5_mT6_T7_P12ihipStream_tbENKUlT_T0_E_clISt17integral_constantIbLb0EES13_EEDaSY_SZ_EUlSY_E_NS1_11comp_targetILNS1_3genE5ELNS1_11target_archE942ELNS1_3gpuE9ELNS1_3repE0EEENS1_30default_config_static_selectorELNS0_4arch9wavefront6targetE0EEEvT1_.private_seg_size, 0
	.set _ZN7rocprim17ROCPRIM_400000_NS6detail17trampoline_kernelINS0_14default_configENS1_27scan_by_key_config_selectorIifEEZZNS1_16scan_by_key_implILNS1_25lookback_scan_determinismE0ELb1ES3_N6thrust23THRUST_200600_302600_NS6detail15normal_iteratorINS9_10device_ptrIiEEEENSB_INSC_IjEEEENSB_INSC_IfEEEEfNS9_4plusIvEENS9_8equal_toIvEEfEE10hipError_tPvRmT2_T3_T4_T5_mT6_T7_P12ihipStream_tbENKUlT_T0_E_clISt17integral_constantIbLb0EES13_EEDaSY_SZ_EUlSY_E_NS1_11comp_targetILNS1_3genE5ELNS1_11target_archE942ELNS1_3gpuE9ELNS1_3repE0EEENS1_30default_config_static_selectorELNS0_4arch9wavefront6targetE0EEEvT1_.uses_vcc, 0
	.set _ZN7rocprim17ROCPRIM_400000_NS6detail17trampoline_kernelINS0_14default_configENS1_27scan_by_key_config_selectorIifEEZZNS1_16scan_by_key_implILNS1_25lookback_scan_determinismE0ELb1ES3_N6thrust23THRUST_200600_302600_NS6detail15normal_iteratorINS9_10device_ptrIiEEEENSB_INSC_IjEEEENSB_INSC_IfEEEEfNS9_4plusIvEENS9_8equal_toIvEEfEE10hipError_tPvRmT2_T3_T4_T5_mT6_T7_P12ihipStream_tbENKUlT_T0_E_clISt17integral_constantIbLb0EES13_EEDaSY_SZ_EUlSY_E_NS1_11comp_targetILNS1_3genE5ELNS1_11target_archE942ELNS1_3gpuE9ELNS1_3repE0EEENS1_30default_config_static_selectorELNS0_4arch9wavefront6targetE0EEEvT1_.uses_flat_scratch, 0
	.set _ZN7rocprim17ROCPRIM_400000_NS6detail17trampoline_kernelINS0_14default_configENS1_27scan_by_key_config_selectorIifEEZZNS1_16scan_by_key_implILNS1_25lookback_scan_determinismE0ELb1ES3_N6thrust23THRUST_200600_302600_NS6detail15normal_iteratorINS9_10device_ptrIiEEEENSB_INSC_IjEEEENSB_INSC_IfEEEEfNS9_4plusIvEENS9_8equal_toIvEEfEE10hipError_tPvRmT2_T3_T4_T5_mT6_T7_P12ihipStream_tbENKUlT_T0_E_clISt17integral_constantIbLb0EES13_EEDaSY_SZ_EUlSY_E_NS1_11comp_targetILNS1_3genE5ELNS1_11target_archE942ELNS1_3gpuE9ELNS1_3repE0EEENS1_30default_config_static_selectorELNS0_4arch9wavefront6targetE0EEEvT1_.has_dyn_sized_stack, 0
	.set _ZN7rocprim17ROCPRIM_400000_NS6detail17trampoline_kernelINS0_14default_configENS1_27scan_by_key_config_selectorIifEEZZNS1_16scan_by_key_implILNS1_25lookback_scan_determinismE0ELb1ES3_N6thrust23THRUST_200600_302600_NS6detail15normal_iteratorINS9_10device_ptrIiEEEENSB_INSC_IjEEEENSB_INSC_IfEEEEfNS9_4plusIvEENS9_8equal_toIvEEfEE10hipError_tPvRmT2_T3_T4_T5_mT6_T7_P12ihipStream_tbENKUlT_T0_E_clISt17integral_constantIbLb0EES13_EEDaSY_SZ_EUlSY_E_NS1_11comp_targetILNS1_3genE5ELNS1_11target_archE942ELNS1_3gpuE9ELNS1_3repE0EEENS1_30default_config_static_selectorELNS0_4arch9wavefront6targetE0EEEvT1_.has_recursion, 0
	.set _ZN7rocprim17ROCPRIM_400000_NS6detail17trampoline_kernelINS0_14default_configENS1_27scan_by_key_config_selectorIifEEZZNS1_16scan_by_key_implILNS1_25lookback_scan_determinismE0ELb1ES3_N6thrust23THRUST_200600_302600_NS6detail15normal_iteratorINS9_10device_ptrIiEEEENSB_INSC_IjEEEENSB_INSC_IfEEEEfNS9_4plusIvEENS9_8equal_toIvEEfEE10hipError_tPvRmT2_T3_T4_T5_mT6_T7_P12ihipStream_tbENKUlT_T0_E_clISt17integral_constantIbLb0EES13_EEDaSY_SZ_EUlSY_E_NS1_11comp_targetILNS1_3genE5ELNS1_11target_archE942ELNS1_3gpuE9ELNS1_3repE0EEENS1_30default_config_static_selectorELNS0_4arch9wavefront6targetE0EEEvT1_.has_indirect_call, 0
	.section	.AMDGPU.csdata,"",@progbits
; Kernel info:
; codeLenInByte = 0
; TotalNumSgprs: 0
; NumVgprs: 0
; ScratchSize: 0
; MemoryBound: 0
; FloatMode: 240
; IeeeMode: 1
; LDSByteSize: 0 bytes/workgroup (compile time only)
; SGPRBlocks: 0
; VGPRBlocks: 0
; NumSGPRsForWavesPerEU: 1
; NumVGPRsForWavesPerEU: 1
; Occupancy: 16
; WaveLimiterHint : 0
; COMPUTE_PGM_RSRC2:SCRATCH_EN: 0
; COMPUTE_PGM_RSRC2:USER_SGPR: 6
; COMPUTE_PGM_RSRC2:TRAP_HANDLER: 0
; COMPUTE_PGM_RSRC2:TGID_X_EN: 1
; COMPUTE_PGM_RSRC2:TGID_Y_EN: 0
; COMPUTE_PGM_RSRC2:TGID_Z_EN: 0
; COMPUTE_PGM_RSRC2:TIDIG_COMP_CNT: 0
	.section	.text._ZN7rocprim17ROCPRIM_400000_NS6detail17trampoline_kernelINS0_14default_configENS1_27scan_by_key_config_selectorIifEEZZNS1_16scan_by_key_implILNS1_25lookback_scan_determinismE0ELb1ES3_N6thrust23THRUST_200600_302600_NS6detail15normal_iteratorINS9_10device_ptrIiEEEENSB_INSC_IjEEEENSB_INSC_IfEEEEfNS9_4plusIvEENS9_8equal_toIvEEfEE10hipError_tPvRmT2_T3_T4_T5_mT6_T7_P12ihipStream_tbENKUlT_T0_E_clISt17integral_constantIbLb0EES13_EEDaSY_SZ_EUlSY_E_NS1_11comp_targetILNS1_3genE4ELNS1_11target_archE910ELNS1_3gpuE8ELNS1_3repE0EEENS1_30default_config_static_selectorELNS0_4arch9wavefront6targetE0EEEvT1_,"axG",@progbits,_ZN7rocprim17ROCPRIM_400000_NS6detail17trampoline_kernelINS0_14default_configENS1_27scan_by_key_config_selectorIifEEZZNS1_16scan_by_key_implILNS1_25lookback_scan_determinismE0ELb1ES3_N6thrust23THRUST_200600_302600_NS6detail15normal_iteratorINS9_10device_ptrIiEEEENSB_INSC_IjEEEENSB_INSC_IfEEEEfNS9_4plusIvEENS9_8equal_toIvEEfEE10hipError_tPvRmT2_T3_T4_T5_mT6_T7_P12ihipStream_tbENKUlT_T0_E_clISt17integral_constantIbLb0EES13_EEDaSY_SZ_EUlSY_E_NS1_11comp_targetILNS1_3genE4ELNS1_11target_archE910ELNS1_3gpuE8ELNS1_3repE0EEENS1_30default_config_static_selectorELNS0_4arch9wavefront6targetE0EEEvT1_,comdat
	.protected	_ZN7rocprim17ROCPRIM_400000_NS6detail17trampoline_kernelINS0_14default_configENS1_27scan_by_key_config_selectorIifEEZZNS1_16scan_by_key_implILNS1_25lookback_scan_determinismE0ELb1ES3_N6thrust23THRUST_200600_302600_NS6detail15normal_iteratorINS9_10device_ptrIiEEEENSB_INSC_IjEEEENSB_INSC_IfEEEEfNS9_4plusIvEENS9_8equal_toIvEEfEE10hipError_tPvRmT2_T3_T4_T5_mT6_T7_P12ihipStream_tbENKUlT_T0_E_clISt17integral_constantIbLb0EES13_EEDaSY_SZ_EUlSY_E_NS1_11comp_targetILNS1_3genE4ELNS1_11target_archE910ELNS1_3gpuE8ELNS1_3repE0EEENS1_30default_config_static_selectorELNS0_4arch9wavefront6targetE0EEEvT1_ ; -- Begin function _ZN7rocprim17ROCPRIM_400000_NS6detail17trampoline_kernelINS0_14default_configENS1_27scan_by_key_config_selectorIifEEZZNS1_16scan_by_key_implILNS1_25lookback_scan_determinismE0ELb1ES3_N6thrust23THRUST_200600_302600_NS6detail15normal_iteratorINS9_10device_ptrIiEEEENSB_INSC_IjEEEENSB_INSC_IfEEEEfNS9_4plusIvEENS9_8equal_toIvEEfEE10hipError_tPvRmT2_T3_T4_T5_mT6_T7_P12ihipStream_tbENKUlT_T0_E_clISt17integral_constantIbLb0EES13_EEDaSY_SZ_EUlSY_E_NS1_11comp_targetILNS1_3genE4ELNS1_11target_archE910ELNS1_3gpuE8ELNS1_3repE0EEENS1_30default_config_static_selectorELNS0_4arch9wavefront6targetE0EEEvT1_
	.globl	_ZN7rocprim17ROCPRIM_400000_NS6detail17trampoline_kernelINS0_14default_configENS1_27scan_by_key_config_selectorIifEEZZNS1_16scan_by_key_implILNS1_25lookback_scan_determinismE0ELb1ES3_N6thrust23THRUST_200600_302600_NS6detail15normal_iteratorINS9_10device_ptrIiEEEENSB_INSC_IjEEEENSB_INSC_IfEEEEfNS9_4plusIvEENS9_8equal_toIvEEfEE10hipError_tPvRmT2_T3_T4_T5_mT6_T7_P12ihipStream_tbENKUlT_T0_E_clISt17integral_constantIbLb0EES13_EEDaSY_SZ_EUlSY_E_NS1_11comp_targetILNS1_3genE4ELNS1_11target_archE910ELNS1_3gpuE8ELNS1_3repE0EEENS1_30default_config_static_selectorELNS0_4arch9wavefront6targetE0EEEvT1_
	.p2align	8
	.type	_ZN7rocprim17ROCPRIM_400000_NS6detail17trampoline_kernelINS0_14default_configENS1_27scan_by_key_config_selectorIifEEZZNS1_16scan_by_key_implILNS1_25lookback_scan_determinismE0ELb1ES3_N6thrust23THRUST_200600_302600_NS6detail15normal_iteratorINS9_10device_ptrIiEEEENSB_INSC_IjEEEENSB_INSC_IfEEEEfNS9_4plusIvEENS9_8equal_toIvEEfEE10hipError_tPvRmT2_T3_T4_T5_mT6_T7_P12ihipStream_tbENKUlT_T0_E_clISt17integral_constantIbLb0EES13_EEDaSY_SZ_EUlSY_E_NS1_11comp_targetILNS1_3genE4ELNS1_11target_archE910ELNS1_3gpuE8ELNS1_3repE0EEENS1_30default_config_static_selectorELNS0_4arch9wavefront6targetE0EEEvT1_,@function
_ZN7rocprim17ROCPRIM_400000_NS6detail17trampoline_kernelINS0_14default_configENS1_27scan_by_key_config_selectorIifEEZZNS1_16scan_by_key_implILNS1_25lookback_scan_determinismE0ELb1ES3_N6thrust23THRUST_200600_302600_NS6detail15normal_iteratorINS9_10device_ptrIiEEEENSB_INSC_IjEEEENSB_INSC_IfEEEEfNS9_4plusIvEENS9_8equal_toIvEEfEE10hipError_tPvRmT2_T3_T4_T5_mT6_T7_P12ihipStream_tbENKUlT_T0_E_clISt17integral_constantIbLb0EES13_EEDaSY_SZ_EUlSY_E_NS1_11comp_targetILNS1_3genE4ELNS1_11target_archE910ELNS1_3gpuE8ELNS1_3repE0EEENS1_30default_config_static_selectorELNS0_4arch9wavefront6targetE0EEEvT1_: ; @_ZN7rocprim17ROCPRIM_400000_NS6detail17trampoline_kernelINS0_14default_configENS1_27scan_by_key_config_selectorIifEEZZNS1_16scan_by_key_implILNS1_25lookback_scan_determinismE0ELb1ES3_N6thrust23THRUST_200600_302600_NS6detail15normal_iteratorINS9_10device_ptrIiEEEENSB_INSC_IjEEEENSB_INSC_IfEEEEfNS9_4plusIvEENS9_8equal_toIvEEfEE10hipError_tPvRmT2_T3_T4_T5_mT6_T7_P12ihipStream_tbENKUlT_T0_E_clISt17integral_constantIbLb0EES13_EEDaSY_SZ_EUlSY_E_NS1_11comp_targetILNS1_3genE4ELNS1_11target_archE910ELNS1_3gpuE8ELNS1_3repE0EEENS1_30default_config_static_selectorELNS0_4arch9wavefront6targetE0EEEvT1_
; %bb.0:
	.section	.rodata,"a",@progbits
	.p2align	6, 0x0
	.amdhsa_kernel _ZN7rocprim17ROCPRIM_400000_NS6detail17trampoline_kernelINS0_14default_configENS1_27scan_by_key_config_selectorIifEEZZNS1_16scan_by_key_implILNS1_25lookback_scan_determinismE0ELb1ES3_N6thrust23THRUST_200600_302600_NS6detail15normal_iteratorINS9_10device_ptrIiEEEENSB_INSC_IjEEEENSB_INSC_IfEEEEfNS9_4plusIvEENS9_8equal_toIvEEfEE10hipError_tPvRmT2_T3_T4_T5_mT6_T7_P12ihipStream_tbENKUlT_T0_E_clISt17integral_constantIbLb0EES13_EEDaSY_SZ_EUlSY_E_NS1_11comp_targetILNS1_3genE4ELNS1_11target_archE910ELNS1_3gpuE8ELNS1_3repE0EEENS1_30default_config_static_selectorELNS0_4arch9wavefront6targetE0EEEvT1_
		.amdhsa_group_segment_fixed_size 0
		.amdhsa_private_segment_fixed_size 0
		.amdhsa_kernarg_size 112
		.amdhsa_user_sgpr_count 6
		.amdhsa_user_sgpr_private_segment_buffer 1
		.amdhsa_user_sgpr_dispatch_ptr 0
		.amdhsa_user_sgpr_queue_ptr 0
		.amdhsa_user_sgpr_kernarg_segment_ptr 1
		.amdhsa_user_sgpr_dispatch_id 0
		.amdhsa_user_sgpr_flat_scratch_init 0
		.amdhsa_user_sgpr_private_segment_size 0
		.amdhsa_wavefront_size32 1
		.amdhsa_uses_dynamic_stack 0
		.amdhsa_system_sgpr_private_segment_wavefront_offset 0
		.amdhsa_system_sgpr_workgroup_id_x 1
		.amdhsa_system_sgpr_workgroup_id_y 0
		.amdhsa_system_sgpr_workgroup_id_z 0
		.amdhsa_system_sgpr_workgroup_info 0
		.amdhsa_system_vgpr_workitem_id 0
		.amdhsa_next_free_vgpr 1
		.amdhsa_next_free_sgpr 1
		.amdhsa_reserve_vcc 0
		.amdhsa_reserve_flat_scratch 0
		.amdhsa_float_round_mode_32 0
		.amdhsa_float_round_mode_16_64 0
		.amdhsa_float_denorm_mode_32 3
		.amdhsa_float_denorm_mode_16_64 3
		.amdhsa_dx10_clamp 1
		.amdhsa_ieee_mode 1
		.amdhsa_fp16_overflow 0
		.amdhsa_workgroup_processor_mode 1
		.amdhsa_memory_ordered 1
		.amdhsa_forward_progress 1
		.amdhsa_shared_vgpr_count 0
		.amdhsa_exception_fp_ieee_invalid_op 0
		.amdhsa_exception_fp_denorm_src 0
		.amdhsa_exception_fp_ieee_div_zero 0
		.amdhsa_exception_fp_ieee_overflow 0
		.amdhsa_exception_fp_ieee_underflow 0
		.amdhsa_exception_fp_ieee_inexact 0
		.amdhsa_exception_int_div_zero 0
	.end_amdhsa_kernel
	.section	.text._ZN7rocprim17ROCPRIM_400000_NS6detail17trampoline_kernelINS0_14default_configENS1_27scan_by_key_config_selectorIifEEZZNS1_16scan_by_key_implILNS1_25lookback_scan_determinismE0ELb1ES3_N6thrust23THRUST_200600_302600_NS6detail15normal_iteratorINS9_10device_ptrIiEEEENSB_INSC_IjEEEENSB_INSC_IfEEEEfNS9_4plusIvEENS9_8equal_toIvEEfEE10hipError_tPvRmT2_T3_T4_T5_mT6_T7_P12ihipStream_tbENKUlT_T0_E_clISt17integral_constantIbLb0EES13_EEDaSY_SZ_EUlSY_E_NS1_11comp_targetILNS1_3genE4ELNS1_11target_archE910ELNS1_3gpuE8ELNS1_3repE0EEENS1_30default_config_static_selectorELNS0_4arch9wavefront6targetE0EEEvT1_,"axG",@progbits,_ZN7rocprim17ROCPRIM_400000_NS6detail17trampoline_kernelINS0_14default_configENS1_27scan_by_key_config_selectorIifEEZZNS1_16scan_by_key_implILNS1_25lookback_scan_determinismE0ELb1ES3_N6thrust23THRUST_200600_302600_NS6detail15normal_iteratorINS9_10device_ptrIiEEEENSB_INSC_IjEEEENSB_INSC_IfEEEEfNS9_4plusIvEENS9_8equal_toIvEEfEE10hipError_tPvRmT2_T3_T4_T5_mT6_T7_P12ihipStream_tbENKUlT_T0_E_clISt17integral_constantIbLb0EES13_EEDaSY_SZ_EUlSY_E_NS1_11comp_targetILNS1_3genE4ELNS1_11target_archE910ELNS1_3gpuE8ELNS1_3repE0EEENS1_30default_config_static_selectorELNS0_4arch9wavefront6targetE0EEEvT1_,comdat
.Lfunc_end1683:
	.size	_ZN7rocprim17ROCPRIM_400000_NS6detail17trampoline_kernelINS0_14default_configENS1_27scan_by_key_config_selectorIifEEZZNS1_16scan_by_key_implILNS1_25lookback_scan_determinismE0ELb1ES3_N6thrust23THRUST_200600_302600_NS6detail15normal_iteratorINS9_10device_ptrIiEEEENSB_INSC_IjEEEENSB_INSC_IfEEEEfNS9_4plusIvEENS9_8equal_toIvEEfEE10hipError_tPvRmT2_T3_T4_T5_mT6_T7_P12ihipStream_tbENKUlT_T0_E_clISt17integral_constantIbLb0EES13_EEDaSY_SZ_EUlSY_E_NS1_11comp_targetILNS1_3genE4ELNS1_11target_archE910ELNS1_3gpuE8ELNS1_3repE0EEENS1_30default_config_static_selectorELNS0_4arch9wavefront6targetE0EEEvT1_, .Lfunc_end1683-_ZN7rocprim17ROCPRIM_400000_NS6detail17trampoline_kernelINS0_14default_configENS1_27scan_by_key_config_selectorIifEEZZNS1_16scan_by_key_implILNS1_25lookback_scan_determinismE0ELb1ES3_N6thrust23THRUST_200600_302600_NS6detail15normal_iteratorINS9_10device_ptrIiEEEENSB_INSC_IjEEEENSB_INSC_IfEEEEfNS9_4plusIvEENS9_8equal_toIvEEfEE10hipError_tPvRmT2_T3_T4_T5_mT6_T7_P12ihipStream_tbENKUlT_T0_E_clISt17integral_constantIbLb0EES13_EEDaSY_SZ_EUlSY_E_NS1_11comp_targetILNS1_3genE4ELNS1_11target_archE910ELNS1_3gpuE8ELNS1_3repE0EEENS1_30default_config_static_selectorELNS0_4arch9wavefront6targetE0EEEvT1_
                                        ; -- End function
	.set _ZN7rocprim17ROCPRIM_400000_NS6detail17trampoline_kernelINS0_14default_configENS1_27scan_by_key_config_selectorIifEEZZNS1_16scan_by_key_implILNS1_25lookback_scan_determinismE0ELb1ES3_N6thrust23THRUST_200600_302600_NS6detail15normal_iteratorINS9_10device_ptrIiEEEENSB_INSC_IjEEEENSB_INSC_IfEEEEfNS9_4plusIvEENS9_8equal_toIvEEfEE10hipError_tPvRmT2_T3_T4_T5_mT6_T7_P12ihipStream_tbENKUlT_T0_E_clISt17integral_constantIbLb0EES13_EEDaSY_SZ_EUlSY_E_NS1_11comp_targetILNS1_3genE4ELNS1_11target_archE910ELNS1_3gpuE8ELNS1_3repE0EEENS1_30default_config_static_selectorELNS0_4arch9wavefront6targetE0EEEvT1_.num_vgpr, 0
	.set _ZN7rocprim17ROCPRIM_400000_NS6detail17trampoline_kernelINS0_14default_configENS1_27scan_by_key_config_selectorIifEEZZNS1_16scan_by_key_implILNS1_25lookback_scan_determinismE0ELb1ES3_N6thrust23THRUST_200600_302600_NS6detail15normal_iteratorINS9_10device_ptrIiEEEENSB_INSC_IjEEEENSB_INSC_IfEEEEfNS9_4plusIvEENS9_8equal_toIvEEfEE10hipError_tPvRmT2_T3_T4_T5_mT6_T7_P12ihipStream_tbENKUlT_T0_E_clISt17integral_constantIbLb0EES13_EEDaSY_SZ_EUlSY_E_NS1_11comp_targetILNS1_3genE4ELNS1_11target_archE910ELNS1_3gpuE8ELNS1_3repE0EEENS1_30default_config_static_selectorELNS0_4arch9wavefront6targetE0EEEvT1_.num_agpr, 0
	.set _ZN7rocprim17ROCPRIM_400000_NS6detail17trampoline_kernelINS0_14default_configENS1_27scan_by_key_config_selectorIifEEZZNS1_16scan_by_key_implILNS1_25lookback_scan_determinismE0ELb1ES3_N6thrust23THRUST_200600_302600_NS6detail15normal_iteratorINS9_10device_ptrIiEEEENSB_INSC_IjEEEENSB_INSC_IfEEEEfNS9_4plusIvEENS9_8equal_toIvEEfEE10hipError_tPvRmT2_T3_T4_T5_mT6_T7_P12ihipStream_tbENKUlT_T0_E_clISt17integral_constantIbLb0EES13_EEDaSY_SZ_EUlSY_E_NS1_11comp_targetILNS1_3genE4ELNS1_11target_archE910ELNS1_3gpuE8ELNS1_3repE0EEENS1_30default_config_static_selectorELNS0_4arch9wavefront6targetE0EEEvT1_.numbered_sgpr, 0
	.set _ZN7rocprim17ROCPRIM_400000_NS6detail17trampoline_kernelINS0_14default_configENS1_27scan_by_key_config_selectorIifEEZZNS1_16scan_by_key_implILNS1_25lookback_scan_determinismE0ELb1ES3_N6thrust23THRUST_200600_302600_NS6detail15normal_iteratorINS9_10device_ptrIiEEEENSB_INSC_IjEEEENSB_INSC_IfEEEEfNS9_4plusIvEENS9_8equal_toIvEEfEE10hipError_tPvRmT2_T3_T4_T5_mT6_T7_P12ihipStream_tbENKUlT_T0_E_clISt17integral_constantIbLb0EES13_EEDaSY_SZ_EUlSY_E_NS1_11comp_targetILNS1_3genE4ELNS1_11target_archE910ELNS1_3gpuE8ELNS1_3repE0EEENS1_30default_config_static_selectorELNS0_4arch9wavefront6targetE0EEEvT1_.num_named_barrier, 0
	.set _ZN7rocprim17ROCPRIM_400000_NS6detail17trampoline_kernelINS0_14default_configENS1_27scan_by_key_config_selectorIifEEZZNS1_16scan_by_key_implILNS1_25lookback_scan_determinismE0ELb1ES3_N6thrust23THRUST_200600_302600_NS6detail15normal_iteratorINS9_10device_ptrIiEEEENSB_INSC_IjEEEENSB_INSC_IfEEEEfNS9_4plusIvEENS9_8equal_toIvEEfEE10hipError_tPvRmT2_T3_T4_T5_mT6_T7_P12ihipStream_tbENKUlT_T0_E_clISt17integral_constantIbLb0EES13_EEDaSY_SZ_EUlSY_E_NS1_11comp_targetILNS1_3genE4ELNS1_11target_archE910ELNS1_3gpuE8ELNS1_3repE0EEENS1_30default_config_static_selectorELNS0_4arch9wavefront6targetE0EEEvT1_.private_seg_size, 0
	.set _ZN7rocprim17ROCPRIM_400000_NS6detail17trampoline_kernelINS0_14default_configENS1_27scan_by_key_config_selectorIifEEZZNS1_16scan_by_key_implILNS1_25lookback_scan_determinismE0ELb1ES3_N6thrust23THRUST_200600_302600_NS6detail15normal_iteratorINS9_10device_ptrIiEEEENSB_INSC_IjEEEENSB_INSC_IfEEEEfNS9_4plusIvEENS9_8equal_toIvEEfEE10hipError_tPvRmT2_T3_T4_T5_mT6_T7_P12ihipStream_tbENKUlT_T0_E_clISt17integral_constantIbLb0EES13_EEDaSY_SZ_EUlSY_E_NS1_11comp_targetILNS1_3genE4ELNS1_11target_archE910ELNS1_3gpuE8ELNS1_3repE0EEENS1_30default_config_static_selectorELNS0_4arch9wavefront6targetE0EEEvT1_.uses_vcc, 0
	.set _ZN7rocprim17ROCPRIM_400000_NS6detail17trampoline_kernelINS0_14default_configENS1_27scan_by_key_config_selectorIifEEZZNS1_16scan_by_key_implILNS1_25lookback_scan_determinismE0ELb1ES3_N6thrust23THRUST_200600_302600_NS6detail15normal_iteratorINS9_10device_ptrIiEEEENSB_INSC_IjEEEENSB_INSC_IfEEEEfNS9_4plusIvEENS9_8equal_toIvEEfEE10hipError_tPvRmT2_T3_T4_T5_mT6_T7_P12ihipStream_tbENKUlT_T0_E_clISt17integral_constantIbLb0EES13_EEDaSY_SZ_EUlSY_E_NS1_11comp_targetILNS1_3genE4ELNS1_11target_archE910ELNS1_3gpuE8ELNS1_3repE0EEENS1_30default_config_static_selectorELNS0_4arch9wavefront6targetE0EEEvT1_.uses_flat_scratch, 0
	.set _ZN7rocprim17ROCPRIM_400000_NS6detail17trampoline_kernelINS0_14default_configENS1_27scan_by_key_config_selectorIifEEZZNS1_16scan_by_key_implILNS1_25lookback_scan_determinismE0ELb1ES3_N6thrust23THRUST_200600_302600_NS6detail15normal_iteratorINS9_10device_ptrIiEEEENSB_INSC_IjEEEENSB_INSC_IfEEEEfNS9_4plusIvEENS9_8equal_toIvEEfEE10hipError_tPvRmT2_T3_T4_T5_mT6_T7_P12ihipStream_tbENKUlT_T0_E_clISt17integral_constantIbLb0EES13_EEDaSY_SZ_EUlSY_E_NS1_11comp_targetILNS1_3genE4ELNS1_11target_archE910ELNS1_3gpuE8ELNS1_3repE0EEENS1_30default_config_static_selectorELNS0_4arch9wavefront6targetE0EEEvT1_.has_dyn_sized_stack, 0
	.set _ZN7rocprim17ROCPRIM_400000_NS6detail17trampoline_kernelINS0_14default_configENS1_27scan_by_key_config_selectorIifEEZZNS1_16scan_by_key_implILNS1_25lookback_scan_determinismE0ELb1ES3_N6thrust23THRUST_200600_302600_NS6detail15normal_iteratorINS9_10device_ptrIiEEEENSB_INSC_IjEEEENSB_INSC_IfEEEEfNS9_4plusIvEENS9_8equal_toIvEEfEE10hipError_tPvRmT2_T3_T4_T5_mT6_T7_P12ihipStream_tbENKUlT_T0_E_clISt17integral_constantIbLb0EES13_EEDaSY_SZ_EUlSY_E_NS1_11comp_targetILNS1_3genE4ELNS1_11target_archE910ELNS1_3gpuE8ELNS1_3repE0EEENS1_30default_config_static_selectorELNS0_4arch9wavefront6targetE0EEEvT1_.has_recursion, 0
	.set _ZN7rocprim17ROCPRIM_400000_NS6detail17trampoline_kernelINS0_14default_configENS1_27scan_by_key_config_selectorIifEEZZNS1_16scan_by_key_implILNS1_25lookback_scan_determinismE0ELb1ES3_N6thrust23THRUST_200600_302600_NS6detail15normal_iteratorINS9_10device_ptrIiEEEENSB_INSC_IjEEEENSB_INSC_IfEEEEfNS9_4plusIvEENS9_8equal_toIvEEfEE10hipError_tPvRmT2_T3_T4_T5_mT6_T7_P12ihipStream_tbENKUlT_T0_E_clISt17integral_constantIbLb0EES13_EEDaSY_SZ_EUlSY_E_NS1_11comp_targetILNS1_3genE4ELNS1_11target_archE910ELNS1_3gpuE8ELNS1_3repE0EEENS1_30default_config_static_selectorELNS0_4arch9wavefront6targetE0EEEvT1_.has_indirect_call, 0
	.section	.AMDGPU.csdata,"",@progbits
; Kernel info:
; codeLenInByte = 0
; TotalNumSgprs: 0
; NumVgprs: 0
; ScratchSize: 0
; MemoryBound: 0
; FloatMode: 240
; IeeeMode: 1
; LDSByteSize: 0 bytes/workgroup (compile time only)
; SGPRBlocks: 0
; VGPRBlocks: 0
; NumSGPRsForWavesPerEU: 1
; NumVGPRsForWavesPerEU: 1
; Occupancy: 16
; WaveLimiterHint : 0
; COMPUTE_PGM_RSRC2:SCRATCH_EN: 0
; COMPUTE_PGM_RSRC2:USER_SGPR: 6
; COMPUTE_PGM_RSRC2:TRAP_HANDLER: 0
; COMPUTE_PGM_RSRC2:TGID_X_EN: 1
; COMPUTE_PGM_RSRC2:TGID_Y_EN: 0
; COMPUTE_PGM_RSRC2:TGID_Z_EN: 0
; COMPUTE_PGM_RSRC2:TIDIG_COMP_CNT: 0
	.section	.text._ZN7rocprim17ROCPRIM_400000_NS6detail17trampoline_kernelINS0_14default_configENS1_27scan_by_key_config_selectorIifEEZZNS1_16scan_by_key_implILNS1_25lookback_scan_determinismE0ELb1ES3_N6thrust23THRUST_200600_302600_NS6detail15normal_iteratorINS9_10device_ptrIiEEEENSB_INSC_IjEEEENSB_INSC_IfEEEEfNS9_4plusIvEENS9_8equal_toIvEEfEE10hipError_tPvRmT2_T3_T4_T5_mT6_T7_P12ihipStream_tbENKUlT_T0_E_clISt17integral_constantIbLb0EES13_EEDaSY_SZ_EUlSY_E_NS1_11comp_targetILNS1_3genE3ELNS1_11target_archE908ELNS1_3gpuE7ELNS1_3repE0EEENS1_30default_config_static_selectorELNS0_4arch9wavefront6targetE0EEEvT1_,"axG",@progbits,_ZN7rocprim17ROCPRIM_400000_NS6detail17trampoline_kernelINS0_14default_configENS1_27scan_by_key_config_selectorIifEEZZNS1_16scan_by_key_implILNS1_25lookback_scan_determinismE0ELb1ES3_N6thrust23THRUST_200600_302600_NS6detail15normal_iteratorINS9_10device_ptrIiEEEENSB_INSC_IjEEEENSB_INSC_IfEEEEfNS9_4plusIvEENS9_8equal_toIvEEfEE10hipError_tPvRmT2_T3_T4_T5_mT6_T7_P12ihipStream_tbENKUlT_T0_E_clISt17integral_constantIbLb0EES13_EEDaSY_SZ_EUlSY_E_NS1_11comp_targetILNS1_3genE3ELNS1_11target_archE908ELNS1_3gpuE7ELNS1_3repE0EEENS1_30default_config_static_selectorELNS0_4arch9wavefront6targetE0EEEvT1_,comdat
	.protected	_ZN7rocprim17ROCPRIM_400000_NS6detail17trampoline_kernelINS0_14default_configENS1_27scan_by_key_config_selectorIifEEZZNS1_16scan_by_key_implILNS1_25lookback_scan_determinismE0ELb1ES3_N6thrust23THRUST_200600_302600_NS6detail15normal_iteratorINS9_10device_ptrIiEEEENSB_INSC_IjEEEENSB_INSC_IfEEEEfNS9_4plusIvEENS9_8equal_toIvEEfEE10hipError_tPvRmT2_T3_T4_T5_mT6_T7_P12ihipStream_tbENKUlT_T0_E_clISt17integral_constantIbLb0EES13_EEDaSY_SZ_EUlSY_E_NS1_11comp_targetILNS1_3genE3ELNS1_11target_archE908ELNS1_3gpuE7ELNS1_3repE0EEENS1_30default_config_static_selectorELNS0_4arch9wavefront6targetE0EEEvT1_ ; -- Begin function _ZN7rocprim17ROCPRIM_400000_NS6detail17trampoline_kernelINS0_14default_configENS1_27scan_by_key_config_selectorIifEEZZNS1_16scan_by_key_implILNS1_25lookback_scan_determinismE0ELb1ES3_N6thrust23THRUST_200600_302600_NS6detail15normal_iteratorINS9_10device_ptrIiEEEENSB_INSC_IjEEEENSB_INSC_IfEEEEfNS9_4plusIvEENS9_8equal_toIvEEfEE10hipError_tPvRmT2_T3_T4_T5_mT6_T7_P12ihipStream_tbENKUlT_T0_E_clISt17integral_constantIbLb0EES13_EEDaSY_SZ_EUlSY_E_NS1_11comp_targetILNS1_3genE3ELNS1_11target_archE908ELNS1_3gpuE7ELNS1_3repE0EEENS1_30default_config_static_selectorELNS0_4arch9wavefront6targetE0EEEvT1_
	.globl	_ZN7rocprim17ROCPRIM_400000_NS6detail17trampoline_kernelINS0_14default_configENS1_27scan_by_key_config_selectorIifEEZZNS1_16scan_by_key_implILNS1_25lookback_scan_determinismE0ELb1ES3_N6thrust23THRUST_200600_302600_NS6detail15normal_iteratorINS9_10device_ptrIiEEEENSB_INSC_IjEEEENSB_INSC_IfEEEEfNS9_4plusIvEENS9_8equal_toIvEEfEE10hipError_tPvRmT2_T3_T4_T5_mT6_T7_P12ihipStream_tbENKUlT_T0_E_clISt17integral_constantIbLb0EES13_EEDaSY_SZ_EUlSY_E_NS1_11comp_targetILNS1_3genE3ELNS1_11target_archE908ELNS1_3gpuE7ELNS1_3repE0EEENS1_30default_config_static_selectorELNS0_4arch9wavefront6targetE0EEEvT1_
	.p2align	8
	.type	_ZN7rocprim17ROCPRIM_400000_NS6detail17trampoline_kernelINS0_14default_configENS1_27scan_by_key_config_selectorIifEEZZNS1_16scan_by_key_implILNS1_25lookback_scan_determinismE0ELb1ES3_N6thrust23THRUST_200600_302600_NS6detail15normal_iteratorINS9_10device_ptrIiEEEENSB_INSC_IjEEEENSB_INSC_IfEEEEfNS9_4plusIvEENS9_8equal_toIvEEfEE10hipError_tPvRmT2_T3_T4_T5_mT6_T7_P12ihipStream_tbENKUlT_T0_E_clISt17integral_constantIbLb0EES13_EEDaSY_SZ_EUlSY_E_NS1_11comp_targetILNS1_3genE3ELNS1_11target_archE908ELNS1_3gpuE7ELNS1_3repE0EEENS1_30default_config_static_selectorELNS0_4arch9wavefront6targetE0EEEvT1_,@function
_ZN7rocprim17ROCPRIM_400000_NS6detail17trampoline_kernelINS0_14default_configENS1_27scan_by_key_config_selectorIifEEZZNS1_16scan_by_key_implILNS1_25lookback_scan_determinismE0ELb1ES3_N6thrust23THRUST_200600_302600_NS6detail15normal_iteratorINS9_10device_ptrIiEEEENSB_INSC_IjEEEENSB_INSC_IfEEEEfNS9_4plusIvEENS9_8equal_toIvEEfEE10hipError_tPvRmT2_T3_T4_T5_mT6_T7_P12ihipStream_tbENKUlT_T0_E_clISt17integral_constantIbLb0EES13_EEDaSY_SZ_EUlSY_E_NS1_11comp_targetILNS1_3genE3ELNS1_11target_archE908ELNS1_3gpuE7ELNS1_3repE0EEENS1_30default_config_static_selectorELNS0_4arch9wavefront6targetE0EEEvT1_: ; @_ZN7rocprim17ROCPRIM_400000_NS6detail17trampoline_kernelINS0_14default_configENS1_27scan_by_key_config_selectorIifEEZZNS1_16scan_by_key_implILNS1_25lookback_scan_determinismE0ELb1ES3_N6thrust23THRUST_200600_302600_NS6detail15normal_iteratorINS9_10device_ptrIiEEEENSB_INSC_IjEEEENSB_INSC_IfEEEEfNS9_4plusIvEENS9_8equal_toIvEEfEE10hipError_tPvRmT2_T3_T4_T5_mT6_T7_P12ihipStream_tbENKUlT_T0_E_clISt17integral_constantIbLb0EES13_EEDaSY_SZ_EUlSY_E_NS1_11comp_targetILNS1_3genE3ELNS1_11target_archE908ELNS1_3gpuE7ELNS1_3repE0EEENS1_30default_config_static_selectorELNS0_4arch9wavefront6targetE0EEEvT1_
; %bb.0:
	.section	.rodata,"a",@progbits
	.p2align	6, 0x0
	.amdhsa_kernel _ZN7rocprim17ROCPRIM_400000_NS6detail17trampoline_kernelINS0_14default_configENS1_27scan_by_key_config_selectorIifEEZZNS1_16scan_by_key_implILNS1_25lookback_scan_determinismE0ELb1ES3_N6thrust23THRUST_200600_302600_NS6detail15normal_iteratorINS9_10device_ptrIiEEEENSB_INSC_IjEEEENSB_INSC_IfEEEEfNS9_4plusIvEENS9_8equal_toIvEEfEE10hipError_tPvRmT2_T3_T4_T5_mT6_T7_P12ihipStream_tbENKUlT_T0_E_clISt17integral_constantIbLb0EES13_EEDaSY_SZ_EUlSY_E_NS1_11comp_targetILNS1_3genE3ELNS1_11target_archE908ELNS1_3gpuE7ELNS1_3repE0EEENS1_30default_config_static_selectorELNS0_4arch9wavefront6targetE0EEEvT1_
		.amdhsa_group_segment_fixed_size 0
		.amdhsa_private_segment_fixed_size 0
		.amdhsa_kernarg_size 112
		.amdhsa_user_sgpr_count 6
		.amdhsa_user_sgpr_private_segment_buffer 1
		.amdhsa_user_sgpr_dispatch_ptr 0
		.amdhsa_user_sgpr_queue_ptr 0
		.amdhsa_user_sgpr_kernarg_segment_ptr 1
		.amdhsa_user_sgpr_dispatch_id 0
		.amdhsa_user_sgpr_flat_scratch_init 0
		.amdhsa_user_sgpr_private_segment_size 0
		.amdhsa_wavefront_size32 1
		.amdhsa_uses_dynamic_stack 0
		.amdhsa_system_sgpr_private_segment_wavefront_offset 0
		.amdhsa_system_sgpr_workgroup_id_x 1
		.amdhsa_system_sgpr_workgroup_id_y 0
		.amdhsa_system_sgpr_workgroup_id_z 0
		.amdhsa_system_sgpr_workgroup_info 0
		.amdhsa_system_vgpr_workitem_id 0
		.amdhsa_next_free_vgpr 1
		.amdhsa_next_free_sgpr 1
		.amdhsa_reserve_vcc 0
		.amdhsa_reserve_flat_scratch 0
		.amdhsa_float_round_mode_32 0
		.amdhsa_float_round_mode_16_64 0
		.amdhsa_float_denorm_mode_32 3
		.amdhsa_float_denorm_mode_16_64 3
		.amdhsa_dx10_clamp 1
		.amdhsa_ieee_mode 1
		.amdhsa_fp16_overflow 0
		.amdhsa_workgroup_processor_mode 1
		.amdhsa_memory_ordered 1
		.amdhsa_forward_progress 1
		.amdhsa_shared_vgpr_count 0
		.amdhsa_exception_fp_ieee_invalid_op 0
		.amdhsa_exception_fp_denorm_src 0
		.amdhsa_exception_fp_ieee_div_zero 0
		.amdhsa_exception_fp_ieee_overflow 0
		.amdhsa_exception_fp_ieee_underflow 0
		.amdhsa_exception_fp_ieee_inexact 0
		.amdhsa_exception_int_div_zero 0
	.end_amdhsa_kernel
	.section	.text._ZN7rocprim17ROCPRIM_400000_NS6detail17trampoline_kernelINS0_14default_configENS1_27scan_by_key_config_selectorIifEEZZNS1_16scan_by_key_implILNS1_25lookback_scan_determinismE0ELb1ES3_N6thrust23THRUST_200600_302600_NS6detail15normal_iteratorINS9_10device_ptrIiEEEENSB_INSC_IjEEEENSB_INSC_IfEEEEfNS9_4plusIvEENS9_8equal_toIvEEfEE10hipError_tPvRmT2_T3_T4_T5_mT6_T7_P12ihipStream_tbENKUlT_T0_E_clISt17integral_constantIbLb0EES13_EEDaSY_SZ_EUlSY_E_NS1_11comp_targetILNS1_3genE3ELNS1_11target_archE908ELNS1_3gpuE7ELNS1_3repE0EEENS1_30default_config_static_selectorELNS0_4arch9wavefront6targetE0EEEvT1_,"axG",@progbits,_ZN7rocprim17ROCPRIM_400000_NS6detail17trampoline_kernelINS0_14default_configENS1_27scan_by_key_config_selectorIifEEZZNS1_16scan_by_key_implILNS1_25lookback_scan_determinismE0ELb1ES3_N6thrust23THRUST_200600_302600_NS6detail15normal_iteratorINS9_10device_ptrIiEEEENSB_INSC_IjEEEENSB_INSC_IfEEEEfNS9_4plusIvEENS9_8equal_toIvEEfEE10hipError_tPvRmT2_T3_T4_T5_mT6_T7_P12ihipStream_tbENKUlT_T0_E_clISt17integral_constantIbLb0EES13_EEDaSY_SZ_EUlSY_E_NS1_11comp_targetILNS1_3genE3ELNS1_11target_archE908ELNS1_3gpuE7ELNS1_3repE0EEENS1_30default_config_static_selectorELNS0_4arch9wavefront6targetE0EEEvT1_,comdat
.Lfunc_end1684:
	.size	_ZN7rocprim17ROCPRIM_400000_NS6detail17trampoline_kernelINS0_14default_configENS1_27scan_by_key_config_selectorIifEEZZNS1_16scan_by_key_implILNS1_25lookback_scan_determinismE0ELb1ES3_N6thrust23THRUST_200600_302600_NS6detail15normal_iteratorINS9_10device_ptrIiEEEENSB_INSC_IjEEEENSB_INSC_IfEEEEfNS9_4plusIvEENS9_8equal_toIvEEfEE10hipError_tPvRmT2_T3_T4_T5_mT6_T7_P12ihipStream_tbENKUlT_T0_E_clISt17integral_constantIbLb0EES13_EEDaSY_SZ_EUlSY_E_NS1_11comp_targetILNS1_3genE3ELNS1_11target_archE908ELNS1_3gpuE7ELNS1_3repE0EEENS1_30default_config_static_selectorELNS0_4arch9wavefront6targetE0EEEvT1_, .Lfunc_end1684-_ZN7rocprim17ROCPRIM_400000_NS6detail17trampoline_kernelINS0_14default_configENS1_27scan_by_key_config_selectorIifEEZZNS1_16scan_by_key_implILNS1_25lookback_scan_determinismE0ELb1ES3_N6thrust23THRUST_200600_302600_NS6detail15normal_iteratorINS9_10device_ptrIiEEEENSB_INSC_IjEEEENSB_INSC_IfEEEEfNS9_4plusIvEENS9_8equal_toIvEEfEE10hipError_tPvRmT2_T3_T4_T5_mT6_T7_P12ihipStream_tbENKUlT_T0_E_clISt17integral_constantIbLb0EES13_EEDaSY_SZ_EUlSY_E_NS1_11comp_targetILNS1_3genE3ELNS1_11target_archE908ELNS1_3gpuE7ELNS1_3repE0EEENS1_30default_config_static_selectorELNS0_4arch9wavefront6targetE0EEEvT1_
                                        ; -- End function
	.set _ZN7rocprim17ROCPRIM_400000_NS6detail17trampoline_kernelINS0_14default_configENS1_27scan_by_key_config_selectorIifEEZZNS1_16scan_by_key_implILNS1_25lookback_scan_determinismE0ELb1ES3_N6thrust23THRUST_200600_302600_NS6detail15normal_iteratorINS9_10device_ptrIiEEEENSB_INSC_IjEEEENSB_INSC_IfEEEEfNS9_4plusIvEENS9_8equal_toIvEEfEE10hipError_tPvRmT2_T3_T4_T5_mT6_T7_P12ihipStream_tbENKUlT_T0_E_clISt17integral_constantIbLb0EES13_EEDaSY_SZ_EUlSY_E_NS1_11comp_targetILNS1_3genE3ELNS1_11target_archE908ELNS1_3gpuE7ELNS1_3repE0EEENS1_30default_config_static_selectorELNS0_4arch9wavefront6targetE0EEEvT1_.num_vgpr, 0
	.set _ZN7rocprim17ROCPRIM_400000_NS6detail17trampoline_kernelINS0_14default_configENS1_27scan_by_key_config_selectorIifEEZZNS1_16scan_by_key_implILNS1_25lookback_scan_determinismE0ELb1ES3_N6thrust23THRUST_200600_302600_NS6detail15normal_iteratorINS9_10device_ptrIiEEEENSB_INSC_IjEEEENSB_INSC_IfEEEEfNS9_4plusIvEENS9_8equal_toIvEEfEE10hipError_tPvRmT2_T3_T4_T5_mT6_T7_P12ihipStream_tbENKUlT_T0_E_clISt17integral_constantIbLb0EES13_EEDaSY_SZ_EUlSY_E_NS1_11comp_targetILNS1_3genE3ELNS1_11target_archE908ELNS1_3gpuE7ELNS1_3repE0EEENS1_30default_config_static_selectorELNS0_4arch9wavefront6targetE0EEEvT1_.num_agpr, 0
	.set _ZN7rocprim17ROCPRIM_400000_NS6detail17trampoline_kernelINS0_14default_configENS1_27scan_by_key_config_selectorIifEEZZNS1_16scan_by_key_implILNS1_25lookback_scan_determinismE0ELb1ES3_N6thrust23THRUST_200600_302600_NS6detail15normal_iteratorINS9_10device_ptrIiEEEENSB_INSC_IjEEEENSB_INSC_IfEEEEfNS9_4plusIvEENS9_8equal_toIvEEfEE10hipError_tPvRmT2_T3_T4_T5_mT6_T7_P12ihipStream_tbENKUlT_T0_E_clISt17integral_constantIbLb0EES13_EEDaSY_SZ_EUlSY_E_NS1_11comp_targetILNS1_3genE3ELNS1_11target_archE908ELNS1_3gpuE7ELNS1_3repE0EEENS1_30default_config_static_selectorELNS0_4arch9wavefront6targetE0EEEvT1_.numbered_sgpr, 0
	.set _ZN7rocprim17ROCPRIM_400000_NS6detail17trampoline_kernelINS0_14default_configENS1_27scan_by_key_config_selectorIifEEZZNS1_16scan_by_key_implILNS1_25lookback_scan_determinismE0ELb1ES3_N6thrust23THRUST_200600_302600_NS6detail15normal_iteratorINS9_10device_ptrIiEEEENSB_INSC_IjEEEENSB_INSC_IfEEEEfNS9_4plusIvEENS9_8equal_toIvEEfEE10hipError_tPvRmT2_T3_T4_T5_mT6_T7_P12ihipStream_tbENKUlT_T0_E_clISt17integral_constantIbLb0EES13_EEDaSY_SZ_EUlSY_E_NS1_11comp_targetILNS1_3genE3ELNS1_11target_archE908ELNS1_3gpuE7ELNS1_3repE0EEENS1_30default_config_static_selectorELNS0_4arch9wavefront6targetE0EEEvT1_.num_named_barrier, 0
	.set _ZN7rocprim17ROCPRIM_400000_NS6detail17trampoline_kernelINS0_14default_configENS1_27scan_by_key_config_selectorIifEEZZNS1_16scan_by_key_implILNS1_25lookback_scan_determinismE0ELb1ES3_N6thrust23THRUST_200600_302600_NS6detail15normal_iteratorINS9_10device_ptrIiEEEENSB_INSC_IjEEEENSB_INSC_IfEEEEfNS9_4plusIvEENS9_8equal_toIvEEfEE10hipError_tPvRmT2_T3_T4_T5_mT6_T7_P12ihipStream_tbENKUlT_T0_E_clISt17integral_constantIbLb0EES13_EEDaSY_SZ_EUlSY_E_NS1_11comp_targetILNS1_3genE3ELNS1_11target_archE908ELNS1_3gpuE7ELNS1_3repE0EEENS1_30default_config_static_selectorELNS0_4arch9wavefront6targetE0EEEvT1_.private_seg_size, 0
	.set _ZN7rocprim17ROCPRIM_400000_NS6detail17trampoline_kernelINS0_14default_configENS1_27scan_by_key_config_selectorIifEEZZNS1_16scan_by_key_implILNS1_25lookback_scan_determinismE0ELb1ES3_N6thrust23THRUST_200600_302600_NS6detail15normal_iteratorINS9_10device_ptrIiEEEENSB_INSC_IjEEEENSB_INSC_IfEEEEfNS9_4plusIvEENS9_8equal_toIvEEfEE10hipError_tPvRmT2_T3_T4_T5_mT6_T7_P12ihipStream_tbENKUlT_T0_E_clISt17integral_constantIbLb0EES13_EEDaSY_SZ_EUlSY_E_NS1_11comp_targetILNS1_3genE3ELNS1_11target_archE908ELNS1_3gpuE7ELNS1_3repE0EEENS1_30default_config_static_selectorELNS0_4arch9wavefront6targetE0EEEvT1_.uses_vcc, 0
	.set _ZN7rocprim17ROCPRIM_400000_NS6detail17trampoline_kernelINS0_14default_configENS1_27scan_by_key_config_selectorIifEEZZNS1_16scan_by_key_implILNS1_25lookback_scan_determinismE0ELb1ES3_N6thrust23THRUST_200600_302600_NS6detail15normal_iteratorINS9_10device_ptrIiEEEENSB_INSC_IjEEEENSB_INSC_IfEEEEfNS9_4plusIvEENS9_8equal_toIvEEfEE10hipError_tPvRmT2_T3_T4_T5_mT6_T7_P12ihipStream_tbENKUlT_T0_E_clISt17integral_constantIbLb0EES13_EEDaSY_SZ_EUlSY_E_NS1_11comp_targetILNS1_3genE3ELNS1_11target_archE908ELNS1_3gpuE7ELNS1_3repE0EEENS1_30default_config_static_selectorELNS0_4arch9wavefront6targetE0EEEvT1_.uses_flat_scratch, 0
	.set _ZN7rocprim17ROCPRIM_400000_NS6detail17trampoline_kernelINS0_14default_configENS1_27scan_by_key_config_selectorIifEEZZNS1_16scan_by_key_implILNS1_25lookback_scan_determinismE0ELb1ES3_N6thrust23THRUST_200600_302600_NS6detail15normal_iteratorINS9_10device_ptrIiEEEENSB_INSC_IjEEEENSB_INSC_IfEEEEfNS9_4plusIvEENS9_8equal_toIvEEfEE10hipError_tPvRmT2_T3_T4_T5_mT6_T7_P12ihipStream_tbENKUlT_T0_E_clISt17integral_constantIbLb0EES13_EEDaSY_SZ_EUlSY_E_NS1_11comp_targetILNS1_3genE3ELNS1_11target_archE908ELNS1_3gpuE7ELNS1_3repE0EEENS1_30default_config_static_selectorELNS0_4arch9wavefront6targetE0EEEvT1_.has_dyn_sized_stack, 0
	.set _ZN7rocprim17ROCPRIM_400000_NS6detail17trampoline_kernelINS0_14default_configENS1_27scan_by_key_config_selectorIifEEZZNS1_16scan_by_key_implILNS1_25lookback_scan_determinismE0ELb1ES3_N6thrust23THRUST_200600_302600_NS6detail15normal_iteratorINS9_10device_ptrIiEEEENSB_INSC_IjEEEENSB_INSC_IfEEEEfNS9_4plusIvEENS9_8equal_toIvEEfEE10hipError_tPvRmT2_T3_T4_T5_mT6_T7_P12ihipStream_tbENKUlT_T0_E_clISt17integral_constantIbLb0EES13_EEDaSY_SZ_EUlSY_E_NS1_11comp_targetILNS1_3genE3ELNS1_11target_archE908ELNS1_3gpuE7ELNS1_3repE0EEENS1_30default_config_static_selectorELNS0_4arch9wavefront6targetE0EEEvT1_.has_recursion, 0
	.set _ZN7rocprim17ROCPRIM_400000_NS6detail17trampoline_kernelINS0_14default_configENS1_27scan_by_key_config_selectorIifEEZZNS1_16scan_by_key_implILNS1_25lookback_scan_determinismE0ELb1ES3_N6thrust23THRUST_200600_302600_NS6detail15normal_iteratorINS9_10device_ptrIiEEEENSB_INSC_IjEEEENSB_INSC_IfEEEEfNS9_4plusIvEENS9_8equal_toIvEEfEE10hipError_tPvRmT2_T3_T4_T5_mT6_T7_P12ihipStream_tbENKUlT_T0_E_clISt17integral_constantIbLb0EES13_EEDaSY_SZ_EUlSY_E_NS1_11comp_targetILNS1_3genE3ELNS1_11target_archE908ELNS1_3gpuE7ELNS1_3repE0EEENS1_30default_config_static_selectorELNS0_4arch9wavefront6targetE0EEEvT1_.has_indirect_call, 0
	.section	.AMDGPU.csdata,"",@progbits
; Kernel info:
; codeLenInByte = 0
; TotalNumSgprs: 0
; NumVgprs: 0
; ScratchSize: 0
; MemoryBound: 0
; FloatMode: 240
; IeeeMode: 1
; LDSByteSize: 0 bytes/workgroup (compile time only)
; SGPRBlocks: 0
; VGPRBlocks: 0
; NumSGPRsForWavesPerEU: 1
; NumVGPRsForWavesPerEU: 1
; Occupancy: 16
; WaveLimiterHint : 0
; COMPUTE_PGM_RSRC2:SCRATCH_EN: 0
; COMPUTE_PGM_RSRC2:USER_SGPR: 6
; COMPUTE_PGM_RSRC2:TRAP_HANDLER: 0
; COMPUTE_PGM_RSRC2:TGID_X_EN: 1
; COMPUTE_PGM_RSRC2:TGID_Y_EN: 0
; COMPUTE_PGM_RSRC2:TGID_Z_EN: 0
; COMPUTE_PGM_RSRC2:TIDIG_COMP_CNT: 0
	.section	.text._ZN7rocprim17ROCPRIM_400000_NS6detail17trampoline_kernelINS0_14default_configENS1_27scan_by_key_config_selectorIifEEZZNS1_16scan_by_key_implILNS1_25lookback_scan_determinismE0ELb1ES3_N6thrust23THRUST_200600_302600_NS6detail15normal_iteratorINS9_10device_ptrIiEEEENSB_INSC_IjEEEENSB_INSC_IfEEEEfNS9_4plusIvEENS9_8equal_toIvEEfEE10hipError_tPvRmT2_T3_T4_T5_mT6_T7_P12ihipStream_tbENKUlT_T0_E_clISt17integral_constantIbLb0EES13_EEDaSY_SZ_EUlSY_E_NS1_11comp_targetILNS1_3genE2ELNS1_11target_archE906ELNS1_3gpuE6ELNS1_3repE0EEENS1_30default_config_static_selectorELNS0_4arch9wavefront6targetE0EEEvT1_,"axG",@progbits,_ZN7rocprim17ROCPRIM_400000_NS6detail17trampoline_kernelINS0_14default_configENS1_27scan_by_key_config_selectorIifEEZZNS1_16scan_by_key_implILNS1_25lookback_scan_determinismE0ELb1ES3_N6thrust23THRUST_200600_302600_NS6detail15normal_iteratorINS9_10device_ptrIiEEEENSB_INSC_IjEEEENSB_INSC_IfEEEEfNS9_4plusIvEENS9_8equal_toIvEEfEE10hipError_tPvRmT2_T3_T4_T5_mT6_T7_P12ihipStream_tbENKUlT_T0_E_clISt17integral_constantIbLb0EES13_EEDaSY_SZ_EUlSY_E_NS1_11comp_targetILNS1_3genE2ELNS1_11target_archE906ELNS1_3gpuE6ELNS1_3repE0EEENS1_30default_config_static_selectorELNS0_4arch9wavefront6targetE0EEEvT1_,comdat
	.protected	_ZN7rocprim17ROCPRIM_400000_NS6detail17trampoline_kernelINS0_14default_configENS1_27scan_by_key_config_selectorIifEEZZNS1_16scan_by_key_implILNS1_25lookback_scan_determinismE0ELb1ES3_N6thrust23THRUST_200600_302600_NS6detail15normal_iteratorINS9_10device_ptrIiEEEENSB_INSC_IjEEEENSB_INSC_IfEEEEfNS9_4plusIvEENS9_8equal_toIvEEfEE10hipError_tPvRmT2_T3_T4_T5_mT6_T7_P12ihipStream_tbENKUlT_T0_E_clISt17integral_constantIbLb0EES13_EEDaSY_SZ_EUlSY_E_NS1_11comp_targetILNS1_3genE2ELNS1_11target_archE906ELNS1_3gpuE6ELNS1_3repE0EEENS1_30default_config_static_selectorELNS0_4arch9wavefront6targetE0EEEvT1_ ; -- Begin function _ZN7rocprim17ROCPRIM_400000_NS6detail17trampoline_kernelINS0_14default_configENS1_27scan_by_key_config_selectorIifEEZZNS1_16scan_by_key_implILNS1_25lookback_scan_determinismE0ELb1ES3_N6thrust23THRUST_200600_302600_NS6detail15normal_iteratorINS9_10device_ptrIiEEEENSB_INSC_IjEEEENSB_INSC_IfEEEEfNS9_4plusIvEENS9_8equal_toIvEEfEE10hipError_tPvRmT2_T3_T4_T5_mT6_T7_P12ihipStream_tbENKUlT_T0_E_clISt17integral_constantIbLb0EES13_EEDaSY_SZ_EUlSY_E_NS1_11comp_targetILNS1_3genE2ELNS1_11target_archE906ELNS1_3gpuE6ELNS1_3repE0EEENS1_30default_config_static_selectorELNS0_4arch9wavefront6targetE0EEEvT1_
	.globl	_ZN7rocprim17ROCPRIM_400000_NS6detail17trampoline_kernelINS0_14default_configENS1_27scan_by_key_config_selectorIifEEZZNS1_16scan_by_key_implILNS1_25lookback_scan_determinismE0ELb1ES3_N6thrust23THRUST_200600_302600_NS6detail15normal_iteratorINS9_10device_ptrIiEEEENSB_INSC_IjEEEENSB_INSC_IfEEEEfNS9_4plusIvEENS9_8equal_toIvEEfEE10hipError_tPvRmT2_T3_T4_T5_mT6_T7_P12ihipStream_tbENKUlT_T0_E_clISt17integral_constantIbLb0EES13_EEDaSY_SZ_EUlSY_E_NS1_11comp_targetILNS1_3genE2ELNS1_11target_archE906ELNS1_3gpuE6ELNS1_3repE0EEENS1_30default_config_static_selectorELNS0_4arch9wavefront6targetE0EEEvT1_
	.p2align	8
	.type	_ZN7rocprim17ROCPRIM_400000_NS6detail17trampoline_kernelINS0_14default_configENS1_27scan_by_key_config_selectorIifEEZZNS1_16scan_by_key_implILNS1_25lookback_scan_determinismE0ELb1ES3_N6thrust23THRUST_200600_302600_NS6detail15normal_iteratorINS9_10device_ptrIiEEEENSB_INSC_IjEEEENSB_INSC_IfEEEEfNS9_4plusIvEENS9_8equal_toIvEEfEE10hipError_tPvRmT2_T3_T4_T5_mT6_T7_P12ihipStream_tbENKUlT_T0_E_clISt17integral_constantIbLb0EES13_EEDaSY_SZ_EUlSY_E_NS1_11comp_targetILNS1_3genE2ELNS1_11target_archE906ELNS1_3gpuE6ELNS1_3repE0EEENS1_30default_config_static_selectorELNS0_4arch9wavefront6targetE0EEEvT1_,@function
_ZN7rocprim17ROCPRIM_400000_NS6detail17trampoline_kernelINS0_14default_configENS1_27scan_by_key_config_selectorIifEEZZNS1_16scan_by_key_implILNS1_25lookback_scan_determinismE0ELb1ES3_N6thrust23THRUST_200600_302600_NS6detail15normal_iteratorINS9_10device_ptrIiEEEENSB_INSC_IjEEEENSB_INSC_IfEEEEfNS9_4plusIvEENS9_8equal_toIvEEfEE10hipError_tPvRmT2_T3_T4_T5_mT6_T7_P12ihipStream_tbENKUlT_T0_E_clISt17integral_constantIbLb0EES13_EEDaSY_SZ_EUlSY_E_NS1_11comp_targetILNS1_3genE2ELNS1_11target_archE906ELNS1_3gpuE6ELNS1_3repE0EEENS1_30default_config_static_selectorELNS0_4arch9wavefront6targetE0EEEvT1_: ; @_ZN7rocprim17ROCPRIM_400000_NS6detail17trampoline_kernelINS0_14default_configENS1_27scan_by_key_config_selectorIifEEZZNS1_16scan_by_key_implILNS1_25lookback_scan_determinismE0ELb1ES3_N6thrust23THRUST_200600_302600_NS6detail15normal_iteratorINS9_10device_ptrIiEEEENSB_INSC_IjEEEENSB_INSC_IfEEEEfNS9_4plusIvEENS9_8equal_toIvEEfEE10hipError_tPvRmT2_T3_T4_T5_mT6_T7_P12ihipStream_tbENKUlT_T0_E_clISt17integral_constantIbLb0EES13_EEDaSY_SZ_EUlSY_E_NS1_11comp_targetILNS1_3genE2ELNS1_11target_archE906ELNS1_3gpuE6ELNS1_3repE0EEENS1_30default_config_static_selectorELNS0_4arch9wavefront6targetE0EEEvT1_
; %bb.0:
	.section	.rodata,"a",@progbits
	.p2align	6, 0x0
	.amdhsa_kernel _ZN7rocprim17ROCPRIM_400000_NS6detail17trampoline_kernelINS0_14default_configENS1_27scan_by_key_config_selectorIifEEZZNS1_16scan_by_key_implILNS1_25lookback_scan_determinismE0ELb1ES3_N6thrust23THRUST_200600_302600_NS6detail15normal_iteratorINS9_10device_ptrIiEEEENSB_INSC_IjEEEENSB_INSC_IfEEEEfNS9_4plusIvEENS9_8equal_toIvEEfEE10hipError_tPvRmT2_T3_T4_T5_mT6_T7_P12ihipStream_tbENKUlT_T0_E_clISt17integral_constantIbLb0EES13_EEDaSY_SZ_EUlSY_E_NS1_11comp_targetILNS1_3genE2ELNS1_11target_archE906ELNS1_3gpuE6ELNS1_3repE0EEENS1_30default_config_static_selectorELNS0_4arch9wavefront6targetE0EEEvT1_
		.amdhsa_group_segment_fixed_size 0
		.amdhsa_private_segment_fixed_size 0
		.amdhsa_kernarg_size 112
		.amdhsa_user_sgpr_count 6
		.amdhsa_user_sgpr_private_segment_buffer 1
		.amdhsa_user_sgpr_dispatch_ptr 0
		.amdhsa_user_sgpr_queue_ptr 0
		.amdhsa_user_sgpr_kernarg_segment_ptr 1
		.amdhsa_user_sgpr_dispatch_id 0
		.amdhsa_user_sgpr_flat_scratch_init 0
		.amdhsa_user_sgpr_private_segment_size 0
		.amdhsa_wavefront_size32 1
		.amdhsa_uses_dynamic_stack 0
		.amdhsa_system_sgpr_private_segment_wavefront_offset 0
		.amdhsa_system_sgpr_workgroup_id_x 1
		.amdhsa_system_sgpr_workgroup_id_y 0
		.amdhsa_system_sgpr_workgroup_id_z 0
		.amdhsa_system_sgpr_workgroup_info 0
		.amdhsa_system_vgpr_workitem_id 0
		.amdhsa_next_free_vgpr 1
		.amdhsa_next_free_sgpr 1
		.amdhsa_reserve_vcc 0
		.amdhsa_reserve_flat_scratch 0
		.amdhsa_float_round_mode_32 0
		.amdhsa_float_round_mode_16_64 0
		.amdhsa_float_denorm_mode_32 3
		.amdhsa_float_denorm_mode_16_64 3
		.amdhsa_dx10_clamp 1
		.amdhsa_ieee_mode 1
		.amdhsa_fp16_overflow 0
		.amdhsa_workgroup_processor_mode 1
		.amdhsa_memory_ordered 1
		.amdhsa_forward_progress 1
		.amdhsa_shared_vgpr_count 0
		.amdhsa_exception_fp_ieee_invalid_op 0
		.amdhsa_exception_fp_denorm_src 0
		.amdhsa_exception_fp_ieee_div_zero 0
		.amdhsa_exception_fp_ieee_overflow 0
		.amdhsa_exception_fp_ieee_underflow 0
		.amdhsa_exception_fp_ieee_inexact 0
		.amdhsa_exception_int_div_zero 0
	.end_amdhsa_kernel
	.section	.text._ZN7rocprim17ROCPRIM_400000_NS6detail17trampoline_kernelINS0_14default_configENS1_27scan_by_key_config_selectorIifEEZZNS1_16scan_by_key_implILNS1_25lookback_scan_determinismE0ELb1ES3_N6thrust23THRUST_200600_302600_NS6detail15normal_iteratorINS9_10device_ptrIiEEEENSB_INSC_IjEEEENSB_INSC_IfEEEEfNS9_4plusIvEENS9_8equal_toIvEEfEE10hipError_tPvRmT2_T3_T4_T5_mT6_T7_P12ihipStream_tbENKUlT_T0_E_clISt17integral_constantIbLb0EES13_EEDaSY_SZ_EUlSY_E_NS1_11comp_targetILNS1_3genE2ELNS1_11target_archE906ELNS1_3gpuE6ELNS1_3repE0EEENS1_30default_config_static_selectorELNS0_4arch9wavefront6targetE0EEEvT1_,"axG",@progbits,_ZN7rocprim17ROCPRIM_400000_NS6detail17trampoline_kernelINS0_14default_configENS1_27scan_by_key_config_selectorIifEEZZNS1_16scan_by_key_implILNS1_25lookback_scan_determinismE0ELb1ES3_N6thrust23THRUST_200600_302600_NS6detail15normal_iteratorINS9_10device_ptrIiEEEENSB_INSC_IjEEEENSB_INSC_IfEEEEfNS9_4plusIvEENS9_8equal_toIvEEfEE10hipError_tPvRmT2_T3_T4_T5_mT6_T7_P12ihipStream_tbENKUlT_T0_E_clISt17integral_constantIbLb0EES13_EEDaSY_SZ_EUlSY_E_NS1_11comp_targetILNS1_3genE2ELNS1_11target_archE906ELNS1_3gpuE6ELNS1_3repE0EEENS1_30default_config_static_selectorELNS0_4arch9wavefront6targetE0EEEvT1_,comdat
.Lfunc_end1685:
	.size	_ZN7rocprim17ROCPRIM_400000_NS6detail17trampoline_kernelINS0_14default_configENS1_27scan_by_key_config_selectorIifEEZZNS1_16scan_by_key_implILNS1_25lookback_scan_determinismE0ELb1ES3_N6thrust23THRUST_200600_302600_NS6detail15normal_iteratorINS9_10device_ptrIiEEEENSB_INSC_IjEEEENSB_INSC_IfEEEEfNS9_4plusIvEENS9_8equal_toIvEEfEE10hipError_tPvRmT2_T3_T4_T5_mT6_T7_P12ihipStream_tbENKUlT_T0_E_clISt17integral_constantIbLb0EES13_EEDaSY_SZ_EUlSY_E_NS1_11comp_targetILNS1_3genE2ELNS1_11target_archE906ELNS1_3gpuE6ELNS1_3repE0EEENS1_30default_config_static_selectorELNS0_4arch9wavefront6targetE0EEEvT1_, .Lfunc_end1685-_ZN7rocprim17ROCPRIM_400000_NS6detail17trampoline_kernelINS0_14default_configENS1_27scan_by_key_config_selectorIifEEZZNS1_16scan_by_key_implILNS1_25lookback_scan_determinismE0ELb1ES3_N6thrust23THRUST_200600_302600_NS6detail15normal_iteratorINS9_10device_ptrIiEEEENSB_INSC_IjEEEENSB_INSC_IfEEEEfNS9_4plusIvEENS9_8equal_toIvEEfEE10hipError_tPvRmT2_T3_T4_T5_mT6_T7_P12ihipStream_tbENKUlT_T0_E_clISt17integral_constantIbLb0EES13_EEDaSY_SZ_EUlSY_E_NS1_11comp_targetILNS1_3genE2ELNS1_11target_archE906ELNS1_3gpuE6ELNS1_3repE0EEENS1_30default_config_static_selectorELNS0_4arch9wavefront6targetE0EEEvT1_
                                        ; -- End function
	.set _ZN7rocprim17ROCPRIM_400000_NS6detail17trampoline_kernelINS0_14default_configENS1_27scan_by_key_config_selectorIifEEZZNS1_16scan_by_key_implILNS1_25lookback_scan_determinismE0ELb1ES3_N6thrust23THRUST_200600_302600_NS6detail15normal_iteratorINS9_10device_ptrIiEEEENSB_INSC_IjEEEENSB_INSC_IfEEEEfNS9_4plusIvEENS9_8equal_toIvEEfEE10hipError_tPvRmT2_T3_T4_T5_mT6_T7_P12ihipStream_tbENKUlT_T0_E_clISt17integral_constantIbLb0EES13_EEDaSY_SZ_EUlSY_E_NS1_11comp_targetILNS1_3genE2ELNS1_11target_archE906ELNS1_3gpuE6ELNS1_3repE0EEENS1_30default_config_static_selectorELNS0_4arch9wavefront6targetE0EEEvT1_.num_vgpr, 0
	.set _ZN7rocprim17ROCPRIM_400000_NS6detail17trampoline_kernelINS0_14default_configENS1_27scan_by_key_config_selectorIifEEZZNS1_16scan_by_key_implILNS1_25lookback_scan_determinismE0ELb1ES3_N6thrust23THRUST_200600_302600_NS6detail15normal_iteratorINS9_10device_ptrIiEEEENSB_INSC_IjEEEENSB_INSC_IfEEEEfNS9_4plusIvEENS9_8equal_toIvEEfEE10hipError_tPvRmT2_T3_T4_T5_mT6_T7_P12ihipStream_tbENKUlT_T0_E_clISt17integral_constantIbLb0EES13_EEDaSY_SZ_EUlSY_E_NS1_11comp_targetILNS1_3genE2ELNS1_11target_archE906ELNS1_3gpuE6ELNS1_3repE0EEENS1_30default_config_static_selectorELNS0_4arch9wavefront6targetE0EEEvT1_.num_agpr, 0
	.set _ZN7rocprim17ROCPRIM_400000_NS6detail17trampoline_kernelINS0_14default_configENS1_27scan_by_key_config_selectorIifEEZZNS1_16scan_by_key_implILNS1_25lookback_scan_determinismE0ELb1ES3_N6thrust23THRUST_200600_302600_NS6detail15normal_iteratorINS9_10device_ptrIiEEEENSB_INSC_IjEEEENSB_INSC_IfEEEEfNS9_4plusIvEENS9_8equal_toIvEEfEE10hipError_tPvRmT2_T3_T4_T5_mT6_T7_P12ihipStream_tbENKUlT_T0_E_clISt17integral_constantIbLb0EES13_EEDaSY_SZ_EUlSY_E_NS1_11comp_targetILNS1_3genE2ELNS1_11target_archE906ELNS1_3gpuE6ELNS1_3repE0EEENS1_30default_config_static_selectorELNS0_4arch9wavefront6targetE0EEEvT1_.numbered_sgpr, 0
	.set _ZN7rocprim17ROCPRIM_400000_NS6detail17trampoline_kernelINS0_14default_configENS1_27scan_by_key_config_selectorIifEEZZNS1_16scan_by_key_implILNS1_25lookback_scan_determinismE0ELb1ES3_N6thrust23THRUST_200600_302600_NS6detail15normal_iteratorINS9_10device_ptrIiEEEENSB_INSC_IjEEEENSB_INSC_IfEEEEfNS9_4plusIvEENS9_8equal_toIvEEfEE10hipError_tPvRmT2_T3_T4_T5_mT6_T7_P12ihipStream_tbENKUlT_T0_E_clISt17integral_constantIbLb0EES13_EEDaSY_SZ_EUlSY_E_NS1_11comp_targetILNS1_3genE2ELNS1_11target_archE906ELNS1_3gpuE6ELNS1_3repE0EEENS1_30default_config_static_selectorELNS0_4arch9wavefront6targetE0EEEvT1_.num_named_barrier, 0
	.set _ZN7rocprim17ROCPRIM_400000_NS6detail17trampoline_kernelINS0_14default_configENS1_27scan_by_key_config_selectorIifEEZZNS1_16scan_by_key_implILNS1_25lookback_scan_determinismE0ELb1ES3_N6thrust23THRUST_200600_302600_NS6detail15normal_iteratorINS9_10device_ptrIiEEEENSB_INSC_IjEEEENSB_INSC_IfEEEEfNS9_4plusIvEENS9_8equal_toIvEEfEE10hipError_tPvRmT2_T3_T4_T5_mT6_T7_P12ihipStream_tbENKUlT_T0_E_clISt17integral_constantIbLb0EES13_EEDaSY_SZ_EUlSY_E_NS1_11comp_targetILNS1_3genE2ELNS1_11target_archE906ELNS1_3gpuE6ELNS1_3repE0EEENS1_30default_config_static_selectorELNS0_4arch9wavefront6targetE0EEEvT1_.private_seg_size, 0
	.set _ZN7rocprim17ROCPRIM_400000_NS6detail17trampoline_kernelINS0_14default_configENS1_27scan_by_key_config_selectorIifEEZZNS1_16scan_by_key_implILNS1_25lookback_scan_determinismE0ELb1ES3_N6thrust23THRUST_200600_302600_NS6detail15normal_iteratorINS9_10device_ptrIiEEEENSB_INSC_IjEEEENSB_INSC_IfEEEEfNS9_4plusIvEENS9_8equal_toIvEEfEE10hipError_tPvRmT2_T3_T4_T5_mT6_T7_P12ihipStream_tbENKUlT_T0_E_clISt17integral_constantIbLb0EES13_EEDaSY_SZ_EUlSY_E_NS1_11comp_targetILNS1_3genE2ELNS1_11target_archE906ELNS1_3gpuE6ELNS1_3repE0EEENS1_30default_config_static_selectorELNS0_4arch9wavefront6targetE0EEEvT1_.uses_vcc, 0
	.set _ZN7rocprim17ROCPRIM_400000_NS6detail17trampoline_kernelINS0_14default_configENS1_27scan_by_key_config_selectorIifEEZZNS1_16scan_by_key_implILNS1_25lookback_scan_determinismE0ELb1ES3_N6thrust23THRUST_200600_302600_NS6detail15normal_iteratorINS9_10device_ptrIiEEEENSB_INSC_IjEEEENSB_INSC_IfEEEEfNS9_4plusIvEENS9_8equal_toIvEEfEE10hipError_tPvRmT2_T3_T4_T5_mT6_T7_P12ihipStream_tbENKUlT_T0_E_clISt17integral_constantIbLb0EES13_EEDaSY_SZ_EUlSY_E_NS1_11comp_targetILNS1_3genE2ELNS1_11target_archE906ELNS1_3gpuE6ELNS1_3repE0EEENS1_30default_config_static_selectorELNS0_4arch9wavefront6targetE0EEEvT1_.uses_flat_scratch, 0
	.set _ZN7rocprim17ROCPRIM_400000_NS6detail17trampoline_kernelINS0_14default_configENS1_27scan_by_key_config_selectorIifEEZZNS1_16scan_by_key_implILNS1_25lookback_scan_determinismE0ELb1ES3_N6thrust23THRUST_200600_302600_NS6detail15normal_iteratorINS9_10device_ptrIiEEEENSB_INSC_IjEEEENSB_INSC_IfEEEEfNS9_4plusIvEENS9_8equal_toIvEEfEE10hipError_tPvRmT2_T3_T4_T5_mT6_T7_P12ihipStream_tbENKUlT_T0_E_clISt17integral_constantIbLb0EES13_EEDaSY_SZ_EUlSY_E_NS1_11comp_targetILNS1_3genE2ELNS1_11target_archE906ELNS1_3gpuE6ELNS1_3repE0EEENS1_30default_config_static_selectorELNS0_4arch9wavefront6targetE0EEEvT1_.has_dyn_sized_stack, 0
	.set _ZN7rocprim17ROCPRIM_400000_NS6detail17trampoline_kernelINS0_14default_configENS1_27scan_by_key_config_selectorIifEEZZNS1_16scan_by_key_implILNS1_25lookback_scan_determinismE0ELb1ES3_N6thrust23THRUST_200600_302600_NS6detail15normal_iteratorINS9_10device_ptrIiEEEENSB_INSC_IjEEEENSB_INSC_IfEEEEfNS9_4plusIvEENS9_8equal_toIvEEfEE10hipError_tPvRmT2_T3_T4_T5_mT6_T7_P12ihipStream_tbENKUlT_T0_E_clISt17integral_constantIbLb0EES13_EEDaSY_SZ_EUlSY_E_NS1_11comp_targetILNS1_3genE2ELNS1_11target_archE906ELNS1_3gpuE6ELNS1_3repE0EEENS1_30default_config_static_selectorELNS0_4arch9wavefront6targetE0EEEvT1_.has_recursion, 0
	.set _ZN7rocprim17ROCPRIM_400000_NS6detail17trampoline_kernelINS0_14default_configENS1_27scan_by_key_config_selectorIifEEZZNS1_16scan_by_key_implILNS1_25lookback_scan_determinismE0ELb1ES3_N6thrust23THRUST_200600_302600_NS6detail15normal_iteratorINS9_10device_ptrIiEEEENSB_INSC_IjEEEENSB_INSC_IfEEEEfNS9_4plusIvEENS9_8equal_toIvEEfEE10hipError_tPvRmT2_T3_T4_T5_mT6_T7_P12ihipStream_tbENKUlT_T0_E_clISt17integral_constantIbLb0EES13_EEDaSY_SZ_EUlSY_E_NS1_11comp_targetILNS1_3genE2ELNS1_11target_archE906ELNS1_3gpuE6ELNS1_3repE0EEENS1_30default_config_static_selectorELNS0_4arch9wavefront6targetE0EEEvT1_.has_indirect_call, 0
	.section	.AMDGPU.csdata,"",@progbits
; Kernel info:
; codeLenInByte = 0
; TotalNumSgprs: 0
; NumVgprs: 0
; ScratchSize: 0
; MemoryBound: 0
; FloatMode: 240
; IeeeMode: 1
; LDSByteSize: 0 bytes/workgroup (compile time only)
; SGPRBlocks: 0
; VGPRBlocks: 0
; NumSGPRsForWavesPerEU: 1
; NumVGPRsForWavesPerEU: 1
; Occupancy: 16
; WaveLimiterHint : 0
; COMPUTE_PGM_RSRC2:SCRATCH_EN: 0
; COMPUTE_PGM_RSRC2:USER_SGPR: 6
; COMPUTE_PGM_RSRC2:TRAP_HANDLER: 0
; COMPUTE_PGM_RSRC2:TGID_X_EN: 1
; COMPUTE_PGM_RSRC2:TGID_Y_EN: 0
; COMPUTE_PGM_RSRC2:TGID_Z_EN: 0
; COMPUTE_PGM_RSRC2:TIDIG_COMP_CNT: 0
	.section	.text._ZN7rocprim17ROCPRIM_400000_NS6detail17trampoline_kernelINS0_14default_configENS1_27scan_by_key_config_selectorIifEEZZNS1_16scan_by_key_implILNS1_25lookback_scan_determinismE0ELb1ES3_N6thrust23THRUST_200600_302600_NS6detail15normal_iteratorINS9_10device_ptrIiEEEENSB_INSC_IjEEEENSB_INSC_IfEEEEfNS9_4plusIvEENS9_8equal_toIvEEfEE10hipError_tPvRmT2_T3_T4_T5_mT6_T7_P12ihipStream_tbENKUlT_T0_E_clISt17integral_constantIbLb0EES13_EEDaSY_SZ_EUlSY_E_NS1_11comp_targetILNS1_3genE10ELNS1_11target_archE1200ELNS1_3gpuE4ELNS1_3repE0EEENS1_30default_config_static_selectorELNS0_4arch9wavefront6targetE0EEEvT1_,"axG",@progbits,_ZN7rocprim17ROCPRIM_400000_NS6detail17trampoline_kernelINS0_14default_configENS1_27scan_by_key_config_selectorIifEEZZNS1_16scan_by_key_implILNS1_25lookback_scan_determinismE0ELb1ES3_N6thrust23THRUST_200600_302600_NS6detail15normal_iteratorINS9_10device_ptrIiEEEENSB_INSC_IjEEEENSB_INSC_IfEEEEfNS9_4plusIvEENS9_8equal_toIvEEfEE10hipError_tPvRmT2_T3_T4_T5_mT6_T7_P12ihipStream_tbENKUlT_T0_E_clISt17integral_constantIbLb0EES13_EEDaSY_SZ_EUlSY_E_NS1_11comp_targetILNS1_3genE10ELNS1_11target_archE1200ELNS1_3gpuE4ELNS1_3repE0EEENS1_30default_config_static_selectorELNS0_4arch9wavefront6targetE0EEEvT1_,comdat
	.protected	_ZN7rocprim17ROCPRIM_400000_NS6detail17trampoline_kernelINS0_14default_configENS1_27scan_by_key_config_selectorIifEEZZNS1_16scan_by_key_implILNS1_25lookback_scan_determinismE0ELb1ES3_N6thrust23THRUST_200600_302600_NS6detail15normal_iteratorINS9_10device_ptrIiEEEENSB_INSC_IjEEEENSB_INSC_IfEEEEfNS9_4plusIvEENS9_8equal_toIvEEfEE10hipError_tPvRmT2_T3_T4_T5_mT6_T7_P12ihipStream_tbENKUlT_T0_E_clISt17integral_constantIbLb0EES13_EEDaSY_SZ_EUlSY_E_NS1_11comp_targetILNS1_3genE10ELNS1_11target_archE1200ELNS1_3gpuE4ELNS1_3repE0EEENS1_30default_config_static_selectorELNS0_4arch9wavefront6targetE0EEEvT1_ ; -- Begin function _ZN7rocprim17ROCPRIM_400000_NS6detail17trampoline_kernelINS0_14default_configENS1_27scan_by_key_config_selectorIifEEZZNS1_16scan_by_key_implILNS1_25lookback_scan_determinismE0ELb1ES3_N6thrust23THRUST_200600_302600_NS6detail15normal_iteratorINS9_10device_ptrIiEEEENSB_INSC_IjEEEENSB_INSC_IfEEEEfNS9_4plusIvEENS9_8equal_toIvEEfEE10hipError_tPvRmT2_T3_T4_T5_mT6_T7_P12ihipStream_tbENKUlT_T0_E_clISt17integral_constantIbLb0EES13_EEDaSY_SZ_EUlSY_E_NS1_11comp_targetILNS1_3genE10ELNS1_11target_archE1200ELNS1_3gpuE4ELNS1_3repE0EEENS1_30default_config_static_selectorELNS0_4arch9wavefront6targetE0EEEvT1_
	.globl	_ZN7rocprim17ROCPRIM_400000_NS6detail17trampoline_kernelINS0_14default_configENS1_27scan_by_key_config_selectorIifEEZZNS1_16scan_by_key_implILNS1_25lookback_scan_determinismE0ELb1ES3_N6thrust23THRUST_200600_302600_NS6detail15normal_iteratorINS9_10device_ptrIiEEEENSB_INSC_IjEEEENSB_INSC_IfEEEEfNS9_4plusIvEENS9_8equal_toIvEEfEE10hipError_tPvRmT2_T3_T4_T5_mT6_T7_P12ihipStream_tbENKUlT_T0_E_clISt17integral_constantIbLb0EES13_EEDaSY_SZ_EUlSY_E_NS1_11comp_targetILNS1_3genE10ELNS1_11target_archE1200ELNS1_3gpuE4ELNS1_3repE0EEENS1_30default_config_static_selectorELNS0_4arch9wavefront6targetE0EEEvT1_
	.p2align	8
	.type	_ZN7rocprim17ROCPRIM_400000_NS6detail17trampoline_kernelINS0_14default_configENS1_27scan_by_key_config_selectorIifEEZZNS1_16scan_by_key_implILNS1_25lookback_scan_determinismE0ELb1ES3_N6thrust23THRUST_200600_302600_NS6detail15normal_iteratorINS9_10device_ptrIiEEEENSB_INSC_IjEEEENSB_INSC_IfEEEEfNS9_4plusIvEENS9_8equal_toIvEEfEE10hipError_tPvRmT2_T3_T4_T5_mT6_T7_P12ihipStream_tbENKUlT_T0_E_clISt17integral_constantIbLb0EES13_EEDaSY_SZ_EUlSY_E_NS1_11comp_targetILNS1_3genE10ELNS1_11target_archE1200ELNS1_3gpuE4ELNS1_3repE0EEENS1_30default_config_static_selectorELNS0_4arch9wavefront6targetE0EEEvT1_,@function
_ZN7rocprim17ROCPRIM_400000_NS6detail17trampoline_kernelINS0_14default_configENS1_27scan_by_key_config_selectorIifEEZZNS1_16scan_by_key_implILNS1_25lookback_scan_determinismE0ELb1ES3_N6thrust23THRUST_200600_302600_NS6detail15normal_iteratorINS9_10device_ptrIiEEEENSB_INSC_IjEEEENSB_INSC_IfEEEEfNS9_4plusIvEENS9_8equal_toIvEEfEE10hipError_tPvRmT2_T3_T4_T5_mT6_T7_P12ihipStream_tbENKUlT_T0_E_clISt17integral_constantIbLb0EES13_EEDaSY_SZ_EUlSY_E_NS1_11comp_targetILNS1_3genE10ELNS1_11target_archE1200ELNS1_3gpuE4ELNS1_3repE0EEENS1_30default_config_static_selectorELNS0_4arch9wavefront6targetE0EEEvT1_: ; @_ZN7rocprim17ROCPRIM_400000_NS6detail17trampoline_kernelINS0_14default_configENS1_27scan_by_key_config_selectorIifEEZZNS1_16scan_by_key_implILNS1_25lookback_scan_determinismE0ELb1ES3_N6thrust23THRUST_200600_302600_NS6detail15normal_iteratorINS9_10device_ptrIiEEEENSB_INSC_IjEEEENSB_INSC_IfEEEEfNS9_4plusIvEENS9_8equal_toIvEEfEE10hipError_tPvRmT2_T3_T4_T5_mT6_T7_P12ihipStream_tbENKUlT_T0_E_clISt17integral_constantIbLb0EES13_EEDaSY_SZ_EUlSY_E_NS1_11comp_targetILNS1_3genE10ELNS1_11target_archE1200ELNS1_3gpuE4ELNS1_3repE0EEENS1_30default_config_static_selectorELNS0_4arch9wavefront6targetE0EEEvT1_
; %bb.0:
	.section	.rodata,"a",@progbits
	.p2align	6, 0x0
	.amdhsa_kernel _ZN7rocprim17ROCPRIM_400000_NS6detail17trampoline_kernelINS0_14default_configENS1_27scan_by_key_config_selectorIifEEZZNS1_16scan_by_key_implILNS1_25lookback_scan_determinismE0ELb1ES3_N6thrust23THRUST_200600_302600_NS6detail15normal_iteratorINS9_10device_ptrIiEEEENSB_INSC_IjEEEENSB_INSC_IfEEEEfNS9_4plusIvEENS9_8equal_toIvEEfEE10hipError_tPvRmT2_T3_T4_T5_mT6_T7_P12ihipStream_tbENKUlT_T0_E_clISt17integral_constantIbLb0EES13_EEDaSY_SZ_EUlSY_E_NS1_11comp_targetILNS1_3genE10ELNS1_11target_archE1200ELNS1_3gpuE4ELNS1_3repE0EEENS1_30default_config_static_selectorELNS0_4arch9wavefront6targetE0EEEvT1_
		.amdhsa_group_segment_fixed_size 0
		.amdhsa_private_segment_fixed_size 0
		.amdhsa_kernarg_size 112
		.amdhsa_user_sgpr_count 6
		.amdhsa_user_sgpr_private_segment_buffer 1
		.amdhsa_user_sgpr_dispatch_ptr 0
		.amdhsa_user_sgpr_queue_ptr 0
		.amdhsa_user_sgpr_kernarg_segment_ptr 1
		.amdhsa_user_sgpr_dispatch_id 0
		.amdhsa_user_sgpr_flat_scratch_init 0
		.amdhsa_user_sgpr_private_segment_size 0
		.amdhsa_wavefront_size32 1
		.amdhsa_uses_dynamic_stack 0
		.amdhsa_system_sgpr_private_segment_wavefront_offset 0
		.amdhsa_system_sgpr_workgroup_id_x 1
		.amdhsa_system_sgpr_workgroup_id_y 0
		.amdhsa_system_sgpr_workgroup_id_z 0
		.amdhsa_system_sgpr_workgroup_info 0
		.amdhsa_system_vgpr_workitem_id 0
		.amdhsa_next_free_vgpr 1
		.amdhsa_next_free_sgpr 1
		.amdhsa_reserve_vcc 0
		.amdhsa_reserve_flat_scratch 0
		.amdhsa_float_round_mode_32 0
		.amdhsa_float_round_mode_16_64 0
		.amdhsa_float_denorm_mode_32 3
		.amdhsa_float_denorm_mode_16_64 3
		.amdhsa_dx10_clamp 1
		.amdhsa_ieee_mode 1
		.amdhsa_fp16_overflow 0
		.amdhsa_workgroup_processor_mode 1
		.amdhsa_memory_ordered 1
		.amdhsa_forward_progress 1
		.amdhsa_shared_vgpr_count 0
		.amdhsa_exception_fp_ieee_invalid_op 0
		.amdhsa_exception_fp_denorm_src 0
		.amdhsa_exception_fp_ieee_div_zero 0
		.amdhsa_exception_fp_ieee_overflow 0
		.amdhsa_exception_fp_ieee_underflow 0
		.amdhsa_exception_fp_ieee_inexact 0
		.amdhsa_exception_int_div_zero 0
	.end_amdhsa_kernel
	.section	.text._ZN7rocprim17ROCPRIM_400000_NS6detail17trampoline_kernelINS0_14default_configENS1_27scan_by_key_config_selectorIifEEZZNS1_16scan_by_key_implILNS1_25lookback_scan_determinismE0ELb1ES3_N6thrust23THRUST_200600_302600_NS6detail15normal_iteratorINS9_10device_ptrIiEEEENSB_INSC_IjEEEENSB_INSC_IfEEEEfNS9_4plusIvEENS9_8equal_toIvEEfEE10hipError_tPvRmT2_T3_T4_T5_mT6_T7_P12ihipStream_tbENKUlT_T0_E_clISt17integral_constantIbLb0EES13_EEDaSY_SZ_EUlSY_E_NS1_11comp_targetILNS1_3genE10ELNS1_11target_archE1200ELNS1_3gpuE4ELNS1_3repE0EEENS1_30default_config_static_selectorELNS0_4arch9wavefront6targetE0EEEvT1_,"axG",@progbits,_ZN7rocprim17ROCPRIM_400000_NS6detail17trampoline_kernelINS0_14default_configENS1_27scan_by_key_config_selectorIifEEZZNS1_16scan_by_key_implILNS1_25lookback_scan_determinismE0ELb1ES3_N6thrust23THRUST_200600_302600_NS6detail15normal_iteratorINS9_10device_ptrIiEEEENSB_INSC_IjEEEENSB_INSC_IfEEEEfNS9_4plusIvEENS9_8equal_toIvEEfEE10hipError_tPvRmT2_T3_T4_T5_mT6_T7_P12ihipStream_tbENKUlT_T0_E_clISt17integral_constantIbLb0EES13_EEDaSY_SZ_EUlSY_E_NS1_11comp_targetILNS1_3genE10ELNS1_11target_archE1200ELNS1_3gpuE4ELNS1_3repE0EEENS1_30default_config_static_selectorELNS0_4arch9wavefront6targetE0EEEvT1_,comdat
.Lfunc_end1686:
	.size	_ZN7rocprim17ROCPRIM_400000_NS6detail17trampoline_kernelINS0_14default_configENS1_27scan_by_key_config_selectorIifEEZZNS1_16scan_by_key_implILNS1_25lookback_scan_determinismE0ELb1ES3_N6thrust23THRUST_200600_302600_NS6detail15normal_iteratorINS9_10device_ptrIiEEEENSB_INSC_IjEEEENSB_INSC_IfEEEEfNS9_4plusIvEENS9_8equal_toIvEEfEE10hipError_tPvRmT2_T3_T4_T5_mT6_T7_P12ihipStream_tbENKUlT_T0_E_clISt17integral_constantIbLb0EES13_EEDaSY_SZ_EUlSY_E_NS1_11comp_targetILNS1_3genE10ELNS1_11target_archE1200ELNS1_3gpuE4ELNS1_3repE0EEENS1_30default_config_static_selectorELNS0_4arch9wavefront6targetE0EEEvT1_, .Lfunc_end1686-_ZN7rocprim17ROCPRIM_400000_NS6detail17trampoline_kernelINS0_14default_configENS1_27scan_by_key_config_selectorIifEEZZNS1_16scan_by_key_implILNS1_25lookback_scan_determinismE0ELb1ES3_N6thrust23THRUST_200600_302600_NS6detail15normal_iteratorINS9_10device_ptrIiEEEENSB_INSC_IjEEEENSB_INSC_IfEEEEfNS9_4plusIvEENS9_8equal_toIvEEfEE10hipError_tPvRmT2_T3_T4_T5_mT6_T7_P12ihipStream_tbENKUlT_T0_E_clISt17integral_constantIbLb0EES13_EEDaSY_SZ_EUlSY_E_NS1_11comp_targetILNS1_3genE10ELNS1_11target_archE1200ELNS1_3gpuE4ELNS1_3repE0EEENS1_30default_config_static_selectorELNS0_4arch9wavefront6targetE0EEEvT1_
                                        ; -- End function
	.set _ZN7rocprim17ROCPRIM_400000_NS6detail17trampoline_kernelINS0_14default_configENS1_27scan_by_key_config_selectorIifEEZZNS1_16scan_by_key_implILNS1_25lookback_scan_determinismE0ELb1ES3_N6thrust23THRUST_200600_302600_NS6detail15normal_iteratorINS9_10device_ptrIiEEEENSB_INSC_IjEEEENSB_INSC_IfEEEEfNS9_4plusIvEENS9_8equal_toIvEEfEE10hipError_tPvRmT2_T3_T4_T5_mT6_T7_P12ihipStream_tbENKUlT_T0_E_clISt17integral_constantIbLb0EES13_EEDaSY_SZ_EUlSY_E_NS1_11comp_targetILNS1_3genE10ELNS1_11target_archE1200ELNS1_3gpuE4ELNS1_3repE0EEENS1_30default_config_static_selectorELNS0_4arch9wavefront6targetE0EEEvT1_.num_vgpr, 0
	.set _ZN7rocprim17ROCPRIM_400000_NS6detail17trampoline_kernelINS0_14default_configENS1_27scan_by_key_config_selectorIifEEZZNS1_16scan_by_key_implILNS1_25lookback_scan_determinismE0ELb1ES3_N6thrust23THRUST_200600_302600_NS6detail15normal_iteratorINS9_10device_ptrIiEEEENSB_INSC_IjEEEENSB_INSC_IfEEEEfNS9_4plusIvEENS9_8equal_toIvEEfEE10hipError_tPvRmT2_T3_T4_T5_mT6_T7_P12ihipStream_tbENKUlT_T0_E_clISt17integral_constantIbLb0EES13_EEDaSY_SZ_EUlSY_E_NS1_11comp_targetILNS1_3genE10ELNS1_11target_archE1200ELNS1_3gpuE4ELNS1_3repE0EEENS1_30default_config_static_selectorELNS0_4arch9wavefront6targetE0EEEvT1_.num_agpr, 0
	.set _ZN7rocprim17ROCPRIM_400000_NS6detail17trampoline_kernelINS0_14default_configENS1_27scan_by_key_config_selectorIifEEZZNS1_16scan_by_key_implILNS1_25lookback_scan_determinismE0ELb1ES3_N6thrust23THRUST_200600_302600_NS6detail15normal_iteratorINS9_10device_ptrIiEEEENSB_INSC_IjEEEENSB_INSC_IfEEEEfNS9_4plusIvEENS9_8equal_toIvEEfEE10hipError_tPvRmT2_T3_T4_T5_mT6_T7_P12ihipStream_tbENKUlT_T0_E_clISt17integral_constantIbLb0EES13_EEDaSY_SZ_EUlSY_E_NS1_11comp_targetILNS1_3genE10ELNS1_11target_archE1200ELNS1_3gpuE4ELNS1_3repE0EEENS1_30default_config_static_selectorELNS0_4arch9wavefront6targetE0EEEvT1_.numbered_sgpr, 0
	.set _ZN7rocprim17ROCPRIM_400000_NS6detail17trampoline_kernelINS0_14default_configENS1_27scan_by_key_config_selectorIifEEZZNS1_16scan_by_key_implILNS1_25lookback_scan_determinismE0ELb1ES3_N6thrust23THRUST_200600_302600_NS6detail15normal_iteratorINS9_10device_ptrIiEEEENSB_INSC_IjEEEENSB_INSC_IfEEEEfNS9_4plusIvEENS9_8equal_toIvEEfEE10hipError_tPvRmT2_T3_T4_T5_mT6_T7_P12ihipStream_tbENKUlT_T0_E_clISt17integral_constantIbLb0EES13_EEDaSY_SZ_EUlSY_E_NS1_11comp_targetILNS1_3genE10ELNS1_11target_archE1200ELNS1_3gpuE4ELNS1_3repE0EEENS1_30default_config_static_selectorELNS0_4arch9wavefront6targetE0EEEvT1_.num_named_barrier, 0
	.set _ZN7rocprim17ROCPRIM_400000_NS6detail17trampoline_kernelINS0_14default_configENS1_27scan_by_key_config_selectorIifEEZZNS1_16scan_by_key_implILNS1_25lookback_scan_determinismE0ELb1ES3_N6thrust23THRUST_200600_302600_NS6detail15normal_iteratorINS9_10device_ptrIiEEEENSB_INSC_IjEEEENSB_INSC_IfEEEEfNS9_4plusIvEENS9_8equal_toIvEEfEE10hipError_tPvRmT2_T3_T4_T5_mT6_T7_P12ihipStream_tbENKUlT_T0_E_clISt17integral_constantIbLb0EES13_EEDaSY_SZ_EUlSY_E_NS1_11comp_targetILNS1_3genE10ELNS1_11target_archE1200ELNS1_3gpuE4ELNS1_3repE0EEENS1_30default_config_static_selectorELNS0_4arch9wavefront6targetE0EEEvT1_.private_seg_size, 0
	.set _ZN7rocprim17ROCPRIM_400000_NS6detail17trampoline_kernelINS0_14default_configENS1_27scan_by_key_config_selectorIifEEZZNS1_16scan_by_key_implILNS1_25lookback_scan_determinismE0ELb1ES3_N6thrust23THRUST_200600_302600_NS6detail15normal_iteratorINS9_10device_ptrIiEEEENSB_INSC_IjEEEENSB_INSC_IfEEEEfNS9_4plusIvEENS9_8equal_toIvEEfEE10hipError_tPvRmT2_T3_T4_T5_mT6_T7_P12ihipStream_tbENKUlT_T0_E_clISt17integral_constantIbLb0EES13_EEDaSY_SZ_EUlSY_E_NS1_11comp_targetILNS1_3genE10ELNS1_11target_archE1200ELNS1_3gpuE4ELNS1_3repE0EEENS1_30default_config_static_selectorELNS0_4arch9wavefront6targetE0EEEvT1_.uses_vcc, 0
	.set _ZN7rocprim17ROCPRIM_400000_NS6detail17trampoline_kernelINS0_14default_configENS1_27scan_by_key_config_selectorIifEEZZNS1_16scan_by_key_implILNS1_25lookback_scan_determinismE0ELb1ES3_N6thrust23THRUST_200600_302600_NS6detail15normal_iteratorINS9_10device_ptrIiEEEENSB_INSC_IjEEEENSB_INSC_IfEEEEfNS9_4plusIvEENS9_8equal_toIvEEfEE10hipError_tPvRmT2_T3_T4_T5_mT6_T7_P12ihipStream_tbENKUlT_T0_E_clISt17integral_constantIbLb0EES13_EEDaSY_SZ_EUlSY_E_NS1_11comp_targetILNS1_3genE10ELNS1_11target_archE1200ELNS1_3gpuE4ELNS1_3repE0EEENS1_30default_config_static_selectorELNS0_4arch9wavefront6targetE0EEEvT1_.uses_flat_scratch, 0
	.set _ZN7rocprim17ROCPRIM_400000_NS6detail17trampoline_kernelINS0_14default_configENS1_27scan_by_key_config_selectorIifEEZZNS1_16scan_by_key_implILNS1_25lookback_scan_determinismE0ELb1ES3_N6thrust23THRUST_200600_302600_NS6detail15normal_iteratorINS9_10device_ptrIiEEEENSB_INSC_IjEEEENSB_INSC_IfEEEEfNS9_4plusIvEENS9_8equal_toIvEEfEE10hipError_tPvRmT2_T3_T4_T5_mT6_T7_P12ihipStream_tbENKUlT_T0_E_clISt17integral_constantIbLb0EES13_EEDaSY_SZ_EUlSY_E_NS1_11comp_targetILNS1_3genE10ELNS1_11target_archE1200ELNS1_3gpuE4ELNS1_3repE0EEENS1_30default_config_static_selectorELNS0_4arch9wavefront6targetE0EEEvT1_.has_dyn_sized_stack, 0
	.set _ZN7rocprim17ROCPRIM_400000_NS6detail17trampoline_kernelINS0_14default_configENS1_27scan_by_key_config_selectorIifEEZZNS1_16scan_by_key_implILNS1_25lookback_scan_determinismE0ELb1ES3_N6thrust23THRUST_200600_302600_NS6detail15normal_iteratorINS9_10device_ptrIiEEEENSB_INSC_IjEEEENSB_INSC_IfEEEEfNS9_4plusIvEENS9_8equal_toIvEEfEE10hipError_tPvRmT2_T3_T4_T5_mT6_T7_P12ihipStream_tbENKUlT_T0_E_clISt17integral_constantIbLb0EES13_EEDaSY_SZ_EUlSY_E_NS1_11comp_targetILNS1_3genE10ELNS1_11target_archE1200ELNS1_3gpuE4ELNS1_3repE0EEENS1_30default_config_static_selectorELNS0_4arch9wavefront6targetE0EEEvT1_.has_recursion, 0
	.set _ZN7rocprim17ROCPRIM_400000_NS6detail17trampoline_kernelINS0_14default_configENS1_27scan_by_key_config_selectorIifEEZZNS1_16scan_by_key_implILNS1_25lookback_scan_determinismE0ELb1ES3_N6thrust23THRUST_200600_302600_NS6detail15normal_iteratorINS9_10device_ptrIiEEEENSB_INSC_IjEEEENSB_INSC_IfEEEEfNS9_4plusIvEENS9_8equal_toIvEEfEE10hipError_tPvRmT2_T3_T4_T5_mT6_T7_P12ihipStream_tbENKUlT_T0_E_clISt17integral_constantIbLb0EES13_EEDaSY_SZ_EUlSY_E_NS1_11comp_targetILNS1_3genE10ELNS1_11target_archE1200ELNS1_3gpuE4ELNS1_3repE0EEENS1_30default_config_static_selectorELNS0_4arch9wavefront6targetE0EEEvT1_.has_indirect_call, 0
	.section	.AMDGPU.csdata,"",@progbits
; Kernel info:
; codeLenInByte = 0
; TotalNumSgprs: 0
; NumVgprs: 0
; ScratchSize: 0
; MemoryBound: 0
; FloatMode: 240
; IeeeMode: 1
; LDSByteSize: 0 bytes/workgroup (compile time only)
; SGPRBlocks: 0
; VGPRBlocks: 0
; NumSGPRsForWavesPerEU: 1
; NumVGPRsForWavesPerEU: 1
; Occupancy: 16
; WaveLimiterHint : 0
; COMPUTE_PGM_RSRC2:SCRATCH_EN: 0
; COMPUTE_PGM_RSRC2:USER_SGPR: 6
; COMPUTE_PGM_RSRC2:TRAP_HANDLER: 0
; COMPUTE_PGM_RSRC2:TGID_X_EN: 1
; COMPUTE_PGM_RSRC2:TGID_Y_EN: 0
; COMPUTE_PGM_RSRC2:TGID_Z_EN: 0
; COMPUTE_PGM_RSRC2:TIDIG_COMP_CNT: 0
	.section	.text._ZN7rocprim17ROCPRIM_400000_NS6detail17trampoline_kernelINS0_14default_configENS1_27scan_by_key_config_selectorIifEEZZNS1_16scan_by_key_implILNS1_25lookback_scan_determinismE0ELb1ES3_N6thrust23THRUST_200600_302600_NS6detail15normal_iteratorINS9_10device_ptrIiEEEENSB_INSC_IjEEEENSB_INSC_IfEEEEfNS9_4plusIvEENS9_8equal_toIvEEfEE10hipError_tPvRmT2_T3_T4_T5_mT6_T7_P12ihipStream_tbENKUlT_T0_E_clISt17integral_constantIbLb0EES13_EEDaSY_SZ_EUlSY_E_NS1_11comp_targetILNS1_3genE9ELNS1_11target_archE1100ELNS1_3gpuE3ELNS1_3repE0EEENS1_30default_config_static_selectorELNS0_4arch9wavefront6targetE0EEEvT1_,"axG",@progbits,_ZN7rocprim17ROCPRIM_400000_NS6detail17trampoline_kernelINS0_14default_configENS1_27scan_by_key_config_selectorIifEEZZNS1_16scan_by_key_implILNS1_25lookback_scan_determinismE0ELb1ES3_N6thrust23THRUST_200600_302600_NS6detail15normal_iteratorINS9_10device_ptrIiEEEENSB_INSC_IjEEEENSB_INSC_IfEEEEfNS9_4plusIvEENS9_8equal_toIvEEfEE10hipError_tPvRmT2_T3_T4_T5_mT6_T7_P12ihipStream_tbENKUlT_T0_E_clISt17integral_constantIbLb0EES13_EEDaSY_SZ_EUlSY_E_NS1_11comp_targetILNS1_3genE9ELNS1_11target_archE1100ELNS1_3gpuE3ELNS1_3repE0EEENS1_30default_config_static_selectorELNS0_4arch9wavefront6targetE0EEEvT1_,comdat
	.protected	_ZN7rocprim17ROCPRIM_400000_NS6detail17trampoline_kernelINS0_14default_configENS1_27scan_by_key_config_selectorIifEEZZNS1_16scan_by_key_implILNS1_25lookback_scan_determinismE0ELb1ES3_N6thrust23THRUST_200600_302600_NS6detail15normal_iteratorINS9_10device_ptrIiEEEENSB_INSC_IjEEEENSB_INSC_IfEEEEfNS9_4plusIvEENS9_8equal_toIvEEfEE10hipError_tPvRmT2_T3_T4_T5_mT6_T7_P12ihipStream_tbENKUlT_T0_E_clISt17integral_constantIbLb0EES13_EEDaSY_SZ_EUlSY_E_NS1_11comp_targetILNS1_3genE9ELNS1_11target_archE1100ELNS1_3gpuE3ELNS1_3repE0EEENS1_30default_config_static_selectorELNS0_4arch9wavefront6targetE0EEEvT1_ ; -- Begin function _ZN7rocprim17ROCPRIM_400000_NS6detail17trampoline_kernelINS0_14default_configENS1_27scan_by_key_config_selectorIifEEZZNS1_16scan_by_key_implILNS1_25lookback_scan_determinismE0ELb1ES3_N6thrust23THRUST_200600_302600_NS6detail15normal_iteratorINS9_10device_ptrIiEEEENSB_INSC_IjEEEENSB_INSC_IfEEEEfNS9_4plusIvEENS9_8equal_toIvEEfEE10hipError_tPvRmT2_T3_T4_T5_mT6_T7_P12ihipStream_tbENKUlT_T0_E_clISt17integral_constantIbLb0EES13_EEDaSY_SZ_EUlSY_E_NS1_11comp_targetILNS1_3genE9ELNS1_11target_archE1100ELNS1_3gpuE3ELNS1_3repE0EEENS1_30default_config_static_selectorELNS0_4arch9wavefront6targetE0EEEvT1_
	.globl	_ZN7rocprim17ROCPRIM_400000_NS6detail17trampoline_kernelINS0_14default_configENS1_27scan_by_key_config_selectorIifEEZZNS1_16scan_by_key_implILNS1_25lookback_scan_determinismE0ELb1ES3_N6thrust23THRUST_200600_302600_NS6detail15normal_iteratorINS9_10device_ptrIiEEEENSB_INSC_IjEEEENSB_INSC_IfEEEEfNS9_4plusIvEENS9_8equal_toIvEEfEE10hipError_tPvRmT2_T3_T4_T5_mT6_T7_P12ihipStream_tbENKUlT_T0_E_clISt17integral_constantIbLb0EES13_EEDaSY_SZ_EUlSY_E_NS1_11comp_targetILNS1_3genE9ELNS1_11target_archE1100ELNS1_3gpuE3ELNS1_3repE0EEENS1_30default_config_static_selectorELNS0_4arch9wavefront6targetE0EEEvT1_
	.p2align	8
	.type	_ZN7rocprim17ROCPRIM_400000_NS6detail17trampoline_kernelINS0_14default_configENS1_27scan_by_key_config_selectorIifEEZZNS1_16scan_by_key_implILNS1_25lookback_scan_determinismE0ELb1ES3_N6thrust23THRUST_200600_302600_NS6detail15normal_iteratorINS9_10device_ptrIiEEEENSB_INSC_IjEEEENSB_INSC_IfEEEEfNS9_4plusIvEENS9_8equal_toIvEEfEE10hipError_tPvRmT2_T3_T4_T5_mT6_T7_P12ihipStream_tbENKUlT_T0_E_clISt17integral_constantIbLb0EES13_EEDaSY_SZ_EUlSY_E_NS1_11comp_targetILNS1_3genE9ELNS1_11target_archE1100ELNS1_3gpuE3ELNS1_3repE0EEENS1_30default_config_static_selectorELNS0_4arch9wavefront6targetE0EEEvT1_,@function
_ZN7rocprim17ROCPRIM_400000_NS6detail17trampoline_kernelINS0_14default_configENS1_27scan_by_key_config_selectorIifEEZZNS1_16scan_by_key_implILNS1_25lookback_scan_determinismE0ELb1ES3_N6thrust23THRUST_200600_302600_NS6detail15normal_iteratorINS9_10device_ptrIiEEEENSB_INSC_IjEEEENSB_INSC_IfEEEEfNS9_4plusIvEENS9_8equal_toIvEEfEE10hipError_tPvRmT2_T3_T4_T5_mT6_T7_P12ihipStream_tbENKUlT_T0_E_clISt17integral_constantIbLb0EES13_EEDaSY_SZ_EUlSY_E_NS1_11comp_targetILNS1_3genE9ELNS1_11target_archE1100ELNS1_3gpuE3ELNS1_3repE0EEENS1_30default_config_static_selectorELNS0_4arch9wavefront6targetE0EEEvT1_: ; @_ZN7rocprim17ROCPRIM_400000_NS6detail17trampoline_kernelINS0_14default_configENS1_27scan_by_key_config_selectorIifEEZZNS1_16scan_by_key_implILNS1_25lookback_scan_determinismE0ELb1ES3_N6thrust23THRUST_200600_302600_NS6detail15normal_iteratorINS9_10device_ptrIiEEEENSB_INSC_IjEEEENSB_INSC_IfEEEEfNS9_4plusIvEENS9_8equal_toIvEEfEE10hipError_tPvRmT2_T3_T4_T5_mT6_T7_P12ihipStream_tbENKUlT_T0_E_clISt17integral_constantIbLb0EES13_EEDaSY_SZ_EUlSY_E_NS1_11comp_targetILNS1_3genE9ELNS1_11target_archE1100ELNS1_3gpuE3ELNS1_3repE0EEENS1_30default_config_static_selectorELNS0_4arch9wavefront6targetE0EEEvT1_
; %bb.0:
	.section	.rodata,"a",@progbits
	.p2align	6, 0x0
	.amdhsa_kernel _ZN7rocprim17ROCPRIM_400000_NS6detail17trampoline_kernelINS0_14default_configENS1_27scan_by_key_config_selectorIifEEZZNS1_16scan_by_key_implILNS1_25lookback_scan_determinismE0ELb1ES3_N6thrust23THRUST_200600_302600_NS6detail15normal_iteratorINS9_10device_ptrIiEEEENSB_INSC_IjEEEENSB_INSC_IfEEEEfNS9_4plusIvEENS9_8equal_toIvEEfEE10hipError_tPvRmT2_T3_T4_T5_mT6_T7_P12ihipStream_tbENKUlT_T0_E_clISt17integral_constantIbLb0EES13_EEDaSY_SZ_EUlSY_E_NS1_11comp_targetILNS1_3genE9ELNS1_11target_archE1100ELNS1_3gpuE3ELNS1_3repE0EEENS1_30default_config_static_selectorELNS0_4arch9wavefront6targetE0EEEvT1_
		.amdhsa_group_segment_fixed_size 0
		.amdhsa_private_segment_fixed_size 0
		.amdhsa_kernarg_size 112
		.amdhsa_user_sgpr_count 6
		.amdhsa_user_sgpr_private_segment_buffer 1
		.amdhsa_user_sgpr_dispatch_ptr 0
		.amdhsa_user_sgpr_queue_ptr 0
		.amdhsa_user_sgpr_kernarg_segment_ptr 1
		.amdhsa_user_sgpr_dispatch_id 0
		.amdhsa_user_sgpr_flat_scratch_init 0
		.amdhsa_user_sgpr_private_segment_size 0
		.amdhsa_wavefront_size32 1
		.amdhsa_uses_dynamic_stack 0
		.amdhsa_system_sgpr_private_segment_wavefront_offset 0
		.amdhsa_system_sgpr_workgroup_id_x 1
		.amdhsa_system_sgpr_workgroup_id_y 0
		.amdhsa_system_sgpr_workgroup_id_z 0
		.amdhsa_system_sgpr_workgroup_info 0
		.amdhsa_system_vgpr_workitem_id 0
		.amdhsa_next_free_vgpr 1
		.amdhsa_next_free_sgpr 1
		.amdhsa_reserve_vcc 0
		.amdhsa_reserve_flat_scratch 0
		.amdhsa_float_round_mode_32 0
		.amdhsa_float_round_mode_16_64 0
		.amdhsa_float_denorm_mode_32 3
		.amdhsa_float_denorm_mode_16_64 3
		.amdhsa_dx10_clamp 1
		.amdhsa_ieee_mode 1
		.amdhsa_fp16_overflow 0
		.amdhsa_workgroup_processor_mode 1
		.amdhsa_memory_ordered 1
		.amdhsa_forward_progress 1
		.amdhsa_shared_vgpr_count 0
		.amdhsa_exception_fp_ieee_invalid_op 0
		.amdhsa_exception_fp_denorm_src 0
		.amdhsa_exception_fp_ieee_div_zero 0
		.amdhsa_exception_fp_ieee_overflow 0
		.amdhsa_exception_fp_ieee_underflow 0
		.amdhsa_exception_fp_ieee_inexact 0
		.amdhsa_exception_int_div_zero 0
	.end_amdhsa_kernel
	.section	.text._ZN7rocprim17ROCPRIM_400000_NS6detail17trampoline_kernelINS0_14default_configENS1_27scan_by_key_config_selectorIifEEZZNS1_16scan_by_key_implILNS1_25lookback_scan_determinismE0ELb1ES3_N6thrust23THRUST_200600_302600_NS6detail15normal_iteratorINS9_10device_ptrIiEEEENSB_INSC_IjEEEENSB_INSC_IfEEEEfNS9_4plusIvEENS9_8equal_toIvEEfEE10hipError_tPvRmT2_T3_T4_T5_mT6_T7_P12ihipStream_tbENKUlT_T0_E_clISt17integral_constantIbLb0EES13_EEDaSY_SZ_EUlSY_E_NS1_11comp_targetILNS1_3genE9ELNS1_11target_archE1100ELNS1_3gpuE3ELNS1_3repE0EEENS1_30default_config_static_selectorELNS0_4arch9wavefront6targetE0EEEvT1_,"axG",@progbits,_ZN7rocprim17ROCPRIM_400000_NS6detail17trampoline_kernelINS0_14default_configENS1_27scan_by_key_config_selectorIifEEZZNS1_16scan_by_key_implILNS1_25lookback_scan_determinismE0ELb1ES3_N6thrust23THRUST_200600_302600_NS6detail15normal_iteratorINS9_10device_ptrIiEEEENSB_INSC_IjEEEENSB_INSC_IfEEEEfNS9_4plusIvEENS9_8equal_toIvEEfEE10hipError_tPvRmT2_T3_T4_T5_mT6_T7_P12ihipStream_tbENKUlT_T0_E_clISt17integral_constantIbLb0EES13_EEDaSY_SZ_EUlSY_E_NS1_11comp_targetILNS1_3genE9ELNS1_11target_archE1100ELNS1_3gpuE3ELNS1_3repE0EEENS1_30default_config_static_selectorELNS0_4arch9wavefront6targetE0EEEvT1_,comdat
.Lfunc_end1687:
	.size	_ZN7rocprim17ROCPRIM_400000_NS6detail17trampoline_kernelINS0_14default_configENS1_27scan_by_key_config_selectorIifEEZZNS1_16scan_by_key_implILNS1_25lookback_scan_determinismE0ELb1ES3_N6thrust23THRUST_200600_302600_NS6detail15normal_iteratorINS9_10device_ptrIiEEEENSB_INSC_IjEEEENSB_INSC_IfEEEEfNS9_4plusIvEENS9_8equal_toIvEEfEE10hipError_tPvRmT2_T3_T4_T5_mT6_T7_P12ihipStream_tbENKUlT_T0_E_clISt17integral_constantIbLb0EES13_EEDaSY_SZ_EUlSY_E_NS1_11comp_targetILNS1_3genE9ELNS1_11target_archE1100ELNS1_3gpuE3ELNS1_3repE0EEENS1_30default_config_static_selectorELNS0_4arch9wavefront6targetE0EEEvT1_, .Lfunc_end1687-_ZN7rocprim17ROCPRIM_400000_NS6detail17trampoline_kernelINS0_14default_configENS1_27scan_by_key_config_selectorIifEEZZNS1_16scan_by_key_implILNS1_25lookback_scan_determinismE0ELb1ES3_N6thrust23THRUST_200600_302600_NS6detail15normal_iteratorINS9_10device_ptrIiEEEENSB_INSC_IjEEEENSB_INSC_IfEEEEfNS9_4plusIvEENS9_8equal_toIvEEfEE10hipError_tPvRmT2_T3_T4_T5_mT6_T7_P12ihipStream_tbENKUlT_T0_E_clISt17integral_constantIbLb0EES13_EEDaSY_SZ_EUlSY_E_NS1_11comp_targetILNS1_3genE9ELNS1_11target_archE1100ELNS1_3gpuE3ELNS1_3repE0EEENS1_30default_config_static_selectorELNS0_4arch9wavefront6targetE0EEEvT1_
                                        ; -- End function
	.set _ZN7rocprim17ROCPRIM_400000_NS6detail17trampoline_kernelINS0_14default_configENS1_27scan_by_key_config_selectorIifEEZZNS1_16scan_by_key_implILNS1_25lookback_scan_determinismE0ELb1ES3_N6thrust23THRUST_200600_302600_NS6detail15normal_iteratorINS9_10device_ptrIiEEEENSB_INSC_IjEEEENSB_INSC_IfEEEEfNS9_4plusIvEENS9_8equal_toIvEEfEE10hipError_tPvRmT2_T3_T4_T5_mT6_T7_P12ihipStream_tbENKUlT_T0_E_clISt17integral_constantIbLb0EES13_EEDaSY_SZ_EUlSY_E_NS1_11comp_targetILNS1_3genE9ELNS1_11target_archE1100ELNS1_3gpuE3ELNS1_3repE0EEENS1_30default_config_static_selectorELNS0_4arch9wavefront6targetE0EEEvT1_.num_vgpr, 0
	.set _ZN7rocprim17ROCPRIM_400000_NS6detail17trampoline_kernelINS0_14default_configENS1_27scan_by_key_config_selectorIifEEZZNS1_16scan_by_key_implILNS1_25lookback_scan_determinismE0ELb1ES3_N6thrust23THRUST_200600_302600_NS6detail15normal_iteratorINS9_10device_ptrIiEEEENSB_INSC_IjEEEENSB_INSC_IfEEEEfNS9_4plusIvEENS9_8equal_toIvEEfEE10hipError_tPvRmT2_T3_T4_T5_mT6_T7_P12ihipStream_tbENKUlT_T0_E_clISt17integral_constantIbLb0EES13_EEDaSY_SZ_EUlSY_E_NS1_11comp_targetILNS1_3genE9ELNS1_11target_archE1100ELNS1_3gpuE3ELNS1_3repE0EEENS1_30default_config_static_selectorELNS0_4arch9wavefront6targetE0EEEvT1_.num_agpr, 0
	.set _ZN7rocprim17ROCPRIM_400000_NS6detail17trampoline_kernelINS0_14default_configENS1_27scan_by_key_config_selectorIifEEZZNS1_16scan_by_key_implILNS1_25lookback_scan_determinismE0ELb1ES3_N6thrust23THRUST_200600_302600_NS6detail15normal_iteratorINS9_10device_ptrIiEEEENSB_INSC_IjEEEENSB_INSC_IfEEEEfNS9_4plusIvEENS9_8equal_toIvEEfEE10hipError_tPvRmT2_T3_T4_T5_mT6_T7_P12ihipStream_tbENKUlT_T0_E_clISt17integral_constantIbLb0EES13_EEDaSY_SZ_EUlSY_E_NS1_11comp_targetILNS1_3genE9ELNS1_11target_archE1100ELNS1_3gpuE3ELNS1_3repE0EEENS1_30default_config_static_selectorELNS0_4arch9wavefront6targetE0EEEvT1_.numbered_sgpr, 0
	.set _ZN7rocprim17ROCPRIM_400000_NS6detail17trampoline_kernelINS0_14default_configENS1_27scan_by_key_config_selectorIifEEZZNS1_16scan_by_key_implILNS1_25lookback_scan_determinismE0ELb1ES3_N6thrust23THRUST_200600_302600_NS6detail15normal_iteratorINS9_10device_ptrIiEEEENSB_INSC_IjEEEENSB_INSC_IfEEEEfNS9_4plusIvEENS9_8equal_toIvEEfEE10hipError_tPvRmT2_T3_T4_T5_mT6_T7_P12ihipStream_tbENKUlT_T0_E_clISt17integral_constantIbLb0EES13_EEDaSY_SZ_EUlSY_E_NS1_11comp_targetILNS1_3genE9ELNS1_11target_archE1100ELNS1_3gpuE3ELNS1_3repE0EEENS1_30default_config_static_selectorELNS0_4arch9wavefront6targetE0EEEvT1_.num_named_barrier, 0
	.set _ZN7rocprim17ROCPRIM_400000_NS6detail17trampoline_kernelINS0_14default_configENS1_27scan_by_key_config_selectorIifEEZZNS1_16scan_by_key_implILNS1_25lookback_scan_determinismE0ELb1ES3_N6thrust23THRUST_200600_302600_NS6detail15normal_iteratorINS9_10device_ptrIiEEEENSB_INSC_IjEEEENSB_INSC_IfEEEEfNS9_4plusIvEENS9_8equal_toIvEEfEE10hipError_tPvRmT2_T3_T4_T5_mT6_T7_P12ihipStream_tbENKUlT_T0_E_clISt17integral_constantIbLb0EES13_EEDaSY_SZ_EUlSY_E_NS1_11comp_targetILNS1_3genE9ELNS1_11target_archE1100ELNS1_3gpuE3ELNS1_3repE0EEENS1_30default_config_static_selectorELNS0_4arch9wavefront6targetE0EEEvT1_.private_seg_size, 0
	.set _ZN7rocprim17ROCPRIM_400000_NS6detail17trampoline_kernelINS0_14default_configENS1_27scan_by_key_config_selectorIifEEZZNS1_16scan_by_key_implILNS1_25lookback_scan_determinismE0ELb1ES3_N6thrust23THRUST_200600_302600_NS6detail15normal_iteratorINS9_10device_ptrIiEEEENSB_INSC_IjEEEENSB_INSC_IfEEEEfNS9_4plusIvEENS9_8equal_toIvEEfEE10hipError_tPvRmT2_T3_T4_T5_mT6_T7_P12ihipStream_tbENKUlT_T0_E_clISt17integral_constantIbLb0EES13_EEDaSY_SZ_EUlSY_E_NS1_11comp_targetILNS1_3genE9ELNS1_11target_archE1100ELNS1_3gpuE3ELNS1_3repE0EEENS1_30default_config_static_selectorELNS0_4arch9wavefront6targetE0EEEvT1_.uses_vcc, 0
	.set _ZN7rocprim17ROCPRIM_400000_NS6detail17trampoline_kernelINS0_14default_configENS1_27scan_by_key_config_selectorIifEEZZNS1_16scan_by_key_implILNS1_25lookback_scan_determinismE0ELb1ES3_N6thrust23THRUST_200600_302600_NS6detail15normal_iteratorINS9_10device_ptrIiEEEENSB_INSC_IjEEEENSB_INSC_IfEEEEfNS9_4plusIvEENS9_8equal_toIvEEfEE10hipError_tPvRmT2_T3_T4_T5_mT6_T7_P12ihipStream_tbENKUlT_T0_E_clISt17integral_constantIbLb0EES13_EEDaSY_SZ_EUlSY_E_NS1_11comp_targetILNS1_3genE9ELNS1_11target_archE1100ELNS1_3gpuE3ELNS1_3repE0EEENS1_30default_config_static_selectorELNS0_4arch9wavefront6targetE0EEEvT1_.uses_flat_scratch, 0
	.set _ZN7rocprim17ROCPRIM_400000_NS6detail17trampoline_kernelINS0_14default_configENS1_27scan_by_key_config_selectorIifEEZZNS1_16scan_by_key_implILNS1_25lookback_scan_determinismE0ELb1ES3_N6thrust23THRUST_200600_302600_NS6detail15normal_iteratorINS9_10device_ptrIiEEEENSB_INSC_IjEEEENSB_INSC_IfEEEEfNS9_4plusIvEENS9_8equal_toIvEEfEE10hipError_tPvRmT2_T3_T4_T5_mT6_T7_P12ihipStream_tbENKUlT_T0_E_clISt17integral_constantIbLb0EES13_EEDaSY_SZ_EUlSY_E_NS1_11comp_targetILNS1_3genE9ELNS1_11target_archE1100ELNS1_3gpuE3ELNS1_3repE0EEENS1_30default_config_static_selectorELNS0_4arch9wavefront6targetE0EEEvT1_.has_dyn_sized_stack, 0
	.set _ZN7rocprim17ROCPRIM_400000_NS6detail17trampoline_kernelINS0_14default_configENS1_27scan_by_key_config_selectorIifEEZZNS1_16scan_by_key_implILNS1_25lookback_scan_determinismE0ELb1ES3_N6thrust23THRUST_200600_302600_NS6detail15normal_iteratorINS9_10device_ptrIiEEEENSB_INSC_IjEEEENSB_INSC_IfEEEEfNS9_4plusIvEENS9_8equal_toIvEEfEE10hipError_tPvRmT2_T3_T4_T5_mT6_T7_P12ihipStream_tbENKUlT_T0_E_clISt17integral_constantIbLb0EES13_EEDaSY_SZ_EUlSY_E_NS1_11comp_targetILNS1_3genE9ELNS1_11target_archE1100ELNS1_3gpuE3ELNS1_3repE0EEENS1_30default_config_static_selectorELNS0_4arch9wavefront6targetE0EEEvT1_.has_recursion, 0
	.set _ZN7rocprim17ROCPRIM_400000_NS6detail17trampoline_kernelINS0_14default_configENS1_27scan_by_key_config_selectorIifEEZZNS1_16scan_by_key_implILNS1_25lookback_scan_determinismE0ELb1ES3_N6thrust23THRUST_200600_302600_NS6detail15normal_iteratorINS9_10device_ptrIiEEEENSB_INSC_IjEEEENSB_INSC_IfEEEEfNS9_4plusIvEENS9_8equal_toIvEEfEE10hipError_tPvRmT2_T3_T4_T5_mT6_T7_P12ihipStream_tbENKUlT_T0_E_clISt17integral_constantIbLb0EES13_EEDaSY_SZ_EUlSY_E_NS1_11comp_targetILNS1_3genE9ELNS1_11target_archE1100ELNS1_3gpuE3ELNS1_3repE0EEENS1_30default_config_static_selectorELNS0_4arch9wavefront6targetE0EEEvT1_.has_indirect_call, 0
	.section	.AMDGPU.csdata,"",@progbits
; Kernel info:
; codeLenInByte = 0
; TotalNumSgprs: 0
; NumVgprs: 0
; ScratchSize: 0
; MemoryBound: 0
; FloatMode: 240
; IeeeMode: 1
; LDSByteSize: 0 bytes/workgroup (compile time only)
; SGPRBlocks: 0
; VGPRBlocks: 0
; NumSGPRsForWavesPerEU: 1
; NumVGPRsForWavesPerEU: 1
; Occupancy: 16
; WaveLimiterHint : 0
; COMPUTE_PGM_RSRC2:SCRATCH_EN: 0
; COMPUTE_PGM_RSRC2:USER_SGPR: 6
; COMPUTE_PGM_RSRC2:TRAP_HANDLER: 0
; COMPUTE_PGM_RSRC2:TGID_X_EN: 1
; COMPUTE_PGM_RSRC2:TGID_Y_EN: 0
; COMPUTE_PGM_RSRC2:TGID_Z_EN: 0
; COMPUTE_PGM_RSRC2:TIDIG_COMP_CNT: 0
	.section	.text._ZN7rocprim17ROCPRIM_400000_NS6detail17trampoline_kernelINS0_14default_configENS1_27scan_by_key_config_selectorIifEEZZNS1_16scan_by_key_implILNS1_25lookback_scan_determinismE0ELb1ES3_N6thrust23THRUST_200600_302600_NS6detail15normal_iteratorINS9_10device_ptrIiEEEENSB_INSC_IjEEEENSB_INSC_IfEEEEfNS9_4plusIvEENS9_8equal_toIvEEfEE10hipError_tPvRmT2_T3_T4_T5_mT6_T7_P12ihipStream_tbENKUlT_T0_E_clISt17integral_constantIbLb0EES13_EEDaSY_SZ_EUlSY_E_NS1_11comp_targetILNS1_3genE8ELNS1_11target_archE1030ELNS1_3gpuE2ELNS1_3repE0EEENS1_30default_config_static_selectorELNS0_4arch9wavefront6targetE0EEEvT1_,"axG",@progbits,_ZN7rocprim17ROCPRIM_400000_NS6detail17trampoline_kernelINS0_14default_configENS1_27scan_by_key_config_selectorIifEEZZNS1_16scan_by_key_implILNS1_25lookback_scan_determinismE0ELb1ES3_N6thrust23THRUST_200600_302600_NS6detail15normal_iteratorINS9_10device_ptrIiEEEENSB_INSC_IjEEEENSB_INSC_IfEEEEfNS9_4plusIvEENS9_8equal_toIvEEfEE10hipError_tPvRmT2_T3_T4_T5_mT6_T7_P12ihipStream_tbENKUlT_T0_E_clISt17integral_constantIbLb0EES13_EEDaSY_SZ_EUlSY_E_NS1_11comp_targetILNS1_3genE8ELNS1_11target_archE1030ELNS1_3gpuE2ELNS1_3repE0EEENS1_30default_config_static_selectorELNS0_4arch9wavefront6targetE0EEEvT1_,comdat
	.protected	_ZN7rocprim17ROCPRIM_400000_NS6detail17trampoline_kernelINS0_14default_configENS1_27scan_by_key_config_selectorIifEEZZNS1_16scan_by_key_implILNS1_25lookback_scan_determinismE0ELb1ES3_N6thrust23THRUST_200600_302600_NS6detail15normal_iteratorINS9_10device_ptrIiEEEENSB_INSC_IjEEEENSB_INSC_IfEEEEfNS9_4plusIvEENS9_8equal_toIvEEfEE10hipError_tPvRmT2_T3_T4_T5_mT6_T7_P12ihipStream_tbENKUlT_T0_E_clISt17integral_constantIbLb0EES13_EEDaSY_SZ_EUlSY_E_NS1_11comp_targetILNS1_3genE8ELNS1_11target_archE1030ELNS1_3gpuE2ELNS1_3repE0EEENS1_30default_config_static_selectorELNS0_4arch9wavefront6targetE0EEEvT1_ ; -- Begin function _ZN7rocprim17ROCPRIM_400000_NS6detail17trampoline_kernelINS0_14default_configENS1_27scan_by_key_config_selectorIifEEZZNS1_16scan_by_key_implILNS1_25lookback_scan_determinismE0ELb1ES3_N6thrust23THRUST_200600_302600_NS6detail15normal_iteratorINS9_10device_ptrIiEEEENSB_INSC_IjEEEENSB_INSC_IfEEEEfNS9_4plusIvEENS9_8equal_toIvEEfEE10hipError_tPvRmT2_T3_T4_T5_mT6_T7_P12ihipStream_tbENKUlT_T0_E_clISt17integral_constantIbLb0EES13_EEDaSY_SZ_EUlSY_E_NS1_11comp_targetILNS1_3genE8ELNS1_11target_archE1030ELNS1_3gpuE2ELNS1_3repE0EEENS1_30default_config_static_selectorELNS0_4arch9wavefront6targetE0EEEvT1_
	.globl	_ZN7rocprim17ROCPRIM_400000_NS6detail17trampoline_kernelINS0_14default_configENS1_27scan_by_key_config_selectorIifEEZZNS1_16scan_by_key_implILNS1_25lookback_scan_determinismE0ELb1ES3_N6thrust23THRUST_200600_302600_NS6detail15normal_iteratorINS9_10device_ptrIiEEEENSB_INSC_IjEEEENSB_INSC_IfEEEEfNS9_4plusIvEENS9_8equal_toIvEEfEE10hipError_tPvRmT2_T3_T4_T5_mT6_T7_P12ihipStream_tbENKUlT_T0_E_clISt17integral_constantIbLb0EES13_EEDaSY_SZ_EUlSY_E_NS1_11comp_targetILNS1_3genE8ELNS1_11target_archE1030ELNS1_3gpuE2ELNS1_3repE0EEENS1_30default_config_static_selectorELNS0_4arch9wavefront6targetE0EEEvT1_
	.p2align	8
	.type	_ZN7rocprim17ROCPRIM_400000_NS6detail17trampoline_kernelINS0_14default_configENS1_27scan_by_key_config_selectorIifEEZZNS1_16scan_by_key_implILNS1_25lookback_scan_determinismE0ELb1ES3_N6thrust23THRUST_200600_302600_NS6detail15normal_iteratorINS9_10device_ptrIiEEEENSB_INSC_IjEEEENSB_INSC_IfEEEEfNS9_4plusIvEENS9_8equal_toIvEEfEE10hipError_tPvRmT2_T3_T4_T5_mT6_T7_P12ihipStream_tbENKUlT_T0_E_clISt17integral_constantIbLb0EES13_EEDaSY_SZ_EUlSY_E_NS1_11comp_targetILNS1_3genE8ELNS1_11target_archE1030ELNS1_3gpuE2ELNS1_3repE0EEENS1_30default_config_static_selectorELNS0_4arch9wavefront6targetE0EEEvT1_,@function
_ZN7rocprim17ROCPRIM_400000_NS6detail17trampoline_kernelINS0_14default_configENS1_27scan_by_key_config_selectorIifEEZZNS1_16scan_by_key_implILNS1_25lookback_scan_determinismE0ELb1ES3_N6thrust23THRUST_200600_302600_NS6detail15normal_iteratorINS9_10device_ptrIiEEEENSB_INSC_IjEEEENSB_INSC_IfEEEEfNS9_4plusIvEENS9_8equal_toIvEEfEE10hipError_tPvRmT2_T3_T4_T5_mT6_T7_P12ihipStream_tbENKUlT_T0_E_clISt17integral_constantIbLb0EES13_EEDaSY_SZ_EUlSY_E_NS1_11comp_targetILNS1_3genE8ELNS1_11target_archE1030ELNS1_3gpuE2ELNS1_3repE0EEENS1_30default_config_static_selectorELNS0_4arch9wavefront6targetE0EEEvT1_: ; @_ZN7rocprim17ROCPRIM_400000_NS6detail17trampoline_kernelINS0_14default_configENS1_27scan_by_key_config_selectorIifEEZZNS1_16scan_by_key_implILNS1_25lookback_scan_determinismE0ELb1ES3_N6thrust23THRUST_200600_302600_NS6detail15normal_iteratorINS9_10device_ptrIiEEEENSB_INSC_IjEEEENSB_INSC_IfEEEEfNS9_4plusIvEENS9_8equal_toIvEEfEE10hipError_tPvRmT2_T3_T4_T5_mT6_T7_P12ihipStream_tbENKUlT_T0_E_clISt17integral_constantIbLb0EES13_EEDaSY_SZ_EUlSY_E_NS1_11comp_targetILNS1_3genE8ELNS1_11target_archE1030ELNS1_3gpuE2ELNS1_3repE0EEENS1_30default_config_static_selectorELNS0_4arch9wavefront6targetE0EEEvT1_
; %bb.0:
	s_clause 0x5
	s_load_dwordx8 s[8:15], s[4:5], 0x0
	s_load_dwordx2 s[24:25], s[4:5], 0x38
	s_load_dword s2, s[4:5], 0x40
	s_load_dwordx4 s[20:23], s[4:5], 0x48
	s_load_dword s26, s[4:5], 0x20
	s_load_dwordx4 s[16:19], s[4:5], 0x28
	s_mov_b32 s1, 0
	s_mul_i32 s0, s6, 0x300
	s_waitcnt lgkmcnt(0)
	s_barrier
	buffer_gl0_inv
	s_lshl_b64 s[4:5], s[10:11], 2
	s_add_u32 s10, s8, s4
	s_addc_u32 s11, s9, s5
	s_mul_i32 s3, s25, s2
	s_mul_hi_u32 s7, s24, s2
	s_add_u32 s12, s12, s4
	s_addc_u32 s13, s13, s5
	s_lshl_b64 s[8:9], s[0:1], 2
	s_add_i32 s7, s7, s3
	s_add_u32 s10, s10, s8
	s_addc_u32 s11, s11, s9
	s_mul_i32 s0, s24, s2
	s_add_u32 s12, s12, s8
	s_addc_u32 s13, s13, s9
	s_add_u32 s2, s0, s6
	s_addc_u32 s3, s7, 0
	s_add_u32 s20, s20, -1
	s_addc_u32 s21, s21, -1
	s_mul_i32 s7, s20, 0xfffffd00
	v_cmp_ge_u64_e64 s3, s[2:3], s[20:21]
	s_and_b32 vcc_lo, exec_lo, s3
	s_cbranch_vccz .LBB1688_20
; %bb.1:
	v_mov_b32_e32 v1, s10
	v_mov_b32_e32 v2, s11
	s_add_i32 s19, s7, s18
	v_cmp_gt_u32_e64 s1, s19, v0
	flat_load_dword v1, v[1:2]
	s_waitcnt vmcnt(0) lgkmcnt(0)
	v_mov_b32_e32 v2, v1
	s_and_saveexec_b32 s0, s1
	s_cbranch_execz .LBB1688_3
; %bb.2:
	v_lshlrev_b32_e32 v2, 2, v0
	v_add_co_u32 v2, s2, s10, v2
	v_add_co_ci_u32_e64 v3, null, s11, 0, s2
	flat_load_dword v2, v[2:3]
.LBB1688_3:
	s_or_b32 exec_lo, exec_lo, s0
	v_or_b32_e32 v3, 0x100, v0
	v_cmp_gt_u32_e64 s0, s19, v3
	v_mov_b32_e32 v3, v1
	s_and_saveexec_b32 s2, s0
	s_cbranch_execz .LBB1688_5
; %bb.4:
	v_lshlrev_b32_e32 v3, 2, v0
	v_add_co_u32 v3, s20, s10, v3
	v_add_co_ci_u32_e64 v4, null, s11, 0, s20
	flat_load_dword v3, v[3:4] offset:1024
.LBB1688_5:
	s_or_b32 exec_lo, exec_lo, s2
	v_or_b32_e32 v4, 0x200, v0
	v_cmp_gt_u32_e32 vcc_lo, s19, v4
	v_lshlrev_b32_e32 v8, 2, v4
	s_and_saveexec_b32 s2, vcc_lo
	s_cbranch_execz .LBB1688_7
; %bb.6:
	v_add_co_u32 v4, s20, s10, v8
	v_add_co_ci_u32_e64 v5, null, s11, 0, s20
	flat_load_dword v1, v[4:5]
.LBB1688_7:
	s_or_b32 exec_lo, exec_lo, s2
	v_mov_b32_e32 v4, s10
	v_lshlrev_b32_e32 v10, 2, v0
	v_mov_b32_e32 v5, s11
	s_mov_b32 s20, exec_lo
	s_waitcnt vmcnt(0) lgkmcnt(0)
	ds_write2st64_b32 v10, v2, v3 offset1:4
	ds_write_b32 v10, v1 offset:2048
	s_waitcnt lgkmcnt(0)
	s_barrier
	buffer_gl0_inv
	flat_load_dword v6, v[4:5]
	v_lshlrev_b32_e32 v1, 3, v0
	v_add_nc_u32_e32 v7, v10, v1
	ds_read_b32 v9, v7
	ds_read2_b32 v[4:5], v7 offset0:1 offset1:2
	s_waitcnt lgkmcnt(1)
	ds_write_b32 v10, v9 offset:4096
	s_waitcnt vmcnt(0) lgkmcnt(0)
	s_barrier
	buffer_gl0_inv
	v_cmpx_ne_u32_e32 0xff, v0
; %bb.8:
	v_sub_nc_u32_e32 v1, 0, v1
	v_add_nc_u32_e32 v1, v7, v1
	ds_read_b32 v6, v1 offset:4100
; %bb.9:
	s_or_b32 exec_lo, exec_lo, s20
	v_mov_b32_e32 v1, 0
	s_waitcnt lgkmcnt(0)
	s_barrier
	buffer_gl0_inv
	v_mov_b32_e32 v2, v1
	v_mov_b32_e32 v3, v1
	s_and_saveexec_b32 s2, s1
	s_cbranch_execnz .LBB1688_128
; %bb.10:
	s_or_b32 exec_lo, exec_lo, s2
	s_and_saveexec_b32 s1, s0
	s_cbranch_execnz .LBB1688_129
.LBB1688_11:
	s_or_b32 exec_lo, exec_lo, s1
	v_mul_u32_u24_e32 v11, 3, v0
	s_and_saveexec_b32 s0, vcc_lo
	s_cbranch_execz .LBB1688_13
.LBB1688_12:
	v_add_co_u32 v12, s1, s12, v8
	v_add_co_ci_u32_e64 v13, null, s13, 0, s1
	flat_load_dword v3, v[12:13]
	s_waitcnt vmcnt(0) lgkmcnt(0)
	v_cvt_f32_u32_e32 v3, v3
.LBB1688_13:
	s_or_b32 exec_lo, exec_lo, s0
	ds_write2st64_b32 v10, v1, v2 offset1:4
	ds_write_b32 v10, v3 offset:2048
	v_mov_b32_e32 v1, 0
	v_mov_b32_e32 v14, 0
	v_mov_b32_e32 v3, 0
	v_mov_b32_e32 v8, 0
	v_mov_b32_e32 v18, 0
	v_mov_b32_e32 v15, 0
	v_mov_b32_e32 v19, 0
	v_mov_b32_e32 v16, 0
	s_mov_b32 s20, 0
	s_mov_b32 s1, 0
	s_mov_b32 s21, exec_lo
	s_waitcnt lgkmcnt(0)
	s_barrier
	buffer_gl0_inv
                                        ; implicit-def: $sgpr2
	v_cmpx_gt_u32_e64 s19, v11
	s_cbranch_execz .LBB1688_19
; %bb.14:
	ds_read_b32 v8, v7
	v_add_nc_u32_e32 v1, 1, v11
	v_mov_b32_e32 v3, 0
	v_mov_b32_e32 v18, 0
	v_cmp_ne_u32_e32 vcc_lo, v9, v4
                                        ; implicit-def: $sgpr2
	v_cmp_gt_u32_e64 s0, s19, v1
	v_mov_b32_e32 v1, 0
	s_and_saveexec_b32 s27, s0
	s_cbranch_execz .LBB1688_18
; %bb.15:
	ds_read2_b32 v[1:2], v7 offset0:1 offset1:2
	v_add_nc_u32_e32 v3, 2, v11
	v_cmp_ne_u32_e64 s0, v4, v5
	v_mov_b32_e32 v18, 0
                                        ; implicit-def: $sgpr2
	v_cmp_gt_u32_e64 s1, s19, v3
	s_mov_b32 s19, 0
	s_and_saveexec_b32 s28, s1
	s_xor_b32 s1, exec_lo, s28
	s_cbranch_execz .LBB1688_17
; %bb.16:
	v_cmp_ne_u32_e64 s2, v5, v6
	s_mov_b32 s19, exec_lo
	s_waitcnt lgkmcnt(0)
	v_cndmask_b32_e64 v18, v2, s26, s2
.LBB1688_17:
	s_or_b32 exec_lo, exec_lo, s1
	v_cndmask_b32_e64 v3, 0, 1, s0
	s_waitcnt lgkmcnt(0)
	v_cndmask_b32_e64 v1, v1, s26, s0
	s_and_b32 s1, s19, exec_lo
.LBB1688_18:
	s_or_b32 exec_lo, exec_lo, s27
	s_waitcnt lgkmcnt(0)
	v_cndmask_b32_e64 v8, v8, s26, vcc_lo
	v_cndmask_b32_e64 v14, 0, 1, vcc_lo
	v_mov_b32_e32 v15, v1
	v_mov_b32_e32 v19, v3
	s_and_b32 s1, s1, exec_lo
	v_mov_b32_e32 v16, v8
.LBB1688_19:
	s_or_b32 exec_lo, exec_lo, s21
	v_lshlrev_b32_e32 v12, 2, v0
	v_lshlrev_b32_e32 v13, 3, v0
	s_and_b32 vcc_lo, exec_lo, s20
	s_cbranch_vccnz .LBB1688_21
	s_branch .LBB1688_24
.LBB1688_20:
                                        ; implicit-def: $sgpr2
                                        ; implicit-def: $vgpr14
                                        ; implicit-def: $vgpr1
                                        ; implicit-def: $vgpr3
                                        ; implicit-def: $vgpr8
                                        ; implicit-def: $vgpr18
                                        ; implicit-def: $vgpr15
                                        ; implicit-def: $vgpr19
                                        ; implicit-def: $vgpr16
	v_lshlrev_b32_e32 v12, 2, v0
	v_lshlrev_b32_e32 v13, 3, v0
	s_cbranch_execz .LBB1688_24
.LBB1688_21:
	v_add_co_u32 v1, s0, s10, v12
	v_add_co_ci_u32_e64 v2, null, s11, 0, s0
	v_add_co_u32 v3, vcc_lo, 0x800, v1
	v_add_co_ci_u32_e64 v4, null, 0, v2, vcc_lo
	s_clause 0x2
	flat_load_dword v5, v[1:2]
	flat_load_dword v6, v[1:2] offset:1024
	flat_load_dword v3, v[3:4]
	v_add_co_u32 v1, s0, 0x800, s10
	v_add_co_ci_u32_e64 v2, null, 0, s11, s0
	s_mov_b32 s0, exec_lo
	s_waitcnt vmcnt(1) lgkmcnt(1)
	ds_write2st64_b32 v12, v5, v6 offset1:4
	s_waitcnt vmcnt(0) lgkmcnt(1)
	ds_write_b32 v12, v3 offset:2048
	s_waitcnt lgkmcnt(0)
	s_barrier
	buffer_gl0_inv
	flat_load_dword v4, v[1:2] offset:1024
	v_add_nc_u32_e32 v5, v12, v13
	ds_read_b32 v3, v5
	ds_read2_b32 v[1:2], v5 offset0:1 offset1:2
	s_waitcnt lgkmcnt(1)
	ds_write_b32 v12, v3 offset:4096
	s_waitcnt vmcnt(0) lgkmcnt(0)
	s_barrier
	buffer_gl0_inv
	v_cmpx_ne_u32_e32 0xff, v0
; %bb.22:
	v_sub_nc_u32_e32 v4, 0, v13
	v_add_nc_u32_e32 v4, v5, v4
	ds_read_b32 v4, v4 offset:4100
; %bb.23:
	s_or_b32 exec_lo, exec_lo, s0
	v_add_co_u32 v6, s0, s12, v12
	v_add_co_ci_u32_e64 v7, null, s13, 0, s0
	s_waitcnt lgkmcnt(0)
	v_add_co_u32 v8, vcc_lo, 0x800, v6
	v_add_co_ci_u32_e64 v9, null, 0, v7, vcc_lo
	s_barrier
	buffer_gl0_inv
	s_clause 0x2
	flat_load_dword v10, v[6:7]
	flat_load_dword v6, v[6:7] offset:1024
	flat_load_dword v7, v[8:9]
	v_cmp_ne_u32_e32 vcc_lo, v1, v2
	v_cmp_ne_u32_e64 s0, v3, v1
	v_cmp_ne_u32_e64 s2, v2, v4
	s_mov_b32 s1, -1
	v_cndmask_b32_e64 v3, 0, 1, vcc_lo
	v_cndmask_b32_e64 v14, 0, 1, s0
	v_mov_b32_e32 v19, v3
	s_waitcnt vmcnt(2) lgkmcnt(2)
	v_cvt_f32_u32_e32 v8, v10
	s_waitcnt vmcnt(1) lgkmcnt(1)
	v_cvt_f32_u32_e32 v6, v6
	;; [unrolled: 2-line block ×3, first 2 shown]
	ds_write2st64_b32 v12, v8, v6 offset1:4
	ds_write_b32 v12, v7 offset:2048
	s_waitcnt lgkmcnt(0)
	s_barrier
	buffer_gl0_inv
	ds_read2_b32 v[6:7], v5 offset1:1
	ds_read_b32 v5, v5 offset:8
	s_waitcnt lgkmcnt(1)
	v_cndmask_b32_e64 v1, v7, s26, vcc_lo
	v_cndmask_b32_e64 v8, v6, s26, s0
	s_waitcnt lgkmcnt(0)
	v_cndmask_b32_e64 v18, v5, s26, s2
	v_mov_b32_e32 v15, v1
	v_mov_b32_e32 v16, v8
.LBB1688_24:
	v_mov_b32_e32 v20, 0
	s_and_saveexec_b32 s0, s1
; %bb.25:
	v_cndmask_b32_e64 v20, 0, 1, s2
	v_mov_b32_e32 v16, v8
	v_mov_b32_e32 v19, v3
	;; [unrolled: 1-line block ×3, first 2 shown]
; %bb.26:
	s_or_b32 exec_lo, exec_lo, s0
	v_add_f32_e32 v22, v16, v15
	v_or_b32_e32 v21, v20, v19
	v_mbcnt_lo_u32_b32 v17, -1, 0
	s_cmp_lg_u32 s6, 0
	v_cmp_eq_u16_e32 vcc_lo, 0, v20
	s_barrier
	buffer_gl0_inv
	s_cbranch_scc0 .LBB1688_80
; %bb.27:
	v_mov_b32_e32 v2, 0
	v_cmp_eq_u16_sdwa s0, v19, v2 src0_sel:BYTE_0 src1_sel:DWORD
	v_cmp_eq_u16_sdwa s1, v21, v2 src0_sel:BYTE_0 src1_sel:DWORD
	v_cndmask_b32_e64 v1, v15, v22, s0
	v_cndmask_b32_e64 v5, 1, v14, s1
	s_mov_b32 s1, exec_lo
	v_add_f32_e32 v1, v1, v18
	v_and_b32_e32 v4, 0xff, v5
	v_cndmask_b32_e32 v3, v18, v1, vcc_lo
	v_and_b32_e32 v1, 15, v17
	v_mov_b32_dpp v6, v4 row_shr:1 row_mask:0xf bank_mask:0xf
	v_mov_b32_dpp v7, v3 row_shr:1 row_mask:0xf bank_mask:0xf
	v_cmpx_ne_u32_e32 0, v1
	s_cbranch_execz .LBB1688_29
; %bb.28:
	v_add_f32_e32 v4, v3, v7
	v_and_b32_e32 v7, 1, v5
	v_cmp_eq_u16_sdwa vcc_lo, v5, v2 src0_sel:BYTE_0 src1_sel:DWORD
	v_and_b32_e32 v6, 1, v6
	v_cndmask_b32_e32 v3, v3, v4, vcc_lo
	v_cmp_eq_u32_e32 vcc_lo, 1, v7
	v_cndmask_b32_e64 v4, v6, 1, vcc_lo
.LBB1688_29:
	s_or_b32 exec_lo, exec_lo, s1
	v_mov_b32_dpp v5, v3 row_shr:2 row_mask:0xf bank_mask:0xf
	v_mov_b32_dpp v2, v4 row_shr:2 row_mask:0xf bank_mask:0xf
	s_mov_b32 s1, exec_lo
	v_cmpx_lt_u32_e32 1, v1
	s_cbranch_execz .LBB1688_31
; %bb.30:
	v_add_f32_e32 v5, v3, v5
	v_and_b32_e32 v6, 1, v4
	v_cmp_eq_u32_e32 vcc_lo, 0, v4
	v_and_b32_e32 v2, 1, v2
	v_cndmask_b32_e32 v3, v3, v5, vcc_lo
	v_cmp_eq_u32_e32 vcc_lo, 1, v6
	v_cndmask_b32_e64 v4, v2, 1, vcc_lo
.LBB1688_31:
	s_or_b32 exec_lo, exec_lo, s1
	v_mov_b32_dpp v5, v3 row_shr:4 row_mask:0xf bank_mask:0xf
	v_mov_b32_dpp v2, v4 row_shr:4 row_mask:0xf bank_mask:0xf
	s_mov_b32 s1, exec_lo
	v_cmpx_lt_u32_e32 3, v1
	s_cbranch_execz .LBB1688_33
; %bb.32:
	v_add_f32_e32 v5, v3, v5
	v_and_b32_e32 v6, 1, v4
	v_cmp_eq_u32_e32 vcc_lo, 0, v4
	v_and_b32_e32 v2, 1, v2
	v_cndmask_b32_e32 v3, v3, v5, vcc_lo
	v_cmp_eq_u32_e32 vcc_lo, 1, v6
	v_cndmask_b32_e64 v4, v2, 1, vcc_lo
.LBB1688_33:
	;; [unrolled: 15-line block ×3, first 2 shown]
	s_or_b32 exec_lo, exec_lo, s1
	ds_swizzle_b32 v2, v3 offset:swizzle(BROADCAST,32,15)
	ds_swizzle_b32 v1, v4 offset:swizzle(BROADCAST,32,15)
	v_and_b32_e32 v5, 16, v17
	s_mov_b32 s1, exec_lo
	v_cmpx_ne_u32_e32 0, v5
	s_cbranch_execz .LBB1688_37
; %bb.36:
	s_waitcnt lgkmcnt(1)
	v_add_f32_e32 v2, v3, v2
	v_and_b32_e32 v5, 1, v4
	v_cmp_eq_u32_e32 vcc_lo, 0, v4
	s_waitcnt lgkmcnt(0)
	v_and_b32_e32 v1, 1, v1
	v_cndmask_b32_e32 v3, v3, v2, vcc_lo
	v_cmp_eq_u32_e32 vcc_lo, 1, v5
	v_cndmask_b32_e64 v4, v1, 1, vcc_lo
.LBB1688_37:
	s_or_b32 exec_lo, exec_lo, s1
	s_waitcnt lgkmcnt(1)
	v_lshrrev_b32_e32 v2, 5, v0
	s_waitcnt lgkmcnt(0)
	v_or_b32_e32 v1, 31, v0
	s_mov_b32 s1, exec_lo
	v_lshlrev_b32_e32 v5, 3, v2
	v_cmpx_eq_u32_e64 v0, v1
	s_cbranch_execz .LBB1688_39
; %bb.38:
	ds_write_b32 v5, v3
	ds_write_b8 v5, v4 offset:4
.LBB1688_39:
	s_or_b32 exec_lo, exec_lo, s1
	s_mov_b32 s2, exec_lo
	s_waitcnt lgkmcnt(0)
	s_barrier
	buffer_gl0_inv
	v_cmpx_gt_u32_e32 8, v0
	s_cbranch_execz .LBB1688_45
; %bb.40:
	ds_read_b64 v[1:2], v13
	v_and_b32_e32 v6, 7, v17
	s_mov_b32 s1, exec_lo
	s_waitcnt lgkmcnt(0)
	v_mov_b32_dpp v8, v1 row_shr:1 row_mask:0xf bank_mask:0xf
	v_mov_b32_dpp v9, v2 row_shr:1 row_mask:0xf bank_mask:0xf
	v_mov_b32_e32 v7, v2
	v_cmpx_ne_u32_e32 0, v6
	s_cbranch_execz .LBB1688_42
; %bb.41:
	v_and_b32_e32 v7, 1, v2
	v_and_b32_e32 v9, 1, v9
	v_mov_b32_e32 v10, 0
	v_add_f32_e32 v8, v1, v8
	v_cmp_eq_u32_e32 vcc_lo, 1, v7
	v_cndmask_b32_e64 v7, v9, 1, vcc_lo
	v_cmp_eq_u16_sdwa vcc_lo, v2, v10 src0_sel:BYTE_0 src1_sel:DWORD
	v_and_or_b32 v2, 0xffffff00, v2, v7
	v_cndmask_b32_e32 v1, v1, v8, vcc_lo
.LBB1688_42:
	s_or_b32 exec_lo, exec_lo, s1
	v_mov_b32_dpp v8, v1 row_shr:2 row_mask:0xf bank_mask:0xf
	v_mov_b32_dpp v9, v2 row_shr:2 row_mask:0xf bank_mask:0xf
	s_mov_b32 s10, exec_lo
	v_cmpx_lt_u32_e32 1, v6
	s_cbranch_execz .LBB1688_44
; %bb.43:
	v_and_b32_e32 v11, 1, v7
	v_mov_b32_e32 v10, 0
	v_and_b32_e32 v9, 1, v9
	v_add_f32_e32 v8, v1, v8
	v_cmp_eq_u32_e64 s1, 1, v11
	v_cmp_eq_u16_sdwa vcc_lo, v7, v10 src0_sel:BYTE_0 src1_sel:DWORD
	v_cndmask_b32_e64 v7, v9, 1, s1
	v_cndmask_b32_e32 v1, v1, v8, vcc_lo
	v_and_or_b32 v2, 0xffffff00, v2, v7
.LBB1688_44:
	s_or_b32 exec_lo, exec_lo, s10
	v_mov_b32_dpp v8, v2 row_shr:4 row_mask:0xf bank_mask:0xf
	v_and_b32_e32 v10, 1, v7
	v_mov_b32_e32 v9, 0
	v_mov_b32_dpp v11, v1 row_shr:4 row_mask:0xf bank_mask:0xf
	v_and_b32_e32 v8, 1, v8
	v_cmp_eq_u32_e32 vcc_lo, 1, v10
	v_cmp_eq_u16_sdwa s1, v7, v9 src0_sel:BYTE_0 src1_sel:DWORD
	v_cndmask_b32_e64 v7, v8, 1, vcc_lo
	v_cmp_lt_u32_e32 vcc_lo, 3, v6
	v_add_f32_e32 v6, v1, v11
	v_cndmask_b32_e32 v2, v2, v7, vcc_lo
	s_and_b32 vcc_lo, vcc_lo, s1
	v_cndmask_b32_e32 v1, v1, v6, vcc_lo
	ds_write_b32 v13, v1
	ds_write_b8 v13, v2 offset:4
.LBB1688_45:
	s_or_b32 exec_lo, exec_lo, s2
	v_mov_b32_e32 v24, 0
	v_mov_b32_e32 v23, 0
	s_mov_b32 s2, exec_lo
	v_cmp_gt_u32_e32 vcc_lo, 32, v0
	s_waitcnt lgkmcnt(0)
	s_barrier
	buffer_gl0_inv
	v_cmpx_lt_u32_e32 31, v0
	s_cbranch_execz .LBB1688_47
; %bb.46:
	v_add_nc_u32_e32 v1, -8, v5
	v_and_b32_e32 v2, 1, v4
	v_cmp_eq_u32_e64 s1, 0, v4
	ds_read_b32 v23, v1
	v_add_nc_u32_e32 v1, -4, v5
	ds_read_u8 v24, v1
	s_waitcnt lgkmcnt(1)
	v_add_f32_e32 v1, v3, v23
	v_cndmask_b32_e64 v3, v3, v1, s1
	v_cmp_eq_u32_e64 s1, 1, v2
	s_waitcnt lgkmcnt(0)
	v_cndmask_b32_e64 v4, v24, 1, s1
.LBB1688_47:
	s_or_b32 exec_lo, exec_lo, s2
	v_sub_co_u32 v1, s1, v17, 1
	v_cmp_gt_i32_e64 s2, 0, v1
	v_cndmask_b32_e64 v1, v1, v17, s2
	v_lshlrev_b32_e32 v1, 2, v1
	ds_bpermute_b32 v25, v1, v3
	ds_bpermute_b32 v26, v1, v4
	s_and_saveexec_b32 s10, vcc_lo
	s_cbranch_execz .LBB1688_85
; %bb.48:
	v_mov_b32_e32 v4, 0
	ds_read_b64 v[1:2], v4 offset:56
	s_and_saveexec_b32 s2, s1
	s_cbranch_execz .LBB1688_50
; %bb.49:
	s_add_i32 s12, s6, 32
	s_mov_b32 s13, 0
	v_mov_b32_e32 v3, 1
	s_lshl_b64 s[12:13], s[12:13], 4
	s_add_u32 s12, s16, s12
	s_addc_u32 s13, s17, s13
	v_mov_b32_e32 v5, s12
	v_mov_b32_e32 v6, s13
	s_waitcnt lgkmcnt(0)
	;;#ASMSTART
	global_store_dwordx4 v[5:6], v[1:4] off	
s_waitcnt vmcnt(0)
	;;#ASMEND
.LBB1688_50:
	s_or_b32 exec_lo, exec_lo, s2
	v_xad_u32 v9, v17, -1, s6
	s_mov_b32 s11, 0
	v_add_nc_u32_e32 v3, 32, v9
	v_lshlrev_b64 v[5:6], 4, v[3:4]
	v_add_co_u32 v10, vcc_lo, s16, v5
	v_add_co_ci_u32_e64 v11, null, s17, v6, vcc_lo
	;;#ASMSTART
	global_load_dwordx4 v[5:8], v[10:11] off glc dlc	
s_waitcnt vmcnt(0)
	;;#ASMEND
	v_cmp_eq_u16_sdwa s12, v7, v4 src0_sel:BYTE_0 src1_sel:DWORD
	s_and_saveexec_b32 s2, s12
	s_cbranch_execz .LBB1688_54
; %bb.51:
	v_mov_b32_e32 v3, 0
.LBB1688_52:                            ; =>This Inner Loop Header: Depth=1
	;;#ASMSTART
	global_load_dwordx4 v[5:8], v[10:11] off glc dlc	
s_waitcnt vmcnt(0)
	;;#ASMEND
	v_cmp_ne_u16_sdwa s12, v7, v3 src0_sel:BYTE_0 src1_sel:DWORD
	s_or_b32 s11, s12, s11
	s_andn2_b32 exec_lo, exec_lo, s11
	s_cbranch_execnz .LBB1688_52
; %bb.53:
	s_or_b32 exec_lo, exec_lo, s11
.LBB1688_54:
	s_or_b32 exec_lo, exec_lo, s2
	v_cmp_ne_u32_e32 vcc_lo, 31, v17
	v_mov_b32_e32 v8, 2
	v_and_b32_e32 v4, 0xff, v6
	v_lshlrev_b32_e64 v27, v17, -1
	s_mov_b32 s11, exec_lo
	v_add_co_ci_u32_e64 v3, null, 0, v17, vcc_lo
	v_cmp_eq_u16_sdwa s2, v7, v8 src0_sel:BYTE_0 src1_sel:DWORD
	v_lshlrev_b32_e32 v11, 2, v3
	v_and_or_b32 v3, s2, v27, 0x80000000
	ds_bpermute_b32 v8, v11, v5
	ds_bpermute_b32 v10, v11, v4
	v_ffbl_b32_e32 v3, v3
	v_cmpx_lt_u32_e64 v17, v3
	s_cbranch_execz .LBB1688_56
; %bb.55:
	v_and_b32_e32 v28, 1, v6
	v_mov_b32_e32 v4, 0
	s_waitcnt lgkmcnt(0)
	v_and_b32_e32 v10, 1, v10
	v_add_f32_e32 v8, v5, v8
	v_cmp_eq_u32_e64 s2, 1, v28
	v_cmp_eq_u16_sdwa vcc_lo, v6, v4 src0_sel:BYTE_0 src1_sel:DWORD
	v_cndmask_b32_e64 v6, v10, 1, s2
	v_cndmask_b32_e32 v5, v5, v8, vcc_lo
	v_and_b32_e32 v4, 0xffff, v6
.LBB1688_56:
	s_or_b32 exec_lo, exec_lo, s11
	v_cmp_gt_u32_e32 vcc_lo, 30, v17
	v_add_nc_u32_e32 v29, 2, v17
	s_mov_b32 s11, exec_lo
	s_waitcnt lgkmcnt(1)
	v_cndmask_b32_e64 v8, 0, 2, vcc_lo
	v_add_lshl_u32 v28, v8, v17, 2
	ds_bpermute_b32 v8, v28, v5
	s_waitcnt lgkmcnt(1)
	ds_bpermute_b32 v10, v28, v4
	v_cmpx_le_u32_e64 v29, v3
	s_cbranch_execz .LBB1688_58
; %bb.57:
	v_and_b32_e32 v30, 1, v6
	v_mov_b32_e32 v4, 0
	s_waitcnt lgkmcnt(0)
	v_and_b32_e32 v10, 1, v10
	v_add_f32_e32 v8, v5, v8
	v_cmp_eq_u32_e64 s2, 1, v30
	v_cmp_eq_u16_sdwa vcc_lo, v6, v4 src0_sel:BYTE_0 src1_sel:DWORD
	v_cndmask_b32_e64 v6, v10, 1, s2
	v_cndmask_b32_e32 v5, v5, v8, vcc_lo
	v_and_b32_e32 v4, 0xffff, v6
.LBB1688_58:
	s_or_b32 exec_lo, exec_lo, s11
	v_cmp_gt_u32_e32 vcc_lo, 28, v17
	v_add_nc_u32_e32 v31, 4, v17
	s_mov_b32 s11, exec_lo
	s_waitcnt lgkmcnt(1)
	v_cndmask_b32_e64 v8, 0, 4, vcc_lo
	v_add_lshl_u32 v30, v8, v17, 2
	ds_bpermute_b32 v8, v30, v5
	s_waitcnt lgkmcnt(1)
	ds_bpermute_b32 v10, v30, v4
	v_cmpx_le_u32_e64 v31, v3
	;; [unrolled: 24-line block ×3, first 2 shown]
	s_cbranch_execz .LBB1688_62
; %bb.61:
	v_and_b32_e32 v34, 1, v6
	v_mov_b32_e32 v4, 0
	s_waitcnt lgkmcnt(0)
	v_and_b32_e32 v10, 1, v10
	v_add_f32_e32 v8, v5, v8
	v_cmp_eq_u32_e64 s2, 1, v34
	v_cmp_eq_u16_sdwa vcc_lo, v6, v4 src0_sel:BYTE_0 src1_sel:DWORD
	v_cndmask_b32_e64 v6, v10, 1, s2
	v_cndmask_b32_e32 v5, v5, v8, vcc_lo
	v_and_b32_e32 v4, 0xffff, v6
.LBB1688_62:
	s_or_b32 exec_lo, exec_lo, s11
	v_lshl_or_b32 v36, v17, 2, 64
	v_add_nc_u32_e32 v37, 16, v17
	s_mov_b32 s2, exec_lo
	s_waitcnt lgkmcnt(1)
	ds_bpermute_b32 v8, v36, v5
	ds_bpermute_b32 v4, v36, v4
	v_cmpx_le_u32_e64 v37, v3
	s_cbranch_execz .LBB1688_64
; %bb.63:
	v_mov_b32_e32 v3, 0
	s_waitcnt lgkmcnt(1)
	v_add_f32_e32 v8, v5, v8
	v_and_b32_e32 v10, 1, v6
	s_waitcnt lgkmcnt(0)
	v_and_b32_e32 v4, 1, v4
	v_cmp_eq_u16_sdwa vcc_lo, v6, v3 src0_sel:BYTE_0 src1_sel:DWORD
	v_cndmask_b32_e32 v5, v5, v8, vcc_lo
	v_cmp_eq_u32_e32 vcc_lo, 1, v10
	v_cndmask_b32_e64 v6, v4, 1, vcc_lo
.LBB1688_64:
	s_or_b32 exec_lo, exec_lo, s2
	s_waitcnt lgkmcnt(2)
	v_mov_b32_e32 v10, 0
	v_mov_b32_e32 v38, 2
	s_branch .LBB1688_67
.LBB1688_65:                            ;   in Loop: Header=BB1688_67 Depth=1
	s_or_b32 exec_lo, exec_lo, s11
	s_waitcnt lgkmcnt(1)
	ds_bpermute_b32 v8, v36, v5
	ds_bpermute_b32 v4, v36, v4
	s_waitcnt lgkmcnt(2)
	v_and_b32_e32 v39, 1, v6
	v_subrev_nc_u32_e32 v9, 32, v9
	s_mov_b32 s2, 0
	v_cmp_eq_u32_e32 vcc_lo, 1, v39
	s_waitcnt lgkmcnt(1)
	v_add_f32_e32 v8, v5, v8
	s_waitcnt lgkmcnt(0)
	v_cndmask_b32_e64 v4, v4, 1, vcc_lo
	v_cmp_eq_u16_sdwa vcc_lo, v6, v10 src0_sel:BYTE_0 src1_sel:DWORD
	v_cndmask_b32_e32 v8, v5, v8, vcc_lo
	v_cmp_gt_u32_e32 vcc_lo, v37, v3
	v_cndmask_b32_e32 v3, v4, v6, vcc_lo
	v_cndmask_b32_e32 v4, v8, v5, vcc_lo
	v_and_b32_e32 v6, 1, v34
	v_cmp_eq_u16_sdwa vcc_lo, v34, v10 src0_sel:BYTE_0 src1_sel:DWORD
	v_and_b32_e32 v3, 1, v3
	v_add_f32_e32 v4, v35, v4
	v_cndmask_b32_e32 v5, v35, v4, vcc_lo
	v_cmp_eq_u32_e32 vcc_lo, 1, v6
	v_cndmask_b32_e64 v6, v3, 1, vcc_lo
.LBB1688_66:                            ;   in Loop: Header=BB1688_67 Depth=1
	s_and_b32 vcc_lo, exec_lo, s2
	s_cbranch_vccnz .LBB1688_81
.LBB1688_67:                            ; =>This Loop Header: Depth=1
                                        ;     Child Loop BB1688_70 Depth 2
	v_cmp_ne_u16_sdwa s2, v7, v38 src0_sel:BYTE_0 src1_sel:DWORD
	v_mov_b32_e32 v34, v6
	v_mov_b32_e32 v35, v5
                                        ; implicit-def: $vgpr6
	s_cmp_lg_u32 s2, exec_lo
	s_mov_b32 s2, -1
	s_cbranch_scc1 .LBB1688_66
; %bb.68:                               ;   in Loop: Header=BB1688_67 Depth=1
	s_waitcnt lgkmcnt(0)
	v_lshlrev_b64 v[3:4], 4, v[9:10]
	v_add_co_u32 v3, vcc_lo, s16, v3
	v_add_co_ci_u32_e64 v4, null, s17, v4, vcc_lo
	;;#ASMSTART
	global_load_dwordx4 v[5:8], v[3:4] off glc dlc	
s_waitcnt vmcnt(0)
	;;#ASMEND
	v_cmp_eq_u16_sdwa s11, v7, v10 src0_sel:BYTE_0 src1_sel:DWORD
	s_and_saveexec_b32 s2, s11
	s_cbranch_execz .LBB1688_72
; %bb.69:                               ;   in Loop: Header=BB1688_67 Depth=1
	s_mov_b32 s11, 0
.LBB1688_70:                            ;   Parent Loop BB1688_67 Depth=1
                                        ; =>  This Inner Loop Header: Depth=2
	;;#ASMSTART
	global_load_dwordx4 v[5:8], v[3:4] off glc dlc	
s_waitcnt vmcnt(0)
	;;#ASMEND
	v_cmp_ne_u16_sdwa s12, v7, v10 src0_sel:BYTE_0 src1_sel:DWORD
	s_or_b32 s11, s12, s11
	s_andn2_b32 exec_lo, exec_lo, s11
	s_cbranch_execnz .LBB1688_70
; %bb.71:                               ;   in Loop: Header=BB1688_67 Depth=1
	s_or_b32 exec_lo, exec_lo, s11
.LBB1688_72:                            ;   in Loop: Header=BB1688_67 Depth=1
	s_or_b32 exec_lo, exec_lo, s2
	v_and_b32_e32 v4, 0xff, v6
	ds_bpermute_b32 v8, v11, v5
	v_cmp_eq_u16_sdwa s2, v7, v38 src0_sel:BYTE_0 src1_sel:DWORD
	s_mov_b32 s11, exec_lo
	ds_bpermute_b32 v39, v11, v4
	v_and_or_b32 v3, s2, v27, 0x80000000
	v_ffbl_b32_e32 v3, v3
	v_cmpx_lt_u32_e64 v17, v3
	s_cbranch_execz .LBB1688_74
; %bb.73:                               ;   in Loop: Header=BB1688_67 Depth=1
	v_and_b32_e32 v4, 1, v6
	s_waitcnt lgkmcnt(0)
	v_and_b32_e32 v39, 1, v39
	v_add_f32_e32 v8, v5, v8
	v_cmp_eq_u16_sdwa vcc_lo, v6, v10 src0_sel:BYTE_0 src1_sel:DWORD
	v_cmp_eq_u32_e64 s2, 1, v4
	v_cndmask_b32_e32 v5, v5, v8, vcc_lo
	v_cndmask_b32_e64 v6, v39, 1, s2
	v_and_b32_e32 v4, 0xffff, v6
.LBB1688_74:                            ;   in Loop: Header=BB1688_67 Depth=1
	s_or_b32 exec_lo, exec_lo, s11
	s_waitcnt lgkmcnt(1)
	ds_bpermute_b32 v8, v28, v5
	s_waitcnt lgkmcnt(1)
	ds_bpermute_b32 v39, v28, v4
	s_mov_b32 s11, exec_lo
	v_cmpx_le_u32_e64 v29, v3
	s_cbranch_execz .LBB1688_76
; %bb.75:                               ;   in Loop: Header=BB1688_67 Depth=1
	v_and_b32_e32 v4, 1, v6
	s_waitcnt lgkmcnt(0)
	v_and_b32_e32 v39, 1, v39
	v_add_f32_e32 v8, v5, v8
	v_cmp_eq_u16_sdwa vcc_lo, v6, v10 src0_sel:BYTE_0 src1_sel:DWORD
	v_cmp_eq_u32_e64 s2, 1, v4
	v_cndmask_b32_e32 v5, v5, v8, vcc_lo
	v_cndmask_b32_e64 v6, v39, 1, s2
	v_and_b32_e32 v4, 0xffff, v6
.LBB1688_76:                            ;   in Loop: Header=BB1688_67 Depth=1
	s_or_b32 exec_lo, exec_lo, s11
	s_waitcnt lgkmcnt(1)
	ds_bpermute_b32 v8, v30, v5
	s_waitcnt lgkmcnt(1)
	ds_bpermute_b32 v39, v30, v4
	s_mov_b32 s11, exec_lo
	v_cmpx_le_u32_e64 v31, v3
	;; [unrolled: 19-line block ×3, first 2 shown]
	s_cbranch_execz .LBB1688_65
; %bb.79:                               ;   in Loop: Header=BB1688_67 Depth=1
	v_and_b32_e32 v4, 1, v6
	s_waitcnt lgkmcnt(0)
	v_and_b32_e32 v39, 1, v39
	v_add_f32_e32 v8, v5, v8
	v_cmp_eq_u16_sdwa vcc_lo, v6, v10 src0_sel:BYTE_0 src1_sel:DWORD
	v_cmp_eq_u32_e64 s2, 1, v4
	v_cndmask_b32_e32 v5, v5, v8, vcc_lo
	v_cndmask_b32_e64 v6, v39, 1, s2
	v_and_b32_e32 v4, 0xffff, v6
	s_branch .LBB1688_65
.LBB1688_80:
                                        ; implicit-def: $vgpr7
                                        ; implicit-def: $vgpr5
                                        ; implicit-def: $vgpr6
	s_cbranch_execnz .LBB1688_86
	s_branch .LBB1688_111
.LBB1688_81:
	s_and_saveexec_b32 s2, s1
	s_cbranch_execz .LBB1688_83
; %bb.82:
	s_waitcnt lgkmcnt(0)
	v_mov_b32_e32 v4, 0
	v_add_f32_e32 v3, v35, v1
	v_and_b32_e32 v5, 1, v2
	s_mov_b32 s13, 0
	s_add_i32 s12, s6, 32
	v_cmp_eq_u32_sdwa vcc_lo, v2, v4 src0_sel:BYTE_0 src1_sel:DWORD
	v_and_b32_e32 v6, 1, v34
	s_lshl_b64 s[12:13], s[12:13], 4
	s_add_u32 s12, s16, s12
	v_cndmask_b32_e32 v1, v1, v3, vcc_lo
	v_cmp_eq_u32_e32 vcc_lo, 1, v5
	s_addc_u32 s13, s17, s13
	v_mov_b32_e32 v3, 2
	v_cndmask_b32_e64 v2, v6, 1, vcc_lo
	v_mov_b32_e32 v5, s12
	v_mov_b32_e32 v6, s13
	;;#ASMSTART
	global_store_dwordx4 v[5:6], v[1:4] off	
s_waitcnt vmcnt(0)
	;;#ASMEND
.LBB1688_83:
	s_or_b32 exec_lo, exec_lo, s2
	v_cmp_eq_u32_e32 vcc_lo, 0, v0
	s_and_b32 exec_lo, exec_lo, vcc_lo
	s_cbranch_execz .LBB1688_85
; %bb.84:
	v_mov_b32_e32 v1, 0
	ds_write_b32 v1, v35 offset:56
	ds_write_b8 v1, v34 offset:60
.LBB1688_85:
	s_or_b32 exec_lo, exec_lo, s10
	v_mov_b32_e32 v1, 0
	s_waitcnt lgkmcnt(0)
	s_barrier
	buffer_gl0_inv
	v_cndmask_b32_e64 v3, v25, v23, s1
	ds_read_b32 v2, v1 offset:56
	v_cndmask_b32_e64 v4, v26, v24, s1
	v_cmp_eq_u32_sdwa vcc_lo, v4, v1 src0_sel:BYTE_0 src1_sel:DWORD
	s_waitcnt lgkmcnt(0)
	v_add_f32_e32 v5, v3, v2
	v_cndmask_b32_e32 v3, v3, v5, vcc_lo
	v_cmp_eq_u32_e32 vcc_lo, 0, v0
	v_cndmask_b32_e32 v6, v3, v2, vcc_lo
	v_cmp_eq_u16_sdwa vcc_lo, v14, v1 src0_sel:BYTE_0 src1_sel:DWORD
	v_add_f32_e32 v2, v16, v6
	v_cndmask_b32_e32 v5, v16, v2, vcc_lo
	v_add_f32_e32 v1, v15, v5
	v_cndmask_b32_e64 v7, v15, v1, s0
	s_branch .LBB1688_111
.LBB1688_86:
	s_cmp_eq_u64 s[24:25], 0
	v_mov_b32_e32 v3, s26
	s_cselect_b32 s0, -1, 0
	s_cmp_eq_u64 s[22:23], 0
	s_cselect_b32 s1, -1, 0
	s_or_b32 s0, s0, s1
	s_and_b32 vcc_lo, exec_lo, s0
	s_cbranch_vccnz .LBB1688_88
; %bb.87:
	v_mov_b32_e32 v1, 0
	global_load_dword v3, v1, s[22:23]
.LBB1688_88:
	v_mov_b32_e32 v2, 0
	s_mov_b32 s1, exec_lo
	v_cmp_eq_u16_sdwa vcc_lo, v19, v2 src0_sel:BYTE_0 src1_sel:DWORD
	v_cmp_eq_u16_sdwa s0, v21, v2 src0_sel:BYTE_0 src1_sel:DWORD
	v_cndmask_b32_e32 v1, v15, v22, vcc_lo
	v_cndmask_b32_e64 v6, 1, v14, s0
	v_cmp_eq_u16_e64 s0, 0, v20
	v_add_f32_e32 v1, v1, v18
	v_and_b32_e32 v5, 0xff, v6
	v_cndmask_b32_e64 v4, v18, v1, s0
	v_and_b32_e32 v1, 15, v17
	v_mov_b32_dpp v7, v5 row_shr:1 row_mask:0xf bank_mask:0xf
	v_mov_b32_dpp v8, v4 row_shr:1 row_mask:0xf bank_mask:0xf
	v_cmpx_ne_u32_e32 0, v1
	s_cbranch_execz .LBB1688_90
; %bb.89:
	v_add_f32_e32 v5, v4, v8
	v_and_b32_e32 v8, 1, v6
	v_cmp_eq_u16_sdwa s0, v6, v2 src0_sel:BYTE_0 src1_sel:DWORD
	v_and_b32_e32 v7, 1, v7
	v_cndmask_b32_e64 v4, v4, v5, s0
	v_cmp_eq_u32_e64 s0, 1, v8
	v_cndmask_b32_e64 v5, v7, 1, s0
.LBB1688_90:
	s_or_b32 exec_lo, exec_lo, s1
	v_mov_b32_dpp v6, v4 row_shr:2 row_mask:0xf bank_mask:0xf
	v_mov_b32_dpp v2, v5 row_shr:2 row_mask:0xf bank_mask:0xf
	s_mov_b32 s1, exec_lo
	v_cmpx_lt_u32_e32 1, v1
	s_cbranch_execz .LBB1688_92
; %bb.91:
	v_add_f32_e32 v6, v4, v6
	v_and_b32_e32 v7, 1, v5
	v_cmp_eq_u32_e64 s0, 0, v5
	v_and_b32_e32 v2, 1, v2
	v_cndmask_b32_e64 v4, v4, v6, s0
	v_cmp_eq_u32_e64 s0, 1, v7
	v_cndmask_b32_e64 v5, v2, 1, s0
.LBB1688_92:
	s_or_b32 exec_lo, exec_lo, s1
	v_mov_b32_dpp v6, v4 row_shr:4 row_mask:0xf bank_mask:0xf
	v_mov_b32_dpp v2, v5 row_shr:4 row_mask:0xf bank_mask:0xf
	s_mov_b32 s1, exec_lo
	v_cmpx_lt_u32_e32 3, v1
	s_cbranch_execz .LBB1688_94
; %bb.93:
	v_add_f32_e32 v6, v4, v6
	v_and_b32_e32 v7, 1, v5
	v_cmp_eq_u32_e64 s0, 0, v5
	v_and_b32_e32 v2, 1, v2
	v_cndmask_b32_e64 v4, v4, v6, s0
	v_cmp_eq_u32_e64 s0, 1, v7
	v_cndmask_b32_e64 v5, v2, 1, s0
.LBB1688_94:
	;; [unrolled: 15-line block ×3, first 2 shown]
	s_or_b32 exec_lo, exec_lo, s1
	ds_swizzle_b32 v2, v4 offset:swizzle(BROADCAST,32,15)
	ds_swizzle_b32 v1, v5 offset:swizzle(BROADCAST,32,15)
	v_and_b32_e32 v6, 16, v17
	s_mov_b32 s1, exec_lo
	v_cmpx_ne_u32_e32 0, v6
	s_cbranch_execz .LBB1688_98
; %bb.97:
	s_waitcnt lgkmcnt(1)
	v_add_f32_e32 v2, v4, v2
	v_and_b32_e32 v6, 1, v5
	v_cmp_eq_u32_e64 s0, 0, v5
	s_waitcnt lgkmcnt(0)
	v_and_b32_e32 v1, 1, v1
	v_cndmask_b32_e64 v4, v4, v2, s0
	v_cmp_eq_u32_e64 s0, 1, v6
	v_cndmask_b32_e64 v5, v1, 1, s0
.LBB1688_98:
	s_or_b32 exec_lo, exec_lo, s1
	s_waitcnt lgkmcnt(1)
	v_lshrrev_b32_e32 v2, 5, v0
	s_waitcnt lgkmcnt(0)
	v_or_b32_e32 v1, 31, v0
	s_mov_b32 s1, exec_lo
	v_lshlrev_b32_e32 v6, 3, v2
	v_cmpx_eq_u32_e64 v0, v1
	s_cbranch_execz .LBB1688_100
; %bb.99:
	ds_write_b32 v6, v4
	ds_write_b8 v6, v5 offset:4
.LBB1688_100:
	s_or_b32 exec_lo, exec_lo, s1
	s_mov_b32 s2, exec_lo
	s_waitcnt vmcnt(0) lgkmcnt(0)
	s_barrier
	buffer_gl0_inv
	v_cmpx_gt_u32_e32 8, v0
	s_cbranch_execz .LBB1688_106
; %bb.101:
	ds_read_b64 v[1:2], v13
	v_and_b32_e32 v7, 7, v17
	s_mov_b32 s1, exec_lo
	s_waitcnt lgkmcnt(0)
	v_mov_b32_dpp v9, v1 row_shr:1 row_mask:0xf bank_mask:0xf
	v_mov_b32_dpp v10, v2 row_shr:1 row_mask:0xf bank_mask:0xf
	v_mov_b32_e32 v8, v2
	v_cmpx_ne_u32_e32 0, v7
	s_cbranch_execz .LBB1688_103
; %bb.102:
	v_and_b32_e32 v8, 1, v2
	v_and_b32_e32 v10, 1, v10
	v_mov_b32_e32 v11, 0
	v_add_f32_e32 v9, v1, v9
	v_cmp_eq_u32_e64 s0, 1, v8
	v_cndmask_b32_e64 v8, v10, 1, s0
	v_cmp_eq_u16_sdwa s0, v2, v11 src0_sel:BYTE_0 src1_sel:DWORD
	v_and_or_b32 v2, 0xffffff00, v2, v8
	v_cndmask_b32_e64 v1, v1, v9, s0
.LBB1688_103:
	s_or_b32 exec_lo, exec_lo, s1
	v_mov_b32_dpp v9, v1 row_shr:2 row_mask:0xf bank_mask:0xf
	v_mov_b32_dpp v10, v2 row_shr:2 row_mask:0xf bank_mask:0xf
	s_mov_b32 s6, exec_lo
	v_cmpx_lt_u32_e32 1, v7
	s_cbranch_execz .LBB1688_105
; %bb.104:
	v_and_b32_e32 v18, 1, v8
	v_mov_b32_e32 v11, 0
	v_and_b32_e32 v10, 1, v10
	v_add_f32_e32 v9, v1, v9
	v_cmp_eq_u32_e64 s1, 1, v18
	v_cmp_eq_u16_sdwa s0, v8, v11 src0_sel:BYTE_0 src1_sel:DWORD
	v_cndmask_b32_e64 v8, v10, 1, s1
	v_cndmask_b32_e64 v1, v1, v9, s0
	v_and_or_b32 v2, 0xffffff00, v2, v8
.LBB1688_105:
	s_or_b32 exec_lo, exec_lo, s6
	v_mov_b32_dpp v9, v2 row_shr:4 row_mask:0xf bank_mask:0xf
	v_and_b32_e32 v11, 1, v8
	v_mov_b32_e32 v10, 0
	v_mov_b32_dpp v18, v1 row_shr:4 row_mask:0xf bank_mask:0xf
	v_and_b32_e32 v9, 1, v9
	v_cmp_eq_u32_e64 s0, 1, v11
	v_cmp_eq_u16_sdwa s1, v8, v10 src0_sel:BYTE_0 src1_sel:DWORD
	v_cndmask_b32_e64 v8, v9, 1, s0
	v_cmp_lt_u32_e64 s0, 3, v7
	v_add_f32_e32 v7, v1, v18
	v_cndmask_b32_e64 v2, v2, v8, s0
	s_and_b32 s0, s0, s1
	v_cndmask_b32_e64 v1, v1, v7, s0
	ds_write_b32 v13, v1
	ds_write_b8 v13, v2 offset:4
.LBB1688_106:
	s_or_b32 exec_lo, exec_lo, s2
	v_mov_b32_e32 v1, v3
	s_mov_b32 s1, exec_lo
	s_waitcnt lgkmcnt(0)
	s_barrier
	buffer_gl0_inv
	v_cmpx_lt_u32_e32 31, v0
	s_cbranch_execz .LBB1688_108
; %bb.107:
	v_add_nc_u32_e32 v1, -8, v6
	v_add_nc_u32_e32 v2, -4, v6
	ds_read_b32 v1, v1
	ds_read_u8 v2, v2
	s_waitcnt lgkmcnt(1)
	v_add_f32_e32 v6, v3, v1
	s_waitcnt lgkmcnt(0)
	v_cmp_eq_u16_e64 s0, 0, v2
	v_cndmask_b32_e64 v1, v1, v6, s0
.LBB1688_108:
	s_or_b32 exec_lo, exec_lo, s1
	v_sub_co_u32 v2, s0, v17, 1
	v_add_f32_e32 v6, v4, v1
	v_cmp_gt_i32_e64 s1, 0, v2
	v_cndmask_b32_e64 v2, v2, v17, s1
	v_cmp_eq_u32_e64 s1, 0, v5
	v_lshlrev_b32_e32 v2, 2, v2
	v_cndmask_b32_e64 v4, v4, v6, s1
	ds_bpermute_b32 v2, v2, v4
	s_waitcnt lgkmcnt(0)
	v_cndmask_b32_e64 v6, v2, v1, s0
	v_cmp_eq_u32_e64 s0, 0, v0
	v_mov_b32_e32 v2, 0
	v_cndmask_b32_e64 v1, v6, v3, s0
	v_cmp_eq_u16_sdwa s1, v14, v2 src0_sel:BYTE_0 src1_sel:DWORD
	v_add_f32_e32 v1, v16, v1
	v_cndmask_b32_e64 v5, v16, v1, s1
	v_add_f32_e32 v4, v15, v5
	s_and_saveexec_b32 s1, s0
	s_cbranch_execz .LBB1688_110
; %bb.109:
	ds_read_u8 v1, v2 offset:60
	ds_read_b32 v6, v2 offset:56
	s_add_u32 s10, s16, 0x200
	s_addc_u32 s11, s17, 0
	v_mov_b32_e32 v10, v2
	v_mov_b32_e32 v9, 2
	s_waitcnt lgkmcnt(1)
	v_and_b32_e32 v1, 0xffff, v1
	s_waitcnt lgkmcnt(0)
	v_add_f32_e32 v7, v3, v6
	v_cmp_eq_u64_e64 s0, 0, v[1:2]
	v_mov_b32_e32 v8, v1
	v_mov_b32_e32 v1, s10
	;; [unrolled: 1-line block ×3, first 2 shown]
	v_cndmask_b32_e64 v7, v6, v7, s0
	v_mov_b32_e32 v6, v3
	;;#ASMSTART
	global_store_dwordx4 v[1:2], v[7:10] off	
s_waitcnt vmcnt(0)
	;;#ASMEND
.LBB1688_110:
	s_or_b32 exec_lo, exec_lo, s1
	v_cndmask_b32_e32 v7, v15, v4, vcc_lo
.LBB1688_111:
	s_add_u32 s0, s14, s4
	v_mov_b32_e32 v3, 0
	s_addc_u32 s1, s15, s5
	s_add_u32 s0, s0, s8
	s_addc_u32 s1, s1, s9
	s_and_b32 vcc_lo, exec_lo, s3
	s_cbranch_vccz .LBB1688_123
; %bb.112:
	v_mul_u32_u24_e32 v1, 3, v0
	v_mov_b32_e32 v4, 0
	v_mov_b32_e32 v2, 0
	s_add_i32 s7, s7, s18
	s_mov_b32 s2, exec_lo
	v_cmpx_gt_u32_e64 s7, v1
	s_cbranch_execz .LBB1688_118
; %bb.113:
	v_add_nc_u32_e32 v3, 1, v1
	v_mov_b32_e32 v2, 0
	v_mov_b32_e32 v4, 0
	s_mov_b32 s3, exec_lo
	v_cmpx_gt_u32_e64 s7, v3
	s_cbranch_execz .LBB1688_117
; %bb.114:
	v_add_nc_u32_e32 v2, 2, v1
	v_cmp_gt_u32_e32 vcc_lo, s7, v2
	v_mov_b32_e32 v2, 0
	s_and_saveexec_b32 s4, vcc_lo
; %bb.115:
	v_mov_b32_e32 v2, v7
; %bb.116:
	s_or_b32 exec_lo, exec_lo, s4
	v_mov_b32_e32 v4, v5
.LBB1688_117:
	s_or_b32 exec_lo, exec_lo, s3
	v_mov_b32_e32 v3, v6
.LBB1688_118:
	s_or_b32 exec_lo, exec_lo, s2
	v_lshlrev_b32_e32 v8, 2, v1
	s_barrier
	buffer_gl0_inv
	v_sub_nc_u32_e32 v1, v8, v13
	ds_write2_b32 v8, v3, v4 offset1:1
	ds_write_b32 v8, v2 offset:8
	s_waitcnt lgkmcnt(0)
	s_barrier
	buffer_gl0_inv
	ds_read2st64_b32 v[1:2], v1 offset0:4 offset1:8
	v_add_co_u32 v3, s2, s0, v12
	v_add_co_ci_u32_e64 v4, null, s1, 0, s2
	s_mov_b32 s2, exec_lo
	v_cmpx_gt_u32_e64 s7, v0
	s_cbranch_execz .LBB1688_120
; %bb.119:
	v_sub_nc_u32_e32 v9, 0, v13
	v_add_nc_u32_e32 v8, v8, v9
	ds_read_b32 v8, v8
	s_waitcnt lgkmcnt(0)
	flat_store_dword v[3:4], v8
.LBB1688_120:
	s_or_b32 exec_lo, exec_lo, s2
	v_or_b32_e32 v8, 0x100, v0
	s_mov_b32 s2, exec_lo
	v_cmpx_gt_u32_e64 s7, v8
	s_cbranch_execz .LBB1688_122
; %bb.121:
	s_waitcnt lgkmcnt(0)
	flat_store_dword v[3:4], v1 offset:1024
.LBB1688_122:
	s_or_b32 exec_lo, exec_lo, s2
	s_waitcnt lgkmcnt(0)
	v_or_b32_e32 v1, 0x200, v0
	v_cmp_gt_u32_e64 s2, s7, v1
	s_branch .LBB1688_125
.LBB1688_123:
	s_mov_b32 s2, 0
                                        ; implicit-def: $vgpr2
	s_cbranch_execz .LBB1688_125
; %bb.124:
	v_mul_u32_u24_e32 v1, 12, v0
	s_waitcnt_vscnt null, 0x0
	s_barrier
	buffer_gl0_inv
	s_or_b32 s2, s2, exec_lo
	v_sub_nc_u32_e32 v2, v1, v13
	ds_write2_b32 v1, v6, v5 offset1:1
	ds_write_b32 v1, v7 offset:8
	s_waitcnt lgkmcnt(0)
	s_barrier
	buffer_gl0_inv
	ds_read2st64_b32 v[3:4], v2 offset1:4
	ds_read_b32 v2, v2 offset:2048
	v_add_co_u32 v5, s3, s0, v12
	v_add_co_ci_u32_e64 v6, null, s1, 0, s3
	s_waitcnt lgkmcnt(1)
	flat_store_dword v[5:6], v3
	flat_store_dword v[5:6], v4 offset:1024
.LBB1688_125:
	s_and_saveexec_b32 s3, s2
	s_cbranch_execnz .LBB1688_127
; %bb.126:
	s_endpgm
.LBB1688_127:
	v_lshlrev_b32_e32 v0, 2, v0
	v_add_co_u32 v0, s0, s0, v0
	v_add_co_ci_u32_e64 v1, null, s1, 0, s0
	v_add_co_u32 v0, vcc_lo, 0x800, v0
	v_add_co_ci_u32_e64 v1, null, 0, v1, vcc_lo
	s_waitcnt lgkmcnt(2)
	flat_store_dword v[0:1], v2
	s_endpgm
.LBB1688_128:
	v_add_co_u32 v2, s1, s12, v10
	v_add_co_ci_u32_e64 v3, null, s13, 0, s1
	v_mov_b32_e32 v12, v1
	v_mov_b32_e32 v13, v1
	flat_load_dword v2, v[2:3]
	s_waitcnt vmcnt(0) lgkmcnt(0)
	v_cvt_f32_u32_e32 v11, v2
	v_mov_b32_e32 v1, v11
	v_mov_b32_e32 v2, v12
	;; [unrolled: 1-line block ×3, first 2 shown]
	s_or_b32 exec_lo, exec_lo, s2
	s_and_saveexec_b32 s1, s0
	s_cbranch_execz .LBB1688_11
.LBB1688_129:
	v_add_co_u32 v11, s0, s12, v10
	v_add_co_ci_u32_e64 v12, null, s13, 0, s0
	flat_load_dword v2, v[11:12] offset:1024
	s_waitcnt vmcnt(0) lgkmcnt(0)
	v_cvt_f32_u32_e32 v2, v2
	s_or_b32 exec_lo, exec_lo, s1
	v_mul_u32_u24_e32 v11, 3, v0
	s_and_saveexec_b32 s0, vcc_lo
	s_cbranch_execnz .LBB1688_12
	s_branch .LBB1688_13
	.section	.rodata,"a",@progbits
	.p2align	6, 0x0
	.amdhsa_kernel _ZN7rocprim17ROCPRIM_400000_NS6detail17trampoline_kernelINS0_14default_configENS1_27scan_by_key_config_selectorIifEEZZNS1_16scan_by_key_implILNS1_25lookback_scan_determinismE0ELb1ES3_N6thrust23THRUST_200600_302600_NS6detail15normal_iteratorINS9_10device_ptrIiEEEENSB_INSC_IjEEEENSB_INSC_IfEEEEfNS9_4plusIvEENS9_8equal_toIvEEfEE10hipError_tPvRmT2_T3_T4_T5_mT6_T7_P12ihipStream_tbENKUlT_T0_E_clISt17integral_constantIbLb0EES13_EEDaSY_SZ_EUlSY_E_NS1_11comp_targetILNS1_3genE8ELNS1_11target_archE1030ELNS1_3gpuE2ELNS1_3repE0EEENS1_30default_config_static_selectorELNS0_4arch9wavefront6targetE0EEEvT1_
		.amdhsa_group_segment_fixed_size 5120
		.amdhsa_private_segment_fixed_size 0
		.amdhsa_kernarg_size 112
		.amdhsa_user_sgpr_count 6
		.amdhsa_user_sgpr_private_segment_buffer 1
		.amdhsa_user_sgpr_dispatch_ptr 0
		.amdhsa_user_sgpr_queue_ptr 0
		.amdhsa_user_sgpr_kernarg_segment_ptr 1
		.amdhsa_user_sgpr_dispatch_id 0
		.amdhsa_user_sgpr_flat_scratch_init 0
		.amdhsa_user_sgpr_private_segment_size 0
		.amdhsa_wavefront_size32 1
		.amdhsa_uses_dynamic_stack 0
		.amdhsa_system_sgpr_private_segment_wavefront_offset 0
		.amdhsa_system_sgpr_workgroup_id_x 1
		.amdhsa_system_sgpr_workgroup_id_y 0
		.amdhsa_system_sgpr_workgroup_id_z 0
		.amdhsa_system_sgpr_workgroup_info 0
		.amdhsa_system_vgpr_workitem_id 0
		.amdhsa_next_free_vgpr 40
		.amdhsa_next_free_sgpr 29
		.amdhsa_reserve_vcc 1
		.amdhsa_reserve_flat_scratch 1
		.amdhsa_float_round_mode_32 0
		.amdhsa_float_round_mode_16_64 0
		.amdhsa_float_denorm_mode_32 3
		.amdhsa_float_denorm_mode_16_64 3
		.amdhsa_dx10_clamp 1
		.amdhsa_ieee_mode 1
		.amdhsa_fp16_overflow 0
		.amdhsa_workgroup_processor_mode 1
		.amdhsa_memory_ordered 1
		.amdhsa_forward_progress 1
		.amdhsa_shared_vgpr_count 0
		.amdhsa_exception_fp_ieee_invalid_op 0
		.amdhsa_exception_fp_denorm_src 0
		.amdhsa_exception_fp_ieee_div_zero 0
		.amdhsa_exception_fp_ieee_overflow 0
		.amdhsa_exception_fp_ieee_underflow 0
		.amdhsa_exception_fp_ieee_inexact 0
		.amdhsa_exception_int_div_zero 0
	.end_amdhsa_kernel
	.section	.text._ZN7rocprim17ROCPRIM_400000_NS6detail17trampoline_kernelINS0_14default_configENS1_27scan_by_key_config_selectorIifEEZZNS1_16scan_by_key_implILNS1_25lookback_scan_determinismE0ELb1ES3_N6thrust23THRUST_200600_302600_NS6detail15normal_iteratorINS9_10device_ptrIiEEEENSB_INSC_IjEEEENSB_INSC_IfEEEEfNS9_4plusIvEENS9_8equal_toIvEEfEE10hipError_tPvRmT2_T3_T4_T5_mT6_T7_P12ihipStream_tbENKUlT_T0_E_clISt17integral_constantIbLb0EES13_EEDaSY_SZ_EUlSY_E_NS1_11comp_targetILNS1_3genE8ELNS1_11target_archE1030ELNS1_3gpuE2ELNS1_3repE0EEENS1_30default_config_static_selectorELNS0_4arch9wavefront6targetE0EEEvT1_,"axG",@progbits,_ZN7rocprim17ROCPRIM_400000_NS6detail17trampoline_kernelINS0_14default_configENS1_27scan_by_key_config_selectorIifEEZZNS1_16scan_by_key_implILNS1_25lookback_scan_determinismE0ELb1ES3_N6thrust23THRUST_200600_302600_NS6detail15normal_iteratorINS9_10device_ptrIiEEEENSB_INSC_IjEEEENSB_INSC_IfEEEEfNS9_4plusIvEENS9_8equal_toIvEEfEE10hipError_tPvRmT2_T3_T4_T5_mT6_T7_P12ihipStream_tbENKUlT_T0_E_clISt17integral_constantIbLb0EES13_EEDaSY_SZ_EUlSY_E_NS1_11comp_targetILNS1_3genE8ELNS1_11target_archE1030ELNS1_3gpuE2ELNS1_3repE0EEENS1_30default_config_static_selectorELNS0_4arch9wavefront6targetE0EEEvT1_,comdat
.Lfunc_end1688:
	.size	_ZN7rocprim17ROCPRIM_400000_NS6detail17trampoline_kernelINS0_14default_configENS1_27scan_by_key_config_selectorIifEEZZNS1_16scan_by_key_implILNS1_25lookback_scan_determinismE0ELb1ES3_N6thrust23THRUST_200600_302600_NS6detail15normal_iteratorINS9_10device_ptrIiEEEENSB_INSC_IjEEEENSB_INSC_IfEEEEfNS9_4plusIvEENS9_8equal_toIvEEfEE10hipError_tPvRmT2_T3_T4_T5_mT6_T7_P12ihipStream_tbENKUlT_T0_E_clISt17integral_constantIbLb0EES13_EEDaSY_SZ_EUlSY_E_NS1_11comp_targetILNS1_3genE8ELNS1_11target_archE1030ELNS1_3gpuE2ELNS1_3repE0EEENS1_30default_config_static_selectorELNS0_4arch9wavefront6targetE0EEEvT1_, .Lfunc_end1688-_ZN7rocprim17ROCPRIM_400000_NS6detail17trampoline_kernelINS0_14default_configENS1_27scan_by_key_config_selectorIifEEZZNS1_16scan_by_key_implILNS1_25lookback_scan_determinismE0ELb1ES3_N6thrust23THRUST_200600_302600_NS6detail15normal_iteratorINS9_10device_ptrIiEEEENSB_INSC_IjEEEENSB_INSC_IfEEEEfNS9_4plusIvEENS9_8equal_toIvEEfEE10hipError_tPvRmT2_T3_T4_T5_mT6_T7_P12ihipStream_tbENKUlT_T0_E_clISt17integral_constantIbLb0EES13_EEDaSY_SZ_EUlSY_E_NS1_11comp_targetILNS1_3genE8ELNS1_11target_archE1030ELNS1_3gpuE2ELNS1_3repE0EEENS1_30default_config_static_selectorELNS0_4arch9wavefront6targetE0EEEvT1_
                                        ; -- End function
	.set _ZN7rocprim17ROCPRIM_400000_NS6detail17trampoline_kernelINS0_14default_configENS1_27scan_by_key_config_selectorIifEEZZNS1_16scan_by_key_implILNS1_25lookback_scan_determinismE0ELb1ES3_N6thrust23THRUST_200600_302600_NS6detail15normal_iteratorINS9_10device_ptrIiEEEENSB_INSC_IjEEEENSB_INSC_IfEEEEfNS9_4plusIvEENS9_8equal_toIvEEfEE10hipError_tPvRmT2_T3_T4_T5_mT6_T7_P12ihipStream_tbENKUlT_T0_E_clISt17integral_constantIbLb0EES13_EEDaSY_SZ_EUlSY_E_NS1_11comp_targetILNS1_3genE8ELNS1_11target_archE1030ELNS1_3gpuE2ELNS1_3repE0EEENS1_30default_config_static_selectorELNS0_4arch9wavefront6targetE0EEEvT1_.num_vgpr, 40
	.set _ZN7rocprim17ROCPRIM_400000_NS6detail17trampoline_kernelINS0_14default_configENS1_27scan_by_key_config_selectorIifEEZZNS1_16scan_by_key_implILNS1_25lookback_scan_determinismE0ELb1ES3_N6thrust23THRUST_200600_302600_NS6detail15normal_iteratorINS9_10device_ptrIiEEEENSB_INSC_IjEEEENSB_INSC_IfEEEEfNS9_4plusIvEENS9_8equal_toIvEEfEE10hipError_tPvRmT2_T3_T4_T5_mT6_T7_P12ihipStream_tbENKUlT_T0_E_clISt17integral_constantIbLb0EES13_EEDaSY_SZ_EUlSY_E_NS1_11comp_targetILNS1_3genE8ELNS1_11target_archE1030ELNS1_3gpuE2ELNS1_3repE0EEENS1_30default_config_static_selectorELNS0_4arch9wavefront6targetE0EEEvT1_.num_agpr, 0
	.set _ZN7rocprim17ROCPRIM_400000_NS6detail17trampoline_kernelINS0_14default_configENS1_27scan_by_key_config_selectorIifEEZZNS1_16scan_by_key_implILNS1_25lookback_scan_determinismE0ELb1ES3_N6thrust23THRUST_200600_302600_NS6detail15normal_iteratorINS9_10device_ptrIiEEEENSB_INSC_IjEEEENSB_INSC_IfEEEEfNS9_4plusIvEENS9_8equal_toIvEEfEE10hipError_tPvRmT2_T3_T4_T5_mT6_T7_P12ihipStream_tbENKUlT_T0_E_clISt17integral_constantIbLb0EES13_EEDaSY_SZ_EUlSY_E_NS1_11comp_targetILNS1_3genE8ELNS1_11target_archE1030ELNS1_3gpuE2ELNS1_3repE0EEENS1_30default_config_static_selectorELNS0_4arch9wavefront6targetE0EEEvT1_.numbered_sgpr, 29
	.set _ZN7rocprim17ROCPRIM_400000_NS6detail17trampoline_kernelINS0_14default_configENS1_27scan_by_key_config_selectorIifEEZZNS1_16scan_by_key_implILNS1_25lookback_scan_determinismE0ELb1ES3_N6thrust23THRUST_200600_302600_NS6detail15normal_iteratorINS9_10device_ptrIiEEEENSB_INSC_IjEEEENSB_INSC_IfEEEEfNS9_4plusIvEENS9_8equal_toIvEEfEE10hipError_tPvRmT2_T3_T4_T5_mT6_T7_P12ihipStream_tbENKUlT_T0_E_clISt17integral_constantIbLb0EES13_EEDaSY_SZ_EUlSY_E_NS1_11comp_targetILNS1_3genE8ELNS1_11target_archE1030ELNS1_3gpuE2ELNS1_3repE0EEENS1_30default_config_static_selectorELNS0_4arch9wavefront6targetE0EEEvT1_.num_named_barrier, 0
	.set _ZN7rocprim17ROCPRIM_400000_NS6detail17trampoline_kernelINS0_14default_configENS1_27scan_by_key_config_selectorIifEEZZNS1_16scan_by_key_implILNS1_25lookback_scan_determinismE0ELb1ES3_N6thrust23THRUST_200600_302600_NS6detail15normal_iteratorINS9_10device_ptrIiEEEENSB_INSC_IjEEEENSB_INSC_IfEEEEfNS9_4plusIvEENS9_8equal_toIvEEfEE10hipError_tPvRmT2_T3_T4_T5_mT6_T7_P12ihipStream_tbENKUlT_T0_E_clISt17integral_constantIbLb0EES13_EEDaSY_SZ_EUlSY_E_NS1_11comp_targetILNS1_3genE8ELNS1_11target_archE1030ELNS1_3gpuE2ELNS1_3repE0EEENS1_30default_config_static_selectorELNS0_4arch9wavefront6targetE0EEEvT1_.private_seg_size, 0
	.set _ZN7rocprim17ROCPRIM_400000_NS6detail17trampoline_kernelINS0_14default_configENS1_27scan_by_key_config_selectorIifEEZZNS1_16scan_by_key_implILNS1_25lookback_scan_determinismE0ELb1ES3_N6thrust23THRUST_200600_302600_NS6detail15normal_iteratorINS9_10device_ptrIiEEEENSB_INSC_IjEEEENSB_INSC_IfEEEEfNS9_4plusIvEENS9_8equal_toIvEEfEE10hipError_tPvRmT2_T3_T4_T5_mT6_T7_P12ihipStream_tbENKUlT_T0_E_clISt17integral_constantIbLb0EES13_EEDaSY_SZ_EUlSY_E_NS1_11comp_targetILNS1_3genE8ELNS1_11target_archE1030ELNS1_3gpuE2ELNS1_3repE0EEENS1_30default_config_static_selectorELNS0_4arch9wavefront6targetE0EEEvT1_.uses_vcc, 1
	.set _ZN7rocprim17ROCPRIM_400000_NS6detail17trampoline_kernelINS0_14default_configENS1_27scan_by_key_config_selectorIifEEZZNS1_16scan_by_key_implILNS1_25lookback_scan_determinismE0ELb1ES3_N6thrust23THRUST_200600_302600_NS6detail15normal_iteratorINS9_10device_ptrIiEEEENSB_INSC_IjEEEENSB_INSC_IfEEEEfNS9_4plusIvEENS9_8equal_toIvEEfEE10hipError_tPvRmT2_T3_T4_T5_mT6_T7_P12ihipStream_tbENKUlT_T0_E_clISt17integral_constantIbLb0EES13_EEDaSY_SZ_EUlSY_E_NS1_11comp_targetILNS1_3genE8ELNS1_11target_archE1030ELNS1_3gpuE2ELNS1_3repE0EEENS1_30default_config_static_selectorELNS0_4arch9wavefront6targetE0EEEvT1_.uses_flat_scratch, 1
	.set _ZN7rocprim17ROCPRIM_400000_NS6detail17trampoline_kernelINS0_14default_configENS1_27scan_by_key_config_selectorIifEEZZNS1_16scan_by_key_implILNS1_25lookback_scan_determinismE0ELb1ES3_N6thrust23THRUST_200600_302600_NS6detail15normal_iteratorINS9_10device_ptrIiEEEENSB_INSC_IjEEEENSB_INSC_IfEEEEfNS9_4plusIvEENS9_8equal_toIvEEfEE10hipError_tPvRmT2_T3_T4_T5_mT6_T7_P12ihipStream_tbENKUlT_T0_E_clISt17integral_constantIbLb0EES13_EEDaSY_SZ_EUlSY_E_NS1_11comp_targetILNS1_3genE8ELNS1_11target_archE1030ELNS1_3gpuE2ELNS1_3repE0EEENS1_30default_config_static_selectorELNS0_4arch9wavefront6targetE0EEEvT1_.has_dyn_sized_stack, 0
	.set _ZN7rocprim17ROCPRIM_400000_NS6detail17trampoline_kernelINS0_14default_configENS1_27scan_by_key_config_selectorIifEEZZNS1_16scan_by_key_implILNS1_25lookback_scan_determinismE0ELb1ES3_N6thrust23THRUST_200600_302600_NS6detail15normal_iteratorINS9_10device_ptrIiEEEENSB_INSC_IjEEEENSB_INSC_IfEEEEfNS9_4plusIvEENS9_8equal_toIvEEfEE10hipError_tPvRmT2_T3_T4_T5_mT6_T7_P12ihipStream_tbENKUlT_T0_E_clISt17integral_constantIbLb0EES13_EEDaSY_SZ_EUlSY_E_NS1_11comp_targetILNS1_3genE8ELNS1_11target_archE1030ELNS1_3gpuE2ELNS1_3repE0EEENS1_30default_config_static_selectorELNS0_4arch9wavefront6targetE0EEEvT1_.has_recursion, 0
	.set _ZN7rocprim17ROCPRIM_400000_NS6detail17trampoline_kernelINS0_14default_configENS1_27scan_by_key_config_selectorIifEEZZNS1_16scan_by_key_implILNS1_25lookback_scan_determinismE0ELb1ES3_N6thrust23THRUST_200600_302600_NS6detail15normal_iteratorINS9_10device_ptrIiEEEENSB_INSC_IjEEEENSB_INSC_IfEEEEfNS9_4plusIvEENS9_8equal_toIvEEfEE10hipError_tPvRmT2_T3_T4_T5_mT6_T7_P12ihipStream_tbENKUlT_T0_E_clISt17integral_constantIbLb0EES13_EEDaSY_SZ_EUlSY_E_NS1_11comp_targetILNS1_3genE8ELNS1_11target_archE1030ELNS1_3gpuE2ELNS1_3repE0EEENS1_30default_config_static_selectorELNS0_4arch9wavefront6targetE0EEEvT1_.has_indirect_call, 0
	.section	.AMDGPU.csdata,"",@progbits
; Kernel info:
; codeLenInByte = 6120
; TotalNumSgprs: 31
; NumVgprs: 40
; ScratchSize: 0
; MemoryBound: 0
; FloatMode: 240
; IeeeMode: 1
; LDSByteSize: 5120 bytes/workgroup (compile time only)
; SGPRBlocks: 0
; VGPRBlocks: 4
; NumSGPRsForWavesPerEU: 31
; NumVGPRsForWavesPerEU: 40
; Occupancy: 16
; WaveLimiterHint : 1
; COMPUTE_PGM_RSRC2:SCRATCH_EN: 0
; COMPUTE_PGM_RSRC2:USER_SGPR: 6
; COMPUTE_PGM_RSRC2:TRAP_HANDLER: 0
; COMPUTE_PGM_RSRC2:TGID_X_EN: 1
; COMPUTE_PGM_RSRC2:TGID_Y_EN: 0
; COMPUTE_PGM_RSRC2:TGID_Z_EN: 0
; COMPUTE_PGM_RSRC2:TIDIG_COMP_CNT: 0
	.section	.text._ZN7rocprim17ROCPRIM_400000_NS6detail17trampoline_kernelINS0_14default_configENS1_27scan_by_key_config_selectorIifEEZZNS1_16scan_by_key_implILNS1_25lookback_scan_determinismE0ELb1ES3_N6thrust23THRUST_200600_302600_NS6detail15normal_iteratorINS9_10device_ptrIiEEEENSB_INSC_IjEEEENSB_INSC_IfEEEEfNS9_4plusIvEENS9_8equal_toIvEEfEE10hipError_tPvRmT2_T3_T4_T5_mT6_T7_P12ihipStream_tbENKUlT_T0_E_clISt17integral_constantIbLb1EES13_EEDaSY_SZ_EUlSY_E_NS1_11comp_targetILNS1_3genE0ELNS1_11target_archE4294967295ELNS1_3gpuE0ELNS1_3repE0EEENS1_30default_config_static_selectorELNS0_4arch9wavefront6targetE0EEEvT1_,"axG",@progbits,_ZN7rocprim17ROCPRIM_400000_NS6detail17trampoline_kernelINS0_14default_configENS1_27scan_by_key_config_selectorIifEEZZNS1_16scan_by_key_implILNS1_25lookback_scan_determinismE0ELb1ES3_N6thrust23THRUST_200600_302600_NS6detail15normal_iteratorINS9_10device_ptrIiEEEENSB_INSC_IjEEEENSB_INSC_IfEEEEfNS9_4plusIvEENS9_8equal_toIvEEfEE10hipError_tPvRmT2_T3_T4_T5_mT6_T7_P12ihipStream_tbENKUlT_T0_E_clISt17integral_constantIbLb1EES13_EEDaSY_SZ_EUlSY_E_NS1_11comp_targetILNS1_3genE0ELNS1_11target_archE4294967295ELNS1_3gpuE0ELNS1_3repE0EEENS1_30default_config_static_selectorELNS0_4arch9wavefront6targetE0EEEvT1_,comdat
	.protected	_ZN7rocprim17ROCPRIM_400000_NS6detail17trampoline_kernelINS0_14default_configENS1_27scan_by_key_config_selectorIifEEZZNS1_16scan_by_key_implILNS1_25lookback_scan_determinismE0ELb1ES3_N6thrust23THRUST_200600_302600_NS6detail15normal_iteratorINS9_10device_ptrIiEEEENSB_INSC_IjEEEENSB_INSC_IfEEEEfNS9_4plusIvEENS9_8equal_toIvEEfEE10hipError_tPvRmT2_T3_T4_T5_mT6_T7_P12ihipStream_tbENKUlT_T0_E_clISt17integral_constantIbLb1EES13_EEDaSY_SZ_EUlSY_E_NS1_11comp_targetILNS1_3genE0ELNS1_11target_archE4294967295ELNS1_3gpuE0ELNS1_3repE0EEENS1_30default_config_static_selectorELNS0_4arch9wavefront6targetE0EEEvT1_ ; -- Begin function _ZN7rocprim17ROCPRIM_400000_NS6detail17trampoline_kernelINS0_14default_configENS1_27scan_by_key_config_selectorIifEEZZNS1_16scan_by_key_implILNS1_25lookback_scan_determinismE0ELb1ES3_N6thrust23THRUST_200600_302600_NS6detail15normal_iteratorINS9_10device_ptrIiEEEENSB_INSC_IjEEEENSB_INSC_IfEEEEfNS9_4plusIvEENS9_8equal_toIvEEfEE10hipError_tPvRmT2_T3_T4_T5_mT6_T7_P12ihipStream_tbENKUlT_T0_E_clISt17integral_constantIbLb1EES13_EEDaSY_SZ_EUlSY_E_NS1_11comp_targetILNS1_3genE0ELNS1_11target_archE4294967295ELNS1_3gpuE0ELNS1_3repE0EEENS1_30default_config_static_selectorELNS0_4arch9wavefront6targetE0EEEvT1_
	.globl	_ZN7rocprim17ROCPRIM_400000_NS6detail17trampoline_kernelINS0_14default_configENS1_27scan_by_key_config_selectorIifEEZZNS1_16scan_by_key_implILNS1_25lookback_scan_determinismE0ELb1ES3_N6thrust23THRUST_200600_302600_NS6detail15normal_iteratorINS9_10device_ptrIiEEEENSB_INSC_IjEEEENSB_INSC_IfEEEEfNS9_4plusIvEENS9_8equal_toIvEEfEE10hipError_tPvRmT2_T3_T4_T5_mT6_T7_P12ihipStream_tbENKUlT_T0_E_clISt17integral_constantIbLb1EES13_EEDaSY_SZ_EUlSY_E_NS1_11comp_targetILNS1_3genE0ELNS1_11target_archE4294967295ELNS1_3gpuE0ELNS1_3repE0EEENS1_30default_config_static_selectorELNS0_4arch9wavefront6targetE0EEEvT1_
	.p2align	8
	.type	_ZN7rocprim17ROCPRIM_400000_NS6detail17trampoline_kernelINS0_14default_configENS1_27scan_by_key_config_selectorIifEEZZNS1_16scan_by_key_implILNS1_25lookback_scan_determinismE0ELb1ES3_N6thrust23THRUST_200600_302600_NS6detail15normal_iteratorINS9_10device_ptrIiEEEENSB_INSC_IjEEEENSB_INSC_IfEEEEfNS9_4plusIvEENS9_8equal_toIvEEfEE10hipError_tPvRmT2_T3_T4_T5_mT6_T7_P12ihipStream_tbENKUlT_T0_E_clISt17integral_constantIbLb1EES13_EEDaSY_SZ_EUlSY_E_NS1_11comp_targetILNS1_3genE0ELNS1_11target_archE4294967295ELNS1_3gpuE0ELNS1_3repE0EEENS1_30default_config_static_selectorELNS0_4arch9wavefront6targetE0EEEvT1_,@function
_ZN7rocprim17ROCPRIM_400000_NS6detail17trampoline_kernelINS0_14default_configENS1_27scan_by_key_config_selectorIifEEZZNS1_16scan_by_key_implILNS1_25lookback_scan_determinismE0ELb1ES3_N6thrust23THRUST_200600_302600_NS6detail15normal_iteratorINS9_10device_ptrIiEEEENSB_INSC_IjEEEENSB_INSC_IfEEEEfNS9_4plusIvEENS9_8equal_toIvEEfEE10hipError_tPvRmT2_T3_T4_T5_mT6_T7_P12ihipStream_tbENKUlT_T0_E_clISt17integral_constantIbLb1EES13_EEDaSY_SZ_EUlSY_E_NS1_11comp_targetILNS1_3genE0ELNS1_11target_archE4294967295ELNS1_3gpuE0ELNS1_3repE0EEENS1_30default_config_static_selectorELNS0_4arch9wavefront6targetE0EEEvT1_: ; @_ZN7rocprim17ROCPRIM_400000_NS6detail17trampoline_kernelINS0_14default_configENS1_27scan_by_key_config_selectorIifEEZZNS1_16scan_by_key_implILNS1_25lookback_scan_determinismE0ELb1ES3_N6thrust23THRUST_200600_302600_NS6detail15normal_iteratorINS9_10device_ptrIiEEEENSB_INSC_IjEEEENSB_INSC_IfEEEEfNS9_4plusIvEENS9_8equal_toIvEEfEE10hipError_tPvRmT2_T3_T4_T5_mT6_T7_P12ihipStream_tbENKUlT_T0_E_clISt17integral_constantIbLb1EES13_EEDaSY_SZ_EUlSY_E_NS1_11comp_targetILNS1_3genE0ELNS1_11target_archE4294967295ELNS1_3gpuE0ELNS1_3repE0EEENS1_30default_config_static_selectorELNS0_4arch9wavefront6targetE0EEEvT1_
; %bb.0:
	.section	.rodata,"a",@progbits
	.p2align	6, 0x0
	.amdhsa_kernel _ZN7rocprim17ROCPRIM_400000_NS6detail17trampoline_kernelINS0_14default_configENS1_27scan_by_key_config_selectorIifEEZZNS1_16scan_by_key_implILNS1_25lookback_scan_determinismE0ELb1ES3_N6thrust23THRUST_200600_302600_NS6detail15normal_iteratorINS9_10device_ptrIiEEEENSB_INSC_IjEEEENSB_INSC_IfEEEEfNS9_4plusIvEENS9_8equal_toIvEEfEE10hipError_tPvRmT2_T3_T4_T5_mT6_T7_P12ihipStream_tbENKUlT_T0_E_clISt17integral_constantIbLb1EES13_EEDaSY_SZ_EUlSY_E_NS1_11comp_targetILNS1_3genE0ELNS1_11target_archE4294967295ELNS1_3gpuE0ELNS1_3repE0EEENS1_30default_config_static_selectorELNS0_4arch9wavefront6targetE0EEEvT1_
		.amdhsa_group_segment_fixed_size 0
		.amdhsa_private_segment_fixed_size 0
		.amdhsa_kernarg_size 112
		.amdhsa_user_sgpr_count 6
		.amdhsa_user_sgpr_private_segment_buffer 1
		.amdhsa_user_sgpr_dispatch_ptr 0
		.amdhsa_user_sgpr_queue_ptr 0
		.amdhsa_user_sgpr_kernarg_segment_ptr 1
		.amdhsa_user_sgpr_dispatch_id 0
		.amdhsa_user_sgpr_flat_scratch_init 0
		.amdhsa_user_sgpr_private_segment_size 0
		.amdhsa_wavefront_size32 1
		.amdhsa_uses_dynamic_stack 0
		.amdhsa_system_sgpr_private_segment_wavefront_offset 0
		.amdhsa_system_sgpr_workgroup_id_x 1
		.amdhsa_system_sgpr_workgroup_id_y 0
		.amdhsa_system_sgpr_workgroup_id_z 0
		.amdhsa_system_sgpr_workgroup_info 0
		.amdhsa_system_vgpr_workitem_id 0
		.amdhsa_next_free_vgpr 1
		.amdhsa_next_free_sgpr 1
		.amdhsa_reserve_vcc 0
		.amdhsa_reserve_flat_scratch 0
		.amdhsa_float_round_mode_32 0
		.amdhsa_float_round_mode_16_64 0
		.amdhsa_float_denorm_mode_32 3
		.amdhsa_float_denorm_mode_16_64 3
		.amdhsa_dx10_clamp 1
		.amdhsa_ieee_mode 1
		.amdhsa_fp16_overflow 0
		.amdhsa_workgroup_processor_mode 1
		.amdhsa_memory_ordered 1
		.amdhsa_forward_progress 1
		.amdhsa_shared_vgpr_count 0
		.amdhsa_exception_fp_ieee_invalid_op 0
		.amdhsa_exception_fp_denorm_src 0
		.amdhsa_exception_fp_ieee_div_zero 0
		.amdhsa_exception_fp_ieee_overflow 0
		.amdhsa_exception_fp_ieee_underflow 0
		.amdhsa_exception_fp_ieee_inexact 0
		.amdhsa_exception_int_div_zero 0
	.end_amdhsa_kernel
	.section	.text._ZN7rocprim17ROCPRIM_400000_NS6detail17trampoline_kernelINS0_14default_configENS1_27scan_by_key_config_selectorIifEEZZNS1_16scan_by_key_implILNS1_25lookback_scan_determinismE0ELb1ES3_N6thrust23THRUST_200600_302600_NS6detail15normal_iteratorINS9_10device_ptrIiEEEENSB_INSC_IjEEEENSB_INSC_IfEEEEfNS9_4plusIvEENS9_8equal_toIvEEfEE10hipError_tPvRmT2_T3_T4_T5_mT6_T7_P12ihipStream_tbENKUlT_T0_E_clISt17integral_constantIbLb1EES13_EEDaSY_SZ_EUlSY_E_NS1_11comp_targetILNS1_3genE0ELNS1_11target_archE4294967295ELNS1_3gpuE0ELNS1_3repE0EEENS1_30default_config_static_selectorELNS0_4arch9wavefront6targetE0EEEvT1_,"axG",@progbits,_ZN7rocprim17ROCPRIM_400000_NS6detail17trampoline_kernelINS0_14default_configENS1_27scan_by_key_config_selectorIifEEZZNS1_16scan_by_key_implILNS1_25lookback_scan_determinismE0ELb1ES3_N6thrust23THRUST_200600_302600_NS6detail15normal_iteratorINS9_10device_ptrIiEEEENSB_INSC_IjEEEENSB_INSC_IfEEEEfNS9_4plusIvEENS9_8equal_toIvEEfEE10hipError_tPvRmT2_T3_T4_T5_mT6_T7_P12ihipStream_tbENKUlT_T0_E_clISt17integral_constantIbLb1EES13_EEDaSY_SZ_EUlSY_E_NS1_11comp_targetILNS1_3genE0ELNS1_11target_archE4294967295ELNS1_3gpuE0ELNS1_3repE0EEENS1_30default_config_static_selectorELNS0_4arch9wavefront6targetE0EEEvT1_,comdat
.Lfunc_end1689:
	.size	_ZN7rocprim17ROCPRIM_400000_NS6detail17trampoline_kernelINS0_14default_configENS1_27scan_by_key_config_selectorIifEEZZNS1_16scan_by_key_implILNS1_25lookback_scan_determinismE0ELb1ES3_N6thrust23THRUST_200600_302600_NS6detail15normal_iteratorINS9_10device_ptrIiEEEENSB_INSC_IjEEEENSB_INSC_IfEEEEfNS9_4plusIvEENS9_8equal_toIvEEfEE10hipError_tPvRmT2_T3_T4_T5_mT6_T7_P12ihipStream_tbENKUlT_T0_E_clISt17integral_constantIbLb1EES13_EEDaSY_SZ_EUlSY_E_NS1_11comp_targetILNS1_3genE0ELNS1_11target_archE4294967295ELNS1_3gpuE0ELNS1_3repE0EEENS1_30default_config_static_selectorELNS0_4arch9wavefront6targetE0EEEvT1_, .Lfunc_end1689-_ZN7rocprim17ROCPRIM_400000_NS6detail17trampoline_kernelINS0_14default_configENS1_27scan_by_key_config_selectorIifEEZZNS1_16scan_by_key_implILNS1_25lookback_scan_determinismE0ELb1ES3_N6thrust23THRUST_200600_302600_NS6detail15normal_iteratorINS9_10device_ptrIiEEEENSB_INSC_IjEEEENSB_INSC_IfEEEEfNS9_4plusIvEENS9_8equal_toIvEEfEE10hipError_tPvRmT2_T3_T4_T5_mT6_T7_P12ihipStream_tbENKUlT_T0_E_clISt17integral_constantIbLb1EES13_EEDaSY_SZ_EUlSY_E_NS1_11comp_targetILNS1_3genE0ELNS1_11target_archE4294967295ELNS1_3gpuE0ELNS1_3repE0EEENS1_30default_config_static_selectorELNS0_4arch9wavefront6targetE0EEEvT1_
                                        ; -- End function
	.set _ZN7rocprim17ROCPRIM_400000_NS6detail17trampoline_kernelINS0_14default_configENS1_27scan_by_key_config_selectorIifEEZZNS1_16scan_by_key_implILNS1_25lookback_scan_determinismE0ELb1ES3_N6thrust23THRUST_200600_302600_NS6detail15normal_iteratorINS9_10device_ptrIiEEEENSB_INSC_IjEEEENSB_INSC_IfEEEEfNS9_4plusIvEENS9_8equal_toIvEEfEE10hipError_tPvRmT2_T3_T4_T5_mT6_T7_P12ihipStream_tbENKUlT_T0_E_clISt17integral_constantIbLb1EES13_EEDaSY_SZ_EUlSY_E_NS1_11comp_targetILNS1_3genE0ELNS1_11target_archE4294967295ELNS1_3gpuE0ELNS1_3repE0EEENS1_30default_config_static_selectorELNS0_4arch9wavefront6targetE0EEEvT1_.num_vgpr, 0
	.set _ZN7rocprim17ROCPRIM_400000_NS6detail17trampoline_kernelINS0_14default_configENS1_27scan_by_key_config_selectorIifEEZZNS1_16scan_by_key_implILNS1_25lookback_scan_determinismE0ELb1ES3_N6thrust23THRUST_200600_302600_NS6detail15normal_iteratorINS9_10device_ptrIiEEEENSB_INSC_IjEEEENSB_INSC_IfEEEEfNS9_4plusIvEENS9_8equal_toIvEEfEE10hipError_tPvRmT2_T3_T4_T5_mT6_T7_P12ihipStream_tbENKUlT_T0_E_clISt17integral_constantIbLb1EES13_EEDaSY_SZ_EUlSY_E_NS1_11comp_targetILNS1_3genE0ELNS1_11target_archE4294967295ELNS1_3gpuE0ELNS1_3repE0EEENS1_30default_config_static_selectorELNS0_4arch9wavefront6targetE0EEEvT1_.num_agpr, 0
	.set _ZN7rocprim17ROCPRIM_400000_NS6detail17trampoline_kernelINS0_14default_configENS1_27scan_by_key_config_selectorIifEEZZNS1_16scan_by_key_implILNS1_25lookback_scan_determinismE0ELb1ES3_N6thrust23THRUST_200600_302600_NS6detail15normal_iteratorINS9_10device_ptrIiEEEENSB_INSC_IjEEEENSB_INSC_IfEEEEfNS9_4plusIvEENS9_8equal_toIvEEfEE10hipError_tPvRmT2_T3_T4_T5_mT6_T7_P12ihipStream_tbENKUlT_T0_E_clISt17integral_constantIbLb1EES13_EEDaSY_SZ_EUlSY_E_NS1_11comp_targetILNS1_3genE0ELNS1_11target_archE4294967295ELNS1_3gpuE0ELNS1_3repE0EEENS1_30default_config_static_selectorELNS0_4arch9wavefront6targetE0EEEvT1_.numbered_sgpr, 0
	.set _ZN7rocprim17ROCPRIM_400000_NS6detail17trampoline_kernelINS0_14default_configENS1_27scan_by_key_config_selectorIifEEZZNS1_16scan_by_key_implILNS1_25lookback_scan_determinismE0ELb1ES3_N6thrust23THRUST_200600_302600_NS6detail15normal_iteratorINS9_10device_ptrIiEEEENSB_INSC_IjEEEENSB_INSC_IfEEEEfNS9_4plusIvEENS9_8equal_toIvEEfEE10hipError_tPvRmT2_T3_T4_T5_mT6_T7_P12ihipStream_tbENKUlT_T0_E_clISt17integral_constantIbLb1EES13_EEDaSY_SZ_EUlSY_E_NS1_11comp_targetILNS1_3genE0ELNS1_11target_archE4294967295ELNS1_3gpuE0ELNS1_3repE0EEENS1_30default_config_static_selectorELNS0_4arch9wavefront6targetE0EEEvT1_.num_named_barrier, 0
	.set _ZN7rocprim17ROCPRIM_400000_NS6detail17trampoline_kernelINS0_14default_configENS1_27scan_by_key_config_selectorIifEEZZNS1_16scan_by_key_implILNS1_25lookback_scan_determinismE0ELb1ES3_N6thrust23THRUST_200600_302600_NS6detail15normal_iteratorINS9_10device_ptrIiEEEENSB_INSC_IjEEEENSB_INSC_IfEEEEfNS9_4plusIvEENS9_8equal_toIvEEfEE10hipError_tPvRmT2_T3_T4_T5_mT6_T7_P12ihipStream_tbENKUlT_T0_E_clISt17integral_constantIbLb1EES13_EEDaSY_SZ_EUlSY_E_NS1_11comp_targetILNS1_3genE0ELNS1_11target_archE4294967295ELNS1_3gpuE0ELNS1_3repE0EEENS1_30default_config_static_selectorELNS0_4arch9wavefront6targetE0EEEvT1_.private_seg_size, 0
	.set _ZN7rocprim17ROCPRIM_400000_NS6detail17trampoline_kernelINS0_14default_configENS1_27scan_by_key_config_selectorIifEEZZNS1_16scan_by_key_implILNS1_25lookback_scan_determinismE0ELb1ES3_N6thrust23THRUST_200600_302600_NS6detail15normal_iteratorINS9_10device_ptrIiEEEENSB_INSC_IjEEEENSB_INSC_IfEEEEfNS9_4plusIvEENS9_8equal_toIvEEfEE10hipError_tPvRmT2_T3_T4_T5_mT6_T7_P12ihipStream_tbENKUlT_T0_E_clISt17integral_constantIbLb1EES13_EEDaSY_SZ_EUlSY_E_NS1_11comp_targetILNS1_3genE0ELNS1_11target_archE4294967295ELNS1_3gpuE0ELNS1_3repE0EEENS1_30default_config_static_selectorELNS0_4arch9wavefront6targetE0EEEvT1_.uses_vcc, 0
	.set _ZN7rocprim17ROCPRIM_400000_NS6detail17trampoline_kernelINS0_14default_configENS1_27scan_by_key_config_selectorIifEEZZNS1_16scan_by_key_implILNS1_25lookback_scan_determinismE0ELb1ES3_N6thrust23THRUST_200600_302600_NS6detail15normal_iteratorINS9_10device_ptrIiEEEENSB_INSC_IjEEEENSB_INSC_IfEEEEfNS9_4plusIvEENS9_8equal_toIvEEfEE10hipError_tPvRmT2_T3_T4_T5_mT6_T7_P12ihipStream_tbENKUlT_T0_E_clISt17integral_constantIbLb1EES13_EEDaSY_SZ_EUlSY_E_NS1_11comp_targetILNS1_3genE0ELNS1_11target_archE4294967295ELNS1_3gpuE0ELNS1_3repE0EEENS1_30default_config_static_selectorELNS0_4arch9wavefront6targetE0EEEvT1_.uses_flat_scratch, 0
	.set _ZN7rocprim17ROCPRIM_400000_NS6detail17trampoline_kernelINS0_14default_configENS1_27scan_by_key_config_selectorIifEEZZNS1_16scan_by_key_implILNS1_25lookback_scan_determinismE0ELb1ES3_N6thrust23THRUST_200600_302600_NS6detail15normal_iteratorINS9_10device_ptrIiEEEENSB_INSC_IjEEEENSB_INSC_IfEEEEfNS9_4plusIvEENS9_8equal_toIvEEfEE10hipError_tPvRmT2_T3_T4_T5_mT6_T7_P12ihipStream_tbENKUlT_T0_E_clISt17integral_constantIbLb1EES13_EEDaSY_SZ_EUlSY_E_NS1_11comp_targetILNS1_3genE0ELNS1_11target_archE4294967295ELNS1_3gpuE0ELNS1_3repE0EEENS1_30default_config_static_selectorELNS0_4arch9wavefront6targetE0EEEvT1_.has_dyn_sized_stack, 0
	.set _ZN7rocprim17ROCPRIM_400000_NS6detail17trampoline_kernelINS0_14default_configENS1_27scan_by_key_config_selectorIifEEZZNS1_16scan_by_key_implILNS1_25lookback_scan_determinismE0ELb1ES3_N6thrust23THRUST_200600_302600_NS6detail15normal_iteratorINS9_10device_ptrIiEEEENSB_INSC_IjEEEENSB_INSC_IfEEEEfNS9_4plusIvEENS9_8equal_toIvEEfEE10hipError_tPvRmT2_T3_T4_T5_mT6_T7_P12ihipStream_tbENKUlT_T0_E_clISt17integral_constantIbLb1EES13_EEDaSY_SZ_EUlSY_E_NS1_11comp_targetILNS1_3genE0ELNS1_11target_archE4294967295ELNS1_3gpuE0ELNS1_3repE0EEENS1_30default_config_static_selectorELNS0_4arch9wavefront6targetE0EEEvT1_.has_recursion, 0
	.set _ZN7rocprim17ROCPRIM_400000_NS6detail17trampoline_kernelINS0_14default_configENS1_27scan_by_key_config_selectorIifEEZZNS1_16scan_by_key_implILNS1_25lookback_scan_determinismE0ELb1ES3_N6thrust23THRUST_200600_302600_NS6detail15normal_iteratorINS9_10device_ptrIiEEEENSB_INSC_IjEEEENSB_INSC_IfEEEEfNS9_4plusIvEENS9_8equal_toIvEEfEE10hipError_tPvRmT2_T3_T4_T5_mT6_T7_P12ihipStream_tbENKUlT_T0_E_clISt17integral_constantIbLb1EES13_EEDaSY_SZ_EUlSY_E_NS1_11comp_targetILNS1_3genE0ELNS1_11target_archE4294967295ELNS1_3gpuE0ELNS1_3repE0EEENS1_30default_config_static_selectorELNS0_4arch9wavefront6targetE0EEEvT1_.has_indirect_call, 0
	.section	.AMDGPU.csdata,"",@progbits
; Kernel info:
; codeLenInByte = 0
; TotalNumSgprs: 0
; NumVgprs: 0
; ScratchSize: 0
; MemoryBound: 0
; FloatMode: 240
; IeeeMode: 1
; LDSByteSize: 0 bytes/workgroup (compile time only)
; SGPRBlocks: 0
; VGPRBlocks: 0
; NumSGPRsForWavesPerEU: 1
; NumVGPRsForWavesPerEU: 1
; Occupancy: 16
; WaveLimiterHint : 0
; COMPUTE_PGM_RSRC2:SCRATCH_EN: 0
; COMPUTE_PGM_RSRC2:USER_SGPR: 6
; COMPUTE_PGM_RSRC2:TRAP_HANDLER: 0
; COMPUTE_PGM_RSRC2:TGID_X_EN: 1
; COMPUTE_PGM_RSRC2:TGID_Y_EN: 0
; COMPUTE_PGM_RSRC2:TGID_Z_EN: 0
; COMPUTE_PGM_RSRC2:TIDIG_COMP_CNT: 0
	.section	.text._ZN7rocprim17ROCPRIM_400000_NS6detail17trampoline_kernelINS0_14default_configENS1_27scan_by_key_config_selectorIifEEZZNS1_16scan_by_key_implILNS1_25lookback_scan_determinismE0ELb1ES3_N6thrust23THRUST_200600_302600_NS6detail15normal_iteratorINS9_10device_ptrIiEEEENSB_INSC_IjEEEENSB_INSC_IfEEEEfNS9_4plusIvEENS9_8equal_toIvEEfEE10hipError_tPvRmT2_T3_T4_T5_mT6_T7_P12ihipStream_tbENKUlT_T0_E_clISt17integral_constantIbLb1EES13_EEDaSY_SZ_EUlSY_E_NS1_11comp_targetILNS1_3genE10ELNS1_11target_archE1201ELNS1_3gpuE5ELNS1_3repE0EEENS1_30default_config_static_selectorELNS0_4arch9wavefront6targetE0EEEvT1_,"axG",@progbits,_ZN7rocprim17ROCPRIM_400000_NS6detail17trampoline_kernelINS0_14default_configENS1_27scan_by_key_config_selectorIifEEZZNS1_16scan_by_key_implILNS1_25lookback_scan_determinismE0ELb1ES3_N6thrust23THRUST_200600_302600_NS6detail15normal_iteratorINS9_10device_ptrIiEEEENSB_INSC_IjEEEENSB_INSC_IfEEEEfNS9_4plusIvEENS9_8equal_toIvEEfEE10hipError_tPvRmT2_T3_T4_T5_mT6_T7_P12ihipStream_tbENKUlT_T0_E_clISt17integral_constantIbLb1EES13_EEDaSY_SZ_EUlSY_E_NS1_11comp_targetILNS1_3genE10ELNS1_11target_archE1201ELNS1_3gpuE5ELNS1_3repE0EEENS1_30default_config_static_selectorELNS0_4arch9wavefront6targetE0EEEvT1_,comdat
	.protected	_ZN7rocprim17ROCPRIM_400000_NS6detail17trampoline_kernelINS0_14default_configENS1_27scan_by_key_config_selectorIifEEZZNS1_16scan_by_key_implILNS1_25lookback_scan_determinismE0ELb1ES3_N6thrust23THRUST_200600_302600_NS6detail15normal_iteratorINS9_10device_ptrIiEEEENSB_INSC_IjEEEENSB_INSC_IfEEEEfNS9_4plusIvEENS9_8equal_toIvEEfEE10hipError_tPvRmT2_T3_T4_T5_mT6_T7_P12ihipStream_tbENKUlT_T0_E_clISt17integral_constantIbLb1EES13_EEDaSY_SZ_EUlSY_E_NS1_11comp_targetILNS1_3genE10ELNS1_11target_archE1201ELNS1_3gpuE5ELNS1_3repE0EEENS1_30default_config_static_selectorELNS0_4arch9wavefront6targetE0EEEvT1_ ; -- Begin function _ZN7rocprim17ROCPRIM_400000_NS6detail17trampoline_kernelINS0_14default_configENS1_27scan_by_key_config_selectorIifEEZZNS1_16scan_by_key_implILNS1_25lookback_scan_determinismE0ELb1ES3_N6thrust23THRUST_200600_302600_NS6detail15normal_iteratorINS9_10device_ptrIiEEEENSB_INSC_IjEEEENSB_INSC_IfEEEEfNS9_4plusIvEENS9_8equal_toIvEEfEE10hipError_tPvRmT2_T3_T4_T5_mT6_T7_P12ihipStream_tbENKUlT_T0_E_clISt17integral_constantIbLb1EES13_EEDaSY_SZ_EUlSY_E_NS1_11comp_targetILNS1_3genE10ELNS1_11target_archE1201ELNS1_3gpuE5ELNS1_3repE0EEENS1_30default_config_static_selectorELNS0_4arch9wavefront6targetE0EEEvT1_
	.globl	_ZN7rocprim17ROCPRIM_400000_NS6detail17trampoline_kernelINS0_14default_configENS1_27scan_by_key_config_selectorIifEEZZNS1_16scan_by_key_implILNS1_25lookback_scan_determinismE0ELb1ES3_N6thrust23THRUST_200600_302600_NS6detail15normal_iteratorINS9_10device_ptrIiEEEENSB_INSC_IjEEEENSB_INSC_IfEEEEfNS9_4plusIvEENS9_8equal_toIvEEfEE10hipError_tPvRmT2_T3_T4_T5_mT6_T7_P12ihipStream_tbENKUlT_T0_E_clISt17integral_constantIbLb1EES13_EEDaSY_SZ_EUlSY_E_NS1_11comp_targetILNS1_3genE10ELNS1_11target_archE1201ELNS1_3gpuE5ELNS1_3repE0EEENS1_30default_config_static_selectorELNS0_4arch9wavefront6targetE0EEEvT1_
	.p2align	8
	.type	_ZN7rocprim17ROCPRIM_400000_NS6detail17trampoline_kernelINS0_14default_configENS1_27scan_by_key_config_selectorIifEEZZNS1_16scan_by_key_implILNS1_25lookback_scan_determinismE0ELb1ES3_N6thrust23THRUST_200600_302600_NS6detail15normal_iteratorINS9_10device_ptrIiEEEENSB_INSC_IjEEEENSB_INSC_IfEEEEfNS9_4plusIvEENS9_8equal_toIvEEfEE10hipError_tPvRmT2_T3_T4_T5_mT6_T7_P12ihipStream_tbENKUlT_T0_E_clISt17integral_constantIbLb1EES13_EEDaSY_SZ_EUlSY_E_NS1_11comp_targetILNS1_3genE10ELNS1_11target_archE1201ELNS1_3gpuE5ELNS1_3repE0EEENS1_30default_config_static_selectorELNS0_4arch9wavefront6targetE0EEEvT1_,@function
_ZN7rocprim17ROCPRIM_400000_NS6detail17trampoline_kernelINS0_14default_configENS1_27scan_by_key_config_selectorIifEEZZNS1_16scan_by_key_implILNS1_25lookback_scan_determinismE0ELb1ES3_N6thrust23THRUST_200600_302600_NS6detail15normal_iteratorINS9_10device_ptrIiEEEENSB_INSC_IjEEEENSB_INSC_IfEEEEfNS9_4plusIvEENS9_8equal_toIvEEfEE10hipError_tPvRmT2_T3_T4_T5_mT6_T7_P12ihipStream_tbENKUlT_T0_E_clISt17integral_constantIbLb1EES13_EEDaSY_SZ_EUlSY_E_NS1_11comp_targetILNS1_3genE10ELNS1_11target_archE1201ELNS1_3gpuE5ELNS1_3repE0EEENS1_30default_config_static_selectorELNS0_4arch9wavefront6targetE0EEEvT1_: ; @_ZN7rocprim17ROCPRIM_400000_NS6detail17trampoline_kernelINS0_14default_configENS1_27scan_by_key_config_selectorIifEEZZNS1_16scan_by_key_implILNS1_25lookback_scan_determinismE0ELb1ES3_N6thrust23THRUST_200600_302600_NS6detail15normal_iteratorINS9_10device_ptrIiEEEENSB_INSC_IjEEEENSB_INSC_IfEEEEfNS9_4plusIvEENS9_8equal_toIvEEfEE10hipError_tPvRmT2_T3_T4_T5_mT6_T7_P12ihipStream_tbENKUlT_T0_E_clISt17integral_constantIbLb1EES13_EEDaSY_SZ_EUlSY_E_NS1_11comp_targetILNS1_3genE10ELNS1_11target_archE1201ELNS1_3gpuE5ELNS1_3repE0EEENS1_30default_config_static_selectorELNS0_4arch9wavefront6targetE0EEEvT1_
; %bb.0:
	.section	.rodata,"a",@progbits
	.p2align	6, 0x0
	.amdhsa_kernel _ZN7rocprim17ROCPRIM_400000_NS6detail17trampoline_kernelINS0_14default_configENS1_27scan_by_key_config_selectorIifEEZZNS1_16scan_by_key_implILNS1_25lookback_scan_determinismE0ELb1ES3_N6thrust23THRUST_200600_302600_NS6detail15normal_iteratorINS9_10device_ptrIiEEEENSB_INSC_IjEEEENSB_INSC_IfEEEEfNS9_4plusIvEENS9_8equal_toIvEEfEE10hipError_tPvRmT2_T3_T4_T5_mT6_T7_P12ihipStream_tbENKUlT_T0_E_clISt17integral_constantIbLb1EES13_EEDaSY_SZ_EUlSY_E_NS1_11comp_targetILNS1_3genE10ELNS1_11target_archE1201ELNS1_3gpuE5ELNS1_3repE0EEENS1_30default_config_static_selectorELNS0_4arch9wavefront6targetE0EEEvT1_
		.amdhsa_group_segment_fixed_size 0
		.amdhsa_private_segment_fixed_size 0
		.amdhsa_kernarg_size 112
		.amdhsa_user_sgpr_count 6
		.amdhsa_user_sgpr_private_segment_buffer 1
		.amdhsa_user_sgpr_dispatch_ptr 0
		.amdhsa_user_sgpr_queue_ptr 0
		.amdhsa_user_sgpr_kernarg_segment_ptr 1
		.amdhsa_user_sgpr_dispatch_id 0
		.amdhsa_user_sgpr_flat_scratch_init 0
		.amdhsa_user_sgpr_private_segment_size 0
		.amdhsa_wavefront_size32 1
		.amdhsa_uses_dynamic_stack 0
		.amdhsa_system_sgpr_private_segment_wavefront_offset 0
		.amdhsa_system_sgpr_workgroup_id_x 1
		.amdhsa_system_sgpr_workgroup_id_y 0
		.amdhsa_system_sgpr_workgroup_id_z 0
		.amdhsa_system_sgpr_workgroup_info 0
		.amdhsa_system_vgpr_workitem_id 0
		.amdhsa_next_free_vgpr 1
		.amdhsa_next_free_sgpr 1
		.amdhsa_reserve_vcc 0
		.amdhsa_reserve_flat_scratch 0
		.amdhsa_float_round_mode_32 0
		.amdhsa_float_round_mode_16_64 0
		.amdhsa_float_denorm_mode_32 3
		.amdhsa_float_denorm_mode_16_64 3
		.amdhsa_dx10_clamp 1
		.amdhsa_ieee_mode 1
		.amdhsa_fp16_overflow 0
		.amdhsa_workgroup_processor_mode 1
		.amdhsa_memory_ordered 1
		.amdhsa_forward_progress 1
		.amdhsa_shared_vgpr_count 0
		.amdhsa_exception_fp_ieee_invalid_op 0
		.amdhsa_exception_fp_denorm_src 0
		.amdhsa_exception_fp_ieee_div_zero 0
		.amdhsa_exception_fp_ieee_overflow 0
		.amdhsa_exception_fp_ieee_underflow 0
		.amdhsa_exception_fp_ieee_inexact 0
		.amdhsa_exception_int_div_zero 0
	.end_amdhsa_kernel
	.section	.text._ZN7rocprim17ROCPRIM_400000_NS6detail17trampoline_kernelINS0_14default_configENS1_27scan_by_key_config_selectorIifEEZZNS1_16scan_by_key_implILNS1_25lookback_scan_determinismE0ELb1ES3_N6thrust23THRUST_200600_302600_NS6detail15normal_iteratorINS9_10device_ptrIiEEEENSB_INSC_IjEEEENSB_INSC_IfEEEEfNS9_4plusIvEENS9_8equal_toIvEEfEE10hipError_tPvRmT2_T3_T4_T5_mT6_T7_P12ihipStream_tbENKUlT_T0_E_clISt17integral_constantIbLb1EES13_EEDaSY_SZ_EUlSY_E_NS1_11comp_targetILNS1_3genE10ELNS1_11target_archE1201ELNS1_3gpuE5ELNS1_3repE0EEENS1_30default_config_static_selectorELNS0_4arch9wavefront6targetE0EEEvT1_,"axG",@progbits,_ZN7rocprim17ROCPRIM_400000_NS6detail17trampoline_kernelINS0_14default_configENS1_27scan_by_key_config_selectorIifEEZZNS1_16scan_by_key_implILNS1_25lookback_scan_determinismE0ELb1ES3_N6thrust23THRUST_200600_302600_NS6detail15normal_iteratorINS9_10device_ptrIiEEEENSB_INSC_IjEEEENSB_INSC_IfEEEEfNS9_4plusIvEENS9_8equal_toIvEEfEE10hipError_tPvRmT2_T3_T4_T5_mT6_T7_P12ihipStream_tbENKUlT_T0_E_clISt17integral_constantIbLb1EES13_EEDaSY_SZ_EUlSY_E_NS1_11comp_targetILNS1_3genE10ELNS1_11target_archE1201ELNS1_3gpuE5ELNS1_3repE0EEENS1_30default_config_static_selectorELNS0_4arch9wavefront6targetE0EEEvT1_,comdat
.Lfunc_end1690:
	.size	_ZN7rocprim17ROCPRIM_400000_NS6detail17trampoline_kernelINS0_14default_configENS1_27scan_by_key_config_selectorIifEEZZNS1_16scan_by_key_implILNS1_25lookback_scan_determinismE0ELb1ES3_N6thrust23THRUST_200600_302600_NS6detail15normal_iteratorINS9_10device_ptrIiEEEENSB_INSC_IjEEEENSB_INSC_IfEEEEfNS9_4plusIvEENS9_8equal_toIvEEfEE10hipError_tPvRmT2_T3_T4_T5_mT6_T7_P12ihipStream_tbENKUlT_T0_E_clISt17integral_constantIbLb1EES13_EEDaSY_SZ_EUlSY_E_NS1_11comp_targetILNS1_3genE10ELNS1_11target_archE1201ELNS1_3gpuE5ELNS1_3repE0EEENS1_30default_config_static_selectorELNS0_4arch9wavefront6targetE0EEEvT1_, .Lfunc_end1690-_ZN7rocprim17ROCPRIM_400000_NS6detail17trampoline_kernelINS0_14default_configENS1_27scan_by_key_config_selectorIifEEZZNS1_16scan_by_key_implILNS1_25lookback_scan_determinismE0ELb1ES3_N6thrust23THRUST_200600_302600_NS6detail15normal_iteratorINS9_10device_ptrIiEEEENSB_INSC_IjEEEENSB_INSC_IfEEEEfNS9_4plusIvEENS9_8equal_toIvEEfEE10hipError_tPvRmT2_T3_T4_T5_mT6_T7_P12ihipStream_tbENKUlT_T0_E_clISt17integral_constantIbLb1EES13_EEDaSY_SZ_EUlSY_E_NS1_11comp_targetILNS1_3genE10ELNS1_11target_archE1201ELNS1_3gpuE5ELNS1_3repE0EEENS1_30default_config_static_selectorELNS0_4arch9wavefront6targetE0EEEvT1_
                                        ; -- End function
	.set _ZN7rocprim17ROCPRIM_400000_NS6detail17trampoline_kernelINS0_14default_configENS1_27scan_by_key_config_selectorIifEEZZNS1_16scan_by_key_implILNS1_25lookback_scan_determinismE0ELb1ES3_N6thrust23THRUST_200600_302600_NS6detail15normal_iteratorINS9_10device_ptrIiEEEENSB_INSC_IjEEEENSB_INSC_IfEEEEfNS9_4plusIvEENS9_8equal_toIvEEfEE10hipError_tPvRmT2_T3_T4_T5_mT6_T7_P12ihipStream_tbENKUlT_T0_E_clISt17integral_constantIbLb1EES13_EEDaSY_SZ_EUlSY_E_NS1_11comp_targetILNS1_3genE10ELNS1_11target_archE1201ELNS1_3gpuE5ELNS1_3repE0EEENS1_30default_config_static_selectorELNS0_4arch9wavefront6targetE0EEEvT1_.num_vgpr, 0
	.set _ZN7rocprim17ROCPRIM_400000_NS6detail17trampoline_kernelINS0_14default_configENS1_27scan_by_key_config_selectorIifEEZZNS1_16scan_by_key_implILNS1_25lookback_scan_determinismE0ELb1ES3_N6thrust23THRUST_200600_302600_NS6detail15normal_iteratorINS9_10device_ptrIiEEEENSB_INSC_IjEEEENSB_INSC_IfEEEEfNS9_4plusIvEENS9_8equal_toIvEEfEE10hipError_tPvRmT2_T3_T4_T5_mT6_T7_P12ihipStream_tbENKUlT_T0_E_clISt17integral_constantIbLb1EES13_EEDaSY_SZ_EUlSY_E_NS1_11comp_targetILNS1_3genE10ELNS1_11target_archE1201ELNS1_3gpuE5ELNS1_3repE0EEENS1_30default_config_static_selectorELNS0_4arch9wavefront6targetE0EEEvT1_.num_agpr, 0
	.set _ZN7rocprim17ROCPRIM_400000_NS6detail17trampoline_kernelINS0_14default_configENS1_27scan_by_key_config_selectorIifEEZZNS1_16scan_by_key_implILNS1_25lookback_scan_determinismE0ELb1ES3_N6thrust23THRUST_200600_302600_NS6detail15normal_iteratorINS9_10device_ptrIiEEEENSB_INSC_IjEEEENSB_INSC_IfEEEEfNS9_4plusIvEENS9_8equal_toIvEEfEE10hipError_tPvRmT2_T3_T4_T5_mT6_T7_P12ihipStream_tbENKUlT_T0_E_clISt17integral_constantIbLb1EES13_EEDaSY_SZ_EUlSY_E_NS1_11comp_targetILNS1_3genE10ELNS1_11target_archE1201ELNS1_3gpuE5ELNS1_3repE0EEENS1_30default_config_static_selectorELNS0_4arch9wavefront6targetE0EEEvT1_.numbered_sgpr, 0
	.set _ZN7rocprim17ROCPRIM_400000_NS6detail17trampoline_kernelINS0_14default_configENS1_27scan_by_key_config_selectorIifEEZZNS1_16scan_by_key_implILNS1_25lookback_scan_determinismE0ELb1ES3_N6thrust23THRUST_200600_302600_NS6detail15normal_iteratorINS9_10device_ptrIiEEEENSB_INSC_IjEEEENSB_INSC_IfEEEEfNS9_4plusIvEENS9_8equal_toIvEEfEE10hipError_tPvRmT2_T3_T4_T5_mT6_T7_P12ihipStream_tbENKUlT_T0_E_clISt17integral_constantIbLb1EES13_EEDaSY_SZ_EUlSY_E_NS1_11comp_targetILNS1_3genE10ELNS1_11target_archE1201ELNS1_3gpuE5ELNS1_3repE0EEENS1_30default_config_static_selectorELNS0_4arch9wavefront6targetE0EEEvT1_.num_named_barrier, 0
	.set _ZN7rocprim17ROCPRIM_400000_NS6detail17trampoline_kernelINS0_14default_configENS1_27scan_by_key_config_selectorIifEEZZNS1_16scan_by_key_implILNS1_25lookback_scan_determinismE0ELb1ES3_N6thrust23THRUST_200600_302600_NS6detail15normal_iteratorINS9_10device_ptrIiEEEENSB_INSC_IjEEEENSB_INSC_IfEEEEfNS9_4plusIvEENS9_8equal_toIvEEfEE10hipError_tPvRmT2_T3_T4_T5_mT6_T7_P12ihipStream_tbENKUlT_T0_E_clISt17integral_constantIbLb1EES13_EEDaSY_SZ_EUlSY_E_NS1_11comp_targetILNS1_3genE10ELNS1_11target_archE1201ELNS1_3gpuE5ELNS1_3repE0EEENS1_30default_config_static_selectorELNS0_4arch9wavefront6targetE0EEEvT1_.private_seg_size, 0
	.set _ZN7rocprim17ROCPRIM_400000_NS6detail17trampoline_kernelINS0_14default_configENS1_27scan_by_key_config_selectorIifEEZZNS1_16scan_by_key_implILNS1_25lookback_scan_determinismE0ELb1ES3_N6thrust23THRUST_200600_302600_NS6detail15normal_iteratorINS9_10device_ptrIiEEEENSB_INSC_IjEEEENSB_INSC_IfEEEEfNS9_4plusIvEENS9_8equal_toIvEEfEE10hipError_tPvRmT2_T3_T4_T5_mT6_T7_P12ihipStream_tbENKUlT_T0_E_clISt17integral_constantIbLb1EES13_EEDaSY_SZ_EUlSY_E_NS1_11comp_targetILNS1_3genE10ELNS1_11target_archE1201ELNS1_3gpuE5ELNS1_3repE0EEENS1_30default_config_static_selectorELNS0_4arch9wavefront6targetE0EEEvT1_.uses_vcc, 0
	.set _ZN7rocprim17ROCPRIM_400000_NS6detail17trampoline_kernelINS0_14default_configENS1_27scan_by_key_config_selectorIifEEZZNS1_16scan_by_key_implILNS1_25lookback_scan_determinismE0ELb1ES3_N6thrust23THRUST_200600_302600_NS6detail15normal_iteratorINS9_10device_ptrIiEEEENSB_INSC_IjEEEENSB_INSC_IfEEEEfNS9_4plusIvEENS9_8equal_toIvEEfEE10hipError_tPvRmT2_T3_T4_T5_mT6_T7_P12ihipStream_tbENKUlT_T0_E_clISt17integral_constantIbLb1EES13_EEDaSY_SZ_EUlSY_E_NS1_11comp_targetILNS1_3genE10ELNS1_11target_archE1201ELNS1_3gpuE5ELNS1_3repE0EEENS1_30default_config_static_selectorELNS0_4arch9wavefront6targetE0EEEvT1_.uses_flat_scratch, 0
	.set _ZN7rocprim17ROCPRIM_400000_NS6detail17trampoline_kernelINS0_14default_configENS1_27scan_by_key_config_selectorIifEEZZNS1_16scan_by_key_implILNS1_25lookback_scan_determinismE0ELb1ES3_N6thrust23THRUST_200600_302600_NS6detail15normal_iteratorINS9_10device_ptrIiEEEENSB_INSC_IjEEEENSB_INSC_IfEEEEfNS9_4plusIvEENS9_8equal_toIvEEfEE10hipError_tPvRmT2_T3_T4_T5_mT6_T7_P12ihipStream_tbENKUlT_T0_E_clISt17integral_constantIbLb1EES13_EEDaSY_SZ_EUlSY_E_NS1_11comp_targetILNS1_3genE10ELNS1_11target_archE1201ELNS1_3gpuE5ELNS1_3repE0EEENS1_30default_config_static_selectorELNS0_4arch9wavefront6targetE0EEEvT1_.has_dyn_sized_stack, 0
	.set _ZN7rocprim17ROCPRIM_400000_NS6detail17trampoline_kernelINS0_14default_configENS1_27scan_by_key_config_selectorIifEEZZNS1_16scan_by_key_implILNS1_25lookback_scan_determinismE0ELb1ES3_N6thrust23THRUST_200600_302600_NS6detail15normal_iteratorINS9_10device_ptrIiEEEENSB_INSC_IjEEEENSB_INSC_IfEEEEfNS9_4plusIvEENS9_8equal_toIvEEfEE10hipError_tPvRmT2_T3_T4_T5_mT6_T7_P12ihipStream_tbENKUlT_T0_E_clISt17integral_constantIbLb1EES13_EEDaSY_SZ_EUlSY_E_NS1_11comp_targetILNS1_3genE10ELNS1_11target_archE1201ELNS1_3gpuE5ELNS1_3repE0EEENS1_30default_config_static_selectorELNS0_4arch9wavefront6targetE0EEEvT1_.has_recursion, 0
	.set _ZN7rocprim17ROCPRIM_400000_NS6detail17trampoline_kernelINS0_14default_configENS1_27scan_by_key_config_selectorIifEEZZNS1_16scan_by_key_implILNS1_25lookback_scan_determinismE0ELb1ES3_N6thrust23THRUST_200600_302600_NS6detail15normal_iteratorINS9_10device_ptrIiEEEENSB_INSC_IjEEEENSB_INSC_IfEEEEfNS9_4plusIvEENS9_8equal_toIvEEfEE10hipError_tPvRmT2_T3_T4_T5_mT6_T7_P12ihipStream_tbENKUlT_T0_E_clISt17integral_constantIbLb1EES13_EEDaSY_SZ_EUlSY_E_NS1_11comp_targetILNS1_3genE10ELNS1_11target_archE1201ELNS1_3gpuE5ELNS1_3repE0EEENS1_30default_config_static_selectorELNS0_4arch9wavefront6targetE0EEEvT1_.has_indirect_call, 0
	.section	.AMDGPU.csdata,"",@progbits
; Kernel info:
; codeLenInByte = 0
; TotalNumSgprs: 0
; NumVgprs: 0
; ScratchSize: 0
; MemoryBound: 0
; FloatMode: 240
; IeeeMode: 1
; LDSByteSize: 0 bytes/workgroup (compile time only)
; SGPRBlocks: 0
; VGPRBlocks: 0
; NumSGPRsForWavesPerEU: 1
; NumVGPRsForWavesPerEU: 1
; Occupancy: 16
; WaveLimiterHint : 0
; COMPUTE_PGM_RSRC2:SCRATCH_EN: 0
; COMPUTE_PGM_RSRC2:USER_SGPR: 6
; COMPUTE_PGM_RSRC2:TRAP_HANDLER: 0
; COMPUTE_PGM_RSRC2:TGID_X_EN: 1
; COMPUTE_PGM_RSRC2:TGID_Y_EN: 0
; COMPUTE_PGM_RSRC2:TGID_Z_EN: 0
; COMPUTE_PGM_RSRC2:TIDIG_COMP_CNT: 0
	.section	.text._ZN7rocprim17ROCPRIM_400000_NS6detail17trampoline_kernelINS0_14default_configENS1_27scan_by_key_config_selectorIifEEZZNS1_16scan_by_key_implILNS1_25lookback_scan_determinismE0ELb1ES3_N6thrust23THRUST_200600_302600_NS6detail15normal_iteratorINS9_10device_ptrIiEEEENSB_INSC_IjEEEENSB_INSC_IfEEEEfNS9_4plusIvEENS9_8equal_toIvEEfEE10hipError_tPvRmT2_T3_T4_T5_mT6_T7_P12ihipStream_tbENKUlT_T0_E_clISt17integral_constantIbLb1EES13_EEDaSY_SZ_EUlSY_E_NS1_11comp_targetILNS1_3genE5ELNS1_11target_archE942ELNS1_3gpuE9ELNS1_3repE0EEENS1_30default_config_static_selectorELNS0_4arch9wavefront6targetE0EEEvT1_,"axG",@progbits,_ZN7rocprim17ROCPRIM_400000_NS6detail17trampoline_kernelINS0_14default_configENS1_27scan_by_key_config_selectorIifEEZZNS1_16scan_by_key_implILNS1_25lookback_scan_determinismE0ELb1ES3_N6thrust23THRUST_200600_302600_NS6detail15normal_iteratorINS9_10device_ptrIiEEEENSB_INSC_IjEEEENSB_INSC_IfEEEEfNS9_4plusIvEENS9_8equal_toIvEEfEE10hipError_tPvRmT2_T3_T4_T5_mT6_T7_P12ihipStream_tbENKUlT_T0_E_clISt17integral_constantIbLb1EES13_EEDaSY_SZ_EUlSY_E_NS1_11comp_targetILNS1_3genE5ELNS1_11target_archE942ELNS1_3gpuE9ELNS1_3repE0EEENS1_30default_config_static_selectorELNS0_4arch9wavefront6targetE0EEEvT1_,comdat
	.protected	_ZN7rocprim17ROCPRIM_400000_NS6detail17trampoline_kernelINS0_14default_configENS1_27scan_by_key_config_selectorIifEEZZNS1_16scan_by_key_implILNS1_25lookback_scan_determinismE0ELb1ES3_N6thrust23THRUST_200600_302600_NS6detail15normal_iteratorINS9_10device_ptrIiEEEENSB_INSC_IjEEEENSB_INSC_IfEEEEfNS9_4plusIvEENS9_8equal_toIvEEfEE10hipError_tPvRmT2_T3_T4_T5_mT6_T7_P12ihipStream_tbENKUlT_T0_E_clISt17integral_constantIbLb1EES13_EEDaSY_SZ_EUlSY_E_NS1_11comp_targetILNS1_3genE5ELNS1_11target_archE942ELNS1_3gpuE9ELNS1_3repE0EEENS1_30default_config_static_selectorELNS0_4arch9wavefront6targetE0EEEvT1_ ; -- Begin function _ZN7rocprim17ROCPRIM_400000_NS6detail17trampoline_kernelINS0_14default_configENS1_27scan_by_key_config_selectorIifEEZZNS1_16scan_by_key_implILNS1_25lookback_scan_determinismE0ELb1ES3_N6thrust23THRUST_200600_302600_NS6detail15normal_iteratorINS9_10device_ptrIiEEEENSB_INSC_IjEEEENSB_INSC_IfEEEEfNS9_4plusIvEENS9_8equal_toIvEEfEE10hipError_tPvRmT2_T3_T4_T5_mT6_T7_P12ihipStream_tbENKUlT_T0_E_clISt17integral_constantIbLb1EES13_EEDaSY_SZ_EUlSY_E_NS1_11comp_targetILNS1_3genE5ELNS1_11target_archE942ELNS1_3gpuE9ELNS1_3repE0EEENS1_30default_config_static_selectorELNS0_4arch9wavefront6targetE0EEEvT1_
	.globl	_ZN7rocprim17ROCPRIM_400000_NS6detail17trampoline_kernelINS0_14default_configENS1_27scan_by_key_config_selectorIifEEZZNS1_16scan_by_key_implILNS1_25lookback_scan_determinismE0ELb1ES3_N6thrust23THRUST_200600_302600_NS6detail15normal_iteratorINS9_10device_ptrIiEEEENSB_INSC_IjEEEENSB_INSC_IfEEEEfNS9_4plusIvEENS9_8equal_toIvEEfEE10hipError_tPvRmT2_T3_T4_T5_mT6_T7_P12ihipStream_tbENKUlT_T0_E_clISt17integral_constantIbLb1EES13_EEDaSY_SZ_EUlSY_E_NS1_11comp_targetILNS1_3genE5ELNS1_11target_archE942ELNS1_3gpuE9ELNS1_3repE0EEENS1_30default_config_static_selectorELNS0_4arch9wavefront6targetE0EEEvT1_
	.p2align	8
	.type	_ZN7rocprim17ROCPRIM_400000_NS6detail17trampoline_kernelINS0_14default_configENS1_27scan_by_key_config_selectorIifEEZZNS1_16scan_by_key_implILNS1_25lookback_scan_determinismE0ELb1ES3_N6thrust23THRUST_200600_302600_NS6detail15normal_iteratorINS9_10device_ptrIiEEEENSB_INSC_IjEEEENSB_INSC_IfEEEEfNS9_4plusIvEENS9_8equal_toIvEEfEE10hipError_tPvRmT2_T3_T4_T5_mT6_T7_P12ihipStream_tbENKUlT_T0_E_clISt17integral_constantIbLb1EES13_EEDaSY_SZ_EUlSY_E_NS1_11comp_targetILNS1_3genE5ELNS1_11target_archE942ELNS1_3gpuE9ELNS1_3repE0EEENS1_30default_config_static_selectorELNS0_4arch9wavefront6targetE0EEEvT1_,@function
_ZN7rocprim17ROCPRIM_400000_NS6detail17trampoline_kernelINS0_14default_configENS1_27scan_by_key_config_selectorIifEEZZNS1_16scan_by_key_implILNS1_25lookback_scan_determinismE0ELb1ES3_N6thrust23THRUST_200600_302600_NS6detail15normal_iteratorINS9_10device_ptrIiEEEENSB_INSC_IjEEEENSB_INSC_IfEEEEfNS9_4plusIvEENS9_8equal_toIvEEfEE10hipError_tPvRmT2_T3_T4_T5_mT6_T7_P12ihipStream_tbENKUlT_T0_E_clISt17integral_constantIbLb1EES13_EEDaSY_SZ_EUlSY_E_NS1_11comp_targetILNS1_3genE5ELNS1_11target_archE942ELNS1_3gpuE9ELNS1_3repE0EEENS1_30default_config_static_selectorELNS0_4arch9wavefront6targetE0EEEvT1_: ; @_ZN7rocprim17ROCPRIM_400000_NS6detail17trampoline_kernelINS0_14default_configENS1_27scan_by_key_config_selectorIifEEZZNS1_16scan_by_key_implILNS1_25lookback_scan_determinismE0ELb1ES3_N6thrust23THRUST_200600_302600_NS6detail15normal_iteratorINS9_10device_ptrIiEEEENSB_INSC_IjEEEENSB_INSC_IfEEEEfNS9_4plusIvEENS9_8equal_toIvEEfEE10hipError_tPvRmT2_T3_T4_T5_mT6_T7_P12ihipStream_tbENKUlT_T0_E_clISt17integral_constantIbLb1EES13_EEDaSY_SZ_EUlSY_E_NS1_11comp_targetILNS1_3genE5ELNS1_11target_archE942ELNS1_3gpuE9ELNS1_3repE0EEENS1_30default_config_static_selectorELNS0_4arch9wavefront6targetE0EEEvT1_
; %bb.0:
	.section	.rodata,"a",@progbits
	.p2align	6, 0x0
	.amdhsa_kernel _ZN7rocprim17ROCPRIM_400000_NS6detail17trampoline_kernelINS0_14default_configENS1_27scan_by_key_config_selectorIifEEZZNS1_16scan_by_key_implILNS1_25lookback_scan_determinismE0ELb1ES3_N6thrust23THRUST_200600_302600_NS6detail15normal_iteratorINS9_10device_ptrIiEEEENSB_INSC_IjEEEENSB_INSC_IfEEEEfNS9_4plusIvEENS9_8equal_toIvEEfEE10hipError_tPvRmT2_T3_T4_T5_mT6_T7_P12ihipStream_tbENKUlT_T0_E_clISt17integral_constantIbLb1EES13_EEDaSY_SZ_EUlSY_E_NS1_11comp_targetILNS1_3genE5ELNS1_11target_archE942ELNS1_3gpuE9ELNS1_3repE0EEENS1_30default_config_static_selectorELNS0_4arch9wavefront6targetE0EEEvT1_
		.amdhsa_group_segment_fixed_size 0
		.amdhsa_private_segment_fixed_size 0
		.amdhsa_kernarg_size 112
		.amdhsa_user_sgpr_count 6
		.amdhsa_user_sgpr_private_segment_buffer 1
		.amdhsa_user_sgpr_dispatch_ptr 0
		.amdhsa_user_sgpr_queue_ptr 0
		.amdhsa_user_sgpr_kernarg_segment_ptr 1
		.amdhsa_user_sgpr_dispatch_id 0
		.amdhsa_user_sgpr_flat_scratch_init 0
		.amdhsa_user_sgpr_private_segment_size 0
		.amdhsa_wavefront_size32 1
		.amdhsa_uses_dynamic_stack 0
		.amdhsa_system_sgpr_private_segment_wavefront_offset 0
		.amdhsa_system_sgpr_workgroup_id_x 1
		.amdhsa_system_sgpr_workgroup_id_y 0
		.amdhsa_system_sgpr_workgroup_id_z 0
		.amdhsa_system_sgpr_workgroup_info 0
		.amdhsa_system_vgpr_workitem_id 0
		.amdhsa_next_free_vgpr 1
		.amdhsa_next_free_sgpr 1
		.amdhsa_reserve_vcc 0
		.amdhsa_reserve_flat_scratch 0
		.amdhsa_float_round_mode_32 0
		.amdhsa_float_round_mode_16_64 0
		.amdhsa_float_denorm_mode_32 3
		.amdhsa_float_denorm_mode_16_64 3
		.amdhsa_dx10_clamp 1
		.amdhsa_ieee_mode 1
		.amdhsa_fp16_overflow 0
		.amdhsa_workgroup_processor_mode 1
		.amdhsa_memory_ordered 1
		.amdhsa_forward_progress 1
		.amdhsa_shared_vgpr_count 0
		.amdhsa_exception_fp_ieee_invalid_op 0
		.amdhsa_exception_fp_denorm_src 0
		.amdhsa_exception_fp_ieee_div_zero 0
		.amdhsa_exception_fp_ieee_overflow 0
		.amdhsa_exception_fp_ieee_underflow 0
		.amdhsa_exception_fp_ieee_inexact 0
		.amdhsa_exception_int_div_zero 0
	.end_amdhsa_kernel
	.section	.text._ZN7rocprim17ROCPRIM_400000_NS6detail17trampoline_kernelINS0_14default_configENS1_27scan_by_key_config_selectorIifEEZZNS1_16scan_by_key_implILNS1_25lookback_scan_determinismE0ELb1ES3_N6thrust23THRUST_200600_302600_NS6detail15normal_iteratorINS9_10device_ptrIiEEEENSB_INSC_IjEEEENSB_INSC_IfEEEEfNS9_4plusIvEENS9_8equal_toIvEEfEE10hipError_tPvRmT2_T3_T4_T5_mT6_T7_P12ihipStream_tbENKUlT_T0_E_clISt17integral_constantIbLb1EES13_EEDaSY_SZ_EUlSY_E_NS1_11comp_targetILNS1_3genE5ELNS1_11target_archE942ELNS1_3gpuE9ELNS1_3repE0EEENS1_30default_config_static_selectorELNS0_4arch9wavefront6targetE0EEEvT1_,"axG",@progbits,_ZN7rocprim17ROCPRIM_400000_NS6detail17trampoline_kernelINS0_14default_configENS1_27scan_by_key_config_selectorIifEEZZNS1_16scan_by_key_implILNS1_25lookback_scan_determinismE0ELb1ES3_N6thrust23THRUST_200600_302600_NS6detail15normal_iteratorINS9_10device_ptrIiEEEENSB_INSC_IjEEEENSB_INSC_IfEEEEfNS9_4plusIvEENS9_8equal_toIvEEfEE10hipError_tPvRmT2_T3_T4_T5_mT6_T7_P12ihipStream_tbENKUlT_T0_E_clISt17integral_constantIbLb1EES13_EEDaSY_SZ_EUlSY_E_NS1_11comp_targetILNS1_3genE5ELNS1_11target_archE942ELNS1_3gpuE9ELNS1_3repE0EEENS1_30default_config_static_selectorELNS0_4arch9wavefront6targetE0EEEvT1_,comdat
.Lfunc_end1691:
	.size	_ZN7rocprim17ROCPRIM_400000_NS6detail17trampoline_kernelINS0_14default_configENS1_27scan_by_key_config_selectorIifEEZZNS1_16scan_by_key_implILNS1_25lookback_scan_determinismE0ELb1ES3_N6thrust23THRUST_200600_302600_NS6detail15normal_iteratorINS9_10device_ptrIiEEEENSB_INSC_IjEEEENSB_INSC_IfEEEEfNS9_4plusIvEENS9_8equal_toIvEEfEE10hipError_tPvRmT2_T3_T4_T5_mT6_T7_P12ihipStream_tbENKUlT_T0_E_clISt17integral_constantIbLb1EES13_EEDaSY_SZ_EUlSY_E_NS1_11comp_targetILNS1_3genE5ELNS1_11target_archE942ELNS1_3gpuE9ELNS1_3repE0EEENS1_30default_config_static_selectorELNS0_4arch9wavefront6targetE0EEEvT1_, .Lfunc_end1691-_ZN7rocprim17ROCPRIM_400000_NS6detail17trampoline_kernelINS0_14default_configENS1_27scan_by_key_config_selectorIifEEZZNS1_16scan_by_key_implILNS1_25lookback_scan_determinismE0ELb1ES3_N6thrust23THRUST_200600_302600_NS6detail15normal_iteratorINS9_10device_ptrIiEEEENSB_INSC_IjEEEENSB_INSC_IfEEEEfNS9_4plusIvEENS9_8equal_toIvEEfEE10hipError_tPvRmT2_T3_T4_T5_mT6_T7_P12ihipStream_tbENKUlT_T0_E_clISt17integral_constantIbLb1EES13_EEDaSY_SZ_EUlSY_E_NS1_11comp_targetILNS1_3genE5ELNS1_11target_archE942ELNS1_3gpuE9ELNS1_3repE0EEENS1_30default_config_static_selectorELNS0_4arch9wavefront6targetE0EEEvT1_
                                        ; -- End function
	.set _ZN7rocprim17ROCPRIM_400000_NS6detail17trampoline_kernelINS0_14default_configENS1_27scan_by_key_config_selectorIifEEZZNS1_16scan_by_key_implILNS1_25lookback_scan_determinismE0ELb1ES3_N6thrust23THRUST_200600_302600_NS6detail15normal_iteratorINS9_10device_ptrIiEEEENSB_INSC_IjEEEENSB_INSC_IfEEEEfNS9_4plusIvEENS9_8equal_toIvEEfEE10hipError_tPvRmT2_T3_T4_T5_mT6_T7_P12ihipStream_tbENKUlT_T0_E_clISt17integral_constantIbLb1EES13_EEDaSY_SZ_EUlSY_E_NS1_11comp_targetILNS1_3genE5ELNS1_11target_archE942ELNS1_3gpuE9ELNS1_3repE0EEENS1_30default_config_static_selectorELNS0_4arch9wavefront6targetE0EEEvT1_.num_vgpr, 0
	.set _ZN7rocprim17ROCPRIM_400000_NS6detail17trampoline_kernelINS0_14default_configENS1_27scan_by_key_config_selectorIifEEZZNS1_16scan_by_key_implILNS1_25lookback_scan_determinismE0ELb1ES3_N6thrust23THRUST_200600_302600_NS6detail15normal_iteratorINS9_10device_ptrIiEEEENSB_INSC_IjEEEENSB_INSC_IfEEEEfNS9_4plusIvEENS9_8equal_toIvEEfEE10hipError_tPvRmT2_T3_T4_T5_mT6_T7_P12ihipStream_tbENKUlT_T0_E_clISt17integral_constantIbLb1EES13_EEDaSY_SZ_EUlSY_E_NS1_11comp_targetILNS1_3genE5ELNS1_11target_archE942ELNS1_3gpuE9ELNS1_3repE0EEENS1_30default_config_static_selectorELNS0_4arch9wavefront6targetE0EEEvT1_.num_agpr, 0
	.set _ZN7rocprim17ROCPRIM_400000_NS6detail17trampoline_kernelINS0_14default_configENS1_27scan_by_key_config_selectorIifEEZZNS1_16scan_by_key_implILNS1_25lookback_scan_determinismE0ELb1ES3_N6thrust23THRUST_200600_302600_NS6detail15normal_iteratorINS9_10device_ptrIiEEEENSB_INSC_IjEEEENSB_INSC_IfEEEEfNS9_4plusIvEENS9_8equal_toIvEEfEE10hipError_tPvRmT2_T3_T4_T5_mT6_T7_P12ihipStream_tbENKUlT_T0_E_clISt17integral_constantIbLb1EES13_EEDaSY_SZ_EUlSY_E_NS1_11comp_targetILNS1_3genE5ELNS1_11target_archE942ELNS1_3gpuE9ELNS1_3repE0EEENS1_30default_config_static_selectorELNS0_4arch9wavefront6targetE0EEEvT1_.numbered_sgpr, 0
	.set _ZN7rocprim17ROCPRIM_400000_NS6detail17trampoline_kernelINS0_14default_configENS1_27scan_by_key_config_selectorIifEEZZNS1_16scan_by_key_implILNS1_25lookback_scan_determinismE0ELb1ES3_N6thrust23THRUST_200600_302600_NS6detail15normal_iteratorINS9_10device_ptrIiEEEENSB_INSC_IjEEEENSB_INSC_IfEEEEfNS9_4plusIvEENS9_8equal_toIvEEfEE10hipError_tPvRmT2_T3_T4_T5_mT6_T7_P12ihipStream_tbENKUlT_T0_E_clISt17integral_constantIbLb1EES13_EEDaSY_SZ_EUlSY_E_NS1_11comp_targetILNS1_3genE5ELNS1_11target_archE942ELNS1_3gpuE9ELNS1_3repE0EEENS1_30default_config_static_selectorELNS0_4arch9wavefront6targetE0EEEvT1_.num_named_barrier, 0
	.set _ZN7rocprim17ROCPRIM_400000_NS6detail17trampoline_kernelINS0_14default_configENS1_27scan_by_key_config_selectorIifEEZZNS1_16scan_by_key_implILNS1_25lookback_scan_determinismE0ELb1ES3_N6thrust23THRUST_200600_302600_NS6detail15normal_iteratorINS9_10device_ptrIiEEEENSB_INSC_IjEEEENSB_INSC_IfEEEEfNS9_4plusIvEENS9_8equal_toIvEEfEE10hipError_tPvRmT2_T3_T4_T5_mT6_T7_P12ihipStream_tbENKUlT_T0_E_clISt17integral_constantIbLb1EES13_EEDaSY_SZ_EUlSY_E_NS1_11comp_targetILNS1_3genE5ELNS1_11target_archE942ELNS1_3gpuE9ELNS1_3repE0EEENS1_30default_config_static_selectorELNS0_4arch9wavefront6targetE0EEEvT1_.private_seg_size, 0
	.set _ZN7rocprim17ROCPRIM_400000_NS6detail17trampoline_kernelINS0_14default_configENS1_27scan_by_key_config_selectorIifEEZZNS1_16scan_by_key_implILNS1_25lookback_scan_determinismE0ELb1ES3_N6thrust23THRUST_200600_302600_NS6detail15normal_iteratorINS9_10device_ptrIiEEEENSB_INSC_IjEEEENSB_INSC_IfEEEEfNS9_4plusIvEENS9_8equal_toIvEEfEE10hipError_tPvRmT2_T3_T4_T5_mT6_T7_P12ihipStream_tbENKUlT_T0_E_clISt17integral_constantIbLb1EES13_EEDaSY_SZ_EUlSY_E_NS1_11comp_targetILNS1_3genE5ELNS1_11target_archE942ELNS1_3gpuE9ELNS1_3repE0EEENS1_30default_config_static_selectorELNS0_4arch9wavefront6targetE0EEEvT1_.uses_vcc, 0
	.set _ZN7rocprim17ROCPRIM_400000_NS6detail17trampoline_kernelINS0_14default_configENS1_27scan_by_key_config_selectorIifEEZZNS1_16scan_by_key_implILNS1_25lookback_scan_determinismE0ELb1ES3_N6thrust23THRUST_200600_302600_NS6detail15normal_iteratorINS9_10device_ptrIiEEEENSB_INSC_IjEEEENSB_INSC_IfEEEEfNS9_4plusIvEENS9_8equal_toIvEEfEE10hipError_tPvRmT2_T3_T4_T5_mT6_T7_P12ihipStream_tbENKUlT_T0_E_clISt17integral_constantIbLb1EES13_EEDaSY_SZ_EUlSY_E_NS1_11comp_targetILNS1_3genE5ELNS1_11target_archE942ELNS1_3gpuE9ELNS1_3repE0EEENS1_30default_config_static_selectorELNS0_4arch9wavefront6targetE0EEEvT1_.uses_flat_scratch, 0
	.set _ZN7rocprim17ROCPRIM_400000_NS6detail17trampoline_kernelINS0_14default_configENS1_27scan_by_key_config_selectorIifEEZZNS1_16scan_by_key_implILNS1_25lookback_scan_determinismE0ELb1ES3_N6thrust23THRUST_200600_302600_NS6detail15normal_iteratorINS9_10device_ptrIiEEEENSB_INSC_IjEEEENSB_INSC_IfEEEEfNS9_4plusIvEENS9_8equal_toIvEEfEE10hipError_tPvRmT2_T3_T4_T5_mT6_T7_P12ihipStream_tbENKUlT_T0_E_clISt17integral_constantIbLb1EES13_EEDaSY_SZ_EUlSY_E_NS1_11comp_targetILNS1_3genE5ELNS1_11target_archE942ELNS1_3gpuE9ELNS1_3repE0EEENS1_30default_config_static_selectorELNS0_4arch9wavefront6targetE0EEEvT1_.has_dyn_sized_stack, 0
	.set _ZN7rocprim17ROCPRIM_400000_NS6detail17trampoline_kernelINS0_14default_configENS1_27scan_by_key_config_selectorIifEEZZNS1_16scan_by_key_implILNS1_25lookback_scan_determinismE0ELb1ES3_N6thrust23THRUST_200600_302600_NS6detail15normal_iteratorINS9_10device_ptrIiEEEENSB_INSC_IjEEEENSB_INSC_IfEEEEfNS9_4plusIvEENS9_8equal_toIvEEfEE10hipError_tPvRmT2_T3_T4_T5_mT6_T7_P12ihipStream_tbENKUlT_T0_E_clISt17integral_constantIbLb1EES13_EEDaSY_SZ_EUlSY_E_NS1_11comp_targetILNS1_3genE5ELNS1_11target_archE942ELNS1_3gpuE9ELNS1_3repE0EEENS1_30default_config_static_selectorELNS0_4arch9wavefront6targetE0EEEvT1_.has_recursion, 0
	.set _ZN7rocprim17ROCPRIM_400000_NS6detail17trampoline_kernelINS0_14default_configENS1_27scan_by_key_config_selectorIifEEZZNS1_16scan_by_key_implILNS1_25lookback_scan_determinismE0ELb1ES3_N6thrust23THRUST_200600_302600_NS6detail15normal_iteratorINS9_10device_ptrIiEEEENSB_INSC_IjEEEENSB_INSC_IfEEEEfNS9_4plusIvEENS9_8equal_toIvEEfEE10hipError_tPvRmT2_T3_T4_T5_mT6_T7_P12ihipStream_tbENKUlT_T0_E_clISt17integral_constantIbLb1EES13_EEDaSY_SZ_EUlSY_E_NS1_11comp_targetILNS1_3genE5ELNS1_11target_archE942ELNS1_3gpuE9ELNS1_3repE0EEENS1_30default_config_static_selectorELNS0_4arch9wavefront6targetE0EEEvT1_.has_indirect_call, 0
	.section	.AMDGPU.csdata,"",@progbits
; Kernel info:
; codeLenInByte = 0
; TotalNumSgprs: 0
; NumVgprs: 0
; ScratchSize: 0
; MemoryBound: 0
; FloatMode: 240
; IeeeMode: 1
; LDSByteSize: 0 bytes/workgroup (compile time only)
; SGPRBlocks: 0
; VGPRBlocks: 0
; NumSGPRsForWavesPerEU: 1
; NumVGPRsForWavesPerEU: 1
; Occupancy: 16
; WaveLimiterHint : 0
; COMPUTE_PGM_RSRC2:SCRATCH_EN: 0
; COMPUTE_PGM_RSRC2:USER_SGPR: 6
; COMPUTE_PGM_RSRC2:TRAP_HANDLER: 0
; COMPUTE_PGM_RSRC2:TGID_X_EN: 1
; COMPUTE_PGM_RSRC2:TGID_Y_EN: 0
; COMPUTE_PGM_RSRC2:TGID_Z_EN: 0
; COMPUTE_PGM_RSRC2:TIDIG_COMP_CNT: 0
	.section	.text._ZN7rocprim17ROCPRIM_400000_NS6detail17trampoline_kernelINS0_14default_configENS1_27scan_by_key_config_selectorIifEEZZNS1_16scan_by_key_implILNS1_25lookback_scan_determinismE0ELb1ES3_N6thrust23THRUST_200600_302600_NS6detail15normal_iteratorINS9_10device_ptrIiEEEENSB_INSC_IjEEEENSB_INSC_IfEEEEfNS9_4plusIvEENS9_8equal_toIvEEfEE10hipError_tPvRmT2_T3_T4_T5_mT6_T7_P12ihipStream_tbENKUlT_T0_E_clISt17integral_constantIbLb1EES13_EEDaSY_SZ_EUlSY_E_NS1_11comp_targetILNS1_3genE4ELNS1_11target_archE910ELNS1_3gpuE8ELNS1_3repE0EEENS1_30default_config_static_selectorELNS0_4arch9wavefront6targetE0EEEvT1_,"axG",@progbits,_ZN7rocprim17ROCPRIM_400000_NS6detail17trampoline_kernelINS0_14default_configENS1_27scan_by_key_config_selectorIifEEZZNS1_16scan_by_key_implILNS1_25lookback_scan_determinismE0ELb1ES3_N6thrust23THRUST_200600_302600_NS6detail15normal_iteratorINS9_10device_ptrIiEEEENSB_INSC_IjEEEENSB_INSC_IfEEEEfNS9_4plusIvEENS9_8equal_toIvEEfEE10hipError_tPvRmT2_T3_T4_T5_mT6_T7_P12ihipStream_tbENKUlT_T0_E_clISt17integral_constantIbLb1EES13_EEDaSY_SZ_EUlSY_E_NS1_11comp_targetILNS1_3genE4ELNS1_11target_archE910ELNS1_3gpuE8ELNS1_3repE0EEENS1_30default_config_static_selectorELNS0_4arch9wavefront6targetE0EEEvT1_,comdat
	.protected	_ZN7rocprim17ROCPRIM_400000_NS6detail17trampoline_kernelINS0_14default_configENS1_27scan_by_key_config_selectorIifEEZZNS1_16scan_by_key_implILNS1_25lookback_scan_determinismE0ELb1ES3_N6thrust23THRUST_200600_302600_NS6detail15normal_iteratorINS9_10device_ptrIiEEEENSB_INSC_IjEEEENSB_INSC_IfEEEEfNS9_4plusIvEENS9_8equal_toIvEEfEE10hipError_tPvRmT2_T3_T4_T5_mT6_T7_P12ihipStream_tbENKUlT_T0_E_clISt17integral_constantIbLb1EES13_EEDaSY_SZ_EUlSY_E_NS1_11comp_targetILNS1_3genE4ELNS1_11target_archE910ELNS1_3gpuE8ELNS1_3repE0EEENS1_30default_config_static_selectorELNS0_4arch9wavefront6targetE0EEEvT1_ ; -- Begin function _ZN7rocprim17ROCPRIM_400000_NS6detail17trampoline_kernelINS0_14default_configENS1_27scan_by_key_config_selectorIifEEZZNS1_16scan_by_key_implILNS1_25lookback_scan_determinismE0ELb1ES3_N6thrust23THRUST_200600_302600_NS6detail15normal_iteratorINS9_10device_ptrIiEEEENSB_INSC_IjEEEENSB_INSC_IfEEEEfNS9_4plusIvEENS9_8equal_toIvEEfEE10hipError_tPvRmT2_T3_T4_T5_mT6_T7_P12ihipStream_tbENKUlT_T0_E_clISt17integral_constantIbLb1EES13_EEDaSY_SZ_EUlSY_E_NS1_11comp_targetILNS1_3genE4ELNS1_11target_archE910ELNS1_3gpuE8ELNS1_3repE0EEENS1_30default_config_static_selectorELNS0_4arch9wavefront6targetE0EEEvT1_
	.globl	_ZN7rocprim17ROCPRIM_400000_NS6detail17trampoline_kernelINS0_14default_configENS1_27scan_by_key_config_selectorIifEEZZNS1_16scan_by_key_implILNS1_25lookback_scan_determinismE0ELb1ES3_N6thrust23THRUST_200600_302600_NS6detail15normal_iteratorINS9_10device_ptrIiEEEENSB_INSC_IjEEEENSB_INSC_IfEEEEfNS9_4plusIvEENS9_8equal_toIvEEfEE10hipError_tPvRmT2_T3_T4_T5_mT6_T7_P12ihipStream_tbENKUlT_T0_E_clISt17integral_constantIbLb1EES13_EEDaSY_SZ_EUlSY_E_NS1_11comp_targetILNS1_3genE4ELNS1_11target_archE910ELNS1_3gpuE8ELNS1_3repE0EEENS1_30default_config_static_selectorELNS0_4arch9wavefront6targetE0EEEvT1_
	.p2align	8
	.type	_ZN7rocprim17ROCPRIM_400000_NS6detail17trampoline_kernelINS0_14default_configENS1_27scan_by_key_config_selectorIifEEZZNS1_16scan_by_key_implILNS1_25lookback_scan_determinismE0ELb1ES3_N6thrust23THRUST_200600_302600_NS6detail15normal_iteratorINS9_10device_ptrIiEEEENSB_INSC_IjEEEENSB_INSC_IfEEEEfNS9_4plusIvEENS9_8equal_toIvEEfEE10hipError_tPvRmT2_T3_T4_T5_mT6_T7_P12ihipStream_tbENKUlT_T0_E_clISt17integral_constantIbLb1EES13_EEDaSY_SZ_EUlSY_E_NS1_11comp_targetILNS1_3genE4ELNS1_11target_archE910ELNS1_3gpuE8ELNS1_3repE0EEENS1_30default_config_static_selectorELNS0_4arch9wavefront6targetE0EEEvT1_,@function
_ZN7rocprim17ROCPRIM_400000_NS6detail17trampoline_kernelINS0_14default_configENS1_27scan_by_key_config_selectorIifEEZZNS1_16scan_by_key_implILNS1_25lookback_scan_determinismE0ELb1ES3_N6thrust23THRUST_200600_302600_NS6detail15normal_iteratorINS9_10device_ptrIiEEEENSB_INSC_IjEEEENSB_INSC_IfEEEEfNS9_4plusIvEENS9_8equal_toIvEEfEE10hipError_tPvRmT2_T3_T4_T5_mT6_T7_P12ihipStream_tbENKUlT_T0_E_clISt17integral_constantIbLb1EES13_EEDaSY_SZ_EUlSY_E_NS1_11comp_targetILNS1_3genE4ELNS1_11target_archE910ELNS1_3gpuE8ELNS1_3repE0EEENS1_30default_config_static_selectorELNS0_4arch9wavefront6targetE0EEEvT1_: ; @_ZN7rocprim17ROCPRIM_400000_NS6detail17trampoline_kernelINS0_14default_configENS1_27scan_by_key_config_selectorIifEEZZNS1_16scan_by_key_implILNS1_25lookback_scan_determinismE0ELb1ES3_N6thrust23THRUST_200600_302600_NS6detail15normal_iteratorINS9_10device_ptrIiEEEENSB_INSC_IjEEEENSB_INSC_IfEEEEfNS9_4plusIvEENS9_8equal_toIvEEfEE10hipError_tPvRmT2_T3_T4_T5_mT6_T7_P12ihipStream_tbENKUlT_T0_E_clISt17integral_constantIbLb1EES13_EEDaSY_SZ_EUlSY_E_NS1_11comp_targetILNS1_3genE4ELNS1_11target_archE910ELNS1_3gpuE8ELNS1_3repE0EEENS1_30default_config_static_selectorELNS0_4arch9wavefront6targetE0EEEvT1_
; %bb.0:
	.section	.rodata,"a",@progbits
	.p2align	6, 0x0
	.amdhsa_kernel _ZN7rocprim17ROCPRIM_400000_NS6detail17trampoline_kernelINS0_14default_configENS1_27scan_by_key_config_selectorIifEEZZNS1_16scan_by_key_implILNS1_25lookback_scan_determinismE0ELb1ES3_N6thrust23THRUST_200600_302600_NS6detail15normal_iteratorINS9_10device_ptrIiEEEENSB_INSC_IjEEEENSB_INSC_IfEEEEfNS9_4plusIvEENS9_8equal_toIvEEfEE10hipError_tPvRmT2_T3_T4_T5_mT6_T7_P12ihipStream_tbENKUlT_T0_E_clISt17integral_constantIbLb1EES13_EEDaSY_SZ_EUlSY_E_NS1_11comp_targetILNS1_3genE4ELNS1_11target_archE910ELNS1_3gpuE8ELNS1_3repE0EEENS1_30default_config_static_selectorELNS0_4arch9wavefront6targetE0EEEvT1_
		.amdhsa_group_segment_fixed_size 0
		.amdhsa_private_segment_fixed_size 0
		.amdhsa_kernarg_size 112
		.amdhsa_user_sgpr_count 6
		.amdhsa_user_sgpr_private_segment_buffer 1
		.amdhsa_user_sgpr_dispatch_ptr 0
		.amdhsa_user_sgpr_queue_ptr 0
		.amdhsa_user_sgpr_kernarg_segment_ptr 1
		.amdhsa_user_sgpr_dispatch_id 0
		.amdhsa_user_sgpr_flat_scratch_init 0
		.amdhsa_user_sgpr_private_segment_size 0
		.amdhsa_wavefront_size32 1
		.amdhsa_uses_dynamic_stack 0
		.amdhsa_system_sgpr_private_segment_wavefront_offset 0
		.amdhsa_system_sgpr_workgroup_id_x 1
		.amdhsa_system_sgpr_workgroup_id_y 0
		.amdhsa_system_sgpr_workgroup_id_z 0
		.amdhsa_system_sgpr_workgroup_info 0
		.amdhsa_system_vgpr_workitem_id 0
		.amdhsa_next_free_vgpr 1
		.amdhsa_next_free_sgpr 1
		.amdhsa_reserve_vcc 0
		.amdhsa_reserve_flat_scratch 0
		.amdhsa_float_round_mode_32 0
		.amdhsa_float_round_mode_16_64 0
		.amdhsa_float_denorm_mode_32 3
		.amdhsa_float_denorm_mode_16_64 3
		.amdhsa_dx10_clamp 1
		.amdhsa_ieee_mode 1
		.amdhsa_fp16_overflow 0
		.amdhsa_workgroup_processor_mode 1
		.amdhsa_memory_ordered 1
		.amdhsa_forward_progress 1
		.amdhsa_shared_vgpr_count 0
		.amdhsa_exception_fp_ieee_invalid_op 0
		.amdhsa_exception_fp_denorm_src 0
		.amdhsa_exception_fp_ieee_div_zero 0
		.amdhsa_exception_fp_ieee_overflow 0
		.amdhsa_exception_fp_ieee_underflow 0
		.amdhsa_exception_fp_ieee_inexact 0
		.amdhsa_exception_int_div_zero 0
	.end_amdhsa_kernel
	.section	.text._ZN7rocprim17ROCPRIM_400000_NS6detail17trampoline_kernelINS0_14default_configENS1_27scan_by_key_config_selectorIifEEZZNS1_16scan_by_key_implILNS1_25lookback_scan_determinismE0ELb1ES3_N6thrust23THRUST_200600_302600_NS6detail15normal_iteratorINS9_10device_ptrIiEEEENSB_INSC_IjEEEENSB_INSC_IfEEEEfNS9_4plusIvEENS9_8equal_toIvEEfEE10hipError_tPvRmT2_T3_T4_T5_mT6_T7_P12ihipStream_tbENKUlT_T0_E_clISt17integral_constantIbLb1EES13_EEDaSY_SZ_EUlSY_E_NS1_11comp_targetILNS1_3genE4ELNS1_11target_archE910ELNS1_3gpuE8ELNS1_3repE0EEENS1_30default_config_static_selectorELNS0_4arch9wavefront6targetE0EEEvT1_,"axG",@progbits,_ZN7rocprim17ROCPRIM_400000_NS6detail17trampoline_kernelINS0_14default_configENS1_27scan_by_key_config_selectorIifEEZZNS1_16scan_by_key_implILNS1_25lookback_scan_determinismE0ELb1ES3_N6thrust23THRUST_200600_302600_NS6detail15normal_iteratorINS9_10device_ptrIiEEEENSB_INSC_IjEEEENSB_INSC_IfEEEEfNS9_4plusIvEENS9_8equal_toIvEEfEE10hipError_tPvRmT2_T3_T4_T5_mT6_T7_P12ihipStream_tbENKUlT_T0_E_clISt17integral_constantIbLb1EES13_EEDaSY_SZ_EUlSY_E_NS1_11comp_targetILNS1_3genE4ELNS1_11target_archE910ELNS1_3gpuE8ELNS1_3repE0EEENS1_30default_config_static_selectorELNS0_4arch9wavefront6targetE0EEEvT1_,comdat
.Lfunc_end1692:
	.size	_ZN7rocprim17ROCPRIM_400000_NS6detail17trampoline_kernelINS0_14default_configENS1_27scan_by_key_config_selectorIifEEZZNS1_16scan_by_key_implILNS1_25lookback_scan_determinismE0ELb1ES3_N6thrust23THRUST_200600_302600_NS6detail15normal_iteratorINS9_10device_ptrIiEEEENSB_INSC_IjEEEENSB_INSC_IfEEEEfNS9_4plusIvEENS9_8equal_toIvEEfEE10hipError_tPvRmT2_T3_T4_T5_mT6_T7_P12ihipStream_tbENKUlT_T0_E_clISt17integral_constantIbLb1EES13_EEDaSY_SZ_EUlSY_E_NS1_11comp_targetILNS1_3genE4ELNS1_11target_archE910ELNS1_3gpuE8ELNS1_3repE0EEENS1_30default_config_static_selectorELNS0_4arch9wavefront6targetE0EEEvT1_, .Lfunc_end1692-_ZN7rocprim17ROCPRIM_400000_NS6detail17trampoline_kernelINS0_14default_configENS1_27scan_by_key_config_selectorIifEEZZNS1_16scan_by_key_implILNS1_25lookback_scan_determinismE0ELb1ES3_N6thrust23THRUST_200600_302600_NS6detail15normal_iteratorINS9_10device_ptrIiEEEENSB_INSC_IjEEEENSB_INSC_IfEEEEfNS9_4plusIvEENS9_8equal_toIvEEfEE10hipError_tPvRmT2_T3_T4_T5_mT6_T7_P12ihipStream_tbENKUlT_T0_E_clISt17integral_constantIbLb1EES13_EEDaSY_SZ_EUlSY_E_NS1_11comp_targetILNS1_3genE4ELNS1_11target_archE910ELNS1_3gpuE8ELNS1_3repE0EEENS1_30default_config_static_selectorELNS0_4arch9wavefront6targetE0EEEvT1_
                                        ; -- End function
	.set _ZN7rocprim17ROCPRIM_400000_NS6detail17trampoline_kernelINS0_14default_configENS1_27scan_by_key_config_selectorIifEEZZNS1_16scan_by_key_implILNS1_25lookback_scan_determinismE0ELb1ES3_N6thrust23THRUST_200600_302600_NS6detail15normal_iteratorINS9_10device_ptrIiEEEENSB_INSC_IjEEEENSB_INSC_IfEEEEfNS9_4plusIvEENS9_8equal_toIvEEfEE10hipError_tPvRmT2_T3_T4_T5_mT6_T7_P12ihipStream_tbENKUlT_T0_E_clISt17integral_constantIbLb1EES13_EEDaSY_SZ_EUlSY_E_NS1_11comp_targetILNS1_3genE4ELNS1_11target_archE910ELNS1_3gpuE8ELNS1_3repE0EEENS1_30default_config_static_selectorELNS0_4arch9wavefront6targetE0EEEvT1_.num_vgpr, 0
	.set _ZN7rocprim17ROCPRIM_400000_NS6detail17trampoline_kernelINS0_14default_configENS1_27scan_by_key_config_selectorIifEEZZNS1_16scan_by_key_implILNS1_25lookback_scan_determinismE0ELb1ES3_N6thrust23THRUST_200600_302600_NS6detail15normal_iteratorINS9_10device_ptrIiEEEENSB_INSC_IjEEEENSB_INSC_IfEEEEfNS9_4plusIvEENS9_8equal_toIvEEfEE10hipError_tPvRmT2_T3_T4_T5_mT6_T7_P12ihipStream_tbENKUlT_T0_E_clISt17integral_constantIbLb1EES13_EEDaSY_SZ_EUlSY_E_NS1_11comp_targetILNS1_3genE4ELNS1_11target_archE910ELNS1_3gpuE8ELNS1_3repE0EEENS1_30default_config_static_selectorELNS0_4arch9wavefront6targetE0EEEvT1_.num_agpr, 0
	.set _ZN7rocprim17ROCPRIM_400000_NS6detail17trampoline_kernelINS0_14default_configENS1_27scan_by_key_config_selectorIifEEZZNS1_16scan_by_key_implILNS1_25lookback_scan_determinismE0ELb1ES3_N6thrust23THRUST_200600_302600_NS6detail15normal_iteratorINS9_10device_ptrIiEEEENSB_INSC_IjEEEENSB_INSC_IfEEEEfNS9_4plusIvEENS9_8equal_toIvEEfEE10hipError_tPvRmT2_T3_T4_T5_mT6_T7_P12ihipStream_tbENKUlT_T0_E_clISt17integral_constantIbLb1EES13_EEDaSY_SZ_EUlSY_E_NS1_11comp_targetILNS1_3genE4ELNS1_11target_archE910ELNS1_3gpuE8ELNS1_3repE0EEENS1_30default_config_static_selectorELNS0_4arch9wavefront6targetE0EEEvT1_.numbered_sgpr, 0
	.set _ZN7rocprim17ROCPRIM_400000_NS6detail17trampoline_kernelINS0_14default_configENS1_27scan_by_key_config_selectorIifEEZZNS1_16scan_by_key_implILNS1_25lookback_scan_determinismE0ELb1ES3_N6thrust23THRUST_200600_302600_NS6detail15normal_iteratorINS9_10device_ptrIiEEEENSB_INSC_IjEEEENSB_INSC_IfEEEEfNS9_4plusIvEENS9_8equal_toIvEEfEE10hipError_tPvRmT2_T3_T4_T5_mT6_T7_P12ihipStream_tbENKUlT_T0_E_clISt17integral_constantIbLb1EES13_EEDaSY_SZ_EUlSY_E_NS1_11comp_targetILNS1_3genE4ELNS1_11target_archE910ELNS1_3gpuE8ELNS1_3repE0EEENS1_30default_config_static_selectorELNS0_4arch9wavefront6targetE0EEEvT1_.num_named_barrier, 0
	.set _ZN7rocprim17ROCPRIM_400000_NS6detail17trampoline_kernelINS0_14default_configENS1_27scan_by_key_config_selectorIifEEZZNS1_16scan_by_key_implILNS1_25lookback_scan_determinismE0ELb1ES3_N6thrust23THRUST_200600_302600_NS6detail15normal_iteratorINS9_10device_ptrIiEEEENSB_INSC_IjEEEENSB_INSC_IfEEEEfNS9_4plusIvEENS9_8equal_toIvEEfEE10hipError_tPvRmT2_T3_T4_T5_mT6_T7_P12ihipStream_tbENKUlT_T0_E_clISt17integral_constantIbLb1EES13_EEDaSY_SZ_EUlSY_E_NS1_11comp_targetILNS1_3genE4ELNS1_11target_archE910ELNS1_3gpuE8ELNS1_3repE0EEENS1_30default_config_static_selectorELNS0_4arch9wavefront6targetE0EEEvT1_.private_seg_size, 0
	.set _ZN7rocprim17ROCPRIM_400000_NS6detail17trampoline_kernelINS0_14default_configENS1_27scan_by_key_config_selectorIifEEZZNS1_16scan_by_key_implILNS1_25lookback_scan_determinismE0ELb1ES3_N6thrust23THRUST_200600_302600_NS6detail15normal_iteratorINS9_10device_ptrIiEEEENSB_INSC_IjEEEENSB_INSC_IfEEEEfNS9_4plusIvEENS9_8equal_toIvEEfEE10hipError_tPvRmT2_T3_T4_T5_mT6_T7_P12ihipStream_tbENKUlT_T0_E_clISt17integral_constantIbLb1EES13_EEDaSY_SZ_EUlSY_E_NS1_11comp_targetILNS1_3genE4ELNS1_11target_archE910ELNS1_3gpuE8ELNS1_3repE0EEENS1_30default_config_static_selectorELNS0_4arch9wavefront6targetE0EEEvT1_.uses_vcc, 0
	.set _ZN7rocprim17ROCPRIM_400000_NS6detail17trampoline_kernelINS0_14default_configENS1_27scan_by_key_config_selectorIifEEZZNS1_16scan_by_key_implILNS1_25lookback_scan_determinismE0ELb1ES3_N6thrust23THRUST_200600_302600_NS6detail15normal_iteratorINS9_10device_ptrIiEEEENSB_INSC_IjEEEENSB_INSC_IfEEEEfNS9_4plusIvEENS9_8equal_toIvEEfEE10hipError_tPvRmT2_T3_T4_T5_mT6_T7_P12ihipStream_tbENKUlT_T0_E_clISt17integral_constantIbLb1EES13_EEDaSY_SZ_EUlSY_E_NS1_11comp_targetILNS1_3genE4ELNS1_11target_archE910ELNS1_3gpuE8ELNS1_3repE0EEENS1_30default_config_static_selectorELNS0_4arch9wavefront6targetE0EEEvT1_.uses_flat_scratch, 0
	.set _ZN7rocprim17ROCPRIM_400000_NS6detail17trampoline_kernelINS0_14default_configENS1_27scan_by_key_config_selectorIifEEZZNS1_16scan_by_key_implILNS1_25lookback_scan_determinismE0ELb1ES3_N6thrust23THRUST_200600_302600_NS6detail15normal_iteratorINS9_10device_ptrIiEEEENSB_INSC_IjEEEENSB_INSC_IfEEEEfNS9_4plusIvEENS9_8equal_toIvEEfEE10hipError_tPvRmT2_T3_T4_T5_mT6_T7_P12ihipStream_tbENKUlT_T0_E_clISt17integral_constantIbLb1EES13_EEDaSY_SZ_EUlSY_E_NS1_11comp_targetILNS1_3genE4ELNS1_11target_archE910ELNS1_3gpuE8ELNS1_3repE0EEENS1_30default_config_static_selectorELNS0_4arch9wavefront6targetE0EEEvT1_.has_dyn_sized_stack, 0
	.set _ZN7rocprim17ROCPRIM_400000_NS6detail17trampoline_kernelINS0_14default_configENS1_27scan_by_key_config_selectorIifEEZZNS1_16scan_by_key_implILNS1_25lookback_scan_determinismE0ELb1ES3_N6thrust23THRUST_200600_302600_NS6detail15normal_iteratorINS9_10device_ptrIiEEEENSB_INSC_IjEEEENSB_INSC_IfEEEEfNS9_4plusIvEENS9_8equal_toIvEEfEE10hipError_tPvRmT2_T3_T4_T5_mT6_T7_P12ihipStream_tbENKUlT_T0_E_clISt17integral_constantIbLb1EES13_EEDaSY_SZ_EUlSY_E_NS1_11comp_targetILNS1_3genE4ELNS1_11target_archE910ELNS1_3gpuE8ELNS1_3repE0EEENS1_30default_config_static_selectorELNS0_4arch9wavefront6targetE0EEEvT1_.has_recursion, 0
	.set _ZN7rocprim17ROCPRIM_400000_NS6detail17trampoline_kernelINS0_14default_configENS1_27scan_by_key_config_selectorIifEEZZNS1_16scan_by_key_implILNS1_25lookback_scan_determinismE0ELb1ES3_N6thrust23THRUST_200600_302600_NS6detail15normal_iteratorINS9_10device_ptrIiEEEENSB_INSC_IjEEEENSB_INSC_IfEEEEfNS9_4plusIvEENS9_8equal_toIvEEfEE10hipError_tPvRmT2_T3_T4_T5_mT6_T7_P12ihipStream_tbENKUlT_T0_E_clISt17integral_constantIbLb1EES13_EEDaSY_SZ_EUlSY_E_NS1_11comp_targetILNS1_3genE4ELNS1_11target_archE910ELNS1_3gpuE8ELNS1_3repE0EEENS1_30default_config_static_selectorELNS0_4arch9wavefront6targetE0EEEvT1_.has_indirect_call, 0
	.section	.AMDGPU.csdata,"",@progbits
; Kernel info:
; codeLenInByte = 0
; TotalNumSgprs: 0
; NumVgprs: 0
; ScratchSize: 0
; MemoryBound: 0
; FloatMode: 240
; IeeeMode: 1
; LDSByteSize: 0 bytes/workgroup (compile time only)
; SGPRBlocks: 0
; VGPRBlocks: 0
; NumSGPRsForWavesPerEU: 1
; NumVGPRsForWavesPerEU: 1
; Occupancy: 16
; WaveLimiterHint : 0
; COMPUTE_PGM_RSRC2:SCRATCH_EN: 0
; COMPUTE_PGM_RSRC2:USER_SGPR: 6
; COMPUTE_PGM_RSRC2:TRAP_HANDLER: 0
; COMPUTE_PGM_RSRC2:TGID_X_EN: 1
; COMPUTE_PGM_RSRC2:TGID_Y_EN: 0
; COMPUTE_PGM_RSRC2:TGID_Z_EN: 0
; COMPUTE_PGM_RSRC2:TIDIG_COMP_CNT: 0
	.section	.text._ZN7rocprim17ROCPRIM_400000_NS6detail17trampoline_kernelINS0_14default_configENS1_27scan_by_key_config_selectorIifEEZZNS1_16scan_by_key_implILNS1_25lookback_scan_determinismE0ELb1ES3_N6thrust23THRUST_200600_302600_NS6detail15normal_iteratorINS9_10device_ptrIiEEEENSB_INSC_IjEEEENSB_INSC_IfEEEEfNS9_4plusIvEENS9_8equal_toIvEEfEE10hipError_tPvRmT2_T3_T4_T5_mT6_T7_P12ihipStream_tbENKUlT_T0_E_clISt17integral_constantIbLb1EES13_EEDaSY_SZ_EUlSY_E_NS1_11comp_targetILNS1_3genE3ELNS1_11target_archE908ELNS1_3gpuE7ELNS1_3repE0EEENS1_30default_config_static_selectorELNS0_4arch9wavefront6targetE0EEEvT1_,"axG",@progbits,_ZN7rocprim17ROCPRIM_400000_NS6detail17trampoline_kernelINS0_14default_configENS1_27scan_by_key_config_selectorIifEEZZNS1_16scan_by_key_implILNS1_25lookback_scan_determinismE0ELb1ES3_N6thrust23THRUST_200600_302600_NS6detail15normal_iteratorINS9_10device_ptrIiEEEENSB_INSC_IjEEEENSB_INSC_IfEEEEfNS9_4plusIvEENS9_8equal_toIvEEfEE10hipError_tPvRmT2_T3_T4_T5_mT6_T7_P12ihipStream_tbENKUlT_T0_E_clISt17integral_constantIbLb1EES13_EEDaSY_SZ_EUlSY_E_NS1_11comp_targetILNS1_3genE3ELNS1_11target_archE908ELNS1_3gpuE7ELNS1_3repE0EEENS1_30default_config_static_selectorELNS0_4arch9wavefront6targetE0EEEvT1_,comdat
	.protected	_ZN7rocprim17ROCPRIM_400000_NS6detail17trampoline_kernelINS0_14default_configENS1_27scan_by_key_config_selectorIifEEZZNS1_16scan_by_key_implILNS1_25lookback_scan_determinismE0ELb1ES3_N6thrust23THRUST_200600_302600_NS6detail15normal_iteratorINS9_10device_ptrIiEEEENSB_INSC_IjEEEENSB_INSC_IfEEEEfNS9_4plusIvEENS9_8equal_toIvEEfEE10hipError_tPvRmT2_T3_T4_T5_mT6_T7_P12ihipStream_tbENKUlT_T0_E_clISt17integral_constantIbLb1EES13_EEDaSY_SZ_EUlSY_E_NS1_11comp_targetILNS1_3genE3ELNS1_11target_archE908ELNS1_3gpuE7ELNS1_3repE0EEENS1_30default_config_static_selectorELNS0_4arch9wavefront6targetE0EEEvT1_ ; -- Begin function _ZN7rocprim17ROCPRIM_400000_NS6detail17trampoline_kernelINS0_14default_configENS1_27scan_by_key_config_selectorIifEEZZNS1_16scan_by_key_implILNS1_25lookback_scan_determinismE0ELb1ES3_N6thrust23THRUST_200600_302600_NS6detail15normal_iteratorINS9_10device_ptrIiEEEENSB_INSC_IjEEEENSB_INSC_IfEEEEfNS9_4plusIvEENS9_8equal_toIvEEfEE10hipError_tPvRmT2_T3_T4_T5_mT6_T7_P12ihipStream_tbENKUlT_T0_E_clISt17integral_constantIbLb1EES13_EEDaSY_SZ_EUlSY_E_NS1_11comp_targetILNS1_3genE3ELNS1_11target_archE908ELNS1_3gpuE7ELNS1_3repE0EEENS1_30default_config_static_selectorELNS0_4arch9wavefront6targetE0EEEvT1_
	.globl	_ZN7rocprim17ROCPRIM_400000_NS6detail17trampoline_kernelINS0_14default_configENS1_27scan_by_key_config_selectorIifEEZZNS1_16scan_by_key_implILNS1_25lookback_scan_determinismE0ELb1ES3_N6thrust23THRUST_200600_302600_NS6detail15normal_iteratorINS9_10device_ptrIiEEEENSB_INSC_IjEEEENSB_INSC_IfEEEEfNS9_4plusIvEENS9_8equal_toIvEEfEE10hipError_tPvRmT2_T3_T4_T5_mT6_T7_P12ihipStream_tbENKUlT_T0_E_clISt17integral_constantIbLb1EES13_EEDaSY_SZ_EUlSY_E_NS1_11comp_targetILNS1_3genE3ELNS1_11target_archE908ELNS1_3gpuE7ELNS1_3repE0EEENS1_30default_config_static_selectorELNS0_4arch9wavefront6targetE0EEEvT1_
	.p2align	8
	.type	_ZN7rocprim17ROCPRIM_400000_NS6detail17trampoline_kernelINS0_14default_configENS1_27scan_by_key_config_selectorIifEEZZNS1_16scan_by_key_implILNS1_25lookback_scan_determinismE0ELb1ES3_N6thrust23THRUST_200600_302600_NS6detail15normal_iteratorINS9_10device_ptrIiEEEENSB_INSC_IjEEEENSB_INSC_IfEEEEfNS9_4plusIvEENS9_8equal_toIvEEfEE10hipError_tPvRmT2_T3_T4_T5_mT6_T7_P12ihipStream_tbENKUlT_T0_E_clISt17integral_constantIbLb1EES13_EEDaSY_SZ_EUlSY_E_NS1_11comp_targetILNS1_3genE3ELNS1_11target_archE908ELNS1_3gpuE7ELNS1_3repE0EEENS1_30default_config_static_selectorELNS0_4arch9wavefront6targetE0EEEvT1_,@function
_ZN7rocprim17ROCPRIM_400000_NS6detail17trampoline_kernelINS0_14default_configENS1_27scan_by_key_config_selectorIifEEZZNS1_16scan_by_key_implILNS1_25lookback_scan_determinismE0ELb1ES3_N6thrust23THRUST_200600_302600_NS6detail15normal_iteratorINS9_10device_ptrIiEEEENSB_INSC_IjEEEENSB_INSC_IfEEEEfNS9_4plusIvEENS9_8equal_toIvEEfEE10hipError_tPvRmT2_T3_T4_T5_mT6_T7_P12ihipStream_tbENKUlT_T0_E_clISt17integral_constantIbLb1EES13_EEDaSY_SZ_EUlSY_E_NS1_11comp_targetILNS1_3genE3ELNS1_11target_archE908ELNS1_3gpuE7ELNS1_3repE0EEENS1_30default_config_static_selectorELNS0_4arch9wavefront6targetE0EEEvT1_: ; @_ZN7rocprim17ROCPRIM_400000_NS6detail17trampoline_kernelINS0_14default_configENS1_27scan_by_key_config_selectorIifEEZZNS1_16scan_by_key_implILNS1_25lookback_scan_determinismE0ELb1ES3_N6thrust23THRUST_200600_302600_NS6detail15normal_iteratorINS9_10device_ptrIiEEEENSB_INSC_IjEEEENSB_INSC_IfEEEEfNS9_4plusIvEENS9_8equal_toIvEEfEE10hipError_tPvRmT2_T3_T4_T5_mT6_T7_P12ihipStream_tbENKUlT_T0_E_clISt17integral_constantIbLb1EES13_EEDaSY_SZ_EUlSY_E_NS1_11comp_targetILNS1_3genE3ELNS1_11target_archE908ELNS1_3gpuE7ELNS1_3repE0EEENS1_30default_config_static_selectorELNS0_4arch9wavefront6targetE0EEEvT1_
; %bb.0:
	.section	.rodata,"a",@progbits
	.p2align	6, 0x0
	.amdhsa_kernel _ZN7rocprim17ROCPRIM_400000_NS6detail17trampoline_kernelINS0_14default_configENS1_27scan_by_key_config_selectorIifEEZZNS1_16scan_by_key_implILNS1_25lookback_scan_determinismE0ELb1ES3_N6thrust23THRUST_200600_302600_NS6detail15normal_iteratorINS9_10device_ptrIiEEEENSB_INSC_IjEEEENSB_INSC_IfEEEEfNS9_4plusIvEENS9_8equal_toIvEEfEE10hipError_tPvRmT2_T3_T4_T5_mT6_T7_P12ihipStream_tbENKUlT_T0_E_clISt17integral_constantIbLb1EES13_EEDaSY_SZ_EUlSY_E_NS1_11comp_targetILNS1_3genE3ELNS1_11target_archE908ELNS1_3gpuE7ELNS1_3repE0EEENS1_30default_config_static_selectorELNS0_4arch9wavefront6targetE0EEEvT1_
		.amdhsa_group_segment_fixed_size 0
		.amdhsa_private_segment_fixed_size 0
		.amdhsa_kernarg_size 112
		.amdhsa_user_sgpr_count 6
		.amdhsa_user_sgpr_private_segment_buffer 1
		.amdhsa_user_sgpr_dispatch_ptr 0
		.amdhsa_user_sgpr_queue_ptr 0
		.amdhsa_user_sgpr_kernarg_segment_ptr 1
		.amdhsa_user_sgpr_dispatch_id 0
		.amdhsa_user_sgpr_flat_scratch_init 0
		.amdhsa_user_sgpr_private_segment_size 0
		.amdhsa_wavefront_size32 1
		.amdhsa_uses_dynamic_stack 0
		.amdhsa_system_sgpr_private_segment_wavefront_offset 0
		.amdhsa_system_sgpr_workgroup_id_x 1
		.amdhsa_system_sgpr_workgroup_id_y 0
		.amdhsa_system_sgpr_workgroup_id_z 0
		.amdhsa_system_sgpr_workgroup_info 0
		.amdhsa_system_vgpr_workitem_id 0
		.amdhsa_next_free_vgpr 1
		.amdhsa_next_free_sgpr 1
		.amdhsa_reserve_vcc 0
		.amdhsa_reserve_flat_scratch 0
		.amdhsa_float_round_mode_32 0
		.amdhsa_float_round_mode_16_64 0
		.amdhsa_float_denorm_mode_32 3
		.amdhsa_float_denorm_mode_16_64 3
		.amdhsa_dx10_clamp 1
		.amdhsa_ieee_mode 1
		.amdhsa_fp16_overflow 0
		.amdhsa_workgroup_processor_mode 1
		.amdhsa_memory_ordered 1
		.amdhsa_forward_progress 1
		.amdhsa_shared_vgpr_count 0
		.amdhsa_exception_fp_ieee_invalid_op 0
		.amdhsa_exception_fp_denorm_src 0
		.amdhsa_exception_fp_ieee_div_zero 0
		.amdhsa_exception_fp_ieee_overflow 0
		.amdhsa_exception_fp_ieee_underflow 0
		.amdhsa_exception_fp_ieee_inexact 0
		.amdhsa_exception_int_div_zero 0
	.end_amdhsa_kernel
	.section	.text._ZN7rocprim17ROCPRIM_400000_NS6detail17trampoline_kernelINS0_14default_configENS1_27scan_by_key_config_selectorIifEEZZNS1_16scan_by_key_implILNS1_25lookback_scan_determinismE0ELb1ES3_N6thrust23THRUST_200600_302600_NS6detail15normal_iteratorINS9_10device_ptrIiEEEENSB_INSC_IjEEEENSB_INSC_IfEEEEfNS9_4plusIvEENS9_8equal_toIvEEfEE10hipError_tPvRmT2_T3_T4_T5_mT6_T7_P12ihipStream_tbENKUlT_T0_E_clISt17integral_constantIbLb1EES13_EEDaSY_SZ_EUlSY_E_NS1_11comp_targetILNS1_3genE3ELNS1_11target_archE908ELNS1_3gpuE7ELNS1_3repE0EEENS1_30default_config_static_selectorELNS0_4arch9wavefront6targetE0EEEvT1_,"axG",@progbits,_ZN7rocprim17ROCPRIM_400000_NS6detail17trampoline_kernelINS0_14default_configENS1_27scan_by_key_config_selectorIifEEZZNS1_16scan_by_key_implILNS1_25lookback_scan_determinismE0ELb1ES3_N6thrust23THRUST_200600_302600_NS6detail15normal_iteratorINS9_10device_ptrIiEEEENSB_INSC_IjEEEENSB_INSC_IfEEEEfNS9_4plusIvEENS9_8equal_toIvEEfEE10hipError_tPvRmT2_T3_T4_T5_mT6_T7_P12ihipStream_tbENKUlT_T0_E_clISt17integral_constantIbLb1EES13_EEDaSY_SZ_EUlSY_E_NS1_11comp_targetILNS1_3genE3ELNS1_11target_archE908ELNS1_3gpuE7ELNS1_3repE0EEENS1_30default_config_static_selectorELNS0_4arch9wavefront6targetE0EEEvT1_,comdat
.Lfunc_end1693:
	.size	_ZN7rocprim17ROCPRIM_400000_NS6detail17trampoline_kernelINS0_14default_configENS1_27scan_by_key_config_selectorIifEEZZNS1_16scan_by_key_implILNS1_25lookback_scan_determinismE0ELb1ES3_N6thrust23THRUST_200600_302600_NS6detail15normal_iteratorINS9_10device_ptrIiEEEENSB_INSC_IjEEEENSB_INSC_IfEEEEfNS9_4plusIvEENS9_8equal_toIvEEfEE10hipError_tPvRmT2_T3_T4_T5_mT6_T7_P12ihipStream_tbENKUlT_T0_E_clISt17integral_constantIbLb1EES13_EEDaSY_SZ_EUlSY_E_NS1_11comp_targetILNS1_3genE3ELNS1_11target_archE908ELNS1_3gpuE7ELNS1_3repE0EEENS1_30default_config_static_selectorELNS0_4arch9wavefront6targetE0EEEvT1_, .Lfunc_end1693-_ZN7rocprim17ROCPRIM_400000_NS6detail17trampoline_kernelINS0_14default_configENS1_27scan_by_key_config_selectorIifEEZZNS1_16scan_by_key_implILNS1_25lookback_scan_determinismE0ELb1ES3_N6thrust23THRUST_200600_302600_NS6detail15normal_iteratorINS9_10device_ptrIiEEEENSB_INSC_IjEEEENSB_INSC_IfEEEEfNS9_4plusIvEENS9_8equal_toIvEEfEE10hipError_tPvRmT2_T3_T4_T5_mT6_T7_P12ihipStream_tbENKUlT_T0_E_clISt17integral_constantIbLb1EES13_EEDaSY_SZ_EUlSY_E_NS1_11comp_targetILNS1_3genE3ELNS1_11target_archE908ELNS1_3gpuE7ELNS1_3repE0EEENS1_30default_config_static_selectorELNS0_4arch9wavefront6targetE0EEEvT1_
                                        ; -- End function
	.set _ZN7rocprim17ROCPRIM_400000_NS6detail17trampoline_kernelINS0_14default_configENS1_27scan_by_key_config_selectorIifEEZZNS1_16scan_by_key_implILNS1_25lookback_scan_determinismE0ELb1ES3_N6thrust23THRUST_200600_302600_NS6detail15normal_iteratorINS9_10device_ptrIiEEEENSB_INSC_IjEEEENSB_INSC_IfEEEEfNS9_4plusIvEENS9_8equal_toIvEEfEE10hipError_tPvRmT2_T3_T4_T5_mT6_T7_P12ihipStream_tbENKUlT_T0_E_clISt17integral_constantIbLb1EES13_EEDaSY_SZ_EUlSY_E_NS1_11comp_targetILNS1_3genE3ELNS1_11target_archE908ELNS1_3gpuE7ELNS1_3repE0EEENS1_30default_config_static_selectorELNS0_4arch9wavefront6targetE0EEEvT1_.num_vgpr, 0
	.set _ZN7rocprim17ROCPRIM_400000_NS6detail17trampoline_kernelINS0_14default_configENS1_27scan_by_key_config_selectorIifEEZZNS1_16scan_by_key_implILNS1_25lookback_scan_determinismE0ELb1ES3_N6thrust23THRUST_200600_302600_NS6detail15normal_iteratorINS9_10device_ptrIiEEEENSB_INSC_IjEEEENSB_INSC_IfEEEEfNS9_4plusIvEENS9_8equal_toIvEEfEE10hipError_tPvRmT2_T3_T4_T5_mT6_T7_P12ihipStream_tbENKUlT_T0_E_clISt17integral_constantIbLb1EES13_EEDaSY_SZ_EUlSY_E_NS1_11comp_targetILNS1_3genE3ELNS1_11target_archE908ELNS1_3gpuE7ELNS1_3repE0EEENS1_30default_config_static_selectorELNS0_4arch9wavefront6targetE0EEEvT1_.num_agpr, 0
	.set _ZN7rocprim17ROCPRIM_400000_NS6detail17trampoline_kernelINS0_14default_configENS1_27scan_by_key_config_selectorIifEEZZNS1_16scan_by_key_implILNS1_25lookback_scan_determinismE0ELb1ES3_N6thrust23THRUST_200600_302600_NS6detail15normal_iteratorINS9_10device_ptrIiEEEENSB_INSC_IjEEEENSB_INSC_IfEEEEfNS9_4plusIvEENS9_8equal_toIvEEfEE10hipError_tPvRmT2_T3_T4_T5_mT6_T7_P12ihipStream_tbENKUlT_T0_E_clISt17integral_constantIbLb1EES13_EEDaSY_SZ_EUlSY_E_NS1_11comp_targetILNS1_3genE3ELNS1_11target_archE908ELNS1_3gpuE7ELNS1_3repE0EEENS1_30default_config_static_selectorELNS0_4arch9wavefront6targetE0EEEvT1_.numbered_sgpr, 0
	.set _ZN7rocprim17ROCPRIM_400000_NS6detail17trampoline_kernelINS0_14default_configENS1_27scan_by_key_config_selectorIifEEZZNS1_16scan_by_key_implILNS1_25lookback_scan_determinismE0ELb1ES3_N6thrust23THRUST_200600_302600_NS6detail15normal_iteratorINS9_10device_ptrIiEEEENSB_INSC_IjEEEENSB_INSC_IfEEEEfNS9_4plusIvEENS9_8equal_toIvEEfEE10hipError_tPvRmT2_T3_T4_T5_mT6_T7_P12ihipStream_tbENKUlT_T0_E_clISt17integral_constantIbLb1EES13_EEDaSY_SZ_EUlSY_E_NS1_11comp_targetILNS1_3genE3ELNS1_11target_archE908ELNS1_3gpuE7ELNS1_3repE0EEENS1_30default_config_static_selectorELNS0_4arch9wavefront6targetE0EEEvT1_.num_named_barrier, 0
	.set _ZN7rocprim17ROCPRIM_400000_NS6detail17trampoline_kernelINS0_14default_configENS1_27scan_by_key_config_selectorIifEEZZNS1_16scan_by_key_implILNS1_25lookback_scan_determinismE0ELb1ES3_N6thrust23THRUST_200600_302600_NS6detail15normal_iteratorINS9_10device_ptrIiEEEENSB_INSC_IjEEEENSB_INSC_IfEEEEfNS9_4plusIvEENS9_8equal_toIvEEfEE10hipError_tPvRmT2_T3_T4_T5_mT6_T7_P12ihipStream_tbENKUlT_T0_E_clISt17integral_constantIbLb1EES13_EEDaSY_SZ_EUlSY_E_NS1_11comp_targetILNS1_3genE3ELNS1_11target_archE908ELNS1_3gpuE7ELNS1_3repE0EEENS1_30default_config_static_selectorELNS0_4arch9wavefront6targetE0EEEvT1_.private_seg_size, 0
	.set _ZN7rocprim17ROCPRIM_400000_NS6detail17trampoline_kernelINS0_14default_configENS1_27scan_by_key_config_selectorIifEEZZNS1_16scan_by_key_implILNS1_25lookback_scan_determinismE0ELb1ES3_N6thrust23THRUST_200600_302600_NS6detail15normal_iteratorINS9_10device_ptrIiEEEENSB_INSC_IjEEEENSB_INSC_IfEEEEfNS9_4plusIvEENS9_8equal_toIvEEfEE10hipError_tPvRmT2_T3_T4_T5_mT6_T7_P12ihipStream_tbENKUlT_T0_E_clISt17integral_constantIbLb1EES13_EEDaSY_SZ_EUlSY_E_NS1_11comp_targetILNS1_3genE3ELNS1_11target_archE908ELNS1_3gpuE7ELNS1_3repE0EEENS1_30default_config_static_selectorELNS0_4arch9wavefront6targetE0EEEvT1_.uses_vcc, 0
	.set _ZN7rocprim17ROCPRIM_400000_NS6detail17trampoline_kernelINS0_14default_configENS1_27scan_by_key_config_selectorIifEEZZNS1_16scan_by_key_implILNS1_25lookback_scan_determinismE0ELb1ES3_N6thrust23THRUST_200600_302600_NS6detail15normal_iteratorINS9_10device_ptrIiEEEENSB_INSC_IjEEEENSB_INSC_IfEEEEfNS9_4plusIvEENS9_8equal_toIvEEfEE10hipError_tPvRmT2_T3_T4_T5_mT6_T7_P12ihipStream_tbENKUlT_T0_E_clISt17integral_constantIbLb1EES13_EEDaSY_SZ_EUlSY_E_NS1_11comp_targetILNS1_3genE3ELNS1_11target_archE908ELNS1_3gpuE7ELNS1_3repE0EEENS1_30default_config_static_selectorELNS0_4arch9wavefront6targetE0EEEvT1_.uses_flat_scratch, 0
	.set _ZN7rocprim17ROCPRIM_400000_NS6detail17trampoline_kernelINS0_14default_configENS1_27scan_by_key_config_selectorIifEEZZNS1_16scan_by_key_implILNS1_25lookback_scan_determinismE0ELb1ES3_N6thrust23THRUST_200600_302600_NS6detail15normal_iteratorINS9_10device_ptrIiEEEENSB_INSC_IjEEEENSB_INSC_IfEEEEfNS9_4plusIvEENS9_8equal_toIvEEfEE10hipError_tPvRmT2_T3_T4_T5_mT6_T7_P12ihipStream_tbENKUlT_T0_E_clISt17integral_constantIbLb1EES13_EEDaSY_SZ_EUlSY_E_NS1_11comp_targetILNS1_3genE3ELNS1_11target_archE908ELNS1_3gpuE7ELNS1_3repE0EEENS1_30default_config_static_selectorELNS0_4arch9wavefront6targetE0EEEvT1_.has_dyn_sized_stack, 0
	.set _ZN7rocprim17ROCPRIM_400000_NS6detail17trampoline_kernelINS0_14default_configENS1_27scan_by_key_config_selectorIifEEZZNS1_16scan_by_key_implILNS1_25lookback_scan_determinismE0ELb1ES3_N6thrust23THRUST_200600_302600_NS6detail15normal_iteratorINS9_10device_ptrIiEEEENSB_INSC_IjEEEENSB_INSC_IfEEEEfNS9_4plusIvEENS9_8equal_toIvEEfEE10hipError_tPvRmT2_T3_T4_T5_mT6_T7_P12ihipStream_tbENKUlT_T0_E_clISt17integral_constantIbLb1EES13_EEDaSY_SZ_EUlSY_E_NS1_11comp_targetILNS1_3genE3ELNS1_11target_archE908ELNS1_3gpuE7ELNS1_3repE0EEENS1_30default_config_static_selectorELNS0_4arch9wavefront6targetE0EEEvT1_.has_recursion, 0
	.set _ZN7rocprim17ROCPRIM_400000_NS6detail17trampoline_kernelINS0_14default_configENS1_27scan_by_key_config_selectorIifEEZZNS1_16scan_by_key_implILNS1_25lookback_scan_determinismE0ELb1ES3_N6thrust23THRUST_200600_302600_NS6detail15normal_iteratorINS9_10device_ptrIiEEEENSB_INSC_IjEEEENSB_INSC_IfEEEEfNS9_4plusIvEENS9_8equal_toIvEEfEE10hipError_tPvRmT2_T3_T4_T5_mT6_T7_P12ihipStream_tbENKUlT_T0_E_clISt17integral_constantIbLb1EES13_EEDaSY_SZ_EUlSY_E_NS1_11comp_targetILNS1_3genE3ELNS1_11target_archE908ELNS1_3gpuE7ELNS1_3repE0EEENS1_30default_config_static_selectorELNS0_4arch9wavefront6targetE0EEEvT1_.has_indirect_call, 0
	.section	.AMDGPU.csdata,"",@progbits
; Kernel info:
; codeLenInByte = 0
; TotalNumSgprs: 0
; NumVgprs: 0
; ScratchSize: 0
; MemoryBound: 0
; FloatMode: 240
; IeeeMode: 1
; LDSByteSize: 0 bytes/workgroup (compile time only)
; SGPRBlocks: 0
; VGPRBlocks: 0
; NumSGPRsForWavesPerEU: 1
; NumVGPRsForWavesPerEU: 1
; Occupancy: 16
; WaveLimiterHint : 0
; COMPUTE_PGM_RSRC2:SCRATCH_EN: 0
; COMPUTE_PGM_RSRC2:USER_SGPR: 6
; COMPUTE_PGM_RSRC2:TRAP_HANDLER: 0
; COMPUTE_PGM_RSRC2:TGID_X_EN: 1
; COMPUTE_PGM_RSRC2:TGID_Y_EN: 0
; COMPUTE_PGM_RSRC2:TGID_Z_EN: 0
; COMPUTE_PGM_RSRC2:TIDIG_COMP_CNT: 0
	.section	.text._ZN7rocprim17ROCPRIM_400000_NS6detail17trampoline_kernelINS0_14default_configENS1_27scan_by_key_config_selectorIifEEZZNS1_16scan_by_key_implILNS1_25lookback_scan_determinismE0ELb1ES3_N6thrust23THRUST_200600_302600_NS6detail15normal_iteratorINS9_10device_ptrIiEEEENSB_INSC_IjEEEENSB_INSC_IfEEEEfNS9_4plusIvEENS9_8equal_toIvEEfEE10hipError_tPvRmT2_T3_T4_T5_mT6_T7_P12ihipStream_tbENKUlT_T0_E_clISt17integral_constantIbLb1EES13_EEDaSY_SZ_EUlSY_E_NS1_11comp_targetILNS1_3genE2ELNS1_11target_archE906ELNS1_3gpuE6ELNS1_3repE0EEENS1_30default_config_static_selectorELNS0_4arch9wavefront6targetE0EEEvT1_,"axG",@progbits,_ZN7rocprim17ROCPRIM_400000_NS6detail17trampoline_kernelINS0_14default_configENS1_27scan_by_key_config_selectorIifEEZZNS1_16scan_by_key_implILNS1_25lookback_scan_determinismE0ELb1ES3_N6thrust23THRUST_200600_302600_NS6detail15normal_iteratorINS9_10device_ptrIiEEEENSB_INSC_IjEEEENSB_INSC_IfEEEEfNS9_4plusIvEENS9_8equal_toIvEEfEE10hipError_tPvRmT2_T3_T4_T5_mT6_T7_P12ihipStream_tbENKUlT_T0_E_clISt17integral_constantIbLb1EES13_EEDaSY_SZ_EUlSY_E_NS1_11comp_targetILNS1_3genE2ELNS1_11target_archE906ELNS1_3gpuE6ELNS1_3repE0EEENS1_30default_config_static_selectorELNS0_4arch9wavefront6targetE0EEEvT1_,comdat
	.protected	_ZN7rocprim17ROCPRIM_400000_NS6detail17trampoline_kernelINS0_14default_configENS1_27scan_by_key_config_selectorIifEEZZNS1_16scan_by_key_implILNS1_25lookback_scan_determinismE0ELb1ES3_N6thrust23THRUST_200600_302600_NS6detail15normal_iteratorINS9_10device_ptrIiEEEENSB_INSC_IjEEEENSB_INSC_IfEEEEfNS9_4plusIvEENS9_8equal_toIvEEfEE10hipError_tPvRmT2_T3_T4_T5_mT6_T7_P12ihipStream_tbENKUlT_T0_E_clISt17integral_constantIbLb1EES13_EEDaSY_SZ_EUlSY_E_NS1_11comp_targetILNS1_3genE2ELNS1_11target_archE906ELNS1_3gpuE6ELNS1_3repE0EEENS1_30default_config_static_selectorELNS0_4arch9wavefront6targetE0EEEvT1_ ; -- Begin function _ZN7rocprim17ROCPRIM_400000_NS6detail17trampoline_kernelINS0_14default_configENS1_27scan_by_key_config_selectorIifEEZZNS1_16scan_by_key_implILNS1_25lookback_scan_determinismE0ELb1ES3_N6thrust23THRUST_200600_302600_NS6detail15normal_iteratorINS9_10device_ptrIiEEEENSB_INSC_IjEEEENSB_INSC_IfEEEEfNS9_4plusIvEENS9_8equal_toIvEEfEE10hipError_tPvRmT2_T3_T4_T5_mT6_T7_P12ihipStream_tbENKUlT_T0_E_clISt17integral_constantIbLb1EES13_EEDaSY_SZ_EUlSY_E_NS1_11comp_targetILNS1_3genE2ELNS1_11target_archE906ELNS1_3gpuE6ELNS1_3repE0EEENS1_30default_config_static_selectorELNS0_4arch9wavefront6targetE0EEEvT1_
	.globl	_ZN7rocprim17ROCPRIM_400000_NS6detail17trampoline_kernelINS0_14default_configENS1_27scan_by_key_config_selectorIifEEZZNS1_16scan_by_key_implILNS1_25lookback_scan_determinismE0ELb1ES3_N6thrust23THRUST_200600_302600_NS6detail15normal_iteratorINS9_10device_ptrIiEEEENSB_INSC_IjEEEENSB_INSC_IfEEEEfNS9_4plusIvEENS9_8equal_toIvEEfEE10hipError_tPvRmT2_T3_T4_T5_mT6_T7_P12ihipStream_tbENKUlT_T0_E_clISt17integral_constantIbLb1EES13_EEDaSY_SZ_EUlSY_E_NS1_11comp_targetILNS1_3genE2ELNS1_11target_archE906ELNS1_3gpuE6ELNS1_3repE0EEENS1_30default_config_static_selectorELNS0_4arch9wavefront6targetE0EEEvT1_
	.p2align	8
	.type	_ZN7rocprim17ROCPRIM_400000_NS6detail17trampoline_kernelINS0_14default_configENS1_27scan_by_key_config_selectorIifEEZZNS1_16scan_by_key_implILNS1_25lookback_scan_determinismE0ELb1ES3_N6thrust23THRUST_200600_302600_NS6detail15normal_iteratorINS9_10device_ptrIiEEEENSB_INSC_IjEEEENSB_INSC_IfEEEEfNS9_4plusIvEENS9_8equal_toIvEEfEE10hipError_tPvRmT2_T3_T4_T5_mT6_T7_P12ihipStream_tbENKUlT_T0_E_clISt17integral_constantIbLb1EES13_EEDaSY_SZ_EUlSY_E_NS1_11comp_targetILNS1_3genE2ELNS1_11target_archE906ELNS1_3gpuE6ELNS1_3repE0EEENS1_30default_config_static_selectorELNS0_4arch9wavefront6targetE0EEEvT1_,@function
_ZN7rocprim17ROCPRIM_400000_NS6detail17trampoline_kernelINS0_14default_configENS1_27scan_by_key_config_selectorIifEEZZNS1_16scan_by_key_implILNS1_25lookback_scan_determinismE0ELb1ES3_N6thrust23THRUST_200600_302600_NS6detail15normal_iteratorINS9_10device_ptrIiEEEENSB_INSC_IjEEEENSB_INSC_IfEEEEfNS9_4plusIvEENS9_8equal_toIvEEfEE10hipError_tPvRmT2_T3_T4_T5_mT6_T7_P12ihipStream_tbENKUlT_T0_E_clISt17integral_constantIbLb1EES13_EEDaSY_SZ_EUlSY_E_NS1_11comp_targetILNS1_3genE2ELNS1_11target_archE906ELNS1_3gpuE6ELNS1_3repE0EEENS1_30default_config_static_selectorELNS0_4arch9wavefront6targetE0EEEvT1_: ; @_ZN7rocprim17ROCPRIM_400000_NS6detail17trampoline_kernelINS0_14default_configENS1_27scan_by_key_config_selectorIifEEZZNS1_16scan_by_key_implILNS1_25lookback_scan_determinismE0ELb1ES3_N6thrust23THRUST_200600_302600_NS6detail15normal_iteratorINS9_10device_ptrIiEEEENSB_INSC_IjEEEENSB_INSC_IfEEEEfNS9_4plusIvEENS9_8equal_toIvEEfEE10hipError_tPvRmT2_T3_T4_T5_mT6_T7_P12ihipStream_tbENKUlT_T0_E_clISt17integral_constantIbLb1EES13_EEDaSY_SZ_EUlSY_E_NS1_11comp_targetILNS1_3genE2ELNS1_11target_archE906ELNS1_3gpuE6ELNS1_3repE0EEENS1_30default_config_static_selectorELNS0_4arch9wavefront6targetE0EEEvT1_
; %bb.0:
	.section	.rodata,"a",@progbits
	.p2align	6, 0x0
	.amdhsa_kernel _ZN7rocprim17ROCPRIM_400000_NS6detail17trampoline_kernelINS0_14default_configENS1_27scan_by_key_config_selectorIifEEZZNS1_16scan_by_key_implILNS1_25lookback_scan_determinismE0ELb1ES3_N6thrust23THRUST_200600_302600_NS6detail15normal_iteratorINS9_10device_ptrIiEEEENSB_INSC_IjEEEENSB_INSC_IfEEEEfNS9_4plusIvEENS9_8equal_toIvEEfEE10hipError_tPvRmT2_T3_T4_T5_mT6_T7_P12ihipStream_tbENKUlT_T0_E_clISt17integral_constantIbLb1EES13_EEDaSY_SZ_EUlSY_E_NS1_11comp_targetILNS1_3genE2ELNS1_11target_archE906ELNS1_3gpuE6ELNS1_3repE0EEENS1_30default_config_static_selectorELNS0_4arch9wavefront6targetE0EEEvT1_
		.amdhsa_group_segment_fixed_size 0
		.amdhsa_private_segment_fixed_size 0
		.amdhsa_kernarg_size 112
		.amdhsa_user_sgpr_count 6
		.amdhsa_user_sgpr_private_segment_buffer 1
		.amdhsa_user_sgpr_dispatch_ptr 0
		.amdhsa_user_sgpr_queue_ptr 0
		.amdhsa_user_sgpr_kernarg_segment_ptr 1
		.amdhsa_user_sgpr_dispatch_id 0
		.amdhsa_user_sgpr_flat_scratch_init 0
		.amdhsa_user_sgpr_private_segment_size 0
		.amdhsa_wavefront_size32 1
		.amdhsa_uses_dynamic_stack 0
		.amdhsa_system_sgpr_private_segment_wavefront_offset 0
		.amdhsa_system_sgpr_workgroup_id_x 1
		.amdhsa_system_sgpr_workgroup_id_y 0
		.amdhsa_system_sgpr_workgroup_id_z 0
		.amdhsa_system_sgpr_workgroup_info 0
		.amdhsa_system_vgpr_workitem_id 0
		.amdhsa_next_free_vgpr 1
		.amdhsa_next_free_sgpr 1
		.amdhsa_reserve_vcc 0
		.amdhsa_reserve_flat_scratch 0
		.amdhsa_float_round_mode_32 0
		.amdhsa_float_round_mode_16_64 0
		.amdhsa_float_denorm_mode_32 3
		.amdhsa_float_denorm_mode_16_64 3
		.amdhsa_dx10_clamp 1
		.amdhsa_ieee_mode 1
		.amdhsa_fp16_overflow 0
		.amdhsa_workgroup_processor_mode 1
		.amdhsa_memory_ordered 1
		.amdhsa_forward_progress 1
		.amdhsa_shared_vgpr_count 0
		.amdhsa_exception_fp_ieee_invalid_op 0
		.amdhsa_exception_fp_denorm_src 0
		.amdhsa_exception_fp_ieee_div_zero 0
		.amdhsa_exception_fp_ieee_overflow 0
		.amdhsa_exception_fp_ieee_underflow 0
		.amdhsa_exception_fp_ieee_inexact 0
		.amdhsa_exception_int_div_zero 0
	.end_amdhsa_kernel
	.section	.text._ZN7rocprim17ROCPRIM_400000_NS6detail17trampoline_kernelINS0_14default_configENS1_27scan_by_key_config_selectorIifEEZZNS1_16scan_by_key_implILNS1_25lookback_scan_determinismE0ELb1ES3_N6thrust23THRUST_200600_302600_NS6detail15normal_iteratorINS9_10device_ptrIiEEEENSB_INSC_IjEEEENSB_INSC_IfEEEEfNS9_4plusIvEENS9_8equal_toIvEEfEE10hipError_tPvRmT2_T3_T4_T5_mT6_T7_P12ihipStream_tbENKUlT_T0_E_clISt17integral_constantIbLb1EES13_EEDaSY_SZ_EUlSY_E_NS1_11comp_targetILNS1_3genE2ELNS1_11target_archE906ELNS1_3gpuE6ELNS1_3repE0EEENS1_30default_config_static_selectorELNS0_4arch9wavefront6targetE0EEEvT1_,"axG",@progbits,_ZN7rocprim17ROCPRIM_400000_NS6detail17trampoline_kernelINS0_14default_configENS1_27scan_by_key_config_selectorIifEEZZNS1_16scan_by_key_implILNS1_25lookback_scan_determinismE0ELb1ES3_N6thrust23THRUST_200600_302600_NS6detail15normal_iteratorINS9_10device_ptrIiEEEENSB_INSC_IjEEEENSB_INSC_IfEEEEfNS9_4plusIvEENS9_8equal_toIvEEfEE10hipError_tPvRmT2_T3_T4_T5_mT6_T7_P12ihipStream_tbENKUlT_T0_E_clISt17integral_constantIbLb1EES13_EEDaSY_SZ_EUlSY_E_NS1_11comp_targetILNS1_3genE2ELNS1_11target_archE906ELNS1_3gpuE6ELNS1_3repE0EEENS1_30default_config_static_selectorELNS0_4arch9wavefront6targetE0EEEvT1_,comdat
.Lfunc_end1694:
	.size	_ZN7rocprim17ROCPRIM_400000_NS6detail17trampoline_kernelINS0_14default_configENS1_27scan_by_key_config_selectorIifEEZZNS1_16scan_by_key_implILNS1_25lookback_scan_determinismE0ELb1ES3_N6thrust23THRUST_200600_302600_NS6detail15normal_iteratorINS9_10device_ptrIiEEEENSB_INSC_IjEEEENSB_INSC_IfEEEEfNS9_4plusIvEENS9_8equal_toIvEEfEE10hipError_tPvRmT2_T3_T4_T5_mT6_T7_P12ihipStream_tbENKUlT_T0_E_clISt17integral_constantIbLb1EES13_EEDaSY_SZ_EUlSY_E_NS1_11comp_targetILNS1_3genE2ELNS1_11target_archE906ELNS1_3gpuE6ELNS1_3repE0EEENS1_30default_config_static_selectorELNS0_4arch9wavefront6targetE0EEEvT1_, .Lfunc_end1694-_ZN7rocprim17ROCPRIM_400000_NS6detail17trampoline_kernelINS0_14default_configENS1_27scan_by_key_config_selectorIifEEZZNS1_16scan_by_key_implILNS1_25lookback_scan_determinismE0ELb1ES3_N6thrust23THRUST_200600_302600_NS6detail15normal_iteratorINS9_10device_ptrIiEEEENSB_INSC_IjEEEENSB_INSC_IfEEEEfNS9_4plusIvEENS9_8equal_toIvEEfEE10hipError_tPvRmT2_T3_T4_T5_mT6_T7_P12ihipStream_tbENKUlT_T0_E_clISt17integral_constantIbLb1EES13_EEDaSY_SZ_EUlSY_E_NS1_11comp_targetILNS1_3genE2ELNS1_11target_archE906ELNS1_3gpuE6ELNS1_3repE0EEENS1_30default_config_static_selectorELNS0_4arch9wavefront6targetE0EEEvT1_
                                        ; -- End function
	.set _ZN7rocprim17ROCPRIM_400000_NS6detail17trampoline_kernelINS0_14default_configENS1_27scan_by_key_config_selectorIifEEZZNS1_16scan_by_key_implILNS1_25lookback_scan_determinismE0ELb1ES3_N6thrust23THRUST_200600_302600_NS6detail15normal_iteratorINS9_10device_ptrIiEEEENSB_INSC_IjEEEENSB_INSC_IfEEEEfNS9_4plusIvEENS9_8equal_toIvEEfEE10hipError_tPvRmT2_T3_T4_T5_mT6_T7_P12ihipStream_tbENKUlT_T0_E_clISt17integral_constantIbLb1EES13_EEDaSY_SZ_EUlSY_E_NS1_11comp_targetILNS1_3genE2ELNS1_11target_archE906ELNS1_3gpuE6ELNS1_3repE0EEENS1_30default_config_static_selectorELNS0_4arch9wavefront6targetE0EEEvT1_.num_vgpr, 0
	.set _ZN7rocprim17ROCPRIM_400000_NS6detail17trampoline_kernelINS0_14default_configENS1_27scan_by_key_config_selectorIifEEZZNS1_16scan_by_key_implILNS1_25lookback_scan_determinismE0ELb1ES3_N6thrust23THRUST_200600_302600_NS6detail15normal_iteratorINS9_10device_ptrIiEEEENSB_INSC_IjEEEENSB_INSC_IfEEEEfNS9_4plusIvEENS9_8equal_toIvEEfEE10hipError_tPvRmT2_T3_T4_T5_mT6_T7_P12ihipStream_tbENKUlT_T0_E_clISt17integral_constantIbLb1EES13_EEDaSY_SZ_EUlSY_E_NS1_11comp_targetILNS1_3genE2ELNS1_11target_archE906ELNS1_3gpuE6ELNS1_3repE0EEENS1_30default_config_static_selectorELNS0_4arch9wavefront6targetE0EEEvT1_.num_agpr, 0
	.set _ZN7rocprim17ROCPRIM_400000_NS6detail17trampoline_kernelINS0_14default_configENS1_27scan_by_key_config_selectorIifEEZZNS1_16scan_by_key_implILNS1_25lookback_scan_determinismE0ELb1ES3_N6thrust23THRUST_200600_302600_NS6detail15normal_iteratorINS9_10device_ptrIiEEEENSB_INSC_IjEEEENSB_INSC_IfEEEEfNS9_4plusIvEENS9_8equal_toIvEEfEE10hipError_tPvRmT2_T3_T4_T5_mT6_T7_P12ihipStream_tbENKUlT_T0_E_clISt17integral_constantIbLb1EES13_EEDaSY_SZ_EUlSY_E_NS1_11comp_targetILNS1_3genE2ELNS1_11target_archE906ELNS1_3gpuE6ELNS1_3repE0EEENS1_30default_config_static_selectorELNS0_4arch9wavefront6targetE0EEEvT1_.numbered_sgpr, 0
	.set _ZN7rocprim17ROCPRIM_400000_NS6detail17trampoline_kernelINS0_14default_configENS1_27scan_by_key_config_selectorIifEEZZNS1_16scan_by_key_implILNS1_25lookback_scan_determinismE0ELb1ES3_N6thrust23THRUST_200600_302600_NS6detail15normal_iteratorINS9_10device_ptrIiEEEENSB_INSC_IjEEEENSB_INSC_IfEEEEfNS9_4plusIvEENS9_8equal_toIvEEfEE10hipError_tPvRmT2_T3_T4_T5_mT6_T7_P12ihipStream_tbENKUlT_T0_E_clISt17integral_constantIbLb1EES13_EEDaSY_SZ_EUlSY_E_NS1_11comp_targetILNS1_3genE2ELNS1_11target_archE906ELNS1_3gpuE6ELNS1_3repE0EEENS1_30default_config_static_selectorELNS0_4arch9wavefront6targetE0EEEvT1_.num_named_barrier, 0
	.set _ZN7rocprim17ROCPRIM_400000_NS6detail17trampoline_kernelINS0_14default_configENS1_27scan_by_key_config_selectorIifEEZZNS1_16scan_by_key_implILNS1_25lookback_scan_determinismE0ELb1ES3_N6thrust23THRUST_200600_302600_NS6detail15normal_iteratorINS9_10device_ptrIiEEEENSB_INSC_IjEEEENSB_INSC_IfEEEEfNS9_4plusIvEENS9_8equal_toIvEEfEE10hipError_tPvRmT2_T3_T4_T5_mT6_T7_P12ihipStream_tbENKUlT_T0_E_clISt17integral_constantIbLb1EES13_EEDaSY_SZ_EUlSY_E_NS1_11comp_targetILNS1_3genE2ELNS1_11target_archE906ELNS1_3gpuE6ELNS1_3repE0EEENS1_30default_config_static_selectorELNS0_4arch9wavefront6targetE0EEEvT1_.private_seg_size, 0
	.set _ZN7rocprim17ROCPRIM_400000_NS6detail17trampoline_kernelINS0_14default_configENS1_27scan_by_key_config_selectorIifEEZZNS1_16scan_by_key_implILNS1_25lookback_scan_determinismE0ELb1ES3_N6thrust23THRUST_200600_302600_NS6detail15normal_iteratorINS9_10device_ptrIiEEEENSB_INSC_IjEEEENSB_INSC_IfEEEEfNS9_4plusIvEENS9_8equal_toIvEEfEE10hipError_tPvRmT2_T3_T4_T5_mT6_T7_P12ihipStream_tbENKUlT_T0_E_clISt17integral_constantIbLb1EES13_EEDaSY_SZ_EUlSY_E_NS1_11comp_targetILNS1_3genE2ELNS1_11target_archE906ELNS1_3gpuE6ELNS1_3repE0EEENS1_30default_config_static_selectorELNS0_4arch9wavefront6targetE0EEEvT1_.uses_vcc, 0
	.set _ZN7rocprim17ROCPRIM_400000_NS6detail17trampoline_kernelINS0_14default_configENS1_27scan_by_key_config_selectorIifEEZZNS1_16scan_by_key_implILNS1_25lookback_scan_determinismE0ELb1ES3_N6thrust23THRUST_200600_302600_NS6detail15normal_iteratorINS9_10device_ptrIiEEEENSB_INSC_IjEEEENSB_INSC_IfEEEEfNS9_4plusIvEENS9_8equal_toIvEEfEE10hipError_tPvRmT2_T3_T4_T5_mT6_T7_P12ihipStream_tbENKUlT_T0_E_clISt17integral_constantIbLb1EES13_EEDaSY_SZ_EUlSY_E_NS1_11comp_targetILNS1_3genE2ELNS1_11target_archE906ELNS1_3gpuE6ELNS1_3repE0EEENS1_30default_config_static_selectorELNS0_4arch9wavefront6targetE0EEEvT1_.uses_flat_scratch, 0
	.set _ZN7rocprim17ROCPRIM_400000_NS6detail17trampoline_kernelINS0_14default_configENS1_27scan_by_key_config_selectorIifEEZZNS1_16scan_by_key_implILNS1_25lookback_scan_determinismE0ELb1ES3_N6thrust23THRUST_200600_302600_NS6detail15normal_iteratorINS9_10device_ptrIiEEEENSB_INSC_IjEEEENSB_INSC_IfEEEEfNS9_4plusIvEENS9_8equal_toIvEEfEE10hipError_tPvRmT2_T3_T4_T5_mT6_T7_P12ihipStream_tbENKUlT_T0_E_clISt17integral_constantIbLb1EES13_EEDaSY_SZ_EUlSY_E_NS1_11comp_targetILNS1_3genE2ELNS1_11target_archE906ELNS1_3gpuE6ELNS1_3repE0EEENS1_30default_config_static_selectorELNS0_4arch9wavefront6targetE0EEEvT1_.has_dyn_sized_stack, 0
	.set _ZN7rocprim17ROCPRIM_400000_NS6detail17trampoline_kernelINS0_14default_configENS1_27scan_by_key_config_selectorIifEEZZNS1_16scan_by_key_implILNS1_25lookback_scan_determinismE0ELb1ES3_N6thrust23THRUST_200600_302600_NS6detail15normal_iteratorINS9_10device_ptrIiEEEENSB_INSC_IjEEEENSB_INSC_IfEEEEfNS9_4plusIvEENS9_8equal_toIvEEfEE10hipError_tPvRmT2_T3_T4_T5_mT6_T7_P12ihipStream_tbENKUlT_T0_E_clISt17integral_constantIbLb1EES13_EEDaSY_SZ_EUlSY_E_NS1_11comp_targetILNS1_3genE2ELNS1_11target_archE906ELNS1_3gpuE6ELNS1_3repE0EEENS1_30default_config_static_selectorELNS0_4arch9wavefront6targetE0EEEvT1_.has_recursion, 0
	.set _ZN7rocprim17ROCPRIM_400000_NS6detail17trampoline_kernelINS0_14default_configENS1_27scan_by_key_config_selectorIifEEZZNS1_16scan_by_key_implILNS1_25lookback_scan_determinismE0ELb1ES3_N6thrust23THRUST_200600_302600_NS6detail15normal_iteratorINS9_10device_ptrIiEEEENSB_INSC_IjEEEENSB_INSC_IfEEEEfNS9_4plusIvEENS9_8equal_toIvEEfEE10hipError_tPvRmT2_T3_T4_T5_mT6_T7_P12ihipStream_tbENKUlT_T0_E_clISt17integral_constantIbLb1EES13_EEDaSY_SZ_EUlSY_E_NS1_11comp_targetILNS1_3genE2ELNS1_11target_archE906ELNS1_3gpuE6ELNS1_3repE0EEENS1_30default_config_static_selectorELNS0_4arch9wavefront6targetE0EEEvT1_.has_indirect_call, 0
	.section	.AMDGPU.csdata,"",@progbits
; Kernel info:
; codeLenInByte = 0
; TotalNumSgprs: 0
; NumVgprs: 0
; ScratchSize: 0
; MemoryBound: 0
; FloatMode: 240
; IeeeMode: 1
; LDSByteSize: 0 bytes/workgroup (compile time only)
; SGPRBlocks: 0
; VGPRBlocks: 0
; NumSGPRsForWavesPerEU: 1
; NumVGPRsForWavesPerEU: 1
; Occupancy: 16
; WaveLimiterHint : 0
; COMPUTE_PGM_RSRC2:SCRATCH_EN: 0
; COMPUTE_PGM_RSRC2:USER_SGPR: 6
; COMPUTE_PGM_RSRC2:TRAP_HANDLER: 0
; COMPUTE_PGM_RSRC2:TGID_X_EN: 1
; COMPUTE_PGM_RSRC2:TGID_Y_EN: 0
; COMPUTE_PGM_RSRC2:TGID_Z_EN: 0
; COMPUTE_PGM_RSRC2:TIDIG_COMP_CNT: 0
	.section	.text._ZN7rocprim17ROCPRIM_400000_NS6detail17trampoline_kernelINS0_14default_configENS1_27scan_by_key_config_selectorIifEEZZNS1_16scan_by_key_implILNS1_25lookback_scan_determinismE0ELb1ES3_N6thrust23THRUST_200600_302600_NS6detail15normal_iteratorINS9_10device_ptrIiEEEENSB_INSC_IjEEEENSB_INSC_IfEEEEfNS9_4plusIvEENS9_8equal_toIvEEfEE10hipError_tPvRmT2_T3_T4_T5_mT6_T7_P12ihipStream_tbENKUlT_T0_E_clISt17integral_constantIbLb1EES13_EEDaSY_SZ_EUlSY_E_NS1_11comp_targetILNS1_3genE10ELNS1_11target_archE1200ELNS1_3gpuE4ELNS1_3repE0EEENS1_30default_config_static_selectorELNS0_4arch9wavefront6targetE0EEEvT1_,"axG",@progbits,_ZN7rocprim17ROCPRIM_400000_NS6detail17trampoline_kernelINS0_14default_configENS1_27scan_by_key_config_selectorIifEEZZNS1_16scan_by_key_implILNS1_25lookback_scan_determinismE0ELb1ES3_N6thrust23THRUST_200600_302600_NS6detail15normal_iteratorINS9_10device_ptrIiEEEENSB_INSC_IjEEEENSB_INSC_IfEEEEfNS9_4plusIvEENS9_8equal_toIvEEfEE10hipError_tPvRmT2_T3_T4_T5_mT6_T7_P12ihipStream_tbENKUlT_T0_E_clISt17integral_constantIbLb1EES13_EEDaSY_SZ_EUlSY_E_NS1_11comp_targetILNS1_3genE10ELNS1_11target_archE1200ELNS1_3gpuE4ELNS1_3repE0EEENS1_30default_config_static_selectorELNS0_4arch9wavefront6targetE0EEEvT1_,comdat
	.protected	_ZN7rocprim17ROCPRIM_400000_NS6detail17trampoline_kernelINS0_14default_configENS1_27scan_by_key_config_selectorIifEEZZNS1_16scan_by_key_implILNS1_25lookback_scan_determinismE0ELb1ES3_N6thrust23THRUST_200600_302600_NS6detail15normal_iteratorINS9_10device_ptrIiEEEENSB_INSC_IjEEEENSB_INSC_IfEEEEfNS9_4plusIvEENS9_8equal_toIvEEfEE10hipError_tPvRmT2_T3_T4_T5_mT6_T7_P12ihipStream_tbENKUlT_T0_E_clISt17integral_constantIbLb1EES13_EEDaSY_SZ_EUlSY_E_NS1_11comp_targetILNS1_3genE10ELNS1_11target_archE1200ELNS1_3gpuE4ELNS1_3repE0EEENS1_30default_config_static_selectorELNS0_4arch9wavefront6targetE0EEEvT1_ ; -- Begin function _ZN7rocprim17ROCPRIM_400000_NS6detail17trampoline_kernelINS0_14default_configENS1_27scan_by_key_config_selectorIifEEZZNS1_16scan_by_key_implILNS1_25lookback_scan_determinismE0ELb1ES3_N6thrust23THRUST_200600_302600_NS6detail15normal_iteratorINS9_10device_ptrIiEEEENSB_INSC_IjEEEENSB_INSC_IfEEEEfNS9_4plusIvEENS9_8equal_toIvEEfEE10hipError_tPvRmT2_T3_T4_T5_mT6_T7_P12ihipStream_tbENKUlT_T0_E_clISt17integral_constantIbLb1EES13_EEDaSY_SZ_EUlSY_E_NS1_11comp_targetILNS1_3genE10ELNS1_11target_archE1200ELNS1_3gpuE4ELNS1_3repE0EEENS1_30default_config_static_selectorELNS0_4arch9wavefront6targetE0EEEvT1_
	.globl	_ZN7rocprim17ROCPRIM_400000_NS6detail17trampoline_kernelINS0_14default_configENS1_27scan_by_key_config_selectorIifEEZZNS1_16scan_by_key_implILNS1_25lookback_scan_determinismE0ELb1ES3_N6thrust23THRUST_200600_302600_NS6detail15normal_iteratorINS9_10device_ptrIiEEEENSB_INSC_IjEEEENSB_INSC_IfEEEEfNS9_4plusIvEENS9_8equal_toIvEEfEE10hipError_tPvRmT2_T3_T4_T5_mT6_T7_P12ihipStream_tbENKUlT_T0_E_clISt17integral_constantIbLb1EES13_EEDaSY_SZ_EUlSY_E_NS1_11comp_targetILNS1_3genE10ELNS1_11target_archE1200ELNS1_3gpuE4ELNS1_3repE0EEENS1_30default_config_static_selectorELNS0_4arch9wavefront6targetE0EEEvT1_
	.p2align	8
	.type	_ZN7rocprim17ROCPRIM_400000_NS6detail17trampoline_kernelINS0_14default_configENS1_27scan_by_key_config_selectorIifEEZZNS1_16scan_by_key_implILNS1_25lookback_scan_determinismE0ELb1ES3_N6thrust23THRUST_200600_302600_NS6detail15normal_iteratorINS9_10device_ptrIiEEEENSB_INSC_IjEEEENSB_INSC_IfEEEEfNS9_4plusIvEENS9_8equal_toIvEEfEE10hipError_tPvRmT2_T3_T4_T5_mT6_T7_P12ihipStream_tbENKUlT_T0_E_clISt17integral_constantIbLb1EES13_EEDaSY_SZ_EUlSY_E_NS1_11comp_targetILNS1_3genE10ELNS1_11target_archE1200ELNS1_3gpuE4ELNS1_3repE0EEENS1_30default_config_static_selectorELNS0_4arch9wavefront6targetE0EEEvT1_,@function
_ZN7rocprim17ROCPRIM_400000_NS6detail17trampoline_kernelINS0_14default_configENS1_27scan_by_key_config_selectorIifEEZZNS1_16scan_by_key_implILNS1_25lookback_scan_determinismE0ELb1ES3_N6thrust23THRUST_200600_302600_NS6detail15normal_iteratorINS9_10device_ptrIiEEEENSB_INSC_IjEEEENSB_INSC_IfEEEEfNS9_4plusIvEENS9_8equal_toIvEEfEE10hipError_tPvRmT2_T3_T4_T5_mT6_T7_P12ihipStream_tbENKUlT_T0_E_clISt17integral_constantIbLb1EES13_EEDaSY_SZ_EUlSY_E_NS1_11comp_targetILNS1_3genE10ELNS1_11target_archE1200ELNS1_3gpuE4ELNS1_3repE0EEENS1_30default_config_static_selectorELNS0_4arch9wavefront6targetE0EEEvT1_: ; @_ZN7rocprim17ROCPRIM_400000_NS6detail17trampoline_kernelINS0_14default_configENS1_27scan_by_key_config_selectorIifEEZZNS1_16scan_by_key_implILNS1_25lookback_scan_determinismE0ELb1ES3_N6thrust23THRUST_200600_302600_NS6detail15normal_iteratorINS9_10device_ptrIiEEEENSB_INSC_IjEEEENSB_INSC_IfEEEEfNS9_4plusIvEENS9_8equal_toIvEEfEE10hipError_tPvRmT2_T3_T4_T5_mT6_T7_P12ihipStream_tbENKUlT_T0_E_clISt17integral_constantIbLb1EES13_EEDaSY_SZ_EUlSY_E_NS1_11comp_targetILNS1_3genE10ELNS1_11target_archE1200ELNS1_3gpuE4ELNS1_3repE0EEENS1_30default_config_static_selectorELNS0_4arch9wavefront6targetE0EEEvT1_
; %bb.0:
	.section	.rodata,"a",@progbits
	.p2align	6, 0x0
	.amdhsa_kernel _ZN7rocprim17ROCPRIM_400000_NS6detail17trampoline_kernelINS0_14default_configENS1_27scan_by_key_config_selectorIifEEZZNS1_16scan_by_key_implILNS1_25lookback_scan_determinismE0ELb1ES3_N6thrust23THRUST_200600_302600_NS6detail15normal_iteratorINS9_10device_ptrIiEEEENSB_INSC_IjEEEENSB_INSC_IfEEEEfNS9_4plusIvEENS9_8equal_toIvEEfEE10hipError_tPvRmT2_T3_T4_T5_mT6_T7_P12ihipStream_tbENKUlT_T0_E_clISt17integral_constantIbLb1EES13_EEDaSY_SZ_EUlSY_E_NS1_11comp_targetILNS1_3genE10ELNS1_11target_archE1200ELNS1_3gpuE4ELNS1_3repE0EEENS1_30default_config_static_selectorELNS0_4arch9wavefront6targetE0EEEvT1_
		.amdhsa_group_segment_fixed_size 0
		.amdhsa_private_segment_fixed_size 0
		.amdhsa_kernarg_size 112
		.amdhsa_user_sgpr_count 6
		.amdhsa_user_sgpr_private_segment_buffer 1
		.amdhsa_user_sgpr_dispatch_ptr 0
		.amdhsa_user_sgpr_queue_ptr 0
		.amdhsa_user_sgpr_kernarg_segment_ptr 1
		.amdhsa_user_sgpr_dispatch_id 0
		.amdhsa_user_sgpr_flat_scratch_init 0
		.amdhsa_user_sgpr_private_segment_size 0
		.amdhsa_wavefront_size32 1
		.amdhsa_uses_dynamic_stack 0
		.amdhsa_system_sgpr_private_segment_wavefront_offset 0
		.amdhsa_system_sgpr_workgroup_id_x 1
		.amdhsa_system_sgpr_workgroup_id_y 0
		.amdhsa_system_sgpr_workgroup_id_z 0
		.amdhsa_system_sgpr_workgroup_info 0
		.amdhsa_system_vgpr_workitem_id 0
		.amdhsa_next_free_vgpr 1
		.amdhsa_next_free_sgpr 1
		.amdhsa_reserve_vcc 0
		.amdhsa_reserve_flat_scratch 0
		.amdhsa_float_round_mode_32 0
		.amdhsa_float_round_mode_16_64 0
		.amdhsa_float_denorm_mode_32 3
		.amdhsa_float_denorm_mode_16_64 3
		.amdhsa_dx10_clamp 1
		.amdhsa_ieee_mode 1
		.amdhsa_fp16_overflow 0
		.amdhsa_workgroup_processor_mode 1
		.amdhsa_memory_ordered 1
		.amdhsa_forward_progress 1
		.amdhsa_shared_vgpr_count 0
		.amdhsa_exception_fp_ieee_invalid_op 0
		.amdhsa_exception_fp_denorm_src 0
		.amdhsa_exception_fp_ieee_div_zero 0
		.amdhsa_exception_fp_ieee_overflow 0
		.amdhsa_exception_fp_ieee_underflow 0
		.amdhsa_exception_fp_ieee_inexact 0
		.amdhsa_exception_int_div_zero 0
	.end_amdhsa_kernel
	.section	.text._ZN7rocprim17ROCPRIM_400000_NS6detail17trampoline_kernelINS0_14default_configENS1_27scan_by_key_config_selectorIifEEZZNS1_16scan_by_key_implILNS1_25lookback_scan_determinismE0ELb1ES3_N6thrust23THRUST_200600_302600_NS6detail15normal_iteratorINS9_10device_ptrIiEEEENSB_INSC_IjEEEENSB_INSC_IfEEEEfNS9_4plusIvEENS9_8equal_toIvEEfEE10hipError_tPvRmT2_T3_T4_T5_mT6_T7_P12ihipStream_tbENKUlT_T0_E_clISt17integral_constantIbLb1EES13_EEDaSY_SZ_EUlSY_E_NS1_11comp_targetILNS1_3genE10ELNS1_11target_archE1200ELNS1_3gpuE4ELNS1_3repE0EEENS1_30default_config_static_selectorELNS0_4arch9wavefront6targetE0EEEvT1_,"axG",@progbits,_ZN7rocprim17ROCPRIM_400000_NS6detail17trampoline_kernelINS0_14default_configENS1_27scan_by_key_config_selectorIifEEZZNS1_16scan_by_key_implILNS1_25lookback_scan_determinismE0ELb1ES3_N6thrust23THRUST_200600_302600_NS6detail15normal_iteratorINS9_10device_ptrIiEEEENSB_INSC_IjEEEENSB_INSC_IfEEEEfNS9_4plusIvEENS9_8equal_toIvEEfEE10hipError_tPvRmT2_T3_T4_T5_mT6_T7_P12ihipStream_tbENKUlT_T0_E_clISt17integral_constantIbLb1EES13_EEDaSY_SZ_EUlSY_E_NS1_11comp_targetILNS1_3genE10ELNS1_11target_archE1200ELNS1_3gpuE4ELNS1_3repE0EEENS1_30default_config_static_selectorELNS0_4arch9wavefront6targetE0EEEvT1_,comdat
.Lfunc_end1695:
	.size	_ZN7rocprim17ROCPRIM_400000_NS6detail17trampoline_kernelINS0_14default_configENS1_27scan_by_key_config_selectorIifEEZZNS1_16scan_by_key_implILNS1_25lookback_scan_determinismE0ELb1ES3_N6thrust23THRUST_200600_302600_NS6detail15normal_iteratorINS9_10device_ptrIiEEEENSB_INSC_IjEEEENSB_INSC_IfEEEEfNS9_4plusIvEENS9_8equal_toIvEEfEE10hipError_tPvRmT2_T3_T4_T5_mT6_T7_P12ihipStream_tbENKUlT_T0_E_clISt17integral_constantIbLb1EES13_EEDaSY_SZ_EUlSY_E_NS1_11comp_targetILNS1_3genE10ELNS1_11target_archE1200ELNS1_3gpuE4ELNS1_3repE0EEENS1_30default_config_static_selectorELNS0_4arch9wavefront6targetE0EEEvT1_, .Lfunc_end1695-_ZN7rocprim17ROCPRIM_400000_NS6detail17trampoline_kernelINS0_14default_configENS1_27scan_by_key_config_selectorIifEEZZNS1_16scan_by_key_implILNS1_25lookback_scan_determinismE0ELb1ES3_N6thrust23THRUST_200600_302600_NS6detail15normal_iteratorINS9_10device_ptrIiEEEENSB_INSC_IjEEEENSB_INSC_IfEEEEfNS9_4plusIvEENS9_8equal_toIvEEfEE10hipError_tPvRmT2_T3_T4_T5_mT6_T7_P12ihipStream_tbENKUlT_T0_E_clISt17integral_constantIbLb1EES13_EEDaSY_SZ_EUlSY_E_NS1_11comp_targetILNS1_3genE10ELNS1_11target_archE1200ELNS1_3gpuE4ELNS1_3repE0EEENS1_30default_config_static_selectorELNS0_4arch9wavefront6targetE0EEEvT1_
                                        ; -- End function
	.set _ZN7rocprim17ROCPRIM_400000_NS6detail17trampoline_kernelINS0_14default_configENS1_27scan_by_key_config_selectorIifEEZZNS1_16scan_by_key_implILNS1_25lookback_scan_determinismE0ELb1ES3_N6thrust23THRUST_200600_302600_NS6detail15normal_iteratorINS9_10device_ptrIiEEEENSB_INSC_IjEEEENSB_INSC_IfEEEEfNS9_4plusIvEENS9_8equal_toIvEEfEE10hipError_tPvRmT2_T3_T4_T5_mT6_T7_P12ihipStream_tbENKUlT_T0_E_clISt17integral_constantIbLb1EES13_EEDaSY_SZ_EUlSY_E_NS1_11comp_targetILNS1_3genE10ELNS1_11target_archE1200ELNS1_3gpuE4ELNS1_3repE0EEENS1_30default_config_static_selectorELNS0_4arch9wavefront6targetE0EEEvT1_.num_vgpr, 0
	.set _ZN7rocprim17ROCPRIM_400000_NS6detail17trampoline_kernelINS0_14default_configENS1_27scan_by_key_config_selectorIifEEZZNS1_16scan_by_key_implILNS1_25lookback_scan_determinismE0ELb1ES3_N6thrust23THRUST_200600_302600_NS6detail15normal_iteratorINS9_10device_ptrIiEEEENSB_INSC_IjEEEENSB_INSC_IfEEEEfNS9_4plusIvEENS9_8equal_toIvEEfEE10hipError_tPvRmT2_T3_T4_T5_mT6_T7_P12ihipStream_tbENKUlT_T0_E_clISt17integral_constantIbLb1EES13_EEDaSY_SZ_EUlSY_E_NS1_11comp_targetILNS1_3genE10ELNS1_11target_archE1200ELNS1_3gpuE4ELNS1_3repE0EEENS1_30default_config_static_selectorELNS0_4arch9wavefront6targetE0EEEvT1_.num_agpr, 0
	.set _ZN7rocprim17ROCPRIM_400000_NS6detail17trampoline_kernelINS0_14default_configENS1_27scan_by_key_config_selectorIifEEZZNS1_16scan_by_key_implILNS1_25lookback_scan_determinismE0ELb1ES3_N6thrust23THRUST_200600_302600_NS6detail15normal_iteratorINS9_10device_ptrIiEEEENSB_INSC_IjEEEENSB_INSC_IfEEEEfNS9_4plusIvEENS9_8equal_toIvEEfEE10hipError_tPvRmT2_T3_T4_T5_mT6_T7_P12ihipStream_tbENKUlT_T0_E_clISt17integral_constantIbLb1EES13_EEDaSY_SZ_EUlSY_E_NS1_11comp_targetILNS1_3genE10ELNS1_11target_archE1200ELNS1_3gpuE4ELNS1_3repE0EEENS1_30default_config_static_selectorELNS0_4arch9wavefront6targetE0EEEvT1_.numbered_sgpr, 0
	.set _ZN7rocprim17ROCPRIM_400000_NS6detail17trampoline_kernelINS0_14default_configENS1_27scan_by_key_config_selectorIifEEZZNS1_16scan_by_key_implILNS1_25lookback_scan_determinismE0ELb1ES3_N6thrust23THRUST_200600_302600_NS6detail15normal_iteratorINS9_10device_ptrIiEEEENSB_INSC_IjEEEENSB_INSC_IfEEEEfNS9_4plusIvEENS9_8equal_toIvEEfEE10hipError_tPvRmT2_T3_T4_T5_mT6_T7_P12ihipStream_tbENKUlT_T0_E_clISt17integral_constantIbLb1EES13_EEDaSY_SZ_EUlSY_E_NS1_11comp_targetILNS1_3genE10ELNS1_11target_archE1200ELNS1_3gpuE4ELNS1_3repE0EEENS1_30default_config_static_selectorELNS0_4arch9wavefront6targetE0EEEvT1_.num_named_barrier, 0
	.set _ZN7rocprim17ROCPRIM_400000_NS6detail17trampoline_kernelINS0_14default_configENS1_27scan_by_key_config_selectorIifEEZZNS1_16scan_by_key_implILNS1_25lookback_scan_determinismE0ELb1ES3_N6thrust23THRUST_200600_302600_NS6detail15normal_iteratorINS9_10device_ptrIiEEEENSB_INSC_IjEEEENSB_INSC_IfEEEEfNS9_4plusIvEENS9_8equal_toIvEEfEE10hipError_tPvRmT2_T3_T4_T5_mT6_T7_P12ihipStream_tbENKUlT_T0_E_clISt17integral_constantIbLb1EES13_EEDaSY_SZ_EUlSY_E_NS1_11comp_targetILNS1_3genE10ELNS1_11target_archE1200ELNS1_3gpuE4ELNS1_3repE0EEENS1_30default_config_static_selectorELNS0_4arch9wavefront6targetE0EEEvT1_.private_seg_size, 0
	.set _ZN7rocprim17ROCPRIM_400000_NS6detail17trampoline_kernelINS0_14default_configENS1_27scan_by_key_config_selectorIifEEZZNS1_16scan_by_key_implILNS1_25lookback_scan_determinismE0ELb1ES3_N6thrust23THRUST_200600_302600_NS6detail15normal_iteratorINS9_10device_ptrIiEEEENSB_INSC_IjEEEENSB_INSC_IfEEEEfNS9_4plusIvEENS9_8equal_toIvEEfEE10hipError_tPvRmT2_T3_T4_T5_mT6_T7_P12ihipStream_tbENKUlT_T0_E_clISt17integral_constantIbLb1EES13_EEDaSY_SZ_EUlSY_E_NS1_11comp_targetILNS1_3genE10ELNS1_11target_archE1200ELNS1_3gpuE4ELNS1_3repE0EEENS1_30default_config_static_selectorELNS0_4arch9wavefront6targetE0EEEvT1_.uses_vcc, 0
	.set _ZN7rocprim17ROCPRIM_400000_NS6detail17trampoline_kernelINS0_14default_configENS1_27scan_by_key_config_selectorIifEEZZNS1_16scan_by_key_implILNS1_25lookback_scan_determinismE0ELb1ES3_N6thrust23THRUST_200600_302600_NS6detail15normal_iteratorINS9_10device_ptrIiEEEENSB_INSC_IjEEEENSB_INSC_IfEEEEfNS9_4plusIvEENS9_8equal_toIvEEfEE10hipError_tPvRmT2_T3_T4_T5_mT6_T7_P12ihipStream_tbENKUlT_T0_E_clISt17integral_constantIbLb1EES13_EEDaSY_SZ_EUlSY_E_NS1_11comp_targetILNS1_3genE10ELNS1_11target_archE1200ELNS1_3gpuE4ELNS1_3repE0EEENS1_30default_config_static_selectorELNS0_4arch9wavefront6targetE0EEEvT1_.uses_flat_scratch, 0
	.set _ZN7rocprim17ROCPRIM_400000_NS6detail17trampoline_kernelINS0_14default_configENS1_27scan_by_key_config_selectorIifEEZZNS1_16scan_by_key_implILNS1_25lookback_scan_determinismE0ELb1ES3_N6thrust23THRUST_200600_302600_NS6detail15normal_iteratorINS9_10device_ptrIiEEEENSB_INSC_IjEEEENSB_INSC_IfEEEEfNS9_4plusIvEENS9_8equal_toIvEEfEE10hipError_tPvRmT2_T3_T4_T5_mT6_T7_P12ihipStream_tbENKUlT_T0_E_clISt17integral_constantIbLb1EES13_EEDaSY_SZ_EUlSY_E_NS1_11comp_targetILNS1_3genE10ELNS1_11target_archE1200ELNS1_3gpuE4ELNS1_3repE0EEENS1_30default_config_static_selectorELNS0_4arch9wavefront6targetE0EEEvT1_.has_dyn_sized_stack, 0
	.set _ZN7rocprim17ROCPRIM_400000_NS6detail17trampoline_kernelINS0_14default_configENS1_27scan_by_key_config_selectorIifEEZZNS1_16scan_by_key_implILNS1_25lookback_scan_determinismE0ELb1ES3_N6thrust23THRUST_200600_302600_NS6detail15normal_iteratorINS9_10device_ptrIiEEEENSB_INSC_IjEEEENSB_INSC_IfEEEEfNS9_4plusIvEENS9_8equal_toIvEEfEE10hipError_tPvRmT2_T3_T4_T5_mT6_T7_P12ihipStream_tbENKUlT_T0_E_clISt17integral_constantIbLb1EES13_EEDaSY_SZ_EUlSY_E_NS1_11comp_targetILNS1_3genE10ELNS1_11target_archE1200ELNS1_3gpuE4ELNS1_3repE0EEENS1_30default_config_static_selectorELNS0_4arch9wavefront6targetE0EEEvT1_.has_recursion, 0
	.set _ZN7rocprim17ROCPRIM_400000_NS6detail17trampoline_kernelINS0_14default_configENS1_27scan_by_key_config_selectorIifEEZZNS1_16scan_by_key_implILNS1_25lookback_scan_determinismE0ELb1ES3_N6thrust23THRUST_200600_302600_NS6detail15normal_iteratorINS9_10device_ptrIiEEEENSB_INSC_IjEEEENSB_INSC_IfEEEEfNS9_4plusIvEENS9_8equal_toIvEEfEE10hipError_tPvRmT2_T3_T4_T5_mT6_T7_P12ihipStream_tbENKUlT_T0_E_clISt17integral_constantIbLb1EES13_EEDaSY_SZ_EUlSY_E_NS1_11comp_targetILNS1_3genE10ELNS1_11target_archE1200ELNS1_3gpuE4ELNS1_3repE0EEENS1_30default_config_static_selectorELNS0_4arch9wavefront6targetE0EEEvT1_.has_indirect_call, 0
	.section	.AMDGPU.csdata,"",@progbits
; Kernel info:
; codeLenInByte = 0
; TotalNumSgprs: 0
; NumVgprs: 0
; ScratchSize: 0
; MemoryBound: 0
; FloatMode: 240
; IeeeMode: 1
; LDSByteSize: 0 bytes/workgroup (compile time only)
; SGPRBlocks: 0
; VGPRBlocks: 0
; NumSGPRsForWavesPerEU: 1
; NumVGPRsForWavesPerEU: 1
; Occupancy: 16
; WaveLimiterHint : 0
; COMPUTE_PGM_RSRC2:SCRATCH_EN: 0
; COMPUTE_PGM_RSRC2:USER_SGPR: 6
; COMPUTE_PGM_RSRC2:TRAP_HANDLER: 0
; COMPUTE_PGM_RSRC2:TGID_X_EN: 1
; COMPUTE_PGM_RSRC2:TGID_Y_EN: 0
; COMPUTE_PGM_RSRC2:TGID_Z_EN: 0
; COMPUTE_PGM_RSRC2:TIDIG_COMP_CNT: 0
	.section	.text._ZN7rocprim17ROCPRIM_400000_NS6detail17trampoline_kernelINS0_14default_configENS1_27scan_by_key_config_selectorIifEEZZNS1_16scan_by_key_implILNS1_25lookback_scan_determinismE0ELb1ES3_N6thrust23THRUST_200600_302600_NS6detail15normal_iteratorINS9_10device_ptrIiEEEENSB_INSC_IjEEEENSB_INSC_IfEEEEfNS9_4plusIvEENS9_8equal_toIvEEfEE10hipError_tPvRmT2_T3_T4_T5_mT6_T7_P12ihipStream_tbENKUlT_T0_E_clISt17integral_constantIbLb1EES13_EEDaSY_SZ_EUlSY_E_NS1_11comp_targetILNS1_3genE9ELNS1_11target_archE1100ELNS1_3gpuE3ELNS1_3repE0EEENS1_30default_config_static_selectorELNS0_4arch9wavefront6targetE0EEEvT1_,"axG",@progbits,_ZN7rocprim17ROCPRIM_400000_NS6detail17trampoline_kernelINS0_14default_configENS1_27scan_by_key_config_selectorIifEEZZNS1_16scan_by_key_implILNS1_25lookback_scan_determinismE0ELb1ES3_N6thrust23THRUST_200600_302600_NS6detail15normal_iteratorINS9_10device_ptrIiEEEENSB_INSC_IjEEEENSB_INSC_IfEEEEfNS9_4plusIvEENS9_8equal_toIvEEfEE10hipError_tPvRmT2_T3_T4_T5_mT6_T7_P12ihipStream_tbENKUlT_T0_E_clISt17integral_constantIbLb1EES13_EEDaSY_SZ_EUlSY_E_NS1_11comp_targetILNS1_3genE9ELNS1_11target_archE1100ELNS1_3gpuE3ELNS1_3repE0EEENS1_30default_config_static_selectorELNS0_4arch9wavefront6targetE0EEEvT1_,comdat
	.protected	_ZN7rocprim17ROCPRIM_400000_NS6detail17trampoline_kernelINS0_14default_configENS1_27scan_by_key_config_selectorIifEEZZNS1_16scan_by_key_implILNS1_25lookback_scan_determinismE0ELb1ES3_N6thrust23THRUST_200600_302600_NS6detail15normal_iteratorINS9_10device_ptrIiEEEENSB_INSC_IjEEEENSB_INSC_IfEEEEfNS9_4plusIvEENS9_8equal_toIvEEfEE10hipError_tPvRmT2_T3_T4_T5_mT6_T7_P12ihipStream_tbENKUlT_T0_E_clISt17integral_constantIbLb1EES13_EEDaSY_SZ_EUlSY_E_NS1_11comp_targetILNS1_3genE9ELNS1_11target_archE1100ELNS1_3gpuE3ELNS1_3repE0EEENS1_30default_config_static_selectorELNS0_4arch9wavefront6targetE0EEEvT1_ ; -- Begin function _ZN7rocprim17ROCPRIM_400000_NS6detail17trampoline_kernelINS0_14default_configENS1_27scan_by_key_config_selectorIifEEZZNS1_16scan_by_key_implILNS1_25lookback_scan_determinismE0ELb1ES3_N6thrust23THRUST_200600_302600_NS6detail15normal_iteratorINS9_10device_ptrIiEEEENSB_INSC_IjEEEENSB_INSC_IfEEEEfNS9_4plusIvEENS9_8equal_toIvEEfEE10hipError_tPvRmT2_T3_T4_T5_mT6_T7_P12ihipStream_tbENKUlT_T0_E_clISt17integral_constantIbLb1EES13_EEDaSY_SZ_EUlSY_E_NS1_11comp_targetILNS1_3genE9ELNS1_11target_archE1100ELNS1_3gpuE3ELNS1_3repE0EEENS1_30default_config_static_selectorELNS0_4arch9wavefront6targetE0EEEvT1_
	.globl	_ZN7rocprim17ROCPRIM_400000_NS6detail17trampoline_kernelINS0_14default_configENS1_27scan_by_key_config_selectorIifEEZZNS1_16scan_by_key_implILNS1_25lookback_scan_determinismE0ELb1ES3_N6thrust23THRUST_200600_302600_NS6detail15normal_iteratorINS9_10device_ptrIiEEEENSB_INSC_IjEEEENSB_INSC_IfEEEEfNS9_4plusIvEENS9_8equal_toIvEEfEE10hipError_tPvRmT2_T3_T4_T5_mT6_T7_P12ihipStream_tbENKUlT_T0_E_clISt17integral_constantIbLb1EES13_EEDaSY_SZ_EUlSY_E_NS1_11comp_targetILNS1_3genE9ELNS1_11target_archE1100ELNS1_3gpuE3ELNS1_3repE0EEENS1_30default_config_static_selectorELNS0_4arch9wavefront6targetE0EEEvT1_
	.p2align	8
	.type	_ZN7rocprim17ROCPRIM_400000_NS6detail17trampoline_kernelINS0_14default_configENS1_27scan_by_key_config_selectorIifEEZZNS1_16scan_by_key_implILNS1_25lookback_scan_determinismE0ELb1ES3_N6thrust23THRUST_200600_302600_NS6detail15normal_iteratorINS9_10device_ptrIiEEEENSB_INSC_IjEEEENSB_INSC_IfEEEEfNS9_4plusIvEENS9_8equal_toIvEEfEE10hipError_tPvRmT2_T3_T4_T5_mT6_T7_P12ihipStream_tbENKUlT_T0_E_clISt17integral_constantIbLb1EES13_EEDaSY_SZ_EUlSY_E_NS1_11comp_targetILNS1_3genE9ELNS1_11target_archE1100ELNS1_3gpuE3ELNS1_3repE0EEENS1_30default_config_static_selectorELNS0_4arch9wavefront6targetE0EEEvT1_,@function
_ZN7rocprim17ROCPRIM_400000_NS6detail17trampoline_kernelINS0_14default_configENS1_27scan_by_key_config_selectorIifEEZZNS1_16scan_by_key_implILNS1_25lookback_scan_determinismE0ELb1ES3_N6thrust23THRUST_200600_302600_NS6detail15normal_iteratorINS9_10device_ptrIiEEEENSB_INSC_IjEEEENSB_INSC_IfEEEEfNS9_4plusIvEENS9_8equal_toIvEEfEE10hipError_tPvRmT2_T3_T4_T5_mT6_T7_P12ihipStream_tbENKUlT_T0_E_clISt17integral_constantIbLb1EES13_EEDaSY_SZ_EUlSY_E_NS1_11comp_targetILNS1_3genE9ELNS1_11target_archE1100ELNS1_3gpuE3ELNS1_3repE0EEENS1_30default_config_static_selectorELNS0_4arch9wavefront6targetE0EEEvT1_: ; @_ZN7rocprim17ROCPRIM_400000_NS6detail17trampoline_kernelINS0_14default_configENS1_27scan_by_key_config_selectorIifEEZZNS1_16scan_by_key_implILNS1_25lookback_scan_determinismE0ELb1ES3_N6thrust23THRUST_200600_302600_NS6detail15normal_iteratorINS9_10device_ptrIiEEEENSB_INSC_IjEEEENSB_INSC_IfEEEEfNS9_4plusIvEENS9_8equal_toIvEEfEE10hipError_tPvRmT2_T3_T4_T5_mT6_T7_P12ihipStream_tbENKUlT_T0_E_clISt17integral_constantIbLb1EES13_EEDaSY_SZ_EUlSY_E_NS1_11comp_targetILNS1_3genE9ELNS1_11target_archE1100ELNS1_3gpuE3ELNS1_3repE0EEENS1_30default_config_static_selectorELNS0_4arch9wavefront6targetE0EEEvT1_
; %bb.0:
	.section	.rodata,"a",@progbits
	.p2align	6, 0x0
	.amdhsa_kernel _ZN7rocprim17ROCPRIM_400000_NS6detail17trampoline_kernelINS0_14default_configENS1_27scan_by_key_config_selectorIifEEZZNS1_16scan_by_key_implILNS1_25lookback_scan_determinismE0ELb1ES3_N6thrust23THRUST_200600_302600_NS6detail15normal_iteratorINS9_10device_ptrIiEEEENSB_INSC_IjEEEENSB_INSC_IfEEEEfNS9_4plusIvEENS9_8equal_toIvEEfEE10hipError_tPvRmT2_T3_T4_T5_mT6_T7_P12ihipStream_tbENKUlT_T0_E_clISt17integral_constantIbLb1EES13_EEDaSY_SZ_EUlSY_E_NS1_11comp_targetILNS1_3genE9ELNS1_11target_archE1100ELNS1_3gpuE3ELNS1_3repE0EEENS1_30default_config_static_selectorELNS0_4arch9wavefront6targetE0EEEvT1_
		.amdhsa_group_segment_fixed_size 0
		.amdhsa_private_segment_fixed_size 0
		.amdhsa_kernarg_size 112
		.amdhsa_user_sgpr_count 6
		.amdhsa_user_sgpr_private_segment_buffer 1
		.amdhsa_user_sgpr_dispatch_ptr 0
		.amdhsa_user_sgpr_queue_ptr 0
		.amdhsa_user_sgpr_kernarg_segment_ptr 1
		.amdhsa_user_sgpr_dispatch_id 0
		.amdhsa_user_sgpr_flat_scratch_init 0
		.amdhsa_user_sgpr_private_segment_size 0
		.amdhsa_wavefront_size32 1
		.amdhsa_uses_dynamic_stack 0
		.amdhsa_system_sgpr_private_segment_wavefront_offset 0
		.amdhsa_system_sgpr_workgroup_id_x 1
		.amdhsa_system_sgpr_workgroup_id_y 0
		.amdhsa_system_sgpr_workgroup_id_z 0
		.amdhsa_system_sgpr_workgroup_info 0
		.amdhsa_system_vgpr_workitem_id 0
		.amdhsa_next_free_vgpr 1
		.amdhsa_next_free_sgpr 1
		.amdhsa_reserve_vcc 0
		.amdhsa_reserve_flat_scratch 0
		.amdhsa_float_round_mode_32 0
		.amdhsa_float_round_mode_16_64 0
		.amdhsa_float_denorm_mode_32 3
		.amdhsa_float_denorm_mode_16_64 3
		.amdhsa_dx10_clamp 1
		.amdhsa_ieee_mode 1
		.amdhsa_fp16_overflow 0
		.amdhsa_workgroup_processor_mode 1
		.amdhsa_memory_ordered 1
		.amdhsa_forward_progress 1
		.amdhsa_shared_vgpr_count 0
		.amdhsa_exception_fp_ieee_invalid_op 0
		.amdhsa_exception_fp_denorm_src 0
		.amdhsa_exception_fp_ieee_div_zero 0
		.amdhsa_exception_fp_ieee_overflow 0
		.amdhsa_exception_fp_ieee_underflow 0
		.amdhsa_exception_fp_ieee_inexact 0
		.amdhsa_exception_int_div_zero 0
	.end_amdhsa_kernel
	.section	.text._ZN7rocprim17ROCPRIM_400000_NS6detail17trampoline_kernelINS0_14default_configENS1_27scan_by_key_config_selectorIifEEZZNS1_16scan_by_key_implILNS1_25lookback_scan_determinismE0ELb1ES3_N6thrust23THRUST_200600_302600_NS6detail15normal_iteratorINS9_10device_ptrIiEEEENSB_INSC_IjEEEENSB_INSC_IfEEEEfNS9_4plusIvEENS9_8equal_toIvEEfEE10hipError_tPvRmT2_T3_T4_T5_mT6_T7_P12ihipStream_tbENKUlT_T0_E_clISt17integral_constantIbLb1EES13_EEDaSY_SZ_EUlSY_E_NS1_11comp_targetILNS1_3genE9ELNS1_11target_archE1100ELNS1_3gpuE3ELNS1_3repE0EEENS1_30default_config_static_selectorELNS0_4arch9wavefront6targetE0EEEvT1_,"axG",@progbits,_ZN7rocprim17ROCPRIM_400000_NS6detail17trampoline_kernelINS0_14default_configENS1_27scan_by_key_config_selectorIifEEZZNS1_16scan_by_key_implILNS1_25lookback_scan_determinismE0ELb1ES3_N6thrust23THRUST_200600_302600_NS6detail15normal_iteratorINS9_10device_ptrIiEEEENSB_INSC_IjEEEENSB_INSC_IfEEEEfNS9_4plusIvEENS9_8equal_toIvEEfEE10hipError_tPvRmT2_T3_T4_T5_mT6_T7_P12ihipStream_tbENKUlT_T0_E_clISt17integral_constantIbLb1EES13_EEDaSY_SZ_EUlSY_E_NS1_11comp_targetILNS1_3genE9ELNS1_11target_archE1100ELNS1_3gpuE3ELNS1_3repE0EEENS1_30default_config_static_selectorELNS0_4arch9wavefront6targetE0EEEvT1_,comdat
.Lfunc_end1696:
	.size	_ZN7rocprim17ROCPRIM_400000_NS6detail17trampoline_kernelINS0_14default_configENS1_27scan_by_key_config_selectorIifEEZZNS1_16scan_by_key_implILNS1_25lookback_scan_determinismE0ELb1ES3_N6thrust23THRUST_200600_302600_NS6detail15normal_iteratorINS9_10device_ptrIiEEEENSB_INSC_IjEEEENSB_INSC_IfEEEEfNS9_4plusIvEENS9_8equal_toIvEEfEE10hipError_tPvRmT2_T3_T4_T5_mT6_T7_P12ihipStream_tbENKUlT_T0_E_clISt17integral_constantIbLb1EES13_EEDaSY_SZ_EUlSY_E_NS1_11comp_targetILNS1_3genE9ELNS1_11target_archE1100ELNS1_3gpuE3ELNS1_3repE0EEENS1_30default_config_static_selectorELNS0_4arch9wavefront6targetE0EEEvT1_, .Lfunc_end1696-_ZN7rocprim17ROCPRIM_400000_NS6detail17trampoline_kernelINS0_14default_configENS1_27scan_by_key_config_selectorIifEEZZNS1_16scan_by_key_implILNS1_25lookback_scan_determinismE0ELb1ES3_N6thrust23THRUST_200600_302600_NS6detail15normal_iteratorINS9_10device_ptrIiEEEENSB_INSC_IjEEEENSB_INSC_IfEEEEfNS9_4plusIvEENS9_8equal_toIvEEfEE10hipError_tPvRmT2_T3_T4_T5_mT6_T7_P12ihipStream_tbENKUlT_T0_E_clISt17integral_constantIbLb1EES13_EEDaSY_SZ_EUlSY_E_NS1_11comp_targetILNS1_3genE9ELNS1_11target_archE1100ELNS1_3gpuE3ELNS1_3repE0EEENS1_30default_config_static_selectorELNS0_4arch9wavefront6targetE0EEEvT1_
                                        ; -- End function
	.set _ZN7rocprim17ROCPRIM_400000_NS6detail17trampoline_kernelINS0_14default_configENS1_27scan_by_key_config_selectorIifEEZZNS1_16scan_by_key_implILNS1_25lookback_scan_determinismE0ELb1ES3_N6thrust23THRUST_200600_302600_NS6detail15normal_iteratorINS9_10device_ptrIiEEEENSB_INSC_IjEEEENSB_INSC_IfEEEEfNS9_4plusIvEENS9_8equal_toIvEEfEE10hipError_tPvRmT2_T3_T4_T5_mT6_T7_P12ihipStream_tbENKUlT_T0_E_clISt17integral_constantIbLb1EES13_EEDaSY_SZ_EUlSY_E_NS1_11comp_targetILNS1_3genE9ELNS1_11target_archE1100ELNS1_3gpuE3ELNS1_3repE0EEENS1_30default_config_static_selectorELNS0_4arch9wavefront6targetE0EEEvT1_.num_vgpr, 0
	.set _ZN7rocprim17ROCPRIM_400000_NS6detail17trampoline_kernelINS0_14default_configENS1_27scan_by_key_config_selectorIifEEZZNS1_16scan_by_key_implILNS1_25lookback_scan_determinismE0ELb1ES3_N6thrust23THRUST_200600_302600_NS6detail15normal_iteratorINS9_10device_ptrIiEEEENSB_INSC_IjEEEENSB_INSC_IfEEEEfNS9_4plusIvEENS9_8equal_toIvEEfEE10hipError_tPvRmT2_T3_T4_T5_mT6_T7_P12ihipStream_tbENKUlT_T0_E_clISt17integral_constantIbLb1EES13_EEDaSY_SZ_EUlSY_E_NS1_11comp_targetILNS1_3genE9ELNS1_11target_archE1100ELNS1_3gpuE3ELNS1_3repE0EEENS1_30default_config_static_selectorELNS0_4arch9wavefront6targetE0EEEvT1_.num_agpr, 0
	.set _ZN7rocprim17ROCPRIM_400000_NS6detail17trampoline_kernelINS0_14default_configENS1_27scan_by_key_config_selectorIifEEZZNS1_16scan_by_key_implILNS1_25lookback_scan_determinismE0ELb1ES3_N6thrust23THRUST_200600_302600_NS6detail15normal_iteratorINS9_10device_ptrIiEEEENSB_INSC_IjEEEENSB_INSC_IfEEEEfNS9_4plusIvEENS9_8equal_toIvEEfEE10hipError_tPvRmT2_T3_T4_T5_mT6_T7_P12ihipStream_tbENKUlT_T0_E_clISt17integral_constantIbLb1EES13_EEDaSY_SZ_EUlSY_E_NS1_11comp_targetILNS1_3genE9ELNS1_11target_archE1100ELNS1_3gpuE3ELNS1_3repE0EEENS1_30default_config_static_selectorELNS0_4arch9wavefront6targetE0EEEvT1_.numbered_sgpr, 0
	.set _ZN7rocprim17ROCPRIM_400000_NS6detail17trampoline_kernelINS0_14default_configENS1_27scan_by_key_config_selectorIifEEZZNS1_16scan_by_key_implILNS1_25lookback_scan_determinismE0ELb1ES3_N6thrust23THRUST_200600_302600_NS6detail15normal_iteratorINS9_10device_ptrIiEEEENSB_INSC_IjEEEENSB_INSC_IfEEEEfNS9_4plusIvEENS9_8equal_toIvEEfEE10hipError_tPvRmT2_T3_T4_T5_mT6_T7_P12ihipStream_tbENKUlT_T0_E_clISt17integral_constantIbLb1EES13_EEDaSY_SZ_EUlSY_E_NS1_11comp_targetILNS1_3genE9ELNS1_11target_archE1100ELNS1_3gpuE3ELNS1_3repE0EEENS1_30default_config_static_selectorELNS0_4arch9wavefront6targetE0EEEvT1_.num_named_barrier, 0
	.set _ZN7rocprim17ROCPRIM_400000_NS6detail17trampoline_kernelINS0_14default_configENS1_27scan_by_key_config_selectorIifEEZZNS1_16scan_by_key_implILNS1_25lookback_scan_determinismE0ELb1ES3_N6thrust23THRUST_200600_302600_NS6detail15normal_iteratorINS9_10device_ptrIiEEEENSB_INSC_IjEEEENSB_INSC_IfEEEEfNS9_4plusIvEENS9_8equal_toIvEEfEE10hipError_tPvRmT2_T3_T4_T5_mT6_T7_P12ihipStream_tbENKUlT_T0_E_clISt17integral_constantIbLb1EES13_EEDaSY_SZ_EUlSY_E_NS1_11comp_targetILNS1_3genE9ELNS1_11target_archE1100ELNS1_3gpuE3ELNS1_3repE0EEENS1_30default_config_static_selectorELNS0_4arch9wavefront6targetE0EEEvT1_.private_seg_size, 0
	.set _ZN7rocprim17ROCPRIM_400000_NS6detail17trampoline_kernelINS0_14default_configENS1_27scan_by_key_config_selectorIifEEZZNS1_16scan_by_key_implILNS1_25lookback_scan_determinismE0ELb1ES3_N6thrust23THRUST_200600_302600_NS6detail15normal_iteratorINS9_10device_ptrIiEEEENSB_INSC_IjEEEENSB_INSC_IfEEEEfNS9_4plusIvEENS9_8equal_toIvEEfEE10hipError_tPvRmT2_T3_T4_T5_mT6_T7_P12ihipStream_tbENKUlT_T0_E_clISt17integral_constantIbLb1EES13_EEDaSY_SZ_EUlSY_E_NS1_11comp_targetILNS1_3genE9ELNS1_11target_archE1100ELNS1_3gpuE3ELNS1_3repE0EEENS1_30default_config_static_selectorELNS0_4arch9wavefront6targetE0EEEvT1_.uses_vcc, 0
	.set _ZN7rocprim17ROCPRIM_400000_NS6detail17trampoline_kernelINS0_14default_configENS1_27scan_by_key_config_selectorIifEEZZNS1_16scan_by_key_implILNS1_25lookback_scan_determinismE0ELb1ES3_N6thrust23THRUST_200600_302600_NS6detail15normal_iteratorINS9_10device_ptrIiEEEENSB_INSC_IjEEEENSB_INSC_IfEEEEfNS9_4plusIvEENS9_8equal_toIvEEfEE10hipError_tPvRmT2_T3_T4_T5_mT6_T7_P12ihipStream_tbENKUlT_T0_E_clISt17integral_constantIbLb1EES13_EEDaSY_SZ_EUlSY_E_NS1_11comp_targetILNS1_3genE9ELNS1_11target_archE1100ELNS1_3gpuE3ELNS1_3repE0EEENS1_30default_config_static_selectorELNS0_4arch9wavefront6targetE0EEEvT1_.uses_flat_scratch, 0
	.set _ZN7rocprim17ROCPRIM_400000_NS6detail17trampoline_kernelINS0_14default_configENS1_27scan_by_key_config_selectorIifEEZZNS1_16scan_by_key_implILNS1_25lookback_scan_determinismE0ELb1ES3_N6thrust23THRUST_200600_302600_NS6detail15normal_iteratorINS9_10device_ptrIiEEEENSB_INSC_IjEEEENSB_INSC_IfEEEEfNS9_4plusIvEENS9_8equal_toIvEEfEE10hipError_tPvRmT2_T3_T4_T5_mT6_T7_P12ihipStream_tbENKUlT_T0_E_clISt17integral_constantIbLb1EES13_EEDaSY_SZ_EUlSY_E_NS1_11comp_targetILNS1_3genE9ELNS1_11target_archE1100ELNS1_3gpuE3ELNS1_3repE0EEENS1_30default_config_static_selectorELNS0_4arch9wavefront6targetE0EEEvT1_.has_dyn_sized_stack, 0
	.set _ZN7rocprim17ROCPRIM_400000_NS6detail17trampoline_kernelINS0_14default_configENS1_27scan_by_key_config_selectorIifEEZZNS1_16scan_by_key_implILNS1_25lookback_scan_determinismE0ELb1ES3_N6thrust23THRUST_200600_302600_NS6detail15normal_iteratorINS9_10device_ptrIiEEEENSB_INSC_IjEEEENSB_INSC_IfEEEEfNS9_4plusIvEENS9_8equal_toIvEEfEE10hipError_tPvRmT2_T3_T4_T5_mT6_T7_P12ihipStream_tbENKUlT_T0_E_clISt17integral_constantIbLb1EES13_EEDaSY_SZ_EUlSY_E_NS1_11comp_targetILNS1_3genE9ELNS1_11target_archE1100ELNS1_3gpuE3ELNS1_3repE0EEENS1_30default_config_static_selectorELNS0_4arch9wavefront6targetE0EEEvT1_.has_recursion, 0
	.set _ZN7rocprim17ROCPRIM_400000_NS6detail17trampoline_kernelINS0_14default_configENS1_27scan_by_key_config_selectorIifEEZZNS1_16scan_by_key_implILNS1_25lookback_scan_determinismE0ELb1ES3_N6thrust23THRUST_200600_302600_NS6detail15normal_iteratorINS9_10device_ptrIiEEEENSB_INSC_IjEEEENSB_INSC_IfEEEEfNS9_4plusIvEENS9_8equal_toIvEEfEE10hipError_tPvRmT2_T3_T4_T5_mT6_T7_P12ihipStream_tbENKUlT_T0_E_clISt17integral_constantIbLb1EES13_EEDaSY_SZ_EUlSY_E_NS1_11comp_targetILNS1_3genE9ELNS1_11target_archE1100ELNS1_3gpuE3ELNS1_3repE0EEENS1_30default_config_static_selectorELNS0_4arch9wavefront6targetE0EEEvT1_.has_indirect_call, 0
	.section	.AMDGPU.csdata,"",@progbits
; Kernel info:
; codeLenInByte = 0
; TotalNumSgprs: 0
; NumVgprs: 0
; ScratchSize: 0
; MemoryBound: 0
; FloatMode: 240
; IeeeMode: 1
; LDSByteSize: 0 bytes/workgroup (compile time only)
; SGPRBlocks: 0
; VGPRBlocks: 0
; NumSGPRsForWavesPerEU: 1
; NumVGPRsForWavesPerEU: 1
; Occupancy: 16
; WaveLimiterHint : 0
; COMPUTE_PGM_RSRC2:SCRATCH_EN: 0
; COMPUTE_PGM_RSRC2:USER_SGPR: 6
; COMPUTE_PGM_RSRC2:TRAP_HANDLER: 0
; COMPUTE_PGM_RSRC2:TGID_X_EN: 1
; COMPUTE_PGM_RSRC2:TGID_Y_EN: 0
; COMPUTE_PGM_RSRC2:TGID_Z_EN: 0
; COMPUTE_PGM_RSRC2:TIDIG_COMP_CNT: 0
	.section	.text._ZN7rocprim17ROCPRIM_400000_NS6detail17trampoline_kernelINS0_14default_configENS1_27scan_by_key_config_selectorIifEEZZNS1_16scan_by_key_implILNS1_25lookback_scan_determinismE0ELb1ES3_N6thrust23THRUST_200600_302600_NS6detail15normal_iteratorINS9_10device_ptrIiEEEENSB_INSC_IjEEEENSB_INSC_IfEEEEfNS9_4plusIvEENS9_8equal_toIvEEfEE10hipError_tPvRmT2_T3_T4_T5_mT6_T7_P12ihipStream_tbENKUlT_T0_E_clISt17integral_constantIbLb1EES13_EEDaSY_SZ_EUlSY_E_NS1_11comp_targetILNS1_3genE8ELNS1_11target_archE1030ELNS1_3gpuE2ELNS1_3repE0EEENS1_30default_config_static_selectorELNS0_4arch9wavefront6targetE0EEEvT1_,"axG",@progbits,_ZN7rocprim17ROCPRIM_400000_NS6detail17trampoline_kernelINS0_14default_configENS1_27scan_by_key_config_selectorIifEEZZNS1_16scan_by_key_implILNS1_25lookback_scan_determinismE0ELb1ES3_N6thrust23THRUST_200600_302600_NS6detail15normal_iteratorINS9_10device_ptrIiEEEENSB_INSC_IjEEEENSB_INSC_IfEEEEfNS9_4plusIvEENS9_8equal_toIvEEfEE10hipError_tPvRmT2_T3_T4_T5_mT6_T7_P12ihipStream_tbENKUlT_T0_E_clISt17integral_constantIbLb1EES13_EEDaSY_SZ_EUlSY_E_NS1_11comp_targetILNS1_3genE8ELNS1_11target_archE1030ELNS1_3gpuE2ELNS1_3repE0EEENS1_30default_config_static_selectorELNS0_4arch9wavefront6targetE0EEEvT1_,comdat
	.protected	_ZN7rocprim17ROCPRIM_400000_NS6detail17trampoline_kernelINS0_14default_configENS1_27scan_by_key_config_selectorIifEEZZNS1_16scan_by_key_implILNS1_25lookback_scan_determinismE0ELb1ES3_N6thrust23THRUST_200600_302600_NS6detail15normal_iteratorINS9_10device_ptrIiEEEENSB_INSC_IjEEEENSB_INSC_IfEEEEfNS9_4plusIvEENS9_8equal_toIvEEfEE10hipError_tPvRmT2_T3_T4_T5_mT6_T7_P12ihipStream_tbENKUlT_T0_E_clISt17integral_constantIbLb1EES13_EEDaSY_SZ_EUlSY_E_NS1_11comp_targetILNS1_3genE8ELNS1_11target_archE1030ELNS1_3gpuE2ELNS1_3repE0EEENS1_30default_config_static_selectorELNS0_4arch9wavefront6targetE0EEEvT1_ ; -- Begin function _ZN7rocprim17ROCPRIM_400000_NS6detail17trampoline_kernelINS0_14default_configENS1_27scan_by_key_config_selectorIifEEZZNS1_16scan_by_key_implILNS1_25lookback_scan_determinismE0ELb1ES3_N6thrust23THRUST_200600_302600_NS6detail15normal_iteratorINS9_10device_ptrIiEEEENSB_INSC_IjEEEENSB_INSC_IfEEEEfNS9_4plusIvEENS9_8equal_toIvEEfEE10hipError_tPvRmT2_T3_T4_T5_mT6_T7_P12ihipStream_tbENKUlT_T0_E_clISt17integral_constantIbLb1EES13_EEDaSY_SZ_EUlSY_E_NS1_11comp_targetILNS1_3genE8ELNS1_11target_archE1030ELNS1_3gpuE2ELNS1_3repE0EEENS1_30default_config_static_selectorELNS0_4arch9wavefront6targetE0EEEvT1_
	.globl	_ZN7rocprim17ROCPRIM_400000_NS6detail17trampoline_kernelINS0_14default_configENS1_27scan_by_key_config_selectorIifEEZZNS1_16scan_by_key_implILNS1_25lookback_scan_determinismE0ELb1ES3_N6thrust23THRUST_200600_302600_NS6detail15normal_iteratorINS9_10device_ptrIiEEEENSB_INSC_IjEEEENSB_INSC_IfEEEEfNS9_4plusIvEENS9_8equal_toIvEEfEE10hipError_tPvRmT2_T3_T4_T5_mT6_T7_P12ihipStream_tbENKUlT_T0_E_clISt17integral_constantIbLb1EES13_EEDaSY_SZ_EUlSY_E_NS1_11comp_targetILNS1_3genE8ELNS1_11target_archE1030ELNS1_3gpuE2ELNS1_3repE0EEENS1_30default_config_static_selectorELNS0_4arch9wavefront6targetE0EEEvT1_
	.p2align	8
	.type	_ZN7rocprim17ROCPRIM_400000_NS6detail17trampoline_kernelINS0_14default_configENS1_27scan_by_key_config_selectorIifEEZZNS1_16scan_by_key_implILNS1_25lookback_scan_determinismE0ELb1ES3_N6thrust23THRUST_200600_302600_NS6detail15normal_iteratorINS9_10device_ptrIiEEEENSB_INSC_IjEEEENSB_INSC_IfEEEEfNS9_4plusIvEENS9_8equal_toIvEEfEE10hipError_tPvRmT2_T3_T4_T5_mT6_T7_P12ihipStream_tbENKUlT_T0_E_clISt17integral_constantIbLb1EES13_EEDaSY_SZ_EUlSY_E_NS1_11comp_targetILNS1_3genE8ELNS1_11target_archE1030ELNS1_3gpuE2ELNS1_3repE0EEENS1_30default_config_static_selectorELNS0_4arch9wavefront6targetE0EEEvT1_,@function
_ZN7rocprim17ROCPRIM_400000_NS6detail17trampoline_kernelINS0_14default_configENS1_27scan_by_key_config_selectorIifEEZZNS1_16scan_by_key_implILNS1_25lookback_scan_determinismE0ELb1ES3_N6thrust23THRUST_200600_302600_NS6detail15normal_iteratorINS9_10device_ptrIiEEEENSB_INSC_IjEEEENSB_INSC_IfEEEEfNS9_4plusIvEENS9_8equal_toIvEEfEE10hipError_tPvRmT2_T3_T4_T5_mT6_T7_P12ihipStream_tbENKUlT_T0_E_clISt17integral_constantIbLb1EES13_EEDaSY_SZ_EUlSY_E_NS1_11comp_targetILNS1_3genE8ELNS1_11target_archE1030ELNS1_3gpuE2ELNS1_3repE0EEENS1_30default_config_static_selectorELNS0_4arch9wavefront6targetE0EEEvT1_: ; @_ZN7rocprim17ROCPRIM_400000_NS6detail17trampoline_kernelINS0_14default_configENS1_27scan_by_key_config_selectorIifEEZZNS1_16scan_by_key_implILNS1_25lookback_scan_determinismE0ELb1ES3_N6thrust23THRUST_200600_302600_NS6detail15normal_iteratorINS9_10device_ptrIiEEEENSB_INSC_IjEEEENSB_INSC_IfEEEEfNS9_4plusIvEENS9_8equal_toIvEEfEE10hipError_tPvRmT2_T3_T4_T5_mT6_T7_P12ihipStream_tbENKUlT_T0_E_clISt17integral_constantIbLb1EES13_EEDaSY_SZ_EUlSY_E_NS1_11comp_targetILNS1_3genE8ELNS1_11target_archE1030ELNS1_3gpuE2ELNS1_3repE0EEENS1_30default_config_static_selectorELNS0_4arch9wavefront6targetE0EEEvT1_
; %bb.0:
	s_endpgm
	.section	.rodata,"a",@progbits
	.p2align	6, 0x0
	.amdhsa_kernel _ZN7rocprim17ROCPRIM_400000_NS6detail17trampoline_kernelINS0_14default_configENS1_27scan_by_key_config_selectorIifEEZZNS1_16scan_by_key_implILNS1_25lookback_scan_determinismE0ELb1ES3_N6thrust23THRUST_200600_302600_NS6detail15normal_iteratorINS9_10device_ptrIiEEEENSB_INSC_IjEEEENSB_INSC_IfEEEEfNS9_4plusIvEENS9_8equal_toIvEEfEE10hipError_tPvRmT2_T3_T4_T5_mT6_T7_P12ihipStream_tbENKUlT_T0_E_clISt17integral_constantIbLb1EES13_EEDaSY_SZ_EUlSY_E_NS1_11comp_targetILNS1_3genE8ELNS1_11target_archE1030ELNS1_3gpuE2ELNS1_3repE0EEENS1_30default_config_static_selectorELNS0_4arch9wavefront6targetE0EEEvT1_
		.amdhsa_group_segment_fixed_size 0
		.amdhsa_private_segment_fixed_size 0
		.amdhsa_kernarg_size 112
		.amdhsa_user_sgpr_count 6
		.amdhsa_user_sgpr_private_segment_buffer 1
		.amdhsa_user_sgpr_dispatch_ptr 0
		.amdhsa_user_sgpr_queue_ptr 0
		.amdhsa_user_sgpr_kernarg_segment_ptr 1
		.amdhsa_user_sgpr_dispatch_id 0
		.amdhsa_user_sgpr_flat_scratch_init 0
		.amdhsa_user_sgpr_private_segment_size 0
		.amdhsa_wavefront_size32 1
		.amdhsa_uses_dynamic_stack 0
		.amdhsa_system_sgpr_private_segment_wavefront_offset 0
		.amdhsa_system_sgpr_workgroup_id_x 1
		.amdhsa_system_sgpr_workgroup_id_y 0
		.amdhsa_system_sgpr_workgroup_id_z 0
		.amdhsa_system_sgpr_workgroup_info 0
		.amdhsa_system_vgpr_workitem_id 0
		.amdhsa_next_free_vgpr 1
		.amdhsa_next_free_sgpr 1
		.amdhsa_reserve_vcc 0
		.amdhsa_reserve_flat_scratch 0
		.amdhsa_float_round_mode_32 0
		.amdhsa_float_round_mode_16_64 0
		.amdhsa_float_denorm_mode_32 3
		.amdhsa_float_denorm_mode_16_64 3
		.amdhsa_dx10_clamp 1
		.amdhsa_ieee_mode 1
		.amdhsa_fp16_overflow 0
		.amdhsa_workgroup_processor_mode 1
		.amdhsa_memory_ordered 1
		.amdhsa_forward_progress 1
		.amdhsa_shared_vgpr_count 0
		.amdhsa_exception_fp_ieee_invalid_op 0
		.amdhsa_exception_fp_denorm_src 0
		.amdhsa_exception_fp_ieee_div_zero 0
		.amdhsa_exception_fp_ieee_overflow 0
		.amdhsa_exception_fp_ieee_underflow 0
		.amdhsa_exception_fp_ieee_inexact 0
		.amdhsa_exception_int_div_zero 0
	.end_amdhsa_kernel
	.section	.text._ZN7rocprim17ROCPRIM_400000_NS6detail17trampoline_kernelINS0_14default_configENS1_27scan_by_key_config_selectorIifEEZZNS1_16scan_by_key_implILNS1_25lookback_scan_determinismE0ELb1ES3_N6thrust23THRUST_200600_302600_NS6detail15normal_iteratorINS9_10device_ptrIiEEEENSB_INSC_IjEEEENSB_INSC_IfEEEEfNS9_4plusIvEENS9_8equal_toIvEEfEE10hipError_tPvRmT2_T3_T4_T5_mT6_T7_P12ihipStream_tbENKUlT_T0_E_clISt17integral_constantIbLb1EES13_EEDaSY_SZ_EUlSY_E_NS1_11comp_targetILNS1_3genE8ELNS1_11target_archE1030ELNS1_3gpuE2ELNS1_3repE0EEENS1_30default_config_static_selectorELNS0_4arch9wavefront6targetE0EEEvT1_,"axG",@progbits,_ZN7rocprim17ROCPRIM_400000_NS6detail17trampoline_kernelINS0_14default_configENS1_27scan_by_key_config_selectorIifEEZZNS1_16scan_by_key_implILNS1_25lookback_scan_determinismE0ELb1ES3_N6thrust23THRUST_200600_302600_NS6detail15normal_iteratorINS9_10device_ptrIiEEEENSB_INSC_IjEEEENSB_INSC_IfEEEEfNS9_4plusIvEENS9_8equal_toIvEEfEE10hipError_tPvRmT2_T3_T4_T5_mT6_T7_P12ihipStream_tbENKUlT_T0_E_clISt17integral_constantIbLb1EES13_EEDaSY_SZ_EUlSY_E_NS1_11comp_targetILNS1_3genE8ELNS1_11target_archE1030ELNS1_3gpuE2ELNS1_3repE0EEENS1_30default_config_static_selectorELNS0_4arch9wavefront6targetE0EEEvT1_,comdat
.Lfunc_end1697:
	.size	_ZN7rocprim17ROCPRIM_400000_NS6detail17trampoline_kernelINS0_14default_configENS1_27scan_by_key_config_selectorIifEEZZNS1_16scan_by_key_implILNS1_25lookback_scan_determinismE0ELb1ES3_N6thrust23THRUST_200600_302600_NS6detail15normal_iteratorINS9_10device_ptrIiEEEENSB_INSC_IjEEEENSB_INSC_IfEEEEfNS9_4plusIvEENS9_8equal_toIvEEfEE10hipError_tPvRmT2_T3_T4_T5_mT6_T7_P12ihipStream_tbENKUlT_T0_E_clISt17integral_constantIbLb1EES13_EEDaSY_SZ_EUlSY_E_NS1_11comp_targetILNS1_3genE8ELNS1_11target_archE1030ELNS1_3gpuE2ELNS1_3repE0EEENS1_30default_config_static_selectorELNS0_4arch9wavefront6targetE0EEEvT1_, .Lfunc_end1697-_ZN7rocprim17ROCPRIM_400000_NS6detail17trampoline_kernelINS0_14default_configENS1_27scan_by_key_config_selectorIifEEZZNS1_16scan_by_key_implILNS1_25lookback_scan_determinismE0ELb1ES3_N6thrust23THRUST_200600_302600_NS6detail15normal_iteratorINS9_10device_ptrIiEEEENSB_INSC_IjEEEENSB_INSC_IfEEEEfNS9_4plusIvEENS9_8equal_toIvEEfEE10hipError_tPvRmT2_T3_T4_T5_mT6_T7_P12ihipStream_tbENKUlT_T0_E_clISt17integral_constantIbLb1EES13_EEDaSY_SZ_EUlSY_E_NS1_11comp_targetILNS1_3genE8ELNS1_11target_archE1030ELNS1_3gpuE2ELNS1_3repE0EEENS1_30default_config_static_selectorELNS0_4arch9wavefront6targetE0EEEvT1_
                                        ; -- End function
	.set _ZN7rocprim17ROCPRIM_400000_NS6detail17trampoline_kernelINS0_14default_configENS1_27scan_by_key_config_selectorIifEEZZNS1_16scan_by_key_implILNS1_25lookback_scan_determinismE0ELb1ES3_N6thrust23THRUST_200600_302600_NS6detail15normal_iteratorINS9_10device_ptrIiEEEENSB_INSC_IjEEEENSB_INSC_IfEEEEfNS9_4plusIvEENS9_8equal_toIvEEfEE10hipError_tPvRmT2_T3_T4_T5_mT6_T7_P12ihipStream_tbENKUlT_T0_E_clISt17integral_constantIbLb1EES13_EEDaSY_SZ_EUlSY_E_NS1_11comp_targetILNS1_3genE8ELNS1_11target_archE1030ELNS1_3gpuE2ELNS1_3repE0EEENS1_30default_config_static_selectorELNS0_4arch9wavefront6targetE0EEEvT1_.num_vgpr, 0
	.set _ZN7rocprim17ROCPRIM_400000_NS6detail17trampoline_kernelINS0_14default_configENS1_27scan_by_key_config_selectorIifEEZZNS1_16scan_by_key_implILNS1_25lookback_scan_determinismE0ELb1ES3_N6thrust23THRUST_200600_302600_NS6detail15normal_iteratorINS9_10device_ptrIiEEEENSB_INSC_IjEEEENSB_INSC_IfEEEEfNS9_4plusIvEENS9_8equal_toIvEEfEE10hipError_tPvRmT2_T3_T4_T5_mT6_T7_P12ihipStream_tbENKUlT_T0_E_clISt17integral_constantIbLb1EES13_EEDaSY_SZ_EUlSY_E_NS1_11comp_targetILNS1_3genE8ELNS1_11target_archE1030ELNS1_3gpuE2ELNS1_3repE0EEENS1_30default_config_static_selectorELNS0_4arch9wavefront6targetE0EEEvT1_.num_agpr, 0
	.set _ZN7rocprim17ROCPRIM_400000_NS6detail17trampoline_kernelINS0_14default_configENS1_27scan_by_key_config_selectorIifEEZZNS1_16scan_by_key_implILNS1_25lookback_scan_determinismE0ELb1ES3_N6thrust23THRUST_200600_302600_NS6detail15normal_iteratorINS9_10device_ptrIiEEEENSB_INSC_IjEEEENSB_INSC_IfEEEEfNS9_4plusIvEENS9_8equal_toIvEEfEE10hipError_tPvRmT2_T3_T4_T5_mT6_T7_P12ihipStream_tbENKUlT_T0_E_clISt17integral_constantIbLb1EES13_EEDaSY_SZ_EUlSY_E_NS1_11comp_targetILNS1_3genE8ELNS1_11target_archE1030ELNS1_3gpuE2ELNS1_3repE0EEENS1_30default_config_static_selectorELNS0_4arch9wavefront6targetE0EEEvT1_.numbered_sgpr, 0
	.set _ZN7rocprim17ROCPRIM_400000_NS6detail17trampoline_kernelINS0_14default_configENS1_27scan_by_key_config_selectorIifEEZZNS1_16scan_by_key_implILNS1_25lookback_scan_determinismE0ELb1ES3_N6thrust23THRUST_200600_302600_NS6detail15normal_iteratorINS9_10device_ptrIiEEEENSB_INSC_IjEEEENSB_INSC_IfEEEEfNS9_4plusIvEENS9_8equal_toIvEEfEE10hipError_tPvRmT2_T3_T4_T5_mT6_T7_P12ihipStream_tbENKUlT_T0_E_clISt17integral_constantIbLb1EES13_EEDaSY_SZ_EUlSY_E_NS1_11comp_targetILNS1_3genE8ELNS1_11target_archE1030ELNS1_3gpuE2ELNS1_3repE0EEENS1_30default_config_static_selectorELNS0_4arch9wavefront6targetE0EEEvT1_.num_named_barrier, 0
	.set _ZN7rocprim17ROCPRIM_400000_NS6detail17trampoline_kernelINS0_14default_configENS1_27scan_by_key_config_selectorIifEEZZNS1_16scan_by_key_implILNS1_25lookback_scan_determinismE0ELb1ES3_N6thrust23THRUST_200600_302600_NS6detail15normal_iteratorINS9_10device_ptrIiEEEENSB_INSC_IjEEEENSB_INSC_IfEEEEfNS9_4plusIvEENS9_8equal_toIvEEfEE10hipError_tPvRmT2_T3_T4_T5_mT6_T7_P12ihipStream_tbENKUlT_T0_E_clISt17integral_constantIbLb1EES13_EEDaSY_SZ_EUlSY_E_NS1_11comp_targetILNS1_3genE8ELNS1_11target_archE1030ELNS1_3gpuE2ELNS1_3repE0EEENS1_30default_config_static_selectorELNS0_4arch9wavefront6targetE0EEEvT1_.private_seg_size, 0
	.set _ZN7rocprim17ROCPRIM_400000_NS6detail17trampoline_kernelINS0_14default_configENS1_27scan_by_key_config_selectorIifEEZZNS1_16scan_by_key_implILNS1_25lookback_scan_determinismE0ELb1ES3_N6thrust23THRUST_200600_302600_NS6detail15normal_iteratorINS9_10device_ptrIiEEEENSB_INSC_IjEEEENSB_INSC_IfEEEEfNS9_4plusIvEENS9_8equal_toIvEEfEE10hipError_tPvRmT2_T3_T4_T5_mT6_T7_P12ihipStream_tbENKUlT_T0_E_clISt17integral_constantIbLb1EES13_EEDaSY_SZ_EUlSY_E_NS1_11comp_targetILNS1_3genE8ELNS1_11target_archE1030ELNS1_3gpuE2ELNS1_3repE0EEENS1_30default_config_static_selectorELNS0_4arch9wavefront6targetE0EEEvT1_.uses_vcc, 0
	.set _ZN7rocprim17ROCPRIM_400000_NS6detail17trampoline_kernelINS0_14default_configENS1_27scan_by_key_config_selectorIifEEZZNS1_16scan_by_key_implILNS1_25lookback_scan_determinismE0ELb1ES3_N6thrust23THRUST_200600_302600_NS6detail15normal_iteratorINS9_10device_ptrIiEEEENSB_INSC_IjEEEENSB_INSC_IfEEEEfNS9_4plusIvEENS9_8equal_toIvEEfEE10hipError_tPvRmT2_T3_T4_T5_mT6_T7_P12ihipStream_tbENKUlT_T0_E_clISt17integral_constantIbLb1EES13_EEDaSY_SZ_EUlSY_E_NS1_11comp_targetILNS1_3genE8ELNS1_11target_archE1030ELNS1_3gpuE2ELNS1_3repE0EEENS1_30default_config_static_selectorELNS0_4arch9wavefront6targetE0EEEvT1_.uses_flat_scratch, 0
	.set _ZN7rocprim17ROCPRIM_400000_NS6detail17trampoline_kernelINS0_14default_configENS1_27scan_by_key_config_selectorIifEEZZNS1_16scan_by_key_implILNS1_25lookback_scan_determinismE0ELb1ES3_N6thrust23THRUST_200600_302600_NS6detail15normal_iteratorINS9_10device_ptrIiEEEENSB_INSC_IjEEEENSB_INSC_IfEEEEfNS9_4plusIvEENS9_8equal_toIvEEfEE10hipError_tPvRmT2_T3_T4_T5_mT6_T7_P12ihipStream_tbENKUlT_T0_E_clISt17integral_constantIbLb1EES13_EEDaSY_SZ_EUlSY_E_NS1_11comp_targetILNS1_3genE8ELNS1_11target_archE1030ELNS1_3gpuE2ELNS1_3repE0EEENS1_30default_config_static_selectorELNS0_4arch9wavefront6targetE0EEEvT1_.has_dyn_sized_stack, 0
	.set _ZN7rocprim17ROCPRIM_400000_NS6detail17trampoline_kernelINS0_14default_configENS1_27scan_by_key_config_selectorIifEEZZNS1_16scan_by_key_implILNS1_25lookback_scan_determinismE0ELb1ES3_N6thrust23THRUST_200600_302600_NS6detail15normal_iteratorINS9_10device_ptrIiEEEENSB_INSC_IjEEEENSB_INSC_IfEEEEfNS9_4plusIvEENS9_8equal_toIvEEfEE10hipError_tPvRmT2_T3_T4_T5_mT6_T7_P12ihipStream_tbENKUlT_T0_E_clISt17integral_constantIbLb1EES13_EEDaSY_SZ_EUlSY_E_NS1_11comp_targetILNS1_3genE8ELNS1_11target_archE1030ELNS1_3gpuE2ELNS1_3repE0EEENS1_30default_config_static_selectorELNS0_4arch9wavefront6targetE0EEEvT1_.has_recursion, 0
	.set _ZN7rocprim17ROCPRIM_400000_NS6detail17trampoline_kernelINS0_14default_configENS1_27scan_by_key_config_selectorIifEEZZNS1_16scan_by_key_implILNS1_25lookback_scan_determinismE0ELb1ES3_N6thrust23THRUST_200600_302600_NS6detail15normal_iteratorINS9_10device_ptrIiEEEENSB_INSC_IjEEEENSB_INSC_IfEEEEfNS9_4plusIvEENS9_8equal_toIvEEfEE10hipError_tPvRmT2_T3_T4_T5_mT6_T7_P12ihipStream_tbENKUlT_T0_E_clISt17integral_constantIbLb1EES13_EEDaSY_SZ_EUlSY_E_NS1_11comp_targetILNS1_3genE8ELNS1_11target_archE1030ELNS1_3gpuE2ELNS1_3repE0EEENS1_30default_config_static_selectorELNS0_4arch9wavefront6targetE0EEEvT1_.has_indirect_call, 0
	.section	.AMDGPU.csdata,"",@progbits
; Kernel info:
; codeLenInByte = 4
; TotalNumSgprs: 0
; NumVgprs: 0
; ScratchSize: 0
; MemoryBound: 0
; FloatMode: 240
; IeeeMode: 1
; LDSByteSize: 0 bytes/workgroup (compile time only)
; SGPRBlocks: 0
; VGPRBlocks: 0
; NumSGPRsForWavesPerEU: 1
; NumVGPRsForWavesPerEU: 1
; Occupancy: 16
; WaveLimiterHint : 0
; COMPUTE_PGM_RSRC2:SCRATCH_EN: 0
; COMPUTE_PGM_RSRC2:USER_SGPR: 6
; COMPUTE_PGM_RSRC2:TRAP_HANDLER: 0
; COMPUTE_PGM_RSRC2:TGID_X_EN: 1
; COMPUTE_PGM_RSRC2:TGID_Y_EN: 0
; COMPUTE_PGM_RSRC2:TGID_Z_EN: 0
; COMPUTE_PGM_RSRC2:TIDIG_COMP_CNT: 0
	.section	.text._ZN7rocprim17ROCPRIM_400000_NS6detail17trampoline_kernelINS0_14default_configENS1_27scan_by_key_config_selectorIifEEZZNS1_16scan_by_key_implILNS1_25lookback_scan_determinismE0ELb1ES3_N6thrust23THRUST_200600_302600_NS6detail15normal_iteratorINS9_10device_ptrIiEEEENSB_INSC_IjEEEENSB_INSC_IfEEEEfNS9_4plusIvEENS9_8equal_toIvEEfEE10hipError_tPvRmT2_T3_T4_T5_mT6_T7_P12ihipStream_tbENKUlT_T0_E_clISt17integral_constantIbLb1EES12_IbLb0EEEEDaSY_SZ_EUlSY_E_NS1_11comp_targetILNS1_3genE0ELNS1_11target_archE4294967295ELNS1_3gpuE0ELNS1_3repE0EEENS1_30default_config_static_selectorELNS0_4arch9wavefront6targetE0EEEvT1_,"axG",@progbits,_ZN7rocprim17ROCPRIM_400000_NS6detail17trampoline_kernelINS0_14default_configENS1_27scan_by_key_config_selectorIifEEZZNS1_16scan_by_key_implILNS1_25lookback_scan_determinismE0ELb1ES3_N6thrust23THRUST_200600_302600_NS6detail15normal_iteratorINS9_10device_ptrIiEEEENSB_INSC_IjEEEENSB_INSC_IfEEEEfNS9_4plusIvEENS9_8equal_toIvEEfEE10hipError_tPvRmT2_T3_T4_T5_mT6_T7_P12ihipStream_tbENKUlT_T0_E_clISt17integral_constantIbLb1EES12_IbLb0EEEEDaSY_SZ_EUlSY_E_NS1_11comp_targetILNS1_3genE0ELNS1_11target_archE4294967295ELNS1_3gpuE0ELNS1_3repE0EEENS1_30default_config_static_selectorELNS0_4arch9wavefront6targetE0EEEvT1_,comdat
	.protected	_ZN7rocprim17ROCPRIM_400000_NS6detail17trampoline_kernelINS0_14default_configENS1_27scan_by_key_config_selectorIifEEZZNS1_16scan_by_key_implILNS1_25lookback_scan_determinismE0ELb1ES3_N6thrust23THRUST_200600_302600_NS6detail15normal_iteratorINS9_10device_ptrIiEEEENSB_INSC_IjEEEENSB_INSC_IfEEEEfNS9_4plusIvEENS9_8equal_toIvEEfEE10hipError_tPvRmT2_T3_T4_T5_mT6_T7_P12ihipStream_tbENKUlT_T0_E_clISt17integral_constantIbLb1EES12_IbLb0EEEEDaSY_SZ_EUlSY_E_NS1_11comp_targetILNS1_3genE0ELNS1_11target_archE4294967295ELNS1_3gpuE0ELNS1_3repE0EEENS1_30default_config_static_selectorELNS0_4arch9wavefront6targetE0EEEvT1_ ; -- Begin function _ZN7rocprim17ROCPRIM_400000_NS6detail17trampoline_kernelINS0_14default_configENS1_27scan_by_key_config_selectorIifEEZZNS1_16scan_by_key_implILNS1_25lookback_scan_determinismE0ELb1ES3_N6thrust23THRUST_200600_302600_NS6detail15normal_iteratorINS9_10device_ptrIiEEEENSB_INSC_IjEEEENSB_INSC_IfEEEEfNS9_4plusIvEENS9_8equal_toIvEEfEE10hipError_tPvRmT2_T3_T4_T5_mT6_T7_P12ihipStream_tbENKUlT_T0_E_clISt17integral_constantIbLb1EES12_IbLb0EEEEDaSY_SZ_EUlSY_E_NS1_11comp_targetILNS1_3genE0ELNS1_11target_archE4294967295ELNS1_3gpuE0ELNS1_3repE0EEENS1_30default_config_static_selectorELNS0_4arch9wavefront6targetE0EEEvT1_
	.globl	_ZN7rocprim17ROCPRIM_400000_NS6detail17trampoline_kernelINS0_14default_configENS1_27scan_by_key_config_selectorIifEEZZNS1_16scan_by_key_implILNS1_25lookback_scan_determinismE0ELb1ES3_N6thrust23THRUST_200600_302600_NS6detail15normal_iteratorINS9_10device_ptrIiEEEENSB_INSC_IjEEEENSB_INSC_IfEEEEfNS9_4plusIvEENS9_8equal_toIvEEfEE10hipError_tPvRmT2_T3_T4_T5_mT6_T7_P12ihipStream_tbENKUlT_T0_E_clISt17integral_constantIbLb1EES12_IbLb0EEEEDaSY_SZ_EUlSY_E_NS1_11comp_targetILNS1_3genE0ELNS1_11target_archE4294967295ELNS1_3gpuE0ELNS1_3repE0EEENS1_30default_config_static_selectorELNS0_4arch9wavefront6targetE0EEEvT1_
	.p2align	8
	.type	_ZN7rocprim17ROCPRIM_400000_NS6detail17trampoline_kernelINS0_14default_configENS1_27scan_by_key_config_selectorIifEEZZNS1_16scan_by_key_implILNS1_25lookback_scan_determinismE0ELb1ES3_N6thrust23THRUST_200600_302600_NS6detail15normal_iteratorINS9_10device_ptrIiEEEENSB_INSC_IjEEEENSB_INSC_IfEEEEfNS9_4plusIvEENS9_8equal_toIvEEfEE10hipError_tPvRmT2_T3_T4_T5_mT6_T7_P12ihipStream_tbENKUlT_T0_E_clISt17integral_constantIbLb1EES12_IbLb0EEEEDaSY_SZ_EUlSY_E_NS1_11comp_targetILNS1_3genE0ELNS1_11target_archE4294967295ELNS1_3gpuE0ELNS1_3repE0EEENS1_30default_config_static_selectorELNS0_4arch9wavefront6targetE0EEEvT1_,@function
_ZN7rocprim17ROCPRIM_400000_NS6detail17trampoline_kernelINS0_14default_configENS1_27scan_by_key_config_selectorIifEEZZNS1_16scan_by_key_implILNS1_25lookback_scan_determinismE0ELb1ES3_N6thrust23THRUST_200600_302600_NS6detail15normal_iteratorINS9_10device_ptrIiEEEENSB_INSC_IjEEEENSB_INSC_IfEEEEfNS9_4plusIvEENS9_8equal_toIvEEfEE10hipError_tPvRmT2_T3_T4_T5_mT6_T7_P12ihipStream_tbENKUlT_T0_E_clISt17integral_constantIbLb1EES12_IbLb0EEEEDaSY_SZ_EUlSY_E_NS1_11comp_targetILNS1_3genE0ELNS1_11target_archE4294967295ELNS1_3gpuE0ELNS1_3repE0EEENS1_30default_config_static_selectorELNS0_4arch9wavefront6targetE0EEEvT1_: ; @_ZN7rocprim17ROCPRIM_400000_NS6detail17trampoline_kernelINS0_14default_configENS1_27scan_by_key_config_selectorIifEEZZNS1_16scan_by_key_implILNS1_25lookback_scan_determinismE0ELb1ES3_N6thrust23THRUST_200600_302600_NS6detail15normal_iteratorINS9_10device_ptrIiEEEENSB_INSC_IjEEEENSB_INSC_IfEEEEfNS9_4plusIvEENS9_8equal_toIvEEfEE10hipError_tPvRmT2_T3_T4_T5_mT6_T7_P12ihipStream_tbENKUlT_T0_E_clISt17integral_constantIbLb1EES12_IbLb0EEEEDaSY_SZ_EUlSY_E_NS1_11comp_targetILNS1_3genE0ELNS1_11target_archE4294967295ELNS1_3gpuE0ELNS1_3repE0EEENS1_30default_config_static_selectorELNS0_4arch9wavefront6targetE0EEEvT1_
; %bb.0:
	.section	.rodata,"a",@progbits
	.p2align	6, 0x0
	.amdhsa_kernel _ZN7rocprim17ROCPRIM_400000_NS6detail17trampoline_kernelINS0_14default_configENS1_27scan_by_key_config_selectorIifEEZZNS1_16scan_by_key_implILNS1_25lookback_scan_determinismE0ELb1ES3_N6thrust23THRUST_200600_302600_NS6detail15normal_iteratorINS9_10device_ptrIiEEEENSB_INSC_IjEEEENSB_INSC_IfEEEEfNS9_4plusIvEENS9_8equal_toIvEEfEE10hipError_tPvRmT2_T3_T4_T5_mT6_T7_P12ihipStream_tbENKUlT_T0_E_clISt17integral_constantIbLb1EES12_IbLb0EEEEDaSY_SZ_EUlSY_E_NS1_11comp_targetILNS1_3genE0ELNS1_11target_archE4294967295ELNS1_3gpuE0ELNS1_3repE0EEENS1_30default_config_static_selectorELNS0_4arch9wavefront6targetE0EEEvT1_
		.amdhsa_group_segment_fixed_size 0
		.amdhsa_private_segment_fixed_size 0
		.amdhsa_kernarg_size 112
		.amdhsa_user_sgpr_count 6
		.amdhsa_user_sgpr_private_segment_buffer 1
		.amdhsa_user_sgpr_dispatch_ptr 0
		.amdhsa_user_sgpr_queue_ptr 0
		.amdhsa_user_sgpr_kernarg_segment_ptr 1
		.amdhsa_user_sgpr_dispatch_id 0
		.amdhsa_user_sgpr_flat_scratch_init 0
		.amdhsa_user_sgpr_private_segment_size 0
		.amdhsa_wavefront_size32 1
		.amdhsa_uses_dynamic_stack 0
		.amdhsa_system_sgpr_private_segment_wavefront_offset 0
		.amdhsa_system_sgpr_workgroup_id_x 1
		.amdhsa_system_sgpr_workgroup_id_y 0
		.amdhsa_system_sgpr_workgroup_id_z 0
		.amdhsa_system_sgpr_workgroup_info 0
		.amdhsa_system_vgpr_workitem_id 0
		.amdhsa_next_free_vgpr 1
		.amdhsa_next_free_sgpr 1
		.amdhsa_reserve_vcc 0
		.amdhsa_reserve_flat_scratch 0
		.amdhsa_float_round_mode_32 0
		.amdhsa_float_round_mode_16_64 0
		.amdhsa_float_denorm_mode_32 3
		.amdhsa_float_denorm_mode_16_64 3
		.amdhsa_dx10_clamp 1
		.amdhsa_ieee_mode 1
		.amdhsa_fp16_overflow 0
		.amdhsa_workgroup_processor_mode 1
		.amdhsa_memory_ordered 1
		.amdhsa_forward_progress 1
		.amdhsa_shared_vgpr_count 0
		.amdhsa_exception_fp_ieee_invalid_op 0
		.amdhsa_exception_fp_denorm_src 0
		.amdhsa_exception_fp_ieee_div_zero 0
		.amdhsa_exception_fp_ieee_overflow 0
		.amdhsa_exception_fp_ieee_underflow 0
		.amdhsa_exception_fp_ieee_inexact 0
		.amdhsa_exception_int_div_zero 0
	.end_amdhsa_kernel
	.section	.text._ZN7rocprim17ROCPRIM_400000_NS6detail17trampoline_kernelINS0_14default_configENS1_27scan_by_key_config_selectorIifEEZZNS1_16scan_by_key_implILNS1_25lookback_scan_determinismE0ELb1ES3_N6thrust23THRUST_200600_302600_NS6detail15normal_iteratorINS9_10device_ptrIiEEEENSB_INSC_IjEEEENSB_INSC_IfEEEEfNS9_4plusIvEENS9_8equal_toIvEEfEE10hipError_tPvRmT2_T3_T4_T5_mT6_T7_P12ihipStream_tbENKUlT_T0_E_clISt17integral_constantIbLb1EES12_IbLb0EEEEDaSY_SZ_EUlSY_E_NS1_11comp_targetILNS1_3genE0ELNS1_11target_archE4294967295ELNS1_3gpuE0ELNS1_3repE0EEENS1_30default_config_static_selectorELNS0_4arch9wavefront6targetE0EEEvT1_,"axG",@progbits,_ZN7rocprim17ROCPRIM_400000_NS6detail17trampoline_kernelINS0_14default_configENS1_27scan_by_key_config_selectorIifEEZZNS1_16scan_by_key_implILNS1_25lookback_scan_determinismE0ELb1ES3_N6thrust23THRUST_200600_302600_NS6detail15normal_iteratorINS9_10device_ptrIiEEEENSB_INSC_IjEEEENSB_INSC_IfEEEEfNS9_4plusIvEENS9_8equal_toIvEEfEE10hipError_tPvRmT2_T3_T4_T5_mT6_T7_P12ihipStream_tbENKUlT_T0_E_clISt17integral_constantIbLb1EES12_IbLb0EEEEDaSY_SZ_EUlSY_E_NS1_11comp_targetILNS1_3genE0ELNS1_11target_archE4294967295ELNS1_3gpuE0ELNS1_3repE0EEENS1_30default_config_static_selectorELNS0_4arch9wavefront6targetE0EEEvT1_,comdat
.Lfunc_end1698:
	.size	_ZN7rocprim17ROCPRIM_400000_NS6detail17trampoline_kernelINS0_14default_configENS1_27scan_by_key_config_selectorIifEEZZNS1_16scan_by_key_implILNS1_25lookback_scan_determinismE0ELb1ES3_N6thrust23THRUST_200600_302600_NS6detail15normal_iteratorINS9_10device_ptrIiEEEENSB_INSC_IjEEEENSB_INSC_IfEEEEfNS9_4plusIvEENS9_8equal_toIvEEfEE10hipError_tPvRmT2_T3_T4_T5_mT6_T7_P12ihipStream_tbENKUlT_T0_E_clISt17integral_constantIbLb1EES12_IbLb0EEEEDaSY_SZ_EUlSY_E_NS1_11comp_targetILNS1_3genE0ELNS1_11target_archE4294967295ELNS1_3gpuE0ELNS1_3repE0EEENS1_30default_config_static_selectorELNS0_4arch9wavefront6targetE0EEEvT1_, .Lfunc_end1698-_ZN7rocprim17ROCPRIM_400000_NS6detail17trampoline_kernelINS0_14default_configENS1_27scan_by_key_config_selectorIifEEZZNS1_16scan_by_key_implILNS1_25lookback_scan_determinismE0ELb1ES3_N6thrust23THRUST_200600_302600_NS6detail15normal_iteratorINS9_10device_ptrIiEEEENSB_INSC_IjEEEENSB_INSC_IfEEEEfNS9_4plusIvEENS9_8equal_toIvEEfEE10hipError_tPvRmT2_T3_T4_T5_mT6_T7_P12ihipStream_tbENKUlT_T0_E_clISt17integral_constantIbLb1EES12_IbLb0EEEEDaSY_SZ_EUlSY_E_NS1_11comp_targetILNS1_3genE0ELNS1_11target_archE4294967295ELNS1_3gpuE0ELNS1_3repE0EEENS1_30default_config_static_selectorELNS0_4arch9wavefront6targetE0EEEvT1_
                                        ; -- End function
	.set _ZN7rocprim17ROCPRIM_400000_NS6detail17trampoline_kernelINS0_14default_configENS1_27scan_by_key_config_selectorIifEEZZNS1_16scan_by_key_implILNS1_25lookback_scan_determinismE0ELb1ES3_N6thrust23THRUST_200600_302600_NS6detail15normal_iteratorINS9_10device_ptrIiEEEENSB_INSC_IjEEEENSB_INSC_IfEEEEfNS9_4plusIvEENS9_8equal_toIvEEfEE10hipError_tPvRmT2_T3_T4_T5_mT6_T7_P12ihipStream_tbENKUlT_T0_E_clISt17integral_constantIbLb1EES12_IbLb0EEEEDaSY_SZ_EUlSY_E_NS1_11comp_targetILNS1_3genE0ELNS1_11target_archE4294967295ELNS1_3gpuE0ELNS1_3repE0EEENS1_30default_config_static_selectorELNS0_4arch9wavefront6targetE0EEEvT1_.num_vgpr, 0
	.set _ZN7rocprim17ROCPRIM_400000_NS6detail17trampoline_kernelINS0_14default_configENS1_27scan_by_key_config_selectorIifEEZZNS1_16scan_by_key_implILNS1_25lookback_scan_determinismE0ELb1ES3_N6thrust23THRUST_200600_302600_NS6detail15normal_iteratorINS9_10device_ptrIiEEEENSB_INSC_IjEEEENSB_INSC_IfEEEEfNS9_4plusIvEENS9_8equal_toIvEEfEE10hipError_tPvRmT2_T3_T4_T5_mT6_T7_P12ihipStream_tbENKUlT_T0_E_clISt17integral_constantIbLb1EES12_IbLb0EEEEDaSY_SZ_EUlSY_E_NS1_11comp_targetILNS1_3genE0ELNS1_11target_archE4294967295ELNS1_3gpuE0ELNS1_3repE0EEENS1_30default_config_static_selectorELNS0_4arch9wavefront6targetE0EEEvT1_.num_agpr, 0
	.set _ZN7rocprim17ROCPRIM_400000_NS6detail17trampoline_kernelINS0_14default_configENS1_27scan_by_key_config_selectorIifEEZZNS1_16scan_by_key_implILNS1_25lookback_scan_determinismE0ELb1ES3_N6thrust23THRUST_200600_302600_NS6detail15normal_iteratorINS9_10device_ptrIiEEEENSB_INSC_IjEEEENSB_INSC_IfEEEEfNS9_4plusIvEENS9_8equal_toIvEEfEE10hipError_tPvRmT2_T3_T4_T5_mT6_T7_P12ihipStream_tbENKUlT_T0_E_clISt17integral_constantIbLb1EES12_IbLb0EEEEDaSY_SZ_EUlSY_E_NS1_11comp_targetILNS1_3genE0ELNS1_11target_archE4294967295ELNS1_3gpuE0ELNS1_3repE0EEENS1_30default_config_static_selectorELNS0_4arch9wavefront6targetE0EEEvT1_.numbered_sgpr, 0
	.set _ZN7rocprim17ROCPRIM_400000_NS6detail17trampoline_kernelINS0_14default_configENS1_27scan_by_key_config_selectorIifEEZZNS1_16scan_by_key_implILNS1_25lookback_scan_determinismE0ELb1ES3_N6thrust23THRUST_200600_302600_NS6detail15normal_iteratorINS9_10device_ptrIiEEEENSB_INSC_IjEEEENSB_INSC_IfEEEEfNS9_4plusIvEENS9_8equal_toIvEEfEE10hipError_tPvRmT2_T3_T4_T5_mT6_T7_P12ihipStream_tbENKUlT_T0_E_clISt17integral_constantIbLb1EES12_IbLb0EEEEDaSY_SZ_EUlSY_E_NS1_11comp_targetILNS1_3genE0ELNS1_11target_archE4294967295ELNS1_3gpuE0ELNS1_3repE0EEENS1_30default_config_static_selectorELNS0_4arch9wavefront6targetE0EEEvT1_.num_named_barrier, 0
	.set _ZN7rocprim17ROCPRIM_400000_NS6detail17trampoline_kernelINS0_14default_configENS1_27scan_by_key_config_selectorIifEEZZNS1_16scan_by_key_implILNS1_25lookback_scan_determinismE0ELb1ES3_N6thrust23THRUST_200600_302600_NS6detail15normal_iteratorINS9_10device_ptrIiEEEENSB_INSC_IjEEEENSB_INSC_IfEEEEfNS9_4plusIvEENS9_8equal_toIvEEfEE10hipError_tPvRmT2_T3_T4_T5_mT6_T7_P12ihipStream_tbENKUlT_T0_E_clISt17integral_constantIbLb1EES12_IbLb0EEEEDaSY_SZ_EUlSY_E_NS1_11comp_targetILNS1_3genE0ELNS1_11target_archE4294967295ELNS1_3gpuE0ELNS1_3repE0EEENS1_30default_config_static_selectorELNS0_4arch9wavefront6targetE0EEEvT1_.private_seg_size, 0
	.set _ZN7rocprim17ROCPRIM_400000_NS6detail17trampoline_kernelINS0_14default_configENS1_27scan_by_key_config_selectorIifEEZZNS1_16scan_by_key_implILNS1_25lookback_scan_determinismE0ELb1ES3_N6thrust23THRUST_200600_302600_NS6detail15normal_iteratorINS9_10device_ptrIiEEEENSB_INSC_IjEEEENSB_INSC_IfEEEEfNS9_4plusIvEENS9_8equal_toIvEEfEE10hipError_tPvRmT2_T3_T4_T5_mT6_T7_P12ihipStream_tbENKUlT_T0_E_clISt17integral_constantIbLb1EES12_IbLb0EEEEDaSY_SZ_EUlSY_E_NS1_11comp_targetILNS1_3genE0ELNS1_11target_archE4294967295ELNS1_3gpuE0ELNS1_3repE0EEENS1_30default_config_static_selectorELNS0_4arch9wavefront6targetE0EEEvT1_.uses_vcc, 0
	.set _ZN7rocprim17ROCPRIM_400000_NS6detail17trampoline_kernelINS0_14default_configENS1_27scan_by_key_config_selectorIifEEZZNS1_16scan_by_key_implILNS1_25lookback_scan_determinismE0ELb1ES3_N6thrust23THRUST_200600_302600_NS6detail15normal_iteratorINS9_10device_ptrIiEEEENSB_INSC_IjEEEENSB_INSC_IfEEEEfNS9_4plusIvEENS9_8equal_toIvEEfEE10hipError_tPvRmT2_T3_T4_T5_mT6_T7_P12ihipStream_tbENKUlT_T0_E_clISt17integral_constantIbLb1EES12_IbLb0EEEEDaSY_SZ_EUlSY_E_NS1_11comp_targetILNS1_3genE0ELNS1_11target_archE4294967295ELNS1_3gpuE0ELNS1_3repE0EEENS1_30default_config_static_selectorELNS0_4arch9wavefront6targetE0EEEvT1_.uses_flat_scratch, 0
	.set _ZN7rocprim17ROCPRIM_400000_NS6detail17trampoline_kernelINS0_14default_configENS1_27scan_by_key_config_selectorIifEEZZNS1_16scan_by_key_implILNS1_25lookback_scan_determinismE0ELb1ES3_N6thrust23THRUST_200600_302600_NS6detail15normal_iteratorINS9_10device_ptrIiEEEENSB_INSC_IjEEEENSB_INSC_IfEEEEfNS9_4plusIvEENS9_8equal_toIvEEfEE10hipError_tPvRmT2_T3_T4_T5_mT6_T7_P12ihipStream_tbENKUlT_T0_E_clISt17integral_constantIbLb1EES12_IbLb0EEEEDaSY_SZ_EUlSY_E_NS1_11comp_targetILNS1_3genE0ELNS1_11target_archE4294967295ELNS1_3gpuE0ELNS1_3repE0EEENS1_30default_config_static_selectorELNS0_4arch9wavefront6targetE0EEEvT1_.has_dyn_sized_stack, 0
	.set _ZN7rocprim17ROCPRIM_400000_NS6detail17trampoline_kernelINS0_14default_configENS1_27scan_by_key_config_selectorIifEEZZNS1_16scan_by_key_implILNS1_25lookback_scan_determinismE0ELb1ES3_N6thrust23THRUST_200600_302600_NS6detail15normal_iteratorINS9_10device_ptrIiEEEENSB_INSC_IjEEEENSB_INSC_IfEEEEfNS9_4plusIvEENS9_8equal_toIvEEfEE10hipError_tPvRmT2_T3_T4_T5_mT6_T7_P12ihipStream_tbENKUlT_T0_E_clISt17integral_constantIbLb1EES12_IbLb0EEEEDaSY_SZ_EUlSY_E_NS1_11comp_targetILNS1_3genE0ELNS1_11target_archE4294967295ELNS1_3gpuE0ELNS1_3repE0EEENS1_30default_config_static_selectorELNS0_4arch9wavefront6targetE0EEEvT1_.has_recursion, 0
	.set _ZN7rocprim17ROCPRIM_400000_NS6detail17trampoline_kernelINS0_14default_configENS1_27scan_by_key_config_selectorIifEEZZNS1_16scan_by_key_implILNS1_25lookback_scan_determinismE0ELb1ES3_N6thrust23THRUST_200600_302600_NS6detail15normal_iteratorINS9_10device_ptrIiEEEENSB_INSC_IjEEEENSB_INSC_IfEEEEfNS9_4plusIvEENS9_8equal_toIvEEfEE10hipError_tPvRmT2_T3_T4_T5_mT6_T7_P12ihipStream_tbENKUlT_T0_E_clISt17integral_constantIbLb1EES12_IbLb0EEEEDaSY_SZ_EUlSY_E_NS1_11comp_targetILNS1_3genE0ELNS1_11target_archE4294967295ELNS1_3gpuE0ELNS1_3repE0EEENS1_30default_config_static_selectorELNS0_4arch9wavefront6targetE0EEEvT1_.has_indirect_call, 0
	.section	.AMDGPU.csdata,"",@progbits
; Kernel info:
; codeLenInByte = 0
; TotalNumSgprs: 0
; NumVgprs: 0
; ScratchSize: 0
; MemoryBound: 0
; FloatMode: 240
; IeeeMode: 1
; LDSByteSize: 0 bytes/workgroup (compile time only)
; SGPRBlocks: 0
; VGPRBlocks: 0
; NumSGPRsForWavesPerEU: 1
; NumVGPRsForWavesPerEU: 1
; Occupancy: 16
; WaveLimiterHint : 0
; COMPUTE_PGM_RSRC2:SCRATCH_EN: 0
; COMPUTE_PGM_RSRC2:USER_SGPR: 6
; COMPUTE_PGM_RSRC2:TRAP_HANDLER: 0
; COMPUTE_PGM_RSRC2:TGID_X_EN: 1
; COMPUTE_PGM_RSRC2:TGID_Y_EN: 0
; COMPUTE_PGM_RSRC2:TGID_Z_EN: 0
; COMPUTE_PGM_RSRC2:TIDIG_COMP_CNT: 0
	.section	.text._ZN7rocprim17ROCPRIM_400000_NS6detail17trampoline_kernelINS0_14default_configENS1_27scan_by_key_config_selectorIifEEZZNS1_16scan_by_key_implILNS1_25lookback_scan_determinismE0ELb1ES3_N6thrust23THRUST_200600_302600_NS6detail15normal_iteratorINS9_10device_ptrIiEEEENSB_INSC_IjEEEENSB_INSC_IfEEEEfNS9_4plusIvEENS9_8equal_toIvEEfEE10hipError_tPvRmT2_T3_T4_T5_mT6_T7_P12ihipStream_tbENKUlT_T0_E_clISt17integral_constantIbLb1EES12_IbLb0EEEEDaSY_SZ_EUlSY_E_NS1_11comp_targetILNS1_3genE10ELNS1_11target_archE1201ELNS1_3gpuE5ELNS1_3repE0EEENS1_30default_config_static_selectorELNS0_4arch9wavefront6targetE0EEEvT1_,"axG",@progbits,_ZN7rocprim17ROCPRIM_400000_NS6detail17trampoline_kernelINS0_14default_configENS1_27scan_by_key_config_selectorIifEEZZNS1_16scan_by_key_implILNS1_25lookback_scan_determinismE0ELb1ES3_N6thrust23THRUST_200600_302600_NS6detail15normal_iteratorINS9_10device_ptrIiEEEENSB_INSC_IjEEEENSB_INSC_IfEEEEfNS9_4plusIvEENS9_8equal_toIvEEfEE10hipError_tPvRmT2_T3_T4_T5_mT6_T7_P12ihipStream_tbENKUlT_T0_E_clISt17integral_constantIbLb1EES12_IbLb0EEEEDaSY_SZ_EUlSY_E_NS1_11comp_targetILNS1_3genE10ELNS1_11target_archE1201ELNS1_3gpuE5ELNS1_3repE0EEENS1_30default_config_static_selectorELNS0_4arch9wavefront6targetE0EEEvT1_,comdat
	.protected	_ZN7rocprim17ROCPRIM_400000_NS6detail17trampoline_kernelINS0_14default_configENS1_27scan_by_key_config_selectorIifEEZZNS1_16scan_by_key_implILNS1_25lookback_scan_determinismE0ELb1ES3_N6thrust23THRUST_200600_302600_NS6detail15normal_iteratorINS9_10device_ptrIiEEEENSB_INSC_IjEEEENSB_INSC_IfEEEEfNS9_4plusIvEENS9_8equal_toIvEEfEE10hipError_tPvRmT2_T3_T4_T5_mT6_T7_P12ihipStream_tbENKUlT_T0_E_clISt17integral_constantIbLb1EES12_IbLb0EEEEDaSY_SZ_EUlSY_E_NS1_11comp_targetILNS1_3genE10ELNS1_11target_archE1201ELNS1_3gpuE5ELNS1_3repE0EEENS1_30default_config_static_selectorELNS0_4arch9wavefront6targetE0EEEvT1_ ; -- Begin function _ZN7rocprim17ROCPRIM_400000_NS6detail17trampoline_kernelINS0_14default_configENS1_27scan_by_key_config_selectorIifEEZZNS1_16scan_by_key_implILNS1_25lookback_scan_determinismE0ELb1ES3_N6thrust23THRUST_200600_302600_NS6detail15normal_iteratorINS9_10device_ptrIiEEEENSB_INSC_IjEEEENSB_INSC_IfEEEEfNS9_4plusIvEENS9_8equal_toIvEEfEE10hipError_tPvRmT2_T3_T4_T5_mT6_T7_P12ihipStream_tbENKUlT_T0_E_clISt17integral_constantIbLb1EES12_IbLb0EEEEDaSY_SZ_EUlSY_E_NS1_11comp_targetILNS1_3genE10ELNS1_11target_archE1201ELNS1_3gpuE5ELNS1_3repE0EEENS1_30default_config_static_selectorELNS0_4arch9wavefront6targetE0EEEvT1_
	.globl	_ZN7rocprim17ROCPRIM_400000_NS6detail17trampoline_kernelINS0_14default_configENS1_27scan_by_key_config_selectorIifEEZZNS1_16scan_by_key_implILNS1_25lookback_scan_determinismE0ELb1ES3_N6thrust23THRUST_200600_302600_NS6detail15normal_iteratorINS9_10device_ptrIiEEEENSB_INSC_IjEEEENSB_INSC_IfEEEEfNS9_4plusIvEENS9_8equal_toIvEEfEE10hipError_tPvRmT2_T3_T4_T5_mT6_T7_P12ihipStream_tbENKUlT_T0_E_clISt17integral_constantIbLb1EES12_IbLb0EEEEDaSY_SZ_EUlSY_E_NS1_11comp_targetILNS1_3genE10ELNS1_11target_archE1201ELNS1_3gpuE5ELNS1_3repE0EEENS1_30default_config_static_selectorELNS0_4arch9wavefront6targetE0EEEvT1_
	.p2align	8
	.type	_ZN7rocprim17ROCPRIM_400000_NS6detail17trampoline_kernelINS0_14default_configENS1_27scan_by_key_config_selectorIifEEZZNS1_16scan_by_key_implILNS1_25lookback_scan_determinismE0ELb1ES3_N6thrust23THRUST_200600_302600_NS6detail15normal_iteratorINS9_10device_ptrIiEEEENSB_INSC_IjEEEENSB_INSC_IfEEEEfNS9_4plusIvEENS9_8equal_toIvEEfEE10hipError_tPvRmT2_T3_T4_T5_mT6_T7_P12ihipStream_tbENKUlT_T0_E_clISt17integral_constantIbLb1EES12_IbLb0EEEEDaSY_SZ_EUlSY_E_NS1_11comp_targetILNS1_3genE10ELNS1_11target_archE1201ELNS1_3gpuE5ELNS1_3repE0EEENS1_30default_config_static_selectorELNS0_4arch9wavefront6targetE0EEEvT1_,@function
_ZN7rocprim17ROCPRIM_400000_NS6detail17trampoline_kernelINS0_14default_configENS1_27scan_by_key_config_selectorIifEEZZNS1_16scan_by_key_implILNS1_25lookback_scan_determinismE0ELb1ES3_N6thrust23THRUST_200600_302600_NS6detail15normal_iteratorINS9_10device_ptrIiEEEENSB_INSC_IjEEEENSB_INSC_IfEEEEfNS9_4plusIvEENS9_8equal_toIvEEfEE10hipError_tPvRmT2_T3_T4_T5_mT6_T7_P12ihipStream_tbENKUlT_T0_E_clISt17integral_constantIbLb1EES12_IbLb0EEEEDaSY_SZ_EUlSY_E_NS1_11comp_targetILNS1_3genE10ELNS1_11target_archE1201ELNS1_3gpuE5ELNS1_3repE0EEENS1_30default_config_static_selectorELNS0_4arch9wavefront6targetE0EEEvT1_: ; @_ZN7rocprim17ROCPRIM_400000_NS6detail17trampoline_kernelINS0_14default_configENS1_27scan_by_key_config_selectorIifEEZZNS1_16scan_by_key_implILNS1_25lookback_scan_determinismE0ELb1ES3_N6thrust23THRUST_200600_302600_NS6detail15normal_iteratorINS9_10device_ptrIiEEEENSB_INSC_IjEEEENSB_INSC_IfEEEEfNS9_4plusIvEENS9_8equal_toIvEEfEE10hipError_tPvRmT2_T3_T4_T5_mT6_T7_P12ihipStream_tbENKUlT_T0_E_clISt17integral_constantIbLb1EES12_IbLb0EEEEDaSY_SZ_EUlSY_E_NS1_11comp_targetILNS1_3genE10ELNS1_11target_archE1201ELNS1_3gpuE5ELNS1_3repE0EEENS1_30default_config_static_selectorELNS0_4arch9wavefront6targetE0EEEvT1_
; %bb.0:
	.section	.rodata,"a",@progbits
	.p2align	6, 0x0
	.amdhsa_kernel _ZN7rocprim17ROCPRIM_400000_NS6detail17trampoline_kernelINS0_14default_configENS1_27scan_by_key_config_selectorIifEEZZNS1_16scan_by_key_implILNS1_25lookback_scan_determinismE0ELb1ES3_N6thrust23THRUST_200600_302600_NS6detail15normal_iteratorINS9_10device_ptrIiEEEENSB_INSC_IjEEEENSB_INSC_IfEEEEfNS9_4plusIvEENS9_8equal_toIvEEfEE10hipError_tPvRmT2_T3_T4_T5_mT6_T7_P12ihipStream_tbENKUlT_T0_E_clISt17integral_constantIbLb1EES12_IbLb0EEEEDaSY_SZ_EUlSY_E_NS1_11comp_targetILNS1_3genE10ELNS1_11target_archE1201ELNS1_3gpuE5ELNS1_3repE0EEENS1_30default_config_static_selectorELNS0_4arch9wavefront6targetE0EEEvT1_
		.amdhsa_group_segment_fixed_size 0
		.amdhsa_private_segment_fixed_size 0
		.amdhsa_kernarg_size 112
		.amdhsa_user_sgpr_count 6
		.amdhsa_user_sgpr_private_segment_buffer 1
		.amdhsa_user_sgpr_dispatch_ptr 0
		.amdhsa_user_sgpr_queue_ptr 0
		.amdhsa_user_sgpr_kernarg_segment_ptr 1
		.amdhsa_user_sgpr_dispatch_id 0
		.amdhsa_user_sgpr_flat_scratch_init 0
		.amdhsa_user_sgpr_private_segment_size 0
		.amdhsa_wavefront_size32 1
		.amdhsa_uses_dynamic_stack 0
		.amdhsa_system_sgpr_private_segment_wavefront_offset 0
		.amdhsa_system_sgpr_workgroup_id_x 1
		.amdhsa_system_sgpr_workgroup_id_y 0
		.amdhsa_system_sgpr_workgroup_id_z 0
		.amdhsa_system_sgpr_workgroup_info 0
		.amdhsa_system_vgpr_workitem_id 0
		.amdhsa_next_free_vgpr 1
		.amdhsa_next_free_sgpr 1
		.amdhsa_reserve_vcc 0
		.amdhsa_reserve_flat_scratch 0
		.amdhsa_float_round_mode_32 0
		.amdhsa_float_round_mode_16_64 0
		.amdhsa_float_denorm_mode_32 3
		.amdhsa_float_denorm_mode_16_64 3
		.amdhsa_dx10_clamp 1
		.amdhsa_ieee_mode 1
		.amdhsa_fp16_overflow 0
		.amdhsa_workgroup_processor_mode 1
		.amdhsa_memory_ordered 1
		.amdhsa_forward_progress 1
		.amdhsa_shared_vgpr_count 0
		.amdhsa_exception_fp_ieee_invalid_op 0
		.amdhsa_exception_fp_denorm_src 0
		.amdhsa_exception_fp_ieee_div_zero 0
		.amdhsa_exception_fp_ieee_overflow 0
		.amdhsa_exception_fp_ieee_underflow 0
		.amdhsa_exception_fp_ieee_inexact 0
		.amdhsa_exception_int_div_zero 0
	.end_amdhsa_kernel
	.section	.text._ZN7rocprim17ROCPRIM_400000_NS6detail17trampoline_kernelINS0_14default_configENS1_27scan_by_key_config_selectorIifEEZZNS1_16scan_by_key_implILNS1_25lookback_scan_determinismE0ELb1ES3_N6thrust23THRUST_200600_302600_NS6detail15normal_iteratorINS9_10device_ptrIiEEEENSB_INSC_IjEEEENSB_INSC_IfEEEEfNS9_4plusIvEENS9_8equal_toIvEEfEE10hipError_tPvRmT2_T3_T4_T5_mT6_T7_P12ihipStream_tbENKUlT_T0_E_clISt17integral_constantIbLb1EES12_IbLb0EEEEDaSY_SZ_EUlSY_E_NS1_11comp_targetILNS1_3genE10ELNS1_11target_archE1201ELNS1_3gpuE5ELNS1_3repE0EEENS1_30default_config_static_selectorELNS0_4arch9wavefront6targetE0EEEvT1_,"axG",@progbits,_ZN7rocprim17ROCPRIM_400000_NS6detail17trampoline_kernelINS0_14default_configENS1_27scan_by_key_config_selectorIifEEZZNS1_16scan_by_key_implILNS1_25lookback_scan_determinismE0ELb1ES3_N6thrust23THRUST_200600_302600_NS6detail15normal_iteratorINS9_10device_ptrIiEEEENSB_INSC_IjEEEENSB_INSC_IfEEEEfNS9_4plusIvEENS9_8equal_toIvEEfEE10hipError_tPvRmT2_T3_T4_T5_mT6_T7_P12ihipStream_tbENKUlT_T0_E_clISt17integral_constantIbLb1EES12_IbLb0EEEEDaSY_SZ_EUlSY_E_NS1_11comp_targetILNS1_3genE10ELNS1_11target_archE1201ELNS1_3gpuE5ELNS1_3repE0EEENS1_30default_config_static_selectorELNS0_4arch9wavefront6targetE0EEEvT1_,comdat
.Lfunc_end1699:
	.size	_ZN7rocprim17ROCPRIM_400000_NS6detail17trampoline_kernelINS0_14default_configENS1_27scan_by_key_config_selectorIifEEZZNS1_16scan_by_key_implILNS1_25lookback_scan_determinismE0ELb1ES3_N6thrust23THRUST_200600_302600_NS6detail15normal_iteratorINS9_10device_ptrIiEEEENSB_INSC_IjEEEENSB_INSC_IfEEEEfNS9_4plusIvEENS9_8equal_toIvEEfEE10hipError_tPvRmT2_T3_T4_T5_mT6_T7_P12ihipStream_tbENKUlT_T0_E_clISt17integral_constantIbLb1EES12_IbLb0EEEEDaSY_SZ_EUlSY_E_NS1_11comp_targetILNS1_3genE10ELNS1_11target_archE1201ELNS1_3gpuE5ELNS1_3repE0EEENS1_30default_config_static_selectorELNS0_4arch9wavefront6targetE0EEEvT1_, .Lfunc_end1699-_ZN7rocprim17ROCPRIM_400000_NS6detail17trampoline_kernelINS0_14default_configENS1_27scan_by_key_config_selectorIifEEZZNS1_16scan_by_key_implILNS1_25lookback_scan_determinismE0ELb1ES3_N6thrust23THRUST_200600_302600_NS6detail15normal_iteratorINS9_10device_ptrIiEEEENSB_INSC_IjEEEENSB_INSC_IfEEEEfNS9_4plusIvEENS9_8equal_toIvEEfEE10hipError_tPvRmT2_T3_T4_T5_mT6_T7_P12ihipStream_tbENKUlT_T0_E_clISt17integral_constantIbLb1EES12_IbLb0EEEEDaSY_SZ_EUlSY_E_NS1_11comp_targetILNS1_3genE10ELNS1_11target_archE1201ELNS1_3gpuE5ELNS1_3repE0EEENS1_30default_config_static_selectorELNS0_4arch9wavefront6targetE0EEEvT1_
                                        ; -- End function
	.set _ZN7rocprim17ROCPRIM_400000_NS6detail17trampoline_kernelINS0_14default_configENS1_27scan_by_key_config_selectorIifEEZZNS1_16scan_by_key_implILNS1_25lookback_scan_determinismE0ELb1ES3_N6thrust23THRUST_200600_302600_NS6detail15normal_iteratorINS9_10device_ptrIiEEEENSB_INSC_IjEEEENSB_INSC_IfEEEEfNS9_4plusIvEENS9_8equal_toIvEEfEE10hipError_tPvRmT2_T3_T4_T5_mT6_T7_P12ihipStream_tbENKUlT_T0_E_clISt17integral_constantIbLb1EES12_IbLb0EEEEDaSY_SZ_EUlSY_E_NS1_11comp_targetILNS1_3genE10ELNS1_11target_archE1201ELNS1_3gpuE5ELNS1_3repE0EEENS1_30default_config_static_selectorELNS0_4arch9wavefront6targetE0EEEvT1_.num_vgpr, 0
	.set _ZN7rocprim17ROCPRIM_400000_NS6detail17trampoline_kernelINS0_14default_configENS1_27scan_by_key_config_selectorIifEEZZNS1_16scan_by_key_implILNS1_25lookback_scan_determinismE0ELb1ES3_N6thrust23THRUST_200600_302600_NS6detail15normal_iteratorINS9_10device_ptrIiEEEENSB_INSC_IjEEEENSB_INSC_IfEEEEfNS9_4plusIvEENS9_8equal_toIvEEfEE10hipError_tPvRmT2_T3_T4_T5_mT6_T7_P12ihipStream_tbENKUlT_T0_E_clISt17integral_constantIbLb1EES12_IbLb0EEEEDaSY_SZ_EUlSY_E_NS1_11comp_targetILNS1_3genE10ELNS1_11target_archE1201ELNS1_3gpuE5ELNS1_3repE0EEENS1_30default_config_static_selectorELNS0_4arch9wavefront6targetE0EEEvT1_.num_agpr, 0
	.set _ZN7rocprim17ROCPRIM_400000_NS6detail17trampoline_kernelINS0_14default_configENS1_27scan_by_key_config_selectorIifEEZZNS1_16scan_by_key_implILNS1_25lookback_scan_determinismE0ELb1ES3_N6thrust23THRUST_200600_302600_NS6detail15normal_iteratorINS9_10device_ptrIiEEEENSB_INSC_IjEEEENSB_INSC_IfEEEEfNS9_4plusIvEENS9_8equal_toIvEEfEE10hipError_tPvRmT2_T3_T4_T5_mT6_T7_P12ihipStream_tbENKUlT_T0_E_clISt17integral_constantIbLb1EES12_IbLb0EEEEDaSY_SZ_EUlSY_E_NS1_11comp_targetILNS1_3genE10ELNS1_11target_archE1201ELNS1_3gpuE5ELNS1_3repE0EEENS1_30default_config_static_selectorELNS0_4arch9wavefront6targetE0EEEvT1_.numbered_sgpr, 0
	.set _ZN7rocprim17ROCPRIM_400000_NS6detail17trampoline_kernelINS0_14default_configENS1_27scan_by_key_config_selectorIifEEZZNS1_16scan_by_key_implILNS1_25lookback_scan_determinismE0ELb1ES3_N6thrust23THRUST_200600_302600_NS6detail15normal_iteratorINS9_10device_ptrIiEEEENSB_INSC_IjEEEENSB_INSC_IfEEEEfNS9_4plusIvEENS9_8equal_toIvEEfEE10hipError_tPvRmT2_T3_T4_T5_mT6_T7_P12ihipStream_tbENKUlT_T0_E_clISt17integral_constantIbLb1EES12_IbLb0EEEEDaSY_SZ_EUlSY_E_NS1_11comp_targetILNS1_3genE10ELNS1_11target_archE1201ELNS1_3gpuE5ELNS1_3repE0EEENS1_30default_config_static_selectorELNS0_4arch9wavefront6targetE0EEEvT1_.num_named_barrier, 0
	.set _ZN7rocprim17ROCPRIM_400000_NS6detail17trampoline_kernelINS0_14default_configENS1_27scan_by_key_config_selectorIifEEZZNS1_16scan_by_key_implILNS1_25lookback_scan_determinismE0ELb1ES3_N6thrust23THRUST_200600_302600_NS6detail15normal_iteratorINS9_10device_ptrIiEEEENSB_INSC_IjEEEENSB_INSC_IfEEEEfNS9_4plusIvEENS9_8equal_toIvEEfEE10hipError_tPvRmT2_T3_T4_T5_mT6_T7_P12ihipStream_tbENKUlT_T0_E_clISt17integral_constantIbLb1EES12_IbLb0EEEEDaSY_SZ_EUlSY_E_NS1_11comp_targetILNS1_3genE10ELNS1_11target_archE1201ELNS1_3gpuE5ELNS1_3repE0EEENS1_30default_config_static_selectorELNS0_4arch9wavefront6targetE0EEEvT1_.private_seg_size, 0
	.set _ZN7rocprim17ROCPRIM_400000_NS6detail17trampoline_kernelINS0_14default_configENS1_27scan_by_key_config_selectorIifEEZZNS1_16scan_by_key_implILNS1_25lookback_scan_determinismE0ELb1ES3_N6thrust23THRUST_200600_302600_NS6detail15normal_iteratorINS9_10device_ptrIiEEEENSB_INSC_IjEEEENSB_INSC_IfEEEEfNS9_4plusIvEENS9_8equal_toIvEEfEE10hipError_tPvRmT2_T3_T4_T5_mT6_T7_P12ihipStream_tbENKUlT_T0_E_clISt17integral_constantIbLb1EES12_IbLb0EEEEDaSY_SZ_EUlSY_E_NS1_11comp_targetILNS1_3genE10ELNS1_11target_archE1201ELNS1_3gpuE5ELNS1_3repE0EEENS1_30default_config_static_selectorELNS0_4arch9wavefront6targetE0EEEvT1_.uses_vcc, 0
	.set _ZN7rocprim17ROCPRIM_400000_NS6detail17trampoline_kernelINS0_14default_configENS1_27scan_by_key_config_selectorIifEEZZNS1_16scan_by_key_implILNS1_25lookback_scan_determinismE0ELb1ES3_N6thrust23THRUST_200600_302600_NS6detail15normal_iteratorINS9_10device_ptrIiEEEENSB_INSC_IjEEEENSB_INSC_IfEEEEfNS9_4plusIvEENS9_8equal_toIvEEfEE10hipError_tPvRmT2_T3_T4_T5_mT6_T7_P12ihipStream_tbENKUlT_T0_E_clISt17integral_constantIbLb1EES12_IbLb0EEEEDaSY_SZ_EUlSY_E_NS1_11comp_targetILNS1_3genE10ELNS1_11target_archE1201ELNS1_3gpuE5ELNS1_3repE0EEENS1_30default_config_static_selectorELNS0_4arch9wavefront6targetE0EEEvT1_.uses_flat_scratch, 0
	.set _ZN7rocprim17ROCPRIM_400000_NS6detail17trampoline_kernelINS0_14default_configENS1_27scan_by_key_config_selectorIifEEZZNS1_16scan_by_key_implILNS1_25lookback_scan_determinismE0ELb1ES3_N6thrust23THRUST_200600_302600_NS6detail15normal_iteratorINS9_10device_ptrIiEEEENSB_INSC_IjEEEENSB_INSC_IfEEEEfNS9_4plusIvEENS9_8equal_toIvEEfEE10hipError_tPvRmT2_T3_T4_T5_mT6_T7_P12ihipStream_tbENKUlT_T0_E_clISt17integral_constantIbLb1EES12_IbLb0EEEEDaSY_SZ_EUlSY_E_NS1_11comp_targetILNS1_3genE10ELNS1_11target_archE1201ELNS1_3gpuE5ELNS1_3repE0EEENS1_30default_config_static_selectorELNS0_4arch9wavefront6targetE0EEEvT1_.has_dyn_sized_stack, 0
	.set _ZN7rocprim17ROCPRIM_400000_NS6detail17trampoline_kernelINS0_14default_configENS1_27scan_by_key_config_selectorIifEEZZNS1_16scan_by_key_implILNS1_25lookback_scan_determinismE0ELb1ES3_N6thrust23THRUST_200600_302600_NS6detail15normal_iteratorINS9_10device_ptrIiEEEENSB_INSC_IjEEEENSB_INSC_IfEEEEfNS9_4plusIvEENS9_8equal_toIvEEfEE10hipError_tPvRmT2_T3_T4_T5_mT6_T7_P12ihipStream_tbENKUlT_T0_E_clISt17integral_constantIbLb1EES12_IbLb0EEEEDaSY_SZ_EUlSY_E_NS1_11comp_targetILNS1_3genE10ELNS1_11target_archE1201ELNS1_3gpuE5ELNS1_3repE0EEENS1_30default_config_static_selectorELNS0_4arch9wavefront6targetE0EEEvT1_.has_recursion, 0
	.set _ZN7rocprim17ROCPRIM_400000_NS6detail17trampoline_kernelINS0_14default_configENS1_27scan_by_key_config_selectorIifEEZZNS1_16scan_by_key_implILNS1_25lookback_scan_determinismE0ELb1ES3_N6thrust23THRUST_200600_302600_NS6detail15normal_iteratorINS9_10device_ptrIiEEEENSB_INSC_IjEEEENSB_INSC_IfEEEEfNS9_4plusIvEENS9_8equal_toIvEEfEE10hipError_tPvRmT2_T3_T4_T5_mT6_T7_P12ihipStream_tbENKUlT_T0_E_clISt17integral_constantIbLb1EES12_IbLb0EEEEDaSY_SZ_EUlSY_E_NS1_11comp_targetILNS1_3genE10ELNS1_11target_archE1201ELNS1_3gpuE5ELNS1_3repE0EEENS1_30default_config_static_selectorELNS0_4arch9wavefront6targetE0EEEvT1_.has_indirect_call, 0
	.section	.AMDGPU.csdata,"",@progbits
; Kernel info:
; codeLenInByte = 0
; TotalNumSgprs: 0
; NumVgprs: 0
; ScratchSize: 0
; MemoryBound: 0
; FloatMode: 240
; IeeeMode: 1
; LDSByteSize: 0 bytes/workgroup (compile time only)
; SGPRBlocks: 0
; VGPRBlocks: 0
; NumSGPRsForWavesPerEU: 1
; NumVGPRsForWavesPerEU: 1
; Occupancy: 16
; WaveLimiterHint : 0
; COMPUTE_PGM_RSRC2:SCRATCH_EN: 0
; COMPUTE_PGM_RSRC2:USER_SGPR: 6
; COMPUTE_PGM_RSRC2:TRAP_HANDLER: 0
; COMPUTE_PGM_RSRC2:TGID_X_EN: 1
; COMPUTE_PGM_RSRC2:TGID_Y_EN: 0
; COMPUTE_PGM_RSRC2:TGID_Z_EN: 0
; COMPUTE_PGM_RSRC2:TIDIG_COMP_CNT: 0
	.section	.text._ZN7rocprim17ROCPRIM_400000_NS6detail17trampoline_kernelINS0_14default_configENS1_27scan_by_key_config_selectorIifEEZZNS1_16scan_by_key_implILNS1_25lookback_scan_determinismE0ELb1ES3_N6thrust23THRUST_200600_302600_NS6detail15normal_iteratorINS9_10device_ptrIiEEEENSB_INSC_IjEEEENSB_INSC_IfEEEEfNS9_4plusIvEENS9_8equal_toIvEEfEE10hipError_tPvRmT2_T3_T4_T5_mT6_T7_P12ihipStream_tbENKUlT_T0_E_clISt17integral_constantIbLb1EES12_IbLb0EEEEDaSY_SZ_EUlSY_E_NS1_11comp_targetILNS1_3genE5ELNS1_11target_archE942ELNS1_3gpuE9ELNS1_3repE0EEENS1_30default_config_static_selectorELNS0_4arch9wavefront6targetE0EEEvT1_,"axG",@progbits,_ZN7rocprim17ROCPRIM_400000_NS6detail17trampoline_kernelINS0_14default_configENS1_27scan_by_key_config_selectorIifEEZZNS1_16scan_by_key_implILNS1_25lookback_scan_determinismE0ELb1ES3_N6thrust23THRUST_200600_302600_NS6detail15normal_iteratorINS9_10device_ptrIiEEEENSB_INSC_IjEEEENSB_INSC_IfEEEEfNS9_4plusIvEENS9_8equal_toIvEEfEE10hipError_tPvRmT2_T3_T4_T5_mT6_T7_P12ihipStream_tbENKUlT_T0_E_clISt17integral_constantIbLb1EES12_IbLb0EEEEDaSY_SZ_EUlSY_E_NS1_11comp_targetILNS1_3genE5ELNS1_11target_archE942ELNS1_3gpuE9ELNS1_3repE0EEENS1_30default_config_static_selectorELNS0_4arch9wavefront6targetE0EEEvT1_,comdat
	.protected	_ZN7rocprim17ROCPRIM_400000_NS6detail17trampoline_kernelINS0_14default_configENS1_27scan_by_key_config_selectorIifEEZZNS1_16scan_by_key_implILNS1_25lookback_scan_determinismE0ELb1ES3_N6thrust23THRUST_200600_302600_NS6detail15normal_iteratorINS9_10device_ptrIiEEEENSB_INSC_IjEEEENSB_INSC_IfEEEEfNS9_4plusIvEENS9_8equal_toIvEEfEE10hipError_tPvRmT2_T3_T4_T5_mT6_T7_P12ihipStream_tbENKUlT_T0_E_clISt17integral_constantIbLb1EES12_IbLb0EEEEDaSY_SZ_EUlSY_E_NS1_11comp_targetILNS1_3genE5ELNS1_11target_archE942ELNS1_3gpuE9ELNS1_3repE0EEENS1_30default_config_static_selectorELNS0_4arch9wavefront6targetE0EEEvT1_ ; -- Begin function _ZN7rocprim17ROCPRIM_400000_NS6detail17trampoline_kernelINS0_14default_configENS1_27scan_by_key_config_selectorIifEEZZNS1_16scan_by_key_implILNS1_25lookback_scan_determinismE0ELb1ES3_N6thrust23THRUST_200600_302600_NS6detail15normal_iteratorINS9_10device_ptrIiEEEENSB_INSC_IjEEEENSB_INSC_IfEEEEfNS9_4plusIvEENS9_8equal_toIvEEfEE10hipError_tPvRmT2_T3_T4_T5_mT6_T7_P12ihipStream_tbENKUlT_T0_E_clISt17integral_constantIbLb1EES12_IbLb0EEEEDaSY_SZ_EUlSY_E_NS1_11comp_targetILNS1_3genE5ELNS1_11target_archE942ELNS1_3gpuE9ELNS1_3repE0EEENS1_30default_config_static_selectorELNS0_4arch9wavefront6targetE0EEEvT1_
	.globl	_ZN7rocprim17ROCPRIM_400000_NS6detail17trampoline_kernelINS0_14default_configENS1_27scan_by_key_config_selectorIifEEZZNS1_16scan_by_key_implILNS1_25lookback_scan_determinismE0ELb1ES3_N6thrust23THRUST_200600_302600_NS6detail15normal_iteratorINS9_10device_ptrIiEEEENSB_INSC_IjEEEENSB_INSC_IfEEEEfNS9_4plusIvEENS9_8equal_toIvEEfEE10hipError_tPvRmT2_T3_T4_T5_mT6_T7_P12ihipStream_tbENKUlT_T0_E_clISt17integral_constantIbLb1EES12_IbLb0EEEEDaSY_SZ_EUlSY_E_NS1_11comp_targetILNS1_3genE5ELNS1_11target_archE942ELNS1_3gpuE9ELNS1_3repE0EEENS1_30default_config_static_selectorELNS0_4arch9wavefront6targetE0EEEvT1_
	.p2align	8
	.type	_ZN7rocprim17ROCPRIM_400000_NS6detail17trampoline_kernelINS0_14default_configENS1_27scan_by_key_config_selectorIifEEZZNS1_16scan_by_key_implILNS1_25lookback_scan_determinismE0ELb1ES3_N6thrust23THRUST_200600_302600_NS6detail15normal_iteratorINS9_10device_ptrIiEEEENSB_INSC_IjEEEENSB_INSC_IfEEEEfNS9_4plusIvEENS9_8equal_toIvEEfEE10hipError_tPvRmT2_T3_T4_T5_mT6_T7_P12ihipStream_tbENKUlT_T0_E_clISt17integral_constantIbLb1EES12_IbLb0EEEEDaSY_SZ_EUlSY_E_NS1_11comp_targetILNS1_3genE5ELNS1_11target_archE942ELNS1_3gpuE9ELNS1_3repE0EEENS1_30default_config_static_selectorELNS0_4arch9wavefront6targetE0EEEvT1_,@function
_ZN7rocprim17ROCPRIM_400000_NS6detail17trampoline_kernelINS0_14default_configENS1_27scan_by_key_config_selectorIifEEZZNS1_16scan_by_key_implILNS1_25lookback_scan_determinismE0ELb1ES3_N6thrust23THRUST_200600_302600_NS6detail15normal_iteratorINS9_10device_ptrIiEEEENSB_INSC_IjEEEENSB_INSC_IfEEEEfNS9_4plusIvEENS9_8equal_toIvEEfEE10hipError_tPvRmT2_T3_T4_T5_mT6_T7_P12ihipStream_tbENKUlT_T0_E_clISt17integral_constantIbLb1EES12_IbLb0EEEEDaSY_SZ_EUlSY_E_NS1_11comp_targetILNS1_3genE5ELNS1_11target_archE942ELNS1_3gpuE9ELNS1_3repE0EEENS1_30default_config_static_selectorELNS0_4arch9wavefront6targetE0EEEvT1_: ; @_ZN7rocprim17ROCPRIM_400000_NS6detail17trampoline_kernelINS0_14default_configENS1_27scan_by_key_config_selectorIifEEZZNS1_16scan_by_key_implILNS1_25lookback_scan_determinismE0ELb1ES3_N6thrust23THRUST_200600_302600_NS6detail15normal_iteratorINS9_10device_ptrIiEEEENSB_INSC_IjEEEENSB_INSC_IfEEEEfNS9_4plusIvEENS9_8equal_toIvEEfEE10hipError_tPvRmT2_T3_T4_T5_mT6_T7_P12ihipStream_tbENKUlT_T0_E_clISt17integral_constantIbLb1EES12_IbLb0EEEEDaSY_SZ_EUlSY_E_NS1_11comp_targetILNS1_3genE5ELNS1_11target_archE942ELNS1_3gpuE9ELNS1_3repE0EEENS1_30default_config_static_selectorELNS0_4arch9wavefront6targetE0EEEvT1_
; %bb.0:
	.section	.rodata,"a",@progbits
	.p2align	6, 0x0
	.amdhsa_kernel _ZN7rocprim17ROCPRIM_400000_NS6detail17trampoline_kernelINS0_14default_configENS1_27scan_by_key_config_selectorIifEEZZNS1_16scan_by_key_implILNS1_25lookback_scan_determinismE0ELb1ES3_N6thrust23THRUST_200600_302600_NS6detail15normal_iteratorINS9_10device_ptrIiEEEENSB_INSC_IjEEEENSB_INSC_IfEEEEfNS9_4plusIvEENS9_8equal_toIvEEfEE10hipError_tPvRmT2_T3_T4_T5_mT6_T7_P12ihipStream_tbENKUlT_T0_E_clISt17integral_constantIbLb1EES12_IbLb0EEEEDaSY_SZ_EUlSY_E_NS1_11comp_targetILNS1_3genE5ELNS1_11target_archE942ELNS1_3gpuE9ELNS1_3repE0EEENS1_30default_config_static_selectorELNS0_4arch9wavefront6targetE0EEEvT1_
		.amdhsa_group_segment_fixed_size 0
		.amdhsa_private_segment_fixed_size 0
		.amdhsa_kernarg_size 112
		.amdhsa_user_sgpr_count 6
		.amdhsa_user_sgpr_private_segment_buffer 1
		.amdhsa_user_sgpr_dispatch_ptr 0
		.amdhsa_user_sgpr_queue_ptr 0
		.amdhsa_user_sgpr_kernarg_segment_ptr 1
		.amdhsa_user_sgpr_dispatch_id 0
		.amdhsa_user_sgpr_flat_scratch_init 0
		.amdhsa_user_sgpr_private_segment_size 0
		.amdhsa_wavefront_size32 1
		.amdhsa_uses_dynamic_stack 0
		.amdhsa_system_sgpr_private_segment_wavefront_offset 0
		.amdhsa_system_sgpr_workgroup_id_x 1
		.amdhsa_system_sgpr_workgroup_id_y 0
		.amdhsa_system_sgpr_workgroup_id_z 0
		.amdhsa_system_sgpr_workgroup_info 0
		.amdhsa_system_vgpr_workitem_id 0
		.amdhsa_next_free_vgpr 1
		.amdhsa_next_free_sgpr 1
		.amdhsa_reserve_vcc 0
		.amdhsa_reserve_flat_scratch 0
		.amdhsa_float_round_mode_32 0
		.amdhsa_float_round_mode_16_64 0
		.amdhsa_float_denorm_mode_32 3
		.amdhsa_float_denorm_mode_16_64 3
		.amdhsa_dx10_clamp 1
		.amdhsa_ieee_mode 1
		.amdhsa_fp16_overflow 0
		.amdhsa_workgroup_processor_mode 1
		.amdhsa_memory_ordered 1
		.amdhsa_forward_progress 1
		.amdhsa_shared_vgpr_count 0
		.amdhsa_exception_fp_ieee_invalid_op 0
		.amdhsa_exception_fp_denorm_src 0
		.amdhsa_exception_fp_ieee_div_zero 0
		.amdhsa_exception_fp_ieee_overflow 0
		.amdhsa_exception_fp_ieee_underflow 0
		.amdhsa_exception_fp_ieee_inexact 0
		.amdhsa_exception_int_div_zero 0
	.end_amdhsa_kernel
	.section	.text._ZN7rocprim17ROCPRIM_400000_NS6detail17trampoline_kernelINS0_14default_configENS1_27scan_by_key_config_selectorIifEEZZNS1_16scan_by_key_implILNS1_25lookback_scan_determinismE0ELb1ES3_N6thrust23THRUST_200600_302600_NS6detail15normal_iteratorINS9_10device_ptrIiEEEENSB_INSC_IjEEEENSB_INSC_IfEEEEfNS9_4plusIvEENS9_8equal_toIvEEfEE10hipError_tPvRmT2_T3_T4_T5_mT6_T7_P12ihipStream_tbENKUlT_T0_E_clISt17integral_constantIbLb1EES12_IbLb0EEEEDaSY_SZ_EUlSY_E_NS1_11comp_targetILNS1_3genE5ELNS1_11target_archE942ELNS1_3gpuE9ELNS1_3repE0EEENS1_30default_config_static_selectorELNS0_4arch9wavefront6targetE0EEEvT1_,"axG",@progbits,_ZN7rocprim17ROCPRIM_400000_NS6detail17trampoline_kernelINS0_14default_configENS1_27scan_by_key_config_selectorIifEEZZNS1_16scan_by_key_implILNS1_25lookback_scan_determinismE0ELb1ES3_N6thrust23THRUST_200600_302600_NS6detail15normal_iteratorINS9_10device_ptrIiEEEENSB_INSC_IjEEEENSB_INSC_IfEEEEfNS9_4plusIvEENS9_8equal_toIvEEfEE10hipError_tPvRmT2_T3_T4_T5_mT6_T7_P12ihipStream_tbENKUlT_T0_E_clISt17integral_constantIbLb1EES12_IbLb0EEEEDaSY_SZ_EUlSY_E_NS1_11comp_targetILNS1_3genE5ELNS1_11target_archE942ELNS1_3gpuE9ELNS1_3repE0EEENS1_30default_config_static_selectorELNS0_4arch9wavefront6targetE0EEEvT1_,comdat
.Lfunc_end1700:
	.size	_ZN7rocprim17ROCPRIM_400000_NS6detail17trampoline_kernelINS0_14default_configENS1_27scan_by_key_config_selectorIifEEZZNS1_16scan_by_key_implILNS1_25lookback_scan_determinismE0ELb1ES3_N6thrust23THRUST_200600_302600_NS6detail15normal_iteratorINS9_10device_ptrIiEEEENSB_INSC_IjEEEENSB_INSC_IfEEEEfNS9_4plusIvEENS9_8equal_toIvEEfEE10hipError_tPvRmT2_T3_T4_T5_mT6_T7_P12ihipStream_tbENKUlT_T0_E_clISt17integral_constantIbLb1EES12_IbLb0EEEEDaSY_SZ_EUlSY_E_NS1_11comp_targetILNS1_3genE5ELNS1_11target_archE942ELNS1_3gpuE9ELNS1_3repE0EEENS1_30default_config_static_selectorELNS0_4arch9wavefront6targetE0EEEvT1_, .Lfunc_end1700-_ZN7rocprim17ROCPRIM_400000_NS6detail17trampoline_kernelINS0_14default_configENS1_27scan_by_key_config_selectorIifEEZZNS1_16scan_by_key_implILNS1_25lookback_scan_determinismE0ELb1ES3_N6thrust23THRUST_200600_302600_NS6detail15normal_iteratorINS9_10device_ptrIiEEEENSB_INSC_IjEEEENSB_INSC_IfEEEEfNS9_4plusIvEENS9_8equal_toIvEEfEE10hipError_tPvRmT2_T3_T4_T5_mT6_T7_P12ihipStream_tbENKUlT_T0_E_clISt17integral_constantIbLb1EES12_IbLb0EEEEDaSY_SZ_EUlSY_E_NS1_11comp_targetILNS1_3genE5ELNS1_11target_archE942ELNS1_3gpuE9ELNS1_3repE0EEENS1_30default_config_static_selectorELNS0_4arch9wavefront6targetE0EEEvT1_
                                        ; -- End function
	.set _ZN7rocprim17ROCPRIM_400000_NS6detail17trampoline_kernelINS0_14default_configENS1_27scan_by_key_config_selectorIifEEZZNS1_16scan_by_key_implILNS1_25lookback_scan_determinismE0ELb1ES3_N6thrust23THRUST_200600_302600_NS6detail15normal_iteratorINS9_10device_ptrIiEEEENSB_INSC_IjEEEENSB_INSC_IfEEEEfNS9_4plusIvEENS9_8equal_toIvEEfEE10hipError_tPvRmT2_T3_T4_T5_mT6_T7_P12ihipStream_tbENKUlT_T0_E_clISt17integral_constantIbLb1EES12_IbLb0EEEEDaSY_SZ_EUlSY_E_NS1_11comp_targetILNS1_3genE5ELNS1_11target_archE942ELNS1_3gpuE9ELNS1_3repE0EEENS1_30default_config_static_selectorELNS0_4arch9wavefront6targetE0EEEvT1_.num_vgpr, 0
	.set _ZN7rocprim17ROCPRIM_400000_NS6detail17trampoline_kernelINS0_14default_configENS1_27scan_by_key_config_selectorIifEEZZNS1_16scan_by_key_implILNS1_25lookback_scan_determinismE0ELb1ES3_N6thrust23THRUST_200600_302600_NS6detail15normal_iteratorINS9_10device_ptrIiEEEENSB_INSC_IjEEEENSB_INSC_IfEEEEfNS9_4plusIvEENS9_8equal_toIvEEfEE10hipError_tPvRmT2_T3_T4_T5_mT6_T7_P12ihipStream_tbENKUlT_T0_E_clISt17integral_constantIbLb1EES12_IbLb0EEEEDaSY_SZ_EUlSY_E_NS1_11comp_targetILNS1_3genE5ELNS1_11target_archE942ELNS1_3gpuE9ELNS1_3repE0EEENS1_30default_config_static_selectorELNS0_4arch9wavefront6targetE0EEEvT1_.num_agpr, 0
	.set _ZN7rocprim17ROCPRIM_400000_NS6detail17trampoline_kernelINS0_14default_configENS1_27scan_by_key_config_selectorIifEEZZNS1_16scan_by_key_implILNS1_25lookback_scan_determinismE0ELb1ES3_N6thrust23THRUST_200600_302600_NS6detail15normal_iteratorINS9_10device_ptrIiEEEENSB_INSC_IjEEEENSB_INSC_IfEEEEfNS9_4plusIvEENS9_8equal_toIvEEfEE10hipError_tPvRmT2_T3_T4_T5_mT6_T7_P12ihipStream_tbENKUlT_T0_E_clISt17integral_constantIbLb1EES12_IbLb0EEEEDaSY_SZ_EUlSY_E_NS1_11comp_targetILNS1_3genE5ELNS1_11target_archE942ELNS1_3gpuE9ELNS1_3repE0EEENS1_30default_config_static_selectorELNS0_4arch9wavefront6targetE0EEEvT1_.numbered_sgpr, 0
	.set _ZN7rocprim17ROCPRIM_400000_NS6detail17trampoline_kernelINS0_14default_configENS1_27scan_by_key_config_selectorIifEEZZNS1_16scan_by_key_implILNS1_25lookback_scan_determinismE0ELb1ES3_N6thrust23THRUST_200600_302600_NS6detail15normal_iteratorINS9_10device_ptrIiEEEENSB_INSC_IjEEEENSB_INSC_IfEEEEfNS9_4plusIvEENS9_8equal_toIvEEfEE10hipError_tPvRmT2_T3_T4_T5_mT6_T7_P12ihipStream_tbENKUlT_T0_E_clISt17integral_constantIbLb1EES12_IbLb0EEEEDaSY_SZ_EUlSY_E_NS1_11comp_targetILNS1_3genE5ELNS1_11target_archE942ELNS1_3gpuE9ELNS1_3repE0EEENS1_30default_config_static_selectorELNS0_4arch9wavefront6targetE0EEEvT1_.num_named_barrier, 0
	.set _ZN7rocprim17ROCPRIM_400000_NS6detail17trampoline_kernelINS0_14default_configENS1_27scan_by_key_config_selectorIifEEZZNS1_16scan_by_key_implILNS1_25lookback_scan_determinismE0ELb1ES3_N6thrust23THRUST_200600_302600_NS6detail15normal_iteratorINS9_10device_ptrIiEEEENSB_INSC_IjEEEENSB_INSC_IfEEEEfNS9_4plusIvEENS9_8equal_toIvEEfEE10hipError_tPvRmT2_T3_T4_T5_mT6_T7_P12ihipStream_tbENKUlT_T0_E_clISt17integral_constantIbLb1EES12_IbLb0EEEEDaSY_SZ_EUlSY_E_NS1_11comp_targetILNS1_3genE5ELNS1_11target_archE942ELNS1_3gpuE9ELNS1_3repE0EEENS1_30default_config_static_selectorELNS0_4arch9wavefront6targetE0EEEvT1_.private_seg_size, 0
	.set _ZN7rocprim17ROCPRIM_400000_NS6detail17trampoline_kernelINS0_14default_configENS1_27scan_by_key_config_selectorIifEEZZNS1_16scan_by_key_implILNS1_25lookback_scan_determinismE0ELb1ES3_N6thrust23THRUST_200600_302600_NS6detail15normal_iteratorINS9_10device_ptrIiEEEENSB_INSC_IjEEEENSB_INSC_IfEEEEfNS9_4plusIvEENS9_8equal_toIvEEfEE10hipError_tPvRmT2_T3_T4_T5_mT6_T7_P12ihipStream_tbENKUlT_T0_E_clISt17integral_constantIbLb1EES12_IbLb0EEEEDaSY_SZ_EUlSY_E_NS1_11comp_targetILNS1_3genE5ELNS1_11target_archE942ELNS1_3gpuE9ELNS1_3repE0EEENS1_30default_config_static_selectorELNS0_4arch9wavefront6targetE0EEEvT1_.uses_vcc, 0
	.set _ZN7rocprim17ROCPRIM_400000_NS6detail17trampoline_kernelINS0_14default_configENS1_27scan_by_key_config_selectorIifEEZZNS1_16scan_by_key_implILNS1_25lookback_scan_determinismE0ELb1ES3_N6thrust23THRUST_200600_302600_NS6detail15normal_iteratorINS9_10device_ptrIiEEEENSB_INSC_IjEEEENSB_INSC_IfEEEEfNS9_4plusIvEENS9_8equal_toIvEEfEE10hipError_tPvRmT2_T3_T4_T5_mT6_T7_P12ihipStream_tbENKUlT_T0_E_clISt17integral_constantIbLb1EES12_IbLb0EEEEDaSY_SZ_EUlSY_E_NS1_11comp_targetILNS1_3genE5ELNS1_11target_archE942ELNS1_3gpuE9ELNS1_3repE0EEENS1_30default_config_static_selectorELNS0_4arch9wavefront6targetE0EEEvT1_.uses_flat_scratch, 0
	.set _ZN7rocprim17ROCPRIM_400000_NS6detail17trampoline_kernelINS0_14default_configENS1_27scan_by_key_config_selectorIifEEZZNS1_16scan_by_key_implILNS1_25lookback_scan_determinismE0ELb1ES3_N6thrust23THRUST_200600_302600_NS6detail15normal_iteratorINS9_10device_ptrIiEEEENSB_INSC_IjEEEENSB_INSC_IfEEEEfNS9_4plusIvEENS9_8equal_toIvEEfEE10hipError_tPvRmT2_T3_T4_T5_mT6_T7_P12ihipStream_tbENKUlT_T0_E_clISt17integral_constantIbLb1EES12_IbLb0EEEEDaSY_SZ_EUlSY_E_NS1_11comp_targetILNS1_3genE5ELNS1_11target_archE942ELNS1_3gpuE9ELNS1_3repE0EEENS1_30default_config_static_selectorELNS0_4arch9wavefront6targetE0EEEvT1_.has_dyn_sized_stack, 0
	.set _ZN7rocprim17ROCPRIM_400000_NS6detail17trampoline_kernelINS0_14default_configENS1_27scan_by_key_config_selectorIifEEZZNS1_16scan_by_key_implILNS1_25lookback_scan_determinismE0ELb1ES3_N6thrust23THRUST_200600_302600_NS6detail15normal_iteratorINS9_10device_ptrIiEEEENSB_INSC_IjEEEENSB_INSC_IfEEEEfNS9_4plusIvEENS9_8equal_toIvEEfEE10hipError_tPvRmT2_T3_T4_T5_mT6_T7_P12ihipStream_tbENKUlT_T0_E_clISt17integral_constantIbLb1EES12_IbLb0EEEEDaSY_SZ_EUlSY_E_NS1_11comp_targetILNS1_3genE5ELNS1_11target_archE942ELNS1_3gpuE9ELNS1_3repE0EEENS1_30default_config_static_selectorELNS0_4arch9wavefront6targetE0EEEvT1_.has_recursion, 0
	.set _ZN7rocprim17ROCPRIM_400000_NS6detail17trampoline_kernelINS0_14default_configENS1_27scan_by_key_config_selectorIifEEZZNS1_16scan_by_key_implILNS1_25lookback_scan_determinismE0ELb1ES3_N6thrust23THRUST_200600_302600_NS6detail15normal_iteratorINS9_10device_ptrIiEEEENSB_INSC_IjEEEENSB_INSC_IfEEEEfNS9_4plusIvEENS9_8equal_toIvEEfEE10hipError_tPvRmT2_T3_T4_T5_mT6_T7_P12ihipStream_tbENKUlT_T0_E_clISt17integral_constantIbLb1EES12_IbLb0EEEEDaSY_SZ_EUlSY_E_NS1_11comp_targetILNS1_3genE5ELNS1_11target_archE942ELNS1_3gpuE9ELNS1_3repE0EEENS1_30default_config_static_selectorELNS0_4arch9wavefront6targetE0EEEvT1_.has_indirect_call, 0
	.section	.AMDGPU.csdata,"",@progbits
; Kernel info:
; codeLenInByte = 0
; TotalNumSgprs: 0
; NumVgprs: 0
; ScratchSize: 0
; MemoryBound: 0
; FloatMode: 240
; IeeeMode: 1
; LDSByteSize: 0 bytes/workgroup (compile time only)
; SGPRBlocks: 0
; VGPRBlocks: 0
; NumSGPRsForWavesPerEU: 1
; NumVGPRsForWavesPerEU: 1
; Occupancy: 16
; WaveLimiterHint : 0
; COMPUTE_PGM_RSRC2:SCRATCH_EN: 0
; COMPUTE_PGM_RSRC2:USER_SGPR: 6
; COMPUTE_PGM_RSRC2:TRAP_HANDLER: 0
; COMPUTE_PGM_RSRC2:TGID_X_EN: 1
; COMPUTE_PGM_RSRC2:TGID_Y_EN: 0
; COMPUTE_PGM_RSRC2:TGID_Z_EN: 0
; COMPUTE_PGM_RSRC2:TIDIG_COMP_CNT: 0
	.section	.text._ZN7rocprim17ROCPRIM_400000_NS6detail17trampoline_kernelINS0_14default_configENS1_27scan_by_key_config_selectorIifEEZZNS1_16scan_by_key_implILNS1_25lookback_scan_determinismE0ELb1ES3_N6thrust23THRUST_200600_302600_NS6detail15normal_iteratorINS9_10device_ptrIiEEEENSB_INSC_IjEEEENSB_INSC_IfEEEEfNS9_4plusIvEENS9_8equal_toIvEEfEE10hipError_tPvRmT2_T3_T4_T5_mT6_T7_P12ihipStream_tbENKUlT_T0_E_clISt17integral_constantIbLb1EES12_IbLb0EEEEDaSY_SZ_EUlSY_E_NS1_11comp_targetILNS1_3genE4ELNS1_11target_archE910ELNS1_3gpuE8ELNS1_3repE0EEENS1_30default_config_static_selectorELNS0_4arch9wavefront6targetE0EEEvT1_,"axG",@progbits,_ZN7rocprim17ROCPRIM_400000_NS6detail17trampoline_kernelINS0_14default_configENS1_27scan_by_key_config_selectorIifEEZZNS1_16scan_by_key_implILNS1_25lookback_scan_determinismE0ELb1ES3_N6thrust23THRUST_200600_302600_NS6detail15normal_iteratorINS9_10device_ptrIiEEEENSB_INSC_IjEEEENSB_INSC_IfEEEEfNS9_4plusIvEENS9_8equal_toIvEEfEE10hipError_tPvRmT2_T3_T4_T5_mT6_T7_P12ihipStream_tbENKUlT_T0_E_clISt17integral_constantIbLb1EES12_IbLb0EEEEDaSY_SZ_EUlSY_E_NS1_11comp_targetILNS1_3genE4ELNS1_11target_archE910ELNS1_3gpuE8ELNS1_3repE0EEENS1_30default_config_static_selectorELNS0_4arch9wavefront6targetE0EEEvT1_,comdat
	.protected	_ZN7rocprim17ROCPRIM_400000_NS6detail17trampoline_kernelINS0_14default_configENS1_27scan_by_key_config_selectorIifEEZZNS1_16scan_by_key_implILNS1_25lookback_scan_determinismE0ELb1ES3_N6thrust23THRUST_200600_302600_NS6detail15normal_iteratorINS9_10device_ptrIiEEEENSB_INSC_IjEEEENSB_INSC_IfEEEEfNS9_4plusIvEENS9_8equal_toIvEEfEE10hipError_tPvRmT2_T3_T4_T5_mT6_T7_P12ihipStream_tbENKUlT_T0_E_clISt17integral_constantIbLb1EES12_IbLb0EEEEDaSY_SZ_EUlSY_E_NS1_11comp_targetILNS1_3genE4ELNS1_11target_archE910ELNS1_3gpuE8ELNS1_3repE0EEENS1_30default_config_static_selectorELNS0_4arch9wavefront6targetE0EEEvT1_ ; -- Begin function _ZN7rocprim17ROCPRIM_400000_NS6detail17trampoline_kernelINS0_14default_configENS1_27scan_by_key_config_selectorIifEEZZNS1_16scan_by_key_implILNS1_25lookback_scan_determinismE0ELb1ES3_N6thrust23THRUST_200600_302600_NS6detail15normal_iteratorINS9_10device_ptrIiEEEENSB_INSC_IjEEEENSB_INSC_IfEEEEfNS9_4plusIvEENS9_8equal_toIvEEfEE10hipError_tPvRmT2_T3_T4_T5_mT6_T7_P12ihipStream_tbENKUlT_T0_E_clISt17integral_constantIbLb1EES12_IbLb0EEEEDaSY_SZ_EUlSY_E_NS1_11comp_targetILNS1_3genE4ELNS1_11target_archE910ELNS1_3gpuE8ELNS1_3repE0EEENS1_30default_config_static_selectorELNS0_4arch9wavefront6targetE0EEEvT1_
	.globl	_ZN7rocprim17ROCPRIM_400000_NS6detail17trampoline_kernelINS0_14default_configENS1_27scan_by_key_config_selectorIifEEZZNS1_16scan_by_key_implILNS1_25lookback_scan_determinismE0ELb1ES3_N6thrust23THRUST_200600_302600_NS6detail15normal_iteratorINS9_10device_ptrIiEEEENSB_INSC_IjEEEENSB_INSC_IfEEEEfNS9_4plusIvEENS9_8equal_toIvEEfEE10hipError_tPvRmT2_T3_T4_T5_mT6_T7_P12ihipStream_tbENKUlT_T0_E_clISt17integral_constantIbLb1EES12_IbLb0EEEEDaSY_SZ_EUlSY_E_NS1_11comp_targetILNS1_3genE4ELNS1_11target_archE910ELNS1_3gpuE8ELNS1_3repE0EEENS1_30default_config_static_selectorELNS0_4arch9wavefront6targetE0EEEvT1_
	.p2align	8
	.type	_ZN7rocprim17ROCPRIM_400000_NS6detail17trampoline_kernelINS0_14default_configENS1_27scan_by_key_config_selectorIifEEZZNS1_16scan_by_key_implILNS1_25lookback_scan_determinismE0ELb1ES3_N6thrust23THRUST_200600_302600_NS6detail15normal_iteratorINS9_10device_ptrIiEEEENSB_INSC_IjEEEENSB_INSC_IfEEEEfNS9_4plusIvEENS9_8equal_toIvEEfEE10hipError_tPvRmT2_T3_T4_T5_mT6_T7_P12ihipStream_tbENKUlT_T0_E_clISt17integral_constantIbLb1EES12_IbLb0EEEEDaSY_SZ_EUlSY_E_NS1_11comp_targetILNS1_3genE4ELNS1_11target_archE910ELNS1_3gpuE8ELNS1_3repE0EEENS1_30default_config_static_selectorELNS0_4arch9wavefront6targetE0EEEvT1_,@function
_ZN7rocprim17ROCPRIM_400000_NS6detail17trampoline_kernelINS0_14default_configENS1_27scan_by_key_config_selectorIifEEZZNS1_16scan_by_key_implILNS1_25lookback_scan_determinismE0ELb1ES3_N6thrust23THRUST_200600_302600_NS6detail15normal_iteratorINS9_10device_ptrIiEEEENSB_INSC_IjEEEENSB_INSC_IfEEEEfNS9_4plusIvEENS9_8equal_toIvEEfEE10hipError_tPvRmT2_T3_T4_T5_mT6_T7_P12ihipStream_tbENKUlT_T0_E_clISt17integral_constantIbLb1EES12_IbLb0EEEEDaSY_SZ_EUlSY_E_NS1_11comp_targetILNS1_3genE4ELNS1_11target_archE910ELNS1_3gpuE8ELNS1_3repE0EEENS1_30default_config_static_selectorELNS0_4arch9wavefront6targetE0EEEvT1_: ; @_ZN7rocprim17ROCPRIM_400000_NS6detail17trampoline_kernelINS0_14default_configENS1_27scan_by_key_config_selectorIifEEZZNS1_16scan_by_key_implILNS1_25lookback_scan_determinismE0ELb1ES3_N6thrust23THRUST_200600_302600_NS6detail15normal_iteratorINS9_10device_ptrIiEEEENSB_INSC_IjEEEENSB_INSC_IfEEEEfNS9_4plusIvEENS9_8equal_toIvEEfEE10hipError_tPvRmT2_T3_T4_T5_mT6_T7_P12ihipStream_tbENKUlT_T0_E_clISt17integral_constantIbLb1EES12_IbLb0EEEEDaSY_SZ_EUlSY_E_NS1_11comp_targetILNS1_3genE4ELNS1_11target_archE910ELNS1_3gpuE8ELNS1_3repE0EEENS1_30default_config_static_selectorELNS0_4arch9wavefront6targetE0EEEvT1_
; %bb.0:
	.section	.rodata,"a",@progbits
	.p2align	6, 0x0
	.amdhsa_kernel _ZN7rocprim17ROCPRIM_400000_NS6detail17trampoline_kernelINS0_14default_configENS1_27scan_by_key_config_selectorIifEEZZNS1_16scan_by_key_implILNS1_25lookback_scan_determinismE0ELb1ES3_N6thrust23THRUST_200600_302600_NS6detail15normal_iteratorINS9_10device_ptrIiEEEENSB_INSC_IjEEEENSB_INSC_IfEEEEfNS9_4plusIvEENS9_8equal_toIvEEfEE10hipError_tPvRmT2_T3_T4_T5_mT6_T7_P12ihipStream_tbENKUlT_T0_E_clISt17integral_constantIbLb1EES12_IbLb0EEEEDaSY_SZ_EUlSY_E_NS1_11comp_targetILNS1_3genE4ELNS1_11target_archE910ELNS1_3gpuE8ELNS1_3repE0EEENS1_30default_config_static_selectorELNS0_4arch9wavefront6targetE0EEEvT1_
		.amdhsa_group_segment_fixed_size 0
		.amdhsa_private_segment_fixed_size 0
		.amdhsa_kernarg_size 112
		.amdhsa_user_sgpr_count 6
		.amdhsa_user_sgpr_private_segment_buffer 1
		.amdhsa_user_sgpr_dispatch_ptr 0
		.amdhsa_user_sgpr_queue_ptr 0
		.amdhsa_user_sgpr_kernarg_segment_ptr 1
		.amdhsa_user_sgpr_dispatch_id 0
		.amdhsa_user_sgpr_flat_scratch_init 0
		.amdhsa_user_sgpr_private_segment_size 0
		.amdhsa_wavefront_size32 1
		.amdhsa_uses_dynamic_stack 0
		.amdhsa_system_sgpr_private_segment_wavefront_offset 0
		.amdhsa_system_sgpr_workgroup_id_x 1
		.amdhsa_system_sgpr_workgroup_id_y 0
		.amdhsa_system_sgpr_workgroup_id_z 0
		.amdhsa_system_sgpr_workgroup_info 0
		.amdhsa_system_vgpr_workitem_id 0
		.amdhsa_next_free_vgpr 1
		.amdhsa_next_free_sgpr 1
		.amdhsa_reserve_vcc 0
		.amdhsa_reserve_flat_scratch 0
		.amdhsa_float_round_mode_32 0
		.amdhsa_float_round_mode_16_64 0
		.amdhsa_float_denorm_mode_32 3
		.amdhsa_float_denorm_mode_16_64 3
		.amdhsa_dx10_clamp 1
		.amdhsa_ieee_mode 1
		.amdhsa_fp16_overflow 0
		.amdhsa_workgroup_processor_mode 1
		.amdhsa_memory_ordered 1
		.amdhsa_forward_progress 1
		.amdhsa_shared_vgpr_count 0
		.amdhsa_exception_fp_ieee_invalid_op 0
		.amdhsa_exception_fp_denorm_src 0
		.amdhsa_exception_fp_ieee_div_zero 0
		.amdhsa_exception_fp_ieee_overflow 0
		.amdhsa_exception_fp_ieee_underflow 0
		.amdhsa_exception_fp_ieee_inexact 0
		.amdhsa_exception_int_div_zero 0
	.end_amdhsa_kernel
	.section	.text._ZN7rocprim17ROCPRIM_400000_NS6detail17trampoline_kernelINS0_14default_configENS1_27scan_by_key_config_selectorIifEEZZNS1_16scan_by_key_implILNS1_25lookback_scan_determinismE0ELb1ES3_N6thrust23THRUST_200600_302600_NS6detail15normal_iteratorINS9_10device_ptrIiEEEENSB_INSC_IjEEEENSB_INSC_IfEEEEfNS9_4plusIvEENS9_8equal_toIvEEfEE10hipError_tPvRmT2_T3_T4_T5_mT6_T7_P12ihipStream_tbENKUlT_T0_E_clISt17integral_constantIbLb1EES12_IbLb0EEEEDaSY_SZ_EUlSY_E_NS1_11comp_targetILNS1_3genE4ELNS1_11target_archE910ELNS1_3gpuE8ELNS1_3repE0EEENS1_30default_config_static_selectorELNS0_4arch9wavefront6targetE0EEEvT1_,"axG",@progbits,_ZN7rocprim17ROCPRIM_400000_NS6detail17trampoline_kernelINS0_14default_configENS1_27scan_by_key_config_selectorIifEEZZNS1_16scan_by_key_implILNS1_25lookback_scan_determinismE0ELb1ES3_N6thrust23THRUST_200600_302600_NS6detail15normal_iteratorINS9_10device_ptrIiEEEENSB_INSC_IjEEEENSB_INSC_IfEEEEfNS9_4plusIvEENS9_8equal_toIvEEfEE10hipError_tPvRmT2_T3_T4_T5_mT6_T7_P12ihipStream_tbENKUlT_T0_E_clISt17integral_constantIbLb1EES12_IbLb0EEEEDaSY_SZ_EUlSY_E_NS1_11comp_targetILNS1_3genE4ELNS1_11target_archE910ELNS1_3gpuE8ELNS1_3repE0EEENS1_30default_config_static_selectorELNS0_4arch9wavefront6targetE0EEEvT1_,comdat
.Lfunc_end1701:
	.size	_ZN7rocprim17ROCPRIM_400000_NS6detail17trampoline_kernelINS0_14default_configENS1_27scan_by_key_config_selectorIifEEZZNS1_16scan_by_key_implILNS1_25lookback_scan_determinismE0ELb1ES3_N6thrust23THRUST_200600_302600_NS6detail15normal_iteratorINS9_10device_ptrIiEEEENSB_INSC_IjEEEENSB_INSC_IfEEEEfNS9_4plusIvEENS9_8equal_toIvEEfEE10hipError_tPvRmT2_T3_T4_T5_mT6_T7_P12ihipStream_tbENKUlT_T0_E_clISt17integral_constantIbLb1EES12_IbLb0EEEEDaSY_SZ_EUlSY_E_NS1_11comp_targetILNS1_3genE4ELNS1_11target_archE910ELNS1_3gpuE8ELNS1_3repE0EEENS1_30default_config_static_selectorELNS0_4arch9wavefront6targetE0EEEvT1_, .Lfunc_end1701-_ZN7rocprim17ROCPRIM_400000_NS6detail17trampoline_kernelINS0_14default_configENS1_27scan_by_key_config_selectorIifEEZZNS1_16scan_by_key_implILNS1_25lookback_scan_determinismE0ELb1ES3_N6thrust23THRUST_200600_302600_NS6detail15normal_iteratorINS9_10device_ptrIiEEEENSB_INSC_IjEEEENSB_INSC_IfEEEEfNS9_4plusIvEENS9_8equal_toIvEEfEE10hipError_tPvRmT2_T3_T4_T5_mT6_T7_P12ihipStream_tbENKUlT_T0_E_clISt17integral_constantIbLb1EES12_IbLb0EEEEDaSY_SZ_EUlSY_E_NS1_11comp_targetILNS1_3genE4ELNS1_11target_archE910ELNS1_3gpuE8ELNS1_3repE0EEENS1_30default_config_static_selectorELNS0_4arch9wavefront6targetE0EEEvT1_
                                        ; -- End function
	.set _ZN7rocprim17ROCPRIM_400000_NS6detail17trampoline_kernelINS0_14default_configENS1_27scan_by_key_config_selectorIifEEZZNS1_16scan_by_key_implILNS1_25lookback_scan_determinismE0ELb1ES3_N6thrust23THRUST_200600_302600_NS6detail15normal_iteratorINS9_10device_ptrIiEEEENSB_INSC_IjEEEENSB_INSC_IfEEEEfNS9_4plusIvEENS9_8equal_toIvEEfEE10hipError_tPvRmT2_T3_T4_T5_mT6_T7_P12ihipStream_tbENKUlT_T0_E_clISt17integral_constantIbLb1EES12_IbLb0EEEEDaSY_SZ_EUlSY_E_NS1_11comp_targetILNS1_3genE4ELNS1_11target_archE910ELNS1_3gpuE8ELNS1_3repE0EEENS1_30default_config_static_selectorELNS0_4arch9wavefront6targetE0EEEvT1_.num_vgpr, 0
	.set _ZN7rocprim17ROCPRIM_400000_NS6detail17trampoline_kernelINS0_14default_configENS1_27scan_by_key_config_selectorIifEEZZNS1_16scan_by_key_implILNS1_25lookback_scan_determinismE0ELb1ES3_N6thrust23THRUST_200600_302600_NS6detail15normal_iteratorINS9_10device_ptrIiEEEENSB_INSC_IjEEEENSB_INSC_IfEEEEfNS9_4plusIvEENS9_8equal_toIvEEfEE10hipError_tPvRmT2_T3_T4_T5_mT6_T7_P12ihipStream_tbENKUlT_T0_E_clISt17integral_constantIbLb1EES12_IbLb0EEEEDaSY_SZ_EUlSY_E_NS1_11comp_targetILNS1_3genE4ELNS1_11target_archE910ELNS1_3gpuE8ELNS1_3repE0EEENS1_30default_config_static_selectorELNS0_4arch9wavefront6targetE0EEEvT1_.num_agpr, 0
	.set _ZN7rocprim17ROCPRIM_400000_NS6detail17trampoline_kernelINS0_14default_configENS1_27scan_by_key_config_selectorIifEEZZNS1_16scan_by_key_implILNS1_25lookback_scan_determinismE0ELb1ES3_N6thrust23THRUST_200600_302600_NS6detail15normal_iteratorINS9_10device_ptrIiEEEENSB_INSC_IjEEEENSB_INSC_IfEEEEfNS9_4plusIvEENS9_8equal_toIvEEfEE10hipError_tPvRmT2_T3_T4_T5_mT6_T7_P12ihipStream_tbENKUlT_T0_E_clISt17integral_constantIbLb1EES12_IbLb0EEEEDaSY_SZ_EUlSY_E_NS1_11comp_targetILNS1_3genE4ELNS1_11target_archE910ELNS1_3gpuE8ELNS1_3repE0EEENS1_30default_config_static_selectorELNS0_4arch9wavefront6targetE0EEEvT1_.numbered_sgpr, 0
	.set _ZN7rocprim17ROCPRIM_400000_NS6detail17trampoline_kernelINS0_14default_configENS1_27scan_by_key_config_selectorIifEEZZNS1_16scan_by_key_implILNS1_25lookback_scan_determinismE0ELb1ES3_N6thrust23THRUST_200600_302600_NS6detail15normal_iteratorINS9_10device_ptrIiEEEENSB_INSC_IjEEEENSB_INSC_IfEEEEfNS9_4plusIvEENS9_8equal_toIvEEfEE10hipError_tPvRmT2_T3_T4_T5_mT6_T7_P12ihipStream_tbENKUlT_T0_E_clISt17integral_constantIbLb1EES12_IbLb0EEEEDaSY_SZ_EUlSY_E_NS1_11comp_targetILNS1_3genE4ELNS1_11target_archE910ELNS1_3gpuE8ELNS1_3repE0EEENS1_30default_config_static_selectorELNS0_4arch9wavefront6targetE0EEEvT1_.num_named_barrier, 0
	.set _ZN7rocprim17ROCPRIM_400000_NS6detail17trampoline_kernelINS0_14default_configENS1_27scan_by_key_config_selectorIifEEZZNS1_16scan_by_key_implILNS1_25lookback_scan_determinismE0ELb1ES3_N6thrust23THRUST_200600_302600_NS6detail15normal_iteratorINS9_10device_ptrIiEEEENSB_INSC_IjEEEENSB_INSC_IfEEEEfNS9_4plusIvEENS9_8equal_toIvEEfEE10hipError_tPvRmT2_T3_T4_T5_mT6_T7_P12ihipStream_tbENKUlT_T0_E_clISt17integral_constantIbLb1EES12_IbLb0EEEEDaSY_SZ_EUlSY_E_NS1_11comp_targetILNS1_3genE4ELNS1_11target_archE910ELNS1_3gpuE8ELNS1_3repE0EEENS1_30default_config_static_selectorELNS0_4arch9wavefront6targetE0EEEvT1_.private_seg_size, 0
	.set _ZN7rocprim17ROCPRIM_400000_NS6detail17trampoline_kernelINS0_14default_configENS1_27scan_by_key_config_selectorIifEEZZNS1_16scan_by_key_implILNS1_25lookback_scan_determinismE0ELb1ES3_N6thrust23THRUST_200600_302600_NS6detail15normal_iteratorINS9_10device_ptrIiEEEENSB_INSC_IjEEEENSB_INSC_IfEEEEfNS9_4plusIvEENS9_8equal_toIvEEfEE10hipError_tPvRmT2_T3_T4_T5_mT6_T7_P12ihipStream_tbENKUlT_T0_E_clISt17integral_constantIbLb1EES12_IbLb0EEEEDaSY_SZ_EUlSY_E_NS1_11comp_targetILNS1_3genE4ELNS1_11target_archE910ELNS1_3gpuE8ELNS1_3repE0EEENS1_30default_config_static_selectorELNS0_4arch9wavefront6targetE0EEEvT1_.uses_vcc, 0
	.set _ZN7rocprim17ROCPRIM_400000_NS6detail17trampoline_kernelINS0_14default_configENS1_27scan_by_key_config_selectorIifEEZZNS1_16scan_by_key_implILNS1_25lookback_scan_determinismE0ELb1ES3_N6thrust23THRUST_200600_302600_NS6detail15normal_iteratorINS9_10device_ptrIiEEEENSB_INSC_IjEEEENSB_INSC_IfEEEEfNS9_4plusIvEENS9_8equal_toIvEEfEE10hipError_tPvRmT2_T3_T4_T5_mT6_T7_P12ihipStream_tbENKUlT_T0_E_clISt17integral_constantIbLb1EES12_IbLb0EEEEDaSY_SZ_EUlSY_E_NS1_11comp_targetILNS1_3genE4ELNS1_11target_archE910ELNS1_3gpuE8ELNS1_3repE0EEENS1_30default_config_static_selectorELNS0_4arch9wavefront6targetE0EEEvT1_.uses_flat_scratch, 0
	.set _ZN7rocprim17ROCPRIM_400000_NS6detail17trampoline_kernelINS0_14default_configENS1_27scan_by_key_config_selectorIifEEZZNS1_16scan_by_key_implILNS1_25lookback_scan_determinismE0ELb1ES3_N6thrust23THRUST_200600_302600_NS6detail15normal_iteratorINS9_10device_ptrIiEEEENSB_INSC_IjEEEENSB_INSC_IfEEEEfNS9_4plusIvEENS9_8equal_toIvEEfEE10hipError_tPvRmT2_T3_T4_T5_mT6_T7_P12ihipStream_tbENKUlT_T0_E_clISt17integral_constantIbLb1EES12_IbLb0EEEEDaSY_SZ_EUlSY_E_NS1_11comp_targetILNS1_3genE4ELNS1_11target_archE910ELNS1_3gpuE8ELNS1_3repE0EEENS1_30default_config_static_selectorELNS0_4arch9wavefront6targetE0EEEvT1_.has_dyn_sized_stack, 0
	.set _ZN7rocprim17ROCPRIM_400000_NS6detail17trampoline_kernelINS0_14default_configENS1_27scan_by_key_config_selectorIifEEZZNS1_16scan_by_key_implILNS1_25lookback_scan_determinismE0ELb1ES3_N6thrust23THRUST_200600_302600_NS6detail15normal_iteratorINS9_10device_ptrIiEEEENSB_INSC_IjEEEENSB_INSC_IfEEEEfNS9_4plusIvEENS9_8equal_toIvEEfEE10hipError_tPvRmT2_T3_T4_T5_mT6_T7_P12ihipStream_tbENKUlT_T0_E_clISt17integral_constantIbLb1EES12_IbLb0EEEEDaSY_SZ_EUlSY_E_NS1_11comp_targetILNS1_3genE4ELNS1_11target_archE910ELNS1_3gpuE8ELNS1_3repE0EEENS1_30default_config_static_selectorELNS0_4arch9wavefront6targetE0EEEvT1_.has_recursion, 0
	.set _ZN7rocprim17ROCPRIM_400000_NS6detail17trampoline_kernelINS0_14default_configENS1_27scan_by_key_config_selectorIifEEZZNS1_16scan_by_key_implILNS1_25lookback_scan_determinismE0ELb1ES3_N6thrust23THRUST_200600_302600_NS6detail15normal_iteratorINS9_10device_ptrIiEEEENSB_INSC_IjEEEENSB_INSC_IfEEEEfNS9_4plusIvEENS9_8equal_toIvEEfEE10hipError_tPvRmT2_T3_T4_T5_mT6_T7_P12ihipStream_tbENKUlT_T0_E_clISt17integral_constantIbLb1EES12_IbLb0EEEEDaSY_SZ_EUlSY_E_NS1_11comp_targetILNS1_3genE4ELNS1_11target_archE910ELNS1_3gpuE8ELNS1_3repE0EEENS1_30default_config_static_selectorELNS0_4arch9wavefront6targetE0EEEvT1_.has_indirect_call, 0
	.section	.AMDGPU.csdata,"",@progbits
; Kernel info:
; codeLenInByte = 0
; TotalNumSgprs: 0
; NumVgprs: 0
; ScratchSize: 0
; MemoryBound: 0
; FloatMode: 240
; IeeeMode: 1
; LDSByteSize: 0 bytes/workgroup (compile time only)
; SGPRBlocks: 0
; VGPRBlocks: 0
; NumSGPRsForWavesPerEU: 1
; NumVGPRsForWavesPerEU: 1
; Occupancy: 16
; WaveLimiterHint : 0
; COMPUTE_PGM_RSRC2:SCRATCH_EN: 0
; COMPUTE_PGM_RSRC2:USER_SGPR: 6
; COMPUTE_PGM_RSRC2:TRAP_HANDLER: 0
; COMPUTE_PGM_RSRC2:TGID_X_EN: 1
; COMPUTE_PGM_RSRC2:TGID_Y_EN: 0
; COMPUTE_PGM_RSRC2:TGID_Z_EN: 0
; COMPUTE_PGM_RSRC2:TIDIG_COMP_CNT: 0
	.section	.text._ZN7rocprim17ROCPRIM_400000_NS6detail17trampoline_kernelINS0_14default_configENS1_27scan_by_key_config_selectorIifEEZZNS1_16scan_by_key_implILNS1_25lookback_scan_determinismE0ELb1ES3_N6thrust23THRUST_200600_302600_NS6detail15normal_iteratorINS9_10device_ptrIiEEEENSB_INSC_IjEEEENSB_INSC_IfEEEEfNS9_4plusIvEENS9_8equal_toIvEEfEE10hipError_tPvRmT2_T3_T4_T5_mT6_T7_P12ihipStream_tbENKUlT_T0_E_clISt17integral_constantIbLb1EES12_IbLb0EEEEDaSY_SZ_EUlSY_E_NS1_11comp_targetILNS1_3genE3ELNS1_11target_archE908ELNS1_3gpuE7ELNS1_3repE0EEENS1_30default_config_static_selectorELNS0_4arch9wavefront6targetE0EEEvT1_,"axG",@progbits,_ZN7rocprim17ROCPRIM_400000_NS6detail17trampoline_kernelINS0_14default_configENS1_27scan_by_key_config_selectorIifEEZZNS1_16scan_by_key_implILNS1_25lookback_scan_determinismE0ELb1ES3_N6thrust23THRUST_200600_302600_NS6detail15normal_iteratorINS9_10device_ptrIiEEEENSB_INSC_IjEEEENSB_INSC_IfEEEEfNS9_4plusIvEENS9_8equal_toIvEEfEE10hipError_tPvRmT2_T3_T4_T5_mT6_T7_P12ihipStream_tbENKUlT_T0_E_clISt17integral_constantIbLb1EES12_IbLb0EEEEDaSY_SZ_EUlSY_E_NS1_11comp_targetILNS1_3genE3ELNS1_11target_archE908ELNS1_3gpuE7ELNS1_3repE0EEENS1_30default_config_static_selectorELNS0_4arch9wavefront6targetE0EEEvT1_,comdat
	.protected	_ZN7rocprim17ROCPRIM_400000_NS6detail17trampoline_kernelINS0_14default_configENS1_27scan_by_key_config_selectorIifEEZZNS1_16scan_by_key_implILNS1_25lookback_scan_determinismE0ELb1ES3_N6thrust23THRUST_200600_302600_NS6detail15normal_iteratorINS9_10device_ptrIiEEEENSB_INSC_IjEEEENSB_INSC_IfEEEEfNS9_4plusIvEENS9_8equal_toIvEEfEE10hipError_tPvRmT2_T3_T4_T5_mT6_T7_P12ihipStream_tbENKUlT_T0_E_clISt17integral_constantIbLb1EES12_IbLb0EEEEDaSY_SZ_EUlSY_E_NS1_11comp_targetILNS1_3genE3ELNS1_11target_archE908ELNS1_3gpuE7ELNS1_3repE0EEENS1_30default_config_static_selectorELNS0_4arch9wavefront6targetE0EEEvT1_ ; -- Begin function _ZN7rocprim17ROCPRIM_400000_NS6detail17trampoline_kernelINS0_14default_configENS1_27scan_by_key_config_selectorIifEEZZNS1_16scan_by_key_implILNS1_25lookback_scan_determinismE0ELb1ES3_N6thrust23THRUST_200600_302600_NS6detail15normal_iteratorINS9_10device_ptrIiEEEENSB_INSC_IjEEEENSB_INSC_IfEEEEfNS9_4plusIvEENS9_8equal_toIvEEfEE10hipError_tPvRmT2_T3_T4_T5_mT6_T7_P12ihipStream_tbENKUlT_T0_E_clISt17integral_constantIbLb1EES12_IbLb0EEEEDaSY_SZ_EUlSY_E_NS1_11comp_targetILNS1_3genE3ELNS1_11target_archE908ELNS1_3gpuE7ELNS1_3repE0EEENS1_30default_config_static_selectorELNS0_4arch9wavefront6targetE0EEEvT1_
	.globl	_ZN7rocprim17ROCPRIM_400000_NS6detail17trampoline_kernelINS0_14default_configENS1_27scan_by_key_config_selectorIifEEZZNS1_16scan_by_key_implILNS1_25lookback_scan_determinismE0ELb1ES3_N6thrust23THRUST_200600_302600_NS6detail15normal_iteratorINS9_10device_ptrIiEEEENSB_INSC_IjEEEENSB_INSC_IfEEEEfNS9_4plusIvEENS9_8equal_toIvEEfEE10hipError_tPvRmT2_T3_T4_T5_mT6_T7_P12ihipStream_tbENKUlT_T0_E_clISt17integral_constantIbLb1EES12_IbLb0EEEEDaSY_SZ_EUlSY_E_NS1_11comp_targetILNS1_3genE3ELNS1_11target_archE908ELNS1_3gpuE7ELNS1_3repE0EEENS1_30default_config_static_selectorELNS0_4arch9wavefront6targetE0EEEvT1_
	.p2align	8
	.type	_ZN7rocprim17ROCPRIM_400000_NS6detail17trampoline_kernelINS0_14default_configENS1_27scan_by_key_config_selectorIifEEZZNS1_16scan_by_key_implILNS1_25lookback_scan_determinismE0ELb1ES3_N6thrust23THRUST_200600_302600_NS6detail15normal_iteratorINS9_10device_ptrIiEEEENSB_INSC_IjEEEENSB_INSC_IfEEEEfNS9_4plusIvEENS9_8equal_toIvEEfEE10hipError_tPvRmT2_T3_T4_T5_mT6_T7_P12ihipStream_tbENKUlT_T0_E_clISt17integral_constantIbLb1EES12_IbLb0EEEEDaSY_SZ_EUlSY_E_NS1_11comp_targetILNS1_3genE3ELNS1_11target_archE908ELNS1_3gpuE7ELNS1_3repE0EEENS1_30default_config_static_selectorELNS0_4arch9wavefront6targetE0EEEvT1_,@function
_ZN7rocprim17ROCPRIM_400000_NS6detail17trampoline_kernelINS0_14default_configENS1_27scan_by_key_config_selectorIifEEZZNS1_16scan_by_key_implILNS1_25lookback_scan_determinismE0ELb1ES3_N6thrust23THRUST_200600_302600_NS6detail15normal_iteratorINS9_10device_ptrIiEEEENSB_INSC_IjEEEENSB_INSC_IfEEEEfNS9_4plusIvEENS9_8equal_toIvEEfEE10hipError_tPvRmT2_T3_T4_T5_mT6_T7_P12ihipStream_tbENKUlT_T0_E_clISt17integral_constantIbLb1EES12_IbLb0EEEEDaSY_SZ_EUlSY_E_NS1_11comp_targetILNS1_3genE3ELNS1_11target_archE908ELNS1_3gpuE7ELNS1_3repE0EEENS1_30default_config_static_selectorELNS0_4arch9wavefront6targetE0EEEvT1_: ; @_ZN7rocprim17ROCPRIM_400000_NS6detail17trampoline_kernelINS0_14default_configENS1_27scan_by_key_config_selectorIifEEZZNS1_16scan_by_key_implILNS1_25lookback_scan_determinismE0ELb1ES3_N6thrust23THRUST_200600_302600_NS6detail15normal_iteratorINS9_10device_ptrIiEEEENSB_INSC_IjEEEENSB_INSC_IfEEEEfNS9_4plusIvEENS9_8equal_toIvEEfEE10hipError_tPvRmT2_T3_T4_T5_mT6_T7_P12ihipStream_tbENKUlT_T0_E_clISt17integral_constantIbLb1EES12_IbLb0EEEEDaSY_SZ_EUlSY_E_NS1_11comp_targetILNS1_3genE3ELNS1_11target_archE908ELNS1_3gpuE7ELNS1_3repE0EEENS1_30default_config_static_selectorELNS0_4arch9wavefront6targetE0EEEvT1_
; %bb.0:
	.section	.rodata,"a",@progbits
	.p2align	6, 0x0
	.amdhsa_kernel _ZN7rocprim17ROCPRIM_400000_NS6detail17trampoline_kernelINS0_14default_configENS1_27scan_by_key_config_selectorIifEEZZNS1_16scan_by_key_implILNS1_25lookback_scan_determinismE0ELb1ES3_N6thrust23THRUST_200600_302600_NS6detail15normal_iteratorINS9_10device_ptrIiEEEENSB_INSC_IjEEEENSB_INSC_IfEEEEfNS9_4plusIvEENS9_8equal_toIvEEfEE10hipError_tPvRmT2_T3_T4_T5_mT6_T7_P12ihipStream_tbENKUlT_T0_E_clISt17integral_constantIbLb1EES12_IbLb0EEEEDaSY_SZ_EUlSY_E_NS1_11comp_targetILNS1_3genE3ELNS1_11target_archE908ELNS1_3gpuE7ELNS1_3repE0EEENS1_30default_config_static_selectorELNS0_4arch9wavefront6targetE0EEEvT1_
		.amdhsa_group_segment_fixed_size 0
		.amdhsa_private_segment_fixed_size 0
		.amdhsa_kernarg_size 112
		.amdhsa_user_sgpr_count 6
		.amdhsa_user_sgpr_private_segment_buffer 1
		.amdhsa_user_sgpr_dispatch_ptr 0
		.amdhsa_user_sgpr_queue_ptr 0
		.amdhsa_user_sgpr_kernarg_segment_ptr 1
		.amdhsa_user_sgpr_dispatch_id 0
		.amdhsa_user_sgpr_flat_scratch_init 0
		.amdhsa_user_sgpr_private_segment_size 0
		.amdhsa_wavefront_size32 1
		.amdhsa_uses_dynamic_stack 0
		.amdhsa_system_sgpr_private_segment_wavefront_offset 0
		.amdhsa_system_sgpr_workgroup_id_x 1
		.amdhsa_system_sgpr_workgroup_id_y 0
		.amdhsa_system_sgpr_workgroup_id_z 0
		.amdhsa_system_sgpr_workgroup_info 0
		.amdhsa_system_vgpr_workitem_id 0
		.amdhsa_next_free_vgpr 1
		.amdhsa_next_free_sgpr 1
		.amdhsa_reserve_vcc 0
		.amdhsa_reserve_flat_scratch 0
		.amdhsa_float_round_mode_32 0
		.amdhsa_float_round_mode_16_64 0
		.amdhsa_float_denorm_mode_32 3
		.amdhsa_float_denorm_mode_16_64 3
		.amdhsa_dx10_clamp 1
		.amdhsa_ieee_mode 1
		.amdhsa_fp16_overflow 0
		.amdhsa_workgroup_processor_mode 1
		.amdhsa_memory_ordered 1
		.amdhsa_forward_progress 1
		.amdhsa_shared_vgpr_count 0
		.amdhsa_exception_fp_ieee_invalid_op 0
		.amdhsa_exception_fp_denorm_src 0
		.amdhsa_exception_fp_ieee_div_zero 0
		.amdhsa_exception_fp_ieee_overflow 0
		.amdhsa_exception_fp_ieee_underflow 0
		.amdhsa_exception_fp_ieee_inexact 0
		.amdhsa_exception_int_div_zero 0
	.end_amdhsa_kernel
	.section	.text._ZN7rocprim17ROCPRIM_400000_NS6detail17trampoline_kernelINS0_14default_configENS1_27scan_by_key_config_selectorIifEEZZNS1_16scan_by_key_implILNS1_25lookback_scan_determinismE0ELb1ES3_N6thrust23THRUST_200600_302600_NS6detail15normal_iteratorINS9_10device_ptrIiEEEENSB_INSC_IjEEEENSB_INSC_IfEEEEfNS9_4plusIvEENS9_8equal_toIvEEfEE10hipError_tPvRmT2_T3_T4_T5_mT6_T7_P12ihipStream_tbENKUlT_T0_E_clISt17integral_constantIbLb1EES12_IbLb0EEEEDaSY_SZ_EUlSY_E_NS1_11comp_targetILNS1_3genE3ELNS1_11target_archE908ELNS1_3gpuE7ELNS1_3repE0EEENS1_30default_config_static_selectorELNS0_4arch9wavefront6targetE0EEEvT1_,"axG",@progbits,_ZN7rocprim17ROCPRIM_400000_NS6detail17trampoline_kernelINS0_14default_configENS1_27scan_by_key_config_selectorIifEEZZNS1_16scan_by_key_implILNS1_25lookback_scan_determinismE0ELb1ES3_N6thrust23THRUST_200600_302600_NS6detail15normal_iteratorINS9_10device_ptrIiEEEENSB_INSC_IjEEEENSB_INSC_IfEEEEfNS9_4plusIvEENS9_8equal_toIvEEfEE10hipError_tPvRmT2_T3_T4_T5_mT6_T7_P12ihipStream_tbENKUlT_T0_E_clISt17integral_constantIbLb1EES12_IbLb0EEEEDaSY_SZ_EUlSY_E_NS1_11comp_targetILNS1_3genE3ELNS1_11target_archE908ELNS1_3gpuE7ELNS1_3repE0EEENS1_30default_config_static_selectorELNS0_4arch9wavefront6targetE0EEEvT1_,comdat
.Lfunc_end1702:
	.size	_ZN7rocprim17ROCPRIM_400000_NS6detail17trampoline_kernelINS0_14default_configENS1_27scan_by_key_config_selectorIifEEZZNS1_16scan_by_key_implILNS1_25lookback_scan_determinismE0ELb1ES3_N6thrust23THRUST_200600_302600_NS6detail15normal_iteratorINS9_10device_ptrIiEEEENSB_INSC_IjEEEENSB_INSC_IfEEEEfNS9_4plusIvEENS9_8equal_toIvEEfEE10hipError_tPvRmT2_T3_T4_T5_mT6_T7_P12ihipStream_tbENKUlT_T0_E_clISt17integral_constantIbLb1EES12_IbLb0EEEEDaSY_SZ_EUlSY_E_NS1_11comp_targetILNS1_3genE3ELNS1_11target_archE908ELNS1_3gpuE7ELNS1_3repE0EEENS1_30default_config_static_selectorELNS0_4arch9wavefront6targetE0EEEvT1_, .Lfunc_end1702-_ZN7rocprim17ROCPRIM_400000_NS6detail17trampoline_kernelINS0_14default_configENS1_27scan_by_key_config_selectorIifEEZZNS1_16scan_by_key_implILNS1_25lookback_scan_determinismE0ELb1ES3_N6thrust23THRUST_200600_302600_NS6detail15normal_iteratorINS9_10device_ptrIiEEEENSB_INSC_IjEEEENSB_INSC_IfEEEEfNS9_4plusIvEENS9_8equal_toIvEEfEE10hipError_tPvRmT2_T3_T4_T5_mT6_T7_P12ihipStream_tbENKUlT_T0_E_clISt17integral_constantIbLb1EES12_IbLb0EEEEDaSY_SZ_EUlSY_E_NS1_11comp_targetILNS1_3genE3ELNS1_11target_archE908ELNS1_3gpuE7ELNS1_3repE0EEENS1_30default_config_static_selectorELNS0_4arch9wavefront6targetE0EEEvT1_
                                        ; -- End function
	.set _ZN7rocprim17ROCPRIM_400000_NS6detail17trampoline_kernelINS0_14default_configENS1_27scan_by_key_config_selectorIifEEZZNS1_16scan_by_key_implILNS1_25lookback_scan_determinismE0ELb1ES3_N6thrust23THRUST_200600_302600_NS6detail15normal_iteratorINS9_10device_ptrIiEEEENSB_INSC_IjEEEENSB_INSC_IfEEEEfNS9_4plusIvEENS9_8equal_toIvEEfEE10hipError_tPvRmT2_T3_T4_T5_mT6_T7_P12ihipStream_tbENKUlT_T0_E_clISt17integral_constantIbLb1EES12_IbLb0EEEEDaSY_SZ_EUlSY_E_NS1_11comp_targetILNS1_3genE3ELNS1_11target_archE908ELNS1_3gpuE7ELNS1_3repE0EEENS1_30default_config_static_selectorELNS0_4arch9wavefront6targetE0EEEvT1_.num_vgpr, 0
	.set _ZN7rocprim17ROCPRIM_400000_NS6detail17trampoline_kernelINS0_14default_configENS1_27scan_by_key_config_selectorIifEEZZNS1_16scan_by_key_implILNS1_25lookback_scan_determinismE0ELb1ES3_N6thrust23THRUST_200600_302600_NS6detail15normal_iteratorINS9_10device_ptrIiEEEENSB_INSC_IjEEEENSB_INSC_IfEEEEfNS9_4plusIvEENS9_8equal_toIvEEfEE10hipError_tPvRmT2_T3_T4_T5_mT6_T7_P12ihipStream_tbENKUlT_T0_E_clISt17integral_constantIbLb1EES12_IbLb0EEEEDaSY_SZ_EUlSY_E_NS1_11comp_targetILNS1_3genE3ELNS1_11target_archE908ELNS1_3gpuE7ELNS1_3repE0EEENS1_30default_config_static_selectorELNS0_4arch9wavefront6targetE0EEEvT1_.num_agpr, 0
	.set _ZN7rocprim17ROCPRIM_400000_NS6detail17trampoline_kernelINS0_14default_configENS1_27scan_by_key_config_selectorIifEEZZNS1_16scan_by_key_implILNS1_25lookback_scan_determinismE0ELb1ES3_N6thrust23THRUST_200600_302600_NS6detail15normal_iteratorINS9_10device_ptrIiEEEENSB_INSC_IjEEEENSB_INSC_IfEEEEfNS9_4plusIvEENS9_8equal_toIvEEfEE10hipError_tPvRmT2_T3_T4_T5_mT6_T7_P12ihipStream_tbENKUlT_T0_E_clISt17integral_constantIbLb1EES12_IbLb0EEEEDaSY_SZ_EUlSY_E_NS1_11comp_targetILNS1_3genE3ELNS1_11target_archE908ELNS1_3gpuE7ELNS1_3repE0EEENS1_30default_config_static_selectorELNS0_4arch9wavefront6targetE0EEEvT1_.numbered_sgpr, 0
	.set _ZN7rocprim17ROCPRIM_400000_NS6detail17trampoline_kernelINS0_14default_configENS1_27scan_by_key_config_selectorIifEEZZNS1_16scan_by_key_implILNS1_25lookback_scan_determinismE0ELb1ES3_N6thrust23THRUST_200600_302600_NS6detail15normal_iteratorINS9_10device_ptrIiEEEENSB_INSC_IjEEEENSB_INSC_IfEEEEfNS9_4plusIvEENS9_8equal_toIvEEfEE10hipError_tPvRmT2_T3_T4_T5_mT6_T7_P12ihipStream_tbENKUlT_T0_E_clISt17integral_constantIbLb1EES12_IbLb0EEEEDaSY_SZ_EUlSY_E_NS1_11comp_targetILNS1_3genE3ELNS1_11target_archE908ELNS1_3gpuE7ELNS1_3repE0EEENS1_30default_config_static_selectorELNS0_4arch9wavefront6targetE0EEEvT1_.num_named_barrier, 0
	.set _ZN7rocprim17ROCPRIM_400000_NS6detail17trampoline_kernelINS0_14default_configENS1_27scan_by_key_config_selectorIifEEZZNS1_16scan_by_key_implILNS1_25lookback_scan_determinismE0ELb1ES3_N6thrust23THRUST_200600_302600_NS6detail15normal_iteratorINS9_10device_ptrIiEEEENSB_INSC_IjEEEENSB_INSC_IfEEEEfNS9_4plusIvEENS9_8equal_toIvEEfEE10hipError_tPvRmT2_T3_T4_T5_mT6_T7_P12ihipStream_tbENKUlT_T0_E_clISt17integral_constantIbLb1EES12_IbLb0EEEEDaSY_SZ_EUlSY_E_NS1_11comp_targetILNS1_3genE3ELNS1_11target_archE908ELNS1_3gpuE7ELNS1_3repE0EEENS1_30default_config_static_selectorELNS0_4arch9wavefront6targetE0EEEvT1_.private_seg_size, 0
	.set _ZN7rocprim17ROCPRIM_400000_NS6detail17trampoline_kernelINS0_14default_configENS1_27scan_by_key_config_selectorIifEEZZNS1_16scan_by_key_implILNS1_25lookback_scan_determinismE0ELb1ES3_N6thrust23THRUST_200600_302600_NS6detail15normal_iteratorINS9_10device_ptrIiEEEENSB_INSC_IjEEEENSB_INSC_IfEEEEfNS9_4plusIvEENS9_8equal_toIvEEfEE10hipError_tPvRmT2_T3_T4_T5_mT6_T7_P12ihipStream_tbENKUlT_T0_E_clISt17integral_constantIbLb1EES12_IbLb0EEEEDaSY_SZ_EUlSY_E_NS1_11comp_targetILNS1_3genE3ELNS1_11target_archE908ELNS1_3gpuE7ELNS1_3repE0EEENS1_30default_config_static_selectorELNS0_4arch9wavefront6targetE0EEEvT1_.uses_vcc, 0
	.set _ZN7rocprim17ROCPRIM_400000_NS6detail17trampoline_kernelINS0_14default_configENS1_27scan_by_key_config_selectorIifEEZZNS1_16scan_by_key_implILNS1_25lookback_scan_determinismE0ELb1ES3_N6thrust23THRUST_200600_302600_NS6detail15normal_iteratorINS9_10device_ptrIiEEEENSB_INSC_IjEEEENSB_INSC_IfEEEEfNS9_4plusIvEENS9_8equal_toIvEEfEE10hipError_tPvRmT2_T3_T4_T5_mT6_T7_P12ihipStream_tbENKUlT_T0_E_clISt17integral_constantIbLb1EES12_IbLb0EEEEDaSY_SZ_EUlSY_E_NS1_11comp_targetILNS1_3genE3ELNS1_11target_archE908ELNS1_3gpuE7ELNS1_3repE0EEENS1_30default_config_static_selectorELNS0_4arch9wavefront6targetE0EEEvT1_.uses_flat_scratch, 0
	.set _ZN7rocprim17ROCPRIM_400000_NS6detail17trampoline_kernelINS0_14default_configENS1_27scan_by_key_config_selectorIifEEZZNS1_16scan_by_key_implILNS1_25lookback_scan_determinismE0ELb1ES3_N6thrust23THRUST_200600_302600_NS6detail15normal_iteratorINS9_10device_ptrIiEEEENSB_INSC_IjEEEENSB_INSC_IfEEEEfNS9_4plusIvEENS9_8equal_toIvEEfEE10hipError_tPvRmT2_T3_T4_T5_mT6_T7_P12ihipStream_tbENKUlT_T0_E_clISt17integral_constantIbLb1EES12_IbLb0EEEEDaSY_SZ_EUlSY_E_NS1_11comp_targetILNS1_3genE3ELNS1_11target_archE908ELNS1_3gpuE7ELNS1_3repE0EEENS1_30default_config_static_selectorELNS0_4arch9wavefront6targetE0EEEvT1_.has_dyn_sized_stack, 0
	.set _ZN7rocprim17ROCPRIM_400000_NS6detail17trampoline_kernelINS0_14default_configENS1_27scan_by_key_config_selectorIifEEZZNS1_16scan_by_key_implILNS1_25lookback_scan_determinismE0ELb1ES3_N6thrust23THRUST_200600_302600_NS6detail15normal_iteratorINS9_10device_ptrIiEEEENSB_INSC_IjEEEENSB_INSC_IfEEEEfNS9_4plusIvEENS9_8equal_toIvEEfEE10hipError_tPvRmT2_T3_T4_T5_mT6_T7_P12ihipStream_tbENKUlT_T0_E_clISt17integral_constantIbLb1EES12_IbLb0EEEEDaSY_SZ_EUlSY_E_NS1_11comp_targetILNS1_3genE3ELNS1_11target_archE908ELNS1_3gpuE7ELNS1_3repE0EEENS1_30default_config_static_selectorELNS0_4arch9wavefront6targetE0EEEvT1_.has_recursion, 0
	.set _ZN7rocprim17ROCPRIM_400000_NS6detail17trampoline_kernelINS0_14default_configENS1_27scan_by_key_config_selectorIifEEZZNS1_16scan_by_key_implILNS1_25lookback_scan_determinismE0ELb1ES3_N6thrust23THRUST_200600_302600_NS6detail15normal_iteratorINS9_10device_ptrIiEEEENSB_INSC_IjEEEENSB_INSC_IfEEEEfNS9_4plusIvEENS9_8equal_toIvEEfEE10hipError_tPvRmT2_T3_T4_T5_mT6_T7_P12ihipStream_tbENKUlT_T0_E_clISt17integral_constantIbLb1EES12_IbLb0EEEEDaSY_SZ_EUlSY_E_NS1_11comp_targetILNS1_3genE3ELNS1_11target_archE908ELNS1_3gpuE7ELNS1_3repE0EEENS1_30default_config_static_selectorELNS0_4arch9wavefront6targetE0EEEvT1_.has_indirect_call, 0
	.section	.AMDGPU.csdata,"",@progbits
; Kernel info:
; codeLenInByte = 0
; TotalNumSgprs: 0
; NumVgprs: 0
; ScratchSize: 0
; MemoryBound: 0
; FloatMode: 240
; IeeeMode: 1
; LDSByteSize: 0 bytes/workgroup (compile time only)
; SGPRBlocks: 0
; VGPRBlocks: 0
; NumSGPRsForWavesPerEU: 1
; NumVGPRsForWavesPerEU: 1
; Occupancy: 16
; WaveLimiterHint : 0
; COMPUTE_PGM_RSRC2:SCRATCH_EN: 0
; COMPUTE_PGM_RSRC2:USER_SGPR: 6
; COMPUTE_PGM_RSRC2:TRAP_HANDLER: 0
; COMPUTE_PGM_RSRC2:TGID_X_EN: 1
; COMPUTE_PGM_RSRC2:TGID_Y_EN: 0
; COMPUTE_PGM_RSRC2:TGID_Z_EN: 0
; COMPUTE_PGM_RSRC2:TIDIG_COMP_CNT: 0
	.section	.text._ZN7rocprim17ROCPRIM_400000_NS6detail17trampoline_kernelINS0_14default_configENS1_27scan_by_key_config_selectorIifEEZZNS1_16scan_by_key_implILNS1_25lookback_scan_determinismE0ELb1ES3_N6thrust23THRUST_200600_302600_NS6detail15normal_iteratorINS9_10device_ptrIiEEEENSB_INSC_IjEEEENSB_INSC_IfEEEEfNS9_4plusIvEENS9_8equal_toIvEEfEE10hipError_tPvRmT2_T3_T4_T5_mT6_T7_P12ihipStream_tbENKUlT_T0_E_clISt17integral_constantIbLb1EES12_IbLb0EEEEDaSY_SZ_EUlSY_E_NS1_11comp_targetILNS1_3genE2ELNS1_11target_archE906ELNS1_3gpuE6ELNS1_3repE0EEENS1_30default_config_static_selectorELNS0_4arch9wavefront6targetE0EEEvT1_,"axG",@progbits,_ZN7rocprim17ROCPRIM_400000_NS6detail17trampoline_kernelINS0_14default_configENS1_27scan_by_key_config_selectorIifEEZZNS1_16scan_by_key_implILNS1_25lookback_scan_determinismE0ELb1ES3_N6thrust23THRUST_200600_302600_NS6detail15normal_iteratorINS9_10device_ptrIiEEEENSB_INSC_IjEEEENSB_INSC_IfEEEEfNS9_4plusIvEENS9_8equal_toIvEEfEE10hipError_tPvRmT2_T3_T4_T5_mT6_T7_P12ihipStream_tbENKUlT_T0_E_clISt17integral_constantIbLb1EES12_IbLb0EEEEDaSY_SZ_EUlSY_E_NS1_11comp_targetILNS1_3genE2ELNS1_11target_archE906ELNS1_3gpuE6ELNS1_3repE0EEENS1_30default_config_static_selectorELNS0_4arch9wavefront6targetE0EEEvT1_,comdat
	.protected	_ZN7rocprim17ROCPRIM_400000_NS6detail17trampoline_kernelINS0_14default_configENS1_27scan_by_key_config_selectorIifEEZZNS1_16scan_by_key_implILNS1_25lookback_scan_determinismE0ELb1ES3_N6thrust23THRUST_200600_302600_NS6detail15normal_iteratorINS9_10device_ptrIiEEEENSB_INSC_IjEEEENSB_INSC_IfEEEEfNS9_4plusIvEENS9_8equal_toIvEEfEE10hipError_tPvRmT2_T3_T4_T5_mT6_T7_P12ihipStream_tbENKUlT_T0_E_clISt17integral_constantIbLb1EES12_IbLb0EEEEDaSY_SZ_EUlSY_E_NS1_11comp_targetILNS1_3genE2ELNS1_11target_archE906ELNS1_3gpuE6ELNS1_3repE0EEENS1_30default_config_static_selectorELNS0_4arch9wavefront6targetE0EEEvT1_ ; -- Begin function _ZN7rocprim17ROCPRIM_400000_NS6detail17trampoline_kernelINS0_14default_configENS1_27scan_by_key_config_selectorIifEEZZNS1_16scan_by_key_implILNS1_25lookback_scan_determinismE0ELb1ES3_N6thrust23THRUST_200600_302600_NS6detail15normal_iteratorINS9_10device_ptrIiEEEENSB_INSC_IjEEEENSB_INSC_IfEEEEfNS9_4plusIvEENS9_8equal_toIvEEfEE10hipError_tPvRmT2_T3_T4_T5_mT6_T7_P12ihipStream_tbENKUlT_T0_E_clISt17integral_constantIbLb1EES12_IbLb0EEEEDaSY_SZ_EUlSY_E_NS1_11comp_targetILNS1_3genE2ELNS1_11target_archE906ELNS1_3gpuE6ELNS1_3repE0EEENS1_30default_config_static_selectorELNS0_4arch9wavefront6targetE0EEEvT1_
	.globl	_ZN7rocprim17ROCPRIM_400000_NS6detail17trampoline_kernelINS0_14default_configENS1_27scan_by_key_config_selectorIifEEZZNS1_16scan_by_key_implILNS1_25lookback_scan_determinismE0ELb1ES3_N6thrust23THRUST_200600_302600_NS6detail15normal_iteratorINS9_10device_ptrIiEEEENSB_INSC_IjEEEENSB_INSC_IfEEEEfNS9_4plusIvEENS9_8equal_toIvEEfEE10hipError_tPvRmT2_T3_T4_T5_mT6_T7_P12ihipStream_tbENKUlT_T0_E_clISt17integral_constantIbLb1EES12_IbLb0EEEEDaSY_SZ_EUlSY_E_NS1_11comp_targetILNS1_3genE2ELNS1_11target_archE906ELNS1_3gpuE6ELNS1_3repE0EEENS1_30default_config_static_selectorELNS0_4arch9wavefront6targetE0EEEvT1_
	.p2align	8
	.type	_ZN7rocprim17ROCPRIM_400000_NS6detail17trampoline_kernelINS0_14default_configENS1_27scan_by_key_config_selectorIifEEZZNS1_16scan_by_key_implILNS1_25lookback_scan_determinismE0ELb1ES3_N6thrust23THRUST_200600_302600_NS6detail15normal_iteratorINS9_10device_ptrIiEEEENSB_INSC_IjEEEENSB_INSC_IfEEEEfNS9_4plusIvEENS9_8equal_toIvEEfEE10hipError_tPvRmT2_T3_T4_T5_mT6_T7_P12ihipStream_tbENKUlT_T0_E_clISt17integral_constantIbLb1EES12_IbLb0EEEEDaSY_SZ_EUlSY_E_NS1_11comp_targetILNS1_3genE2ELNS1_11target_archE906ELNS1_3gpuE6ELNS1_3repE0EEENS1_30default_config_static_selectorELNS0_4arch9wavefront6targetE0EEEvT1_,@function
_ZN7rocprim17ROCPRIM_400000_NS6detail17trampoline_kernelINS0_14default_configENS1_27scan_by_key_config_selectorIifEEZZNS1_16scan_by_key_implILNS1_25lookback_scan_determinismE0ELb1ES3_N6thrust23THRUST_200600_302600_NS6detail15normal_iteratorINS9_10device_ptrIiEEEENSB_INSC_IjEEEENSB_INSC_IfEEEEfNS9_4plusIvEENS9_8equal_toIvEEfEE10hipError_tPvRmT2_T3_T4_T5_mT6_T7_P12ihipStream_tbENKUlT_T0_E_clISt17integral_constantIbLb1EES12_IbLb0EEEEDaSY_SZ_EUlSY_E_NS1_11comp_targetILNS1_3genE2ELNS1_11target_archE906ELNS1_3gpuE6ELNS1_3repE0EEENS1_30default_config_static_selectorELNS0_4arch9wavefront6targetE0EEEvT1_: ; @_ZN7rocprim17ROCPRIM_400000_NS6detail17trampoline_kernelINS0_14default_configENS1_27scan_by_key_config_selectorIifEEZZNS1_16scan_by_key_implILNS1_25lookback_scan_determinismE0ELb1ES3_N6thrust23THRUST_200600_302600_NS6detail15normal_iteratorINS9_10device_ptrIiEEEENSB_INSC_IjEEEENSB_INSC_IfEEEEfNS9_4plusIvEENS9_8equal_toIvEEfEE10hipError_tPvRmT2_T3_T4_T5_mT6_T7_P12ihipStream_tbENKUlT_T0_E_clISt17integral_constantIbLb1EES12_IbLb0EEEEDaSY_SZ_EUlSY_E_NS1_11comp_targetILNS1_3genE2ELNS1_11target_archE906ELNS1_3gpuE6ELNS1_3repE0EEENS1_30default_config_static_selectorELNS0_4arch9wavefront6targetE0EEEvT1_
; %bb.0:
	.section	.rodata,"a",@progbits
	.p2align	6, 0x0
	.amdhsa_kernel _ZN7rocprim17ROCPRIM_400000_NS6detail17trampoline_kernelINS0_14default_configENS1_27scan_by_key_config_selectorIifEEZZNS1_16scan_by_key_implILNS1_25lookback_scan_determinismE0ELb1ES3_N6thrust23THRUST_200600_302600_NS6detail15normal_iteratorINS9_10device_ptrIiEEEENSB_INSC_IjEEEENSB_INSC_IfEEEEfNS9_4plusIvEENS9_8equal_toIvEEfEE10hipError_tPvRmT2_T3_T4_T5_mT6_T7_P12ihipStream_tbENKUlT_T0_E_clISt17integral_constantIbLb1EES12_IbLb0EEEEDaSY_SZ_EUlSY_E_NS1_11comp_targetILNS1_3genE2ELNS1_11target_archE906ELNS1_3gpuE6ELNS1_3repE0EEENS1_30default_config_static_selectorELNS0_4arch9wavefront6targetE0EEEvT1_
		.amdhsa_group_segment_fixed_size 0
		.amdhsa_private_segment_fixed_size 0
		.amdhsa_kernarg_size 112
		.amdhsa_user_sgpr_count 6
		.amdhsa_user_sgpr_private_segment_buffer 1
		.amdhsa_user_sgpr_dispatch_ptr 0
		.amdhsa_user_sgpr_queue_ptr 0
		.amdhsa_user_sgpr_kernarg_segment_ptr 1
		.amdhsa_user_sgpr_dispatch_id 0
		.amdhsa_user_sgpr_flat_scratch_init 0
		.amdhsa_user_sgpr_private_segment_size 0
		.amdhsa_wavefront_size32 1
		.amdhsa_uses_dynamic_stack 0
		.amdhsa_system_sgpr_private_segment_wavefront_offset 0
		.amdhsa_system_sgpr_workgroup_id_x 1
		.amdhsa_system_sgpr_workgroup_id_y 0
		.amdhsa_system_sgpr_workgroup_id_z 0
		.amdhsa_system_sgpr_workgroup_info 0
		.amdhsa_system_vgpr_workitem_id 0
		.amdhsa_next_free_vgpr 1
		.amdhsa_next_free_sgpr 1
		.amdhsa_reserve_vcc 0
		.amdhsa_reserve_flat_scratch 0
		.amdhsa_float_round_mode_32 0
		.amdhsa_float_round_mode_16_64 0
		.amdhsa_float_denorm_mode_32 3
		.amdhsa_float_denorm_mode_16_64 3
		.amdhsa_dx10_clamp 1
		.amdhsa_ieee_mode 1
		.amdhsa_fp16_overflow 0
		.amdhsa_workgroup_processor_mode 1
		.amdhsa_memory_ordered 1
		.amdhsa_forward_progress 1
		.amdhsa_shared_vgpr_count 0
		.amdhsa_exception_fp_ieee_invalid_op 0
		.amdhsa_exception_fp_denorm_src 0
		.amdhsa_exception_fp_ieee_div_zero 0
		.amdhsa_exception_fp_ieee_overflow 0
		.amdhsa_exception_fp_ieee_underflow 0
		.amdhsa_exception_fp_ieee_inexact 0
		.amdhsa_exception_int_div_zero 0
	.end_amdhsa_kernel
	.section	.text._ZN7rocprim17ROCPRIM_400000_NS6detail17trampoline_kernelINS0_14default_configENS1_27scan_by_key_config_selectorIifEEZZNS1_16scan_by_key_implILNS1_25lookback_scan_determinismE0ELb1ES3_N6thrust23THRUST_200600_302600_NS6detail15normal_iteratorINS9_10device_ptrIiEEEENSB_INSC_IjEEEENSB_INSC_IfEEEEfNS9_4plusIvEENS9_8equal_toIvEEfEE10hipError_tPvRmT2_T3_T4_T5_mT6_T7_P12ihipStream_tbENKUlT_T0_E_clISt17integral_constantIbLb1EES12_IbLb0EEEEDaSY_SZ_EUlSY_E_NS1_11comp_targetILNS1_3genE2ELNS1_11target_archE906ELNS1_3gpuE6ELNS1_3repE0EEENS1_30default_config_static_selectorELNS0_4arch9wavefront6targetE0EEEvT1_,"axG",@progbits,_ZN7rocprim17ROCPRIM_400000_NS6detail17trampoline_kernelINS0_14default_configENS1_27scan_by_key_config_selectorIifEEZZNS1_16scan_by_key_implILNS1_25lookback_scan_determinismE0ELb1ES3_N6thrust23THRUST_200600_302600_NS6detail15normal_iteratorINS9_10device_ptrIiEEEENSB_INSC_IjEEEENSB_INSC_IfEEEEfNS9_4plusIvEENS9_8equal_toIvEEfEE10hipError_tPvRmT2_T3_T4_T5_mT6_T7_P12ihipStream_tbENKUlT_T0_E_clISt17integral_constantIbLb1EES12_IbLb0EEEEDaSY_SZ_EUlSY_E_NS1_11comp_targetILNS1_3genE2ELNS1_11target_archE906ELNS1_3gpuE6ELNS1_3repE0EEENS1_30default_config_static_selectorELNS0_4arch9wavefront6targetE0EEEvT1_,comdat
.Lfunc_end1703:
	.size	_ZN7rocprim17ROCPRIM_400000_NS6detail17trampoline_kernelINS0_14default_configENS1_27scan_by_key_config_selectorIifEEZZNS1_16scan_by_key_implILNS1_25lookback_scan_determinismE0ELb1ES3_N6thrust23THRUST_200600_302600_NS6detail15normal_iteratorINS9_10device_ptrIiEEEENSB_INSC_IjEEEENSB_INSC_IfEEEEfNS9_4plusIvEENS9_8equal_toIvEEfEE10hipError_tPvRmT2_T3_T4_T5_mT6_T7_P12ihipStream_tbENKUlT_T0_E_clISt17integral_constantIbLb1EES12_IbLb0EEEEDaSY_SZ_EUlSY_E_NS1_11comp_targetILNS1_3genE2ELNS1_11target_archE906ELNS1_3gpuE6ELNS1_3repE0EEENS1_30default_config_static_selectorELNS0_4arch9wavefront6targetE0EEEvT1_, .Lfunc_end1703-_ZN7rocprim17ROCPRIM_400000_NS6detail17trampoline_kernelINS0_14default_configENS1_27scan_by_key_config_selectorIifEEZZNS1_16scan_by_key_implILNS1_25lookback_scan_determinismE0ELb1ES3_N6thrust23THRUST_200600_302600_NS6detail15normal_iteratorINS9_10device_ptrIiEEEENSB_INSC_IjEEEENSB_INSC_IfEEEEfNS9_4plusIvEENS9_8equal_toIvEEfEE10hipError_tPvRmT2_T3_T4_T5_mT6_T7_P12ihipStream_tbENKUlT_T0_E_clISt17integral_constantIbLb1EES12_IbLb0EEEEDaSY_SZ_EUlSY_E_NS1_11comp_targetILNS1_3genE2ELNS1_11target_archE906ELNS1_3gpuE6ELNS1_3repE0EEENS1_30default_config_static_selectorELNS0_4arch9wavefront6targetE0EEEvT1_
                                        ; -- End function
	.set _ZN7rocprim17ROCPRIM_400000_NS6detail17trampoline_kernelINS0_14default_configENS1_27scan_by_key_config_selectorIifEEZZNS1_16scan_by_key_implILNS1_25lookback_scan_determinismE0ELb1ES3_N6thrust23THRUST_200600_302600_NS6detail15normal_iteratorINS9_10device_ptrIiEEEENSB_INSC_IjEEEENSB_INSC_IfEEEEfNS9_4plusIvEENS9_8equal_toIvEEfEE10hipError_tPvRmT2_T3_T4_T5_mT6_T7_P12ihipStream_tbENKUlT_T0_E_clISt17integral_constantIbLb1EES12_IbLb0EEEEDaSY_SZ_EUlSY_E_NS1_11comp_targetILNS1_3genE2ELNS1_11target_archE906ELNS1_3gpuE6ELNS1_3repE0EEENS1_30default_config_static_selectorELNS0_4arch9wavefront6targetE0EEEvT1_.num_vgpr, 0
	.set _ZN7rocprim17ROCPRIM_400000_NS6detail17trampoline_kernelINS0_14default_configENS1_27scan_by_key_config_selectorIifEEZZNS1_16scan_by_key_implILNS1_25lookback_scan_determinismE0ELb1ES3_N6thrust23THRUST_200600_302600_NS6detail15normal_iteratorINS9_10device_ptrIiEEEENSB_INSC_IjEEEENSB_INSC_IfEEEEfNS9_4plusIvEENS9_8equal_toIvEEfEE10hipError_tPvRmT2_T3_T4_T5_mT6_T7_P12ihipStream_tbENKUlT_T0_E_clISt17integral_constantIbLb1EES12_IbLb0EEEEDaSY_SZ_EUlSY_E_NS1_11comp_targetILNS1_3genE2ELNS1_11target_archE906ELNS1_3gpuE6ELNS1_3repE0EEENS1_30default_config_static_selectorELNS0_4arch9wavefront6targetE0EEEvT1_.num_agpr, 0
	.set _ZN7rocprim17ROCPRIM_400000_NS6detail17trampoline_kernelINS0_14default_configENS1_27scan_by_key_config_selectorIifEEZZNS1_16scan_by_key_implILNS1_25lookback_scan_determinismE0ELb1ES3_N6thrust23THRUST_200600_302600_NS6detail15normal_iteratorINS9_10device_ptrIiEEEENSB_INSC_IjEEEENSB_INSC_IfEEEEfNS9_4plusIvEENS9_8equal_toIvEEfEE10hipError_tPvRmT2_T3_T4_T5_mT6_T7_P12ihipStream_tbENKUlT_T0_E_clISt17integral_constantIbLb1EES12_IbLb0EEEEDaSY_SZ_EUlSY_E_NS1_11comp_targetILNS1_3genE2ELNS1_11target_archE906ELNS1_3gpuE6ELNS1_3repE0EEENS1_30default_config_static_selectorELNS0_4arch9wavefront6targetE0EEEvT1_.numbered_sgpr, 0
	.set _ZN7rocprim17ROCPRIM_400000_NS6detail17trampoline_kernelINS0_14default_configENS1_27scan_by_key_config_selectorIifEEZZNS1_16scan_by_key_implILNS1_25lookback_scan_determinismE0ELb1ES3_N6thrust23THRUST_200600_302600_NS6detail15normal_iteratorINS9_10device_ptrIiEEEENSB_INSC_IjEEEENSB_INSC_IfEEEEfNS9_4plusIvEENS9_8equal_toIvEEfEE10hipError_tPvRmT2_T3_T4_T5_mT6_T7_P12ihipStream_tbENKUlT_T0_E_clISt17integral_constantIbLb1EES12_IbLb0EEEEDaSY_SZ_EUlSY_E_NS1_11comp_targetILNS1_3genE2ELNS1_11target_archE906ELNS1_3gpuE6ELNS1_3repE0EEENS1_30default_config_static_selectorELNS0_4arch9wavefront6targetE0EEEvT1_.num_named_barrier, 0
	.set _ZN7rocprim17ROCPRIM_400000_NS6detail17trampoline_kernelINS0_14default_configENS1_27scan_by_key_config_selectorIifEEZZNS1_16scan_by_key_implILNS1_25lookback_scan_determinismE0ELb1ES3_N6thrust23THRUST_200600_302600_NS6detail15normal_iteratorINS9_10device_ptrIiEEEENSB_INSC_IjEEEENSB_INSC_IfEEEEfNS9_4plusIvEENS9_8equal_toIvEEfEE10hipError_tPvRmT2_T3_T4_T5_mT6_T7_P12ihipStream_tbENKUlT_T0_E_clISt17integral_constantIbLb1EES12_IbLb0EEEEDaSY_SZ_EUlSY_E_NS1_11comp_targetILNS1_3genE2ELNS1_11target_archE906ELNS1_3gpuE6ELNS1_3repE0EEENS1_30default_config_static_selectorELNS0_4arch9wavefront6targetE0EEEvT1_.private_seg_size, 0
	.set _ZN7rocprim17ROCPRIM_400000_NS6detail17trampoline_kernelINS0_14default_configENS1_27scan_by_key_config_selectorIifEEZZNS1_16scan_by_key_implILNS1_25lookback_scan_determinismE0ELb1ES3_N6thrust23THRUST_200600_302600_NS6detail15normal_iteratorINS9_10device_ptrIiEEEENSB_INSC_IjEEEENSB_INSC_IfEEEEfNS9_4plusIvEENS9_8equal_toIvEEfEE10hipError_tPvRmT2_T3_T4_T5_mT6_T7_P12ihipStream_tbENKUlT_T0_E_clISt17integral_constantIbLb1EES12_IbLb0EEEEDaSY_SZ_EUlSY_E_NS1_11comp_targetILNS1_3genE2ELNS1_11target_archE906ELNS1_3gpuE6ELNS1_3repE0EEENS1_30default_config_static_selectorELNS0_4arch9wavefront6targetE0EEEvT1_.uses_vcc, 0
	.set _ZN7rocprim17ROCPRIM_400000_NS6detail17trampoline_kernelINS0_14default_configENS1_27scan_by_key_config_selectorIifEEZZNS1_16scan_by_key_implILNS1_25lookback_scan_determinismE0ELb1ES3_N6thrust23THRUST_200600_302600_NS6detail15normal_iteratorINS9_10device_ptrIiEEEENSB_INSC_IjEEEENSB_INSC_IfEEEEfNS9_4plusIvEENS9_8equal_toIvEEfEE10hipError_tPvRmT2_T3_T4_T5_mT6_T7_P12ihipStream_tbENKUlT_T0_E_clISt17integral_constantIbLb1EES12_IbLb0EEEEDaSY_SZ_EUlSY_E_NS1_11comp_targetILNS1_3genE2ELNS1_11target_archE906ELNS1_3gpuE6ELNS1_3repE0EEENS1_30default_config_static_selectorELNS0_4arch9wavefront6targetE0EEEvT1_.uses_flat_scratch, 0
	.set _ZN7rocprim17ROCPRIM_400000_NS6detail17trampoline_kernelINS0_14default_configENS1_27scan_by_key_config_selectorIifEEZZNS1_16scan_by_key_implILNS1_25lookback_scan_determinismE0ELb1ES3_N6thrust23THRUST_200600_302600_NS6detail15normal_iteratorINS9_10device_ptrIiEEEENSB_INSC_IjEEEENSB_INSC_IfEEEEfNS9_4plusIvEENS9_8equal_toIvEEfEE10hipError_tPvRmT2_T3_T4_T5_mT6_T7_P12ihipStream_tbENKUlT_T0_E_clISt17integral_constantIbLb1EES12_IbLb0EEEEDaSY_SZ_EUlSY_E_NS1_11comp_targetILNS1_3genE2ELNS1_11target_archE906ELNS1_3gpuE6ELNS1_3repE0EEENS1_30default_config_static_selectorELNS0_4arch9wavefront6targetE0EEEvT1_.has_dyn_sized_stack, 0
	.set _ZN7rocprim17ROCPRIM_400000_NS6detail17trampoline_kernelINS0_14default_configENS1_27scan_by_key_config_selectorIifEEZZNS1_16scan_by_key_implILNS1_25lookback_scan_determinismE0ELb1ES3_N6thrust23THRUST_200600_302600_NS6detail15normal_iteratorINS9_10device_ptrIiEEEENSB_INSC_IjEEEENSB_INSC_IfEEEEfNS9_4plusIvEENS9_8equal_toIvEEfEE10hipError_tPvRmT2_T3_T4_T5_mT6_T7_P12ihipStream_tbENKUlT_T0_E_clISt17integral_constantIbLb1EES12_IbLb0EEEEDaSY_SZ_EUlSY_E_NS1_11comp_targetILNS1_3genE2ELNS1_11target_archE906ELNS1_3gpuE6ELNS1_3repE0EEENS1_30default_config_static_selectorELNS0_4arch9wavefront6targetE0EEEvT1_.has_recursion, 0
	.set _ZN7rocprim17ROCPRIM_400000_NS6detail17trampoline_kernelINS0_14default_configENS1_27scan_by_key_config_selectorIifEEZZNS1_16scan_by_key_implILNS1_25lookback_scan_determinismE0ELb1ES3_N6thrust23THRUST_200600_302600_NS6detail15normal_iteratorINS9_10device_ptrIiEEEENSB_INSC_IjEEEENSB_INSC_IfEEEEfNS9_4plusIvEENS9_8equal_toIvEEfEE10hipError_tPvRmT2_T3_T4_T5_mT6_T7_P12ihipStream_tbENKUlT_T0_E_clISt17integral_constantIbLb1EES12_IbLb0EEEEDaSY_SZ_EUlSY_E_NS1_11comp_targetILNS1_3genE2ELNS1_11target_archE906ELNS1_3gpuE6ELNS1_3repE0EEENS1_30default_config_static_selectorELNS0_4arch9wavefront6targetE0EEEvT1_.has_indirect_call, 0
	.section	.AMDGPU.csdata,"",@progbits
; Kernel info:
; codeLenInByte = 0
; TotalNumSgprs: 0
; NumVgprs: 0
; ScratchSize: 0
; MemoryBound: 0
; FloatMode: 240
; IeeeMode: 1
; LDSByteSize: 0 bytes/workgroup (compile time only)
; SGPRBlocks: 0
; VGPRBlocks: 0
; NumSGPRsForWavesPerEU: 1
; NumVGPRsForWavesPerEU: 1
; Occupancy: 16
; WaveLimiterHint : 0
; COMPUTE_PGM_RSRC2:SCRATCH_EN: 0
; COMPUTE_PGM_RSRC2:USER_SGPR: 6
; COMPUTE_PGM_RSRC2:TRAP_HANDLER: 0
; COMPUTE_PGM_RSRC2:TGID_X_EN: 1
; COMPUTE_PGM_RSRC2:TGID_Y_EN: 0
; COMPUTE_PGM_RSRC2:TGID_Z_EN: 0
; COMPUTE_PGM_RSRC2:TIDIG_COMP_CNT: 0
	.section	.text._ZN7rocprim17ROCPRIM_400000_NS6detail17trampoline_kernelINS0_14default_configENS1_27scan_by_key_config_selectorIifEEZZNS1_16scan_by_key_implILNS1_25lookback_scan_determinismE0ELb1ES3_N6thrust23THRUST_200600_302600_NS6detail15normal_iteratorINS9_10device_ptrIiEEEENSB_INSC_IjEEEENSB_INSC_IfEEEEfNS9_4plusIvEENS9_8equal_toIvEEfEE10hipError_tPvRmT2_T3_T4_T5_mT6_T7_P12ihipStream_tbENKUlT_T0_E_clISt17integral_constantIbLb1EES12_IbLb0EEEEDaSY_SZ_EUlSY_E_NS1_11comp_targetILNS1_3genE10ELNS1_11target_archE1200ELNS1_3gpuE4ELNS1_3repE0EEENS1_30default_config_static_selectorELNS0_4arch9wavefront6targetE0EEEvT1_,"axG",@progbits,_ZN7rocprim17ROCPRIM_400000_NS6detail17trampoline_kernelINS0_14default_configENS1_27scan_by_key_config_selectorIifEEZZNS1_16scan_by_key_implILNS1_25lookback_scan_determinismE0ELb1ES3_N6thrust23THRUST_200600_302600_NS6detail15normal_iteratorINS9_10device_ptrIiEEEENSB_INSC_IjEEEENSB_INSC_IfEEEEfNS9_4plusIvEENS9_8equal_toIvEEfEE10hipError_tPvRmT2_T3_T4_T5_mT6_T7_P12ihipStream_tbENKUlT_T0_E_clISt17integral_constantIbLb1EES12_IbLb0EEEEDaSY_SZ_EUlSY_E_NS1_11comp_targetILNS1_3genE10ELNS1_11target_archE1200ELNS1_3gpuE4ELNS1_3repE0EEENS1_30default_config_static_selectorELNS0_4arch9wavefront6targetE0EEEvT1_,comdat
	.protected	_ZN7rocprim17ROCPRIM_400000_NS6detail17trampoline_kernelINS0_14default_configENS1_27scan_by_key_config_selectorIifEEZZNS1_16scan_by_key_implILNS1_25lookback_scan_determinismE0ELb1ES3_N6thrust23THRUST_200600_302600_NS6detail15normal_iteratorINS9_10device_ptrIiEEEENSB_INSC_IjEEEENSB_INSC_IfEEEEfNS9_4plusIvEENS9_8equal_toIvEEfEE10hipError_tPvRmT2_T3_T4_T5_mT6_T7_P12ihipStream_tbENKUlT_T0_E_clISt17integral_constantIbLb1EES12_IbLb0EEEEDaSY_SZ_EUlSY_E_NS1_11comp_targetILNS1_3genE10ELNS1_11target_archE1200ELNS1_3gpuE4ELNS1_3repE0EEENS1_30default_config_static_selectorELNS0_4arch9wavefront6targetE0EEEvT1_ ; -- Begin function _ZN7rocprim17ROCPRIM_400000_NS6detail17trampoline_kernelINS0_14default_configENS1_27scan_by_key_config_selectorIifEEZZNS1_16scan_by_key_implILNS1_25lookback_scan_determinismE0ELb1ES3_N6thrust23THRUST_200600_302600_NS6detail15normal_iteratorINS9_10device_ptrIiEEEENSB_INSC_IjEEEENSB_INSC_IfEEEEfNS9_4plusIvEENS9_8equal_toIvEEfEE10hipError_tPvRmT2_T3_T4_T5_mT6_T7_P12ihipStream_tbENKUlT_T0_E_clISt17integral_constantIbLb1EES12_IbLb0EEEEDaSY_SZ_EUlSY_E_NS1_11comp_targetILNS1_3genE10ELNS1_11target_archE1200ELNS1_3gpuE4ELNS1_3repE0EEENS1_30default_config_static_selectorELNS0_4arch9wavefront6targetE0EEEvT1_
	.globl	_ZN7rocprim17ROCPRIM_400000_NS6detail17trampoline_kernelINS0_14default_configENS1_27scan_by_key_config_selectorIifEEZZNS1_16scan_by_key_implILNS1_25lookback_scan_determinismE0ELb1ES3_N6thrust23THRUST_200600_302600_NS6detail15normal_iteratorINS9_10device_ptrIiEEEENSB_INSC_IjEEEENSB_INSC_IfEEEEfNS9_4plusIvEENS9_8equal_toIvEEfEE10hipError_tPvRmT2_T3_T4_T5_mT6_T7_P12ihipStream_tbENKUlT_T0_E_clISt17integral_constantIbLb1EES12_IbLb0EEEEDaSY_SZ_EUlSY_E_NS1_11comp_targetILNS1_3genE10ELNS1_11target_archE1200ELNS1_3gpuE4ELNS1_3repE0EEENS1_30default_config_static_selectorELNS0_4arch9wavefront6targetE0EEEvT1_
	.p2align	8
	.type	_ZN7rocprim17ROCPRIM_400000_NS6detail17trampoline_kernelINS0_14default_configENS1_27scan_by_key_config_selectorIifEEZZNS1_16scan_by_key_implILNS1_25lookback_scan_determinismE0ELb1ES3_N6thrust23THRUST_200600_302600_NS6detail15normal_iteratorINS9_10device_ptrIiEEEENSB_INSC_IjEEEENSB_INSC_IfEEEEfNS9_4plusIvEENS9_8equal_toIvEEfEE10hipError_tPvRmT2_T3_T4_T5_mT6_T7_P12ihipStream_tbENKUlT_T0_E_clISt17integral_constantIbLb1EES12_IbLb0EEEEDaSY_SZ_EUlSY_E_NS1_11comp_targetILNS1_3genE10ELNS1_11target_archE1200ELNS1_3gpuE4ELNS1_3repE0EEENS1_30default_config_static_selectorELNS0_4arch9wavefront6targetE0EEEvT1_,@function
_ZN7rocprim17ROCPRIM_400000_NS6detail17trampoline_kernelINS0_14default_configENS1_27scan_by_key_config_selectorIifEEZZNS1_16scan_by_key_implILNS1_25lookback_scan_determinismE0ELb1ES3_N6thrust23THRUST_200600_302600_NS6detail15normal_iteratorINS9_10device_ptrIiEEEENSB_INSC_IjEEEENSB_INSC_IfEEEEfNS9_4plusIvEENS9_8equal_toIvEEfEE10hipError_tPvRmT2_T3_T4_T5_mT6_T7_P12ihipStream_tbENKUlT_T0_E_clISt17integral_constantIbLb1EES12_IbLb0EEEEDaSY_SZ_EUlSY_E_NS1_11comp_targetILNS1_3genE10ELNS1_11target_archE1200ELNS1_3gpuE4ELNS1_3repE0EEENS1_30default_config_static_selectorELNS0_4arch9wavefront6targetE0EEEvT1_: ; @_ZN7rocprim17ROCPRIM_400000_NS6detail17trampoline_kernelINS0_14default_configENS1_27scan_by_key_config_selectorIifEEZZNS1_16scan_by_key_implILNS1_25lookback_scan_determinismE0ELb1ES3_N6thrust23THRUST_200600_302600_NS6detail15normal_iteratorINS9_10device_ptrIiEEEENSB_INSC_IjEEEENSB_INSC_IfEEEEfNS9_4plusIvEENS9_8equal_toIvEEfEE10hipError_tPvRmT2_T3_T4_T5_mT6_T7_P12ihipStream_tbENKUlT_T0_E_clISt17integral_constantIbLb1EES12_IbLb0EEEEDaSY_SZ_EUlSY_E_NS1_11comp_targetILNS1_3genE10ELNS1_11target_archE1200ELNS1_3gpuE4ELNS1_3repE0EEENS1_30default_config_static_selectorELNS0_4arch9wavefront6targetE0EEEvT1_
; %bb.0:
	.section	.rodata,"a",@progbits
	.p2align	6, 0x0
	.amdhsa_kernel _ZN7rocprim17ROCPRIM_400000_NS6detail17trampoline_kernelINS0_14default_configENS1_27scan_by_key_config_selectorIifEEZZNS1_16scan_by_key_implILNS1_25lookback_scan_determinismE0ELb1ES3_N6thrust23THRUST_200600_302600_NS6detail15normal_iteratorINS9_10device_ptrIiEEEENSB_INSC_IjEEEENSB_INSC_IfEEEEfNS9_4plusIvEENS9_8equal_toIvEEfEE10hipError_tPvRmT2_T3_T4_T5_mT6_T7_P12ihipStream_tbENKUlT_T0_E_clISt17integral_constantIbLb1EES12_IbLb0EEEEDaSY_SZ_EUlSY_E_NS1_11comp_targetILNS1_3genE10ELNS1_11target_archE1200ELNS1_3gpuE4ELNS1_3repE0EEENS1_30default_config_static_selectorELNS0_4arch9wavefront6targetE0EEEvT1_
		.amdhsa_group_segment_fixed_size 0
		.amdhsa_private_segment_fixed_size 0
		.amdhsa_kernarg_size 112
		.amdhsa_user_sgpr_count 6
		.amdhsa_user_sgpr_private_segment_buffer 1
		.amdhsa_user_sgpr_dispatch_ptr 0
		.amdhsa_user_sgpr_queue_ptr 0
		.amdhsa_user_sgpr_kernarg_segment_ptr 1
		.amdhsa_user_sgpr_dispatch_id 0
		.amdhsa_user_sgpr_flat_scratch_init 0
		.amdhsa_user_sgpr_private_segment_size 0
		.amdhsa_wavefront_size32 1
		.amdhsa_uses_dynamic_stack 0
		.amdhsa_system_sgpr_private_segment_wavefront_offset 0
		.amdhsa_system_sgpr_workgroup_id_x 1
		.amdhsa_system_sgpr_workgroup_id_y 0
		.amdhsa_system_sgpr_workgroup_id_z 0
		.amdhsa_system_sgpr_workgroup_info 0
		.amdhsa_system_vgpr_workitem_id 0
		.amdhsa_next_free_vgpr 1
		.amdhsa_next_free_sgpr 1
		.amdhsa_reserve_vcc 0
		.amdhsa_reserve_flat_scratch 0
		.amdhsa_float_round_mode_32 0
		.amdhsa_float_round_mode_16_64 0
		.amdhsa_float_denorm_mode_32 3
		.amdhsa_float_denorm_mode_16_64 3
		.amdhsa_dx10_clamp 1
		.amdhsa_ieee_mode 1
		.amdhsa_fp16_overflow 0
		.amdhsa_workgroup_processor_mode 1
		.amdhsa_memory_ordered 1
		.amdhsa_forward_progress 1
		.amdhsa_shared_vgpr_count 0
		.amdhsa_exception_fp_ieee_invalid_op 0
		.amdhsa_exception_fp_denorm_src 0
		.amdhsa_exception_fp_ieee_div_zero 0
		.amdhsa_exception_fp_ieee_overflow 0
		.amdhsa_exception_fp_ieee_underflow 0
		.amdhsa_exception_fp_ieee_inexact 0
		.amdhsa_exception_int_div_zero 0
	.end_amdhsa_kernel
	.section	.text._ZN7rocprim17ROCPRIM_400000_NS6detail17trampoline_kernelINS0_14default_configENS1_27scan_by_key_config_selectorIifEEZZNS1_16scan_by_key_implILNS1_25lookback_scan_determinismE0ELb1ES3_N6thrust23THRUST_200600_302600_NS6detail15normal_iteratorINS9_10device_ptrIiEEEENSB_INSC_IjEEEENSB_INSC_IfEEEEfNS9_4plusIvEENS9_8equal_toIvEEfEE10hipError_tPvRmT2_T3_T4_T5_mT6_T7_P12ihipStream_tbENKUlT_T0_E_clISt17integral_constantIbLb1EES12_IbLb0EEEEDaSY_SZ_EUlSY_E_NS1_11comp_targetILNS1_3genE10ELNS1_11target_archE1200ELNS1_3gpuE4ELNS1_3repE0EEENS1_30default_config_static_selectorELNS0_4arch9wavefront6targetE0EEEvT1_,"axG",@progbits,_ZN7rocprim17ROCPRIM_400000_NS6detail17trampoline_kernelINS0_14default_configENS1_27scan_by_key_config_selectorIifEEZZNS1_16scan_by_key_implILNS1_25lookback_scan_determinismE0ELb1ES3_N6thrust23THRUST_200600_302600_NS6detail15normal_iteratorINS9_10device_ptrIiEEEENSB_INSC_IjEEEENSB_INSC_IfEEEEfNS9_4plusIvEENS9_8equal_toIvEEfEE10hipError_tPvRmT2_T3_T4_T5_mT6_T7_P12ihipStream_tbENKUlT_T0_E_clISt17integral_constantIbLb1EES12_IbLb0EEEEDaSY_SZ_EUlSY_E_NS1_11comp_targetILNS1_3genE10ELNS1_11target_archE1200ELNS1_3gpuE4ELNS1_3repE0EEENS1_30default_config_static_selectorELNS0_4arch9wavefront6targetE0EEEvT1_,comdat
.Lfunc_end1704:
	.size	_ZN7rocprim17ROCPRIM_400000_NS6detail17trampoline_kernelINS0_14default_configENS1_27scan_by_key_config_selectorIifEEZZNS1_16scan_by_key_implILNS1_25lookback_scan_determinismE0ELb1ES3_N6thrust23THRUST_200600_302600_NS6detail15normal_iteratorINS9_10device_ptrIiEEEENSB_INSC_IjEEEENSB_INSC_IfEEEEfNS9_4plusIvEENS9_8equal_toIvEEfEE10hipError_tPvRmT2_T3_T4_T5_mT6_T7_P12ihipStream_tbENKUlT_T0_E_clISt17integral_constantIbLb1EES12_IbLb0EEEEDaSY_SZ_EUlSY_E_NS1_11comp_targetILNS1_3genE10ELNS1_11target_archE1200ELNS1_3gpuE4ELNS1_3repE0EEENS1_30default_config_static_selectorELNS0_4arch9wavefront6targetE0EEEvT1_, .Lfunc_end1704-_ZN7rocprim17ROCPRIM_400000_NS6detail17trampoline_kernelINS0_14default_configENS1_27scan_by_key_config_selectorIifEEZZNS1_16scan_by_key_implILNS1_25lookback_scan_determinismE0ELb1ES3_N6thrust23THRUST_200600_302600_NS6detail15normal_iteratorINS9_10device_ptrIiEEEENSB_INSC_IjEEEENSB_INSC_IfEEEEfNS9_4plusIvEENS9_8equal_toIvEEfEE10hipError_tPvRmT2_T3_T4_T5_mT6_T7_P12ihipStream_tbENKUlT_T0_E_clISt17integral_constantIbLb1EES12_IbLb0EEEEDaSY_SZ_EUlSY_E_NS1_11comp_targetILNS1_3genE10ELNS1_11target_archE1200ELNS1_3gpuE4ELNS1_3repE0EEENS1_30default_config_static_selectorELNS0_4arch9wavefront6targetE0EEEvT1_
                                        ; -- End function
	.set _ZN7rocprim17ROCPRIM_400000_NS6detail17trampoline_kernelINS0_14default_configENS1_27scan_by_key_config_selectorIifEEZZNS1_16scan_by_key_implILNS1_25lookback_scan_determinismE0ELb1ES3_N6thrust23THRUST_200600_302600_NS6detail15normal_iteratorINS9_10device_ptrIiEEEENSB_INSC_IjEEEENSB_INSC_IfEEEEfNS9_4plusIvEENS9_8equal_toIvEEfEE10hipError_tPvRmT2_T3_T4_T5_mT6_T7_P12ihipStream_tbENKUlT_T0_E_clISt17integral_constantIbLb1EES12_IbLb0EEEEDaSY_SZ_EUlSY_E_NS1_11comp_targetILNS1_3genE10ELNS1_11target_archE1200ELNS1_3gpuE4ELNS1_3repE0EEENS1_30default_config_static_selectorELNS0_4arch9wavefront6targetE0EEEvT1_.num_vgpr, 0
	.set _ZN7rocprim17ROCPRIM_400000_NS6detail17trampoline_kernelINS0_14default_configENS1_27scan_by_key_config_selectorIifEEZZNS1_16scan_by_key_implILNS1_25lookback_scan_determinismE0ELb1ES3_N6thrust23THRUST_200600_302600_NS6detail15normal_iteratorINS9_10device_ptrIiEEEENSB_INSC_IjEEEENSB_INSC_IfEEEEfNS9_4plusIvEENS9_8equal_toIvEEfEE10hipError_tPvRmT2_T3_T4_T5_mT6_T7_P12ihipStream_tbENKUlT_T0_E_clISt17integral_constantIbLb1EES12_IbLb0EEEEDaSY_SZ_EUlSY_E_NS1_11comp_targetILNS1_3genE10ELNS1_11target_archE1200ELNS1_3gpuE4ELNS1_3repE0EEENS1_30default_config_static_selectorELNS0_4arch9wavefront6targetE0EEEvT1_.num_agpr, 0
	.set _ZN7rocprim17ROCPRIM_400000_NS6detail17trampoline_kernelINS0_14default_configENS1_27scan_by_key_config_selectorIifEEZZNS1_16scan_by_key_implILNS1_25lookback_scan_determinismE0ELb1ES3_N6thrust23THRUST_200600_302600_NS6detail15normal_iteratorINS9_10device_ptrIiEEEENSB_INSC_IjEEEENSB_INSC_IfEEEEfNS9_4plusIvEENS9_8equal_toIvEEfEE10hipError_tPvRmT2_T3_T4_T5_mT6_T7_P12ihipStream_tbENKUlT_T0_E_clISt17integral_constantIbLb1EES12_IbLb0EEEEDaSY_SZ_EUlSY_E_NS1_11comp_targetILNS1_3genE10ELNS1_11target_archE1200ELNS1_3gpuE4ELNS1_3repE0EEENS1_30default_config_static_selectorELNS0_4arch9wavefront6targetE0EEEvT1_.numbered_sgpr, 0
	.set _ZN7rocprim17ROCPRIM_400000_NS6detail17trampoline_kernelINS0_14default_configENS1_27scan_by_key_config_selectorIifEEZZNS1_16scan_by_key_implILNS1_25lookback_scan_determinismE0ELb1ES3_N6thrust23THRUST_200600_302600_NS6detail15normal_iteratorINS9_10device_ptrIiEEEENSB_INSC_IjEEEENSB_INSC_IfEEEEfNS9_4plusIvEENS9_8equal_toIvEEfEE10hipError_tPvRmT2_T3_T4_T5_mT6_T7_P12ihipStream_tbENKUlT_T0_E_clISt17integral_constantIbLb1EES12_IbLb0EEEEDaSY_SZ_EUlSY_E_NS1_11comp_targetILNS1_3genE10ELNS1_11target_archE1200ELNS1_3gpuE4ELNS1_3repE0EEENS1_30default_config_static_selectorELNS0_4arch9wavefront6targetE0EEEvT1_.num_named_barrier, 0
	.set _ZN7rocprim17ROCPRIM_400000_NS6detail17trampoline_kernelINS0_14default_configENS1_27scan_by_key_config_selectorIifEEZZNS1_16scan_by_key_implILNS1_25lookback_scan_determinismE0ELb1ES3_N6thrust23THRUST_200600_302600_NS6detail15normal_iteratorINS9_10device_ptrIiEEEENSB_INSC_IjEEEENSB_INSC_IfEEEEfNS9_4plusIvEENS9_8equal_toIvEEfEE10hipError_tPvRmT2_T3_T4_T5_mT6_T7_P12ihipStream_tbENKUlT_T0_E_clISt17integral_constantIbLb1EES12_IbLb0EEEEDaSY_SZ_EUlSY_E_NS1_11comp_targetILNS1_3genE10ELNS1_11target_archE1200ELNS1_3gpuE4ELNS1_3repE0EEENS1_30default_config_static_selectorELNS0_4arch9wavefront6targetE0EEEvT1_.private_seg_size, 0
	.set _ZN7rocprim17ROCPRIM_400000_NS6detail17trampoline_kernelINS0_14default_configENS1_27scan_by_key_config_selectorIifEEZZNS1_16scan_by_key_implILNS1_25lookback_scan_determinismE0ELb1ES3_N6thrust23THRUST_200600_302600_NS6detail15normal_iteratorINS9_10device_ptrIiEEEENSB_INSC_IjEEEENSB_INSC_IfEEEEfNS9_4plusIvEENS9_8equal_toIvEEfEE10hipError_tPvRmT2_T3_T4_T5_mT6_T7_P12ihipStream_tbENKUlT_T0_E_clISt17integral_constantIbLb1EES12_IbLb0EEEEDaSY_SZ_EUlSY_E_NS1_11comp_targetILNS1_3genE10ELNS1_11target_archE1200ELNS1_3gpuE4ELNS1_3repE0EEENS1_30default_config_static_selectorELNS0_4arch9wavefront6targetE0EEEvT1_.uses_vcc, 0
	.set _ZN7rocprim17ROCPRIM_400000_NS6detail17trampoline_kernelINS0_14default_configENS1_27scan_by_key_config_selectorIifEEZZNS1_16scan_by_key_implILNS1_25lookback_scan_determinismE0ELb1ES3_N6thrust23THRUST_200600_302600_NS6detail15normal_iteratorINS9_10device_ptrIiEEEENSB_INSC_IjEEEENSB_INSC_IfEEEEfNS9_4plusIvEENS9_8equal_toIvEEfEE10hipError_tPvRmT2_T3_T4_T5_mT6_T7_P12ihipStream_tbENKUlT_T0_E_clISt17integral_constantIbLb1EES12_IbLb0EEEEDaSY_SZ_EUlSY_E_NS1_11comp_targetILNS1_3genE10ELNS1_11target_archE1200ELNS1_3gpuE4ELNS1_3repE0EEENS1_30default_config_static_selectorELNS0_4arch9wavefront6targetE0EEEvT1_.uses_flat_scratch, 0
	.set _ZN7rocprim17ROCPRIM_400000_NS6detail17trampoline_kernelINS0_14default_configENS1_27scan_by_key_config_selectorIifEEZZNS1_16scan_by_key_implILNS1_25lookback_scan_determinismE0ELb1ES3_N6thrust23THRUST_200600_302600_NS6detail15normal_iteratorINS9_10device_ptrIiEEEENSB_INSC_IjEEEENSB_INSC_IfEEEEfNS9_4plusIvEENS9_8equal_toIvEEfEE10hipError_tPvRmT2_T3_T4_T5_mT6_T7_P12ihipStream_tbENKUlT_T0_E_clISt17integral_constantIbLb1EES12_IbLb0EEEEDaSY_SZ_EUlSY_E_NS1_11comp_targetILNS1_3genE10ELNS1_11target_archE1200ELNS1_3gpuE4ELNS1_3repE0EEENS1_30default_config_static_selectorELNS0_4arch9wavefront6targetE0EEEvT1_.has_dyn_sized_stack, 0
	.set _ZN7rocprim17ROCPRIM_400000_NS6detail17trampoline_kernelINS0_14default_configENS1_27scan_by_key_config_selectorIifEEZZNS1_16scan_by_key_implILNS1_25lookback_scan_determinismE0ELb1ES3_N6thrust23THRUST_200600_302600_NS6detail15normal_iteratorINS9_10device_ptrIiEEEENSB_INSC_IjEEEENSB_INSC_IfEEEEfNS9_4plusIvEENS9_8equal_toIvEEfEE10hipError_tPvRmT2_T3_T4_T5_mT6_T7_P12ihipStream_tbENKUlT_T0_E_clISt17integral_constantIbLb1EES12_IbLb0EEEEDaSY_SZ_EUlSY_E_NS1_11comp_targetILNS1_3genE10ELNS1_11target_archE1200ELNS1_3gpuE4ELNS1_3repE0EEENS1_30default_config_static_selectorELNS0_4arch9wavefront6targetE0EEEvT1_.has_recursion, 0
	.set _ZN7rocprim17ROCPRIM_400000_NS6detail17trampoline_kernelINS0_14default_configENS1_27scan_by_key_config_selectorIifEEZZNS1_16scan_by_key_implILNS1_25lookback_scan_determinismE0ELb1ES3_N6thrust23THRUST_200600_302600_NS6detail15normal_iteratorINS9_10device_ptrIiEEEENSB_INSC_IjEEEENSB_INSC_IfEEEEfNS9_4plusIvEENS9_8equal_toIvEEfEE10hipError_tPvRmT2_T3_T4_T5_mT6_T7_P12ihipStream_tbENKUlT_T0_E_clISt17integral_constantIbLb1EES12_IbLb0EEEEDaSY_SZ_EUlSY_E_NS1_11comp_targetILNS1_3genE10ELNS1_11target_archE1200ELNS1_3gpuE4ELNS1_3repE0EEENS1_30default_config_static_selectorELNS0_4arch9wavefront6targetE0EEEvT1_.has_indirect_call, 0
	.section	.AMDGPU.csdata,"",@progbits
; Kernel info:
; codeLenInByte = 0
; TotalNumSgprs: 0
; NumVgprs: 0
; ScratchSize: 0
; MemoryBound: 0
; FloatMode: 240
; IeeeMode: 1
; LDSByteSize: 0 bytes/workgroup (compile time only)
; SGPRBlocks: 0
; VGPRBlocks: 0
; NumSGPRsForWavesPerEU: 1
; NumVGPRsForWavesPerEU: 1
; Occupancy: 16
; WaveLimiterHint : 0
; COMPUTE_PGM_RSRC2:SCRATCH_EN: 0
; COMPUTE_PGM_RSRC2:USER_SGPR: 6
; COMPUTE_PGM_RSRC2:TRAP_HANDLER: 0
; COMPUTE_PGM_RSRC2:TGID_X_EN: 1
; COMPUTE_PGM_RSRC2:TGID_Y_EN: 0
; COMPUTE_PGM_RSRC2:TGID_Z_EN: 0
; COMPUTE_PGM_RSRC2:TIDIG_COMP_CNT: 0
	.section	.text._ZN7rocprim17ROCPRIM_400000_NS6detail17trampoline_kernelINS0_14default_configENS1_27scan_by_key_config_selectorIifEEZZNS1_16scan_by_key_implILNS1_25lookback_scan_determinismE0ELb1ES3_N6thrust23THRUST_200600_302600_NS6detail15normal_iteratorINS9_10device_ptrIiEEEENSB_INSC_IjEEEENSB_INSC_IfEEEEfNS9_4plusIvEENS9_8equal_toIvEEfEE10hipError_tPvRmT2_T3_T4_T5_mT6_T7_P12ihipStream_tbENKUlT_T0_E_clISt17integral_constantIbLb1EES12_IbLb0EEEEDaSY_SZ_EUlSY_E_NS1_11comp_targetILNS1_3genE9ELNS1_11target_archE1100ELNS1_3gpuE3ELNS1_3repE0EEENS1_30default_config_static_selectorELNS0_4arch9wavefront6targetE0EEEvT1_,"axG",@progbits,_ZN7rocprim17ROCPRIM_400000_NS6detail17trampoline_kernelINS0_14default_configENS1_27scan_by_key_config_selectorIifEEZZNS1_16scan_by_key_implILNS1_25lookback_scan_determinismE0ELb1ES3_N6thrust23THRUST_200600_302600_NS6detail15normal_iteratorINS9_10device_ptrIiEEEENSB_INSC_IjEEEENSB_INSC_IfEEEEfNS9_4plusIvEENS9_8equal_toIvEEfEE10hipError_tPvRmT2_T3_T4_T5_mT6_T7_P12ihipStream_tbENKUlT_T0_E_clISt17integral_constantIbLb1EES12_IbLb0EEEEDaSY_SZ_EUlSY_E_NS1_11comp_targetILNS1_3genE9ELNS1_11target_archE1100ELNS1_3gpuE3ELNS1_3repE0EEENS1_30default_config_static_selectorELNS0_4arch9wavefront6targetE0EEEvT1_,comdat
	.protected	_ZN7rocprim17ROCPRIM_400000_NS6detail17trampoline_kernelINS0_14default_configENS1_27scan_by_key_config_selectorIifEEZZNS1_16scan_by_key_implILNS1_25lookback_scan_determinismE0ELb1ES3_N6thrust23THRUST_200600_302600_NS6detail15normal_iteratorINS9_10device_ptrIiEEEENSB_INSC_IjEEEENSB_INSC_IfEEEEfNS9_4plusIvEENS9_8equal_toIvEEfEE10hipError_tPvRmT2_T3_T4_T5_mT6_T7_P12ihipStream_tbENKUlT_T0_E_clISt17integral_constantIbLb1EES12_IbLb0EEEEDaSY_SZ_EUlSY_E_NS1_11comp_targetILNS1_3genE9ELNS1_11target_archE1100ELNS1_3gpuE3ELNS1_3repE0EEENS1_30default_config_static_selectorELNS0_4arch9wavefront6targetE0EEEvT1_ ; -- Begin function _ZN7rocprim17ROCPRIM_400000_NS6detail17trampoline_kernelINS0_14default_configENS1_27scan_by_key_config_selectorIifEEZZNS1_16scan_by_key_implILNS1_25lookback_scan_determinismE0ELb1ES3_N6thrust23THRUST_200600_302600_NS6detail15normal_iteratorINS9_10device_ptrIiEEEENSB_INSC_IjEEEENSB_INSC_IfEEEEfNS9_4plusIvEENS9_8equal_toIvEEfEE10hipError_tPvRmT2_T3_T4_T5_mT6_T7_P12ihipStream_tbENKUlT_T0_E_clISt17integral_constantIbLb1EES12_IbLb0EEEEDaSY_SZ_EUlSY_E_NS1_11comp_targetILNS1_3genE9ELNS1_11target_archE1100ELNS1_3gpuE3ELNS1_3repE0EEENS1_30default_config_static_selectorELNS0_4arch9wavefront6targetE0EEEvT1_
	.globl	_ZN7rocprim17ROCPRIM_400000_NS6detail17trampoline_kernelINS0_14default_configENS1_27scan_by_key_config_selectorIifEEZZNS1_16scan_by_key_implILNS1_25lookback_scan_determinismE0ELb1ES3_N6thrust23THRUST_200600_302600_NS6detail15normal_iteratorINS9_10device_ptrIiEEEENSB_INSC_IjEEEENSB_INSC_IfEEEEfNS9_4plusIvEENS9_8equal_toIvEEfEE10hipError_tPvRmT2_T3_T4_T5_mT6_T7_P12ihipStream_tbENKUlT_T0_E_clISt17integral_constantIbLb1EES12_IbLb0EEEEDaSY_SZ_EUlSY_E_NS1_11comp_targetILNS1_3genE9ELNS1_11target_archE1100ELNS1_3gpuE3ELNS1_3repE0EEENS1_30default_config_static_selectorELNS0_4arch9wavefront6targetE0EEEvT1_
	.p2align	8
	.type	_ZN7rocprim17ROCPRIM_400000_NS6detail17trampoline_kernelINS0_14default_configENS1_27scan_by_key_config_selectorIifEEZZNS1_16scan_by_key_implILNS1_25lookback_scan_determinismE0ELb1ES3_N6thrust23THRUST_200600_302600_NS6detail15normal_iteratorINS9_10device_ptrIiEEEENSB_INSC_IjEEEENSB_INSC_IfEEEEfNS9_4plusIvEENS9_8equal_toIvEEfEE10hipError_tPvRmT2_T3_T4_T5_mT6_T7_P12ihipStream_tbENKUlT_T0_E_clISt17integral_constantIbLb1EES12_IbLb0EEEEDaSY_SZ_EUlSY_E_NS1_11comp_targetILNS1_3genE9ELNS1_11target_archE1100ELNS1_3gpuE3ELNS1_3repE0EEENS1_30default_config_static_selectorELNS0_4arch9wavefront6targetE0EEEvT1_,@function
_ZN7rocprim17ROCPRIM_400000_NS6detail17trampoline_kernelINS0_14default_configENS1_27scan_by_key_config_selectorIifEEZZNS1_16scan_by_key_implILNS1_25lookback_scan_determinismE0ELb1ES3_N6thrust23THRUST_200600_302600_NS6detail15normal_iteratorINS9_10device_ptrIiEEEENSB_INSC_IjEEEENSB_INSC_IfEEEEfNS9_4plusIvEENS9_8equal_toIvEEfEE10hipError_tPvRmT2_T3_T4_T5_mT6_T7_P12ihipStream_tbENKUlT_T0_E_clISt17integral_constantIbLb1EES12_IbLb0EEEEDaSY_SZ_EUlSY_E_NS1_11comp_targetILNS1_3genE9ELNS1_11target_archE1100ELNS1_3gpuE3ELNS1_3repE0EEENS1_30default_config_static_selectorELNS0_4arch9wavefront6targetE0EEEvT1_: ; @_ZN7rocprim17ROCPRIM_400000_NS6detail17trampoline_kernelINS0_14default_configENS1_27scan_by_key_config_selectorIifEEZZNS1_16scan_by_key_implILNS1_25lookback_scan_determinismE0ELb1ES3_N6thrust23THRUST_200600_302600_NS6detail15normal_iteratorINS9_10device_ptrIiEEEENSB_INSC_IjEEEENSB_INSC_IfEEEEfNS9_4plusIvEENS9_8equal_toIvEEfEE10hipError_tPvRmT2_T3_T4_T5_mT6_T7_P12ihipStream_tbENKUlT_T0_E_clISt17integral_constantIbLb1EES12_IbLb0EEEEDaSY_SZ_EUlSY_E_NS1_11comp_targetILNS1_3genE9ELNS1_11target_archE1100ELNS1_3gpuE3ELNS1_3repE0EEENS1_30default_config_static_selectorELNS0_4arch9wavefront6targetE0EEEvT1_
; %bb.0:
	.section	.rodata,"a",@progbits
	.p2align	6, 0x0
	.amdhsa_kernel _ZN7rocprim17ROCPRIM_400000_NS6detail17trampoline_kernelINS0_14default_configENS1_27scan_by_key_config_selectorIifEEZZNS1_16scan_by_key_implILNS1_25lookback_scan_determinismE0ELb1ES3_N6thrust23THRUST_200600_302600_NS6detail15normal_iteratorINS9_10device_ptrIiEEEENSB_INSC_IjEEEENSB_INSC_IfEEEEfNS9_4plusIvEENS9_8equal_toIvEEfEE10hipError_tPvRmT2_T3_T4_T5_mT6_T7_P12ihipStream_tbENKUlT_T0_E_clISt17integral_constantIbLb1EES12_IbLb0EEEEDaSY_SZ_EUlSY_E_NS1_11comp_targetILNS1_3genE9ELNS1_11target_archE1100ELNS1_3gpuE3ELNS1_3repE0EEENS1_30default_config_static_selectorELNS0_4arch9wavefront6targetE0EEEvT1_
		.amdhsa_group_segment_fixed_size 0
		.amdhsa_private_segment_fixed_size 0
		.amdhsa_kernarg_size 112
		.amdhsa_user_sgpr_count 6
		.amdhsa_user_sgpr_private_segment_buffer 1
		.amdhsa_user_sgpr_dispatch_ptr 0
		.amdhsa_user_sgpr_queue_ptr 0
		.amdhsa_user_sgpr_kernarg_segment_ptr 1
		.amdhsa_user_sgpr_dispatch_id 0
		.amdhsa_user_sgpr_flat_scratch_init 0
		.amdhsa_user_sgpr_private_segment_size 0
		.amdhsa_wavefront_size32 1
		.amdhsa_uses_dynamic_stack 0
		.amdhsa_system_sgpr_private_segment_wavefront_offset 0
		.amdhsa_system_sgpr_workgroup_id_x 1
		.amdhsa_system_sgpr_workgroup_id_y 0
		.amdhsa_system_sgpr_workgroup_id_z 0
		.amdhsa_system_sgpr_workgroup_info 0
		.amdhsa_system_vgpr_workitem_id 0
		.amdhsa_next_free_vgpr 1
		.amdhsa_next_free_sgpr 1
		.amdhsa_reserve_vcc 0
		.amdhsa_reserve_flat_scratch 0
		.amdhsa_float_round_mode_32 0
		.amdhsa_float_round_mode_16_64 0
		.amdhsa_float_denorm_mode_32 3
		.amdhsa_float_denorm_mode_16_64 3
		.amdhsa_dx10_clamp 1
		.amdhsa_ieee_mode 1
		.amdhsa_fp16_overflow 0
		.amdhsa_workgroup_processor_mode 1
		.amdhsa_memory_ordered 1
		.amdhsa_forward_progress 1
		.amdhsa_shared_vgpr_count 0
		.amdhsa_exception_fp_ieee_invalid_op 0
		.amdhsa_exception_fp_denorm_src 0
		.amdhsa_exception_fp_ieee_div_zero 0
		.amdhsa_exception_fp_ieee_overflow 0
		.amdhsa_exception_fp_ieee_underflow 0
		.amdhsa_exception_fp_ieee_inexact 0
		.amdhsa_exception_int_div_zero 0
	.end_amdhsa_kernel
	.section	.text._ZN7rocprim17ROCPRIM_400000_NS6detail17trampoline_kernelINS0_14default_configENS1_27scan_by_key_config_selectorIifEEZZNS1_16scan_by_key_implILNS1_25lookback_scan_determinismE0ELb1ES3_N6thrust23THRUST_200600_302600_NS6detail15normal_iteratorINS9_10device_ptrIiEEEENSB_INSC_IjEEEENSB_INSC_IfEEEEfNS9_4plusIvEENS9_8equal_toIvEEfEE10hipError_tPvRmT2_T3_T4_T5_mT6_T7_P12ihipStream_tbENKUlT_T0_E_clISt17integral_constantIbLb1EES12_IbLb0EEEEDaSY_SZ_EUlSY_E_NS1_11comp_targetILNS1_3genE9ELNS1_11target_archE1100ELNS1_3gpuE3ELNS1_3repE0EEENS1_30default_config_static_selectorELNS0_4arch9wavefront6targetE0EEEvT1_,"axG",@progbits,_ZN7rocprim17ROCPRIM_400000_NS6detail17trampoline_kernelINS0_14default_configENS1_27scan_by_key_config_selectorIifEEZZNS1_16scan_by_key_implILNS1_25lookback_scan_determinismE0ELb1ES3_N6thrust23THRUST_200600_302600_NS6detail15normal_iteratorINS9_10device_ptrIiEEEENSB_INSC_IjEEEENSB_INSC_IfEEEEfNS9_4plusIvEENS9_8equal_toIvEEfEE10hipError_tPvRmT2_T3_T4_T5_mT6_T7_P12ihipStream_tbENKUlT_T0_E_clISt17integral_constantIbLb1EES12_IbLb0EEEEDaSY_SZ_EUlSY_E_NS1_11comp_targetILNS1_3genE9ELNS1_11target_archE1100ELNS1_3gpuE3ELNS1_3repE0EEENS1_30default_config_static_selectorELNS0_4arch9wavefront6targetE0EEEvT1_,comdat
.Lfunc_end1705:
	.size	_ZN7rocprim17ROCPRIM_400000_NS6detail17trampoline_kernelINS0_14default_configENS1_27scan_by_key_config_selectorIifEEZZNS1_16scan_by_key_implILNS1_25lookback_scan_determinismE0ELb1ES3_N6thrust23THRUST_200600_302600_NS6detail15normal_iteratorINS9_10device_ptrIiEEEENSB_INSC_IjEEEENSB_INSC_IfEEEEfNS9_4plusIvEENS9_8equal_toIvEEfEE10hipError_tPvRmT2_T3_T4_T5_mT6_T7_P12ihipStream_tbENKUlT_T0_E_clISt17integral_constantIbLb1EES12_IbLb0EEEEDaSY_SZ_EUlSY_E_NS1_11comp_targetILNS1_3genE9ELNS1_11target_archE1100ELNS1_3gpuE3ELNS1_3repE0EEENS1_30default_config_static_selectorELNS0_4arch9wavefront6targetE0EEEvT1_, .Lfunc_end1705-_ZN7rocprim17ROCPRIM_400000_NS6detail17trampoline_kernelINS0_14default_configENS1_27scan_by_key_config_selectorIifEEZZNS1_16scan_by_key_implILNS1_25lookback_scan_determinismE0ELb1ES3_N6thrust23THRUST_200600_302600_NS6detail15normal_iteratorINS9_10device_ptrIiEEEENSB_INSC_IjEEEENSB_INSC_IfEEEEfNS9_4plusIvEENS9_8equal_toIvEEfEE10hipError_tPvRmT2_T3_T4_T5_mT6_T7_P12ihipStream_tbENKUlT_T0_E_clISt17integral_constantIbLb1EES12_IbLb0EEEEDaSY_SZ_EUlSY_E_NS1_11comp_targetILNS1_3genE9ELNS1_11target_archE1100ELNS1_3gpuE3ELNS1_3repE0EEENS1_30default_config_static_selectorELNS0_4arch9wavefront6targetE0EEEvT1_
                                        ; -- End function
	.set _ZN7rocprim17ROCPRIM_400000_NS6detail17trampoline_kernelINS0_14default_configENS1_27scan_by_key_config_selectorIifEEZZNS1_16scan_by_key_implILNS1_25lookback_scan_determinismE0ELb1ES3_N6thrust23THRUST_200600_302600_NS6detail15normal_iteratorINS9_10device_ptrIiEEEENSB_INSC_IjEEEENSB_INSC_IfEEEEfNS9_4plusIvEENS9_8equal_toIvEEfEE10hipError_tPvRmT2_T3_T4_T5_mT6_T7_P12ihipStream_tbENKUlT_T0_E_clISt17integral_constantIbLb1EES12_IbLb0EEEEDaSY_SZ_EUlSY_E_NS1_11comp_targetILNS1_3genE9ELNS1_11target_archE1100ELNS1_3gpuE3ELNS1_3repE0EEENS1_30default_config_static_selectorELNS0_4arch9wavefront6targetE0EEEvT1_.num_vgpr, 0
	.set _ZN7rocprim17ROCPRIM_400000_NS6detail17trampoline_kernelINS0_14default_configENS1_27scan_by_key_config_selectorIifEEZZNS1_16scan_by_key_implILNS1_25lookback_scan_determinismE0ELb1ES3_N6thrust23THRUST_200600_302600_NS6detail15normal_iteratorINS9_10device_ptrIiEEEENSB_INSC_IjEEEENSB_INSC_IfEEEEfNS9_4plusIvEENS9_8equal_toIvEEfEE10hipError_tPvRmT2_T3_T4_T5_mT6_T7_P12ihipStream_tbENKUlT_T0_E_clISt17integral_constantIbLb1EES12_IbLb0EEEEDaSY_SZ_EUlSY_E_NS1_11comp_targetILNS1_3genE9ELNS1_11target_archE1100ELNS1_3gpuE3ELNS1_3repE0EEENS1_30default_config_static_selectorELNS0_4arch9wavefront6targetE0EEEvT1_.num_agpr, 0
	.set _ZN7rocprim17ROCPRIM_400000_NS6detail17trampoline_kernelINS0_14default_configENS1_27scan_by_key_config_selectorIifEEZZNS1_16scan_by_key_implILNS1_25lookback_scan_determinismE0ELb1ES3_N6thrust23THRUST_200600_302600_NS6detail15normal_iteratorINS9_10device_ptrIiEEEENSB_INSC_IjEEEENSB_INSC_IfEEEEfNS9_4plusIvEENS9_8equal_toIvEEfEE10hipError_tPvRmT2_T3_T4_T5_mT6_T7_P12ihipStream_tbENKUlT_T0_E_clISt17integral_constantIbLb1EES12_IbLb0EEEEDaSY_SZ_EUlSY_E_NS1_11comp_targetILNS1_3genE9ELNS1_11target_archE1100ELNS1_3gpuE3ELNS1_3repE0EEENS1_30default_config_static_selectorELNS0_4arch9wavefront6targetE0EEEvT1_.numbered_sgpr, 0
	.set _ZN7rocprim17ROCPRIM_400000_NS6detail17trampoline_kernelINS0_14default_configENS1_27scan_by_key_config_selectorIifEEZZNS1_16scan_by_key_implILNS1_25lookback_scan_determinismE0ELb1ES3_N6thrust23THRUST_200600_302600_NS6detail15normal_iteratorINS9_10device_ptrIiEEEENSB_INSC_IjEEEENSB_INSC_IfEEEEfNS9_4plusIvEENS9_8equal_toIvEEfEE10hipError_tPvRmT2_T3_T4_T5_mT6_T7_P12ihipStream_tbENKUlT_T0_E_clISt17integral_constantIbLb1EES12_IbLb0EEEEDaSY_SZ_EUlSY_E_NS1_11comp_targetILNS1_3genE9ELNS1_11target_archE1100ELNS1_3gpuE3ELNS1_3repE0EEENS1_30default_config_static_selectorELNS0_4arch9wavefront6targetE0EEEvT1_.num_named_barrier, 0
	.set _ZN7rocprim17ROCPRIM_400000_NS6detail17trampoline_kernelINS0_14default_configENS1_27scan_by_key_config_selectorIifEEZZNS1_16scan_by_key_implILNS1_25lookback_scan_determinismE0ELb1ES3_N6thrust23THRUST_200600_302600_NS6detail15normal_iteratorINS9_10device_ptrIiEEEENSB_INSC_IjEEEENSB_INSC_IfEEEEfNS9_4plusIvEENS9_8equal_toIvEEfEE10hipError_tPvRmT2_T3_T4_T5_mT6_T7_P12ihipStream_tbENKUlT_T0_E_clISt17integral_constantIbLb1EES12_IbLb0EEEEDaSY_SZ_EUlSY_E_NS1_11comp_targetILNS1_3genE9ELNS1_11target_archE1100ELNS1_3gpuE3ELNS1_3repE0EEENS1_30default_config_static_selectorELNS0_4arch9wavefront6targetE0EEEvT1_.private_seg_size, 0
	.set _ZN7rocprim17ROCPRIM_400000_NS6detail17trampoline_kernelINS0_14default_configENS1_27scan_by_key_config_selectorIifEEZZNS1_16scan_by_key_implILNS1_25lookback_scan_determinismE0ELb1ES3_N6thrust23THRUST_200600_302600_NS6detail15normal_iteratorINS9_10device_ptrIiEEEENSB_INSC_IjEEEENSB_INSC_IfEEEEfNS9_4plusIvEENS9_8equal_toIvEEfEE10hipError_tPvRmT2_T3_T4_T5_mT6_T7_P12ihipStream_tbENKUlT_T0_E_clISt17integral_constantIbLb1EES12_IbLb0EEEEDaSY_SZ_EUlSY_E_NS1_11comp_targetILNS1_3genE9ELNS1_11target_archE1100ELNS1_3gpuE3ELNS1_3repE0EEENS1_30default_config_static_selectorELNS0_4arch9wavefront6targetE0EEEvT1_.uses_vcc, 0
	.set _ZN7rocprim17ROCPRIM_400000_NS6detail17trampoline_kernelINS0_14default_configENS1_27scan_by_key_config_selectorIifEEZZNS1_16scan_by_key_implILNS1_25lookback_scan_determinismE0ELb1ES3_N6thrust23THRUST_200600_302600_NS6detail15normal_iteratorINS9_10device_ptrIiEEEENSB_INSC_IjEEEENSB_INSC_IfEEEEfNS9_4plusIvEENS9_8equal_toIvEEfEE10hipError_tPvRmT2_T3_T4_T5_mT6_T7_P12ihipStream_tbENKUlT_T0_E_clISt17integral_constantIbLb1EES12_IbLb0EEEEDaSY_SZ_EUlSY_E_NS1_11comp_targetILNS1_3genE9ELNS1_11target_archE1100ELNS1_3gpuE3ELNS1_3repE0EEENS1_30default_config_static_selectorELNS0_4arch9wavefront6targetE0EEEvT1_.uses_flat_scratch, 0
	.set _ZN7rocprim17ROCPRIM_400000_NS6detail17trampoline_kernelINS0_14default_configENS1_27scan_by_key_config_selectorIifEEZZNS1_16scan_by_key_implILNS1_25lookback_scan_determinismE0ELb1ES3_N6thrust23THRUST_200600_302600_NS6detail15normal_iteratorINS9_10device_ptrIiEEEENSB_INSC_IjEEEENSB_INSC_IfEEEEfNS9_4plusIvEENS9_8equal_toIvEEfEE10hipError_tPvRmT2_T3_T4_T5_mT6_T7_P12ihipStream_tbENKUlT_T0_E_clISt17integral_constantIbLb1EES12_IbLb0EEEEDaSY_SZ_EUlSY_E_NS1_11comp_targetILNS1_3genE9ELNS1_11target_archE1100ELNS1_3gpuE3ELNS1_3repE0EEENS1_30default_config_static_selectorELNS0_4arch9wavefront6targetE0EEEvT1_.has_dyn_sized_stack, 0
	.set _ZN7rocprim17ROCPRIM_400000_NS6detail17trampoline_kernelINS0_14default_configENS1_27scan_by_key_config_selectorIifEEZZNS1_16scan_by_key_implILNS1_25lookback_scan_determinismE0ELb1ES3_N6thrust23THRUST_200600_302600_NS6detail15normal_iteratorINS9_10device_ptrIiEEEENSB_INSC_IjEEEENSB_INSC_IfEEEEfNS9_4plusIvEENS9_8equal_toIvEEfEE10hipError_tPvRmT2_T3_T4_T5_mT6_T7_P12ihipStream_tbENKUlT_T0_E_clISt17integral_constantIbLb1EES12_IbLb0EEEEDaSY_SZ_EUlSY_E_NS1_11comp_targetILNS1_3genE9ELNS1_11target_archE1100ELNS1_3gpuE3ELNS1_3repE0EEENS1_30default_config_static_selectorELNS0_4arch9wavefront6targetE0EEEvT1_.has_recursion, 0
	.set _ZN7rocprim17ROCPRIM_400000_NS6detail17trampoline_kernelINS0_14default_configENS1_27scan_by_key_config_selectorIifEEZZNS1_16scan_by_key_implILNS1_25lookback_scan_determinismE0ELb1ES3_N6thrust23THRUST_200600_302600_NS6detail15normal_iteratorINS9_10device_ptrIiEEEENSB_INSC_IjEEEENSB_INSC_IfEEEEfNS9_4plusIvEENS9_8equal_toIvEEfEE10hipError_tPvRmT2_T3_T4_T5_mT6_T7_P12ihipStream_tbENKUlT_T0_E_clISt17integral_constantIbLb1EES12_IbLb0EEEEDaSY_SZ_EUlSY_E_NS1_11comp_targetILNS1_3genE9ELNS1_11target_archE1100ELNS1_3gpuE3ELNS1_3repE0EEENS1_30default_config_static_selectorELNS0_4arch9wavefront6targetE0EEEvT1_.has_indirect_call, 0
	.section	.AMDGPU.csdata,"",@progbits
; Kernel info:
; codeLenInByte = 0
; TotalNumSgprs: 0
; NumVgprs: 0
; ScratchSize: 0
; MemoryBound: 0
; FloatMode: 240
; IeeeMode: 1
; LDSByteSize: 0 bytes/workgroup (compile time only)
; SGPRBlocks: 0
; VGPRBlocks: 0
; NumSGPRsForWavesPerEU: 1
; NumVGPRsForWavesPerEU: 1
; Occupancy: 16
; WaveLimiterHint : 0
; COMPUTE_PGM_RSRC2:SCRATCH_EN: 0
; COMPUTE_PGM_RSRC2:USER_SGPR: 6
; COMPUTE_PGM_RSRC2:TRAP_HANDLER: 0
; COMPUTE_PGM_RSRC2:TGID_X_EN: 1
; COMPUTE_PGM_RSRC2:TGID_Y_EN: 0
; COMPUTE_PGM_RSRC2:TGID_Z_EN: 0
; COMPUTE_PGM_RSRC2:TIDIG_COMP_CNT: 0
	.section	.text._ZN7rocprim17ROCPRIM_400000_NS6detail17trampoline_kernelINS0_14default_configENS1_27scan_by_key_config_selectorIifEEZZNS1_16scan_by_key_implILNS1_25lookback_scan_determinismE0ELb1ES3_N6thrust23THRUST_200600_302600_NS6detail15normal_iteratorINS9_10device_ptrIiEEEENSB_INSC_IjEEEENSB_INSC_IfEEEEfNS9_4plusIvEENS9_8equal_toIvEEfEE10hipError_tPvRmT2_T3_T4_T5_mT6_T7_P12ihipStream_tbENKUlT_T0_E_clISt17integral_constantIbLb1EES12_IbLb0EEEEDaSY_SZ_EUlSY_E_NS1_11comp_targetILNS1_3genE8ELNS1_11target_archE1030ELNS1_3gpuE2ELNS1_3repE0EEENS1_30default_config_static_selectorELNS0_4arch9wavefront6targetE0EEEvT1_,"axG",@progbits,_ZN7rocprim17ROCPRIM_400000_NS6detail17trampoline_kernelINS0_14default_configENS1_27scan_by_key_config_selectorIifEEZZNS1_16scan_by_key_implILNS1_25lookback_scan_determinismE0ELb1ES3_N6thrust23THRUST_200600_302600_NS6detail15normal_iteratorINS9_10device_ptrIiEEEENSB_INSC_IjEEEENSB_INSC_IfEEEEfNS9_4plusIvEENS9_8equal_toIvEEfEE10hipError_tPvRmT2_T3_T4_T5_mT6_T7_P12ihipStream_tbENKUlT_T0_E_clISt17integral_constantIbLb1EES12_IbLb0EEEEDaSY_SZ_EUlSY_E_NS1_11comp_targetILNS1_3genE8ELNS1_11target_archE1030ELNS1_3gpuE2ELNS1_3repE0EEENS1_30default_config_static_selectorELNS0_4arch9wavefront6targetE0EEEvT1_,comdat
	.protected	_ZN7rocprim17ROCPRIM_400000_NS6detail17trampoline_kernelINS0_14default_configENS1_27scan_by_key_config_selectorIifEEZZNS1_16scan_by_key_implILNS1_25lookback_scan_determinismE0ELb1ES3_N6thrust23THRUST_200600_302600_NS6detail15normal_iteratorINS9_10device_ptrIiEEEENSB_INSC_IjEEEENSB_INSC_IfEEEEfNS9_4plusIvEENS9_8equal_toIvEEfEE10hipError_tPvRmT2_T3_T4_T5_mT6_T7_P12ihipStream_tbENKUlT_T0_E_clISt17integral_constantIbLb1EES12_IbLb0EEEEDaSY_SZ_EUlSY_E_NS1_11comp_targetILNS1_3genE8ELNS1_11target_archE1030ELNS1_3gpuE2ELNS1_3repE0EEENS1_30default_config_static_selectorELNS0_4arch9wavefront6targetE0EEEvT1_ ; -- Begin function _ZN7rocprim17ROCPRIM_400000_NS6detail17trampoline_kernelINS0_14default_configENS1_27scan_by_key_config_selectorIifEEZZNS1_16scan_by_key_implILNS1_25lookback_scan_determinismE0ELb1ES3_N6thrust23THRUST_200600_302600_NS6detail15normal_iteratorINS9_10device_ptrIiEEEENSB_INSC_IjEEEENSB_INSC_IfEEEEfNS9_4plusIvEENS9_8equal_toIvEEfEE10hipError_tPvRmT2_T3_T4_T5_mT6_T7_P12ihipStream_tbENKUlT_T0_E_clISt17integral_constantIbLb1EES12_IbLb0EEEEDaSY_SZ_EUlSY_E_NS1_11comp_targetILNS1_3genE8ELNS1_11target_archE1030ELNS1_3gpuE2ELNS1_3repE0EEENS1_30default_config_static_selectorELNS0_4arch9wavefront6targetE0EEEvT1_
	.globl	_ZN7rocprim17ROCPRIM_400000_NS6detail17trampoline_kernelINS0_14default_configENS1_27scan_by_key_config_selectorIifEEZZNS1_16scan_by_key_implILNS1_25lookback_scan_determinismE0ELb1ES3_N6thrust23THRUST_200600_302600_NS6detail15normal_iteratorINS9_10device_ptrIiEEEENSB_INSC_IjEEEENSB_INSC_IfEEEEfNS9_4plusIvEENS9_8equal_toIvEEfEE10hipError_tPvRmT2_T3_T4_T5_mT6_T7_P12ihipStream_tbENKUlT_T0_E_clISt17integral_constantIbLb1EES12_IbLb0EEEEDaSY_SZ_EUlSY_E_NS1_11comp_targetILNS1_3genE8ELNS1_11target_archE1030ELNS1_3gpuE2ELNS1_3repE0EEENS1_30default_config_static_selectorELNS0_4arch9wavefront6targetE0EEEvT1_
	.p2align	8
	.type	_ZN7rocprim17ROCPRIM_400000_NS6detail17trampoline_kernelINS0_14default_configENS1_27scan_by_key_config_selectorIifEEZZNS1_16scan_by_key_implILNS1_25lookback_scan_determinismE0ELb1ES3_N6thrust23THRUST_200600_302600_NS6detail15normal_iteratorINS9_10device_ptrIiEEEENSB_INSC_IjEEEENSB_INSC_IfEEEEfNS9_4plusIvEENS9_8equal_toIvEEfEE10hipError_tPvRmT2_T3_T4_T5_mT6_T7_P12ihipStream_tbENKUlT_T0_E_clISt17integral_constantIbLb1EES12_IbLb0EEEEDaSY_SZ_EUlSY_E_NS1_11comp_targetILNS1_3genE8ELNS1_11target_archE1030ELNS1_3gpuE2ELNS1_3repE0EEENS1_30default_config_static_selectorELNS0_4arch9wavefront6targetE0EEEvT1_,@function
_ZN7rocprim17ROCPRIM_400000_NS6detail17trampoline_kernelINS0_14default_configENS1_27scan_by_key_config_selectorIifEEZZNS1_16scan_by_key_implILNS1_25lookback_scan_determinismE0ELb1ES3_N6thrust23THRUST_200600_302600_NS6detail15normal_iteratorINS9_10device_ptrIiEEEENSB_INSC_IjEEEENSB_INSC_IfEEEEfNS9_4plusIvEENS9_8equal_toIvEEfEE10hipError_tPvRmT2_T3_T4_T5_mT6_T7_P12ihipStream_tbENKUlT_T0_E_clISt17integral_constantIbLb1EES12_IbLb0EEEEDaSY_SZ_EUlSY_E_NS1_11comp_targetILNS1_3genE8ELNS1_11target_archE1030ELNS1_3gpuE2ELNS1_3repE0EEENS1_30default_config_static_selectorELNS0_4arch9wavefront6targetE0EEEvT1_: ; @_ZN7rocprim17ROCPRIM_400000_NS6detail17trampoline_kernelINS0_14default_configENS1_27scan_by_key_config_selectorIifEEZZNS1_16scan_by_key_implILNS1_25lookback_scan_determinismE0ELb1ES3_N6thrust23THRUST_200600_302600_NS6detail15normal_iteratorINS9_10device_ptrIiEEEENSB_INSC_IjEEEENSB_INSC_IfEEEEfNS9_4plusIvEENS9_8equal_toIvEEfEE10hipError_tPvRmT2_T3_T4_T5_mT6_T7_P12ihipStream_tbENKUlT_T0_E_clISt17integral_constantIbLb1EES12_IbLb0EEEEDaSY_SZ_EUlSY_E_NS1_11comp_targetILNS1_3genE8ELNS1_11target_archE1030ELNS1_3gpuE2ELNS1_3repE0EEENS1_30default_config_static_selectorELNS0_4arch9wavefront6targetE0EEEvT1_
; %bb.0:
	s_endpgm
	.section	.rodata,"a",@progbits
	.p2align	6, 0x0
	.amdhsa_kernel _ZN7rocprim17ROCPRIM_400000_NS6detail17trampoline_kernelINS0_14default_configENS1_27scan_by_key_config_selectorIifEEZZNS1_16scan_by_key_implILNS1_25lookback_scan_determinismE0ELb1ES3_N6thrust23THRUST_200600_302600_NS6detail15normal_iteratorINS9_10device_ptrIiEEEENSB_INSC_IjEEEENSB_INSC_IfEEEEfNS9_4plusIvEENS9_8equal_toIvEEfEE10hipError_tPvRmT2_T3_T4_T5_mT6_T7_P12ihipStream_tbENKUlT_T0_E_clISt17integral_constantIbLb1EES12_IbLb0EEEEDaSY_SZ_EUlSY_E_NS1_11comp_targetILNS1_3genE8ELNS1_11target_archE1030ELNS1_3gpuE2ELNS1_3repE0EEENS1_30default_config_static_selectorELNS0_4arch9wavefront6targetE0EEEvT1_
		.amdhsa_group_segment_fixed_size 0
		.amdhsa_private_segment_fixed_size 0
		.amdhsa_kernarg_size 112
		.amdhsa_user_sgpr_count 6
		.amdhsa_user_sgpr_private_segment_buffer 1
		.amdhsa_user_sgpr_dispatch_ptr 0
		.amdhsa_user_sgpr_queue_ptr 0
		.amdhsa_user_sgpr_kernarg_segment_ptr 1
		.amdhsa_user_sgpr_dispatch_id 0
		.amdhsa_user_sgpr_flat_scratch_init 0
		.amdhsa_user_sgpr_private_segment_size 0
		.amdhsa_wavefront_size32 1
		.amdhsa_uses_dynamic_stack 0
		.amdhsa_system_sgpr_private_segment_wavefront_offset 0
		.amdhsa_system_sgpr_workgroup_id_x 1
		.amdhsa_system_sgpr_workgroup_id_y 0
		.amdhsa_system_sgpr_workgroup_id_z 0
		.amdhsa_system_sgpr_workgroup_info 0
		.amdhsa_system_vgpr_workitem_id 0
		.amdhsa_next_free_vgpr 1
		.amdhsa_next_free_sgpr 1
		.amdhsa_reserve_vcc 0
		.amdhsa_reserve_flat_scratch 0
		.amdhsa_float_round_mode_32 0
		.amdhsa_float_round_mode_16_64 0
		.amdhsa_float_denorm_mode_32 3
		.amdhsa_float_denorm_mode_16_64 3
		.amdhsa_dx10_clamp 1
		.amdhsa_ieee_mode 1
		.amdhsa_fp16_overflow 0
		.amdhsa_workgroup_processor_mode 1
		.amdhsa_memory_ordered 1
		.amdhsa_forward_progress 1
		.amdhsa_shared_vgpr_count 0
		.amdhsa_exception_fp_ieee_invalid_op 0
		.amdhsa_exception_fp_denorm_src 0
		.amdhsa_exception_fp_ieee_div_zero 0
		.amdhsa_exception_fp_ieee_overflow 0
		.amdhsa_exception_fp_ieee_underflow 0
		.amdhsa_exception_fp_ieee_inexact 0
		.amdhsa_exception_int_div_zero 0
	.end_amdhsa_kernel
	.section	.text._ZN7rocprim17ROCPRIM_400000_NS6detail17trampoline_kernelINS0_14default_configENS1_27scan_by_key_config_selectorIifEEZZNS1_16scan_by_key_implILNS1_25lookback_scan_determinismE0ELb1ES3_N6thrust23THRUST_200600_302600_NS6detail15normal_iteratorINS9_10device_ptrIiEEEENSB_INSC_IjEEEENSB_INSC_IfEEEEfNS9_4plusIvEENS9_8equal_toIvEEfEE10hipError_tPvRmT2_T3_T4_T5_mT6_T7_P12ihipStream_tbENKUlT_T0_E_clISt17integral_constantIbLb1EES12_IbLb0EEEEDaSY_SZ_EUlSY_E_NS1_11comp_targetILNS1_3genE8ELNS1_11target_archE1030ELNS1_3gpuE2ELNS1_3repE0EEENS1_30default_config_static_selectorELNS0_4arch9wavefront6targetE0EEEvT1_,"axG",@progbits,_ZN7rocprim17ROCPRIM_400000_NS6detail17trampoline_kernelINS0_14default_configENS1_27scan_by_key_config_selectorIifEEZZNS1_16scan_by_key_implILNS1_25lookback_scan_determinismE0ELb1ES3_N6thrust23THRUST_200600_302600_NS6detail15normal_iteratorINS9_10device_ptrIiEEEENSB_INSC_IjEEEENSB_INSC_IfEEEEfNS9_4plusIvEENS9_8equal_toIvEEfEE10hipError_tPvRmT2_T3_T4_T5_mT6_T7_P12ihipStream_tbENKUlT_T0_E_clISt17integral_constantIbLb1EES12_IbLb0EEEEDaSY_SZ_EUlSY_E_NS1_11comp_targetILNS1_3genE8ELNS1_11target_archE1030ELNS1_3gpuE2ELNS1_3repE0EEENS1_30default_config_static_selectorELNS0_4arch9wavefront6targetE0EEEvT1_,comdat
.Lfunc_end1706:
	.size	_ZN7rocprim17ROCPRIM_400000_NS6detail17trampoline_kernelINS0_14default_configENS1_27scan_by_key_config_selectorIifEEZZNS1_16scan_by_key_implILNS1_25lookback_scan_determinismE0ELb1ES3_N6thrust23THRUST_200600_302600_NS6detail15normal_iteratorINS9_10device_ptrIiEEEENSB_INSC_IjEEEENSB_INSC_IfEEEEfNS9_4plusIvEENS9_8equal_toIvEEfEE10hipError_tPvRmT2_T3_T4_T5_mT6_T7_P12ihipStream_tbENKUlT_T0_E_clISt17integral_constantIbLb1EES12_IbLb0EEEEDaSY_SZ_EUlSY_E_NS1_11comp_targetILNS1_3genE8ELNS1_11target_archE1030ELNS1_3gpuE2ELNS1_3repE0EEENS1_30default_config_static_selectorELNS0_4arch9wavefront6targetE0EEEvT1_, .Lfunc_end1706-_ZN7rocprim17ROCPRIM_400000_NS6detail17trampoline_kernelINS0_14default_configENS1_27scan_by_key_config_selectorIifEEZZNS1_16scan_by_key_implILNS1_25lookback_scan_determinismE0ELb1ES3_N6thrust23THRUST_200600_302600_NS6detail15normal_iteratorINS9_10device_ptrIiEEEENSB_INSC_IjEEEENSB_INSC_IfEEEEfNS9_4plusIvEENS9_8equal_toIvEEfEE10hipError_tPvRmT2_T3_T4_T5_mT6_T7_P12ihipStream_tbENKUlT_T0_E_clISt17integral_constantIbLb1EES12_IbLb0EEEEDaSY_SZ_EUlSY_E_NS1_11comp_targetILNS1_3genE8ELNS1_11target_archE1030ELNS1_3gpuE2ELNS1_3repE0EEENS1_30default_config_static_selectorELNS0_4arch9wavefront6targetE0EEEvT1_
                                        ; -- End function
	.set _ZN7rocprim17ROCPRIM_400000_NS6detail17trampoline_kernelINS0_14default_configENS1_27scan_by_key_config_selectorIifEEZZNS1_16scan_by_key_implILNS1_25lookback_scan_determinismE0ELb1ES3_N6thrust23THRUST_200600_302600_NS6detail15normal_iteratorINS9_10device_ptrIiEEEENSB_INSC_IjEEEENSB_INSC_IfEEEEfNS9_4plusIvEENS9_8equal_toIvEEfEE10hipError_tPvRmT2_T3_T4_T5_mT6_T7_P12ihipStream_tbENKUlT_T0_E_clISt17integral_constantIbLb1EES12_IbLb0EEEEDaSY_SZ_EUlSY_E_NS1_11comp_targetILNS1_3genE8ELNS1_11target_archE1030ELNS1_3gpuE2ELNS1_3repE0EEENS1_30default_config_static_selectorELNS0_4arch9wavefront6targetE0EEEvT1_.num_vgpr, 0
	.set _ZN7rocprim17ROCPRIM_400000_NS6detail17trampoline_kernelINS0_14default_configENS1_27scan_by_key_config_selectorIifEEZZNS1_16scan_by_key_implILNS1_25lookback_scan_determinismE0ELb1ES3_N6thrust23THRUST_200600_302600_NS6detail15normal_iteratorINS9_10device_ptrIiEEEENSB_INSC_IjEEEENSB_INSC_IfEEEEfNS9_4plusIvEENS9_8equal_toIvEEfEE10hipError_tPvRmT2_T3_T4_T5_mT6_T7_P12ihipStream_tbENKUlT_T0_E_clISt17integral_constantIbLb1EES12_IbLb0EEEEDaSY_SZ_EUlSY_E_NS1_11comp_targetILNS1_3genE8ELNS1_11target_archE1030ELNS1_3gpuE2ELNS1_3repE0EEENS1_30default_config_static_selectorELNS0_4arch9wavefront6targetE0EEEvT1_.num_agpr, 0
	.set _ZN7rocprim17ROCPRIM_400000_NS6detail17trampoline_kernelINS0_14default_configENS1_27scan_by_key_config_selectorIifEEZZNS1_16scan_by_key_implILNS1_25lookback_scan_determinismE0ELb1ES3_N6thrust23THRUST_200600_302600_NS6detail15normal_iteratorINS9_10device_ptrIiEEEENSB_INSC_IjEEEENSB_INSC_IfEEEEfNS9_4plusIvEENS9_8equal_toIvEEfEE10hipError_tPvRmT2_T3_T4_T5_mT6_T7_P12ihipStream_tbENKUlT_T0_E_clISt17integral_constantIbLb1EES12_IbLb0EEEEDaSY_SZ_EUlSY_E_NS1_11comp_targetILNS1_3genE8ELNS1_11target_archE1030ELNS1_3gpuE2ELNS1_3repE0EEENS1_30default_config_static_selectorELNS0_4arch9wavefront6targetE0EEEvT1_.numbered_sgpr, 0
	.set _ZN7rocprim17ROCPRIM_400000_NS6detail17trampoline_kernelINS0_14default_configENS1_27scan_by_key_config_selectorIifEEZZNS1_16scan_by_key_implILNS1_25lookback_scan_determinismE0ELb1ES3_N6thrust23THRUST_200600_302600_NS6detail15normal_iteratorINS9_10device_ptrIiEEEENSB_INSC_IjEEEENSB_INSC_IfEEEEfNS9_4plusIvEENS9_8equal_toIvEEfEE10hipError_tPvRmT2_T3_T4_T5_mT6_T7_P12ihipStream_tbENKUlT_T0_E_clISt17integral_constantIbLb1EES12_IbLb0EEEEDaSY_SZ_EUlSY_E_NS1_11comp_targetILNS1_3genE8ELNS1_11target_archE1030ELNS1_3gpuE2ELNS1_3repE0EEENS1_30default_config_static_selectorELNS0_4arch9wavefront6targetE0EEEvT1_.num_named_barrier, 0
	.set _ZN7rocprim17ROCPRIM_400000_NS6detail17trampoline_kernelINS0_14default_configENS1_27scan_by_key_config_selectorIifEEZZNS1_16scan_by_key_implILNS1_25lookback_scan_determinismE0ELb1ES3_N6thrust23THRUST_200600_302600_NS6detail15normal_iteratorINS9_10device_ptrIiEEEENSB_INSC_IjEEEENSB_INSC_IfEEEEfNS9_4plusIvEENS9_8equal_toIvEEfEE10hipError_tPvRmT2_T3_T4_T5_mT6_T7_P12ihipStream_tbENKUlT_T0_E_clISt17integral_constantIbLb1EES12_IbLb0EEEEDaSY_SZ_EUlSY_E_NS1_11comp_targetILNS1_3genE8ELNS1_11target_archE1030ELNS1_3gpuE2ELNS1_3repE0EEENS1_30default_config_static_selectorELNS0_4arch9wavefront6targetE0EEEvT1_.private_seg_size, 0
	.set _ZN7rocprim17ROCPRIM_400000_NS6detail17trampoline_kernelINS0_14default_configENS1_27scan_by_key_config_selectorIifEEZZNS1_16scan_by_key_implILNS1_25lookback_scan_determinismE0ELb1ES3_N6thrust23THRUST_200600_302600_NS6detail15normal_iteratorINS9_10device_ptrIiEEEENSB_INSC_IjEEEENSB_INSC_IfEEEEfNS9_4plusIvEENS9_8equal_toIvEEfEE10hipError_tPvRmT2_T3_T4_T5_mT6_T7_P12ihipStream_tbENKUlT_T0_E_clISt17integral_constantIbLb1EES12_IbLb0EEEEDaSY_SZ_EUlSY_E_NS1_11comp_targetILNS1_3genE8ELNS1_11target_archE1030ELNS1_3gpuE2ELNS1_3repE0EEENS1_30default_config_static_selectorELNS0_4arch9wavefront6targetE0EEEvT1_.uses_vcc, 0
	.set _ZN7rocprim17ROCPRIM_400000_NS6detail17trampoline_kernelINS0_14default_configENS1_27scan_by_key_config_selectorIifEEZZNS1_16scan_by_key_implILNS1_25lookback_scan_determinismE0ELb1ES3_N6thrust23THRUST_200600_302600_NS6detail15normal_iteratorINS9_10device_ptrIiEEEENSB_INSC_IjEEEENSB_INSC_IfEEEEfNS9_4plusIvEENS9_8equal_toIvEEfEE10hipError_tPvRmT2_T3_T4_T5_mT6_T7_P12ihipStream_tbENKUlT_T0_E_clISt17integral_constantIbLb1EES12_IbLb0EEEEDaSY_SZ_EUlSY_E_NS1_11comp_targetILNS1_3genE8ELNS1_11target_archE1030ELNS1_3gpuE2ELNS1_3repE0EEENS1_30default_config_static_selectorELNS0_4arch9wavefront6targetE0EEEvT1_.uses_flat_scratch, 0
	.set _ZN7rocprim17ROCPRIM_400000_NS6detail17trampoline_kernelINS0_14default_configENS1_27scan_by_key_config_selectorIifEEZZNS1_16scan_by_key_implILNS1_25lookback_scan_determinismE0ELb1ES3_N6thrust23THRUST_200600_302600_NS6detail15normal_iteratorINS9_10device_ptrIiEEEENSB_INSC_IjEEEENSB_INSC_IfEEEEfNS9_4plusIvEENS9_8equal_toIvEEfEE10hipError_tPvRmT2_T3_T4_T5_mT6_T7_P12ihipStream_tbENKUlT_T0_E_clISt17integral_constantIbLb1EES12_IbLb0EEEEDaSY_SZ_EUlSY_E_NS1_11comp_targetILNS1_3genE8ELNS1_11target_archE1030ELNS1_3gpuE2ELNS1_3repE0EEENS1_30default_config_static_selectorELNS0_4arch9wavefront6targetE0EEEvT1_.has_dyn_sized_stack, 0
	.set _ZN7rocprim17ROCPRIM_400000_NS6detail17trampoline_kernelINS0_14default_configENS1_27scan_by_key_config_selectorIifEEZZNS1_16scan_by_key_implILNS1_25lookback_scan_determinismE0ELb1ES3_N6thrust23THRUST_200600_302600_NS6detail15normal_iteratorINS9_10device_ptrIiEEEENSB_INSC_IjEEEENSB_INSC_IfEEEEfNS9_4plusIvEENS9_8equal_toIvEEfEE10hipError_tPvRmT2_T3_T4_T5_mT6_T7_P12ihipStream_tbENKUlT_T0_E_clISt17integral_constantIbLb1EES12_IbLb0EEEEDaSY_SZ_EUlSY_E_NS1_11comp_targetILNS1_3genE8ELNS1_11target_archE1030ELNS1_3gpuE2ELNS1_3repE0EEENS1_30default_config_static_selectorELNS0_4arch9wavefront6targetE0EEEvT1_.has_recursion, 0
	.set _ZN7rocprim17ROCPRIM_400000_NS6detail17trampoline_kernelINS0_14default_configENS1_27scan_by_key_config_selectorIifEEZZNS1_16scan_by_key_implILNS1_25lookback_scan_determinismE0ELb1ES3_N6thrust23THRUST_200600_302600_NS6detail15normal_iteratorINS9_10device_ptrIiEEEENSB_INSC_IjEEEENSB_INSC_IfEEEEfNS9_4plusIvEENS9_8equal_toIvEEfEE10hipError_tPvRmT2_T3_T4_T5_mT6_T7_P12ihipStream_tbENKUlT_T0_E_clISt17integral_constantIbLb1EES12_IbLb0EEEEDaSY_SZ_EUlSY_E_NS1_11comp_targetILNS1_3genE8ELNS1_11target_archE1030ELNS1_3gpuE2ELNS1_3repE0EEENS1_30default_config_static_selectorELNS0_4arch9wavefront6targetE0EEEvT1_.has_indirect_call, 0
	.section	.AMDGPU.csdata,"",@progbits
; Kernel info:
; codeLenInByte = 4
; TotalNumSgprs: 0
; NumVgprs: 0
; ScratchSize: 0
; MemoryBound: 0
; FloatMode: 240
; IeeeMode: 1
; LDSByteSize: 0 bytes/workgroup (compile time only)
; SGPRBlocks: 0
; VGPRBlocks: 0
; NumSGPRsForWavesPerEU: 1
; NumVGPRsForWavesPerEU: 1
; Occupancy: 16
; WaveLimiterHint : 0
; COMPUTE_PGM_RSRC2:SCRATCH_EN: 0
; COMPUTE_PGM_RSRC2:USER_SGPR: 6
; COMPUTE_PGM_RSRC2:TRAP_HANDLER: 0
; COMPUTE_PGM_RSRC2:TGID_X_EN: 1
; COMPUTE_PGM_RSRC2:TGID_Y_EN: 0
; COMPUTE_PGM_RSRC2:TGID_Z_EN: 0
; COMPUTE_PGM_RSRC2:TIDIG_COMP_CNT: 0
	.section	.text._ZN7rocprim17ROCPRIM_400000_NS6detail17trampoline_kernelINS0_14default_configENS1_27scan_by_key_config_selectorIifEEZZNS1_16scan_by_key_implILNS1_25lookback_scan_determinismE0ELb1ES3_N6thrust23THRUST_200600_302600_NS6detail15normal_iteratorINS9_10device_ptrIiEEEENSB_INSC_IjEEEENSB_INSC_IfEEEEfNS9_4plusIvEENS9_8equal_toIvEEfEE10hipError_tPvRmT2_T3_T4_T5_mT6_T7_P12ihipStream_tbENKUlT_T0_E_clISt17integral_constantIbLb0EES12_IbLb1EEEEDaSY_SZ_EUlSY_E_NS1_11comp_targetILNS1_3genE0ELNS1_11target_archE4294967295ELNS1_3gpuE0ELNS1_3repE0EEENS1_30default_config_static_selectorELNS0_4arch9wavefront6targetE0EEEvT1_,"axG",@progbits,_ZN7rocprim17ROCPRIM_400000_NS6detail17trampoline_kernelINS0_14default_configENS1_27scan_by_key_config_selectorIifEEZZNS1_16scan_by_key_implILNS1_25lookback_scan_determinismE0ELb1ES3_N6thrust23THRUST_200600_302600_NS6detail15normal_iteratorINS9_10device_ptrIiEEEENSB_INSC_IjEEEENSB_INSC_IfEEEEfNS9_4plusIvEENS9_8equal_toIvEEfEE10hipError_tPvRmT2_T3_T4_T5_mT6_T7_P12ihipStream_tbENKUlT_T0_E_clISt17integral_constantIbLb0EES12_IbLb1EEEEDaSY_SZ_EUlSY_E_NS1_11comp_targetILNS1_3genE0ELNS1_11target_archE4294967295ELNS1_3gpuE0ELNS1_3repE0EEENS1_30default_config_static_selectorELNS0_4arch9wavefront6targetE0EEEvT1_,comdat
	.protected	_ZN7rocprim17ROCPRIM_400000_NS6detail17trampoline_kernelINS0_14default_configENS1_27scan_by_key_config_selectorIifEEZZNS1_16scan_by_key_implILNS1_25lookback_scan_determinismE0ELb1ES3_N6thrust23THRUST_200600_302600_NS6detail15normal_iteratorINS9_10device_ptrIiEEEENSB_INSC_IjEEEENSB_INSC_IfEEEEfNS9_4plusIvEENS9_8equal_toIvEEfEE10hipError_tPvRmT2_T3_T4_T5_mT6_T7_P12ihipStream_tbENKUlT_T0_E_clISt17integral_constantIbLb0EES12_IbLb1EEEEDaSY_SZ_EUlSY_E_NS1_11comp_targetILNS1_3genE0ELNS1_11target_archE4294967295ELNS1_3gpuE0ELNS1_3repE0EEENS1_30default_config_static_selectorELNS0_4arch9wavefront6targetE0EEEvT1_ ; -- Begin function _ZN7rocprim17ROCPRIM_400000_NS6detail17trampoline_kernelINS0_14default_configENS1_27scan_by_key_config_selectorIifEEZZNS1_16scan_by_key_implILNS1_25lookback_scan_determinismE0ELb1ES3_N6thrust23THRUST_200600_302600_NS6detail15normal_iteratorINS9_10device_ptrIiEEEENSB_INSC_IjEEEENSB_INSC_IfEEEEfNS9_4plusIvEENS9_8equal_toIvEEfEE10hipError_tPvRmT2_T3_T4_T5_mT6_T7_P12ihipStream_tbENKUlT_T0_E_clISt17integral_constantIbLb0EES12_IbLb1EEEEDaSY_SZ_EUlSY_E_NS1_11comp_targetILNS1_3genE0ELNS1_11target_archE4294967295ELNS1_3gpuE0ELNS1_3repE0EEENS1_30default_config_static_selectorELNS0_4arch9wavefront6targetE0EEEvT1_
	.globl	_ZN7rocprim17ROCPRIM_400000_NS6detail17trampoline_kernelINS0_14default_configENS1_27scan_by_key_config_selectorIifEEZZNS1_16scan_by_key_implILNS1_25lookback_scan_determinismE0ELb1ES3_N6thrust23THRUST_200600_302600_NS6detail15normal_iteratorINS9_10device_ptrIiEEEENSB_INSC_IjEEEENSB_INSC_IfEEEEfNS9_4plusIvEENS9_8equal_toIvEEfEE10hipError_tPvRmT2_T3_T4_T5_mT6_T7_P12ihipStream_tbENKUlT_T0_E_clISt17integral_constantIbLb0EES12_IbLb1EEEEDaSY_SZ_EUlSY_E_NS1_11comp_targetILNS1_3genE0ELNS1_11target_archE4294967295ELNS1_3gpuE0ELNS1_3repE0EEENS1_30default_config_static_selectorELNS0_4arch9wavefront6targetE0EEEvT1_
	.p2align	8
	.type	_ZN7rocprim17ROCPRIM_400000_NS6detail17trampoline_kernelINS0_14default_configENS1_27scan_by_key_config_selectorIifEEZZNS1_16scan_by_key_implILNS1_25lookback_scan_determinismE0ELb1ES3_N6thrust23THRUST_200600_302600_NS6detail15normal_iteratorINS9_10device_ptrIiEEEENSB_INSC_IjEEEENSB_INSC_IfEEEEfNS9_4plusIvEENS9_8equal_toIvEEfEE10hipError_tPvRmT2_T3_T4_T5_mT6_T7_P12ihipStream_tbENKUlT_T0_E_clISt17integral_constantIbLb0EES12_IbLb1EEEEDaSY_SZ_EUlSY_E_NS1_11comp_targetILNS1_3genE0ELNS1_11target_archE4294967295ELNS1_3gpuE0ELNS1_3repE0EEENS1_30default_config_static_selectorELNS0_4arch9wavefront6targetE0EEEvT1_,@function
_ZN7rocprim17ROCPRIM_400000_NS6detail17trampoline_kernelINS0_14default_configENS1_27scan_by_key_config_selectorIifEEZZNS1_16scan_by_key_implILNS1_25lookback_scan_determinismE0ELb1ES3_N6thrust23THRUST_200600_302600_NS6detail15normal_iteratorINS9_10device_ptrIiEEEENSB_INSC_IjEEEENSB_INSC_IfEEEEfNS9_4plusIvEENS9_8equal_toIvEEfEE10hipError_tPvRmT2_T3_T4_T5_mT6_T7_P12ihipStream_tbENKUlT_T0_E_clISt17integral_constantIbLb0EES12_IbLb1EEEEDaSY_SZ_EUlSY_E_NS1_11comp_targetILNS1_3genE0ELNS1_11target_archE4294967295ELNS1_3gpuE0ELNS1_3repE0EEENS1_30default_config_static_selectorELNS0_4arch9wavefront6targetE0EEEvT1_: ; @_ZN7rocprim17ROCPRIM_400000_NS6detail17trampoline_kernelINS0_14default_configENS1_27scan_by_key_config_selectorIifEEZZNS1_16scan_by_key_implILNS1_25lookback_scan_determinismE0ELb1ES3_N6thrust23THRUST_200600_302600_NS6detail15normal_iteratorINS9_10device_ptrIiEEEENSB_INSC_IjEEEENSB_INSC_IfEEEEfNS9_4plusIvEENS9_8equal_toIvEEfEE10hipError_tPvRmT2_T3_T4_T5_mT6_T7_P12ihipStream_tbENKUlT_T0_E_clISt17integral_constantIbLb0EES12_IbLb1EEEEDaSY_SZ_EUlSY_E_NS1_11comp_targetILNS1_3genE0ELNS1_11target_archE4294967295ELNS1_3gpuE0ELNS1_3repE0EEENS1_30default_config_static_selectorELNS0_4arch9wavefront6targetE0EEEvT1_
; %bb.0:
	.section	.rodata,"a",@progbits
	.p2align	6, 0x0
	.amdhsa_kernel _ZN7rocprim17ROCPRIM_400000_NS6detail17trampoline_kernelINS0_14default_configENS1_27scan_by_key_config_selectorIifEEZZNS1_16scan_by_key_implILNS1_25lookback_scan_determinismE0ELb1ES3_N6thrust23THRUST_200600_302600_NS6detail15normal_iteratorINS9_10device_ptrIiEEEENSB_INSC_IjEEEENSB_INSC_IfEEEEfNS9_4plusIvEENS9_8equal_toIvEEfEE10hipError_tPvRmT2_T3_T4_T5_mT6_T7_P12ihipStream_tbENKUlT_T0_E_clISt17integral_constantIbLb0EES12_IbLb1EEEEDaSY_SZ_EUlSY_E_NS1_11comp_targetILNS1_3genE0ELNS1_11target_archE4294967295ELNS1_3gpuE0ELNS1_3repE0EEENS1_30default_config_static_selectorELNS0_4arch9wavefront6targetE0EEEvT1_
		.amdhsa_group_segment_fixed_size 0
		.amdhsa_private_segment_fixed_size 0
		.amdhsa_kernarg_size 112
		.amdhsa_user_sgpr_count 6
		.amdhsa_user_sgpr_private_segment_buffer 1
		.amdhsa_user_sgpr_dispatch_ptr 0
		.amdhsa_user_sgpr_queue_ptr 0
		.amdhsa_user_sgpr_kernarg_segment_ptr 1
		.amdhsa_user_sgpr_dispatch_id 0
		.amdhsa_user_sgpr_flat_scratch_init 0
		.amdhsa_user_sgpr_private_segment_size 0
		.amdhsa_wavefront_size32 1
		.amdhsa_uses_dynamic_stack 0
		.amdhsa_system_sgpr_private_segment_wavefront_offset 0
		.amdhsa_system_sgpr_workgroup_id_x 1
		.amdhsa_system_sgpr_workgroup_id_y 0
		.amdhsa_system_sgpr_workgroup_id_z 0
		.amdhsa_system_sgpr_workgroup_info 0
		.amdhsa_system_vgpr_workitem_id 0
		.amdhsa_next_free_vgpr 1
		.amdhsa_next_free_sgpr 1
		.amdhsa_reserve_vcc 0
		.amdhsa_reserve_flat_scratch 0
		.amdhsa_float_round_mode_32 0
		.amdhsa_float_round_mode_16_64 0
		.amdhsa_float_denorm_mode_32 3
		.amdhsa_float_denorm_mode_16_64 3
		.amdhsa_dx10_clamp 1
		.amdhsa_ieee_mode 1
		.amdhsa_fp16_overflow 0
		.amdhsa_workgroup_processor_mode 1
		.amdhsa_memory_ordered 1
		.amdhsa_forward_progress 1
		.amdhsa_shared_vgpr_count 0
		.amdhsa_exception_fp_ieee_invalid_op 0
		.amdhsa_exception_fp_denorm_src 0
		.amdhsa_exception_fp_ieee_div_zero 0
		.amdhsa_exception_fp_ieee_overflow 0
		.amdhsa_exception_fp_ieee_underflow 0
		.amdhsa_exception_fp_ieee_inexact 0
		.amdhsa_exception_int_div_zero 0
	.end_amdhsa_kernel
	.section	.text._ZN7rocprim17ROCPRIM_400000_NS6detail17trampoline_kernelINS0_14default_configENS1_27scan_by_key_config_selectorIifEEZZNS1_16scan_by_key_implILNS1_25lookback_scan_determinismE0ELb1ES3_N6thrust23THRUST_200600_302600_NS6detail15normal_iteratorINS9_10device_ptrIiEEEENSB_INSC_IjEEEENSB_INSC_IfEEEEfNS9_4plusIvEENS9_8equal_toIvEEfEE10hipError_tPvRmT2_T3_T4_T5_mT6_T7_P12ihipStream_tbENKUlT_T0_E_clISt17integral_constantIbLb0EES12_IbLb1EEEEDaSY_SZ_EUlSY_E_NS1_11comp_targetILNS1_3genE0ELNS1_11target_archE4294967295ELNS1_3gpuE0ELNS1_3repE0EEENS1_30default_config_static_selectorELNS0_4arch9wavefront6targetE0EEEvT1_,"axG",@progbits,_ZN7rocprim17ROCPRIM_400000_NS6detail17trampoline_kernelINS0_14default_configENS1_27scan_by_key_config_selectorIifEEZZNS1_16scan_by_key_implILNS1_25lookback_scan_determinismE0ELb1ES3_N6thrust23THRUST_200600_302600_NS6detail15normal_iteratorINS9_10device_ptrIiEEEENSB_INSC_IjEEEENSB_INSC_IfEEEEfNS9_4plusIvEENS9_8equal_toIvEEfEE10hipError_tPvRmT2_T3_T4_T5_mT6_T7_P12ihipStream_tbENKUlT_T0_E_clISt17integral_constantIbLb0EES12_IbLb1EEEEDaSY_SZ_EUlSY_E_NS1_11comp_targetILNS1_3genE0ELNS1_11target_archE4294967295ELNS1_3gpuE0ELNS1_3repE0EEENS1_30default_config_static_selectorELNS0_4arch9wavefront6targetE0EEEvT1_,comdat
.Lfunc_end1707:
	.size	_ZN7rocprim17ROCPRIM_400000_NS6detail17trampoline_kernelINS0_14default_configENS1_27scan_by_key_config_selectorIifEEZZNS1_16scan_by_key_implILNS1_25lookback_scan_determinismE0ELb1ES3_N6thrust23THRUST_200600_302600_NS6detail15normal_iteratorINS9_10device_ptrIiEEEENSB_INSC_IjEEEENSB_INSC_IfEEEEfNS9_4plusIvEENS9_8equal_toIvEEfEE10hipError_tPvRmT2_T3_T4_T5_mT6_T7_P12ihipStream_tbENKUlT_T0_E_clISt17integral_constantIbLb0EES12_IbLb1EEEEDaSY_SZ_EUlSY_E_NS1_11comp_targetILNS1_3genE0ELNS1_11target_archE4294967295ELNS1_3gpuE0ELNS1_3repE0EEENS1_30default_config_static_selectorELNS0_4arch9wavefront6targetE0EEEvT1_, .Lfunc_end1707-_ZN7rocprim17ROCPRIM_400000_NS6detail17trampoline_kernelINS0_14default_configENS1_27scan_by_key_config_selectorIifEEZZNS1_16scan_by_key_implILNS1_25lookback_scan_determinismE0ELb1ES3_N6thrust23THRUST_200600_302600_NS6detail15normal_iteratorINS9_10device_ptrIiEEEENSB_INSC_IjEEEENSB_INSC_IfEEEEfNS9_4plusIvEENS9_8equal_toIvEEfEE10hipError_tPvRmT2_T3_T4_T5_mT6_T7_P12ihipStream_tbENKUlT_T0_E_clISt17integral_constantIbLb0EES12_IbLb1EEEEDaSY_SZ_EUlSY_E_NS1_11comp_targetILNS1_3genE0ELNS1_11target_archE4294967295ELNS1_3gpuE0ELNS1_3repE0EEENS1_30default_config_static_selectorELNS0_4arch9wavefront6targetE0EEEvT1_
                                        ; -- End function
	.set _ZN7rocprim17ROCPRIM_400000_NS6detail17trampoline_kernelINS0_14default_configENS1_27scan_by_key_config_selectorIifEEZZNS1_16scan_by_key_implILNS1_25lookback_scan_determinismE0ELb1ES3_N6thrust23THRUST_200600_302600_NS6detail15normal_iteratorINS9_10device_ptrIiEEEENSB_INSC_IjEEEENSB_INSC_IfEEEEfNS9_4plusIvEENS9_8equal_toIvEEfEE10hipError_tPvRmT2_T3_T4_T5_mT6_T7_P12ihipStream_tbENKUlT_T0_E_clISt17integral_constantIbLb0EES12_IbLb1EEEEDaSY_SZ_EUlSY_E_NS1_11comp_targetILNS1_3genE0ELNS1_11target_archE4294967295ELNS1_3gpuE0ELNS1_3repE0EEENS1_30default_config_static_selectorELNS0_4arch9wavefront6targetE0EEEvT1_.num_vgpr, 0
	.set _ZN7rocprim17ROCPRIM_400000_NS6detail17trampoline_kernelINS0_14default_configENS1_27scan_by_key_config_selectorIifEEZZNS1_16scan_by_key_implILNS1_25lookback_scan_determinismE0ELb1ES3_N6thrust23THRUST_200600_302600_NS6detail15normal_iteratorINS9_10device_ptrIiEEEENSB_INSC_IjEEEENSB_INSC_IfEEEEfNS9_4plusIvEENS9_8equal_toIvEEfEE10hipError_tPvRmT2_T3_T4_T5_mT6_T7_P12ihipStream_tbENKUlT_T0_E_clISt17integral_constantIbLb0EES12_IbLb1EEEEDaSY_SZ_EUlSY_E_NS1_11comp_targetILNS1_3genE0ELNS1_11target_archE4294967295ELNS1_3gpuE0ELNS1_3repE0EEENS1_30default_config_static_selectorELNS0_4arch9wavefront6targetE0EEEvT1_.num_agpr, 0
	.set _ZN7rocprim17ROCPRIM_400000_NS6detail17trampoline_kernelINS0_14default_configENS1_27scan_by_key_config_selectorIifEEZZNS1_16scan_by_key_implILNS1_25lookback_scan_determinismE0ELb1ES3_N6thrust23THRUST_200600_302600_NS6detail15normal_iteratorINS9_10device_ptrIiEEEENSB_INSC_IjEEEENSB_INSC_IfEEEEfNS9_4plusIvEENS9_8equal_toIvEEfEE10hipError_tPvRmT2_T3_T4_T5_mT6_T7_P12ihipStream_tbENKUlT_T0_E_clISt17integral_constantIbLb0EES12_IbLb1EEEEDaSY_SZ_EUlSY_E_NS1_11comp_targetILNS1_3genE0ELNS1_11target_archE4294967295ELNS1_3gpuE0ELNS1_3repE0EEENS1_30default_config_static_selectorELNS0_4arch9wavefront6targetE0EEEvT1_.numbered_sgpr, 0
	.set _ZN7rocprim17ROCPRIM_400000_NS6detail17trampoline_kernelINS0_14default_configENS1_27scan_by_key_config_selectorIifEEZZNS1_16scan_by_key_implILNS1_25lookback_scan_determinismE0ELb1ES3_N6thrust23THRUST_200600_302600_NS6detail15normal_iteratorINS9_10device_ptrIiEEEENSB_INSC_IjEEEENSB_INSC_IfEEEEfNS9_4plusIvEENS9_8equal_toIvEEfEE10hipError_tPvRmT2_T3_T4_T5_mT6_T7_P12ihipStream_tbENKUlT_T0_E_clISt17integral_constantIbLb0EES12_IbLb1EEEEDaSY_SZ_EUlSY_E_NS1_11comp_targetILNS1_3genE0ELNS1_11target_archE4294967295ELNS1_3gpuE0ELNS1_3repE0EEENS1_30default_config_static_selectorELNS0_4arch9wavefront6targetE0EEEvT1_.num_named_barrier, 0
	.set _ZN7rocprim17ROCPRIM_400000_NS6detail17trampoline_kernelINS0_14default_configENS1_27scan_by_key_config_selectorIifEEZZNS1_16scan_by_key_implILNS1_25lookback_scan_determinismE0ELb1ES3_N6thrust23THRUST_200600_302600_NS6detail15normal_iteratorINS9_10device_ptrIiEEEENSB_INSC_IjEEEENSB_INSC_IfEEEEfNS9_4plusIvEENS9_8equal_toIvEEfEE10hipError_tPvRmT2_T3_T4_T5_mT6_T7_P12ihipStream_tbENKUlT_T0_E_clISt17integral_constantIbLb0EES12_IbLb1EEEEDaSY_SZ_EUlSY_E_NS1_11comp_targetILNS1_3genE0ELNS1_11target_archE4294967295ELNS1_3gpuE0ELNS1_3repE0EEENS1_30default_config_static_selectorELNS0_4arch9wavefront6targetE0EEEvT1_.private_seg_size, 0
	.set _ZN7rocprim17ROCPRIM_400000_NS6detail17trampoline_kernelINS0_14default_configENS1_27scan_by_key_config_selectorIifEEZZNS1_16scan_by_key_implILNS1_25lookback_scan_determinismE0ELb1ES3_N6thrust23THRUST_200600_302600_NS6detail15normal_iteratorINS9_10device_ptrIiEEEENSB_INSC_IjEEEENSB_INSC_IfEEEEfNS9_4plusIvEENS9_8equal_toIvEEfEE10hipError_tPvRmT2_T3_T4_T5_mT6_T7_P12ihipStream_tbENKUlT_T0_E_clISt17integral_constantIbLb0EES12_IbLb1EEEEDaSY_SZ_EUlSY_E_NS1_11comp_targetILNS1_3genE0ELNS1_11target_archE4294967295ELNS1_3gpuE0ELNS1_3repE0EEENS1_30default_config_static_selectorELNS0_4arch9wavefront6targetE0EEEvT1_.uses_vcc, 0
	.set _ZN7rocprim17ROCPRIM_400000_NS6detail17trampoline_kernelINS0_14default_configENS1_27scan_by_key_config_selectorIifEEZZNS1_16scan_by_key_implILNS1_25lookback_scan_determinismE0ELb1ES3_N6thrust23THRUST_200600_302600_NS6detail15normal_iteratorINS9_10device_ptrIiEEEENSB_INSC_IjEEEENSB_INSC_IfEEEEfNS9_4plusIvEENS9_8equal_toIvEEfEE10hipError_tPvRmT2_T3_T4_T5_mT6_T7_P12ihipStream_tbENKUlT_T0_E_clISt17integral_constantIbLb0EES12_IbLb1EEEEDaSY_SZ_EUlSY_E_NS1_11comp_targetILNS1_3genE0ELNS1_11target_archE4294967295ELNS1_3gpuE0ELNS1_3repE0EEENS1_30default_config_static_selectorELNS0_4arch9wavefront6targetE0EEEvT1_.uses_flat_scratch, 0
	.set _ZN7rocprim17ROCPRIM_400000_NS6detail17trampoline_kernelINS0_14default_configENS1_27scan_by_key_config_selectorIifEEZZNS1_16scan_by_key_implILNS1_25lookback_scan_determinismE0ELb1ES3_N6thrust23THRUST_200600_302600_NS6detail15normal_iteratorINS9_10device_ptrIiEEEENSB_INSC_IjEEEENSB_INSC_IfEEEEfNS9_4plusIvEENS9_8equal_toIvEEfEE10hipError_tPvRmT2_T3_T4_T5_mT6_T7_P12ihipStream_tbENKUlT_T0_E_clISt17integral_constantIbLb0EES12_IbLb1EEEEDaSY_SZ_EUlSY_E_NS1_11comp_targetILNS1_3genE0ELNS1_11target_archE4294967295ELNS1_3gpuE0ELNS1_3repE0EEENS1_30default_config_static_selectorELNS0_4arch9wavefront6targetE0EEEvT1_.has_dyn_sized_stack, 0
	.set _ZN7rocprim17ROCPRIM_400000_NS6detail17trampoline_kernelINS0_14default_configENS1_27scan_by_key_config_selectorIifEEZZNS1_16scan_by_key_implILNS1_25lookback_scan_determinismE0ELb1ES3_N6thrust23THRUST_200600_302600_NS6detail15normal_iteratorINS9_10device_ptrIiEEEENSB_INSC_IjEEEENSB_INSC_IfEEEEfNS9_4plusIvEENS9_8equal_toIvEEfEE10hipError_tPvRmT2_T3_T4_T5_mT6_T7_P12ihipStream_tbENKUlT_T0_E_clISt17integral_constantIbLb0EES12_IbLb1EEEEDaSY_SZ_EUlSY_E_NS1_11comp_targetILNS1_3genE0ELNS1_11target_archE4294967295ELNS1_3gpuE0ELNS1_3repE0EEENS1_30default_config_static_selectorELNS0_4arch9wavefront6targetE0EEEvT1_.has_recursion, 0
	.set _ZN7rocprim17ROCPRIM_400000_NS6detail17trampoline_kernelINS0_14default_configENS1_27scan_by_key_config_selectorIifEEZZNS1_16scan_by_key_implILNS1_25lookback_scan_determinismE0ELb1ES3_N6thrust23THRUST_200600_302600_NS6detail15normal_iteratorINS9_10device_ptrIiEEEENSB_INSC_IjEEEENSB_INSC_IfEEEEfNS9_4plusIvEENS9_8equal_toIvEEfEE10hipError_tPvRmT2_T3_T4_T5_mT6_T7_P12ihipStream_tbENKUlT_T0_E_clISt17integral_constantIbLb0EES12_IbLb1EEEEDaSY_SZ_EUlSY_E_NS1_11comp_targetILNS1_3genE0ELNS1_11target_archE4294967295ELNS1_3gpuE0ELNS1_3repE0EEENS1_30default_config_static_selectorELNS0_4arch9wavefront6targetE0EEEvT1_.has_indirect_call, 0
	.section	.AMDGPU.csdata,"",@progbits
; Kernel info:
; codeLenInByte = 0
; TotalNumSgprs: 0
; NumVgprs: 0
; ScratchSize: 0
; MemoryBound: 0
; FloatMode: 240
; IeeeMode: 1
; LDSByteSize: 0 bytes/workgroup (compile time only)
; SGPRBlocks: 0
; VGPRBlocks: 0
; NumSGPRsForWavesPerEU: 1
; NumVGPRsForWavesPerEU: 1
; Occupancy: 16
; WaveLimiterHint : 0
; COMPUTE_PGM_RSRC2:SCRATCH_EN: 0
; COMPUTE_PGM_RSRC2:USER_SGPR: 6
; COMPUTE_PGM_RSRC2:TRAP_HANDLER: 0
; COMPUTE_PGM_RSRC2:TGID_X_EN: 1
; COMPUTE_PGM_RSRC2:TGID_Y_EN: 0
; COMPUTE_PGM_RSRC2:TGID_Z_EN: 0
; COMPUTE_PGM_RSRC2:TIDIG_COMP_CNT: 0
	.section	.text._ZN7rocprim17ROCPRIM_400000_NS6detail17trampoline_kernelINS0_14default_configENS1_27scan_by_key_config_selectorIifEEZZNS1_16scan_by_key_implILNS1_25lookback_scan_determinismE0ELb1ES3_N6thrust23THRUST_200600_302600_NS6detail15normal_iteratorINS9_10device_ptrIiEEEENSB_INSC_IjEEEENSB_INSC_IfEEEEfNS9_4plusIvEENS9_8equal_toIvEEfEE10hipError_tPvRmT2_T3_T4_T5_mT6_T7_P12ihipStream_tbENKUlT_T0_E_clISt17integral_constantIbLb0EES12_IbLb1EEEEDaSY_SZ_EUlSY_E_NS1_11comp_targetILNS1_3genE10ELNS1_11target_archE1201ELNS1_3gpuE5ELNS1_3repE0EEENS1_30default_config_static_selectorELNS0_4arch9wavefront6targetE0EEEvT1_,"axG",@progbits,_ZN7rocprim17ROCPRIM_400000_NS6detail17trampoline_kernelINS0_14default_configENS1_27scan_by_key_config_selectorIifEEZZNS1_16scan_by_key_implILNS1_25lookback_scan_determinismE0ELb1ES3_N6thrust23THRUST_200600_302600_NS6detail15normal_iteratorINS9_10device_ptrIiEEEENSB_INSC_IjEEEENSB_INSC_IfEEEEfNS9_4plusIvEENS9_8equal_toIvEEfEE10hipError_tPvRmT2_T3_T4_T5_mT6_T7_P12ihipStream_tbENKUlT_T0_E_clISt17integral_constantIbLb0EES12_IbLb1EEEEDaSY_SZ_EUlSY_E_NS1_11comp_targetILNS1_3genE10ELNS1_11target_archE1201ELNS1_3gpuE5ELNS1_3repE0EEENS1_30default_config_static_selectorELNS0_4arch9wavefront6targetE0EEEvT1_,comdat
	.protected	_ZN7rocprim17ROCPRIM_400000_NS6detail17trampoline_kernelINS0_14default_configENS1_27scan_by_key_config_selectorIifEEZZNS1_16scan_by_key_implILNS1_25lookback_scan_determinismE0ELb1ES3_N6thrust23THRUST_200600_302600_NS6detail15normal_iteratorINS9_10device_ptrIiEEEENSB_INSC_IjEEEENSB_INSC_IfEEEEfNS9_4plusIvEENS9_8equal_toIvEEfEE10hipError_tPvRmT2_T3_T4_T5_mT6_T7_P12ihipStream_tbENKUlT_T0_E_clISt17integral_constantIbLb0EES12_IbLb1EEEEDaSY_SZ_EUlSY_E_NS1_11comp_targetILNS1_3genE10ELNS1_11target_archE1201ELNS1_3gpuE5ELNS1_3repE0EEENS1_30default_config_static_selectorELNS0_4arch9wavefront6targetE0EEEvT1_ ; -- Begin function _ZN7rocprim17ROCPRIM_400000_NS6detail17trampoline_kernelINS0_14default_configENS1_27scan_by_key_config_selectorIifEEZZNS1_16scan_by_key_implILNS1_25lookback_scan_determinismE0ELb1ES3_N6thrust23THRUST_200600_302600_NS6detail15normal_iteratorINS9_10device_ptrIiEEEENSB_INSC_IjEEEENSB_INSC_IfEEEEfNS9_4plusIvEENS9_8equal_toIvEEfEE10hipError_tPvRmT2_T3_T4_T5_mT6_T7_P12ihipStream_tbENKUlT_T0_E_clISt17integral_constantIbLb0EES12_IbLb1EEEEDaSY_SZ_EUlSY_E_NS1_11comp_targetILNS1_3genE10ELNS1_11target_archE1201ELNS1_3gpuE5ELNS1_3repE0EEENS1_30default_config_static_selectorELNS0_4arch9wavefront6targetE0EEEvT1_
	.globl	_ZN7rocprim17ROCPRIM_400000_NS6detail17trampoline_kernelINS0_14default_configENS1_27scan_by_key_config_selectorIifEEZZNS1_16scan_by_key_implILNS1_25lookback_scan_determinismE0ELb1ES3_N6thrust23THRUST_200600_302600_NS6detail15normal_iteratorINS9_10device_ptrIiEEEENSB_INSC_IjEEEENSB_INSC_IfEEEEfNS9_4plusIvEENS9_8equal_toIvEEfEE10hipError_tPvRmT2_T3_T4_T5_mT6_T7_P12ihipStream_tbENKUlT_T0_E_clISt17integral_constantIbLb0EES12_IbLb1EEEEDaSY_SZ_EUlSY_E_NS1_11comp_targetILNS1_3genE10ELNS1_11target_archE1201ELNS1_3gpuE5ELNS1_3repE0EEENS1_30default_config_static_selectorELNS0_4arch9wavefront6targetE0EEEvT1_
	.p2align	8
	.type	_ZN7rocprim17ROCPRIM_400000_NS6detail17trampoline_kernelINS0_14default_configENS1_27scan_by_key_config_selectorIifEEZZNS1_16scan_by_key_implILNS1_25lookback_scan_determinismE0ELb1ES3_N6thrust23THRUST_200600_302600_NS6detail15normal_iteratorINS9_10device_ptrIiEEEENSB_INSC_IjEEEENSB_INSC_IfEEEEfNS9_4plusIvEENS9_8equal_toIvEEfEE10hipError_tPvRmT2_T3_T4_T5_mT6_T7_P12ihipStream_tbENKUlT_T0_E_clISt17integral_constantIbLb0EES12_IbLb1EEEEDaSY_SZ_EUlSY_E_NS1_11comp_targetILNS1_3genE10ELNS1_11target_archE1201ELNS1_3gpuE5ELNS1_3repE0EEENS1_30default_config_static_selectorELNS0_4arch9wavefront6targetE0EEEvT1_,@function
_ZN7rocprim17ROCPRIM_400000_NS6detail17trampoline_kernelINS0_14default_configENS1_27scan_by_key_config_selectorIifEEZZNS1_16scan_by_key_implILNS1_25lookback_scan_determinismE0ELb1ES3_N6thrust23THRUST_200600_302600_NS6detail15normal_iteratorINS9_10device_ptrIiEEEENSB_INSC_IjEEEENSB_INSC_IfEEEEfNS9_4plusIvEENS9_8equal_toIvEEfEE10hipError_tPvRmT2_T3_T4_T5_mT6_T7_P12ihipStream_tbENKUlT_T0_E_clISt17integral_constantIbLb0EES12_IbLb1EEEEDaSY_SZ_EUlSY_E_NS1_11comp_targetILNS1_3genE10ELNS1_11target_archE1201ELNS1_3gpuE5ELNS1_3repE0EEENS1_30default_config_static_selectorELNS0_4arch9wavefront6targetE0EEEvT1_: ; @_ZN7rocprim17ROCPRIM_400000_NS6detail17trampoline_kernelINS0_14default_configENS1_27scan_by_key_config_selectorIifEEZZNS1_16scan_by_key_implILNS1_25lookback_scan_determinismE0ELb1ES3_N6thrust23THRUST_200600_302600_NS6detail15normal_iteratorINS9_10device_ptrIiEEEENSB_INSC_IjEEEENSB_INSC_IfEEEEfNS9_4plusIvEENS9_8equal_toIvEEfEE10hipError_tPvRmT2_T3_T4_T5_mT6_T7_P12ihipStream_tbENKUlT_T0_E_clISt17integral_constantIbLb0EES12_IbLb1EEEEDaSY_SZ_EUlSY_E_NS1_11comp_targetILNS1_3genE10ELNS1_11target_archE1201ELNS1_3gpuE5ELNS1_3repE0EEENS1_30default_config_static_selectorELNS0_4arch9wavefront6targetE0EEEvT1_
; %bb.0:
	.section	.rodata,"a",@progbits
	.p2align	6, 0x0
	.amdhsa_kernel _ZN7rocprim17ROCPRIM_400000_NS6detail17trampoline_kernelINS0_14default_configENS1_27scan_by_key_config_selectorIifEEZZNS1_16scan_by_key_implILNS1_25lookback_scan_determinismE0ELb1ES3_N6thrust23THRUST_200600_302600_NS6detail15normal_iteratorINS9_10device_ptrIiEEEENSB_INSC_IjEEEENSB_INSC_IfEEEEfNS9_4plusIvEENS9_8equal_toIvEEfEE10hipError_tPvRmT2_T3_T4_T5_mT6_T7_P12ihipStream_tbENKUlT_T0_E_clISt17integral_constantIbLb0EES12_IbLb1EEEEDaSY_SZ_EUlSY_E_NS1_11comp_targetILNS1_3genE10ELNS1_11target_archE1201ELNS1_3gpuE5ELNS1_3repE0EEENS1_30default_config_static_selectorELNS0_4arch9wavefront6targetE0EEEvT1_
		.amdhsa_group_segment_fixed_size 0
		.amdhsa_private_segment_fixed_size 0
		.amdhsa_kernarg_size 112
		.amdhsa_user_sgpr_count 6
		.amdhsa_user_sgpr_private_segment_buffer 1
		.amdhsa_user_sgpr_dispatch_ptr 0
		.amdhsa_user_sgpr_queue_ptr 0
		.amdhsa_user_sgpr_kernarg_segment_ptr 1
		.amdhsa_user_sgpr_dispatch_id 0
		.amdhsa_user_sgpr_flat_scratch_init 0
		.amdhsa_user_sgpr_private_segment_size 0
		.amdhsa_wavefront_size32 1
		.amdhsa_uses_dynamic_stack 0
		.amdhsa_system_sgpr_private_segment_wavefront_offset 0
		.amdhsa_system_sgpr_workgroup_id_x 1
		.amdhsa_system_sgpr_workgroup_id_y 0
		.amdhsa_system_sgpr_workgroup_id_z 0
		.amdhsa_system_sgpr_workgroup_info 0
		.amdhsa_system_vgpr_workitem_id 0
		.amdhsa_next_free_vgpr 1
		.amdhsa_next_free_sgpr 1
		.amdhsa_reserve_vcc 0
		.amdhsa_reserve_flat_scratch 0
		.amdhsa_float_round_mode_32 0
		.amdhsa_float_round_mode_16_64 0
		.amdhsa_float_denorm_mode_32 3
		.amdhsa_float_denorm_mode_16_64 3
		.amdhsa_dx10_clamp 1
		.amdhsa_ieee_mode 1
		.amdhsa_fp16_overflow 0
		.amdhsa_workgroup_processor_mode 1
		.amdhsa_memory_ordered 1
		.amdhsa_forward_progress 1
		.amdhsa_shared_vgpr_count 0
		.amdhsa_exception_fp_ieee_invalid_op 0
		.amdhsa_exception_fp_denorm_src 0
		.amdhsa_exception_fp_ieee_div_zero 0
		.amdhsa_exception_fp_ieee_overflow 0
		.amdhsa_exception_fp_ieee_underflow 0
		.amdhsa_exception_fp_ieee_inexact 0
		.amdhsa_exception_int_div_zero 0
	.end_amdhsa_kernel
	.section	.text._ZN7rocprim17ROCPRIM_400000_NS6detail17trampoline_kernelINS0_14default_configENS1_27scan_by_key_config_selectorIifEEZZNS1_16scan_by_key_implILNS1_25lookback_scan_determinismE0ELb1ES3_N6thrust23THRUST_200600_302600_NS6detail15normal_iteratorINS9_10device_ptrIiEEEENSB_INSC_IjEEEENSB_INSC_IfEEEEfNS9_4plusIvEENS9_8equal_toIvEEfEE10hipError_tPvRmT2_T3_T4_T5_mT6_T7_P12ihipStream_tbENKUlT_T0_E_clISt17integral_constantIbLb0EES12_IbLb1EEEEDaSY_SZ_EUlSY_E_NS1_11comp_targetILNS1_3genE10ELNS1_11target_archE1201ELNS1_3gpuE5ELNS1_3repE0EEENS1_30default_config_static_selectorELNS0_4arch9wavefront6targetE0EEEvT1_,"axG",@progbits,_ZN7rocprim17ROCPRIM_400000_NS6detail17trampoline_kernelINS0_14default_configENS1_27scan_by_key_config_selectorIifEEZZNS1_16scan_by_key_implILNS1_25lookback_scan_determinismE0ELb1ES3_N6thrust23THRUST_200600_302600_NS6detail15normal_iteratorINS9_10device_ptrIiEEEENSB_INSC_IjEEEENSB_INSC_IfEEEEfNS9_4plusIvEENS9_8equal_toIvEEfEE10hipError_tPvRmT2_T3_T4_T5_mT6_T7_P12ihipStream_tbENKUlT_T0_E_clISt17integral_constantIbLb0EES12_IbLb1EEEEDaSY_SZ_EUlSY_E_NS1_11comp_targetILNS1_3genE10ELNS1_11target_archE1201ELNS1_3gpuE5ELNS1_3repE0EEENS1_30default_config_static_selectorELNS0_4arch9wavefront6targetE0EEEvT1_,comdat
.Lfunc_end1708:
	.size	_ZN7rocprim17ROCPRIM_400000_NS6detail17trampoline_kernelINS0_14default_configENS1_27scan_by_key_config_selectorIifEEZZNS1_16scan_by_key_implILNS1_25lookback_scan_determinismE0ELb1ES3_N6thrust23THRUST_200600_302600_NS6detail15normal_iteratorINS9_10device_ptrIiEEEENSB_INSC_IjEEEENSB_INSC_IfEEEEfNS9_4plusIvEENS9_8equal_toIvEEfEE10hipError_tPvRmT2_T3_T4_T5_mT6_T7_P12ihipStream_tbENKUlT_T0_E_clISt17integral_constantIbLb0EES12_IbLb1EEEEDaSY_SZ_EUlSY_E_NS1_11comp_targetILNS1_3genE10ELNS1_11target_archE1201ELNS1_3gpuE5ELNS1_3repE0EEENS1_30default_config_static_selectorELNS0_4arch9wavefront6targetE0EEEvT1_, .Lfunc_end1708-_ZN7rocprim17ROCPRIM_400000_NS6detail17trampoline_kernelINS0_14default_configENS1_27scan_by_key_config_selectorIifEEZZNS1_16scan_by_key_implILNS1_25lookback_scan_determinismE0ELb1ES3_N6thrust23THRUST_200600_302600_NS6detail15normal_iteratorINS9_10device_ptrIiEEEENSB_INSC_IjEEEENSB_INSC_IfEEEEfNS9_4plusIvEENS9_8equal_toIvEEfEE10hipError_tPvRmT2_T3_T4_T5_mT6_T7_P12ihipStream_tbENKUlT_T0_E_clISt17integral_constantIbLb0EES12_IbLb1EEEEDaSY_SZ_EUlSY_E_NS1_11comp_targetILNS1_3genE10ELNS1_11target_archE1201ELNS1_3gpuE5ELNS1_3repE0EEENS1_30default_config_static_selectorELNS0_4arch9wavefront6targetE0EEEvT1_
                                        ; -- End function
	.set _ZN7rocprim17ROCPRIM_400000_NS6detail17trampoline_kernelINS0_14default_configENS1_27scan_by_key_config_selectorIifEEZZNS1_16scan_by_key_implILNS1_25lookback_scan_determinismE0ELb1ES3_N6thrust23THRUST_200600_302600_NS6detail15normal_iteratorINS9_10device_ptrIiEEEENSB_INSC_IjEEEENSB_INSC_IfEEEEfNS9_4plusIvEENS9_8equal_toIvEEfEE10hipError_tPvRmT2_T3_T4_T5_mT6_T7_P12ihipStream_tbENKUlT_T0_E_clISt17integral_constantIbLb0EES12_IbLb1EEEEDaSY_SZ_EUlSY_E_NS1_11comp_targetILNS1_3genE10ELNS1_11target_archE1201ELNS1_3gpuE5ELNS1_3repE0EEENS1_30default_config_static_selectorELNS0_4arch9wavefront6targetE0EEEvT1_.num_vgpr, 0
	.set _ZN7rocprim17ROCPRIM_400000_NS6detail17trampoline_kernelINS0_14default_configENS1_27scan_by_key_config_selectorIifEEZZNS1_16scan_by_key_implILNS1_25lookback_scan_determinismE0ELb1ES3_N6thrust23THRUST_200600_302600_NS6detail15normal_iteratorINS9_10device_ptrIiEEEENSB_INSC_IjEEEENSB_INSC_IfEEEEfNS9_4plusIvEENS9_8equal_toIvEEfEE10hipError_tPvRmT2_T3_T4_T5_mT6_T7_P12ihipStream_tbENKUlT_T0_E_clISt17integral_constantIbLb0EES12_IbLb1EEEEDaSY_SZ_EUlSY_E_NS1_11comp_targetILNS1_3genE10ELNS1_11target_archE1201ELNS1_3gpuE5ELNS1_3repE0EEENS1_30default_config_static_selectorELNS0_4arch9wavefront6targetE0EEEvT1_.num_agpr, 0
	.set _ZN7rocprim17ROCPRIM_400000_NS6detail17trampoline_kernelINS0_14default_configENS1_27scan_by_key_config_selectorIifEEZZNS1_16scan_by_key_implILNS1_25lookback_scan_determinismE0ELb1ES3_N6thrust23THRUST_200600_302600_NS6detail15normal_iteratorINS9_10device_ptrIiEEEENSB_INSC_IjEEEENSB_INSC_IfEEEEfNS9_4plusIvEENS9_8equal_toIvEEfEE10hipError_tPvRmT2_T3_T4_T5_mT6_T7_P12ihipStream_tbENKUlT_T0_E_clISt17integral_constantIbLb0EES12_IbLb1EEEEDaSY_SZ_EUlSY_E_NS1_11comp_targetILNS1_3genE10ELNS1_11target_archE1201ELNS1_3gpuE5ELNS1_3repE0EEENS1_30default_config_static_selectorELNS0_4arch9wavefront6targetE0EEEvT1_.numbered_sgpr, 0
	.set _ZN7rocprim17ROCPRIM_400000_NS6detail17trampoline_kernelINS0_14default_configENS1_27scan_by_key_config_selectorIifEEZZNS1_16scan_by_key_implILNS1_25lookback_scan_determinismE0ELb1ES3_N6thrust23THRUST_200600_302600_NS6detail15normal_iteratorINS9_10device_ptrIiEEEENSB_INSC_IjEEEENSB_INSC_IfEEEEfNS9_4plusIvEENS9_8equal_toIvEEfEE10hipError_tPvRmT2_T3_T4_T5_mT6_T7_P12ihipStream_tbENKUlT_T0_E_clISt17integral_constantIbLb0EES12_IbLb1EEEEDaSY_SZ_EUlSY_E_NS1_11comp_targetILNS1_3genE10ELNS1_11target_archE1201ELNS1_3gpuE5ELNS1_3repE0EEENS1_30default_config_static_selectorELNS0_4arch9wavefront6targetE0EEEvT1_.num_named_barrier, 0
	.set _ZN7rocprim17ROCPRIM_400000_NS6detail17trampoline_kernelINS0_14default_configENS1_27scan_by_key_config_selectorIifEEZZNS1_16scan_by_key_implILNS1_25lookback_scan_determinismE0ELb1ES3_N6thrust23THRUST_200600_302600_NS6detail15normal_iteratorINS9_10device_ptrIiEEEENSB_INSC_IjEEEENSB_INSC_IfEEEEfNS9_4plusIvEENS9_8equal_toIvEEfEE10hipError_tPvRmT2_T3_T4_T5_mT6_T7_P12ihipStream_tbENKUlT_T0_E_clISt17integral_constantIbLb0EES12_IbLb1EEEEDaSY_SZ_EUlSY_E_NS1_11comp_targetILNS1_3genE10ELNS1_11target_archE1201ELNS1_3gpuE5ELNS1_3repE0EEENS1_30default_config_static_selectorELNS0_4arch9wavefront6targetE0EEEvT1_.private_seg_size, 0
	.set _ZN7rocprim17ROCPRIM_400000_NS6detail17trampoline_kernelINS0_14default_configENS1_27scan_by_key_config_selectorIifEEZZNS1_16scan_by_key_implILNS1_25lookback_scan_determinismE0ELb1ES3_N6thrust23THRUST_200600_302600_NS6detail15normal_iteratorINS9_10device_ptrIiEEEENSB_INSC_IjEEEENSB_INSC_IfEEEEfNS9_4plusIvEENS9_8equal_toIvEEfEE10hipError_tPvRmT2_T3_T4_T5_mT6_T7_P12ihipStream_tbENKUlT_T0_E_clISt17integral_constantIbLb0EES12_IbLb1EEEEDaSY_SZ_EUlSY_E_NS1_11comp_targetILNS1_3genE10ELNS1_11target_archE1201ELNS1_3gpuE5ELNS1_3repE0EEENS1_30default_config_static_selectorELNS0_4arch9wavefront6targetE0EEEvT1_.uses_vcc, 0
	.set _ZN7rocprim17ROCPRIM_400000_NS6detail17trampoline_kernelINS0_14default_configENS1_27scan_by_key_config_selectorIifEEZZNS1_16scan_by_key_implILNS1_25lookback_scan_determinismE0ELb1ES3_N6thrust23THRUST_200600_302600_NS6detail15normal_iteratorINS9_10device_ptrIiEEEENSB_INSC_IjEEEENSB_INSC_IfEEEEfNS9_4plusIvEENS9_8equal_toIvEEfEE10hipError_tPvRmT2_T3_T4_T5_mT6_T7_P12ihipStream_tbENKUlT_T0_E_clISt17integral_constantIbLb0EES12_IbLb1EEEEDaSY_SZ_EUlSY_E_NS1_11comp_targetILNS1_3genE10ELNS1_11target_archE1201ELNS1_3gpuE5ELNS1_3repE0EEENS1_30default_config_static_selectorELNS0_4arch9wavefront6targetE0EEEvT1_.uses_flat_scratch, 0
	.set _ZN7rocprim17ROCPRIM_400000_NS6detail17trampoline_kernelINS0_14default_configENS1_27scan_by_key_config_selectorIifEEZZNS1_16scan_by_key_implILNS1_25lookback_scan_determinismE0ELb1ES3_N6thrust23THRUST_200600_302600_NS6detail15normal_iteratorINS9_10device_ptrIiEEEENSB_INSC_IjEEEENSB_INSC_IfEEEEfNS9_4plusIvEENS9_8equal_toIvEEfEE10hipError_tPvRmT2_T3_T4_T5_mT6_T7_P12ihipStream_tbENKUlT_T0_E_clISt17integral_constantIbLb0EES12_IbLb1EEEEDaSY_SZ_EUlSY_E_NS1_11comp_targetILNS1_3genE10ELNS1_11target_archE1201ELNS1_3gpuE5ELNS1_3repE0EEENS1_30default_config_static_selectorELNS0_4arch9wavefront6targetE0EEEvT1_.has_dyn_sized_stack, 0
	.set _ZN7rocprim17ROCPRIM_400000_NS6detail17trampoline_kernelINS0_14default_configENS1_27scan_by_key_config_selectorIifEEZZNS1_16scan_by_key_implILNS1_25lookback_scan_determinismE0ELb1ES3_N6thrust23THRUST_200600_302600_NS6detail15normal_iteratorINS9_10device_ptrIiEEEENSB_INSC_IjEEEENSB_INSC_IfEEEEfNS9_4plusIvEENS9_8equal_toIvEEfEE10hipError_tPvRmT2_T3_T4_T5_mT6_T7_P12ihipStream_tbENKUlT_T0_E_clISt17integral_constantIbLb0EES12_IbLb1EEEEDaSY_SZ_EUlSY_E_NS1_11comp_targetILNS1_3genE10ELNS1_11target_archE1201ELNS1_3gpuE5ELNS1_3repE0EEENS1_30default_config_static_selectorELNS0_4arch9wavefront6targetE0EEEvT1_.has_recursion, 0
	.set _ZN7rocprim17ROCPRIM_400000_NS6detail17trampoline_kernelINS0_14default_configENS1_27scan_by_key_config_selectorIifEEZZNS1_16scan_by_key_implILNS1_25lookback_scan_determinismE0ELb1ES3_N6thrust23THRUST_200600_302600_NS6detail15normal_iteratorINS9_10device_ptrIiEEEENSB_INSC_IjEEEENSB_INSC_IfEEEEfNS9_4plusIvEENS9_8equal_toIvEEfEE10hipError_tPvRmT2_T3_T4_T5_mT6_T7_P12ihipStream_tbENKUlT_T0_E_clISt17integral_constantIbLb0EES12_IbLb1EEEEDaSY_SZ_EUlSY_E_NS1_11comp_targetILNS1_3genE10ELNS1_11target_archE1201ELNS1_3gpuE5ELNS1_3repE0EEENS1_30default_config_static_selectorELNS0_4arch9wavefront6targetE0EEEvT1_.has_indirect_call, 0
	.section	.AMDGPU.csdata,"",@progbits
; Kernel info:
; codeLenInByte = 0
; TotalNumSgprs: 0
; NumVgprs: 0
; ScratchSize: 0
; MemoryBound: 0
; FloatMode: 240
; IeeeMode: 1
; LDSByteSize: 0 bytes/workgroup (compile time only)
; SGPRBlocks: 0
; VGPRBlocks: 0
; NumSGPRsForWavesPerEU: 1
; NumVGPRsForWavesPerEU: 1
; Occupancy: 16
; WaveLimiterHint : 0
; COMPUTE_PGM_RSRC2:SCRATCH_EN: 0
; COMPUTE_PGM_RSRC2:USER_SGPR: 6
; COMPUTE_PGM_RSRC2:TRAP_HANDLER: 0
; COMPUTE_PGM_RSRC2:TGID_X_EN: 1
; COMPUTE_PGM_RSRC2:TGID_Y_EN: 0
; COMPUTE_PGM_RSRC2:TGID_Z_EN: 0
; COMPUTE_PGM_RSRC2:TIDIG_COMP_CNT: 0
	.section	.text._ZN7rocprim17ROCPRIM_400000_NS6detail17trampoline_kernelINS0_14default_configENS1_27scan_by_key_config_selectorIifEEZZNS1_16scan_by_key_implILNS1_25lookback_scan_determinismE0ELb1ES3_N6thrust23THRUST_200600_302600_NS6detail15normal_iteratorINS9_10device_ptrIiEEEENSB_INSC_IjEEEENSB_INSC_IfEEEEfNS9_4plusIvEENS9_8equal_toIvEEfEE10hipError_tPvRmT2_T3_T4_T5_mT6_T7_P12ihipStream_tbENKUlT_T0_E_clISt17integral_constantIbLb0EES12_IbLb1EEEEDaSY_SZ_EUlSY_E_NS1_11comp_targetILNS1_3genE5ELNS1_11target_archE942ELNS1_3gpuE9ELNS1_3repE0EEENS1_30default_config_static_selectorELNS0_4arch9wavefront6targetE0EEEvT1_,"axG",@progbits,_ZN7rocprim17ROCPRIM_400000_NS6detail17trampoline_kernelINS0_14default_configENS1_27scan_by_key_config_selectorIifEEZZNS1_16scan_by_key_implILNS1_25lookback_scan_determinismE0ELb1ES3_N6thrust23THRUST_200600_302600_NS6detail15normal_iteratorINS9_10device_ptrIiEEEENSB_INSC_IjEEEENSB_INSC_IfEEEEfNS9_4plusIvEENS9_8equal_toIvEEfEE10hipError_tPvRmT2_T3_T4_T5_mT6_T7_P12ihipStream_tbENKUlT_T0_E_clISt17integral_constantIbLb0EES12_IbLb1EEEEDaSY_SZ_EUlSY_E_NS1_11comp_targetILNS1_3genE5ELNS1_11target_archE942ELNS1_3gpuE9ELNS1_3repE0EEENS1_30default_config_static_selectorELNS0_4arch9wavefront6targetE0EEEvT1_,comdat
	.protected	_ZN7rocprim17ROCPRIM_400000_NS6detail17trampoline_kernelINS0_14default_configENS1_27scan_by_key_config_selectorIifEEZZNS1_16scan_by_key_implILNS1_25lookback_scan_determinismE0ELb1ES3_N6thrust23THRUST_200600_302600_NS6detail15normal_iteratorINS9_10device_ptrIiEEEENSB_INSC_IjEEEENSB_INSC_IfEEEEfNS9_4plusIvEENS9_8equal_toIvEEfEE10hipError_tPvRmT2_T3_T4_T5_mT6_T7_P12ihipStream_tbENKUlT_T0_E_clISt17integral_constantIbLb0EES12_IbLb1EEEEDaSY_SZ_EUlSY_E_NS1_11comp_targetILNS1_3genE5ELNS1_11target_archE942ELNS1_3gpuE9ELNS1_3repE0EEENS1_30default_config_static_selectorELNS0_4arch9wavefront6targetE0EEEvT1_ ; -- Begin function _ZN7rocprim17ROCPRIM_400000_NS6detail17trampoline_kernelINS0_14default_configENS1_27scan_by_key_config_selectorIifEEZZNS1_16scan_by_key_implILNS1_25lookback_scan_determinismE0ELb1ES3_N6thrust23THRUST_200600_302600_NS6detail15normal_iteratorINS9_10device_ptrIiEEEENSB_INSC_IjEEEENSB_INSC_IfEEEEfNS9_4plusIvEENS9_8equal_toIvEEfEE10hipError_tPvRmT2_T3_T4_T5_mT6_T7_P12ihipStream_tbENKUlT_T0_E_clISt17integral_constantIbLb0EES12_IbLb1EEEEDaSY_SZ_EUlSY_E_NS1_11comp_targetILNS1_3genE5ELNS1_11target_archE942ELNS1_3gpuE9ELNS1_3repE0EEENS1_30default_config_static_selectorELNS0_4arch9wavefront6targetE0EEEvT1_
	.globl	_ZN7rocprim17ROCPRIM_400000_NS6detail17trampoline_kernelINS0_14default_configENS1_27scan_by_key_config_selectorIifEEZZNS1_16scan_by_key_implILNS1_25lookback_scan_determinismE0ELb1ES3_N6thrust23THRUST_200600_302600_NS6detail15normal_iteratorINS9_10device_ptrIiEEEENSB_INSC_IjEEEENSB_INSC_IfEEEEfNS9_4plusIvEENS9_8equal_toIvEEfEE10hipError_tPvRmT2_T3_T4_T5_mT6_T7_P12ihipStream_tbENKUlT_T0_E_clISt17integral_constantIbLb0EES12_IbLb1EEEEDaSY_SZ_EUlSY_E_NS1_11comp_targetILNS1_3genE5ELNS1_11target_archE942ELNS1_3gpuE9ELNS1_3repE0EEENS1_30default_config_static_selectorELNS0_4arch9wavefront6targetE0EEEvT1_
	.p2align	8
	.type	_ZN7rocprim17ROCPRIM_400000_NS6detail17trampoline_kernelINS0_14default_configENS1_27scan_by_key_config_selectorIifEEZZNS1_16scan_by_key_implILNS1_25lookback_scan_determinismE0ELb1ES3_N6thrust23THRUST_200600_302600_NS6detail15normal_iteratorINS9_10device_ptrIiEEEENSB_INSC_IjEEEENSB_INSC_IfEEEEfNS9_4plusIvEENS9_8equal_toIvEEfEE10hipError_tPvRmT2_T3_T4_T5_mT6_T7_P12ihipStream_tbENKUlT_T0_E_clISt17integral_constantIbLb0EES12_IbLb1EEEEDaSY_SZ_EUlSY_E_NS1_11comp_targetILNS1_3genE5ELNS1_11target_archE942ELNS1_3gpuE9ELNS1_3repE0EEENS1_30default_config_static_selectorELNS0_4arch9wavefront6targetE0EEEvT1_,@function
_ZN7rocprim17ROCPRIM_400000_NS6detail17trampoline_kernelINS0_14default_configENS1_27scan_by_key_config_selectorIifEEZZNS1_16scan_by_key_implILNS1_25lookback_scan_determinismE0ELb1ES3_N6thrust23THRUST_200600_302600_NS6detail15normal_iteratorINS9_10device_ptrIiEEEENSB_INSC_IjEEEENSB_INSC_IfEEEEfNS9_4plusIvEENS9_8equal_toIvEEfEE10hipError_tPvRmT2_T3_T4_T5_mT6_T7_P12ihipStream_tbENKUlT_T0_E_clISt17integral_constantIbLb0EES12_IbLb1EEEEDaSY_SZ_EUlSY_E_NS1_11comp_targetILNS1_3genE5ELNS1_11target_archE942ELNS1_3gpuE9ELNS1_3repE0EEENS1_30default_config_static_selectorELNS0_4arch9wavefront6targetE0EEEvT1_: ; @_ZN7rocprim17ROCPRIM_400000_NS6detail17trampoline_kernelINS0_14default_configENS1_27scan_by_key_config_selectorIifEEZZNS1_16scan_by_key_implILNS1_25lookback_scan_determinismE0ELb1ES3_N6thrust23THRUST_200600_302600_NS6detail15normal_iteratorINS9_10device_ptrIiEEEENSB_INSC_IjEEEENSB_INSC_IfEEEEfNS9_4plusIvEENS9_8equal_toIvEEfEE10hipError_tPvRmT2_T3_T4_T5_mT6_T7_P12ihipStream_tbENKUlT_T0_E_clISt17integral_constantIbLb0EES12_IbLb1EEEEDaSY_SZ_EUlSY_E_NS1_11comp_targetILNS1_3genE5ELNS1_11target_archE942ELNS1_3gpuE9ELNS1_3repE0EEENS1_30default_config_static_selectorELNS0_4arch9wavefront6targetE0EEEvT1_
; %bb.0:
	.section	.rodata,"a",@progbits
	.p2align	6, 0x0
	.amdhsa_kernel _ZN7rocprim17ROCPRIM_400000_NS6detail17trampoline_kernelINS0_14default_configENS1_27scan_by_key_config_selectorIifEEZZNS1_16scan_by_key_implILNS1_25lookback_scan_determinismE0ELb1ES3_N6thrust23THRUST_200600_302600_NS6detail15normal_iteratorINS9_10device_ptrIiEEEENSB_INSC_IjEEEENSB_INSC_IfEEEEfNS9_4plusIvEENS9_8equal_toIvEEfEE10hipError_tPvRmT2_T3_T4_T5_mT6_T7_P12ihipStream_tbENKUlT_T0_E_clISt17integral_constantIbLb0EES12_IbLb1EEEEDaSY_SZ_EUlSY_E_NS1_11comp_targetILNS1_3genE5ELNS1_11target_archE942ELNS1_3gpuE9ELNS1_3repE0EEENS1_30default_config_static_selectorELNS0_4arch9wavefront6targetE0EEEvT1_
		.amdhsa_group_segment_fixed_size 0
		.amdhsa_private_segment_fixed_size 0
		.amdhsa_kernarg_size 112
		.amdhsa_user_sgpr_count 6
		.amdhsa_user_sgpr_private_segment_buffer 1
		.amdhsa_user_sgpr_dispatch_ptr 0
		.amdhsa_user_sgpr_queue_ptr 0
		.amdhsa_user_sgpr_kernarg_segment_ptr 1
		.amdhsa_user_sgpr_dispatch_id 0
		.amdhsa_user_sgpr_flat_scratch_init 0
		.amdhsa_user_sgpr_private_segment_size 0
		.amdhsa_wavefront_size32 1
		.amdhsa_uses_dynamic_stack 0
		.amdhsa_system_sgpr_private_segment_wavefront_offset 0
		.amdhsa_system_sgpr_workgroup_id_x 1
		.amdhsa_system_sgpr_workgroup_id_y 0
		.amdhsa_system_sgpr_workgroup_id_z 0
		.amdhsa_system_sgpr_workgroup_info 0
		.amdhsa_system_vgpr_workitem_id 0
		.amdhsa_next_free_vgpr 1
		.amdhsa_next_free_sgpr 1
		.amdhsa_reserve_vcc 0
		.amdhsa_reserve_flat_scratch 0
		.amdhsa_float_round_mode_32 0
		.amdhsa_float_round_mode_16_64 0
		.amdhsa_float_denorm_mode_32 3
		.amdhsa_float_denorm_mode_16_64 3
		.amdhsa_dx10_clamp 1
		.amdhsa_ieee_mode 1
		.amdhsa_fp16_overflow 0
		.amdhsa_workgroup_processor_mode 1
		.amdhsa_memory_ordered 1
		.amdhsa_forward_progress 1
		.amdhsa_shared_vgpr_count 0
		.amdhsa_exception_fp_ieee_invalid_op 0
		.amdhsa_exception_fp_denorm_src 0
		.amdhsa_exception_fp_ieee_div_zero 0
		.amdhsa_exception_fp_ieee_overflow 0
		.amdhsa_exception_fp_ieee_underflow 0
		.amdhsa_exception_fp_ieee_inexact 0
		.amdhsa_exception_int_div_zero 0
	.end_amdhsa_kernel
	.section	.text._ZN7rocprim17ROCPRIM_400000_NS6detail17trampoline_kernelINS0_14default_configENS1_27scan_by_key_config_selectorIifEEZZNS1_16scan_by_key_implILNS1_25lookback_scan_determinismE0ELb1ES3_N6thrust23THRUST_200600_302600_NS6detail15normal_iteratorINS9_10device_ptrIiEEEENSB_INSC_IjEEEENSB_INSC_IfEEEEfNS9_4plusIvEENS9_8equal_toIvEEfEE10hipError_tPvRmT2_T3_T4_T5_mT6_T7_P12ihipStream_tbENKUlT_T0_E_clISt17integral_constantIbLb0EES12_IbLb1EEEEDaSY_SZ_EUlSY_E_NS1_11comp_targetILNS1_3genE5ELNS1_11target_archE942ELNS1_3gpuE9ELNS1_3repE0EEENS1_30default_config_static_selectorELNS0_4arch9wavefront6targetE0EEEvT1_,"axG",@progbits,_ZN7rocprim17ROCPRIM_400000_NS6detail17trampoline_kernelINS0_14default_configENS1_27scan_by_key_config_selectorIifEEZZNS1_16scan_by_key_implILNS1_25lookback_scan_determinismE0ELb1ES3_N6thrust23THRUST_200600_302600_NS6detail15normal_iteratorINS9_10device_ptrIiEEEENSB_INSC_IjEEEENSB_INSC_IfEEEEfNS9_4plusIvEENS9_8equal_toIvEEfEE10hipError_tPvRmT2_T3_T4_T5_mT6_T7_P12ihipStream_tbENKUlT_T0_E_clISt17integral_constantIbLb0EES12_IbLb1EEEEDaSY_SZ_EUlSY_E_NS1_11comp_targetILNS1_3genE5ELNS1_11target_archE942ELNS1_3gpuE9ELNS1_3repE0EEENS1_30default_config_static_selectorELNS0_4arch9wavefront6targetE0EEEvT1_,comdat
.Lfunc_end1709:
	.size	_ZN7rocprim17ROCPRIM_400000_NS6detail17trampoline_kernelINS0_14default_configENS1_27scan_by_key_config_selectorIifEEZZNS1_16scan_by_key_implILNS1_25lookback_scan_determinismE0ELb1ES3_N6thrust23THRUST_200600_302600_NS6detail15normal_iteratorINS9_10device_ptrIiEEEENSB_INSC_IjEEEENSB_INSC_IfEEEEfNS9_4plusIvEENS9_8equal_toIvEEfEE10hipError_tPvRmT2_T3_T4_T5_mT6_T7_P12ihipStream_tbENKUlT_T0_E_clISt17integral_constantIbLb0EES12_IbLb1EEEEDaSY_SZ_EUlSY_E_NS1_11comp_targetILNS1_3genE5ELNS1_11target_archE942ELNS1_3gpuE9ELNS1_3repE0EEENS1_30default_config_static_selectorELNS0_4arch9wavefront6targetE0EEEvT1_, .Lfunc_end1709-_ZN7rocprim17ROCPRIM_400000_NS6detail17trampoline_kernelINS0_14default_configENS1_27scan_by_key_config_selectorIifEEZZNS1_16scan_by_key_implILNS1_25lookback_scan_determinismE0ELb1ES3_N6thrust23THRUST_200600_302600_NS6detail15normal_iteratorINS9_10device_ptrIiEEEENSB_INSC_IjEEEENSB_INSC_IfEEEEfNS9_4plusIvEENS9_8equal_toIvEEfEE10hipError_tPvRmT2_T3_T4_T5_mT6_T7_P12ihipStream_tbENKUlT_T0_E_clISt17integral_constantIbLb0EES12_IbLb1EEEEDaSY_SZ_EUlSY_E_NS1_11comp_targetILNS1_3genE5ELNS1_11target_archE942ELNS1_3gpuE9ELNS1_3repE0EEENS1_30default_config_static_selectorELNS0_4arch9wavefront6targetE0EEEvT1_
                                        ; -- End function
	.set _ZN7rocprim17ROCPRIM_400000_NS6detail17trampoline_kernelINS0_14default_configENS1_27scan_by_key_config_selectorIifEEZZNS1_16scan_by_key_implILNS1_25lookback_scan_determinismE0ELb1ES3_N6thrust23THRUST_200600_302600_NS6detail15normal_iteratorINS9_10device_ptrIiEEEENSB_INSC_IjEEEENSB_INSC_IfEEEEfNS9_4plusIvEENS9_8equal_toIvEEfEE10hipError_tPvRmT2_T3_T4_T5_mT6_T7_P12ihipStream_tbENKUlT_T0_E_clISt17integral_constantIbLb0EES12_IbLb1EEEEDaSY_SZ_EUlSY_E_NS1_11comp_targetILNS1_3genE5ELNS1_11target_archE942ELNS1_3gpuE9ELNS1_3repE0EEENS1_30default_config_static_selectorELNS0_4arch9wavefront6targetE0EEEvT1_.num_vgpr, 0
	.set _ZN7rocprim17ROCPRIM_400000_NS6detail17trampoline_kernelINS0_14default_configENS1_27scan_by_key_config_selectorIifEEZZNS1_16scan_by_key_implILNS1_25lookback_scan_determinismE0ELb1ES3_N6thrust23THRUST_200600_302600_NS6detail15normal_iteratorINS9_10device_ptrIiEEEENSB_INSC_IjEEEENSB_INSC_IfEEEEfNS9_4plusIvEENS9_8equal_toIvEEfEE10hipError_tPvRmT2_T3_T4_T5_mT6_T7_P12ihipStream_tbENKUlT_T0_E_clISt17integral_constantIbLb0EES12_IbLb1EEEEDaSY_SZ_EUlSY_E_NS1_11comp_targetILNS1_3genE5ELNS1_11target_archE942ELNS1_3gpuE9ELNS1_3repE0EEENS1_30default_config_static_selectorELNS0_4arch9wavefront6targetE0EEEvT1_.num_agpr, 0
	.set _ZN7rocprim17ROCPRIM_400000_NS6detail17trampoline_kernelINS0_14default_configENS1_27scan_by_key_config_selectorIifEEZZNS1_16scan_by_key_implILNS1_25lookback_scan_determinismE0ELb1ES3_N6thrust23THRUST_200600_302600_NS6detail15normal_iteratorINS9_10device_ptrIiEEEENSB_INSC_IjEEEENSB_INSC_IfEEEEfNS9_4plusIvEENS9_8equal_toIvEEfEE10hipError_tPvRmT2_T3_T4_T5_mT6_T7_P12ihipStream_tbENKUlT_T0_E_clISt17integral_constantIbLb0EES12_IbLb1EEEEDaSY_SZ_EUlSY_E_NS1_11comp_targetILNS1_3genE5ELNS1_11target_archE942ELNS1_3gpuE9ELNS1_3repE0EEENS1_30default_config_static_selectorELNS0_4arch9wavefront6targetE0EEEvT1_.numbered_sgpr, 0
	.set _ZN7rocprim17ROCPRIM_400000_NS6detail17trampoline_kernelINS0_14default_configENS1_27scan_by_key_config_selectorIifEEZZNS1_16scan_by_key_implILNS1_25lookback_scan_determinismE0ELb1ES3_N6thrust23THRUST_200600_302600_NS6detail15normal_iteratorINS9_10device_ptrIiEEEENSB_INSC_IjEEEENSB_INSC_IfEEEEfNS9_4plusIvEENS9_8equal_toIvEEfEE10hipError_tPvRmT2_T3_T4_T5_mT6_T7_P12ihipStream_tbENKUlT_T0_E_clISt17integral_constantIbLb0EES12_IbLb1EEEEDaSY_SZ_EUlSY_E_NS1_11comp_targetILNS1_3genE5ELNS1_11target_archE942ELNS1_3gpuE9ELNS1_3repE0EEENS1_30default_config_static_selectorELNS0_4arch9wavefront6targetE0EEEvT1_.num_named_barrier, 0
	.set _ZN7rocprim17ROCPRIM_400000_NS6detail17trampoline_kernelINS0_14default_configENS1_27scan_by_key_config_selectorIifEEZZNS1_16scan_by_key_implILNS1_25lookback_scan_determinismE0ELb1ES3_N6thrust23THRUST_200600_302600_NS6detail15normal_iteratorINS9_10device_ptrIiEEEENSB_INSC_IjEEEENSB_INSC_IfEEEEfNS9_4plusIvEENS9_8equal_toIvEEfEE10hipError_tPvRmT2_T3_T4_T5_mT6_T7_P12ihipStream_tbENKUlT_T0_E_clISt17integral_constantIbLb0EES12_IbLb1EEEEDaSY_SZ_EUlSY_E_NS1_11comp_targetILNS1_3genE5ELNS1_11target_archE942ELNS1_3gpuE9ELNS1_3repE0EEENS1_30default_config_static_selectorELNS0_4arch9wavefront6targetE0EEEvT1_.private_seg_size, 0
	.set _ZN7rocprim17ROCPRIM_400000_NS6detail17trampoline_kernelINS0_14default_configENS1_27scan_by_key_config_selectorIifEEZZNS1_16scan_by_key_implILNS1_25lookback_scan_determinismE0ELb1ES3_N6thrust23THRUST_200600_302600_NS6detail15normal_iteratorINS9_10device_ptrIiEEEENSB_INSC_IjEEEENSB_INSC_IfEEEEfNS9_4plusIvEENS9_8equal_toIvEEfEE10hipError_tPvRmT2_T3_T4_T5_mT6_T7_P12ihipStream_tbENKUlT_T0_E_clISt17integral_constantIbLb0EES12_IbLb1EEEEDaSY_SZ_EUlSY_E_NS1_11comp_targetILNS1_3genE5ELNS1_11target_archE942ELNS1_3gpuE9ELNS1_3repE0EEENS1_30default_config_static_selectorELNS0_4arch9wavefront6targetE0EEEvT1_.uses_vcc, 0
	.set _ZN7rocprim17ROCPRIM_400000_NS6detail17trampoline_kernelINS0_14default_configENS1_27scan_by_key_config_selectorIifEEZZNS1_16scan_by_key_implILNS1_25lookback_scan_determinismE0ELb1ES3_N6thrust23THRUST_200600_302600_NS6detail15normal_iteratorINS9_10device_ptrIiEEEENSB_INSC_IjEEEENSB_INSC_IfEEEEfNS9_4plusIvEENS9_8equal_toIvEEfEE10hipError_tPvRmT2_T3_T4_T5_mT6_T7_P12ihipStream_tbENKUlT_T0_E_clISt17integral_constantIbLb0EES12_IbLb1EEEEDaSY_SZ_EUlSY_E_NS1_11comp_targetILNS1_3genE5ELNS1_11target_archE942ELNS1_3gpuE9ELNS1_3repE0EEENS1_30default_config_static_selectorELNS0_4arch9wavefront6targetE0EEEvT1_.uses_flat_scratch, 0
	.set _ZN7rocprim17ROCPRIM_400000_NS6detail17trampoline_kernelINS0_14default_configENS1_27scan_by_key_config_selectorIifEEZZNS1_16scan_by_key_implILNS1_25lookback_scan_determinismE0ELb1ES3_N6thrust23THRUST_200600_302600_NS6detail15normal_iteratorINS9_10device_ptrIiEEEENSB_INSC_IjEEEENSB_INSC_IfEEEEfNS9_4plusIvEENS9_8equal_toIvEEfEE10hipError_tPvRmT2_T3_T4_T5_mT6_T7_P12ihipStream_tbENKUlT_T0_E_clISt17integral_constantIbLb0EES12_IbLb1EEEEDaSY_SZ_EUlSY_E_NS1_11comp_targetILNS1_3genE5ELNS1_11target_archE942ELNS1_3gpuE9ELNS1_3repE0EEENS1_30default_config_static_selectorELNS0_4arch9wavefront6targetE0EEEvT1_.has_dyn_sized_stack, 0
	.set _ZN7rocprim17ROCPRIM_400000_NS6detail17trampoline_kernelINS0_14default_configENS1_27scan_by_key_config_selectorIifEEZZNS1_16scan_by_key_implILNS1_25lookback_scan_determinismE0ELb1ES3_N6thrust23THRUST_200600_302600_NS6detail15normal_iteratorINS9_10device_ptrIiEEEENSB_INSC_IjEEEENSB_INSC_IfEEEEfNS9_4plusIvEENS9_8equal_toIvEEfEE10hipError_tPvRmT2_T3_T4_T5_mT6_T7_P12ihipStream_tbENKUlT_T0_E_clISt17integral_constantIbLb0EES12_IbLb1EEEEDaSY_SZ_EUlSY_E_NS1_11comp_targetILNS1_3genE5ELNS1_11target_archE942ELNS1_3gpuE9ELNS1_3repE0EEENS1_30default_config_static_selectorELNS0_4arch9wavefront6targetE0EEEvT1_.has_recursion, 0
	.set _ZN7rocprim17ROCPRIM_400000_NS6detail17trampoline_kernelINS0_14default_configENS1_27scan_by_key_config_selectorIifEEZZNS1_16scan_by_key_implILNS1_25lookback_scan_determinismE0ELb1ES3_N6thrust23THRUST_200600_302600_NS6detail15normal_iteratorINS9_10device_ptrIiEEEENSB_INSC_IjEEEENSB_INSC_IfEEEEfNS9_4plusIvEENS9_8equal_toIvEEfEE10hipError_tPvRmT2_T3_T4_T5_mT6_T7_P12ihipStream_tbENKUlT_T0_E_clISt17integral_constantIbLb0EES12_IbLb1EEEEDaSY_SZ_EUlSY_E_NS1_11comp_targetILNS1_3genE5ELNS1_11target_archE942ELNS1_3gpuE9ELNS1_3repE0EEENS1_30default_config_static_selectorELNS0_4arch9wavefront6targetE0EEEvT1_.has_indirect_call, 0
	.section	.AMDGPU.csdata,"",@progbits
; Kernel info:
; codeLenInByte = 0
; TotalNumSgprs: 0
; NumVgprs: 0
; ScratchSize: 0
; MemoryBound: 0
; FloatMode: 240
; IeeeMode: 1
; LDSByteSize: 0 bytes/workgroup (compile time only)
; SGPRBlocks: 0
; VGPRBlocks: 0
; NumSGPRsForWavesPerEU: 1
; NumVGPRsForWavesPerEU: 1
; Occupancy: 16
; WaveLimiterHint : 0
; COMPUTE_PGM_RSRC2:SCRATCH_EN: 0
; COMPUTE_PGM_RSRC2:USER_SGPR: 6
; COMPUTE_PGM_RSRC2:TRAP_HANDLER: 0
; COMPUTE_PGM_RSRC2:TGID_X_EN: 1
; COMPUTE_PGM_RSRC2:TGID_Y_EN: 0
; COMPUTE_PGM_RSRC2:TGID_Z_EN: 0
; COMPUTE_PGM_RSRC2:TIDIG_COMP_CNT: 0
	.section	.text._ZN7rocprim17ROCPRIM_400000_NS6detail17trampoline_kernelINS0_14default_configENS1_27scan_by_key_config_selectorIifEEZZNS1_16scan_by_key_implILNS1_25lookback_scan_determinismE0ELb1ES3_N6thrust23THRUST_200600_302600_NS6detail15normal_iteratorINS9_10device_ptrIiEEEENSB_INSC_IjEEEENSB_INSC_IfEEEEfNS9_4plusIvEENS9_8equal_toIvEEfEE10hipError_tPvRmT2_T3_T4_T5_mT6_T7_P12ihipStream_tbENKUlT_T0_E_clISt17integral_constantIbLb0EES12_IbLb1EEEEDaSY_SZ_EUlSY_E_NS1_11comp_targetILNS1_3genE4ELNS1_11target_archE910ELNS1_3gpuE8ELNS1_3repE0EEENS1_30default_config_static_selectorELNS0_4arch9wavefront6targetE0EEEvT1_,"axG",@progbits,_ZN7rocprim17ROCPRIM_400000_NS6detail17trampoline_kernelINS0_14default_configENS1_27scan_by_key_config_selectorIifEEZZNS1_16scan_by_key_implILNS1_25lookback_scan_determinismE0ELb1ES3_N6thrust23THRUST_200600_302600_NS6detail15normal_iteratorINS9_10device_ptrIiEEEENSB_INSC_IjEEEENSB_INSC_IfEEEEfNS9_4plusIvEENS9_8equal_toIvEEfEE10hipError_tPvRmT2_T3_T4_T5_mT6_T7_P12ihipStream_tbENKUlT_T0_E_clISt17integral_constantIbLb0EES12_IbLb1EEEEDaSY_SZ_EUlSY_E_NS1_11comp_targetILNS1_3genE4ELNS1_11target_archE910ELNS1_3gpuE8ELNS1_3repE0EEENS1_30default_config_static_selectorELNS0_4arch9wavefront6targetE0EEEvT1_,comdat
	.protected	_ZN7rocprim17ROCPRIM_400000_NS6detail17trampoline_kernelINS0_14default_configENS1_27scan_by_key_config_selectorIifEEZZNS1_16scan_by_key_implILNS1_25lookback_scan_determinismE0ELb1ES3_N6thrust23THRUST_200600_302600_NS6detail15normal_iteratorINS9_10device_ptrIiEEEENSB_INSC_IjEEEENSB_INSC_IfEEEEfNS9_4plusIvEENS9_8equal_toIvEEfEE10hipError_tPvRmT2_T3_T4_T5_mT6_T7_P12ihipStream_tbENKUlT_T0_E_clISt17integral_constantIbLb0EES12_IbLb1EEEEDaSY_SZ_EUlSY_E_NS1_11comp_targetILNS1_3genE4ELNS1_11target_archE910ELNS1_3gpuE8ELNS1_3repE0EEENS1_30default_config_static_selectorELNS0_4arch9wavefront6targetE0EEEvT1_ ; -- Begin function _ZN7rocprim17ROCPRIM_400000_NS6detail17trampoline_kernelINS0_14default_configENS1_27scan_by_key_config_selectorIifEEZZNS1_16scan_by_key_implILNS1_25lookback_scan_determinismE0ELb1ES3_N6thrust23THRUST_200600_302600_NS6detail15normal_iteratorINS9_10device_ptrIiEEEENSB_INSC_IjEEEENSB_INSC_IfEEEEfNS9_4plusIvEENS9_8equal_toIvEEfEE10hipError_tPvRmT2_T3_T4_T5_mT6_T7_P12ihipStream_tbENKUlT_T0_E_clISt17integral_constantIbLb0EES12_IbLb1EEEEDaSY_SZ_EUlSY_E_NS1_11comp_targetILNS1_3genE4ELNS1_11target_archE910ELNS1_3gpuE8ELNS1_3repE0EEENS1_30default_config_static_selectorELNS0_4arch9wavefront6targetE0EEEvT1_
	.globl	_ZN7rocprim17ROCPRIM_400000_NS6detail17trampoline_kernelINS0_14default_configENS1_27scan_by_key_config_selectorIifEEZZNS1_16scan_by_key_implILNS1_25lookback_scan_determinismE0ELb1ES3_N6thrust23THRUST_200600_302600_NS6detail15normal_iteratorINS9_10device_ptrIiEEEENSB_INSC_IjEEEENSB_INSC_IfEEEEfNS9_4plusIvEENS9_8equal_toIvEEfEE10hipError_tPvRmT2_T3_T4_T5_mT6_T7_P12ihipStream_tbENKUlT_T0_E_clISt17integral_constantIbLb0EES12_IbLb1EEEEDaSY_SZ_EUlSY_E_NS1_11comp_targetILNS1_3genE4ELNS1_11target_archE910ELNS1_3gpuE8ELNS1_3repE0EEENS1_30default_config_static_selectorELNS0_4arch9wavefront6targetE0EEEvT1_
	.p2align	8
	.type	_ZN7rocprim17ROCPRIM_400000_NS6detail17trampoline_kernelINS0_14default_configENS1_27scan_by_key_config_selectorIifEEZZNS1_16scan_by_key_implILNS1_25lookback_scan_determinismE0ELb1ES3_N6thrust23THRUST_200600_302600_NS6detail15normal_iteratorINS9_10device_ptrIiEEEENSB_INSC_IjEEEENSB_INSC_IfEEEEfNS9_4plusIvEENS9_8equal_toIvEEfEE10hipError_tPvRmT2_T3_T4_T5_mT6_T7_P12ihipStream_tbENKUlT_T0_E_clISt17integral_constantIbLb0EES12_IbLb1EEEEDaSY_SZ_EUlSY_E_NS1_11comp_targetILNS1_3genE4ELNS1_11target_archE910ELNS1_3gpuE8ELNS1_3repE0EEENS1_30default_config_static_selectorELNS0_4arch9wavefront6targetE0EEEvT1_,@function
_ZN7rocprim17ROCPRIM_400000_NS6detail17trampoline_kernelINS0_14default_configENS1_27scan_by_key_config_selectorIifEEZZNS1_16scan_by_key_implILNS1_25lookback_scan_determinismE0ELb1ES3_N6thrust23THRUST_200600_302600_NS6detail15normal_iteratorINS9_10device_ptrIiEEEENSB_INSC_IjEEEENSB_INSC_IfEEEEfNS9_4plusIvEENS9_8equal_toIvEEfEE10hipError_tPvRmT2_T3_T4_T5_mT6_T7_P12ihipStream_tbENKUlT_T0_E_clISt17integral_constantIbLb0EES12_IbLb1EEEEDaSY_SZ_EUlSY_E_NS1_11comp_targetILNS1_3genE4ELNS1_11target_archE910ELNS1_3gpuE8ELNS1_3repE0EEENS1_30default_config_static_selectorELNS0_4arch9wavefront6targetE0EEEvT1_: ; @_ZN7rocprim17ROCPRIM_400000_NS6detail17trampoline_kernelINS0_14default_configENS1_27scan_by_key_config_selectorIifEEZZNS1_16scan_by_key_implILNS1_25lookback_scan_determinismE0ELb1ES3_N6thrust23THRUST_200600_302600_NS6detail15normal_iteratorINS9_10device_ptrIiEEEENSB_INSC_IjEEEENSB_INSC_IfEEEEfNS9_4plusIvEENS9_8equal_toIvEEfEE10hipError_tPvRmT2_T3_T4_T5_mT6_T7_P12ihipStream_tbENKUlT_T0_E_clISt17integral_constantIbLb0EES12_IbLb1EEEEDaSY_SZ_EUlSY_E_NS1_11comp_targetILNS1_3genE4ELNS1_11target_archE910ELNS1_3gpuE8ELNS1_3repE0EEENS1_30default_config_static_selectorELNS0_4arch9wavefront6targetE0EEEvT1_
; %bb.0:
	.section	.rodata,"a",@progbits
	.p2align	6, 0x0
	.amdhsa_kernel _ZN7rocprim17ROCPRIM_400000_NS6detail17trampoline_kernelINS0_14default_configENS1_27scan_by_key_config_selectorIifEEZZNS1_16scan_by_key_implILNS1_25lookback_scan_determinismE0ELb1ES3_N6thrust23THRUST_200600_302600_NS6detail15normal_iteratorINS9_10device_ptrIiEEEENSB_INSC_IjEEEENSB_INSC_IfEEEEfNS9_4plusIvEENS9_8equal_toIvEEfEE10hipError_tPvRmT2_T3_T4_T5_mT6_T7_P12ihipStream_tbENKUlT_T0_E_clISt17integral_constantIbLb0EES12_IbLb1EEEEDaSY_SZ_EUlSY_E_NS1_11comp_targetILNS1_3genE4ELNS1_11target_archE910ELNS1_3gpuE8ELNS1_3repE0EEENS1_30default_config_static_selectorELNS0_4arch9wavefront6targetE0EEEvT1_
		.amdhsa_group_segment_fixed_size 0
		.amdhsa_private_segment_fixed_size 0
		.amdhsa_kernarg_size 112
		.amdhsa_user_sgpr_count 6
		.amdhsa_user_sgpr_private_segment_buffer 1
		.amdhsa_user_sgpr_dispatch_ptr 0
		.amdhsa_user_sgpr_queue_ptr 0
		.amdhsa_user_sgpr_kernarg_segment_ptr 1
		.amdhsa_user_sgpr_dispatch_id 0
		.amdhsa_user_sgpr_flat_scratch_init 0
		.amdhsa_user_sgpr_private_segment_size 0
		.amdhsa_wavefront_size32 1
		.amdhsa_uses_dynamic_stack 0
		.amdhsa_system_sgpr_private_segment_wavefront_offset 0
		.amdhsa_system_sgpr_workgroup_id_x 1
		.amdhsa_system_sgpr_workgroup_id_y 0
		.amdhsa_system_sgpr_workgroup_id_z 0
		.amdhsa_system_sgpr_workgroup_info 0
		.amdhsa_system_vgpr_workitem_id 0
		.amdhsa_next_free_vgpr 1
		.amdhsa_next_free_sgpr 1
		.amdhsa_reserve_vcc 0
		.amdhsa_reserve_flat_scratch 0
		.amdhsa_float_round_mode_32 0
		.amdhsa_float_round_mode_16_64 0
		.amdhsa_float_denorm_mode_32 3
		.amdhsa_float_denorm_mode_16_64 3
		.amdhsa_dx10_clamp 1
		.amdhsa_ieee_mode 1
		.amdhsa_fp16_overflow 0
		.amdhsa_workgroup_processor_mode 1
		.amdhsa_memory_ordered 1
		.amdhsa_forward_progress 1
		.amdhsa_shared_vgpr_count 0
		.amdhsa_exception_fp_ieee_invalid_op 0
		.amdhsa_exception_fp_denorm_src 0
		.amdhsa_exception_fp_ieee_div_zero 0
		.amdhsa_exception_fp_ieee_overflow 0
		.amdhsa_exception_fp_ieee_underflow 0
		.amdhsa_exception_fp_ieee_inexact 0
		.amdhsa_exception_int_div_zero 0
	.end_amdhsa_kernel
	.section	.text._ZN7rocprim17ROCPRIM_400000_NS6detail17trampoline_kernelINS0_14default_configENS1_27scan_by_key_config_selectorIifEEZZNS1_16scan_by_key_implILNS1_25lookback_scan_determinismE0ELb1ES3_N6thrust23THRUST_200600_302600_NS6detail15normal_iteratorINS9_10device_ptrIiEEEENSB_INSC_IjEEEENSB_INSC_IfEEEEfNS9_4plusIvEENS9_8equal_toIvEEfEE10hipError_tPvRmT2_T3_T4_T5_mT6_T7_P12ihipStream_tbENKUlT_T0_E_clISt17integral_constantIbLb0EES12_IbLb1EEEEDaSY_SZ_EUlSY_E_NS1_11comp_targetILNS1_3genE4ELNS1_11target_archE910ELNS1_3gpuE8ELNS1_3repE0EEENS1_30default_config_static_selectorELNS0_4arch9wavefront6targetE0EEEvT1_,"axG",@progbits,_ZN7rocprim17ROCPRIM_400000_NS6detail17trampoline_kernelINS0_14default_configENS1_27scan_by_key_config_selectorIifEEZZNS1_16scan_by_key_implILNS1_25lookback_scan_determinismE0ELb1ES3_N6thrust23THRUST_200600_302600_NS6detail15normal_iteratorINS9_10device_ptrIiEEEENSB_INSC_IjEEEENSB_INSC_IfEEEEfNS9_4plusIvEENS9_8equal_toIvEEfEE10hipError_tPvRmT2_T3_T4_T5_mT6_T7_P12ihipStream_tbENKUlT_T0_E_clISt17integral_constantIbLb0EES12_IbLb1EEEEDaSY_SZ_EUlSY_E_NS1_11comp_targetILNS1_3genE4ELNS1_11target_archE910ELNS1_3gpuE8ELNS1_3repE0EEENS1_30default_config_static_selectorELNS0_4arch9wavefront6targetE0EEEvT1_,comdat
.Lfunc_end1710:
	.size	_ZN7rocprim17ROCPRIM_400000_NS6detail17trampoline_kernelINS0_14default_configENS1_27scan_by_key_config_selectorIifEEZZNS1_16scan_by_key_implILNS1_25lookback_scan_determinismE0ELb1ES3_N6thrust23THRUST_200600_302600_NS6detail15normal_iteratorINS9_10device_ptrIiEEEENSB_INSC_IjEEEENSB_INSC_IfEEEEfNS9_4plusIvEENS9_8equal_toIvEEfEE10hipError_tPvRmT2_T3_T4_T5_mT6_T7_P12ihipStream_tbENKUlT_T0_E_clISt17integral_constantIbLb0EES12_IbLb1EEEEDaSY_SZ_EUlSY_E_NS1_11comp_targetILNS1_3genE4ELNS1_11target_archE910ELNS1_3gpuE8ELNS1_3repE0EEENS1_30default_config_static_selectorELNS0_4arch9wavefront6targetE0EEEvT1_, .Lfunc_end1710-_ZN7rocprim17ROCPRIM_400000_NS6detail17trampoline_kernelINS0_14default_configENS1_27scan_by_key_config_selectorIifEEZZNS1_16scan_by_key_implILNS1_25lookback_scan_determinismE0ELb1ES3_N6thrust23THRUST_200600_302600_NS6detail15normal_iteratorINS9_10device_ptrIiEEEENSB_INSC_IjEEEENSB_INSC_IfEEEEfNS9_4plusIvEENS9_8equal_toIvEEfEE10hipError_tPvRmT2_T3_T4_T5_mT6_T7_P12ihipStream_tbENKUlT_T0_E_clISt17integral_constantIbLb0EES12_IbLb1EEEEDaSY_SZ_EUlSY_E_NS1_11comp_targetILNS1_3genE4ELNS1_11target_archE910ELNS1_3gpuE8ELNS1_3repE0EEENS1_30default_config_static_selectorELNS0_4arch9wavefront6targetE0EEEvT1_
                                        ; -- End function
	.set _ZN7rocprim17ROCPRIM_400000_NS6detail17trampoline_kernelINS0_14default_configENS1_27scan_by_key_config_selectorIifEEZZNS1_16scan_by_key_implILNS1_25lookback_scan_determinismE0ELb1ES3_N6thrust23THRUST_200600_302600_NS6detail15normal_iteratorINS9_10device_ptrIiEEEENSB_INSC_IjEEEENSB_INSC_IfEEEEfNS9_4plusIvEENS9_8equal_toIvEEfEE10hipError_tPvRmT2_T3_T4_T5_mT6_T7_P12ihipStream_tbENKUlT_T0_E_clISt17integral_constantIbLb0EES12_IbLb1EEEEDaSY_SZ_EUlSY_E_NS1_11comp_targetILNS1_3genE4ELNS1_11target_archE910ELNS1_3gpuE8ELNS1_3repE0EEENS1_30default_config_static_selectorELNS0_4arch9wavefront6targetE0EEEvT1_.num_vgpr, 0
	.set _ZN7rocprim17ROCPRIM_400000_NS6detail17trampoline_kernelINS0_14default_configENS1_27scan_by_key_config_selectorIifEEZZNS1_16scan_by_key_implILNS1_25lookback_scan_determinismE0ELb1ES3_N6thrust23THRUST_200600_302600_NS6detail15normal_iteratorINS9_10device_ptrIiEEEENSB_INSC_IjEEEENSB_INSC_IfEEEEfNS9_4plusIvEENS9_8equal_toIvEEfEE10hipError_tPvRmT2_T3_T4_T5_mT6_T7_P12ihipStream_tbENKUlT_T0_E_clISt17integral_constantIbLb0EES12_IbLb1EEEEDaSY_SZ_EUlSY_E_NS1_11comp_targetILNS1_3genE4ELNS1_11target_archE910ELNS1_3gpuE8ELNS1_3repE0EEENS1_30default_config_static_selectorELNS0_4arch9wavefront6targetE0EEEvT1_.num_agpr, 0
	.set _ZN7rocprim17ROCPRIM_400000_NS6detail17trampoline_kernelINS0_14default_configENS1_27scan_by_key_config_selectorIifEEZZNS1_16scan_by_key_implILNS1_25lookback_scan_determinismE0ELb1ES3_N6thrust23THRUST_200600_302600_NS6detail15normal_iteratorINS9_10device_ptrIiEEEENSB_INSC_IjEEEENSB_INSC_IfEEEEfNS9_4plusIvEENS9_8equal_toIvEEfEE10hipError_tPvRmT2_T3_T4_T5_mT6_T7_P12ihipStream_tbENKUlT_T0_E_clISt17integral_constantIbLb0EES12_IbLb1EEEEDaSY_SZ_EUlSY_E_NS1_11comp_targetILNS1_3genE4ELNS1_11target_archE910ELNS1_3gpuE8ELNS1_3repE0EEENS1_30default_config_static_selectorELNS0_4arch9wavefront6targetE0EEEvT1_.numbered_sgpr, 0
	.set _ZN7rocprim17ROCPRIM_400000_NS6detail17trampoline_kernelINS0_14default_configENS1_27scan_by_key_config_selectorIifEEZZNS1_16scan_by_key_implILNS1_25lookback_scan_determinismE0ELb1ES3_N6thrust23THRUST_200600_302600_NS6detail15normal_iteratorINS9_10device_ptrIiEEEENSB_INSC_IjEEEENSB_INSC_IfEEEEfNS9_4plusIvEENS9_8equal_toIvEEfEE10hipError_tPvRmT2_T3_T4_T5_mT6_T7_P12ihipStream_tbENKUlT_T0_E_clISt17integral_constantIbLb0EES12_IbLb1EEEEDaSY_SZ_EUlSY_E_NS1_11comp_targetILNS1_3genE4ELNS1_11target_archE910ELNS1_3gpuE8ELNS1_3repE0EEENS1_30default_config_static_selectorELNS0_4arch9wavefront6targetE0EEEvT1_.num_named_barrier, 0
	.set _ZN7rocprim17ROCPRIM_400000_NS6detail17trampoline_kernelINS0_14default_configENS1_27scan_by_key_config_selectorIifEEZZNS1_16scan_by_key_implILNS1_25lookback_scan_determinismE0ELb1ES3_N6thrust23THRUST_200600_302600_NS6detail15normal_iteratorINS9_10device_ptrIiEEEENSB_INSC_IjEEEENSB_INSC_IfEEEEfNS9_4plusIvEENS9_8equal_toIvEEfEE10hipError_tPvRmT2_T3_T4_T5_mT6_T7_P12ihipStream_tbENKUlT_T0_E_clISt17integral_constantIbLb0EES12_IbLb1EEEEDaSY_SZ_EUlSY_E_NS1_11comp_targetILNS1_3genE4ELNS1_11target_archE910ELNS1_3gpuE8ELNS1_3repE0EEENS1_30default_config_static_selectorELNS0_4arch9wavefront6targetE0EEEvT1_.private_seg_size, 0
	.set _ZN7rocprim17ROCPRIM_400000_NS6detail17trampoline_kernelINS0_14default_configENS1_27scan_by_key_config_selectorIifEEZZNS1_16scan_by_key_implILNS1_25lookback_scan_determinismE0ELb1ES3_N6thrust23THRUST_200600_302600_NS6detail15normal_iteratorINS9_10device_ptrIiEEEENSB_INSC_IjEEEENSB_INSC_IfEEEEfNS9_4plusIvEENS9_8equal_toIvEEfEE10hipError_tPvRmT2_T3_T4_T5_mT6_T7_P12ihipStream_tbENKUlT_T0_E_clISt17integral_constantIbLb0EES12_IbLb1EEEEDaSY_SZ_EUlSY_E_NS1_11comp_targetILNS1_3genE4ELNS1_11target_archE910ELNS1_3gpuE8ELNS1_3repE0EEENS1_30default_config_static_selectorELNS0_4arch9wavefront6targetE0EEEvT1_.uses_vcc, 0
	.set _ZN7rocprim17ROCPRIM_400000_NS6detail17trampoline_kernelINS0_14default_configENS1_27scan_by_key_config_selectorIifEEZZNS1_16scan_by_key_implILNS1_25lookback_scan_determinismE0ELb1ES3_N6thrust23THRUST_200600_302600_NS6detail15normal_iteratorINS9_10device_ptrIiEEEENSB_INSC_IjEEEENSB_INSC_IfEEEEfNS9_4plusIvEENS9_8equal_toIvEEfEE10hipError_tPvRmT2_T3_T4_T5_mT6_T7_P12ihipStream_tbENKUlT_T0_E_clISt17integral_constantIbLb0EES12_IbLb1EEEEDaSY_SZ_EUlSY_E_NS1_11comp_targetILNS1_3genE4ELNS1_11target_archE910ELNS1_3gpuE8ELNS1_3repE0EEENS1_30default_config_static_selectorELNS0_4arch9wavefront6targetE0EEEvT1_.uses_flat_scratch, 0
	.set _ZN7rocprim17ROCPRIM_400000_NS6detail17trampoline_kernelINS0_14default_configENS1_27scan_by_key_config_selectorIifEEZZNS1_16scan_by_key_implILNS1_25lookback_scan_determinismE0ELb1ES3_N6thrust23THRUST_200600_302600_NS6detail15normal_iteratorINS9_10device_ptrIiEEEENSB_INSC_IjEEEENSB_INSC_IfEEEEfNS9_4plusIvEENS9_8equal_toIvEEfEE10hipError_tPvRmT2_T3_T4_T5_mT6_T7_P12ihipStream_tbENKUlT_T0_E_clISt17integral_constantIbLb0EES12_IbLb1EEEEDaSY_SZ_EUlSY_E_NS1_11comp_targetILNS1_3genE4ELNS1_11target_archE910ELNS1_3gpuE8ELNS1_3repE0EEENS1_30default_config_static_selectorELNS0_4arch9wavefront6targetE0EEEvT1_.has_dyn_sized_stack, 0
	.set _ZN7rocprim17ROCPRIM_400000_NS6detail17trampoline_kernelINS0_14default_configENS1_27scan_by_key_config_selectorIifEEZZNS1_16scan_by_key_implILNS1_25lookback_scan_determinismE0ELb1ES3_N6thrust23THRUST_200600_302600_NS6detail15normal_iteratorINS9_10device_ptrIiEEEENSB_INSC_IjEEEENSB_INSC_IfEEEEfNS9_4plusIvEENS9_8equal_toIvEEfEE10hipError_tPvRmT2_T3_T4_T5_mT6_T7_P12ihipStream_tbENKUlT_T0_E_clISt17integral_constantIbLb0EES12_IbLb1EEEEDaSY_SZ_EUlSY_E_NS1_11comp_targetILNS1_3genE4ELNS1_11target_archE910ELNS1_3gpuE8ELNS1_3repE0EEENS1_30default_config_static_selectorELNS0_4arch9wavefront6targetE0EEEvT1_.has_recursion, 0
	.set _ZN7rocprim17ROCPRIM_400000_NS6detail17trampoline_kernelINS0_14default_configENS1_27scan_by_key_config_selectorIifEEZZNS1_16scan_by_key_implILNS1_25lookback_scan_determinismE0ELb1ES3_N6thrust23THRUST_200600_302600_NS6detail15normal_iteratorINS9_10device_ptrIiEEEENSB_INSC_IjEEEENSB_INSC_IfEEEEfNS9_4plusIvEENS9_8equal_toIvEEfEE10hipError_tPvRmT2_T3_T4_T5_mT6_T7_P12ihipStream_tbENKUlT_T0_E_clISt17integral_constantIbLb0EES12_IbLb1EEEEDaSY_SZ_EUlSY_E_NS1_11comp_targetILNS1_3genE4ELNS1_11target_archE910ELNS1_3gpuE8ELNS1_3repE0EEENS1_30default_config_static_selectorELNS0_4arch9wavefront6targetE0EEEvT1_.has_indirect_call, 0
	.section	.AMDGPU.csdata,"",@progbits
; Kernel info:
; codeLenInByte = 0
; TotalNumSgprs: 0
; NumVgprs: 0
; ScratchSize: 0
; MemoryBound: 0
; FloatMode: 240
; IeeeMode: 1
; LDSByteSize: 0 bytes/workgroup (compile time only)
; SGPRBlocks: 0
; VGPRBlocks: 0
; NumSGPRsForWavesPerEU: 1
; NumVGPRsForWavesPerEU: 1
; Occupancy: 16
; WaveLimiterHint : 0
; COMPUTE_PGM_RSRC2:SCRATCH_EN: 0
; COMPUTE_PGM_RSRC2:USER_SGPR: 6
; COMPUTE_PGM_RSRC2:TRAP_HANDLER: 0
; COMPUTE_PGM_RSRC2:TGID_X_EN: 1
; COMPUTE_PGM_RSRC2:TGID_Y_EN: 0
; COMPUTE_PGM_RSRC2:TGID_Z_EN: 0
; COMPUTE_PGM_RSRC2:TIDIG_COMP_CNT: 0
	.section	.text._ZN7rocprim17ROCPRIM_400000_NS6detail17trampoline_kernelINS0_14default_configENS1_27scan_by_key_config_selectorIifEEZZNS1_16scan_by_key_implILNS1_25lookback_scan_determinismE0ELb1ES3_N6thrust23THRUST_200600_302600_NS6detail15normal_iteratorINS9_10device_ptrIiEEEENSB_INSC_IjEEEENSB_INSC_IfEEEEfNS9_4plusIvEENS9_8equal_toIvEEfEE10hipError_tPvRmT2_T3_T4_T5_mT6_T7_P12ihipStream_tbENKUlT_T0_E_clISt17integral_constantIbLb0EES12_IbLb1EEEEDaSY_SZ_EUlSY_E_NS1_11comp_targetILNS1_3genE3ELNS1_11target_archE908ELNS1_3gpuE7ELNS1_3repE0EEENS1_30default_config_static_selectorELNS0_4arch9wavefront6targetE0EEEvT1_,"axG",@progbits,_ZN7rocprim17ROCPRIM_400000_NS6detail17trampoline_kernelINS0_14default_configENS1_27scan_by_key_config_selectorIifEEZZNS1_16scan_by_key_implILNS1_25lookback_scan_determinismE0ELb1ES3_N6thrust23THRUST_200600_302600_NS6detail15normal_iteratorINS9_10device_ptrIiEEEENSB_INSC_IjEEEENSB_INSC_IfEEEEfNS9_4plusIvEENS9_8equal_toIvEEfEE10hipError_tPvRmT2_T3_T4_T5_mT6_T7_P12ihipStream_tbENKUlT_T0_E_clISt17integral_constantIbLb0EES12_IbLb1EEEEDaSY_SZ_EUlSY_E_NS1_11comp_targetILNS1_3genE3ELNS1_11target_archE908ELNS1_3gpuE7ELNS1_3repE0EEENS1_30default_config_static_selectorELNS0_4arch9wavefront6targetE0EEEvT1_,comdat
	.protected	_ZN7rocprim17ROCPRIM_400000_NS6detail17trampoline_kernelINS0_14default_configENS1_27scan_by_key_config_selectorIifEEZZNS1_16scan_by_key_implILNS1_25lookback_scan_determinismE0ELb1ES3_N6thrust23THRUST_200600_302600_NS6detail15normal_iteratorINS9_10device_ptrIiEEEENSB_INSC_IjEEEENSB_INSC_IfEEEEfNS9_4plusIvEENS9_8equal_toIvEEfEE10hipError_tPvRmT2_T3_T4_T5_mT6_T7_P12ihipStream_tbENKUlT_T0_E_clISt17integral_constantIbLb0EES12_IbLb1EEEEDaSY_SZ_EUlSY_E_NS1_11comp_targetILNS1_3genE3ELNS1_11target_archE908ELNS1_3gpuE7ELNS1_3repE0EEENS1_30default_config_static_selectorELNS0_4arch9wavefront6targetE0EEEvT1_ ; -- Begin function _ZN7rocprim17ROCPRIM_400000_NS6detail17trampoline_kernelINS0_14default_configENS1_27scan_by_key_config_selectorIifEEZZNS1_16scan_by_key_implILNS1_25lookback_scan_determinismE0ELb1ES3_N6thrust23THRUST_200600_302600_NS6detail15normal_iteratorINS9_10device_ptrIiEEEENSB_INSC_IjEEEENSB_INSC_IfEEEEfNS9_4plusIvEENS9_8equal_toIvEEfEE10hipError_tPvRmT2_T3_T4_T5_mT6_T7_P12ihipStream_tbENKUlT_T0_E_clISt17integral_constantIbLb0EES12_IbLb1EEEEDaSY_SZ_EUlSY_E_NS1_11comp_targetILNS1_3genE3ELNS1_11target_archE908ELNS1_3gpuE7ELNS1_3repE0EEENS1_30default_config_static_selectorELNS0_4arch9wavefront6targetE0EEEvT1_
	.globl	_ZN7rocprim17ROCPRIM_400000_NS6detail17trampoline_kernelINS0_14default_configENS1_27scan_by_key_config_selectorIifEEZZNS1_16scan_by_key_implILNS1_25lookback_scan_determinismE0ELb1ES3_N6thrust23THRUST_200600_302600_NS6detail15normal_iteratorINS9_10device_ptrIiEEEENSB_INSC_IjEEEENSB_INSC_IfEEEEfNS9_4plusIvEENS9_8equal_toIvEEfEE10hipError_tPvRmT2_T3_T4_T5_mT6_T7_P12ihipStream_tbENKUlT_T0_E_clISt17integral_constantIbLb0EES12_IbLb1EEEEDaSY_SZ_EUlSY_E_NS1_11comp_targetILNS1_3genE3ELNS1_11target_archE908ELNS1_3gpuE7ELNS1_3repE0EEENS1_30default_config_static_selectorELNS0_4arch9wavefront6targetE0EEEvT1_
	.p2align	8
	.type	_ZN7rocprim17ROCPRIM_400000_NS6detail17trampoline_kernelINS0_14default_configENS1_27scan_by_key_config_selectorIifEEZZNS1_16scan_by_key_implILNS1_25lookback_scan_determinismE0ELb1ES3_N6thrust23THRUST_200600_302600_NS6detail15normal_iteratorINS9_10device_ptrIiEEEENSB_INSC_IjEEEENSB_INSC_IfEEEEfNS9_4plusIvEENS9_8equal_toIvEEfEE10hipError_tPvRmT2_T3_T4_T5_mT6_T7_P12ihipStream_tbENKUlT_T0_E_clISt17integral_constantIbLb0EES12_IbLb1EEEEDaSY_SZ_EUlSY_E_NS1_11comp_targetILNS1_3genE3ELNS1_11target_archE908ELNS1_3gpuE7ELNS1_3repE0EEENS1_30default_config_static_selectorELNS0_4arch9wavefront6targetE0EEEvT1_,@function
_ZN7rocprim17ROCPRIM_400000_NS6detail17trampoline_kernelINS0_14default_configENS1_27scan_by_key_config_selectorIifEEZZNS1_16scan_by_key_implILNS1_25lookback_scan_determinismE0ELb1ES3_N6thrust23THRUST_200600_302600_NS6detail15normal_iteratorINS9_10device_ptrIiEEEENSB_INSC_IjEEEENSB_INSC_IfEEEEfNS9_4plusIvEENS9_8equal_toIvEEfEE10hipError_tPvRmT2_T3_T4_T5_mT6_T7_P12ihipStream_tbENKUlT_T0_E_clISt17integral_constantIbLb0EES12_IbLb1EEEEDaSY_SZ_EUlSY_E_NS1_11comp_targetILNS1_3genE3ELNS1_11target_archE908ELNS1_3gpuE7ELNS1_3repE0EEENS1_30default_config_static_selectorELNS0_4arch9wavefront6targetE0EEEvT1_: ; @_ZN7rocprim17ROCPRIM_400000_NS6detail17trampoline_kernelINS0_14default_configENS1_27scan_by_key_config_selectorIifEEZZNS1_16scan_by_key_implILNS1_25lookback_scan_determinismE0ELb1ES3_N6thrust23THRUST_200600_302600_NS6detail15normal_iteratorINS9_10device_ptrIiEEEENSB_INSC_IjEEEENSB_INSC_IfEEEEfNS9_4plusIvEENS9_8equal_toIvEEfEE10hipError_tPvRmT2_T3_T4_T5_mT6_T7_P12ihipStream_tbENKUlT_T0_E_clISt17integral_constantIbLb0EES12_IbLb1EEEEDaSY_SZ_EUlSY_E_NS1_11comp_targetILNS1_3genE3ELNS1_11target_archE908ELNS1_3gpuE7ELNS1_3repE0EEENS1_30default_config_static_selectorELNS0_4arch9wavefront6targetE0EEEvT1_
; %bb.0:
	.section	.rodata,"a",@progbits
	.p2align	6, 0x0
	.amdhsa_kernel _ZN7rocprim17ROCPRIM_400000_NS6detail17trampoline_kernelINS0_14default_configENS1_27scan_by_key_config_selectorIifEEZZNS1_16scan_by_key_implILNS1_25lookback_scan_determinismE0ELb1ES3_N6thrust23THRUST_200600_302600_NS6detail15normal_iteratorINS9_10device_ptrIiEEEENSB_INSC_IjEEEENSB_INSC_IfEEEEfNS9_4plusIvEENS9_8equal_toIvEEfEE10hipError_tPvRmT2_T3_T4_T5_mT6_T7_P12ihipStream_tbENKUlT_T0_E_clISt17integral_constantIbLb0EES12_IbLb1EEEEDaSY_SZ_EUlSY_E_NS1_11comp_targetILNS1_3genE3ELNS1_11target_archE908ELNS1_3gpuE7ELNS1_3repE0EEENS1_30default_config_static_selectorELNS0_4arch9wavefront6targetE0EEEvT1_
		.amdhsa_group_segment_fixed_size 0
		.amdhsa_private_segment_fixed_size 0
		.amdhsa_kernarg_size 112
		.amdhsa_user_sgpr_count 6
		.amdhsa_user_sgpr_private_segment_buffer 1
		.amdhsa_user_sgpr_dispatch_ptr 0
		.amdhsa_user_sgpr_queue_ptr 0
		.amdhsa_user_sgpr_kernarg_segment_ptr 1
		.amdhsa_user_sgpr_dispatch_id 0
		.amdhsa_user_sgpr_flat_scratch_init 0
		.amdhsa_user_sgpr_private_segment_size 0
		.amdhsa_wavefront_size32 1
		.amdhsa_uses_dynamic_stack 0
		.amdhsa_system_sgpr_private_segment_wavefront_offset 0
		.amdhsa_system_sgpr_workgroup_id_x 1
		.amdhsa_system_sgpr_workgroup_id_y 0
		.amdhsa_system_sgpr_workgroup_id_z 0
		.amdhsa_system_sgpr_workgroup_info 0
		.amdhsa_system_vgpr_workitem_id 0
		.amdhsa_next_free_vgpr 1
		.amdhsa_next_free_sgpr 1
		.amdhsa_reserve_vcc 0
		.amdhsa_reserve_flat_scratch 0
		.amdhsa_float_round_mode_32 0
		.amdhsa_float_round_mode_16_64 0
		.amdhsa_float_denorm_mode_32 3
		.amdhsa_float_denorm_mode_16_64 3
		.amdhsa_dx10_clamp 1
		.amdhsa_ieee_mode 1
		.amdhsa_fp16_overflow 0
		.amdhsa_workgroup_processor_mode 1
		.amdhsa_memory_ordered 1
		.amdhsa_forward_progress 1
		.amdhsa_shared_vgpr_count 0
		.amdhsa_exception_fp_ieee_invalid_op 0
		.amdhsa_exception_fp_denorm_src 0
		.amdhsa_exception_fp_ieee_div_zero 0
		.amdhsa_exception_fp_ieee_overflow 0
		.amdhsa_exception_fp_ieee_underflow 0
		.amdhsa_exception_fp_ieee_inexact 0
		.amdhsa_exception_int_div_zero 0
	.end_amdhsa_kernel
	.section	.text._ZN7rocprim17ROCPRIM_400000_NS6detail17trampoline_kernelINS0_14default_configENS1_27scan_by_key_config_selectorIifEEZZNS1_16scan_by_key_implILNS1_25lookback_scan_determinismE0ELb1ES3_N6thrust23THRUST_200600_302600_NS6detail15normal_iteratorINS9_10device_ptrIiEEEENSB_INSC_IjEEEENSB_INSC_IfEEEEfNS9_4plusIvEENS9_8equal_toIvEEfEE10hipError_tPvRmT2_T3_T4_T5_mT6_T7_P12ihipStream_tbENKUlT_T0_E_clISt17integral_constantIbLb0EES12_IbLb1EEEEDaSY_SZ_EUlSY_E_NS1_11comp_targetILNS1_3genE3ELNS1_11target_archE908ELNS1_3gpuE7ELNS1_3repE0EEENS1_30default_config_static_selectorELNS0_4arch9wavefront6targetE0EEEvT1_,"axG",@progbits,_ZN7rocprim17ROCPRIM_400000_NS6detail17trampoline_kernelINS0_14default_configENS1_27scan_by_key_config_selectorIifEEZZNS1_16scan_by_key_implILNS1_25lookback_scan_determinismE0ELb1ES3_N6thrust23THRUST_200600_302600_NS6detail15normal_iteratorINS9_10device_ptrIiEEEENSB_INSC_IjEEEENSB_INSC_IfEEEEfNS9_4plusIvEENS9_8equal_toIvEEfEE10hipError_tPvRmT2_T3_T4_T5_mT6_T7_P12ihipStream_tbENKUlT_T0_E_clISt17integral_constantIbLb0EES12_IbLb1EEEEDaSY_SZ_EUlSY_E_NS1_11comp_targetILNS1_3genE3ELNS1_11target_archE908ELNS1_3gpuE7ELNS1_3repE0EEENS1_30default_config_static_selectorELNS0_4arch9wavefront6targetE0EEEvT1_,comdat
.Lfunc_end1711:
	.size	_ZN7rocprim17ROCPRIM_400000_NS6detail17trampoline_kernelINS0_14default_configENS1_27scan_by_key_config_selectorIifEEZZNS1_16scan_by_key_implILNS1_25lookback_scan_determinismE0ELb1ES3_N6thrust23THRUST_200600_302600_NS6detail15normal_iteratorINS9_10device_ptrIiEEEENSB_INSC_IjEEEENSB_INSC_IfEEEEfNS9_4plusIvEENS9_8equal_toIvEEfEE10hipError_tPvRmT2_T3_T4_T5_mT6_T7_P12ihipStream_tbENKUlT_T0_E_clISt17integral_constantIbLb0EES12_IbLb1EEEEDaSY_SZ_EUlSY_E_NS1_11comp_targetILNS1_3genE3ELNS1_11target_archE908ELNS1_3gpuE7ELNS1_3repE0EEENS1_30default_config_static_selectorELNS0_4arch9wavefront6targetE0EEEvT1_, .Lfunc_end1711-_ZN7rocprim17ROCPRIM_400000_NS6detail17trampoline_kernelINS0_14default_configENS1_27scan_by_key_config_selectorIifEEZZNS1_16scan_by_key_implILNS1_25lookback_scan_determinismE0ELb1ES3_N6thrust23THRUST_200600_302600_NS6detail15normal_iteratorINS9_10device_ptrIiEEEENSB_INSC_IjEEEENSB_INSC_IfEEEEfNS9_4plusIvEENS9_8equal_toIvEEfEE10hipError_tPvRmT2_T3_T4_T5_mT6_T7_P12ihipStream_tbENKUlT_T0_E_clISt17integral_constantIbLb0EES12_IbLb1EEEEDaSY_SZ_EUlSY_E_NS1_11comp_targetILNS1_3genE3ELNS1_11target_archE908ELNS1_3gpuE7ELNS1_3repE0EEENS1_30default_config_static_selectorELNS0_4arch9wavefront6targetE0EEEvT1_
                                        ; -- End function
	.set _ZN7rocprim17ROCPRIM_400000_NS6detail17trampoline_kernelINS0_14default_configENS1_27scan_by_key_config_selectorIifEEZZNS1_16scan_by_key_implILNS1_25lookback_scan_determinismE0ELb1ES3_N6thrust23THRUST_200600_302600_NS6detail15normal_iteratorINS9_10device_ptrIiEEEENSB_INSC_IjEEEENSB_INSC_IfEEEEfNS9_4plusIvEENS9_8equal_toIvEEfEE10hipError_tPvRmT2_T3_T4_T5_mT6_T7_P12ihipStream_tbENKUlT_T0_E_clISt17integral_constantIbLb0EES12_IbLb1EEEEDaSY_SZ_EUlSY_E_NS1_11comp_targetILNS1_3genE3ELNS1_11target_archE908ELNS1_3gpuE7ELNS1_3repE0EEENS1_30default_config_static_selectorELNS0_4arch9wavefront6targetE0EEEvT1_.num_vgpr, 0
	.set _ZN7rocprim17ROCPRIM_400000_NS6detail17trampoline_kernelINS0_14default_configENS1_27scan_by_key_config_selectorIifEEZZNS1_16scan_by_key_implILNS1_25lookback_scan_determinismE0ELb1ES3_N6thrust23THRUST_200600_302600_NS6detail15normal_iteratorINS9_10device_ptrIiEEEENSB_INSC_IjEEEENSB_INSC_IfEEEEfNS9_4plusIvEENS9_8equal_toIvEEfEE10hipError_tPvRmT2_T3_T4_T5_mT6_T7_P12ihipStream_tbENKUlT_T0_E_clISt17integral_constantIbLb0EES12_IbLb1EEEEDaSY_SZ_EUlSY_E_NS1_11comp_targetILNS1_3genE3ELNS1_11target_archE908ELNS1_3gpuE7ELNS1_3repE0EEENS1_30default_config_static_selectorELNS0_4arch9wavefront6targetE0EEEvT1_.num_agpr, 0
	.set _ZN7rocprim17ROCPRIM_400000_NS6detail17trampoline_kernelINS0_14default_configENS1_27scan_by_key_config_selectorIifEEZZNS1_16scan_by_key_implILNS1_25lookback_scan_determinismE0ELb1ES3_N6thrust23THRUST_200600_302600_NS6detail15normal_iteratorINS9_10device_ptrIiEEEENSB_INSC_IjEEEENSB_INSC_IfEEEEfNS9_4plusIvEENS9_8equal_toIvEEfEE10hipError_tPvRmT2_T3_T4_T5_mT6_T7_P12ihipStream_tbENKUlT_T0_E_clISt17integral_constantIbLb0EES12_IbLb1EEEEDaSY_SZ_EUlSY_E_NS1_11comp_targetILNS1_3genE3ELNS1_11target_archE908ELNS1_3gpuE7ELNS1_3repE0EEENS1_30default_config_static_selectorELNS0_4arch9wavefront6targetE0EEEvT1_.numbered_sgpr, 0
	.set _ZN7rocprim17ROCPRIM_400000_NS6detail17trampoline_kernelINS0_14default_configENS1_27scan_by_key_config_selectorIifEEZZNS1_16scan_by_key_implILNS1_25lookback_scan_determinismE0ELb1ES3_N6thrust23THRUST_200600_302600_NS6detail15normal_iteratorINS9_10device_ptrIiEEEENSB_INSC_IjEEEENSB_INSC_IfEEEEfNS9_4plusIvEENS9_8equal_toIvEEfEE10hipError_tPvRmT2_T3_T4_T5_mT6_T7_P12ihipStream_tbENKUlT_T0_E_clISt17integral_constantIbLb0EES12_IbLb1EEEEDaSY_SZ_EUlSY_E_NS1_11comp_targetILNS1_3genE3ELNS1_11target_archE908ELNS1_3gpuE7ELNS1_3repE0EEENS1_30default_config_static_selectorELNS0_4arch9wavefront6targetE0EEEvT1_.num_named_barrier, 0
	.set _ZN7rocprim17ROCPRIM_400000_NS6detail17trampoline_kernelINS0_14default_configENS1_27scan_by_key_config_selectorIifEEZZNS1_16scan_by_key_implILNS1_25lookback_scan_determinismE0ELb1ES3_N6thrust23THRUST_200600_302600_NS6detail15normal_iteratorINS9_10device_ptrIiEEEENSB_INSC_IjEEEENSB_INSC_IfEEEEfNS9_4plusIvEENS9_8equal_toIvEEfEE10hipError_tPvRmT2_T3_T4_T5_mT6_T7_P12ihipStream_tbENKUlT_T0_E_clISt17integral_constantIbLb0EES12_IbLb1EEEEDaSY_SZ_EUlSY_E_NS1_11comp_targetILNS1_3genE3ELNS1_11target_archE908ELNS1_3gpuE7ELNS1_3repE0EEENS1_30default_config_static_selectorELNS0_4arch9wavefront6targetE0EEEvT1_.private_seg_size, 0
	.set _ZN7rocprim17ROCPRIM_400000_NS6detail17trampoline_kernelINS0_14default_configENS1_27scan_by_key_config_selectorIifEEZZNS1_16scan_by_key_implILNS1_25lookback_scan_determinismE0ELb1ES3_N6thrust23THRUST_200600_302600_NS6detail15normal_iteratorINS9_10device_ptrIiEEEENSB_INSC_IjEEEENSB_INSC_IfEEEEfNS9_4plusIvEENS9_8equal_toIvEEfEE10hipError_tPvRmT2_T3_T4_T5_mT6_T7_P12ihipStream_tbENKUlT_T0_E_clISt17integral_constantIbLb0EES12_IbLb1EEEEDaSY_SZ_EUlSY_E_NS1_11comp_targetILNS1_3genE3ELNS1_11target_archE908ELNS1_3gpuE7ELNS1_3repE0EEENS1_30default_config_static_selectorELNS0_4arch9wavefront6targetE0EEEvT1_.uses_vcc, 0
	.set _ZN7rocprim17ROCPRIM_400000_NS6detail17trampoline_kernelINS0_14default_configENS1_27scan_by_key_config_selectorIifEEZZNS1_16scan_by_key_implILNS1_25lookback_scan_determinismE0ELb1ES3_N6thrust23THRUST_200600_302600_NS6detail15normal_iteratorINS9_10device_ptrIiEEEENSB_INSC_IjEEEENSB_INSC_IfEEEEfNS9_4plusIvEENS9_8equal_toIvEEfEE10hipError_tPvRmT2_T3_T4_T5_mT6_T7_P12ihipStream_tbENKUlT_T0_E_clISt17integral_constantIbLb0EES12_IbLb1EEEEDaSY_SZ_EUlSY_E_NS1_11comp_targetILNS1_3genE3ELNS1_11target_archE908ELNS1_3gpuE7ELNS1_3repE0EEENS1_30default_config_static_selectorELNS0_4arch9wavefront6targetE0EEEvT1_.uses_flat_scratch, 0
	.set _ZN7rocprim17ROCPRIM_400000_NS6detail17trampoline_kernelINS0_14default_configENS1_27scan_by_key_config_selectorIifEEZZNS1_16scan_by_key_implILNS1_25lookback_scan_determinismE0ELb1ES3_N6thrust23THRUST_200600_302600_NS6detail15normal_iteratorINS9_10device_ptrIiEEEENSB_INSC_IjEEEENSB_INSC_IfEEEEfNS9_4plusIvEENS9_8equal_toIvEEfEE10hipError_tPvRmT2_T3_T4_T5_mT6_T7_P12ihipStream_tbENKUlT_T0_E_clISt17integral_constantIbLb0EES12_IbLb1EEEEDaSY_SZ_EUlSY_E_NS1_11comp_targetILNS1_3genE3ELNS1_11target_archE908ELNS1_3gpuE7ELNS1_3repE0EEENS1_30default_config_static_selectorELNS0_4arch9wavefront6targetE0EEEvT1_.has_dyn_sized_stack, 0
	.set _ZN7rocprim17ROCPRIM_400000_NS6detail17trampoline_kernelINS0_14default_configENS1_27scan_by_key_config_selectorIifEEZZNS1_16scan_by_key_implILNS1_25lookback_scan_determinismE0ELb1ES3_N6thrust23THRUST_200600_302600_NS6detail15normal_iteratorINS9_10device_ptrIiEEEENSB_INSC_IjEEEENSB_INSC_IfEEEEfNS9_4plusIvEENS9_8equal_toIvEEfEE10hipError_tPvRmT2_T3_T4_T5_mT6_T7_P12ihipStream_tbENKUlT_T0_E_clISt17integral_constantIbLb0EES12_IbLb1EEEEDaSY_SZ_EUlSY_E_NS1_11comp_targetILNS1_3genE3ELNS1_11target_archE908ELNS1_3gpuE7ELNS1_3repE0EEENS1_30default_config_static_selectorELNS0_4arch9wavefront6targetE0EEEvT1_.has_recursion, 0
	.set _ZN7rocprim17ROCPRIM_400000_NS6detail17trampoline_kernelINS0_14default_configENS1_27scan_by_key_config_selectorIifEEZZNS1_16scan_by_key_implILNS1_25lookback_scan_determinismE0ELb1ES3_N6thrust23THRUST_200600_302600_NS6detail15normal_iteratorINS9_10device_ptrIiEEEENSB_INSC_IjEEEENSB_INSC_IfEEEEfNS9_4plusIvEENS9_8equal_toIvEEfEE10hipError_tPvRmT2_T3_T4_T5_mT6_T7_P12ihipStream_tbENKUlT_T0_E_clISt17integral_constantIbLb0EES12_IbLb1EEEEDaSY_SZ_EUlSY_E_NS1_11comp_targetILNS1_3genE3ELNS1_11target_archE908ELNS1_3gpuE7ELNS1_3repE0EEENS1_30default_config_static_selectorELNS0_4arch9wavefront6targetE0EEEvT1_.has_indirect_call, 0
	.section	.AMDGPU.csdata,"",@progbits
; Kernel info:
; codeLenInByte = 0
; TotalNumSgprs: 0
; NumVgprs: 0
; ScratchSize: 0
; MemoryBound: 0
; FloatMode: 240
; IeeeMode: 1
; LDSByteSize: 0 bytes/workgroup (compile time only)
; SGPRBlocks: 0
; VGPRBlocks: 0
; NumSGPRsForWavesPerEU: 1
; NumVGPRsForWavesPerEU: 1
; Occupancy: 16
; WaveLimiterHint : 0
; COMPUTE_PGM_RSRC2:SCRATCH_EN: 0
; COMPUTE_PGM_RSRC2:USER_SGPR: 6
; COMPUTE_PGM_RSRC2:TRAP_HANDLER: 0
; COMPUTE_PGM_RSRC2:TGID_X_EN: 1
; COMPUTE_PGM_RSRC2:TGID_Y_EN: 0
; COMPUTE_PGM_RSRC2:TGID_Z_EN: 0
; COMPUTE_PGM_RSRC2:TIDIG_COMP_CNT: 0
	.section	.text._ZN7rocprim17ROCPRIM_400000_NS6detail17trampoline_kernelINS0_14default_configENS1_27scan_by_key_config_selectorIifEEZZNS1_16scan_by_key_implILNS1_25lookback_scan_determinismE0ELb1ES3_N6thrust23THRUST_200600_302600_NS6detail15normal_iteratorINS9_10device_ptrIiEEEENSB_INSC_IjEEEENSB_INSC_IfEEEEfNS9_4plusIvEENS9_8equal_toIvEEfEE10hipError_tPvRmT2_T3_T4_T5_mT6_T7_P12ihipStream_tbENKUlT_T0_E_clISt17integral_constantIbLb0EES12_IbLb1EEEEDaSY_SZ_EUlSY_E_NS1_11comp_targetILNS1_3genE2ELNS1_11target_archE906ELNS1_3gpuE6ELNS1_3repE0EEENS1_30default_config_static_selectorELNS0_4arch9wavefront6targetE0EEEvT1_,"axG",@progbits,_ZN7rocprim17ROCPRIM_400000_NS6detail17trampoline_kernelINS0_14default_configENS1_27scan_by_key_config_selectorIifEEZZNS1_16scan_by_key_implILNS1_25lookback_scan_determinismE0ELb1ES3_N6thrust23THRUST_200600_302600_NS6detail15normal_iteratorINS9_10device_ptrIiEEEENSB_INSC_IjEEEENSB_INSC_IfEEEEfNS9_4plusIvEENS9_8equal_toIvEEfEE10hipError_tPvRmT2_T3_T4_T5_mT6_T7_P12ihipStream_tbENKUlT_T0_E_clISt17integral_constantIbLb0EES12_IbLb1EEEEDaSY_SZ_EUlSY_E_NS1_11comp_targetILNS1_3genE2ELNS1_11target_archE906ELNS1_3gpuE6ELNS1_3repE0EEENS1_30default_config_static_selectorELNS0_4arch9wavefront6targetE0EEEvT1_,comdat
	.protected	_ZN7rocprim17ROCPRIM_400000_NS6detail17trampoline_kernelINS0_14default_configENS1_27scan_by_key_config_selectorIifEEZZNS1_16scan_by_key_implILNS1_25lookback_scan_determinismE0ELb1ES3_N6thrust23THRUST_200600_302600_NS6detail15normal_iteratorINS9_10device_ptrIiEEEENSB_INSC_IjEEEENSB_INSC_IfEEEEfNS9_4plusIvEENS9_8equal_toIvEEfEE10hipError_tPvRmT2_T3_T4_T5_mT6_T7_P12ihipStream_tbENKUlT_T0_E_clISt17integral_constantIbLb0EES12_IbLb1EEEEDaSY_SZ_EUlSY_E_NS1_11comp_targetILNS1_3genE2ELNS1_11target_archE906ELNS1_3gpuE6ELNS1_3repE0EEENS1_30default_config_static_selectorELNS0_4arch9wavefront6targetE0EEEvT1_ ; -- Begin function _ZN7rocprim17ROCPRIM_400000_NS6detail17trampoline_kernelINS0_14default_configENS1_27scan_by_key_config_selectorIifEEZZNS1_16scan_by_key_implILNS1_25lookback_scan_determinismE0ELb1ES3_N6thrust23THRUST_200600_302600_NS6detail15normal_iteratorINS9_10device_ptrIiEEEENSB_INSC_IjEEEENSB_INSC_IfEEEEfNS9_4plusIvEENS9_8equal_toIvEEfEE10hipError_tPvRmT2_T3_T4_T5_mT6_T7_P12ihipStream_tbENKUlT_T0_E_clISt17integral_constantIbLb0EES12_IbLb1EEEEDaSY_SZ_EUlSY_E_NS1_11comp_targetILNS1_3genE2ELNS1_11target_archE906ELNS1_3gpuE6ELNS1_3repE0EEENS1_30default_config_static_selectorELNS0_4arch9wavefront6targetE0EEEvT1_
	.globl	_ZN7rocprim17ROCPRIM_400000_NS6detail17trampoline_kernelINS0_14default_configENS1_27scan_by_key_config_selectorIifEEZZNS1_16scan_by_key_implILNS1_25lookback_scan_determinismE0ELb1ES3_N6thrust23THRUST_200600_302600_NS6detail15normal_iteratorINS9_10device_ptrIiEEEENSB_INSC_IjEEEENSB_INSC_IfEEEEfNS9_4plusIvEENS9_8equal_toIvEEfEE10hipError_tPvRmT2_T3_T4_T5_mT6_T7_P12ihipStream_tbENKUlT_T0_E_clISt17integral_constantIbLb0EES12_IbLb1EEEEDaSY_SZ_EUlSY_E_NS1_11comp_targetILNS1_3genE2ELNS1_11target_archE906ELNS1_3gpuE6ELNS1_3repE0EEENS1_30default_config_static_selectorELNS0_4arch9wavefront6targetE0EEEvT1_
	.p2align	8
	.type	_ZN7rocprim17ROCPRIM_400000_NS6detail17trampoline_kernelINS0_14default_configENS1_27scan_by_key_config_selectorIifEEZZNS1_16scan_by_key_implILNS1_25lookback_scan_determinismE0ELb1ES3_N6thrust23THRUST_200600_302600_NS6detail15normal_iteratorINS9_10device_ptrIiEEEENSB_INSC_IjEEEENSB_INSC_IfEEEEfNS9_4plusIvEENS9_8equal_toIvEEfEE10hipError_tPvRmT2_T3_T4_T5_mT6_T7_P12ihipStream_tbENKUlT_T0_E_clISt17integral_constantIbLb0EES12_IbLb1EEEEDaSY_SZ_EUlSY_E_NS1_11comp_targetILNS1_3genE2ELNS1_11target_archE906ELNS1_3gpuE6ELNS1_3repE0EEENS1_30default_config_static_selectorELNS0_4arch9wavefront6targetE0EEEvT1_,@function
_ZN7rocprim17ROCPRIM_400000_NS6detail17trampoline_kernelINS0_14default_configENS1_27scan_by_key_config_selectorIifEEZZNS1_16scan_by_key_implILNS1_25lookback_scan_determinismE0ELb1ES3_N6thrust23THRUST_200600_302600_NS6detail15normal_iteratorINS9_10device_ptrIiEEEENSB_INSC_IjEEEENSB_INSC_IfEEEEfNS9_4plusIvEENS9_8equal_toIvEEfEE10hipError_tPvRmT2_T3_T4_T5_mT6_T7_P12ihipStream_tbENKUlT_T0_E_clISt17integral_constantIbLb0EES12_IbLb1EEEEDaSY_SZ_EUlSY_E_NS1_11comp_targetILNS1_3genE2ELNS1_11target_archE906ELNS1_3gpuE6ELNS1_3repE0EEENS1_30default_config_static_selectorELNS0_4arch9wavefront6targetE0EEEvT1_: ; @_ZN7rocprim17ROCPRIM_400000_NS6detail17trampoline_kernelINS0_14default_configENS1_27scan_by_key_config_selectorIifEEZZNS1_16scan_by_key_implILNS1_25lookback_scan_determinismE0ELb1ES3_N6thrust23THRUST_200600_302600_NS6detail15normal_iteratorINS9_10device_ptrIiEEEENSB_INSC_IjEEEENSB_INSC_IfEEEEfNS9_4plusIvEENS9_8equal_toIvEEfEE10hipError_tPvRmT2_T3_T4_T5_mT6_T7_P12ihipStream_tbENKUlT_T0_E_clISt17integral_constantIbLb0EES12_IbLb1EEEEDaSY_SZ_EUlSY_E_NS1_11comp_targetILNS1_3genE2ELNS1_11target_archE906ELNS1_3gpuE6ELNS1_3repE0EEENS1_30default_config_static_selectorELNS0_4arch9wavefront6targetE0EEEvT1_
; %bb.0:
	.section	.rodata,"a",@progbits
	.p2align	6, 0x0
	.amdhsa_kernel _ZN7rocprim17ROCPRIM_400000_NS6detail17trampoline_kernelINS0_14default_configENS1_27scan_by_key_config_selectorIifEEZZNS1_16scan_by_key_implILNS1_25lookback_scan_determinismE0ELb1ES3_N6thrust23THRUST_200600_302600_NS6detail15normal_iteratorINS9_10device_ptrIiEEEENSB_INSC_IjEEEENSB_INSC_IfEEEEfNS9_4plusIvEENS9_8equal_toIvEEfEE10hipError_tPvRmT2_T3_T4_T5_mT6_T7_P12ihipStream_tbENKUlT_T0_E_clISt17integral_constantIbLb0EES12_IbLb1EEEEDaSY_SZ_EUlSY_E_NS1_11comp_targetILNS1_3genE2ELNS1_11target_archE906ELNS1_3gpuE6ELNS1_3repE0EEENS1_30default_config_static_selectorELNS0_4arch9wavefront6targetE0EEEvT1_
		.amdhsa_group_segment_fixed_size 0
		.amdhsa_private_segment_fixed_size 0
		.amdhsa_kernarg_size 112
		.amdhsa_user_sgpr_count 6
		.amdhsa_user_sgpr_private_segment_buffer 1
		.amdhsa_user_sgpr_dispatch_ptr 0
		.amdhsa_user_sgpr_queue_ptr 0
		.amdhsa_user_sgpr_kernarg_segment_ptr 1
		.amdhsa_user_sgpr_dispatch_id 0
		.amdhsa_user_sgpr_flat_scratch_init 0
		.amdhsa_user_sgpr_private_segment_size 0
		.amdhsa_wavefront_size32 1
		.amdhsa_uses_dynamic_stack 0
		.amdhsa_system_sgpr_private_segment_wavefront_offset 0
		.amdhsa_system_sgpr_workgroup_id_x 1
		.amdhsa_system_sgpr_workgroup_id_y 0
		.amdhsa_system_sgpr_workgroup_id_z 0
		.amdhsa_system_sgpr_workgroup_info 0
		.amdhsa_system_vgpr_workitem_id 0
		.amdhsa_next_free_vgpr 1
		.amdhsa_next_free_sgpr 1
		.amdhsa_reserve_vcc 0
		.amdhsa_reserve_flat_scratch 0
		.amdhsa_float_round_mode_32 0
		.amdhsa_float_round_mode_16_64 0
		.amdhsa_float_denorm_mode_32 3
		.amdhsa_float_denorm_mode_16_64 3
		.amdhsa_dx10_clamp 1
		.amdhsa_ieee_mode 1
		.amdhsa_fp16_overflow 0
		.amdhsa_workgroup_processor_mode 1
		.amdhsa_memory_ordered 1
		.amdhsa_forward_progress 1
		.amdhsa_shared_vgpr_count 0
		.amdhsa_exception_fp_ieee_invalid_op 0
		.amdhsa_exception_fp_denorm_src 0
		.amdhsa_exception_fp_ieee_div_zero 0
		.amdhsa_exception_fp_ieee_overflow 0
		.amdhsa_exception_fp_ieee_underflow 0
		.amdhsa_exception_fp_ieee_inexact 0
		.amdhsa_exception_int_div_zero 0
	.end_amdhsa_kernel
	.section	.text._ZN7rocprim17ROCPRIM_400000_NS6detail17trampoline_kernelINS0_14default_configENS1_27scan_by_key_config_selectorIifEEZZNS1_16scan_by_key_implILNS1_25lookback_scan_determinismE0ELb1ES3_N6thrust23THRUST_200600_302600_NS6detail15normal_iteratorINS9_10device_ptrIiEEEENSB_INSC_IjEEEENSB_INSC_IfEEEEfNS9_4plusIvEENS9_8equal_toIvEEfEE10hipError_tPvRmT2_T3_T4_T5_mT6_T7_P12ihipStream_tbENKUlT_T0_E_clISt17integral_constantIbLb0EES12_IbLb1EEEEDaSY_SZ_EUlSY_E_NS1_11comp_targetILNS1_3genE2ELNS1_11target_archE906ELNS1_3gpuE6ELNS1_3repE0EEENS1_30default_config_static_selectorELNS0_4arch9wavefront6targetE0EEEvT1_,"axG",@progbits,_ZN7rocprim17ROCPRIM_400000_NS6detail17trampoline_kernelINS0_14default_configENS1_27scan_by_key_config_selectorIifEEZZNS1_16scan_by_key_implILNS1_25lookback_scan_determinismE0ELb1ES3_N6thrust23THRUST_200600_302600_NS6detail15normal_iteratorINS9_10device_ptrIiEEEENSB_INSC_IjEEEENSB_INSC_IfEEEEfNS9_4plusIvEENS9_8equal_toIvEEfEE10hipError_tPvRmT2_T3_T4_T5_mT6_T7_P12ihipStream_tbENKUlT_T0_E_clISt17integral_constantIbLb0EES12_IbLb1EEEEDaSY_SZ_EUlSY_E_NS1_11comp_targetILNS1_3genE2ELNS1_11target_archE906ELNS1_3gpuE6ELNS1_3repE0EEENS1_30default_config_static_selectorELNS0_4arch9wavefront6targetE0EEEvT1_,comdat
.Lfunc_end1712:
	.size	_ZN7rocprim17ROCPRIM_400000_NS6detail17trampoline_kernelINS0_14default_configENS1_27scan_by_key_config_selectorIifEEZZNS1_16scan_by_key_implILNS1_25lookback_scan_determinismE0ELb1ES3_N6thrust23THRUST_200600_302600_NS6detail15normal_iteratorINS9_10device_ptrIiEEEENSB_INSC_IjEEEENSB_INSC_IfEEEEfNS9_4plusIvEENS9_8equal_toIvEEfEE10hipError_tPvRmT2_T3_T4_T5_mT6_T7_P12ihipStream_tbENKUlT_T0_E_clISt17integral_constantIbLb0EES12_IbLb1EEEEDaSY_SZ_EUlSY_E_NS1_11comp_targetILNS1_3genE2ELNS1_11target_archE906ELNS1_3gpuE6ELNS1_3repE0EEENS1_30default_config_static_selectorELNS0_4arch9wavefront6targetE0EEEvT1_, .Lfunc_end1712-_ZN7rocprim17ROCPRIM_400000_NS6detail17trampoline_kernelINS0_14default_configENS1_27scan_by_key_config_selectorIifEEZZNS1_16scan_by_key_implILNS1_25lookback_scan_determinismE0ELb1ES3_N6thrust23THRUST_200600_302600_NS6detail15normal_iteratorINS9_10device_ptrIiEEEENSB_INSC_IjEEEENSB_INSC_IfEEEEfNS9_4plusIvEENS9_8equal_toIvEEfEE10hipError_tPvRmT2_T3_T4_T5_mT6_T7_P12ihipStream_tbENKUlT_T0_E_clISt17integral_constantIbLb0EES12_IbLb1EEEEDaSY_SZ_EUlSY_E_NS1_11comp_targetILNS1_3genE2ELNS1_11target_archE906ELNS1_3gpuE6ELNS1_3repE0EEENS1_30default_config_static_selectorELNS0_4arch9wavefront6targetE0EEEvT1_
                                        ; -- End function
	.set _ZN7rocprim17ROCPRIM_400000_NS6detail17trampoline_kernelINS0_14default_configENS1_27scan_by_key_config_selectorIifEEZZNS1_16scan_by_key_implILNS1_25lookback_scan_determinismE0ELb1ES3_N6thrust23THRUST_200600_302600_NS6detail15normal_iteratorINS9_10device_ptrIiEEEENSB_INSC_IjEEEENSB_INSC_IfEEEEfNS9_4plusIvEENS9_8equal_toIvEEfEE10hipError_tPvRmT2_T3_T4_T5_mT6_T7_P12ihipStream_tbENKUlT_T0_E_clISt17integral_constantIbLb0EES12_IbLb1EEEEDaSY_SZ_EUlSY_E_NS1_11comp_targetILNS1_3genE2ELNS1_11target_archE906ELNS1_3gpuE6ELNS1_3repE0EEENS1_30default_config_static_selectorELNS0_4arch9wavefront6targetE0EEEvT1_.num_vgpr, 0
	.set _ZN7rocprim17ROCPRIM_400000_NS6detail17trampoline_kernelINS0_14default_configENS1_27scan_by_key_config_selectorIifEEZZNS1_16scan_by_key_implILNS1_25lookback_scan_determinismE0ELb1ES3_N6thrust23THRUST_200600_302600_NS6detail15normal_iteratorINS9_10device_ptrIiEEEENSB_INSC_IjEEEENSB_INSC_IfEEEEfNS9_4plusIvEENS9_8equal_toIvEEfEE10hipError_tPvRmT2_T3_T4_T5_mT6_T7_P12ihipStream_tbENKUlT_T0_E_clISt17integral_constantIbLb0EES12_IbLb1EEEEDaSY_SZ_EUlSY_E_NS1_11comp_targetILNS1_3genE2ELNS1_11target_archE906ELNS1_3gpuE6ELNS1_3repE0EEENS1_30default_config_static_selectorELNS0_4arch9wavefront6targetE0EEEvT1_.num_agpr, 0
	.set _ZN7rocprim17ROCPRIM_400000_NS6detail17trampoline_kernelINS0_14default_configENS1_27scan_by_key_config_selectorIifEEZZNS1_16scan_by_key_implILNS1_25lookback_scan_determinismE0ELb1ES3_N6thrust23THRUST_200600_302600_NS6detail15normal_iteratorINS9_10device_ptrIiEEEENSB_INSC_IjEEEENSB_INSC_IfEEEEfNS9_4plusIvEENS9_8equal_toIvEEfEE10hipError_tPvRmT2_T3_T4_T5_mT6_T7_P12ihipStream_tbENKUlT_T0_E_clISt17integral_constantIbLb0EES12_IbLb1EEEEDaSY_SZ_EUlSY_E_NS1_11comp_targetILNS1_3genE2ELNS1_11target_archE906ELNS1_3gpuE6ELNS1_3repE0EEENS1_30default_config_static_selectorELNS0_4arch9wavefront6targetE0EEEvT1_.numbered_sgpr, 0
	.set _ZN7rocprim17ROCPRIM_400000_NS6detail17trampoline_kernelINS0_14default_configENS1_27scan_by_key_config_selectorIifEEZZNS1_16scan_by_key_implILNS1_25lookback_scan_determinismE0ELb1ES3_N6thrust23THRUST_200600_302600_NS6detail15normal_iteratorINS9_10device_ptrIiEEEENSB_INSC_IjEEEENSB_INSC_IfEEEEfNS9_4plusIvEENS9_8equal_toIvEEfEE10hipError_tPvRmT2_T3_T4_T5_mT6_T7_P12ihipStream_tbENKUlT_T0_E_clISt17integral_constantIbLb0EES12_IbLb1EEEEDaSY_SZ_EUlSY_E_NS1_11comp_targetILNS1_3genE2ELNS1_11target_archE906ELNS1_3gpuE6ELNS1_3repE0EEENS1_30default_config_static_selectorELNS0_4arch9wavefront6targetE0EEEvT1_.num_named_barrier, 0
	.set _ZN7rocprim17ROCPRIM_400000_NS6detail17trampoline_kernelINS0_14default_configENS1_27scan_by_key_config_selectorIifEEZZNS1_16scan_by_key_implILNS1_25lookback_scan_determinismE0ELb1ES3_N6thrust23THRUST_200600_302600_NS6detail15normal_iteratorINS9_10device_ptrIiEEEENSB_INSC_IjEEEENSB_INSC_IfEEEEfNS9_4plusIvEENS9_8equal_toIvEEfEE10hipError_tPvRmT2_T3_T4_T5_mT6_T7_P12ihipStream_tbENKUlT_T0_E_clISt17integral_constantIbLb0EES12_IbLb1EEEEDaSY_SZ_EUlSY_E_NS1_11comp_targetILNS1_3genE2ELNS1_11target_archE906ELNS1_3gpuE6ELNS1_3repE0EEENS1_30default_config_static_selectorELNS0_4arch9wavefront6targetE0EEEvT1_.private_seg_size, 0
	.set _ZN7rocprim17ROCPRIM_400000_NS6detail17trampoline_kernelINS0_14default_configENS1_27scan_by_key_config_selectorIifEEZZNS1_16scan_by_key_implILNS1_25lookback_scan_determinismE0ELb1ES3_N6thrust23THRUST_200600_302600_NS6detail15normal_iteratorINS9_10device_ptrIiEEEENSB_INSC_IjEEEENSB_INSC_IfEEEEfNS9_4plusIvEENS9_8equal_toIvEEfEE10hipError_tPvRmT2_T3_T4_T5_mT6_T7_P12ihipStream_tbENKUlT_T0_E_clISt17integral_constantIbLb0EES12_IbLb1EEEEDaSY_SZ_EUlSY_E_NS1_11comp_targetILNS1_3genE2ELNS1_11target_archE906ELNS1_3gpuE6ELNS1_3repE0EEENS1_30default_config_static_selectorELNS0_4arch9wavefront6targetE0EEEvT1_.uses_vcc, 0
	.set _ZN7rocprim17ROCPRIM_400000_NS6detail17trampoline_kernelINS0_14default_configENS1_27scan_by_key_config_selectorIifEEZZNS1_16scan_by_key_implILNS1_25lookback_scan_determinismE0ELb1ES3_N6thrust23THRUST_200600_302600_NS6detail15normal_iteratorINS9_10device_ptrIiEEEENSB_INSC_IjEEEENSB_INSC_IfEEEEfNS9_4plusIvEENS9_8equal_toIvEEfEE10hipError_tPvRmT2_T3_T4_T5_mT6_T7_P12ihipStream_tbENKUlT_T0_E_clISt17integral_constantIbLb0EES12_IbLb1EEEEDaSY_SZ_EUlSY_E_NS1_11comp_targetILNS1_3genE2ELNS1_11target_archE906ELNS1_3gpuE6ELNS1_3repE0EEENS1_30default_config_static_selectorELNS0_4arch9wavefront6targetE0EEEvT1_.uses_flat_scratch, 0
	.set _ZN7rocprim17ROCPRIM_400000_NS6detail17trampoline_kernelINS0_14default_configENS1_27scan_by_key_config_selectorIifEEZZNS1_16scan_by_key_implILNS1_25lookback_scan_determinismE0ELb1ES3_N6thrust23THRUST_200600_302600_NS6detail15normal_iteratorINS9_10device_ptrIiEEEENSB_INSC_IjEEEENSB_INSC_IfEEEEfNS9_4plusIvEENS9_8equal_toIvEEfEE10hipError_tPvRmT2_T3_T4_T5_mT6_T7_P12ihipStream_tbENKUlT_T0_E_clISt17integral_constantIbLb0EES12_IbLb1EEEEDaSY_SZ_EUlSY_E_NS1_11comp_targetILNS1_3genE2ELNS1_11target_archE906ELNS1_3gpuE6ELNS1_3repE0EEENS1_30default_config_static_selectorELNS0_4arch9wavefront6targetE0EEEvT1_.has_dyn_sized_stack, 0
	.set _ZN7rocprim17ROCPRIM_400000_NS6detail17trampoline_kernelINS0_14default_configENS1_27scan_by_key_config_selectorIifEEZZNS1_16scan_by_key_implILNS1_25lookback_scan_determinismE0ELb1ES3_N6thrust23THRUST_200600_302600_NS6detail15normal_iteratorINS9_10device_ptrIiEEEENSB_INSC_IjEEEENSB_INSC_IfEEEEfNS9_4plusIvEENS9_8equal_toIvEEfEE10hipError_tPvRmT2_T3_T4_T5_mT6_T7_P12ihipStream_tbENKUlT_T0_E_clISt17integral_constantIbLb0EES12_IbLb1EEEEDaSY_SZ_EUlSY_E_NS1_11comp_targetILNS1_3genE2ELNS1_11target_archE906ELNS1_3gpuE6ELNS1_3repE0EEENS1_30default_config_static_selectorELNS0_4arch9wavefront6targetE0EEEvT1_.has_recursion, 0
	.set _ZN7rocprim17ROCPRIM_400000_NS6detail17trampoline_kernelINS0_14default_configENS1_27scan_by_key_config_selectorIifEEZZNS1_16scan_by_key_implILNS1_25lookback_scan_determinismE0ELb1ES3_N6thrust23THRUST_200600_302600_NS6detail15normal_iteratorINS9_10device_ptrIiEEEENSB_INSC_IjEEEENSB_INSC_IfEEEEfNS9_4plusIvEENS9_8equal_toIvEEfEE10hipError_tPvRmT2_T3_T4_T5_mT6_T7_P12ihipStream_tbENKUlT_T0_E_clISt17integral_constantIbLb0EES12_IbLb1EEEEDaSY_SZ_EUlSY_E_NS1_11comp_targetILNS1_3genE2ELNS1_11target_archE906ELNS1_3gpuE6ELNS1_3repE0EEENS1_30default_config_static_selectorELNS0_4arch9wavefront6targetE0EEEvT1_.has_indirect_call, 0
	.section	.AMDGPU.csdata,"",@progbits
; Kernel info:
; codeLenInByte = 0
; TotalNumSgprs: 0
; NumVgprs: 0
; ScratchSize: 0
; MemoryBound: 0
; FloatMode: 240
; IeeeMode: 1
; LDSByteSize: 0 bytes/workgroup (compile time only)
; SGPRBlocks: 0
; VGPRBlocks: 0
; NumSGPRsForWavesPerEU: 1
; NumVGPRsForWavesPerEU: 1
; Occupancy: 16
; WaveLimiterHint : 0
; COMPUTE_PGM_RSRC2:SCRATCH_EN: 0
; COMPUTE_PGM_RSRC2:USER_SGPR: 6
; COMPUTE_PGM_RSRC2:TRAP_HANDLER: 0
; COMPUTE_PGM_RSRC2:TGID_X_EN: 1
; COMPUTE_PGM_RSRC2:TGID_Y_EN: 0
; COMPUTE_PGM_RSRC2:TGID_Z_EN: 0
; COMPUTE_PGM_RSRC2:TIDIG_COMP_CNT: 0
	.section	.text._ZN7rocprim17ROCPRIM_400000_NS6detail17trampoline_kernelINS0_14default_configENS1_27scan_by_key_config_selectorIifEEZZNS1_16scan_by_key_implILNS1_25lookback_scan_determinismE0ELb1ES3_N6thrust23THRUST_200600_302600_NS6detail15normal_iteratorINS9_10device_ptrIiEEEENSB_INSC_IjEEEENSB_INSC_IfEEEEfNS9_4plusIvEENS9_8equal_toIvEEfEE10hipError_tPvRmT2_T3_T4_T5_mT6_T7_P12ihipStream_tbENKUlT_T0_E_clISt17integral_constantIbLb0EES12_IbLb1EEEEDaSY_SZ_EUlSY_E_NS1_11comp_targetILNS1_3genE10ELNS1_11target_archE1200ELNS1_3gpuE4ELNS1_3repE0EEENS1_30default_config_static_selectorELNS0_4arch9wavefront6targetE0EEEvT1_,"axG",@progbits,_ZN7rocprim17ROCPRIM_400000_NS6detail17trampoline_kernelINS0_14default_configENS1_27scan_by_key_config_selectorIifEEZZNS1_16scan_by_key_implILNS1_25lookback_scan_determinismE0ELb1ES3_N6thrust23THRUST_200600_302600_NS6detail15normal_iteratorINS9_10device_ptrIiEEEENSB_INSC_IjEEEENSB_INSC_IfEEEEfNS9_4plusIvEENS9_8equal_toIvEEfEE10hipError_tPvRmT2_T3_T4_T5_mT6_T7_P12ihipStream_tbENKUlT_T0_E_clISt17integral_constantIbLb0EES12_IbLb1EEEEDaSY_SZ_EUlSY_E_NS1_11comp_targetILNS1_3genE10ELNS1_11target_archE1200ELNS1_3gpuE4ELNS1_3repE0EEENS1_30default_config_static_selectorELNS0_4arch9wavefront6targetE0EEEvT1_,comdat
	.protected	_ZN7rocprim17ROCPRIM_400000_NS6detail17trampoline_kernelINS0_14default_configENS1_27scan_by_key_config_selectorIifEEZZNS1_16scan_by_key_implILNS1_25lookback_scan_determinismE0ELb1ES3_N6thrust23THRUST_200600_302600_NS6detail15normal_iteratorINS9_10device_ptrIiEEEENSB_INSC_IjEEEENSB_INSC_IfEEEEfNS9_4plusIvEENS9_8equal_toIvEEfEE10hipError_tPvRmT2_T3_T4_T5_mT6_T7_P12ihipStream_tbENKUlT_T0_E_clISt17integral_constantIbLb0EES12_IbLb1EEEEDaSY_SZ_EUlSY_E_NS1_11comp_targetILNS1_3genE10ELNS1_11target_archE1200ELNS1_3gpuE4ELNS1_3repE0EEENS1_30default_config_static_selectorELNS0_4arch9wavefront6targetE0EEEvT1_ ; -- Begin function _ZN7rocprim17ROCPRIM_400000_NS6detail17trampoline_kernelINS0_14default_configENS1_27scan_by_key_config_selectorIifEEZZNS1_16scan_by_key_implILNS1_25lookback_scan_determinismE0ELb1ES3_N6thrust23THRUST_200600_302600_NS6detail15normal_iteratorINS9_10device_ptrIiEEEENSB_INSC_IjEEEENSB_INSC_IfEEEEfNS9_4plusIvEENS9_8equal_toIvEEfEE10hipError_tPvRmT2_T3_T4_T5_mT6_T7_P12ihipStream_tbENKUlT_T0_E_clISt17integral_constantIbLb0EES12_IbLb1EEEEDaSY_SZ_EUlSY_E_NS1_11comp_targetILNS1_3genE10ELNS1_11target_archE1200ELNS1_3gpuE4ELNS1_3repE0EEENS1_30default_config_static_selectorELNS0_4arch9wavefront6targetE0EEEvT1_
	.globl	_ZN7rocprim17ROCPRIM_400000_NS6detail17trampoline_kernelINS0_14default_configENS1_27scan_by_key_config_selectorIifEEZZNS1_16scan_by_key_implILNS1_25lookback_scan_determinismE0ELb1ES3_N6thrust23THRUST_200600_302600_NS6detail15normal_iteratorINS9_10device_ptrIiEEEENSB_INSC_IjEEEENSB_INSC_IfEEEEfNS9_4plusIvEENS9_8equal_toIvEEfEE10hipError_tPvRmT2_T3_T4_T5_mT6_T7_P12ihipStream_tbENKUlT_T0_E_clISt17integral_constantIbLb0EES12_IbLb1EEEEDaSY_SZ_EUlSY_E_NS1_11comp_targetILNS1_3genE10ELNS1_11target_archE1200ELNS1_3gpuE4ELNS1_3repE0EEENS1_30default_config_static_selectorELNS0_4arch9wavefront6targetE0EEEvT1_
	.p2align	8
	.type	_ZN7rocprim17ROCPRIM_400000_NS6detail17trampoline_kernelINS0_14default_configENS1_27scan_by_key_config_selectorIifEEZZNS1_16scan_by_key_implILNS1_25lookback_scan_determinismE0ELb1ES3_N6thrust23THRUST_200600_302600_NS6detail15normal_iteratorINS9_10device_ptrIiEEEENSB_INSC_IjEEEENSB_INSC_IfEEEEfNS9_4plusIvEENS9_8equal_toIvEEfEE10hipError_tPvRmT2_T3_T4_T5_mT6_T7_P12ihipStream_tbENKUlT_T0_E_clISt17integral_constantIbLb0EES12_IbLb1EEEEDaSY_SZ_EUlSY_E_NS1_11comp_targetILNS1_3genE10ELNS1_11target_archE1200ELNS1_3gpuE4ELNS1_3repE0EEENS1_30default_config_static_selectorELNS0_4arch9wavefront6targetE0EEEvT1_,@function
_ZN7rocprim17ROCPRIM_400000_NS6detail17trampoline_kernelINS0_14default_configENS1_27scan_by_key_config_selectorIifEEZZNS1_16scan_by_key_implILNS1_25lookback_scan_determinismE0ELb1ES3_N6thrust23THRUST_200600_302600_NS6detail15normal_iteratorINS9_10device_ptrIiEEEENSB_INSC_IjEEEENSB_INSC_IfEEEEfNS9_4plusIvEENS9_8equal_toIvEEfEE10hipError_tPvRmT2_T3_T4_T5_mT6_T7_P12ihipStream_tbENKUlT_T0_E_clISt17integral_constantIbLb0EES12_IbLb1EEEEDaSY_SZ_EUlSY_E_NS1_11comp_targetILNS1_3genE10ELNS1_11target_archE1200ELNS1_3gpuE4ELNS1_3repE0EEENS1_30default_config_static_selectorELNS0_4arch9wavefront6targetE0EEEvT1_: ; @_ZN7rocprim17ROCPRIM_400000_NS6detail17trampoline_kernelINS0_14default_configENS1_27scan_by_key_config_selectorIifEEZZNS1_16scan_by_key_implILNS1_25lookback_scan_determinismE0ELb1ES3_N6thrust23THRUST_200600_302600_NS6detail15normal_iteratorINS9_10device_ptrIiEEEENSB_INSC_IjEEEENSB_INSC_IfEEEEfNS9_4plusIvEENS9_8equal_toIvEEfEE10hipError_tPvRmT2_T3_T4_T5_mT6_T7_P12ihipStream_tbENKUlT_T0_E_clISt17integral_constantIbLb0EES12_IbLb1EEEEDaSY_SZ_EUlSY_E_NS1_11comp_targetILNS1_3genE10ELNS1_11target_archE1200ELNS1_3gpuE4ELNS1_3repE0EEENS1_30default_config_static_selectorELNS0_4arch9wavefront6targetE0EEEvT1_
; %bb.0:
	.section	.rodata,"a",@progbits
	.p2align	6, 0x0
	.amdhsa_kernel _ZN7rocprim17ROCPRIM_400000_NS6detail17trampoline_kernelINS0_14default_configENS1_27scan_by_key_config_selectorIifEEZZNS1_16scan_by_key_implILNS1_25lookback_scan_determinismE0ELb1ES3_N6thrust23THRUST_200600_302600_NS6detail15normal_iteratorINS9_10device_ptrIiEEEENSB_INSC_IjEEEENSB_INSC_IfEEEEfNS9_4plusIvEENS9_8equal_toIvEEfEE10hipError_tPvRmT2_T3_T4_T5_mT6_T7_P12ihipStream_tbENKUlT_T0_E_clISt17integral_constantIbLb0EES12_IbLb1EEEEDaSY_SZ_EUlSY_E_NS1_11comp_targetILNS1_3genE10ELNS1_11target_archE1200ELNS1_3gpuE4ELNS1_3repE0EEENS1_30default_config_static_selectorELNS0_4arch9wavefront6targetE0EEEvT1_
		.amdhsa_group_segment_fixed_size 0
		.amdhsa_private_segment_fixed_size 0
		.amdhsa_kernarg_size 112
		.amdhsa_user_sgpr_count 6
		.amdhsa_user_sgpr_private_segment_buffer 1
		.amdhsa_user_sgpr_dispatch_ptr 0
		.amdhsa_user_sgpr_queue_ptr 0
		.amdhsa_user_sgpr_kernarg_segment_ptr 1
		.amdhsa_user_sgpr_dispatch_id 0
		.amdhsa_user_sgpr_flat_scratch_init 0
		.amdhsa_user_sgpr_private_segment_size 0
		.amdhsa_wavefront_size32 1
		.amdhsa_uses_dynamic_stack 0
		.amdhsa_system_sgpr_private_segment_wavefront_offset 0
		.amdhsa_system_sgpr_workgroup_id_x 1
		.amdhsa_system_sgpr_workgroup_id_y 0
		.amdhsa_system_sgpr_workgroup_id_z 0
		.amdhsa_system_sgpr_workgroup_info 0
		.amdhsa_system_vgpr_workitem_id 0
		.amdhsa_next_free_vgpr 1
		.amdhsa_next_free_sgpr 1
		.amdhsa_reserve_vcc 0
		.amdhsa_reserve_flat_scratch 0
		.amdhsa_float_round_mode_32 0
		.amdhsa_float_round_mode_16_64 0
		.amdhsa_float_denorm_mode_32 3
		.amdhsa_float_denorm_mode_16_64 3
		.amdhsa_dx10_clamp 1
		.amdhsa_ieee_mode 1
		.amdhsa_fp16_overflow 0
		.amdhsa_workgroup_processor_mode 1
		.amdhsa_memory_ordered 1
		.amdhsa_forward_progress 1
		.amdhsa_shared_vgpr_count 0
		.amdhsa_exception_fp_ieee_invalid_op 0
		.amdhsa_exception_fp_denorm_src 0
		.amdhsa_exception_fp_ieee_div_zero 0
		.amdhsa_exception_fp_ieee_overflow 0
		.amdhsa_exception_fp_ieee_underflow 0
		.amdhsa_exception_fp_ieee_inexact 0
		.amdhsa_exception_int_div_zero 0
	.end_amdhsa_kernel
	.section	.text._ZN7rocprim17ROCPRIM_400000_NS6detail17trampoline_kernelINS0_14default_configENS1_27scan_by_key_config_selectorIifEEZZNS1_16scan_by_key_implILNS1_25lookback_scan_determinismE0ELb1ES3_N6thrust23THRUST_200600_302600_NS6detail15normal_iteratorINS9_10device_ptrIiEEEENSB_INSC_IjEEEENSB_INSC_IfEEEEfNS9_4plusIvEENS9_8equal_toIvEEfEE10hipError_tPvRmT2_T3_T4_T5_mT6_T7_P12ihipStream_tbENKUlT_T0_E_clISt17integral_constantIbLb0EES12_IbLb1EEEEDaSY_SZ_EUlSY_E_NS1_11comp_targetILNS1_3genE10ELNS1_11target_archE1200ELNS1_3gpuE4ELNS1_3repE0EEENS1_30default_config_static_selectorELNS0_4arch9wavefront6targetE0EEEvT1_,"axG",@progbits,_ZN7rocprim17ROCPRIM_400000_NS6detail17trampoline_kernelINS0_14default_configENS1_27scan_by_key_config_selectorIifEEZZNS1_16scan_by_key_implILNS1_25lookback_scan_determinismE0ELb1ES3_N6thrust23THRUST_200600_302600_NS6detail15normal_iteratorINS9_10device_ptrIiEEEENSB_INSC_IjEEEENSB_INSC_IfEEEEfNS9_4plusIvEENS9_8equal_toIvEEfEE10hipError_tPvRmT2_T3_T4_T5_mT6_T7_P12ihipStream_tbENKUlT_T0_E_clISt17integral_constantIbLb0EES12_IbLb1EEEEDaSY_SZ_EUlSY_E_NS1_11comp_targetILNS1_3genE10ELNS1_11target_archE1200ELNS1_3gpuE4ELNS1_3repE0EEENS1_30default_config_static_selectorELNS0_4arch9wavefront6targetE0EEEvT1_,comdat
.Lfunc_end1713:
	.size	_ZN7rocprim17ROCPRIM_400000_NS6detail17trampoline_kernelINS0_14default_configENS1_27scan_by_key_config_selectorIifEEZZNS1_16scan_by_key_implILNS1_25lookback_scan_determinismE0ELb1ES3_N6thrust23THRUST_200600_302600_NS6detail15normal_iteratorINS9_10device_ptrIiEEEENSB_INSC_IjEEEENSB_INSC_IfEEEEfNS9_4plusIvEENS9_8equal_toIvEEfEE10hipError_tPvRmT2_T3_T4_T5_mT6_T7_P12ihipStream_tbENKUlT_T0_E_clISt17integral_constantIbLb0EES12_IbLb1EEEEDaSY_SZ_EUlSY_E_NS1_11comp_targetILNS1_3genE10ELNS1_11target_archE1200ELNS1_3gpuE4ELNS1_3repE0EEENS1_30default_config_static_selectorELNS0_4arch9wavefront6targetE0EEEvT1_, .Lfunc_end1713-_ZN7rocprim17ROCPRIM_400000_NS6detail17trampoline_kernelINS0_14default_configENS1_27scan_by_key_config_selectorIifEEZZNS1_16scan_by_key_implILNS1_25lookback_scan_determinismE0ELb1ES3_N6thrust23THRUST_200600_302600_NS6detail15normal_iteratorINS9_10device_ptrIiEEEENSB_INSC_IjEEEENSB_INSC_IfEEEEfNS9_4plusIvEENS9_8equal_toIvEEfEE10hipError_tPvRmT2_T3_T4_T5_mT6_T7_P12ihipStream_tbENKUlT_T0_E_clISt17integral_constantIbLb0EES12_IbLb1EEEEDaSY_SZ_EUlSY_E_NS1_11comp_targetILNS1_3genE10ELNS1_11target_archE1200ELNS1_3gpuE4ELNS1_3repE0EEENS1_30default_config_static_selectorELNS0_4arch9wavefront6targetE0EEEvT1_
                                        ; -- End function
	.set _ZN7rocprim17ROCPRIM_400000_NS6detail17trampoline_kernelINS0_14default_configENS1_27scan_by_key_config_selectorIifEEZZNS1_16scan_by_key_implILNS1_25lookback_scan_determinismE0ELb1ES3_N6thrust23THRUST_200600_302600_NS6detail15normal_iteratorINS9_10device_ptrIiEEEENSB_INSC_IjEEEENSB_INSC_IfEEEEfNS9_4plusIvEENS9_8equal_toIvEEfEE10hipError_tPvRmT2_T3_T4_T5_mT6_T7_P12ihipStream_tbENKUlT_T0_E_clISt17integral_constantIbLb0EES12_IbLb1EEEEDaSY_SZ_EUlSY_E_NS1_11comp_targetILNS1_3genE10ELNS1_11target_archE1200ELNS1_3gpuE4ELNS1_3repE0EEENS1_30default_config_static_selectorELNS0_4arch9wavefront6targetE0EEEvT1_.num_vgpr, 0
	.set _ZN7rocprim17ROCPRIM_400000_NS6detail17trampoline_kernelINS0_14default_configENS1_27scan_by_key_config_selectorIifEEZZNS1_16scan_by_key_implILNS1_25lookback_scan_determinismE0ELb1ES3_N6thrust23THRUST_200600_302600_NS6detail15normal_iteratorINS9_10device_ptrIiEEEENSB_INSC_IjEEEENSB_INSC_IfEEEEfNS9_4plusIvEENS9_8equal_toIvEEfEE10hipError_tPvRmT2_T3_T4_T5_mT6_T7_P12ihipStream_tbENKUlT_T0_E_clISt17integral_constantIbLb0EES12_IbLb1EEEEDaSY_SZ_EUlSY_E_NS1_11comp_targetILNS1_3genE10ELNS1_11target_archE1200ELNS1_3gpuE4ELNS1_3repE0EEENS1_30default_config_static_selectorELNS0_4arch9wavefront6targetE0EEEvT1_.num_agpr, 0
	.set _ZN7rocprim17ROCPRIM_400000_NS6detail17trampoline_kernelINS0_14default_configENS1_27scan_by_key_config_selectorIifEEZZNS1_16scan_by_key_implILNS1_25lookback_scan_determinismE0ELb1ES3_N6thrust23THRUST_200600_302600_NS6detail15normal_iteratorINS9_10device_ptrIiEEEENSB_INSC_IjEEEENSB_INSC_IfEEEEfNS9_4plusIvEENS9_8equal_toIvEEfEE10hipError_tPvRmT2_T3_T4_T5_mT6_T7_P12ihipStream_tbENKUlT_T0_E_clISt17integral_constantIbLb0EES12_IbLb1EEEEDaSY_SZ_EUlSY_E_NS1_11comp_targetILNS1_3genE10ELNS1_11target_archE1200ELNS1_3gpuE4ELNS1_3repE0EEENS1_30default_config_static_selectorELNS0_4arch9wavefront6targetE0EEEvT1_.numbered_sgpr, 0
	.set _ZN7rocprim17ROCPRIM_400000_NS6detail17trampoline_kernelINS0_14default_configENS1_27scan_by_key_config_selectorIifEEZZNS1_16scan_by_key_implILNS1_25lookback_scan_determinismE0ELb1ES3_N6thrust23THRUST_200600_302600_NS6detail15normal_iteratorINS9_10device_ptrIiEEEENSB_INSC_IjEEEENSB_INSC_IfEEEEfNS9_4plusIvEENS9_8equal_toIvEEfEE10hipError_tPvRmT2_T3_T4_T5_mT6_T7_P12ihipStream_tbENKUlT_T0_E_clISt17integral_constantIbLb0EES12_IbLb1EEEEDaSY_SZ_EUlSY_E_NS1_11comp_targetILNS1_3genE10ELNS1_11target_archE1200ELNS1_3gpuE4ELNS1_3repE0EEENS1_30default_config_static_selectorELNS0_4arch9wavefront6targetE0EEEvT1_.num_named_barrier, 0
	.set _ZN7rocprim17ROCPRIM_400000_NS6detail17trampoline_kernelINS0_14default_configENS1_27scan_by_key_config_selectorIifEEZZNS1_16scan_by_key_implILNS1_25lookback_scan_determinismE0ELb1ES3_N6thrust23THRUST_200600_302600_NS6detail15normal_iteratorINS9_10device_ptrIiEEEENSB_INSC_IjEEEENSB_INSC_IfEEEEfNS9_4plusIvEENS9_8equal_toIvEEfEE10hipError_tPvRmT2_T3_T4_T5_mT6_T7_P12ihipStream_tbENKUlT_T0_E_clISt17integral_constantIbLb0EES12_IbLb1EEEEDaSY_SZ_EUlSY_E_NS1_11comp_targetILNS1_3genE10ELNS1_11target_archE1200ELNS1_3gpuE4ELNS1_3repE0EEENS1_30default_config_static_selectorELNS0_4arch9wavefront6targetE0EEEvT1_.private_seg_size, 0
	.set _ZN7rocprim17ROCPRIM_400000_NS6detail17trampoline_kernelINS0_14default_configENS1_27scan_by_key_config_selectorIifEEZZNS1_16scan_by_key_implILNS1_25lookback_scan_determinismE0ELb1ES3_N6thrust23THRUST_200600_302600_NS6detail15normal_iteratorINS9_10device_ptrIiEEEENSB_INSC_IjEEEENSB_INSC_IfEEEEfNS9_4plusIvEENS9_8equal_toIvEEfEE10hipError_tPvRmT2_T3_T4_T5_mT6_T7_P12ihipStream_tbENKUlT_T0_E_clISt17integral_constantIbLb0EES12_IbLb1EEEEDaSY_SZ_EUlSY_E_NS1_11comp_targetILNS1_3genE10ELNS1_11target_archE1200ELNS1_3gpuE4ELNS1_3repE0EEENS1_30default_config_static_selectorELNS0_4arch9wavefront6targetE0EEEvT1_.uses_vcc, 0
	.set _ZN7rocprim17ROCPRIM_400000_NS6detail17trampoline_kernelINS0_14default_configENS1_27scan_by_key_config_selectorIifEEZZNS1_16scan_by_key_implILNS1_25lookback_scan_determinismE0ELb1ES3_N6thrust23THRUST_200600_302600_NS6detail15normal_iteratorINS9_10device_ptrIiEEEENSB_INSC_IjEEEENSB_INSC_IfEEEEfNS9_4plusIvEENS9_8equal_toIvEEfEE10hipError_tPvRmT2_T3_T4_T5_mT6_T7_P12ihipStream_tbENKUlT_T0_E_clISt17integral_constantIbLb0EES12_IbLb1EEEEDaSY_SZ_EUlSY_E_NS1_11comp_targetILNS1_3genE10ELNS1_11target_archE1200ELNS1_3gpuE4ELNS1_3repE0EEENS1_30default_config_static_selectorELNS0_4arch9wavefront6targetE0EEEvT1_.uses_flat_scratch, 0
	.set _ZN7rocprim17ROCPRIM_400000_NS6detail17trampoline_kernelINS0_14default_configENS1_27scan_by_key_config_selectorIifEEZZNS1_16scan_by_key_implILNS1_25lookback_scan_determinismE0ELb1ES3_N6thrust23THRUST_200600_302600_NS6detail15normal_iteratorINS9_10device_ptrIiEEEENSB_INSC_IjEEEENSB_INSC_IfEEEEfNS9_4plusIvEENS9_8equal_toIvEEfEE10hipError_tPvRmT2_T3_T4_T5_mT6_T7_P12ihipStream_tbENKUlT_T0_E_clISt17integral_constantIbLb0EES12_IbLb1EEEEDaSY_SZ_EUlSY_E_NS1_11comp_targetILNS1_3genE10ELNS1_11target_archE1200ELNS1_3gpuE4ELNS1_3repE0EEENS1_30default_config_static_selectorELNS0_4arch9wavefront6targetE0EEEvT1_.has_dyn_sized_stack, 0
	.set _ZN7rocprim17ROCPRIM_400000_NS6detail17trampoline_kernelINS0_14default_configENS1_27scan_by_key_config_selectorIifEEZZNS1_16scan_by_key_implILNS1_25lookback_scan_determinismE0ELb1ES3_N6thrust23THRUST_200600_302600_NS6detail15normal_iteratorINS9_10device_ptrIiEEEENSB_INSC_IjEEEENSB_INSC_IfEEEEfNS9_4plusIvEENS9_8equal_toIvEEfEE10hipError_tPvRmT2_T3_T4_T5_mT6_T7_P12ihipStream_tbENKUlT_T0_E_clISt17integral_constantIbLb0EES12_IbLb1EEEEDaSY_SZ_EUlSY_E_NS1_11comp_targetILNS1_3genE10ELNS1_11target_archE1200ELNS1_3gpuE4ELNS1_3repE0EEENS1_30default_config_static_selectorELNS0_4arch9wavefront6targetE0EEEvT1_.has_recursion, 0
	.set _ZN7rocprim17ROCPRIM_400000_NS6detail17trampoline_kernelINS0_14default_configENS1_27scan_by_key_config_selectorIifEEZZNS1_16scan_by_key_implILNS1_25lookback_scan_determinismE0ELb1ES3_N6thrust23THRUST_200600_302600_NS6detail15normal_iteratorINS9_10device_ptrIiEEEENSB_INSC_IjEEEENSB_INSC_IfEEEEfNS9_4plusIvEENS9_8equal_toIvEEfEE10hipError_tPvRmT2_T3_T4_T5_mT6_T7_P12ihipStream_tbENKUlT_T0_E_clISt17integral_constantIbLb0EES12_IbLb1EEEEDaSY_SZ_EUlSY_E_NS1_11comp_targetILNS1_3genE10ELNS1_11target_archE1200ELNS1_3gpuE4ELNS1_3repE0EEENS1_30default_config_static_selectorELNS0_4arch9wavefront6targetE0EEEvT1_.has_indirect_call, 0
	.section	.AMDGPU.csdata,"",@progbits
; Kernel info:
; codeLenInByte = 0
; TotalNumSgprs: 0
; NumVgprs: 0
; ScratchSize: 0
; MemoryBound: 0
; FloatMode: 240
; IeeeMode: 1
; LDSByteSize: 0 bytes/workgroup (compile time only)
; SGPRBlocks: 0
; VGPRBlocks: 0
; NumSGPRsForWavesPerEU: 1
; NumVGPRsForWavesPerEU: 1
; Occupancy: 16
; WaveLimiterHint : 0
; COMPUTE_PGM_RSRC2:SCRATCH_EN: 0
; COMPUTE_PGM_RSRC2:USER_SGPR: 6
; COMPUTE_PGM_RSRC2:TRAP_HANDLER: 0
; COMPUTE_PGM_RSRC2:TGID_X_EN: 1
; COMPUTE_PGM_RSRC2:TGID_Y_EN: 0
; COMPUTE_PGM_RSRC2:TGID_Z_EN: 0
; COMPUTE_PGM_RSRC2:TIDIG_COMP_CNT: 0
	.section	.text._ZN7rocprim17ROCPRIM_400000_NS6detail17trampoline_kernelINS0_14default_configENS1_27scan_by_key_config_selectorIifEEZZNS1_16scan_by_key_implILNS1_25lookback_scan_determinismE0ELb1ES3_N6thrust23THRUST_200600_302600_NS6detail15normal_iteratorINS9_10device_ptrIiEEEENSB_INSC_IjEEEENSB_INSC_IfEEEEfNS9_4plusIvEENS9_8equal_toIvEEfEE10hipError_tPvRmT2_T3_T4_T5_mT6_T7_P12ihipStream_tbENKUlT_T0_E_clISt17integral_constantIbLb0EES12_IbLb1EEEEDaSY_SZ_EUlSY_E_NS1_11comp_targetILNS1_3genE9ELNS1_11target_archE1100ELNS1_3gpuE3ELNS1_3repE0EEENS1_30default_config_static_selectorELNS0_4arch9wavefront6targetE0EEEvT1_,"axG",@progbits,_ZN7rocprim17ROCPRIM_400000_NS6detail17trampoline_kernelINS0_14default_configENS1_27scan_by_key_config_selectorIifEEZZNS1_16scan_by_key_implILNS1_25lookback_scan_determinismE0ELb1ES3_N6thrust23THRUST_200600_302600_NS6detail15normal_iteratorINS9_10device_ptrIiEEEENSB_INSC_IjEEEENSB_INSC_IfEEEEfNS9_4plusIvEENS9_8equal_toIvEEfEE10hipError_tPvRmT2_T3_T4_T5_mT6_T7_P12ihipStream_tbENKUlT_T0_E_clISt17integral_constantIbLb0EES12_IbLb1EEEEDaSY_SZ_EUlSY_E_NS1_11comp_targetILNS1_3genE9ELNS1_11target_archE1100ELNS1_3gpuE3ELNS1_3repE0EEENS1_30default_config_static_selectorELNS0_4arch9wavefront6targetE0EEEvT1_,comdat
	.protected	_ZN7rocprim17ROCPRIM_400000_NS6detail17trampoline_kernelINS0_14default_configENS1_27scan_by_key_config_selectorIifEEZZNS1_16scan_by_key_implILNS1_25lookback_scan_determinismE0ELb1ES3_N6thrust23THRUST_200600_302600_NS6detail15normal_iteratorINS9_10device_ptrIiEEEENSB_INSC_IjEEEENSB_INSC_IfEEEEfNS9_4plusIvEENS9_8equal_toIvEEfEE10hipError_tPvRmT2_T3_T4_T5_mT6_T7_P12ihipStream_tbENKUlT_T0_E_clISt17integral_constantIbLb0EES12_IbLb1EEEEDaSY_SZ_EUlSY_E_NS1_11comp_targetILNS1_3genE9ELNS1_11target_archE1100ELNS1_3gpuE3ELNS1_3repE0EEENS1_30default_config_static_selectorELNS0_4arch9wavefront6targetE0EEEvT1_ ; -- Begin function _ZN7rocprim17ROCPRIM_400000_NS6detail17trampoline_kernelINS0_14default_configENS1_27scan_by_key_config_selectorIifEEZZNS1_16scan_by_key_implILNS1_25lookback_scan_determinismE0ELb1ES3_N6thrust23THRUST_200600_302600_NS6detail15normal_iteratorINS9_10device_ptrIiEEEENSB_INSC_IjEEEENSB_INSC_IfEEEEfNS9_4plusIvEENS9_8equal_toIvEEfEE10hipError_tPvRmT2_T3_T4_T5_mT6_T7_P12ihipStream_tbENKUlT_T0_E_clISt17integral_constantIbLb0EES12_IbLb1EEEEDaSY_SZ_EUlSY_E_NS1_11comp_targetILNS1_3genE9ELNS1_11target_archE1100ELNS1_3gpuE3ELNS1_3repE0EEENS1_30default_config_static_selectorELNS0_4arch9wavefront6targetE0EEEvT1_
	.globl	_ZN7rocprim17ROCPRIM_400000_NS6detail17trampoline_kernelINS0_14default_configENS1_27scan_by_key_config_selectorIifEEZZNS1_16scan_by_key_implILNS1_25lookback_scan_determinismE0ELb1ES3_N6thrust23THRUST_200600_302600_NS6detail15normal_iteratorINS9_10device_ptrIiEEEENSB_INSC_IjEEEENSB_INSC_IfEEEEfNS9_4plusIvEENS9_8equal_toIvEEfEE10hipError_tPvRmT2_T3_T4_T5_mT6_T7_P12ihipStream_tbENKUlT_T0_E_clISt17integral_constantIbLb0EES12_IbLb1EEEEDaSY_SZ_EUlSY_E_NS1_11comp_targetILNS1_3genE9ELNS1_11target_archE1100ELNS1_3gpuE3ELNS1_3repE0EEENS1_30default_config_static_selectorELNS0_4arch9wavefront6targetE0EEEvT1_
	.p2align	8
	.type	_ZN7rocprim17ROCPRIM_400000_NS6detail17trampoline_kernelINS0_14default_configENS1_27scan_by_key_config_selectorIifEEZZNS1_16scan_by_key_implILNS1_25lookback_scan_determinismE0ELb1ES3_N6thrust23THRUST_200600_302600_NS6detail15normal_iteratorINS9_10device_ptrIiEEEENSB_INSC_IjEEEENSB_INSC_IfEEEEfNS9_4plusIvEENS9_8equal_toIvEEfEE10hipError_tPvRmT2_T3_T4_T5_mT6_T7_P12ihipStream_tbENKUlT_T0_E_clISt17integral_constantIbLb0EES12_IbLb1EEEEDaSY_SZ_EUlSY_E_NS1_11comp_targetILNS1_3genE9ELNS1_11target_archE1100ELNS1_3gpuE3ELNS1_3repE0EEENS1_30default_config_static_selectorELNS0_4arch9wavefront6targetE0EEEvT1_,@function
_ZN7rocprim17ROCPRIM_400000_NS6detail17trampoline_kernelINS0_14default_configENS1_27scan_by_key_config_selectorIifEEZZNS1_16scan_by_key_implILNS1_25lookback_scan_determinismE0ELb1ES3_N6thrust23THRUST_200600_302600_NS6detail15normal_iteratorINS9_10device_ptrIiEEEENSB_INSC_IjEEEENSB_INSC_IfEEEEfNS9_4plusIvEENS9_8equal_toIvEEfEE10hipError_tPvRmT2_T3_T4_T5_mT6_T7_P12ihipStream_tbENKUlT_T0_E_clISt17integral_constantIbLb0EES12_IbLb1EEEEDaSY_SZ_EUlSY_E_NS1_11comp_targetILNS1_3genE9ELNS1_11target_archE1100ELNS1_3gpuE3ELNS1_3repE0EEENS1_30default_config_static_selectorELNS0_4arch9wavefront6targetE0EEEvT1_: ; @_ZN7rocprim17ROCPRIM_400000_NS6detail17trampoline_kernelINS0_14default_configENS1_27scan_by_key_config_selectorIifEEZZNS1_16scan_by_key_implILNS1_25lookback_scan_determinismE0ELb1ES3_N6thrust23THRUST_200600_302600_NS6detail15normal_iteratorINS9_10device_ptrIiEEEENSB_INSC_IjEEEENSB_INSC_IfEEEEfNS9_4plusIvEENS9_8equal_toIvEEfEE10hipError_tPvRmT2_T3_T4_T5_mT6_T7_P12ihipStream_tbENKUlT_T0_E_clISt17integral_constantIbLb0EES12_IbLb1EEEEDaSY_SZ_EUlSY_E_NS1_11comp_targetILNS1_3genE9ELNS1_11target_archE1100ELNS1_3gpuE3ELNS1_3repE0EEENS1_30default_config_static_selectorELNS0_4arch9wavefront6targetE0EEEvT1_
; %bb.0:
	.section	.rodata,"a",@progbits
	.p2align	6, 0x0
	.amdhsa_kernel _ZN7rocprim17ROCPRIM_400000_NS6detail17trampoline_kernelINS0_14default_configENS1_27scan_by_key_config_selectorIifEEZZNS1_16scan_by_key_implILNS1_25lookback_scan_determinismE0ELb1ES3_N6thrust23THRUST_200600_302600_NS6detail15normal_iteratorINS9_10device_ptrIiEEEENSB_INSC_IjEEEENSB_INSC_IfEEEEfNS9_4plusIvEENS9_8equal_toIvEEfEE10hipError_tPvRmT2_T3_T4_T5_mT6_T7_P12ihipStream_tbENKUlT_T0_E_clISt17integral_constantIbLb0EES12_IbLb1EEEEDaSY_SZ_EUlSY_E_NS1_11comp_targetILNS1_3genE9ELNS1_11target_archE1100ELNS1_3gpuE3ELNS1_3repE0EEENS1_30default_config_static_selectorELNS0_4arch9wavefront6targetE0EEEvT1_
		.amdhsa_group_segment_fixed_size 0
		.amdhsa_private_segment_fixed_size 0
		.amdhsa_kernarg_size 112
		.amdhsa_user_sgpr_count 6
		.amdhsa_user_sgpr_private_segment_buffer 1
		.amdhsa_user_sgpr_dispatch_ptr 0
		.amdhsa_user_sgpr_queue_ptr 0
		.amdhsa_user_sgpr_kernarg_segment_ptr 1
		.amdhsa_user_sgpr_dispatch_id 0
		.amdhsa_user_sgpr_flat_scratch_init 0
		.amdhsa_user_sgpr_private_segment_size 0
		.amdhsa_wavefront_size32 1
		.amdhsa_uses_dynamic_stack 0
		.amdhsa_system_sgpr_private_segment_wavefront_offset 0
		.amdhsa_system_sgpr_workgroup_id_x 1
		.amdhsa_system_sgpr_workgroup_id_y 0
		.amdhsa_system_sgpr_workgroup_id_z 0
		.amdhsa_system_sgpr_workgroup_info 0
		.amdhsa_system_vgpr_workitem_id 0
		.amdhsa_next_free_vgpr 1
		.amdhsa_next_free_sgpr 1
		.amdhsa_reserve_vcc 0
		.amdhsa_reserve_flat_scratch 0
		.amdhsa_float_round_mode_32 0
		.amdhsa_float_round_mode_16_64 0
		.amdhsa_float_denorm_mode_32 3
		.amdhsa_float_denorm_mode_16_64 3
		.amdhsa_dx10_clamp 1
		.amdhsa_ieee_mode 1
		.amdhsa_fp16_overflow 0
		.amdhsa_workgroup_processor_mode 1
		.amdhsa_memory_ordered 1
		.amdhsa_forward_progress 1
		.amdhsa_shared_vgpr_count 0
		.amdhsa_exception_fp_ieee_invalid_op 0
		.amdhsa_exception_fp_denorm_src 0
		.amdhsa_exception_fp_ieee_div_zero 0
		.amdhsa_exception_fp_ieee_overflow 0
		.amdhsa_exception_fp_ieee_underflow 0
		.amdhsa_exception_fp_ieee_inexact 0
		.amdhsa_exception_int_div_zero 0
	.end_amdhsa_kernel
	.section	.text._ZN7rocprim17ROCPRIM_400000_NS6detail17trampoline_kernelINS0_14default_configENS1_27scan_by_key_config_selectorIifEEZZNS1_16scan_by_key_implILNS1_25lookback_scan_determinismE0ELb1ES3_N6thrust23THRUST_200600_302600_NS6detail15normal_iteratorINS9_10device_ptrIiEEEENSB_INSC_IjEEEENSB_INSC_IfEEEEfNS9_4plusIvEENS9_8equal_toIvEEfEE10hipError_tPvRmT2_T3_T4_T5_mT6_T7_P12ihipStream_tbENKUlT_T0_E_clISt17integral_constantIbLb0EES12_IbLb1EEEEDaSY_SZ_EUlSY_E_NS1_11comp_targetILNS1_3genE9ELNS1_11target_archE1100ELNS1_3gpuE3ELNS1_3repE0EEENS1_30default_config_static_selectorELNS0_4arch9wavefront6targetE0EEEvT1_,"axG",@progbits,_ZN7rocprim17ROCPRIM_400000_NS6detail17trampoline_kernelINS0_14default_configENS1_27scan_by_key_config_selectorIifEEZZNS1_16scan_by_key_implILNS1_25lookback_scan_determinismE0ELb1ES3_N6thrust23THRUST_200600_302600_NS6detail15normal_iteratorINS9_10device_ptrIiEEEENSB_INSC_IjEEEENSB_INSC_IfEEEEfNS9_4plusIvEENS9_8equal_toIvEEfEE10hipError_tPvRmT2_T3_T4_T5_mT6_T7_P12ihipStream_tbENKUlT_T0_E_clISt17integral_constantIbLb0EES12_IbLb1EEEEDaSY_SZ_EUlSY_E_NS1_11comp_targetILNS1_3genE9ELNS1_11target_archE1100ELNS1_3gpuE3ELNS1_3repE0EEENS1_30default_config_static_selectorELNS0_4arch9wavefront6targetE0EEEvT1_,comdat
.Lfunc_end1714:
	.size	_ZN7rocprim17ROCPRIM_400000_NS6detail17trampoline_kernelINS0_14default_configENS1_27scan_by_key_config_selectorIifEEZZNS1_16scan_by_key_implILNS1_25lookback_scan_determinismE0ELb1ES3_N6thrust23THRUST_200600_302600_NS6detail15normal_iteratorINS9_10device_ptrIiEEEENSB_INSC_IjEEEENSB_INSC_IfEEEEfNS9_4plusIvEENS9_8equal_toIvEEfEE10hipError_tPvRmT2_T3_T4_T5_mT6_T7_P12ihipStream_tbENKUlT_T0_E_clISt17integral_constantIbLb0EES12_IbLb1EEEEDaSY_SZ_EUlSY_E_NS1_11comp_targetILNS1_3genE9ELNS1_11target_archE1100ELNS1_3gpuE3ELNS1_3repE0EEENS1_30default_config_static_selectorELNS0_4arch9wavefront6targetE0EEEvT1_, .Lfunc_end1714-_ZN7rocprim17ROCPRIM_400000_NS6detail17trampoline_kernelINS0_14default_configENS1_27scan_by_key_config_selectorIifEEZZNS1_16scan_by_key_implILNS1_25lookback_scan_determinismE0ELb1ES3_N6thrust23THRUST_200600_302600_NS6detail15normal_iteratorINS9_10device_ptrIiEEEENSB_INSC_IjEEEENSB_INSC_IfEEEEfNS9_4plusIvEENS9_8equal_toIvEEfEE10hipError_tPvRmT2_T3_T4_T5_mT6_T7_P12ihipStream_tbENKUlT_T0_E_clISt17integral_constantIbLb0EES12_IbLb1EEEEDaSY_SZ_EUlSY_E_NS1_11comp_targetILNS1_3genE9ELNS1_11target_archE1100ELNS1_3gpuE3ELNS1_3repE0EEENS1_30default_config_static_selectorELNS0_4arch9wavefront6targetE0EEEvT1_
                                        ; -- End function
	.set _ZN7rocprim17ROCPRIM_400000_NS6detail17trampoline_kernelINS0_14default_configENS1_27scan_by_key_config_selectorIifEEZZNS1_16scan_by_key_implILNS1_25lookback_scan_determinismE0ELb1ES3_N6thrust23THRUST_200600_302600_NS6detail15normal_iteratorINS9_10device_ptrIiEEEENSB_INSC_IjEEEENSB_INSC_IfEEEEfNS9_4plusIvEENS9_8equal_toIvEEfEE10hipError_tPvRmT2_T3_T4_T5_mT6_T7_P12ihipStream_tbENKUlT_T0_E_clISt17integral_constantIbLb0EES12_IbLb1EEEEDaSY_SZ_EUlSY_E_NS1_11comp_targetILNS1_3genE9ELNS1_11target_archE1100ELNS1_3gpuE3ELNS1_3repE0EEENS1_30default_config_static_selectorELNS0_4arch9wavefront6targetE0EEEvT1_.num_vgpr, 0
	.set _ZN7rocprim17ROCPRIM_400000_NS6detail17trampoline_kernelINS0_14default_configENS1_27scan_by_key_config_selectorIifEEZZNS1_16scan_by_key_implILNS1_25lookback_scan_determinismE0ELb1ES3_N6thrust23THRUST_200600_302600_NS6detail15normal_iteratorINS9_10device_ptrIiEEEENSB_INSC_IjEEEENSB_INSC_IfEEEEfNS9_4plusIvEENS9_8equal_toIvEEfEE10hipError_tPvRmT2_T3_T4_T5_mT6_T7_P12ihipStream_tbENKUlT_T0_E_clISt17integral_constantIbLb0EES12_IbLb1EEEEDaSY_SZ_EUlSY_E_NS1_11comp_targetILNS1_3genE9ELNS1_11target_archE1100ELNS1_3gpuE3ELNS1_3repE0EEENS1_30default_config_static_selectorELNS0_4arch9wavefront6targetE0EEEvT1_.num_agpr, 0
	.set _ZN7rocprim17ROCPRIM_400000_NS6detail17trampoline_kernelINS0_14default_configENS1_27scan_by_key_config_selectorIifEEZZNS1_16scan_by_key_implILNS1_25lookback_scan_determinismE0ELb1ES3_N6thrust23THRUST_200600_302600_NS6detail15normal_iteratorINS9_10device_ptrIiEEEENSB_INSC_IjEEEENSB_INSC_IfEEEEfNS9_4plusIvEENS9_8equal_toIvEEfEE10hipError_tPvRmT2_T3_T4_T5_mT6_T7_P12ihipStream_tbENKUlT_T0_E_clISt17integral_constantIbLb0EES12_IbLb1EEEEDaSY_SZ_EUlSY_E_NS1_11comp_targetILNS1_3genE9ELNS1_11target_archE1100ELNS1_3gpuE3ELNS1_3repE0EEENS1_30default_config_static_selectorELNS0_4arch9wavefront6targetE0EEEvT1_.numbered_sgpr, 0
	.set _ZN7rocprim17ROCPRIM_400000_NS6detail17trampoline_kernelINS0_14default_configENS1_27scan_by_key_config_selectorIifEEZZNS1_16scan_by_key_implILNS1_25lookback_scan_determinismE0ELb1ES3_N6thrust23THRUST_200600_302600_NS6detail15normal_iteratorINS9_10device_ptrIiEEEENSB_INSC_IjEEEENSB_INSC_IfEEEEfNS9_4plusIvEENS9_8equal_toIvEEfEE10hipError_tPvRmT2_T3_T4_T5_mT6_T7_P12ihipStream_tbENKUlT_T0_E_clISt17integral_constantIbLb0EES12_IbLb1EEEEDaSY_SZ_EUlSY_E_NS1_11comp_targetILNS1_3genE9ELNS1_11target_archE1100ELNS1_3gpuE3ELNS1_3repE0EEENS1_30default_config_static_selectorELNS0_4arch9wavefront6targetE0EEEvT1_.num_named_barrier, 0
	.set _ZN7rocprim17ROCPRIM_400000_NS6detail17trampoline_kernelINS0_14default_configENS1_27scan_by_key_config_selectorIifEEZZNS1_16scan_by_key_implILNS1_25lookback_scan_determinismE0ELb1ES3_N6thrust23THRUST_200600_302600_NS6detail15normal_iteratorINS9_10device_ptrIiEEEENSB_INSC_IjEEEENSB_INSC_IfEEEEfNS9_4plusIvEENS9_8equal_toIvEEfEE10hipError_tPvRmT2_T3_T4_T5_mT6_T7_P12ihipStream_tbENKUlT_T0_E_clISt17integral_constantIbLb0EES12_IbLb1EEEEDaSY_SZ_EUlSY_E_NS1_11comp_targetILNS1_3genE9ELNS1_11target_archE1100ELNS1_3gpuE3ELNS1_3repE0EEENS1_30default_config_static_selectorELNS0_4arch9wavefront6targetE0EEEvT1_.private_seg_size, 0
	.set _ZN7rocprim17ROCPRIM_400000_NS6detail17trampoline_kernelINS0_14default_configENS1_27scan_by_key_config_selectorIifEEZZNS1_16scan_by_key_implILNS1_25lookback_scan_determinismE0ELb1ES3_N6thrust23THRUST_200600_302600_NS6detail15normal_iteratorINS9_10device_ptrIiEEEENSB_INSC_IjEEEENSB_INSC_IfEEEEfNS9_4plusIvEENS9_8equal_toIvEEfEE10hipError_tPvRmT2_T3_T4_T5_mT6_T7_P12ihipStream_tbENKUlT_T0_E_clISt17integral_constantIbLb0EES12_IbLb1EEEEDaSY_SZ_EUlSY_E_NS1_11comp_targetILNS1_3genE9ELNS1_11target_archE1100ELNS1_3gpuE3ELNS1_3repE0EEENS1_30default_config_static_selectorELNS0_4arch9wavefront6targetE0EEEvT1_.uses_vcc, 0
	.set _ZN7rocprim17ROCPRIM_400000_NS6detail17trampoline_kernelINS0_14default_configENS1_27scan_by_key_config_selectorIifEEZZNS1_16scan_by_key_implILNS1_25lookback_scan_determinismE0ELb1ES3_N6thrust23THRUST_200600_302600_NS6detail15normal_iteratorINS9_10device_ptrIiEEEENSB_INSC_IjEEEENSB_INSC_IfEEEEfNS9_4plusIvEENS9_8equal_toIvEEfEE10hipError_tPvRmT2_T3_T4_T5_mT6_T7_P12ihipStream_tbENKUlT_T0_E_clISt17integral_constantIbLb0EES12_IbLb1EEEEDaSY_SZ_EUlSY_E_NS1_11comp_targetILNS1_3genE9ELNS1_11target_archE1100ELNS1_3gpuE3ELNS1_3repE0EEENS1_30default_config_static_selectorELNS0_4arch9wavefront6targetE0EEEvT1_.uses_flat_scratch, 0
	.set _ZN7rocprim17ROCPRIM_400000_NS6detail17trampoline_kernelINS0_14default_configENS1_27scan_by_key_config_selectorIifEEZZNS1_16scan_by_key_implILNS1_25lookback_scan_determinismE0ELb1ES3_N6thrust23THRUST_200600_302600_NS6detail15normal_iteratorINS9_10device_ptrIiEEEENSB_INSC_IjEEEENSB_INSC_IfEEEEfNS9_4plusIvEENS9_8equal_toIvEEfEE10hipError_tPvRmT2_T3_T4_T5_mT6_T7_P12ihipStream_tbENKUlT_T0_E_clISt17integral_constantIbLb0EES12_IbLb1EEEEDaSY_SZ_EUlSY_E_NS1_11comp_targetILNS1_3genE9ELNS1_11target_archE1100ELNS1_3gpuE3ELNS1_3repE0EEENS1_30default_config_static_selectorELNS0_4arch9wavefront6targetE0EEEvT1_.has_dyn_sized_stack, 0
	.set _ZN7rocprim17ROCPRIM_400000_NS6detail17trampoline_kernelINS0_14default_configENS1_27scan_by_key_config_selectorIifEEZZNS1_16scan_by_key_implILNS1_25lookback_scan_determinismE0ELb1ES3_N6thrust23THRUST_200600_302600_NS6detail15normal_iteratorINS9_10device_ptrIiEEEENSB_INSC_IjEEEENSB_INSC_IfEEEEfNS9_4plusIvEENS9_8equal_toIvEEfEE10hipError_tPvRmT2_T3_T4_T5_mT6_T7_P12ihipStream_tbENKUlT_T0_E_clISt17integral_constantIbLb0EES12_IbLb1EEEEDaSY_SZ_EUlSY_E_NS1_11comp_targetILNS1_3genE9ELNS1_11target_archE1100ELNS1_3gpuE3ELNS1_3repE0EEENS1_30default_config_static_selectorELNS0_4arch9wavefront6targetE0EEEvT1_.has_recursion, 0
	.set _ZN7rocprim17ROCPRIM_400000_NS6detail17trampoline_kernelINS0_14default_configENS1_27scan_by_key_config_selectorIifEEZZNS1_16scan_by_key_implILNS1_25lookback_scan_determinismE0ELb1ES3_N6thrust23THRUST_200600_302600_NS6detail15normal_iteratorINS9_10device_ptrIiEEEENSB_INSC_IjEEEENSB_INSC_IfEEEEfNS9_4plusIvEENS9_8equal_toIvEEfEE10hipError_tPvRmT2_T3_T4_T5_mT6_T7_P12ihipStream_tbENKUlT_T0_E_clISt17integral_constantIbLb0EES12_IbLb1EEEEDaSY_SZ_EUlSY_E_NS1_11comp_targetILNS1_3genE9ELNS1_11target_archE1100ELNS1_3gpuE3ELNS1_3repE0EEENS1_30default_config_static_selectorELNS0_4arch9wavefront6targetE0EEEvT1_.has_indirect_call, 0
	.section	.AMDGPU.csdata,"",@progbits
; Kernel info:
; codeLenInByte = 0
; TotalNumSgprs: 0
; NumVgprs: 0
; ScratchSize: 0
; MemoryBound: 0
; FloatMode: 240
; IeeeMode: 1
; LDSByteSize: 0 bytes/workgroup (compile time only)
; SGPRBlocks: 0
; VGPRBlocks: 0
; NumSGPRsForWavesPerEU: 1
; NumVGPRsForWavesPerEU: 1
; Occupancy: 16
; WaveLimiterHint : 0
; COMPUTE_PGM_RSRC2:SCRATCH_EN: 0
; COMPUTE_PGM_RSRC2:USER_SGPR: 6
; COMPUTE_PGM_RSRC2:TRAP_HANDLER: 0
; COMPUTE_PGM_RSRC2:TGID_X_EN: 1
; COMPUTE_PGM_RSRC2:TGID_Y_EN: 0
; COMPUTE_PGM_RSRC2:TGID_Z_EN: 0
; COMPUTE_PGM_RSRC2:TIDIG_COMP_CNT: 0
	.section	.text._ZN7rocprim17ROCPRIM_400000_NS6detail17trampoline_kernelINS0_14default_configENS1_27scan_by_key_config_selectorIifEEZZNS1_16scan_by_key_implILNS1_25lookback_scan_determinismE0ELb1ES3_N6thrust23THRUST_200600_302600_NS6detail15normal_iteratorINS9_10device_ptrIiEEEENSB_INSC_IjEEEENSB_INSC_IfEEEEfNS9_4plusIvEENS9_8equal_toIvEEfEE10hipError_tPvRmT2_T3_T4_T5_mT6_T7_P12ihipStream_tbENKUlT_T0_E_clISt17integral_constantIbLb0EES12_IbLb1EEEEDaSY_SZ_EUlSY_E_NS1_11comp_targetILNS1_3genE8ELNS1_11target_archE1030ELNS1_3gpuE2ELNS1_3repE0EEENS1_30default_config_static_selectorELNS0_4arch9wavefront6targetE0EEEvT1_,"axG",@progbits,_ZN7rocprim17ROCPRIM_400000_NS6detail17trampoline_kernelINS0_14default_configENS1_27scan_by_key_config_selectorIifEEZZNS1_16scan_by_key_implILNS1_25lookback_scan_determinismE0ELb1ES3_N6thrust23THRUST_200600_302600_NS6detail15normal_iteratorINS9_10device_ptrIiEEEENSB_INSC_IjEEEENSB_INSC_IfEEEEfNS9_4plusIvEENS9_8equal_toIvEEfEE10hipError_tPvRmT2_T3_T4_T5_mT6_T7_P12ihipStream_tbENKUlT_T0_E_clISt17integral_constantIbLb0EES12_IbLb1EEEEDaSY_SZ_EUlSY_E_NS1_11comp_targetILNS1_3genE8ELNS1_11target_archE1030ELNS1_3gpuE2ELNS1_3repE0EEENS1_30default_config_static_selectorELNS0_4arch9wavefront6targetE0EEEvT1_,comdat
	.protected	_ZN7rocprim17ROCPRIM_400000_NS6detail17trampoline_kernelINS0_14default_configENS1_27scan_by_key_config_selectorIifEEZZNS1_16scan_by_key_implILNS1_25lookback_scan_determinismE0ELb1ES3_N6thrust23THRUST_200600_302600_NS6detail15normal_iteratorINS9_10device_ptrIiEEEENSB_INSC_IjEEEENSB_INSC_IfEEEEfNS9_4plusIvEENS9_8equal_toIvEEfEE10hipError_tPvRmT2_T3_T4_T5_mT6_T7_P12ihipStream_tbENKUlT_T0_E_clISt17integral_constantIbLb0EES12_IbLb1EEEEDaSY_SZ_EUlSY_E_NS1_11comp_targetILNS1_3genE8ELNS1_11target_archE1030ELNS1_3gpuE2ELNS1_3repE0EEENS1_30default_config_static_selectorELNS0_4arch9wavefront6targetE0EEEvT1_ ; -- Begin function _ZN7rocprim17ROCPRIM_400000_NS6detail17trampoline_kernelINS0_14default_configENS1_27scan_by_key_config_selectorIifEEZZNS1_16scan_by_key_implILNS1_25lookback_scan_determinismE0ELb1ES3_N6thrust23THRUST_200600_302600_NS6detail15normal_iteratorINS9_10device_ptrIiEEEENSB_INSC_IjEEEENSB_INSC_IfEEEEfNS9_4plusIvEENS9_8equal_toIvEEfEE10hipError_tPvRmT2_T3_T4_T5_mT6_T7_P12ihipStream_tbENKUlT_T0_E_clISt17integral_constantIbLb0EES12_IbLb1EEEEDaSY_SZ_EUlSY_E_NS1_11comp_targetILNS1_3genE8ELNS1_11target_archE1030ELNS1_3gpuE2ELNS1_3repE0EEENS1_30default_config_static_selectorELNS0_4arch9wavefront6targetE0EEEvT1_
	.globl	_ZN7rocprim17ROCPRIM_400000_NS6detail17trampoline_kernelINS0_14default_configENS1_27scan_by_key_config_selectorIifEEZZNS1_16scan_by_key_implILNS1_25lookback_scan_determinismE0ELb1ES3_N6thrust23THRUST_200600_302600_NS6detail15normal_iteratorINS9_10device_ptrIiEEEENSB_INSC_IjEEEENSB_INSC_IfEEEEfNS9_4plusIvEENS9_8equal_toIvEEfEE10hipError_tPvRmT2_T3_T4_T5_mT6_T7_P12ihipStream_tbENKUlT_T0_E_clISt17integral_constantIbLb0EES12_IbLb1EEEEDaSY_SZ_EUlSY_E_NS1_11comp_targetILNS1_3genE8ELNS1_11target_archE1030ELNS1_3gpuE2ELNS1_3repE0EEENS1_30default_config_static_selectorELNS0_4arch9wavefront6targetE0EEEvT1_
	.p2align	8
	.type	_ZN7rocprim17ROCPRIM_400000_NS6detail17trampoline_kernelINS0_14default_configENS1_27scan_by_key_config_selectorIifEEZZNS1_16scan_by_key_implILNS1_25lookback_scan_determinismE0ELb1ES3_N6thrust23THRUST_200600_302600_NS6detail15normal_iteratorINS9_10device_ptrIiEEEENSB_INSC_IjEEEENSB_INSC_IfEEEEfNS9_4plusIvEENS9_8equal_toIvEEfEE10hipError_tPvRmT2_T3_T4_T5_mT6_T7_P12ihipStream_tbENKUlT_T0_E_clISt17integral_constantIbLb0EES12_IbLb1EEEEDaSY_SZ_EUlSY_E_NS1_11comp_targetILNS1_3genE8ELNS1_11target_archE1030ELNS1_3gpuE2ELNS1_3repE0EEENS1_30default_config_static_selectorELNS0_4arch9wavefront6targetE0EEEvT1_,@function
_ZN7rocprim17ROCPRIM_400000_NS6detail17trampoline_kernelINS0_14default_configENS1_27scan_by_key_config_selectorIifEEZZNS1_16scan_by_key_implILNS1_25lookback_scan_determinismE0ELb1ES3_N6thrust23THRUST_200600_302600_NS6detail15normal_iteratorINS9_10device_ptrIiEEEENSB_INSC_IjEEEENSB_INSC_IfEEEEfNS9_4plusIvEENS9_8equal_toIvEEfEE10hipError_tPvRmT2_T3_T4_T5_mT6_T7_P12ihipStream_tbENKUlT_T0_E_clISt17integral_constantIbLb0EES12_IbLb1EEEEDaSY_SZ_EUlSY_E_NS1_11comp_targetILNS1_3genE8ELNS1_11target_archE1030ELNS1_3gpuE2ELNS1_3repE0EEENS1_30default_config_static_selectorELNS0_4arch9wavefront6targetE0EEEvT1_: ; @_ZN7rocprim17ROCPRIM_400000_NS6detail17trampoline_kernelINS0_14default_configENS1_27scan_by_key_config_selectorIifEEZZNS1_16scan_by_key_implILNS1_25lookback_scan_determinismE0ELb1ES3_N6thrust23THRUST_200600_302600_NS6detail15normal_iteratorINS9_10device_ptrIiEEEENSB_INSC_IjEEEENSB_INSC_IfEEEEfNS9_4plusIvEENS9_8equal_toIvEEfEE10hipError_tPvRmT2_T3_T4_T5_mT6_T7_P12ihipStream_tbENKUlT_T0_E_clISt17integral_constantIbLb0EES12_IbLb1EEEEDaSY_SZ_EUlSY_E_NS1_11comp_targetILNS1_3genE8ELNS1_11target_archE1030ELNS1_3gpuE2ELNS1_3repE0EEENS1_30default_config_static_selectorELNS0_4arch9wavefront6targetE0EEEvT1_
; %bb.0:
	s_clause 0x2
	s_load_dword s22, s[4:5], 0x20
	s_load_dwordx4 s[16:19], s[4:5], 0x28
	s_load_dwordx2 s[20:21], s[4:5], 0x38
	v_cmp_eq_u32_e64 s0, 0, v0
	s_and_saveexec_b32 s1, s0
	s_cbranch_execz .LBB1715_4
; %bb.1:
	s_mov_b32 s3, exec_lo
	s_mov_b32 s2, exec_lo
	v_mbcnt_lo_u32_b32 v1, s3, 0
                                        ; implicit-def: $vgpr2
	v_cmpx_eq_u32_e32 0, v1
	s_cbranch_execz .LBB1715_3
; %bb.2:
	s_load_dwordx2 s[6:7], s[4:5], 0x68
	s_bcnt1_i32_b32 s3, s3
	v_mov_b32_e32 v2, 0
	v_mov_b32_e32 v3, s3
	s_waitcnt lgkmcnt(0)
	global_atomic_add v2, v2, v3, s[6:7] glc
.LBB1715_3:
	s_or_b32 exec_lo, exec_lo, s2
	s_waitcnt vmcnt(0)
	v_readfirstlane_b32 s2, v2
	v_mov_b32_e32 v2, 0
	v_add_nc_u32_e32 v1, s2, v1
	ds_write_b32 v2, v1
.LBB1715_4:
	s_or_b32 exec_lo, exec_lo, s1
	v_mov_b32_e32 v2, 0
	s_clause 0x2
	s_load_dwordx8 s[8:15], s[4:5], 0x0
	s_load_dword s1, s[4:5], 0x40
	s_load_dwordx4 s[4:7], s[4:5], 0x48
	s_waitcnt lgkmcnt(0)
	s_barrier
	buffer_gl0_inv
	ds_read_b32 v5, v2
	s_waitcnt lgkmcnt(0)
	s_barrier
	buffer_gl0_inv
	s_barrier
	buffer_gl0_inv
	s_lshl_b64 s[10:11], s[10:11], 2
	s_mul_i32 s2, s21, s1
	s_add_u32 s19, s8, s10
	s_mul_hi_u32 s3, s20, s1
	s_mul_i32 s1, s20, s1
	s_addc_u32 s9, s9, s11
	v_mul_lo_u32 v1, 0x300, v5
	s_add_u32 s12, s12, s10
	s_addc_u32 s13, s13, s11
	s_add_i32 s3, s3, s2
	v_add_co_u32 v3, s1, s1, v5
	v_add_co_ci_u32_e64 v4, null, s3, 0, s1
	v_lshlrev_b64 v[9:10], 2, v[1:2]
	s_add_u32 s2, s4, -1
	s_addc_u32 s3, s5, -1
	v_readfirstlane_b32 s8, v5
	v_cmp_le_u64_e64 s1, s[2:3], v[3:4]
	s_mul_i32 s5, s2, 0xfffffd00
	v_add_co_u32 v4, vcc_lo, s19, v9
	v_add_co_ci_u32_e64 v5, null, s9, v10, vcc_lo
	v_add_co_u32 v8, vcc_lo, s12, v9
	v_add_co_ci_u32_e64 v11, null, s13, v10, vcc_lo
	s_and_b32 vcc_lo, exec_lo, s1
	s_cbranch_vccz .LBB1715_24
; %bb.5:
	flat_load_dword v1, v[4:5]
	s_add_i32 s9, s5, s18
	v_cmp_gt_u32_e64 s3, s9, v0
	s_waitcnt vmcnt(0) lgkmcnt(0)
	v_mov_b32_e32 v2, v1
	s_and_saveexec_b32 s2, s3
	s_cbranch_execz .LBB1715_7
; %bb.6:
	v_lshlrev_b32_e32 v2, 2, v0
	v_add_co_u32 v2, vcc_lo, v4, v2
	v_add_co_ci_u32_e64 v3, null, 0, v5, vcc_lo
	flat_load_dword v2, v[2:3]
.LBB1715_7:
	s_or_b32 exec_lo, exec_lo, s2
	v_or_b32_e32 v3, 0x100, v0
	v_cmp_gt_u32_e64 s2, s9, v3
	v_mov_b32_e32 v3, v1
	s_and_saveexec_b32 s4, s2
	s_cbranch_execz .LBB1715_9
; %bb.8:
	v_lshlrev_b32_e32 v3, 2, v0
	v_add_co_u32 v6, vcc_lo, v4, v3
	v_add_co_ci_u32_e64 v7, null, 0, v5, vcc_lo
	flat_load_dword v3, v[6:7] offset:1024
.LBB1715_9:
	s_or_b32 exec_lo, exec_lo, s4
	v_or_b32_e32 v6, 0x200, v0
	v_cmp_gt_u32_e32 vcc_lo, s9, v6
	v_lshlrev_b32_e32 v15, 2, v6
	s_and_saveexec_b32 s12, vcc_lo
	s_cbranch_execz .LBB1715_11
; %bb.10:
	v_add_co_u32 v6, s4, v4, v15
	v_add_co_ci_u32_e64 v7, null, 0, v5, s4
	flat_load_dword v1, v[6:7]
.LBB1715_11:
	s_or_b32 exec_lo, exec_lo, s12
	v_lshlrev_b32_e32 v16, 2, v0
	s_mov_b32 s12, exec_lo
	s_waitcnt vmcnt(0) lgkmcnt(0)
	ds_write2st64_b32 v16, v2, v3 offset1:4
	ds_write_b32 v16, v1 offset:2048
	s_waitcnt lgkmcnt(0)
	s_barrier
	buffer_gl0_inv
	flat_load_dword v12, v[4:5]
	v_lshlrev_b32_e32 v1, 3, v0
	v_add_nc_u32_e32 v13, v16, v1
	ds_read_b32 v14, v13
	ds_read2_b32 v[6:7], v13 offset0:1 offset1:2
	s_waitcnt lgkmcnt(1)
	ds_write_b32 v16, v14 offset:4096
	s_waitcnt vmcnt(0) lgkmcnt(0)
	s_barrier
	buffer_gl0_inv
	v_cmpx_ne_u32_e32 0xff, v0
; %bb.12:
	v_sub_nc_u32_e32 v1, 0, v1
	v_add_nc_u32_e32 v1, v13, v1
	ds_read_b32 v12, v1 offset:4100
; %bb.13:
	s_or_b32 exec_lo, exec_lo, s12
	v_mov_b32_e32 v1, 0
	s_waitcnt lgkmcnt(0)
	s_barrier
	buffer_gl0_inv
	v_mov_b32_e32 v2, v1
	v_mov_b32_e32 v3, v1
	s_and_saveexec_b32 s4, s3
	s_cbranch_execnz .LBB1715_132
; %bb.14:
	s_or_b32 exec_lo, exec_lo, s4
	s_and_saveexec_b32 s3, s2
	s_cbranch_execnz .LBB1715_133
.LBB1715_15:
	s_or_b32 exec_lo, exec_lo, s3
	v_mul_u32_u24_e32 v22, 3, v0
	s_and_saveexec_b32 s2, vcc_lo
	s_cbranch_execz .LBB1715_17
.LBB1715_16:
	v_add_co_u32 v17, vcc_lo, v8, v15
	v_add_co_ci_u32_e64 v18, null, 0, v11, vcc_lo
	flat_load_dword v3, v[17:18]
	s_waitcnt vmcnt(0) lgkmcnt(0)
	v_cvt_f32_u32_e32 v3, v3
.LBB1715_17:
	s_or_b32 exec_lo, exec_lo, s2
	ds_write2st64_b32 v16, v1, v2 offset1:4
	ds_write_b32 v16, v3 offset:2048
	v_mov_b32_e32 v1, 0
	v_mov_b32_e32 v16, 0
	v_mov_b32_e32 v3, 0
	v_mov_b32_e32 v19, 0
	v_mov_b32_e32 v20, 0
	v_mov_b32_e32 v17, 0
	v_mov_b32_e32 v21, 0
	v_mov_b32_e32 v18, 0
	s_mov_b32 s12, 0
	s_mov_b32 s2, 0
	s_mov_b32 s13, exec_lo
	s_waitcnt lgkmcnt(0)
	s_barrier
	buffer_gl0_inv
                                        ; implicit-def: $sgpr4
	v_cmpx_gt_u32_e64 s9, v22
	s_cbranch_execz .LBB1715_23
; %bb.18:
	ds_read_b32 v15, v13
	v_add_nc_u32_e32 v1, 1, v22
	v_mov_b32_e32 v3, 0
	v_mov_b32_e32 v20, 0
	s_mov_b32 s3, 0
	v_cmp_ne_u32_e32 vcc_lo, v14, v6
	v_cmp_gt_u32_e64 s2, s9, v1
	v_mov_b32_e32 v1, 0
                                        ; implicit-def: $sgpr4
	s_and_saveexec_b32 s19, s2
	s_cbranch_execz .LBB1715_22
; %bb.19:
	ds_read2_b32 v[1:2], v13 offset0:1 offset1:2
	v_add_nc_u32_e32 v3, 2, v22
	v_cmp_ne_u32_e64 s2, v6, v7
	v_mov_b32_e32 v20, 0
                                        ; implicit-def: $sgpr4
	v_cmp_gt_u32_e64 s3, s9, v3
	s_mov_b32 s9, 0
	s_and_saveexec_b32 s23, s3
	s_xor_b32 s3, exec_lo, s23
	s_cbranch_execz .LBB1715_21
; %bb.20:
	v_cmp_ne_u32_e64 s4, v7, v12
	s_mov_b32 s9, exec_lo
	s_waitcnt lgkmcnt(0)
	v_cndmask_b32_e64 v20, v2, s22, s4
.LBB1715_21:
	s_or_b32 exec_lo, exec_lo, s3
	v_cndmask_b32_e64 v3, 0, 1, s2
	s_waitcnt lgkmcnt(0)
	v_cndmask_b32_e64 v1, v1, s22, s2
	s_and_b32 s3, s9, exec_lo
.LBB1715_22:
	s_or_b32 exec_lo, exec_lo, s19
	s_waitcnt lgkmcnt(0)
	v_cndmask_b32_e64 v19, v15, s22, vcc_lo
	v_cndmask_b32_e64 v16, 0, 1, vcc_lo
	v_mov_b32_e32 v17, v1
	v_mov_b32_e32 v21, v3
	s_and_b32 s2, s3, exec_lo
	v_mov_b32_e32 v18, v19
.LBB1715_23:
	s_or_b32 exec_lo, exec_lo, s13
	v_lshlrev_b32_e32 v14, 2, v0
	v_lshlrev_b32_e32 v15, 3, v0
	s_and_b32 vcc_lo, exec_lo, s12
	s_cbranch_vccnz .LBB1715_25
	s_branch .LBB1715_28
.LBB1715_24:
	s_mov_b32 s2, 0
                                        ; implicit-def: $sgpr4
                                        ; implicit-def: $vgpr16
                                        ; implicit-def: $vgpr1
                                        ; implicit-def: $vgpr3
                                        ; implicit-def: $vgpr19
                                        ; implicit-def: $vgpr20
                                        ; implicit-def: $vgpr17
                                        ; implicit-def: $vgpr21
                                        ; implicit-def: $vgpr18
	v_lshlrev_b32_e32 v14, 2, v0
	v_lshlrev_b32_e32 v15, 3, v0
	s_cbranch_execz .LBB1715_28
.LBB1715_25:
	v_add_co_u32 v1, vcc_lo, v4, v14
	v_add_co_ci_u32_e64 v2, null, 0, v5, vcc_lo
	s_mov_b32 s2, exec_lo
	v_add_co_u32 v6, vcc_lo, 0x800, v1
	v_add_co_ci_u32_e64 v7, null, 0, v2, vcc_lo
	s_clause 0x2
	flat_load_dword v3, v[1:2]
	flat_load_dword v12, v[1:2] offset:1024
	flat_load_dword v6, v[6:7]
	v_add_co_u32 v1, vcc_lo, 0x800, v4
	v_add_co_ci_u32_e64 v2, null, 0, v5, vcc_lo
	v_add_nc_u32_e32 v5, v14, v15
	s_waitcnt vmcnt(1) lgkmcnt(1)
	ds_write2st64_b32 v14, v3, v12 offset1:4
	s_waitcnt vmcnt(0) lgkmcnt(1)
	ds_write_b32 v14, v6 offset:2048
	s_waitcnt lgkmcnt(0)
	s_barrier
	buffer_gl0_inv
	flat_load_dword v4, v[1:2] offset:1024
	ds_read_b32 v3, v5
	ds_read2_b32 v[1:2], v5 offset0:1 offset1:2
	s_waitcnt lgkmcnt(1)
	ds_write_b32 v14, v3 offset:4096
	s_waitcnt vmcnt(0) lgkmcnt(0)
	s_barrier
	buffer_gl0_inv
	v_cmpx_ne_u32_e32 0xff, v0
; %bb.26:
	v_sub_nc_u32_e32 v4, 0, v15
	v_add_nc_u32_e32 v4, v5, v4
	ds_read_b32 v4, v4 offset:4100
; %bb.27:
	s_or_b32 exec_lo, exec_lo, s2
	v_add_co_u32 v6, vcc_lo, v8, v14
	v_add_co_ci_u32_e64 v7, null, 0, v11, vcc_lo
	s_waitcnt lgkmcnt(0)
	v_add_co_u32 v11, vcc_lo, 0x800, v6
	v_add_co_ci_u32_e64 v12, null, 0, v7, vcc_lo
	s_barrier
	buffer_gl0_inv
	s_clause 0x2
	flat_load_dword v8, v[6:7]
	flat_load_dword v6, v[6:7] offset:1024
	flat_load_dword v7, v[11:12]
	v_cmp_ne_u32_e32 vcc_lo, v1, v2
	v_cmp_ne_u32_e64 s2, v3, v1
	v_cmp_ne_u32_e64 s4, v2, v4
	v_cndmask_b32_e64 v3, 0, 1, vcc_lo
	v_cndmask_b32_e64 v16, 0, 1, s2
	v_mov_b32_e32 v21, v3
	s_waitcnt vmcnt(2) lgkmcnt(2)
	v_cvt_f32_u32_e32 v8, v8
	s_waitcnt vmcnt(1) lgkmcnt(1)
	v_cvt_f32_u32_e32 v6, v6
	s_waitcnt vmcnt(0) lgkmcnt(0)
	v_cvt_f32_u32_e32 v7, v7
	ds_write2st64_b32 v14, v8, v6 offset1:4
	ds_write_b32 v14, v7 offset:2048
	s_waitcnt lgkmcnt(0)
	s_barrier
	buffer_gl0_inv
	ds_read2_b32 v[6:7], v5 offset1:1
	ds_read_b32 v5, v5 offset:8
	s_waitcnt lgkmcnt(1)
	v_cndmask_b32_e64 v1, v7, s22, vcc_lo
	v_cndmask_b32_e64 v19, v6, s22, s2
	s_waitcnt lgkmcnt(0)
	v_cndmask_b32_e64 v20, v5, s22, s4
	s_mov_b32 s2, -1
	v_mov_b32_e32 v17, v1
	v_mov_b32_e32 v18, v19
.LBB1715_28:
	v_mov_b32_e32 v22, 0
	s_and_saveexec_b32 s3, s2
; %bb.29:
	v_cndmask_b32_e64 v22, 0, 1, s4
	v_mov_b32_e32 v18, v19
	v_mov_b32_e32 v21, v3
	;; [unrolled: 1-line block ×3, first 2 shown]
; %bb.30:
	s_or_b32 exec_lo, exec_lo, s3
	v_add_f32_e32 v24, v18, v17
	v_or_b32_e32 v23, v22, v21
	v_mbcnt_lo_u32_b32 v19, -1, 0
	s_cmp_lg_u32 s8, 0
	v_cmp_eq_u16_e32 vcc_lo, 0, v22
	s_barrier
	buffer_gl0_inv
	s_cbranch_scc0 .LBB1715_84
; %bb.31:
	v_mov_b32_e32 v2, 0
	v_cmp_eq_u16_sdwa s2, v21, v2 src0_sel:BYTE_0 src1_sel:DWORD
	v_cmp_eq_u16_sdwa s3, v23, v2 src0_sel:BYTE_0 src1_sel:DWORD
	v_cndmask_b32_e64 v1, v17, v24, s2
	v_cndmask_b32_e64 v5, 1, v16, s3
	s_mov_b32 s3, exec_lo
	v_add_f32_e32 v1, v1, v20
	v_and_b32_e32 v4, 0xff, v5
	v_cndmask_b32_e32 v3, v20, v1, vcc_lo
	v_and_b32_e32 v1, 15, v19
	v_mov_b32_dpp v6, v4 row_shr:1 row_mask:0xf bank_mask:0xf
	v_mov_b32_dpp v7, v3 row_shr:1 row_mask:0xf bank_mask:0xf
	v_cmpx_ne_u32_e32 0, v1
	s_cbranch_execz .LBB1715_33
; %bb.32:
	v_add_f32_e32 v4, v3, v7
	v_and_b32_e32 v7, 1, v5
	v_cmp_eq_u16_sdwa vcc_lo, v5, v2 src0_sel:BYTE_0 src1_sel:DWORD
	v_and_b32_e32 v6, 1, v6
	v_cndmask_b32_e32 v3, v3, v4, vcc_lo
	v_cmp_eq_u32_e32 vcc_lo, 1, v7
	v_cndmask_b32_e64 v4, v6, 1, vcc_lo
.LBB1715_33:
	s_or_b32 exec_lo, exec_lo, s3
	v_mov_b32_dpp v5, v3 row_shr:2 row_mask:0xf bank_mask:0xf
	v_mov_b32_dpp v2, v4 row_shr:2 row_mask:0xf bank_mask:0xf
	s_mov_b32 s3, exec_lo
	v_cmpx_lt_u32_e32 1, v1
	s_cbranch_execz .LBB1715_35
; %bb.34:
	v_add_f32_e32 v5, v3, v5
	v_and_b32_e32 v6, 1, v4
	v_cmp_eq_u32_e32 vcc_lo, 0, v4
	v_and_b32_e32 v2, 1, v2
	v_cndmask_b32_e32 v3, v3, v5, vcc_lo
	v_cmp_eq_u32_e32 vcc_lo, 1, v6
	v_cndmask_b32_e64 v4, v2, 1, vcc_lo
.LBB1715_35:
	s_or_b32 exec_lo, exec_lo, s3
	v_mov_b32_dpp v5, v3 row_shr:4 row_mask:0xf bank_mask:0xf
	v_mov_b32_dpp v2, v4 row_shr:4 row_mask:0xf bank_mask:0xf
	s_mov_b32 s3, exec_lo
	v_cmpx_lt_u32_e32 3, v1
	s_cbranch_execz .LBB1715_37
; %bb.36:
	v_add_f32_e32 v5, v3, v5
	v_and_b32_e32 v6, 1, v4
	v_cmp_eq_u32_e32 vcc_lo, 0, v4
	v_and_b32_e32 v2, 1, v2
	v_cndmask_b32_e32 v3, v3, v5, vcc_lo
	v_cmp_eq_u32_e32 vcc_lo, 1, v6
	v_cndmask_b32_e64 v4, v2, 1, vcc_lo
.LBB1715_37:
	;; [unrolled: 15-line block ×3, first 2 shown]
	s_or_b32 exec_lo, exec_lo, s3
	ds_swizzle_b32 v2, v3 offset:swizzle(BROADCAST,32,15)
	ds_swizzle_b32 v1, v4 offset:swizzle(BROADCAST,32,15)
	v_and_b32_e32 v5, 16, v19
	s_mov_b32 s3, exec_lo
	v_cmpx_ne_u32_e32 0, v5
	s_cbranch_execz .LBB1715_41
; %bb.40:
	s_waitcnt lgkmcnt(1)
	v_add_f32_e32 v2, v3, v2
	v_and_b32_e32 v5, 1, v4
	v_cmp_eq_u32_e32 vcc_lo, 0, v4
	s_waitcnt lgkmcnt(0)
	v_and_b32_e32 v1, 1, v1
	v_cndmask_b32_e32 v3, v3, v2, vcc_lo
	v_cmp_eq_u32_e32 vcc_lo, 1, v5
	v_cndmask_b32_e64 v4, v1, 1, vcc_lo
.LBB1715_41:
	s_or_b32 exec_lo, exec_lo, s3
	s_waitcnt lgkmcnt(1)
	v_lshrrev_b32_e32 v2, 5, v0
	s_waitcnt lgkmcnt(0)
	v_or_b32_e32 v1, 31, v0
	s_mov_b32 s3, exec_lo
	v_lshlrev_b32_e32 v5, 3, v2
	v_cmpx_eq_u32_e64 v0, v1
	s_cbranch_execz .LBB1715_43
; %bb.42:
	ds_write_b32 v5, v3
	ds_write_b8 v5, v4 offset:4
.LBB1715_43:
	s_or_b32 exec_lo, exec_lo, s3
	s_mov_b32 s4, exec_lo
	s_waitcnt lgkmcnt(0)
	s_barrier
	buffer_gl0_inv
	v_cmpx_gt_u32_e32 8, v0
	s_cbranch_execz .LBB1715_49
; %bb.44:
	ds_read_b64 v[1:2], v15
	v_and_b32_e32 v6, 7, v19
	s_mov_b32 s3, exec_lo
	s_waitcnt lgkmcnt(0)
	v_mov_b32_dpp v8, v1 row_shr:1 row_mask:0xf bank_mask:0xf
	v_mov_b32_dpp v11, v2 row_shr:1 row_mask:0xf bank_mask:0xf
	v_mov_b32_e32 v7, v2
	v_cmpx_ne_u32_e32 0, v6
	s_cbranch_execz .LBB1715_46
; %bb.45:
	v_and_b32_e32 v7, 1, v2
	v_and_b32_e32 v11, 1, v11
	v_mov_b32_e32 v12, 0
	v_add_f32_e32 v8, v1, v8
	v_cmp_eq_u32_e32 vcc_lo, 1, v7
	v_cndmask_b32_e64 v7, v11, 1, vcc_lo
	v_cmp_eq_u16_sdwa vcc_lo, v2, v12 src0_sel:BYTE_0 src1_sel:DWORD
	v_and_or_b32 v2, 0xffffff00, v2, v7
	v_cndmask_b32_e32 v1, v1, v8, vcc_lo
.LBB1715_46:
	s_or_b32 exec_lo, exec_lo, s3
	v_mov_b32_dpp v8, v1 row_shr:2 row_mask:0xf bank_mask:0xf
	v_mov_b32_dpp v11, v2 row_shr:2 row_mask:0xf bank_mask:0xf
	s_mov_b32 s9, exec_lo
	v_cmpx_lt_u32_e32 1, v6
	s_cbranch_execz .LBB1715_48
; %bb.47:
	v_and_b32_e32 v13, 1, v7
	v_mov_b32_e32 v12, 0
	v_and_b32_e32 v11, 1, v11
	v_add_f32_e32 v8, v1, v8
	v_cmp_eq_u32_e64 s3, 1, v13
	v_cmp_eq_u16_sdwa vcc_lo, v7, v12 src0_sel:BYTE_0 src1_sel:DWORD
	v_cndmask_b32_e64 v7, v11, 1, s3
	v_cndmask_b32_e32 v1, v1, v8, vcc_lo
	v_and_or_b32 v2, 0xffffff00, v2, v7
.LBB1715_48:
	s_or_b32 exec_lo, exec_lo, s9
	v_mov_b32_dpp v8, v2 row_shr:4 row_mask:0xf bank_mask:0xf
	v_and_b32_e32 v12, 1, v7
	v_mov_b32_e32 v11, 0
	v_mov_b32_dpp v13, v1 row_shr:4 row_mask:0xf bank_mask:0xf
	v_and_b32_e32 v8, 1, v8
	v_cmp_eq_u32_e32 vcc_lo, 1, v12
	v_cmp_eq_u16_sdwa s3, v7, v11 src0_sel:BYTE_0 src1_sel:DWORD
	v_cndmask_b32_e64 v7, v8, 1, vcc_lo
	v_cmp_lt_u32_e32 vcc_lo, 3, v6
	v_add_f32_e32 v6, v1, v13
	v_cndmask_b32_e32 v2, v2, v7, vcc_lo
	s_and_b32 vcc_lo, vcc_lo, s3
	v_cndmask_b32_e32 v1, v1, v6, vcc_lo
	ds_write_b32 v15, v1
	ds_write_b8 v15, v2 offset:4
.LBB1715_49:
	s_or_b32 exec_lo, exec_lo, s4
	v_mov_b32_e32 v26, 0
	v_mov_b32_e32 v25, 0
	s_mov_b32 s4, exec_lo
	v_cmp_gt_u32_e32 vcc_lo, 32, v0
	s_waitcnt lgkmcnt(0)
	s_barrier
	buffer_gl0_inv
	v_cmpx_lt_u32_e32 31, v0
	s_cbranch_execz .LBB1715_51
; %bb.50:
	v_add_nc_u32_e32 v1, -8, v5
	v_and_b32_e32 v2, 1, v4
	v_cmp_eq_u32_e64 s3, 0, v4
	ds_read_b32 v25, v1
	v_add_nc_u32_e32 v1, -4, v5
	ds_read_u8 v26, v1
	s_waitcnt lgkmcnt(1)
	v_add_f32_e32 v1, v3, v25
	v_cndmask_b32_e64 v3, v3, v1, s3
	v_cmp_eq_u32_e64 s3, 1, v2
	s_waitcnt lgkmcnt(0)
	v_cndmask_b32_e64 v4, v26, 1, s3
.LBB1715_51:
	s_or_b32 exec_lo, exec_lo, s4
	v_sub_co_u32 v1, s3, v19, 1
	v_cmp_gt_i32_e64 s4, 0, v1
	v_cndmask_b32_e64 v1, v1, v19, s4
	v_lshlrev_b32_e32 v1, 2, v1
	ds_bpermute_b32 v27, v1, v3
	ds_bpermute_b32 v28, v1, v4
	s_and_saveexec_b32 s9, vcc_lo
	s_cbranch_execz .LBB1715_89
; %bb.52:
	v_mov_b32_e32 v4, 0
	ds_read_b64 v[1:2], v4 offset:56
	s_and_saveexec_b32 s4, s3
	s_cbranch_execz .LBB1715_54
; %bb.53:
	s_add_i32 s12, s8, 32
	s_mov_b32 s13, 0
	v_mov_b32_e32 v3, 1
	s_lshl_b64 s[12:13], s[12:13], 4
	s_add_u32 s12, s16, s12
	s_addc_u32 s13, s17, s13
	v_mov_b32_e32 v5, s12
	v_mov_b32_e32 v6, s13
	s_waitcnt lgkmcnt(0)
	;;#ASMSTART
	global_store_dwordx4 v[5:6], v[1:4] off	
s_waitcnt vmcnt(0)
	;;#ASMEND
.LBB1715_54:
	s_or_b32 exec_lo, exec_lo, s4
	v_xad_u32 v11, v19, -1, s8
	s_mov_b32 s12, 0
	v_add_nc_u32_e32 v3, 32, v11
	v_lshlrev_b64 v[5:6], 4, v[3:4]
	v_add_co_u32 v12, vcc_lo, s16, v5
	v_add_co_ci_u32_e64 v13, null, s17, v6, vcc_lo
	;;#ASMSTART
	global_load_dwordx4 v[5:8], v[12:13] off glc dlc	
s_waitcnt vmcnt(0)
	;;#ASMEND
	v_cmp_eq_u16_sdwa s13, v7, v4 src0_sel:BYTE_0 src1_sel:DWORD
	s_and_saveexec_b32 s4, s13
	s_cbranch_execz .LBB1715_58
; %bb.55:
	v_mov_b32_e32 v3, 0
.LBB1715_56:                            ; =>This Inner Loop Header: Depth=1
	;;#ASMSTART
	global_load_dwordx4 v[5:8], v[12:13] off glc dlc	
s_waitcnt vmcnt(0)
	;;#ASMEND
	v_cmp_ne_u16_sdwa s13, v7, v3 src0_sel:BYTE_0 src1_sel:DWORD
	s_or_b32 s12, s13, s12
	s_andn2_b32 exec_lo, exec_lo, s12
	s_cbranch_execnz .LBB1715_56
; %bb.57:
	s_or_b32 exec_lo, exec_lo, s12
.LBB1715_58:
	s_or_b32 exec_lo, exec_lo, s4
	v_cmp_ne_u32_e32 vcc_lo, 31, v19
	v_mov_b32_e32 v8, 2
	v_and_b32_e32 v4, 0xff, v6
	v_lshlrev_b32_e64 v29, v19, -1
	s_mov_b32 s12, exec_lo
	v_add_co_ci_u32_e64 v3, null, 0, v19, vcc_lo
	v_cmp_eq_u16_sdwa s4, v7, v8 src0_sel:BYTE_0 src1_sel:DWORD
	v_lshlrev_b32_e32 v13, 2, v3
	v_and_or_b32 v3, s4, v29, 0x80000000
	ds_bpermute_b32 v8, v13, v5
	ds_bpermute_b32 v12, v13, v4
	v_ffbl_b32_e32 v3, v3
	v_cmpx_lt_u32_e64 v19, v3
	s_cbranch_execz .LBB1715_60
; %bb.59:
	v_and_b32_e32 v30, 1, v6
	v_mov_b32_e32 v4, 0
	s_waitcnt lgkmcnt(0)
	v_and_b32_e32 v12, 1, v12
	v_add_f32_e32 v8, v5, v8
	v_cmp_eq_u32_e64 s4, 1, v30
	v_cmp_eq_u16_sdwa vcc_lo, v6, v4 src0_sel:BYTE_0 src1_sel:DWORD
	v_cndmask_b32_e64 v6, v12, 1, s4
	v_cndmask_b32_e32 v5, v5, v8, vcc_lo
	v_and_b32_e32 v4, 0xffff, v6
.LBB1715_60:
	s_or_b32 exec_lo, exec_lo, s12
	v_cmp_gt_u32_e32 vcc_lo, 30, v19
	v_add_nc_u32_e32 v31, 2, v19
	s_mov_b32 s12, exec_lo
	s_waitcnt lgkmcnt(1)
	v_cndmask_b32_e64 v8, 0, 2, vcc_lo
	v_add_lshl_u32 v30, v8, v19, 2
	ds_bpermute_b32 v8, v30, v5
	s_waitcnt lgkmcnt(1)
	ds_bpermute_b32 v12, v30, v4
	v_cmpx_le_u32_e64 v31, v3
	s_cbranch_execz .LBB1715_62
; %bb.61:
	v_and_b32_e32 v32, 1, v6
	v_mov_b32_e32 v4, 0
	s_waitcnt lgkmcnt(0)
	v_and_b32_e32 v12, 1, v12
	v_add_f32_e32 v8, v5, v8
	v_cmp_eq_u32_e64 s4, 1, v32
	v_cmp_eq_u16_sdwa vcc_lo, v6, v4 src0_sel:BYTE_0 src1_sel:DWORD
	v_cndmask_b32_e64 v6, v12, 1, s4
	v_cndmask_b32_e32 v5, v5, v8, vcc_lo
	v_and_b32_e32 v4, 0xffff, v6
.LBB1715_62:
	s_or_b32 exec_lo, exec_lo, s12
	v_cmp_gt_u32_e32 vcc_lo, 28, v19
	v_add_nc_u32_e32 v33, 4, v19
	s_mov_b32 s12, exec_lo
	s_waitcnt lgkmcnt(1)
	v_cndmask_b32_e64 v8, 0, 4, vcc_lo
	v_add_lshl_u32 v32, v8, v19, 2
	ds_bpermute_b32 v8, v32, v5
	s_waitcnt lgkmcnt(1)
	ds_bpermute_b32 v12, v32, v4
	v_cmpx_le_u32_e64 v33, v3
	;; [unrolled: 24-line block ×3, first 2 shown]
	s_cbranch_execz .LBB1715_66
; %bb.65:
	v_and_b32_e32 v36, 1, v6
	v_mov_b32_e32 v4, 0
	s_waitcnt lgkmcnt(0)
	v_and_b32_e32 v12, 1, v12
	v_add_f32_e32 v8, v5, v8
	v_cmp_eq_u32_e64 s4, 1, v36
	v_cmp_eq_u16_sdwa vcc_lo, v6, v4 src0_sel:BYTE_0 src1_sel:DWORD
	v_cndmask_b32_e64 v6, v12, 1, s4
	v_cndmask_b32_e32 v5, v5, v8, vcc_lo
	v_and_b32_e32 v4, 0xffff, v6
.LBB1715_66:
	s_or_b32 exec_lo, exec_lo, s12
	v_lshl_or_b32 v38, v19, 2, 64
	v_add_nc_u32_e32 v39, 16, v19
	s_mov_b32 s4, exec_lo
	s_waitcnt lgkmcnt(1)
	ds_bpermute_b32 v8, v38, v5
	ds_bpermute_b32 v4, v38, v4
	v_cmpx_le_u32_e64 v39, v3
	s_cbranch_execz .LBB1715_68
; %bb.67:
	v_mov_b32_e32 v3, 0
	s_waitcnt lgkmcnt(1)
	v_add_f32_e32 v8, v5, v8
	v_and_b32_e32 v12, 1, v6
	s_waitcnt lgkmcnt(0)
	v_and_b32_e32 v4, 1, v4
	v_cmp_eq_u16_sdwa vcc_lo, v6, v3 src0_sel:BYTE_0 src1_sel:DWORD
	v_cndmask_b32_e32 v5, v5, v8, vcc_lo
	v_cmp_eq_u32_e32 vcc_lo, 1, v12
	v_cndmask_b32_e64 v6, v4, 1, vcc_lo
.LBB1715_68:
	s_or_b32 exec_lo, exec_lo, s4
	s_waitcnt lgkmcnt(2)
	v_mov_b32_e32 v12, 0
	v_mov_b32_e32 v40, 2
	s_branch .LBB1715_71
.LBB1715_69:                            ;   in Loop: Header=BB1715_71 Depth=1
	s_or_b32 exec_lo, exec_lo, s12
	s_waitcnt lgkmcnt(1)
	ds_bpermute_b32 v8, v38, v5
	ds_bpermute_b32 v4, v38, v4
	s_waitcnt lgkmcnt(2)
	v_and_b32_e32 v41, 1, v6
	v_subrev_nc_u32_e32 v11, 32, v11
	s_mov_b32 s4, 0
	v_cmp_eq_u32_e32 vcc_lo, 1, v41
	s_waitcnt lgkmcnt(1)
	v_add_f32_e32 v8, v5, v8
	s_waitcnt lgkmcnt(0)
	v_cndmask_b32_e64 v4, v4, 1, vcc_lo
	v_cmp_eq_u16_sdwa vcc_lo, v6, v12 src0_sel:BYTE_0 src1_sel:DWORD
	v_cndmask_b32_e32 v8, v5, v8, vcc_lo
	v_cmp_gt_u32_e32 vcc_lo, v39, v3
	v_cndmask_b32_e32 v3, v4, v6, vcc_lo
	v_cndmask_b32_e32 v4, v8, v5, vcc_lo
	v_and_b32_e32 v6, 1, v36
	v_cmp_eq_u16_sdwa vcc_lo, v36, v12 src0_sel:BYTE_0 src1_sel:DWORD
	v_and_b32_e32 v3, 1, v3
	v_add_f32_e32 v4, v37, v4
	v_cndmask_b32_e32 v5, v37, v4, vcc_lo
	v_cmp_eq_u32_e32 vcc_lo, 1, v6
	v_cndmask_b32_e64 v6, v3, 1, vcc_lo
.LBB1715_70:                            ;   in Loop: Header=BB1715_71 Depth=1
	s_and_b32 vcc_lo, exec_lo, s4
	s_cbranch_vccnz .LBB1715_85
.LBB1715_71:                            ; =>This Loop Header: Depth=1
                                        ;     Child Loop BB1715_74 Depth 2
	v_cmp_ne_u16_sdwa s4, v7, v40 src0_sel:BYTE_0 src1_sel:DWORD
	v_mov_b32_e32 v36, v6
	v_mov_b32_e32 v37, v5
                                        ; implicit-def: $vgpr6
	s_cmp_lg_u32 s4, exec_lo
	s_mov_b32 s4, -1
	s_cbranch_scc1 .LBB1715_70
; %bb.72:                               ;   in Loop: Header=BB1715_71 Depth=1
	s_waitcnt lgkmcnt(0)
	v_lshlrev_b64 v[3:4], 4, v[11:12]
	v_add_co_u32 v3, vcc_lo, s16, v3
	v_add_co_ci_u32_e64 v4, null, s17, v4, vcc_lo
	;;#ASMSTART
	global_load_dwordx4 v[5:8], v[3:4] off glc dlc	
s_waitcnt vmcnt(0)
	;;#ASMEND
	v_cmp_eq_u16_sdwa s12, v7, v12 src0_sel:BYTE_0 src1_sel:DWORD
	s_and_saveexec_b32 s4, s12
	s_cbranch_execz .LBB1715_76
; %bb.73:                               ;   in Loop: Header=BB1715_71 Depth=1
	s_mov_b32 s12, 0
.LBB1715_74:                            ;   Parent Loop BB1715_71 Depth=1
                                        ; =>  This Inner Loop Header: Depth=2
	;;#ASMSTART
	global_load_dwordx4 v[5:8], v[3:4] off glc dlc	
s_waitcnt vmcnt(0)
	;;#ASMEND
	v_cmp_ne_u16_sdwa s13, v7, v12 src0_sel:BYTE_0 src1_sel:DWORD
	s_or_b32 s12, s13, s12
	s_andn2_b32 exec_lo, exec_lo, s12
	s_cbranch_execnz .LBB1715_74
; %bb.75:                               ;   in Loop: Header=BB1715_71 Depth=1
	s_or_b32 exec_lo, exec_lo, s12
.LBB1715_76:                            ;   in Loop: Header=BB1715_71 Depth=1
	s_or_b32 exec_lo, exec_lo, s4
	v_and_b32_e32 v4, 0xff, v6
	ds_bpermute_b32 v8, v13, v5
	v_cmp_eq_u16_sdwa s4, v7, v40 src0_sel:BYTE_0 src1_sel:DWORD
	s_mov_b32 s12, exec_lo
	ds_bpermute_b32 v41, v13, v4
	v_and_or_b32 v3, s4, v29, 0x80000000
	v_ffbl_b32_e32 v3, v3
	v_cmpx_lt_u32_e64 v19, v3
	s_cbranch_execz .LBB1715_78
; %bb.77:                               ;   in Loop: Header=BB1715_71 Depth=1
	v_and_b32_e32 v4, 1, v6
	s_waitcnt lgkmcnt(0)
	v_and_b32_e32 v41, 1, v41
	v_add_f32_e32 v8, v5, v8
	v_cmp_eq_u16_sdwa vcc_lo, v6, v12 src0_sel:BYTE_0 src1_sel:DWORD
	v_cmp_eq_u32_e64 s4, 1, v4
	v_cndmask_b32_e32 v5, v5, v8, vcc_lo
	v_cndmask_b32_e64 v6, v41, 1, s4
	v_and_b32_e32 v4, 0xffff, v6
.LBB1715_78:                            ;   in Loop: Header=BB1715_71 Depth=1
	s_or_b32 exec_lo, exec_lo, s12
	s_waitcnt lgkmcnt(1)
	ds_bpermute_b32 v8, v30, v5
	s_waitcnt lgkmcnt(1)
	ds_bpermute_b32 v41, v30, v4
	s_mov_b32 s12, exec_lo
	v_cmpx_le_u32_e64 v31, v3
	s_cbranch_execz .LBB1715_80
; %bb.79:                               ;   in Loop: Header=BB1715_71 Depth=1
	v_and_b32_e32 v4, 1, v6
	s_waitcnt lgkmcnt(0)
	v_and_b32_e32 v41, 1, v41
	v_add_f32_e32 v8, v5, v8
	v_cmp_eq_u16_sdwa vcc_lo, v6, v12 src0_sel:BYTE_0 src1_sel:DWORD
	v_cmp_eq_u32_e64 s4, 1, v4
	v_cndmask_b32_e32 v5, v5, v8, vcc_lo
	v_cndmask_b32_e64 v6, v41, 1, s4
	v_and_b32_e32 v4, 0xffff, v6
.LBB1715_80:                            ;   in Loop: Header=BB1715_71 Depth=1
	s_or_b32 exec_lo, exec_lo, s12
	s_waitcnt lgkmcnt(1)
	ds_bpermute_b32 v8, v32, v5
	s_waitcnt lgkmcnt(1)
	ds_bpermute_b32 v41, v32, v4
	s_mov_b32 s12, exec_lo
	v_cmpx_le_u32_e64 v33, v3
	;; [unrolled: 19-line block ×3, first 2 shown]
	s_cbranch_execz .LBB1715_69
; %bb.83:                               ;   in Loop: Header=BB1715_71 Depth=1
	v_and_b32_e32 v4, 1, v6
	s_waitcnt lgkmcnt(0)
	v_and_b32_e32 v41, 1, v41
	v_add_f32_e32 v8, v5, v8
	v_cmp_eq_u16_sdwa vcc_lo, v6, v12 src0_sel:BYTE_0 src1_sel:DWORD
	v_cmp_eq_u32_e64 s4, 1, v4
	v_cndmask_b32_e32 v5, v5, v8, vcc_lo
	v_cndmask_b32_e64 v6, v41, 1, s4
	v_and_b32_e32 v4, 0xffff, v6
	s_branch .LBB1715_69
.LBB1715_84:
                                        ; implicit-def: $vgpr7
                                        ; implicit-def: $vgpr5
                                        ; implicit-def: $vgpr6
	s_cbranch_execnz .LBB1715_90
	s_branch .LBB1715_115
.LBB1715_85:
	s_and_saveexec_b32 s4, s3
	s_cbranch_execz .LBB1715_87
; %bb.86:
	s_waitcnt lgkmcnt(0)
	v_mov_b32_e32 v4, 0
	v_add_f32_e32 v3, v37, v1
	v_and_b32_e32 v5, 1, v2
	s_mov_b32 s13, 0
	s_add_i32 s12, s8, 32
	v_cmp_eq_u32_sdwa vcc_lo, v2, v4 src0_sel:BYTE_0 src1_sel:DWORD
	v_and_b32_e32 v6, 1, v36
	s_lshl_b64 s[12:13], s[12:13], 4
	s_add_u32 s12, s16, s12
	v_cndmask_b32_e32 v1, v1, v3, vcc_lo
	v_cmp_eq_u32_e32 vcc_lo, 1, v5
	s_addc_u32 s13, s17, s13
	v_mov_b32_e32 v3, 2
	v_cndmask_b32_e64 v2, v6, 1, vcc_lo
	v_mov_b32_e32 v5, s12
	v_mov_b32_e32 v6, s13
	;;#ASMSTART
	global_store_dwordx4 v[5:6], v[1:4] off	
s_waitcnt vmcnt(0)
	;;#ASMEND
.LBB1715_87:
	s_or_b32 exec_lo, exec_lo, s4
	s_and_b32 exec_lo, exec_lo, s0
	s_cbranch_execz .LBB1715_89
; %bb.88:
	v_mov_b32_e32 v1, 0
	ds_write_b32 v1, v37 offset:56
	ds_write_b8 v1, v36 offset:60
.LBB1715_89:
	s_or_b32 exec_lo, exec_lo, s9
	v_mov_b32_e32 v1, 0
	s_waitcnt lgkmcnt(0)
	s_barrier
	buffer_gl0_inv
	v_cndmask_b32_e64 v3, v27, v25, s3
	ds_read_b32 v2, v1 offset:56
	v_cndmask_b32_e64 v4, v28, v26, s3
	v_cmp_eq_u32_sdwa vcc_lo, v4, v1 src0_sel:BYTE_0 src1_sel:DWORD
	s_waitcnt lgkmcnt(0)
	v_add_f32_e32 v5, v3, v2
	v_cndmask_b32_e32 v3, v3, v5, vcc_lo
	v_cmp_eq_u16_sdwa vcc_lo, v16, v1 src0_sel:BYTE_0 src1_sel:DWORD
	v_cndmask_b32_e64 v6, v3, v2, s0
	v_add_f32_e32 v2, v18, v6
	v_cndmask_b32_e32 v5, v18, v2, vcc_lo
	v_add_f32_e32 v1, v17, v5
	v_cndmask_b32_e64 v7, v17, v1, s2
	s_branch .LBB1715_115
.LBB1715_90:
	s_cmp_eq_u64 s[20:21], 0
	v_mov_b32_e32 v3, s22
	s_cselect_b32 s2, -1, 0
	s_cmp_eq_u64 s[6:7], 0
	s_cselect_b32 s3, -1, 0
	s_or_b32 s2, s2, s3
	s_and_b32 vcc_lo, exec_lo, s2
	s_cbranch_vccnz .LBB1715_92
; %bb.91:
	v_mov_b32_e32 v1, 0
	global_load_dword v3, v1, s[6:7]
.LBB1715_92:
	v_mov_b32_e32 v2, 0
	s_mov_b32 s3, exec_lo
	v_cmp_eq_u16_sdwa vcc_lo, v21, v2 src0_sel:BYTE_0 src1_sel:DWORD
	v_cmp_eq_u16_sdwa s2, v23, v2 src0_sel:BYTE_0 src1_sel:DWORD
	v_cndmask_b32_e32 v1, v17, v24, vcc_lo
	v_cndmask_b32_e64 v6, 1, v16, s2
	v_cmp_eq_u16_e64 s2, 0, v22
	v_add_f32_e32 v1, v1, v20
	v_and_b32_e32 v5, 0xff, v6
	v_cndmask_b32_e64 v4, v20, v1, s2
	v_and_b32_e32 v1, 15, v19
	v_mov_b32_dpp v7, v5 row_shr:1 row_mask:0xf bank_mask:0xf
	v_mov_b32_dpp v8, v4 row_shr:1 row_mask:0xf bank_mask:0xf
	v_cmpx_ne_u32_e32 0, v1
	s_cbranch_execz .LBB1715_94
; %bb.93:
	v_add_f32_e32 v5, v4, v8
	v_and_b32_e32 v8, 1, v6
	v_cmp_eq_u16_sdwa s2, v6, v2 src0_sel:BYTE_0 src1_sel:DWORD
	v_and_b32_e32 v7, 1, v7
	v_cndmask_b32_e64 v4, v4, v5, s2
	v_cmp_eq_u32_e64 s2, 1, v8
	v_cndmask_b32_e64 v5, v7, 1, s2
.LBB1715_94:
	s_or_b32 exec_lo, exec_lo, s3
	v_mov_b32_dpp v6, v4 row_shr:2 row_mask:0xf bank_mask:0xf
	v_mov_b32_dpp v2, v5 row_shr:2 row_mask:0xf bank_mask:0xf
	s_mov_b32 s3, exec_lo
	v_cmpx_lt_u32_e32 1, v1
	s_cbranch_execz .LBB1715_96
; %bb.95:
	v_add_f32_e32 v6, v4, v6
	v_and_b32_e32 v7, 1, v5
	v_cmp_eq_u32_e64 s2, 0, v5
	v_and_b32_e32 v2, 1, v2
	v_cndmask_b32_e64 v4, v4, v6, s2
	v_cmp_eq_u32_e64 s2, 1, v7
	v_cndmask_b32_e64 v5, v2, 1, s2
.LBB1715_96:
	s_or_b32 exec_lo, exec_lo, s3
	v_mov_b32_dpp v6, v4 row_shr:4 row_mask:0xf bank_mask:0xf
	v_mov_b32_dpp v2, v5 row_shr:4 row_mask:0xf bank_mask:0xf
	s_mov_b32 s3, exec_lo
	v_cmpx_lt_u32_e32 3, v1
	s_cbranch_execz .LBB1715_98
; %bb.97:
	v_add_f32_e32 v6, v4, v6
	v_and_b32_e32 v7, 1, v5
	v_cmp_eq_u32_e64 s2, 0, v5
	v_and_b32_e32 v2, 1, v2
	v_cndmask_b32_e64 v4, v4, v6, s2
	v_cmp_eq_u32_e64 s2, 1, v7
	v_cndmask_b32_e64 v5, v2, 1, s2
.LBB1715_98:
	;; [unrolled: 15-line block ×3, first 2 shown]
	s_or_b32 exec_lo, exec_lo, s3
	ds_swizzle_b32 v2, v4 offset:swizzle(BROADCAST,32,15)
	ds_swizzle_b32 v1, v5 offset:swizzle(BROADCAST,32,15)
	v_and_b32_e32 v6, 16, v19
	s_mov_b32 s3, exec_lo
	v_cmpx_ne_u32_e32 0, v6
	s_cbranch_execz .LBB1715_102
; %bb.101:
	s_waitcnt lgkmcnt(1)
	v_add_f32_e32 v2, v4, v2
	v_and_b32_e32 v6, 1, v5
	v_cmp_eq_u32_e64 s2, 0, v5
	s_waitcnt lgkmcnt(0)
	v_and_b32_e32 v1, 1, v1
	v_cndmask_b32_e64 v4, v4, v2, s2
	v_cmp_eq_u32_e64 s2, 1, v6
	v_cndmask_b32_e64 v5, v1, 1, s2
.LBB1715_102:
	s_or_b32 exec_lo, exec_lo, s3
	s_waitcnt lgkmcnt(1)
	v_lshrrev_b32_e32 v2, 5, v0
	s_waitcnt lgkmcnt(0)
	v_or_b32_e32 v1, 31, v0
	s_mov_b32 s3, exec_lo
	v_lshlrev_b32_e32 v6, 3, v2
	v_cmpx_eq_u32_e64 v0, v1
	s_cbranch_execz .LBB1715_104
; %bb.103:
	ds_write_b32 v6, v4
	ds_write_b8 v6, v5 offset:4
.LBB1715_104:
	s_or_b32 exec_lo, exec_lo, s3
	s_mov_b32 s4, exec_lo
	s_waitcnt vmcnt(0) lgkmcnt(0)
	s_barrier
	buffer_gl0_inv
	v_cmpx_gt_u32_e32 8, v0
	s_cbranch_execz .LBB1715_110
; %bb.105:
	ds_read_b64 v[1:2], v15
	v_and_b32_e32 v7, 7, v19
	s_mov_b32 s3, exec_lo
	s_waitcnt lgkmcnt(0)
	v_mov_b32_dpp v11, v1 row_shr:1 row_mask:0xf bank_mask:0xf
	v_mov_b32_dpp v12, v2 row_shr:1 row_mask:0xf bank_mask:0xf
	v_mov_b32_e32 v8, v2
	v_cmpx_ne_u32_e32 0, v7
	s_cbranch_execz .LBB1715_107
; %bb.106:
	v_and_b32_e32 v8, 1, v2
	v_and_b32_e32 v12, 1, v12
	v_mov_b32_e32 v13, 0
	v_add_f32_e32 v11, v1, v11
	v_cmp_eq_u32_e64 s2, 1, v8
	v_cndmask_b32_e64 v8, v12, 1, s2
	v_cmp_eq_u16_sdwa s2, v2, v13 src0_sel:BYTE_0 src1_sel:DWORD
	v_and_or_b32 v2, 0xffffff00, v2, v8
	v_cndmask_b32_e64 v1, v1, v11, s2
.LBB1715_107:
	s_or_b32 exec_lo, exec_lo, s3
	v_mov_b32_dpp v11, v1 row_shr:2 row_mask:0xf bank_mask:0xf
	v_mov_b32_dpp v12, v2 row_shr:2 row_mask:0xf bank_mask:0xf
	s_mov_b32 s6, exec_lo
	v_cmpx_lt_u32_e32 1, v7
	s_cbranch_execz .LBB1715_109
; %bb.108:
	v_and_b32_e32 v20, 1, v8
	v_mov_b32_e32 v13, 0
	v_and_b32_e32 v12, 1, v12
	v_add_f32_e32 v11, v1, v11
	v_cmp_eq_u32_e64 s3, 1, v20
	v_cmp_eq_u16_sdwa s2, v8, v13 src0_sel:BYTE_0 src1_sel:DWORD
	v_cndmask_b32_e64 v8, v12, 1, s3
	v_cndmask_b32_e64 v1, v1, v11, s2
	v_and_or_b32 v2, 0xffffff00, v2, v8
.LBB1715_109:
	s_or_b32 exec_lo, exec_lo, s6
	v_mov_b32_dpp v11, v2 row_shr:4 row_mask:0xf bank_mask:0xf
	v_and_b32_e32 v13, 1, v8
	v_mov_b32_e32 v12, 0
	v_mov_b32_dpp v20, v1 row_shr:4 row_mask:0xf bank_mask:0xf
	v_and_b32_e32 v11, 1, v11
	v_cmp_eq_u32_e64 s2, 1, v13
	v_cmp_eq_u16_sdwa s3, v8, v12 src0_sel:BYTE_0 src1_sel:DWORD
	v_cndmask_b32_e64 v8, v11, 1, s2
	v_cmp_lt_u32_e64 s2, 3, v7
	v_add_f32_e32 v7, v1, v20
	v_cndmask_b32_e64 v2, v2, v8, s2
	s_and_b32 s2, s2, s3
	v_cndmask_b32_e64 v1, v1, v7, s2
	ds_write_b32 v15, v1
	ds_write_b8 v15, v2 offset:4
.LBB1715_110:
	s_or_b32 exec_lo, exec_lo, s4
	v_mov_b32_e32 v1, v3
	s_mov_b32 s3, exec_lo
	s_waitcnt lgkmcnt(0)
	s_barrier
	buffer_gl0_inv
	v_cmpx_lt_u32_e32 31, v0
	s_cbranch_execz .LBB1715_112
; %bb.111:
	v_add_nc_u32_e32 v1, -8, v6
	v_add_nc_u32_e32 v2, -4, v6
	ds_read_b32 v1, v1
	ds_read_u8 v2, v2
	s_waitcnt lgkmcnt(1)
	v_add_f32_e32 v6, v3, v1
	s_waitcnt lgkmcnt(0)
	v_cmp_eq_u16_e64 s2, 0, v2
	v_cndmask_b32_e64 v1, v1, v6, s2
.LBB1715_112:
	s_or_b32 exec_lo, exec_lo, s3
	v_sub_co_u32 v2, s2, v19, 1
	v_add_f32_e32 v6, v4, v1
	v_cmp_gt_i32_e64 s3, 0, v2
	v_cndmask_b32_e64 v2, v2, v19, s3
	v_cmp_eq_u32_e64 s3, 0, v5
	v_lshlrev_b32_e32 v2, 2, v2
	v_cndmask_b32_e64 v4, v4, v6, s3
	ds_bpermute_b32 v2, v2, v4
	s_waitcnt lgkmcnt(0)
	v_cndmask_b32_e64 v6, v2, v1, s2
	v_mov_b32_e32 v2, 0
	v_cndmask_b32_e64 v1, v6, v3, s0
	v_cmp_eq_u16_sdwa s2, v16, v2 src0_sel:BYTE_0 src1_sel:DWORD
	v_add_f32_e32 v1, v18, v1
	v_cndmask_b32_e64 v5, v18, v1, s2
	v_add_f32_e32 v4, v17, v5
	s_and_saveexec_b32 s2, s0
	s_cbranch_execz .LBB1715_114
; %bb.113:
	ds_read_u8 v1, v2 offset:60
	ds_read_b32 v6, v2 offset:56
	s_add_u32 s6, s16, 0x200
	s_addc_u32 s7, s17, 0
	v_mov_b32_e32 v21, v2
	v_mov_b32_e32 v20, 2
	s_waitcnt lgkmcnt(1)
	v_and_b32_e32 v1, 0xffff, v1
	s_waitcnt lgkmcnt(0)
	v_add_f32_e32 v7, v3, v6
	v_cmp_eq_u64_e64 s0, 0, v[1:2]
	v_mov_b32_e32 v19, v1
	v_mov_b32_e32 v1, s6
	;; [unrolled: 1-line block ×3, first 2 shown]
	v_cndmask_b32_e64 v18, v6, v7, s0
	v_mov_b32_e32 v6, v3
	;;#ASMSTART
	global_store_dwordx4 v[1:2], v[18:21] off	
s_waitcnt vmcnt(0)
	;;#ASMEND
.LBB1715_114:
	s_or_b32 exec_lo, exec_lo, s2
	v_cndmask_b32_e32 v7, v17, v4, vcc_lo
.LBB1715_115:
	s_add_u32 s0, s14, s10
	s_addc_u32 s2, s15, s11
	v_add_co_u32 v8, vcc_lo, s0, v9
	v_add_co_ci_u32_e64 v9, null, s2, v10, vcc_lo
	v_mov_b32_e32 v3, 0
	s_and_b32 vcc_lo, exec_lo, s1
	s_cbranch_vccz .LBB1715_127
; %bb.116:
	v_mul_u32_u24_e32 v1, 3, v0
	v_mov_b32_e32 v4, 0
	v_mov_b32_e32 v2, 0
	s_add_i32 s5, s5, s18
	s_mov_b32 s0, exec_lo
	v_cmpx_gt_u32_e64 s5, v1
	s_cbranch_execz .LBB1715_122
; %bb.117:
	v_add_nc_u32_e32 v3, 1, v1
	v_mov_b32_e32 v2, 0
	v_mov_b32_e32 v4, 0
	s_mov_b32 s1, exec_lo
	v_cmpx_gt_u32_e64 s5, v3
	s_cbranch_execz .LBB1715_121
; %bb.118:
	v_add_nc_u32_e32 v2, 2, v1
	v_cmp_gt_u32_e32 vcc_lo, s5, v2
	v_mov_b32_e32 v2, 0
	s_and_saveexec_b32 s2, vcc_lo
; %bb.119:
	v_mov_b32_e32 v2, v7
; %bb.120:
	s_or_b32 exec_lo, exec_lo, s2
	v_mov_b32_e32 v4, v5
.LBB1715_121:
	s_or_b32 exec_lo, exec_lo, s1
	v_mov_b32_e32 v3, v6
.LBB1715_122:
	s_or_b32 exec_lo, exec_lo, s0
	v_lshlrev_b32_e32 v10, 2, v1
	s_barrier
	buffer_gl0_inv
	s_mov_b32 s0, exec_lo
	v_sub_nc_u32_e32 v1, v10, v15
	ds_write2_b32 v10, v3, v4 offset1:1
	ds_write_b32 v10, v2 offset:8
	s_waitcnt lgkmcnt(0)
	s_barrier
	buffer_gl0_inv
	ds_read2st64_b32 v[1:2], v1 offset0:4 offset1:8
	v_add_co_u32 v3, vcc_lo, v8, v14
	v_add_co_ci_u32_e64 v4, null, 0, v9, vcc_lo
	v_cmpx_gt_u32_e64 s5, v0
	s_cbranch_execz .LBB1715_124
; %bb.123:
	v_sub_nc_u32_e32 v11, 0, v15
	v_add_nc_u32_e32 v10, v10, v11
	ds_read_b32 v10, v10
	s_waitcnt lgkmcnt(0)
	flat_store_dword v[3:4], v10
.LBB1715_124:
	s_or_b32 exec_lo, exec_lo, s0
	v_or_b32_e32 v10, 0x100, v0
	s_mov_b32 s0, exec_lo
	v_cmpx_gt_u32_e64 s5, v10
	s_cbranch_execz .LBB1715_126
; %bb.125:
	s_waitcnt lgkmcnt(0)
	flat_store_dword v[3:4], v1 offset:1024
.LBB1715_126:
	s_or_b32 exec_lo, exec_lo, s0
	s_waitcnt lgkmcnt(0)
	v_or_b32_e32 v1, 0x200, v0
	v_cmp_gt_u32_e64 s0, s5, v1
	s_branch .LBB1715_129
.LBB1715_127:
	s_mov_b32 s0, 0
                                        ; implicit-def: $vgpr2
	s_cbranch_execz .LBB1715_129
; %bb.128:
	v_mul_u32_u24_e32 v1, 12, v0
	s_waitcnt_vscnt null, 0x0
	s_barrier
	buffer_gl0_inv
	s_or_b32 s0, s0, exec_lo
	v_sub_nc_u32_e32 v2, v1, v15
	ds_write2_b32 v1, v6, v5 offset1:1
	ds_write_b32 v1, v7 offset:8
	s_waitcnt lgkmcnt(0)
	s_barrier
	buffer_gl0_inv
	ds_read2st64_b32 v[3:4], v2 offset1:4
	ds_read_b32 v2, v2 offset:2048
	v_add_co_u32 v5, vcc_lo, v8, v14
	v_add_co_ci_u32_e64 v6, null, 0, v9, vcc_lo
	s_waitcnt lgkmcnt(1)
	flat_store_dword v[5:6], v3
	flat_store_dword v[5:6], v4 offset:1024
.LBB1715_129:
	s_and_saveexec_b32 s1, s0
	s_cbranch_execnz .LBB1715_131
; %bb.130:
	s_endpgm
.LBB1715_131:
	v_lshlrev_b32_e32 v0, 2, v0
	v_add_co_u32 v0, vcc_lo, v8, v0
	v_add_co_ci_u32_e64 v1, null, 0, v9, vcc_lo
	v_add_co_u32 v0, vcc_lo, 0x800, v0
	v_add_co_ci_u32_e64 v1, null, 0, v1, vcc_lo
	s_waitcnt lgkmcnt(2)
	flat_store_dword v[0:1], v2
	s_endpgm
.LBB1715_132:
	v_add_co_u32 v2, s3, v8, v16
	v_add_co_ci_u32_e64 v3, null, 0, v11, s3
	v_mov_b32_e32 v18, v1
	v_mov_b32_e32 v19, v1
	flat_load_dword v2, v[2:3]
	s_waitcnt vmcnt(0) lgkmcnt(0)
	v_cvt_f32_u32_e32 v17, v2
	v_mov_b32_e32 v1, v17
	v_mov_b32_e32 v2, v18
	;; [unrolled: 1-line block ×3, first 2 shown]
	s_or_b32 exec_lo, exec_lo, s4
	s_and_saveexec_b32 s3, s2
	s_cbranch_execz .LBB1715_15
.LBB1715_133:
	v_add_co_u32 v17, s2, v8, v16
	v_add_co_ci_u32_e64 v18, null, 0, v11, s2
	flat_load_dword v2, v[17:18] offset:1024
	s_waitcnt vmcnt(0) lgkmcnt(0)
	v_cvt_f32_u32_e32 v2, v2
	s_or_b32 exec_lo, exec_lo, s3
	v_mul_u32_u24_e32 v22, 3, v0
	s_and_saveexec_b32 s2, vcc_lo
	s_cbranch_execnz .LBB1715_16
	s_branch .LBB1715_17
	.section	.rodata,"a",@progbits
	.p2align	6, 0x0
	.amdhsa_kernel _ZN7rocprim17ROCPRIM_400000_NS6detail17trampoline_kernelINS0_14default_configENS1_27scan_by_key_config_selectorIifEEZZNS1_16scan_by_key_implILNS1_25lookback_scan_determinismE0ELb1ES3_N6thrust23THRUST_200600_302600_NS6detail15normal_iteratorINS9_10device_ptrIiEEEENSB_INSC_IjEEEENSB_INSC_IfEEEEfNS9_4plusIvEENS9_8equal_toIvEEfEE10hipError_tPvRmT2_T3_T4_T5_mT6_T7_P12ihipStream_tbENKUlT_T0_E_clISt17integral_constantIbLb0EES12_IbLb1EEEEDaSY_SZ_EUlSY_E_NS1_11comp_targetILNS1_3genE8ELNS1_11target_archE1030ELNS1_3gpuE2ELNS1_3repE0EEENS1_30default_config_static_selectorELNS0_4arch9wavefront6targetE0EEEvT1_
		.amdhsa_group_segment_fixed_size 5120
		.amdhsa_private_segment_fixed_size 0
		.amdhsa_kernarg_size 112
		.amdhsa_user_sgpr_count 6
		.amdhsa_user_sgpr_private_segment_buffer 1
		.amdhsa_user_sgpr_dispatch_ptr 0
		.amdhsa_user_sgpr_queue_ptr 0
		.amdhsa_user_sgpr_kernarg_segment_ptr 1
		.amdhsa_user_sgpr_dispatch_id 0
		.amdhsa_user_sgpr_flat_scratch_init 0
		.amdhsa_user_sgpr_private_segment_size 0
		.amdhsa_wavefront_size32 1
		.amdhsa_uses_dynamic_stack 0
		.amdhsa_system_sgpr_private_segment_wavefront_offset 0
		.amdhsa_system_sgpr_workgroup_id_x 1
		.amdhsa_system_sgpr_workgroup_id_y 0
		.amdhsa_system_sgpr_workgroup_id_z 0
		.amdhsa_system_sgpr_workgroup_info 0
		.amdhsa_system_vgpr_workitem_id 0
		.amdhsa_next_free_vgpr 42
		.amdhsa_next_free_sgpr 24
		.amdhsa_reserve_vcc 1
		.amdhsa_reserve_flat_scratch 1
		.amdhsa_float_round_mode_32 0
		.amdhsa_float_round_mode_16_64 0
		.amdhsa_float_denorm_mode_32 3
		.amdhsa_float_denorm_mode_16_64 3
		.amdhsa_dx10_clamp 1
		.amdhsa_ieee_mode 1
		.amdhsa_fp16_overflow 0
		.amdhsa_workgroup_processor_mode 1
		.amdhsa_memory_ordered 1
		.amdhsa_forward_progress 1
		.amdhsa_shared_vgpr_count 0
		.amdhsa_exception_fp_ieee_invalid_op 0
		.amdhsa_exception_fp_denorm_src 0
		.amdhsa_exception_fp_ieee_div_zero 0
		.amdhsa_exception_fp_ieee_overflow 0
		.amdhsa_exception_fp_ieee_underflow 0
		.amdhsa_exception_fp_ieee_inexact 0
		.amdhsa_exception_int_div_zero 0
	.end_amdhsa_kernel
	.section	.text._ZN7rocprim17ROCPRIM_400000_NS6detail17trampoline_kernelINS0_14default_configENS1_27scan_by_key_config_selectorIifEEZZNS1_16scan_by_key_implILNS1_25lookback_scan_determinismE0ELb1ES3_N6thrust23THRUST_200600_302600_NS6detail15normal_iteratorINS9_10device_ptrIiEEEENSB_INSC_IjEEEENSB_INSC_IfEEEEfNS9_4plusIvEENS9_8equal_toIvEEfEE10hipError_tPvRmT2_T3_T4_T5_mT6_T7_P12ihipStream_tbENKUlT_T0_E_clISt17integral_constantIbLb0EES12_IbLb1EEEEDaSY_SZ_EUlSY_E_NS1_11comp_targetILNS1_3genE8ELNS1_11target_archE1030ELNS1_3gpuE2ELNS1_3repE0EEENS1_30default_config_static_selectorELNS0_4arch9wavefront6targetE0EEEvT1_,"axG",@progbits,_ZN7rocprim17ROCPRIM_400000_NS6detail17trampoline_kernelINS0_14default_configENS1_27scan_by_key_config_selectorIifEEZZNS1_16scan_by_key_implILNS1_25lookback_scan_determinismE0ELb1ES3_N6thrust23THRUST_200600_302600_NS6detail15normal_iteratorINS9_10device_ptrIiEEEENSB_INSC_IjEEEENSB_INSC_IfEEEEfNS9_4plusIvEENS9_8equal_toIvEEfEE10hipError_tPvRmT2_T3_T4_T5_mT6_T7_P12ihipStream_tbENKUlT_T0_E_clISt17integral_constantIbLb0EES12_IbLb1EEEEDaSY_SZ_EUlSY_E_NS1_11comp_targetILNS1_3genE8ELNS1_11target_archE1030ELNS1_3gpuE2ELNS1_3repE0EEENS1_30default_config_static_selectorELNS0_4arch9wavefront6targetE0EEEvT1_,comdat
.Lfunc_end1715:
	.size	_ZN7rocprim17ROCPRIM_400000_NS6detail17trampoline_kernelINS0_14default_configENS1_27scan_by_key_config_selectorIifEEZZNS1_16scan_by_key_implILNS1_25lookback_scan_determinismE0ELb1ES3_N6thrust23THRUST_200600_302600_NS6detail15normal_iteratorINS9_10device_ptrIiEEEENSB_INSC_IjEEEENSB_INSC_IfEEEEfNS9_4plusIvEENS9_8equal_toIvEEfEE10hipError_tPvRmT2_T3_T4_T5_mT6_T7_P12ihipStream_tbENKUlT_T0_E_clISt17integral_constantIbLb0EES12_IbLb1EEEEDaSY_SZ_EUlSY_E_NS1_11comp_targetILNS1_3genE8ELNS1_11target_archE1030ELNS1_3gpuE2ELNS1_3repE0EEENS1_30default_config_static_selectorELNS0_4arch9wavefront6targetE0EEEvT1_, .Lfunc_end1715-_ZN7rocprim17ROCPRIM_400000_NS6detail17trampoline_kernelINS0_14default_configENS1_27scan_by_key_config_selectorIifEEZZNS1_16scan_by_key_implILNS1_25lookback_scan_determinismE0ELb1ES3_N6thrust23THRUST_200600_302600_NS6detail15normal_iteratorINS9_10device_ptrIiEEEENSB_INSC_IjEEEENSB_INSC_IfEEEEfNS9_4plusIvEENS9_8equal_toIvEEfEE10hipError_tPvRmT2_T3_T4_T5_mT6_T7_P12ihipStream_tbENKUlT_T0_E_clISt17integral_constantIbLb0EES12_IbLb1EEEEDaSY_SZ_EUlSY_E_NS1_11comp_targetILNS1_3genE8ELNS1_11target_archE1030ELNS1_3gpuE2ELNS1_3repE0EEENS1_30default_config_static_selectorELNS0_4arch9wavefront6targetE0EEEvT1_
                                        ; -- End function
	.set _ZN7rocprim17ROCPRIM_400000_NS6detail17trampoline_kernelINS0_14default_configENS1_27scan_by_key_config_selectorIifEEZZNS1_16scan_by_key_implILNS1_25lookback_scan_determinismE0ELb1ES3_N6thrust23THRUST_200600_302600_NS6detail15normal_iteratorINS9_10device_ptrIiEEEENSB_INSC_IjEEEENSB_INSC_IfEEEEfNS9_4plusIvEENS9_8equal_toIvEEfEE10hipError_tPvRmT2_T3_T4_T5_mT6_T7_P12ihipStream_tbENKUlT_T0_E_clISt17integral_constantIbLb0EES12_IbLb1EEEEDaSY_SZ_EUlSY_E_NS1_11comp_targetILNS1_3genE8ELNS1_11target_archE1030ELNS1_3gpuE2ELNS1_3repE0EEENS1_30default_config_static_selectorELNS0_4arch9wavefront6targetE0EEEvT1_.num_vgpr, 42
	.set _ZN7rocprim17ROCPRIM_400000_NS6detail17trampoline_kernelINS0_14default_configENS1_27scan_by_key_config_selectorIifEEZZNS1_16scan_by_key_implILNS1_25lookback_scan_determinismE0ELb1ES3_N6thrust23THRUST_200600_302600_NS6detail15normal_iteratorINS9_10device_ptrIiEEEENSB_INSC_IjEEEENSB_INSC_IfEEEEfNS9_4plusIvEENS9_8equal_toIvEEfEE10hipError_tPvRmT2_T3_T4_T5_mT6_T7_P12ihipStream_tbENKUlT_T0_E_clISt17integral_constantIbLb0EES12_IbLb1EEEEDaSY_SZ_EUlSY_E_NS1_11comp_targetILNS1_3genE8ELNS1_11target_archE1030ELNS1_3gpuE2ELNS1_3repE0EEENS1_30default_config_static_selectorELNS0_4arch9wavefront6targetE0EEEvT1_.num_agpr, 0
	.set _ZN7rocprim17ROCPRIM_400000_NS6detail17trampoline_kernelINS0_14default_configENS1_27scan_by_key_config_selectorIifEEZZNS1_16scan_by_key_implILNS1_25lookback_scan_determinismE0ELb1ES3_N6thrust23THRUST_200600_302600_NS6detail15normal_iteratorINS9_10device_ptrIiEEEENSB_INSC_IjEEEENSB_INSC_IfEEEEfNS9_4plusIvEENS9_8equal_toIvEEfEE10hipError_tPvRmT2_T3_T4_T5_mT6_T7_P12ihipStream_tbENKUlT_T0_E_clISt17integral_constantIbLb0EES12_IbLb1EEEEDaSY_SZ_EUlSY_E_NS1_11comp_targetILNS1_3genE8ELNS1_11target_archE1030ELNS1_3gpuE2ELNS1_3repE0EEENS1_30default_config_static_selectorELNS0_4arch9wavefront6targetE0EEEvT1_.numbered_sgpr, 24
	.set _ZN7rocprim17ROCPRIM_400000_NS6detail17trampoline_kernelINS0_14default_configENS1_27scan_by_key_config_selectorIifEEZZNS1_16scan_by_key_implILNS1_25lookback_scan_determinismE0ELb1ES3_N6thrust23THRUST_200600_302600_NS6detail15normal_iteratorINS9_10device_ptrIiEEEENSB_INSC_IjEEEENSB_INSC_IfEEEEfNS9_4plusIvEENS9_8equal_toIvEEfEE10hipError_tPvRmT2_T3_T4_T5_mT6_T7_P12ihipStream_tbENKUlT_T0_E_clISt17integral_constantIbLb0EES12_IbLb1EEEEDaSY_SZ_EUlSY_E_NS1_11comp_targetILNS1_3genE8ELNS1_11target_archE1030ELNS1_3gpuE2ELNS1_3repE0EEENS1_30default_config_static_selectorELNS0_4arch9wavefront6targetE0EEEvT1_.num_named_barrier, 0
	.set _ZN7rocprim17ROCPRIM_400000_NS6detail17trampoline_kernelINS0_14default_configENS1_27scan_by_key_config_selectorIifEEZZNS1_16scan_by_key_implILNS1_25lookback_scan_determinismE0ELb1ES3_N6thrust23THRUST_200600_302600_NS6detail15normal_iteratorINS9_10device_ptrIiEEEENSB_INSC_IjEEEENSB_INSC_IfEEEEfNS9_4plusIvEENS9_8equal_toIvEEfEE10hipError_tPvRmT2_T3_T4_T5_mT6_T7_P12ihipStream_tbENKUlT_T0_E_clISt17integral_constantIbLb0EES12_IbLb1EEEEDaSY_SZ_EUlSY_E_NS1_11comp_targetILNS1_3genE8ELNS1_11target_archE1030ELNS1_3gpuE2ELNS1_3repE0EEENS1_30default_config_static_selectorELNS0_4arch9wavefront6targetE0EEEvT1_.private_seg_size, 0
	.set _ZN7rocprim17ROCPRIM_400000_NS6detail17trampoline_kernelINS0_14default_configENS1_27scan_by_key_config_selectorIifEEZZNS1_16scan_by_key_implILNS1_25lookback_scan_determinismE0ELb1ES3_N6thrust23THRUST_200600_302600_NS6detail15normal_iteratorINS9_10device_ptrIiEEEENSB_INSC_IjEEEENSB_INSC_IfEEEEfNS9_4plusIvEENS9_8equal_toIvEEfEE10hipError_tPvRmT2_T3_T4_T5_mT6_T7_P12ihipStream_tbENKUlT_T0_E_clISt17integral_constantIbLb0EES12_IbLb1EEEEDaSY_SZ_EUlSY_E_NS1_11comp_targetILNS1_3genE8ELNS1_11target_archE1030ELNS1_3gpuE2ELNS1_3repE0EEENS1_30default_config_static_selectorELNS0_4arch9wavefront6targetE0EEEvT1_.uses_vcc, 1
	.set _ZN7rocprim17ROCPRIM_400000_NS6detail17trampoline_kernelINS0_14default_configENS1_27scan_by_key_config_selectorIifEEZZNS1_16scan_by_key_implILNS1_25lookback_scan_determinismE0ELb1ES3_N6thrust23THRUST_200600_302600_NS6detail15normal_iteratorINS9_10device_ptrIiEEEENSB_INSC_IjEEEENSB_INSC_IfEEEEfNS9_4plusIvEENS9_8equal_toIvEEfEE10hipError_tPvRmT2_T3_T4_T5_mT6_T7_P12ihipStream_tbENKUlT_T0_E_clISt17integral_constantIbLb0EES12_IbLb1EEEEDaSY_SZ_EUlSY_E_NS1_11comp_targetILNS1_3genE8ELNS1_11target_archE1030ELNS1_3gpuE2ELNS1_3repE0EEENS1_30default_config_static_selectorELNS0_4arch9wavefront6targetE0EEEvT1_.uses_flat_scratch, 1
	.set _ZN7rocprim17ROCPRIM_400000_NS6detail17trampoline_kernelINS0_14default_configENS1_27scan_by_key_config_selectorIifEEZZNS1_16scan_by_key_implILNS1_25lookback_scan_determinismE0ELb1ES3_N6thrust23THRUST_200600_302600_NS6detail15normal_iteratorINS9_10device_ptrIiEEEENSB_INSC_IjEEEENSB_INSC_IfEEEEfNS9_4plusIvEENS9_8equal_toIvEEfEE10hipError_tPvRmT2_T3_T4_T5_mT6_T7_P12ihipStream_tbENKUlT_T0_E_clISt17integral_constantIbLb0EES12_IbLb1EEEEDaSY_SZ_EUlSY_E_NS1_11comp_targetILNS1_3genE8ELNS1_11target_archE1030ELNS1_3gpuE2ELNS1_3repE0EEENS1_30default_config_static_selectorELNS0_4arch9wavefront6targetE0EEEvT1_.has_dyn_sized_stack, 0
	.set _ZN7rocprim17ROCPRIM_400000_NS6detail17trampoline_kernelINS0_14default_configENS1_27scan_by_key_config_selectorIifEEZZNS1_16scan_by_key_implILNS1_25lookback_scan_determinismE0ELb1ES3_N6thrust23THRUST_200600_302600_NS6detail15normal_iteratorINS9_10device_ptrIiEEEENSB_INSC_IjEEEENSB_INSC_IfEEEEfNS9_4plusIvEENS9_8equal_toIvEEfEE10hipError_tPvRmT2_T3_T4_T5_mT6_T7_P12ihipStream_tbENKUlT_T0_E_clISt17integral_constantIbLb0EES12_IbLb1EEEEDaSY_SZ_EUlSY_E_NS1_11comp_targetILNS1_3genE8ELNS1_11target_archE1030ELNS1_3gpuE2ELNS1_3repE0EEENS1_30default_config_static_selectorELNS0_4arch9wavefront6targetE0EEEvT1_.has_recursion, 0
	.set _ZN7rocprim17ROCPRIM_400000_NS6detail17trampoline_kernelINS0_14default_configENS1_27scan_by_key_config_selectorIifEEZZNS1_16scan_by_key_implILNS1_25lookback_scan_determinismE0ELb1ES3_N6thrust23THRUST_200600_302600_NS6detail15normal_iteratorINS9_10device_ptrIiEEEENSB_INSC_IjEEEENSB_INSC_IfEEEEfNS9_4plusIvEENS9_8equal_toIvEEfEE10hipError_tPvRmT2_T3_T4_T5_mT6_T7_P12ihipStream_tbENKUlT_T0_E_clISt17integral_constantIbLb0EES12_IbLb1EEEEDaSY_SZ_EUlSY_E_NS1_11comp_targetILNS1_3genE8ELNS1_11target_archE1030ELNS1_3gpuE2ELNS1_3repE0EEENS1_30default_config_static_selectorELNS0_4arch9wavefront6targetE0EEEvT1_.has_indirect_call, 0
	.section	.AMDGPU.csdata,"",@progbits
; Kernel info:
; codeLenInByte = 6288
; TotalNumSgprs: 26
; NumVgprs: 42
; ScratchSize: 0
; MemoryBound: 0
; FloatMode: 240
; IeeeMode: 1
; LDSByteSize: 5120 bytes/workgroup (compile time only)
; SGPRBlocks: 0
; VGPRBlocks: 5
; NumSGPRsForWavesPerEU: 26
; NumVGPRsForWavesPerEU: 42
; Occupancy: 16
; WaveLimiterHint : 1
; COMPUTE_PGM_RSRC2:SCRATCH_EN: 0
; COMPUTE_PGM_RSRC2:USER_SGPR: 6
; COMPUTE_PGM_RSRC2:TRAP_HANDLER: 0
; COMPUTE_PGM_RSRC2:TGID_X_EN: 1
; COMPUTE_PGM_RSRC2:TGID_Y_EN: 0
; COMPUTE_PGM_RSRC2:TGID_Z_EN: 0
; COMPUTE_PGM_RSRC2:TIDIG_COMP_CNT: 0
	.section	.text._ZN7rocprim17ROCPRIM_400000_NS6detail17trampoline_kernelINS0_14default_configENS1_27scan_by_key_config_selectorIiiEEZZNS1_16scan_by_key_implILNS1_25lookback_scan_determinismE0ELb1ES3_N6thrust23THRUST_200600_302600_NS6detail15normal_iteratorINS9_10device_ptrIiEEEENSB_INSC_IjEEEENSB_INSC_IfEEEEiNS9_4plusIvEENS9_8equal_toIvEEiEE10hipError_tPvRmT2_T3_T4_T5_mT6_T7_P12ihipStream_tbENKUlT_T0_E_clISt17integral_constantIbLb0EES13_EEDaSY_SZ_EUlSY_E_NS1_11comp_targetILNS1_3genE0ELNS1_11target_archE4294967295ELNS1_3gpuE0ELNS1_3repE0EEENS1_30default_config_static_selectorELNS0_4arch9wavefront6targetE0EEEvT1_,"axG",@progbits,_ZN7rocprim17ROCPRIM_400000_NS6detail17trampoline_kernelINS0_14default_configENS1_27scan_by_key_config_selectorIiiEEZZNS1_16scan_by_key_implILNS1_25lookback_scan_determinismE0ELb1ES3_N6thrust23THRUST_200600_302600_NS6detail15normal_iteratorINS9_10device_ptrIiEEEENSB_INSC_IjEEEENSB_INSC_IfEEEEiNS9_4plusIvEENS9_8equal_toIvEEiEE10hipError_tPvRmT2_T3_T4_T5_mT6_T7_P12ihipStream_tbENKUlT_T0_E_clISt17integral_constantIbLb0EES13_EEDaSY_SZ_EUlSY_E_NS1_11comp_targetILNS1_3genE0ELNS1_11target_archE4294967295ELNS1_3gpuE0ELNS1_3repE0EEENS1_30default_config_static_selectorELNS0_4arch9wavefront6targetE0EEEvT1_,comdat
	.protected	_ZN7rocprim17ROCPRIM_400000_NS6detail17trampoline_kernelINS0_14default_configENS1_27scan_by_key_config_selectorIiiEEZZNS1_16scan_by_key_implILNS1_25lookback_scan_determinismE0ELb1ES3_N6thrust23THRUST_200600_302600_NS6detail15normal_iteratorINS9_10device_ptrIiEEEENSB_INSC_IjEEEENSB_INSC_IfEEEEiNS9_4plusIvEENS9_8equal_toIvEEiEE10hipError_tPvRmT2_T3_T4_T5_mT6_T7_P12ihipStream_tbENKUlT_T0_E_clISt17integral_constantIbLb0EES13_EEDaSY_SZ_EUlSY_E_NS1_11comp_targetILNS1_3genE0ELNS1_11target_archE4294967295ELNS1_3gpuE0ELNS1_3repE0EEENS1_30default_config_static_selectorELNS0_4arch9wavefront6targetE0EEEvT1_ ; -- Begin function _ZN7rocprim17ROCPRIM_400000_NS6detail17trampoline_kernelINS0_14default_configENS1_27scan_by_key_config_selectorIiiEEZZNS1_16scan_by_key_implILNS1_25lookback_scan_determinismE0ELb1ES3_N6thrust23THRUST_200600_302600_NS6detail15normal_iteratorINS9_10device_ptrIiEEEENSB_INSC_IjEEEENSB_INSC_IfEEEEiNS9_4plusIvEENS9_8equal_toIvEEiEE10hipError_tPvRmT2_T3_T4_T5_mT6_T7_P12ihipStream_tbENKUlT_T0_E_clISt17integral_constantIbLb0EES13_EEDaSY_SZ_EUlSY_E_NS1_11comp_targetILNS1_3genE0ELNS1_11target_archE4294967295ELNS1_3gpuE0ELNS1_3repE0EEENS1_30default_config_static_selectorELNS0_4arch9wavefront6targetE0EEEvT1_
	.globl	_ZN7rocprim17ROCPRIM_400000_NS6detail17trampoline_kernelINS0_14default_configENS1_27scan_by_key_config_selectorIiiEEZZNS1_16scan_by_key_implILNS1_25lookback_scan_determinismE0ELb1ES3_N6thrust23THRUST_200600_302600_NS6detail15normal_iteratorINS9_10device_ptrIiEEEENSB_INSC_IjEEEENSB_INSC_IfEEEEiNS9_4plusIvEENS9_8equal_toIvEEiEE10hipError_tPvRmT2_T3_T4_T5_mT6_T7_P12ihipStream_tbENKUlT_T0_E_clISt17integral_constantIbLb0EES13_EEDaSY_SZ_EUlSY_E_NS1_11comp_targetILNS1_3genE0ELNS1_11target_archE4294967295ELNS1_3gpuE0ELNS1_3repE0EEENS1_30default_config_static_selectorELNS0_4arch9wavefront6targetE0EEEvT1_
	.p2align	8
	.type	_ZN7rocprim17ROCPRIM_400000_NS6detail17trampoline_kernelINS0_14default_configENS1_27scan_by_key_config_selectorIiiEEZZNS1_16scan_by_key_implILNS1_25lookback_scan_determinismE0ELb1ES3_N6thrust23THRUST_200600_302600_NS6detail15normal_iteratorINS9_10device_ptrIiEEEENSB_INSC_IjEEEENSB_INSC_IfEEEEiNS9_4plusIvEENS9_8equal_toIvEEiEE10hipError_tPvRmT2_T3_T4_T5_mT6_T7_P12ihipStream_tbENKUlT_T0_E_clISt17integral_constantIbLb0EES13_EEDaSY_SZ_EUlSY_E_NS1_11comp_targetILNS1_3genE0ELNS1_11target_archE4294967295ELNS1_3gpuE0ELNS1_3repE0EEENS1_30default_config_static_selectorELNS0_4arch9wavefront6targetE0EEEvT1_,@function
_ZN7rocprim17ROCPRIM_400000_NS6detail17trampoline_kernelINS0_14default_configENS1_27scan_by_key_config_selectorIiiEEZZNS1_16scan_by_key_implILNS1_25lookback_scan_determinismE0ELb1ES3_N6thrust23THRUST_200600_302600_NS6detail15normal_iteratorINS9_10device_ptrIiEEEENSB_INSC_IjEEEENSB_INSC_IfEEEEiNS9_4plusIvEENS9_8equal_toIvEEiEE10hipError_tPvRmT2_T3_T4_T5_mT6_T7_P12ihipStream_tbENKUlT_T0_E_clISt17integral_constantIbLb0EES13_EEDaSY_SZ_EUlSY_E_NS1_11comp_targetILNS1_3genE0ELNS1_11target_archE4294967295ELNS1_3gpuE0ELNS1_3repE0EEENS1_30default_config_static_selectorELNS0_4arch9wavefront6targetE0EEEvT1_: ; @_ZN7rocprim17ROCPRIM_400000_NS6detail17trampoline_kernelINS0_14default_configENS1_27scan_by_key_config_selectorIiiEEZZNS1_16scan_by_key_implILNS1_25lookback_scan_determinismE0ELb1ES3_N6thrust23THRUST_200600_302600_NS6detail15normal_iteratorINS9_10device_ptrIiEEEENSB_INSC_IjEEEENSB_INSC_IfEEEEiNS9_4plusIvEENS9_8equal_toIvEEiEE10hipError_tPvRmT2_T3_T4_T5_mT6_T7_P12ihipStream_tbENKUlT_T0_E_clISt17integral_constantIbLb0EES13_EEDaSY_SZ_EUlSY_E_NS1_11comp_targetILNS1_3genE0ELNS1_11target_archE4294967295ELNS1_3gpuE0ELNS1_3repE0EEENS1_30default_config_static_selectorELNS0_4arch9wavefront6targetE0EEEvT1_
; %bb.0:
	.section	.rodata,"a",@progbits
	.p2align	6, 0x0
	.amdhsa_kernel _ZN7rocprim17ROCPRIM_400000_NS6detail17trampoline_kernelINS0_14default_configENS1_27scan_by_key_config_selectorIiiEEZZNS1_16scan_by_key_implILNS1_25lookback_scan_determinismE0ELb1ES3_N6thrust23THRUST_200600_302600_NS6detail15normal_iteratorINS9_10device_ptrIiEEEENSB_INSC_IjEEEENSB_INSC_IfEEEEiNS9_4plusIvEENS9_8equal_toIvEEiEE10hipError_tPvRmT2_T3_T4_T5_mT6_T7_P12ihipStream_tbENKUlT_T0_E_clISt17integral_constantIbLb0EES13_EEDaSY_SZ_EUlSY_E_NS1_11comp_targetILNS1_3genE0ELNS1_11target_archE4294967295ELNS1_3gpuE0ELNS1_3repE0EEENS1_30default_config_static_selectorELNS0_4arch9wavefront6targetE0EEEvT1_
		.amdhsa_group_segment_fixed_size 0
		.amdhsa_private_segment_fixed_size 0
		.amdhsa_kernarg_size 112
		.amdhsa_user_sgpr_count 6
		.amdhsa_user_sgpr_private_segment_buffer 1
		.amdhsa_user_sgpr_dispatch_ptr 0
		.amdhsa_user_sgpr_queue_ptr 0
		.amdhsa_user_sgpr_kernarg_segment_ptr 1
		.amdhsa_user_sgpr_dispatch_id 0
		.amdhsa_user_sgpr_flat_scratch_init 0
		.amdhsa_user_sgpr_private_segment_size 0
		.amdhsa_wavefront_size32 1
		.amdhsa_uses_dynamic_stack 0
		.amdhsa_system_sgpr_private_segment_wavefront_offset 0
		.amdhsa_system_sgpr_workgroup_id_x 1
		.amdhsa_system_sgpr_workgroup_id_y 0
		.amdhsa_system_sgpr_workgroup_id_z 0
		.amdhsa_system_sgpr_workgroup_info 0
		.amdhsa_system_vgpr_workitem_id 0
		.amdhsa_next_free_vgpr 1
		.amdhsa_next_free_sgpr 1
		.amdhsa_reserve_vcc 0
		.amdhsa_reserve_flat_scratch 0
		.amdhsa_float_round_mode_32 0
		.amdhsa_float_round_mode_16_64 0
		.amdhsa_float_denorm_mode_32 3
		.amdhsa_float_denorm_mode_16_64 3
		.amdhsa_dx10_clamp 1
		.amdhsa_ieee_mode 1
		.amdhsa_fp16_overflow 0
		.amdhsa_workgroup_processor_mode 1
		.amdhsa_memory_ordered 1
		.amdhsa_forward_progress 1
		.amdhsa_shared_vgpr_count 0
		.amdhsa_exception_fp_ieee_invalid_op 0
		.amdhsa_exception_fp_denorm_src 0
		.amdhsa_exception_fp_ieee_div_zero 0
		.amdhsa_exception_fp_ieee_overflow 0
		.amdhsa_exception_fp_ieee_underflow 0
		.amdhsa_exception_fp_ieee_inexact 0
		.amdhsa_exception_int_div_zero 0
	.end_amdhsa_kernel
	.section	.text._ZN7rocprim17ROCPRIM_400000_NS6detail17trampoline_kernelINS0_14default_configENS1_27scan_by_key_config_selectorIiiEEZZNS1_16scan_by_key_implILNS1_25lookback_scan_determinismE0ELb1ES3_N6thrust23THRUST_200600_302600_NS6detail15normal_iteratorINS9_10device_ptrIiEEEENSB_INSC_IjEEEENSB_INSC_IfEEEEiNS9_4plusIvEENS9_8equal_toIvEEiEE10hipError_tPvRmT2_T3_T4_T5_mT6_T7_P12ihipStream_tbENKUlT_T0_E_clISt17integral_constantIbLb0EES13_EEDaSY_SZ_EUlSY_E_NS1_11comp_targetILNS1_3genE0ELNS1_11target_archE4294967295ELNS1_3gpuE0ELNS1_3repE0EEENS1_30default_config_static_selectorELNS0_4arch9wavefront6targetE0EEEvT1_,"axG",@progbits,_ZN7rocprim17ROCPRIM_400000_NS6detail17trampoline_kernelINS0_14default_configENS1_27scan_by_key_config_selectorIiiEEZZNS1_16scan_by_key_implILNS1_25lookback_scan_determinismE0ELb1ES3_N6thrust23THRUST_200600_302600_NS6detail15normal_iteratorINS9_10device_ptrIiEEEENSB_INSC_IjEEEENSB_INSC_IfEEEEiNS9_4plusIvEENS9_8equal_toIvEEiEE10hipError_tPvRmT2_T3_T4_T5_mT6_T7_P12ihipStream_tbENKUlT_T0_E_clISt17integral_constantIbLb0EES13_EEDaSY_SZ_EUlSY_E_NS1_11comp_targetILNS1_3genE0ELNS1_11target_archE4294967295ELNS1_3gpuE0ELNS1_3repE0EEENS1_30default_config_static_selectorELNS0_4arch9wavefront6targetE0EEEvT1_,comdat
.Lfunc_end1716:
	.size	_ZN7rocprim17ROCPRIM_400000_NS6detail17trampoline_kernelINS0_14default_configENS1_27scan_by_key_config_selectorIiiEEZZNS1_16scan_by_key_implILNS1_25lookback_scan_determinismE0ELb1ES3_N6thrust23THRUST_200600_302600_NS6detail15normal_iteratorINS9_10device_ptrIiEEEENSB_INSC_IjEEEENSB_INSC_IfEEEEiNS9_4plusIvEENS9_8equal_toIvEEiEE10hipError_tPvRmT2_T3_T4_T5_mT6_T7_P12ihipStream_tbENKUlT_T0_E_clISt17integral_constantIbLb0EES13_EEDaSY_SZ_EUlSY_E_NS1_11comp_targetILNS1_3genE0ELNS1_11target_archE4294967295ELNS1_3gpuE0ELNS1_3repE0EEENS1_30default_config_static_selectorELNS0_4arch9wavefront6targetE0EEEvT1_, .Lfunc_end1716-_ZN7rocprim17ROCPRIM_400000_NS6detail17trampoline_kernelINS0_14default_configENS1_27scan_by_key_config_selectorIiiEEZZNS1_16scan_by_key_implILNS1_25lookback_scan_determinismE0ELb1ES3_N6thrust23THRUST_200600_302600_NS6detail15normal_iteratorINS9_10device_ptrIiEEEENSB_INSC_IjEEEENSB_INSC_IfEEEEiNS9_4plusIvEENS9_8equal_toIvEEiEE10hipError_tPvRmT2_T3_T4_T5_mT6_T7_P12ihipStream_tbENKUlT_T0_E_clISt17integral_constantIbLb0EES13_EEDaSY_SZ_EUlSY_E_NS1_11comp_targetILNS1_3genE0ELNS1_11target_archE4294967295ELNS1_3gpuE0ELNS1_3repE0EEENS1_30default_config_static_selectorELNS0_4arch9wavefront6targetE0EEEvT1_
                                        ; -- End function
	.set _ZN7rocprim17ROCPRIM_400000_NS6detail17trampoline_kernelINS0_14default_configENS1_27scan_by_key_config_selectorIiiEEZZNS1_16scan_by_key_implILNS1_25lookback_scan_determinismE0ELb1ES3_N6thrust23THRUST_200600_302600_NS6detail15normal_iteratorINS9_10device_ptrIiEEEENSB_INSC_IjEEEENSB_INSC_IfEEEEiNS9_4plusIvEENS9_8equal_toIvEEiEE10hipError_tPvRmT2_T3_T4_T5_mT6_T7_P12ihipStream_tbENKUlT_T0_E_clISt17integral_constantIbLb0EES13_EEDaSY_SZ_EUlSY_E_NS1_11comp_targetILNS1_3genE0ELNS1_11target_archE4294967295ELNS1_3gpuE0ELNS1_3repE0EEENS1_30default_config_static_selectorELNS0_4arch9wavefront6targetE0EEEvT1_.num_vgpr, 0
	.set _ZN7rocprim17ROCPRIM_400000_NS6detail17trampoline_kernelINS0_14default_configENS1_27scan_by_key_config_selectorIiiEEZZNS1_16scan_by_key_implILNS1_25lookback_scan_determinismE0ELb1ES3_N6thrust23THRUST_200600_302600_NS6detail15normal_iteratorINS9_10device_ptrIiEEEENSB_INSC_IjEEEENSB_INSC_IfEEEEiNS9_4plusIvEENS9_8equal_toIvEEiEE10hipError_tPvRmT2_T3_T4_T5_mT6_T7_P12ihipStream_tbENKUlT_T0_E_clISt17integral_constantIbLb0EES13_EEDaSY_SZ_EUlSY_E_NS1_11comp_targetILNS1_3genE0ELNS1_11target_archE4294967295ELNS1_3gpuE0ELNS1_3repE0EEENS1_30default_config_static_selectorELNS0_4arch9wavefront6targetE0EEEvT1_.num_agpr, 0
	.set _ZN7rocprim17ROCPRIM_400000_NS6detail17trampoline_kernelINS0_14default_configENS1_27scan_by_key_config_selectorIiiEEZZNS1_16scan_by_key_implILNS1_25lookback_scan_determinismE0ELb1ES3_N6thrust23THRUST_200600_302600_NS6detail15normal_iteratorINS9_10device_ptrIiEEEENSB_INSC_IjEEEENSB_INSC_IfEEEEiNS9_4plusIvEENS9_8equal_toIvEEiEE10hipError_tPvRmT2_T3_T4_T5_mT6_T7_P12ihipStream_tbENKUlT_T0_E_clISt17integral_constantIbLb0EES13_EEDaSY_SZ_EUlSY_E_NS1_11comp_targetILNS1_3genE0ELNS1_11target_archE4294967295ELNS1_3gpuE0ELNS1_3repE0EEENS1_30default_config_static_selectorELNS0_4arch9wavefront6targetE0EEEvT1_.numbered_sgpr, 0
	.set _ZN7rocprim17ROCPRIM_400000_NS6detail17trampoline_kernelINS0_14default_configENS1_27scan_by_key_config_selectorIiiEEZZNS1_16scan_by_key_implILNS1_25lookback_scan_determinismE0ELb1ES3_N6thrust23THRUST_200600_302600_NS6detail15normal_iteratorINS9_10device_ptrIiEEEENSB_INSC_IjEEEENSB_INSC_IfEEEEiNS9_4plusIvEENS9_8equal_toIvEEiEE10hipError_tPvRmT2_T3_T4_T5_mT6_T7_P12ihipStream_tbENKUlT_T0_E_clISt17integral_constantIbLb0EES13_EEDaSY_SZ_EUlSY_E_NS1_11comp_targetILNS1_3genE0ELNS1_11target_archE4294967295ELNS1_3gpuE0ELNS1_3repE0EEENS1_30default_config_static_selectorELNS0_4arch9wavefront6targetE0EEEvT1_.num_named_barrier, 0
	.set _ZN7rocprim17ROCPRIM_400000_NS6detail17trampoline_kernelINS0_14default_configENS1_27scan_by_key_config_selectorIiiEEZZNS1_16scan_by_key_implILNS1_25lookback_scan_determinismE0ELb1ES3_N6thrust23THRUST_200600_302600_NS6detail15normal_iteratorINS9_10device_ptrIiEEEENSB_INSC_IjEEEENSB_INSC_IfEEEEiNS9_4plusIvEENS9_8equal_toIvEEiEE10hipError_tPvRmT2_T3_T4_T5_mT6_T7_P12ihipStream_tbENKUlT_T0_E_clISt17integral_constantIbLb0EES13_EEDaSY_SZ_EUlSY_E_NS1_11comp_targetILNS1_3genE0ELNS1_11target_archE4294967295ELNS1_3gpuE0ELNS1_3repE0EEENS1_30default_config_static_selectorELNS0_4arch9wavefront6targetE0EEEvT1_.private_seg_size, 0
	.set _ZN7rocprim17ROCPRIM_400000_NS6detail17trampoline_kernelINS0_14default_configENS1_27scan_by_key_config_selectorIiiEEZZNS1_16scan_by_key_implILNS1_25lookback_scan_determinismE0ELb1ES3_N6thrust23THRUST_200600_302600_NS6detail15normal_iteratorINS9_10device_ptrIiEEEENSB_INSC_IjEEEENSB_INSC_IfEEEEiNS9_4plusIvEENS9_8equal_toIvEEiEE10hipError_tPvRmT2_T3_T4_T5_mT6_T7_P12ihipStream_tbENKUlT_T0_E_clISt17integral_constantIbLb0EES13_EEDaSY_SZ_EUlSY_E_NS1_11comp_targetILNS1_3genE0ELNS1_11target_archE4294967295ELNS1_3gpuE0ELNS1_3repE0EEENS1_30default_config_static_selectorELNS0_4arch9wavefront6targetE0EEEvT1_.uses_vcc, 0
	.set _ZN7rocprim17ROCPRIM_400000_NS6detail17trampoline_kernelINS0_14default_configENS1_27scan_by_key_config_selectorIiiEEZZNS1_16scan_by_key_implILNS1_25lookback_scan_determinismE0ELb1ES3_N6thrust23THRUST_200600_302600_NS6detail15normal_iteratorINS9_10device_ptrIiEEEENSB_INSC_IjEEEENSB_INSC_IfEEEEiNS9_4plusIvEENS9_8equal_toIvEEiEE10hipError_tPvRmT2_T3_T4_T5_mT6_T7_P12ihipStream_tbENKUlT_T0_E_clISt17integral_constantIbLb0EES13_EEDaSY_SZ_EUlSY_E_NS1_11comp_targetILNS1_3genE0ELNS1_11target_archE4294967295ELNS1_3gpuE0ELNS1_3repE0EEENS1_30default_config_static_selectorELNS0_4arch9wavefront6targetE0EEEvT1_.uses_flat_scratch, 0
	.set _ZN7rocprim17ROCPRIM_400000_NS6detail17trampoline_kernelINS0_14default_configENS1_27scan_by_key_config_selectorIiiEEZZNS1_16scan_by_key_implILNS1_25lookback_scan_determinismE0ELb1ES3_N6thrust23THRUST_200600_302600_NS6detail15normal_iteratorINS9_10device_ptrIiEEEENSB_INSC_IjEEEENSB_INSC_IfEEEEiNS9_4plusIvEENS9_8equal_toIvEEiEE10hipError_tPvRmT2_T3_T4_T5_mT6_T7_P12ihipStream_tbENKUlT_T0_E_clISt17integral_constantIbLb0EES13_EEDaSY_SZ_EUlSY_E_NS1_11comp_targetILNS1_3genE0ELNS1_11target_archE4294967295ELNS1_3gpuE0ELNS1_3repE0EEENS1_30default_config_static_selectorELNS0_4arch9wavefront6targetE0EEEvT1_.has_dyn_sized_stack, 0
	.set _ZN7rocprim17ROCPRIM_400000_NS6detail17trampoline_kernelINS0_14default_configENS1_27scan_by_key_config_selectorIiiEEZZNS1_16scan_by_key_implILNS1_25lookback_scan_determinismE0ELb1ES3_N6thrust23THRUST_200600_302600_NS6detail15normal_iteratorINS9_10device_ptrIiEEEENSB_INSC_IjEEEENSB_INSC_IfEEEEiNS9_4plusIvEENS9_8equal_toIvEEiEE10hipError_tPvRmT2_T3_T4_T5_mT6_T7_P12ihipStream_tbENKUlT_T0_E_clISt17integral_constantIbLb0EES13_EEDaSY_SZ_EUlSY_E_NS1_11comp_targetILNS1_3genE0ELNS1_11target_archE4294967295ELNS1_3gpuE0ELNS1_3repE0EEENS1_30default_config_static_selectorELNS0_4arch9wavefront6targetE0EEEvT1_.has_recursion, 0
	.set _ZN7rocprim17ROCPRIM_400000_NS6detail17trampoline_kernelINS0_14default_configENS1_27scan_by_key_config_selectorIiiEEZZNS1_16scan_by_key_implILNS1_25lookback_scan_determinismE0ELb1ES3_N6thrust23THRUST_200600_302600_NS6detail15normal_iteratorINS9_10device_ptrIiEEEENSB_INSC_IjEEEENSB_INSC_IfEEEEiNS9_4plusIvEENS9_8equal_toIvEEiEE10hipError_tPvRmT2_T3_T4_T5_mT6_T7_P12ihipStream_tbENKUlT_T0_E_clISt17integral_constantIbLb0EES13_EEDaSY_SZ_EUlSY_E_NS1_11comp_targetILNS1_3genE0ELNS1_11target_archE4294967295ELNS1_3gpuE0ELNS1_3repE0EEENS1_30default_config_static_selectorELNS0_4arch9wavefront6targetE0EEEvT1_.has_indirect_call, 0
	.section	.AMDGPU.csdata,"",@progbits
; Kernel info:
; codeLenInByte = 0
; TotalNumSgprs: 0
; NumVgprs: 0
; ScratchSize: 0
; MemoryBound: 0
; FloatMode: 240
; IeeeMode: 1
; LDSByteSize: 0 bytes/workgroup (compile time only)
; SGPRBlocks: 0
; VGPRBlocks: 0
; NumSGPRsForWavesPerEU: 1
; NumVGPRsForWavesPerEU: 1
; Occupancy: 16
; WaveLimiterHint : 0
; COMPUTE_PGM_RSRC2:SCRATCH_EN: 0
; COMPUTE_PGM_RSRC2:USER_SGPR: 6
; COMPUTE_PGM_RSRC2:TRAP_HANDLER: 0
; COMPUTE_PGM_RSRC2:TGID_X_EN: 1
; COMPUTE_PGM_RSRC2:TGID_Y_EN: 0
; COMPUTE_PGM_RSRC2:TGID_Z_EN: 0
; COMPUTE_PGM_RSRC2:TIDIG_COMP_CNT: 0
	.section	.text._ZN7rocprim17ROCPRIM_400000_NS6detail17trampoline_kernelINS0_14default_configENS1_27scan_by_key_config_selectorIiiEEZZNS1_16scan_by_key_implILNS1_25lookback_scan_determinismE0ELb1ES3_N6thrust23THRUST_200600_302600_NS6detail15normal_iteratorINS9_10device_ptrIiEEEENSB_INSC_IjEEEENSB_INSC_IfEEEEiNS9_4plusIvEENS9_8equal_toIvEEiEE10hipError_tPvRmT2_T3_T4_T5_mT6_T7_P12ihipStream_tbENKUlT_T0_E_clISt17integral_constantIbLb0EES13_EEDaSY_SZ_EUlSY_E_NS1_11comp_targetILNS1_3genE10ELNS1_11target_archE1201ELNS1_3gpuE5ELNS1_3repE0EEENS1_30default_config_static_selectorELNS0_4arch9wavefront6targetE0EEEvT1_,"axG",@progbits,_ZN7rocprim17ROCPRIM_400000_NS6detail17trampoline_kernelINS0_14default_configENS1_27scan_by_key_config_selectorIiiEEZZNS1_16scan_by_key_implILNS1_25lookback_scan_determinismE0ELb1ES3_N6thrust23THRUST_200600_302600_NS6detail15normal_iteratorINS9_10device_ptrIiEEEENSB_INSC_IjEEEENSB_INSC_IfEEEEiNS9_4plusIvEENS9_8equal_toIvEEiEE10hipError_tPvRmT2_T3_T4_T5_mT6_T7_P12ihipStream_tbENKUlT_T0_E_clISt17integral_constantIbLb0EES13_EEDaSY_SZ_EUlSY_E_NS1_11comp_targetILNS1_3genE10ELNS1_11target_archE1201ELNS1_3gpuE5ELNS1_3repE0EEENS1_30default_config_static_selectorELNS0_4arch9wavefront6targetE0EEEvT1_,comdat
	.protected	_ZN7rocprim17ROCPRIM_400000_NS6detail17trampoline_kernelINS0_14default_configENS1_27scan_by_key_config_selectorIiiEEZZNS1_16scan_by_key_implILNS1_25lookback_scan_determinismE0ELb1ES3_N6thrust23THRUST_200600_302600_NS6detail15normal_iteratorINS9_10device_ptrIiEEEENSB_INSC_IjEEEENSB_INSC_IfEEEEiNS9_4plusIvEENS9_8equal_toIvEEiEE10hipError_tPvRmT2_T3_T4_T5_mT6_T7_P12ihipStream_tbENKUlT_T0_E_clISt17integral_constantIbLb0EES13_EEDaSY_SZ_EUlSY_E_NS1_11comp_targetILNS1_3genE10ELNS1_11target_archE1201ELNS1_3gpuE5ELNS1_3repE0EEENS1_30default_config_static_selectorELNS0_4arch9wavefront6targetE0EEEvT1_ ; -- Begin function _ZN7rocprim17ROCPRIM_400000_NS6detail17trampoline_kernelINS0_14default_configENS1_27scan_by_key_config_selectorIiiEEZZNS1_16scan_by_key_implILNS1_25lookback_scan_determinismE0ELb1ES3_N6thrust23THRUST_200600_302600_NS6detail15normal_iteratorINS9_10device_ptrIiEEEENSB_INSC_IjEEEENSB_INSC_IfEEEEiNS9_4plusIvEENS9_8equal_toIvEEiEE10hipError_tPvRmT2_T3_T4_T5_mT6_T7_P12ihipStream_tbENKUlT_T0_E_clISt17integral_constantIbLb0EES13_EEDaSY_SZ_EUlSY_E_NS1_11comp_targetILNS1_3genE10ELNS1_11target_archE1201ELNS1_3gpuE5ELNS1_3repE0EEENS1_30default_config_static_selectorELNS0_4arch9wavefront6targetE0EEEvT1_
	.globl	_ZN7rocprim17ROCPRIM_400000_NS6detail17trampoline_kernelINS0_14default_configENS1_27scan_by_key_config_selectorIiiEEZZNS1_16scan_by_key_implILNS1_25lookback_scan_determinismE0ELb1ES3_N6thrust23THRUST_200600_302600_NS6detail15normal_iteratorINS9_10device_ptrIiEEEENSB_INSC_IjEEEENSB_INSC_IfEEEEiNS9_4plusIvEENS9_8equal_toIvEEiEE10hipError_tPvRmT2_T3_T4_T5_mT6_T7_P12ihipStream_tbENKUlT_T0_E_clISt17integral_constantIbLb0EES13_EEDaSY_SZ_EUlSY_E_NS1_11comp_targetILNS1_3genE10ELNS1_11target_archE1201ELNS1_3gpuE5ELNS1_3repE0EEENS1_30default_config_static_selectorELNS0_4arch9wavefront6targetE0EEEvT1_
	.p2align	8
	.type	_ZN7rocprim17ROCPRIM_400000_NS6detail17trampoline_kernelINS0_14default_configENS1_27scan_by_key_config_selectorIiiEEZZNS1_16scan_by_key_implILNS1_25lookback_scan_determinismE0ELb1ES3_N6thrust23THRUST_200600_302600_NS6detail15normal_iteratorINS9_10device_ptrIiEEEENSB_INSC_IjEEEENSB_INSC_IfEEEEiNS9_4plusIvEENS9_8equal_toIvEEiEE10hipError_tPvRmT2_T3_T4_T5_mT6_T7_P12ihipStream_tbENKUlT_T0_E_clISt17integral_constantIbLb0EES13_EEDaSY_SZ_EUlSY_E_NS1_11comp_targetILNS1_3genE10ELNS1_11target_archE1201ELNS1_3gpuE5ELNS1_3repE0EEENS1_30default_config_static_selectorELNS0_4arch9wavefront6targetE0EEEvT1_,@function
_ZN7rocprim17ROCPRIM_400000_NS6detail17trampoline_kernelINS0_14default_configENS1_27scan_by_key_config_selectorIiiEEZZNS1_16scan_by_key_implILNS1_25lookback_scan_determinismE0ELb1ES3_N6thrust23THRUST_200600_302600_NS6detail15normal_iteratorINS9_10device_ptrIiEEEENSB_INSC_IjEEEENSB_INSC_IfEEEEiNS9_4plusIvEENS9_8equal_toIvEEiEE10hipError_tPvRmT2_T3_T4_T5_mT6_T7_P12ihipStream_tbENKUlT_T0_E_clISt17integral_constantIbLb0EES13_EEDaSY_SZ_EUlSY_E_NS1_11comp_targetILNS1_3genE10ELNS1_11target_archE1201ELNS1_3gpuE5ELNS1_3repE0EEENS1_30default_config_static_selectorELNS0_4arch9wavefront6targetE0EEEvT1_: ; @_ZN7rocprim17ROCPRIM_400000_NS6detail17trampoline_kernelINS0_14default_configENS1_27scan_by_key_config_selectorIiiEEZZNS1_16scan_by_key_implILNS1_25lookback_scan_determinismE0ELb1ES3_N6thrust23THRUST_200600_302600_NS6detail15normal_iteratorINS9_10device_ptrIiEEEENSB_INSC_IjEEEENSB_INSC_IfEEEEiNS9_4plusIvEENS9_8equal_toIvEEiEE10hipError_tPvRmT2_T3_T4_T5_mT6_T7_P12ihipStream_tbENKUlT_T0_E_clISt17integral_constantIbLb0EES13_EEDaSY_SZ_EUlSY_E_NS1_11comp_targetILNS1_3genE10ELNS1_11target_archE1201ELNS1_3gpuE5ELNS1_3repE0EEENS1_30default_config_static_selectorELNS0_4arch9wavefront6targetE0EEEvT1_
; %bb.0:
	.section	.rodata,"a",@progbits
	.p2align	6, 0x0
	.amdhsa_kernel _ZN7rocprim17ROCPRIM_400000_NS6detail17trampoline_kernelINS0_14default_configENS1_27scan_by_key_config_selectorIiiEEZZNS1_16scan_by_key_implILNS1_25lookback_scan_determinismE0ELb1ES3_N6thrust23THRUST_200600_302600_NS6detail15normal_iteratorINS9_10device_ptrIiEEEENSB_INSC_IjEEEENSB_INSC_IfEEEEiNS9_4plusIvEENS9_8equal_toIvEEiEE10hipError_tPvRmT2_T3_T4_T5_mT6_T7_P12ihipStream_tbENKUlT_T0_E_clISt17integral_constantIbLb0EES13_EEDaSY_SZ_EUlSY_E_NS1_11comp_targetILNS1_3genE10ELNS1_11target_archE1201ELNS1_3gpuE5ELNS1_3repE0EEENS1_30default_config_static_selectorELNS0_4arch9wavefront6targetE0EEEvT1_
		.amdhsa_group_segment_fixed_size 0
		.amdhsa_private_segment_fixed_size 0
		.amdhsa_kernarg_size 112
		.amdhsa_user_sgpr_count 6
		.amdhsa_user_sgpr_private_segment_buffer 1
		.amdhsa_user_sgpr_dispatch_ptr 0
		.amdhsa_user_sgpr_queue_ptr 0
		.amdhsa_user_sgpr_kernarg_segment_ptr 1
		.amdhsa_user_sgpr_dispatch_id 0
		.amdhsa_user_sgpr_flat_scratch_init 0
		.amdhsa_user_sgpr_private_segment_size 0
		.amdhsa_wavefront_size32 1
		.amdhsa_uses_dynamic_stack 0
		.amdhsa_system_sgpr_private_segment_wavefront_offset 0
		.amdhsa_system_sgpr_workgroup_id_x 1
		.amdhsa_system_sgpr_workgroup_id_y 0
		.amdhsa_system_sgpr_workgroup_id_z 0
		.amdhsa_system_sgpr_workgroup_info 0
		.amdhsa_system_vgpr_workitem_id 0
		.amdhsa_next_free_vgpr 1
		.amdhsa_next_free_sgpr 1
		.amdhsa_reserve_vcc 0
		.amdhsa_reserve_flat_scratch 0
		.amdhsa_float_round_mode_32 0
		.amdhsa_float_round_mode_16_64 0
		.amdhsa_float_denorm_mode_32 3
		.amdhsa_float_denorm_mode_16_64 3
		.amdhsa_dx10_clamp 1
		.amdhsa_ieee_mode 1
		.amdhsa_fp16_overflow 0
		.amdhsa_workgroup_processor_mode 1
		.amdhsa_memory_ordered 1
		.amdhsa_forward_progress 1
		.amdhsa_shared_vgpr_count 0
		.amdhsa_exception_fp_ieee_invalid_op 0
		.amdhsa_exception_fp_denorm_src 0
		.amdhsa_exception_fp_ieee_div_zero 0
		.amdhsa_exception_fp_ieee_overflow 0
		.amdhsa_exception_fp_ieee_underflow 0
		.amdhsa_exception_fp_ieee_inexact 0
		.amdhsa_exception_int_div_zero 0
	.end_amdhsa_kernel
	.section	.text._ZN7rocprim17ROCPRIM_400000_NS6detail17trampoline_kernelINS0_14default_configENS1_27scan_by_key_config_selectorIiiEEZZNS1_16scan_by_key_implILNS1_25lookback_scan_determinismE0ELb1ES3_N6thrust23THRUST_200600_302600_NS6detail15normal_iteratorINS9_10device_ptrIiEEEENSB_INSC_IjEEEENSB_INSC_IfEEEEiNS9_4plusIvEENS9_8equal_toIvEEiEE10hipError_tPvRmT2_T3_T4_T5_mT6_T7_P12ihipStream_tbENKUlT_T0_E_clISt17integral_constantIbLb0EES13_EEDaSY_SZ_EUlSY_E_NS1_11comp_targetILNS1_3genE10ELNS1_11target_archE1201ELNS1_3gpuE5ELNS1_3repE0EEENS1_30default_config_static_selectorELNS0_4arch9wavefront6targetE0EEEvT1_,"axG",@progbits,_ZN7rocprim17ROCPRIM_400000_NS6detail17trampoline_kernelINS0_14default_configENS1_27scan_by_key_config_selectorIiiEEZZNS1_16scan_by_key_implILNS1_25lookback_scan_determinismE0ELb1ES3_N6thrust23THRUST_200600_302600_NS6detail15normal_iteratorINS9_10device_ptrIiEEEENSB_INSC_IjEEEENSB_INSC_IfEEEEiNS9_4plusIvEENS9_8equal_toIvEEiEE10hipError_tPvRmT2_T3_T4_T5_mT6_T7_P12ihipStream_tbENKUlT_T0_E_clISt17integral_constantIbLb0EES13_EEDaSY_SZ_EUlSY_E_NS1_11comp_targetILNS1_3genE10ELNS1_11target_archE1201ELNS1_3gpuE5ELNS1_3repE0EEENS1_30default_config_static_selectorELNS0_4arch9wavefront6targetE0EEEvT1_,comdat
.Lfunc_end1717:
	.size	_ZN7rocprim17ROCPRIM_400000_NS6detail17trampoline_kernelINS0_14default_configENS1_27scan_by_key_config_selectorIiiEEZZNS1_16scan_by_key_implILNS1_25lookback_scan_determinismE0ELb1ES3_N6thrust23THRUST_200600_302600_NS6detail15normal_iteratorINS9_10device_ptrIiEEEENSB_INSC_IjEEEENSB_INSC_IfEEEEiNS9_4plusIvEENS9_8equal_toIvEEiEE10hipError_tPvRmT2_T3_T4_T5_mT6_T7_P12ihipStream_tbENKUlT_T0_E_clISt17integral_constantIbLb0EES13_EEDaSY_SZ_EUlSY_E_NS1_11comp_targetILNS1_3genE10ELNS1_11target_archE1201ELNS1_3gpuE5ELNS1_3repE0EEENS1_30default_config_static_selectorELNS0_4arch9wavefront6targetE0EEEvT1_, .Lfunc_end1717-_ZN7rocprim17ROCPRIM_400000_NS6detail17trampoline_kernelINS0_14default_configENS1_27scan_by_key_config_selectorIiiEEZZNS1_16scan_by_key_implILNS1_25lookback_scan_determinismE0ELb1ES3_N6thrust23THRUST_200600_302600_NS6detail15normal_iteratorINS9_10device_ptrIiEEEENSB_INSC_IjEEEENSB_INSC_IfEEEEiNS9_4plusIvEENS9_8equal_toIvEEiEE10hipError_tPvRmT2_T3_T4_T5_mT6_T7_P12ihipStream_tbENKUlT_T0_E_clISt17integral_constantIbLb0EES13_EEDaSY_SZ_EUlSY_E_NS1_11comp_targetILNS1_3genE10ELNS1_11target_archE1201ELNS1_3gpuE5ELNS1_3repE0EEENS1_30default_config_static_selectorELNS0_4arch9wavefront6targetE0EEEvT1_
                                        ; -- End function
	.set _ZN7rocprim17ROCPRIM_400000_NS6detail17trampoline_kernelINS0_14default_configENS1_27scan_by_key_config_selectorIiiEEZZNS1_16scan_by_key_implILNS1_25lookback_scan_determinismE0ELb1ES3_N6thrust23THRUST_200600_302600_NS6detail15normal_iteratorINS9_10device_ptrIiEEEENSB_INSC_IjEEEENSB_INSC_IfEEEEiNS9_4plusIvEENS9_8equal_toIvEEiEE10hipError_tPvRmT2_T3_T4_T5_mT6_T7_P12ihipStream_tbENKUlT_T0_E_clISt17integral_constantIbLb0EES13_EEDaSY_SZ_EUlSY_E_NS1_11comp_targetILNS1_3genE10ELNS1_11target_archE1201ELNS1_3gpuE5ELNS1_3repE0EEENS1_30default_config_static_selectorELNS0_4arch9wavefront6targetE0EEEvT1_.num_vgpr, 0
	.set _ZN7rocprim17ROCPRIM_400000_NS6detail17trampoline_kernelINS0_14default_configENS1_27scan_by_key_config_selectorIiiEEZZNS1_16scan_by_key_implILNS1_25lookback_scan_determinismE0ELb1ES3_N6thrust23THRUST_200600_302600_NS6detail15normal_iteratorINS9_10device_ptrIiEEEENSB_INSC_IjEEEENSB_INSC_IfEEEEiNS9_4plusIvEENS9_8equal_toIvEEiEE10hipError_tPvRmT2_T3_T4_T5_mT6_T7_P12ihipStream_tbENKUlT_T0_E_clISt17integral_constantIbLb0EES13_EEDaSY_SZ_EUlSY_E_NS1_11comp_targetILNS1_3genE10ELNS1_11target_archE1201ELNS1_3gpuE5ELNS1_3repE0EEENS1_30default_config_static_selectorELNS0_4arch9wavefront6targetE0EEEvT1_.num_agpr, 0
	.set _ZN7rocprim17ROCPRIM_400000_NS6detail17trampoline_kernelINS0_14default_configENS1_27scan_by_key_config_selectorIiiEEZZNS1_16scan_by_key_implILNS1_25lookback_scan_determinismE0ELb1ES3_N6thrust23THRUST_200600_302600_NS6detail15normal_iteratorINS9_10device_ptrIiEEEENSB_INSC_IjEEEENSB_INSC_IfEEEEiNS9_4plusIvEENS9_8equal_toIvEEiEE10hipError_tPvRmT2_T3_T4_T5_mT6_T7_P12ihipStream_tbENKUlT_T0_E_clISt17integral_constantIbLb0EES13_EEDaSY_SZ_EUlSY_E_NS1_11comp_targetILNS1_3genE10ELNS1_11target_archE1201ELNS1_3gpuE5ELNS1_3repE0EEENS1_30default_config_static_selectorELNS0_4arch9wavefront6targetE0EEEvT1_.numbered_sgpr, 0
	.set _ZN7rocprim17ROCPRIM_400000_NS6detail17trampoline_kernelINS0_14default_configENS1_27scan_by_key_config_selectorIiiEEZZNS1_16scan_by_key_implILNS1_25lookback_scan_determinismE0ELb1ES3_N6thrust23THRUST_200600_302600_NS6detail15normal_iteratorINS9_10device_ptrIiEEEENSB_INSC_IjEEEENSB_INSC_IfEEEEiNS9_4plusIvEENS9_8equal_toIvEEiEE10hipError_tPvRmT2_T3_T4_T5_mT6_T7_P12ihipStream_tbENKUlT_T0_E_clISt17integral_constantIbLb0EES13_EEDaSY_SZ_EUlSY_E_NS1_11comp_targetILNS1_3genE10ELNS1_11target_archE1201ELNS1_3gpuE5ELNS1_3repE0EEENS1_30default_config_static_selectorELNS0_4arch9wavefront6targetE0EEEvT1_.num_named_barrier, 0
	.set _ZN7rocprim17ROCPRIM_400000_NS6detail17trampoline_kernelINS0_14default_configENS1_27scan_by_key_config_selectorIiiEEZZNS1_16scan_by_key_implILNS1_25lookback_scan_determinismE0ELb1ES3_N6thrust23THRUST_200600_302600_NS6detail15normal_iteratorINS9_10device_ptrIiEEEENSB_INSC_IjEEEENSB_INSC_IfEEEEiNS9_4plusIvEENS9_8equal_toIvEEiEE10hipError_tPvRmT2_T3_T4_T5_mT6_T7_P12ihipStream_tbENKUlT_T0_E_clISt17integral_constantIbLb0EES13_EEDaSY_SZ_EUlSY_E_NS1_11comp_targetILNS1_3genE10ELNS1_11target_archE1201ELNS1_3gpuE5ELNS1_3repE0EEENS1_30default_config_static_selectorELNS0_4arch9wavefront6targetE0EEEvT1_.private_seg_size, 0
	.set _ZN7rocprim17ROCPRIM_400000_NS6detail17trampoline_kernelINS0_14default_configENS1_27scan_by_key_config_selectorIiiEEZZNS1_16scan_by_key_implILNS1_25lookback_scan_determinismE0ELb1ES3_N6thrust23THRUST_200600_302600_NS6detail15normal_iteratorINS9_10device_ptrIiEEEENSB_INSC_IjEEEENSB_INSC_IfEEEEiNS9_4plusIvEENS9_8equal_toIvEEiEE10hipError_tPvRmT2_T3_T4_T5_mT6_T7_P12ihipStream_tbENKUlT_T0_E_clISt17integral_constantIbLb0EES13_EEDaSY_SZ_EUlSY_E_NS1_11comp_targetILNS1_3genE10ELNS1_11target_archE1201ELNS1_3gpuE5ELNS1_3repE0EEENS1_30default_config_static_selectorELNS0_4arch9wavefront6targetE0EEEvT1_.uses_vcc, 0
	.set _ZN7rocprim17ROCPRIM_400000_NS6detail17trampoline_kernelINS0_14default_configENS1_27scan_by_key_config_selectorIiiEEZZNS1_16scan_by_key_implILNS1_25lookback_scan_determinismE0ELb1ES3_N6thrust23THRUST_200600_302600_NS6detail15normal_iteratorINS9_10device_ptrIiEEEENSB_INSC_IjEEEENSB_INSC_IfEEEEiNS9_4plusIvEENS9_8equal_toIvEEiEE10hipError_tPvRmT2_T3_T4_T5_mT6_T7_P12ihipStream_tbENKUlT_T0_E_clISt17integral_constantIbLb0EES13_EEDaSY_SZ_EUlSY_E_NS1_11comp_targetILNS1_3genE10ELNS1_11target_archE1201ELNS1_3gpuE5ELNS1_3repE0EEENS1_30default_config_static_selectorELNS0_4arch9wavefront6targetE0EEEvT1_.uses_flat_scratch, 0
	.set _ZN7rocprim17ROCPRIM_400000_NS6detail17trampoline_kernelINS0_14default_configENS1_27scan_by_key_config_selectorIiiEEZZNS1_16scan_by_key_implILNS1_25lookback_scan_determinismE0ELb1ES3_N6thrust23THRUST_200600_302600_NS6detail15normal_iteratorINS9_10device_ptrIiEEEENSB_INSC_IjEEEENSB_INSC_IfEEEEiNS9_4plusIvEENS9_8equal_toIvEEiEE10hipError_tPvRmT2_T3_T4_T5_mT6_T7_P12ihipStream_tbENKUlT_T0_E_clISt17integral_constantIbLb0EES13_EEDaSY_SZ_EUlSY_E_NS1_11comp_targetILNS1_3genE10ELNS1_11target_archE1201ELNS1_3gpuE5ELNS1_3repE0EEENS1_30default_config_static_selectorELNS0_4arch9wavefront6targetE0EEEvT1_.has_dyn_sized_stack, 0
	.set _ZN7rocprim17ROCPRIM_400000_NS6detail17trampoline_kernelINS0_14default_configENS1_27scan_by_key_config_selectorIiiEEZZNS1_16scan_by_key_implILNS1_25lookback_scan_determinismE0ELb1ES3_N6thrust23THRUST_200600_302600_NS6detail15normal_iteratorINS9_10device_ptrIiEEEENSB_INSC_IjEEEENSB_INSC_IfEEEEiNS9_4plusIvEENS9_8equal_toIvEEiEE10hipError_tPvRmT2_T3_T4_T5_mT6_T7_P12ihipStream_tbENKUlT_T0_E_clISt17integral_constantIbLb0EES13_EEDaSY_SZ_EUlSY_E_NS1_11comp_targetILNS1_3genE10ELNS1_11target_archE1201ELNS1_3gpuE5ELNS1_3repE0EEENS1_30default_config_static_selectorELNS0_4arch9wavefront6targetE0EEEvT1_.has_recursion, 0
	.set _ZN7rocprim17ROCPRIM_400000_NS6detail17trampoline_kernelINS0_14default_configENS1_27scan_by_key_config_selectorIiiEEZZNS1_16scan_by_key_implILNS1_25lookback_scan_determinismE0ELb1ES3_N6thrust23THRUST_200600_302600_NS6detail15normal_iteratorINS9_10device_ptrIiEEEENSB_INSC_IjEEEENSB_INSC_IfEEEEiNS9_4plusIvEENS9_8equal_toIvEEiEE10hipError_tPvRmT2_T3_T4_T5_mT6_T7_P12ihipStream_tbENKUlT_T0_E_clISt17integral_constantIbLb0EES13_EEDaSY_SZ_EUlSY_E_NS1_11comp_targetILNS1_3genE10ELNS1_11target_archE1201ELNS1_3gpuE5ELNS1_3repE0EEENS1_30default_config_static_selectorELNS0_4arch9wavefront6targetE0EEEvT1_.has_indirect_call, 0
	.section	.AMDGPU.csdata,"",@progbits
; Kernel info:
; codeLenInByte = 0
; TotalNumSgprs: 0
; NumVgprs: 0
; ScratchSize: 0
; MemoryBound: 0
; FloatMode: 240
; IeeeMode: 1
; LDSByteSize: 0 bytes/workgroup (compile time only)
; SGPRBlocks: 0
; VGPRBlocks: 0
; NumSGPRsForWavesPerEU: 1
; NumVGPRsForWavesPerEU: 1
; Occupancy: 16
; WaveLimiterHint : 0
; COMPUTE_PGM_RSRC2:SCRATCH_EN: 0
; COMPUTE_PGM_RSRC2:USER_SGPR: 6
; COMPUTE_PGM_RSRC2:TRAP_HANDLER: 0
; COMPUTE_PGM_RSRC2:TGID_X_EN: 1
; COMPUTE_PGM_RSRC2:TGID_Y_EN: 0
; COMPUTE_PGM_RSRC2:TGID_Z_EN: 0
; COMPUTE_PGM_RSRC2:TIDIG_COMP_CNT: 0
	.section	.text._ZN7rocprim17ROCPRIM_400000_NS6detail17trampoline_kernelINS0_14default_configENS1_27scan_by_key_config_selectorIiiEEZZNS1_16scan_by_key_implILNS1_25lookback_scan_determinismE0ELb1ES3_N6thrust23THRUST_200600_302600_NS6detail15normal_iteratorINS9_10device_ptrIiEEEENSB_INSC_IjEEEENSB_INSC_IfEEEEiNS9_4plusIvEENS9_8equal_toIvEEiEE10hipError_tPvRmT2_T3_T4_T5_mT6_T7_P12ihipStream_tbENKUlT_T0_E_clISt17integral_constantIbLb0EES13_EEDaSY_SZ_EUlSY_E_NS1_11comp_targetILNS1_3genE5ELNS1_11target_archE942ELNS1_3gpuE9ELNS1_3repE0EEENS1_30default_config_static_selectorELNS0_4arch9wavefront6targetE0EEEvT1_,"axG",@progbits,_ZN7rocprim17ROCPRIM_400000_NS6detail17trampoline_kernelINS0_14default_configENS1_27scan_by_key_config_selectorIiiEEZZNS1_16scan_by_key_implILNS1_25lookback_scan_determinismE0ELb1ES3_N6thrust23THRUST_200600_302600_NS6detail15normal_iteratorINS9_10device_ptrIiEEEENSB_INSC_IjEEEENSB_INSC_IfEEEEiNS9_4plusIvEENS9_8equal_toIvEEiEE10hipError_tPvRmT2_T3_T4_T5_mT6_T7_P12ihipStream_tbENKUlT_T0_E_clISt17integral_constantIbLb0EES13_EEDaSY_SZ_EUlSY_E_NS1_11comp_targetILNS1_3genE5ELNS1_11target_archE942ELNS1_3gpuE9ELNS1_3repE0EEENS1_30default_config_static_selectorELNS0_4arch9wavefront6targetE0EEEvT1_,comdat
	.protected	_ZN7rocprim17ROCPRIM_400000_NS6detail17trampoline_kernelINS0_14default_configENS1_27scan_by_key_config_selectorIiiEEZZNS1_16scan_by_key_implILNS1_25lookback_scan_determinismE0ELb1ES3_N6thrust23THRUST_200600_302600_NS6detail15normal_iteratorINS9_10device_ptrIiEEEENSB_INSC_IjEEEENSB_INSC_IfEEEEiNS9_4plusIvEENS9_8equal_toIvEEiEE10hipError_tPvRmT2_T3_T4_T5_mT6_T7_P12ihipStream_tbENKUlT_T0_E_clISt17integral_constantIbLb0EES13_EEDaSY_SZ_EUlSY_E_NS1_11comp_targetILNS1_3genE5ELNS1_11target_archE942ELNS1_3gpuE9ELNS1_3repE0EEENS1_30default_config_static_selectorELNS0_4arch9wavefront6targetE0EEEvT1_ ; -- Begin function _ZN7rocprim17ROCPRIM_400000_NS6detail17trampoline_kernelINS0_14default_configENS1_27scan_by_key_config_selectorIiiEEZZNS1_16scan_by_key_implILNS1_25lookback_scan_determinismE0ELb1ES3_N6thrust23THRUST_200600_302600_NS6detail15normal_iteratorINS9_10device_ptrIiEEEENSB_INSC_IjEEEENSB_INSC_IfEEEEiNS9_4plusIvEENS9_8equal_toIvEEiEE10hipError_tPvRmT2_T3_T4_T5_mT6_T7_P12ihipStream_tbENKUlT_T0_E_clISt17integral_constantIbLb0EES13_EEDaSY_SZ_EUlSY_E_NS1_11comp_targetILNS1_3genE5ELNS1_11target_archE942ELNS1_3gpuE9ELNS1_3repE0EEENS1_30default_config_static_selectorELNS0_4arch9wavefront6targetE0EEEvT1_
	.globl	_ZN7rocprim17ROCPRIM_400000_NS6detail17trampoline_kernelINS0_14default_configENS1_27scan_by_key_config_selectorIiiEEZZNS1_16scan_by_key_implILNS1_25lookback_scan_determinismE0ELb1ES3_N6thrust23THRUST_200600_302600_NS6detail15normal_iteratorINS9_10device_ptrIiEEEENSB_INSC_IjEEEENSB_INSC_IfEEEEiNS9_4plusIvEENS9_8equal_toIvEEiEE10hipError_tPvRmT2_T3_T4_T5_mT6_T7_P12ihipStream_tbENKUlT_T0_E_clISt17integral_constantIbLb0EES13_EEDaSY_SZ_EUlSY_E_NS1_11comp_targetILNS1_3genE5ELNS1_11target_archE942ELNS1_3gpuE9ELNS1_3repE0EEENS1_30default_config_static_selectorELNS0_4arch9wavefront6targetE0EEEvT1_
	.p2align	8
	.type	_ZN7rocprim17ROCPRIM_400000_NS6detail17trampoline_kernelINS0_14default_configENS1_27scan_by_key_config_selectorIiiEEZZNS1_16scan_by_key_implILNS1_25lookback_scan_determinismE0ELb1ES3_N6thrust23THRUST_200600_302600_NS6detail15normal_iteratorINS9_10device_ptrIiEEEENSB_INSC_IjEEEENSB_INSC_IfEEEEiNS9_4plusIvEENS9_8equal_toIvEEiEE10hipError_tPvRmT2_T3_T4_T5_mT6_T7_P12ihipStream_tbENKUlT_T0_E_clISt17integral_constantIbLb0EES13_EEDaSY_SZ_EUlSY_E_NS1_11comp_targetILNS1_3genE5ELNS1_11target_archE942ELNS1_3gpuE9ELNS1_3repE0EEENS1_30default_config_static_selectorELNS0_4arch9wavefront6targetE0EEEvT1_,@function
_ZN7rocprim17ROCPRIM_400000_NS6detail17trampoline_kernelINS0_14default_configENS1_27scan_by_key_config_selectorIiiEEZZNS1_16scan_by_key_implILNS1_25lookback_scan_determinismE0ELb1ES3_N6thrust23THRUST_200600_302600_NS6detail15normal_iteratorINS9_10device_ptrIiEEEENSB_INSC_IjEEEENSB_INSC_IfEEEEiNS9_4plusIvEENS9_8equal_toIvEEiEE10hipError_tPvRmT2_T3_T4_T5_mT6_T7_P12ihipStream_tbENKUlT_T0_E_clISt17integral_constantIbLb0EES13_EEDaSY_SZ_EUlSY_E_NS1_11comp_targetILNS1_3genE5ELNS1_11target_archE942ELNS1_3gpuE9ELNS1_3repE0EEENS1_30default_config_static_selectorELNS0_4arch9wavefront6targetE0EEEvT1_: ; @_ZN7rocprim17ROCPRIM_400000_NS6detail17trampoline_kernelINS0_14default_configENS1_27scan_by_key_config_selectorIiiEEZZNS1_16scan_by_key_implILNS1_25lookback_scan_determinismE0ELb1ES3_N6thrust23THRUST_200600_302600_NS6detail15normal_iteratorINS9_10device_ptrIiEEEENSB_INSC_IjEEEENSB_INSC_IfEEEEiNS9_4plusIvEENS9_8equal_toIvEEiEE10hipError_tPvRmT2_T3_T4_T5_mT6_T7_P12ihipStream_tbENKUlT_T0_E_clISt17integral_constantIbLb0EES13_EEDaSY_SZ_EUlSY_E_NS1_11comp_targetILNS1_3genE5ELNS1_11target_archE942ELNS1_3gpuE9ELNS1_3repE0EEENS1_30default_config_static_selectorELNS0_4arch9wavefront6targetE0EEEvT1_
; %bb.0:
	.section	.rodata,"a",@progbits
	.p2align	6, 0x0
	.amdhsa_kernel _ZN7rocprim17ROCPRIM_400000_NS6detail17trampoline_kernelINS0_14default_configENS1_27scan_by_key_config_selectorIiiEEZZNS1_16scan_by_key_implILNS1_25lookback_scan_determinismE0ELb1ES3_N6thrust23THRUST_200600_302600_NS6detail15normal_iteratorINS9_10device_ptrIiEEEENSB_INSC_IjEEEENSB_INSC_IfEEEEiNS9_4plusIvEENS9_8equal_toIvEEiEE10hipError_tPvRmT2_T3_T4_T5_mT6_T7_P12ihipStream_tbENKUlT_T0_E_clISt17integral_constantIbLb0EES13_EEDaSY_SZ_EUlSY_E_NS1_11comp_targetILNS1_3genE5ELNS1_11target_archE942ELNS1_3gpuE9ELNS1_3repE0EEENS1_30default_config_static_selectorELNS0_4arch9wavefront6targetE0EEEvT1_
		.amdhsa_group_segment_fixed_size 0
		.amdhsa_private_segment_fixed_size 0
		.amdhsa_kernarg_size 112
		.amdhsa_user_sgpr_count 6
		.amdhsa_user_sgpr_private_segment_buffer 1
		.amdhsa_user_sgpr_dispatch_ptr 0
		.amdhsa_user_sgpr_queue_ptr 0
		.amdhsa_user_sgpr_kernarg_segment_ptr 1
		.amdhsa_user_sgpr_dispatch_id 0
		.amdhsa_user_sgpr_flat_scratch_init 0
		.amdhsa_user_sgpr_private_segment_size 0
		.amdhsa_wavefront_size32 1
		.amdhsa_uses_dynamic_stack 0
		.amdhsa_system_sgpr_private_segment_wavefront_offset 0
		.amdhsa_system_sgpr_workgroup_id_x 1
		.amdhsa_system_sgpr_workgroup_id_y 0
		.amdhsa_system_sgpr_workgroup_id_z 0
		.amdhsa_system_sgpr_workgroup_info 0
		.amdhsa_system_vgpr_workitem_id 0
		.amdhsa_next_free_vgpr 1
		.amdhsa_next_free_sgpr 1
		.amdhsa_reserve_vcc 0
		.amdhsa_reserve_flat_scratch 0
		.amdhsa_float_round_mode_32 0
		.amdhsa_float_round_mode_16_64 0
		.amdhsa_float_denorm_mode_32 3
		.amdhsa_float_denorm_mode_16_64 3
		.amdhsa_dx10_clamp 1
		.amdhsa_ieee_mode 1
		.amdhsa_fp16_overflow 0
		.amdhsa_workgroup_processor_mode 1
		.amdhsa_memory_ordered 1
		.amdhsa_forward_progress 1
		.amdhsa_shared_vgpr_count 0
		.amdhsa_exception_fp_ieee_invalid_op 0
		.amdhsa_exception_fp_denorm_src 0
		.amdhsa_exception_fp_ieee_div_zero 0
		.amdhsa_exception_fp_ieee_overflow 0
		.amdhsa_exception_fp_ieee_underflow 0
		.amdhsa_exception_fp_ieee_inexact 0
		.amdhsa_exception_int_div_zero 0
	.end_amdhsa_kernel
	.section	.text._ZN7rocprim17ROCPRIM_400000_NS6detail17trampoline_kernelINS0_14default_configENS1_27scan_by_key_config_selectorIiiEEZZNS1_16scan_by_key_implILNS1_25lookback_scan_determinismE0ELb1ES3_N6thrust23THRUST_200600_302600_NS6detail15normal_iteratorINS9_10device_ptrIiEEEENSB_INSC_IjEEEENSB_INSC_IfEEEEiNS9_4plusIvEENS9_8equal_toIvEEiEE10hipError_tPvRmT2_T3_T4_T5_mT6_T7_P12ihipStream_tbENKUlT_T0_E_clISt17integral_constantIbLb0EES13_EEDaSY_SZ_EUlSY_E_NS1_11comp_targetILNS1_3genE5ELNS1_11target_archE942ELNS1_3gpuE9ELNS1_3repE0EEENS1_30default_config_static_selectorELNS0_4arch9wavefront6targetE0EEEvT1_,"axG",@progbits,_ZN7rocprim17ROCPRIM_400000_NS6detail17trampoline_kernelINS0_14default_configENS1_27scan_by_key_config_selectorIiiEEZZNS1_16scan_by_key_implILNS1_25lookback_scan_determinismE0ELb1ES3_N6thrust23THRUST_200600_302600_NS6detail15normal_iteratorINS9_10device_ptrIiEEEENSB_INSC_IjEEEENSB_INSC_IfEEEEiNS9_4plusIvEENS9_8equal_toIvEEiEE10hipError_tPvRmT2_T3_T4_T5_mT6_T7_P12ihipStream_tbENKUlT_T0_E_clISt17integral_constantIbLb0EES13_EEDaSY_SZ_EUlSY_E_NS1_11comp_targetILNS1_3genE5ELNS1_11target_archE942ELNS1_3gpuE9ELNS1_3repE0EEENS1_30default_config_static_selectorELNS0_4arch9wavefront6targetE0EEEvT1_,comdat
.Lfunc_end1718:
	.size	_ZN7rocprim17ROCPRIM_400000_NS6detail17trampoline_kernelINS0_14default_configENS1_27scan_by_key_config_selectorIiiEEZZNS1_16scan_by_key_implILNS1_25lookback_scan_determinismE0ELb1ES3_N6thrust23THRUST_200600_302600_NS6detail15normal_iteratorINS9_10device_ptrIiEEEENSB_INSC_IjEEEENSB_INSC_IfEEEEiNS9_4plusIvEENS9_8equal_toIvEEiEE10hipError_tPvRmT2_T3_T4_T5_mT6_T7_P12ihipStream_tbENKUlT_T0_E_clISt17integral_constantIbLb0EES13_EEDaSY_SZ_EUlSY_E_NS1_11comp_targetILNS1_3genE5ELNS1_11target_archE942ELNS1_3gpuE9ELNS1_3repE0EEENS1_30default_config_static_selectorELNS0_4arch9wavefront6targetE0EEEvT1_, .Lfunc_end1718-_ZN7rocprim17ROCPRIM_400000_NS6detail17trampoline_kernelINS0_14default_configENS1_27scan_by_key_config_selectorIiiEEZZNS1_16scan_by_key_implILNS1_25lookback_scan_determinismE0ELb1ES3_N6thrust23THRUST_200600_302600_NS6detail15normal_iteratorINS9_10device_ptrIiEEEENSB_INSC_IjEEEENSB_INSC_IfEEEEiNS9_4plusIvEENS9_8equal_toIvEEiEE10hipError_tPvRmT2_T3_T4_T5_mT6_T7_P12ihipStream_tbENKUlT_T0_E_clISt17integral_constantIbLb0EES13_EEDaSY_SZ_EUlSY_E_NS1_11comp_targetILNS1_3genE5ELNS1_11target_archE942ELNS1_3gpuE9ELNS1_3repE0EEENS1_30default_config_static_selectorELNS0_4arch9wavefront6targetE0EEEvT1_
                                        ; -- End function
	.set _ZN7rocprim17ROCPRIM_400000_NS6detail17trampoline_kernelINS0_14default_configENS1_27scan_by_key_config_selectorIiiEEZZNS1_16scan_by_key_implILNS1_25lookback_scan_determinismE0ELb1ES3_N6thrust23THRUST_200600_302600_NS6detail15normal_iteratorINS9_10device_ptrIiEEEENSB_INSC_IjEEEENSB_INSC_IfEEEEiNS9_4plusIvEENS9_8equal_toIvEEiEE10hipError_tPvRmT2_T3_T4_T5_mT6_T7_P12ihipStream_tbENKUlT_T0_E_clISt17integral_constantIbLb0EES13_EEDaSY_SZ_EUlSY_E_NS1_11comp_targetILNS1_3genE5ELNS1_11target_archE942ELNS1_3gpuE9ELNS1_3repE0EEENS1_30default_config_static_selectorELNS0_4arch9wavefront6targetE0EEEvT1_.num_vgpr, 0
	.set _ZN7rocprim17ROCPRIM_400000_NS6detail17trampoline_kernelINS0_14default_configENS1_27scan_by_key_config_selectorIiiEEZZNS1_16scan_by_key_implILNS1_25lookback_scan_determinismE0ELb1ES3_N6thrust23THRUST_200600_302600_NS6detail15normal_iteratorINS9_10device_ptrIiEEEENSB_INSC_IjEEEENSB_INSC_IfEEEEiNS9_4plusIvEENS9_8equal_toIvEEiEE10hipError_tPvRmT2_T3_T4_T5_mT6_T7_P12ihipStream_tbENKUlT_T0_E_clISt17integral_constantIbLb0EES13_EEDaSY_SZ_EUlSY_E_NS1_11comp_targetILNS1_3genE5ELNS1_11target_archE942ELNS1_3gpuE9ELNS1_3repE0EEENS1_30default_config_static_selectorELNS0_4arch9wavefront6targetE0EEEvT1_.num_agpr, 0
	.set _ZN7rocprim17ROCPRIM_400000_NS6detail17trampoline_kernelINS0_14default_configENS1_27scan_by_key_config_selectorIiiEEZZNS1_16scan_by_key_implILNS1_25lookback_scan_determinismE0ELb1ES3_N6thrust23THRUST_200600_302600_NS6detail15normal_iteratorINS9_10device_ptrIiEEEENSB_INSC_IjEEEENSB_INSC_IfEEEEiNS9_4plusIvEENS9_8equal_toIvEEiEE10hipError_tPvRmT2_T3_T4_T5_mT6_T7_P12ihipStream_tbENKUlT_T0_E_clISt17integral_constantIbLb0EES13_EEDaSY_SZ_EUlSY_E_NS1_11comp_targetILNS1_3genE5ELNS1_11target_archE942ELNS1_3gpuE9ELNS1_3repE0EEENS1_30default_config_static_selectorELNS0_4arch9wavefront6targetE0EEEvT1_.numbered_sgpr, 0
	.set _ZN7rocprim17ROCPRIM_400000_NS6detail17trampoline_kernelINS0_14default_configENS1_27scan_by_key_config_selectorIiiEEZZNS1_16scan_by_key_implILNS1_25lookback_scan_determinismE0ELb1ES3_N6thrust23THRUST_200600_302600_NS6detail15normal_iteratorINS9_10device_ptrIiEEEENSB_INSC_IjEEEENSB_INSC_IfEEEEiNS9_4plusIvEENS9_8equal_toIvEEiEE10hipError_tPvRmT2_T3_T4_T5_mT6_T7_P12ihipStream_tbENKUlT_T0_E_clISt17integral_constantIbLb0EES13_EEDaSY_SZ_EUlSY_E_NS1_11comp_targetILNS1_3genE5ELNS1_11target_archE942ELNS1_3gpuE9ELNS1_3repE0EEENS1_30default_config_static_selectorELNS0_4arch9wavefront6targetE0EEEvT1_.num_named_barrier, 0
	.set _ZN7rocprim17ROCPRIM_400000_NS6detail17trampoline_kernelINS0_14default_configENS1_27scan_by_key_config_selectorIiiEEZZNS1_16scan_by_key_implILNS1_25lookback_scan_determinismE0ELb1ES3_N6thrust23THRUST_200600_302600_NS6detail15normal_iteratorINS9_10device_ptrIiEEEENSB_INSC_IjEEEENSB_INSC_IfEEEEiNS9_4plusIvEENS9_8equal_toIvEEiEE10hipError_tPvRmT2_T3_T4_T5_mT6_T7_P12ihipStream_tbENKUlT_T0_E_clISt17integral_constantIbLb0EES13_EEDaSY_SZ_EUlSY_E_NS1_11comp_targetILNS1_3genE5ELNS1_11target_archE942ELNS1_3gpuE9ELNS1_3repE0EEENS1_30default_config_static_selectorELNS0_4arch9wavefront6targetE0EEEvT1_.private_seg_size, 0
	.set _ZN7rocprim17ROCPRIM_400000_NS6detail17trampoline_kernelINS0_14default_configENS1_27scan_by_key_config_selectorIiiEEZZNS1_16scan_by_key_implILNS1_25lookback_scan_determinismE0ELb1ES3_N6thrust23THRUST_200600_302600_NS6detail15normal_iteratorINS9_10device_ptrIiEEEENSB_INSC_IjEEEENSB_INSC_IfEEEEiNS9_4plusIvEENS9_8equal_toIvEEiEE10hipError_tPvRmT2_T3_T4_T5_mT6_T7_P12ihipStream_tbENKUlT_T0_E_clISt17integral_constantIbLb0EES13_EEDaSY_SZ_EUlSY_E_NS1_11comp_targetILNS1_3genE5ELNS1_11target_archE942ELNS1_3gpuE9ELNS1_3repE0EEENS1_30default_config_static_selectorELNS0_4arch9wavefront6targetE0EEEvT1_.uses_vcc, 0
	.set _ZN7rocprim17ROCPRIM_400000_NS6detail17trampoline_kernelINS0_14default_configENS1_27scan_by_key_config_selectorIiiEEZZNS1_16scan_by_key_implILNS1_25lookback_scan_determinismE0ELb1ES3_N6thrust23THRUST_200600_302600_NS6detail15normal_iteratorINS9_10device_ptrIiEEEENSB_INSC_IjEEEENSB_INSC_IfEEEEiNS9_4plusIvEENS9_8equal_toIvEEiEE10hipError_tPvRmT2_T3_T4_T5_mT6_T7_P12ihipStream_tbENKUlT_T0_E_clISt17integral_constantIbLb0EES13_EEDaSY_SZ_EUlSY_E_NS1_11comp_targetILNS1_3genE5ELNS1_11target_archE942ELNS1_3gpuE9ELNS1_3repE0EEENS1_30default_config_static_selectorELNS0_4arch9wavefront6targetE0EEEvT1_.uses_flat_scratch, 0
	.set _ZN7rocprim17ROCPRIM_400000_NS6detail17trampoline_kernelINS0_14default_configENS1_27scan_by_key_config_selectorIiiEEZZNS1_16scan_by_key_implILNS1_25lookback_scan_determinismE0ELb1ES3_N6thrust23THRUST_200600_302600_NS6detail15normal_iteratorINS9_10device_ptrIiEEEENSB_INSC_IjEEEENSB_INSC_IfEEEEiNS9_4plusIvEENS9_8equal_toIvEEiEE10hipError_tPvRmT2_T3_T4_T5_mT6_T7_P12ihipStream_tbENKUlT_T0_E_clISt17integral_constantIbLb0EES13_EEDaSY_SZ_EUlSY_E_NS1_11comp_targetILNS1_3genE5ELNS1_11target_archE942ELNS1_3gpuE9ELNS1_3repE0EEENS1_30default_config_static_selectorELNS0_4arch9wavefront6targetE0EEEvT1_.has_dyn_sized_stack, 0
	.set _ZN7rocprim17ROCPRIM_400000_NS6detail17trampoline_kernelINS0_14default_configENS1_27scan_by_key_config_selectorIiiEEZZNS1_16scan_by_key_implILNS1_25lookback_scan_determinismE0ELb1ES3_N6thrust23THRUST_200600_302600_NS6detail15normal_iteratorINS9_10device_ptrIiEEEENSB_INSC_IjEEEENSB_INSC_IfEEEEiNS9_4plusIvEENS9_8equal_toIvEEiEE10hipError_tPvRmT2_T3_T4_T5_mT6_T7_P12ihipStream_tbENKUlT_T0_E_clISt17integral_constantIbLb0EES13_EEDaSY_SZ_EUlSY_E_NS1_11comp_targetILNS1_3genE5ELNS1_11target_archE942ELNS1_3gpuE9ELNS1_3repE0EEENS1_30default_config_static_selectorELNS0_4arch9wavefront6targetE0EEEvT1_.has_recursion, 0
	.set _ZN7rocprim17ROCPRIM_400000_NS6detail17trampoline_kernelINS0_14default_configENS1_27scan_by_key_config_selectorIiiEEZZNS1_16scan_by_key_implILNS1_25lookback_scan_determinismE0ELb1ES3_N6thrust23THRUST_200600_302600_NS6detail15normal_iteratorINS9_10device_ptrIiEEEENSB_INSC_IjEEEENSB_INSC_IfEEEEiNS9_4plusIvEENS9_8equal_toIvEEiEE10hipError_tPvRmT2_T3_T4_T5_mT6_T7_P12ihipStream_tbENKUlT_T0_E_clISt17integral_constantIbLb0EES13_EEDaSY_SZ_EUlSY_E_NS1_11comp_targetILNS1_3genE5ELNS1_11target_archE942ELNS1_3gpuE9ELNS1_3repE0EEENS1_30default_config_static_selectorELNS0_4arch9wavefront6targetE0EEEvT1_.has_indirect_call, 0
	.section	.AMDGPU.csdata,"",@progbits
; Kernel info:
; codeLenInByte = 0
; TotalNumSgprs: 0
; NumVgprs: 0
; ScratchSize: 0
; MemoryBound: 0
; FloatMode: 240
; IeeeMode: 1
; LDSByteSize: 0 bytes/workgroup (compile time only)
; SGPRBlocks: 0
; VGPRBlocks: 0
; NumSGPRsForWavesPerEU: 1
; NumVGPRsForWavesPerEU: 1
; Occupancy: 16
; WaveLimiterHint : 0
; COMPUTE_PGM_RSRC2:SCRATCH_EN: 0
; COMPUTE_PGM_RSRC2:USER_SGPR: 6
; COMPUTE_PGM_RSRC2:TRAP_HANDLER: 0
; COMPUTE_PGM_RSRC2:TGID_X_EN: 1
; COMPUTE_PGM_RSRC2:TGID_Y_EN: 0
; COMPUTE_PGM_RSRC2:TGID_Z_EN: 0
; COMPUTE_PGM_RSRC2:TIDIG_COMP_CNT: 0
	.section	.text._ZN7rocprim17ROCPRIM_400000_NS6detail17trampoline_kernelINS0_14default_configENS1_27scan_by_key_config_selectorIiiEEZZNS1_16scan_by_key_implILNS1_25lookback_scan_determinismE0ELb1ES3_N6thrust23THRUST_200600_302600_NS6detail15normal_iteratorINS9_10device_ptrIiEEEENSB_INSC_IjEEEENSB_INSC_IfEEEEiNS9_4plusIvEENS9_8equal_toIvEEiEE10hipError_tPvRmT2_T3_T4_T5_mT6_T7_P12ihipStream_tbENKUlT_T0_E_clISt17integral_constantIbLb0EES13_EEDaSY_SZ_EUlSY_E_NS1_11comp_targetILNS1_3genE4ELNS1_11target_archE910ELNS1_3gpuE8ELNS1_3repE0EEENS1_30default_config_static_selectorELNS0_4arch9wavefront6targetE0EEEvT1_,"axG",@progbits,_ZN7rocprim17ROCPRIM_400000_NS6detail17trampoline_kernelINS0_14default_configENS1_27scan_by_key_config_selectorIiiEEZZNS1_16scan_by_key_implILNS1_25lookback_scan_determinismE0ELb1ES3_N6thrust23THRUST_200600_302600_NS6detail15normal_iteratorINS9_10device_ptrIiEEEENSB_INSC_IjEEEENSB_INSC_IfEEEEiNS9_4plusIvEENS9_8equal_toIvEEiEE10hipError_tPvRmT2_T3_T4_T5_mT6_T7_P12ihipStream_tbENKUlT_T0_E_clISt17integral_constantIbLb0EES13_EEDaSY_SZ_EUlSY_E_NS1_11comp_targetILNS1_3genE4ELNS1_11target_archE910ELNS1_3gpuE8ELNS1_3repE0EEENS1_30default_config_static_selectorELNS0_4arch9wavefront6targetE0EEEvT1_,comdat
	.protected	_ZN7rocprim17ROCPRIM_400000_NS6detail17trampoline_kernelINS0_14default_configENS1_27scan_by_key_config_selectorIiiEEZZNS1_16scan_by_key_implILNS1_25lookback_scan_determinismE0ELb1ES3_N6thrust23THRUST_200600_302600_NS6detail15normal_iteratorINS9_10device_ptrIiEEEENSB_INSC_IjEEEENSB_INSC_IfEEEEiNS9_4plusIvEENS9_8equal_toIvEEiEE10hipError_tPvRmT2_T3_T4_T5_mT6_T7_P12ihipStream_tbENKUlT_T0_E_clISt17integral_constantIbLb0EES13_EEDaSY_SZ_EUlSY_E_NS1_11comp_targetILNS1_3genE4ELNS1_11target_archE910ELNS1_3gpuE8ELNS1_3repE0EEENS1_30default_config_static_selectorELNS0_4arch9wavefront6targetE0EEEvT1_ ; -- Begin function _ZN7rocprim17ROCPRIM_400000_NS6detail17trampoline_kernelINS0_14default_configENS1_27scan_by_key_config_selectorIiiEEZZNS1_16scan_by_key_implILNS1_25lookback_scan_determinismE0ELb1ES3_N6thrust23THRUST_200600_302600_NS6detail15normal_iteratorINS9_10device_ptrIiEEEENSB_INSC_IjEEEENSB_INSC_IfEEEEiNS9_4plusIvEENS9_8equal_toIvEEiEE10hipError_tPvRmT2_T3_T4_T5_mT6_T7_P12ihipStream_tbENKUlT_T0_E_clISt17integral_constantIbLb0EES13_EEDaSY_SZ_EUlSY_E_NS1_11comp_targetILNS1_3genE4ELNS1_11target_archE910ELNS1_3gpuE8ELNS1_3repE0EEENS1_30default_config_static_selectorELNS0_4arch9wavefront6targetE0EEEvT1_
	.globl	_ZN7rocprim17ROCPRIM_400000_NS6detail17trampoline_kernelINS0_14default_configENS1_27scan_by_key_config_selectorIiiEEZZNS1_16scan_by_key_implILNS1_25lookback_scan_determinismE0ELb1ES3_N6thrust23THRUST_200600_302600_NS6detail15normal_iteratorINS9_10device_ptrIiEEEENSB_INSC_IjEEEENSB_INSC_IfEEEEiNS9_4plusIvEENS9_8equal_toIvEEiEE10hipError_tPvRmT2_T3_T4_T5_mT6_T7_P12ihipStream_tbENKUlT_T0_E_clISt17integral_constantIbLb0EES13_EEDaSY_SZ_EUlSY_E_NS1_11comp_targetILNS1_3genE4ELNS1_11target_archE910ELNS1_3gpuE8ELNS1_3repE0EEENS1_30default_config_static_selectorELNS0_4arch9wavefront6targetE0EEEvT1_
	.p2align	8
	.type	_ZN7rocprim17ROCPRIM_400000_NS6detail17trampoline_kernelINS0_14default_configENS1_27scan_by_key_config_selectorIiiEEZZNS1_16scan_by_key_implILNS1_25lookback_scan_determinismE0ELb1ES3_N6thrust23THRUST_200600_302600_NS6detail15normal_iteratorINS9_10device_ptrIiEEEENSB_INSC_IjEEEENSB_INSC_IfEEEEiNS9_4plusIvEENS9_8equal_toIvEEiEE10hipError_tPvRmT2_T3_T4_T5_mT6_T7_P12ihipStream_tbENKUlT_T0_E_clISt17integral_constantIbLb0EES13_EEDaSY_SZ_EUlSY_E_NS1_11comp_targetILNS1_3genE4ELNS1_11target_archE910ELNS1_3gpuE8ELNS1_3repE0EEENS1_30default_config_static_selectorELNS0_4arch9wavefront6targetE0EEEvT1_,@function
_ZN7rocprim17ROCPRIM_400000_NS6detail17trampoline_kernelINS0_14default_configENS1_27scan_by_key_config_selectorIiiEEZZNS1_16scan_by_key_implILNS1_25lookback_scan_determinismE0ELb1ES3_N6thrust23THRUST_200600_302600_NS6detail15normal_iteratorINS9_10device_ptrIiEEEENSB_INSC_IjEEEENSB_INSC_IfEEEEiNS9_4plusIvEENS9_8equal_toIvEEiEE10hipError_tPvRmT2_T3_T4_T5_mT6_T7_P12ihipStream_tbENKUlT_T0_E_clISt17integral_constantIbLb0EES13_EEDaSY_SZ_EUlSY_E_NS1_11comp_targetILNS1_3genE4ELNS1_11target_archE910ELNS1_3gpuE8ELNS1_3repE0EEENS1_30default_config_static_selectorELNS0_4arch9wavefront6targetE0EEEvT1_: ; @_ZN7rocprim17ROCPRIM_400000_NS6detail17trampoline_kernelINS0_14default_configENS1_27scan_by_key_config_selectorIiiEEZZNS1_16scan_by_key_implILNS1_25lookback_scan_determinismE0ELb1ES3_N6thrust23THRUST_200600_302600_NS6detail15normal_iteratorINS9_10device_ptrIiEEEENSB_INSC_IjEEEENSB_INSC_IfEEEEiNS9_4plusIvEENS9_8equal_toIvEEiEE10hipError_tPvRmT2_T3_T4_T5_mT6_T7_P12ihipStream_tbENKUlT_T0_E_clISt17integral_constantIbLb0EES13_EEDaSY_SZ_EUlSY_E_NS1_11comp_targetILNS1_3genE4ELNS1_11target_archE910ELNS1_3gpuE8ELNS1_3repE0EEENS1_30default_config_static_selectorELNS0_4arch9wavefront6targetE0EEEvT1_
; %bb.0:
	.section	.rodata,"a",@progbits
	.p2align	6, 0x0
	.amdhsa_kernel _ZN7rocprim17ROCPRIM_400000_NS6detail17trampoline_kernelINS0_14default_configENS1_27scan_by_key_config_selectorIiiEEZZNS1_16scan_by_key_implILNS1_25lookback_scan_determinismE0ELb1ES3_N6thrust23THRUST_200600_302600_NS6detail15normal_iteratorINS9_10device_ptrIiEEEENSB_INSC_IjEEEENSB_INSC_IfEEEEiNS9_4plusIvEENS9_8equal_toIvEEiEE10hipError_tPvRmT2_T3_T4_T5_mT6_T7_P12ihipStream_tbENKUlT_T0_E_clISt17integral_constantIbLb0EES13_EEDaSY_SZ_EUlSY_E_NS1_11comp_targetILNS1_3genE4ELNS1_11target_archE910ELNS1_3gpuE8ELNS1_3repE0EEENS1_30default_config_static_selectorELNS0_4arch9wavefront6targetE0EEEvT1_
		.amdhsa_group_segment_fixed_size 0
		.amdhsa_private_segment_fixed_size 0
		.amdhsa_kernarg_size 112
		.amdhsa_user_sgpr_count 6
		.amdhsa_user_sgpr_private_segment_buffer 1
		.amdhsa_user_sgpr_dispatch_ptr 0
		.amdhsa_user_sgpr_queue_ptr 0
		.amdhsa_user_sgpr_kernarg_segment_ptr 1
		.amdhsa_user_sgpr_dispatch_id 0
		.amdhsa_user_sgpr_flat_scratch_init 0
		.amdhsa_user_sgpr_private_segment_size 0
		.amdhsa_wavefront_size32 1
		.amdhsa_uses_dynamic_stack 0
		.amdhsa_system_sgpr_private_segment_wavefront_offset 0
		.amdhsa_system_sgpr_workgroup_id_x 1
		.amdhsa_system_sgpr_workgroup_id_y 0
		.amdhsa_system_sgpr_workgroup_id_z 0
		.amdhsa_system_sgpr_workgroup_info 0
		.amdhsa_system_vgpr_workitem_id 0
		.amdhsa_next_free_vgpr 1
		.amdhsa_next_free_sgpr 1
		.amdhsa_reserve_vcc 0
		.amdhsa_reserve_flat_scratch 0
		.amdhsa_float_round_mode_32 0
		.amdhsa_float_round_mode_16_64 0
		.amdhsa_float_denorm_mode_32 3
		.amdhsa_float_denorm_mode_16_64 3
		.amdhsa_dx10_clamp 1
		.amdhsa_ieee_mode 1
		.amdhsa_fp16_overflow 0
		.amdhsa_workgroup_processor_mode 1
		.amdhsa_memory_ordered 1
		.amdhsa_forward_progress 1
		.amdhsa_shared_vgpr_count 0
		.amdhsa_exception_fp_ieee_invalid_op 0
		.amdhsa_exception_fp_denorm_src 0
		.amdhsa_exception_fp_ieee_div_zero 0
		.amdhsa_exception_fp_ieee_overflow 0
		.amdhsa_exception_fp_ieee_underflow 0
		.amdhsa_exception_fp_ieee_inexact 0
		.amdhsa_exception_int_div_zero 0
	.end_amdhsa_kernel
	.section	.text._ZN7rocprim17ROCPRIM_400000_NS6detail17trampoline_kernelINS0_14default_configENS1_27scan_by_key_config_selectorIiiEEZZNS1_16scan_by_key_implILNS1_25lookback_scan_determinismE0ELb1ES3_N6thrust23THRUST_200600_302600_NS6detail15normal_iteratorINS9_10device_ptrIiEEEENSB_INSC_IjEEEENSB_INSC_IfEEEEiNS9_4plusIvEENS9_8equal_toIvEEiEE10hipError_tPvRmT2_T3_T4_T5_mT6_T7_P12ihipStream_tbENKUlT_T0_E_clISt17integral_constantIbLb0EES13_EEDaSY_SZ_EUlSY_E_NS1_11comp_targetILNS1_3genE4ELNS1_11target_archE910ELNS1_3gpuE8ELNS1_3repE0EEENS1_30default_config_static_selectorELNS0_4arch9wavefront6targetE0EEEvT1_,"axG",@progbits,_ZN7rocprim17ROCPRIM_400000_NS6detail17trampoline_kernelINS0_14default_configENS1_27scan_by_key_config_selectorIiiEEZZNS1_16scan_by_key_implILNS1_25lookback_scan_determinismE0ELb1ES3_N6thrust23THRUST_200600_302600_NS6detail15normal_iteratorINS9_10device_ptrIiEEEENSB_INSC_IjEEEENSB_INSC_IfEEEEiNS9_4plusIvEENS9_8equal_toIvEEiEE10hipError_tPvRmT2_T3_T4_T5_mT6_T7_P12ihipStream_tbENKUlT_T0_E_clISt17integral_constantIbLb0EES13_EEDaSY_SZ_EUlSY_E_NS1_11comp_targetILNS1_3genE4ELNS1_11target_archE910ELNS1_3gpuE8ELNS1_3repE0EEENS1_30default_config_static_selectorELNS0_4arch9wavefront6targetE0EEEvT1_,comdat
.Lfunc_end1719:
	.size	_ZN7rocprim17ROCPRIM_400000_NS6detail17trampoline_kernelINS0_14default_configENS1_27scan_by_key_config_selectorIiiEEZZNS1_16scan_by_key_implILNS1_25lookback_scan_determinismE0ELb1ES3_N6thrust23THRUST_200600_302600_NS6detail15normal_iteratorINS9_10device_ptrIiEEEENSB_INSC_IjEEEENSB_INSC_IfEEEEiNS9_4plusIvEENS9_8equal_toIvEEiEE10hipError_tPvRmT2_T3_T4_T5_mT6_T7_P12ihipStream_tbENKUlT_T0_E_clISt17integral_constantIbLb0EES13_EEDaSY_SZ_EUlSY_E_NS1_11comp_targetILNS1_3genE4ELNS1_11target_archE910ELNS1_3gpuE8ELNS1_3repE0EEENS1_30default_config_static_selectorELNS0_4arch9wavefront6targetE0EEEvT1_, .Lfunc_end1719-_ZN7rocprim17ROCPRIM_400000_NS6detail17trampoline_kernelINS0_14default_configENS1_27scan_by_key_config_selectorIiiEEZZNS1_16scan_by_key_implILNS1_25lookback_scan_determinismE0ELb1ES3_N6thrust23THRUST_200600_302600_NS6detail15normal_iteratorINS9_10device_ptrIiEEEENSB_INSC_IjEEEENSB_INSC_IfEEEEiNS9_4plusIvEENS9_8equal_toIvEEiEE10hipError_tPvRmT2_T3_T4_T5_mT6_T7_P12ihipStream_tbENKUlT_T0_E_clISt17integral_constantIbLb0EES13_EEDaSY_SZ_EUlSY_E_NS1_11comp_targetILNS1_3genE4ELNS1_11target_archE910ELNS1_3gpuE8ELNS1_3repE0EEENS1_30default_config_static_selectorELNS0_4arch9wavefront6targetE0EEEvT1_
                                        ; -- End function
	.set _ZN7rocprim17ROCPRIM_400000_NS6detail17trampoline_kernelINS0_14default_configENS1_27scan_by_key_config_selectorIiiEEZZNS1_16scan_by_key_implILNS1_25lookback_scan_determinismE0ELb1ES3_N6thrust23THRUST_200600_302600_NS6detail15normal_iteratorINS9_10device_ptrIiEEEENSB_INSC_IjEEEENSB_INSC_IfEEEEiNS9_4plusIvEENS9_8equal_toIvEEiEE10hipError_tPvRmT2_T3_T4_T5_mT6_T7_P12ihipStream_tbENKUlT_T0_E_clISt17integral_constantIbLb0EES13_EEDaSY_SZ_EUlSY_E_NS1_11comp_targetILNS1_3genE4ELNS1_11target_archE910ELNS1_3gpuE8ELNS1_3repE0EEENS1_30default_config_static_selectorELNS0_4arch9wavefront6targetE0EEEvT1_.num_vgpr, 0
	.set _ZN7rocprim17ROCPRIM_400000_NS6detail17trampoline_kernelINS0_14default_configENS1_27scan_by_key_config_selectorIiiEEZZNS1_16scan_by_key_implILNS1_25lookback_scan_determinismE0ELb1ES3_N6thrust23THRUST_200600_302600_NS6detail15normal_iteratorINS9_10device_ptrIiEEEENSB_INSC_IjEEEENSB_INSC_IfEEEEiNS9_4plusIvEENS9_8equal_toIvEEiEE10hipError_tPvRmT2_T3_T4_T5_mT6_T7_P12ihipStream_tbENKUlT_T0_E_clISt17integral_constantIbLb0EES13_EEDaSY_SZ_EUlSY_E_NS1_11comp_targetILNS1_3genE4ELNS1_11target_archE910ELNS1_3gpuE8ELNS1_3repE0EEENS1_30default_config_static_selectorELNS0_4arch9wavefront6targetE0EEEvT1_.num_agpr, 0
	.set _ZN7rocprim17ROCPRIM_400000_NS6detail17trampoline_kernelINS0_14default_configENS1_27scan_by_key_config_selectorIiiEEZZNS1_16scan_by_key_implILNS1_25lookback_scan_determinismE0ELb1ES3_N6thrust23THRUST_200600_302600_NS6detail15normal_iteratorINS9_10device_ptrIiEEEENSB_INSC_IjEEEENSB_INSC_IfEEEEiNS9_4plusIvEENS9_8equal_toIvEEiEE10hipError_tPvRmT2_T3_T4_T5_mT6_T7_P12ihipStream_tbENKUlT_T0_E_clISt17integral_constantIbLb0EES13_EEDaSY_SZ_EUlSY_E_NS1_11comp_targetILNS1_3genE4ELNS1_11target_archE910ELNS1_3gpuE8ELNS1_3repE0EEENS1_30default_config_static_selectorELNS0_4arch9wavefront6targetE0EEEvT1_.numbered_sgpr, 0
	.set _ZN7rocprim17ROCPRIM_400000_NS6detail17trampoline_kernelINS0_14default_configENS1_27scan_by_key_config_selectorIiiEEZZNS1_16scan_by_key_implILNS1_25lookback_scan_determinismE0ELb1ES3_N6thrust23THRUST_200600_302600_NS6detail15normal_iteratorINS9_10device_ptrIiEEEENSB_INSC_IjEEEENSB_INSC_IfEEEEiNS9_4plusIvEENS9_8equal_toIvEEiEE10hipError_tPvRmT2_T3_T4_T5_mT6_T7_P12ihipStream_tbENKUlT_T0_E_clISt17integral_constantIbLb0EES13_EEDaSY_SZ_EUlSY_E_NS1_11comp_targetILNS1_3genE4ELNS1_11target_archE910ELNS1_3gpuE8ELNS1_3repE0EEENS1_30default_config_static_selectorELNS0_4arch9wavefront6targetE0EEEvT1_.num_named_barrier, 0
	.set _ZN7rocprim17ROCPRIM_400000_NS6detail17trampoline_kernelINS0_14default_configENS1_27scan_by_key_config_selectorIiiEEZZNS1_16scan_by_key_implILNS1_25lookback_scan_determinismE0ELb1ES3_N6thrust23THRUST_200600_302600_NS6detail15normal_iteratorINS9_10device_ptrIiEEEENSB_INSC_IjEEEENSB_INSC_IfEEEEiNS9_4plusIvEENS9_8equal_toIvEEiEE10hipError_tPvRmT2_T3_T4_T5_mT6_T7_P12ihipStream_tbENKUlT_T0_E_clISt17integral_constantIbLb0EES13_EEDaSY_SZ_EUlSY_E_NS1_11comp_targetILNS1_3genE4ELNS1_11target_archE910ELNS1_3gpuE8ELNS1_3repE0EEENS1_30default_config_static_selectorELNS0_4arch9wavefront6targetE0EEEvT1_.private_seg_size, 0
	.set _ZN7rocprim17ROCPRIM_400000_NS6detail17trampoline_kernelINS0_14default_configENS1_27scan_by_key_config_selectorIiiEEZZNS1_16scan_by_key_implILNS1_25lookback_scan_determinismE0ELb1ES3_N6thrust23THRUST_200600_302600_NS6detail15normal_iteratorINS9_10device_ptrIiEEEENSB_INSC_IjEEEENSB_INSC_IfEEEEiNS9_4plusIvEENS9_8equal_toIvEEiEE10hipError_tPvRmT2_T3_T4_T5_mT6_T7_P12ihipStream_tbENKUlT_T0_E_clISt17integral_constantIbLb0EES13_EEDaSY_SZ_EUlSY_E_NS1_11comp_targetILNS1_3genE4ELNS1_11target_archE910ELNS1_3gpuE8ELNS1_3repE0EEENS1_30default_config_static_selectorELNS0_4arch9wavefront6targetE0EEEvT1_.uses_vcc, 0
	.set _ZN7rocprim17ROCPRIM_400000_NS6detail17trampoline_kernelINS0_14default_configENS1_27scan_by_key_config_selectorIiiEEZZNS1_16scan_by_key_implILNS1_25lookback_scan_determinismE0ELb1ES3_N6thrust23THRUST_200600_302600_NS6detail15normal_iteratorINS9_10device_ptrIiEEEENSB_INSC_IjEEEENSB_INSC_IfEEEEiNS9_4plusIvEENS9_8equal_toIvEEiEE10hipError_tPvRmT2_T3_T4_T5_mT6_T7_P12ihipStream_tbENKUlT_T0_E_clISt17integral_constantIbLb0EES13_EEDaSY_SZ_EUlSY_E_NS1_11comp_targetILNS1_3genE4ELNS1_11target_archE910ELNS1_3gpuE8ELNS1_3repE0EEENS1_30default_config_static_selectorELNS0_4arch9wavefront6targetE0EEEvT1_.uses_flat_scratch, 0
	.set _ZN7rocprim17ROCPRIM_400000_NS6detail17trampoline_kernelINS0_14default_configENS1_27scan_by_key_config_selectorIiiEEZZNS1_16scan_by_key_implILNS1_25lookback_scan_determinismE0ELb1ES3_N6thrust23THRUST_200600_302600_NS6detail15normal_iteratorINS9_10device_ptrIiEEEENSB_INSC_IjEEEENSB_INSC_IfEEEEiNS9_4plusIvEENS9_8equal_toIvEEiEE10hipError_tPvRmT2_T3_T4_T5_mT6_T7_P12ihipStream_tbENKUlT_T0_E_clISt17integral_constantIbLb0EES13_EEDaSY_SZ_EUlSY_E_NS1_11comp_targetILNS1_3genE4ELNS1_11target_archE910ELNS1_3gpuE8ELNS1_3repE0EEENS1_30default_config_static_selectorELNS0_4arch9wavefront6targetE0EEEvT1_.has_dyn_sized_stack, 0
	.set _ZN7rocprim17ROCPRIM_400000_NS6detail17trampoline_kernelINS0_14default_configENS1_27scan_by_key_config_selectorIiiEEZZNS1_16scan_by_key_implILNS1_25lookback_scan_determinismE0ELb1ES3_N6thrust23THRUST_200600_302600_NS6detail15normal_iteratorINS9_10device_ptrIiEEEENSB_INSC_IjEEEENSB_INSC_IfEEEEiNS9_4plusIvEENS9_8equal_toIvEEiEE10hipError_tPvRmT2_T3_T4_T5_mT6_T7_P12ihipStream_tbENKUlT_T0_E_clISt17integral_constantIbLb0EES13_EEDaSY_SZ_EUlSY_E_NS1_11comp_targetILNS1_3genE4ELNS1_11target_archE910ELNS1_3gpuE8ELNS1_3repE0EEENS1_30default_config_static_selectorELNS0_4arch9wavefront6targetE0EEEvT1_.has_recursion, 0
	.set _ZN7rocprim17ROCPRIM_400000_NS6detail17trampoline_kernelINS0_14default_configENS1_27scan_by_key_config_selectorIiiEEZZNS1_16scan_by_key_implILNS1_25lookback_scan_determinismE0ELb1ES3_N6thrust23THRUST_200600_302600_NS6detail15normal_iteratorINS9_10device_ptrIiEEEENSB_INSC_IjEEEENSB_INSC_IfEEEEiNS9_4plusIvEENS9_8equal_toIvEEiEE10hipError_tPvRmT2_T3_T4_T5_mT6_T7_P12ihipStream_tbENKUlT_T0_E_clISt17integral_constantIbLb0EES13_EEDaSY_SZ_EUlSY_E_NS1_11comp_targetILNS1_3genE4ELNS1_11target_archE910ELNS1_3gpuE8ELNS1_3repE0EEENS1_30default_config_static_selectorELNS0_4arch9wavefront6targetE0EEEvT1_.has_indirect_call, 0
	.section	.AMDGPU.csdata,"",@progbits
; Kernel info:
; codeLenInByte = 0
; TotalNumSgprs: 0
; NumVgprs: 0
; ScratchSize: 0
; MemoryBound: 0
; FloatMode: 240
; IeeeMode: 1
; LDSByteSize: 0 bytes/workgroup (compile time only)
; SGPRBlocks: 0
; VGPRBlocks: 0
; NumSGPRsForWavesPerEU: 1
; NumVGPRsForWavesPerEU: 1
; Occupancy: 16
; WaveLimiterHint : 0
; COMPUTE_PGM_RSRC2:SCRATCH_EN: 0
; COMPUTE_PGM_RSRC2:USER_SGPR: 6
; COMPUTE_PGM_RSRC2:TRAP_HANDLER: 0
; COMPUTE_PGM_RSRC2:TGID_X_EN: 1
; COMPUTE_PGM_RSRC2:TGID_Y_EN: 0
; COMPUTE_PGM_RSRC2:TGID_Z_EN: 0
; COMPUTE_PGM_RSRC2:TIDIG_COMP_CNT: 0
	.section	.text._ZN7rocprim17ROCPRIM_400000_NS6detail17trampoline_kernelINS0_14default_configENS1_27scan_by_key_config_selectorIiiEEZZNS1_16scan_by_key_implILNS1_25lookback_scan_determinismE0ELb1ES3_N6thrust23THRUST_200600_302600_NS6detail15normal_iteratorINS9_10device_ptrIiEEEENSB_INSC_IjEEEENSB_INSC_IfEEEEiNS9_4plusIvEENS9_8equal_toIvEEiEE10hipError_tPvRmT2_T3_T4_T5_mT6_T7_P12ihipStream_tbENKUlT_T0_E_clISt17integral_constantIbLb0EES13_EEDaSY_SZ_EUlSY_E_NS1_11comp_targetILNS1_3genE3ELNS1_11target_archE908ELNS1_3gpuE7ELNS1_3repE0EEENS1_30default_config_static_selectorELNS0_4arch9wavefront6targetE0EEEvT1_,"axG",@progbits,_ZN7rocprim17ROCPRIM_400000_NS6detail17trampoline_kernelINS0_14default_configENS1_27scan_by_key_config_selectorIiiEEZZNS1_16scan_by_key_implILNS1_25lookback_scan_determinismE0ELb1ES3_N6thrust23THRUST_200600_302600_NS6detail15normal_iteratorINS9_10device_ptrIiEEEENSB_INSC_IjEEEENSB_INSC_IfEEEEiNS9_4plusIvEENS9_8equal_toIvEEiEE10hipError_tPvRmT2_T3_T4_T5_mT6_T7_P12ihipStream_tbENKUlT_T0_E_clISt17integral_constantIbLb0EES13_EEDaSY_SZ_EUlSY_E_NS1_11comp_targetILNS1_3genE3ELNS1_11target_archE908ELNS1_3gpuE7ELNS1_3repE0EEENS1_30default_config_static_selectorELNS0_4arch9wavefront6targetE0EEEvT1_,comdat
	.protected	_ZN7rocprim17ROCPRIM_400000_NS6detail17trampoline_kernelINS0_14default_configENS1_27scan_by_key_config_selectorIiiEEZZNS1_16scan_by_key_implILNS1_25lookback_scan_determinismE0ELb1ES3_N6thrust23THRUST_200600_302600_NS6detail15normal_iteratorINS9_10device_ptrIiEEEENSB_INSC_IjEEEENSB_INSC_IfEEEEiNS9_4plusIvEENS9_8equal_toIvEEiEE10hipError_tPvRmT2_T3_T4_T5_mT6_T7_P12ihipStream_tbENKUlT_T0_E_clISt17integral_constantIbLb0EES13_EEDaSY_SZ_EUlSY_E_NS1_11comp_targetILNS1_3genE3ELNS1_11target_archE908ELNS1_3gpuE7ELNS1_3repE0EEENS1_30default_config_static_selectorELNS0_4arch9wavefront6targetE0EEEvT1_ ; -- Begin function _ZN7rocprim17ROCPRIM_400000_NS6detail17trampoline_kernelINS0_14default_configENS1_27scan_by_key_config_selectorIiiEEZZNS1_16scan_by_key_implILNS1_25lookback_scan_determinismE0ELb1ES3_N6thrust23THRUST_200600_302600_NS6detail15normal_iteratorINS9_10device_ptrIiEEEENSB_INSC_IjEEEENSB_INSC_IfEEEEiNS9_4plusIvEENS9_8equal_toIvEEiEE10hipError_tPvRmT2_T3_T4_T5_mT6_T7_P12ihipStream_tbENKUlT_T0_E_clISt17integral_constantIbLb0EES13_EEDaSY_SZ_EUlSY_E_NS1_11comp_targetILNS1_3genE3ELNS1_11target_archE908ELNS1_3gpuE7ELNS1_3repE0EEENS1_30default_config_static_selectorELNS0_4arch9wavefront6targetE0EEEvT1_
	.globl	_ZN7rocprim17ROCPRIM_400000_NS6detail17trampoline_kernelINS0_14default_configENS1_27scan_by_key_config_selectorIiiEEZZNS1_16scan_by_key_implILNS1_25lookback_scan_determinismE0ELb1ES3_N6thrust23THRUST_200600_302600_NS6detail15normal_iteratorINS9_10device_ptrIiEEEENSB_INSC_IjEEEENSB_INSC_IfEEEEiNS9_4plusIvEENS9_8equal_toIvEEiEE10hipError_tPvRmT2_T3_T4_T5_mT6_T7_P12ihipStream_tbENKUlT_T0_E_clISt17integral_constantIbLb0EES13_EEDaSY_SZ_EUlSY_E_NS1_11comp_targetILNS1_3genE3ELNS1_11target_archE908ELNS1_3gpuE7ELNS1_3repE0EEENS1_30default_config_static_selectorELNS0_4arch9wavefront6targetE0EEEvT1_
	.p2align	8
	.type	_ZN7rocprim17ROCPRIM_400000_NS6detail17trampoline_kernelINS0_14default_configENS1_27scan_by_key_config_selectorIiiEEZZNS1_16scan_by_key_implILNS1_25lookback_scan_determinismE0ELb1ES3_N6thrust23THRUST_200600_302600_NS6detail15normal_iteratorINS9_10device_ptrIiEEEENSB_INSC_IjEEEENSB_INSC_IfEEEEiNS9_4plusIvEENS9_8equal_toIvEEiEE10hipError_tPvRmT2_T3_T4_T5_mT6_T7_P12ihipStream_tbENKUlT_T0_E_clISt17integral_constantIbLb0EES13_EEDaSY_SZ_EUlSY_E_NS1_11comp_targetILNS1_3genE3ELNS1_11target_archE908ELNS1_3gpuE7ELNS1_3repE0EEENS1_30default_config_static_selectorELNS0_4arch9wavefront6targetE0EEEvT1_,@function
_ZN7rocprim17ROCPRIM_400000_NS6detail17trampoline_kernelINS0_14default_configENS1_27scan_by_key_config_selectorIiiEEZZNS1_16scan_by_key_implILNS1_25lookback_scan_determinismE0ELb1ES3_N6thrust23THRUST_200600_302600_NS6detail15normal_iteratorINS9_10device_ptrIiEEEENSB_INSC_IjEEEENSB_INSC_IfEEEEiNS9_4plusIvEENS9_8equal_toIvEEiEE10hipError_tPvRmT2_T3_T4_T5_mT6_T7_P12ihipStream_tbENKUlT_T0_E_clISt17integral_constantIbLb0EES13_EEDaSY_SZ_EUlSY_E_NS1_11comp_targetILNS1_3genE3ELNS1_11target_archE908ELNS1_3gpuE7ELNS1_3repE0EEENS1_30default_config_static_selectorELNS0_4arch9wavefront6targetE0EEEvT1_: ; @_ZN7rocprim17ROCPRIM_400000_NS6detail17trampoline_kernelINS0_14default_configENS1_27scan_by_key_config_selectorIiiEEZZNS1_16scan_by_key_implILNS1_25lookback_scan_determinismE0ELb1ES3_N6thrust23THRUST_200600_302600_NS6detail15normal_iteratorINS9_10device_ptrIiEEEENSB_INSC_IjEEEENSB_INSC_IfEEEEiNS9_4plusIvEENS9_8equal_toIvEEiEE10hipError_tPvRmT2_T3_T4_T5_mT6_T7_P12ihipStream_tbENKUlT_T0_E_clISt17integral_constantIbLb0EES13_EEDaSY_SZ_EUlSY_E_NS1_11comp_targetILNS1_3genE3ELNS1_11target_archE908ELNS1_3gpuE7ELNS1_3repE0EEENS1_30default_config_static_selectorELNS0_4arch9wavefront6targetE0EEEvT1_
; %bb.0:
	.section	.rodata,"a",@progbits
	.p2align	6, 0x0
	.amdhsa_kernel _ZN7rocprim17ROCPRIM_400000_NS6detail17trampoline_kernelINS0_14default_configENS1_27scan_by_key_config_selectorIiiEEZZNS1_16scan_by_key_implILNS1_25lookback_scan_determinismE0ELb1ES3_N6thrust23THRUST_200600_302600_NS6detail15normal_iteratorINS9_10device_ptrIiEEEENSB_INSC_IjEEEENSB_INSC_IfEEEEiNS9_4plusIvEENS9_8equal_toIvEEiEE10hipError_tPvRmT2_T3_T4_T5_mT6_T7_P12ihipStream_tbENKUlT_T0_E_clISt17integral_constantIbLb0EES13_EEDaSY_SZ_EUlSY_E_NS1_11comp_targetILNS1_3genE3ELNS1_11target_archE908ELNS1_3gpuE7ELNS1_3repE0EEENS1_30default_config_static_selectorELNS0_4arch9wavefront6targetE0EEEvT1_
		.amdhsa_group_segment_fixed_size 0
		.amdhsa_private_segment_fixed_size 0
		.amdhsa_kernarg_size 112
		.amdhsa_user_sgpr_count 6
		.amdhsa_user_sgpr_private_segment_buffer 1
		.amdhsa_user_sgpr_dispatch_ptr 0
		.amdhsa_user_sgpr_queue_ptr 0
		.amdhsa_user_sgpr_kernarg_segment_ptr 1
		.amdhsa_user_sgpr_dispatch_id 0
		.amdhsa_user_sgpr_flat_scratch_init 0
		.amdhsa_user_sgpr_private_segment_size 0
		.amdhsa_wavefront_size32 1
		.amdhsa_uses_dynamic_stack 0
		.amdhsa_system_sgpr_private_segment_wavefront_offset 0
		.amdhsa_system_sgpr_workgroup_id_x 1
		.amdhsa_system_sgpr_workgroup_id_y 0
		.amdhsa_system_sgpr_workgroup_id_z 0
		.amdhsa_system_sgpr_workgroup_info 0
		.amdhsa_system_vgpr_workitem_id 0
		.amdhsa_next_free_vgpr 1
		.amdhsa_next_free_sgpr 1
		.amdhsa_reserve_vcc 0
		.amdhsa_reserve_flat_scratch 0
		.amdhsa_float_round_mode_32 0
		.amdhsa_float_round_mode_16_64 0
		.amdhsa_float_denorm_mode_32 3
		.amdhsa_float_denorm_mode_16_64 3
		.amdhsa_dx10_clamp 1
		.amdhsa_ieee_mode 1
		.amdhsa_fp16_overflow 0
		.amdhsa_workgroup_processor_mode 1
		.amdhsa_memory_ordered 1
		.amdhsa_forward_progress 1
		.amdhsa_shared_vgpr_count 0
		.amdhsa_exception_fp_ieee_invalid_op 0
		.amdhsa_exception_fp_denorm_src 0
		.amdhsa_exception_fp_ieee_div_zero 0
		.amdhsa_exception_fp_ieee_overflow 0
		.amdhsa_exception_fp_ieee_underflow 0
		.amdhsa_exception_fp_ieee_inexact 0
		.amdhsa_exception_int_div_zero 0
	.end_amdhsa_kernel
	.section	.text._ZN7rocprim17ROCPRIM_400000_NS6detail17trampoline_kernelINS0_14default_configENS1_27scan_by_key_config_selectorIiiEEZZNS1_16scan_by_key_implILNS1_25lookback_scan_determinismE0ELb1ES3_N6thrust23THRUST_200600_302600_NS6detail15normal_iteratorINS9_10device_ptrIiEEEENSB_INSC_IjEEEENSB_INSC_IfEEEEiNS9_4plusIvEENS9_8equal_toIvEEiEE10hipError_tPvRmT2_T3_T4_T5_mT6_T7_P12ihipStream_tbENKUlT_T0_E_clISt17integral_constantIbLb0EES13_EEDaSY_SZ_EUlSY_E_NS1_11comp_targetILNS1_3genE3ELNS1_11target_archE908ELNS1_3gpuE7ELNS1_3repE0EEENS1_30default_config_static_selectorELNS0_4arch9wavefront6targetE0EEEvT1_,"axG",@progbits,_ZN7rocprim17ROCPRIM_400000_NS6detail17trampoline_kernelINS0_14default_configENS1_27scan_by_key_config_selectorIiiEEZZNS1_16scan_by_key_implILNS1_25lookback_scan_determinismE0ELb1ES3_N6thrust23THRUST_200600_302600_NS6detail15normal_iteratorINS9_10device_ptrIiEEEENSB_INSC_IjEEEENSB_INSC_IfEEEEiNS9_4plusIvEENS9_8equal_toIvEEiEE10hipError_tPvRmT2_T3_T4_T5_mT6_T7_P12ihipStream_tbENKUlT_T0_E_clISt17integral_constantIbLb0EES13_EEDaSY_SZ_EUlSY_E_NS1_11comp_targetILNS1_3genE3ELNS1_11target_archE908ELNS1_3gpuE7ELNS1_3repE0EEENS1_30default_config_static_selectorELNS0_4arch9wavefront6targetE0EEEvT1_,comdat
.Lfunc_end1720:
	.size	_ZN7rocprim17ROCPRIM_400000_NS6detail17trampoline_kernelINS0_14default_configENS1_27scan_by_key_config_selectorIiiEEZZNS1_16scan_by_key_implILNS1_25lookback_scan_determinismE0ELb1ES3_N6thrust23THRUST_200600_302600_NS6detail15normal_iteratorINS9_10device_ptrIiEEEENSB_INSC_IjEEEENSB_INSC_IfEEEEiNS9_4plusIvEENS9_8equal_toIvEEiEE10hipError_tPvRmT2_T3_T4_T5_mT6_T7_P12ihipStream_tbENKUlT_T0_E_clISt17integral_constantIbLb0EES13_EEDaSY_SZ_EUlSY_E_NS1_11comp_targetILNS1_3genE3ELNS1_11target_archE908ELNS1_3gpuE7ELNS1_3repE0EEENS1_30default_config_static_selectorELNS0_4arch9wavefront6targetE0EEEvT1_, .Lfunc_end1720-_ZN7rocprim17ROCPRIM_400000_NS6detail17trampoline_kernelINS0_14default_configENS1_27scan_by_key_config_selectorIiiEEZZNS1_16scan_by_key_implILNS1_25lookback_scan_determinismE0ELb1ES3_N6thrust23THRUST_200600_302600_NS6detail15normal_iteratorINS9_10device_ptrIiEEEENSB_INSC_IjEEEENSB_INSC_IfEEEEiNS9_4plusIvEENS9_8equal_toIvEEiEE10hipError_tPvRmT2_T3_T4_T5_mT6_T7_P12ihipStream_tbENKUlT_T0_E_clISt17integral_constantIbLb0EES13_EEDaSY_SZ_EUlSY_E_NS1_11comp_targetILNS1_3genE3ELNS1_11target_archE908ELNS1_3gpuE7ELNS1_3repE0EEENS1_30default_config_static_selectorELNS0_4arch9wavefront6targetE0EEEvT1_
                                        ; -- End function
	.set _ZN7rocprim17ROCPRIM_400000_NS6detail17trampoline_kernelINS0_14default_configENS1_27scan_by_key_config_selectorIiiEEZZNS1_16scan_by_key_implILNS1_25lookback_scan_determinismE0ELb1ES3_N6thrust23THRUST_200600_302600_NS6detail15normal_iteratorINS9_10device_ptrIiEEEENSB_INSC_IjEEEENSB_INSC_IfEEEEiNS9_4plusIvEENS9_8equal_toIvEEiEE10hipError_tPvRmT2_T3_T4_T5_mT6_T7_P12ihipStream_tbENKUlT_T0_E_clISt17integral_constantIbLb0EES13_EEDaSY_SZ_EUlSY_E_NS1_11comp_targetILNS1_3genE3ELNS1_11target_archE908ELNS1_3gpuE7ELNS1_3repE0EEENS1_30default_config_static_selectorELNS0_4arch9wavefront6targetE0EEEvT1_.num_vgpr, 0
	.set _ZN7rocprim17ROCPRIM_400000_NS6detail17trampoline_kernelINS0_14default_configENS1_27scan_by_key_config_selectorIiiEEZZNS1_16scan_by_key_implILNS1_25lookback_scan_determinismE0ELb1ES3_N6thrust23THRUST_200600_302600_NS6detail15normal_iteratorINS9_10device_ptrIiEEEENSB_INSC_IjEEEENSB_INSC_IfEEEEiNS9_4plusIvEENS9_8equal_toIvEEiEE10hipError_tPvRmT2_T3_T4_T5_mT6_T7_P12ihipStream_tbENKUlT_T0_E_clISt17integral_constantIbLb0EES13_EEDaSY_SZ_EUlSY_E_NS1_11comp_targetILNS1_3genE3ELNS1_11target_archE908ELNS1_3gpuE7ELNS1_3repE0EEENS1_30default_config_static_selectorELNS0_4arch9wavefront6targetE0EEEvT1_.num_agpr, 0
	.set _ZN7rocprim17ROCPRIM_400000_NS6detail17trampoline_kernelINS0_14default_configENS1_27scan_by_key_config_selectorIiiEEZZNS1_16scan_by_key_implILNS1_25lookback_scan_determinismE0ELb1ES3_N6thrust23THRUST_200600_302600_NS6detail15normal_iteratorINS9_10device_ptrIiEEEENSB_INSC_IjEEEENSB_INSC_IfEEEEiNS9_4plusIvEENS9_8equal_toIvEEiEE10hipError_tPvRmT2_T3_T4_T5_mT6_T7_P12ihipStream_tbENKUlT_T0_E_clISt17integral_constantIbLb0EES13_EEDaSY_SZ_EUlSY_E_NS1_11comp_targetILNS1_3genE3ELNS1_11target_archE908ELNS1_3gpuE7ELNS1_3repE0EEENS1_30default_config_static_selectorELNS0_4arch9wavefront6targetE0EEEvT1_.numbered_sgpr, 0
	.set _ZN7rocprim17ROCPRIM_400000_NS6detail17trampoline_kernelINS0_14default_configENS1_27scan_by_key_config_selectorIiiEEZZNS1_16scan_by_key_implILNS1_25lookback_scan_determinismE0ELb1ES3_N6thrust23THRUST_200600_302600_NS6detail15normal_iteratorINS9_10device_ptrIiEEEENSB_INSC_IjEEEENSB_INSC_IfEEEEiNS9_4plusIvEENS9_8equal_toIvEEiEE10hipError_tPvRmT2_T3_T4_T5_mT6_T7_P12ihipStream_tbENKUlT_T0_E_clISt17integral_constantIbLb0EES13_EEDaSY_SZ_EUlSY_E_NS1_11comp_targetILNS1_3genE3ELNS1_11target_archE908ELNS1_3gpuE7ELNS1_3repE0EEENS1_30default_config_static_selectorELNS0_4arch9wavefront6targetE0EEEvT1_.num_named_barrier, 0
	.set _ZN7rocprim17ROCPRIM_400000_NS6detail17trampoline_kernelINS0_14default_configENS1_27scan_by_key_config_selectorIiiEEZZNS1_16scan_by_key_implILNS1_25lookback_scan_determinismE0ELb1ES3_N6thrust23THRUST_200600_302600_NS6detail15normal_iteratorINS9_10device_ptrIiEEEENSB_INSC_IjEEEENSB_INSC_IfEEEEiNS9_4plusIvEENS9_8equal_toIvEEiEE10hipError_tPvRmT2_T3_T4_T5_mT6_T7_P12ihipStream_tbENKUlT_T0_E_clISt17integral_constantIbLb0EES13_EEDaSY_SZ_EUlSY_E_NS1_11comp_targetILNS1_3genE3ELNS1_11target_archE908ELNS1_3gpuE7ELNS1_3repE0EEENS1_30default_config_static_selectorELNS0_4arch9wavefront6targetE0EEEvT1_.private_seg_size, 0
	.set _ZN7rocprim17ROCPRIM_400000_NS6detail17trampoline_kernelINS0_14default_configENS1_27scan_by_key_config_selectorIiiEEZZNS1_16scan_by_key_implILNS1_25lookback_scan_determinismE0ELb1ES3_N6thrust23THRUST_200600_302600_NS6detail15normal_iteratorINS9_10device_ptrIiEEEENSB_INSC_IjEEEENSB_INSC_IfEEEEiNS9_4plusIvEENS9_8equal_toIvEEiEE10hipError_tPvRmT2_T3_T4_T5_mT6_T7_P12ihipStream_tbENKUlT_T0_E_clISt17integral_constantIbLb0EES13_EEDaSY_SZ_EUlSY_E_NS1_11comp_targetILNS1_3genE3ELNS1_11target_archE908ELNS1_3gpuE7ELNS1_3repE0EEENS1_30default_config_static_selectorELNS0_4arch9wavefront6targetE0EEEvT1_.uses_vcc, 0
	.set _ZN7rocprim17ROCPRIM_400000_NS6detail17trampoline_kernelINS0_14default_configENS1_27scan_by_key_config_selectorIiiEEZZNS1_16scan_by_key_implILNS1_25lookback_scan_determinismE0ELb1ES3_N6thrust23THRUST_200600_302600_NS6detail15normal_iteratorINS9_10device_ptrIiEEEENSB_INSC_IjEEEENSB_INSC_IfEEEEiNS9_4plusIvEENS9_8equal_toIvEEiEE10hipError_tPvRmT2_T3_T4_T5_mT6_T7_P12ihipStream_tbENKUlT_T0_E_clISt17integral_constantIbLb0EES13_EEDaSY_SZ_EUlSY_E_NS1_11comp_targetILNS1_3genE3ELNS1_11target_archE908ELNS1_3gpuE7ELNS1_3repE0EEENS1_30default_config_static_selectorELNS0_4arch9wavefront6targetE0EEEvT1_.uses_flat_scratch, 0
	.set _ZN7rocprim17ROCPRIM_400000_NS6detail17trampoline_kernelINS0_14default_configENS1_27scan_by_key_config_selectorIiiEEZZNS1_16scan_by_key_implILNS1_25lookback_scan_determinismE0ELb1ES3_N6thrust23THRUST_200600_302600_NS6detail15normal_iteratorINS9_10device_ptrIiEEEENSB_INSC_IjEEEENSB_INSC_IfEEEEiNS9_4plusIvEENS9_8equal_toIvEEiEE10hipError_tPvRmT2_T3_T4_T5_mT6_T7_P12ihipStream_tbENKUlT_T0_E_clISt17integral_constantIbLb0EES13_EEDaSY_SZ_EUlSY_E_NS1_11comp_targetILNS1_3genE3ELNS1_11target_archE908ELNS1_3gpuE7ELNS1_3repE0EEENS1_30default_config_static_selectorELNS0_4arch9wavefront6targetE0EEEvT1_.has_dyn_sized_stack, 0
	.set _ZN7rocprim17ROCPRIM_400000_NS6detail17trampoline_kernelINS0_14default_configENS1_27scan_by_key_config_selectorIiiEEZZNS1_16scan_by_key_implILNS1_25lookback_scan_determinismE0ELb1ES3_N6thrust23THRUST_200600_302600_NS6detail15normal_iteratorINS9_10device_ptrIiEEEENSB_INSC_IjEEEENSB_INSC_IfEEEEiNS9_4plusIvEENS9_8equal_toIvEEiEE10hipError_tPvRmT2_T3_T4_T5_mT6_T7_P12ihipStream_tbENKUlT_T0_E_clISt17integral_constantIbLb0EES13_EEDaSY_SZ_EUlSY_E_NS1_11comp_targetILNS1_3genE3ELNS1_11target_archE908ELNS1_3gpuE7ELNS1_3repE0EEENS1_30default_config_static_selectorELNS0_4arch9wavefront6targetE0EEEvT1_.has_recursion, 0
	.set _ZN7rocprim17ROCPRIM_400000_NS6detail17trampoline_kernelINS0_14default_configENS1_27scan_by_key_config_selectorIiiEEZZNS1_16scan_by_key_implILNS1_25lookback_scan_determinismE0ELb1ES3_N6thrust23THRUST_200600_302600_NS6detail15normal_iteratorINS9_10device_ptrIiEEEENSB_INSC_IjEEEENSB_INSC_IfEEEEiNS9_4plusIvEENS9_8equal_toIvEEiEE10hipError_tPvRmT2_T3_T4_T5_mT6_T7_P12ihipStream_tbENKUlT_T0_E_clISt17integral_constantIbLb0EES13_EEDaSY_SZ_EUlSY_E_NS1_11comp_targetILNS1_3genE3ELNS1_11target_archE908ELNS1_3gpuE7ELNS1_3repE0EEENS1_30default_config_static_selectorELNS0_4arch9wavefront6targetE0EEEvT1_.has_indirect_call, 0
	.section	.AMDGPU.csdata,"",@progbits
; Kernel info:
; codeLenInByte = 0
; TotalNumSgprs: 0
; NumVgprs: 0
; ScratchSize: 0
; MemoryBound: 0
; FloatMode: 240
; IeeeMode: 1
; LDSByteSize: 0 bytes/workgroup (compile time only)
; SGPRBlocks: 0
; VGPRBlocks: 0
; NumSGPRsForWavesPerEU: 1
; NumVGPRsForWavesPerEU: 1
; Occupancy: 16
; WaveLimiterHint : 0
; COMPUTE_PGM_RSRC2:SCRATCH_EN: 0
; COMPUTE_PGM_RSRC2:USER_SGPR: 6
; COMPUTE_PGM_RSRC2:TRAP_HANDLER: 0
; COMPUTE_PGM_RSRC2:TGID_X_EN: 1
; COMPUTE_PGM_RSRC2:TGID_Y_EN: 0
; COMPUTE_PGM_RSRC2:TGID_Z_EN: 0
; COMPUTE_PGM_RSRC2:TIDIG_COMP_CNT: 0
	.section	.text._ZN7rocprim17ROCPRIM_400000_NS6detail17trampoline_kernelINS0_14default_configENS1_27scan_by_key_config_selectorIiiEEZZNS1_16scan_by_key_implILNS1_25lookback_scan_determinismE0ELb1ES3_N6thrust23THRUST_200600_302600_NS6detail15normal_iteratorINS9_10device_ptrIiEEEENSB_INSC_IjEEEENSB_INSC_IfEEEEiNS9_4plusIvEENS9_8equal_toIvEEiEE10hipError_tPvRmT2_T3_T4_T5_mT6_T7_P12ihipStream_tbENKUlT_T0_E_clISt17integral_constantIbLb0EES13_EEDaSY_SZ_EUlSY_E_NS1_11comp_targetILNS1_3genE2ELNS1_11target_archE906ELNS1_3gpuE6ELNS1_3repE0EEENS1_30default_config_static_selectorELNS0_4arch9wavefront6targetE0EEEvT1_,"axG",@progbits,_ZN7rocprim17ROCPRIM_400000_NS6detail17trampoline_kernelINS0_14default_configENS1_27scan_by_key_config_selectorIiiEEZZNS1_16scan_by_key_implILNS1_25lookback_scan_determinismE0ELb1ES3_N6thrust23THRUST_200600_302600_NS6detail15normal_iteratorINS9_10device_ptrIiEEEENSB_INSC_IjEEEENSB_INSC_IfEEEEiNS9_4plusIvEENS9_8equal_toIvEEiEE10hipError_tPvRmT2_T3_T4_T5_mT6_T7_P12ihipStream_tbENKUlT_T0_E_clISt17integral_constantIbLb0EES13_EEDaSY_SZ_EUlSY_E_NS1_11comp_targetILNS1_3genE2ELNS1_11target_archE906ELNS1_3gpuE6ELNS1_3repE0EEENS1_30default_config_static_selectorELNS0_4arch9wavefront6targetE0EEEvT1_,comdat
	.protected	_ZN7rocprim17ROCPRIM_400000_NS6detail17trampoline_kernelINS0_14default_configENS1_27scan_by_key_config_selectorIiiEEZZNS1_16scan_by_key_implILNS1_25lookback_scan_determinismE0ELb1ES3_N6thrust23THRUST_200600_302600_NS6detail15normal_iteratorINS9_10device_ptrIiEEEENSB_INSC_IjEEEENSB_INSC_IfEEEEiNS9_4plusIvEENS9_8equal_toIvEEiEE10hipError_tPvRmT2_T3_T4_T5_mT6_T7_P12ihipStream_tbENKUlT_T0_E_clISt17integral_constantIbLb0EES13_EEDaSY_SZ_EUlSY_E_NS1_11comp_targetILNS1_3genE2ELNS1_11target_archE906ELNS1_3gpuE6ELNS1_3repE0EEENS1_30default_config_static_selectorELNS0_4arch9wavefront6targetE0EEEvT1_ ; -- Begin function _ZN7rocprim17ROCPRIM_400000_NS6detail17trampoline_kernelINS0_14default_configENS1_27scan_by_key_config_selectorIiiEEZZNS1_16scan_by_key_implILNS1_25lookback_scan_determinismE0ELb1ES3_N6thrust23THRUST_200600_302600_NS6detail15normal_iteratorINS9_10device_ptrIiEEEENSB_INSC_IjEEEENSB_INSC_IfEEEEiNS9_4plusIvEENS9_8equal_toIvEEiEE10hipError_tPvRmT2_T3_T4_T5_mT6_T7_P12ihipStream_tbENKUlT_T0_E_clISt17integral_constantIbLb0EES13_EEDaSY_SZ_EUlSY_E_NS1_11comp_targetILNS1_3genE2ELNS1_11target_archE906ELNS1_3gpuE6ELNS1_3repE0EEENS1_30default_config_static_selectorELNS0_4arch9wavefront6targetE0EEEvT1_
	.globl	_ZN7rocprim17ROCPRIM_400000_NS6detail17trampoline_kernelINS0_14default_configENS1_27scan_by_key_config_selectorIiiEEZZNS1_16scan_by_key_implILNS1_25lookback_scan_determinismE0ELb1ES3_N6thrust23THRUST_200600_302600_NS6detail15normal_iteratorINS9_10device_ptrIiEEEENSB_INSC_IjEEEENSB_INSC_IfEEEEiNS9_4plusIvEENS9_8equal_toIvEEiEE10hipError_tPvRmT2_T3_T4_T5_mT6_T7_P12ihipStream_tbENKUlT_T0_E_clISt17integral_constantIbLb0EES13_EEDaSY_SZ_EUlSY_E_NS1_11comp_targetILNS1_3genE2ELNS1_11target_archE906ELNS1_3gpuE6ELNS1_3repE0EEENS1_30default_config_static_selectorELNS0_4arch9wavefront6targetE0EEEvT1_
	.p2align	8
	.type	_ZN7rocprim17ROCPRIM_400000_NS6detail17trampoline_kernelINS0_14default_configENS1_27scan_by_key_config_selectorIiiEEZZNS1_16scan_by_key_implILNS1_25lookback_scan_determinismE0ELb1ES3_N6thrust23THRUST_200600_302600_NS6detail15normal_iteratorINS9_10device_ptrIiEEEENSB_INSC_IjEEEENSB_INSC_IfEEEEiNS9_4plusIvEENS9_8equal_toIvEEiEE10hipError_tPvRmT2_T3_T4_T5_mT6_T7_P12ihipStream_tbENKUlT_T0_E_clISt17integral_constantIbLb0EES13_EEDaSY_SZ_EUlSY_E_NS1_11comp_targetILNS1_3genE2ELNS1_11target_archE906ELNS1_3gpuE6ELNS1_3repE0EEENS1_30default_config_static_selectorELNS0_4arch9wavefront6targetE0EEEvT1_,@function
_ZN7rocprim17ROCPRIM_400000_NS6detail17trampoline_kernelINS0_14default_configENS1_27scan_by_key_config_selectorIiiEEZZNS1_16scan_by_key_implILNS1_25lookback_scan_determinismE0ELb1ES3_N6thrust23THRUST_200600_302600_NS6detail15normal_iteratorINS9_10device_ptrIiEEEENSB_INSC_IjEEEENSB_INSC_IfEEEEiNS9_4plusIvEENS9_8equal_toIvEEiEE10hipError_tPvRmT2_T3_T4_T5_mT6_T7_P12ihipStream_tbENKUlT_T0_E_clISt17integral_constantIbLb0EES13_EEDaSY_SZ_EUlSY_E_NS1_11comp_targetILNS1_3genE2ELNS1_11target_archE906ELNS1_3gpuE6ELNS1_3repE0EEENS1_30default_config_static_selectorELNS0_4arch9wavefront6targetE0EEEvT1_: ; @_ZN7rocprim17ROCPRIM_400000_NS6detail17trampoline_kernelINS0_14default_configENS1_27scan_by_key_config_selectorIiiEEZZNS1_16scan_by_key_implILNS1_25lookback_scan_determinismE0ELb1ES3_N6thrust23THRUST_200600_302600_NS6detail15normal_iteratorINS9_10device_ptrIiEEEENSB_INSC_IjEEEENSB_INSC_IfEEEEiNS9_4plusIvEENS9_8equal_toIvEEiEE10hipError_tPvRmT2_T3_T4_T5_mT6_T7_P12ihipStream_tbENKUlT_T0_E_clISt17integral_constantIbLb0EES13_EEDaSY_SZ_EUlSY_E_NS1_11comp_targetILNS1_3genE2ELNS1_11target_archE906ELNS1_3gpuE6ELNS1_3repE0EEENS1_30default_config_static_selectorELNS0_4arch9wavefront6targetE0EEEvT1_
; %bb.0:
	.section	.rodata,"a",@progbits
	.p2align	6, 0x0
	.amdhsa_kernel _ZN7rocprim17ROCPRIM_400000_NS6detail17trampoline_kernelINS0_14default_configENS1_27scan_by_key_config_selectorIiiEEZZNS1_16scan_by_key_implILNS1_25lookback_scan_determinismE0ELb1ES3_N6thrust23THRUST_200600_302600_NS6detail15normal_iteratorINS9_10device_ptrIiEEEENSB_INSC_IjEEEENSB_INSC_IfEEEEiNS9_4plusIvEENS9_8equal_toIvEEiEE10hipError_tPvRmT2_T3_T4_T5_mT6_T7_P12ihipStream_tbENKUlT_T0_E_clISt17integral_constantIbLb0EES13_EEDaSY_SZ_EUlSY_E_NS1_11comp_targetILNS1_3genE2ELNS1_11target_archE906ELNS1_3gpuE6ELNS1_3repE0EEENS1_30default_config_static_selectorELNS0_4arch9wavefront6targetE0EEEvT1_
		.amdhsa_group_segment_fixed_size 0
		.amdhsa_private_segment_fixed_size 0
		.amdhsa_kernarg_size 112
		.amdhsa_user_sgpr_count 6
		.amdhsa_user_sgpr_private_segment_buffer 1
		.amdhsa_user_sgpr_dispatch_ptr 0
		.amdhsa_user_sgpr_queue_ptr 0
		.amdhsa_user_sgpr_kernarg_segment_ptr 1
		.amdhsa_user_sgpr_dispatch_id 0
		.amdhsa_user_sgpr_flat_scratch_init 0
		.amdhsa_user_sgpr_private_segment_size 0
		.amdhsa_wavefront_size32 1
		.amdhsa_uses_dynamic_stack 0
		.amdhsa_system_sgpr_private_segment_wavefront_offset 0
		.amdhsa_system_sgpr_workgroup_id_x 1
		.amdhsa_system_sgpr_workgroup_id_y 0
		.amdhsa_system_sgpr_workgroup_id_z 0
		.amdhsa_system_sgpr_workgroup_info 0
		.amdhsa_system_vgpr_workitem_id 0
		.amdhsa_next_free_vgpr 1
		.amdhsa_next_free_sgpr 1
		.amdhsa_reserve_vcc 0
		.amdhsa_reserve_flat_scratch 0
		.amdhsa_float_round_mode_32 0
		.amdhsa_float_round_mode_16_64 0
		.amdhsa_float_denorm_mode_32 3
		.amdhsa_float_denorm_mode_16_64 3
		.amdhsa_dx10_clamp 1
		.amdhsa_ieee_mode 1
		.amdhsa_fp16_overflow 0
		.amdhsa_workgroup_processor_mode 1
		.amdhsa_memory_ordered 1
		.amdhsa_forward_progress 1
		.amdhsa_shared_vgpr_count 0
		.amdhsa_exception_fp_ieee_invalid_op 0
		.amdhsa_exception_fp_denorm_src 0
		.amdhsa_exception_fp_ieee_div_zero 0
		.amdhsa_exception_fp_ieee_overflow 0
		.amdhsa_exception_fp_ieee_underflow 0
		.amdhsa_exception_fp_ieee_inexact 0
		.amdhsa_exception_int_div_zero 0
	.end_amdhsa_kernel
	.section	.text._ZN7rocprim17ROCPRIM_400000_NS6detail17trampoline_kernelINS0_14default_configENS1_27scan_by_key_config_selectorIiiEEZZNS1_16scan_by_key_implILNS1_25lookback_scan_determinismE0ELb1ES3_N6thrust23THRUST_200600_302600_NS6detail15normal_iteratorINS9_10device_ptrIiEEEENSB_INSC_IjEEEENSB_INSC_IfEEEEiNS9_4plusIvEENS9_8equal_toIvEEiEE10hipError_tPvRmT2_T3_T4_T5_mT6_T7_P12ihipStream_tbENKUlT_T0_E_clISt17integral_constantIbLb0EES13_EEDaSY_SZ_EUlSY_E_NS1_11comp_targetILNS1_3genE2ELNS1_11target_archE906ELNS1_3gpuE6ELNS1_3repE0EEENS1_30default_config_static_selectorELNS0_4arch9wavefront6targetE0EEEvT1_,"axG",@progbits,_ZN7rocprim17ROCPRIM_400000_NS6detail17trampoline_kernelINS0_14default_configENS1_27scan_by_key_config_selectorIiiEEZZNS1_16scan_by_key_implILNS1_25lookback_scan_determinismE0ELb1ES3_N6thrust23THRUST_200600_302600_NS6detail15normal_iteratorINS9_10device_ptrIiEEEENSB_INSC_IjEEEENSB_INSC_IfEEEEiNS9_4plusIvEENS9_8equal_toIvEEiEE10hipError_tPvRmT2_T3_T4_T5_mT6_T7_P12ihipStream_tbENKUlT_T0_E_clISt17integral_constantIbLb0EES13_EEDaSY_SZ_EUlSY_E_NS1_11comp_targetILNS1_3genE2ELNS1_11target_archE906ELNS1_3gpuE6ELNS1_3repE0EEENS1_30default_config_static_selectorELNS0_4arch9wavefront6targetE0EEEvT1_,comdat
.Lfunc_end1721:
	.size	_ZN7rocprim17ROCPRIM_400000_NS6detail17trampoline_kernelINS0_14default_configENS1_27scan_by_key_config_selectorIiiEEZZNS1_16scan_by_key_implILNS1_25lookback_scan_determinismE0ELb1ES3_N6thrust23THRUST_200600_302600_NS6detail15normal_iteratorINS9_10device_ptrIiEEEENSB_INSC_IjEEEENSB_INSC_IfEEEEiNS9_4plusIvEENS9_8equal_toIvEEiEE10hipError_tPvRmT2_T3_T4_T5_mT6_T7_P12ihipStream_tbENKUlT_T0_E_clISt17integral_constantIbLb0EES13_EEDaSY_SZ_EUlSY_E_NS1_11comp_targetILNS1_3genE2ELNS1_11target_archE906ELNS1_3gpuE6ELNS1_3repE0EEENS1_30default_config_static_selectorELNS0_4arch9wavefront6targetE0EEEvT1_, .Lfunc_end1721-_ZN7rocprim17ROCPRIM_400000_NS6detail17trampoline_kernelINS0_14default_configENS1_27scan_by_key_config_selectorIiiEEZZNS1_16scan_by_key_implILNS1_25lookback_scan_determinismE0ELb1ES3_N6thrust23THRUST_200600_302600_NS6detail15normal_iteratorINS9_10device_ptrIiEEEENSB_INSC_IjEEEENSB_INSC_IfEEEEiNS9_4plusIvEENS9_8equal_toIvEEiEE10hipError_tPvRmT2_T3_T4_T5_mT6_T7_P12ihipStream_tbENKUlT_T0_E_clISt17integral_constantIbLb0EES13_EEDaSY_SZ_EUlSY_E_NS1_11comp_targetILNS1_3genE2ELNS1_11target_archE906ELNS1_3gpuE6ELNS1_3repE0EEENS1_30default_config_static_selectorELNS0_4arch9wavefront6targetE0EEEvT1_
                                        ; -- End function
	.set _ZN7rocprim17ROCPRIM_400000_NS6detail17trampoline_kernelINS0_14default_configENS1_27scan_by_key_config_selectorIiiEEZZNS1_16scan_by_key_implILNS1_25lookback_scan_determinismE0ELb1ES3_N6thrust23THRUST_200600_302600_NS6detail15normal_iteratorINS9_10device_ptrIiEEEENSB_INSC_IjEEEENSB_INSC_IfEEEEiNS9_4plusIvEENS9_8equal_toIvEEiEE10hipError_tPvRmT2_T3_T4_T5_mT6_T7_P12ihipStream_tbENKUlT_T0_E_clISt17integral_constantIbLb0EES13_EEDaSY_SZ_EUlSY_E_NS1_11comp_targetILNS1_3genE2ELNS1_11target_archE906ELNS1_3gpuE6ELNS1_3repE0EEENS1_30default_config_static_selectorELNS0_4arch9wavefront6targetE0EEEvT1_.num_vgpr, 0
	.set _ZN7rocprim17ROCPRIM_400000_NS6detail17trampoline_kernelINS0_14default_configENS1_27scan_by_key_config_selectorIiiEEZZNS1_16scan_by_key_implILNS1_25lookback_scan_determinismE0ELb1ES3_N6thrust23THRUST_200600_302600_NS6detail15normal_iteratorINS9_10device_ptrIiEEEENSB_INSC_IjEEEENSB_INSC_IfEEEEiNS9_4plusIvEENS9_8equal_toIvEEiEE10hipError_tPvRmT2_T3_T4_T5_mT6_T7_P12ihipStream_tbENKUlT_T0_E_clISt17integral_constantIbLb0EES13_EEDaSY_SZ_EUlSY_E_NS1_11comp_targetILNS1_3genE2ELNS1_11target_archE906ELNS1_3gpuE6ELNS1_3repE0EEENS1_30default_config_static_selectorELNS0_4arch9wavefront6targetE0EEEvT1_.num_agpr, 0
	.set _ZN7rocprim17ROCPRIM_400000_NS6detail17trampoline_kernelINS0_14default_configENS1_27scan_by_key_config_selectorIiiEEZZNS1_16scan_by_key_implILNS1_25lookback_scan_determinismE0ELb1ES3_N6thrust23THRUST_200600_302600_NS6detail15normal_iteratorINS9_10device_ptrIiEEEENSB_INSC_IjEEEENSB_INSC_IfEEEEiNS9_4plusIvEENS9_8equal_toIvEEiEE10hipError_tPvRmT2_T3_T4_T5_mT6_T7_P12ihipStream_tbENKUlT_T0_E_clISt17integral_constantIbLb0EES13_EEDaSY_SZ_EUlSY_E_NS1_11comp_targetILNS1_3genE2ELNS1_11target_archE906ELNS1_3gpuE6ELNS1_3repE0EEENS1_30default_config_static_selectorELNS0_4arch9wavefront6targetE0EEEvT1_.numbered_sgpr, 0
	.set _ZN7rocprim17ROCPRIM_400000_NS6detail17trampoline_kernelINS0_14default_configENS1_27scan_by_key_config_selectorIiiEEZZNS1_16scan_by_key_implILNS1_25lookback_scan_determinismE0ELb1ES3_N6thrust23THRUST_200600_302600_NS6detail15normal_iteratorINS9_10device_ptrIiEEEENSB_INSC_IjEEEENSB_INSC_IfEEEEiNS9_4plusIvEENS9_8equal_toIvEEiEE10hipError_tPvRmT2_T3_T4_T5_mT6_T7_P12ihipStream_tbENKUlT_T0_E_clISt17integral_constantIbLb0EES13_EEDaSY_SZ_EUlSY_E_NS1_11comp_targetILNS1_3genE2ELNS1_11target_archE906ELNS1_3gpuE6ELNS1_3repE0EEENS1_30default_config_static_selectorELNS0_4arch9wavefront6targetE0EEEvT1_.num_named_barrier, 0
	.set _ZN7rocprim17ROCPRIM_400000_NS6detail17trampoline_kernelINS0_14default_configENS1_27scan_by_key_config_selectorIiiEEZZNS1_16scan_by_key_implILNS1_25lookback_scan_determinismE0ELb1ES3_N6thrust23THRUST_200600_302600_NS6detail15normal_iteratorINS9_10device_ptrIiEEEENSB_INSC_IjEEEENSB_INSC_IfEEEEiNS9_4plusIvEENS9_8equal_toIvEEiEE10hipError_tPvRmT2_T3_T4_T5_mT6_T7_P12ihipStream_tbENKUlT_T0_E_clISt17integral_constantIbLb0EES13_EEDaSY_SZ_EUlSY_E_NS1_11comp_targetILNS1_3genE2ELNS1_11target_archE906ELNS1_3gpuE6ELNS1_3repE0EEENS1_30default_config_static_selectorELNS0_4arch9wavefront6targetE0EEEvT1_.private_seg_size, 0
	.set _ZN7rocprim17ROCPRIM_400000_NS6detail17trampoline_kernelINS0_14default_configENS1_27scan_by_key_config_selectorIiiEEZZNS1_16scan_by_key_implILNS1_25lookback_scan_determinismE0ELb1ES3_N6thrust23THRUST_200600_302600_NS6detail15normal_iteratorINS9_10device_ptrIiEEEENSB_INSC_IjEEEENSB_INSC_IfEEEEiNS9_4plusIvEENS9_8equal_toIvEEiEE10hipError_tPvRmT2_T3_T4_T5_mT6_T7_P12ihipStream_tbENKUlT_T0_E_clISt17integral_constantIbLb0EES13_EEDaSY_SZ_EUlSY_E_NS1_11comp_targetILNS1_3genE2ELNS1_11target_archE906ELNS1_3gpuE6ELNS1_3repE0EEENS1_30default_config_static_selectorELNS0_4arch9wavefront6targetE0EEEvT1_.uses_vcc, 0
	.set _ZN7rocprim17ROCPRIM_400000_NS6detail17trampoline_kernelINS0_14default_configENS1_27scan_by_key_config_selectorIiiEEZZNS1_16scan_by_key_implILNS1_25lookback_scan_determinismE0ELb1ES3_N6thrust23THRUST_200600_302600_NS6detail15normal_iteratorINS9_10device_ptrIiEEEENSB_INSC_IjEEEENSB_INSC_IfEEEEiNS9_4plusIvEENS9_8equal_toIvEEiEE10hipError_tPvRmT2_T3_T4_T5_mT6_T7_P12ihipStream_tbENKUlT_T0_E_clISt17integral_constantIbLb0EES13_EEDaSY_SZ_EUlSY_E_NS1_11comp_targetILNS1_3genE2ELNS1_11target_archE906ELNS1_3gpuE6ELNS1_3repE0EEENS1_30default_config_static_selectorELNS0_4arch9wavefront6targetE0EEEvT1_.uses_flat_scratch, 0
	.set _ZN7rocprim17ROCPRIM_400000_NS6detail17trampoline_kernelINS0_14default_configENS1_27scan_by_key_config_selectorIiiEEZZNS1_16scan_by_key_implILNS1_25lookback_scan_determinismE0ELb1ES3_N6thrust23THRUST_200600_302600_NS6detail15normal_iteratorINS9_10device_ptrIiEEEENSB_INSC_IjEEEENSB_INSC_IfEEEEiNS9_4plusIvEENS9_8equal_toIvEEiEE10hipError_tPvRmT2_T3_T4_T5_mT6_T7_P12ihipStream_tbENKUlT_T0_E_clISt17integral_constantIbLb0EES13_EEDaSY_SZ_EUlSY_E_NS1_11comp_targetILNS1_3genE2ELNS1_11target_archE906ELNS1_3gpuE6ELNS1_3repE0EEENS1_30default_config_static_selectorELNS0_4arch9wavefront6targetE0EEEvT1_.has_dyn_sized_stack, 0
	.set _ZN7rocprim17ROCPRIM_400000_NS6detail17trampoline_kernelINS0_14default_configENS1_27scan_by_key_config_selectorIiiEEZZNS1_16scan_by_key_implILNS1_25lookback_scan_determinismE0ELb1ES3_N6thrust23THRUST_200600_302600_NS6detail15normal_iteratorINS9_10device_ptrIiEEEENSB_INSC_IjEEEENSB_INSC_IfEEEEiNS9_4plusIvEENS9_8equal_toIvEEiEE10hipError_tPvRmT2_T3_T4_T5_mT6_T7_P12ihipStream_tbENKUlT_T0_E_clISt17integral_constantIbLb0EES13_EEDaSY_SZ_EUlSY_E_NS1_11comp_targetILNS1_3genE2ELNS1_11target_archE906ELNS1_3gpuE6ELNS1_3repE0EEENS1_30default_config_static_selectorELNS0_4arch9wavefront6targetE0EEEvT1_.has_recursion, 0
	.set _ZN7rocprim17ROCPRIM_400000_NS6detail17trampoline_kernelINS0_14default_configENS1_27scan_by_key_config_selectorIiiEEZZNS1_16scan_by_key_implILNS1_25lookback_scan_determinismE0ELb1ES3_N6thrust23THRUST_200600_302600_NS6detail15normal_iteratorINS9_10device_ptrIiEEEENSB_INSC_IjEEEENSB_INSC_IfEEEEiNS9_4plusIvEENS9_8equal_toIvEEiEE10hipError_tPvRmT2_T3_T4_T5_mT6_T7_P12ihipStream_tbENKUlT_T0_E_clISt17integral_constantIbLb0EES13_EEDaSY_SZ_EUlSY_E_NS1_11comp_targetILNS1_3genE2ELNS1_11target_archE906ELNS1_3gpuE6ELNS1_3repE0EEENS1_30default_config_static_selectorELNS0_4arch9wavefront6targetE0EEEvT1_.has_indirect_call, 0
	.section	.AMDGPU.csdata,"",@progbits
; Kernel info:
; codeLenInByte = 0
; TotalNumSgprs: 0
; NumVgprs: 0
; ScratchSize: 0
; MemoryBound: 0
; FloatMode: 240
; IeeeMode: 1
; LDSByteSize: 0 bytes/workgroup (compile time only)
; SGPRBlocks: 0
; VGPRBlocks: 0
; NumSGPRsForWavesPerEU: 1
; NumVGPRsForWavesPerEU: 1
; Occupancy: 16
; WaveLimiterHint : 0
; COMPUTE_PGM_RSRC2:SCRATCH_EN: 0
; COMPUTE_PGM_RSRC2:USER_SGPR: 6
; COMPUTE_PGM_RSRC2:TRAP_HANDLER: 0
; COMPUTE_PGM_RSRC2:TGID_X_EN: 1
; COMPUTE_PGM_RSRC2:TGID_Y_EN: 0
; COMPUTE_PGM_RSRC2:TGID_Z_EN: 0
; COMPUTE_PGM_RSRC2:TIDIG_COMP_CNT: 0
	.section	.text._ZN7rocprim17ROCPRIM_400000_NS6detail17trampoline_kernelINS0_14default_configENS1_27scan_by_key_config_selectorIiiEEZZNS1_16scan_by_key_implILNS1_25lookback_scan_determinismE0ELb1ES3_N6thrust23THRUST_200600_302600_NS6detail15normal_iteratorINS9_10device_ptrIiEEEENSB_INSC_IjEEEENSB_INSC_IfEEEEiNS9_4plusIvEENS9_8equal_toIvEEiEE10hipError_tPvRmT2_T3_T4_T5_mT6_T7_P12ihipStream_tbENKUlT_T0_E_clISt17integral_constantIbLb0EES13_EEDaSY_SZ_EUlSY_E_NS1_11comp_targetILNS1_3genE10ELNS1_11target_archE1200ELNS1_3gpuE4ELNS1_3repE0EEENS1_30default_config_static_selectorELNS0_4arch9wavefront6targetE0EEEvT1_,"axG",@progbits,_ZN7rocprim17ROCPRIM_400000_NS6detail17trampoline_kernelINS0_14default_configENS1_27scan_by_key_config_selectorIiiEEZZNS1_16scan_by_key_implILNS1_25lookback_scan_determinismE0ELb1ES3_N6thrust23THRUST_200600_302600_NS6detail15normal_iteratorINS9_10device_ptrIiEEEENSB_INSC_IjEEEENSB_INSC_IfEEEEiNS9_4plusIvEENS9_8equal_toIvEEiEE10hipError_tPvRmT2_T3_T4_T5_mT6_T7_P12ihipStream_tbENKUlT_T0_E_clISt17integral_constantIbLb0EES13_EEDaSY_SZ_EUlSY_E_NS1_11comp_targetILNS1_3genE10ELNS1_11target_archE1200ELNS1_3gpuE4ELNS1_3repE0EEENS1_30default_config_static_selectorELNS0_4arch9wavefront6targetE0EEEvT1_,comdat
	.protected	_ZN7rocprim17ROCPRIM_400000_NS6detail17trampoline_kernelINS0_14default_configENS1_27scan_by_key_config_selectorIiiEEZZNS1_16scan_by_key_implILNS1_25lookback_scan_determinismE0ELb1ES3_N6thrust23THRUST_200600_302600_NS6detail15normal_iteratorINS9_10device_ptrIiEEEENSB_INSC_IjEEEENSB_INSC_IfEEEEiNS9_4plusIvEENS9_8equal_toIvEEiEE10hipError_tPvRmT2_T3_T4_T5_mT6_T7_P12ihipStream_tbENKUlT_T0_E_clISt17integral_constantIbLb0EES13_EEDaSY_SZ_EUlSY_E_NS1_11comp_targetILNS1_3genE10ELNS1_11target_archE1200ELNS1_3gpuE4ELNS1_3repE0EEENS1_30default_config_static_selectorELNS0_4arch9wavefront6targetE0EEEvT1_ ; -- Begin function _ZN7rocprim17ROCPRIM_400000_NS6detail17trampoline_kernelINS0_14default_configENS1_27scan_by_key_config_selectorIiiEEZZNS1_16scan_by_key_implILNS1_25lookback_scan_determinismE0ELb1ES3_N6thrust23THRUST_200600_302600_NS6detail15normal_iteratorINS9_10device_ptrIiEEEENSB_INSC_IjEEEENSB_INSC_IfEEEEiNS9_4plusIvEENS9_8equal_toIvEEiEE10hipError_tPvRmT2_T3_T4_T5_mT6_T7_P12ihipStream_tbENKUlT_T0_E_clISt17integral_constantIbLb0EES13_EEDaSY_SZ_EUlSY_E_NS1_11comp_targetILNS1_3genE10ELNS1_11target_archE1200ELNS1_3gpuE4ELNS1_3repE0EEENS1_30default_config_static_selectorELNS0_4arch9wavefront6targetE0EEEvT1_
	.globl	_ZN7rocprim17ROCPRIM_400000_NS6detail17trampoline_kernelINS0_14default_configENS1_27scan_by_key_config_selectorIiiEEZZNS1_16scan_by_key_implILNS1_25lookback_scan_determinismE0ELb1ES3_N6thrust23THRUST_200600_302600_NS6detail15normal_iteratorINS9_10device_ptrIiEEEENSB_INSC_IjEEEENSB_INSC_IfEEEEiNS9_4plusIvEENS9_8equal_toIvEEiEE10hipError_tPvRmT2_T3_T4_T5_mT6_T7_P12ihipStream_tbENKUlT_T0_E_clISt17integral_constantIbLb0EES13_EEDaSY_SZ_EUlSY_E_NS1_11comp_targetILNS1_3genE10ELNS1_11target_archE1200ELNS1_3gpuE4ELNS1_3repE0EEENS1_30default_config_static_selectorELNS0_4arch9wavefront6targetE0EEEvT1_
	.p2align	8
	.type	_ZN7rocprim17ROCPRIM_400000_NS6detail17trampoline_kernelINS0_14default_configENS1_27scan_by_key_config_selectorIiiEEZZNS1_16scan_by_key_implILNS1_25lookback_scan_determinismE0ELb1ES3_N6thrust23THRUST_200600_302600_NS6detail15normal_iteratorINS9_10device_ptrIiEEEENSB_INSC_IjEEEENSB_INSC_IfEEEEiNS9_4plusIvEENS9_8equal_toIvEEiEE10hipError_tPvRmT2_T3_T4_T5_mT6_T7_P12ihipStream_tbENKUlT_T0_E_clISt17integral_constantIbLb0EES13_EEDaSY_SZ_EUlSY_E_NS1_11comp_targetILNS1_3genE10ELNS1_11target_archE1200ELNS1_3gpuE4ELNS1_3repE0EEENS1_30default_config_static_selectorELNS0_4arch9wavefront6targetE0EEEvT1_,@function
_ZN7rocprim17ROCPRIM_400000_NS6detail17trampoline_kernelINS0_14default_configENS1_27scan_by_key_config_selectorIiiEEZZNS1_16scan_by_key_implILNS1_25lookback_scan_determinismE0ELb1ES3_N6thrust23THRUST_200600_302600_NS6detail15normal_iteratorINS9_10device_ptrIiEEEENSB_INSC_IjEEEENSB_INSC_IfEEEEiNS9_4plusIvEENS9_8equal_toIvEEiEE10hipError_tPvRmT2_T3_T4_T5_mT6_T7_P12ihipStream_tbENKUlT_T0_E_clISt17integral_constantIbLb0EES13_EEDaSY_SZ_EUlSY_E_NS1_11comp_targetILNS1_3genE10ELNS1_11target_archE1200ELNS1_3gpuE4ELNS1_3repE0EEENS1_30default_config_static_selectorELNS0_4arch9wavefront6targetE0EEEvT1_: ; @_ZN7rocprim17ROCPRIM_400000_NS6detail17trampoline_kernelINS0_14default_configENS1_27scan_by_key_config_selectorIiiEEZZNS1_16scan_by_key_implILNS1_25lookback_scan_determinismE0ELb1ES3_N6thrust23THRUST_200600_302600_NS6detail15normal_iteratorINS9_10device_ptrIiEEEENSB_INSC_IjEEEENSB_INSC_IfEEEEiNS9_4plusIvEENS9_8equal_toIvEEiEE10hipError_tPvRmT2_T3_T4_T5_mT6_T7_P12ihipStream_tbENKUlT_T0_E_clISt17integral_constantIbLb0EES13_EEDaSY_SZ_EUlSY_E_NS1_11comp_targetILNS1_3genE10ELNS1_11target_archE1200ELNS1_3gpuE4ELNS1_3repE0EEENS1_30default_config_static_selectorELNS0_4arch9wavefront6targetE0EEEvT1_
; %bb.0:
	.section	.rodata,"a",@progbits
	.p2align	6, 0x0
	.amdhsa_kernel _ZN7rocprim17ROCPRIM_400000_NS6detail17trampoline_kernelINS0_14default_configENS1_27scan_by_key_config_selectorIiiEEZZNS1_16scan_by_key_implILNS1_25lookback_scan_determinismE0ELb1ES3_N6thrust23THRUST_200600_302600_NS6detail15normal_iteratorINS9_10device_ptrIiEEEENSB_INSC_IjEEEENSB_INSC_IfEEEEiNS9_4plusIvEENS9_8equal_toIvEEiEE10hipError_tPvRmT2_T3_T4_T5_mT6_T7_P12ihipStream_tbENKUlT_T0_E_clISt17integral_constantIbLb0EES13_EEDaSY_SZ_EUlSY_E_NS1_11comp_targetILNS1_3genE10ELNS1_11target_archE1200ELNS1_3gpuE4ELNS1_3repE0EEENS1_30default_config_static_selectorELNS0_4arch9wavefront6targetE0EEEvT1_
		.amdhsa_group_segment_fixed_size 0
		.amdhsa_private_segment_fixed_size 0
		.amdhsa_kernarg_size 112
		.amdhsa_user_sgpr_count 6
		.amdhsa_user_sgpr_private_segment_buffer 1
		.amdhsa_user_sgpr_dispatch_ptr 0
		.amdhsa_user_sgpr_queue_ptr 0
		.amdhsa_user_sgpr_kernarg_segment_ptr 1
		.amdhsa_user_sgpr_dispatch_id 0
		.amdhsa_user_sgpr_flat_scratch_init 0
		.amdhsa_user_sgpr_private_segment_size 0
		.amdhsa_wavefront_size32 1
		.amdhsa_uses_dynamic_stack 0
		.amdhsa_system_sgpr_private_segment_wavefront_offset 0
		.amdhsa_system_sgpr_workgroup_id_x 1
		.amdhsa_system_sgpr_workgroup_id_y 0
		.amdhsa_system_sgpr_workgroup_id_z 0
		.amdhsa_system_sgpr_workgroup_info 0
		.amdhsa_system_vgpr_workitem_id 0
		.amdhsa_next_free_vgpr 1
		.amdhsa_next_free_sgpr 1
		.amdhsa_reserve_vcc 0
		.amdhsa_reserve_flat_scratch 0
		.amdhsa_float_round_mode_32 0
		.amdhsa_float_round_mode_16_64 0
		.amdhsa_float_denorm_mode_32 3
		.amdhsa_float_denorm_mode_16_64 3
		.amdhsa_dx10_clamp 1
		.amdhsa_ieee_mode 1
		.amdhsa_fp16_overflow 0
		.amdhsa_workgroup_processor_mode 1
		.amdhsa_memory_ordered 1
		.amdhsa_forward_progress 1
		.amdhsa_shared_vgpr_count 0
		.amdhsa_exception_fp_ieee_invalid_op 0
		.amdhsa_exception_fp_denorm_src 0
		.amdhsa_exception_fp_ieee_div_zero 0
		.amdhsa_exception_fp_ieee_overflow 0
		.amdhsa_exception_fp_ieee_underflow 0
		.amdhsa_exception_fp_ieee_inexact 0
		.amdhsa_exception_int_div_zero 0
	.end_amdhsa_kernel
	.section	.text._ZN7rocprim17ROCPRIM_400000_NS6detail17trampoline_kernelINS0_14default_configENS1_27scan_by_key_config_selectorIiiEEZZNS1_16scan_by_key_implILNS1_25lookback_scan_determinismE0ELb1ES3_N6thrust23THRUST_200600_302600_NS6detail15normal_iteratorINS9_10device_ptrIiEEEENSB_INSC_IjEEEENSB_INSC_IfEEEEiNS9_4plusIvEENS9_8equal_toIvEEiEE10hipError_tPvRmT2_T3_T4_T5_mT6_T7_P12ihipStream_tbENKUlT_T0_E_clISt17integral_constantIbLb0EES13_EEDaSY_SZ_EUlSY_E_NS1_11comp_targetILNS1_3genE10ELNS1_11target_archE1200ELNS1_3gpuE4ELNS1_3repE0EEENS1_30default_config_static_selectorELNS0_4arch9wavefront6targetE0EEEvT1_,"axG",@progbits,_ZN7rocprim17ROCPRIM_400000_NS6detail17trampoline_kernelINS0_14default_configENS1_27scan_by_key_config_selectorIiiEEZZNS1_16scan_by_key_implILNS1_25lookback_scan_determinismE0ELb1ES3_N6thrust23THRUST_200600_302600_NS6detail15normal_iteratorINS9_10device_ptrIiEEEENSB_INSC_IjEEEENSB_INSC_IfEEEEiNS9_4plusIvEENS9_8equal_toIvEEiEE10hipError_tPvRmT2_T3_T4_T5_mT6_T7_P12ihipStream_tbENKUlT_T0_E_clISt17integral_constantIbLb0EES13_EEDaSY_SZ_EUlSY_E_NS1_11comp_targetILNS1_3genE10ELNS1_11target_archE1200ELNS1_3gpuE4ELNS1_3repE0EEENS1_30default_config_static_selectorELNS0_4arch9wavefront6targetE0EEEvT1_,comdat
.Lfunc_end1722:
	.size	_ZN7rocprim17ROCPRIM_400000_NS6detail17trampoline_kernelINS0_14default_configENS1_27scan_by_key_config_selectorIiiEEZZNS1_16scan_by_key_implILNS1_25lookback_scan_determinismE0ELb1ES3_N6thrust23THRUST_200600_302600_NS6detail15normal_iteratorINS9_10device_ptrIiEEEENSB_INSC_IjEEEENSB_INSC_IfEEEEiNS9_4plusIvEENS9_8equal_toIvEEiEE10hipError_tPvRmT2_T3_T4_T5_mT6_T7_P12ihipStream_tbENKUlT_T0_E_clISt17integral_constantIbLb0EES13_EEDaSY_SZ_EUlSY_E_NS1_11comp_targetILNS1_3genE10ELNS1_11target_archE1200ELNS1_3gpuE4ELNS1_3repE0EEENS1_30default_config_static_selectorELNS0_4arch9wavefront6targetE0EEEvT1_, .Lfunc_end1722-_ZN7rocprim17ROCPRIM_400000_NS6detail17trampoline_kernelINS0_14default_configENS1_27scan_by_key_config_selectorIiiEEZZNS1_16scan_by_key_implILNS1_25lookback_scan_determinismE0ELb1ES3_N6thrust23THRUST_200600_302600_NS6detail15normal_iteratorINS9_10device_ptrIiEEEENSB_INSC_IjEEEENSB_INSC_IfEEEEiNS9_4plusIvEENS9_8equal_toIvEEiEE10hipError_tPvRmT2_T3_T4_T5_mT6_T7_P12ihipStream_tbENKUlT_T0_E_clISt17integral_constantIbLb0EES13_EEDaSY_SZ_EUlSY_E_NS1_11comp_targetILNS1_3genE10ELNS1_11target_archE1200ELNS1_3gpuE4ELNS1_3repE0EEENS1_30default_config_static_selectorELNS0_4arch9wavefront6targetE0EEEvT1_
                                        ; -- End function
	.set _ZN7rocprim17ROCPRIM_400000_NS6detail17trampoline_kernelINS0_14default_configENS1_27scan_by_key_config_selectorIiiEEZZNS1_16scan_by_key_implILNS1_25lookback_scan_determinismE0ELb1ES3_N6thrust23THRUST_200600_302600_NS6detail15normal_iteratorINS9_10device_ptrIiEEEENSB_INSC_IjEEEENSB_INSC_IfEEEEiNS9_4plusIvEENS9_8equal_toIvEEiEE10hipError_tPvRmT2_T3_T4_T5_mT6_T7_P12ihipStream_tbENKUlT_T0_E_clISt17integral_constantIbLb0EES13_EEDaSY_SZ_EUlSY_E_NS1_11comp_targetILNS1_3genE10ELNS1_11target_archE1200ELNS1_3gpuE4ELNS1_3repE0EEENS1_30default_config_static_selectorELNS0_4arch9wavefront6targetE0EEEvT1_.num_vgpr, 0
	.set _ZN7rocprim17ROCPRIM_400000_NS6detail17trampoline_kernelINS0_14default_configENS1_27scan_by_key_config_selectorIiiEEZZNS1_16scan_by_key_implILNS1_25lookback_scan_determinismE0ELb1ES3_N6thrust23THRUST_200600_302600_NS6detail15normal_iteratorINS9_10device_ptrIiEEEENSB_INSC_IjEEEENSB_INSC_IfEEEEiNS9_4plusIvEENS9_8equal_toIvEEiEE10hipError_tPvRmT2_T3_T4_T5_mT6_T7_P12ihipStream_tbENKUlT_T0_E_clISt17integral_constantIbLb0EES13_EEDaSY_SZ_EUlSY_E_NS1_11comp_targetILNS1_3genE10ELNS1_11target_archE1200ELNS1_3gpuE4ELNS1_3repE0EEENS1_30default_config_static_selectorELNS0_4arch9wavefront6targetE0EEEvT1_.num_agpr, 0
	.set _ZN7rocprim17ROCPRIM_400000_NS6detail17trampoline_kernelINS0_14default_configENS1_27scan_by_key_config_selectorIiiEEZZNS1_16scan_by_key_implILNS1_25lookback_scan_determinismE0ELb1ES3_N6thrust23THRUST_200600_302600_NS6detail15normal_iteratorINS9_10device_ptrIiEEEENSB_INSC_IjEEEENSB_INSC_IfEEEEiNS9_4plusIvEENS9_8equal_toIvEEiEE10hipError_tPvRmT2_T3_T4_T5_mT6_T7_P12ihipStream_tbENKUlT_T0_E_clISt17integral_constantIbLb0EES13_EEDaSY_SZ_EUlSY_E_NS1_11comp_targetILNS1_3genE10ELNS1_11target_archE1200ELNS1_3gpuE4ELNS1_3repE0EEENS1_30default_config_static_selectorELNS0_4arch9wavefront6targetE0EEEvT1_.numbered_sgpr, 0
	.set _ZN7rocprim17ROCPRIM_400000_NS6detail17trampoline_kernelINS0_14default_configENS1_27scan_by_key_config_selectorIiiEEZZNS1_16scan_by_key_implILNS1_25lookback_scan_determinismE0ELb1ES3_N6thrust23THRUST_200600_302600_NS6detail15normal_iteratorINS9_10device_ptrIiEEEENSB_INSC_IjEEEENSB_INSC_IfEEEEiNS9_4plusIvEENS9_8equal_toIvEEiEE10hipError_tPvRmT2_T3_T4_T5_mT6_T7_P12ihipStream_tbENKUlT_T0_E_clISt17integral_constantIbLb0EES13_EEDaSY_SZ_EUlSY_E_NS1_11comp_targetILNS1_3genE10ELNS1_11target_archE1200ELNS1_3gpuE4ELNS1_3repE0EEENS1_30default_config_static_selectorELNS0_4arch9wavefront6targetE0EEEvT1_.num_named_barrier, 0
	.set _ZN7rocprim17ROCPRIM_400000_NS6detail17trampoline_kernelINS0_14default_configENS1_27scan_by_key_config_selectorIiiEEZZNS1_16scan_by_key_implILNS1_25lookback_scan_determinismE0ELb1ES3_N6thrust23THRUST_200600_302600_NS6detail15normal_iteratorINS9_10device_ptrIiEEEENSB_INSC_IjEEEENSB_INSC_IfEEEEiNS9_4plusIvEENS9_8equal_toIvEEiEE10hipError_tPvRmT2_T3_T4_T5_mT6_T7_P12ihipStream_tbENKUlT_T0_E_clISt17integral_constantIbLb0EES13_EEDaSY_SZ_EUlSY_E_NS1_11comp_targetILNS1_3genE10ELNS1_11target_archE1200ELNS1_3gpuE4ELNS1_3repE0EEENS1_30default_config_static_selectorELNS0_4arch9wavefront6targetE0EEEvT1_.private_seg_size, 0
	.set _ZN7rocprim17ROCPRIM_400000_NS6detail17trampoline_kernelINS0_14default_configENS1_27scan_by_key_config_selectorIiiEEZZNS1_16scan_by_key_implILNS1_25lookback_scan_determinismE0ELb1ES3_N6thrust23THRUST_200600_302600_NS6detail15normal_iteratorINS9_10device_ptrIiEEEENSB_INSC_IjEEEENSB_INSC_IfEEEEiNS9_4plusIvEENS9_8equal_toIvEEiEE10hipError_tPvRmT2_T3_T4_T5_mT6_T7_P12ihipStream_tbENKUlT_T0_E_clISt17integral_constantIbLb0EES13_EEDaSY_SZ_EUlSY_E_NS1_11comp_targetILNS1_3genE10ELNS1_11target_archE1200ELNS1_3gpuE4ELNS1_3repE0EEENS1_30default_config_static_selectorELNS0_4arch9wavefront6targetE0EEEvT1_.uses_vcc, 0
	.set _ZN7rocprim17ROCPRIM_400000_NS6detail17trampoline_kernelINS0_14default_configENS1_27scan_by_key_config_selectorIiiEEZZNS1_16scan_by_key_implILNS1_25lookback_scan_determinismE0ELb1ES3_N6thrust23THRUST_200600_302600_NS6detail15normal_iteratorINS9_10device_ptrIiEEEENSB_INSC_IjEEEENSB_INSC_IfEEEEiNS9_4plusIvEENS9_8equal_toIvEEiEE10hipError_tPvRmT2_T3_T4_T5_mT6_T7_P12ihipStream_tbENKUlT_T0_E_clISt17integral_constantIbLb0EES13_EEDaSY_SZ_EUlSY_E_NS1_11comp_targetILNS1_3genE10ELNS1_11target_archE1200ELNS1_3gpuE4ELNS1_3repE0EEENS1_30default_config_static_selectorELNS0_4arch9wavefront6targetE0EEEvT1_.uses_flat_scratch, 0
	.set _ZN7rocprim17ROCPRIM_400000_NS6detail17trampoline_kernelINS0_14default_configENS1_27scan_by_key_config_selectorIiiEEZZNS1_16scan_by_key_implILNS1_25lookback_scan_determinismE0ELb1ES3_N6thrust23THRUST_200600_302600_NS6detail15normal_iteratorINS9_10device_ptrIiEEEENSB_INSC_IjEEEENSB_INSC_IfEEEEiNS9_4plusIvEENS9_8equal_toIvEEiEE10hipError_tPvRmT2_T3_T4_T5_mT6_T7_P12ihipStream_tbENKUlT_T0_E_clISt17integral_constantIbLb0EES13_EEDaSY_SZ_EUlSY_E_NS1_11comp_targetILNS1_3genE10ELNS1_11target_archE1200ELNS1_3gpuE4ELNS1_3repE0EEENS1_30default_config_static_selectorELNS0_4arch9wavefront6targetE0EEEvT1_.has_dyn_sized_stack, 0
	.set _ZN7rocprim17ROCPRIM_400000_NS6detail17trampoline_kernelINS0_14default_configENS1_27scan_by_key_config_selectorIiiEEZZNS1_16scan_by_key_implILNS1_25lookback_scan_determinismE0ELb1ES3_N6thrust23THRUST_200600_302600_NS6detail15normal_iteratorINS9_10device_ptrIiEEEENSB_INSC_IjEEEENSB_INSC_IfEEEEiNS9_4plusIvEENS9_8equal_toIvEEiEE10hipError_tPvRmT2_T3_T4_T5_mT6_T7_P12ihipStream_tbENKUlT_T0_E_clISt17integral_constantIbLb0EES13_EEDaSY_SZ_EUlSY_E_NS1_11comp_targetILNS1_3genE10ELNS1_11target_archE1200ELNS1_3gpuE4ELNS1_3repE0EEENS1_30default_config_static_selectorELNS0_4arch9wavefront6targetE0EEEvT1_.has_recursion, 0
	.set _ZN7rocprim17ROCPRIM_400000_NS6detail17trampoline_kernelINS0_14default_configENS1_27scan_by_key_config_selectorIiiEEZZNS1_16scan_by_key_implILNS1_25lookback_scan_determinismE0ELb1ES3_N6thrust23THRUST_200600_302600_NS6detail15normal_iteratorINS9_10device_ptrIiEEEENSB_INSC_IjEEEENSB_INSC_IfEEEEiNS9_4plusIvEENS9_8equal_toIvEEiEE10hipError_tPvRmT2_T3_T4_T5_mT6_T7_P12ihipStream_tbENKUlT_T0_E_clISt17integral_constantIbLb0EES13_EEDaSY_SZ_EUlSY_E_NS1_11comp_targetILNS1_3genE10ELNS1_11target_archE1200ELNS1_3gpuE4ELNS1_3repE0EEENS1_30default_config_static_selectorELNS0_4arch9wavefront6targetE0EEEvT1_.has_indirect_call, 0
	.section	.AMDGPU.csdata,"",@progbits
; Kernel info:
; codeLenInByte = 0
; TotalNumSgprs: 0
; NumVgprs: 0
; ScratchSize: 0
; MemoryBound: 0
; FloatMode: 240
; IeeeMode: 1
; LDSByteSize: 0 bytes/workgroup (compile time only)
; SGPRBlocks: 0
; VGPRBlocks: 0
; NumSGPRsForWavesPerEU: 1
; NumVGPRsForWavesPerEU: 1
; Occupancy: 16
; WaveLimiterHint : 0
; COMPUTE_PGM_RSRC2:SCRATCH_EN: 0
; COMPUTE_PGM_RSRC2:USER_SGPR: 6
; COMPUTE_PGM_RSRC2:TRAP_HANDLER: 0
; COMPUTE_PGM_RSRC2:TGID_X_EN: 1
; COMPUTE_PGM_RSRC2:TGID_Y_EN: 0
; COMPUTE_PGM_RSRC2:TGID_Z_EN: 0
; COMPUTE_PGM_RSRC2:TIDIG_COMP_CNT: 0
	.section	.text._ZN7rocprim17ROCPRIM_400000_NS6detail17trampoline_kernelINS0_14default_configENS1_27scan_by_key_config_selectorIiiEEZZNS1_16scan_by_key_implILNS1_25lookback_scan_determinismE0ELb1ES3_N6thrust23THRUST_200600_302600_NS6detail15normal_iteratorINS9_10device_ptrIiEEEENSB_INSC_IjEEEENSB_INSC_IfEEEEiNS9_4plusIvEENS9_8equal_toIvEEiEE10hipError_tPvRmT2_T3_T4_T5_mT6_T7_P12ihipStream_tbENKUlT_T0_E_clISt17integral_constantIbLb0EES13_EEDaSY_SZ_EUlSY_E_NS1_11comp_targetILNS1_3genE9ELNS1_11target_archE1100ELNS1_3gpuE3ELNS1_3repE0EEENS1_30default_config_static_selectorELNS0_4arch9wavefront6targetE0EEEvT1_,"axG",@progbits,_ZN7rocprim17ROCPRIM_400000_NS6detail17trampoline_kernelINS0_14default_configENS1_27scan_by_key_config_selectorIiiEEZZNS1_16scan_by_key_implILNS1_25lookback_scan_determinismE0ELb1ES3_N6thrust23THRUST_200600_302600_NS6detail15normal_iteratorINS9_10device_ptrIiEEEENSB_INSC_IjEEEENSB_INSC_IfEEEEiNS9_4plusIvEENS9_8equal_toIvEEiEE10hipError_tPvRmT2_T3_T4_T5_mT6_T7_P12ihipStream_tbENKUlT_T0_E_clISt17integral_constantIbLb0EES13_EEDaSY_SZ_EUlSY_E_NS1_11comp_targetILNS1_3genE9ELNS1_11target_archE1100ELNS1_3gpuE3ELNS1_3repE0EEENS1_30default_config_static_selectorELNS0_4arch9wavefront6targetE0EEEvT1_,comdat
	.protected	_ZN7rocprim17ROCPRIM_400000_NS6detail17trampoline_kernelINS0_14default_configENS1_27scan_by_key_config_selectorIiiEEZZNS1_16scan_by_key_implILNS1_25lookback_scan_determinismE0ELb1ES3_N6thrust23THRUST_200600_302600_NS6detail15normal_iteratorINS9_10device_ptrIiEEEENSB_INSC_IjEEEENSB_INSC_IfEEEEiNS9_4plusIvEENS9_8equal_toIvEEiEE10hipError_tPvRmT2_T3_T4_T5_mT6_T7_P12ihipStream_tbENKUlT_T0_E_clISt17integral_constantIbLb0EES13_EEDaSY_SZ_EUlSY_E_NS1_11comp_targetILNS1_3genE9ELNS1_11target_archE1100ELNS1_3gpuE3ELNS1_3repE0EEENS1_30default_config_static_selectorELNS0_4arch9wavefront6targetE0EEEvT1_ ; -- Begin function _ZN7rocprim17ROCPRIM_400000_NS6detail17trampoline_kernelINS0_14default_configENS1_27scan_by_key_config_selectorIiiEEZZNS1_16scan_by_key_implILNS1_25lookback_scan_determinismE0ELb1ES3_N6thrust23THRUST_200600_302600_NS6detail15normal_iteratorINS9_10device_ptrIiEEEENSB_INSC_IjEEEENSB_INSC_IfEEEEiNS9_4plusIvEENS9_8equal_toIvEEiEE10hipError_tPvRmT2_T3_T4_T5_mT6_T7_P12ihipStream_tbENKUlT_T0_E_clISt17integral_constantIbLb0EES13_EEDaSY_SZ_EUlSY_E_NS1_11comp_targetILNS1_3genE9ELNS1_11target_archE1100ELNS1_3gpuE3ELNS1_3repE0EEENS1_30default_config_static_selectorELNS0_4arch9wavefront6targetE0EEEvT1_
	.globl	_ZN7rocprim17ROCPRIM_400000_NS6detail17trampoline_kernelINS0_14default_configENS1_27scan_by_key_config_selectorIiiEEZZNS1_16scan_by_key_implILNS1_25lookback_scan_determinismE0ELb1ES3_N6thrust23THRUST_200600_302600_NS6detail15normal_iteratorINS9_10device_ptrIiEEEENSB_INSC_IjEEEENSB_INSC_IfEEEEiNS9_4plusIvEENS9_8equal_toIvEEiEE10hipError_tPvRmT2_T3_T4_T5_mT6_T7_P12ihipStream_tbENKUlT_T0_E_clISt17integral_constantIbLb0EES13_EEDaSY_SZ_EUlSY_E_NS1_11comp_targetILNS1_3genE9ELNS1_11target_archE1100ELNS1_3gpuE3ELNS1_3repE0EEENS1_30default_config_static_selectorELNS0_4arch9wavefront6targetE0EEEvT1_
	.p2align	8
	.type	_ZN7rocprim17ROCPRIM_400000_NS6detail17trampoline_kernelINS0_14default_configENS1_27scan_by_key_config_selectorIiiEEZZNS1_16scan_by_key_implILNS1_25lookback_scan_determinismE0ELb1ES3_N6thrust23THRUST_200600_302600_NS6detail15normal_iteratorINS9_10device_ptrIiEEEENSB_INSC_IjEEEENSB_INSC_IfEEEEiNS9_4plusIvEENS9_8equal_toIvEEiEE10hipError_tPvRmT2_T3_T4_T5_mT6_T7_P12ihipStream_tbENKUlT_T0_E_clISt17integral_constantIbLb0EES13_EEDaSY_SZ_EUlSY_E_NS1_11comp_targetILNS1_3genE9ELNS1_11target_archE1100ELNS1_3gpuE3ELNS1_3repE0EEENS1_30default_config_static_selectorELNS0_4arch9wavefront6targetE0EEEvT1_,@function
_ZN7rocprim17ROCPRIM_400000_NS6detail17trampoline_kernelINS0_14default_configENS1_27scan_by_key_config_selectorIiiEEZZNS1_16scan_by_key_implILNS1_25lookback_scan_determinismE0ELb1ES3_N6thrust23THRUST_200600_302600_NS6detail15normal_iteratorINS9_10device_ptrIiEEEENSB_INSC_IjEEEENSB_INSC_IfEEEEiNS9_4plusIvEENS9_8equal_toIvEEiEE10hipError_tPvRmT2_T3_T4_T5_mT6_T7_P12ihipStream_tbENKUlT_T0_E_clISt17integral_constantIbLb0EES13_EEDaSY_SZ_EUlSY_E_NS1_11comp_targetILNS1_3genE9ELNS1_11target_archE1100ELNS1_3gpuE3ELNS1_3repE0EEENS1_30default_config_static_selectorELNS0_4arch9wavefront6targetE0EEEvT1_: ; @_ZN7rocprim17ROCPRIM_400000_NS6detail17trampoline_kernelINS0_14default_configENS1_27scan_by_key_config_selectorIiiEEZZNS1_16scan_by_key_implILNS1_25lookback_scan_determinismE0ELb1ES3_N6thrust23THRUST_200600_302600_NS6detail15normal_iteratorINS9_10device_ptrIiEEEENSB_INSC_IjEEEENSB_INSC_IfEEEEiNS9_4plusIvEENS9_8equal_toIvEEiEE10hipError_tPvRmT2_T3_T4_T5_mT6_T7_P12ihipStream_tbENKUlT_T0_E_clISt17integral_constantIbLb0EES13_EEDaSY_SZ_EUlSY_E_NS1_11comp_targetILNS1_3genE9ELNS1_11target_archE1100ELNS1_3gpuE3ELNS1_3repE0EEENS1_30default_config_static_selectorELNS0_4arch9wavefront6targetE0EEEvT1_
; %bb.0:
	.section	.rodata,"a",@progbits
	.p2align	6, 0x0
	.amdhsa_kernel _ZN7rocprim17ROCPRIM_400000_NS6detail17trampoline_kernelINS0_14default_configENS1_27scan_by_key_config_selectorIiiEEZZNS1_16scan_by_key_implILNS1_25lookback_scan_determinismE0ELb1ES3_N6thrust23THRUST_200600_302600_NS6detail15normal_iteratorINS9_10device_ptrIiEEEENSB_INSC_IjEEEENSB_INSC_IfEEEEiNS9_4plusIvEENS9_8equal_toIvEEiEE10hipError_tPvRmT2_T3_T4_T5_mT6_T7_P12ihipStream_tbENKUlT_T0_E_clISt17integral_constantIbLb0EES13_EEDaSY_SZ_EUlSY_E_NS1_11comp_targetILNS1_3genE9ELNS1_11target_archE1100ELNS1_3gpuE3ELNS1_3repE0EEENS1_30default_config_static_selectorELNS0_4arch9wavefront6targetE0EEEvT1_
		.amdhsa_group_segment_fixed_size 0
		.amdhsa_private_segment_fixed_size 0
		.amdhsa_kernarg_size 112
		.amdhsa_user_sgpr_count 6
		.amdhsa_user_sgpr_private_segment_buffer 1
		.amdhsa_user_sgpr_dispatch_ptr 0
		.amdhsa_user_sgpr_queue_ptr 0
		.amdhsa_user_sgpr_kernarg_segment_ptr 1
		.amdhsa_user_sgpr_dispatch_id 0
		.amdhsa_user_sgpr_flat_scratch_init 0
		.amdhsa_user_sgpr_private_segment_size 0
		.amdhsa_wavefront_size32 1
		.amdhsa_uses_dynamic_stack 0
		.amdhsa_system_sgpr_private_segment_wavefront_offset 0
		.amdhsa_system_sgpr_workgroup_id_x 1
		.amdhsa_system_sgpr_workgroup_id_y 0
		.amdhsa_system_sgpr_workgroup_id_z 0
		.amdhsa_system_sgpr_workgroup_info 0
		.amdhsa_system_vgpr_workitem_id 0
		.amdhsa_next_free_vgpr 1
		.amdhsa_next_free_sgpr 1
		.amdhsa_reserve_vcc 0
		.amdhsa_reserve_flat_scratch 0
		.amdhsa_float_round_mode_32 0
		.amdhsa_float_round_mode_16_64 0
		.amdhsa_float_denorm_mode_32 3
		.amdhsa_float_denorm_mode_16_64 3
		.amdhsa_dx10_clamp 1
		.amdhsa_ieee_mode 1
		.amdhsa_fp16_overflow 0
		.amdhsa_workgroup_processor_mode 1
		.amdhsa_memory_ordered 1
		.amdhsa_forward_progress 1
		.amdhsa_shared_vgpr_count 0
		.amdhsa_exception_fp_ieee_invalid_op 0
		.amdhsa_exception_fp_denorm_src 0
		.amdhsa_exception_fp_ieee_div_zero 0
		.amdhsa_exception_fp_ieee_overflow 0
		.amdhsa_exception_fp_ieee_underflow 0
		.amdhsa_exception_fp_ieee_inexact 0
		.amdhsa_exception_int_div_zero 0
	.end_amdhsa_kernel
	.section	.text._ZN7rocprim17ROCPRIM_400000_NS6detail17trampoline_kernelINS0_14default_configENS1_27scan_by_key_config_selectorIiiEEZZNS1_16scan_by_key_implILNS1_25lookback_scan_determinismE0ELb1ES3_N6thrust23THRUST_200600_302600_NS6detail15normal_iteratorINS9_10device_ptrIiEEEENSB_INSC_IjEEEENSB_INSC_IfEEEEiNS9_4plusIvEENS9_8equal_toIvEEiEE10hipError_tPvRmT2_T3_T4_T5_mT6_T7_P12ihipStream_tbENKUlT_T0_E_clISt17integral_constantIbLb0EES13_EEDaSY_SZ_EUlSY_E_NS1_11comp_targetILNS1_3genE9ELNS1_11target_archE1100ELNS1_3gpuE3ELNS1_3repE0EEENS1_30default_config_static_selectorELNS0_4arch9wavefront6targetE0EEEvT1_,"axG",@progbits,_ZN7rocprim17ROCPRIM_400000_NS6detail17trampoline_kernelINS0_14default_configENS1_27scan_by_key_config_selectorIiiEEZZNS1_16scan_by_key_implILNS1_25lookback_scan_determinismE0ELb1ES3_N6thrust23THRUST_200600_302600_NS6detail15normal_iteratorINS9_10device_ptrIiEEEENSB_INSC_IjEEEENSB_INSC_IfEEEEiNS9_4plusIvEENS9_8equal_toIvEEiEE10hipError_tPvRmT2_T3_T4_T5_mT6_T7_P12ihipStream_tbENKUlT_T0_E_clISt17integral_constantIbLb0EES13_EEDaSY_SZ_EUlSY_E_NS1_11comp_targetILNS1_3genE9ELNS1_11target_archE1100ELNS1_3gpuE3ELNS1_3repE0EEENS1_30default_config_static_selectorELNS0_4arch9wavefront6targetE0EEEvT1_,comdat
.Lfunc_end1723:
	.size	_ZN7rocprim17ROCPRIM_400000_NS6detail17trampoline_kernelINS0_14default_configENS1_27scan_by_key_config_selectorIiiEEZZNS1_16scan_by_key_implILNS1_25lookback_scan_determinismE0ELb1ES3_N6thrust23THRUST_200600_302600_NS6detail15normal_iteratorINS9_10device_ptrIiEEEENSB_INSC_IjEEEENSB_INSC_IfEEEEiNS9_4plusIvEENS9_8equal_toIvEEiEE10hipError_tPvRmT2_T3_T4_T5_mT6_T7_P12ihipStream_tbENKUlT_T0_E_clISt17integral_constantIbLb0EES13_EEDaSY_SZ_EUlSY_E_NS1_11comp_targetILNS1_3genE9ELNS1_11target_archE1100ELNS1_3gpuE3ELNS1_3repE0EEENS1_30default_config_static_selectorELNS0_4arch9wavefront6targetE0EEEvT1_, .Lfunc_end1723-_ZN7rocprim17ROCPRIM_400000_NS6detail17trampoline_kernelINS0_14default_configENS1_27scan_by_key_config_selectorIiiEEZZNS1_16scan_by_key_implILNS1_25lookback_scan_determinismE0ELb1ES3_N6thrust23THRUST_200600_302600_NS6detail15normal_iteratorINS9_10device_ptrIiEEEENSB_INSC_IjEEEENSB_INSC_IfEEEEiNS9_4plusIvEENS9_8equal_toIvEEiEE10hipError_tPvRmT2_T3_T4_T5_mT6_T7_P12ihipStream_tbENKUlT_T0_E_clISt17integral_constantIbLb0EES13_EEDaSY_SZ_EUlSY_E_NS1_11comp_targetILNS1_3genE9ELNS1_11target_archE1100ELNS1_3gpuE3ELNS1_3repE0EEENS1_30default_config_static_selectorELNS0_4arch9wavefront6targetE0EEEvT1_
                                        ; -- End function
	.set _ZN7rocprim17ROCPRIM_400000_NS6detail17trampoline_kernelINS0_14default_configENS1_27scan_by_key_config_selectorIiiEEZZNS1_16scan_by_key_implILNS1_25lookback_scan_determinismE0ELb1ES3_N6thrust23THRUST_200600_302600_NS6detail15normal_iteratorINS9_10device_ptrIiEEEENSB_INSC_IjEEEENSB_INSC_IfEEEEiNS9_4plusIvEENS9_8equal_toIvEEiEE10hipError_tPvRmT2_T3_T4_T5_mT6_T7_P12ihipStream_tbENKUlT_T0_E_clISt17integral_constantIbLb0EES13_EEDaSY_SZ_EUlSY_E_NS1_11comp_targetILNS1_3genE9ELNS1_11target_archE1100ELNS1_3gpuE3ELNS1_3repE0EEENS1_30default_config_static_selectorELNS0_4arch9wavefront6targetE0EEEvT1_.num_vgpr, 0
	.set _ZN7rocprim17ROCPRIM_400000_NS6detail17trampoline_kernelINS0_14default_configENS1_27scan_by_key_config_selectorIiiEEZZNS1_16scan_by_key_implILNS1_25lookback_scan_determinismE0ELb1ES3_N6thrust23THRUST_200600_302600_NS6detail15normal_iteratorINS9_10device_ptrIiEEEENSB_INSC_IjEEEENSB_INSC_IfEEEEiNS9_4plusIvEENS9_8equal_toIvEEiEE10hipError_tPvRmT2_T3_T4_T5_mT6_T7_P12ihipStream_tbENKUlT_T0_E_clISt17integral_constantIbLb0EES13_EEDaSY_SZ_EUlSY_E_NS1_11comp_targetILNS1_3genE9ELNS1_11target_archE1100ELNS1_3gpuE3ELNS1_3repE0EEENS1_30default_config_static_selectorELNS0_4arch9wavefront6targetE0EEEvT1_.num_agpr, 0
	.set _ZN7rocprim17ROCPRIM_400000_NS6detail17trampoline_kernelINS0_14default_configENS1_27scan_by_key_config_selectorIiiEEZZNS1_16scan_by_key_implILNS1_25lookback_scan_determinismE0ELb1ES3_N6thrust23THRUST_200600_302600_NS6detail15normal_iteratorINS9_10device_ptrIiEEEENSB_INSC_IjEEEENSB_INSC_IfEEEEiNS9_4plusIvEENS9_8equal_toIvEEiEE10hipError_tPvRmT2_T3_T4_T5_mT6_T7_P12ihipStream_tbENKUlT_T0_E_clISt17integral_constantIbLb0EES13_EEDaSY_SZ_EUlSY_E_NS1_11comp_targetILNS1_3genE9ELNS1_11target_archE1100ELNS1_3gpuE3ELNS1_3repE0EEENS1_30default_config_static_selectorELNS0_4arch9wavefront6targetE0EEEvT1_.numbered_sgpr, 0
	.set _ZN7rocprim17ROCPRIM_400000_NS6detail17trampoline_kernelINS0_14default_configENS1_27scan_by_key_config_selectorIiiEEZZNS1_16scan_by_key_implILNS1_25lookback_scan_determinismE0ELb1ES3_N6thrust23THRUST_200600_302600_NS6detail15normal_iteratorINS9_10device_ptrIiEEEENSB_INSC_IjEEEENSB_INSC_IfEEEEiNS9_4plusIvEENS9_8equal_toIvEEiEE10hipError_tPvRmT2_T3_T4_T5_mT6_T7_P12ihipStream_tbENKUlT_T0_E_clISt17integral_constantIbLb0EES13_EEDaSY_SZ_EUlSY_E_NS1_11comp_targetILNS1_3genE9ELNS1_11target_archE1100ELNS1_3gpuE3ELNS1_3repE0EEENS1_30default_config_static_selectorELNS0_4arch9wavefront6targetE0EEEvT1_.num_named_barrier, 0
	.set _ZN7rocprim17ROCPRIM_400000_NS6detail17trampoline_kernelINS0_14default_configENS1_27scan_by_key_config_selectorIiiEEZZNS1_16scan_by_key_implILNS1_25lookback_scan_determinismE0ELb1ES3_N6thrust23THRUST_200600_302600_NS6detail15normal_iteratorINS9_10device_ptrIiEEEENSB_INSC_IjEEEENSB_INSC_IfEEEEiNS9_4plusIvEENS9_8equal_toIvEEiEE10hipError_tPvRmT2_T3_T4_T5_mT6_T7_P12ihipStream_tbENKUlT_T0_E_clISt17integral_constantIbLb0EES13_EEDaSY_SZ_EUlSY_E_NS1_11comp_targetILNS1_3genE9ELNS1_11target_archE1100ELNS1_3gpuE3ELNS1_3repE0EEENS1_30default_config_static_selectorELNS0_4arch9wavefront6targetE0EEEvT1_.private_seg_size, 0
	.set _ZN7rocprim17ROCPRIM_400000_NS6detail17trampoline_kernelINS0_14default_configENS1_27scan_by_key_config_selectorIiiEEZZNS1_16scan_by_key_implILNS1_25lookback_scan_determinismE0ELb1ES3_N6thrust23THRUST_200600_302600_NS6detail15normal_iteratorINS9_10device_ptrIiEEEENSB_INSC_IjEEEENSB_INSC_IfEEEEiNS9_4plusIvEENS9_8equal_toIvEEiEE10hipError_tPvRmT2_T3_T4_T5_mT6_T7_P12ihipStream_tbENKUlT_T0_E_clISt17integral_constantIbLb0EES13_EEDaSY_SZ_EUlSY_E_NS1_11comp_targetILNS1_3genE9ELNS1_11target_archE1100ELNS1_3gpuE3ELNS1_3repE0EEENS1_30default_config_static_selectorELNS0_4arch9wavefront6targetE0EEEvT1_.uses_vcc, 0
	.set _ZN7rocprim17ROCPRIM_400000_NS6detail17trampoline_kernelINS0_14default_configENS1_27scan_by_key_config_selectorIiiEEZZNS1_16scan_by_key_implILNS1_25lookback_scan_determinismE0ELb1ES3_N6thrust23THRUST_200600_302600_NS6detail15normal_iteratorINS9_10device_ptrIiEEEENSB_INSC_IjEEEENSB_INSC_IfEEEEiNS9_4plusIvEENS9_8equal_toIvEEiEE10hipError_tPvRmT2_T3_T4_T5_mT6_T7_P12ihipStream_tbENKUlT_T0_E_clISt17integral_constantIbLb0EES13_EEDaSY_SZ_EUlSY_E_NS1_11comp_targetILNS1_3genE9ELNS1_11target_archE1100ELNS1_3gpuE3ELNS1_3repE0EEENS1_30default_config_static_selectorELNS0_4arch9wavefront6targetE0EEEvT1_.uses_flat_scratch, 0
	.set _ZN7rocprim17ROCPRIM_400000_NS6detail17trampoline_kernelINS0_14default_configENS1_27scan_by_key_config_selectorIiiEEZZNS1_16scan_by_key_implILNS1_25lookback_scan_determinismE0ELb1ES3_N6thrust23THRUST_200600_302600_NS6detail15normal_iteratorINS9_10device_ptrIiEEEENSB_INSC_IjEEEENSB_INSC_IfEEEEiNS9_4plusIvEENS9_8equal_toIvEEiEE10hipError_tPvRmT2_T3_T4_T5_mT6_T7_P12ihipStream_tbENKUlT_T0_E_clISt17integral_constantIbLb0EES13_EEDaSY_SZ_EUlSY_E_NS1_11comp_targetILNS1_3genE9ELNS1_11target_archE1100ELNS1_3gpuE3ELNS1_3repE0EEENS1_30default_config_static_selectorELNS0_4arch9wavefront6targetE0EEEvT1_.has_dyn_sized_stack, 0
	.set _ZN7rocprim17ROCPRIM_400000_NS6detail17trampoline_kernelINS0_14default_configENS1_27scan_by_key_config_selectorIiiEEZZNS1_16scan_by_key_implILNS1_25lookback_scan_determinismE0ELb1ES3_N6thrust23THRUST_200600_302600_NS6detail15normal_iteratorINS9_10device_ptrIiEEEENSB_INSC_IjEEEENSB_INSC_IfEEEEiNS9_4plusIvEENS9_8equal_toIvEEiEE10hipError_tPvRmT2_T3_T4_T5_mT6_T7_P12ihipStream_tbENKUlT_T0_E_clISt17integral_constantIbLb0EES13_EEDaSY_SZ_EUlSY_E_NS1_11comp_targetILNS1_3genE9ELNS1_11target_archE1100ELNS1_3gpuE3ELNS1_3repE0EEENS1_30default_config_static_selectorELNS0_4arch9wavefront6targetE0EEEvT1_.has_recursion, 0
	.set _ZN7rocprim17ROCPRIM_400000_NS6detail17trampoline_kernelINS0_14default_configENS1_27scan_by_key_config_selectorIiiEEZZNS1_16scan_by_key_implILNS1_25lookback_scan_determinismE0ELb1ES3_N6thrust23THRUST_200600_302600_NS6detail15normal_iteratorINS9_10device_ptrIiEEEENSB_INSC_IjEEEENSB_INSC_IfEEEEiNS9_4plusIvEENS9_8equal_toIvEEiEE10hipError_tPvRmT2_T3_T4_T5_mT6_T7_P12ihipStream_tbENKUlT_T0_E_clISt17integral_constantIbLb0EES13_EEDaSY_SZ_EUlSY_E_NS1_11comp_targetILNS1_3genE9ELNS1_11target_archE1100ELNS1_3gpuE3ELNS1_3repE0EEENS1_30default_config_static_selectorELNS0_4arch9wavefront6targetE0EEEvT1_.has_indirect_call, 0
	.section	.AMDGPU.csdata,"",@progbits
; Kernel info:
; codeLenInByte = 0
; TotalNumSgprs: 0
; NumVgprs: 0
; ScratchSize: 0
; MemoryBound: 0
; FloatMode: 240
; IeeeMode: 1
; LDSByteSize: 0 bytes/workgroup (compile time only)
; SGPRBlocks: 0
; VGPRBlocks: 0
; NumSGPRsForWavesPerEU: 1
; NumVGPRsForWavesPerEU: 1
; Occupancy: 16
; WaveLimiterHint : 0
; COMPUTE_PGM_RSRC2:SCRATCH_EN: 0
; COMPUTE_PGM_RSRC2:USER_SGPR: 6
; COMPUTE_PGM_RSRC2:TRAP_HANDLER: 0
; COMPUTE_PGM_RSRC2:TGID_X_EN: 1
; COMPUTE_PGM_RSRC2:TGID_Y_EN: 0
; COMPUTE_PGM_RSRC2:TGID_Z_EN: 0
; COMPUTE_PGM_RSRC2:TIDIG_COMP_CNT: 0
	.section	.text._ZN7rocprim17ROCPRIM_400000_NS6detail17trampoline_kernelINS0_14default_configENS1_27scan_by_key_config_selectorIiiEEZZNS1_16scan_by_key_implILNS1_25lookback_scan_determinismE0ELb1ES3_N6thrust23THRUST_200600_302600_NS6detail15normal_iteratorINS9_10device_ptrIiEEEENSB_INSC_IjEEEENSB_INSC_IfEEEEiNS9_4plusIvEENS9_8equal_toIvEEiEE10hipError_tPvRmT2_T3_T4_T5_mT6_T7_P12ihipStream_tbENKUlT_T0_E_clISt17integral_constantIbLb0EES13_EEDaSY_SZ_EUlSY_E_NS1_11comp_targetILNS1_3genE8ELNS1_11target_archE1030ELNS1_3gpuE2ELNS1_3repE0EEENS1_30default_config_static_selectorELNS0_4arch9wavefront6targetE0EEEvT1_,"axG",@progbits,_ZN7rocprim17ROCPRIM_400000_NS6detail17trampoline_kernelINS0_14default_configENS1_27scan_by_key_config_selectorIiiEEZZNS1_16scan_by_key_implILNS1_25lookback_scan_determinismE0ELb1ES3_N6thrust23THRUST_200600_302600_NS6detail15normal_iteratorINS9_10device_ptrIiEEEENSB_INSC_IjEEEENSB_INSC_IfEEEEiNS9_4plusIvEENS9_8equal_toIvEEiEE10hipError_tPvRmT2_T3_T4_T5_mT6_T7_P12ihipStream_tbENKUlT_T0_E_clISt17integral_constantIbLb0EES13_EEDaSY_SZ_EUlSY_E_NS1_11comp_targetILNS1_3genE8ELNS1_11target_archE1030ELNS1_3gpuE2ELNS1_3repE0EEENS1_30default_config_static_selectorELNS0_4arch9wavefront6targetE0EEEvT1_,comdat
	.protected	_ZN7rocprim17ROCPRIM_400000_NS6detail17trampoline_kernelINS0_14default_configENS1_27scan_by_key_config_selectorIiiEEZZNS1_16scan_by_key_implILNS1_25lookback_scan_determinismE0ELb1ES3_N6thrust23THRUST_200600_302600_NS6detail15normal_iteratorINS9_10device_ptrIiEEEENSB_INSC_IjEEEENSB_INSC_IfEEEEiNS9_4plusIvEENS9_8equal_toIvEEiEE10hipError_tPvRmT2_T3_T4_T5_mT6_T7_P12ihipStream_tbENKUlT_T0_E_clISt17integral_constantIbLb0EES13_EEDaSY_SZ_EUlSY_E_NS1_11comp_targetILNS1_3genE8ELNS1_11target_archE1030ELNS1_3gpuE2ELNS1_3repE0EEENS1_30default_config_static_selectorELNS0_4arch9wavefront6targetE0EEEvT1_ ; -- Begin function _ZN7rocprim17ROCPRIM_400000_NS6detail17trampoline_kernelINS0_14default_configENS1_27scan_by_key_config_selectorIiiEEZZNS1_16scan_by_key_implILNS1_25lookback_scan_determinismE0ELb1ES3_N6thrust23THRUST_200600_302600_NS6detail15normal_iteratorINS9_10device_ptrIiEEEENSB_INSC_IjEEEENSB_INSC_IfEEEEiNS9_4plusIvEENS9_8equal_toIvEEiEE10hipError_tPvRmT2_T3_T4_T5_mT6_T7_P12ihipStream_tbENKUlT_T0_E_clISt17integral_constantIbLb0EES13_EEDaSY_SZ_EUlSY_E_NS1_11comp_targetILNS1_3genE8ELNS1_11target_archE1030ELNS1_3gpuE2ELNS1_3repE0EEENS1_30default_config_static_selectorELNS0_4arch9wavefront6targetE0EEEvT1_
	.globl	_ZN7rocprim17ROCPRIM_400000_NS6detail17trampoline_kernelINS0_14default_configENS1_27scan_by_key_config_selectorIiiEEZZNS1_16scan_by_key_implILNS1_25lookback_scan_determinismE0ELb1ES3_N6thrust23THRUST_200600_302600_NS6detail15normal_iteratorINS9_10device_ptrIiEEEENSB_INSC_IjEEEENSB_INSC_IfEEEEiNS9_4plusIvEENS9_8equal_toIvEEiEE10hipError_tPvRmT2_T3_T4_T5_mT6_T7_P12ihipStream_tbENKUlT_T0_E_clISt17integral_constantIbLb0EES13_EEDaSY_SZ_EUlSY_E_NS1_11comp_targetILNS1_3genE8ELNS1_11target_archE1030ELNS1_3gpuE2ELNS1_3repE0EEENS1_30default_config_static_selectorELNS0_4arch9wavefront6targetE0EEEvT1_
	.p2align	8
	.type	_ZN7rocprim17ROCPRIM_400000_NS6detail17trampoline_kernelINS0_14default_configENS1_27scan_by_key_config_selectorIiiEEZZNS1_16scan_by_key_implILNS1_25lookback_scan_determinismE0ELb1ES3_N6thrust23THRUST_200600_302600_NS6detail15normal_iteratorINS9_10device_ptrIiEEEENSB_INSC_IjEEEENSB_INSC_IfEEEEiNS9_4plusIvEENS9_8equal_toIvEEiEE10hipError_tPvRmT2_T3_T4_T5_mT6_T7_P12ihipStream_tbENKUlT_T0_E_clISt17integral_constantIbLb0EES13_EEDaSY_SZ_EUlSY_E_NS1_11comp_targetILNS1_3genE8ELNS1_11target_archE1030ELNS1_3gpuE2ELNS1_3repE0EEENS1_30default_config_static_selectorELNS0_4arch9wavefront6targetE0EEEvT1_,@function
_ZN7rocprim17ROCPRIM_400000_NS6detail17trampoline_kernelINS0_14default_configENS1_27scan_by_key_config_selectorIiiEEZZNS1_16scan_by_key_implILNS1_25lookback_scan_determinismE0ELb1ES3_N6thrust23THRUST_200600_302600_NS6detail15normal_iteratorINS9_10device_ptrIiEEEENSB_INSC_IjEEEENSB_INSC_IfEEEEiNS9_4plusIvEENS9_8equal_toIvEEiEE10hipError_tPvRmT2_T3_T4_T5_mT6_T7_P12ihipStream_tbENKUlT_T0_E_clISt17integral_constantIbLb0EES13_EEDaSY_SZ_EUlSY_E_NS1_11comp_targetILNS1_3genE8ELNS1_11target_archE1030ELNS1_3gpuE2ELNS1_3repE0EEENS1_30default_config_static_selectorELNS0_4arch9wavefront6targetE0EEEvT1_: ; @_ZN7rocprim17ROCPRIM_400000_NS6detail17trampoline_kernelINS0_14default_configENS1_27scan_by_key_config_selectorIiiEEZZNS1_16scan_by_key_implILNS1_25lookback_scan_determinismE0ELb1ES3_N6thrust23THRUST_200600_302600_NS6detail15normal_iteratorINS9_10device_ptrIiEEEENSB_INSC_IjEEEENSB_INSC_IfEEEEiNS9_4plusIvEENS9_8equal_toIvEEiEE10hipError_tPvRmT2_T3_T4_T5_mT6_T7_P12ihipStream_tbENKUlT_T0_E_clISt17integral_constantIbLb0EES13_EEDaSY_SZ_EUlSY_E_NS1_11comp_targetILNS1_3genE8ELNS1_11target_archE1030ELNS1_3gpuE2ELNS1_3repE0EEENS1_30default_config_static_selectorELNS0_4arch9wavefront6targetE0EEEvT1_
; %bb.0:
	s_clause 0x5
	s_load_dwordx8 s[8:15], s[4:5], 0x0
	s_load_dwordx2 s[24:25], s[4:5], 0x38
	s_load_dword s2, s[4:5], 0x40
	s_load_dwordx4 s[20:23], s[4:5], 0x48
	s_load_dword s26, s[4:5], 0x20
	s_load_dwordx4 s[16:19], s[4:5], 0x28
	s_mov_b32 s1, 0
	s_mul_i32 s0, s6, 0x300
	s_waitcnt lgkmcnt(0)
	s_barrier
	buffer_gl0_inv
	s_lshl_b64 s[4:5], s[10:11], 2
	s_add_u32 s10, s8, s4
	s_addc_u32 s11, s9, s5
	s_mul_i32 s3, s25, s2
	s_mul_hi_u32 s7, s24, s2
	s_add_u32 s12, s12, s4
	s_addc_u32 s13, s13, s5
	s_lshl_b64 s[8:9], s[0:1], 2
	s_add_i32 s7, s7, s3
	s_add_u32 s10, s10, s8
	s_addc_u32 s11, s11, s9
	s_mul_i32 s0, s24, s2
	s_add_u32 s3, s12, s8
	s_addc_u32 s13, s13, s9
	s_add_u32 s28, s0, s6
	s_addc_u32 s29, s7, 0
	s_add_u32 s20, s20, -1
	s_addc_u32 s21, s21, -1
	s_mul_i32 s12, s20, 0xfffffd00
	v_cmp_ge_u64_e64 s7, s[28:29], s[20:21]
	s_and_b32 vcc_lo, exec_lo, s7
	s_cbranch_vccz .LBB1724_20
; %bb.1:
	v_mov_b32_e32 v1, s10
	v_mov_b32_e32 v2, s11
	s_add_i32 s19, s12, s18
	v_cmp_gt_u32_e32 vcc_lo, s19, v0
	flat_load_dword v1, v[1:2]
	s_waitcnt vmcnt(0) lgkmcnt(0)
	v_mov_b32_e32 v2, v1
	s_and_saveexec_b32 s0, vcc_lo
	s_cbranch_execz .LBB1724_3
; %bb.2:
	v_lshlrev_b32_e32 v2, 2, v0
	v_add_co_u32 v2, s1, s10, v2
	v_add_co_ci_u32_e64 v3, null, s11, 0, s1
	flat_load_dword v2, v[2:3]
.LBB1724_3:
	s_or_b32 exec_lo, exec_lo, s0
	v_or_b32_e32 v3, 0x100, v0
	v_cmp_gt_u32_e64 s0, s19, v3
	v_mov_b32_e32 v3, v1
	s_and_saveexec_b32 s1, s0
	s_cbranch_execz .LBB1724_5
; %bb.4:
	v_lshlrev_b32_e32 v3, 2, v0
	v_add_co_u32 v3, s2, s10, v3
	v_add_co_ci_u32_e64 v4, null, s11, 0, s2
	flat_load_dword v3, v[3:4] offset:1024
.LBB1724_5:
	s_or_b32 exec_lo, exec_lo, s1
	v_or_b32_e32 v4, 0x200, v0
	v_cmp_gt_u32_e64 s1, s19, v4
	v_lshlrev_b32_e32 v9, 2, v4
	s_and_saveexec_b32 s2, s1
	s_cbranch_execz .LBB1724_7
; %bb.6:
	v_add_co_u32 v4, s20, s10, v9
	v_add_co_ci_u32_e64 v5, null, s11, 0, s20
	flat_load_dword v1, v[4:5]
.LBB1724_7:
	s_or_b32 exec_lo, exec_lo, s2
	v_mov_b32_e32 v4, s10
	v_lshlrev_b32_e32 v10, 2, v0
	v_mov_b32_e32 v5, s11
	s_mov_b32 s20, exec_lo
	s_waitcnt vmcnt(0) lgkmcnt(0)
	ds_write2st64_b32 v10, v2, v3 offset1:4
	ds_write_b32 v10, v1 offset:2048
	s_waitcnt lgkmcnt(0)
	s_barrier
	buffer_gl0_inv
	flat_load_dword v8, v[4:5]
	v_lshlrev_b32_e32 v1, 3, v0
	v_add_nc_u32_e32 v6, v10, v1
	ds_read_b32 v7, v6
	ds_read2_b32 v[4:5], v6 offset0:1 offset1:2
	s_waitcnt lgkmcnt(1)
	ds_write_b32 v10, v7 offset:4096
	s_waitcnt vmcnt(0) lgkmcnt(0)
	s_barrier
	buffer_gl0_inv
	v_cmpx_ne_u32_e32 0xff, v0
; %bb.8:
	v_sub_nc_u32_e32 v1, 0, v1
	v_add_nc_u32_e32 v1, v6, v1
	ds_read_b32 v8, v1 offset:4100
; %bb.9:
	s_or_b32 exec_lo, exec_lo, s20
	v_mov_b32_e32 v1, 0
	s_waitcnt lgkmcnt(0)
	s_barrier
	buffer_gl0_inv
	v_mov_b32_e32 v2, v1
	v_mov_b32_e32 v3, v1
	s_and_saveexec_b32 s2, vcc_lo
	s_cbranch_execnz .LBB1724_90
; %bb.10:
	s_or_b32 exec_lo, exec_lo, s2
	s_and_saveexec_b32 s2, s0
	s_cbranch_execnz .LBB1724_91
.LBB1724_11:
	s_or_b32 exec_lo, exec_lo, s2
	v_mul_u32_u24_e32 v13, 3, v0
	s_and_saveexec_b32 s0, s1
	s_cbranch_execz .LBB1724_13
.LBB1724_12:
	v_add_co_u32 v11, s1, s3, v9
	v_add_co_ci_u32_e64 v12, null, s13, 0, s1
	flat_load_dword v3, v[11:12]
.LBB1724_13:
	s_or_b32 exec_lo, exec_lo, s0
	s_waitcnt vmcnt(0) lgkmcnt(0)
	ds_write2st64_b32 v10, v1, v2 offset1:4
	ds_write_b32 v10, v3 offset:2048
	v_mov_b32_e32 v9, 0
	v_mov_b32_e32 v1, 0
	;; [unrolled: 1-line block ×6, first 2 shown]
	s_mov_b32 s2, 0
	s_mov_b32 s1, 0
	s_mov_b32 s20, exec_lo
	s_waitcnt lgkmcnt(0)
	s_barrier
	buffer_gl0_inv
                                        ; implicit-def: $sgpr0
                                        ; implicit-def: $vgpr3
	v_cmpx_gt_u32_e64 s19, v13
	s_cbranch_execz .LBB1724_19
; %bb.14:
	ds_read_b32 v3, v6
	v_cmp_ne_u32_e32 vcc_lo, v7, v4
	v_mov_b32_e32 v1, 0
	v_add_nc_u32_e32 v11, 1, v13
	v_mov_b32_e32 v2, 0
	s_mov_b32 s21, 0
	v_cndmask_b32_e64 v10, 0, 1, vcc_lo
	v_cmp_eq_u32_e32 vcc_lo, v7, v4
	s_mov_b32 s1, exec_lo
                                        ; implicit-def: $sgpr0
	s_waitcnt lgkmcnt(0)
	v_cndmask_b32_e32 v9, s26, v3, vcc_lo
                                        ; implicit-def: $vgpr3
	v_cmpx_gt_u32_e64 s19, v11
	s_cbranch_execz .LBB1724_18
; %bb.15:
	ds_read2_b32 v[6:7], v6 offset0:1 offset1:2
	v_cmp_ne_u32_e32 vcc_lo, v4, v5
	v_add_nc_u32_e32 v3, 2, v13
                                        ; implicit-def: $sgpr0
	v_cndmask_b32_e64 v2, 0, 1, vcc_lo
	v_cmp_eq_u32_e32 vcc_lo, v4, v5
	s_waitcnt lgkmcnt(0)
	v_cndmask_b32_e32 v1, s26, v6, vcc_lo
	v_cmp_gt_u32_e32 vcc_lo, s19, v3
	s_mov_b32 s19, 0
                                        ; implicit-def: $vgpr3
	s_and_saveexec_b32 s21, vcc_lo
	s_xor_b32 s21, exec_lo, s21
; %bb.16:
	v_cmp_ne_u32_e64 s0, v5, v8
	s_mov_b32 s19, exec_lo
	v_cndmask_b32_e64 v3, v7, s26, s0
; %bb.17:
	s_or_b32 exec_lo, exec_lo, s21
	s_and_b32 s21, s19, exec_lo
.LBB1724_18:
	s_or_b32 exec_lo, exec_lo, s1
	v_mov_b32_e32 v12, v2
	v_mov_b32_e32 v11, v1
	s_and_b32 s1, s21, exec_lo
.LBB1724_19:
	s_or_b32 exec_lo, exec_lo, s20
	v_lshlrev_b32_e32 v18, 2, v0
	v_lshlrev_b32_e32 v19, 3, v0
	s_and_b32 vcc_lo, exec_lo, s2
	s_cbranch_vccnz .LBB1724_21
	s_branch .LBB1724_24
.LBB1724_20:
                                        ; implicit-def: $sgpr0
                                        ; implicit-def: $vgpr3
                                        ; implicit-def: $vgpr9_vgpr10
                                        ; implicit-def: $vgpr1_vgpr2
                                        ; implicit-def: $vgpr11_vgpr12
	v_lshlrev_b32_e32 v18, 2, v0
	v_lshlrev_b32_e32 v19, 3, v0
	s_cbranch_execz .LBB1724_24
.LBB1724_21:
	v_add_co_u32 v1, s0, s10, v18
	v_add_co_ci_u32_e64 v2, null, s11, 0, s0
	v_add_co_u32 v3, vcc_lo, 0x800, v1
	v_add_co_ci_u32_e64 v4, null, 0, v2, vcc_lo
	s_clause 0x2
	flat_load_dword v5, v[1:2]
	flat_load_dword v6, v[1:2] offset:1024
	flat_load_dword v3, v[3:4]
	v_add_co_u32 v1, s0, 0x800, s10
	v_add_co_ci_u32_e64 v2, null, 0, s11, s0
	s_mov_b32 s0, exec_lo
	s_waitcnt vmcnt(1) lgkmcnt(1)
	ds_write2st64_b32 v18, v5, v6 offset1:4
	s_waitcnt vmcnt(0) lgkmcnt(1)
	ds_write_b32 v18, v3 offset:2048
	s_waitcnt lgkmcnt(0)
	s_barrier
	buffer_gl0_inv
	flat_load_dword v5, v[1:2] offset:1024
	v_add_nc_u32_e32 v1, v18, v19
	ds_read_b32 v6, v1
	ds_read2_b32 v[3:4], v1 offset0:1 offset1:2
	s_waitcnt lgkmcnt(1)
	ds_write_b32 v18, v6 offset:4096
	s_waitcnt vmcnt(0) lgkmcnt(0)
	s_barrier
	buffer_gl0_inv
	v_cmpx_ne_u32_e32 0xff, v0
; %bb.22:
	v_sub_nc_u32_e32 v2, 0, v19
	v_add_nc_u32_e32 v2, v1, v2
	ds_read_b32 v5, v2 offset:4100
; %bb.23:
	s_or_b32 exec_lo, exec_lo, s0
	v_add_co_u32 v7, s0, s3, v18
	v_add_co_ci_u32_e64 v8, null, s13, 0, s0
	s_waitcnt lgkmcnt(0)
	v_add_co_u32 v9, vcc_lo, 0x800, v7
	v_add_co_ci_u32_e64 v10, null, 0, v8, vcc_lo
	s_barrier
	buffer_gl0_inv
	s_clause 0x2
	flat_load_dword v2, v[7:8]
	flat_load_dword v7, v[7:8] offset:1024
	flat_load_dword v8, v[9:10]
	v_cmp_eq_u32_e32 vcc_lo, v6, v3
	v_cmp_ne_u32_e64 s0, v4, v5
	s_mov_b32 s1, -1
	s_waitcnt vmcnt(1) lgkmcnt(1)
	ds_write2st64_b32 v18, v2, v7 offset1:4
	s_waitcnt vmcnt(0) lgkmcnt(1)
	ds_write_b32 v18, v8 offset:2048
	s_waitcnt lgkmcnt(0)
	s_barrier
	buffer_gl0_inv
	ds_read2_b32 v[7:8], v1 offset1:1
	ds_read_b32 v11, v1 offset:8
	s_waitcnt lgkmcnt(1)
	v_cndmask_b32_e32 v9, s26, v7, vcc_lo
	v_cmp_eq_u32_e32 vcc_lo, v3, v4
	v_cndmask_b32_e32 v1, s26, v8, vcc_lo
	v_cmp_ne_u32_e32 vcc_lo, v3, v4
	v_cndmask_b32_e64 v2, 0, 1, vcc_lo
	v_cmp_ne_u32_e32 vcc_lo, v6, v3
	s_waitcnt lgkmcnt(0)
	v_cndmask_b32_e64 v3, v11, s26, s0
	v_mov_b32_e32 v12, v2
	v_cndmask_b32_e64 v10, 0, 1, vcc_lo
	v_mov_b32_e32 v11, v1
.LBB1724_24:
	v_mov_b32_e32 v13, 0
	v_mov_b32_e32 v14, 0
	s_and_saveexec_b32 s2, s1
; %bb.25:
	v_cndmask_b32_e64 v4, 0, 1, s0
	v_mov_b32_e32 v12, v2
	v_mov_b32_e32 v11, v1
	;; [unrolled: 1-line block ×4, first 2 shown]
; %bb.26:
	s_or_b32 exec_lo, exec_lo, s2
	v_or_b32_e32 v23, v12, v14
	v_mbcnt_lo_u32_b32 v20, -1, 0
	v_lshrrev_b32_e32 v21, 5, v0
	v_or_b32_e32 v22, 31, v0
	s_cmp_lg_u32 s6, 0
	s_mov_b32 s2, 0
	s_barrier
	buffer_gl0_inv
	s_cbranch_scc0 .LBB1724_52
; %bb.27:
	v_and_b32_e32 v2, 0xff, v23
	v_mov_b32_e32 v1, 0
	s_mov_b32 s3, 1
	v_cmp_gt_u64_e64 s0, s[2:3], v[11:12]
	v_cmp_eq_u64_e32 vcc_lo, 0, v[1:2]
	v_cndmask_b32_e64 v3, 0, v9, s0
	v_cndmask_b32_e32 v2, 1, v10, vcc_lo
	v_cmp_gt_u64_e32 vcc_lo, s[2:3], v[13:14]
	v_add_nc_u32_e32 v3, v3, v11
	v_and_b32_e32 v4, 0xff, v2
	v_and_b32_e32 v6, 1, v2
	v_cndmask_b32_e32 v3, 0, v3, vcc_lo
	v_mov_b32_dpp v5, v4 row_shr:1 row_mask:0xf bank_mask:0xf
	v_cmp_eq_u32_e32 vcc_lo, 1, v6
	v_and_b32_e32 v6, 15, v20
	v_add_nc_u32_e32 v3, v3, v13
	v_and_b32_e32 v5, 1, v5
	v_mov_b32_dpp v7, v3 row_shr:1 row_mask:0xf bank_mask:0xf
	v_cndmask_b32_e64 v5, v5, 1, vcc_lo
	v_cmp_eq_u16_e32 vcc_lo, 0, v4
	v_and_b32_e32 v8, 0xffff, v5
	v_cndmask_b32_e32 v7, 0, v7, vcc_lo
	v_cmp_eq_u32_e32 vcc_lo, 0, v6
	v_cndmask_b32_e32 v4, v8, v4, vcc_lo
	v_cndmask_b32_e32 v2, v5, v2, vcc_lo
	v_cndmask_b32_e64 v7, v7, 0, vcc_lo
	v_mov_b32_dpp v5, v4 row_shr:2 row_mask:0xf bank_mask:0xf
	v_and_b32_e32 v8, 1, v2
	v_add_nc_u32_e32 v3, v7, v3
	v_cmp_eq_u16_sdwa s2, v2, v1 src0_sel:BYTE_0 src1_sel:DWORD
	v_and_b32_e32 v5, 1, v5
	v_cmp_eq_u32_e32 vcc_lo, 1, v8
	v_cndmask_b32_e64 v5, v5, 1, vcc_lo
	v_cmp_lt_u32_e32 vcc_lo, 1, v6
	v_and_b32_e32 v8, 0xffff, v5
	v_cndmask_b32_e32 v5, v2, v5, vcc_lo
	v_mov_b32_dpp v2, v3 row_shr:2 row_mask:0xf bank_mask:0xf
	v_cndmask_b32_e32 v4, v4, v8, vcc_lo
	v_and_b32_e32 v7, 1, v5
	s_and_b32 vcc_lo, vcc_lo, s2
	v_cndmask_b32_e32 v2, 0, v2, vcc_lo
	v_mov_b32_dpp v8, v4 row_shr:4 row_mask:0xf bank_mask:0xf
	v_cmp_eq_u32_e64 s1, 1, v7
	v_cmp_lt_u32_e32 vcc_lo, 3, v6
	v_add_nc_u32_e32 v2, v2, v3
	v_and_b32_e32 v8, 1, v8
	v_cndmask_b32_e64 v7, v8, 1, s1
	v_cmp_eq_u16_sdwa s1, v5, v1 src0_sel:BYTE_0 src1_sel:DWORD
	v_and_b32_e32 v8, 0xffff, v7
	v_cndmask_b32_e32 v3, v5, v7, vcc_lo
	v_mov_b32_dpp v5, v2 row_shr:4 row_mask:0xf bank_mask:0xf
	v_cndmask_b32_e32 v4, v4, v8, vcc_lo
	s_and_b32 vcc_lo, vcc_lo, s1
	v_and_b32_e32 v8, 1, v3
	v_cndmask_b32_e32 v5, 0, v5, vcc_lo
	v_cmp_eq_u16_sdwa s1, v3, v1 src0_sel:BYTE_0 src1_sel:DWORD
	v_mov_b32_dpp v7, v4 row_shr:8 row_mask:0xf bank_mask:0xf
	v_cmp_eq_u32_e32 vcc_lo, 1, v8
	v_add_nc_u32_e32 v2, v5, v2
	v_and_b32_e32 v7, 1, v7
	v_cndmask_b32_e64 v5, v7, 1, vcc_lo
	v_cmp_lt_u32_e32 vcc_lo, 7, v6
	v_mov_b32_dpp v6, v2 row_shr:8 row_mask:0xf bank_mask:0xf
	s_and_b32 s1, vcc_lo, s1
	v_cndmask_b32_e32 v7, v3, v5, vcc_lo
	v_cndmask_b32_e64 v3, 0, v6, s1
	v_and_b32_e32 v5, 0xffff, v5
	v_and_b32_e32 v6, 16, v20
	v_add_nc_u32_e32 v2, v3, v2
	v_cndmask_b32_e32 v3, v4, v5, vcc_lo
	v_cmp_eq_u16_sdwa vcc_lo, v7, v1 src0_sel:BYTE_0 src1_sel:DWORD
	v_bfe_i32 v5, v20, 4, 1
	v_cmp_eq_u32_e64 s1, 0, v6
	ds_swizzle_b32 v4, v2 offset:swizzle(BROADCAST,32,15)
	ds_swizzle_b32 v3, v3 offset:swizzle(BROADCAST,32,15)
	s_waitcnt lgkmcnt(1)
	v_cndmask_b32_e32 v1, 0, v4, vcc_lo
	v_and_b32_e32 v4, 1, v7
	s_waitcnt lgkmcnt(0)
	v_and_b32_e32 v3, 1, v3
	v_and_b32_e32 v1, v5, v1
	v_cmp_eq_u32_e32 vcc_lo, 1, v4
	v_lshlrev_b32_e32 v5, 3, v21
	v_cndmask_b32_e64 v4, v3, 1, vcc_lo
	v_add_nc_u32_e32 v3, v1, v2
	v_cndmask_b32_e64 v4, v4, v7, s1
	s_mov_b32 s1, exec_lo
	v_cmpx_eq_u32_e64 v0, v22
	s_cbranch_execz .LBB1724_29
; %bb.28:
	ds_write_b32 v5, v3
	ds_write_b8 v5, v4 offset:4
.LBB1724_29:
	s_or_b32 exec_lo, exec_lo, s1
	s_mov_b32 s1, exec_lo
	s_waitcnt lgkmcnt(0)
	s_barrier
	buffer_gl0_inv
	v_cmpx_gt_u32_e32 8, v0
	s_cbranch_execz .LBB1724_35
; %bb.30:
	ds_read_b64 v[1:2], v19
	v_and_b32_e32 v6, 7, v20
	s_mov_b32 s2, exec_lo
	s_waitcnt lgkmcnt(0)
	v_and_b32_e32 v7, 0xffffff00, v2
	v_mov_b32_dpp v15, v1 row_shr:1 row_mask:0xf bank_mask:0xf
	v_mov_b32_dpp v16, v2 row_shr:1 row_mask:0xf bank_mask:0xf
	v_mov_b32_e32 v8, v2
	v_cmpx_ne_u32_e32 0, v6
	s_cbranch_execz .LBB1724_32
; %bb.31:
	v_mov_b32_e32 v8, 0
	v_and_b32_e32 v17, 1, v2
	v_and_b32_e32 v16, 1, v16
	v_cmp_eq_u16_sdwa vcc_lo, v2, v8 src0_sel:BYTE_0 src1_sel:DWORD
	v_cndmask_b32_e32 v2, 0, v15, vcc_lo
	v_cmp_eq_u32_e32 vcc_lo, 1, v17
	v_add_nc_u32_e32 v1, v2, v1
	v_cndmask_b32_e64 v15, v16, 1, vcc_lo
	v_or_b32_sdwa v8, v7, v15 dst_sel:DWORD dst_unused:UNUSED_PAD src0_sel:DWORD src1_sel:WORD_0
	v_mov_b32_e32 v2, v15
.LBB1724_32:
	s_or_b32 exec_lo, exec_lo, s2
	v_mov_b32_dpp v15, v1 row_shr:2 row_mask:0xf bank_mask:0xf
	v_mov_b32_dpp v16, v8 row_shr:2 row_mask:0xf bank_mask:0xf
	s_mov_b32 s2, exec_lo
	v_cmpx_lt_u32_e32 1, v6
	s_cbranch_execz .LBB1724_34
; %bb.33:
	v_mov_b32_e32 v8, 0
	v_and_b32_e32 v17, 1, v2
	v_and_b32_e32 v16, 1, v16
	v_cmp_eq_u16_sdwa vcc_lo, v2, v8 src0_sel:BYTE_0 src1_sel:DWORD
	v_cndmask_b32_e32 v2, 0, v15, vcc_lo
	v_cmp_eq_u32_e32 vcc_lo, 1, v17
	v_add_nc_u32_e32 v1, v2, v1
	v_cndmask_b32_e64 v15, v16, 1, vcc_lo
	v_or_b32_sdwa v8, v7, v15 dst_sel:DWORD dst_unused:UNUSED_PAD src0_sel:DWORD src1_sel:WORD_0
	v_mov_b32_e32 v2, v15
.LBB1724_34:
	s_or_b32 exec_lo, exec_lo, s2
	v_mov_b32_dpp v7, v8 row_shr:4 row_mask:0xf bank_mask:0xf
	v_and_b32_e32 v15, 1, v2
	v_mov_b32_e32 v8, 0
	v_and_b32_e32 v7, 1, v7
	v_cmp_eq_u32_e32 vcc_lo, 1, v15
	v_cmp_eq_u16_sdwa s2, v2, v8 src0_sel:BYTE_0 src1_sel:DWORD
	v_cndmask_b32_e64 v7, v7, 1, vcc_lo
	v_cmp_lt_u32_e32 vcc_lo, 3, v6
	v_mov_b32_dpp v6, v1 row_shr:4 row_mask:0xf bank_mask:0xf
	v_cndmask_b32_e32 v2, v2, v7, vcc_lo
	s_and_b32 vcc_lo, vcc_lo, s2
	v_cndmask_b32_e32 v6, 0, v6, vcc_lo
	v_add_nc_u32_e32 v1, v6, v1
	ds_write_b32 v19, v1
	ds_write_b8 v19, v2 offset:4
.LBB1724_35:
	s_or_b32 exec_lo, exec_lo, s1
	v_mov_b32_e32 v25, 0
	v_mov_b32_e32 v24, 0
	s_mov_b32 s2, exec_lo
	v_cmp_gt_u32_e32 vcc_lo, 32, v0
	s_waitcnt lgkmcnt(0)
	s_barrier
	buffer_gl0_inv
	v_cmpx_lt_u32_e32 31, v0
	s_cbranch_execz .LBB1724_37
; %bb.36:
	v_add_nc_u32_e32 v1, -8, v5
	v_and_b32_e32 v2, 1, v4
	ds_read_b32 v24, v1
	v_add_nc_u32_e32 v1, -4, v5
	ds_read_u8 v25, v1
	v_mov_b32_e32 v1, 0
	v_cmp_eq_u16_sdwa s1, v4, v1 src0_sel:BYTE_0 src1_sel:DWORD
	s_waitcnt lgkmcnt(1)
	v_cndmask_b32_e64 v1, 0, v24, s1
	v_cmp_eq_u32_e64 s1, 1, v2
	v_add_nc_u32_e32 v3, v1, v3
	s_waitcnt lgkmcnt(0)
	v_cndmask_b32_e64 v4, v25, 1, s1
.LBB1724_37:
	s_or_b32 exec_lo, exec_lo, s2
	v_sub_co_u32 v1, s1, v20, 1
	v_and_b32_e32 v2, 0xff, v4
	v_cmp_gt_i32_e64 s2, 0, v1
	v_cndmask_b32_e64 v1, v1, v20, s2
	v_lshlrev_b32_e32 v1, 2, v1
	ds_bpermute_b32 v26, v1, v3
	ds_bpermute_b32 v27, v1, v2
	s_and_saveexec_b32 s3, vcc_lo
	s_cbranch_execz .LBB1724_57
; %bb.38:
	v_mov_b32_e32 v4, 0
	ds_read_b64 v[1:2], v4 offset:56
	s_and_saveexec_b32 s2, s1
	s_cbranch_execz .LBB1724_40
; %bb.39:
	s_add_i32 s10, s6, 32
	s_mov_b32 s11, 0
	v_mov_b32_e32 v3, 1
	s_lshl_b64 s[10:11], s[10:11], 4
	s_add_u32 s10, s16, s10
	s_addc_u32 s11, s17, s11
	v_mov_b32_e32 v5, s10
	v_mov_b32_e32 v6, s11
	s_waitcnt lgkmcnt(0)
	;;#ASMSTART
	global_store_dwordx4 v[5:6], v[1:4] off	
s_waitcnt vmcnt(0)
	;;#ASMEND
.LBB1724_40:
	s_or_b32 exec_lo, exec_lo, s2
	v_xad_u32 v15, v20, -1, s6
	s_mov_b32 s10, 0
	v_add_nc_u32_e32 v3, 32, v15
	v_lshlrev_b64 v[5:6], 4, v[3:4]
	v_add_co_u32 v16, vcc_lo, s16, v5
	v_add_co_ci_u32_e64 v17, null, s17, v6, vcc_lo
	;;#ASMSTART
	global_load_dwordx4 v[5:8], v[16:17] off glc dlc	
s_waitcnt vmcnt(0)
	;;#ASMEND
	v_and_b32_e32 v6, 0xff, v6
	v_cmp_eq_u16_sdwa s11, v7, v4 src0_sel:BYTE_0 src1_sel:DWORD
	s_and_saveexec_b32 s2, s11
	s_cbranch_execz .LBB1724_44
; %bb.41:
	v_mov_b32_e32 v3, 0
.LBB1724_42:                            ; =>This Inner Loop Header: Depth=1
	;;#ASMSTART
	global_load_dwordx4 v[5:8], v[16:17] off glc dlc	
s_waitcnt vmcnt(0)
	;;#ASMEND
	v_cmp_ne_u16_sdwa s11, v7, v3 src0_sel:BYTE_0 src1_sel:DWORD
	s_or_b32 s10, s11, s10
	s_andn2_b32 exec_lo, exec_lo, s10
	s_cbranch_execnz .LBB1724_42
; %bb.43:
	s_or_b32 exec_lo, exec_lo, s10
	v_and_b32_e32 v6, 0xff, v6
.LBB1724_44:
	s_or_b32 exec_lo, exec_lo, s2
	v_cmp_ne_u32_e32 vcc_lo, 31, v20
	v_mov_b32_e32 v28, 2
	v_lshlrev_b32_e64 v29, v20, -1
	v_and_b32_e32 v8, 1, v6
	s_mov_b32 s10, 0
	v_add_co_ci_u32_e64 v3, null, 0, v20, vcc_lo
	v_cmp_eq_u16_sdwa s2, v7, v28 src0_sel:BYTE_0 src1_sel:DWORD
	v_cmp_eq_u32_e32 vcc_lo, 1, v8
	s_mov_b32 s11, 1
	v_lshlrev_b32_e32 v17, 2, v3
	v_add_nc_u32_e32 v37, 8, v20
	v_and_or_b32 v4, s2, v29, 0x80000000
	v_cmp_gt_u64_e64 s2, s[10:11], v[5:6]
	v_lshl_or_b32 v38, v20, 2, 64
	ds_bpermute_b32 v3, v17, v6
	ds_bpermute_b32 v16, v17, v5
	v_ffbl_b32_e32 v4, v4
	v_add_nc_u32_e32 v39, 16, v20
	s_waitcnt lgkmcnt(1)
	v_and_b32_e32 v3, 1, v3
	v_cndmask_b32_e64 v3, v3, 1, vcc_lo
	v_cmp_gt_u32_e32 vcc_lo, 30, v20
	v_and_b32_e32 v31, 0xffff, v3
	v_cndmask_b32_e64 v8, 0, 2, vcc_lo
	v_cmp_lt_u32_e32 vcc_lo, v20, v4
	v_add_lshl_u32 v30, v8, v20, 2
	v_cndmask_b32_e32 v8, v6, v31, vcc_lo
	v_cndmask_b32_e32 v3, v6, v3, vcc_lo
	s_and_b32 vcc_lo, vcc_lo, s2
	s_waitcnt lgkmcnt(0)
	v_cndmask_b32_e32 v6, 0, v16, vcc_lo
	ds_bpermute_b32 v31, v30, v8
	v_and_b32_e32 v16, 1, v3
	v_add_nc_u32_e32 v5, v6, v5
	v_cmp_eq_u32_e32 vcc_lo, 1, v16
	v_mov_b32_e32 v16, 0
	ds_bpermute_b32 v6, v30, v5
	v_cmp_eq_u16_sdwa s2, v3, v16 src0_sel:BYTE_0 src1_sel:DWORD
	s_waitcnt lgkmcnt(1)
	v_and_b32_e32 v32, 1, v31
	v_add_nc_u32_e32 v31, 2, v20
	v_cndmask_b32_e64 v33, v32, 1, vcc_lo
	v_cmp_gt_u32_e32 vcc_lo, 28, v20
	v_and_b32_e32 v34, 0xffff, v33
	v_cndmask_b32_e64 v32, 0, 4, vcc_lo
	v_cmp_gt_u32_e32 vcc_lo, v31, v4
	v_add_lshl_u32 v32, v32, v20, 2
	v_cndmask_b32_e32 v8, v34, v8, vcc_lo
	v_cndmask_b32_e32 v35, v33, v3, vcc_lo
	s_waitcnt lgkmcnt(0)
	v_cndmask_b32_e64 v3, 0, v6, s2
	v_add_nc_u32_e32 v33, 4, v20
	ds_bpermute_b32 v6, v32, v8
	v_and_b32_e32 v34, 1, v35
	v_cndmask_b32_e64 v3, v3, 0, vcc_lo
	v_cmp_eq_u16_sdwa s2, v35, v16 src0_sel:BYTE_0 src1_sel:DWORD
	v_cmp_eq_u32_e32 vcc_lo, 1, v34
	v_add_nc_u32_e32 v3, v3, v5
	ds_bpermute_b32 v5, v32, v3
	s_waitcnt lgkmcnt(1)
	v_and_b32_e32 v6, 1, v6
	v_cndmask_b32_e64 v6, v6, 1, vcc_lo
	v_cmp_gt_u32_e32 vcc_lo, 24, v20
	v_and_b32_e32 v36, 0xffff, v6
	v_cndmask_b32_e64 v34, 0, 8, vcc_lo
	v_cmp_gt_u32_e32 vcc_lo, v33, v4
	s_waitcnt lgkmcnt(0)
	v_cndmask_b32_e64 v5, 0, v5, s2
	v_add_lshl_u32 v34, v34, v20, 2
	v_cndmask_b32_e32 v8, v36, v8, vcc_lo
	v_cndmask_b32_e32 v6, v6, v35, vcc_lo
	v_cndmask_b32_e64 v5, v5, 0, vcc_lo
	ds_bpermute_b32 v35, v34, v8
	v_and_b32_e32 v36, 1, v6
	v_add_nc_u32_e32 v3, v5, v3
	v_cmp_eq_u32_e32 vcc_lo, 1, v36
	ds_bpermute_b32 v5, v34, v3
	s_waitcnt lgkmcnt(1)
	v_and_b32_e32 v35, 1, v35
	v_cndmask_b32_e64 v35, v35, 1, vcc_lo
	v_cmp_eq_u16_sdwa vcc_lo, v6, v16 src0_sel:BYTE_0 src1_sel:DWORD
	v_and_b32_e32 v36, 0xffff, v35
	s_waitcnt lgkmcnt(0)
	v_cndmask_b32_e32 v5, 0, v5, vcc_lo
	v_cmp_gt_u32_e32 vcc_lo, v37, v4
	v_cndmask_b32_e64 v5, v5, 0, vcc_lo
	v_cndmask_b32_e32 v8, v36, v8, vcc_lo
	v_cndmask_b32_e32 v6, v35, v6, vcc_lo
	v_add_nc_u32_e32 v3, v5, v3
	ds_bpermute_b32 v5, v38, v8
	v_and_b32_e32 v35, 1, v6
	v_cmp_eq_u16_sdwa vcc_lo, v6, v16 src0_sel:BYTE_0 src1_sel:DWORD
	ds_bpermute_b32 v8, v38, v3
	s_waitcnt lgkmcnt(1)
	v_and_b32_e32 v5, 1, v5
	s_waitcnt lgkmcnt(0)
	v_cndmask_b32_e32 v8, 0, v8, vcc_lo
	v_cmp_eq_u32_e32 vcc_lo, 1, v35
	v_cndmask_b32_e64 v5, v5, 1, vcc_lo
	v_cmp_gt_u32_e32 vcc_lo, v39, v4
	v_cndmask_b32_e32 v4, v5, v6, vcc_lo
	v_cndmask_b32_e64 v5, v8, 0, vcc_lo
	v_add_nc_u32_e32 v3, v5, v3
	s_branch .LBB1724_48
.LBB1724_45:                            ;   in Loop: Header=BB1724_48 Depth=1
	s_or_b32 exec_lo, exec_lo, s13
	v_and_b32_e32 v6, 0xff, v6
.LBB1724_46:                            ;   in Loop: Header=BB1724_48 Depth=1
	s_or_b32 exec_lo, exec_lo, s2
	ds_bpermute_b32 v3, v17, v6
	v_cmp_eq_u16_sdwa s2, v7, v28 src0_sel:BYTE_0 src1_sel:DWORD
	v_and_b32_e32 v4, 1, v6
	v_subrev_nc_u32_e32 v15, 32, v15
	v_and_or_b32 v8, s2, v29, 0x80000000
	v_cmp_eq_u32_e32 vcc_lo, 1, v4
	v_cmp_gt_u64_e64 s2, s[10:11], v[5:6]
	v_ffbl_b32_e32 v4, v8
	ds_bpermute_b32 v8, v17, v5
	s_waitcnt lgkmcnt(1)
	v_and_b32_e32 v3, 1, v3
	v_cndmask_b32_e64 v3, v3, 1, vcc_lo
	v_cmp_lt_u32_e32 vcc_lo, v20, v4
	v_and_b32_e32 v40, 0xffff, v3
	v_cndmask_b32_e32 v3, v6, v3, vcc_lo
	v_cndmask_b32_e32 v40, v6, v40, vcc_lo
	s_and_b32 vcc_lo, vcc_lo, s2
	v_cmp_eq_u16_sdwa s2, v3, v16 src0_sel:BYTE_0 src1_sel:DWORD
	s_waitcnt lgkmcnt(0)
	v_cndmask_b32_e32 v6, 0, v8, vcc_lo
	v_and_b32_e32 v8, 1, v3
	ds_bpermute_b32 v41, v30, v40
	v_add_nc_u32_e32 v5, v6, v5
	v_cmp_eq_u32_e32 vcc_lo, 1, v8
	ds_bpermute_b32 v6, v30, v5
	s_waitcnt lgkmcnt(1)
	v_and_b32_e32 v41, 1, v41
	v_cndmask_b32_e64 v8, v41, 1, vcc_lo
	v_cmp_gt_u32_e32 vcc_lo, v31, v4
	v_and_b32_e32 v41, 0xffff, v8
	v_cndmask_b32_e32 v8, v8, v3, vcc_lo
	s_waitcnt lgkmcnt(0)
	v_cndmask_b32_e64 v3, 0, v6, s2
	v_cndmask_b32_e32 v40, v41, v40, vcc_lo
	v_and_b32_e32 v41, 1, v8
	v_cndmask_b32_e64 v3, v3, 0, vcc_lo
	v_cmp_eq_u16_sdwa s2, v8, v16 src0_sel:BYTE_0 src1_sel:DWORD
	ds_bpermute_b32 v6, v32, v40
	v_cmp_eq_u32_e32 vcc_lo, 1, v41
	v_add_nc_u32_e32 v3, v3, v5
	ds_bpermute_b32 v5, v32, v3
	s_waitcnt lgkmcnt(1)
	v_and_b32_e32 v6, 1, v6
	v_cndmask_b32_e64 v6, v6, 1, vcc_lo
	v_cmp_gt_u32_e32 vcc_lo, v33, v4
	s_waitcnt lgkmcnt(0)
	v_cndmask_b32_e64 v5, 0, v5, s2
	s_mov_b32 s2, 0
	v_and_b32_e32 v41, 0xffff, v6
	v_cndmask_b32_e32 v6, v6, v8, vcc_lo
	v_cndmask_b32_e64 v5, v5, 0, vcc_lo
	v_cndmask_b32_e32 v8, v41, v40, vcc_lo
	v_and_b32_e32 v41, 1, v6
	v_add_nc_u32_e32 v3, v5, v3
	ds_bpermute_b32 v40, v34, v8
	v_cmp_eq_u32_e32 vcc_lo, 1, v41
	ds_bpermute_b32 v5, v34, v3
	s_waitcnt lgkmcnt(1)
	v_and_b32_e32 v40, 1, v40
	v_cndmask_b32_e64 v40, v40, 1, vcc_lo
	v_cmp_eq_u16_sdwa vcc_lo, v6, v16 src0_sel:BYTE_0 src1_sel:DWORD
	v_and_b32_e32 v41, 0xffff, v40
	s_waitcnt lgkmcnt(0)
	v_cndmask_b32_e32 v5, 0, v5, vcc_lo
	v_cmp_gt_u32_e32 vcc_lo, v37, v4
	v_cndmask_b32_e64 v5, v5, 0, vcc_lo
	v_cndmask_b32_e32 v8, v41, v8, vcc_lo
	v_cndmask_b32_e32 v6, v40, v6, vcc_lo
	v_add_nc_u32_e32 v3, v5, v3
	ds_bpermute_b32 v5, v38, v8
	v_and_b32_e32 v40, 1, v6
	ds_bpermute_b32 v8, v38, v3
	v_cmp_eq_u32_e32 vcc_lo, 1, v40
	s_waitcnt lgkmcnt(1)
	v_cndmask_b32_e64 v5, v5, 1, vcc_lo
	v_cmp_eq_u16_sdwa vcc_lo, v6, v16 src0_sel:BYTE_0 src1_sel:DWORD
	s_waitcnt lgkmcnt(0)
	v_cndmask_b32_e32 v8, 0, v8, vcc_lo
	v_cmp_gt_u32_e32 vcc_lo, v39, v4
	v_cndmask_b32_e32 v4, v5, v6, vcc_lo
	v_cndmask_b32_e64 v5, v8, 0, vcc_lo
	v_cmp_eq_u16_sdwa vcc_lo, v35, v16 src0_sel:BYTE_0 src1_sel:DWORD
	v_and_b32_e32 v4, 1, v4
	v_add_nc_u32_e32 v3, v5, v3
	v_and_b32_e32 v5, 1, v35
	v_cndmask_b32_e32 v3, 0, v3, vcc_lo
	v_cmp_eq_u32_e32 vcc_lo, 1, v5
	v_add_nc_u32_e32 v3, v3, v36
	v_cndmask_b32_e64 v4, v4, 1, vcc_lo
.LBB1724_47:                            ;   in Loop: Header=BB1724_48 Depth=1
	s_and_b32 vcc_lo, exec_lo, s2
	s_cbranch_vccnz .LBB1724_53
.LBB1724_48:                            ; =>This Loop Header: Depth=1
                                        ;     Child Loop BB1724_51 Depth 2
	v_cmp_ne_u16_sdwa s2, v7, v28 src0_sel:BYTE_0 src1_sel:DWORD
	v_mov_b32_e32 v35, v4
	v_mov_b32_e32 v36, v3
                                        ; implicit-def: $vgpr4
                                        ; implicit-def: $vgpr3
                                        ; implicit-def: $vgpr7
	s_cmp_lg_u32 s2, exec_lo
	s_mov_b32 s2, -1
	s_cbranch_scc1 .LBB1724_47
; %bb.49:                               ;   in Loop: Header=BB1724_48 Depth=1
	v_lshlrev_b64 v[3:4], 4, v[15:16]
	v_add_co_u32 v3, vcc_lo, s16, v3
	v_add_co_ci_u32_e64 v4, null, s17, v4, vcc_lo
	;;#ASMSTART
	global_load_dwordx4 v[5:8], v[3:4] off glc dlc	
s_waitcnt vmcnt(0)
	;;#ASMEND
	v_and_b32_e32 v6, 0xff, v6
	v_cmp_eq_u16_sdwa s13, v7, v16 src0_sel:BYTE_0 src1_sel:DWORD
	s_and_saveexec_b32 s2, s13
	s_cbranch_execz .LBB1724_46
; %bb.50:                               ;   in Loop: Header=BB1724_48 Depth=1
	s_mov_b32 s13, 0
.LBB1724_51:                            ;   Parent Loop BB1724_48 Depth=1
                                        ; =>  This Inner Loop Header: Depth=2
	;;#ASMSTART
	global_load_dwordx4 v[5:8], v[3:4] off glc dlc	
s_waitcnt vmcnt(0)
	;;#ASMEND
	v_cmp_ne_u16_sdwa s19, v7, v16 src0_sel:BYTE_0 src1_sel:DWORD
	s_or_b32 s13, s19, s13
	s_andn2_b32 exec_lo, exec_lo, s13
	s_cbranch_execnz .LBB1724_51
	s_branch .LBB1724_45
.LBB1724_52:
                                        ; implicit-def: $vgpr6
                                        ; implicit-def: $vgpr5
                                        ; implicit-def: $vgpr7
	s_cbranch_execnz .LBB1724_58
	s_branch .LBB1724_73
.LBB1724_53:
	s_and_saveexec_b32 s2, s1
	s_cbranch_execz .LBB1724_55
; %bb.54:
	v_mov_b32_e32 v4, 0
	v_and_b32_e32 v3, 1, v2
	s_mov_b32 s11, 0
	s_add_i32 s10, s6, 32
	v_and_b32_e32 v5, 1, v35
	v_cmp_eq_u32_sdwa vcc_lo, v2, v4 src0_sel:BYTE_0 src1_sel:DWORD
	s_lshl_b64 s[10:11], s[10:11], 4
	s_add_u32 s10, s16, s10
	s_addc_u32 s11, s17, s11
	v_cndmask_b32_e32 v2, 0, v36, vcc_lo
	v_cmp_eq_u32_e32 vcc_lo, 1, v3
	v_mov_b32_e32 v3, 2
	v_add_nc_u32_e32 v1, v2, v1
	v_cndmask_b32_e64 v2, v5, 1, vcc_lo
	v_mov_b32_e32 v5, s10
	v_mov_b32_e32 v6, s11
	;;#ASMSTART
	global_store_dwordx4 v[5:6], v[1:4] off	
s_waitcnt vmcnt(0)
	;;#ASMEND
.LBB1724_55:
	s_or_b32 exec_lo, exec_lo, s2
	v_cmp_eq_u32_e32 vcc_lo, 0, v0
	s_and_b32 exec_lo, exec_lo, vcc_lo
	s_cbranch_execz .LBB1724_57
; %bb.56:
	v_mov_b32_e32 v1, 0
	ds_write_b32 v1, v36 offset:56
	ds_write_b8 v1, v35 offset:60
.LBB1724_57:
	s_or_b32 exec_lo, exec_lo, s3
	v_mov_b32_e32 v1, 0
	s_waitcnt lgkmcnt(0)
	s_barrier
	buffer_gl0_inv
	v_cndmask_b32_e64 v2, v27, v25, s1
	ds_read_b32 v3, v1 offset:56
	v_cndmask_b32_e64 v4, v26, v24, s1
	v_cmp_eq_u16_sdwa vcc_lo, v2, v1 src0_sel:BYTE_0 src1_sel:DWORD
	s_waitcnt lgkmcnt(0)
	v_cndmask_b32_e32 v2, 0, v3, vcc_lo
	v_cmp_eq_u32_e32 vcc_lo, 0, v0
	v_add_nc_u32_e32 v4, v2, v4
	v_and_b32_e32 v2, 0xff, v10
	v_cndmask_b32_e32 v6, v4, v3, vcc_lo
	v_cmp_eq_u64_e32 vcc_lo, 0, v[1:2]
	v_cndmask_b32_e32 v1, 0, v6, vcc_lo
	v_add_nc_u32_e32 v5, v1, v9
	v_cndmask_b32_e64 v1, 0, v5, s0
	v_add_nc_u32_e32 v7, v1, v11
	s_branch .LBB1724_73
.LBB1724_58:
	s_cmp_eq_u64 s[24:25], 0
	v_mov_b32_e32 v3, s26
	s_cselect_b32 s0, -1, 0
	s_cmp_eq_u64 s[22:23], 0
	s_cselect_b32 s1, -1, 0
	s_or_b32 s0, s0, s1
	s_and_b32 vcc_lo, exec_lo, s0
	s_cbranch_vccnz .LBB1724_60
; %bb.59:
	v_mov_b32_e32 v1, 0
	global_load_dword v3, v1, s[22:23]
.LBB1724_60:
	v_and_b32_e32 v2, 0xff, v23
	v_mov_b32_e32 v1, 0
	s_mov_b32 s2, 0
	s_mov_b32 s3, 1
	v_cmp_gt_u64_e32 vcc_lo, s[2:3], v[11:12]
	v_cmp_eq_u64_e64 s0, 0, v[1:2]
	v_cndmask_b32_e32 v4, 0, v9, vcc_lo
	v_cndmask_b32_e64 v2, 1, v10, s0
	v_cmp_gt_u64_e64 s0, s[2:3], v[13:14]
	v_add_nc_u32_e32 v4, v4, v11
	v_and_b32_e32 v5, 0xff, v2
	v_and_b32_e32 v7, 1, v2
	v_cndmask_b32_e64 v4, 0, v4, s0
	v_mov_b32_dpp v6, v5 row_shr:1 row_mask:0xf bank_mask:0xf
	v_cmp_eq_u32_e64 s0, 1, v7
	v_and_b32_e32 v7, 15, v20
	v_add_nc_u32_e32 v4, v4, v13
	v_and_b32_e32 v6, 1, v6
	v_mov_b32_dpp v8, v4 row_shr:1 row_mask:0xf bank_mask:0xf
	v_cndmask_b32_e64 v6, v6, 1, s0
	v_cmp_eq_u16_e64 s0, 0, v5
	v_and_b32_e32 v12, 0xffff, v6
	v_cndmask_b32_e64 v8, 0, v8, s0
	v_cmp_eq_u32_e64 s0, 0, v7
	v_cndmask_b32_e64 v5, v12, v5, s0
	v_cndmask_b32_e64 v2, v6, v2, s0
	;; [unrolled: 1-line block ×3, first 2 shown]
	v_mov_b32_dpp v6, v5 row_shr:2 row_mask:0xf bank_mask:0xf
	v_and_b32_e32 v12, 1, v2
	v_add_nc_u32_e32 v4, v8, v4
	v_cmp_eq_u16_sdwa s2, v2, v1 src0_sel:BYTE_0 src1_sel:DWORD
	v_and_b32_e32 v6, 1, v6
	v_cmp_eq_u32_e64 s0, 1, v12
	v_cndmask_b32_e64 v6, v6, 1, s0
	v_cmp_lt_u32_e64 s0, 1, v7
	v_and_b32_e32 v12, 0xffff, v6
	v_cndmask_b32_e64 v6, v2, v6, s0
	v_mov_b32_dpp v2, v4 row_shr:2 row_mask:0xf bank_mask:0xf
	v_cndmask_b32_e64 v5, v5, v12, s0
	v_and_b32_e32 v8, 1, v6
	s_and_b32 s0, s0, s2
	v_cndmask_b32_e64 v2, 0, v2, s0
	v_mov_b32_dpp v12, v5 row_shr:4 row_mask:0xf bank_mask:0xf
	v_cmp_eq_u32_e64 s1, 1, v8
	v_cmp_lt_u32_e64 s0, 3, v7
	v_add_nc_u32_e32 v2, v2, v4
	v_and_b32_e32 v12, 1, v12
	v_cndmask_b32_e64 v8, v12, 1, s1
	v_cmp_eq_u16_sdwa s1, v6, v1 src0_sel:BYTE_0 src1_sel:DWORD
	v_and_b32_e32 v12, 0xffff, v8
	v_cndmask_b32_e64 v4, v6, v8, s0
	v_mov_b32_dpp v6, v2 row_shr:4 row_mask:0xf bank_mask:0xf
	v_cndmask_b32_e64 v5, v5, v12, s0
	s_and_b32 s0, s0, s1
	v_and_b32_e32 v12, 1, v4
	v_cndmask_b32_e64 v6, 0, v6, s0
	v_cmp_eq_u16_sdwa s1, v4, v1 src0_sel:BYTE_0 src1_sel:DWORD
	v_mov_b32_dpp v8, v5 row_shr:8 row_mask:0xf bank_mask:0xf
	v_cmp_eq_u32_e64 s0, 1, v12
	v_add_nc_u32_e32 v2, v6, v2
	v_and_b32_e32 v8, 1, v8
	v_cndmask_b32_e64 v6, v8, 1, s0
	v_cmp_lt_u32_e64 s0, 7, v7
	v_mov_b32_dpp v7, v2 row_shr:8 row_mask:0xf bank_mask:0xf
	s_and_b32 s1, s0, s1
	v_cndmask_b32_e64 v8, v4, v6, s0
	v_cndmask_b32_e64 v4, 0, v7, s1
	v_and_b32_e32 v6, 0xffff, v6
	v_and_b32_e32 v7, 16, v20
	v_add_nc_u32_e32 v2, v4, v2
	v_cndmask_b32_e64 v4, v5, v6, s0
	v_cmp_eq_u16_sdwa s0, v8, v1 src0_sel:BYTE_0 src1_sel:DWORD
	v_bfe_i32 v6, v20, 4, 1
	v_cmp_eq_u32_e64 s1, 0, v7
	ds_swizzle_b32 v5, v2 offset:swizzle(BROADCAST,32,15)
	ds_swizzle_b32 v4, v4 offset:swizzle(BROADCAST,32,15)
	s_waitcnt lgkmcnt(1)
	v_cndmask_b32_e64 v1, 0, v5, s0
	v_and_b32_e32 v5, 1, v8
	s_waitcnt lgkmcnt(0)
	v_and_b32_e32 v4, 1, v4
	v_and_b32_e32 v1, v6, v1
	v_cmp_eq_u32_e64 s0, 1, v5
	v_lshlrev_b32_e32 v6, 3, v21
	v_cndmask_b32_e64 v5, v4, 1, s0
	v_add_nc_u32_e32 v4, v1, v2
	v_cndmask_b32_e64 v5, v5, v8, s1
	s_mov_b32 s1, exec_lo
	v_cmpx_eq_u32_e64 v0, v22
	s_cbranch_execz .LBB1724_62
; %bb.61:
	ds_write_b32 v6, v4
	ds_write_b8 v6, v5 offset:4
.LBB1724_62:
	s_or_b32 exec_lo, exec_lo, s1
	s_mov_b32 s1, exec_lo
	s_waitcnt vmcnt(0) lgkmcnt(0)
	s_barrier
	buffer_gl0_inv
	v_cmpx_gt_u32_e32 8, v0
	s_cbranch_execz .LBB1724_68
; %bb.63:
	ds_read_b64 v[1:2], v19
	v_and_b32_e32 v7, 7, v20
	s_mov_b32 s2, exec_lo
	s_waitcnt lgkmcnt(0)
	v_and_b32_e32 v8, 0xffffff00, v2
	v_mov_b32_dpp v13, v1 row_shr:1 row_mask:0xf bank_mask:0xf
	v_mov_b32_dpp v14, v2 row_shr:1 row_mask:0xf bank_mask:0xf
	v_mov_b32_e32 v12, v2
	v_cmpx_ne_u32_e32 0, v7
	s_cbranch_execz .LBB1724_65
; %bb.64:
	v_mov_b32_e32 v12, 0
	v_and_b32_e32 v15, 1, v2
	v_and_b32_e32 v14, 1, v14
	v_cmp_eq_u16_sdwa s0, v2, v12 src0_sel:BYTE_0 src1_sel:DWORD
	v_cndmask_b32_e64 v2, 0, v13, s0
	v_cmp_eq_u32_e64 s0, 1, v15
	v_add_nc_u32_e32 v1, v2, v1
	v_cndmask_b32_e64 v13, v14, 1, s0
	v_or_b32_sdwa v12, v8, v13 dst_sel:DWORD dst_unused:UNUSED_PAD src0_sel:DWORD src1_sel:WORD_0
	v_mov_b32_e32 v2, v13
.LBB1724_65:
	s_or_b32 exec_lo, exec_lo, s2
	v_mov_b32_dpp v13, v1 row_shr:2 row_mask:0xf bank_mask:0xf
	v_mov_b32_dpp v14, v12 row_shr:2 row_mask:0xf bank_mask:0xf
	s_mov_b32 s2, exec_lo
	v_cmpx_lt_u32_e32 1, v7
	s_cbranch_execz .LBB1724_67
; %bb.66:
	v_mov_b32_e32 v12, 0
	v_and_b32_e32 v15, 1, v2
	v_and_b32_e32 v14, 1, v14
	v_cmp_eq_u16_sdwa s0, v2, v12 src0_sel:BYTE_0 src1_sel:DWORD
	v_cndmask_b32_e64 v2, 0, v13, s0
	v_cmp_eq_u32_e64 s0, 1, v15
	v_add_nc_u32_e32 v1, v2, v1
	v_cndmask_b32_e64 v13, v14, 1, s0
	v_or_b32_sdwa v12, v8, v13 dst_sel:DWORD dst_unused:UNUSED_PAD src0_sel:DWORD src1_sel:WORD_0
	v_mov_b32_e32 v2, v13
.LBB1724_67:
	s_or_b32 exec_lo, exec_lo, s2
	v_mov_b32_dpp v8, v12 row_shr:4 row_mask:0xf bank_mask:0xf
	v_and_b32_e32 v13, 1, v2
	v_mov_b32_e32 v12, 0
	v_and_b32_e32 v8, 1, v8
	v_cmp_eq_u32_e64 s0, 1, v13
	v_cmp_eq_u16_sdwa s2, v2, v12 src0_sel:BYTE_0 src1_sel:DWORD
	v_cndmask_b32_e64 v8, v8, 1, s0
	v_cmp_lt_u32_e64 s0, 3, v7
	v_mov_b32_dpp v7, v1 row_shr:4 row_mask:0xf bank_mask:0xf
	v_cndmask_b32_e64 v2, v2, v8, s0
	s_and_b32 s0, s0, s2
	v_cndmask_b32_e64 v7, 0, v7, s0
	v_add_nc_u32_e32 v1, v7, v1
	ds_write_b32 v19, v1
	ds_write_b8 v19, v2 offset:4
.LBB1724_68:
	s_or_b32 exec_lo, exec_lo, s1
	v_mov_b32_e32 v2, v3
	s_mov_b32 s1, exec_lo
	s_waitcnt lgkmcnt(0)
	s_barrier
	buffer_gl0_inv
	v_cmpx_lt_u32_e32 31, v0
	s_cbranch_execz .LBB1724_70
; %bb.69:
	v_add_nc_u32_e32 v1, -4, v6
	v_add_nc_u32_e32 v2, -8, v6
	ds_read_u8 v1, v1
	ds_read_b32 v2, v2
	s_waitcnt lgkmcnt(1)
	v_cmp_eq_u16_e64 s0, 0, v1
	v_cndmask_b32_e64 v1, 0, v3, s0
	s_waitcnt lgkmcnt(0)
	v_add_nc_u32_e32 v2, v1, v2
.LBB1724_70:
	s_or_b32 exec_lo, exec_lo, s1
	v_mov_b32_e32 v1, 0
	v_sub_co_u32 v6, s0, v20, 1
	v_cmp_eq_u16_sdwa s1, v5, v1 src0_sel:BYTE_0 src1_sel:DWORD
	v_cndmask_b32_e64 v5, 0, v2, s1
	v_cmp_gt_i32_e64 s1, 0, v6
	v_add_nc_u32_e32 v4, v5, v4
	v_cndmask_b32_e64 v6, v6, v20, s1
	v_lshlrev_b32_e32 v5, 2, v6
	ds_bpermute_b32 v4, v5, v4
	s_waitcnt lgkmcnt(0)
	v_cndmask_b32_e64 v6, v4, v2, s0
	v_and_b32_e32 v2, 0xff, v10
	v_cmp_eq_u32_e64 s0, 0, v0
	v_cmp_eq_u64_e64 s1, 0, v[1:2]
	v_cndmask_b32_e64 v4, v6, v3, s0
	v_cndmask_b32_e64 v2, 0, v4, s1
	v_add_nc_u32_e32 v5, v2, v9
	v_cndmask_b32_e32 v2, 0, v5, vcc_lo
	s_and_saveexec_b32 s1, s0
	s_cbranch_execz .LBB1724_72
; %bb.71:
	ds_read_u8 v4, v1 offset:60
	ds_read_b32 v6, v1 offset:56
	v_mov_b32_e32 v9, v1
	s_add_u32 s2, s16, 0x200
	s_addc_u32 s3, s17, 0
	v_mov_b32_e32 v10, v1
	v_mov_b32_e32 v13, s3
	;; [unrolled: 1-line block ×3, first 2 shown]
	s_waitcnt lgkmcnt(1)
	v_and_b32_e32 v8, 0xffff, v4
	v_cmp_eq_u64_e32 vcc_lo, 0, v[8:9]
	v_mov_b32_e32 v9, 2
	v_cndmask_b32_e32 v4, 0, v3, vcc_lo
	s_waitcnt lgkmcnt(0)
	v_add_nc_u32_e32 v7, v4, v6
	v_mov_b32_e32 v6, v3
	;;#ASMSTART
	global_store_dwordx4 v[12:13], v[7:10] off	
s_waitcnt vmcnt(0)
	;;#ASMEND
.LBB1724_72:
	s_or_b32 exec_lo, exec_lo, s1
	v_add_nc_u32_e32 v7, v2, v11
.LBB1724_73:
	s_add_u32 s0, s14, s4
	v_mov_b32_e32 v3, 0
	s_addc_u32 s1, s15, s5
	s_add_u32 s0, s0, s8
	s_addc_u32 s1, s1, s9
	s_and_b32 vcc_lo, exec_lo, s7
	s_cbranch_vccz .LBB1724_85
; %bb.74:
	v_mul_u32_u24_e32 v1, 3, v0
	v_mov_b32_e32 v4, 0
	v_mov_b32_e32 v2, 0
	s_add_i32 s12, s12, s18
	s_mov_b32 s2, exec_lo
	v_cmpx_gt_u32_e64 s12, v1
	s_cbranch_execz .LBB1724_80
; %bb.75:
	v_add_nc_u32_e32 v3, 1, v1
	v_mov_b32_e32 v2, 0
	v_mov_b32_e32 v4, 0
	s_mov_b32 s3, exec_lo
	v_cmpx_gt_u32_e64 s12, v3
	s_cbranch_execz .LBB1724_79
; %bb.76:
	v_add_nc_u32_e32 v2, 2, v1
	v_cmp_gt_u32_e32 vcc_lo, s12, v2
	v_mov_b32_e32 v2, 0
	s_and_saveexec_b32 s4, vcc_lo
; %bb.77:
	v_mov_b32_e32 v2, v7
; %bb.78:
	s_or_b32 exec_lo, exec_lo, s4
	v_mov_b32_e32 v4, v5
.LBB1724_79:
	s_or_b32 exec_lo, exec_lo, s3
	v_mov_b32_e32 v3, v6
.LBB1724_80:
	s_or_b32 exec_lo, exec_lo, s2
	v_lshlrev_b32_e32 v8, 2, v1
	s_barrier
	buffer_gl0_inv
	v_sub_nc_u32_e32 v1, v8, v19
	ds_write2_b32 v8, v3, v4 offset1:1
	ds_write_b32 v8, v2 offset:8
	s_waitcnt lgkmcnt(0)
	s_barrier
	buffer_gl0_inv
	ds_read2st64_b32 v[1:2], v1 offset0:4 offset1:8
	v_add_co_u32 v3, s2, s0, v18
	v_add_co_ci_u32_e64 v4, null, s1, 0, s2
	s_mov_b32 s2, exec_lo
	v_cmpx_gt_u32_e64 s12, v0
	s_cbranch_execz .LBB1724_82
; %bb.81:
	v_sub_nc_u32_e32 v9, 0, v19
	v_add_nc_u32_e32 v8, v8, v9
	ds_read_b32 v8, v8
	s_waitcnt lgkmcnt(0)
	v_cvt_f32_i32_e32 v8, v8
	flat_store_dword v[3:4], v8
.LBB1724_82:
	s_or_b32 exec_lo, exec_lo, s2
	v_or_b32_e32 v8, 0x100, v0
	s_mov_b32 s2, exec_lo
	v_cmpx_gt_u32_e64 s12, v8
	s_cbranch_execz .LBB1724_84
; %bb.83:
	s_waitcnt lgkmcnt(0)
	v_cvt_f32_i32_e32 v1, v1
	flat_store_dword v[3:4], v1 offset:1024
.LBB1724_84:
	s_or_b32 exec_lo, exec_lo, s2
	s_waitcnt lgkmcnt(0)
	v_or_b32_e32 v1, 0x200, v0
	v_cmp_gt_u32_e64 s2, s12, v1
	s_branch .LBB1724_87
.LBB1724_85:
	s_mov_b32 s2, 0
                                        ; implicit-def: $vgpr2
	s_cbranch_execz .LBB1724_87
; %bb.86:
	v_mul_u32_u24_e32 v1, 12, v0
	s_waitcnt_vscnt null, 0x0
	s_barrier
	buffer_gl0_inv
	s_or_b32 s2, s2, exec_lo
	v_sub_nc_u32_e32 v2, v1, v19
	ds_write2_b32 v1, v6, v5 offset1:1
	ds_write_b32 v1, v7 offset:8
	s_waitcnt lgkmcnt(0)
	s_barrier
	buffer_gl0_inv
	ds_read2st64_b32 v[3:4], v2 offset1:4
	ds_read_b32 v2, v2 offset:2048
	v_add_co_u32 v5, s3, s0, v18
	v_add_co_ci_u32_e64 v6, null, s1, 0, s3
	s_waitcnt lgkmcnt(1)
	v_cvt_f32_i32_e32 v1, v3
	v_cvt_f32_i32_e32 v3, v4
	flat_store_dword v[5:6], v1
	flat_store_dword v[5:6], v3 offset:1024
.LBB1724_87:
	s_and_saveexec_b32 s3, s2
	s_cbranch_execnz .LBB1724_89
; %bb.88:
	s_endpgm
.LBB1724_89:
	v_lshlrev_b32_e32 v0, 2, v0
	s_waitcnt lgkmcnt(2)
	v_cvt_f32_i32_e32 v2, v2
	v_add_co_u32 v0, s0, s0, v0
	v_add_co_ci_u32_e64 v1, null, s1, 0, s0
	v_add_co_u32 v0, vcc_lo, 0x800, v0
	v_add_co_ci_u32_e64 v1, null, 0, v1, vcc_lo
	flat_store_dword v[0:1], v2
	s_endpgm
.LBB1724_90:
	v_add_co_u32 v2, s20, s3, v10
	v_add_co_ci_u32_e64 v3, null, s13, 0, s20
	v_mov_b32_e32 v12, v1
	v_mov_b32_e32 v13, v1
	flat_load_dword v11, v[2:3]
	s_waitcnt vmcnt(0) lgkmcnt(0)
	v_mov_b32_e32 v1, v11
	v_mov_b32_e32 v2, v12
	;; [unrolled: 1-line block ×3, first 2 shown]
	s_or_b32 exec_lo, exec_lo, s2
	s_and_saveexec_b32 s2, s0
	s_cbranch_execz .LBB1724_11
.LBB1724_91:
	v_add_co_u32 v11, s0, s3, v10
	v_add_co_ci_u32_e64 v12, null, s13, 0, s0
	flat_load_dword v2, v[11:12] offset:1024
	s_or_b32 exec_lo, exec_lo, s2
	v_mul_u32_u24_e32 v13, 3, v0
	s_and_saveexec_b32 s0, s1
	s_cbranch_execnz .LBB1724_12
	s_branch .LBB1724_13
	.section	.rodata,"a",@progbits
	.p2align	6, 0x0
	.amdhsa_kernel _ZN7rocprim17ROCPRIM_400000_NS6detail17trampoline_kernelINS0_14default_configENS1_27scan_by_key_config_selectorIiiEEZZNS1_16scan_by_key_implILNS1_25lookback_scan_determinismE0ELb1ES3_N6thrust23THRUST_200600_302600_NS6detail15normal_iteratorINS9_10device_ptrIiEEEENSB_INSC_IjEEEENSB_INSC_IfEEEEiNS9_4plusIvEENS9_8equal_toIvEEiEE10hipError_tPvRmT2_T3_T4_T5_mT6_T7_P12ihipStream_tbENKUlT_T0_E_clISt17integral_constantIbLb0EES13_EEDaSY_SZ_EUlSY_E_NS1_11comp_targetILNS1_3genE8ELNS1_11target_archE1030ELNS1_3gpuE2ELNS1_3repE0EEENS1_30default_config_static_selectorELNS0_4arch9wavefront6targetE0EEEvT1_
		.amdhsa_group_segment_fixed_size 5120
		.amdhsa_private_segment_fixed_size 0
		.amdhsa_kernarg_size 112
		.amdhsa_user_sgpr_count 6
		.amdhsa_user_sgpr_private_segment_buffer 1
		.amdhsa_user_sgpr_dispatch_ptr 0
		.amdhsa_user_sgpr_queue_ptr 0
		.amdhsa_user_sgpr_kernarg_segment_ptr 1
		.amdhsa_user_sgpr_dispatch_id 0
		.amdhsa_user_sgpr_flat_scratch_init 0
		.amdhsa_user_sgpr_private_segment_size 0
		.amdhsa_wavefront_size32 1
		.amdhsa_uses_dynamic_stack 0
		.amdhsa_system_sgpr_private_segment_wavefront_offset 0
		.amdhsa_system_sgpr_workgroup_id_x 1
		.amdhsa_system_sgpr_workgroup_id_y 0
		.amdhsa_system_sgpr_workgroup_id_z 0
		.amdhsa_system_sgpr_workgroup_info 0
		.amdhsa_system_vgpr_workitem_id 0
		.amdhsa_next_free_vgpr 42
		.amdhsa_next_free_sgpr 30
		.amdhsa_reserve_vcc 1
		.amdhsa_reserve_flat_scratch 1
		.amdhsa_float_round_mode_32 0
		.amdhsa_float_round_mode_16_64 0
		.amdhsa_float_denorm_mode_32 3
		.amdhsa_float_denorm_mode_16_64 3
		.amdhsa_dx10_clamp 1
		.amdhsa_ieee_mode 1
		.amdhsa_fp16_overflow 0
		.amdhsa_workgroup_processor_mode 1
		.amdhsa_memory_ordered 1
		.amdhsa_forward_progress 1
		.amdhsa_shared_vgpr_count 0
		.amdhsa_exception_fp_ieee_invalid_op 0
		.amdhsa_exception_fp_denorm_src 0
		.amdhsa_exception_fp_ieee_div_zero 0
		.amdhsa_exception_fp_ieee_overflow 0
		.amdhsa_exception_fp_ieee_underflow 0
		.amdhsa_exception_fp_ieee_inexact 0
		.amdhsa_exception_int_div_zero 0
	.end_amdhsa_kernel
	.section	.text._ZN7rocprim17ROCPRIM_400000_NS6detail17trampoline_kernelINS0_14default_configENS1_27scan_by_key_config_selectorIiiEEZZNS1_16scan_by_key_implILNS1_25lookback_scan_determinismE0ELb1ES3_N6thrust23THRUST_200600_302600_NS6detail15normal_iteratorINS9_10device_ptrIiEEEENSB_INSC_IjEEEENSB_INSC_IfEEEEiNS9_4plusIvEENS9_8equal_toIvEEiEE10hipError_tPvRmT2_T3_T4_T5_mT6_T7_P12ihipStream_tbENKUlT_T0_E_clISt17integral_constantIbLb0EES13_EEDaSY_SZ_EUlSY_E_NS1_11comp_targetILNS1_3genE8ELNS1_11target_archE1030ELNS1_3gpuE2ELNS1_3repE0EEENS1_30default_config_static_selectorELNS0_4arch9wavefront6targetE0EEEvT1_,"axG",@progbits,_ZN7rocprim17ROCPRIM_400000_NS6detail17trampoline_kernelINS0_14default_configENS1_27scan_by_key_config_selectorIiiEEZZNS1_16scan_by_key_implILNS1_25lookback_scan_determinismE0ELb1ES3_N6thrust23THRUST_200600_302600_NS6detail15normal_iteratorINS9_10device_ptrIiEEEENSB_INSC_IjEEEENSB_INSC_IfEEEEiNS9_4plusIvEENS9_8equal_toIvEEiEE10hipError_tPvRmT2_T3_T4_T5_mT6_T7_P12ihipStream_tbENKUlT_T0_E_clISt17integral_constantIbLb0EES13_EEDaSY_SZ_EUlSY_E_NS1_11comp_targetILNS1_3genE8ELNS1_11target_archE1030ELNS1_3gpuE2ELNS1_3repE0EEENS1_30default_config_static_selectorELNS0_4arch9wavefront6targetE0EEEvT1_,comdat
.Lfunc_end1724:
	.size	_ZN7rocprim17ROCPRIM_400000_NS6detail17trampoline_kernelINS0_14default_configENS1_27scan_by_key_config_selectorIiiEEZZNS1_16scan_by_key_implILNS1_25lookback_scan_determinismE0ELb1ES3_N6thrust23THRUST_200600_302600_NS6detail15normal_iteratorINS9_10device_ptrIiEEEENSB_INSC_IjEEEENSB_INSC_IfEEEEiNS9_4plusIvEENS9_8equal_toIvEEiEE10hipError_tPvRmT2_T3_T4_T5_mT6_T7_P12ihipStream_tbENKUlT_T0_E_clISt17integral_constantIbLb0EES13_EEDaSY_SZ_EUlSY_E_NS1_11comp_targetILNS1_3genE8ELNS1_11target_archE1030ELNS1_3gpuE2ELNS1_3repE0EEENS1_30default_config_static_selectorELNS0_4arch9wavefront6targetE0EEEvT1_, .Lfunc_end1724-_ZN7rocprim17ROCPRIM_400000_NS6detail17trampoline_kernelINS0_14default_configENS1_27scan_by_key_config_selectorIiiEEZZNS1_16scan_by_key_implILNS1_25lookback_scan_determinismE0ELb1ES3_N6thrust23THRUST_200600_302600_NS6detail15normal_iteratorINS9_10device_ptrIiEEEENSB_INSC_IjEEEENSB_INSC_IfEEEEiNS9_4plusIvEENS9_8equal_toIvEEiEE10hipError_tPvRmT2_T3_T4_T5_mT6_T7_P12ihipStream_tbENKUlT_T0_E_clISt17integral_constantIbLb0EES13_EEDaSY_SZ_EUlSY_E_NS1_11comp_targetILNS1_3genE8ELNS1_11target_archE1030ELNS1_3gpuE2ELNS1_3repE0EEENS1_30default_config_static_selectorELNS0_4arch9wavefront6targetE0EEEvT1_
                                        ; -- End function
	.set _ZN7rocprim17ROCPRIM_400000_NS6detail17trampoline_kernelINS0_14default_configENS1_27scan_by_key_config_selectorIiiEEZZNS1_16scan_by_key_implILNS1_25lookback_scan_determinismE0ELb1ES3_N6thrust23THRUST_200600_302600_NS6detail15normal_iteratorINS9_10device_ptrIiEEEENSB_INSC_IjEEEENSB_INSC_IfEEEEiNS9_4plusIvEENS9_8equal_toIvEEiEE10hipError_tPvRmT2_T3_T4_T5_mT6_T7_P12ihipStream_tbENKUlT_T0_E_clISt17integral_constantIbLb0EES13_EEDaSY_SZ_EUlSY_E_NS1_11comp_targetILNS1_3genE8ELNS1_11target_archE1030ELNS1_3gpuE2ELNS1_3repE0EEENS1_30default_config_static_selectorELNS0_4arch9wavefront6targetE0EEEvT1_.num_vgpr, 42
	.set _ZN7rocprim17ROCPRIM_400000_NS6detail17trampoline_kernelINS0_14default_configENS1_27scan_by_key_config_selectorIiiEEZZNS1_16scan_by_key_implILNS1_25lookback_scan_determinismE0ELb1ES3_N6thrust23THRUST_200600_302600_NS6detail15normal_iteratorINS9_10device_ptrIiEEEENSB_INSC_IjEEEENSB_INSC_IfEEEEiNS9_4plusIvEENS9_8equal_toIvEEiEE10hipError_tPvRmT2_T3_T4_T5_mT6_T7_P12ihipStream_tbENKUlT_T0_E_clISt17integral_constantIbLb0EES13_EEDaSY_SZ_EUlSY_E_NS1_11comp_targetILNS1_3genE8ELNS1_11target_archE1030ELNS1_3gpuE2ELNS1_3repE0EEENS1_30default_config_static_selectorELNS0_4arch9wavefront6targetE0EEEvT1_.num_agpr, 0
	.set _ZN7rocprim17ROCPRIM_400000_NS6detail17trampoline_kernelINS0_14default_configENS1_27scan_by_key_config_selectorIiiEEZZNS1_16scan_by_key_implILNS1_25lookback_scan_determinismE0ELb1ES3_N6thrust23THRUST_200600_302600_NS6detail15normal_iteratorINS9_10device_ptrIiEEEENSB_INSC_IjEEEENSB_INSC_IfEEEEiNS9_4plusIvEENS9_8equal_toIvEEiEE10hipError_tPvRmT2_T3_T4_T5_mT6_T7_P12ihipStream_tbENKUlT_T0_E_clISt17integral_constantIbLb0EES13_EEDaSY_SZ_EUlSY_E_NS1_11comp_targetILNS1_3genE8ELNS1_11target_archE1030ELNS1_3gpuE2ELNS1_3repE0EEENS1_30default_config_static_selectorELNS0_4arch9wavefront6targetE0EEEvT1_.numbered_sgpr, 30
	.set _ZN7rocprim17ROCPRIM_400000_NS6detail17trampoline_kernelINS0_14default_configENS1_27scan_by_key_config_selectorIiiEEZZNS1_16scan_by_key_implILNS1_25lookback_scan_determinismE0ELb1ES3_N6thrust23THRUST_200600_302600_NS6detail15normal_iteratorINS9_10device_ptrIiEEEENSB_INSC_IjEEEENSB_INSC_IfEEEEiNS9_4plusIvEENS9_8equal_toIvEEiEE10hipError_tPvRmT2_T3_T4_T5_mT6_T7_P12ihipStream_tbENKUlT_T0_E_clISt17integral_constantIbLb0EES13_EEDaSY_SZ_EUlSY_E_NS1_11comp_targetILNS1_3genE8ELNS1_11target_archE1030ELNS1_3gpuE2ELNS1_3repE0EEENS1_30default_config_static_selectorELNS0_4arch9wavefront6targetE0EEEvT1_.num_named_barrier, 0
	.set _ZN7rocprim17ROCPRIM_400000_NS6detail17trampoline_kernelINS0_14default_configENS1_27scan_by_key_config_selectorIiiEEZZNS1_16scan_by_key_implILNS1_25lookback_scan_determinismE0ELb1ES3_N6thrust23THRUST_200600_302600_NS6detail15normal_iteratorINS9_10device_ptrIiEEEENSB_INSC_IjEEEENSB_INSC_IfEEEEiNS9_4plusIvEENS9_8equal_toIvEEiEE10hipError_tPvRmT2_T3_T4_T5_mT6_T7_P12ihipStream_tbENKUlT_T0_E_clISt17integral_constantIbLb0EES13_EEDaSY_SZ_EUlSY_E_NS1_11comp_targetILNS1_3genE8ELNS1_11target_archE1030ELNS1_3gpuE2ELNS1_3repE0EEENS1_30default_config_static_selectorELNS0_4arch9wavefront6targetE0EEEvT1_.private_seg_size, 0
	.set _ZN7rocprim17ROCPRIM_400000_NS6detail17trampoline_kernelINS0_14default_configENS1_27scan_by_key_config_selectorIiiEEZZNS1_16scan_by_key_implILNS1_25lookback_scan_determinismE0ELb1ES3_N6thrust23THRUST_200600_302600_NS6detail15normal_iteratorINS9_10device_ptrIiEEEENSB_INSC_IjEEEENSB_INSC_IfEEEEiNS9_4plusIvEENS9_8equal_toIvEEiEE10hipError_tPvRmT2_T3_T4_T5_mT6_T7_P12ihipStream_tbENKUlT_T0_E_clISt17integral_constantIbLb0EES13_EEDaSY_SZ_EUlSY_E_NS1_11comp_targetILNS1_3genE8ELNS1_11target_archE1030ELNS1_3gpuE2ELNS1_3repE0EEENS1_30default_config_static_selectorELNS0_4arch9wavefront6targetE0EEEvT1_.uses_vcc, 1
	.set _ZN7rocprim17ROCPRIM_400000_NS6detail17trampoline_kernelINS0_14default_configENS1_27scan_by_key_config_selectorIiiEEZZNS1_16scan_by_key_implILNS1_25lookback_scan_determinismE0ELb1ES3_N6thrust23THRUST_200600_302600_NS6detail15normal_iteratorINS9_10device_ptrIiEEEENSB_INSC_IjEEEENSB_INSC_IfEEEEiNS9_4plusIvEENS9_8equal_toIvEEiEE10hipError_tPvRmT2_T3_T4_T5_mT6_T7_P12ihipStream_tbENKUlT_T0_E_clISt17integral_constantIbLb0EES13_EEDaSY_SZ_EUlSY_E_NS1_11comp_targetILNS1_3genE8ELNS1_11target_archE1030ELNS1_3gpuE2ELNS1_3repE0EEENS1_30default_config_static_selectorELNS0_4arch9wavefront6targetE0EEEvT1_.uses_flat_scratch, 1
	.set _ZN7rocprim17ROCPRIM_400000_NS6detail17trampoline_kernelINS0_14default_configENS1_27scan_by_key_config_selectorIiiEEZZNS1_16scan_by_key_implILNS1_25lookback_scan_determinismE0ELb1ES3_N6thrust23THRUST_200600_302600_NS6detail15normal_iteratorINS9_10device_ptrIiEEEENSB_INSC_IjEEEENSB_INSC_IfEEEEiNS9_4plusIvEENS9_8equal_toIvEEiEE10hipError_tPvRmT2_T3_T4_T5_mT6_T7_P12ihipStream_tbENKUlT_T0_E_clISt17integral_constantIbLb0EES13_EEDaSY_SZ_EUlSY_E_NS1_11comp_targetILNS1_3genE8ELNS1_11target_archE1030ELNS1_3gpuE2ELNS1_3repE0EEENS1_30default_config_static_selectorELNS0_4arch9wavefront6targetE0EEEvT1_.has_dyn_sized_stack, 0
	.set _ZN7rocprim17ROCPRIM_400000_NS6detail17trampoline_kernelINS0_14default_configENS1_27scan_by_key_config_selectorIiiEEZZNS1_16scan_by_key_implILNS1_25lookback_scan_determinismE0ELb1ES3_N6thrust23THRUST_200600_302600_NS6detail15normal_iteratorINS9_10device_ptrIiEEEENSB_INSC_IjEEEENSB_INSC_IfEEEEiNS9_4plusIvEENS9_8equal_toIvEEiEE10hipError_tPvRmT2_T3_T4_T5_mT6_T7_P12ihipStream_tbENKUlT_T0_E_clISt17integral_constantIbLb0EES13_EEDaSY_SZ_EUlSY_E_NS1_11comp_targetILNS1_3genE8ELNS1_11target_archE1030ELNS1_3gpuE2ELNS1_3repE0EEENS1_30default_config_static_selectorELNS0_4arch9wavefront6targetE0EEEvT1_.has_recursion, 0
	.set _ZN7rocprim17ROCPRIM_400000_NS6detail17trampoline_kernelINS0_14default_configENS1_27scan_by_key_config_selectorIiiEEZZNS1_16scan_by_key_implILNS1_25lookback_scan_determinismE0ELb1ES3_N6thrust23THRUST_200600_302600_NS6detail15normal_iteratorINS9_10device_ptrIiEEEENSB_INSC_IjEEEENSB_INSC_IfEEEEiNS9_4plusIvEENS9_8equal_toIvEEiEE10hipError_tPvRmT2_T3_T4_T5_mT6_T7_P12ihipStream_tbENKUlT_T0_E_clISt17integral_constantIbLb0EES13_EEDaSY_SZ_EUlSY_E_NS1_11comp_targetILNS1_3genE8ELNS1_11target_archE1030ELNS1_3gpuE2ELNS1_3repE0EEENS1_30default_config_static_selectorELNS0_4arch9wavefront6targetE0EEEvT1_.has_indirect_call, 0
	.section	.AMDGPU.csdata,"",@progbits
; Kernel info:
; codeLenInByte = 6204
; TotalNumSgprs: 32
; NumVgprs: 42
; ScratchSize: 0
; MemoryBound: 0
; FloatMode: 240
; IeeeMode: 1
; LDSByteSize: 5120 bytes/workgroup (compile time only)
; SGPRBlocks: 0
; VGPRBlocks: 5
; NumSGPRsForWavesPerEU: 32
; NumVGPRsForWavesPerEU: 42
; Occupancy: 16
; WaveLimiterHint : 1
; COMPUTE_PGM_RSRC2:SCRATCH_EN: 0
; COMPUTE_PGM_RSRC2:USER_SGPR: 6
; COMPUTE_PGM_RSRC2:TRAP_HANDLER: 0
; COMPUTE_PGM_RSRC2:TGID_X_EN: 1
; COMPUTE_PGM_RSRC2:TGID_Y_EN: 0
; COMPUTE_PGM_RSRC2:TGID_Z_EN: 0
; COMPUTE_PGM_RSRC2:TIDIG_COMP_CNT: 0
	.section	.text._ZN7rocprim17ROCPRIM_400000_NS6detail17trampoline_kernelINS0_14default_configENS1_27scan_by_key_config_selectorIiiEEZZNS1_16scan_by_key_implILNS1_25lookback_scan_determinismE0ELb1ES3_N6thrust23THRUST_200600_302600_NS6detail15normal_iteratorINS9_10device_ptrIiEEEENSB_INSC_IjEEEENSB_INSC_IfEEEEiNS9_4plusIvEENS9_8equal_toIvEEiEE10hipError_tPvRmT2_T3_T4_T5_mT6_T7_P12ihipStream_tbENKUlT_T0_E_clISt17integral_constantIbLb1EES13_EEDaSY_SZ_EUlSY_E_NS1_11comp_targetILNS1_3genE0ELNS1_11target_archE4294967295ELNS1_3gpuE0ELNS1_3repE0EEENS1_30default_config_static_selectorELNS0_4arch9wavefront6targetE0EEEvT1_,"axG",@progbits,_ZN7rocprim17ROCPRIM_400000_NS6detail17trampoline_kernelINS0_14default_configENS1_27scan_by_key_config_selectorIiiEEZZNS1_16scan_by_key_implILNS1_25lookback_scan_determinismE0ELb1ES3_N6thrust23THRUST_200600_302600_NS6detail15normal_iteratorINS9_10device_ptrIiEEEENSB_INSC_IjEEEENSB_INSC_IfEEEEiNS9_4plusIvEENS9_8equal_toIvEEiEE10hipError_tPvRmT2_T3_T4_T5_mT6_T7_P12ihipStream_tbENKUlT_T0_E_clISt17integral_constantIbLb1EES13_EEDaSY_SZ_EUlSY_E_NS1_11comp_targetILNS1_3genE0ELNS1_11target_archE4294967295ELNS1_3gpuE0ELNS1_3repE0EEENS1_30default_config_static_selectorELNS0_4arch9wavefront6targetE0EEEvT1_,comdat
	.protected	_ZN7rocprim17ROCPRIM_400000_NS6detail17trampoline_kernelINS0_14default_configENS1_27scan_by_key_config_selectorIiiEEZZNS1_16scan_by_key_implILNS1_25lookback_scan_determinismE0ELb1ES3_N6thrust23THRUST_200600_302600_NS6detail15normal_iteratorINS9_10device_ptrIiEEEENSB_INSC_IjEEEENSB_INSC_IfEEEEiNS9_4plusIvEENS9_8equal_toIvEEiEE10hipError_tPvRmT2_T3_T4_T5_mT6_T7_P12ihipStream_tbENKUlT_T0_E_clISt17integral_constantIbLb1EES13_EEDaSY_SZ_EUlSY_E_NS1_11comp_targetILNS1_3genE0ELNS1_11target_archE4294967295ELNS1_3gpuE0ELNS1_3repE0EEENS1_30default_config_static_selectorELNS0_4arch9wavefront6targetE0EEEvT1_ ; -- Begin function _ZN7rocprim17ROCPRIM_400000_NS6detail17trampoline_kernelINS0_14default_configENS1_27scan_by_key_config_selectorIiiEEZZNS1_16scan_by_key_implILNS1_25lookback_scan_determinismE0ELb1ES3_N6thrust23THRUST_200600_302600_NS6detail15normal_iteratorINS9_10device_ptrIiEEEENSB_INSC_IjEEEENSB_INSC_IfEEEEiNS9_4plusIvEENS9_8equal_toIvEEiEE10hipError_tPvRmT2_T3_T4_T5_mT6_T7_P12ihipStream_tbENKUlT_T0_E_clISt17integral_constantIbLb1EES13_EEDaSY_SZ_EUlSY_E_NS1_11comp_targetILNS1_3genE0ELNS1_11target_archE4294967295ELNS1_3gpuE0ELNS1_3repE0EEENS1_30default_config_static_selectorELNS0_4arch9wavefront6targetE0EEEvT1_
	.globl	_ZN7rocprim17ROCPRIM_400000_NS6detail17trampoline_kernelINS0_14default_configENS1_27scan_by_key_config_selectorIiiEEZZNS1_16scan_by_key_implILNS1_25lookback_scan_determinismE0ELb1ES3_N6thrust23THRUST_200600_302600_NS6detail15normal_iteratorINS9_10device_ptrIiEEEENSB_INSC_IjEEEENSB_INSC_IfEEEEiNS9_4plusIvEENS9_8equal_toIvEEiEE10hipError_tPvRmT2_T3_T4_T5_mT6_T7_P12ihipStream_tbENKUlT_T0_E_clISt17integral_constantIbLb1EES13_EEDaSY_SZ_EUlSY_E_NS1_11comp_targetILNS1_3genE0ELNS1_11target_archE4294967295ELNS1_3gpuE0ELNS1_3repE0EEENS1_30default_config_static_selectorELNS0_4arch9wavefront6targetE0EEEvT1_
	.p2align	8
	.type	_ZN7rocprim17ROCPRIM_400000_NS6detail17trampoline_kernelINS0_14default_configENS1_27scan_by_key_config_selectorIiiEEZZNS1_16scan_by_key_implILNS1_25lookback_scan_determinismE0ELb1ES3_N6thrust23THRUST_200600_302600_NS6detail15normal_iteratorINS9_10device_ptrIiEEEENSB_INSC_IjEEEENSB_INSC_IfEEEEiNS9_4plusIvEENS9_8equal_toIvEEiEE10hipError_tPvRmT2_T3_T4_T5_mT6_T7_P12ihipStream_tbENKUlT_T0_E_clISt17integral_constantIbLb1EES13_EEDaSY_SZ_EUlSY_E_NS1_11comp_targetILNS1_3genE0ELNS1_11target_archE4294967295ELNS1_3gpuE0ELNS1_3repE0EEENS1_30default_config_static_selectorELNS0_4arch9wavefront6targetE0EEEvT1_,@function
_ZN7rocprim17ROCPRIM_400000_NS6detail17trampoline_kernelINS0_14default_configENS1_27scan_by_key_config_selectorIiiEEZZNS1_16scan_by_key_implILNS1_25lookback_scan_determinismE0ELb1ES3_N6thrust23THRUST_200600_302600_NS6detail15normal_iteratorINS9_10device_ptrIiEEEENSB_INSC_IjEEEENSB_INSC_IfEEEEiNS9_4plusIvEENS9_8equal_toIvEEiEE10hipError_tPvRmT2_T3_T4_T5_mT6_T7_P12ihipStream_tbENKUlT_T0_E_clISt17integral_constantIbLb1EES13_EEDaSY_SZ_EUlSY_E_NS1_11comp_targetILNS1_3genE0ELNS1_11target_archE4294967295ELNS1_3gpuE0ELNS1_3repE0EEENS1_30default_config_static_selectorELNS0_4arch9wavefront6targetE0EEEvT1_: ; @_ZN7rocprim17ROCPRIM_400000_NS6detail17trampoline_kernelINS0_14default_configENS1_27scan_by_key_config_selectorIiiEEZZNS1_16scan_by_key_implILNS1_25lookback_scan_determinismE0ELb1ES3_N6thrust23THRUST_200600_302600_NS6detail15normal_iteratorINS9_10device_ptrIiEEEENSB_INSC_IjEEEENSB_INSC_IfEEEEiNS9_4plusIvEENS9_8equal_toIvEEiEE10hipError_tPvRmT2_T3_T4_T5_mT6_T7_P12ihipStream_tbENKUlT_T0_E_clISt17integral_constantIbLb1EES13_EEDaSY_SZ_EUlSY_E_NS1_11comp_targetILNS1_3genE0ELNS1_11target_archE4294967295ELNS1_3gpuE0ELNS1_3repE0EEENS1_30default_config_static_selectorELNS0_4arch9wavefront6targetE0EEEvT1_
; %bb.0:
	.section	.rodata,"a",@progbits
	.p2align	6, 0x0
	.amdhsa_kernel _ZN7rocprim17ROCPRIM_400000_NS6detail17trampoline_kernelINS0_14default_configENS1_27scan_by_key_config_selectorIiiEEZZNS1_16scan_by_key_implILNS1_25lookback_scan_determinismE0ELb1ES3_N6thrust23THRUST_200600_302600_NS6detail15normal_iteratorINS9_10device_ptrIiEEEENSB_INSC_IjEEEENSB_INSC_IfEEEEiNS9_4plusIvEENS9_8equal_toIvEEiEE10hipError_tPvRmT2_T3_T4_T5_mT6_T7_P12ihipStream_tbENKUlT_T0_E_clISt17integral_constantIbLb1EES13_EEDaSY_SZ_EUlSY_E_NS1_11comp_targetILNS1_3genE0ELNS1_11target_archE4294967295ELNS1_3gpuE0ELNS1_3repE0EEENS1_30default_config_static_selectorELNS0_4arch9wavefront6targetE0EEEvT1_
		.amdhsa_group_segment_fixed_size 0
		.amdhsa_private_segment_fixed_size 0
		.amdhsa_kernarg_size 112
		.amdhsa_user_sgpr_count 6
		.amdhsa_user_sgpr_private_segment_buffer 1
		.amdhsa_user_sgpr_dispatch_ptr 0
		.amdhsa_user_sgpr_queue_ptr 0
		.amdhsa_user_sgpr_kernarg_segment_ptr 1
		.amdhsa_user_sgpr_dispatch_id 0
		.amdhsa_user_sgpr_flat_scratch_init 0
		.amdhsa_user_sgpr_private_segment_size 0
		.amdhsa_wavefront_size32 1
		.amdhsa_uses_dynamic_stack 0
		.amdhsa_system_sgpr_private_segment_wavefront_offset 0
		.amdhsa_system_sgpr_workgroup_id_x 1
		.amdhsa_system_sgpr_workgroup_id_y 0
		.amdhsa_system_sgpr_workgroup_id_z 0
		.amdhsa_system_sgpr_workgroup_info 0
		.amdhsa_system_vgpr_workitem_id 0
		.amdhsa_next_free_vgpr 1
		.amdhsa_next_free_sgpr 1
		.amdhsa_reserve_vcc 0
		.amdhsa_reserve_flat_scratch 0
		.amdhsa_float_round_mode_32 0
		.amdhsa_float_round_mode_16_64 0
		.amdhsa_float_denorm_mode_32 3
		.amdhsa_float_denorm_mode_16_64 3
		.amdhsa_dx10_clamp 1
		.amdhsa_ieee_mode 1
		.amdhsa_fp16_overflow 0
		.amdhsa_workgroup_processor_mode 1
		.amdhsa_memory_ordered 1
		.amdhsa_forward_progress 1
		.amdhsa_shared_vgpr_count 0
		.amdhsa_exception_fp_ieee_invalid_op 0
		.amdhsa_exception_fp_denorm_src 0
		.amdhsa_exception_fp_ieee_div_zero 0
		.amdhsa_exception_fp_ieee_overflow 0
		.amdhsa_exception_fp_ieee_underflow 0
		.amdhsa_exception_fp_ieee_inexact 0
		.amdhsa_exception_int_div_zero 0
	.end_amdhsa_kernel
	.section	.text._ZN7rocprim17ROCPRIM_400000_NS6detail17trampoline_kernelINS0_14default_configENS1_27scan_by_key_config_selectorIiiEEZZNS1_16scan_by_key_implILNS1_25lookback_scan_determinismE0ELb1ES3_N6thrust23THRUST_200600_302600_NS6detail15normal_iteratorINS9_10device_ptrIiEEEENSB_INSC_IjEEEENSB_INSC_IfEEEEiNS9_4plusIvEENS9_8equal_toIvEEiEE10hipError_tPvRmT2_T3_T4_T5_mT6_T7_P12ihipStream_tbENKUlT_T0_E_clISt17integral_constantIbLb1EES13_EEDaSY_SZ_EUlSY_E_NS1_11comp_targetILNS1_3genE0ELNS1_11target_archE4294967295ELNS1_3gpuE0ELNS1_3repE0EEENS1_30default_config_static_selectorELNS0_4arch9wavefront6targetE0EEEvT1_,"axG",@progbits,_ZN7rocprim17ROCPRIM_400000_NS6detail17trampoline_kernelINS0_14default_configENS1_27scan_by_key_config_selectorIiiEEZZNS1_16scan_by_key_implILNS1_25lookback_scan_determinismE0ELb1ES3_N6thrust23THRUST_200600_302600_NS6detail15normal_iteratorINS9_10device_ptrIiEEEENSB_INSC_IjEEEENSB_INSC_IfEEEEiNS9_4plusIvEENS9_8equal_toIvEEiEE10hipError_tPvRmT2_T3_T4_T5_mT6_T7_P12ihipStream_tbENKUlT_T0_E_clISt17integral_constantIbLb1EES13_EEDaSY_SZ_EUlSY_E_NS1_11comp_targetILNS1_3genE0ELNS1_11target_archE4294967295ELNS1_3gpuE0ELNS1_3repE0EEENS1_30default_config_static_selectorELNS0_4arch9wavefront6targetE0EEEvT1_,comdat
.Lfunc_end1725:
	.size	_ZN7rocprim17ROCPRIM_400000_NS6detail17trampoline_kernelINS0_14default_configENS1_27scan_by_key_config_selectorIiiEEZZNS1_16scan_by_key_implILNS1_25lookback_scan_determinismE0ELb1ES3_N6thrust23THRUST_200600_302600_NS6detail15normal_iteratorINS9_10device_ptrIiEEEENSB_INSC_IjEEEENSB_INSC_IfEEEEiNS9_4plusIvEENS9_8equal_toIvEEiEE10hipError_tPvRmT2_T3_T4_T5_mT6_T7_P12ihipStream_tbENKUlT_T0_E_clISt17integral_constantIbLb1EES13_EEDaSY_SZ_EUlSY_E_NS1_11comp_targetILNS1_3genE0ELNS1_11target_archE4294967295ELNS1_3gpuE0ELNS1_3repE0EEENS1_30default_config_static_selectorELNS0_4arch9wavefront6targetE0EEEvT1_, .Lfunc_end1725-_ZN7rocprim17ROCPRIM_400000_NS6detail17trampoline_kernelINS0_14default_configENS1_27scan_by_key_config_selectorIiiEEZZNS1_16scan_by_key_implILNS1_25lookback_scan_determinismE0ELb1ES3_N6thrust23THRUST_200600_302600_NS6detail15normal_iteratorINS9_10device_ptrIiEEEENSB_INSC_IjEEEENSB_INSC_IfEEEEiNS9_4plusIvEENS9_8equal_toIvEEiEE10hipError_tPvRmT2_T3_T4_T5_mT6_T7_P12ihipStream_tbENKUlT_T0_E_clISt17integral_constantIbLb1EES13_EEDaSY_SZ_EUlSY_E_NS1_11comp_targetILNS1_3genE0ELNS1_11target_archE4294967295ELNS1_3gpuE0ELNS1_3repE0EEENS1_30default_config_static_selectorELNS0_4arch9wavefront6targetE0EEEvT1_
                                        ; -- End function
	.set _ZN7rocprim17ROCPRIM_400000_NS6detail17trampoline_kernelINS0_14default_configENS1_27scan_by_key_config_selectorIiiEEZZNS1_16scan_by_key_implILNS1_25lookback_scan_determinismE0ELb1ES3_N6thrust23THRUST_200600_302600_NS6detail15normal_iteratorINS9_10device_ptrIiEEEENSB_INSC_IjEEEENSB_INSC_IfEEEEiNS9_4plusIvEENS9_8equal_toIvEEiEE10hipError_tPvRmT2_T3_T4_T5_mT6_T7_P12ihipStream_tbENKUlT_T0_E_clISt17integral_constantIbLb1EES13_EEDaSY_SZ_EUlSY_E_NS1_11comp_targetILNS1_3genE0ELNS1_11target_archE4294967295ELNS1_3gpuE0ELNS1_3repE0EEENS1_30default_config_static_selectorELNS0_4arch9wavefront6targetE0EEEvT1_.num_vgpr, 0
	.set _ZN7rocprim17ROCPRIM_400000_NS6detail17trampoline_kernelINS0_14default_configENS1_27scan_by_key_config_selectorIiiEEZZNS1_16scan_by_key_implILNS1_25lookback_scan_determinismE0ELb1ES3_N6thrust23THRUST_200600_302600_NS6detail15normal_iteratorINS9_10device_ptrIiEEEENSB_INSC_IjEEEENSB_INSC_IfEEEEiNS9_4plusIvEENS9_8equal_toIvEEiEE10hipError_tPvRmT2_T3_T4_T5_mT6_T7_P12ihipStream_tbENKUlT_T0_E_clISt17integral_constantIbLb1EES13_EEDaSY_SZ_EUlSY_E_NS1_11comp_targetILNS1_3genE0ELNS1_11target_archE4294967295ELNS1_3gpuE0ELNS1_3repE0EEENS1_30default_config_static_selectorELNS0_4arch9wavefront6targetE0EEEvT1_.num_agpr, 0
	.set _ZN7rocprim17ROCPRIM_400000_NS6detail17trampoline_kernelINS0_14default_configENS1_27scan_by_key_config_selectorIiiEEZZNS1_16scan_by_key_implILNS1_25lookback_scan_determinismE0ELb1ES3_N6thrust23THRUST_200600_302600_NS6detail15normal_iteratorINS9_10device_ptrIiEEEENSB_INSC_IjEEEENSB_INSC_IfEEEEiNS9_4plusIvEENS9_8equal_toIvEEiEE10hipError_tPvRmT2_T3_T4_T5_mT6_T7_P12ihipStream_tbENKUlT_T0_E_clISt17integral_constantIbLb1EES13_EEDaSY_SZ_EUlSY_E_NS1_11comp_targetILNS1_3genE0ELNS1_11target_archE4294967295ELNS1_3gpuE0ELNS1_3repE0EEENS1_30default_config_static_selectorELNS0_4arch9wavefront6targetE0EEEvT1_.numbered_sgpr, 0
	.set _ZN7rocprim17ROCPRIM_400000_NS6detail17trampoline_kernelINS0_14default_configENS1_27scan_by_key_config_selectorIiiEEZZNS1_16scan_by_key_implILNS1_25lookback_scan_determinismE0ELb1ES3_N6thrust23THRUST_200600_302600_NS6detail15normal_iteratorINS9_10device_ptrIiEEEENSB_INSC_IjEEEENSB_INSC_IfEEEEiNS9_4plusIvEENS9_8equal_toIvEEiEE10hipError_tPvRmT2_T3_T4_T5_mT6_T7_P12ihipStream_tbENKUlT_T0_E_clISt17integral_constantIbLb1EES13_EEDaSY_SZ_EUlSY_E_NS1_11comp_targetILNS1_3genE0ELNS1_11target_archE4294967295ELNS1_3gpuE0ELNS1_3repE0EEENS1_30default_config_static_selectorELNS0_4arch9wavefront6targetE0EEEvT1_.num_named_barrier, 0
	.set _ZN7rocprim17ROCPRIM_400000_NS6detail17trampoline_kernelINS0_14default_configENS1_27scan_by_key_config_selectorIiiEEZZNS1_16scan_by_key_implILNS1_25lookback_scan_determinismE0ELb1ES3_N6thrust23THRUST_200600_302600_NS6detail15normal_iteratorINS9_10device_ptrIiEEEENSB_INSC_IjEEEENSB_INSC_IfEEEEiNS9_4plusIvEENS9_8equal_toIvEEiEE10hipError_tPvRmT2_T3_T4_T5_mT6_T7_P12ihipStream_tbENKUlT_T0_E_clISt17integral_constantIbLb1EES13_EEDaSY_SZ_EUlSY_E_NS1_11comp_targetILNS1_3genE0ELNS1_11target_archE4294967295ELNS1_3gpuE0ELNS1_3repE0EEENS1_30default_config_static_selectorELNS0_4arch9wavefront6targetE0EEEvT1_.private_seg_size, 0
	.set _ZN7rocprim17ROCPRIM_400000_NS6detail17trampoline_kernelINS0_14default_configENS1_27scan_by_key_config_selectorIiiEEZZNS1_16scan_by_key_implILNS1_25lookback_scan_determinismE0ELb1ES3_N6thrust23THRUST_200600_302600_NS6detail15normal_iteratorINS9_10device_ptrIiEEEENSB_INSC_IjEEEENSB_INSC_IfEEEEiNS9_4plusIvEENS9_8equal_toIvEEiEE10hipError_tPvRmT2_T3_T4_T5_mT6_T7_P12ihipStream_tbENKUlT_T0_E_clISt17integral_constantIbLb1EES13_EEDaSY_SZ_EUlSY_E_NS1_11comp_targetILNS1_3genE0ELNS1_11target_archE4294967295ELNS1_3gpuE0ELNS1_3repE0EEENS1_30default_config_static_selectorELNS0_4arch9wavefront6targetE0EEEvT1_.uses_vcc, 0
	.set _ZN7rocprim17ROCPRIM_400000_NS6detail17trampoline_kernelINS0_14default_configENS1_27scan_by_key_config_selectorIiiEEZZNS1_16scan_by_key_implILNS1_25lookback_scan_determinismE0ELb1ES3_N6thrust23THRUST_200600_302600_NS6detail15normal_iteratorINS9_10device_ptrIiEEEENSB_INSC_IjEEEENSB_INSC_IfEEEEiNS9_4plusIvEENS9_8equal_toIvEEiEE10hipError_tPvRmT2_T3_T4_T5_mT6_T7_P12ihipStream_tbENKUlT_T0_E_clISt17integral_constantIbLb1EES13_EEDaSY_SZ_EUlSY_E_NS1_11comp_targetILNS1_3genE0ELNS1_11target_archE4294967295ELNS1_3gpuE0ELNS1_3repE0EEENS1_30default_config_static_selectorELNS0_4arch9wavefront6targetE0EEEvT1_.uses_flat_scratch, 0
	.set _ZN7rocprim17ROCPRIM_400000_NS6detail17trampoline_kernelINS0_14default_configENS1_27scan_by_key_config_selectorIiiEEZZNS1_16scan_by_key_implILNS1_25lookback_scan_determinismE0ELb1ES3_N6thrust23THRUST_200600_302600_NS6detail15normal_iteratorINS9_10device_ptrIiEEEENSB_INSC_IjEEEENSB_INSC_IfEEEEiNS9_4plusIvEENS9_8equal_toIvEEiEE10hipError_tPvRmT2_T3_T4_T5_mT6_T7_P12ihipStream_tbENKUlT_T0_E_clISt17integral_constantIbLb1EES13_EEDaSY_SZ_EUlSY_E_NS1_11comp_targetILNS1_3genE0ELNS1_11target_archE4294967295ELNS1_3gpuE0ELNS1_3repE0EEENS1_30default_config_static_selectorELNS0_4arch9wavefront6targetE0EEEvT1_.has_dyn_sized_stack, 0
	.set _ZN7rocprim17ROCPRIM_400000_NS6detail17trampoline_kernelINS0_14default_configENS1_27scan_by_key_config_selectorIiiEEZZNS1_16scan_by_key_implILNS1_25lookback_scan_determinismE0ELb1ES3_N6thrust23THRUST_200600_302600_NS6detail15normal_iteratorINS9_10device_ptrIiEEEENSB_INSC_IjEEEENSB_INSC_IfEEEEiNS9_4plusIvEENS9_8equal_toIvEEiEE10hipError_tPvRmT2_T3_T4_T5_mT6_T7_P12ihipStream_tbENKUlT_T0_E_clISt17integral_constantIbLb1EES13_EEDaSY_SZ_EUlSY_E_NS1_11comp_targetILNS1_3genE0ELNS1_11target_archE4294967295ELNS1_3gpuE0ELNS1_3repE0EEENS1_30default_config_static_selectorELNS0_4arch9wavefront6targetE0EEEvT1_.has_recursion, 0
	.set _ZN7rocprim17ROCPRIM_400000_NS6detail17trampoline_kernelINS0_14default_configENS1_27scan_by_key_config_selectorIiiEEZZNS1_16scan_by_key_implILNS1_25lookback_scan_determinismE0ELb1ES3_N6thrust23THRUST_200600_302600_NS6detail15normal_iteratorINS9_10device_ptrIiEEEENSB_INSC_IjEEEENSB_INSC_IfEEEEiNS9_4plusIvEENS9_8equal_toIvEEiEE10hipError_tPvRmT2_T3_T4_T5_mT6_T7_P12ihipStream_tbENKUlT_T0_E_clISt17integral_constantIbLb1EES13_EEDaSY_SZ_EUlSY_E_NS1_11comp_targetILNS1_3genE0ELNS1_11target_archE4294967295ELNS1_3gpuE0ELNS1_3repE0EEENS1_30default_config_static_selectorELNS0_4arch9wavefront6targetE0EEEvT1_.has_indirect_call, 0
	.section	.AMDGPU.csdata,"",@progbits
; Kernel info:
; codeLenInByte = 0
; TotalNumSgprs: 0
; NumVgprs: 0
; ScratchSize: 0
; MemoryBound: 0
; FloatMode: 240
; IeeeMode: 1
; LDSByteSize: 0 bytes/workgroup (compile time only)
; SGPRBlocks: 0
; VGPRBlocks: 0
; NumSGPRsForWavesPerEU: 1
; NumVGPRsForWavesPerEU: 1
; Occupancy: 16
; WaveLimiterHint : 0
; COMPUTE_PGM_RSRC2:SCRATCH_EN: 0
; COMPUTE_PGM_RSRC2:USER_SGPR: 6
; COMPUTE_PGM_RSRC2:TRAP_HANDLER: 0
; COMPUTE_PGM_RSRC2:TGID_X_EN: 1
; COMPUTE_PGM_RSRC2:TGID_Y_EN: 0
; COMPUTE_PGM_RSRC2:TGID_Z_EN: 0
; COMPUTE_PGM_RSRC2:TIDIG_COMP_CNT: 0
	.section	.text._ZN7rocprim17ROCPRIM_400000_NS6detail17trampoline_kernelINS0_14default_configENS1_27scan_by_key_config_selectorIiiEEZZNS1_16scan_by_key_implILNS1_25lookback_scan_determinismE0ELb1ES3_N6thrust23THRUST_200600_302600_NS6detail15normal_iteratorINS9_10device_ptrIiEEEENSB_INSC_IjEEEENSB_INSC_IfEEEEiNS9_4plusIvEENS9_8equal_toIvEEiEE10hipError_tPvRmT2_T3_T4_T5_mT6_T7_P12ihipStream_tbENKUlT_T0_E_clISt17integral_constantIbLb1EES13_EEDaSY_SZ_EUlSY_E_NS1_11comp_targetILNS1_3genE10ELNS1_11target_archE1201ELNS1_3gpuE5ELNS1_3repE0EEENS1_30default_config_static_selectorELNS0_4arch9wavefront6targetE0EEEvT1_,"axG",@progbits,_ZN7rocprim17ROCPRIM_400000_NS6detail17trampoline_kernelINS0_14default_configENS1_27scan_by_key_config_selectorIiiEEZZNS1_16scan_by_key_implILNS1_25lookback_scan_determinismE0ELb1ES3_N6thrust23THRUST_200600_302600_NS6detail15normal_iteratorINS9_10device_ptrIiEEEENSB_INSC_IjEEEENSB_INSC_IfEEEEiNS9_4plusIvEENS9_8equal_toIvEEiEE10hipError_tPvRmT2_T3_T4_T5_mT6_T7_P12ihipStream_tbENKUlT_T0_E_clISt17integral_constantIbLb1EES13_EEDaSY_SZ_EUlSY_E_NS1_11comp_targetILNS1_3genE10ELNS1_11target_archE1201ELNS1_3gpuE5ELNS1_3repE0EEENS1_30default_config_static_selectorELNS0_4arch9wavefront6targetE0EEEvT1_,comdat
	.protected	_ZN7rocprim17ROCPRIM_400000_NS6detail17trampoline_kernelINS0_14default_configENS1_27scan_by_key_config_selectorIiiEEZZNS1_16scan_by_key_implILNS1_25lookback_scan_determinismE0ELb1ES3_N6thrust23THRUST_200600_302600_NS6detail15normal_iteratorINS9_10device_ptrIiEEEENSB_INSC_IjEEEENSB_INSC_IfEEEEiNS9_4plusIvEENS9_8equal_toIvEEiEE10hipError_tPvRmT2_T3_T4_T5_mT6_T7_P12ihipStream_tbENKUlT_T0_E_clISt17integral_constantIbLb1EES13_EEDaSY_SZ_EUlSY_E_NS1_11comp_targetILNS1_3genE10ELNS1_11target_archE1201ELNS1_3gpuE5ELNS1_3repE0EEENS1_30default_config_static_selectorELNS0_4arch9wavefront6targetE0EEEvT1_ ; -- Begin function _ZN7rocprim17ROCPRIM_400000_NS6detail17trampoline_kernelINS0_14default_configENS1_27scan_by_key_config_selectorIiiEEZZNS1_16scan_by_key_implILNS1_25lookback_scan_determinismE0ELb1ES3_N6thrust23THRUST_200600_302600_NS6detail15normal_iteratorINS9_10device_ptrIiEEEENSB_INSC_IjEEEENSB_INSC_IfEEEEiNS9_4plusIvEENS9_8equal_toIvEEiEE10hipError_tPvRmT2_T3_T4_T5_mT6_T7_P12ihipStream_tbENKUlT_T0_E_clISt17integral_constantIbLb1EES13_EEDaSY_SZ_EUlSY_E_NS1_11comp_targetILNS1_3genE10ELNS1_11target_archE1201ELNS1_3gpuE5ELNS1_3repE0EEENS1_30default_config_static_selectorELNS0_4arch9wavefront6targetE0EEEvT1_
	.globl	_ZN7rocprim17ROCPRIM_400000_NS6detail17trampoline_kernelINS0_14default_configENS1_27scan_by_key_config_selectorIiiEEZZNS1_16scan_by_key_implILNS1_25lookback_scan_determinismE0ELb1ES3_N6thrust23THRUST_200600_302600_NS6detail15normal_iteratorINS9_10device_ptrIiEEEENSB_INSC_IjEEEENSB_INSC_IfEEEEiNS9_4plusIvEENS9_8equal_toIvEEiEE10hipError_tPvRmT2_T3_T4_T5_mT6_T7_P12ihipStream_tbENKUlT_T0_E_clISt17integral_constantIbLb1EES13_EEDaSY_SZ_EUlSY_E_NS1_11comp_targetILNS1_3genE10ELNS1_11target_archE1201ELNS1_3gpuE5ELNS1_3repE0EEENS1_30default_config_static_selectorELNS0_4arch9wavefront6targetE0EEEvT1_
	.p2align	8
	.type	_ZN7rocprim17ROCPRIM_400000_NS6detail17trampoline_kernelINS0_14default_configENS1_27scan_by_key_config_selectorIiiEEZZNS1_16scan_by_key_implILNS1_25lookback_scan_determinismE0ELb1ES3_N6thrust23THRUST_200600_302600_NS6detail15normal_iteratorINS9_10device_ptrIiEEEENSB_INSC_IjEEEENSB_INSC_IfEEEEiNS9_4plusIvEENS9_8equal_toIvEEiEE10hipError_tPvRmT2_T3_T4_T5_mT6_T7_P12ihipStream_tbENKUlT_T0_E_clISt17integral_constantIbLb1EES13_EEDaSY_SZ_EUlSY_E_NS1_11comp_targetILNS1_3genE10ELNS1_11target_archE1201ELNS1_3gpuE5ELNS1_3repE0EEENS1_30default_config_static_selectorELNS0_4arch9wavefront6targetE0EEEvT1_,@function
_ZN7rocprim17ROCPRIM_400000_NS6detail17trampoline_kernelINS0_14default_configENS1_27scan_by_key_config_selectorIiiEEZZNS1_16scan_by_key_implILNS1_25lookback_scan_determinismE0ELb1ES3_N6thrust23THRUST_200600_302600_NS6detail15normal_iteratorINS9_10device_ptrIiEEEENSB_INSC_IjEEEENSB_INSC_IfEEEEiNS9_4plusIvEENS9_8equal_toIvEEiEE10hipError_tPvRmT2_T3_T4_T5_mT6_T7_P12ihipStream_tbENKUlT_T0_E_clISt17integral_constantIbLb1EES13_EEDaSY_SZ_EUlSY_E_NS1_11comp_targetILNS1_3genE10ELNS1_11target_archE1201ELNS1_3gpuE5ELNS1_3repE0EEENS1_30default_config_static_selectorELNS0_4arch9wavefront6targetE0EEEvT1_: ; @_ZN7rocprim17ROCPRIM_400000_NS6detail17trampoline_kernelINS0_14default_configENS1_27scan_by_key_config_selectorIiiEEZZNS1_16scan_by_key_implILNS1_25lookback_scan_determinismE0ELb1ES3_N6thrust23THRUST_200600_302600_NS6detail15normal_iteratorINS9_10device_ptrIiEEEENSB_INSC_IjEEEENSB_INSC_IfEEEEiNS9_4plusIvEENS9_8equal_toIvEEiEE10hipError_tPvRmT2_T3_T4_T5_mT6_T7_P12ihipStream_tbENKUlT_T0_E_clISt17integral_constantIbLb1EES13_EEDaSY_SZ_EUlSY_E_NS1_11comp_targetILNS1_3genE10ELNS1_11target_archE1201ELNS1_3gpuE5ELNS1_3repE0EEENS1_30default_config_static_selectorELNS0_4arch9wavefront6targetE0EEEvT1_
; %bb.0:
	.section	.rodata,"a",@progbits
	.p2align	6, 0x0
	.amdhsa_kernel _ZN7rocprim17ROCPRIM_400000_NS6detail17trampoline_kernelINS0_14default_configENS1_27scan_by_key_config_selectorIiiEEZZNS1_16scan_by_key_implILNS1_25lookback_scan_determinismE0ELb1ES3_N6thrust23THRUST_200600_302600_NS6detail15normal_iteratorINS9_10device_ptrIiEEEENSB_INSC_IjEEEENSB_INSC_IfEEEEiNS9_4plusIvEENS9_8equal_toIvEEiEE10hipError_tPvRmT2_T3_T4_T5_mT6_T7_P12ihipStream_tbENKUlT_T0_E_clISt17integral_constantIbLb1EES13_EEDaSY_SZ_EUlSY_E_NS1_11comp_targetILNS1_3genE10ELNS1_11target_archE1201ELNS1_3gpuE5ELNS1_3repE0EEENS1_30default_config_static_selectorELNS0_4arch9wavefront6targetE0EEEvT1_
		.amdhsa_group_segment_fixed_size 0
		.amdhsa_private_segment_fixed_size 0
		.amdhsa_kernarg_size 112
		.amdhsa_user_sgpr_count 6
		.amdhsa_user_sgpr_private_segment_buffer 1
		.amdhsa_user_sgpr_dispatch_ptr 0
		.amdhsa_user_sgpr_queue_ptr 0
		.amdhsa_user_sgpr_kernarg_segment_ptr 1
		.amdhsa_user_sgpr_dispatch_id 0
		.amdhsa_user_sgpr_flat_scratch_init 0
		.amdhsa_user_sgpr_private_segment_size 0
		.amdhsa_wavefront_size32 1
		.amdhsa_uses_dynamic_stack 0
		.amdhsa_system_sgpr_private_segment_wavefront_offset 0
		.amdhsa_system_sgpr_workgroup_id_x 1
		.amdhsa_system_sgpr_workgroup_id_y 0
		.amdhsa_system_sgpr_workgroup_id_z 0
		.amdhsa_system_sgpr_workgroup_info 0
		.amdhsa_system_vgpr_workitem_id 0
		.amdhsa_next_free_vgpr 1
		.amdhsa_next_free_sgpr 1
		.amdhsa_reserve_vcc 0
		.amdhsa_reserve_flat_scratch 0
		.amdhsa_float_round_mode_32 0
		.amdhsa_float_round_mode_16_64 0
		.amdhsa_float_denorm_mode_32 3
		.amdhsa_float_denorm_mode_16_64 3
		.amdhsa_dx10_clamp 1
		.amdhsa_ieee_mode 1
		.amdhsa_fp16_overflow 0
		.amdhsa_workgroup_processor_mode 1
		.amdhsa_memory_ordered 1
		.amdhsa_forward_progress 1
		.amdhsa_shared_vgpr_count 0
		.amdhsa_exception_fp_ieee_invalid_op 0
		.amdhsa_exception_fp_denorm_src 0
		.amdhsa_exception_fp_ieee_div_zero 0
		.amdhsa_exception_fp_ieee_overflow 0
		.amdhsa_exception_fp_ieee_underflow 0
		.amdhsa_exception_fp_ieee_inexact 0
		.amdhsa_exception_int_div_zero 0
	.end_amdhsa_kernel
	.section	.text._ZN7rocprim17ROCPRIM_400000_NS6detail17trampoline_kernelINS0_14default_configENS1_27scan_by_key_config_selectorIiiEEZZNS1_16scan_by_key_implILNS1_25lookback_scan_determinismE0ELb1ES3_N6thrust23THRUST_200600_302600_NS6detail15normal_iteratorINS9_10device_ptrIiEEEENSB_INSC_IjEEEENSB_INSC_IfEEEEiNS9_4plusIvEENS9_8equal_toIvEEiEE10hipError_tPvRmT2_T3_T4_T5_mT6_T7_P12ihipStream_tbENKUlT_T0_E_clISt17integral_constantIbLb1EES13_EEDaSY_SZ_EUlSY_E_NS1_11comp_targetILNS1_3genE10ELNS1_11target_archE1201ELNS1_3gpuE5ELNS1_3repE0EEENS1_30default_config_static_selectorELNS0_4arch9wavefront6targetE0EEEvT1_,"axG",@progbits,_ZN7rocprim17ROCPRIM_400000_NS6detail17trampoline_kernelINS0_14default_configENS1_27scan_by_key_config_selectorIiiEEZZNS1_16scan_by_key_implILNS1_25lookback_scan_determinismE0ELb1ES3_N6thrust23THRUST_200600_302600_NS6detail15normal_iteratorINS9_10device_ptrIiEEEENSB_INSC_IjEEEENSB_INSC_IfEEEEiNS9_4plusIvEENS9_8equal_toIvEEiEE10hipError_tPvRmT2_T3_T4_T5_mT6_T7_P12ihipStream_tbENKUlT_T0_E_clISt17integral_constantIbLb1EES13_EEDaSY_SZ_EUlSY_E_NS1_11comp_targetILNS1_3genE10ELNS1_11target_archE1201ELNS1_3gpuE5ELNS1_3repE0EEENS1_30default_config_static_selectorELNS0_4arch9wavefront6targetE0EEEvT1_,comdat
.Lfunc_end1726:
	.size	_ZN7rocprim17ROCPRIM_400000_NS6detail17trampoline_kernelINS0_14default_configENS1_27scan_by_key_config_selectorIiiEEZZNS1_16scan_by_key_implILNS1_25lookback_scan_determinismE0ELb1ES3_N6thrust23THRUST_200600_302600_NS6detail15normal_iteratorINS9_10device_ptrIiEEEENSB_INSC_IjEEEENSB_INSC_IfEEEEiNS9_4plusIvEENS9_8equal_toIvEEiEE10hipError_tPvRmT2_T3_T4_T5_mT6_T7_P12ihipStream_tbENKUlT_T0_E_clISt17integral_constantIbLb1EES13_EEDaSY_SZ_EUlSY_E_NS1_11comp_targetILNS1_3genE10ELNS1_11target_archE1201ELNS1_3gpuE5ELNS1_3repE0EEENS1_30default_config_static_selectorELNS0_4arch9wavefront6targetE0EEEvT1_, .Lfunc_end1726-_ZN7rocprim17ROCPRIM_400000_NS6detail17trampoline_kernelINS0_14default_configENS1_27scan_by_key_config_selectorIiiEEZZNS1_16scan_by_key_implILNS1_25lookback_scan_determinismE0ELb1ES3_N6thrust23THRUST_200600_302600_NS6detail15normal_iteratorINS9_10device_ptrIiEEEENSB_INSC_IjEEEENSB_INSC_IfEEEEiNS9_4plusIvEENS9_8equal_toIvEEiEE10hipError_tPvRmT2_T3_T4_T5_mT6_T7_P12ihipStream_tbENKUlT_T0_E_clISt17integral_constantIbLb1EES13_EEDaSY_SZ_EUlSY_E_NS1_11comp_targetILNS1_3genE10ELNS1_11target_archE1201ELNS1_3gpuE5ELNS1_3repE0EEENS1_30default_config_static_selectorELNS0_4arch9wavefront6targetE0EEEvT1_
                                        ; -- End function
	.set _ZN7rocprim17ROCPRIM_400000_NS6detail17trampoline_kernelINS0_14default_configENS1_27scan_by_key_config_selectorIiiEEZZNS1_16scan_by_key_implILNS1_25lookback_scan_determinismE0ELb1ES3_N6thrust23THRUST_200600_302600_NS6detail15normal_iteratorINS9_10device_ptrIiEEEENSB_INSC_IjEEEENSB_INSC_IfEEEEiNS9_4plusIvEENS9_8equal_toIvEEiEE10hipError_tPvRmT2_T3_T4_T5_mT6_T7_P12ihipStream_tbENKUlT_T0_E_clISt17integral_constantIbLb1EES13_EEDaSY_SZ_EUlSY_E_NS1_11comp_targetILNS1_3genE10ELNS1_11target_archE1201ELNS1_3gpuE5ELNS1_3repE0EEENS1_30default_config_static_selectorELNS0_4arch9wavefront6targetE0EEEvT1_.num_vgpr, 0
	.set _ZN7rocprim17ROCPRIM_400000_NS6detail17trampoline_kernelINS0_14default_configENS1_27scan_by_key_config_selectorIiiEEZZNS1_16scan_by_key_implILNS1_25lookback_scan_determinismE0ELb1ES3_N6thrust23THRUST_200600_302600_NS6detail15normal_iteratorINS9_10device_ptrIiEEEENSB_INSC_IjEEEENSB_INSC_IfEEEEiNS9_4plusIvEENS9_8equal_toIvEEiEE10hipError_tPvRmT2_T3_T4_T5_mT6_T7_P12ihipStream_tbENKUlT_T0_E_clISt17integral_constantIbLb1EES13_EEDaSY_SZ_EUlSY_E_NS1_11comp_targetILNS1_3genE10ELNS1_11target_archE1201ELNS1_3gpuE5ELNS1_3repE0EEENS1_30default_config_static_selectorELNS0_4arch9wavefront6targetE0EEEvT1_.num_agpr, 0
	.set _ZN7rocprim17ROCPRIM_400000_NS6detail17trampoline_kernelINS0_14default_configENS1_27scan_by_key_config_selectorIiiEEZZNS1_16scan_by_key_implILNS1_25lookback_scan_determinismE0ELb1ES3_N6thrust23THRUST_200600_302600_NS6detail15normal_iteratorINS9_10device_ptrIiEEEENSB_INSC_IjEEEENSB_INSC_IfEEEEiNS9_4plusIvEENS9_8equal_toIvEEiEE10hipError_tPvRmT2_T3_T4_T5_mT6_T7_P12ihipStream_tbENKUlT_T0_E_clISt17integral_constantIbLb1EES13_EEDaSY_SZ_EUlSY_E_NS1_11comp_targetILNS1_3genE10ELNS1_11target_archE1201ELNS1_3gpuE5ELNS1_3repE0EEENS1_30default_config_static_selectorELNS0_4arch9wavefront6targetE0EEEvT1_.numbered_sgpr, 0
	.set _ZN7rocprim17ROCPRIM_400000_NS6detail17trampoline_kernelINS0_14default_configENS1_27scan_by_key_config_selectorIiiEEZZNS1_16scan_by_key_implILNS1_25lookback_scan_determinismE0ELb1ES3_N6thrust23THRUST_200600_302600_NS6detail15normal_iteratorINS9_10device_ptrIiEEEENSB_INSC_IjEEEENSB_INSC_IfEEEEiNS9_4plusIvEENS9_8equal_toIvEEiEE10hipError_tPvRmT2_T3_T4_T5_mT6_T7_P12ihipStream_tbENKUlT_T0_E_clISt17integral_constantIbLb1EES13_EEDaSY_SZ_EUlSY_E_NS1_11comp_targetILNS1_3genE10ELNS1_11target_archE1201ELNS1_3gpuE5ELNS1_3repE0EEENS1_30default_config_static_selectorELNS0_4arch9wavefront6targetE0EEEvT1_.num_named_barrier, 0
	.set _ZN7rocprim17ROCPRIM_400000_NS6detail17trampoline_kernelINS0_14default_configENS1_27scan_by_key_config_selectorIiiEEZZNS1_16scan_by_key_implILNS1_25lookback_scan_determinismE0ELb1ES3_N6thrust23THRUST_200600_302600_NS6detail15normal_iteratorINS9_10device_ptrIiEEEENSB_INSC_IjEEEENSB_INSC_IfEEEEiNS9_4plusIvEENS9_8equal_toIvEEiEE10hipError_tPvRmT2_T3_T4_T5_mT6_T7_P12ihipStream_tbENKUlT_T0_E_clISt17integral_constantIbLb1EES13_EEDaSY_SZ_EUlSY_E_NS1_11comp_targetILNS1_3genE10ELNS1_11target_archE1201ELNS1_3gpuE5ELNS1_3repE0EEENS1_30default_config_static_selectorELNS0_4arch9wavefront6targetE0EEEvT1_.private_seg_size, 0
	.set _ZN7rocprim17ROCPRIM_400000_NS6detail17trampoline_kernelINS0_14default_configENS1_27scan_by_key_config_selectorIiiEEZZNS1_16scan_by_key_implILNS1_25lookback_scan_determinismE0ELb1ES3_N6thrust23THRUST_200600_302600_NS6detail15normal_iteratorINS9_10device_ptrIiEEEENSB_INSC_IjEEEENSB_INSC_IfEEEEiNS9_4plusIvEENS9_8equal_toIvEEiEE10hipError_tPvRmT2_T3_T4_T5_mT6_T7_P12ihipStream_tbENKUlT_T0_E_clISt17integral_constantIbLb1EES13_EEDaSY_SZ_EUlSY_E_NS1_11comp_targetILNS1_3genE10ELNS1_11target_archE1201ELNS1_3gpuE5ELNS1_3repE0EEENS1_30default_config_static_selectorELNS0_4arch9wavefront6targetE0EEEvT1_.uses_vcc, 0
	.set _ZN7rocprim17ROCPRIM_400000_NS6detail17trampoline_kernelINS0_14default_configENS1_27scan_by_key_config_selectorIiiEEZZNS1_16scan_by_key_implILNS1_25lookback_scan_determinismE0ELb1ES3_N6thrust23THRUST_200600_302600_NS6detail15normal_iteratorINS9_10device_ptrIiEEEENSB_INSC_IjEEEENSB_INSC_IfEEEEiNS9_4plusIvEENS9_8equal_toIvEEiEE10hipError_tPvRmT2_T3_T4_T5_mT6_T7_P12ihipStream_tbENKUlT_T0_E_clISt17integral_constantIbLb1EES13_EEDaSY_SZ_EUlSY_E_NS1_11comp_targetILNS1_3genE10ELNS1_11target_archE1201ELNS1_3gpuE5ELNS1_3repE0EEENS1_30default_config_static_selectorELNS0_4arch9wavefront6targetE0EEEvT1_.uses_flat_scratch, 0
	.set _ZN7rocprim17ROCPRIM_400000_NS6detail17trampoline_kernelINS0_14default_configENS1_27scan_by_key_config_selectorIiiEEZZNS1_16scan_by_key_implILNS1_25lookback_scan_determinismE0ELb1ES3_N6thrust23THRUST_200600_302600_NS6detail15normal_iteratorINS9_10device_ptrIiEEEENSB_INSC_IjEEEENSB_INSC_IfEEEEiNS9_4plusIvEENS9_8equal_toIvEEiEE10hipError_tPvRmT2_T3_T4_T5_mT6_T7_P12ihipStream_tbENKUlT_T0_E_clISt17integral_constantIbLb1EES13_EEDaSY_SZ_EUlSY_E_NS1_11comp_targetILNS1_3genE10ELNS1_11target_archE1201ELNS1_3gpuE5ELNS1_3repE0EEENS1_30default_config_static_selectorELNS0_4arch9wavefront6targetE0EEEvT1_.has_dyn_sized_stack, 0
	.set _ZN7rocprim17ROCPRIM_400000_NS6detail17trampoline_kernelINS0_14default_configENS1_27scan_by_key_config_selectorIiiEEZZNS1_16scan_by_key_implILNS1_25lookback_scan_determinismE0ELb1ES3_N6thrust23THRUST_200600_302600_NS6detail15normal_iteratorINS9_10device_ptrIiEEEENSB_INSC_IjEEEENSB_INSC_IfEEEEiNS9_4plusIvEENS9_8equal_toIvEEiEE10hipError_tPvRmT2_T3_T4_T5_mT6_T7_P12ihipStream_tbENKUlT_T0_E_clISt17integral_constantIbLb1EES13_EEDaSY_SZ_EUlSY_E_NS1_11comp_targetILNS1_3genE10ELNS1_11target_archE1201ELNS1_3gpuE5ELNS1_3repE0EEENS1_30default_config_static_selectorELNS0_4arch9wavefront6targetE0EEEvT1_.has_recursion, 0
	.set _ZN7rocprim17ROCPRIM_400000_NS6detail17trampoline_kernelINS0_14default_configENS1_27scan_by_key_config_selectorIiiEEZZNS1_16scan_by_key_implILNS1_25lookback_scan_determinismE0ELb1ES3_N6thrust23THRUST_200600_302600_NS6detail15normal_iteratorINS9_10device_ptrIiEEEENSB_INSC_IjEEEENSB_INSC_IfEEEEiNS9_4plusIvEENS9_8equal_toIvEEiEE10hipError_tPvRmT2_T3_T4_T5_mT6_T7_P12ihipStream_tbENKUlT_T0_E_clISt17integral_constantIbLb1EES13_EEDaSY_SZ_EUlSY_E_NS1_11comp_targetILNS1_3genE10ELNS1_11target_archE1201ELNS1_3gpuE5ELNS1_3repE0EEENS1_30default_config_static_selectorELNS0_4arch9wavefront6targetE0EEEvT1_.has_indirect_call, 0
	.section	.AMDGPU.csdata,"",@progbits
; Kernel info:
; codeLenInByte = 0
; TotalNumSgprs: 0
; NumVgprs: 0
; ScratchSize: 0
; MemoryBound: 0
; FloatMode: 240
; IeeeMode: 1
; LDSByteSize: 0 bytes/workgroup (compile time only)
; SGPRBlocks: 0
; VGPRBlocks: 0
; NumSGPRsForWavesPerEU: 1
; NumVGPRsForWavesPerEU: 1
; Occupancy: 16
; WaveLimiterHint : 0
; COMPUTE_PGM_RSRC2:SCRATCH_EN: 0
; COMPUTE_PGM_RSRC2:USER_SGPR: 6
; COMPUTE_PGM_RSRC2:TRAP_HANDLER: 0
; COMPUTE_PGM_RSRC2:TGID_X_EN: 1
; COMPUTE_PGM_RSRC2:TGID_Y_EN: 0
; COMPUTE_PGM_RSRC2:TGID_Z_EN: 0
; COMPUTE_PGM_RSRC2:TIDIG_COMP_CNT: 0
	.section	.text._ZN7rocprim17ROCPRIM_400000_NS6detail17trampoline_kernelINS0_14default_configENS1_27scan_by_key_config_selectorIiiEEZZNS1_16scan_by_key_implILNS1_25lookback_scan_determinismE0ELb1ES3_N6thrust23THRUST_200600_302600_NS6detail15normal_iteratorINS9_10device_ptrIiEEEENSB_INSC_IjEEEENSB_INSC_IfEEEEiNS9_4plusIvEENS9_8equal_toIvEEiEE10hipError_tPvRmT2_T3_T4_T5_mT6_T7_P12ihipStream_tbENKUlT_T0_E_clISt17integral_constantIbLb1EES13_EEDaSY_SZ_EUlSY_E_NS1_11comp_targetILNS1_3genE5ELNS1_11target_archE942ELNS1_3gpuE9ELNS1_3repE0EEENS1_30default_config_static_selectorELNS0_4arch9wavefront6targetE0EEEvT1_,"axG",@progbits,_ZN7rocprim17ROCPRIM_400000_NS6detail17trampoline_kernelINS0_14default_configENS1_27scan_by_key_config_selectorIiiEEZZNS1_16scan_by_key_implILNS1_25lookback_scan_determinismE0ELb1ES3_N6thrust23THRUST_200600_302600_NS6detail15normal_iteratorINS9_10device_ptrIiEEEENSB_INSC_IjEEEENSB_INSC_IfEEEEiNS9_4plusIvEENS9_8equal_toIvEEiEE10hipError_tPvRmT2_T3_T4_T5_mT6_T7_P12ihipStream_tbENKUlT_T0_E_clISt17integral_constantIbLb1EES13_EEDaSY_SZ_EUlSY_E_NS1_11comp_targetILNS1_3genE5ELNS1_11target_archE942ELNS1_3gpuE9ELNS1_3repE0EEENS1_30default_config_static_selectorELNS0_4arch9wavefront6targetE0EEEvT1_,comdat
	.protected	_ZN7rocprim17ROCPRIM_400000_NS6detail17trampoline_kernelINS0_14default_configENS1_27scan_by_key_config_selectorIiiEEZZNS1_16scan_by_key_implILNS1_25lookback_scan_determinismE0ELb1ES3_N6thrust23THRUST_200600_302600_NS6detail15normal_iteratorINS9_10device_ptrIiEEEENSB_INSC_IjEEEENSB_INSC_IfEEEEiNS9_4plusIvEENS9_8equal_toIvEEiEE10hipError_tPvRmT2_T3_T4_T5_mT6_T7_P12ihipStream_tbENKUlT_T0_E_clISt17integral_constantIbLb1EES13_EEDaSY_SZ_EUlSY_E_NS1_11comp_targetILNS1_3genE5ELNS1_11target_archE942ELNS1_3gpuE9ELNS1_3repE0EEENS1_30default_config_static_selectorELNS0_4arch9wavefront6targetE0EEEvT1_ ; -- Begin function _ZN7rocprim17ROCPRIM_400000_NS6detail17trampoline_kernelINS0_14default_configENS1_27scan_by_key_config_selectorIiiEEZZNS1_16scan_by_key_implILNS1_25lookback_scan_determinismE0ELb1ES3_N6thrust23THRUST_200600_302600_NS6detail15normal_iteratorINS9_10device_ptrIiEEEENSB_INSC_IjEEEENSB_INSC_IfEEEEiNS9_4plusIvEENS9_8equal_toIvEEiEE10hipError_tPvRmT2_T3_T4_T5_mT6_T7_P12ihipStream_tbENKUlT_T0_E_clISt17integral_constantIbLb1EES13_EEDaSY_SZ_EUlSY_E_NS1_11comp_targetILNS1_3genE5ELNS1_11target_archE942ELNS1_3gpuE9ELNS1_3repE0EEENS1_30default_config_static_selectorELNS0_4arch9wavefront6targetE0EEEvT1_
	.globl	_ZN7rocprim17ROCPRIM_400000_NS6detail17trampoline_kernelINS0_14default_configENS1_27scan_by_key_config_selectorIiiEEZZNS1_16scan_by_key_implILNS1_25lookback_scan_determinismE0ELb1ES3_N6thrust23THRUST_200600_302600_NS6detail15normal_iteratorINS9_10device_ptrIiEEEENSB_INSC_IjEEEENSB_INSC_IfEEEEiNS9_4plusIvEENS9_8equal_toIvEEiEE10hipError_tPvRmT2_T3_T4_T5_mT6_T7_P12ihipStream_tbENKUlT_T0_E_clISt17integral_constantIbLb1EES13_EEDaSY_SZ_EUlSY_E_NS1_11comp_targetILNS1_3genE5ELNS1_11target_archE942ELNS1_3gpuE9ELNS1_3repE0EEENS1_30default_config_static_selectorELNS0_4arch9wavefront6targetE0EEEvT1_
	.p2align	8
	.type	_ZN7rocprim17ROCPRIM_400000_NS6detail17trampoline_kernelINS0_14default_configENS1_27scan_by_key_config_selectorIiiEEZZNS1_16scan_by_key_implILNS1_25lookback_scan_determinismE0ELb1ES3_N6thrust23THRUST_200600_302600_NS6detail15normal_iteratorINS9_10device_ptrIiEEEENSB_INSC_IjEEEENSB_INSC_IfEEEEiNS9_4plusIvEENS9_8equal_toIvEEiEE10hipError_tPvRmT2_T3_T4_T5_mT6_T7_P12ihipStream_tbENKUlT_T0_E_clISt17integral_constantIbLb1EES13_EEDaSY_SZ_EUlSY_E_NS1_11comp_targetILNS1_3genE5ELNS1_11target_archE942ELNS1_3gpuE9ELNS1_3repE0EEENS1_30default_config_static_selectorELNS0_4arch9wavefront6targetE0EEEvT1_,@function
_ZN7rocprim17ROCPRIM_400000_NS6detail17trampoline_kernelINS0_14default_configENS1_27scan_by_key_config_selectorIiiEEZZNS1_16scan_by_key_implILNS1_25lookback_scan_determinismE0ELb1ES3_N6thrust23THRUST_200600_302600_NS6detail15normal_iteratorINS9_10device_ptrIiEEEENSB_INSC_IjEEEENSB_INSC_IfEEEEiNS9_4plusIvEENS9_8equal_toIvEEiEE10hipError_tPvRmT2_T3_T4_T5_mT6_T7_P12ihipStream_tbENKUlT_T0_E_clISt17integral_constantIbLb1EES13_EEDaSY_SZ_EUlSY_E_NS1_11comp_targetILNS1_3genE5ELNS1_11target_archE942ELNS1_3gpuE9ELNS1_3repE0EEENS1_30default_config_static_selectorELNS0_4arch9wavefront6targetE0EEEvT1_: ; @_ZN7rocprim17ROCPRIM_400000_NS6detail17trampoline_kernelINS0_14default_configENS1_27scan_by_key_config_selectorIiiEEZZNS1_16scan_by_key_implILNS1_25lookback_scan_determinismE0ELb1ES3_N6thrust23THRUST_200600_302600_NS6detail15normal_iteratorINS9_10device_ptrIiEEEENSB_INSC_IjEEEENSB_INSC_IfEEEEiNS9_4plusIvEENS9_8equal_toIvEEiEE10hipError_tPvRmT2_T3_T4_T5_mT6_T7_P12ihipStream_tbENKUlT_T0_E_clISt17integral_constantIbLb1EES13_EEDaSY_SZ_EUlSY_E_NS1_11comp_targetILNS1_3genE5ELNS1_11target_archE942ELNS1_3gpuE9ELNS1_3repE0EEENS1_30default_config_static_selectorELNS0_4arch9wavefront6targetE0EEEvT1_
; %bb.0:
	.section	.rodata,"a",@progbits
	.p2align	6, 0x0
	.amdhsa_kernel _ZN7rocprim17ROCPRIM_400000_NS6detail17trampoline_kernelINS0_14default_configENS1_27scan_by_key_config_selectorIiiEEZZNS1_16scan_by_key_implILNS1_25lookback_scan_determinismE0ELb1ES3_N6thrust23THRUST_200600_302600_NS6detail15normal_iteratorINS9_10device_ptrIiEEEENSB_INSC_IjEEEENSB_INSC_IfEEEEiNS9_4plusIvEENS9_8equal_toIvEEiEE10hipError_tPvRmT2_T3_T4_T5_mT6_T7_P12ihipStream_tbENKUlT_T0_E_clISt17integral_constantIbLb1EES13_EEDaSY_SZ_EUlSY_E_NS1_11comp_targetILNS1_3genE5ELNS1_11target_archE942ELNS1_3gpuE9ELNS1_3repE0EEENS1_30default_config_static_selectorELNS0_4arch9wavefront6targetE0EEEvT1_
		.amdhsa_group_segment_fixed_size 0
		.amdhsa_private_segment_fixed_size 0
		.amdhsa_kernarg_size 112
		.amdhsa_user_sgpr_count 6
		.amdhsa_user_sgpr_private_segment_buffer 1
		.amdhsa_user_sgpr_dispatch_ptr 0
		.amdhsa_user_sgpr_queue_ptr 0
		.amdhsa_user_sgpr_kernarg_segment_ptr 1
		.amdhsa_user_sgpr_dispatch_id 0
		.amdhsa_user_sgpr_flat_scratch_init 0
		.amdhsa_user_sgpr_private_segment_size 0
		.amdhsa_wavefront_size32 1
		.amdhsa_uses_dynamic_stack 0
		.amdhsa_system_sgpr_private_segment_wavefront_offset 0
		.amdhsa_system_sgpr_workgroup_id_x 1
		.amdhsa_system_sgpr_workgroup_id_y 0
		.amdhsa_system_sgpr_workgroup_id_z 0
		.amdhsa_system_sgpr_workgroup_info 0
		.amdhsa_system_vgpr_workitem_id 0
		.amdhsa_next_free_vgpr 1
		.amdhsa_next_free_sgpr 1
		.amdhsa_reserve_vcc 0
		.amdhsa_reserve_flat_scratch 0
		.amdhsa_float_round_mode_32 0
		.amdhsa_float_round_mode_16_64 0
		.amdhsa_float_denorm_mode_32 3
		.amdhsa_float_denorm_mode_16_64 3
		.amdhsa_dx10_clamp 1
		.amdhsa_ieee_mode 1
		.amdhsa_fp16_overflow 0
		.amdhsa_workgroup_processor_mode 1
		.amdhsa_memory_ordered 1
		.amdhsa_forward_progress 1
		.amdhsa_shared_vgpr_count 0
		.amdhsa_exception_fp_ieee_invalid_op 0
		.amdhsa_exception_fp_denorm_src 0
		.amdhsa_exception_fp_ieee_div_zero 0
		.amdhsa_exception_fp_ieee_overflow 0
		.amdhsa_exception_fp_ieee_underflow 0
		.amdhsa_exception_fp_ieee_inexact 0
		.amdhsa_exception_int_div_zero 0
	.end_amdhsa_kernel
	.section	.text._ZN7rocprim17ROCPRIM_400000_NS6detail17trampoline_kernelINS0_14default_configENS1_27scan_by_key_config_selectorIiiEEZZNS1_16scan_by_key_implILNS1_25lookback_scan_determinismE0ELb1ES3_N6thrust23THRUST_200600_302600_NS6detail15normal_iteratorINS9_10device_ptrIiEEEENSB_INSC_IjEEEENSB_INSC_IfEEEEiNS9_4plusIvEENS9_8equal_toIvEEiEE10hipError_tPvRmT2_T3_T4_T5_mT6_T7_P12ihipStream_tbENKUlT_T0_E_clISt17integral_constantIbLb1EES13_EEDaSY_SZ_EUlSY_E_NS1_11comp_targetILNS1_3genE5ELNS1_11target_archE942ELNS1_3gpuE9ELNS1_3repE0EEENS1_30default_config_static_selectorELNS0_4arch9wavefront6targetE0EEEvT1_,"axG",@progbits,_ZN7rocprim17ROCPRIM_400000_NS6detail17trampoline_kernelINS0_14default_configENS1_27scan_by_key_config_selectorIiiEEZZNS1_16scan_by_key_implILNS1_25lookback_scan_determinismE0ELb1ES3_N6thrust23THRUST_200600_302600_NS6detail15normal_iteratorINS9_10device_ptrIiEEEENSB_INSC_IjEEEENSB_INSC_IfEEEEiNS9_4plusIvEENS9_8equal_toIvEEiEE10hipError_tPvRmT2_T3_T4_T5_mT6_T7_P12ihipStream_tbENKUlT_T0_E_clISt17integral_constantIbLb1EES13_EEDaSY_SZ_EUlSY_E_NS1_11comp_targetILNS1_3genE5ELNS1_11target_archE942ELNS1_3gpuE9ELNS1_3repE0EEENS1_30default_config_static_selectorELNS0_4arch9wavefront6targetE0EEEvT1_,comdat
.Lfunc_end1727:
	.size	_ZN7rocprim17ROCPRIM_400000_NS6detail17trampoline_kernelINS0_14default_configENS1_27scan_by_key_config_selectorIiiEEZZNS1_16scan_by_key_implILNS1_25lookback_scan_determinismE0ELb1ES3_N6thrust23THRUST_200600_302600_NS6detail15normal_iteratorINS9_10device_ptrIiEEEENSB_INSC_IjEEEENSB_INSC_IfEEEEiNS9_4plusIvEENS9_8equal_toIvEEiEE10hipError_tPvRmT2_T3_T4_T5_mT6_T7_P12ihipStream_tbENKUlT_T0_E_clISt17integral_constantIbLb1EES13_EEDaSY_SZ_EUlSY_E_NS1_11comp_targetILNS1_3genE5ELNS1_11target_archE942ELNS1_3gpuE9ELNS1_3repE0EEENS1_30default_config_static_selectorELNS0_4arch9wavefront6targetE0EEEvT1_, .Lfunc_end1727-_ZN7rocprim17ROCPRIM_400000_NS6detail17trampoline_kernelINS0_14default_configENS1_27scan_by_key_config_selectorIiiEEZZNS1_16scan_by_key_implILNS1_25lookback_scan_determinismE0ELb1ES3_N6thrust23THRUST_200600_302600_NS6detail15normal_iteratorINS9_10device_ptrIiEEEENSB_INSC_IjEEEENSB_INSC_IfEEEEiNS9_4plusIvEENS9_8equal_toIvEEiEE10hipError_tPvRmT2_T3_T4_T5_mT6_T7_P12ihipStream_tbENKUlT_T0_E_clISt17integral_constantIbLb1EES13_EEDaSY_SZ_EUlSY_E_NS1_11comp_targetILNS1_3genE5ELNS1_11target_archE942ELNS1_3gpuE9ELNS1_3repE0EEENS1_30default_config_static_selectorELNS0_4arch9wavefront6targetE0EEEvT1_
                                        ; -- End function
	.set _ZN7rocprim17ROCPRIM_400000_NS6detail17trampoline_kernelINS0_14default_configENS1_27scan_by_key_config_selectorIiiEEZZNS1_16scan_by_key_implILNS1_25lookback_scan_determinismE0ELb1ES3_N6thrust23THRUST_200600_302600_NS6detail15normal_iteratorINS9_10device_ptrIiEEEENSB_INSC_IjEEEENSB_INSC_IfEEEEiNS9_4plusIvEENS9_8equal_toIvEEiEE10hipError_tPvRmT2_T3_T4_T5_mT6_T7_P12ihipStream_tbENKUlT_T0_E_clISt17integral_constantIbLb1EES13_EEDaSY_SZ_EUlSY_E_NS1_11comp_targetILNS1_3genE5ELNS1_11target_archE942ELNS1_3gpuE9ELNS1_3repE0EEENS1_30default_config_static_selectorELNS0_4arch9wavefront6targetE0EEEvT1_.num_vgpr, 0
	.set _ZN7rocprim17ROCPRIM_400000_NS6detail17trampoline_kernelINS0_14default_configENS1_27scan_by_key_config_selectorIiiEEZZNS1_16scan_by_key_implILNS1_25lookback_scan_determinismE0ELb1ES3_N6thrust23THRUST_200600_302600_NS6detail15normal_iteratorINS9_10device_ptrIiEEEENSB_INSC_IjEEEENSB_INSC_IfEEEEiNS9_4plusIvEENS9_8equal_toIvEEiEE10hipError_tPvRmT2_T3_T4_T5_mT6_T7_P12ihipStream_tbENKUlT_T0_E_clISt17integral_constantIbLb1EES13_EEDaSY_SZ_EUlSY_E_NS1_11comp_targetILNS1_3genE5ELNS1_11target_archE942ELNS1_3gpuE9ELNS1_3repE0EEENS1_30default_config_static_selectorELNS0_4arch9wavefront6targetE0EEEvT1_.num_agpr, 0
	.set _ZN7rocprim17ROCPRIM_400000_NS6detail17trampoline_kernelINS0_14default_configENS1_27scan_by_key_config_selectorIiiEEZZNS1_16scan_by_key_implILNS1_25lookback_scan_determinismE0ELb1ES3_N6thrust23THRUST_200600_302600_NS6detail15normal_iteratorINS9_10device_ptrIiEEEENSB_INSC_IjEEEENSB_INSC_IfEEEEiNS9_4plusIvEENS9_8equal_toIvEEiEE10hipError_tPvRmT2_T3_T4_T5_mT6_T7_P12ihipStream_tbENKUlT_T0_E_clISt17integral_constantIbLb1EES13_EEDaSY_SZ_EUlSY_E_NS1_11comp_targetILNS1_3genE5ELNS1_11target_archE942ELNS1_3gpuE9ELNS1_3repE0EEENS1_30default_config_static_selectorELNS0_4arch9wavefront6targetE0EEEvT1_.numbered_sgpr, 0
	.set _ZN7rocprim17ROCPRIM_400000_NS6detail17trampoline_kernelINS0_14default_configENS1_27scan_by_key_config_selectorIiiEEZZNS1_16scan_by_key_implILNS1_25lookback_scan_determinismE0ELb1ES3_N6thrust23THRUST_200600_302600_NS6detail15normal_iteratorINS9_10device_ptrIiEEEENSB_INSC_IjEEEENSB_INSC_IfEEEEiNS9_4plusIvEENS9_8equal_toIvEEiEE10hipError_tPvRmT2_T3_T4_T5_mT6_T7_P12ihipStream_tbENKUlT_T0_E_clISt17integral_constantIbLb1EES13_EEDaSY_SZ_EUlSY_E_NS1_11comp_targetILNS1_3genE5ELNS1_11target_archE942ELNS1_3gpuE9ELNS1_3repE0EEENS1_30default_config_static_selectorELNS0_4arch9wavefront6targetE0EEEvT1_.num_named_barrier, 0
	.set _ZN7rocprim17ROCPRIM_400000_NS6detail17trampoline_kernelINS0_14default_configENS1_27scan_by_key_config_selectorIiiEEZZNS1_16scan_by_key_implILNS1_25lookback_scan_determinismE0ELb1ES3_N6thrust23THRUST_200600_302600_NS6detail15normal_iteratorINS9_10device_ptrIiEEEENSB_INSC_IjEEEENSB_INSC_IfEEEEiNS9_4plusIvEENS9_8equal_toIvEEiEE10hipError_tPvRmT2_T3_T4_T5_mT6_T7_P12ihipStream_tbENKUlT_T0_E_clISt17integral_constantIbLb1EES13_EEDaSY_SZ_EUlSY_E_NS1_11comp_targetILNS1_3genE5ELNS1_11target_archE942ELNS1_3gpuE9ELNS1_3repE0EEENS1_30default_config_static_selectorELNS0_4arch9wavefront6targetE0EEEvT1_.private_seg_size, 0
	.set _ZN7rocprim17ROCPRIM_400000_NS6detail17trampoline_kernelINS0_14default_configENS1_27scan_by_key_config_selectorIiiEEZZNS1_16scan_by_key_implILNS1_25lookback_scan_determinismE0ELb1ES3_N6thrust23THRUST_200600_302600_NS6detail15normal_iteratorINS9_10device_ptrIiEEEENSB_INSC_IjEEEENSB_INSC_IfEEEEiNS9_4plusIvEENS9_8equal_toIvEEiEE10hipError_tPvRmT2_T3_T4_T5_mT6_T7_P12ihipStream_tbENKUlT_T0_E_clISt17integral_constantIbLb1EES13_EEDaSY_SZ_EUlSY_E_NS1_11comp_targetILNS1_3genE5ELNS1_11target_archE942ELNS1_3gpuE9ELNS1_3repE0EEENS1_30default_config_static_selectorELNS0_4arch9wavefront6targetE0EEEvT1_.uses_vcc, 0
	.set _ZN7rocprim17ROCPRIM_400000_NS6detail17trampoline_kernelINS0_14default_configENS1_27scan_by_key_config_selectorIiiEEZZNS1_16scan_by_key_implILNS1_25lookback_scan_determinismE0ELb1ES3_N6thrust23THRUST_200600_302600_NS6detail15normal_iteratorINS9_10device_ptrIiEEEENSB_INSC_IjEEEENSB_INSC_IfEEEEiNS9_4plusIvEENS9_8equal_toIvEEiEE10hipError_tPvRmT2_T3_T4_T5_mT6_T7_P12ihipStream_tbENKUlT_T0_E_clISt17integral_constantIbLb1EES13_EEDaSY_SZ_EUlSY_E_NS1_11comp_targetILNS1_3genE5ELNS1_11target_archE942ELNS1_3gpuE9ELNS1_3repE0EEENS1_30default_config_static_selectorELNS0_4arch9wavefront6targetE0EEEvT1_.uses_flat_scratch, 0
	.set _ZN7rocprim17ROCPRIM_400000_NS6detail17trampoline_kernelINS0_14default_configENS1_27scan_by_key_config_selectorIiiEEZZNS1_16scan_by_key_implILNS1_25lookback_scan_determinismE0ELb1ES3_N6thrust23THRUST_200600_302600_NS6detail15normal_iteratorINS9_10device_ptrIiEEEENSB_INSC_IjEEEENSB_INSC_IfEEEEiNS9_4plusIvEENS9_8equal_toIvEEiEE10hipError_tPvRmT2_T3_T4_T5_mT6_T7_P12ihipStream_tbENKUlT_T0_E_clISt17integral_constantIbLb1EES13_EEDaSY_SZ_EUlSY_E_NS1_11comp_targetILNS1_3genE5ELNS1_11target_archE942ELNS1_3gpuE9ELNS1_3repE0EEENS1_30default_config_static_selectorELNS0_4arch9wavefront6targetE0EEEvT1_.has_dyn_sized_stack, 0
	.set _ZN7rocprim17ROCPRIM_400000_NS6detail17trampoline_kernelINS0_14default_configENS1_27scan_by_key_config_selectorIiiEEZZNS1_16scan_by_key_implILNS1_25lookback_scan_determinismE0ELb1ES3_N6thrust23THRUST_200600_302600_NS6detail15normal_iteratorINS9_10device_ptrIiEEEENSB_INSC_IjEEEENSB_INSC_IfEEEEiNS9_4plusIvEENS9_8equal_toIvEEiEE10hipError_tPvRmT2_T3_T4_T5_mT6_T7_P12ihipStream_tbENKUlT_T0_E_clISt17integral_constantIbLb1EES13_EEDaSY_SZ_EUlSY_E_NS1_11comp_targetILNS1_3genE5ELNS1_11target_archE942ELNS1_3gpuE9ELNS1_3repE0EEENS1_30default_config_static_selectorELNS0_4arch9wavefront6targetE0EEEvT1_.has_recursion, 0
	.set _ZN7rocprim17ROCPRIM_400000_NS6detail17trampoline_kernelINS0_14default_configENS1_27scan_by_key_config_selectorIiiEEZZNS1_16scan_by_key_implILNS1_25lookback_scan_determinismE0ELb1ES3_N6thrust23THRUST_200600_302600_NS6detail15normal_iteratorINS9_10device_ptrIiEEEENSB_INSC_IjEEEENSB_INSC_IfEEEEiNS9_4plusIvEENS9_8equal_toIvEEiEE10hipError_tPvRmT2_T3_T4_T5_mT6_T7_P12ihipStream_tbENKUlT_T0_E_clISt17integral_constantIbLb1EES13_EEDaSY_SZ_EUlSY_E_NS1_11comp_targetILNS1_3genE5ELNS1_11target_archE942ELNS1_3gpuE9ELNS1_3repE0EEENS1_30default_config_static_selectorELNS0_4arch9wavefront6targetE0EEEvT1_.has_indirect_call, 0
	.section	.AMDGPU.csdata,"",@progbits
; Kernel info:
; codeLenInByte = 0
; TotalNumSgprs: 0
; NumVgprs: 0
; ScratchSize: 0
; MemoryBound: 0
; FloatMode: 240
; IeeeMode: 1
; LDSByteSize: 0 bytes/workgroup (compile time only)
; SGPRBlocks: 0
; VGPRBlocks: 0
; NumSGPRsForWavesPerEU: 1
; NumVGPRsForWavesPerEU: 1
; Occupancy: 16
; WaveLimiterHint : 0
; COMPUTE_PGM_RSRC2:SCRATCH_EN: 0
; COMPUTE_PGM_RSRC2:USER_SGPR: 6
; COMPUTE_PGM_RSRC2:TRAP_HANDLER: 0
; COMPUTE_PGM_RSRC2:TGID_X_EN: 1
; COMPUTE_PGM_RSRC2:TGID_Y_EN: 0
; COMPUTE_PGM_RSRC2:TGID_Z_EN: 0
; COMPUTE_PGM_RSRC2:TIDIG_COMP_CNT: 0
	.section	.text._ZN7rocprim17ROCPRIM_400000_NS6detail17trampoline_kernelINS0_14default_configENS1_27scan_by_key_config_selectorIiiEEZZNS1_16scan_by_key_implILNS1_25lookback_scan_determinismE0ELb1ES3_N6thrust23THRUST_200600_302600_NS6detail15normal_iteratorINS9_10device_ptrIiEEEENSB_INSC_IjEEEENSB_INSC_IfEEEEiNS9_4plusIvEENS9_8equal_toIvEEiEE10hipError_tPvRmT2_T3_T4_T5_mT6_T7_P12ihipStream_tbENKUlT_T0_E_clISt17integral_constantIbLb1EES13_EEDaSY_SZ_EUlSY_E_NS1_11comp_targetILNS1_3genE4ELNS1_11target_archE910ELNS1_3gpuE8ELNS1_3repE0EEENS1_30default_config_static_selectorELNS0_4arch9wavefront6targetE0EEEvT1_,"axG",@progbits,_ZN7rocprim17ROCPRIM_400000_NS6detail17trampoline_kernelINS0_14default_configENS1_27scan_by_key_config_selectorIiiEEZZNS1_16scan_by_key_implILNS1_25lookback_scan_determinismE0ELb1ES3_N6thrust23THRUST_200600_302600_NS6detail15normal_iteratorINS9_10device_ptrIiEEEENSB_INSC_IjEEEENSB_INSC_IfEEEEiNS9_4plusIvEENS9_8equal_toIvEEiEE10hipError_tPvRmT2_T3_T4_T5_mT6_T7_P12ihipStream_tbENKUlT_T0_E_clISt17integral_constantIbLb1EES13_EEDaSY_SZ_EUlSY_E_NS1_11comp_targetILNS1_3genE4ELNS1_11target_archE910ELNS1_3gpuE8ELNS1_3repE0EEENS1_30default_config_static_selectorELNS0_4arch9wavefront6targetE0EEEvT1_,comdat
	.protected	_ZN7rocprim17ROCPRIM_400000_NS6detail17trampoline_kernelINS0_14default_configENS1_27scan_by_key_config_selectorIiiEEZZNS1_16scan_by_key_implILNS1_25lookback_scan_determinismE0ELb1ES3_N6thrust23THRUST_200600_302600_NS6detail15normal_iteratorINS9_10device_ptrIiEEEENSB_INSC_IjEEEENSB_INSC_IfEEEEiNS9_4plusIvEENS9_8equal_toIvEEiEE10hipError_tPvRmT2_T3_T4_T5_mT6_T7_P12ihipStream_tbENKUlT_T0_E_clISt17integral_constantIbLb1EES13_EEDaSY_SZ_EUlSY_E_NS1_11comp_targetILNS1_3genE4ELNS1_11target_archE910ELNS1_3gpuE8ELNS1_3repE0EEENS1_30default_config_static_selectorELNS0_4arch9wavefront6targetE0EEEvT1_ ; -- Begin function _ZN7rocprim17ROCPRIM_400000_NS6detail17trampoline_kernelINS0_14default_configENS1_27scan_by_key_config_selectorIiiEEZZNS1_16scan_by_key_implILNS1_25lookback_scan_determinismE0ELb1ES3_N6thrust23THRUST_200600_302600_NS6detail15normal_iteratorINS9_10device_ptrIiEEEENSB_INSC_IjEEEENSB_INSC_IfEEEEiNS9_4plusIvEENS9_8equal_toIvEEiEE10hipError_tPvRmT2_T3_T4_T5_mT6_T7_P12ihipStream_tbENKUlT_T0_E_clISt17integral_constantIbLb1EES13_EEDaSY_SZ_EUlSY_E_NS1_11comp_targetILNS1_3genE4ELNS1_11target_archE910ELNS1_3gpuE8ELNS1_3repE0EEENS1_30default_config_static_selectorELNS0_4arch9wavefront6targetE0EEEvT1_
	.globl	_ZN7rocprim17ROCPRIM_400000_NS6detail17trampoline_kernelINS0_14default_configENS1_27scan_by_key_config_selectorIiiEEZZNS1_16scan_by_key_implILNS1_25lookback_scan_determinismE0ELb1ES3_N6thrust23THRUST_200600_302600_NS6detail15normal_iteratorINS9_10device_ptrIiEEEENSB_INSC_IjEEEENSB_INSC_IfEEEEiNS9_4plusIvEENS9_8equal_toIvEEiEE10hipError_tPvRmT2_T3_T4_T5_mT6_T7_P12ihipStream_tbENKUlT_T0_E_clISt17integral_constantIbLb1EES13_EEDaSY_SZ_EUlSY_E_NS1_11comp_targetILNS1_3genE4ELNS1_11target_archE910ELNS1_3gpuE8ELNS1_3repE0EEENS1_30default_config_static_selectorELNS0_4arch9wavefront6targetE0EEEvT1_
	.p2align	8
	.type	_ZN7rocprim17ROCPRIM_400000_NS6detail17trampoline_kernelINS0_14default_configENS1_27scan_by_key_config_selectorIiiEEZZNS1_16scan_by_key_implILNS1_25lookback_scan_determinismE0ELb1ES3_N6thrust23THRUST_200600_302600_NS6detail15normal_iteratorINS9_10device_ptrIiEEEENSB_INSC_IjEEEENSB_INSC_IfEEEEiNS9_4plusIvEENS9_8equal_toIvEEiEE10hipError_tPvRmT2_T3_T4_T5_mT6_T7_P12ihipStream_tbENKUlT_T0_E_clISt17integral_constantIbLb1EES13_EEDaSY_SZ_EUlSY_E_NS1_11comp_targetILNS1_3genE4ELNS1_11target_archE910ELNS1_3gpuE8ELNS1_3repE0EEENS1_30default_config_static_selectorELNS0_4arch9wavefront6targetE0EEEvT1_,@function
_ZN7rocprim17ROCPRIM_400000_NS6detail17trampoline_kernelINS0_14default_configENS1_27scan_by_key_config_selectorIiiEEZZNS1_16scan_by_key_implILNS1_25lookback_scan_determinismE0ELb1ES3_N6thrust23THRUST_200600_302600_NS6detail15normal_iteratorINS9_10device_ptrIiEEEENSB_INSC_IjEEEENSB_INSC_IfEEEEiNS9_4plusIvEENS9_8equal_toIvEEiEE10hipError_tPvRmT2_T3_T4_T5_mT6_T7_P12ihipStream_tbENKUlT_T0_E_clISt17integral_constantIbLb1EES13_EEDaSY_SZ_EUlSY_E_NS1_11comp_targetILNS1_3genE4ELNS1_11target_archE910ELNS1_3gpuE8ELNS1_3repE0EEENS1_30default_config_static_selectorELNS0_4arch9wavefront6targetE0EEEvT1_: ; @_ZN7rocprim17ROCPRIM_400000_NS6detail17trampoline_kernelINS0_14default_configENS1_27scan_by_key_config_selectorIiiEEZZNS1_16scan_by_key_implILNS1_25lookback_scan_determinismE0ELb1ES3_N6thrust23THRUST_200600_302600_NS6detail15normal_iteratorINS9_10device_ptrIiEEEENSB_INSC_IjEEEENSB_INSC_IfEEEEiNS9_4plusIvEENS9_8equal_toIvEEiEE10hipError_tPvRmT2_T3_T4_T5_mT6_T7_P12ihipStream_tbENKUlT_T0_E_clISt17integral_constantIbLb1EES13_EEDaSY_SZ_EUlSY_E_NS1_11comp_targetILNS1_3genE4ELNS1_11target_archE910ELNS1_3gpuE8ELNS1_3repE0EEENS1_30default_config_static_selectorELNS0_4arch9wavefront6targetE0EEEvT1_
; %bb.0:
	.section	.rodata,"a",@progbits
	.p2align	6, 0x0
	.amdhsa_kernel _ZN7rocprim17ROCPRIM_400000_NS6detail17trampoline_kernelINS0_14default_configENS1_27scan_by_key_config_selectorIiiEEZZNS1_16scan_by_key_implILNS1_25lookback_scan_determinismE0ELb1ES3_N6thrust23THRUST_200600_302600_NS6detail15normal_iteratorINS9_10device_ptrIiEEEENSB_INSC_IjEEEENSB_INSC_IfEEEEiNS9_4plusIvEENS9_8equal_toIvEEiEE10hipError_tPvRmT2_T3_T4_T5_mT6_T7_P12ihipStream_tbENKUlT_T0_E_clISt17integral_constantIbLb1EES13_EEDaSY_SZ_EUlSY_E_NS1_11comp_targetILNS1_3genE4ELNS1_11target_archE910ELNS1_3gpuE8ELNS1_3repE0EEENS1_30default_config_static_selectorELNS0_4arch9wavefront6targetE0EEEvT1_
		.amdhsa_group_segment_fixed_size 0
		.amdhsa_private_segment_fixed_size 0
		.amdhsa_kernarg_size 112
		.amdhsa_user_sgpr_count 6
		.amdhsa_user_sgpr_private_segment_buffer 1
		.amdhsa_user_sgpr_dispatch_ptr 0
		.amdhsa_user_sgpr_queue_ptr 0
		.amdhsa_user_sgpr_kernarg_segment_ptr 1
		.amdhsa_user_sgpr_dispatch_id 0
		.amdhsa_user_sgpr_flat_scratch_init 0
		.amdhsa_user_sgpr_private_segment_size 0
		.amdhsa_wavefront_size32 1
		.amdhsa_uses_dynamic_stack 0
		.amdhsa_system_sgpr_private_segment_wavefront_offset 0
		.amdhsa_system_sgpr_workgroup_id_x 1
		.amdhsa_system_sgpr_workgroup_id_y 0
		.amdhsa_system_sgpr_workgroup_id_z 0
		.amdhsa_system_sgpr_workgroup_info 0
		.amdhsa_system_vgpr_workitem_id 0
		.amdhsa_next_free_vgpr 1
		.amdhsa_next_free_sgpr 1
		.amdhsa_reserve_vcc 0
		.amdhsa_reserve_flat_scratch 0
		.amdhsa_float_round_mode_32 0
		.amdhsa_float_round_mode_16_64 0
		.amdhsa_float_denorm_mode_32 3
		.amdhsa_float_denorm_mode_16_64 3
		.amdhsa_dx10_clamp 1
		.amdhsa_ieee_mode 1
		.amdhsa_fp16_overflow 0
		.amdhsa_workgroup_processor_mode 1
		.amdhsa_memory_ordered 1
		.amdhsa_forward_progress 1
		.amdhsa_shared_vgpr_count 0
		.amdhsa_exception_fp_ieee_invalid_op 0
		.amdhsa_exception_fp_denorm_src 0
		.amdhsa_exception_fp_ieee_div_zero 0
		.amdhsa_exception_fp_ieee_overflow 0
		.amdhsa_exception_fp_ieee_underflow 0
		.amdhsa_exception_fp_ieee_inexact 0
		.amdhsa_exception_int_div_zero 0
	.end_amdhsa_kernel
	.section	.text._ZN7rocprim17ROCPRIM_400000_NS6detail17trampoline_kernelINS0_14default_configENS1_27scan_by_key_config_selectorIiiEEZZNS1_16scan_by_key_implILNS1_25lookback_scan_determinismE0ELb1ES3_N6thrust23THRUST_200600_302600_NS6detail15normal_iteratorINS9_10device_ptrIiEEEENSB_INSC_IjEEEENSB_INSC_IfEEEEiNS9_4plusIvEENS9_8equal_toIvEEiEE10hipError_tPvRmT2_T3_T4_T5_mT6_T7_P12ihipStream_tbENKUlT_T0_E_clISt17integral_constantIbLb1EES13_EEDaSY_SZ_EUlSY_E_NS1_11comp_targetILNS1_3genE4ELNS1_11target_archE910ELNS1_3gpuE8ELNS1_3repE0EEENS1_30default_config_static_selectorELNS0_4arch9wavefront6targetE0EEEvT1_,"axG",@progbits,_ZN7rocprim17ROCPRIM_400000_NS6detail17trampoline_kernelINS0_14default_configENS1_27scan_by_key_config_selectorIiiEEZZNS1_16scan_by_key_implILNS1_25lookback_scan_determinismE0ELb1ES3_N6thrust23THRUST_200600_302600_NS6detail15normal_iteratorINS9_10device_ptrIiEEEENSB_INSC_IjEEEENSB_INSC_IfEEEEiNS9_4plusIvEENS9_8equal_toIvEEiEE10hipError_tPvRmT2_T3_T4_T5_mT6_T7_P12ihipStream_tbENKUlT_T0_E_clISt17integral_constantIbLb1EES13_EEDaSY_SZ_EUlSY_E_NS1_11comp_targetILNS1_3genE4ELNS1_11target_archE910ELNS1_3gpuE8ELNS1_3repE0EEENS1_30default_config_static_selectorELNS0_4arch9wavefront6targetE0EEEvT1_,comdat
.Lfunc_end1728:
	.size	_ZN7rocprim17ROCPRIM_400000_NS6detail17trampoline_kernelINS0_14default_configENS1_27scan_by_key_config_selectorIiiEEZZNS1_16scan_by_key_implILNS1_25lookback_scan_determinismE0ELb1ES3_N6thrust23THRUST_200600_302600_NS6detail15normal_iteratorINS9_10device_ptrIiEEEENSB_INSC_IjEEEENSB_INSC_IfEEEEiNS9_4plusIvEENS9_8equal_toIvEEiEE10hipError_tPvRmT2_T3_T4_T5_mT6_T7_P12ihipStream_tbENKUlT_T0_E_clISt17integral_constantIbLb1EES13_EEDaSY_SZ_EUlSY_E_NS1_11comp_targetILNS1_3genE4ELNS1_11target_archE910ELNS1_3gpuE8ELNS1_3repE0EEENS1_30default_config_static_selectorELNS0_4arch9wavefront6targetE0EEEvT1_, .Lfunc_end1728-_ZN7rocprim17ROCPRIM_400000_NS6detail17trampoline_kernelINS0_14default_configENS1_27scan_by_key_config_selectorIiiEEZZNS1_16scan_by_key_implILNS1_25lookback_scan_determinismE0ELb1ES3_N6thrust23THRUST_200600_302600_NS6detail15normal_iteratorINS9_10device_ptrIiEEEENSB_INSC_IjEEEENSB_INSC_IfEEEEiNS9_4plusIvEENS9_8equal_toIvEEiEE10hipError_tPvRmT2_T3_T4_T5_mT6_T7_P12ihipStream_tbENKUlT_T0_E_clISt17integral_constantIbLb1EES13_EEDaSY_SZ_EUlSY_E_NS1_11comp_targetILNS1_3genE4ELNS1_11target_archE910ELNS1_3gpuE8ELNS1_3repE0EEENS1_30default_config_static_selectorELNS0_4arch9wavefront6targetE0EEEvT1_
                                        ; -- End function
	.set _ZN7rocprim17ROCPRIM_400000_NS6detail17trampoline_kernelINS0_14default_configENS1_27scan_by_key_config_selectorIiiEEZZNS1_16scan_by_key_implILNS1_25lookback_scan_determinismE0ELb1ES3_N6thrust23THRUST_200600_302600_NS6detail15normal_iteratorINS9_10device_ptrIiEEEENSB_INSC_IjEEEENSB_INSC_IfEEEEiNS9_4plusIvEENS9_8equal_toIvEEiEE10hipError_tPvRmT2_T3_T4_T5_mT6_T7_P12ihipStream_tbENKUlT_T0_E_clISt17integral_constantIbLb1EES13_EEDaSY_SZ_EUlSY_E_NS1_11comp_targetILNS1_3genE4ELNS1_11target_archE910ELNS1_3gpuE8ELNS1_3repE0EEENS1_30default_config_static_selectorELNS0_4arch9wavefront6targetE0EEEvT1_.num_vgpr, 0
	.set _ZN7rocprim17ROCPRIM_400000_NS6detail17trampoline_kernelINS0_14default_configENS1_27scan_by_key_config_selectorIiiEEZZNS1_16scan_by_key_implILNS1_25lookback_scan_determinismE0ELb1ES3_N6thrust23THRUST_200600_302600_NS6detail15normal_iteratorINS9_10device_ptrIiEEEENSB_INSC_IjEEEENSB_INSC_IfEEEEiNS9_4plusIvEENS9_8equal_toIvEEiEE10hipError_tPvRmT2_T3_T4_T5_mT6_T7_P12ihipStream_tbENKUlT_T0_E_clISt17integral_constantIbLb1EES13_EEDaSY_SZ_EUlSY_E_NS1_11comp_targetILNS1_3genE4ELNS1_11target_archE910ELNS1_3gpuE8ELNS1_3repE0EEENS1_30default_config_static_selectorELNS0_4arch9wavefront6targetE0EEEvT1_.num_agpr, 0
	.set _ZN7rocprim17ROCPRIM_400000_NS6detail17trampoline_kernelINS0_14default_configENS1_27scan_by_key_config_selectorIiiEEZZNS1_16scan_by_key_implILNS1_25lookback_scan_determinismE0ELb1ES3_N6thrust23THRUST_200600_302600_NS6detail15normal_iteratorINS9_10device_ptrIiEEEENSB_INSC_IjEEEENSB_INSC_IfEEEEiNS9_4plusIvEENS9_8equal_toIvEEiEE10hipError_tPvRmT2_T3_T4_T5_mT6_T7_P12ihipStream_tbENKUlT_T0_E_clISt17integral_constantIbLb1EES13_EEDaSY_SZ_EUlSY_E_NS1_11comp_targetILNS1_3genE4ELNS1_11target_archE910ELNS1_3gpuE8ELNS1_3repE0EEENS1_30default_config_static_selectorELNS0_4arch9wavefront6targetE0EEEvT1_.numbered_sgpr, 0
	.set _ZN7rocprim17ROCPRIM_400000_NS6detail17trampoline_kernelINS0_14default_configENS1_27scan_by_key_config_selectorIiiEEZZNS1_16scan_by_key_implILNS1_25lookback_scan_determinismE0ELb1ES3_N6thrust23THRUST_200600_302600_NS6detail15normal_iteratorINS9_10device_ptrIiEEEENSB_INSC_IjEEEENSB_INSC_IfEEEEiNS9_4plusIvEENS9_8equal_toIvEEiEE10hipError_tPvRmT2_T3_T4_T5_mT6_T7_P12ihipStream_tbENKUlT_T0_E_clISt17integral_constantIbLb1EES13_EEDaSY_SZ_EUlSY_E_NS1_11comp_targetILNS1_3genE4ELNS1_11target_archE910ELNS1_3gpuE8ELNS1_3repE0EEENS1_30default_config_static_selectorELNS0_4arch9wavefront6targetE0EEEvT1_.num_named_barrier, 0
	.set _ZN7rocprim17ROCPRIM_400000_NS6detail17trampoline_kernelINS0_14default_configENS1_27scan_by_key_config_selectorIiiEEZZNS1_16scan_by_key_implILNS1_25lookback_scan_determinismE0ELb1ES3_N6thrust23THRUST_200600_302600_NS6detail15normal_iteratorINS9_10device_ptrIiEEEENSB_INSC_IjEEEENSB_INSC_IfEEEEiNS9_4plusIvEENS9_8equal_toIvEEiEE10hipError_tPvRmT2_T3_T4_T5_mT6_T7_P12ihipStream_tbENKUlT_T0_E_clISt17integral_constantIbLb1EES13_EEDaSY_SZ_EUlSY_E_NS1_11comp_targetILNS1_3genE4ELNS1_11target_archE910ELNS1_3gpuE8ELNS1_3repE0EEENS1_30default_config_static_selectorELNS0_4arch9wavefront6targetE0EEEvT1_.private_seg_size, 0
	.set _ZN7rocprim17ROCPRIM_400000_NS6detail17trampoline_kernelINS0_14default_configENS1_27scan_by_key_config_selectorIiiEEZZNS1_16scan_by_key_implILNS1_25lookback_scan_determinismE0ELb1ES3_N6thrust23THRUST_200600_302600_NS6detail15normal_iteratorINS9_10device_ptrIiEEEENSB_INSC_IjEEEENSB_INSC_IfEEEEiNS9_4plusIvEENS9_8equal_toIvEEiEE10hipError_tPvRmT2_T3_T4_T5_mT6_T7_P12ihipStream_tbENKUlT_T0_E_clISt17integral_constantIbLb1EES13_EEDaSY_SZ_EUlSY_E_NS1_11comp_targetILNS1_3genE4ELNS1_11target_archE910ELNS1_3gpuE8ELNS1_3repE0EEENS1_30default_config_static_selectorELNS0_4arch9wavefront6targetE0EEEvT1_.uses_vcc, 0
	.set _ZN7rocprim17ROCPRIM_400000_NS6detail17trampoline_kernelINS0_14default_configENS1_27scan_by_key_config_selectorIiiEEZZNS1_16scan_by_key_implILNS1_25lookback_scan_determinismE0ELb1ES3_N6thrust23THRUST_200600_302600_NS6detail15normal_iteratorINS9_10device_ptrIiEEEENSB_INSC_IjEEEENSB_INSC_IfEEEEiNS9_4plusIvEENS9_8equal_toIvEEiEE10hipError_tPvRmT2_T3_T4_T5_mT6_T7_P12ihipStream_tbENKUlT_T0_E_clISt17integral_constantIbLb1EES13_EEDaSY_SZ_EUlSY_E_NS1_11comp_targetILNS1_3genE4ELNS1_11target_archE910ELNS1_3gpuE8ELNS1_3repE0EEENS1_30default_config_static_selectorELNS0_4arch9wavefront6targetE0EEEvT1_.uses_flat_scratch, 0
	.set _ZN7rocprim17ROCPRIM_400000_NS6detail17trampoline_kernelINS0_14default_configENS1_27scan_by_key_config_selectorIiiEEZZNS1_16scan_by_key_implILNS1_25lookback_scan_determinismE0ELb1ES3_N6thrust23THRUST_200600_302600_NS6detail15normal_iteratorINS9_10device_ptrIiEEEENSB_INSC_IjEEEENSB_INSC_IfEEEEiNS9_4plusIvEENS9_8equal_toIvEEiEE10hipError_tPvRmT2_T3_T4_T5_mT6_T7_P12ihipStream_tbENKUlT_T0_E_clISt17integral_constantIbLb1EES13_EEDaSY_SZ_EUlSY_E_NS1_11comp_targetILNS1_3genE4ELNS1_11target_archE910ELNS1_3gpuE8ELNS1_3repE0EEENS1_30default_config_static_selectorELNS0_4arch9wavefront6targetE0EEEvT1_.has_dyn_sized_stack, 0
	.set _ZN7rocprim17ROCPRIM_400000_NS6detail17trampoline_kernelINS0_14default_configENS1_27scan_by_key_config_selectorIiiEEZZNS1_16scan_by_key_implILNS1_25lookback_scan_determinismE0ELb1ES3_N6thrust23THRUST_200600_302600_NS6detail15normal_iteratorINS9_10device_ptrIiEEEENSB_INSC_IjEEEENSB_INSC_IfEEEEiNS9_4plusIvEENS9_8equal_toIvEEiEE10hipError_tPvRmT2_T3_T4_T5_mT6_T7_P12ihipStream_tbENKUlT_T0_E_clISt17integral_constantIbLb1EES13_EEDaSY_SZ_EUlSY_E_NS1_11comp_targetILNS1_3genE4ELNS1_11target_archE910ELNS1_3gpuE8ELNS1_3repE0EEENS1_30default_config_static_selectorELNS0_4arch9wavefront6targetE0EEEvT1_.has_recursion, 0
	.set _ZN7rocprim17ROCPRIM_400000_NS6detail17trampoline_kernelINS0_14default_configENS1_27scan_by_key_config_selectorIiiEEZZNS1_16scan_by_key_implILNS1_25lookback_scan_determinismE0ELb1ES3_N6thrust23THRUST_200600_302600_NS6detail15normal_iteratorINS9_10device_ptrIiEEEENSB_INSC_IjEEEENSB_INSC_IfEEEEiNS9_4plusIvEENS9_8equal_toIvEEiEE10hipError_tPvRmT2_T3_T4_T5_mT6_T7_P12ihipStream_tbENKUlT_T0_E_clISt17integral_constantIbLb1EES13_EEDaSY_SZ_EUlSY_E_NS1_11comp_targetILNS1_3genE4ELNS1_11target_archE910ELNS1_3gpuE8ELNS1_3repE0EEENS1_30default_config_static_selectorELNS0_4arch9wavefront6targetE0EEEvT1_.has_indirect_call, 0
	.section	.AMDGPU.csdata,"",@progbits
; Kernel info:
; codeLenInByte = 0
; TotalNumSgprs: 0
; NumVgprs: 0
; ScratchSize: 0
; MemoryBound: 0
; FloatMode: 240
; IeeeMode: 1
; LDSByteSize: 0 bytes/workgroup (compile time only)
; SGPRBlocks: 0
; VGPRBlocks: 0
; NumSGPRsForWavesPerEU: 1
; NumVGPRsForWavesPerEU: 1
; Occupancy: 16
; WaveLimiterHint : 0
; COMPUTE_PGM_RSRC2:SCRATCH_EN: 0
; COMPUTE_PGM_RSRC2:USER_SGPR: 6
; COMPUTE_PGM_RSRC2:TRAP_HANDLER: 0
; COMPUTE_PGM_RSRC2:TGID_X_EN: 1
; COMPUTE_PGM_RSRC2:TGID_Y_EN: 0
; COMPUTE_PGM_RSRC2:TGID_Z_EN: 0
; COMPUTE_PGM_RSRC2:TIDIG_COMP_CNT: 0
	.section	.text._ZN7rocprim17ROCPRIM_400000_NS6detail17trampoline_kernelINS0_14default_configENS1_27scan_by_key_config_selectorIiiEEZZNS1_16scan_by_key_implILNS1_25lookback_scan_determinismE0ELb1ES3_N6thrust23THRUST_200600_302600_NS6detail15normal_iteratorINS9_10device_ptrIiEEEENSB_INSC_IjEEEENSB_INSC_IfEEEEiNS9_4plusIvEENS9_8equal_toIvEEiEE10hipError_tPvRmT2_T3_T4_T5_mT6_T7_P12ihipStream_tbENKUlT_T0_E_clISt17integral_constantIbLb1EES13_EEDaSY_SZ_EUlSY_E_NS1_11comp_targetILNS1_3genE3ELNS1_11target_archE908ELNS1_3gpuE7ELNS1_3repE0EEENS1_30default_config_static_selectorELNS0_4arch9wavefront6targetE0EEEvT1_,"axG",@progbits,_ZN7rocprim17ROCPRIM_400000_NS6detail17trampoline_kernelINS0_14default_configENS1_27scan_by_key_config_selectorIiiEEZZNS1_16scan_by_key_implILNS1_25lookback_scan_determinismE0ELb1ES3_N6thrust23THRUST_200600_302600_NS6detail15normal_iteratorINS9_10device_ptrIiEEEENSB_INSC_IjEEEENSB_INSC_IfEEEEiNS9_4plusIvEENS9_8equal_toIvEEiEE10hipError_tPvRmT2_T3_T4_T5_mT6_T7_P12ihipStream_tbENKUlT_T0_E_clISt17integral_constantIbLb1EES13_EEDaSY_SZ_EUlSY_E_NS1_11comp_targetILNS1_3genE3ELNS1_11target_archE908ELNS1_3gpuE7ELNS1_3repE0EEENS1_30default_config_static_selectorELNS0_4arch9wavefront6targetE0EEEvT1_,comdat
	.protected	_ZN7rocprim17ROCPRIM_400000_NS6detail17trampoline_kernelINS0_14default_configENS1_27scan_by_key_config_selectorIiiEEZZNS1_16scan_by_key_implILNS1_25lookback_scan_determinismE0ELb1ES3_N6thrust23THRUST_200600_302600_NS6detail15normal_iteratorINS9_10device_ptrIiEEEENSB_INSC_IjEEEENSB_INSC_IfEEEEiNS9_4plusIvEENS9_8equal_toIvEEiEE10hipError_tPvRmT2_T3_T4_T5_mT6_T7_P12ihipStream_tbENKUlT_T0_E_clISt17integral_constantIbLb1EES13_EEDaSY_SZ_EUlSY_E_NS1_11comp_targetILNS1_3genE3ELNS1_11target_archE908ELNS1_3gpuE7ELNS1_3repE0EEENS1_30default_config_static_selectorELNS0_4arch9wavefront6targetE0EEEvT1_ ; -- Begin function _ZN7rocprim17ROCPRIM_400000_NS6detail17trampoline_kernelINS0_14default_configENS1_27scan_by_key_config_selectorIiiEEZZNS1_16scan_by_key_implILNS1_25lookback_scan_determinismE0ELb1ES3_N6thrust23THRUST_200600_302600_NS6detail15normal_iteratorINS9_10device_ptrIiEEEENSB_INSC_IjEEEENSB_INSC_IfEEEEiNS9_4plusIvEENS9_8equal_toIvEEiEE10hipError_tPvRmT2_T3_T4_T5_mT6_T7_P12ihipStream_tbENKUlT_T0_E_clISt17integral_constantIbLb1EES13_EEDaSY_SZ_EUlSY_E_NS1_11comp_targetILNS1_3genE3ELNS1_11target_archE908ELNS1_3gpuE7ELNS1_3repE0EEENS1_30default_config_static_selectorELNS0_4arch9wavefront6targetE0EEEvT1_
	.globl	_ZN7rocprim17ROCPRIM_400000_NS6detail17trampoline_kernelINS0_14default_configENS1_27scan_by_key_config_selectorIiiEEZZNS1_16scan_by_key_implILNS1_25lookback_scan_determinismE0ELb1ES3_N6thrust23THRUST_200600_302600_NS6detail15normal_iteratorINS9_10device_ptrIiEEEENSB_INSC_IjEEEENSB_INSC_IfEEEEiNS9_4plusIvEENS9_8equal_toIvEEiEE10hipError_tPvRmT2_T3_T4_T5_mT6_T7_P12ihipStream_tbENKUlT_T0_E_clISt17integral_constantIbLb1EES13_EEDaSY_SZ_EUlSY_E_NS1_11comp_targetILNS1_3genE3ELNS1_11target_archE908ELNS1_3gpuE7ELNS1_3repE0EEENS1_30default_config_static_selectorELNS0_4arch9wavefront6targetE0EEEvT1_
	.p2align	8
	.type	_ZN7rocprim17ROCPRIM_400000_NS6detail17trampoline_kernelINS0_14default_configENS1_27scan_by_key_config_selectorIiiEEZZNS1_16scan_by_key_implILNS1_25lookback_scan_determinismE0ELb1ES3_N6thrust23THRUST_200600_302600_NS6detail15normal_iteratorINS9_10device_ptrIiEEEENSB_INSC_IjEEEENSB_INSC_IfEEEEiNS9_4plusIvEENS9_8equal_toIvEEiEE10hipError_tPvRmT2_T3_T4_T5_mT6_T7_P12ihipStream_tbENKUlT_T0_E_clISt17integral_constantIbLb1EES13_EEDaSY_SZ_EUlSY_E_NS1_11comp_targetILNS1_3genE3ELNS1_11target_archE908ELNS1_3gpuE7ELNS1_3repE0EEENS1_30default_config_static_selectorELNS0_4arch9wavefront6targetE0EEEvT1_,@function
_ZN7rocprim17ROCPRIM_400000_NS6detail17trampoline_kernelINS0_14default_configENS1_27scan_by_key_config_selectorIiiEEZZNS1_16scan_by_key_implILNS1_25lookback_scan_determinismE0ELb1ES3_N6thrust23THRUST_200600_302600_NS6detail15normal_iteratorINS9_10device_ptrIiEEEENSB_INSC_IjEEEENSB_INSC_IfEEEEiNS9_4plusIvEENS9_8equal_toIvEEiEE10hipError_tPvRmT2_T3_T4_T5_mT6_T7_P12ihipStream_tbENKUlT_T0_E_clISt17integral_constantIbLb1EES13_EEDaSY_SZ_EUlSY_E_NS1_11comp_targetILNS1_3genE3ELNS1_11target_archE908ELNS1_3gpuE7ELNS1_3repE0EEENS1_30default_config_static_selectorELNS0_4arch9wavefront6targetE0EEEvT1_: ; @_ZN7rocprim17ROCPRIM_400000_NS6detail17trampoline_kernelINS0_14default_configENS1_27scan_by_key_config_selectorIiiEEZZNS1_16scan_by_key_implILNS1_25lookback_scan_determinismE0ELb1ES3_N6thrust23THRUST_200600_302600_NS6detail15normal_iteratorINS9_10device_ptrIiEEEENSB_INSC_IjEEEENSB_INSC_IfEEEEiNS9_4plusIvEENS9_8equal_toIvEEiEE10hipError_tPvRmT2_T3_T4_T5_mT6_T7_P12ihipStream_tbENKUlT_T0_E_clISt17integral_constantIbLb1EES13_EEDaSY_SZ_EUlSY_E_NS1_11comp_targetILNS1_3genE3ELNS1_11target_archE908ELNS1_3gpuE7ELNS1_3repE0EEENS1_30default_config_static_selectorELNS0_4arch9wavefront6targetE0EEEvT1_
; %bb.0:
	.section	.rodata,"a",@progbits
	.p2align	6, 0x0
	.amdhsa_kernel _ZN7rocprim17ROCPRIM_400000_NS6detail17trampoline_kernelINS0_14default_configENS1_27scan_by_key_config_selectorIiiEEZZNS1_16scan_by_key_implILNS1_25lookback_scan_determinismE0ELb1ES3_N6thrust23THRUST_200600_302600_NS6detail15normal_iteratorINS9_10device_ptrIiEEEENSB_INSC_IjEEEENSB_INSC_IfEEEEiNS9_4plusIvEENS9_8equal_toIvEEiEE10hipError_tPvRmT2_T3_T4_T5_mT6_T7_P12ihipStream_tbENKUlT_T0_E_clISt17integral_constantIbLb1EES13_EEDaSY_SZ_EUlSY_E_NS1_11comp_targetILNS1_3genE3ELNS1_11target_archE908ELNS1_3gpuE7ELNS1_3repE0EEENS1_30default_config_static_selectorELNS0_4arch9wavefront6targetE0EEEvT1_
		.amdhsa_group_segment_fixed_size 0
		.amdhsa_private_segment_fixed_size 0
		.amdhsa_kernarg_size 112
		.amdhsa_user_sgpr_count 6
		.amdhsa_user_sgpr_private_segment_buffer 1
		.amdhsa_user_sgpr_dispatch_ptr 0
		.amdhsa_user_sgpr_queue_ptr 0
		.amdhsa_user_sgpr_kernarg_segment_ptr 1
		.amdhsa_user_sgpr_dispatch_id 0
		.amdhsa_user_sgpr_flat_scratch_init 0
		.amdhsa_user_sgpr_private_segment_size 0
		.amdhsa_wavefront_size32 1
		.amdhsa_uses_dynamic_stack 0
		.amdhsa_system_sgpr_private_segment_wavefront_offset 0
		.amdhsa_system_sgpr_workgroup_id_x 1
		.amdhsa_system_sgpr_workgroup_id_y 0
		.amdhsa_system_sgpr_workgroup_id_z 0
		.amdhsa_system_sgpr_workgroup_info 0
		.amdhsa_system_vgpr_workitem_id 0
		.amdhsa_next_free_vgpr 1
		.amdhsa_next_free_sgpr 1
		.amdhsa_reserve_vcc 0
		.amdhsa_reserve_flat_scratch 0
		.amdhsa_float_round_mode_32 0
		.amdhsa_float_round_mode_16_64 0
		.amdhsa_float_denorm_mode_32 3
		.amdhsa_float_denorm_mode_16_64 3
		.amdhsa_dx10_clamp 1
		.amdhsa_ieee_mode 1
		.amdhsa_fp16_overflow 0
		.amdhsa_workgroup_processor_mode 1
		.amdhsa_memory_ordered 1
		.amdhsa_forward_progress 1
		.amdhsa_shared_vgpr_count 0
		.amdhsa_exception_fp_ieee_invalid_op 0
		.amdhsa_exception_fp_denorm_src 0
		.amdhsa_exception_fp_ieee_div_zero 0
		.amdhsa_exception_fp_ieee_overflow 0
		.amdhsa_exception_fp_ieee_underflow 0
		.amdhsa_exception_fp_ieee_inexact 0
		.amdhsa_exception_int_div_zero 0
	.end_amdhsa_kernel
	.section	.text._ZN7rocprim17ROCPRIM_400000_NS6detail17trampoline_kernelINS0_14default_configENS1_27scan_by_key_config_selectorIiiEEZZNS1_16scan_by_key_implILNS1_25lookback_scan_determinismE0ELb1ES3_N6thrust23THRUST_200600_302600_NS6detail15normal_iteratorINS9_10device_ptrIiEEEENSB_INSC_IjEEEENSB_INSC_IfEEEEiNS9_4plusIvEENS9_8equal_toIvEEiEE10hipError_tPvRmT2_T3_T4_T5_mT6_T7_P12ihipStream_tbENKUlT_T0_E_clISt17integral_constantIbLb1EES13_EEDaSY_SZ_EUlSY_E_NS1_11comp_targetILNS1_3genE3ELNS1_11target_archE908ELNS1_3gpuE7ELNS1_3repE0EEENS1_30default_config_static_selectorELNS0_4arch9wavefront6targetE0EEEvT1_,"axG",@progbits,_ZN7rocprim17ROCPRIM_400000_NS6detail17trampoline_kernelINS0_14default_configENS1_27scan_by_key_config_selectorIiiEEZZNS1_16scan_by_key_implILNS1_25lookback_scan_determinismE0ELb1ES3_N6thrust23THRUST_200600_302600_NS6detail15normal_iteratorINS9_10device_ptrIiEEEENSB_INSC_IjEEEENSB_INSC_IfEEEEiNS9_4plusIvEENS9_8equal_toIvEEiEE10hipError_tPvRmT2_T3_T4_T5_mT6_T7_P12ihipStream_tbENKUlT_T0_E_clISt17integral_constantIbLb1EES13_EEDaSY_SZ_EUlSY_E_NS1_11comp_targetILNS1_3genE3ELNS1_11target_archE908ELNS1_3gpuE7ELNS1_3repE0EEENS1_30default_config_static_selectorELNS0_4arch9wavefront6targetE0EEEvT1_,comdat
.Lfunc_end1729:
	.size	_ZN7rocprim17ROCPRIM_400000_NS6detail17trampoline_kernelINS0_14default_configENS1_27scan_by_key_config_selectorIiiEEZZNS1_16scan_by_key_implILNS1_25lookback_scan_determinismE0ELb1ES3_N6thrust23THRUST_200600_302600_NS6detail15normal_iteratorINS9_10device_ptrIiEEEENSB_INSC_IjEEEENSB_INSC_IfEEEEiNS9_4plusIvEENS9_8equal_toIvEEiEE10hipError_tPvRmT2_T3_T4_T5_mT6_T7_P12ihipStream_tbENKUlT_T0_E_clISt17integral_constantIbLb1EES13_EEDaSY_SZ_EUlSY_E_NS1_11comp_targetILNS1_3genE3ELNS1_11target_archE908ELNS1_3gpuE7ELNS1_3repE0EEENS1_30default_config_static_selectorELNS0_4arch9wavefront6targetE0EEEvT1_, .Lfunc_end1729-_ZN7rocprim17ROCPRIM_400000_NS6detail17trampoline_kernelINS0_14default_configENS1_27scan_by_key_config_selectorIiiEEZZNS1_16scan_by_key_implILNS1_25lookback_scan_determinismE0ELb1ES3_N6thrust23THRUST_200600_302600_NS6detail15normal_iteratorINS9_10device_ptrIiEEEENSB_INSC_IjEEEENSB_INSC_IfEEEEiNS9_4plusIvEENS9_8equal_toIvEEiEE10hipError_tPvRmT2_T3_T4_T5_mT6_T7_P12ihipStream_tbENKUlT_T0_E_clISt17integral_constantIbLb1EES13_EEDaSY_SZ_EUlSY_E_NS1_11comp_targetILNS1_3genE3ELNS1_11target_archE908ELNS1_3gpuE7ELNS1_3repE0EEENS1_30default_config_static_selectorELNS0_4arch9wavefront6targetE0EEEvT1_
                                        ; -- End function
	.set _ZN7rocprim17ROCPRIM_400000_NS6detail17trampoline_kernelINS0_14default_configENS1_27scan_by_key_config_selectorIiiEEZZNS1_16scan_by_key_implILNS1_25lookback_scan_determinismE0ELb1ES3_N6thrust23THRUST_200600_302600_NS6detail15normal_iteratorINS9_10device_ptrIiEEEENSB_INSC_IjEEEENSB_INSC_IfEEEEiNS9_4plusIvEENS9_8equal_toIvEEiEE10hipError_tPvRmT2_T3_T4_T5_mT6_T7_P12ihipStream_tbENKUlT_T0_E_clISt17integral_constantIbLb1EES13_EEDaSY_SZ_EUlSY_E_NS1_11comp_targetILNS1_3genE3ELNS1_11target_archE908ELNS1_3gpuE7ELNS1_3repE0EEENS1_30default_config_static_selectorELNS0_4arch9wavefront6targetE0EEEvT1_.num_vgpr, 0
	.set _ZN7rocprim17ROCPRIM_400000_NS6detail17trampoline_kernelINS0_14default_configENS1_27scan_by_key_config_selectorIiiEEZZNS1_16scan_by_key_implILNS1_25lookback_scan_determinismE0ELb1ES3_N6thrust23THRUST_200600_302600_NS6detail15normal_iteratorINS9_10device_ptrIiEEEENSB_INSC_IjEEEENSB_INSC_IfEEEEiNS9_4plusIvEENS9_8equal_toIvEEiEE10hipError_tPvRmT2_T3_T4_T5_mT6_T7_P12ihipStream_tbENKUlT_T0_E_clISt17integral_constantIbLb1EES13_EEDaSY_SZ_EUlSY_E_NS1_11comp_targetILNS1_3genE3ELNS1_11target_archE908ELNS1_3gpuE7ELNS1_3repE0EEENS1_30default_config_static_selectorELNS0_4arch9wavefront6targetE0EEEvT1_.num_agpr, 0
	.set _ZN7rocprim17ROCPRIM_400000_NS6detail17trampoline_kernelINS0_14default_configENS1_27scan_by_key_config_selectorIiiEEZZNS1_16scan_by_key_implILNS1_25lookback_scan_determinismE0ELb1ES3_N6thrust23THRUST_200600_302600_NS6detail15normal_iteratorINS9_10device_ptrIiEEEENSB_INSC_IjEEEENSB_INSC_IfEEEEiNS9_4plusIvEENS9_8equal_toIvEEiEE10hipError_tPvRmT2_T3_T4_T5_mT6_T7_P12ihipStream_tbENKUlT_T0_E_clISt17integral_constantIbLb1EES13_EEDaSY_SZ_EUlSY_E_NS1_11comp_targetILNS1_3genE3ELNS1_11target_archE908ELNS1_3gpuE7ELNS1_3repE0EEENS1_30default_config_static_selectorELNS0_4arch9wavefront6targetE0EEEvT1_.numbered_sgpr, 0
	.set _ZN7rocprim17ROCPRIM_400000_NS6detail17trampoline_kernelINS0_14default_configENS1_27scan_by_key_config_selectorIiiEEZZNS1_16scan_by_key_implILNS1_25lookback_scan_determinismE0ELb1ES3_N6thrust23THRUST_200600_302600_NS6detail15normal_iteratorINS9_10device_ptrIiEEEENSB_INSC_IjEEEENSB_INSC_IfEEEEiNS9_4plusIvEENS9_8equal_toIvEEiEE10hipError_tPvRmT2_T3_T4_T5_mT6_T7_P12ihipStream_tbENKUlT_T0_E_clISt17integral_constantIbLb1EES13_EEDaSY_SZ_EUlSY_E_NS1_11comp_targetILNS1_3genE3ELNS1_11target_archE908ELNS1_3gpuE7ELNS1_3repE0EEENS1_30default_config_static_selectorELNS0_4arch9wavefront6targetE0EEEvT1_.num_named_barrier, 0
	.set _ZN7rocprim17ROCPRIM_400000_NS6detail17trampoline_kernelINS0_14default_configENS1_27scan_by_key_config_selectorIiiEEZZNS1_16scan_by_key_implILNS1_25lookback_scan_determinismE0ELb1ES3_N6thrust23THRUST_200600_302600_NS6detail15normal_iteratorINS9_10device_ptrIiEEEENSB_INSC_IjEEEENSB_INSC_IfEEEEiNS9_4plusIvEENS9_8equal_toIvEEiEE10hipError_tPvRmT2_T3_T4_T5_mT6_T7_P12ihipStream_tbENKUlT_T0_E_clISt17integral_constantIbLb1EES13_EEDaSY_SZ_EUlSY_E_NS1_11comp_targetILNS1_3genE3ELNS1_11target_archE908ELNS1_3gpuE7ELNS1_3repE0EEENS1_30default_config_static_selectorELNS0_4arch9wavefront6targetE0EEEvT1_.private_seg_size, 0
	.set _ZN7rocprim17ROCPRIM_400000_NS6detail17trampoline_kernelINS0_14default_configENS1_27scan_by_key_config_selectorIiiEEZZNS1_16scan_by_key_implILNS1_25lookback_scan_determinismE0ELb1ES3_N6thrust23THRUST_200600_302600_NS6detail15normal_iteratorINS9_10device_ptrIiEEEENSB_INSC_IjEEEENSB_INSC_IfEEEEiNS9_4plusIvEENS9_8equal_toIvEEiEE10hipError_tPvRmT2_T3_T4_T5_mT6_T7_P12ihipStream_tbENKUlT_T0_E_clISt17integral_constantIbLb1EES13_EEDaSY_SZ_EUlSY_E_NS1_11comp_targetILNS1_3genE3ELNS1_11target_archE908ELNS1_3gpuE7ELNS1_3repE0EEENS1_30default_config_static_selectorELNS0_4arch9wavefront6targetE0EEEvT1_.uses_vcc, 0
	.set _ZN7rocprim17ROCPRIM_400000_NS6detail17trampoline_kernelINS0_14default_configENS1_27scan_by_key_config_selectorIiiEEZZNS1_16scan_by_key_implILNS1_25lookback_scan_determinismE0ELb1ES3_N6thrust23THRUST_200600_302600_NS6detail15normal_iteratorINS9_10device_ptrIiEEEENSB_INSC_IjEEEENSB_INSC_IfEEEEiNS9_4plusIvEENS9_8equal_toIvEEiEE10hipError_tPvRmT2_T3_T4_T5_mT6_T7_P12ihipStream_tbENKUlT_T0_E_clISt17integral_constantIbLb1EES13_EEDaSY_SZ_EUlSY_E_NS1_11comp_targetILNS1_3genE3ELNS1_11target_archE908ELNS1_3gpuE7ELNS1_3repE0EEENS1_30default_config_static_selectorELNS0_4arch9wavefront6targetE0EEEvT1_.uses_flat_scratch, 0
	.set _ZN7rocprim17ROCPRIM_400000_NS6detail17trampoline_kernelINS0_14default_configENS1_27scan_by_key_config_selectorIiiEEZZNS1_16scan_by_key_implILNS1_25lookback_scan_determinismE0ELb1ES3_N6thrust23THRUST_200600_302600_NS6detail15normal_iteratorINS9_10device_ptrIiEEEENSB_INSC_IjEEEENSB_INSC_IfEEEEiNS9_4plusIvEENS9_8equal_toIvEEiEE10hipError_tPvRmT2_T3_T4_T5_mT6_T7_P12ihipStream_tbENKUlT_T0_E_clISt17integral_constantIbLb1EES13_EEDaSY_SZ_EUlSY_E_NS1_11comp_targetILNS1_3genE3ELNS1_11target_archE908ELNS1_3gpuE7ELNS1_3repE0EEENS1_30default_config_static_selectorELNS0_4arch9wavefront6targetE0EEEvT1_.has_dyn_sized_stack, 0
	.set _ZN7rocprim17ROCPRIM_400000_NS6detail17trampoline_kernelINS0_14default_configENS1_27scan_by_key_config_selectorIiiEEZZNS1_16scan_by_key_implILNS1_25lookback_scan_determinismE0ELb1ES3_N6thrust23THRUST_200600_302600_NS6detail15normal_iteratorINS9_10device_ptrIiEEEENSB_INSC_IjEEEENSB_INSC_IfEEEEiNS9_4plusIvEENS9_8equal_toIvEEiEE10hipError_tPvRmT2_T3_T4_T5_mT6_T7_P12ihipStream_tbENKUlT_T0_E_clISt17integral_constantIbLb1EES13_EEDaSY_SZ_EUlSY_E_NS1_11comp_targetILNS1_3genE3ELNS1_11target_archE908ELNS1_3gpuE7ELNS1_3repE0EEENS1_30default_config_static_selectorELNS0_4arch9wavefront6targetE0EEEvT1_.has_recursion, 0
	.set _ZN7rocprim17ROCPRIM_400000_NS6detail17trampoline_kernelINS0_14default_configENS1_27scan_by_key_config_selectorIiiEEZZNS1_16scan_by_key_implILNS1_25lookback_scan_determinismE0ELb1ES3_N6thrust23THRUST_200600_302600_NS6detail15normal_iteratorINS9_10device_ptrIiEEEENSB_INSC_IjEEEENSB_INSC_IfEEEEiNS9_4plusIvEENS9_8equal_toIvEEiEE10hipError_tPvRmT2_T3_T4_T5_mT6_T7_P12ihipStream_tbENKUlT_T0_E_clISt17integral_constantIbLb1EES13_EEDaSY_SZ_EUlSY_E_NS1_11comp_targetILNS1_3genE3ELNS1_11target_archE908ELNS1_3gpuE7ELNS1_3repE0EEENS1_30default_config_static_selectorELNS0_4arch9wavefront6targetE0EEEvT1_.has_indirect_call, 0
	.section	.AMDGPU.csdata,"",@progbits
; Kernel info:
; codeLenInByte = 0
; TotalNumSgprs: 0
; NumVgprs: 0
; ScratchSize: 0
; MemoryBound: 0
; FloatMode: 240
; IeeeMode: 1
; LDSByteSize: 0 bytes/workgroup (compile time only)
; SGPRBlocks: 0
; VGPRBlocks: 0
; NumSGPRsForWavesPerEU: 1
; NumVGPRsForWavesPerEU: 1
; Occupancy: 16
; WaveLimiterHint : 0
; COMPUTE_PGM_RSRC2:SCRATCH_EN: 0
; COMPUTE_PGM_RSRC2:USER_SGPR: 6
; COMPUTE_PGM_RSRC2:TRAP_HANDLER: 0
; COMPUTE_PGM_RSRC2:TGID_X_EN: 1
; COMPUTE_PGM_RSRC2:TGID_Y_EN: 0
; COMPUTE_PGM_RSRC2:TGID_Z_EN: 0
; COMPUTE_PGM_RSRC2:TIDIG_COMP_CNT: 0
	.section	.text._ZN7rocprim17ROCPRIM_400000_NS6detail17trampoline_kernelINS0_14default_configENS1_27scan_by_key_config_selectorIiiEEZZNS1_16scan_by_key_implILNS1_25lookback_scan_determinismE0ELb1ES3_N6thrust23THRUST_200600_302600_NS6detail15normal_iteratorINS9_10device_ptrIiEEEENSB_INSC_IjEEEENSB_INSC_IfEEEEiNS9_4plusIvEENS9_8equal_toIvEEiEE10hipError_tPvRmT2_T3_T4_T5_mT6_T7_P12ihipStream_tbENKUlT_T0_E_clISt17integral_constantIbLb1EES13_EEDaSY_SZ_EUlSY_E_NS1_11comp_targetILNS1_3genE2ELNS1_11target_archE906ELNS1_3gpuE6ELNS1_3repE0EEENS1_30default_config_static_selectorELNS0_4arch9wavefront6targetE0EEEvT1_,"axG",@progbits,_ZN7rocprim17ROCPRIM_400000_NS6detail17trampoline_kernelINS0_14default_configENS1_27scan_by_key_config_selectorIiiEEZZNS1_16scan_by_key_implILNS1_25lookback_scan_determinismE0ELb1ES3_N6thrust23THRUST_200600_302600_NS6detail15normal_iteratorINS9_10device_ptrIiEEEENSB_INSC_IjEEEENSB_INSC_IfEEEEiNS9_4plusIvEENS9_8equal_toIvEEiEE10hipError_tPvRmT2_T3_T4_T5_mT6_T7_P12ihipStream_tbENKUlT_T0_E_clISt17integral_constantIbLb1EES13_EEDaSY_SZ_EUlSY_E_NS1_11comp_targetILNS1_3genE2ELNS1_11target_archE906ELNS1_3gpuE6ELNS1_3repE0EEENS1_30default_config_static_selectorELNS0_4arch9wavefront6targetE0EEEvT1_,comdat
	.protected	_ZN7rocprim17ROCPRIM_400000_NS6detail17trampoline_kernelINS0_14default_configENS1_27scan_by_key_config_selectorIiiEEZZNS1_16scan_by_key_implILNS1_25lookback_scan_determinismE0ELb1ES3_N6thrust23THRUST_200600_302600_NS6detail15normal_iteratorINS9_10device_ptrIiEEEENSB_INSC_IjEEEENSB_INSC_IfEEEEiNS9_4plusIvEENS9_8equal_toIvEEiEE10hipError_tPvRmT2_T3_T4_T5_mT6_T7_P12ihipStream_tbENKUlT_T0_E_clISt17integral_constantIbLb1EES13_EEDaSY_SZ_EUlSY_E_NS1_11comp_targetILNS1_3genE2ELNS1_11target_archE906ELNS1_3gpuE6ELNS1_3repE0EEENS1_30default_config_static_selectorELNS0_4arch9wavefront6targetE0EEEvT1_ ; -- Begin function _ZN7rocprim17ROCPRIM_400000_NS6detail17trampoline_kernelINS0_14default_configENS1_27scan_by_key_config_selectorIiiEEZZNS1_16scan_by_key_implILNS1_25lookback_scan_determinismE0ELb1ES3_N6thrust23THRUST_200600_302600_NS6detail15normal_iteratorINS9_10device_ptrIiEEEENSB_INSC_IjEEEENSB_INSC_IfEEEEiNS9_4plusIvEENS9_8equal_toIvEEiEE10hipError_tPvRmT2_T3_T4_T5_mT6_T7_P12ihipStream_tbENKUlT_T0_E_clISt17integral_constantIbLb1EES13_EEDaSY_SZ_EUlSY_E_NS1_11comp_targetILNS1_3genE2ELNS1_11target_archE906ELNS1_3gpuE6ELNS1_3repE0EEENS1_30default_config_static_selectorELNS0_4arch9wavefront6targetE0EEEvT1_
	.globl	_ZN7rocprim17ROCPRIM_400000_NS6detail17trampoline_kernelINS0_14default_configENS1_27scan_by_key_config_selectorIiiEEZZNS1_16scan_by_key_implILNS1_25lookback_scan_determinismE0ELb1ES3_N6thrust23THRUST_200600_302600_NS6detail15normal_iteratorINS9_10device_ptrIiEEEENSB_INSC_IjEEEENSB_INSC_IfEEEEiNS9_4plusIvEENS9_8equal_toIvEEiEE10hipError_tPvRmT2_T3_T4_T5_mT6_T7_P12ihipStream_tbENKUlT_T0_E_clISt17integral_constantIbLb1EES13_EEDaSY_SZ_EUlSY_E_NS1_11comp_targetILNS1_3genE2ELNS1_11target_archE906ELNS1_3gpuE6ELNS1_3repE0EEENS1_30default_config_static_selectorELNS0_4arch9wavefront6targetE0EEEvT1_
	.p2align	8
	.type	_ZN7rocprim17ROCPRIM_400000_NS6detail17trampoline_kernelINS0_14default_configENS1_27scan_by_key_config_selectorIiiEEZZNS1_16scan_by_key_implILNS1_25lookback_scan_determinismE0ELb1ES3_N6thrust23THRUST_200600_302600_NS6detail15normal_iteratorINS9_10device_ptrIiEEEENSB_INSC_IjEEEENSB_INSC_IfEEEEiNS9_4plusIvEENS9_8equal_toIvEEiEE10hipError_tPvRmT2_T3_T4_T5_mT6_T7_P12ihipStream_tbENKUlT_T0_E_clISt17integral_constantIbLb1EES13_EEDaSY_SZ_EUlSY_E_NS1_11comp_targetILNS1_3genE2ELNS1_11target_archE906ELNS1_3gpuE6ELNS1_3repE0EEENS1_30default_config_static_selectorELNS0_4arch9wavefront6targetE0EEEvT1_,@function
_ZN7rocprim17ROCPRIM_400000_NS6detail17trampoline_kernelINS0_14default_configENS1_27scan_by_key_config_selectorIiiEEZZNS1_16scan_by_key_implILNS1_25lookback_scan_determinismE0ELb1ES3_N6thrust23THRUST_200600_302600_NS6detail15normal_iteratorINS9_10device_ptrIiEEEENSB_INSC_IjEEEENSB_INSC_IfEEEEiNS9_4plusIvEENS9_8equal_toIvEEiEE10hipError_tPvRmT2_T3_T4_T5_mT6_T7_P12ihipStream_tbENKUlT_T0_E_clISt17integral_constantIbLb1EES13_EEDaSY_SZ_EUlSY_E_NS1_11comp_targetILNS1_3genE2ELNS1_11target_archE906ELNS1_3gpuE6ELNS1_3repE0EEENS1_30default_config_static_selectorELNS0_4arch9wavefront6targetE0EEEvT1_: ; @_ZN7rocprim17ROCPRIM_400000_NS6detail17trampoline_kernelINS0_14default_configENS1_27scan_by_key_config_selectorIiiEEZZNS1_16scan_by_key_implILNS1_25lookback_scan_determinismE0ELb1ES3_N6thrust23THRUST_200600_302600_NS6detail15normal_iteratorINS9_10device_ptrIiEEEENSB_INSC_IjEEEENSB_INSC_IfEEEEiNS9_4plusIvEENS9_8equal_toIvEEiEE10hipError_tPvRmT2_T3_T4_T5_mT6_T7_P12ihipStream_tbENKUlT_T0_E_clISt17integral_constantIbLb1EES13_EEDaSY_SZ_EUlSY_E_NS1_11comp_targetILNS1_3genE2ELNS1_11target_archE906ELNS1_3gpuE6ELNS1_3repE0EEENS1_30default_config_static_selectorELNS0_4arch9wavefront6targetE0EEEvT1_
; %bb.0:
	.section	.rodata,"a",@progbits
	.p2align	6, 0x0
	.amdhsa_kernel _ZN7rocprim17ROCPRIM_400000_NS6detail17trampoline_kernelINS0_14default_configENS1_27scan_by_key_config_selectorIiiEEZZNS1_16scan_by_key_implILNS1_25lookback_scan_determinismE0ELb1ES3_N6thrust23THRUST_200600_302600_NS6detail15normal_iteratorINS9_10device_ptrIiEEEENSB_INSC_IjEEEENSB_INSC_IfEEEEiNS9_4plusIvEENS9_8equal_toIvEEiEE10hipError_tPvRmT2_T3_T4_T5_mT6_T7_P12ihipStream_tbENKUlT_T0_E_clISt17integral_constantIbLb1EES13_EEDaSY_SZ_EUlSY_E_NS1_11comp_targetILNS1_3genE2ELNS1_11target_archE906ELNS1_3gpuE6ELNS1_3repE0EEENS1_30default_config_static_selectorELNS0_4arch9wavefront6targetE0EEEvT1_
		.amdhsa_group_segment_fixed_size 0
		.amdhsa_private_segment_fixed_size 0
		.amdhsa_kernarg_size 112
		.amdhsa_user_sgpr_count 6
		.amdhsa_user_sgpr_private_segment_buffer 1
		.amdhsa_user_sgpr_dispatch_ptr 0
		.amdhsa_user_sgpr_queue_ptr 0
		.amdhsa_user_sgpr_kernarg_segment_ptr 1
		.amdhsa_user_sgpr_dispatch_id 0
		.amdhsa_user_sgpr_flat_scratch_init 0
		.amdhsa_user_sgpr_private_segment_size 0
		.amdhsa_wavefront_size32 1
		.amdhsa_uses_dynamic_stack 0
		.amdhsa_system_sgpr_private_segment_wavefront_offset 0
		.amdhsa_system_sgpr_workgroup_id_x 1
		.amdhsa_system_sgpr_workgroup_id_y 0
		.amdhsa_system_sgpr_workgroup_id_z 0
		.amdhsa_system_sgpr_workgroup_info 0
		.amdhsa_system_vgpr_workitem_id 0
		.amdhsa_next_free_vgpr 1
		.amdhsa_next_free_sgpr 1
		.amdhsa_reserve_vcc 0
		.amdhsa_reserve_flat_scratch 0
		.amdhsa_float_round_mode_32 0
		.amdhsa_float_round_mode_16_64 0
		.amdhsa_float_denorm_mode_32 3
		.amdhsa_float_denorm_mode_16_64 3
		.amdhsa_dx10_clamp 1
		.amdhsa_ieee_mode 1
		.amdhsa_fp16_overflow 0
		.amdhsa_workgroup_processor_mode 1
		.amdhsa_memory_ordered 1
		.amdhsa_forward_progress 1
		.amdhsa_shared_vgpr_count 0
		.amdhsa_exception_fp_ieee_invalid_op 0
		.amdhsa_exception_fp_denorm_src 0
		.amdhsa_exception_fp_ieee_div_zero 0
		.amdhsa_exception_fp_ieee_overflow 0
		.amdhsa_exception_fp_ieee_underflow 0
		.amdhsa_exception_fp_ieee_inexact 0
		.amdhsa_exception_int_div_zero 0
	.end_amdhsa_kernel
	.section	.text._ZN7rocprim17ROCPRIM_400000_NS6detail17trampoline_kernelINS0_14default_configENS1_27scan_by_key_config_selectorIiiEEZZNS1_16scan_by_key_implILNS1_25lookback_scan_determinismE0ELb1ES3_N6thrust23THRUST_200600_302600_NS6detail15normal_iteratorINS9_10device_ptrIiEEEENSB_INSC_IjEEEENSB_INSC_IfEEEEiNS9_4plusIvEENS9_8equal_toIvEEiEE10hipError_tPvRmT2_T3_T4_T5_mT6_T7_P12ihipStream_tbENKUlT_T0_E_clISt17integral_constantIbLb1EES13_EEDaSY_SZ_EUlSY_E_NS1_11comp_targetILNS1_3genE2ELNS1_11target_archE906ELNS1_3gpuE6ELNS1_3repE0EEENS1_30default_config_static_selectorELNS0_4arch9wavefront6targetE0EEEvT1_,"axG",@progbits,_ZN7rocprim17ROCPRIM_400000_NS6detail17trampoline_kernelINS0_14default_configENS1_27scan_by_key_config_selectorIiiEEZZNS1_16scan_by_key_implILNS1_25lookback_scan_determinismE0ELb1ES3_N6thrust23THRUST_200600_302600_NS6detail15normal_iteratorINS9_10device_ptrIiEEEENSB_INSC_IjEEEENSB_INSC_IfEEEEiNS9_4plusIvEENS9_8equal_toIvEEiEE10hipError_tPvRmT2_T3_T4_T5_mT6_T7_P12ihipStream_tbENKUlT_T0_E_clISt17integral_constantIbLb1EES13_EEDaSY_SZ_EUlSY_E_NS1_11comp_targetILNS1_3genE2ELNS1_11target_archE906ELNS1_3gpuE6ELNS1_3repE0EEENS1_30default_config_static_selectorELNS0_4arch9wavefront6targetE0EEEvT1_,comdat
.Lfunc_end1730:
	.size	_ZN7rocprim17ROCPRIM_400000_NS6detail17trampoline_kernelINS0_14default_configENS1_27scan_by_key_config_selectorIiiEEZZNS1_16scan_by_key_implILNS1_25lookback_scan_determinismE0ELb1ES3_N6thrust23THRUST_200600_302600_NS6detail15normal_iteratorINS9_10device_ptrIiEEEENSB_INSC_IjEEEENSB_INSC_IfEEEEiNS9_4plusIvEENS9_8equal_toIvEEiEE10hipError_tPvRmT2_T3_T4_T5_mT6_T7_P12ihipStream_tbENKUlT_T0_E_clISt17integral_constantIbLb1EES13_EEDaSY_SZ_EUlSY_E_NS1_11comp_targetILNS1_3genE2ELNS1_11target_archE906ELNS1_3gpuE6ELNS1_3repE0EEENS1_30default_config_static_selectorELNS0_4arch9wavefront6targetE0EEEvT1_, .Lfunc_end1730-_ZN7rocprim17ROCPRIM_400000_NS6detail17trampoline_kernelINS0_14default_configENS1_27scan_by_key_config_selectorIiiEEZZNS1_16scan_by_key_implILNS1_25lookback_scan_determinismE0ELb1ES3_N6thrust23THRUST_200600_302600_NS6detail15normal_iteratorINS9_10device_ptrIiEEEENSB_INSC_IjEEEENSB_INSC_IfEEEEiNS9_4plusIvEENS9_8equal_toIvEEiEE10hipError_tPvRmT2_T3_T4_T5_mT6_T7_P12ihipStream_tbENKUlT_T0_E_clISt17integral_constantIbLb1EES13_EEDaSY_SZ_EUlSY_E_NS1_11comp_targetILNS1_3genE2ELNS1_11target_archE906ELNS1_3gpuE6ELNS1_3repE0EEENS1_30default_config_static_selectorELNS0_4arch9wavefront6targetE0EEEvT1_
                                        ; -- End function
	.set _ZN7rocprim17ROCPRIM_400000_NS6detail17trampoline_kernelINS0_14default_configENS1_27scan_by_key_config_selectorIiiEEZZNS1_16scan_by_key_implILNS1_25lookback_scan_determinismE0ELb1ES3_N6thrust23THRUST_200600_302600_NS6detail15normal_iteratorINS9_10device_ptrIiEEEENSB_INSC_IjEEEENSB_INSC_IfEEEEiNS9_4plusIvEENS9_8equal_toIvEEiEE10hipError_tPvRmT2_T3_T4_T5_mT6_T7_P12ihipStream_tbENKUlT_T0_E_clISt17integral_constantIbLb1EES13_EEDaSY_SZ_EUlSY_E_NS1_11comp_targetILNS1_3genE2ELNS1_11target_archE906ELNS1_3gpuE6ELNS1_3repE0EEENS1_30default_config_static_selectorELNS0_4arch9wavefront6targetE0EEEvT1_.num_vgpr, 0
	.set _ZN7rocprim17ROCPRIM_400000_NS6detail17trampoline_kernelINS0_14default_configENS1_27scan_by_key_config_selectorIiiEEZZNS1_16scan_by_key_implILNS1_25lookback_scan_determinismE0ELb1ES3_N6thrust23THRUST_200600_302600_NS6detail15normal_iteratorINS9_10device_ptrIiEEEENSB_INSC_IjEEEENSB_INSC_IfEEEEiNS9_4plusIvEENS9_8equal_toIvEEiEE10hipError_tPvRmT2_T3_T4_T5_mT6_T7_P12ihipStream_tbENKUlT_T0_E_clISt17integral_constantIbLb1EES13_EEDaSY_SZ_EUlSY_E_NS1_11comp_targetILNS1_3genE2ELNS1_11target_archE906ELNS1_3gpuE6ELNS1_3repE0EEENS1_30default_config_static_selectorELNS0_4arch9wavefront6targetE0EEEvT1_.num_agpr, 0
	.set _ZN7rocprim17ROCPRIM_400000_NS6detail17trampoline_kernelINS0_14default_configENS1_27scan_by_key_config_selectorIiiEEZZNS1_16scan_by_key_implILNS1_25lookback_scan_determinismE0ELb1ES3_N6thrust23THRUST_200600_302600_NS6detail15normal_iteratorINS9_10device_ptrIiEEEENSB_INSC_IjEEEENSB_INSC_IfEEEEiNS9_4plusIvEENS9_8equal_toIvEEiEE10hipError_tPvRmT2_T3_T4_T5_mT6_T7_P12ihipStream_tbENKUlT_T0_E_clISt17integral_constantIbLb1EES13_EEDaSY_SZ_EUlSY_E_NS1_11comp_targetILNS1_3genE2ELNS1_11target_archE906ELNS1_3gpuE6ELNS1_3repE0EEENS1_30default_config_static_selectorELNS0_4arch9wavefront6targetE0EEEvT1_.numbered_sgpr, 0
	.set _ZN7rocprim17ROCPRIM_400000_NS6detail17trampoline_kernelINS0_14default_configENS1_27scan_by_key_config_selectorIiiEEZZNS1_16scan_by_key_implILNS1_25lookback_scan_determinismE0ELb1ES3_N6thrust23THRUST_200600_302600_NS6detail15normal_iteratorINS9_10device_ptrIiEEEENSB_INSC_IjEEEENSB_INSC_IfEEEEiNS9_4plusIvEENS9_8equal_toIvEEiEE10hipError_tPvRmT2_T3_T4_T5_mT6_T7_P12ihipStream_tbENKUlT_T0_E_clISt17integral_constantIbLb1EES13_EEDaSY_SZ_EUlSY_E_NS1_11comp_targetILNS1_3genE2ELNS1_11target_archE906ELNS1_3gpuE6ELNS1_3repE0EEENS1_30default_config_static_selectorELNS0_4arch9wavefront6targetE0EEEvT1_.num_named_barrier, 0
	.set _ZN7rocprim17ROCPRIM_400000_NS6detail17trampoline_kernelINS0_14default_configENS1_27scan_by_key_config_selectorIiiEEZZNS1_16scan_by_key_implILNS1_25lookback_scan_determinismE0ELb1ES3_N6thrust23THRUST_200600_302600_NS6detail15normal_iteratorINS9_10device_ptrIiEEEENSB_INSC_IjEEEENSB_INSC_IfEEEEiNS9_4plusIvEENS9_8equal_toIvEEiEE10hipError_tPvRmT2_T3_T4_T5_mT6_T7_P12ihipStream_tbENKUlT_T0_E_clISt17integral_constantIbLb1EES13_EEDaSY_SZ_EUlSY_E_NS1_11comp_targetILNS1_3genE2ELNS1_11target_archE906ELNS1_3gpuE6ELNS1_3repE0EEENS1_30default_config_static_selectorELNS0_4arch9wavefront6targetE0EEEvT1_.private_seg_size, 0
	.set _ZN7rocprim17ROCPRIM_400000_NS6detail17trampoline_kernelINS0_14default_configENS1_27scan_by_key_config_selectorIiiEEZZNS1_16scan_by_key_implILNS1_25lookback_scan_determinismE0ELb1ES3_N6thrust23THRUST_200600_302600_NS6detail15normal_iteratorINS9_10device_ptrIiEEEENSB_INSC_IjEEEENSB_INSC_IfEEEEiNS9_4plusIvEENS9_8equal_toIvEEiEE10hipError_tPvRmT2_T3_T4_T5_mT6_T7_P12ihipStream_tbENKUlT_T0_E_clISt17integral_constantIbLb1EES13_EEDaSY_SZ_EUlSY_E_NS1_11comp_targetILNS1_3genE2ELNS1_11target_archE906ELNS1_3gpuE6ELNS1_3repE0EEENS1_30default_config_static_selectorELNS0_4arch9wavefront6targetE0EEEvT1_.uses_vcc, 0
	.set _ZN7rocprim17ROCPRIM_400000_NS6detail17trampoline_kernelINS0_14default_configENS1_27scan_by_key_config_selectorIiiEEZZNS1_16scan_by_key_implILNS1_25lookback_scan_determinismE0ELb1ES3_N6thrust23THRUST_200600_302600_NS6detail15normal_iteratorINS9_10device_ptrIiEEEENSB_INSC_IjEEEENSB_INSC_IfEEEEiNS9_4plusIvEENS9_8equal_toIvEEiEE10hipError_tPvRmT2_T3_T4_T5_mT6_T7_P12ihipStream_tbENKUlT_T0_E_clISt17integral_constantIbLb1EES13_EEDaSY_SZ_EUlSY_E_NS1_11comp_targetILNS1_3genE2ELNS1_11target_archE906ELNS1_3gpuE6ELNS1_3repE0EEENS1_30default_config_static_selectorELNS0_4arch9wavefront6targetE0EEEvT1_.uses_flat_scratch, 0
	.set _ZN7rocprim17ROCPRIM_400000_NS6detail17trampoline_kernelINS0_14default_configENS1_27scan_by_key_config_selectorIiiEEZZNS1_16scan_by_key_implILNS1_25lookback_scan_determinismE0ELb1ES3_N6thrust23THRUST_200600_302600_NS6detail15normal_iteratorINS9_10device_ptrIiEEEENSB_INSC_IjEEEENSB_INSC_IfEEEEiNS9_4plusIvEENS9_8equal_toIvEEiEE10hipError_tPvRmT2_T3_T4_T5_mT6_T7_P12ihipStream_tbENKUlT_T0_E_clISt17integral_constantIbLb1EES13_EEDaSY_SZ_EUlSY_E_NS1_11comp_targetILNS1_3genE2ELNS1_11target_archE906ELNS1_3gpuE6ELNS1_3repE0EEENS1_30default_config_static_selectorELNS0_4arch9wavefront6targetE0EEEvT1_.has_dyn_sized_stack, 0
	.set _ZN7rocprim17ROCPRIM_400000_NS6detail17trampoline_kernelINS0_14default_configENS1_27scan_by_key_config_selectorIiiEEZZNS1_16scan_by_key_implILNS1_25lookback_scan_determinismE0ELb1ES3_N6thrust23THRUST_200600_302600_NS6detail15normal_iteratorINS9_10device_ptrIiEEEENSB_INSC_IjEEEENSB_INSC_IfEEEEiNS9_4plusIvEENS9_8equal_toIvEEiEE10hipError_tPvRmT2_T3_T4_T5_mT6_T7_P12ihipStream_tbENKUlT_T0_E_clISt17integral_constantIbLb1EES13_EEDaSY_SZ_EUlSY_E_NS1_11comp_targetILNS1_3genE2ELNS1_11target_archE906ELNS1_3gpuE6ELNS1_3repE0EEENS1_30default_config_static_selectorELNS0_4arch9wavefront6targetE0EEEvT1_.has_recursion, 0
	.set _ZN7rocprim17ROCPRIM_400000_NS6detail17trampoline_kernelINS0_14default_configENS1_27scan_by_key_config_selectorIiiEEZZNS1_16scan_by_key_implILNS1_25lookback_scan_determinismE0ELb1ES3_N6thrust23THRUST_200600_302600_NS6detail15normal_iteratorINS9_10device_ptrIiEEEENSB_INSC_IjEEEENSB_INSC_IfEEEEiNS9_4plusIvEENS9_8equal_toIvEEiEE10hipError_tPvRmT2_T3_T4_T5_mT6_T7_P12ihipStream_tbENKUlT_T0_E_clISt17integral_constantIbLb1EES13_EEDaSY_SZ_EUlSY_E_NS1_11comp_targetILNS1_3genE2ELNS1_11target_archE906ELNS1_3gpuE6ELNS1_3repE0EEENS1_30default_config_static_selectorELNS0_4arch9wavefront6targetE0EEEvT1_.has_indirect_call, 0
	.section	.AMDGPU.csdata,"",@progbits
; Kernel info:
; codeLenInByte = 0
; TotalNumSgprs: 0
; NumVgprs: 0
; ScratchSize: 0
; MemoryBound: 0
; FloatMode: 240
; IeeeMode: 1
; LDSByteSize: 0 bytes/workgroup (compile time only)
; SGPRBlocks: 0
; VGPRBlocks: 0
; NumSGPRsForWavesPerEU: 1
; NumVGPRsForWavesPerEU: 1
; Occupancy: 16
; WaveLimiterHint : 0
; COMPUTE_PGM_RSRC2:SCRATCH_EN: 0
; COMPUTE_PGM_RSRC2:USER_SGPR: 6
; COMPUTE_PGM_RSRC2:TRAP_HANDLER: 0
; COMPUTE_PGM_RSRC2:TGID_X_EN: 1
; COMPUTE_PGM_RSRC2:TGID_Y_EN: 0
; COMPUTE_PGM_RSRC2:TGID_Z_EN: 0
; COMPUTE_PGM_RSRC2:TIDIG_COMP_CNT: 0
	.section	.text._ZN7rocprim17ROCPRIM_400000_NS6detail17trampoline_kernelINS0_14default_configENS1_27scan_by_key_config_selectorIiiEEZZNS1_16scan_by_key_implILNS1_25lookback_scan_determinismE0ELb1ES3_N6thrust23THRUST_200600_302600_NS6detail15normal_iteratorINS9_10device_ptrIiEEEENSB_INSC_IjEEEENSB_INSC_IfEEEEiNS9_4plusIvEENS9_8equal_toIvEEiEE10hipError_tPvRmT2_T3_T4_T5_mT6_T7_P12ihipStream_tbENKUlT_T0_E_clISt17integral_constantIbLb1EES13_EEDaSY_SZ_EUlSY_E_NS1_11comp_targetILNS1_3genE10ELNS1_11target_archE1200ELNS1_3gpuE4ELNS1_3repE0EEENS1_30default_config_static_selectorELNS0_4arch9wavefront6targetE0EEEvT1_,"axG",@progbits,_ZN7rocprim17ROCPRIM_400000_NS6detail17trampoline_kernelINS0_14default_configENS1_27scan_by_key_config_selectorIiiEEZZNS1_16scan_by_key_implILNS1_25lookback_scan_determinismE0ELb1ES3_N6thrust23THRUST_200600_302600_NS6detail15normal_iteratorINS9_10device_ptrIiEEEENSB_INSC_IjEEEENSB_INSC_IfEEEEiNS9_4plusIvEENS9_8equal_toIvEEiEE10hipError_tPvRmT2_T3_T4_T5_mT6_T7_P12ihipStream_tbENKUlT_T0_E_clISt17integral_constantIbLb1EES13_EEDaSY_SZ_EUlSY_E_NS1_11comp_targetILNS1_3genE10ELNS1_11target_archE1200ELNS1_3gpuE4ELNS1_3repE0EEENS1_30default_config_static_selectorELNS0_4arch9wavefront6targetE0EEEvT1_,comdat
	.protected	_ZN7rocprim17ROCPRIM_400000_NS6detail17trampoline_kernelINS0_14default_configENS1_27scan_by_key_config_selectorIiiEEZZNS1_16scan_by_key_implILNS1_25lookback_scan_determinismE0ELb1ES3_N6thrust23THRUST_200600_302600_NS6detail15normal_iteratorINS9_10device_ptrIiEEEENSB_INSC_IjEEEENSB_INSC_IfEEEEiNS9_4plusIvEENS9_8equal_toIvEEiEE10hipError_tPvRmT2_T3_T4_T5_mT6_T7_P12ihipStream_tbENKUlT_T0_E_clISt17integral_constantIbLb1EES13_EEDaSY_SZ_EUlSY_E_NS1_11comp_targetILNS1_3genE10ELNS1_11target_archE1200ELNS1_3gpuE4ELNS1_3repE0EEENS1_30default_config_static_selectorELNS0_4arch9wavefront6targetE0EEEvT1_ ; -- Begin function _ZN7rocprim17ROCPRIM_400000_NS6detail17trampoline_kernelINS0_14default_configENS1_27scan_by_key_config_selectorIiiEEZZNS1_16scan_by_key_implILNS1_25lookback_scan_determinismE0ELb1ES3_N6thrust23THRUST_200600_302600_NS6detail15normal_iteratorINS9_10device_ptrIiEEEENSB_INSC_IjEEEENSB_INSC_IfEEEEiNS9_4plusIvEENS9_8equal_toIvEEiEE10hipError_tPvRmT2_T3_T4_T5_mT6_T7_P12ihipStream_tbENKUlT_T0_E_clISt17integral_constantIbLb1EES13_EEDaSY_SZ_EUlSY_E_NS1_11comp_targetILNS1_3genE10ELNS1_11target_archE1200ELNS1_3gpuE4ELNS1_3repE0EEENS1_30default_config_static_selectorELNS0_4arch9wavefront6targetE0EEEvT1_
	.globl	_ZN7rocprim17ROCPRIM_400000_NS6detail17trampoline_kernelINS0_14default_configENS1_27scan_by_key_config_selectorIiiEEZZNS1_16scan_by_key_implILNS1_25lookback_scan_determinismE0ELb1ES3_N6thrust23THRUST_200600_302600_NS6detail15normal_iteratorINS9_10device_ptrIiEEEENSB_INSC_IjEEEENSB_INSC_IfEEEEiNS9_4plusIvEENS9_8equal_toIvEEiEE10hipError_tPvRmT2_T3_T4_T5_mT6_T7_P12ihipStream_tbENKUlT_T0_E_clISt17integral_constantIbLb1EES13_EEDaSY_SZ_EUlSY_E_NS1_11comp_targetILNS1_3genE10ELNS1_11target_archE1200ELNS1_3gpuE4ELNS1_3repE0EEENS1_30default_config_static_selectorELNS0_4arch9wavefront6targetE0EEEvT1_
	.p2align	8
	.type	_ZN7rocprim17ROCPRIM_400000_NS6detail17trampoline_kernelINS0_14default_configENS1_27scan_by_key_config_selectorIiiEEZZNS1_16scan_by_key_implILNS1_25lookback_scan_determinismE0ELb1ES3_N6thrust23THRUST_200600_302600_NS6detail15normal_iteratorINS9_10device_ptrIiEEEENSB_INSC_IjEEEENSB_INSC_IfEEEEiNS9_4plusIvEENS9_8equal_toIvEEiEE10hipError_tPvRmT2_T3_T4_T5_mT6_T7_P12ihipStream_tbENKUlT_T0_E_clISt17integral_constantIbLb1EES13_EEDaSY_SZ_EUlSY_E_NS1_11comp_targetILNS1_3genE10ELNS1_11target_archE1200ELNS1_3gpuE4ELNS1_3repE0EEENS1_30default_config_static_selectorELNS0_4arch9wavefront6targetE0EEEvT1_,@function
_ZN7rocprim17ROCPRIM_400000_NS6detail17trampoline_kernelINS0_14default_configENS1_27scan_by_key_config_selectorIiiEEZZNS1_16scan_by_key_implILNS1_25lookback_scan_determinismE0ELb1ES3_N6thrust23THRUST_200600_302600_NS6detail15normal_iteratorINS9_10device_ptrIiEEEENSB_INSC_IjEEEENSB_INSC_IfEEEEiNS9_4plusIvEENS9_8equal_toIvEEiEE10hipError_tPvRmT2_T3_T4_T5_mT6_T7_P12ihipStream_tbENKUlT_T0_E_clISt17integral_constantIbLb1EES13_EEDaSY_SZ_EUlSY_E_NS1_11comp_targetILNS1_3genE10ELNS1_11target_archE1200ELNS1_3gpuE4ELNS1_3repE0EEENS1_30default_config_static_selectorELNS0_4arch9wavefront6targetE0EEEvT1_: ; @_ZN7rocprim17ROCPRIM_400000_NS6detail17trampoline_kernelINS0_14default_configENS1_27scan_by_key_config_selectorIiiEEZZNS1_16scan_by_key_implILNS1_25lookback_scan_determinismE0ELb1ES3_N6thrust23THRUST_200600_302600_NS6detail15normal_iteratorINS9_10device_ptrIiEEEENSB_INSC_IjEEEENSB_INSC_IfEEEEiNS9_4plusIvEENS9_8equal_toIvEEiEE10hipError_tPvRmT2_T3_T4_T5_mT6_T7_P12ihipStream_tbENKUlT_T0_E_clISt17integral_constantIbLb1EES13_EEDaSY_SZ_EUlSY_E_NS1_11comp_targetILNS1_3genE10ELNS1_11target_archE1200ELNS1_3gpuE4ELNS1_3repE0EEENS1_30default_config_static_selectorELNS0_4arch9wavefront6targetE0EEEvT1_
; %bb.0:
	.section	.rodata,"a",@progbits
	.p2align	6, 0x0
	.amdhsa_kernel _ZN7rocprim17ROCPRIM_400000_NS6detail17trampoline_kernelINS0_14default_configENS1_27scan_by_key_config_selectorIiiEEZZNS1_16scan_by_key_implILNS1_25lookback_scan_determinismE0ELb1ES3_N6thrust23THRUST_200600_302600_NS6detail15normal_iteratorINS9_10device_ptrIiEEEENSB_INSC_IjEEEENSB_INSC_IfEEEEiNS9_4plusIvEENS9_8equal_toIvEEiEE10hipError_tPvRmT2_T3_T4_T5_mT6_T7_P12ihipStream_tbENKUlT_T0_E_clISt17integral_constantIbLb1EES13_EEDaSY_SZ_EUlSY_E_NS1_11comp_targetILNS1_3genE10ELNS1_11target_archE1200ELNS1_3gpuE4ELNS1_3repE0EEENS1_30default_config_static_selectorELNS0_4arch9wavefront6targetE0EEEvT1_
		.amdhsa_group_segment_fixed_size 0
		.amdhsa_private_segment_fixed_size 0
		.amdhsa_kernarg_size 112
		.amdhsa_user_sgpr_count 6
		.amdhsa_user_sgpr_private_segment_buffer 1
		.amdhsa_user_sgpr_dispatch_ptr 0
		.amdhsa_user_sgpr_queue_ptr 0
		.amdhsa_user_sgpr_kernarg_segment_ptr 1
		.amdhsa_user_sgpr_dispatch_id 0
		.amdhsa_user_sgpr_flat_scratch_init 0
		.amdhsa_user_sgpr_private_segment_size 0
		.amdhsa_wavefront_size32 1
		.amdhsa_uses_dynamic_stack 0
		.amdhsa_system_sgpr_private_segment_wavefront_offset 0
		.amdhsa_system_sgpr_workgroup_id_x 1
		.amdhsa_system_sgpr_workgroup_id_y 0
		.amdhsa_system_sgpr_workgroup_id_z 0
		.amdhsa_system_sgpr_workgroup_info 0
		.amdhsa_system_vgpr_workitem_id 0
		.amdhsa_next_free_vgpr 1
		.amdhsa_next_free_sgpr 1
		.amdhsa_reserve_vcc 0
		.amdhsa_reserve_flat_scratch 0
		.amdhsa_float_round_mode_32 0
		.amdhsa_float_round_mode_16_64 0
		.amdhsa_float_denorm_mode_32 3
		.amdhsa_float_denorm_mode_16_64 3
		.amdhsa_dx10_clamp 1
		.amdhsa_ieee_mode 1
		.amdhsa_fp16_overflow 0
		.amdhsa_workgroup_processor_mode 1
		.amdhsa_memory_ordered 1
		.amdhsa_forward_progress 1
		.amdhsa_shared_vgpr_count 0
		.amdhsa_exception_fp_ieee_invalid_op 0
		.amdhsa_exception_fp_denorm_src 0
		.amdhsa_exception_fp_ieee_div_zero 0
		.amdhsa_exception_fp_ieee_overflow 0
		.amdhsa_exception_fp_ieee_underflow 0
		.amdhsa_exception_fp_ieee_inexact 0
		.amdhsa_exception_int_div_zero 0
	.end_amdhsa_kernel
	.section	.text._ZN7rocprim17ROCPRIM_400000_NS6detail17trampoline_kernelINS0_14default_configENS1_27scan_by_key_config_selectorIiiEEZZNS1_16scan_by_key_implILNS1_25lookback_scan_determinismE0ELb1ES3_N6thrust23THRUST_200600_302600_NS6detail15normal_iteratorINS9_10device_ptrIiEEEENSB_INSC_IjEEEENSB_INSC_IfEEEEiNS9_4plusIvEENS9_8equal_toIvEEiEE10hipError_tPvRmT2_T3_T4_T5_mT6_T7_P12ihipStream_tbENKUlT_T0_E_clISt17integral_constantIbLb1EES13_EEDaSY_SZ_EUlSY_E_NS1_11comp_targetILNS1_3genE10ELNS1_11target_archE1200ELNS1_3gpuE4ELNS1_3repE0EEENS1_30default_config_static_selectorELNS0_4arch9wavefront6targetE0EEEvT1_,"axG",@progbits,_ZN7rocprim17ROCPRIM_400000_NS6detail17trampoline_kernelINS0_14default_configENS1_27scan_by_key_config_selectorIiiEEZZNS1_16scan_by_key_implILNS1_25lookback_scan_determinismE0ELb1ES3_N6thrust23THRUST_200600_302600_NS6detail15normal_iteratorINS9_10device_ptrIiEEEENSB_INSC_IjEEEENSB_INSC_IfEEEEiNS9_4plusIvEENS9_8equal_toIvEEiEE10hipError_tPvRmT2_T3_T4_T5_mT6_T7_P12ihipStream_tbENKUlT_T0_E_clISt17integral_constantIbLb1EES13_EEDaSY_SZ_EUlSY_E_NS1_11comp_targetILNS1_3genE10ELNS1_11target_archE1200ELNS1_3gpuE4ELNS1_3repE0EEENS1_30default_config_static_selectorELNS0_4arch9wavefront6targetE0EEEvT1_,comdat
.Lfunc_end1731:
	.size	_ZN7rocprim17ROCPRIM_400000_NS6detail17trampoline_kernelINS0_14default_configENS1_27scan_by_key_config_selectorIiiEEZZNS1_16scan_by_key_implILNS1_25lookback_scan_determinismE0ELb1ES3_N6thrust23THRUST_200600_302600_NS6detail15normal_iteratorINS9_10device_ptrIiEEEENSB_INSC_IjEEEENSB_INSC_IfEEEEiNS9_4plusIvEENS9_8equal_toIvEEiEE10hipError_tPvRmT2_T3_T4_T5_mT6_T7_P12ihipStream_tbENKUlT_T0_E_clISt17integral_constantIbLb1EES13_EEDaSY_SZ_EUlSY_E_NS1_11comp_targetILNS1_3genE10ELNS1_11target_archE1200ELNS1_3gpuE4ELNS1_3repE0EEENS1_30default_config_static_selectorELNS0_4arch9wavefront6targetE0EEEvT1_, .Lfunc_end1731-_ZN7rocprim17ROCPRIM_400000_NS6detail17trampoline_kernelINS0_14default_configENS1_27scan_by_key_config_selectorIiiEEZZNS1_16scan_by_key_implILNS1_25lookback_scan_determinismE0ELb1ES3_N6thrust23THRUST_200600_302600_NS6detail15normal_iteratorINS9_10device_ptrIiEEEENSB_INSC_IjEEEENSB_INSC_IfEEEEiNS9_4plusIvEENS9_8equal_toIvEEiEE10hipError_tPvRmT2_T3_T4_T5_mT6_T7_P12ihipStream_tbENKUlT_T0_E_clISt17integral_constantIbLb1EES13_EEDaSY_SZ_EUlSY_E_NS1_11comp_targetILNS1_3genE10ELNS1_11target_archE1200ELNS1_3gpuE4ELNS1_3repE0EEENS1_30default_config_static_selectorELNS0_4arch9wavefront6targetE0EEEvT1_
                                        ; -- End function
	.set _ZN7rocprim17ROCPRIM_400000_NS6detail17trampoline_kernelINS0_14default_configENS1_27scan_by_key_config_selectorIiiEEZZNS1_16scan_by_key_implILNS1_25lookback_scan_determinismE0ELb1ES3_N6thrust23THRUST_200600_302600_NS6detail15normal_iteratorINS9_10device_ptrIiEEEENSB_INSC_IjEEEENSB_INSC_IfEEEEiNS9_4plusIvEENS9_8equal_toIvEEiEE10hipError_tPvRmT2_T3_T4_T5_mT6_T7_P12ihipStream_tbENKUlT_T0_E_clISt17integral_constantIbLb1EES13_EEDaSY_SZ_EUlSY_E_NS1_11comp_targetILNS1_3genE10ELNS1_11target_archE1200ELNS1_3gpuE4ELNS1_3repE0EEENS1_30default_config_static_selectorELNS0_4arch9wavefront6targetE0EEEvT1_.num_vgpr, 0
	.set _ZN7rocprim17ROCPRIM_400000_NS6detail17trampoline_kernelINS0_14default_configENS1_27scan_by_key_config_selectorIiiEEZZNS1_16scan_by_key_implILNS1_25lookback_scan_determinismE0ELb1ES3_N6thrust23THRUST_200600_302600_NS6detail15normal_iteratorINS9_10device_ptrIiEEEENSB_INSC_IjEEEENSB_INSC_IfEEEEiNS9_4plusIvEENS9_8equal_toIvEEiEE10hipError_tPvRmT2_T3_T4_T5_mT6_T7_P12ihipStream_tbENKUlT_T0_E_clISt17integral_constantIbLb1EES13_EEDaSY_SZ_EUlSY_E_NS1_11comp_targetILNS1_3genE10ELNS1_11target_archE1200ELNS1_3gpuE4ELNS1_3repE0EEENS1_30default_config_static_selectorELNS0_4arch9wavefront6targetE0EEEvT1_.num_agpr, 0
	.set _ZN7rocprim17ROCPRIM_400000_NS6detail17trampoline_kernelINS0_14default_configENS1_27scan_by_key_config_selectorIiiEEZZNS1_16scan_by_key_implILNS1_25lookback_scan_determinismE0ELb1ES3_N6thrust23THRUST_200600_302600_NS6detail15normal_iteratorINS9_10device_ptrIiEEEENSB_INSC_IjEEEENSB_INSC_IfEEEEiNS9_4plusIvEENS9_8equal_toIvEEiEE10hipError_tPvRmT2_T3_T4_T5_mT6_T7_P12ihipStream_tbENKUlT_T0_E_clISt17integral_constantIbLb1EES13_EEDaSY_SZ_EUlSY_E_NS1_11comp_targetILNS1_3genE10ELNS1_11target_archE1200ELNS1_3gpuE4ELNS1_3repE0EEENS1_30default_config_static_selectorELNS0_4arch9wavefront6targetE0EEEvT1_.numbered_sgpr, 0
	.set _ZN7rocprim17ROCPRIM_400000_NS6detail17trampoline_kernelINS0_14default_configENS1_27scan_by_key_config_selectorIiiEEZZNS1_16scan_by_key_implILNS1_25lookback_scan_determinismE0ELb1ES3_N6thrust23THRUST_200600_302600_NS6detail15normal_iteratorINS9_10device_ptrIiEEEENSB_INSC_IjEEEENSB_INSC_IfEEEEiNS9_4plusIvEENS9_8equal_toIvEEiEE10hipError_tPvRmT2_T3_T4_T5_mT6_T7_P12ihipStream_tbENKUlT_T0_E_clISt17integral_constantIbLb1EES13_EEDaSY_SZ_EUlSY_E_NS1_11comp_targetILNS1_3genE10ELNS1_11target_archE1200ELNS1_3gpuE4ELNS1_3repE0EEENS1_30default_config_static_selectorELNS0_4arch9wavefront6targetE0EEEvT1_.num_named_barrier, 0
	.set _ZN7rocprim17ROCPRIM_400000_NS6detail17trampoline_kernelINS0_14default_configENS1_27scan_by_key_config_selectorIiiEEZZNS1_16scan_by_key_implILNS1_25lookback_scan_determinismE0ELb1ES3_N6thrust23THRUST_200600_302600_NS6detail15normal_iteratorINS9_10device_ptrIiEEEENSB_INSC_IjEEEENSB_INSC_IfEEEEiNS9_4plusIvEENS9_8equal_toIvEEiEE10hipError_tPvRmT2_T3_T4_T5_mT6_T7_P12ihipStream_tbENKUlT_T0_E_clISt17integral_constantIbLb1EES13_EEDaSY_SZ_EUlSY_E_NS1_11comp_targetILNS1_3genE10ELNS1_11target_archE1200ELNS1_3gpuE4ELNS1_3repE0EEENS1_30default_config_static_selectorELNS0_4arch9wavefront6targetE0EEEvT1_.private_seg_size, 0
	.set _ZN7rocprim17ROCPRIM_400000_NS6detail17trampoline_kernelINS0_14default_configENS1_27scan_by_key_config_selectorIiiEEZZNS1_16scan_by_key_implILNS1_25lookback_scan_determinismE0ELb1ES3_N6thrust23THRUST_200600_302600_NS6detail15normal_iteratorINS9_10device_ptrIiEEEENSB_INSC_IjEEEENSB_INSC_IfEEEEiNS9_4plusIvEENS9_8equal_toIvEEiEE10hipError_tPvRmT2_T3_T4_T5_mT6_T7_P12ihipStream_tbENKUlT_T0_E_clISt17integral_constantIbLb1EES13_EEDaSY_SZ_EUlSY_E_NS1_11comp_targetILNS1_3genE10ELNS1_11target_archE1200ELNS1_3gpuE4ELNS1_3repE0EEENS1_30default_config_static_selectorELNS0_4arch9wavefront6targetE0EEEvT1_.uses_vcc, 0
	.set _ZN7rocprim17ROCPRIM_400000_NS6detail17trampoline_kernelINS0_14default_configENS1_27scan_by_key_config_selectorIiiEEZZNS1_16scan_by_key_implILNS1_25lookback_scan_determinismE0ELb1ES3_N6thrust23THRUST_200600_302600_NS6detail15normal_iteratorINS9_10device_ptrIiEEEENSB_INSC_IjEEEENSB_INSC_IfEEEEiNS9_4plusIvEENS9_8equal_toIvEEiEE10hipError_tPvRmT2_T3_T4_T5_mT6_T7_P12ihipStream_tbENKUlT_T0_E_clISt17integral_constantIbLb1EES13_EEDaSY_SZ_EUlSY_E_NS1_11comp_targetILNS1_3genE10ELNS1_11target_archE1200ELNS1_3gpuE4ELNS1_3repE0EEENS1_30default_config_static_selectorELNS0_4arch9wavefront6targetE0EEEvT1_.uses_flat_scratch, 0
	.set _ZN7rocprim17ROCPRIM_400000_NS6detail17trampoline_kernelINS0_14default_configENS1_27scan_by_key_config_selectorIiiEEZZNS1_16scan_by_key_implILNS1_25lookback_scan_determinismE0ELb1ES3_N6thrust23THRUST_200600_302600_NS6detail15normal_iteratorINS9_10device_ptrIiEEEENSB_INSC_IjEEEENSB_INSC_IfEEEEiNS9_4plusIvEENS9_8equal_toIvEEiEE10hipError_tPvRmT2_T3_T4_T5_mT6_T7_P12ihipStream_tbENKUlT_T0_E_clISt17integral_constantIbLb1EES13_EEDaSY_SZ_EUlSY_E_NS1_11comp_targetILNS1_3genE10ELNS1_11target_archE1200ELNS1_3gpuE4ELNS1_3repE0EEENS1_30default_config_static_selectorELNS0_4arch9wavefront6targetE0EEEvT1_.has_dyn_sized_stack, 0
	.set _ZN7rocprim17ROCPRIM_400000_NS6detail17trampoline_kernelINS0_14default_configENS1_27scan_by_key_config_selectorIiiEEZZNS1_16scan_by_key_implILNS1_25lookback_scan_determinismE0ELb1ES3_N6thrust23THRUST_200600_302600_NS6detail15normal_iteratorINS9_10device_ptrIiEEEENSB_INSC_IjEEEENSB_INSC_IfEEEEiNS9_4plusIvEENS9_8equal_toIvEEiEE10hipError_tPvRmT2_T3_T4_T5_mT6_T7_P12ihipStream_tbENKUlT_T0_E_clISt17integral_constantIbLb1EES13_EEDaSY_SZ_EUlSY_E_NS1_11comp_targetILNS1_3genE10ELNS1_11target_archE1200ELNS1_3gpuE4ELNS1_3repE0EEENS1_30default_config_static_selectorELNS0_4arch9wavefront6targetE0EEEvT1_.has_recursion, 0
	.set _ZN7rocprim17ROCPRIM_400000_NS6detail17trampoline_kernelINS0_14default_configENS1_27scan_by_key_config_selectorIiiEEZZNS1_16scan_by_key_implILNS1_25lookback_scan_determinismE0ELb1ES3_N6thrust23THRUST_200600_302600_NS6detail15normal_iteratorINS9_10device_ptrIiEEEENSB_INSC_IjEEEENSB_INSC_IfEEEEiNS9_4plusIvEENS9_8equal_toIvEEiEE10hipError_tPvRmT2_T3_T4_T5_mT6_T7_P12ihipStream_tbENKUlT_T0_E_clISt17integral_constantIbLb1EES13_EEDaSY_SZ_EUlSY_E_NS1_11comp_targetILNS1_3genE10ELNS1_11target_archE1200ELNS1_3gpuE4ELNS1_3repE0EEENS1_30default_config_static_selectorELNS0_4arch9wavefront6targetE0EEEvT1_.has_indirect_call, 0
	.section	.AMDGPU.csdata,"",@progbits
; Kernel info:
; codeLenInByte = 0
; TotalNumSgprs: 0
; NumVgprs: 0
; ScratchSize: 0
; MemoryBound: 0
; FloatMode: 240
; IeeeMode: 1
; LDSByteSize: 0 bytes/workgroup (compile time only)
; SGPRBlocks: 0
; VGPRBlocks: 0
; NumSGPRsForWavesPerEU: 1
; NumVGPRsForWavesPerEU: 1
; Occupancy: 16
; WaveLimiterHint : 0
; COMPUTE_PGM_RSRC2:SCRATCH_EN: 0
; COMPUTE_PGM_RSRC2:USER_SGPR: 6
; COMPUTE_PGM_RSRC2:TRAP_HANDLER: 0
; COMPUTE_PGM_RSRC2:TGID_X_EN: 1
; COMPUTE_PGM_RSRC2:TGID_Y_EN: 0
; COMPUTE_PGM_RSRC2:TGID_Z_EN: 0
; COMPUTE_PGM_RSRC2:TIDIG_COMP_CNT: 0
	.section	.text._ZN7rocprim17ROCPRIM_400000_NS6detail17trampoline_kernelINS0_14default_configENS1_27scan_by_key_config_selectorIiiEEZZNS1_16scan_by_key_implILNS1_25lookback_scan_determinismE0ELb1ES3_N6thrust23THRUST_200600_302600_NS6detail15normal_iteratorINS9_10device_ptrIiEEEENSB_INSC_IjEEEENSB_INSC_IfEEEEiNS9_4plusIvEENS9_8equal_toIvEEiEE10hipError_tPvRmT2_T3_T4_T5_mT6_T7_P12ihipStream_tbENKUlT_T0_E_clISt17integral_constantIbLb1EES13_EEDaSY_SZ_EUlSY_E_NS1_11comp_targetILNS1_3genE9ELNS1_11target_archE1100ELNS1_3gpuE3ELNS1_3repE0EEENS1_30default_config_static_selectorELNS0_4arch9wavefront6targetE0EEEvT1_,"axG",@progbits,_ZN7rocprim17ROCPRIM_400000_NS6detail17trampoline_kernelINS0_14default_configENS1_27scan_by_key_config_selectorIiiEEZZNS1_16scan_by_key_implILNS1_25lookback_scan_determinismE0ELb1ES3_N6thrust23THRUST_200600_302600_NS6detail15normal_iteratorINS9_10device_ptrIiEEEENSB_INSC_IjEEEENSB_INSC_IfEEEEiNS9_4plusIvEENS9_8equal_toIvEEiEE10hipError_tPvRmT2_T3_T4_T5_mT6_T7_P12ihipStream_tbENKUlT_T0_E_clISt17integral_constantIbLb1EES13_EEDaSY_SZ_EUlSY_E_NS1_11comp_targetILNS1_3genE9ELNS1_11target_archE1100ELNS1_3gpuE3ELNS1_3repE0EEENS1_30default_config_static_selectorELNS0_4arch9wavefront6targetE0EEEvT1_,comdat
	.protected	_ZN7rocprim17ROCPRIM_400000_NS6detail17trampoline_kernelINS0_14default_configENS1_27scan_by_key_config_selectorIiiEEZZNS1_16scan_by_key_implILNS1_25lookback_scan_determinismE0ELb1ES3_N6thrust23THRUST_200600_302600_NS6detail15normal_iteratorINS9_10device_ptrIiEEEENSB_INSC_IjEEEENSB_INSC_IfEEEEiNS9_4plusIvEENS9_8equal_toIvEEiEE10hipError_tPvRmT2_T3_T4_T5_mT6_T7_P12ihipStream_tbENKUlT_T0_E_clISt17integral_constantIbLb1EES13_EEDaSY_SZ_EUlSY_E_NS1_11comp_targetILNS1_3genE9ELNS1_11target_archE1100ELNS1_3gpuE3ELNS1_3repE0EEENS1_30default_config_static_selectorELNS0_4arch9wavefront6targetE0EEEvT1_ ; -- Begin function _ZN7rocprim17ROCPRIM_400000_NS6detail17trampoline_kernelINS0_14default_configENS1_27scan_by_key_config_selectorIiiEEZZNS1_16scan_by_key_implILNS1_25lookback_scan_determinismE0ELb1ES3_N6thrust23THRUST_200600_302600_NS6detail15normal_iteratorINS9_10device_ptrIiEEEENSB_INSC_IjEEEENSB_INSC_IfEEEEiNS9_4plusIvEENS9_8equal_toIvEEiEE10hipError_tPvRmT2_T3_T4_T5_mT6_T7_P12ihipStream_tbENKUlT_T0_E_clISt17integral_constantIbLb1EES13_EEDaSY_SZ_EUlSY_E_NS1_11comp_targetILNS1_3genE9ELNS1_11target_archE1100ELNS1_3gpuE3ELNS1_3repE0EEENS1_30default_config_static_selectorELNS0_4arch9wavefront6targetE0EEEvT1_
	.globl	_ZN7rocprim17ROCPRIM_400000_NS6detail17trampoline_kernelINS0_14default_configENS1_27scan_by_key_config_selectorIiiEEZZNS1_16scan_by_key_implILNS1_25lookback_scan_determinismE0ELb1ES3_N6thrust23THRUST_200600_302600_NS6detail15normal_iteratorINS9_10device_ptrIiEEEENSB_INSC_IjEEEENSB_INSC_IfEEEEiNS9_4plusIvEENS9_8equal_toIvEEiEE10hipError_tPvRmT2_T3_T4_T5_mT6_T7_P12ihipStream_tbENKUlT_T0_E_clISt17integral_constantIbLb1EES13_EEDaSY_SZ_EUlSY_E_NS1_11comp_targetILNS1_3genE9ELNS1_11target_archE1100ELNS1_3gpuE3ELNS1_3repE0EEENS1_30default_config_static_selectorELNS0_4arch9wavefront6targetE0EEEvT1_
	.p2align	8
	.type	_ZN7rocprim17ROCPRIM_400000_NS6detail17trampoline_kernelINS0_14default_configENS1_27scan_by_key_config_selectorIiiEEZZNS1_16scan_by_key_implILNS1_25lookback_scan_determinismE0ELb1ES3_N6thrust23THRUST_200600_302600_NS6detail15normal_iteratorINS9_10device_ptrIiEEEENSB_INSC_IjEEEENSB_INSC_IfEEEEiNS9_4plusIvEENS9_8equal_toIvEEiEE10hipError_tPvRmT2_T3_T4_T5_mT6_T7_P12ihipStream_tbENKUlT_T0_E_clISt17integral_constantIbLb1EES13_EEDaSY_SZ_EUlSY_E_NS1_11comp_targetILNS1_3genE9ELNS1_11target_archE1100ELNS1_3gpuE3ELNS1_3repE0EEENS1_30default_config_static_selectorELNS0_4arch9wavefront6targetE0EEEvT1_,@function
_ZN7rocprim17ROCPRIM_400000_NS6detail17trampoline_kernelINS0_14default_configENS1_27scan_by_key_config_selectorIiiEEZZNS1_16scan_by_key_implILNS1_25lookback_scan_determinismE0ELb1ES3_N6thrust23THRUST_200600_302600_NS6detail15normal_iteratorINS9_10device_ptrIiEEEENSB_INSC_IjEEEENSB_INSC_IfEEEEiNS9_4plusIvEENS9_8equal_toIvEEiEE10hipError_tPvRmT2_T3_T4_T5_mT6_T7_P12ihipStream_tbENKUlT_T0_E_clISt17integral_constantIbLb1EES13_EEDaSY_SZ_EUlSY_E_NS1_11comp_targetILNS1_3genE9ELNS1_11target_archE1100ELNS1_3gpuE3ELNS1_3repE0EEENS1_30default_config_static_selectorELNS0_4arch9wavefront6targetE0EEEvT1_: ; @_ZN7rocprim17ROCPRIM_400000_NS6detail17trampoline_kernelINS0_14default_configENS1_27scan_by_key_config_selectorIiiEEZZNS1_16scan_by_key_implILNS1_25lookback_scan_determinismE0ELb1ES3_N6thrust23THRUST_200600_302600_NS6detail15normal_iteratorINS9_10device_ptrIiEEEENSB_INSC_IjEEEENSB_INSC_IfEEEEiNS9_4plusIvEENS9_8equal_toIvEEiEE10hipError_tPvRmT2_T3_T4_T5_mT6_T7_P12ihipStream_tbENKUlT_T0_E_clISt17integral_constantIbLb1EES13_EEDaSY_SZ_EUlSY_E_NS1_11comp_targetILNS1_3genE9ELNS1_11target_archE1100ELNS1_3gpuE3ELNS1_3repE0EEENS1_30default_config_static_selectorELNS0_4arch9wavefront6targetE0EEEvT1_
; %bb.0:
	.section	.rodata,"a",@progbits
	.p2align	6, 0x0
	.amdhsa_kernel _ZN7rocprim17ROCPRIM_400000_NS6detail17trampoline_kernelINS0_14default_configENS1_27scan_by_key_config_selectorIiiEEZZNS1_16scan_by_key_implILNS1_25lookback_scan_determinismE0ELb1ES3_N6thrust23THRUST_200600_302600_NS6detail15normal_iteratorINS9_10device_ptrIiEEEENSB_INSC_IjEEEENSB_INSC_IfEEEEiNS9_4plusIvEENS9_8equal_toIvEEiEE10hipError_tPvRmT2_T3_T4_T5_mT6_T7_P12ihipStream_tbENKUlT_T0_E_clISt17integral_constantIbLb1EES13_EEDaSY_SZ_EUlSY_E_NS1_11comp_targetILNS1_3genE9ELNS1_11target_archE1100ELNS1_3gpuE3ELNS1_3repE0EEENS1_30default_config_static_selectorELNS0_4arch9wavefront6targetE0EEEvT1_
		.amdhsa_group_segment_fixed_size 0
		.amdhsa_private_segment_fixed_size 0
		.amdhsa_kernarg_size 112
		.amdhsa_user_sgpr_count 6
		.amdhsa_user_sgpr_private_segment_buffer 1
		.amdhsa_user_sgpr_dispatch_ptr 0
		.amdhsa_user_sgpr_queue_ptr 0
		.amdhsa_user_sgpr_kernarg_segment_ptr 1
		.amdhsa_user_sgpr_dispatch_id 0
		.amdhsa_user_sgpr_flat_scratch_init 0
		.amdhsa_user_sgpr_private_segment_size 0
		.amdhsa_wavefront_size32 1
		.amdhsa_uses_dynamic_stack 0
		.amdhsa_system_sgpr_private_segment_wavefront_offset 0
		.amdhsa_system_sgpr_workgroup_id_x 1
		.amdhsa_system_sgpr_workgroup_id_y 0
		.amdhsa_system_sgpr_workgroup_id_z 0
		.amdhsa_system_sgpr_workgroup_info 0
		.amdhsa_system_vgpr_workitem_id 0
		.amdhsa_next_free_vgpr 1
		.amdhsa_next_free_sgpr 1
		.amdhsa_reserve_vcc 0
		.amdhsa_reserve_flat_scratch 0
		.amdhsa_float_round_mode_32 0
		.amdhsa_float_round_mode_16_64 0
		.amdhsa_float_denorm_mode_32 3
		.amdhsa_float_denorm_mode_16_64 3
		.amdhsa_dx10_clamp 1
		.amdhsa_ieee_mode 1
		.amdhsa_fp16_overflow 0
		.amdhsa_workgroup_processor_mode 1
		.amdhsa_memory_ordered 1
		.amdhsa_forward_progress 1
		.amdhsa_shared_vgpr_count 0
		.amdhsa_exception_fp_ieee_invalid_op 0
		.amdhsa_exception_fp_denorm_src 0
		.amdhsa_exception_fp_ieee_div_zero 0
		.amdhsa_exception_fp_ieee_overflow 0
		.amdhsa_exception_fp_ieee_underflow 0
		.amdhsa_exception_fp_ieee_inexact 0
		.amdhsa_exception_int_div_zero 0
	.end_amdhsa_kernel
	.section	.text._ZN7rocprim17ROCPRIM_400000_NS6detail17trampoline_kernelINS0_14default_configENS1_27scan_by_key_config_selectorIiiEEZZNS1_16scan_by_key_implILNS1_25lookback_scan_determinismE0ELb1ES3_N6thrust23THRUST_200600_302600_NS6detail15normal_iteratorINS9_10device_ptrIiEEEENSB_INSC_IjEEEENSB_INSC_IfEEEEiNS9_4plusIvEENS9_8equal_toIvEEiEE10hipError_tPvRmT2_T3_T4_T5_mT6_T7_P12ihipStream_tbENKUlT_T0_E_clISt17integral_constantIbLb1EES13_EEDaSY_SZ_EUlSY_E_NS1_11comp_targetILNS1_3genE9ELNS1_11target_archE1100ELNS1_3gpuE3ELNS1_3repE0EEENS1_30default_config_static_selectorELNS0_4arch9wavefront6targetE0EEEvT1_,"axG",@progbits,_ZN7rocprim17ROCPRIM_400000_NS6detail17trampoline_kernelINS0_14default_configENS1_27scan_by_key_config_selectorIiiEEZZNS1_16scan_by_key_implILNS1_25lookback_scan_determinismE0ELb1ES3_N6thrust23THRUST_200600_302600_NS6detail15normal_iteratorINS9_10device_ptrIiEEEENSB_INSC_IjEEEENSB_INSC_IfEEEEiNS9_4plusIvEENS9_8equal_toIvEEiEE10hipError_tPvRmT2_T3_T4_T5_mT6_T7_P12ihipStream_tbENKUlT_T0_E_clISt17integral_constantIbLb1EES13_EEDaSY_SZ_EUlSY_E_NS1_11comp_targetILNS1_3genE9ELNS1_11target_archE1100ELNS1_3gpuE3ELNS1_3repE0EEENS1_30default_config_static_selectorELNS0_4arch9wavefront6targetE0EEEvT1_,comdat
.Lfunc_end1732:
	.size	_ZN7rocprim17ROCPRIM_400000_NS6detail17trampoline_kernelINS0_14default_configENS1_27scan_by_key_config_selectorIiiEEZZNS1_16scan_by_key_implILNS1_25lookback_scan_determinismE0ELb1ES3_N6thrust23THRUST_200600_302600_NS6detail15normal_iteratorINS9_10device_ptrIiEEEENSB_INSC_IjEEEENSB_INSC_IfEEEEiNS9_4plusIvEENS9_8equal_toIvEEiEE10hipError_tPvRmT2_T3_T4_T5_mT6_T7_P12ihipStream_tbENKUlT_T0_E_clISt17integral_constantIbLb1EES13_EEDaSY_SZ_EUlSY_E_NS1_11comp_targetILNS1_3genE9ELNS1_11target_archE1100ELNS1_3gpuE3ELNS1_3repE0EEENS1_30default_config_static_selectorELNS0_4arch9wavefront6targetE0EEEvT1_, .Lfunc_end1732-_ZN7rocprim17ROCPRIM_400000_NS6detail17trampoline_kernelINS0_14default_configENS1_27scan_by_key_config_selectorIiiEEZZNS1_16scan_by_key_implILNS1_25lookback_scan_determinismE0ELb1ES3_N6thrust23THRUST_200600_302600_NS6detail15normal_iteratorINS9_10device_ptrIiEEEENSB_INSC_IjEEEENSB_INSC_IfEEEEiNS9_4plusIvEENS9_8equal_toIvEEiEE10hipError_tPvRmT2_T3_T4_T5_mT6_T7_P12ihipStream_tbENKUlT_T0_E_clISt17integral_constantIbLb1EES13_EEDaSY_SZ_EUlSY_E_NS1_11comp_targetILNS1_3genE9ELNS1_11target_archE1100ELNS1_3gpuE3ELNS1_3repE0EEENS1_30default_config_static_selectorELNS0_4arch9wavefront6targetE0EEEvT1_
                                        ; -- End function
	.set _ZN7rocprim17ROCPRIM_400000_NS6detail17trampoline_kernelINS0_14default_configENS1_27scan_by_key_config_selectorIiiEEZZNS1_16scan_by_key_implILNS1_25lookback_scan_determinismE0ELb1ES3_N6thrust23THRUST_200600_302600_NS6detail15normal_iteratorINS9_10device_ptrIiEEEENSB_INSC_IjEEEENSB_INSC_IfEEEEiNS9_4plusIvEENS9_8equal_toIvEEiEE10hipError_tPvRmT2_T3_T4_T5_mT6_T7_P12ihipStream_tbENKUlT_T0_E_clISt17integral_constantIbLb1EES13_EEDaSY_SZ_EUlSY_E_NS1_11comp_targetILNS1_3genE9ELNS1_11target_archE1100ELNS1_3gpuE3ELNS1_3repE0EEENS1_30default_config_static_selectorELNS0_4arch9wavefront6targetE0EEEvT1_.num_vgpr, 0
	.set _ZN7rocprim17ROCPRIM_400000_NS6detail17trampoline_kernelINS0_14default_configENS1_27scan_by_key_config_selectorIiiEEZZNS1_16scan_by_key_implILNS1_25lookback_scan_determinismE0ELb1ES3_N6thrust23THRUST_200600_302600_NS6detail15normal_iteratorINS9_10device_ptrIiEEEENSB_INSC_IjEEEENSB_INSC_IfEEEEiNS9_4plusIvEENS9_8equal_toIvEEiEE10hipError_tPvRmT2_T3_T4_T5_mT6_T7_P12ihipStream_tbENKUlT_T0_E_clISt17integral_constantIbLb1EES13_EEDaSY_SZ_EUlSY_E_NS1_11comp_targetILNS1_3genE9ELNS1_11target_archE1100ELNS1_3gpuE3ELNS1_3repE0EEENS1_30default_config_static_selectorELNS0_4arch9wavefront6targetE0EEEvT1_.num_agpr, 0
	.set _ZN7rocprim17ROCPRIM_400000_NS6detail17trampoline_kernelINS0_14default_configENS1_27scan_by_key_config_selectorIiiEEZZNS1_16scan_by_key_implILNS1_25lookback_scan_determinismE0ELb1ES3_N6thrust23THRUST_200600_302600_NS6detail15normal_iteratorINS9_10device_ptrIiEEEENSB_INSC_IjEEEENSB_INSC_IfEEEEiNS9_4plusIvEENS9_8equal_toIvEEiEE10hipError_tPvRmT2_T3_T4_T5_mT6_T7_P12ihipStream_tbENKUlT_T0_E_clISt17integral_constantIbLb1EES13_EEDaSY_SZ_EUlSY_E_NS1_11comp_targetILNS1_3genE9ELNS1_11target_archE1100ELNS1_3gpuE3ELNS1_3repE0EEENS1_30default_config_static_selectorELNS0_4arch9wavefront6targetE0EEEvT1_.numbered_sgpr, 0
	.set _ZN7rocprim17ROCPRIM_400000_NS6detail17trampoline_kernelINS0_14default_configENS1_27scan_by_key_config_selectorIiiEEZZNS1_16scan_by_key_implILNS1_25lookback_scan_determinismE0ELb1ES3_N6thrust23THRUST_200600_302600_NS6detail15normal_iteratorINS9_10device_ptrIiEEEENSB_INSC_IjEEEENSB_INSC_IfEEEEiNS9_4plusIvEENS9_8equal_toIvEEiEE10hipError_tPvRmT2_T3_T4_T5_mT6_T7_P12ihipStream_tbENKUlT_T0_E_clISt17integral_constantIbLb1EES13_EEDaSY_SZ_EUlSY_E_NS1_11comp_targetILNS1_3genE9ELNS1_11target_archE1100ELNS1_3gpuE3ELNS1_3repE0EEENS1_30default_config_static_selectorELNS0_4arch9wavefront6targetE0EEEvT1_.num_named_barrier, 0
	.set _ZN7rocprim17ROCPRIM_400000_NS6detail17trampoline_kernelINS0_14default_configENS1_27scan_by_key_config_selectorIiiEEZZNS1_16scan_by_key_implILNS1_25lookback_scan_determinismE0ELb1ES3_N6thrust23THRUST_200600_302600_NS6detail15normal_iteratorINS9_10device_ptrIiEEEENSB_INSC_IjEEEENSB_INSC_IfEEEEiNS9_4plusIvEENS9_8equal_toIvEEiEE10hipError_tPvRmT2_T3_T4_T5_mT6_T7_P12ihipStream_tbENKUlT_T0_E_clISt17integral_constantIbLb1EES13_EEDaSY_SZ_EUlSY_E_NS1_11comp_targetILNS1_3genE9ELNS1_11target_archE1100ELNS1_3gpuE3ELNS1_3repE0EEENS1_30default_config_static_selectorELNS0_4arch9wavefront6targetE0EEEvT1_.private_seg_size, 0
	.set _ZN7rocprim17ROCPRIM_400000_NS6detail17trampoline_kernelINS0_14default_configENS1_27scan_by_key_config_selectorIiiEEZZNS1_16scan_by_key_implILNS1_25lookback_scan_determinismE0ELb1ES3_N6thrust23THRUST_200600_302600_NS6detail15normal_iteratorINS9_10device_ptrIiEEEENSB_INSC_IjEEEENSB_INSC_IfEEEEiNS9_4plusIvEENS9_8equal_toIvEEiEE10hipError_tPvRmT2_T3_T4_T5_mT6_T7_P12ihipStream_tbENKUlT_T0_E_clISt17integral_constantIbLb1EES13_EEDaSY_SZ_EUlSY_E_NS1_11comp_targetILNS1_3genE9ELNS1_11target_archE1100ELNS1_3gpuE3ELNS1_3repE0EEENS1_30default_config_static_selectorELNS0_4arch9wavefront6targetE0EEEvT1_.uses_vcc, 0
	.set _ZN7rocprim17ROCPRIM_400000_NS6detail17trampoline_kernelINS0_14default_configENS1_27scan_by_key_config_selectorIiiEEZZNS1_16scan_by_key_implILNS1_25lookback_scan_determinismE0ELb1ES3_N6thrust23THRUST_200600_302600_NS6detail15normal_iteratorINS9_10device_ptrIiEEEENSB_INSC_IjEEEENSB_INSC_IfEEEEiNS9_4plusIvEENS9_8equal_toIvEEiEE10hipError_tPvRmT2_T3_T4_T5_mT6_T7_P12ihipStream_tbENKUlT_T0_E_clISt17integral_constantIbLb1EES13_EEDaSY_SZ_EUlSY_E_NS1_11comp_targetILNS1_3genE9ELNS1_11target_archE1100ELNS1_3gpuE3ELNS1_3repE0EEENS1_30default_config_static_selectorELNS0_4arch9wavefront6targetE0EEEvT1_.uses_flat_scratch, 0
	.set _ZN7rocprim17ROCPRIM_400000_NS6detail17trampoline_kernelINS0_14default_configENS1_27scan_by_key_config_selectorIiiEEZZNS1_16scan_by_key_implILNS1_25lookback_scan_determinismE0ELb1ES3_N6thrust23THRUST_200600_302600_NS6detail15normal_iteratorINS9_10device_ptrIiEEEENSB_INSC_IjEEEENSB_INSC_IfEEEEiNS9_4plusIvEENS9_8equal_toIvEEiEE10hipError_tPvRmT2_T3_T4_T5_mT6_T7_P12ihipStream_tbENKUlT_T0_E_clISt17integral_constantIbLb1EES13_EEDaSY_SZ_EUlSY_E_NS1_11comp_targetILNS1_3genE9ELNS1_11target_archE1100ELNS1_3gpuE3ELNS1_3repE0EEENS1_30default_config_static_selectorELNS0_4arch9wavefront6targetE0EEEvT1_.has_dyn_sized_stack, 0
	.set _ZN7rocprim17ROCPRIM_400000_NS6detail17trampoline_kernelINS0_14default_configENS1_27scan_by_key_config_selectorIiiEEZZNS1_16scan_by_key_implILNS1_25lookback_scan_determinismE0ELb1ES3_N6thrust23THRUST_200600_302600_NS6detail15normal_iteratorINS9_10device_ptrIiEEEENSB_INSC_IjEEEENSB_INSC_IfEEEEiNS9_4plusIvEENS9_8equal_toIvEEiEE10hipError_tPvRmT2_T3_T4_T5_mT6_T7_P12ihipStream_tbENKUlT_T0_E_clISt17integral_constantIbLb1EES13_EEDaSY_SZ_EUlSY_E_NS1_11comp_targetILNS1_3genE9ELNS1_11target_archE1100ELNS1_3gpuE3ELNS1_3repE0EEENS1_30default_config_static_selectorELNS0_4arch9wavefront6targetE0EEEvT1_.has_recursion, 0
	.set _ZN7rocprim17ROCPRIM_400000_NS6detail17trampoline_kernelINS0_14default_configENS1_27scan_by_key_config_selectorIiiEEZZNS1_16scan_by_key_implILNS1_25lookback_scan_determinismE0ELb1ES3_N6thrust23THRUST_200600_302600_NS6detail15normal_iteratorINS9_10device_ptrIiEEEENSB_INSC_IjEEEENSB_INSC_IfEEEEiNS9_4plusIvEENS9_8equal_toIvEEiEE10hipError_tPvRmT2_T3_T4_T5_mT6_T7_P12ihipStream_tbENKUlT_T0_E_clISt17integral_constantIbLb1EES13_EEDaSY_SZ_EUlSY_E_NS1_11comp_targetILNS1_3genE9ELNS1_11target_archE1100ELNS1_3gpuE3ELNS1_3repE0EEENS1_30default_config_static_selectorELNS0_4arch9wavefront6targetE0EEEvT1_.has_indirect_call, 0
	.section	.AMDGPU.csdata,"",@progbits
; Kernel info:
; codeLenInByte = 0
; TotalNumSgprs: 0
; NumVgprs: 0
; ScratchSize: 0
; MemoryBound: 0
; FloatMode: 240
; IeeeMode: 1
; LDSByteSize: 0 bytes/workgroup (compile time only)
; SGPRBlocks: 0
; VGPRBlocks: 0
; NumSGPRsForWavesPerEU: 1
; NumVGPRsForWavesPerEU: 1
; Occupancy: 16
; WaveLimiterHint : 0
; COMPUTE_PGM_RSRC2:SCRATCH_EN: 0
; COMPUTE_PGM_RSRC2:USER_SGPR: 6
; COMPUTE_PGM_RSRC2:TRAP_HANDLER: 0
; COMPUTE_PGM_RSRC2:TGID_X_EN: 1
; COMPUTE_PGM_RSRC2:TGID_Y_EN: 0
; COMPUTE_PGM_RSRC2:TGID_Z_EN: 0
; COMPUTE_PGM_RSRC2:TIDIG_COMP_CNT: 0
	.section	.text._ZN7rocprim17ROCPRIM_400000_NS6detail17trampoline_kernelINS0_14default_configENS1_27scan_by_key_config_selectorIiiEEZZNS1_16scan_by_key_implILNS1_25lookback_scan_determinismE0ELb1ES3_N6thrust23THRUST_200600_302600_NS6detail15normal_iteratorINS9_10device_ptrIiEEEENSB_INSC_IjEEEENSB_INSC_IfEEEEiNS9_4plusIvEENS9_8equal_toIvEEiEE10hipError_tPvRmT2_T3_T4_T5_mT6_T7_P12ihipStream_tbENKUlT_T0_E_clISt17integral_constantIbLb1EES13_EEDaSY_SZ_EUlSY_E_NS1_11comp_targetILNS1_3genE8ELNS1_11target_archE1030ELNS1_3gpuE2ELNS1_3repE0EEENS1_30default_config_static_selectorELNS0_4arch9wavefront6targetE0EEEvT1_,"axG",@progbits,_ZN7rocprim17ROCPRIM_400000_NS6detail17trampoline_kernelINS0_14default_configENS1_27scan_by_key_config_selectorIiiEEZZNS1_16scan_by_key_implILNS1_25lookback_scan_determinismE0ELb1ES3_N6thrust23THRUST_200600_302600_NS6detail15normal_iteratorINS9_10device_ptrIiEEEENSB_INSC_IjEEEENSB_INSC_IfEEEEiNS9_4plusIvEENS9_8equal_toIvEEiEE10hipError_tPvRmT2_T3_T4_T5_mT6_T7_P12ihipStream_tbENKUlT_T0_E_clISt17integral_constantIbLb1EES13_EEDaSY_SZ_EUlSY_E_NS1_11comp_targetILNS1_3genE8ELNS1_11target_archE1030ELNS1_3gpuE2ELNS1_3repE0EEENS1_30default_config_static_selectorELNS0_4arch9wavefront6targetE0EEEvT1_,comdat
	.protected	_ZN7rocprim17ROCPRIM_400000_NS6detail17trampoline_kernelINS0_14default_configENS1_27scan_by_key_config_selectorIiiEEZZNS1_16scan_by_key_implILNS1_25lookback_scan_determinismE0ELb1ES3_N6thrust23THRUST_200600_302600_NS6detail15normal_iteratorINS9_10device_ptrIiEEEENSB_INSC_IjEEEENSB_INSC_IfEEEEiNS9_4plusIvEENS9_8equal_toIvEEiEE10hipError_tPvRmT2_T3_T4_T5_mT6_T7_P12ihipStream_tbENKUlT_T0_E_clISt17integral_constantIbLb1EES13_EEDaSY_SZ_EUlSY_E_NS1_11comp_targetILNS1_3genE8ELNS1_11target_archE1030ELNS1_3gpuE2ELNS1_3repE0EEENS1_30default_config_static_selectorELNS0_4arch9wavefront6targetE0EEEvT1_ ; -- Begin function _ZN7rocprim17ROCPRIM_400000_NS6detail17trampoline_kernelINS0_14default_configENS1_27scan_by_key_config_selectorIiiEEZZNS1_16scan_by_key_implILNS1_25lookback_scan_determinismE0ELb1ES3_N6thrust23THRUST_200600_302600_NS6detail15normal_iteratorINS9_10device_ptrIiEEEENSB_INSC_IjEEEENSB_INSC_IfEEEEiNS9_4plusIvEENS9_8equal_toIvEEiEE10hipError_tPvRmT2_T3_T4_T5_mT6_T7_P12ihipStream_tbENKUlT_T0_E_clISt17integral_constantIbLb1EES13_EEDaSY_SZ_EUlSY_E_NS1_11comp_targetILNS1_3genE8ELNS1_11target_archE1030ELNS1_3gpuE2ELNS1_3repE0EEENS1_30default_config_static_selectorELNS0_4arch9wavefront6targetE0EEEvT1_
	.globl	_ZN7rocprim17ROCPRIM_400000_NS6detail17trampoline_kernelINS0_14default_configENS1_27scan_by_key_config_selectorIiiEEZZNS1_16scan_by_key_implILNS1_25lookback_scan_determinismE0ELb1ES3_N6thrust23THRUST_200600_302600_NS6detail15normal_iteratorINS9_10device_ptrIiEEEENSB_INSC_IjEEEENSB_INSC_IfEEEEiNS9_4plusIvEENS9_8equal_toIvEEiEE10hipError_tPvRmT2_T3_T4_T5_mT6_T7_P12ihipStream_tbENKUlT_T0_E_clISt17integral_constantIbLb1EES13_EEDaSY_SZ_EUlSY_E_NS1_11comp_targetILNS1_3genE8ELNS1_11target_archE1030ELNS1_3gpuE2ELNS1_3repE0EEENS1_30default_config_static_selectorELNS0_4arch9wavefront6targetE0EEEvT1_
	.p2align	8
	.type	_ZN7rocprim17ROCPRIM_400000_NS6detail17trampoline_kernelINS0_14default_configENS1_27scan_by_key_config_selectorIiiEEZZNS1_16scan_by_key_implILNS1_25lookback_scan_determinismE0ELb1ES3_N6thrust23THRUST_200600_302600_NS6detail15normal_iteratorINS9_10device_ptrIiEEEENSB_INSC_IjEEEENSB_INSC_IfEEEEiNS9_4plusIvEENS9_8equal_toIvEEiEE10hipError_tPvRmT2_T3_T4_T5_mT6_T7_P12ihipStream_tbENKUlT_T0_E_clISt17integral_constantIbLb1EES13_EEDaSY_SZ_EUlSY_E_NS1_11comp_targetILNS1_3genE8ELNS1_11target_archE1030ELNS1_3gpuE2ELNS1_3repE0EEENS1_30default_config_static_selectorELNS0_4arch9wavefront6targetE0EEEvT1_,@function
_ZN7rocprim17ROCPRIM_400000_NS6detail17trampoline_kernelINS0_14default_configENS1_27scan_by_key_config_selectorIiiEEZZNS1_16scan_by_key_implILNS1_25lookback_scan_determinismE0ELb1ES3_N6thrust23THRUST_200600_302600_NS6detail15normal_iteratorINS9_10device_ptrIiEEEENSB_INSC_IjEEEENSB_INSC_IfEEEEiNS9_4plusIvEENS9_8equal_toIvEEiEE10hipError_tPvRmT2_T3_T4_T5_mT6_T7_P12ihipStream_tbENKUlT_T0_E_clISt17integral_constantIbLb1EES13_EEDaSY_SZ_EUlSY_E_NS1_11comp_targetILNS1_3genE8ELNS1_11target_archE1030ELNS1_3gpuE2ELNS1_3repE0EEENS1_30default_config_static_selectorELNS0_4arch9wavefront6targetE0EEEvT1_: ; @_ZN7rocprim17ROCPRIM_400000_NS6detail17trampoline_kernelINS0_14default_configENS1_27scan_by_key_config_selectorIiiEEZZNS1_16scan_by_key_implILNS1_25lookback_scan_determinismE0ELb1ES3_N6thrust23THRUST_200600_302600_NS6detail15normal_iteratorINS9_10device_ptrIiEEEENSB_INSC_IjEEEENSB_INSC_IfEEEEiNS9_4plusIvEENS9_8equal_toIvEEiEE10hipError_tPvRmT2_T3_T4_T5_mT6_T7_P12ihipStream_tbENKUlT_T0_E_clISt17integral_constantIbLb1EES13_EEDaSY_SZ_EUlSY_E_NS1_11comp_targetILNS1_3genE8ELNS1_11target_archE1030ELNS1_3gpuE2ELNS1_3repE0EEENS1_30default_config_static_selectorELNS0_4arch9wavefront6targetE0EEEvT1_
; %bb.0:
	s_endpgm
	.section	.rodata,"a",@progbits
	.p2align	6, 0x0
	.amdhsa_kernel _ZN7rocprim17ROCPRIM_400000_NS6detail17trampoline_kernelINS0_14default_configENS1_27scan_by_key_config_selectorIiiEEZZNS1_16scan_by_key_implILNS1_25lookback_scan_determinismE0ELb1ES3_N6thrust23THRUST_200600_302600_NS6detail15normal_iteratorINS9_10device_ptrIiEEEENSB_INSC_IjEEEENSB_INSC_IfEEEEiNS9_4plusIvEENS9_8equal_toIvEEiEE10hipError_tPvRmT2_T3_T4_T5_mT6_T7_P12ihipStream_tbENKUlT_T0_E_clISt17integral_constantIbLb1EES13_EEDaSY_SZ_EUlSY_E_NS1_11comp_targetILNS1_3genE8ELNS1_11target_archE1030ELNS1_3gpuE2ELNS1_3repE0EEENS1_30default_config_static_selectorELNS0_4arch9wavefront6targetE0EEEvT1_
		.amdhsa_group_segment_fixed_size 0
		.amdhsa_private_segment_fixed_size 0
		.amdhsa_kernarg_size 112
		.amdhsa_user_sgpr_count 6
		.amdhsa_user_sgpr_private_segment_buffer 1
		.amdhsa_user_sgpr_dispatch_ptr 0
		.amdhsa_user_sgpr_queue_ptr 0
		.amdhsa_user_sgpr_kernarg_segment_ptr 1
		.amdhsa_user_sgpr_dispatch_id 0
		.amdhsa_user_sgpr_flat_scratch_init 0
		.amdhsa_user_sgpr_private_segment_size 0
		.amdhsa_wavefront_size32 1
		.amdhsa_uses_dynamic_stack 0
		.amdhsa_system_sgpr_private_segment_wavefront_offset 0
		.amdhsa_system_sgpr_workgroup_id_x 1
		.amdhsa_system_sgpr_workgroup_id_y 0
		.amdhsa_system_sgpr_workgroup_id_z 0
		.amdhsa_system_sgpr_workgroup_info 0
		.amdhsa_system_vgpr_workitem_id 0
		.amdhsa_next_free_vgpr 1
		.amdhsa_next_free_sgpr 1
		.amdhsa_reserve_vcc 0
		.amdhsa_reserve_flat_scratch 0
		.amdhsa_float_round_mode_32 0
		.amdhsa_float_round_mode_16_64 0
		.amdhsa_float_denorm_mode_32 3
		.amdhsa_float_denorm_mode_16_64 3
		.amdhsa_dx10_clamp 1
		.amdhsa_ieee_mode 1
		.amdhsa_fp16_overflow 0
		.amdhsa_workgroup_processor_mode 1
		.amdhsa_memory_ordered 1
		.amdhsa_forward_progress 1
		.amdhsa_shared_vgpr_count 0
		.amdhsa_exception_fp_ieee_invalid_op 0
		.amdhsa_exception_fp_denorm_src 0
		.amdhsa_exception_fp_ieee_div_zero 0
		.amdhsa_exception_fp_ieee_overflow 0
		.amdhsa_exception_fp_ieee_underflow 0
		.amdhsa_exception_fp_ieee_inexact 0
		.amdhsa_exception_int_div_zero 0
	.end_amdhsa_kernel
	.section	.text._ZN7rocprim17ROCPRIM_400000_NS6detail17trampoline_kernelINS0_14default_configENS1_27scan_by_key_config_selectorIiiEEZZNS1_16scan_by_key_implILNS1_25lookback_scan_determinismE0ELb1ES3_N6thrust23THRUST_200600_302600_NS6detail15normal_iteratorINS9_10device_ptrIiEEEENSB_INSC_IjEEEENSB_INSC_IfEEEEiNS9_4plusIvEENS9_8equal_toIvEEiEE10hipError_tPvRmT2_T3_T4_T5_mT6_T7_P12ihipStream_tbENKUlT_T0_E_clISt17integral_constantIbLb1EES13_EEDaSY_SZ_EUlSY_E_NS1_11comp_targetILNS1_3genE8ELNS1_11target_archE1030ELNS1_3gpuE2ELNS1_3repE0EEENS1_30default_config_static_selectorELNS0_4arch9wavefront6targetE0EEEvT1_,"axG",@progbits,_ZN7rocprim17ROCPRIM_400000_NS6detail17trampoline_kernelINS0_14default_configENS1_27scan_by_key_config_selectorIiiEEZZNS1_16scan_by_key_implILNS1_25lookback_scan_determinismE0ELb1ES3_N6thrust23THRUST_200600_302600_NS6detail15normal_iteratorINS9_10device_ptrIiEEEENSB_INSC_IjEEEENSB_INSC_IfEEEEiNS9_4plusIvEENS9_8equal_toIvEEiEE10hipError_tPvRmT2_T3_T4_T5_mT6_T7_P12ihipStream_tbENKUlT_T0_E_clISt17integral_constantIbLb1EES13_EEDaSY_SZ_EUlSY_E_NS1_11comp_targetILNS1_3genE8ELNS1_11target_archE1030ELNS1_3gpuE2ELNS1_3repE0EEENS1_30default_config_static_selectorELNS0_4arch9wavefront6targetE0EEEvT1_,comdat
.Lfunc_end1733:
	.size	_ZN7rocprim17ROCPRIM_400000_NS6detail17trampoline_kernelINS0_14default_configENS1_27scan_by_key_config_selectorIiiEEZZNS1_16scan_by_key_implILNS1_25lookback_scan_determinismE0ELb1ES3_N6thrust23THRUST_200600_302600_NS6detail15normal_iteratorINS9_10device_ptrIiEEEENSB_INSC_IjEEEENSB_INSC_IfEEEEiNS9_4plusIvEENS9_8equal_toIvEEiEE10hipError_tPvRmT2_T3_T4_T5_mT6_T7_P12ihipStream_tbENKUlT_T0_E_clISt17integral_constantIbLb1EES13_EEDaSY_SZ_EUlSY_E_NS1_11comp_targetILNS1_3genE8ELNS1_11target_archE1030ELNS1_3gpuE2ELNS1_3repE0EEENS1_30default_config_static_selectorELNS0_4arch9wavefront6targetE0EEEvT1_, .Lfunc_end1733-_ZN7rocprim17ROCPRIM_400000_NS6detail17trampoline_kernelINS0_14default_configENS1_27scan_by_key_config_selectorIiiEEZZNS1_16scan_by_key_implILNS1_25lookback_scan_determinismE0ELb1ES3_N6thrust23THRUST_200600_302600_NS6detail15normal_iteratorINS9_10device_ptrIiEEEENSB_INSC_IjEEEENSB_INSC_IfEEEEiNS9_4plusIvEENS9_8equal_toIvEEiEE10hipError_tPvRmT2_T3_T4_T5_mT6_T7_P12ihipStream_tbENKUlT_T0_E_clISt17integral_constantIbLb1EES13_EEDaSY_SZ_EUlSY_E_NS1_11comp_targetILNS1_3genE8ELNS1_11target_archE1030ELNS1_3gpuE2ELNS1_3repE0EEENS1_30default_config_static_selectorELNS0_4arch9wavefront6targetE0EEEvT1_
                                        ; -- End function
	.set _ZN7rocprim17ROCPRIM_400000_NS6detail17trampoline_kernelINS0_14default_configENS1_27scan_by_key_config_selectorIiiEEZZNS1_16scan_by_key_implILNS1_25lookback_scan_determinismE0ELb1ES3_N6thrust23THRUST_200600_302600_NS6detail15normal_iteratorINS9_10device_ptrIiEEEENSB_INSC_IjEEEENSB_INSC_IfEEEEiNS9_4plusIvEENS9_8equal_toIvEEiEE10hipError_tPvRmT2_T3_T4_T5_mT6_T7_P12ihipStream_tbENKUlT_T0_E_clISt17integral_constantIbLb1EES13_EEDaSY_SZ_EUlSY_E_NS1_11comp_targetILNS1_3genE8ELNS1_11target_archE1030ELNS1_3gpuE2ELNS1_3repE0EEENS1_30default_config_static_selectorELNS0_4arch9wavefront6targetE0EEEvT1_.num_vgpr, 0
	.set _ZN7rocprim17ROCPRIM_400000_NS6detail17trampoline_kernelINS0_14default_configENS1_27scan_by_key_config_selectorIiiEEZZNS1_16scan_by_key_implILNS1_25lookback_scan_determinismE0ELb1ES3_N6thrust23THRUST_200600_302600_NS6detail15normal_iteratorINS9_10device_ptrIiEEEENSB_INSC_IjEEEENSB_INSC_IfEEEEiNS9_4plusIvEENS9_8equal_toIvEEiEE10hipError_tPvRmT2_T3_T4_T5_mT6_T7_P12ihipStream_tbENKUlT_T0_E_clISt17integral_constantIbLb1EES13_EEDaSY_SZ_EUlSY_E_NS1_11comp_targetILNS1_3genE8ELNS1_11target_archE1030ELNS1_3gpuE2ELNS1_3repE0EEENS1_30default_config_static_selectorELNS0_4arch9wavefront6targetE0EEEvT1_.num_agpr, 0
	.set _ZN7rocprim17ROCPRIM_400000_NS6detail17trampoline_kernelINS0_14default_configENS1_27scan_by_key_config_selectorIiiEEZZNS1_16scan_by_key_implILNS1_25lookback_scan_determinismE0ELb1ES3_N6thrust23THRUST_200600_302600_NS6detail15normal_iteratorINS9_10device_ptrIiEEEENSB_INSC_IjEEEENSB_INSC_IfEEEEiNS9_4plusIvEENS9_8equal_toIvEEiEE10hipError_tPvRmT2_T3_T4_T5_mT6_T7_P12ihipStream_tbENKUlT_T0_E_clISt17integral_constantIbLb1EES13_EEDaSY_SZ_EUlSY_E_NS1_11comp_targetILNS1_3genE8ELNS1_11target_archE1030ELNS1_3gpuE2ELNS1_3repE0EEENS1_30default_config_static_selectorELNS0_4arch9wavefront6targetE0EEEvT1_.numbered_sgpr, 0
	.set _ZN7rocprim17ROCPRIM_400000_NS6detail17trampoline_kernelINS0_14default_configENS1_27scan_by_key_config_selectorIiiEEZZNS1_16scan_by_key_implILNS1_25lookback_scan_determinismE0ELb1ES3_N6thrust23THRUST_200600_302600_NS6detail15normal_iteratorINS9_10device_ptrIiEEEENSB_INSC_IjEEEENSB_INSC_IfEEEEiNS9_4plusIvEENS9_8equal_toIvEEiEE10hipError_tPvRmT2_T3_T4_T5_mT6_T7_P12ihipStream_tbENKUlT_T0_E_clISt17integral_constantIbLb1EES13_EEDaSY_SZ_EUlSY_E_NS1_11comp_targetILNS1_3genE8ELNS1_11target_archE1030ELNS1_3gpuE2ELNS1_3repE0EEENS1_30default_config_static_selectorELNS0_4arch9wavefront6targetE0EEEvT1_.num_named_barrier, 0
	.set _ZN7rocprim17ROCPRIM_400000_NS6detail17trampoline_kernelINS0_14default_configENS1_27scan_by_key_config_selectorIiiEEZZNS1_16scan_by_key_implILNS1_25lookback_scan_determinismE0ELb1ES3_N6thrust23THRUST_200600_302600_NS6detail15normal_iteratorINS9_10device_ptrIiEEEENSB_INSC_IjEEEENSB_INSC_IfEEEEiNS9_4plusIvEENS9_8equal_toIvEEiEE10hipError_tPvRmT2_T3_T4_T5_mT6_T7_P12ihipStream_tbENKUlT_T0_E_clISt17integral_constantIbLb1EES13_EEDaSY_SZ_EUlSY_E_NS1_11comp_targetILNS1_3genE8ELNS1_11target_archE1030ELNS1_3gpuE2ELNS1_3repE0EEENS1_30default_config_static_selectorELNS0_4arch9wavefront6targetE0EEEvT1_.private_seg_size, 0
	.set _ZN7rocprim17ROCPRIM_400000_NS6detail17trampoline_kernelINS0_14default_configENS1_27scan_by_key_config_selectorIiiEEZZNS1_16scan_by_key_implILNS1_25lookback_scan_determinismE0ELb1ES3_N6thrust23THRUST_200600_302600_NS6detail15normal_iteratorINS9_10device_ptrIiEEEENSB_INSC_IjEEEENSB_INSC_IfEEEEiNS9_4plusIvEENS9_8equal_toIvEEiEE10hipError_tPvRmT2_T3_T4_T5_mT6_T7_P12ihipStream_tbENKUlT_T0_E_clISt17integral_constantIbLb1EES13_EEDaSY_SZ_EUlSY_E_NS1_11comp_targetILNS1_3genE8ELNS1_11target_archE1030ELNS1_3gpuE2ELNS1_3repE0EEENS1_30default_config_static_selectorELNS0_4arch9wavefront6targetE0EEEvT1_.uses_vcc, 0
	.set _ZN7rocprim17ROCPRIM_400000_NS6detail17trampoline_kernelINS0_14default_configENS1_27scan_by_key_config_selectorIiiEEZZNS1_16scan_by_key_implILNS1_25lookback_scan_determinismE0ELb1ES3_N6thrust23THRUST_200600_302600_NS6detail15normal_iteratorINS9_10device_ptrIiEEEENSB_INSC_IjEEEENSB_INSC_IfEEEEiNS9_4plusIvEENS9_8equal_toIvEEiEE10hipError_tPvRmT2_T3_T4_T5_mT6_T7_P12ihipStream_tbENKUlT_T0_E_clISt17integral_constantIbLb1EES13_EEDaSY_SZ_EUlSY_E_NS1_11comp_targetILNS1_3genE8ELNS1_11target_archE1030ELNS1_3gpuE2ELNS1_3repE0EEENS1_30default_config_static_selectorELNS0_4arch9wavefront6targetE0EEEvT1_.uses_flat_scratch, 0
	.set _ZN7rocprim17ROCPRIM_400000_NS6detail17trampoline_kernelINS0_14default_configENS1_27scan_by_key_config_selectorIiiEEZZNS1_16scan_by_key_implILNS1_25lookback_scan_determinismE0ELb1ES3_N6thrust23THRUST_200600_302600_NS6detail15normal_iteratorINS9_10device_ptrIiEEEENSB_INSC_IjEEEENSB_INSC_IfEEEEiNS9_4plusIvEENS9_8equal_toIvEEiEE10hipError_tPvRmT2_T3_T4_T5_mT6_T7_P12ihipStream_tbENKUlT_T0_E_clISt17integral_constantIbLb1EES13_EEDaSY_SZ_EUlSY_E_NS1_11comp_targetILNS1_3genE8ELNS1_11target_archE1030ELNS1_3gpuE2ELNS1_3repE0EEENS1_30default_config_static_selectorELNS0_4arch9wavefront6targetE0EEEvT1_.has_dyn_sized_stack, 0
	.set _ZN7rocprim17ROCPRIM_400000_NS6detail17trampoline_kernelINS0_14default_configENS1_27scan_by_key_config_selectorIiiEEZZNS1_16scan_by_key_implILNS1_25lookback_scan_determinismE0ELb1ES3_N6thrust23THRUST_200600_302600_NS6detail15normal_iteratorINS9_10device_ptrIiEEEENSB_INSC_IjEEEENSB_INSC_IfEEEEiNS9_4plusIvEENS9_8equal_toIvEEiEE10hipError_tPvRmT2_T3_T4_T5_mT6_T7_P12ihipStream_tbENKUlT_T0_E_clISt17integral_constantIbLb1EES13_EEDaSY_SZ_EUlSY_E_NS1_11comp_targetILNS1_3genE8ELNS1_11target_archE1030ELNS1_3gpuE2ELNS1_3repE0EEENS1_30default_config_static_selectorELNS0_4arch9wavefront6targetE0EEEvT1_.has_recursion, 0
	.set _ZN7rocprim17ROCPRIM_400000_NS6detail17trampoline_kernelINS0_14default_configENS1_27scan_by_key_config_selectorIiiEEZZNS1_16scan_by_key_implILNS1_25lookback_scan_determinismE0ELb1ES3_N6thrust23THRUST_200600_302600_NS6detail15normal_iteratorINS9_10device_ptrIiEEEENSB_INSC_IjEEEENSB_INSC_IfEEEEiNS9_4plusIvEENS9_8equal_toIvEEiEE10hipError_tPvRmT2_T3_T4_T5_mT6_T7_P12ihipStream_tbENKUlT_T0_E_clISt17integral_constantIbLb1EES13_EEDaSY_SZ_EUlSY_E_NS1_11comp_targetILNS1_3genE8ELNS1_11target_archE1030ELNS1_3gpuE2ELNS1_3repE0EEENS1_30default_config_static_selectorELNS0_4arch9wavefront6targetE0EEEvT1_.has_indirect_call, 0
	.section	.AMDGPU.csdata,"",@progbits
; Kernel info:
; codeLenInByte = 4
; TotalNumSgprs: 0
; NumVgprs: 0
; ScratchSize: 0
; MemoryBound: 0
; FloatMode: 240
; IeeeMode: 1
; LDSByteSize: 0 bytes/workgroup (compile time only)
; SGPRBlocks: 0
; VGPRBlocks: 0
; NumSGPRsForWavesPerEU: 1
; NumVGPRsForWavesPerEU: 1
; Occupancy: 16
; WaveLimiterHint : 0
; COMPUTE_PGM_RSRC2:SCRATCH_EN: 0
; COMPUTE_PGM_RSRC2:USER_SGPR: 6
; COMPUTE_PGM_RSRC2:TRAP_HANDLER: 0
; COMPUTE_PGM_RSRC2:TGID_X_EN: 1
; COMPUTE_PGM_RSRC2:TGID_Y_EN: 0
; COMPUTE_PGM_RSRC2:TGID_Z_EN: 0
; COMPUTE_PGM_RSRC2:TIDIG_COMP_CNT: 0
	.section	.text._ZN7rocprim17ROCPRIM_400000_NS6detail17trampoline_kernelINS0_14default_configENS1_27scan_by_key_config_selectorIiiEEZZNS1_16scan_by_key_implILNS1_25lookback_scan_determinismE0ELb1ES3_N6thrust23THRUST_200600_302600_NS6detail15normal_iteratorINS9_10device_ptrIiEEEENSB_INSC_IjEEEENSB_INSC_IfEEEEiNS9_4plusIvEENS9_8equal_toIvEEiEE10hipError_tPvRmT2_T3_T4_T5_mT6_T7_P12ihipStream_tbENKUlT_T0_E_clISt17integral_constantIbLb1EES12_IbLb0EEEEDaSY_SZ_EUlSY_E_NS1_11comp_targetILNS1_3genE0ELNS1_11target_archE4294967295ELNS1_3gpuE0ELNS1_3repE0EEENS1_30default_config_static_selectorELNS0_4arch9wavefront6targetE0EEEvT1_,"axG",@progbits,_ZN7rocprim17ROCPRIM_400000_NS6detail17trampoline_kernelINS0_14default_configENS1_27scan_by_key_config_selectorIiiEEZZNS1_16scan_by_key_implILNS1_25lookback_scan_determinismE0ELb1ES3_N6thrust23THRUST_200600_302600_NS6detail15normal_iteratorINS9_10device_ptrIiEEEENSB_INSC_IjEEEENSB_INSC_IfEEEEiNS9_4plusIvEENS9_8equal_toIvEEiEE10hipError_tPvRmT2_T3_T4_T5_mT6_T7_P12ihipStream_tbENKUlT_T0_E_clISt17integral_constantIbLb1EES12_IbLb0EEEEDaSY_SZ_EUlSY_E_NS1_11comp_targetILNS1_3genE0ELNS1_11target_archE4294967295ELNS1_3gpuE0ELNS1_3repE0EEENS1_30default_config_static_selectorELNS0_4arch9wavefront6targetE0EEEvT1_,comdat
	.protected	_ZN7rocprim17ROCPRIM_400000_NS6detail17trampoline_kernelINS0_14default_configENS1_27scan_by_key_config_selectorIiiEEZZNS1_16scan_by_key_implILNS1_25lookback_scan_determinismE0ELb1ES3_N6thrust23THRUST_200600_302600_NS6detail15normal_iteratorINS9_10device_ptrIiEEEENSB_INSC_IjEEEENSB_INSC_IfEEEEiNS9_4plusIvEENS9_8equal_toIvEEiEE10hipError_tPvRmT2_T3_T4_T5_mT6_T7_P12ihipStream_tbENKUlT_T0_E_clISt17integral_constantIbLb1EES12_IbLb0EEEEDaSY_SZ_EUlSY_E_NS1_11comp_targetILNS1_3genE0ELNS1_11target_archE4294967295ELNS1_3gpuE0ELNS1_3repE0EEENS1_30default_config_static_selectorELNS0_4arch9wavefront6targetE0EEEvT1_ ; -- Begin function _ZN7rocprim17ROCPRIM_400000_NS6detail17trampoline_kernelINS0_14default_configENS1_27scan_by_key_config_selectorIiiEEZZNS1_16scan_by_key_implILNS1_25lookback_scan_determinismE0ELb1ES3_N6thrust23THRUST_200600_302600_NS6detail15normal_iteratorINS9_10device_ptrIiEEEENSB_INSC_IjEEEENSB_INSC_IfEEEEiNS9_4plusIvEENS9_8equal_toIvEEiEE10hipError_tPvRmT2_T3_T4_T5_mT6_T7_P12ihipStream_tbENKUlT_T0_E_clISt17integral_constantIbLb1EES12_IbLb0EEEEDaSY_SZ_EUlSY_E_NS1_11comp_targetILNS1_3genE0ELNS1_11target_archE4294967295ELNS1_3gpuE0ELNS1_3repE0EEENS1_30default_config_static_selectorELNS0_4arch9wavefront6targetE0EEEvT1_
	.globl	_ZN7rocprim17ROCPRIM_400000_NS6detail17trampoline_kernelINS0_14default_configENS1_27scan_by_key_config_selectorIiiEEZZNS1_16scan_by_key_implILNS1_25lookback_scan_determinismE0ELb1ES3_N6thrust23THRUST_200600_302600_NS6detail15normal_iteratorINS9_10device_ptrIiEEEENSB_INSC_IjEEEENSB_INSC_IfEEEEiNS9_4plusIvEENS9_8equal_toIvEEiEE10hipError_tPvRmT2_T3_T4_T5_mT6_T7_P12ihipStream_tbENKUlT_T0_E_clISt17integral_constantIbLb1EES12_IbLb0EEEEDaSY_SZ_EUlSY_E_NS1_11comp_targetILNS1_3genE0ELNS1_11target_archE4294967295ELNS1_3gpuE0ELNS1_3repE0EEENS1_30default_config_static_selectorELNS0_4arch9wavefront6targetE0EEEvT1_
	.p2align	8
	.type	_ZN7rocprim17ROCPRIM_400000_NS6detail17trampoline_kernelINS0_14default_configENS1_27scan_by_key_config_selectorIiiEEZZNS1_16scan_by_key_implILNS1_25lookback_scan_determinismE0ELb1ES3_N6thrust23THRUST_200600_302600_NS6detail15normal_iteratorINS9_10device_ptrIiEEEENSB_INSC_IjEEEENSB_INSC_IfEEEEiNS9_4plusIvEENS9_8equal_toIvEEiEE10hipError_tPvRmT2_T3_T4_T5_mT6_T7_P12ihipStream_tbENKUlT_T0_E_clISt17integral_constantIbLb1EES12_IbLb0EEEEDaSY_SZ_EUlSY_E_NS1_11comp_targetILNS1_3genE0ELNS1_11target_archE4294967295ELNS1_3gpuE0ELNS1_3repE0EEENS1_30default_config_static_selectorELNS0_4arch9wavefront6targetE0EEEvT1_,@function
_ZN7rocprim17ROCPRIM_400000_NS6detail17trampoline_kernelINS0_14default_configENS1_27scan_by_key_config_selectorIiiEEZZNS1_16scan_by_key_implILNS1_25lookback_scan_determinismE0ELb1ES3_N6thrust23THRUST_200600_302600_NS6detail15normal_iteratorINS9_10device_ptrIiEEEENSB_INSC_IjEEEENSB_INSC_IfEEEEiNS9_4plusIvEENS9_8equal_toIvEEiEE10hipError_tPvRmT2_T3_T4_T5_mT6_T7_P12ihipStream_tbENKUlT_T0_E_clISt17integral_constantIbLb1EES12_IbLb0EEEEDaSY_SZ_EUlSY_E_NS1_11comp_targetILNS1_3genE0ELNS1_11target_archE4294967295ELNS1_3gpuE0ELNS1_3repE0EEENS1_30default_config_static_selectorELNS0_4arch9wavefront6targetE0EEEvT1_: ; @_ZN7rocprim17ROCPRIM_400000_NS6detail17trampoline_kernelINS0_14default_configENS1_27scan_by_key_config_selectorIiiEEZZNS1_16scan_by_key_implILNS1_25lookback_scan_determinismE0ELb1ES3_N6thrust23THRUST_200600_302600_NS6detail15normal_iteratorINS9_10device_ptrIiEEEENSB_INSC_IjEEEENSB_INSC_IfEEEEiNS9_4plusIvEENS9_8equal_toIvEEiEE10hipError_tPvRmT2_T3_T4_T5_mT6_T7_P12ihipStream_tbENKUlT_T0_E_clISt17integral_constantIbLb1EES12_IbLb0EEEEDaSY_SZ_EUlSY_E_NS1_11comp_targetILNS1_3genE0ELNS1_11target_archE4294967295ELNS1_3gpuE0ELNS1_3repE0EEENS1_30default_config_static_selectorELNS0_4arch9wavefront6targetE0EEEvT1_
; %bb.0:
	.section	.rodata,"a",@progbits
	.p2align	6, 0x0
	.amdhsa_kernel _ZN7rocprim17ROCPRIM_400000_NS6detail17trampoline_kernelINS0_14default_configENS1_27scan_by_key_config_selectorIiiEEZZNS1_16scan_by_key_implILNS1_25lookback_scan_determinismE0ELb1ES3_N6thrust23THRUST_200600_302600_NS6detail15normal_iteratorINS9_10device_ptrIiEEEENSB_INSC_IjEEEENSB_INSC_IfEEEEiNS9_4plusIvEENS9_8equal_toIvEEiEE10hipError_tPvRmT2_T3_T4_T5_mT6_T7_P12ihipStream_tbENKUlT_T0_E_clISt17integral_constantIbLb1EES12_IbLb0EEEEDaSY_SZ_EUlSY_E_NS1_11comp_targetILNS1_3genE0ELNS1_11target_archE4294967295ELNS1_3gpuE0ELNS1_3repE0EEENS1_30default_config_static_selectorELNS0_4arch9wavefront6targetE0EEEvT1_
		.amdhsa_group_segment_fixed_size 0
		.amdhsa_private_segment_fixed_size 0
		.amdhsa_kernarg_size 112
		.amdhsa_user_sgpr_count 6
		.amdhsa_user_sgpr_private_segment_buffer 1
		.amdhsa_user_sgpr_dispatch_ptr 0
		.amdhsa_user_sgpr_queue_ptr 0
		.amdhsa_user_sgpr_kernarg_segment_ptr 1
		.amdhsa_user_sgpr_dispatch_id 0
		.amdhsa_user_sgpr_flat_scratch_init 0
		.amdhsa_user_sgpr_private_segment_size 0
		.amdhsa_wavefront_size32 1
		.amdhsa_uses_dynamic_stack 0
		.amdhsa_system_sgpr_private_segment_wavefront_offset 0
		.amdhsa_system_sgpr_workgroup_id_x 1
		.amdhsa_system_sgpr_workgroup_id_y 0
		.amdhsa_system_sgpr_workgroup_id_z 0
		.amdhsa_system_sgpr_workgroup_info 0
		.amdhsa_system_vgpr_workitem_id 0
		.amdhsa_next_free_vgpr 1
		.amdhsa_next_free_sgpr 1
		.amdhsa_reserve_vcc 0
		.amdhsa_reserve_flat_scratch 0
		.amdhsa_float_round_mode_32 0
		.amdhsa_float_round_mode_16_64 0
		.amdhsa_float_denorm_mode_32 3
		.amdhsa_float_denorm_mode_16_64 3
		.amdhsa_dx10_clamp 1
		.amdhsa_ieee_mode 1
		.amdhsa_fp16_overflow 0
		.amdhsa_workgroup_processor_mode 1
		.amdhsa_memory_ordered 1
		.amdhsa_forward_progress 1
		.amdhsa_shared_vgpr_count 0
		.amdhsa_exception_fp_ieee_invalid_op 0
		.amdhsa_exception_fp_denorm_src 0
		.amdhsa_exception_fp_ieee_div_zero 0
		.amdhsa_exception_fp_ieee_overflow 0
		.amdhsa_exception_fp_ieee_underflow 0
		.amdhsa_exception_fp_ieee_inexact 0
		.amdhsa_exception_int_div_zero 0
	.end_amdhsa_kernel
	.section	.text._ZN7rocprim17ROCPRIM_400000_NS6detail17trampoline_kernelINS0_14default_configENS1_27scan_by_key_config_selectorIiiEEZZNS1_16scan_by_key_implILNS1_25lookback_scan_determinismE0ELb1ES3_N6thrust23THRUST_200600_302600_NS6detail15normal_iteratorINS9_10device_ptrIiEEEENSB_INSC_IjEEEENSB_INSC_IfEEEEiNS9_4plusIvEENS9_8equal_toIvEEiEE10hipError_tPvRmT2_T3_T4_T5_mT6_T7_P12ihipStream_tbENKUlT_T0_E_clISt17integral_constantIbLb1EES12_IbLb0EEEEDaSY_SZ_EUlSY_E_NS1_11comp_targetILNS1_3genE0ELNS1_11target_archE4294967295ELNS1_3gpuE0ELNS1_3repE0EEENS1_30default_config_static_selectorELNS0_4arch9wavefront6targetE0EEEvT1_,"axG",@progbits,_ZN7rocprim17ROCPRIM_400000_NS6detail17trampoline_kernelINS0_14default_configENS1_27scan_by_key_config_selectorIiiEEZZNS1_16scan_by_key_implILNS1_25lookback_scan_determinismE0ELb1ES3_N6thrust23THRUST_200600_302600_NS6detail15normal_iteratorINS9_10device_ptrIiEEEENSB_INSC_IjEEEENSB_INSC_IfEEEEiNS9_4plusIvEENS9_8equal_toIvEEiEE10hipError_tPvRmT2_T3_T4_T5_mT6_T7_P12ihipStream_tbENKUlT_T0_E_clISt17integral_constantIbLb1EES12_IbLb0EEEEDaSY_SZ_EUlSY_E_NS1_11comp_targetILNS1_3genE0ELNS1_11target_archE4294967295ELNS1_3gpuE0ELNS1_3repE0EEENS1_30default_config_static_selectorELNS0_4arch9wavefront6targetE0EEEvT1_,comdat
.Lfunc_end1734:
	.size	_ZN7rocprim17ROCPRIM_400000_NS6detail17trampoline_kernelINS0_14default_configENS1_27scan_by_key_config_selectorIiiEEZZNS1_16scan_by_key_implILNS1_25lookback_scan_determinismE0ELb1ES3_N6thrust23THRUST_200600_302600_NS6detail15normal_iteratorINS9_10device_ptrIiEEEENSB_INSC_IjEEEENSB_INSC_IfEEEEiNS9_4plusIvEENS9_8equal_toIvEEiEE10hipError_tPvRmT2_T3_T4_T5_mT6_T7_P12ihipStream_tbENKUlT_T0_E_clISt17integral_constantIbLb1EES12_IbLb0EEEEDaSY_SZ_EUlSY_E_NS1_11comp_targetILNS1_3genE0ELNS1_11target_archE4294967295ELNS1_3gpuE0ELNS1_3repE0EEENS1_30default_config_static_selectorELNS0_4arch9wavefront6targetE0EEEvT1_, .Lfunc_end1734-_ZN7rocprim17ROCPRIM_400000_NS6detail17trampoline_kernelINS0_14default_configENS1_27scan_by_key_config_selectorIiiEEZZNS1_16scan_by_key_implILNS1_25lookback_scan_determinismE0ELb1ES3_N6thrust23THRUST_200600_302600_NS6detail15normal_iteratorINS9_10device_ptrIiEEEENSB_INSC_IjEEEENSB_INSC_IfEEEEiNS9_4plusIvEENS9_8equal_toIvEEiEE10hipError_tPvRmT2_T3_T4_T5_mT6_T7_P12ihipStream_tbENKUlT_T0_E_clISt17integral_constantIbLb1EES12_IbLb0EEEEDaSY_SZ_EUlSY_E_NS1_11comp_targetILNS1_3genE0ELNS1_11target_archE4294967295ELNS1_3gpuE0ELNS1_3repE0EEENS1_30default_config_static_selectorELNS0_4arch9wavefront6targetE0EEEvT1_
                                        ; -- End function
	.set _ZN7rocprim17ROCPRIM_400000_NS6detail17trampoline_kernelINS0_14default_configENS1_27scan_by_key_config_selectorIiiEEZZNS1_16scan_by_key_implILNS1_25lookback_scan_determinismE0ELb1ES3_N6thrust23THRUST_200600_302600_NS6detail15normal_iteratorINS9_10device_ptrIiEEEENSB_INSC_IjEEEENSB_INSC_IfEEEEiNS9_4plusIvEENS9_8equal_toIvEEiEE10hipError_tPvRmT2_T3_T4_T5_mT6_T7_P12ihipStream_tbENKUlT_T0_E_clISt17integral_constantIbLb1EES12_IbLb0EEEEDaSY_SZ_EUlSY_E_NS1_11comp_targetILNS1_3genE0ELNS1_11target_archE4294967295ELNS1_3gpuE0ELNS1_3repE0EEENS1_30default_config_static_selectorELNS0_4arch9wavefront6targetE0EEEvT1_.num_vgpr, 0
	.set _ZN7rocprim17ROCPRIM_400000_NS6detail17trampoline_kernelINS0_14default_configENS1_27scan_by_key_config_selectorIiiEEZZNS1_16scan_by_key_implILNS1_25lookback_scan_determinismE0ELb1ES3_N6thrust23THRUST_200600_302600_NS6detail15normal_iteratorINS9_10device_ptrIiEEEENSB_INSC_IjEEEENSB_INSC_IfEEEEiNS9_4plusIvEENS9_8equal_toIvEEiEE10hipError_tPvRmT2_T3_T4_T5_mT6_T7_P12ihipStream_tbENKUlT_T0_E_clISt17integral_constantIbLb1EES12_IbLb0EEEEDaSY_SZ_EUlSY_E_NS1_11comp_targetILNS1_3genE0ELNS1_11target_archE4294967295ELNS1_3gpuE0ELNS1_3repE0EEENS1_30default_config_static_selectorELNS0_4arch9wavefront6targetE0EEEvT1_.num_agpr, 0
	.set _ZN7rocprim17ROCPRIM_400000_NS6detail17trampoline_kernelINS0_14default_configENS1_27scan_by_key_config_selectorIiiEEZZNS1_16scan_by_key_implILNS1_25lookback_scan_determinismE0ELb1ES3_N6thrust23THRUST_200600_302600_NS6detail15normal_iteratorINS9_10device_ptrIiEEEENSB_INSC_IjEEEENSB_INSC_IfEEEEiNS9_4plusIvEENS9_8equal_toIvEEiEE10hipError_tPvRmT2_T3_T4_T5_mT6_T7_P12ihipStream_tbENKUlT_T0_E_clISt17integral_constantIbLb1EES12_IbLb0EEEEDaSY_SZ_EUlSY_E_NS1_11comp_targetILNS1_3genE0ELNS1_11target_archE4294967295ELNS1_3gpuE0ELNS1_3repE0EEENS1_30default_config_static_selectorELNS0_4arch9wavefront6targetE0EEEvT1_.numbered_sgpr, 0
	.set _ZN7rocprim17ROCPRIM_400000_NS6detail17trampoline_kernelINS0_14default_configENS1_27scan_by_key_config_selectorIiiEEZZNS1_16scan_by_key_implILNS1_25lookback_scan_determinismE0ELb1ES3_N6thrust23THRUST_200600_302600_NS6detail15normal_iteratorINS9_10device_ptrIiEEEENSB_INSC_IjEEEENSB_INSC_IfEEEEiNS9_4plusIvEENS9_8equal_toIvEEiEE10hipError_tPvRmT2_T3_T4_T5_mT6_T7_P12ihipStream_tbENKUlT_T0_E_clISt17integral_constantIbLb1EES12_IbLb0EEEEDaSY_SZ_EUlSY_E_NS1_11comp_targetILNS1_3genE0ELNS1_11target_archE4294967295ELNS1_3gpuE0ELNS1_3repE0EEENS1_30default_config_static_selectorELNS0_4arch9wavefront6targetE0EEEvT1_.num_named_barrier, 0
	.set _ZN7rocprim17ROCPRIM_400000_NS6detail17trampoline_kernelINS0_14default_configENS1_27scan_by_key_config_selectorIiiEEZZNS1_16scan_by_key_implILNS1_25lookback_scan_determinismE0ELb1ES3_N6thrust23THRUST_200600_302600_NS6detail15normal_iteratorINS9_10device_ptrIiEEEENSB_INSC_IjEEEENSB_INSC_IfEEEEiNS9_4plusIvEENS9_8equal_toIvEEiEE10hipError_tPvRmT2_T3_T4_T5_mT6_T7_P12ihipStream_tbENKUlT_T0_E_clISt17integral_constantIbLb1EES12_IbLb0EEEEDaSY_SZ_EUlSY_E_NS1_11comp_targetILNS1_3genE0ELNS1_11target_archE4294967295ELNS1_3gpuE0ELNS1_3repE0EEENS1_30default_config_static_selectorELNS0_4arch9wavefront6targetE0EEEvT1_.private_seg_size, 0
	.set _ZN7rocprim17ROCPRIM_400000_NS6detail17trampoline_kernelINS0_14default_configENS1_27scan_by_key_config_selectorIiiEEZZNS1_16scan_by_key_implILNS1_25lookback_scan_determinismE0ELb1ES3_N6thrust23THRUST_200600_302600_NS6detail15normal_iteratorINS9_10device_ptrIiEEEENSB_INSC_IjEEEENSB_INSC_IfEEEEiNS9_4plusIvEENS9_8equal_toIvEEiEE10hipError_tPvRmT2_T3_T4_T5_mT6_T7_P12ihipStream_tbENKUlT_T0_E_clISt17integral_constantIbLb1EES12_IbLb0EEEEDaSY_SZ_EUlSY_E_NS1_11comp_targetILNS1_3genE0ELNS1_11target_archE4294967295ELNS1_3gpuE0ELNS1_3repE0EEENS1_30default_config_static_selectorELNS0_4arch9wavefront6targetE0EEEvT1_.uses_vcc, 0
	.set _ZN7rocprim17ROCPRIM_400000_NS6detail17trampoline_kernelINS0_14default_configENS1_27scan_by_key_config_selectorIiiEEZZNS1_16scan_by_key_implILNS1_25lookback_scan_determinismE0ELb1ES3_N6thrust23THRUST_200600_302600_NS6detail15normal_iteratorINS9_10device_ptrIiEEEENSB_INSC_IjEEEENSB_INSC_IfEEEEiNS9_4plusIvEENS9_8equal_toIvEEiEE10hipError_tPvRmT2_T3_T4_T5_mT6_T7_P12ihipStream_tbENKUlT_T0_E_clISt17integral_constantIbLb1EES12_IbLb0EEEEDaSY_SZ_EUlSY_E_NS1_11comp_targetILNS1_3genE0ELNS1_11target_archE4294967295ELNS1_3gpuE0ELNS1_3repE0EEENS1_30default_config_static_selectorELNS0_4arch9wavefront6targetE0EEEvT1_.uses_flat_scratch, 0
	.set _ZN7rocprim17ROCPRIM_400000_NS6detail17trampoline_kernelINS0_14default_configENS1_27scan_by_key_config_selectorIiiEEZZNS1_16scan_by_key_implILNS1_25lookback_scan_determinismE0ELb1ES3_N6thrust23THRUST_200600_302600_NS6detail15normal_iteratorINS9_10device_ptrIiEEEENSB_INSC_IjEEEENSB_INSC_IfEEEEiNS9_4plusIvEENS9_8equal_toIvEEiEE10hipError_tPvRmT2_T3_T4_T5_mT6_T7_P12ihipStream_tbENKUlT_T0_E_clISt17integral_constantIbLb1EES12_IbLb0EEEEDaSY_SZ_EUlSY_E_NS1_11comp_targetILNS1_3genE0ELNS1_11target_archE4294967295ELNS1_3gpuE0ELNS1_3repE0EEENS1_30default_config_static_selectorELNS0_4arch9wavefront6targetE0EEEvT1_.has_dyn_sized_stack, 0
	.set _ZN7rocprim17ROCPRIM_400000_NS6detail17trampoline_kernelINS0_14default_configENS1_27scan_by_key_config_selectorIiiEEZZNS1_16scan_by_key_implILNS1_25lookback_scan_determinismE0ELb1ES3_N6thrust23THRUST_200600_302600_NS6detail15normal_iteratorINS9_10device_ptrIiEEEENSB_INSC_IjEEEENSB_INSC_IfEEEEiNS9_4plusIvEENS9_8equal_toIvEEiEE10hipError_tPvRmT2_T3_T4_T5_mT6_T7_P12ihipStream_tbENKUlT_T0_E_clISt17integral_constantIbLb1EES12_IbLb0EEEEDaSY_SZ_EUlSY_E_NS1_11comp_targetILNS1_3genE0ELNS1_11target_archE4294967295ELNS1_3gpuE0ELNS1_3repE0EEENS1_30default_config_static_selectorELNS0_4arch9wavefront6targetE0EEEvT1_.has_recursion, 0
	.set _ZN7rocprim17ROCPRIM_400000_NS6detail17trampoline_kernelINS0_14default_configENS1_27scan_by_key_config_selectorIiiEEZZNS1_16scan_by_key_implILNS1_25lookback_scan_determinismE0ELb1ES3_N6thrust23THRUST_200600_302600_NS6detail15normal_iteratorINS9_10device_ptrIiEEEENSB_INSC_IjEEEENSB_INSC_IfEEEEiNS9_4plusIvEENS9_8equal_toIvEEiEE10hipError_tPvRmT2_T3_T4_T5_mT6_T7_P12ihipStream_tbENKUlT_T0_E_clISt17integral_constantIbLb1EES12_IbLb0EEEEDaSY_SZ_EUlSY_E_NS1_11comp_targetILNS1_3genE0ELNS1_11target_archE4294967295ELNS1_3gpuE0ELNS1_3repE0EEENS1_30default_config_static_selectorELNS0_4arch9wavefront6targetE0EEEvT1_.has_indirect_call, 0
	.section	.AMDGPU.csdata,"",@progbits
; Kernel info:
; codeLenInByte = 0
; TotalNumSgprs: 0
; NumVgprs: 0
; ScratchSize: 0
; MemoryBound: 0
; FloatMode: 240
; IeeeMode: 1
; LDSByteSize: 0 bytes/workgroup (compile time only)
; SGPRBlocks: 0
; VGPRBlocks: 0
; NumSGPRsForWavesPerEU: 1
; NumVGPRsForWavesPerEU: 1
; Occupancy: 16
; WaveLimiterHint : 0
; COMPUTE_PGM_RSRC2:SCRATCH_EN: 0
; COMPUTE_PGM_RSRC2:USER_SGPR: 6
; COMPUTE_PGM_RSRC2:TRAP_HANDLER: 0
; COMPUTE_PGM_RSRC2:TGID_X_EN: 1
; COMPUTE_PGM_RSRC2:TGID_Y_EN: 0
; COMPUTE_PGM_RSRC2:TGID_Z_EN: 0
; COMPUTE_PGM_RSRC2:TIDIG_COMP_CNT: 0
	.section	.text._ZN7rocprim17ROCPRIM_400000_NS6detail17trampoline_kernelINS0_14default_configENS1_27scan_by_key_config_selectorIiiEEZZNS1_16scan_by_key_implILNS1_25lookback_scan_determinismE0ELb1ES3_N6thrust23THRUST_200600_302600_NS6detail15normal_iteratorINS9_10device_ptrIiEEEENSB_INSC_IjEEEENSB_INSC_IfEEEEiNS9_4plusIvEENS9_8equal_toIvEEiEE10hipError_tPvRmT2_T3_T4_T5_mT6_T7_P12ihipStream_tbENKUlT_T0_E_clISt17integral_constantIbLb1EES12_IbLb0EEEEDaSY_SZ_EUlSY_E_NS1_11comp_targetILNS1_3genE10ELNS1_11target_archE1201ELNS1_3gpuE5ELNS1_3repE0EEENS1_30default_config_static_selectorELNS0_4arch9wavefront6targetE0EEEvT1_,"axG",@progbits,_ZN7rocprim17ROCPRIM_400000_NS6detail17trampoline_kernelINS0_14default_configENS1_27scan_by_key_config_selectorIiiEEZZNS1_16scan_by_key_implILNS1_25lookback_scan_determinismE0ELb1ES3_N6thrust23THRUST_200600_302600_NS6detail15normal_iteratorINS9_10device_ptrIiEEEENSB_INSC_IjEEEENSB_INSC_IfEEEEiNS9_4plusIvEENS9_8equal_toIvEEiEE10hipError_tPvRmT2_T3_T4_T5_mT6_T7_P12ihipStream_tbENKUlT_T0_E_clISt17integral_constantIbLb1EES12_IbLb0EEEEDaSY_SZ_EUlSY_E_NS1_11comp_targetILNS1_3genE10ELNS1_11target_archE1201ELNS1_3gpuE5ELNS1_3repE0EEENS1_30default_config_static_selectorELNS0_4arch9wavefront6targetE0EEEvT1_,comdat
	.protected	_ZN7rocprim17ROCPRIM_400000_NS6detail17trampoline_kernelINS0_14default_configENS1_27scan_by_key_config_selectorIiiEEZZNS1_16scan_by_key_implILNS1_25lookback_scan_determinismE0ELb1ES3_N6thrust23THRUST_200600_302600_NS6detail15normal_iteratorINS9_10device_ptrIiEEEENSB_INSC_IjEEEENSB_INSC_IfEEEEiNS9_4plusIvEENS9_8equal_toIvEEiEE10hipError_tPvRmT2_T3_T4_T5_mT6_T7_P12ihipStream_tbENKUlT_T0_E_clISt17integral_constantIbLb1EES12_IbLb0EEEEDaSY_SZ_EUlSY_E_NS1_11comp_targetILNS1_3genE10ELNS1_11target_archE1201ELNS1_3gpuE5ELNS1_3repE0EEENS1_30default_config_static_selectorELNS0_4arch9wavefront6targetE0EEEvT1_ ; -- Begin function _ZN7rocprim17ROCPRIM_400000_NS6detail17trampoline_kernelINS0_14default_configENS1_27scan_by_key_config_selectorIiiEEZZNS1_16scan_by_key_implILNS1_25lookback_scan_determinismE0ELb1ES3_N6thrust23THRUST_200600_302600_NS6detail15normal_iteratorINS9_10device_ptrIiEEEENSB_INSC_IjEEEENSB_INSC_IfEEEEiNS9_4plusIvEENS9_8equal_toIvEEiEE10hipError_tPvRmT2_T3_T4_T5_mT6_T7_P12ihipStream_tbENKUlT_T0_E_clISt17integral_constantIbLb1EES12_IbLb0EEEEDaSY_SZ_EUlSY_E_NS1_11comp_targetILNS1_3genE10ELNS1_11target_archE1201ELNS1_3gpuE5ELNS1_3repE0EEENS1_30default_config_static_selectorELNS0_4arch9wavefront6targetE0EEEvT1_
	.globl	_ZN7rocprim17ROCPRIM_400000_NS6detail17trampoline_kernelINS0_14default_configENS1_27scan_by_key_config_selectorIiiEEZZNS1_16scan_by_key_implILNS1_25lookback_scan_determinismE0ELb1ES3_N6thrust23THRUST_200600_302600_NS6detail15normal_iteratorINS9_10device_ptrIiEEEENSB_INSC_IjEEEENSB_INSC_IfEEEEiNS9_4plusIvEENS9_8equal_toIvEEiEE10hipError_tPvRmT2_T3_T4_T5_mT6_T7_P12ihipStream_tbENKUlT_T0_E_clISt17integral_constantIbLb1EES12_IbLb0EEEEDaSY_SZ_EUlSY_E_NS1_11comp_targetILNS1_3genE10ELNS1_11target_archE1201ELNS1_3gpuE5ELNS1_3repE0EEENS1_30default_config_static_selectorELNS0_4arch9wavefront6targetE0EEEvT1_
	.p2align	8
	.type	_ZN7rocprim17ROCPRIM_400000_NS6detail17trampoline_kernelINS0_14default_configENS1_27scan_by_key_config_selectorIiiEEZZNS1_16scan_by_key_implILNS1_25lookback_scan_determinismE0ELb1ES3_N6thrust23THRUST_200600_302600_NS6detail15normal_iteratorINS9_10device_ptrIiEEEENSB_INSC_IjEEEENSB_INSC_IfEEEEiNS9_4plusIvEENS9_8equal_toIvEEiEE10hipError_tPvRmT2_T3_T4_T5_mT6_T7_P12ihipStream_tbENKUlT_T0_E_clISt17integral_constantIbLb1EES12_IbLb0EEEEDaSY_SZ_EUlSY_E_NS1_11comp_targetILNS1_3genE10ELNS1_11target_archE1201ELNS1_3gpuE5ELNS1_3repE0EEENS1_30default_config_static_selectorELNS0_4arch9wavefront6targetE0EEEvT1_,@function
_ZN7rocprim17ROCPRIM_400000_NS6detail17trampoline_kernelINS0_14default_configENS1_27scan_by_key_config_selectorIiiEEZZNS1_16scan_by_key_implILNS1_25lookback_scan_determinismE0ELb1ES3_N6thrust23THRUST_200600_302600_NS6detail15normal_iteratorINS9_10device_ptrIiEEEENSB_INSC_IjEEEENSB_INSC_IfEEEEiNS9_4plusIvEENS9_8equal_toIvEEiEE10hipError_tPvRmT2_T3_T4_T5_mT6_T7_P12ihipStream_tbENKUlT_T0_E_clISt17integral_constantIbLb1EES12_IbLb0EEEEDaSY_SZ_EUlSY_E_NS1_11comp_targetILNS1_3genE10ELNS1_11target_archE1201ELNS1_3gpuE5ELNS1_3repE0EEENS1_30default_config_static_selectorELNS0_4arch9wavefront6targetE0EEEvT1_: ; @_ZN7rocprim17ROCPRIM_400000_NS6detail17trampoline_kernelINS0_14default_configENS1_27scan_by_key_config_selectorIiiEEZZNS1_16scan_by_key_implILNS1_25lookback_scan_determinismE0ELb1ES3_N6thrust23THRUST_200600_302600_NS6detail15normal_iteratorINS9_10device_ptrIiEEEENSB_INSC_IjEEEENSB_INSC_IfEEEEiNS9_4plusIvEENS9_8equal_toIvEEiEE10hipError_tPvRmT2_T3_T4_T5_mT6_T7_P12ihipStream_tbENKUlT_T0_E_clISt17integral_constantIbLb1EES12_IbLb0EEEEDaSY_SZ_EUlSY_E_NS1_11comp_targetILNS1_3genE10ELNS1_11target_archE1201ELNS1_3gpuE5ELNS1_3repE0EEENS1_30default_config_static_selectorELNS0_4arch9wavefront6targetE0EEEvT1_
; %bb.0:
	.section	.rodata,"a",@progbits
	.p2align	6, 0x0
	.amdhsa_kernel _ZN7rocprim17ROCPRIM_400000_NS6detail17trampoline_kernelINS0_14default_configENS1_27scan_by_key_config_selectorIiiEEZZNS1_16scan_by_key_implILNS1_25lookback_scan_determinismE0ELb1ES3_N6thrust23THRUST_200600_302600_NS6detail15normal_iteratorINS9_10device_ptrIiEEEENSB_INSC_IjEEEENSB_INSC_IfEEEEiNS9_4plusIvEENS9_8equal_toIvEEiEE10hipError_tPvRmT2_T3_T4_T5_mT6_T7_P12ihipStream_tbENKUlT_T0_E_clISt17integral_constantIbLb1EES12_IbLb0EEEEDaSY_SZ_EUlSY_E_NS1_11comp_targetILNS1_3genE10ELNS1_11target_archE1201ELNS1_3gpuE5ELNS1_3repE0EEENS1_30default_config_static_selectorELNS0_4arch9wavefront6targetE0EEEvT1_
		.amdhsa_group_segment_fixed_size 0
		.amdhsa_private_segment_fixed_size 0
		.amdhsa_kernarg_size 112
		.amdhsa_user_sgpr_count 6
		.amdhsa_user_sgpr_private_segment_buffer 1
		.amdhsa_user_sgpr_dispatch_ptr 0
		.amdhsa_user_sgpr_queue_ptr 0
		.amdhsa_user_sgpr_kernarg_segment_ptr 1
		.amdhsa_user_sgpr_dispatch_id 0
		.amdhsa_user_sgpr_flat_scratch_init 0
		.amdhsa_user_sgpr_private_segment_size 0
		.amdhsa_wavefront_size32 1
		.amdhsa_uses_dynamic_stack 0
		.amdhsa_system_sgpr_private_segment_wavefront_offset 0
		.amdhsa_system_sgpr_workgroup_id_x 1
		.amdhsa_system_sgpr_workgroup_id_y 0
		.amdhsa_system_sgpr_workgroup_id_z 0
		.amdhsa_system_sgpr_workgroup_info 0
		.amdhsa_system_vgpr_workitem_id 0
		.amdhsa_next_free_vgpr 1
		.amdhsa_next_free_sgpr 1
		.amdhsa_reserve_vcc 0
		.amdhsa_reserve_flat_scratch 0
		.amdhsa_float_round_mode_32 0
		.amdhsa_float_round_mode_16_64 0
		.amdhsa_float_denorm_mode_32 3
		.amdhsa_float_denorm_mode_16_64 3
		.amdhsa_dx10_clamp 1
		.amdhsa_ieee_mode 1
		.amdhsa_fp16_overflow 0
		.amdhsa_workgroup_processor_mode 1
		.amdhsa_memory_ordered 1
		.amdhsa_forward_progress 1
		.amdhsa_shared_vgpr_count 0
		.amdhsa_exception_fp_ieee_invalid_op 0
		.amdhsa_exception_fp_denorm_src 0
		.amdhsa_exception_fp_ieee_div_zero 0
		.amdhsa_exception_fp_ieee_overflow 0
		.amdhsa_exception_fp_ieee_underflow 0
		.amdhsa_exception_fp_ieee_inexact 0
		.amdhsa_exception_int_div_zero 0
	.end_amdhsa_kernel
	.section	.text._ZN7rocprim17ROCPRIM_400000_NS6detail17trampoline_kernelINS0_14default_configENS1_27scan_by_key_config_selectorIiiEEZZNS1_16scan_by_key_implILNS1_25lookback_scan_determinismE0ELb1ES3_N6thrust23THRUST_200600_302600_NS6detail15normal_iteratorINS9_10device_ptrIiEEEENSB_INSC_IjEEEENSB_INSC_IfEEEEiNS9_4plusIvEENS9_8equal_toIvEEiEE10hipError_tPvRmT2_T3_T4_T5_mT6_T7_P12ihipStream_tbENKUlT_T0_E_clISt17integral_constantIbLb1EES12_IbLb0EEEEDaSY_SZ_EUlSY_E_NS1_11comp_targetILNS1_3genE10ELNS1_11target_archE1201ELNS1_3gpuE5ELNS1_3repE0EEENS1_30default_config_static_selectorELNS0_4arch9wavefront6targetE0EEEvT1_,"axG",@progbits,_ZN7rocprim17ROCPRIM_400000_NS6detail17trampoline_kernelINS0_14default_configENS1_27scan_by_key_config_selectorIiiEEZZNS1_16scan_by_key_implILNS1_25lookback_scan_determinismE0ELb1ES3_N6thrust23THRUST_200600_302600_NS6detail15normal_iteratorINS9_10device_ptrIiEEEENSB_INSC_IjEEEENSB_INSC_IfEEEEiNS9_4plusIvEENS9_8equal_toIvEEiEE10hipError_tPvRmT2_T3_T4_T5_mT6_T7_P12ihipStream_tbENKUlT_T0_E_clISt17integral_constantIbLb1EES12_IbLb0EEEEDaSY_SZ_EUlSY_E_NS1_11comp_targetILNS1_3genE10ELNS1_11target_archE1201ELNS1_3gpuE5ELNS1_3repE0EEENS1_30default_config_static_selectorELNS0_4arch9wavefront6targetE0EEEvT1_,comdat
.Lfunc_end1735:
	.size	_ZN7rocprim17ROCPRIM_400000_NS6detail17trampoline_kernelINS0_14default_configENS1_27scan_by_key_config_selectorIiiEEZZNS1_16scan_by_key_implILNS1_25lookback_scan_determinismE0ELb1ES3_N6thrust23THRUST_200600_302600_NS6detail15normal_iteratorINS9_10device_ptrIiEEEENSB_INSC_IjEEEENSB_INSC_IfEEEEiNS9_4plusIvEENS9_8equal_toIvEEiEE10hipError_tPvRmT2_T3_T4_T5_mT6_T7_P12ihipStream_tbENKUlT_T0_E_clISt17integral_constantIbLb1EES12_IbLb0EEEEDaSY_SZ_EUlSY_E_NS1_11comp_targetILNS1_3genE10ELNS1_11target_archE1201ELNS1_3gpuE5ELNS1_3repE0EEENS1_30default_config_static_selectorELNS0_4arch9wavefront6targetE0EEEvT1_, .Lfunc_end1735-_ZN7rocprim17ROCPRIM_400000_NS6detail17trampoline_kernelINS0_14default_configENS1_27scan_by_key_config_selectorIiiEEZZNS1_16scan_by_key_implILNS1_25lookback_scan_determinismE0ELb1ES3_N6thrust23THRUST_200600_302600_NS6detail15normal_iteratorINS9_10device_ptrIiEEEENSB_INSC_IjEEEENSB_INSC_IfEEEEiNS9_4plusIvEENS9_8equal_toIvEEiEE10hipError_tPvRmT2_T3_T4_T5_mT6_T7_P12ihipStream_tbENKUlT_T0_E_clISt17integral_constantIbLb1EES12_IbLb0EEEEDaSY_SZ_EUlSY_E_NS1_11comp_targetILNS1_3genE10ELNS1_11target_archE1201ELNS1_3gpuE5ELNS1_3repE0EEENS1_30default_config_static_selectorELNS0_4arch9wavefront6targetE0EEEvT1_
                                        ; -- End function
	.set _ZN7rocprim17ROCPRIM_400000_NS6detail17trampoline_kernelINS0_14default_configENS1_27scan_by_key_config_selectorIiiEEZZNS1_16scan_by_key_implILNS1_25lookback_scan_determinismE0ELb1ES3_N6thrust23THRUST_200600_302600_NS6detail15normal_iteratorINS9_10device_ptrIiEEEENSB_INSC_IjEEEENSB_INSC_IfEEEEiNS9_4plusIvEENS9_8equal_toIvEEiEE10hipError_tPvRmT2_T3_T4_T5_mT6_T7_P12ihipStream_tbENKUlT_T0_E_clISt17integral_constantIbLb1EES12_IbLb0EEEEDaSY_SZ_EUlSY_E_NS1_11comp_targetILNS1_3genE10ELNS1_11target_archE1201ELNS1_3gpuE5ELNS1_3repE0EEENS1_30default_config_static_selectorELNS0_4arch9wavefront6targetE0EEEvT1_.num_vgpr, 0
	.set _ZN7rocprim17ROCPRIM_400000_NS6detail17trampoline_kernelINS0_14default_configENS1_27scan_by_key_config_selectorIiiEEZZNS1_16scan_by_key_implILNS1_25lookback_scan_determinismE0ELb1ES3_N6thrust23THRUST_200600_302600_NS6detail15normal_iteratorINS9_10device_ptrIiEEEENSB_INSC_IjEEEENSB_INSC_IfEEEEiNS9_4plusIvEENS9_8equal_toIvEEiEE10hipError_tPvRmT2_T3_T4_T5_mT6_T7_P12ihipStream_tbENKUlT_T0_E_clISt17integral_constantIbLb1EES12_IbLb0EEEEDaSY_SZ_EUlSY_E_NS1_11comp_targetILNS1_3genE10ELNS1_11target_archE1201ELNS1_3gpuE5ELNS1_3repE0EEENS1_30default_config_static_selectorELNS0_4arch9wavefront6targetE0EEEvT1_.num_agpr, 0
	.set _ZN7rocprim17ROCPRIM_400000_NS6detail17trampoline_kernelINS0_14default_configENS1_27scan_by_key_config_selectorIiiEEZZNS1_16scan_by_key_implILNS1_25lookback_scan_determinismE0ELb1ES3_N6thrust23THRUST_200600_302600_NS6detail15normal_iteratorINS9_10device_ptrIiEEEENSB_INSC_IjEEEENSB_INSC_IfEEEEiNS9_4plusIvEENS9_8equal_toIvEEiEE10hipError_tPvRmT2_T3_T4_T5_mT6_T7_P12ihipStream_tbENKUlT_T0_E_clISt17integral_constantIbLb1EES12_IbLb0EEEEDaSY_SZ_EUlSY_E_NS1_11comp_targetILNS1_3genE10ELNS1_11target_archE1201ELNS1_3gpuE5ELNS1_3repE0EEENS1_30default_config_static_selectorELNS0_4arch9wavefront6targetE0EEEvT1_.numbered_sgpr, 0
	.set _ZN7rocprim17ROCPRIM_400000_NS6detail17trampoline_kernelINS0_14default_configENS1_27scan_by_key_config_selectorIiiEEZZNS1_16scan_by_key_implILNS1_25lookback_scan_determinismE0ELb1ES3_N6thrust23THRUST_200600_302600_NS6detail15normal_iteratorINS9_10device_ptrIiEEEENSB_INSC_IjEEEENSB_INSC_IfEEEEiNS9_4plusIvEENS9_8equal_toIvEEiEE10hipError_tPvRmT2_T3_T4_T5_mT6_T7_P12ihipStream_tbENKUlT_T0_E_clISt17integral_constantIbLb1EES12_IbLb0EEEEDaSY_SZ_EUlSY_E_NS1_11comp_targetILNS1_3genE10ELNS1_11target_archE1201ELNS1_3gpuE5ELNS1_3repE0EEENS1_30default_config_static_selectorELNS0_4arch9wavefront6targetE0EEEvT1_.num_named_barrier, 0
	.set _ZN7rocprim17ROCPRIM_400000_NS6detail17trampoline_kernelINS0_14default_configENS1_27scan_by_key_config_selectorIiiEEZZNS1_16scan_by_key_implILNS1_25lookback_scan_determinismE0ELb1ES3_N6thrust23THRUST_200600_302600_NS6detail15normal_iteratorINS9_10device_ptrIiEEEENSB_INSC_IjEEEENSB_INSC_IfEEEEiNS9_4plusIvEENS9_8equal_toIvEEiEE10hipError_tPvRmT2_T3_T4_T5_mT6_T7_P12ihipStream_tbENKUlT_T0_E_clISt17integral_constantIbLb1EES12_IbLb0EEEEDaSY_SZ_EUlSY_E_NS1_11comp_targetILNS1_3genE10ELNS1_11target_archE1201ELNS1_3gpuE5ELNS1_3repE0EEENS1_30default_config_static_selectorELNS0_4arch9wavefront6targetE0EEEvT1_.private_seg_size, 0
	.set _ZN7rocprim17ROCPRIM_400000_NS6detail17trampoline_kernelINS0_14default_configENS1_27scan_by_key_config_selectorIiiEEZZNS1_16scan_by_key_implILNS1_25lookback_scan_determinismE0ELb1ES3_N6thrust23THRUST_200600_302600_NS6detail15normal_iteratorINS9_10device_ptrIiEEEENSB_INSC_IjEEEENSB_INSC_IfEEEEiNS9_4plusIvEENS9_8equal_toIvEEiEE10hipError_tPvRmT2_T3_T4_T5_mT6_T7_P12ihipStream_tbENKUlT_T0_E_clISt17integral_constantIbLb1EES12_IbLb0EEEEDaSY_SZ_EUlSY_E_NS1_11comp_targetILNS1_3genE10ELNS1_11target_archE1201ELNS1_3gpuE5ELNS1_3repE0EEENS1_30default_config_static_selectorELNS0_4arch9wavefront6targetE0EEEvT1_.uses_vcc, 0
	.set _ZN7rocprim17ROCPRIM_400000_NS6detail17trampoline_kernelINS0_14default_configENS1_27scan_by_key_config_selectorIiiEEZZNS1_16scan_by_key_implILNS1_25lookback_scan_determinismE0ELb1ES3_N6thrust23THRUST_200600_302600_NS6detail15normal_iteratorINS9_10device_ptrIiEEEENSB_INSC_IjEEEENSB_INSC_IfEEEEiNS9_4plusIvEENS9_8equal_toIvEEiEE10hipError_tPvRmT2_T3_T4_T5_mT6_T7_P12ihipStream_tbENKUlT_T0_E_clISt17integral_constantIbLb1EES12_IbLb0EEEEDaSY_SZ_EUlSY_E_NS1_11comp_targetILNS1_3genE10ELNS1_11target_archE1201ELNS1_3gpuE5ELNS1_3repE0EEENS1_30default_config_static_selectorELNS0_4arch9wavefront6targetE0EEEvT1_.uses_flat_scratch, 0
	.set _ZN7rocprim17ROCPRIM_400000_NS6detail17trampoline_kernelINS0_14default_configENS1_27scan_by_key_config_selectorIiiEEZZNS1_16scan_by_key_implILNS1_25lookback_scan_determinismE0ELb1ES3_N6thrust23THRUST_200600_302600_NS6detail15normal_iteratorINS9_10device_ptrIiEEEENSB_INSC_IjEEEENSB_INSC_IfEEEEiNS9_4plusIvEENS9_8equal_toIvEEiEE10hipError_tPvRmT2_T3_T4_T5_mT6_T7_P12ihipStream_tbENKUlT_T0_E_clISt17integral_constantIbLb1EES12_IbLb0EEEEDaSY_SZ_EUlSY_E_NS1_11comp_targetILNS1_3genE10ELNS1_11target_archE1201ELNS1_3gpuE5ELNS1_3repE0EEENS1_30default_config_static_selectorELNS0_4arch9wavefront6targetE0EEEvT1_.has_dyn_sized_stack, 0
	.set _ZN7rocprim17ROCPRIM_400000_NS6detail17trampoline_kernelINS0_14default_configENS1_27scan_by_key_config_selectorIiiEEZZNS1_16scan_by_key_implILNS1_25lookback_scan_determinismE0ELb1ES3_N6thrust23THRUST_200600_302600_NS6detail15normal_iteratorINS9_10device_ptrIiEEEENSB_INSC_IjEEEENSB_INSC_IfEEEEiNS9_4plusIvEENS9_8equal_toIvEEiEE10hipError_tPvRmT2_T3_T4_T5_mT6_T7_P12ihipStream_tbENKUlT_T0_E_clISt17integral_constantIbLb1EES12_IbLb0EEEEDaSY_SZ_EUlSY_E_NS1_11comp_targetILNS1_3genE10ELNS1_11target_archE1201ELNS1_3gpuE5ELNS1_3repE0EEENS1_30default_config_static_selectorELNS0_4arch9wavefront6targetE0EEEvT1_.has_recursion, 0
	.set _ZN7rocprim17ROCPRIM_400000_NS6detail17trampoline_kernelINS0_14default_configENS1_27scan_by_key_config_selectorIiiEEZZNS1_16scan_by_key_implILNS1_25lookback_scan_determinismE0ELb1ES3_N6thrust23THRUST_200600_302600_NS6detail15normal_iteratorINS9_10device_ptrIiEEEENSB_INSC_IjEEEENSB_INSC_IfEEEEiNS9_4plusIvEENS9_8equal_toIvEEiEE10hipError_tPvRmT2_T3_T4_T5_mT6_T7_P12ihipStream_tbENKUlT_T0_E_clISt17integral_constantIbLb1EES12_IbLb0EEEEDaSY_SZ_EUlSY_E_NS1_11comp_targetILNS1_3genE10ELNS1_11target_archE1201ELNS1_3gpuE5ELNS1_3repE0EEENS1_30default_config_static_selectorELNS0_4arch9wavefront6targetE0EEEvT1_.has_indirect_call, 0
	.section	.AMDGPU.csdata,"",@progbits
; Kernel info:
; codeLenInByte = 0
; TotalNumSgprs: 0
; NumVgprs: 0
; ScratchSize: 0
; MemoryBound: 0
; FloatMode: 240
; IeeeMode: 1
; LDSByteSize: 0 bytes/workgroup (compile time only)
; SGPRBlocks: 0
; VGPRBlocks: 0
; NumSGPRsForWavesPerEU: 1
; NumVGPRsForWavesPerEU: 1
; Occupancy: 16
; WaveLimiterHint : 0
; COMPUTE_PGM_RSRC2:SCRATCH_EN: 0
; COMPUTE_PGM_RSRC2:USER_SGPR: 6
; COMPUTE_PGM_RSRC2:TRAP_HANDLER: 0
; COMPUTE_PGM_RSRC2:TGID_X_EN: 1
; COMPUTE_PGM_RSRC2:TGID_Y_EN: 0
; COMPUTE_PGM_RSRC2:TGID_Z_EN: 0
; COMPUTE_PGM_RSRC2:TIDIG_COMP_CNT: 0
	.section	.text._ZN7rocprim17ROCPRIM_400000_NS6detail17trampoline_kernelINS0_14default_configENS1_27scan_by_key_config_selectorIiiEEZZNS1_16scan_by_key_implILNS1_25lookback_scan_determinismE0ELb1ES3_N6thrust23THRUST_200600_302600_NS6detail15normal_iteratorINS9_10device_ptrIiEEEENSB_INSC_IjEEEENSB_INSC_IfEEEEiNS9_4plusIvEENS9_8equal_toIvEEiEE10hipError_tPvRmT2_T3_T4_T5_mT6_T7_P12ihipStream_tbENKUlT_T0_E_clISt17integral_constantIbLb1EES12_IbLb0EEEEDaSY_SZ_EUlSY_E_NS1_11comp_targetILNS1_3genE5ELNS1_11target_archE942ELNS1_3gpuE9ELNS1_3repE0EEENS1_30default_config_static_selectorELNS0_4arch9wavefront6targetE0EEEvT1_,"axG",@progbits,_ZN7rocprim17ROCPRIM_400000_NS6detail17trampoline_kernelINS0_14default_configENS1_27scan_by_key_config_selectorIiiEEZZNS1_16scan_by_key_implILNS1_25lookback_scan_determinismE0ELb1ES3_N6thrust23THRUST_200600_302600_NS6detail15normal_iteratorINS9_10device_ptrIiEEEENSB_INSC_IjEEEENSB_INSC_IfEEEEiNS9_4plusIvEENS9_8equal_toIvEEiEE10hipError_tPvRmT2_T3_T4_T5_mT6_T7_P12ihipStream_tbENKUlT_T0_E_clISt17integral_constantIbLb1EES12_IbLb0EEEEDaSY_SZ_EUlSY_E_NS1_11comp_targetILNS1_3genE5ELNS1_11target_archE942ELNS1_3gpuE9ELNS1_3repE0EEENS1_30default_config_static_selectorELNS0_4arch9wavefront6targetE0EEEvT1_,comdat
	.protected	_ZN7rocprim17ROCPRIM_400000_NS6detail17trampoline_kernelINS0_14default_configENS1_27scan_by_key_config_selectorIiiEEZZNS1_16scan_by_key_implILNS1_25lookback_scan_determinismE0ELb1ES3_N6thrust23THRUST_200600_302600_NS6detail15normal_iteratorINS9_10device_ptrIiEEEENSB_INSC_IjEEEENSB_INSC_IfEEEEiNS9_4plusIvEENS9_8equal_toIvEEiEE10hipError_tPvRmT2_T3_T4_T5_mT6_T7_P12ihipStream_tbENKUlT_T0_E_clISt17integral_constantIbLb1EES12_IbLb0EEEEDaSY_SZ_EUlSY_E_NS1_11comp_targetILNS1_3genE5ELNS1_11target_archE942ELNS1_3gpuE9ELNS1_3repE0EEENS1_30default_config_static_selectorELNS0_4arch9wavefront6targetE0EEEvT1_ ; -- Begin function _ZN7rocprim17ROCPRIM_400000_NS6detail17trampoline_kernelINS0_14default_configENS1_27scan_by_key_config_selectorIiiEEZZNS1_16scan_by_key_implILNS1_25lookback_scan_determinismE0ELb1ES3_N6thrust23THRUST_200600_302600_NS6detail15normal_iteratorINS9_10device_ptrIiEEEENSB_INSC_IjEEEENSB_INSC_IfEEEEiNS9_4plusIvEENS9_8equal_toIvEEiEE10hipError_tPvRmT2_T3_T4_T5_mT6_T7_P12ihipStream_tbENKUlT_T0_E_clISt17integral_constantIbLb1EES12_IbLb0EEEEDaSY_SZ_EUlSY_E_NS1_11comp_targetILNS1_3genE5ELNS1_11target_archE942ELNS1_3gpuE9ELNS1_3repE0EEENS1_30default_config_static_selectorELNS0_4arch9wavefront6targetE0EEEvT1_
	.globl	_ZN7rocprim17ROCPRIM_400000_NS6detail17trampoline_kernelINS0_14default_configENS1_27scan_by_key_config_selectorIiiEEZZNS1_16scan_by_key_implILNS1_25lookback_scan_determinismE0ELb1ES3_N6thrust23THRUST_200600_302600_NS6detail15normal_iteratorINS9_10device_ptrIiEEEENSB_INSC_IjEEEENSB_INSC_IfEEEEiNS9_4plusIvEENS9_8equal_toIvEEiEE10hipError_tPvRmT2_T3_T4_T5_mT6_T7_P12ihipStream_tbENKUlT_T0_E_clISt17integral_constantIbLb1EES12_IbLb0EEEEDaSY_SZ_EUlSY_E_NS1_11comp_targetILNS1_3genE5ELNS1_11target_archE942ELNS1_3gpuE9ELNS1_3repE0EEENS1_30default_config_static_selectorELNS0_4arch9wavefront6targetE0EEEvT1_
	.p2align	8
	.type	_ZN7rocprim17ROCPRIM_400000_NS6detail17trampoline_kernelINS0_14default_configENS1_27scan_by_key_config_selectorIiiEEZZNS1_16scan_by_key_implILNS1_25lookback_scan_determinismE0ELb1ES3_N6thrust23THRUST_200600_302600_NS6detail15normal_iteratorINS9_10device_ptrIiEEEENSB_INSC_IjEEEENSB_INSC_IfEEEEiNS9_4plusIvEENS9_8equal_toIvEEiEE10hipError_tPvRmT2_T3_T4_T5_mT6_T7_P12ihipStream_tbENKUlT_T0_E_clISt17integral_constantIbLb1EES12_IbLb0EEEEDaSY_SZ_EUlSY_E_NS1_11comp_targetILNS1_3genE5ELNS1_11target_archE942ELNS1_3gpuE9ELNS1_3repE0EEENS1_30default_config_static_selectorELNS0_4arch9wavefront6targetE0EEEvT1_,@function
_ZN7rocprim17ROCPRIM_400000_NS6detail17trampoline_kernelINS0_14default_configENS1_27scan_by_key_config_selectorIiiEEZZNS1_16scan_by_key_implILNS1_25lookback_scan_determinismE0ELb1ES3_N6thrust23THRUST_200600_302600_NS6detail15normal_iteratorINS9_10device_ptrIiEEEENSB_INSC_IjEEEENSB_INSC_IfEEEEiNS9_4plusIvEENS9_8equal_toIvEEiEE10hipError_tPvRmT2_T3_T4_T5_mT6_T7_P12ihipStream_tbENKUlT_T0_E_clISt17integral_constantIbLb1EES12_IbLb0EEEEDaSY_SZ_EUlSY_E_NS1_11comp_targetILNS1_3genE5ELNS1_11target_archE942ELNS1_3gpuE9ELNS1_3repE0EEENS1_30default_config_static_selectorELNS0_4arch9wavefront6targetE0EEEvT1_: ; @_ZN7rocprim17ROCPRIM_400000_NS6detail17trampoline_kernelINS0_14default_configENS1_27scan_by_key_config_selectorIiiEEZZNS1_16scan_by_key_implILNS1_25lookback_scan_determinismE0ELb1ES3_N6thrust23THRUST_200600_302600_NS6detail15normal_iteratorINS9_10device_ptrIiEEEENSB_INSC_IjEEEENSB_INSC_IfEEEEiNS9_4plusIvEENS9_8equal_toIvEEiEE10hipError_tPvRmT2_T3_T4_T5_mT6_T7_P12ihipStream_tbENKUlT_T0_E_clISt17integral_constantIbLb1EES12_IbLb0EEEEDaSY_SZ_EUlSY_E_NS1_11comp_targetILNS1_3genE5ELNS1_11target_archE942ELNS1_3gpuE9ELNS1_3repE0EEENS1_30default_config_static_selectorELNS0_4arch9wavefront6targetE0EEEvT1_
; %bb.0:
	.section	.rodata,"a",@progbits
	.p2align	6, 0x0
	.amdhsa_kernel _ZN7rocprim17ROCPRIM_400000_NS6detail17trampoline_kernelINS0_14default_configENS1_27scan_by_key_config_selectorIiiEEZZNS1_16scan_by_key_implILNS1_25lookback_scan_determinismE0ELb1ES3_N6thrust23THRUST_200600_302600_NS6detail15normal_iteratorINS9_10device_ptrIiEEEENSB_INSC_IjEEEENSB_INSC_IfEEEEiNS9_4plusIvEENS9_8equal_toIvEEiEE10hipError_tPvRmT2_T3_T4_T5_mT6_T7_P12ihipStream_tbENKUlT_T0_E_clISt17integral_constantIbLb1EES12_IbLb0EEEEDaSY_SZ_EUlSY_E_NS1_11comp_targetILNS1_3genE5ELNS1_11target_archE942ELNS1_3gpuE9ELNS1_3repE0EEENS1_30default_config_static_selectorELNS0_4arch9wavefront6targetE0EEEvT1_
		.amdhsa_group_segment_fixed_size 0
		.amdhsa_private_segment_fixed_size 0
		.amdhsa_kernarg_size 112
		.amdhsa_user_sgpr_count 6
		.amdhsa_user_sgpr_private_segment_buffer 1
		.amdhsa_user_sgpr_dispatch_ptr 0
		.amdhsa_user_sgpr_queue_ptr 0
		.amdhsa_user_sgpr_kernarg_segment_ptr 1
		.amdhsa_user_sgpr_dispatch_id 0
		.amdhsa_user_sgpr_flat_scratch_init 0
		.amdhsa_user_sgpr_private_segment_size 0
		.amdhsa_wavefront_size32 1
		.amdhsa_uses_dynamic_stack 0
		.amdhsa_system_sgpr_private_segment_wavefront_offset 0
		.amdhsa_system_sgpr_workgroup_id_x 1
		.amdhsa_system_sgpr_workgroup_id_y 0
		.amdhsa_system_sgpr_workgroup_id_z 0
		.amdhsa_system_sgpr_workgroup_info 0
		.amdhsa_system_vgpr_workitem_id 0
		.amdhsa_next_free_vgpr 1
		.amdhsa_next_free_sgpr 1
		.amdhsa_reserve_vcc 0
		.amdhsa_reserve_flat_scratch 0
		.amdhsa_float_round_mode_32 0
		.amdhsa_float_round_mode_16_64 0
		.amdhsa_float_denorm_mode_32 3
		.amdhsa_float_denorm_mode_16_64 3
		.amdhsa_dx10_clamp 1
		.amdhsa_ieee_mode 1
		.amdhsa_fp16_overflow 0
		.amdhsa_workgroup_processor_mode 1
		.amdhsa_memory_ordered 1
		.amdhsa_forward_progress 1
		.amdhsa_shared_vgpr_count 0
		.amdhsa_exception_fp_ieee_invalid_op 0
		.amdhsa_exception_fp_denorm_src 0
		.amdhsa_exception_fp_ieee_div_zero 0
		.amdhsa_exception_fp_ieee_overflow 0
		.amdhsa_exception_fp_ieee_underflow 0
		.amdhsa_exception_fp_ieee_inexact 0
		.amdhsa_exception_int_div_zero 0
	.end_amdhsa_kernel
	.section	.text._ZN7rocprim17ROCPRIM_400000_NS6detail17trampoline_kernelINS0_14default_configENS1_27scan_by_key_config_selectorIiiEEZZNS1_16scan_by_key_implILNS1_25lookback_scan_determinismE0ELb1ES3_N6thrust23THRUST_200600_302600_NS6detail15normal_iteratorINS9_10device_ptrIiEEEENSB_INSC_IjEEEENSB_INSC_IfEEEEiNS9_4plusIvEENS9_8equal_toIvEEiEE10hipError_tPvRmT2_T3_T4_T5_mT6_T7_P12ihipStream_tbENKUlT_T0_E_clISt17integral_constantIbLb1EES12_IbLb0EEEEDaSY_SZ_EUlSY_E_NS1_11comp_targetILNS1_3genE5ELNS1_11target_archE942ELNS1_3gpuE9ELNS1_3repE0EEENS1_30default_config_static_selectorELNS0_4arch9wavefront6targetE0EEEvT1_,"axG",@progbits,_ZN7rocprim17ROCPRIM_400000_NS6detail17trampoline_kernelINS0_14default_configENS1_27scan_by_key_config_selectorIiiEEZZNS1_16scan_by_key_implILNS1_25lookback_scan_determinismE0ELb1ES3_N6thrust23THRUST_200600_302600_NS6detail15normal_iteratorINS9_10device_ptrIiEEEENSB_INSC_IjEEEENSB_INSC_IfEEEEiNS9_4plusIvEENS9_8equal_toIvEEiEE10hipError_tPvRmT2_T3_T4_T5_mT6_T7_P12ihipStream_tbENKUlT_T0_E_clISt17integral_constantIbLb1EES12_IbLb0EEEEDaSY_SZ_EUlSY_E_NS1_11comp_targetILNS1_3genE5ELNS1_11target_archE942ELNS1_3gpuE9ELNS1_3repE0EEENS1_30default_config_static_selectorELNS0_4arch9wavefront6targetE0EEEvT1_,comdat
.Lfunc_end1736:
	.size	_ZN7rocprim17ROCPRIM_400000_NS6detail17trampoline_kernelINS0_14default_configENS1_27scan_by_key_config_selectorIiiEEZZNS1_16scan_by_key_implILNS1_25lookback_scan_determinismE0ELb1ES3_N6thrust23THRUST_200600_302600_NS6detail15normal_iteratorINS9_10device_ptrIiEEEENSB_INSC_IjEEEENSB_INSC_IfEEEEiNS9_4plusIvEENS9_8equal_toIvEEiEE10hipError_tPvRmT2_T3_T4_T5_mT6_T7_P12ihipStream_tbENKUlT_T0_E_clISt17integral_constantIbLb1EES12_IbLb0EEEEDaSY_SZ_EUlSY_E_NS1_11comp_targetILNS1_3genE5ELNS1_11target_archE942ELNS1_3gpuE9ELNS1_3repE0EEENS1_30default_config_static_selectorELNS0_4arch9wavefront6targetE0EEEvT1_, .Lfunc_end1736-_ZN7rocprim17ROCPRIM_400000_NS6detail17trampoline_kernelINS0_14default_configENS1_27scan_by_key_config_selectorIiiEEZZNS1_16scan_by_key_implILNS1_25lookback_scan_determinismE0ELb1ES3_N6thrust23THRUST_200600_302600_NS6detail15normal_iteratorINS9_10device_ptrIiEEEENSB_INSC_IjEEEENSB_INSC_IfEEEEiNS9_4plusIvEENS9_8equal_toIvEEiEE10hipError_tPvRmT2_T3_T4_T5_mT6_T7_P12ihipStream_tbENKUlT_T0_E_clISt17integral_constantIbLb1EES12_IbLb0EEEEDaSY_SZ_EUlSY_E_NS1_11comp_targetILNS1_3genE5ELNS1_11target_archE942ELNS1_3gpuE9ELNS1_3repE0EEENS1_30default_config_static_selectorELNS0_4arch9wavefront6targetE0EEEvT1_
                                        ; -- End function
	.set _ZN7rocprim17ROCPRIM_400000_NS6detail17trampoline_kernelINS0_14default_configENS1_27scan_by_key_config_selectorIiiEEZZNS1_16scan_by_key_implILNS1_25lookback_scan_determinismE0ELb1ES3_N6thrust23THRUST_200600_302600_NS6detail15normal_iteratorINS9_10device_ptrIiEEEENSB_INSC_IjEEEENSB_INSC_IfEEEEiNS9_4plusIvEENS9_8equal_toIvEEiEE10hipError_tPvRmT2_T3_T4_T5_mT6_T7_P12ihipStream_tbENKUlT_T0_E_clISt17integral_constantIbLb1EES12_IbLb0EEEEDaSY_SZ_EUlSY_E_NS1_11comp_targetILNS1_3genE5ELNS1_11target_archE942ELNS1_3gpuE9ELNS1_3repE0EEENS1_30default_config_static_selectorELNS0_4arch9wavefront6targetE0EEEvT1_.num_vgpr, 0
	.set _ZN7rocprim17ROCPRIM_400000_NS6detail17trampoline_kernelINS0_14default_configENS1_27scan_by_key_config_selectorIiiEEZZNS1_16scan_by_key_implILNS1_25lookback_scan_determinismE0ELb1ES3_N6thrust23THRUST_200600_302600_NS6detail15normal_iteratorINS9_10device_ptrIiEEEENSB_INSC_IjEEEENSB_INSC_IfEEEEiNS9_4plusIvEENS9_8equal_toIvEEiEE10hipError_tPvRmT2_T3_T4_T5_mT6_T7_P12ihipStream_tbENKUlT_T0_E_clISt17integral_constantIbLb1EES12_IbLb0EEEEDaSY_SZ_EUlSY_E_NS1_11comp_targetILNS1_3genE5ELNS1_11target_archE942ELNS1_3gpuE9ELNS1_3repE0EEENS1_30default_config_static_selectorELNS0_4arch9wavefront6targetE0EEEvT1_.num_agpr, 0
	.set _ZN7rocprim17ROCPRIM_400000_NS6detail17trampoline_kernelINS0_14default_configENS1_27scan_by_key_config_selectorIiiEEZZNS1_16scan_by_key_implILNS1_25lookback_scan_determinismE0ELb1ES3_N6thrust23THRUST_200600_302600_NS6detail15normal_iteratorINS9_10device_ptrIiEEEENSB_INSC_IjEEEENSB_INSC_IfEEEEiNS9_4plusIvEENS9_8equal_toIvEEiEE10hipError_tPvRmT2_T3_T4_T5_mT6_T7_P12ihipStream_tbENKUlT_T0_E_clISt17integral_constantIbLb1EES12_IbLb0EEEEDaSY_SZ_EUlSY_E_NS1_11comp_targetILNS1_3genE5ELNS1_11target_archE942ELNS1_3gpuE9ELNS1_3repE0EEENS1_30default_config_static_selectorELNS0_4arch9wavefront6targetE0EEEvT1_.numbered_sgpr, 0
	.set _ZN7rocprim17ROCPRIM_400000_NS6detail17trampoline_kernelINS0_14default_configENS1_27scan_by_key_config_selectorIiiEEZZNS1_16scan_by_key_implILNS1_25lookback_scan_determinismE0ELb1ES3_N6thrust23THRUST_200600_302600_NS6detail15normal_iteratorINS9_10device_ptrIiEEEENSB_INSC_IjEEEENSB_INSC_IfEEEEiNS9_4plusIvEENS9_8equal_toIvEEiEE10hipError_tPvRmT2_T3_T4_T5_mT6_T7_P12ihipStream_tbENKUlT_T0_E_clISt17integral_constantIbLb1EES12_IbLb0EEEEDaSY_SZ_EUlSY_E_NS1_11comp_targetILNS1_3genE5ELNS1_11target_archE942ELNS1_3gpuE9ELNS1_3repE0EEENS1_30default_config_static_selectorELNS0_4arch9wavefront6targetE0EEEvT1_.num_named_barrier, 0
	.set _ZN7rocprim17ROCPRIM_400000_NS6detail17trampoline_kernelINS0_14default_configENS1_27scan_by_key_config_selectorIiiEEZZNS1_16scan_by_key_implILNS1_25lookback_scan_determinismE0ELb1ES3_N6thrust23THRUST_200600_302600_NS6detail15normal_iteratorINS9_10device_ptrIiEEEENSB_INSC_IjEEEENSB_INSC_IfEEEEiNS9_4plusIvEENS9_8equal_toIvEEiEE10hipError_tPvRmT2_T3_T4_T5_mT6_T7_P12ihipStream_tbENKUlT_T0_E_clISt17integral_constantIbLb1EES12_IbLb0EEEEDaSY_SZ_EUlSY_E_NS1_11comp_targetILNS1_3genE5ELNS1_11target_archE942ELNS1_3gpuE9ELNS1_3repE0EEENS1_30default_config_static_selectorELNS0_4arch9wavefront6targetE0EEEvT1_.private_seg_size, 0
	.set _ZN7rocprim17ROCPRIM_400000_NS6detail17trampoline_kernelINS0_14default_configENS1_27scan_by_key_config_selectorIiiEEZZNS1_16scan_by_key_implILNS1_25lookback_scan_determinismE0ELb1ES3_N6thrust23THRUST_200600_302600_NS6detail15normal_iteratorINS9_10device_ptrIiEEEENSB_INSC_IjEEEENSB_INSC_IfEEEEiNS9_4plusIvEENS9_8equal_toIvEEiEE10hipError_tPvRmT2_T3_T4_T5_mT6_T7_P12ihipStream_tbENKUlT_T0_E_clISt17integral_constantIbLb1EES12_IbLb0EEEEDaSY_SZ_EUlSY_E_NS1_11comp_targetILNS1_3genE5ELNS1_11target_archE942ELNS1_3gpuE9ELNS1_3repE0EEENS1_30default_config_static_selectorELNS0_4arch9wavefront6targetE0EEEvT1_.uses_vcc, 0
	.set _ZN7rocprim17ROCPRIM_400000_NS6detail17trampoline_kernelINS0_14default_configENS1_27scan_by_key_config_selectorIiiEEZZNS1_16scan_by_key_implILNS1_25lookback_scan_determinismE0ELb1ES3_N6thrust23THRUST_200600_302600_NS6detail15normal_iteratorINS9_10device_ptrIiEEEENSB_INSC_IjEEEENSB_INSC_IfEEEEiNS9_4plusIvEENS9_8equal_toIvEEiEE10hipError_tPvRmT2_T3_T4_T5_mT6_T7_P12ihipStream_tbENKUlT_T0_E_clISt17integral_constantIbLb1EES12_IbLb0EEEEDaSY_SZ_EUlSY_E_NS1_11comp_targetILNS1_3genE5ELNS1_11target_archE942ELNS1_3gpuE9ELNS1_3repE0EEENS1_30default_config_static_selectorELNS0_4arch9wavefront6targetE0EEEvT1_.uses_flat_scratch, 0
	.set _ZN7rocprim17ROCPRIM_400000_NS6detail17trampoline_kernelINS0_14default_configENS1_27scan_by_key_config_selectorIiiEEZZNS1_16scan_by_key_implILNS1_25lookback_scan_determinismE0ELb1ES3_N6thrust23THRUST_200600_302600_NS6detail15normal_iteratorINS9_10device_ptrIiEEEENSB_INSC_IjEEEENSB_INSC_IfEEEEiNS9_4plusIvEENS9_8equal_toIvEEiEE10hipError_tPvRmT2_T3_T4_T5_mT6_T7_P12ihipStream_tbENKUlT_T0_E_clISt17integral_constantIbLb1EES12_IbLb0EEEEDaSY_SZ_EUlSY_E_NS1_11comp_targetILNS1_3genE5ELNS1_11target_archE942ELNS1_3gpuE9ELNS1_3repE0EEENS1_30default_config_static_selectorELNS0_4arch9wavefront6targetE0EEEvT1_.has_dyn_sized_stack, 0
	.set _ZN7rocprim17ROCPRIM_400000_NS6detail17trampoline_kernelINS0_14default_configENS1_27scan_by_key_config_selectorIiiEEZZNS1_16scan_by_key_implILNS1_25lookback_scan_determinismE0ELb1ES3_N6thrust23THRUST_200600_302600_NS6detail15normal_iteratorINS9_10device_ptrIiEEEENSB_INSC_IjEEEENSB_INSC_IfEEEEiNS9_4plusIvEENS9_8equal_toIvEEiEE10hipError_tPvRmT2_T3_T4_T5_mT6_T7_P12ihipStream_tbENKUlT_T0_E_clISt17integral_constantIbLb1EES12_IbLb0EEEEDaSY_SZ_EUlSY_E_NS1_11comp_targetILNS1_3genE5ELNS1_11target_archE942ELNS1_3gpuE9ELNS1_3repE0EEENS1_30default_config_static_selectorELNS0_4arch9wavefront6targetE0EEEvT1_.has_recursion, 0
	.set _ZN7rocprim17ROCPRIM_400000_NS6detail17trampoline_kernelINS0_14default_configENS1_27scan_by_key_config_selectorIiiEEZZNS1_16scan_by_key_implILNS1_25lookback_scan_determinismE0ELb1ES3_N6thrust23THRUST_200600_302600_NS6detail15normal_iteratorINS9_10device_ptrIiEEEENSB_INSC_IjEEEENSB_INSC_IfEEEEiNS9_4plusIvEENS9_8equal_toIvEEiEE10hipError_tPvRmT2_T3_T4_T5_mT6_T7_P12ihipStream_tbENKUlT_T0_E_clISt17integral_constantIbLb1EES12_IbLb0EEEEDaSY_SZ_EUlSY_E_NS1_11comp_targetILNS1_3genE5ELNS1_11target_archE942ELNS1_3gpuE9ELNS1_3repE0EEENS1_30default_config_static_selectorELNS0_4arch9wavefront6targetE0EEEvT1_.has_indirect_call, 0
	.section	.AMDGPU.csdata,"",@progbits
; Kernel info:
; codeLenInByte = 0
; TotalNumSgprs: 0
; NumVgprs: 0
; ScratchSize: 0
; MemoryBound: 0
; FloatMode: 240
; IeeeMode: 1
; LDSByteSize: 0 bytes/workgroup (compile time only)
; SGPRBlocks: 0
; VGPRBlocks: 0
; NumSGPRsForWavesPerEU: 1
; NumVGPRsForWavesPerEU: 1
; Occupancy: 16
; WaveLimiterHint : 0
; COMPUTE_PGM_RSRC2:SCRATCH_EN: 0
; COMPUTE_PGM_RSRC2:USER_SGPR: 6
; COMPUTE_PGM_RSRC2:TRAP_HANDLER: 0
; COMPUTE_PGM_RSRC2:TGID_X_EN: 1
; COMPUTE_PGM_RSRC2:TGID_Y_EN: 0
; COMPUTE_PGM_RSRC2:TGID_Z_EN: 0
; COMPUTE_PGM_RSRC2:TIDIG_COMP_CNT: 0
	.section	.text._ZN7rocprim17ROCPRIM_400000_NS6detail17trampoline_kernelINS0_14default_configENS1_27scan_by_key_config_selectorIiiEEZZNS1_16scan_by_key_implILNS1_25lookback_scan_determinismE0ELb1ES3_N6thrust23THRUST_200600_302600_NS6detail15normal_iteratorINS9_10device_ptrIiEEEENSB_INSC_IjEEEENSB_INSC_IfEEEEiNS9_4plusIvEENS9_8equal_toIvEEiEE10hipError_tPvRmT2_T3_T4_T5_mT6_T7_P12ihipStream_tbENKUlT_T0_E_clISt17integral_constantIbLb1EES12_IbLb0EEEEDaSY_SZ_EUlSY_E_NS1_11comp_targetILNS1_3genE4ELNS1_11target_archE910ELNS1_3gpuE8ELNS1_3repE0EEENS1_30default_config_static_selectorELNS0_4arch9wavefront6targetE0EEEvT1_,"axG",@progbits,_ZN7rocprim17ROCPRIM_400000_NS6detail17trampoline_kernelINS0_14default_configENS1_27scan_by_key_config_selectorIiiEEZZNS1_16scan_by_key_implILNS1_25lookback_scan_determinismE0ELb1ES3_N6thrust23THRUST_200600_302600_NS6detail15normal_iteratorINS9_10device_ptrIiEEEENSB_INSC_IjEEEENSB_INSC_IfEEEEiNS9_4plusIvEENS9_8equal_toIvEEiEE10hipError_tPvRmT2_T3_T4_T5_mT6_T7_P12ihipStream_tbENKUlT_T0_E_clISt17integral_constantIbLb1EES12_IbLb0EEEEDaSY_SZ_EUlSY_E_NS1_11comp_targetILNS1_3genE4ELNS1_11target_archE910ELNS1_3gpuE8ELNS1_3repE0EEENS1_30default_config_static_selectorELNS0_4arch9wavefront6targetE0EEEvT1_,comdat
	.protected	_ZN7rocprim17ROCPRIM_400000_NS6detail17trampoline_kernelINS0_14default_configENS1_27scan_by_key_config_selectorIiiEEZZNS1_16scan_by_key_implILNS1_25lookback_scan_determinismE0ELb1ES3_N6thrust23THRUST_200600_302600_NS6detail15normal_iteratorINS9_10device_ptrIiEEEENSB_INSC_IjEEEENSB_INSC_IfEEEEiNS9_4plusIvEENS9_8equal_toIvEEiEE10hipError_tPvRmT2_T3_T4_T5_mT6_T7_P12ihipStream_tbENKUlT_T0_E_clISt17integral_constantIbLb1EES12_IbLb0EEEEDaSY_SZ_EUlSY_E_NS1_11comp_targetILNS1_3genE4ELNS1_11target_archE910ELNS1_3gpuE8ELNS1_3repE0EEENS1_30default_config_static_selectorELNS0_4arch9wavefront6targetE0EEEvT1_ ; -- Begin function _ZN7rocprim17ROCPRIM_400000_NS6detail17trampoline_kernelINS0_14default_configENS1_27scan_by_key_config_selectorIiiEEZZNS1_16scan_by_key_implILNS1_25lookback_scan_determinismE0ELb1ES3_N6thrust23THRUST_200600_302600_NS6detail15normal_iteratorINS9_10device_ptrIiEEEENSB_INSC_IjEEEENSB_INSC_IfEEEEiNS9_4plusIvEENS9_8equal_toIvEEiEE10hipError_tPvRmT2_T3_T4_T5_mT6_T7_P12ihipStream_tbENKUlT_T0_E_clISt17integral_constantIbLb1EES12_IbLb0EEEEDaSY_SZ_EUlSY_E_NS1_11comp_targetILNS1_3genE4ELNS1_11target_archE910ELNS1_3gpuE8ELNS1_3repE0EEENS1_30default_config_static_selectorELNS0_4arch9wavefront6targetE0EEEvT1_
	.globl	_ZN7rocprim17ROCPRIM_400000_NS6detail17trampoline_kernelINS0_14default_configENS1_27scan_by_key_config_selectorIiiEEZZNS1_16scan_by_key_implILNS1_25lookback_scan_determinismE0ELb1ES3_N6thrust23THRUST_200600_302600_NS6detail15normal_iteratorINS9_10device_ptrIiEEEENSB_INSC_IjEEEENSB_INSC_IfEEEEiNS9_4plusIvEENS9_8equal_toIvEEiEE10hipError_tPvRmT2_T3_T4_T5_mT6_T7_P12ihipStream_tbENKUlT_T0_E_clISt17integral_constantIbLb1EES12_IbLb0EEEEDaSY_SZ_EUlSY_E_NS1_11comp_targetILNS1_3genE4ELNS1_11target_archE910ELNS1_3gpuE8ELNS1_3repE0EEENS1_30default_config_static_selectorELNS0_4arch9wavefront6targetE0EEEvT1_
	.p2align	8
	.type	_ZN7rocprim17ROCPRIM_400000_NS6detail17trampoline_kernelINS0_14default_configENS1_27scan_by_key_config_selectorIiiEEZZNS1_16scan_by_key_implILNS1_25lookback_scan_determinismE0ELb1ES3_N6thrust23THRUST_200600_302600_NS6detail15normal_iteratorINS9_10device_ptrIiEEEENSB_INSC_IjEEEENSB_INSC_IfEEEEiNS9_4plusIvEENS9_8equal_toIvEEiEE10hipError_tPvRmT2_T3_T4_T5_mT6_T7_P12ihipStream_tbENKUlT_T0_E_clISt17integral_constantIbLb1EES12_IbLb0EEEEDaSY_SZ_EUlSY_E_NS1_11comp_targetILNS1_3genE4ELNS1_11target_archE910ELNS1_3gpuE8ELNS1_3repE0EEENS1_30default_config_static_selectorELNS0_4arch9wavefront6targetE0EEEvT1_,@function
_ZN7rocprim17ROCPRIM_400000_NS6detail17trampoline_kernelINS0_14default_configENS1_27scan_by_key_config_selectorIiiEEZZNS1_16scan_by_key_implILNS1_25lookback_scan_determinismE0ELb1ES3_N6thrust23THRUST_200600_302600_NS6detail15normal_iteratorINS9_10device_ptrIiEEEENSB_INSC_IjEEEENSB_INSC_IfEEEEiNS9_4plusIvEENS9_8equal_toIvEEiEE10hipError_tPvRmT2_T3_T4_T5_mT6_T7_P12ihipStream_tbENKUlT_T0_E_clISt17integral_constantIbLb1EES12_IbLb0EEEEDaSY_SZ_EUlSY_E_NS1_11comp_targetILNS1_3genE4ELNS1_11target_archE910ELNS1_3gpuE8ELNS1_3repE0EEENS1_30default_config_static_selectorELNS0_4arch9wavefront6targetE0EEEvT1_: ; @_ZN7rocprim17ROCPRIM_400000_NS6detail17trampoline_kernelINS0_14default_configENS1_27scan_by_key_config_selectorIiiEEZZNS1_16scan_by_key_implILNS1_25lookback_scan_determinismE0ELb1ES3_N6thrust23THRUST_200600_302600_NS6detail15normal_iteratorINS9_10device_ptrIiEEEENSB_INSC_IjEEEENSB_INSC_IfEEEEiNS9_4plusIvEENS9_8equal_toIvEEiEE10hipError_tPvRmT2_T3_T4_T5_mT6_T7_P12ihipStream_tbENKUlT_T0_E_clISt17integral_constantIbLb1EES12_IbLb0EEEEDaSY_SZ_EUlSY_E_NS1_11comp_targetILNS1_3genE4ELNS1_11target_archE910ELNS1_3gpuE8ELNS1_3repE0EEENS1_30default_config_static_selectorELNS0_4arch9wavefront6targetE0EEEvT1_
; %bb.0:
	.section	.rodata,"a",@progbits
	.p2align	6, 0x0
	.amdhsa_kernel _ZN7rocprim17ROCPRIM_400000_NS6detail17trampoline_kernelINS0_14default_configENS1_27scan_by_key_config_selectorIiiEEZZNS1_16scan_by_key_implILNS1_25lookback_scan_determinismE0ELb1ES3_N6thrust23THRUST_200600_302600_NS6detail15normal_iteratorINS9_10device_ptrIiEEEENSB_INSC_IjEEEENSB_INSC_IfEEEEiNS9_4plusIvEENS9_8equal_toIvEEiEE10hipError_tPvRmT2_T3_T4_T5_mT6_T7_P12ihipStream_tbENKUlT_T0_E_clISt17integral_constantIbLb1EES12_IbLb0EEEEDaSY_SZ_EUlSY_E_NS1_11comp_targetILNS1_3genE4ELNS1_11target_archE910ELNS1_3gpuE8ELNS1_3repE0EEENS1_30default_config_static_selectorELNS0_4arch9wavefront6targetE0EEEvT1_
		.amdhsa_group_segment_fixed_size 0
		.amdhsa_private_segment_fixed_size 0
		.amdhsa_kernarg_size 112
		.amdhsa_user_sgpr_count 6
		.amdhsa_user_sgpr_private_segment_buffer 1
		.amdhsa_user_sgpr_dispatch_ptr 0
		.amdhsa_user_sgpr_queue_ptr 0
		.amdhsa_user_sgpr_kernarg_segment_ptr 1
		.amdhsa_user_sgpr_dispatch_id 0
		.amdhsa_user_sgpr_flat_scratch_init 0
		.amdhsa_user_sgpr_private_segment_size 0
		.amdhsa_wavefront_size32 1
		.amdhsa_uses_dynamic_stack 0
		.amdhsa_system_sgpr_private_segment_wavefront_offset 0
		.amdhsa_system_sgpr_workgroup_id_x 1
		.amdhsa_system_sgpr_workgroup_id_y 0
		.amdhsa_system_sgpr_workgroup_id_z 0
		.amdhsa_system_sgpr_workgroup_info 0
		.amdhsa_system_vgpr_workitem_id 0
		.amdhsa_next_free_vgpr 1
		.amdhsa_next_free_sgpr 1
		.amdhsa_reserve_vcc 0
		.amdhsa_reserve_flat_scratch 0
		.amdhsa_float_round_mode_32 0
		.amdhsa_float_round_mode_16_64 0
		.amdhsa_float_denorm_mode_32 3
		.amdhsa_float_denorm_mode_16_64 3
		.amdhsa_dx10_clamp 1
		.amdhsa_ieee_mode 1
		.amdhsa_fp16_overflow 0
		.amdhsa_workgroup_processor_mode 1
		.amdhsa_memory_ordered 1
		.amdhsa_forward_progress 1
		.amdhsa_shared_vgpr_count 0
		.amdhsa_exception_fp_ieee_invalid_op 0
		.amdhsa_exception_fp_denorm_src 0
		.amdhsa_exception_fp_ieee_div_zero 0
		.amdhsa_exception_fp_ieee_overflow 0
		.amdhsa_exception_fp_ieee_underflow 0
		.amdhsa_exception_fp_ieee_inexact 0
		.amdhsa_exception_int_div_zero 0
	.end_amdhsa_kernel
	.section	.text._ZN7rocprim17ROCPRIM_400000_NS6detail17trampoline_kernelINS0_14default_configENS1_27scan_by_key_config_selectorIiiEEZZNS1_16scan_by_key_implILNS1_25lookback_scan_determinismE0ELb1ES3_N6thrust23THRUST_200600_302600_NS6detail15normal_iteratorINS9_10device_ptrIiEEEENSB_INSC_IjEEEENSB_INSC_IfEEEEiNS9_4plusIvEENS9_8equal_toIvEEiEE10hipError_tPvRmT2_T3_T4_T5_mT6_T7_P12ihipStream_tbENKUlT_T0_E_clISt17integral_constantIbLb1EES12_IbLb0EEEEDaSY_SZ_EUlSY_E_NS1_11comp_targetILNS1_3genE4ELNS1_11target_archE910ELNS1_3gpuE8ELNS1_3repE0EEENS1_30default_config_static_selectorELNS0_4arch9wavefront6targetE0EEEvT1_,"axG",@progbits,_ZN7rocprim17ROCPRIM_400000_NS6detail17trampoline_kernelINS0_14default_configENS1_27scan_by_key_config_selectorIiiEEZZNS1_16scan_by_key_implILNS1_25lookback_scan_determinismE0ELb1ES3_N6thrust23THRUST_200600_302600_NS6detail15normal_iteratorINS9_10device_ptrIiEEEENSB_INSC_IjEEEENSB_INSC_IfEEEEiNS9_4plusIvEENS9_8equal_toIvEEiEE10hipError_tPvRmT2_T3_T4_T5_mT6_T7_P12ihipStream_tbENKUlT_T0_E_clISt17integral_constantIbLb1EES12_IbLb0EEEEDaSY_SZ_EUlSY_E_NS1_11comp_targetILNS1_3genE4ELNS1_11target_archE910ELNS1_3gpuE8ELNS1_3repE0EEENS1_30default_config_static_selectorELNS0_4arch9wavefront6targetE0EEEvT1_,comdat
.Lfunc_end1737:
	.size	_ZN7rocprim17ROCPRIM_400000_NS6detail17trampoline_kernelINS0_14default_configENS1_27scan_by_key_config_selectorIiiEEZZNS1_16scan_by_key_implILNS1_25lookback_scan_determinismE0ELb1ES3_N6thrust23THRUST_200600_302600_NS6detail15normal_iteratorINS9_10device_ptrIiEEEENSB_INSC_IjEEEENSB_INSC_IfEEEEiNS9_4plusIvEENS9_8equal_toIvEEiEE10hipError_tPvRmT2_T3_T4_T5_mT6_T7_P12ihipStream_tbENKUlT_T0_E_clISt17integral_constantIbLb1EES12_IbLb0EEEEDaSY_SZ_EUlSY_E_NS1_11comp_targetILNS1_3genE4ELNS1_11target_archE910ELNS1_3gpuE8ELNS1_3repE0EEENS1_30default_config_static_selectorELNS0_4arch9wavefront6targetE0EEEvT1_, .Lfunc_end1737-_ZN7rocprim17ROCPRIM_400000_NS6detail17trampoline_kernelINS0_14default_configENS1_27scan_by_key_config_selectorIiiEEZZNS1_16scan_by_key_implILNS1_25lookback_scan_determinismE0ELb1ES3_N6thrust23THRUST_200600_302600_NS6detail15normal_iteratorINS9_10device_ptrIiEEEENSB_INSC_IjEEEENSB_INSC_IfEEEEiNS9_4plusIvEENS9_8equal_toIvEEiEE10hipError_tPvRmT2_T3_T4_T5_mT6_T7_P12ihipStream_tbENKUlT_T0_E_clISt17integral_constantIbLb1EES12_IbLb0EEEEDaSY_SZ_EUlSY_E_NS1_11comp_targetILNS1_3genE4ELNS1_11target_archE910ELNS1_3gpuE8ELNS1_3repE0EEENS1_30default_config_static_selectorELNS0_4arch9wavefront6targetE0EEEvT1_
                                        ; -- End function
	.set _ZN7rocprim17ROCPRIM_400000_NS6detail17trampoline_kernelINS0_14default_configENS1_27scan_by_key_config_selectorIiiEEZZNS1_16scan_by_key_implILNS1_25lookback_scan_determinismE0ELb1ES3_N6thrust23THRUST_200600_302600_NS6detail15normal_iteratorINS9_10device_ptrIiEEEENSB_INSC_IjEEEENSB_INSC_IfEEEEiNS9_4plusIvEENS9_8equal_toIvEEiEE10hipError_tPvRmT2_T3_T4_T5_mT6_T7_P12ihipStream_tbENKUlT_T0_E_clISt17integral_constantIbLb1EES12_IbLb0EEEEDaSY_SZ_EUlSY_E_NS1_11comp_targetILNS1_3genE4ELNS1_11target_archE910ELNS1_3gpuE8ELNS1_3repE0EEENS1_30default_config_static_selectorELNS0_4arch9wavefront6targetE0EEEvT1_.num_vgpr, 0
	.set _ZN7rocprim17ROCPRIM_400000_NS6detail17trampoline_kernelINS0_14default_configENS1_27scan_by_key_config_selectorIiiEEZZNS1_16scan_by_key_implILNS1_25lookback_scan_determinismE0ELb1ES3_N6thrust23THRUST_200600_302600_NS6detail15normal_iteratorINS9_10device_ptrIiEEEENSB_INSC_IjEEEENSB_INSC_IfEEEEiNS9_4plusIvEENS9_8equal_toIvEEiEE10hipError_tPvRmT2_T3_T4_T5_mT6_T7_P12ihipStream_tbENKUlT_T0_E_clISt17integral_constantIbLb1EES12_IbLb0EEEEDaSY_SZ_EUlSY_E_NS1_11comp_targetILNS1_3genE4ELNS1_11target_archE910ELNS1_3gpuE8ELNS1_3repE0EEENS1_30default_config_static_selectorELNS0_4arch9wavefront6targetE0EEEvT1_.num_agpr, 0
	.set _ZN7rocprim17ROCPRIM_400000_NS6detail17trampoline_kernelINS0_14default_configENS1_27scan_by_key_config_selectorIiiEEZZNS1_16scan_by_key_implILNS1_25lookback_scan_determinismE0ELb1ES3_N6thrust23THRUST_200600_302600_NS6detail15normal_iteratorINS9_10device_ptrIiEEEENSB_INSC_IjEEEENSB_INSC_IfEEEEiNS9_4plusIvEENS9_8equal_toIvEEiEE10hipError_tPvRmT2_T3_T4_T5_mT6_T7_P12ihipStream_tbENKUlT_T0_E_clISt17integral_constantIbLb1EES12_IbLb0EEEEDaSY_SZ_EUlSY_E_NS1_11comp_targetILNS1_3genE4ELNS1_11target_archE910ELNS1_3gpuE8ELNS1_3repE0EEENS1_30default_config_static_selectorELNS0_4arch9wavefront6targetE0EEEvT1_.numbered_sgpr, 0
	.set _ZN7rocprim17ROCPRIM_400000_NS6detail17trampoline_kernelINS0_14default_configENS1_27scan_by_key_config_selectorIiiEEZZNS1_16scan_by_key_implILNS1_25lookback_scan_determinismE0ELb1ES3_N6thrust23THRUST_200600_302600_NS6detail15normal_iteratorINS9_10device_ptrIiEEEENSB_INSC_IjEEEENSB_INSC_IfEEEEiNS9_4plusIvEENS9_8equal_toIvEEiEE10hipError_tPvRmT2_T3_T4_T5_mT6_T7_P12ihipStream_tbENKUlT_T0_E_clISt17integral_constantIbLb1EES12_IbLb0EEEEDaSY_SZ_EUlSY_E_NS1_11comp_targetILNS1_3genE4ELNS1_11target_archE910ELNS1_3gpuE8ELNS1_3repE0EEENS1_30default_config_static_selectorELNS0_4arch9wavefront6targetE0EEEvT1_.num_named_barrier, 0
	.set _ZN7rocprim17ROCPRIM_400000_NS6detail17trampoline_kernelINS0_14default_configENS1_27scan_by_key_config_selectorIiiEEZZNS1_16scan_by_key_implILNS1_25lookback_scan_determinismE0ELb1ES3_N6thrust23THRUST_200600_302600_NS6detail15normal_iteratorINS9_10device_ptrIiEEEENSB_INSC_IjEEEENSB_INSC_IfEEEEiNS9_4plusIvEENS9_8equal_toIvEEiEE10hipError_tPvRmT2_T3_T4_T5_mT6_T7_P12ihipStream_tbENKUlT_T0_E_clISt17integral_constantIbLb1EES12_IbLb0EEEEDaSY_SZ_EUlSY_E_NS1_11comp_targetILNS1_3genE4ELNS1_11target_archE910ELNS1_3gpuE8ELNS1_3repE0EEENS1_30default_config_static_selectorELNS0_4arch9wavefront6targetE0EEEvT1_.private_seg_size, 0
	.set _ZN7rocprim17ROCPRIM_400000_NS6detail17trampoline_kernelINS0_14default_configENS1_27scan_by_key_config_selectorIiiEEZZNS1_16scan_by_key_implILNS1_25lookback_scan_determinismE0ELb1ES3_N6thrust23THRUST_200600_302600_NS6detail15normal_iteratorINS9_10device_ptrIiEEEENSB_INSC_IjEEEENSB_INSC_IfEEEEiNS9_4plusIvEENS9_8equal_toIvEEiEE10hipError_tPvRmT2_T3_T4_T5_mT6_T7_P12ihipStream_tbENKUlT_T0_E_clISt17integral_constantIbLb1EES12_IbLb0EEEEDaSY_SZ_EUlSY_E_NS1_11comp_targetILNS1_3genE4ELNS1_11target_archE910ELNS1_3gpuE8ELNS1_3repE0EEENS1_30default_config_static_selectorELNS0_4arch9wavefront6targetE0EEEvT1_.uses_vcc, 0
	.set _ZN7rocprim17ROCPRIM_400000_NS6detail17trampoline_kernelINS0_14default_configENS1_27scan_by_key_config_selectorIiiEEZZNS1_16scan_by_key_implILNS1_25lookback_scan_determinismE0ELb1ES3_N6thrust23THRUST_200600_302600_NS6detail15normal_iteratorINS9_10device_ptrIiEEEENSB_INSC_IjEEEENSB_INSC_IfEEEEiNS9_4plusIvEENS9_8equal_toIvEEiEE10hipError_tPvRmT2_T3_T4_T5_mT6_T7_P12ihipStream_tbENKUlT_T0_E_clISt17integral_constantIbLb1EES12_IbLb0EEEEDaSY_SZ_EUlSY_E_NS1_11comp_targetILNS1_3genE4ELNS1_11target_archE910ELNS1_3gpuE8ELNS1_3repE0EEENS1_30default_config_static_selectorELNS0_4arch9wavefront6targetE0EEEvT1_.uses_flat_scratch, 0
	.set _ZN7rocprim17ROCPRIM_400000_NS6detail17trampoline_kernelINS0_14default_configENS1_27scan_by_key_config_selectorIiiEEZZNS1_16scan_by_key_implILNS1_25lookback_scan_determinismE0ELb1ES3_N6thrust23THRUST_200600_302600_NS6detail15normal_iteratorINS9_10device_ptrIiEEEENSB_INSC_IjEEEENSB_INSC_IfEEEEiNS9_4plusIvEENS9_8equal_toIvEEiEE10hipError_tPvRmT2_T3_T4_T5_mT6_T7_P12ihipStream_tbENKUlT_T0_E_clISt17integral_constantIbLb1EES12_IbLb0EEEEDaSY_SZ_EUlSY_E_NS1_11comp_targetILNS1_3genE4ELNS1_11target_archE910ELNS1_3gpuE8ELNS1_3repE0EEENS1_30default_config_static_selectorELNS0_4arch9wavefront6targetE0EEEvT1_.has_dyn_sized_stack, 0
	.set _ZN7rocprim17ROCPRIM_400000_NS6detail17trampoline_kernelINS0_14default_configENS1_27scan_by_key_config_selectorIiiEEZZNS1_16scan_by_key_implILNS1_25lookback_scan_determinismE0ELb1ES3_N6thrust23THRUST_200600_302600_NS6detail15normal_iteratorINS9_10device_ptrIiEEEENSB_INSC_IjEEEENSB_INSC_IfEEEEiNS9_4plusIvEENS9_8equal_toIvEEiEE10hipError_tPvRmT2_T3_T4_T5_mT6_T7_P12ihipStream_tbENKUlT_T0_E_clISt17integral_constantIbLb1EES12_IbLb0EEEEDaSY_SZ_EUlSY_E_NS1_11comp_targetILNS1_3genE4ELNS1_11target_archE910ELNS1_3gpuE8ELNS1_3repE0EEENS1_30default_config_static_selectorELNS0_4arch9wavefront6targetE0EEEvT1_.has_recursion, 0
	.set _ZN7rocprim17ROCPRIM_400000_NS6detail17trampoline_kernelINS0_14default_configENS1_27scan_by_key_config_selectorIiiEEZZNS1_16scan_by_key_implILNS1_25lookback_scan_determinismE0ELb1ES3_N6thrust23THRUST_200600_302600_NS6detail15normal_iteratorINS9_10device_ptrIiEEEENSB_INSC_IjEEEENSB_INSC_IfEEEEiNS9_4plusIvEENS9_8equal_toIvEEiEE10hipError_tPvRmT2_T3_T4_T5_mT6_T7_P12ihipStream_tbENKUlT_T0_E_clISt17integral_constantIbLb1EES12_IbLb0EEEEDaSY_SZ_EUlSY_E_NS1_11comp_targetILNS1_3genE4ELNS1_11target_archE910ELNS1_3gpuE8ELNS1_3repE0EEENS1_30default_config_static_selectorELNS0_4arch9wavefront6targetE0EEEvT1_.has_indirect_call, 0
	.section	.AMDGPU.csdata,"",@progbits
; Kernel info:
; codeLenInByte = 0
; TotalNumSgprs: 0
; NumVgprs: 0
; ScratchSize: 0
; MemoryBound: 0
; FloatMode: 240
; IeeeMode: 1
; LDSByteSize: 0 bytes/workgroup (compile time only)
; SGPRBlocks: 0
; VGPRBlocks: 0
; NumSGPRsForWavesPerEU: 1
; NumVGPRsForWavesPerEU: 1
; Occupancy: 16
; WaveLimiterHint : 0
; COMPUTE_PGM_RSRC2:SCRATCH_EN: 0
; COMPUTE_PGM_RSRC2:USER_SGPR: 6
; COMPUTE_PGM_RSRC2:TRAP_HANDLER: 0
; COMPUTE_PGM_RSRC2:TGID_X_EN: 1
; COMPUTE_PGM_RSRC2:TGID_Y_EN: 0
; COMPUTE_PGM_RSRC2:TGID_Z_EN: 0
; COMPUTE_PGM_RSRC2:TIDIG_COMP_CNT: 0
	.section	.text._ZN7rocprim17ROCPRIM_400000_NS6detail17trampoline_kernelINS0_14default_configENS1_27scan_by_key_config_selectorIiiEEZZNS1_16scan_by_key_implILNS1_25lookback_scan_determinismE0ELb1ES3_N6thrust23THRUST_200600_302600_NS6detail15normal_iteratorINS9_10device_ptrIiEEEENSB_INSC_IjEEEENSB_INSC_IfEEEEiNS9_4plusIvEENS9_8equal_toIvEEiEE10hipError_tPvRmT2_T3_T4_T5_mT6_T7_P12ihipStream_tbENKUlT_T0_E_clISt17integral_constantIbLb1EES12_IbLb0EEEEDaSY_SZ_EUlSY_E_NS1_11comp_targetILNS1_3genE3ELNS1_11target_archE908ELNS1_3gpuE7ELNS1_3repE0EEENS1_30default_config_static_selectorELNS0_4arch9wavefront6targetE0EEEvT1_,"axG",@progbits,_ZN7rocprim17ROCPRIM_400000_NS6detail17trampoline_kernelINS0_14default_configENS1_27scan_by_key_config_selectorIiiEEZZNS1_16scan_by_key_implILNS1_25lookback_scan_determinismE0ELb1ES3_N6thrust23THRUST_200600_302600_NS6detail15normal_iteratorINS9_10device_ptrIiEEEENSB_INSC_IjEEEENSB_INSC_IfEEEEiNS9_4plusIvEENS9_8equal_toIvEEiEE10hipError_tPvRmT2_T3_T4_T5_mT6_T7_P12ihipStream_tbENKUlT_T0_E_clISt17integral_constantIbLb1EES12_IbLb0EEEEDaSY_SZ_EUlSY_E_NS1_11comp_targetILNS1_3genE3ELNS1_11target_archE908ELNS1_3gpuE7ELNS1_3repE0EEENS1_30default_config_static_selectorELNS0_4arch9wavefront6targetE0EEEvT1_,comdat
	.protected	_ZN7rocprim17ROCPRIM_400000_NS6detail17trampoline_kernelINS0_14default_configENS1_27scan_by_key_config_selectorIiiEEZZNS1_16scan_by_key_implILNS1_25lookback_scan_determinismE0ELb1ES3_N6thrust23THRUST_200600_302600_NS6detail15normal_iteratorINS9_10device_ptrIiEEEENSB_INSC_IjEEEENSB_INSC_IfEEEEiNS9_4plusIvEENS9_8equal_toIvEEiEE10hipError_tPvRmT2_T3_T4_T5_mT6_T7_P12ihipStream_tbENKUlT_T0_E_clISt17integral_constantIbLb1EES12_IbLb0EEEEDaSY_SZ_EUlSY_E_NS1_11comp_targetILNS1_3genE3ELNS1_11target_archE908ELNS1_3gpuE7ELNS1_3repE0EEENS1_30default_config_static_selectorELNS0_4arch9wavefront6targetE0EEEvT1_ ; -- Begin function _ZN7rocprim17ROCPRIM_400000_NS6detail17trampoline_kernelINS0_14default_configENS1_27scan_by_key_config_selectorIiiEEZZNS1_16scan_by_key_implILNS1_25lookback_scan_determinismE0ELb1ES3_N6thrust23THRUST_200600_302600_NS6detail15normal_iteratorINS9_10device_ptrIiEEEENSB_INSC_IjEEEENSB_INSC_IfEEEEiNS9_4plusIvEENS9_8equal_toIvEEiEE10hipError_tPvRmT2_T3_T4_T5_mT6_T7_P12ihipStream_tbENKUlT_T0_E_clISt17integral_constantIbLb1EES12_IbLb0EEEEDaSY_SZ_EUlSY_E_NS1_11comp_targetILNS1_3genE3ELNS1_11target_archE908ELNS1_3gpuE7ELNS1_3repE0EEENS1_30default_config_static_selectorELNS0_4arch9wavefront6targetE0EEEvT1_
	.globl	_ZN7rocprim17ROCPRIM_400000_NS6detail17trampoline_kernelINS0_14default_configENS1_27scan_by_key_config_selectorIiiEEZZNS1_16scan_by_key_implILNS1_25lookback_scan_determinismE0ELb1ES3_N6thrust23THRUST_200600_302600_NS6detail15normal_iteratorINS9_10device_ptrIiEEEENSB_INSC_IjEEEENSB_INSC_IfEEEEiNS9_4plusIvEENS9_8equal_toIvEEiEE10hipError_tPvRmT2_T3_T4_T5_mT6_T7_P12ihipStream_tbENKUlT_T0_E_clISt17integral_constantIbLb1EES12_IbLb0EEEEDaSY_SZ_EUlSY_E_NS1_11comp_targetILNS1_3genE3ELNS1_11target_archE908ELNS1_3gpuE7ELNS1_3repE0EEENS1_30default_config_static_selectorELNS0_4arch9wavefront6targetE0EEEvT1_
	.p2align	8
	.type	_ZN7rocprim17ROCPRIM_400000_NS6detail17trampoline_kernelINS0_14default_configENS1_27scan_by_key_config_selectorIiiEEZZNS1_16scan_by_key_implILNS1_25lookback_scan_determinismE0ELb1ES3_N6thrust23THRUST_200600_302600_NS6detail15normal_iteratorINS9_10device_ptrIiEEEENSB_INSC_IjEEEENSB_INSC_IfEEEEiNS9_4plusIvEENS9_8equal_toIvEEiEE10hipError_tPvRmT2_T3_T4_T5_mT6_T7_P12ihipStream_tbENKUlT_T0_E_clISt17integral_constantIbLb1EES12_IbLb0EEEEDaSY_SZ_EUlSY_E_NS1_11comp_targetILNS1_3genE3ELNS1_11target_archE908ELNS1_3gpuE7ELNS1_3repE0EEENS1_30default_config_static_selectorELNS0_4arch9wavefront6targetE0EEEvT1_,@function
_ZN7rocprim17ROCPRIM_400000_NS6detail17trampoline_kernelINS0_14default_configENS1_27scan_by_key_config_selectorIiiEEZZNS1_16scan_by_key_implILNS1_25lookback_scan_determinismE0ELb1ES3_N6thrust23THRUST_200600_302600_NS6detail15normal_iteratorINS9_10device_ptrIiEEEENSB_INSC_IjEEEENSB_INSC_IfEEEEiNS9_4plusIvEENS9_8equal_toIvEEiEE10hipError_tPvRmT2_T3_T4_T5_mT6_T7_P12ihipStream_tbENKUlT_T0_E_clISt17integral_constantIbLb1EES12_IbLb0EEEEDaSY_SZ_EUlSY_E_NS1_11comp_targetILNS1_3genE3ELNS1_11target_archE908ELNS1_3gpuE7ELNS1_3repE0EEENS1_30default_config_static_selectorELNS0_4arch9wavefront6targetE0EEEvT1_: ; @_ZN7rocprim17ROCPRIM_400000_NS6detail17trampoline_kernelINS0_14default_configENS1_27scan_by_key_config_selectorIiiEEZZNS1_16scan_by_key_implILNS1_25lookback_scan_determinismE0ELb1ES3_N6thrust23THRUST_200600_302600_NS6detail15normal_iteratorINS9_10device_ptrIiEEEENSB_INSC_IjEEEENSB_INSC_IfEEEEiNS9_4plusIvEENS9_8equal_toIvEEiEE10hipError_tPvRmT2_T3_T4_T5_mT6_T7_P12ihipStream_tbENKUlT_T0_E_clISt17integral_constantIbLb1EES12_IbLb0EEEEDaSY_SZ_EUlSY_E_NS1_11comp_targetILNS1_3genE3ELNS1_11target_archE908ELNS1_3gpuE7ELNS1_3repE0EEENS1_30default_config_static_selectorELNS0_4arch9wavefront6targetE0EEEvT1_
; %bb.0:
	.section	.rodata,"a",@progbits
	.p2align	6, 0x0
	.amdhsa_kernel _ZN7rocprim17ROCPRIM_400000_NS6detail17trampoline_kernelINS0_14default_configENS1_27scan_by_key_config_selectorIiiEEZZNS1_16scan_by_key_implILNS1_25lookback_scan_determinismE0ELb1ES3_N6thrust23THRUST_200600_302600_NS6detail15normal_iteratorINS9_10device_ptrIiEEEENSB_INSC_IjEEEENSB_INSC_IfEEEEiNS9_4plusIvEENS9_8equal_toIvEEiEE10hipError_tPvRmT2_T3_T4_T5_mT6_T7_P12ihipStream_tbENKUlT_T0_E_clISt17integral_constantIbLb1EES12_IbLb0EEEEDaSY_SZ_EUlSY_E_NS1_11comp_targetILNS1_3genE3ELNS1_11target_archE908ELNS1_3gpuE7ELNS1_3repE0EEENS1_30default_config_static_selectorELNS0_4arch9wavefront6targetE0EEEvT1_
		.amdhsa_group_segment_fixed_size 0
		.amdhsa_private_segment_fixed_size 0
		.amdhsa_kernarg_size 112
		.amdhsa_user_sgpr_count 6
		.amdhsa_user_sgpr_private_segment_buffer 1
		.amdhsa_user_sgpr_dispatch_ptr 0
		.amdhsa_user_sgpr_queue_ptr 0
		.amdhsa_user_sgpr_kernarg_segment_ptr 1
		.amdhsa_user_sgpr_dispatch_id 0
		.amdhsa_user_sgpr_flat_scratch_init 0
		.amdhsa_user_sgpr_private_segment_size 0
		.amdhsa_wavefront_size32 1
		.amdhsa_uses_dynamic_stack 0
		.amdhsa_system_sgpr_private_segment_wavefront_offset 0
		.amdhsa_system_sgpr_workgroup_id_x 1
		.amdhsa_system_sgpr_workgroup_id_y 0
		.amdhsa_system_sgpr_workgroup_id_z 0
		.amdhsa_system_sgpr_workgroup_info 0
		.amdhsa_system_vgpr_workitem_id 0
		.amdhsa_next_free_vgpr 1
		.amdhsa_next_free_sgpr 1
		.amdhsa_reserve_vcc 0
		.amdhsa_reserve_flat_scratch 0
		.amdhsa_float_round_mode_32 0
		.amdhsa_float_round_mode_16_64 0
		.amdhsa_float_denorm_mode_32 3
		.amdhsa_float_denorm_mode_16_64 3
		.amdhsa_dx10_clamp 1
		.amdhsa_ieee_mode 1
		.amdhsa_fp16_overflow 0
		.amdhsa_workgroup_processor_mode 1
		.amdhsa_memory_ordered 1
		.amdhsa_forward_progress 1
		.amdhsa_shared_vgpr_count 0
		.amdhsa_exception_fp_ieee_invalid_op 0
		.amdhsa_exception_fp_denorm_src 0
		.amdhsa_exception_fp_ieee_div_zero 0
		.amdhsa_exception_fp_ieee_overflow 0
		.amdhsa_exception_fp_ieee_underflow 0
		.amdhsa_exception_fp_ieee_inexact 0
		.amdhsa_exception_int_div_zero 0
	.end_amdhsa_kernel
	.section	.text._ZN7rocprim17ROCPRIM_400000_NS6detail17trampoline_kernelINS0_14default_configENS1_27scan_by_key_config_selectorIiiEEZZNS1_16scan_by_key_implILNS1_25lookback_scan_determinismE0ELb1ES3_N6thrust23THRUST_200600_302600_NS6detail15normal_iteratorINS9_10device_ptrIiEEEENSB_INSC_IjEEEENSB_INSC_IfEEEEiNS9_4plusIvEENS9_8equal_toIvEEiEE10hipError_tPvRmT2_T3_T4_T5_mT6_T7_P12ihipStream_tbENKUlT_T0_E_clISt17integral_constantIbLb1EES12_IbLb0EEEEDaSY_SZ_EUlSY_E_NS1_11comp_targetILNS1_3genE3ELNS1_11target_archE908ELNS1_3gpuE7ELNS1_3repE0EEENS1_30default_config_static_selectorELNS0_4arch9wavefront6targetE0EEEvT1_,"axG",@progbits,_ZN7rocprim17ROCPRIM_400000_NS6detail17trampoline_kernelINS0_14default_configENS1_27scan_by_key_config_selectorIiiEEZZNS1_16scan_by_key_implILNS1_25lookback_scan_determinismE0ELb1ES3_N6thrust23THRUST_200600_302600_NS6detail15normal_iteratorINS9_10device_ptrIiEEEENSB_INSC_IjEEEENSB_INSC_IfEEEEiNS9_4plusIvEENS9_8equal_toIvEEiEE10hipError_tPvRmT2_T3_T4_T5_mT6_T7_P12ihipStream_tbENKUlT_T0_E_clISt17integral_constantIbLb1EES12_IbLb0EEEEDaSY_SZ_EUlSY_E_NS1_11comp_targetILNS1_3genE3ELNS1_11target_archE908ELNS1_3gpuE7ELNS1_3repE0EEENS1_30default_config_static_selectorELNS0_4arch9wavefront6targetE0EEEvT1_,comdat
.Lfunc_end1738:
	.size	_ZN7rocprim17ROCPRIM_400000_NS6detail17trampoline_kernelINS0_14default_configENS1_27scan_by_key_config_selectorIiiEEZZNS1_16scan_by_key_implILNS1_25lookback_scan_determinismE0ELb1ES3_N6thrust23THRUST_200600_302600_NS6detail15normal_iteratorINS9_10device_ptrIiEEEENSB_INSC_IjEEEENSB_INSC_IfEEEEiNS9_4plusIvEENS9_8equal_toIvEEiEE10hipError_tPvRmT2_T3_T4_T5_mT6_T7_P12ihipStream_tbENKUlT_T0_E_clISt17integral_constantIbLb1EES12_IbLb0EEEEDaSY_SZ_EUlSY_E_NS1_11comp_targetILNS1_3genE3ELNS1_11target_archE908ELNS1_3gpuE7ELNS1_3repE0EEENS1_30default_config_static_selectorELNS0_4arch9wavefront6targetE0EEEvT1_, .Lfunc_end1738-_ZN7rocprim17ROCPRIM_400000_NS6detail17trampoline_kernelINS0_14default_configENS1_27scan_by_key_config_selectorIiiEEZZNS1_16scan_by_key_implILNS1_25lookback_scan_determinismE0ELb1ES3_N6thrust23THRUST_200600_302600_NS6detail15normal_iteratorINS9_10device_ptrIiEEEENSB_INSC_IjEEEENSB_INSC_IfEEEEiNS9_4plusIvEENS9_8equal_toIvEEiEE10hipError_tPvRmT2_T3_T4_T5_mT6_T7_P12ihipStream_tbENKUlT_T0_E_clISt17integral_constantIbLb1EES12_IbLb0EEEEDaSY_SZ_EUlSY_E_NS1_11comp_targetILNS1_3genE3ELNS1_11target_archE908ELNS1_3gpuE7ELNS1_3repE0EEENS1_30default_config_static_selectorELNS0_4arch9wavefront6targetE0EEEvT1_
                                        ; -- End function
	.set _ZN7rocprim17ROCPRIM_400000_NS6detail17trampoline_kernelINS0_14default_configENS1_27scan_by_key_config_selectorIiiEEZZNS1_16scan_by_key_implILNS1_25lookback_scan_determinismE0ELb1ES3_N6thrust23THRUST_200600_302600_NS6detail15normal_iteratorINS9_10device_ptrIiEEEENSB_INSC_IjEEEENSB_INSC_IfEEEEiNS9_4plusIvEENS9_8equal_toIvEEiEE10hipError_tPvRmT2_T3_T4_T5_mT6_T7_P12ihipStream_tbENKUlT_T0_E_clISt17integral_constantIbLb1EES12_IbLb0EEEEDaSY_SZ_EUlSY_E_NS1_11comp_targetILNS1_3genE3ELNS1_11target_archE908ELNS1_3gpuE7ELNS1_3repE0EEENS1_30default_config_static_selectorELNS0_4arch9wavefront6targetE0EEEvT1_.num_vgpr, 0
	.set _ZN7rocprim17ROCPRIM_400000_NS6detail17trampoline_kernelINS0_14default_configENS1_27scan_by_key_config_selectorIiiEEZZNS1_16scan_by_key_implILNS1_25lookback_scan_determinismE0ELb1ES3_N6thrust23THRUST_200600_302600_NS6detail15normal_iteratorINS9_10device_ptrIiEEEENSB_INSC_IjEEEENSB_INSC_IfEEEEiNS9_4plusIvEENS9_8equal_toIvEEiEE10hipError_tPvRmT2_T3_T4_T5_mT6_T7_P12ihipStream_tbENKUlT_T0_E_clISt17integral_constantIbLb1EES12_IbLb0EEEEDaSY_SZ_EUlSY_E_NS1_11comp_targetILNS1_3genE3ELNS1_11target_archE908ELNS1_3gpuE7ELNS1_3repE0EEENS1_30default_config_static_selectorELNS0_4arch9wavefront6targetE0EEEvT1_.num_agpr, 0
	.set _ZN7rocprim17ROCPRIM_400000_NS6detail17trampoline_kernelINS0_14default_configENS1_27scan_by_key_config_selectorIiiEEZZNS1_16scan_by_key_implILNS1_25lookback_scan_determinismE0ELb1ES3_N6thrust23THRUST_200600_302600_NS6detail15normal_iteratorINS9_10device_ptrIiEEEENSB_INSC_IjEEEENSB_INSC_IfEEEEiNS9_4plusIvEENS9_8equal_toIvEEiEE10hipError_tPvRmT2_T3_T4_T5_mT6_T7_P12ihipStream_tbENKUlT_T0_E_clISt17integral_constantIbLb1EES12_IbLb0EEEEDaSY_SZ_EUlSY_E_NS1_11comp_targetILNS1_3genE3ELNS1_11target_archE908ELNS1_3gpuE7ELNS1_3repE0EEENS1_30default_config_static_selectorELNS0_4arch9wavefront6targetE0EEEvT1_.numbered_sgpr, 0
	.set _ZN7rocprim17ROCPRIM_400000_NS6detail17trampoline_kernelINS0_14default_configENS1_27scan_by_key_config_selectorIiiEEZZNS1_16scan_by_key_implILNS1_25lookback_scan_determinismE0ELb1ES3_N6thrust23THRUST_200600_302600_NS6detail15normal_iteratorINS9_10device_ptrIiEEEENSB_INSC_IjEEEENSB_INSC_IfEEEEiNS9_4plusIvEENS9_8equal_toIvEEiEE10hipError_tPvRmT2_T3_T4_T5_mT6_T7_P12ihipStream_tbENKUlT_T0_E_clISt17integral_constantIbLb1EES12_IbLb0EEEEDaSY_SZ_EUlSY_E_NS1_11comp_targetILNS1_3genE3ELNS1_11target_archE908ELNS1_3gpuE7ELNS1_3repE0EEENS1_30default_config_static_selectorELNS0_4arch9wavefront6targetE0EEEvT1_.num_named_barrier, 0
	.set _ZN7rocprim17ROCPRIM_400000_NS6detail17trampoline_kernelINS0_14default_configENS1_27scan_by_key_config_selectorIiiEEZZNS1_16scan_by_key_implILNS1_25lookback_scan_determinismE0ELb1ES3_N6thrust23THRUST_200600_302600_NS6detail15normal_iteratorINS9_10device_ptrIiEEEENSB_INSC_IjEEEENSB_INSC_IfEEEEiNS9_4plusIvEENS9_8equal_toIvEEiEE10hipError_tPvRmT2_T3_T4_T5_mT6_T7_P12ihipStream_tbENKUlT_T0_E_clISt17integral_constantIbLb1EES12_IbLb0EEEEDaSY_SZ_EUlSY_E_NS1_11comp_targetILNS1_3genE3ELNS1_11target_archE908ELNS1_3gpuE7ELNS1_3repE0EEENS1_30default_config_static_selectorELNS0_4arch9wavefront6targetE0EEEvT1_.private_seg_size, 0
	.set _ZN7rocprim17ROCPRIM_400000_NS6detail17trampoline_kernelINS0_14default_configENS1_27scan_by_key_config_selectorIiiEEZZNS1_16scan_by_key_implILNS1_25lookback_scan_determinismE0ELb1ES3_N6thrust23THRUST_200600_302600_NS6detail15normal_iteratorINS9_10device_ptrIiEEEENSB_INSC_IjEEEENSB_INSC_IfEEEEiNS9_4plusIvEENS9_8equal_toIvEEiEE10hipError_tPvRmT2_T3_T4_T5_mT6_T7_P12ihipStream_tbENKUlT_T0_E_clISt17integral_constantIbLb1EES12_IbLb0EEEEDaSY_SZ_EUlSY_E_NS1_11comp_targetILNS1_3genE3ELNS1_11target_archE908ELNS1_3gpuE7ELNS1_3repE0EEENS1_30default_config_static_selectorELNS0_4arch9wavefront6targetE0EEEvT1_.uses_vcc, 0
	.set _ZN7rocprim17ROCPRIM_400000_NS6detail17trampoline_kernelINS0_14default_configENS1_27scan_by_key_config_selectorIiiEEZZNS1_16scan_by_key_implILNS1_25lookback_scan_determinismE0ELb1ES3_N6thrust23THRUST_200600_302600_NS6detail15normal_iteratorINS9_10device_ptrIiEEEENSB_INSC_IjEEEENSB_INSC_IfEEEEiNS9_4plusIvEENS9_8equal_toIvEEiEE10hipError_tPvRmT2_T3_T4_T5_mT6_T7_P12ihipStream_tbENKUlT_T0_E_clISt17integral_constantIbLb1EES12_IbLb0EEEEDaSY_SZ_EUlSY_E_NS1_11comp_targetILNS1_3genE3ELNS1_11target_archE908ELNS1_3gpuE7ELNS1_3repE0EEENS1_30default_config_static_selectorELNS0_4arch9wavefront6targetE0EEEvT1_.uses_flat_scratch, 0
	.set _ZN7rocprim17ROCPRIM_400000_NS6detail17trampoline_kernelINS0_14default_configENS1_27scan_by_key_config_selectorIiiEEZZNS1_16scan_by_key_implILNS1_25lookback_scan_determinismE0ELb1ES3_N6thrust23THRUST_200600_302600_NS6detail15normal_iteratorINS9_10device_ptrIiEEEENSB_INSC_IjEEEENSB_INSC_IfEEEEiNS9_4plusIvEENS9_8equal_toIvEEiEE10hipError_tPvRmT2_T3_T4_T5_mT6_T7_P12ihipStream_tbENKUlT_T0_E_clISt17integral_constantIbLb1EES12_IbLb0EEEEDaSY_SZ_EUlSY_E_NS1_11comp_targetILNS1_3genE3ELNS1_11target_archE908ELNS1_3gpuE7ELNS1_3repE0EEENS1_30default_config_static_selectorELNS0_4arch9wavefront6targetE0EEEvT1_.has_dyn_sized_stack, 0
	.set _ZN7rocprim17ROCPRIM_400000_NS6detail17trampoline_kernelINS0_14default_configENS1_27scan_by_key_config_selectorIiiEEZZNS1_16scan_by_key_implILNS1_25lookback_scan_determinismE0ELb1ES3_N6thrust23THRUST_200600_302600_NS6detail15normal_iteratorINS9_10device_ptrIiEEEENSB_INSC_IjEEEENSB_INSC_IfEEEEiNS9_4plusIvEENS9_8equal_toIvEEiEE10hipError_tPvRmT2_T3_T4_T5_mT6_T7_P12ihipStream_tbENKUlT_T0_E_clISt17integral_constantIbLb1EES12_IbLb0EEEEDaSY_SZ_EUlSY_E_NS1_11comp_targetILNS1_3genE3ELNS1_11target_archE908ELNS1_3gpuE7ELNS1_3repE0EEENS1_30default_config_static_selectorELNS0_4arch9wavefront6targetE0EEEvT1_.has_recursion, 0
	.set _ZN7rocprim17ROCPRIM_400000_NS6detail17trampoline_kernelINS0_14default_configENS1_27scan_by_key_config_selectorIiiEEZZNS1_16scan_by_key_implILNS1_25lookback_scan_determinismE0ELb1ES3_N6thrust23THRUST_200600_302600_NS6detail15normal_iteratorINS9_10device_ptrIiEEEENSB_INSC_IjEEEENSB_INSC_IfEEEEiNS9_4plusIvEENS9_8equal_toIvEEiEE10hipError_tPvRmT2_T3_T4_T5_mT6_T7_P12ihipStream_tbENKUlT_T0_E_clISt17integral_constantIbLb1EES12_IbLb0EEEEDaSY_SZ_EUlSY_E_NS1_11comp_targetILNS1_3genE3ELNS1_11target_archE908ELNS1_3gpuE7ELNS1_3repE0EEENS1_30default_config_static_selectorELNS0_4arch9wavefront6targetE0EEEvT1_.has_indirect_call, 0
	.section	.AMDGPU.csdata,"",@progbits
; Kernel info:
; codeLenInByte = 0
; TotalNumSgprs: 0
; NumVgprs: 0
; ScratchSize: 0
; MemoryBound: 0
; FloatMode: 240
; IeeeMode: 1
; LDSByteSize: 0 bytes/workgroup (compile time only)
; SGPRBlocks: 0
; VGPRBlocks: 0
; NumSGPRsForWavesPerEU: 1
; NumVGPRsForWavesPerEU: 1
; Occupancy: 16
; WaveLimiterHint : 0
; COMPUTE_PGM_RSRC2:SCRATCH_EN: 0
; COMPUTE_PGM_RSRC2:USER_SGPR: 6
; COMPUTE_PGM_RSRC2:TRAP_HANDLER: 0
; COMPUTE_PGM_RSRC2:TGID_X_EN: 1
; COMPUTE_PGM_RSRC2:TGID_Y_EN: 0
; COMPUTE_PGM_RSRC2:TGID_Z_EN: 0
; COMPUTE_PGM_RSRC2:TIDIG_COMP_CNT: 0
	.section	.text._ZN7rocprim17ROCPRIM_400000_NS6detail17trampoline_kernelINS0_14default_configENS1_27scan_by_key_config_selectorIiiEEZZNS1_16scan_by_key_implILNS1_25lookback_scan_determinismE0ELb1ES3_N6thrust23THRUST_200600_302600_NS6detail15normal_iteratorINS9_10device_ptrIiEEEENSB_INSC_IjEEEENSB_INSC_IfEEEEiNS9_4plusIvEENS9_8equal_toIvEEiEE10hipError_tPvRmT2_T3_T4_T5_mT6_T7_P12ihipStream_tbENKUlT_T0_E_clISt17integral_constantIbLb1EES12_IbLb0EEEEDaSY_SZ_EUlSY_E_NS1_11comp_targetILNS1_3genE2ELNS1_11target_archE906ELNS1_3gpuE6ELNS1_3repE0EEENS1_30default_config_static_selectorELNS0_4arch9wavefront6targetE0EEEvT1_,"axG",@progbits,_ZN7rocprim17ROCPRIM_400000_NS6detail17trampoline_kernelINS0_14default_configENS1_27scan_by_key_config_selectorIiiEEZZNS1_16scan_by_key_implILNS1_25lookback_scan_determinismE0ELb1ES3_N6thrust23THRUST_200600_302600_NS6detail15normal_iteratorINS9_10device_ptrIiEEEENSB_INSC_IjEEEENSB_INSC_IfEEEEiNS9_4plusIvEENS9_8equal_toIvEEiEE10hipError_tPvRmT2_T3_T4_T5_mT6_T7_P12ihipStream_tbENKUlT_T0_E_clISt17integral_constantIbLb1EES12_IbLb0EEEEDaSY_SZ_EUlSY_E_NS1_11comp_targetILNS1_3genE2ELNS1_11target_archE906ELNS1_3gpuE6ELNS1_3repE0EEENS1_30default_config_static_selectorELNS0_4arch9wavefront6targetE0EEEvT1_,comdat
	.protected	_ZN7rocprim17ROCPRIM_400000_NS6detail17trampoline_kernelINS0_14default_configENS1_27scan_by_key_config_selectorIiiEEZZNS1_16scan_by_key_implILNS1_25lookback_scan_determinismE0ELb1ES3_N6thrust23THRUST_200600_302600_NS6detail15normal_iteratorINS9_10device_ptrIiEEEENSB_INSC_IjEEEENSB_INSC_IfEEEEiNS9_4plusIvEENS9_8equal_toIvEEiEE10hipError_tPvRmT2_T3_T4_T5_mT6_T7_P12ihipStream_tbENKUlT_T0_E_clISt17integral_constantIbLb1EES12_IbLb0EEEEDaSY_SZ_EUlSY_E_NS1_11comp_targetILNS1_3genE2ELNS1_11target_archE906ELNS1_3gpuE6ELNS1_3repE0EEENS1_30default_config_static_selectorELNS0_4arch9wavefront6targetE0EEEvT1_ ; -- Begin function _ZN7rocprim17ROCPRIM_400000_NS6detail17trampoline_kernelINS0_14default_configENS1_27scan_by_key_config_selectorIiiEEZZNS1_16scan_by_key_implILNS1_25lookback_scan_determinismE0ELb1ES3_N6thrust23THRUST_200600_302600_NS6detail15normal_iteratorINS9_10device_ptrIiEEEENSB_INSC_IjEEEENSB_INSC_IfEEEEiNS9_4plusIvEENS9_8equal_toIvEEiEE10hipError_tPvRmT2_T3_T4_T5_mT6_T7_P12ihipStream_tbENKUlT_T0_E_clISt17integral_constantIbLb1EES12_IbLb0EEEEDaSY_SZ_EUlSY_E_NS1_11comp_targetILNS1_3genE2ELNS1_11target_archE906ELNS1_3gpuE6ELNS1_3repE0EEENS1_30default_config_static_selectorELNS0_4arch9wavefront6targetE0EEEvT1_
	.globl	_ZN7rocprim17ROCPRIM_400000_NS6detail17trampoline_kernelINS0_14default_configENS1_27scan_by_key_config_selectorIiiEEZZNS1_16scan_by_key_implILNS1_25lookback_scan_determinismE0ELb1ES3_N6thrust23THRUST_200600_302600_NS6detail15normal_iteratorINS9_10device_ptrIiEEEENSB_INSC_IjEEEENSB_INSC_IfEEEEiNS9_4plusIvEENS9_8equal_toIvEEiEE10hipError_tPvRmT2_T3_T4_T5_mT6_T7_P12ihipStream_tbENKUlT_T0_E_clISt17integral_constantIbLb1EES12_IbLb0EEEEDaSY_SZ_EUlSY_E_NS1_11comp_targetILNS1_3genE2ELNS1_11target_archE906ELNS1_3gpuE6ELNS1_3repE0EEENS1_30default_config_static_selectorELNS0_4arch9wavefront6targetE0EEEvT1_
	.p2align	8
	.type	_ZN7rocprim17ROCPRIM_400000_NS6detail17trampoline_kernelINS0_14default_configENS1_27scan_by_key_config_selectorIiiEEZZNS1_16scan_by_key_implILNS1_25lookback_scan_determinismE0ELb1ES3_N6thrust23THRUST_200600_302600_NS6detail15normal_iteratorINS9_10device_ptrIiEEEENSB_INSC_IjEEEENSB_INSC_IfEEEEiNS9_4plusIvEENS9_8equal_toIvEEiEE10hipError_tPvRmT2_T3_T4_T5_mT6_T7_P12ihipStream_tbENKUlT_T0_E_clISt17integral_constantIbLb1EES12_IbLb0EEEEDaSY_SZ_EUlSY_E_NS1_11comp_targetILNS1_3genE2ELNS1_11target_archE906ELNS1_3gpuE6ELNS1_3repE0EEENS1_30default_config_static_selectorELNS0_4arch9wavefront6targetE0EEEvT1_,@function
_ZN7rocprim17ROCPRIM_400000_NS6detail17trampoline_kernelINS0_14default_configENS1_27scan_by_key_config_selectorIiiEEZZNS1_16scan_by_key_implILNS1_25lookback_scan_determinismE0ELb1ES3_N6thrust23THRUST_200600_302600_NS6detail15normal_iteratorINS9_10device_ptrIiEEEENSB_INSC_IjEEEENSB_INSC_IfEEEEiNS9_4plusIvEENS9_8equal_toIvEEiEE10hipError_tPvRmT2_T3_T4_T5_mT6_T7_P12ihipStream_tbENKUlT_T0_E_clISt17integral_constantIbLb1EES12_IbLb0EEEEDaSY_SZ_EUlSY_E_NS1_11comp_targetILNS1_3genE2ELNS1_11target_archE906ELNS1_3gpuE6ELNS1_3repE0EEENS1_30default_config_static_selectorELNS0_4arch9wavefront6targetE0EEEvT1_: ; @_ZN7rocprim17ROCPRIM_400000_NS6detail17trampoline_kernelINS0_14default_configENS1_27scan_by_key_config_selectorIiiEEZZNS1_16scan_by_key_implILNS1_25lookback_scan_determinismE0ELb1ES3_N6thrust23THRUST_200600_302600_NS6detail15normal_iteratorINS9_10device_ptrIiEEEENSB_INSC_IjEEEENSB_INSC_IfEEEEiNS9_4plusIvEENS9_8equal_toIvEEiEE10hipError_tPvRmT2_T3_T4_T5_mT6_T7_P12ihipStream_tbENKUlT_T0_E_clISt17integral_constantIbLb1EES12_IbLb0EEEEDaSY_SZ_EUlSY_E_NS1_11comp_targetILNS1_3genE2ELNS1_11target_archE906ELNS1_3gpuE6ELNS1_3repE0EEENS1_30default_config_static_selectorELNS0_4arch9wavefront6targetE0EEEvT1_
; %bb.0:
	.section	.rodata,"a",@progbits
	.p2align	6, 0x0
	.amdhsa_kernel _ZN7rocprim17ROCPRIM_400000_NS6detail17trampoline_kernelINS0_14default_configENS1_27scan_by_key_config_selectorIiiEEZZNS1_16scan_by_key_implILNS1_25lookback_scan_determinismE0ELb1ES3_N6thrust23THRUST_200600_302600_NS6detail15normal_iteratorINS9_10device_ptrIiEEEENSB_INSC_IjEEEENSB_INSC_IfEEEEiNS9_4plusIvEENS9_8equal_toIvEEiEE10hipError_tPvRmT2_T3_T4_T5_mT6_T7_P12ihipStream_tbENKUlT_T0_E_clISt17integral_constantIbLb1EES12_IbLb0EEEEDaSY_SZ_EUlSY_E_NS1_11comp_targetILNS1_3genE2ELNS1_11target_archE906ELNS1_3gpuE6ELNS1_3repE0EEENS1_30default_config_static_selectorELNS0_4arch9wavefront6targetE0EEEvT1_
		.amdhsa_group_segment_fixed_size 0
		.amdhsa_private_segment_fixed_size 0
		.amdhsa_kernarg_size 112
		.amdhsa_user_sgpr_count 6
		.amdhsa_user_sgpr_private_segment_buffer 1
		.amdhsa_user_sgpr_dispatch_ptr 0
		.amdhsa_user_sgpr_queue_ptr 0
		.amdhsa_user_sgpr_kernarg_segment_ptr 1
		.amdhsa_user_sgpr_dispatch_id 0
		.amdhsa_user_sgpr_flat_scratch_init 0
		.amdhsa_user_sgpr_private_segment_size 0
		.amdhsa_wavefront_size32 1
		.amdhsa_uses_dynamic_stack 0
		.amdhsa_system_sgpr_private_segment_wavefront_offset 0
		.amdhsa_system_sgpr_workgroup_id_x 1
		.amdhsa_system_sgpr_workgroup_id_y 0
		.amdhsa_system_sgpr_workgroup_id_z 0
		.amdhsa_system_sgpr_workgroup_info 0
		.amdhsa_system_vgpr_workitem_id 0
		.amdhsa_next_free_vgpr 1
		.amdhsa_next_free_sgpr 1
		.amdhsa_reserve_vcc 0
		.amdhsa_reserve_flat_scratch 0
		.amdhsa_float_round_mode_32 0
		.amdhsa_float_round_mode_16_64 0
		.amdhsa_float_denorm_mode_32 3
		.amdhsa_float_denorm_mode_16_64 3
		.amdhsa_dx10_clamp 1
		.amdhsa_ieee_mode 1
		.amdhsa_fp16_overflow 0
		.amdhsa_workgroup_processor_mode 1
		.amdhsa_memory_ordered 1
		.amdhsa_forward_progress 1
		.amdhsa_shared_vgpr_count 0
		.amdhsa_exception_fp_ieee_invalid_op 0
		.amdhsa_exception_fp_denorm_src 0
		.amdhsa_exception_fp_ieee_div_zero 0
		.amdhsa_exception_fp_ieee_overflow 0
		.amdhsa_exception_fp_ieee_underflow 0
		.amdhsa_exception_fp_ieee_inexact 0
		.amdhsa_exception_int_div_zero 0
	.end_amdhsa_kernel
	.section	.text._ZN7rocprim17ROCPRIM_400000_NS6detail17trampoline_kernelINS0_14default_configENS1_27scan_by_key_config_selectorIiiEEZZNS1_16scan_by_key_implILNS1_25lookback_scan_determinismE0ELb1ES3_N6thrust23THRUST_200600_302600_NS6detail15normal_iteratorINS9_10device_ptrIiEEEENSB_INSC_IjEEEENSB_INSC_IfEEEEiNS9_4plusIvEENS9_8equal_toIvEEiEE10hipError_tPvRmT2_T3_T4_T5_mT6_T7_P12ihipStream_tbENKUlT_T0_E_clISt17integral_constantIbLb1EES12_IbLb0EEEEDaSY_SZ_EUlSY_E_NS1_11comp_targetILNS1_3genE2ELNS1_11target_archE906ELNS1_3gpuE6ELNS1_3repE0EEENS1_30default_config_static_selectorELNS0_4arch9wavefront6targetE0EEEvT1_,"axG",@progbits,_ZN7rocprim17ROCPRIM_400000_NS6detail17trampoline_kernelINS0_14default_configENS1_27scan_by_key_config_selectorIiiEEZZNS1_16scan_by_key_implILNS1_25lookback_scan_determinismE0ELb1ES3_N6thrust23THRUST_200600_302600_NS6detail15normal_iteratorINS9_10device_ptrIiEEEENSB_INSC_IjEEEENSB_INSC_IfEEEEiNS9_4plusIvEENS9_8equal_toIvEEiEE10hipError_tPvRmT2_T3_T4_T5_mT6_T7_P12ihipStream_tbENKUlT_T0_E_clISt17integral_constantIbLb1EES12_IbLb0EEEEDaSY_SZ_EUlSY_E_NS1_11comp_targetILNS1_3genE2ELNS1_11target_archE906ELNS1_3gpuE6ELNS1_3repE0EEENS1_30default_config_static_selectorELNS0_4arch9wavefront6targetE0EEEvT1_,comdat
.Lfunc_end1739:
	.size	_ZN7rocprim17ROCPRIM_400000_NS6detail17trampoline_kernelINS0_14default_configENS1_27scan_by_key_config_selectorIiiEEZZNS1_16scan_by_key_implILNS1_25lookback_scan_determinismE0ELb1ES3_N6thrust23THRUST_200600_302600_NS6detail15normal_iteratorINS9_10device_ptrIiEEEENSB_INSC_IjEEEENSB_INSC_IfEEEEiNS9_4plusIvEENS9_8equal_toIvEEiEE10hipError_tPvRmT2_T3_T4_T5_mT6_T7_P12ihipStream_tbENKUlT_T0_E_clISt17integral_constantIbLb1EES12_IbLb0EEEEDaSY_SZ_EUlSY_E_NS1_11comp_targetILNS1_3genE2ELNS1_11target_archE906ELNS1_3gpuE6ELNS1_3repE0EEENS1_30default_config_static_selectorELNS0_4arch9wavefront6targetE0EEEvT1_, .Lfunc_end1739-_ZN7rocprim17ROCPRIM_400000_NS6detail17trampoline_kernelINS0_14default_configENS1_27scan_by_key_config_selectorIiiEEZZNS1_16scan_by_key_implILNS1_25lookback_scan_determinismE0ELb1ES3_N6thrust23THRUST_200600_302600_NS6detail15normal_iteratorINS9_10device_ptrIiEEEENSB_INSC_IjEEEENSB_INSC_IfEEEEiNS9_4plusIvEENS9_8equal_toIvEEiEE10hipError_tPvRmT2_T3_T4_T5_mT6_T7_P12ihipStream_tbENKUlT_T0_E_clISt17integral_constantIbLb1EES12_IbLb0EEEEDaSY_SZ_EUlSY_E_NS1_11comp_targetILNS1_3genE2ELNS1_11target_archE906ELNS1_3gpuE6ELNS1_3repE0EEENS1_30default_config_static_selectorELNS0_4arch9wavefront6targetE0EEEvT1_
                                        ; -- End function
	.set _ZN7rocprim17ROCPRIM_400000_NS6detail17trampoline_kernelINS0_14default_configENS1_27scan_by_key_config_selectorIiiEEZZNS1_16scan_by_key_implILNS1_25lookback_scan_determinismE0ELb1ES3_N6thrust23THRUST_200600_302600_NS6detail15normal_iteratorINS9_10device_ptrIiEEEENSB_INSC_IjEEEENSB_INSC_IfEEEEiNS9_4plusIvEENS9_8equal_toIvEEiEE10hipError_tPvRmT2_T3_T4_T5_mT6_T7_P12ihipStream_tbENKUlT_T0_E_clISt17integral_constantIbLb1EES12_IbLb0EEEEDaSY_SZ_EUlSY_E_NS1_11comp_targetILNS1_3genE2ELNS1_11target_archE906ELNS1_3gpuE6ELNS1_3repE0EEENS1_30default_config_static_selectorELNS0_4arch9wavefront6targetE0EEEvT1_.num_vgpr, 0
	.set _ZN7rocprim17ROCPRIM_400000_NS6detail17trampoline_kernelINS0_14default_configENS1_27scan_by_key_config_selectorIiiEEZZNS1_16scan_by_key_implILNS1_25lookback_scan_determinismE0ELb1ES3_N6thrust23THRUST_200600_302600_NS6detail15normal_iteratorINS9_10device_ptrIiEEEENSB_INSC_IjEEEENSB_INSC_IfEEEEiNS9_4plusIvEENS9_8equal_toIvEEiEE10hipError_tPvRmT2_T3_T4_T5_mT6_T7_P12ihipStream_tbENKUlT_T0_E_clISt17integral_constantIbLb1EES12_IbLb0EEEEDaSY_SZ_EUlSY_E_NS1_11comp_targetILNS1_3genE2ELNS1_11target_archE906ELNS1_3gpuE6ELNS1_3repE0EEENS1_30default_config_static_selectorELNS0_4arch9wavefront6targetE0EEEvT1_.num_agpr, 0
	.set _ZN7rocprim17ROCPRIM_400000_NS6detail17trampoline_kernelINS0_14default_configENS1_27scan_by_key_config_selectorIiiEEZZNS1_16scan_by_key_implILNS1_25lookback_scan_determinismE0ELb1ES3_N6thrust23THRUST_200600_302600_NS6detail15normal_iteratorINS9_10device_ptrIiEEEENSB_INSC_IjEEEENSB_INSC_IfEEEEiNS9_4plusIvEENS9_8equal_toIvEEiEE10hipError_tPvRmT2_T3_T4_T5_mT6_T7_P12ihipStream_tbENKUlT_T0_E_clISt17integral_constantIbLb1EES12_IbLb0EEEEDaSY_SZ_EUlSY_E_NS1_11comp_targetILNS1_3genE2ELNS1_11target_archE906ELNS1_3gpuE6ELNS1_3repE0EEENS1_30default_config_static_selectorELNS0_4arch9wavefront6targetE0EEEvT1_.numbered_sgpr, 0
	.set _ZN7rocprim17ROCPRIM_400000_NS6detail17trampoline_kernelINS0_14default_configENS1_27scan_by_key_config_selectorIiiEEZZNS1_16scan_by_key_implILNS1_25lookback_scan_determinismE0ELb1ES3_N6thrust23THRUST_200600_302600_NS6detail15normal_iteratorINS9_10device_ptrIiEEEENSB_INSC_IjEEEENSB_INSC_IfEEEEiNS9_4plusIvEENS9_8equal_toIvEEiEE10hipError_tPvRmT2_T3_T4_T5_mT6_T7_P12ihipStream_tbENKUlT_T0_E_clISt17integral_constantIbLb1EES12_IbLb0EEEEDaSY_SZ_EUlSY_E_NS1_11comp_targetILNS1_3genE2ELNS1_11target_archE906ELNS1_3gpuE6ELNS1_3repE0EEENS1_30default_config_static_selectorELNS0_4arch9wavefront6targetE0EEEvT1_.num_named_barrier, 0
	.set _ZN7rocprim17ROCPRIM_400000_NS6detail17trampoline_kernelINS0_14default_configENS1_27scan_by_key_config_selectorIiiEEZZNS1_16scan_by_key_implILNS1_25lookback_scan_determinismE0ELb1ES3_N6thrust23THRUST_200600_302600_NS6detail15normal_iteratorINS9_10device_ptrIiEEEENSB_INSC_IjEEEENSB_INSC_IfEEEEiNS9_4plusIvEENS9_8equal_toIvEEiEE10hipError_tPvRmT2_T3_T4_T5_mT6_T7_P12ihipStream_tbENKUlT_T0_E_clISt17integral_constantIbLb1EES12_IbLb0EEEEDaSY_SZ_EUlSY_E_NS1_11comp_targetILNS1_3genE2ELNS1_11target_archE906ELNS1_3gpuE6ELNS1_3repE0EEENS1_30default_config_static_selectorELNS0_4arch9wavefront6targetE0EEEvT1_.private_seg_size, 0
	.set _ZN7rocprim17ROCPRIM_400000_NS6detail17trampoline_kernelINS0_14default_configENS1_27scan_by_key_config_selectorIiiEEZZNS1_16scan_by_key_implILNS1_25lookback_scan_determinismE0ELb1ES3_N6thrust23THRUST_200600_302600_NS6detail15normal_iteratorINS9_10device_ptrIiEEEENSB_INSC_IjEEEENSB_INSC_IfEEEEiNS9_4plusIvEENS9_8equal_toIvEEiEE10hipError_tPvRmT2_T3_T4_T5_mT6_T7_P12ihipStream_tbENKUlT_T0_E_clISt17integral_constantIbLb1EES12_IbLb0EEEEDaSY_SZ_EUlSY_E_NS1_11comp_targetILNS1_3genE2ELNS1_11target_archE906ELNS1_3gpuE6ELNS1_3repE0EEENS1_30default_config_static_selectorELNS0_4arch9wavefront6targetE0EEEvT1_.uses_vcc, 0
	.set _ZN7rocprim17ROCPRIM_400000_NS6detail17trampoline_kernelINS0_14default_configENS1_27scan_by_key_config_selectorIiiEEZZNS1_16scan_by_key_implILNS1_25lookback_scan_determinismE0ELb1ES3_N6thrust23THRUST_200600_302600_NS6detail15normal_iteratorINS9_10device_ptrIiEEEENSB_INSC_IjEEEENSB_INSC_IfEEEEiNS9_4plusIvEENS9_8equal_toIvEEiEE10hipError_tPvRmT2_T3_T4_T5_mT6_T7_P12ihipStream_tbENKUlT_T0_E_clISt17integral_constantIbLb1EES12_IbLb0EEEEDaSY_SZ_EUlSY_E_NS1_11comp_targetILNS1_3genE2ELNS1_11target_archE906ELNS1_3gpuE6ELNS1_3repE0EEENS1_30default_config_static_selectorELNS0_4arch9wavefront6targetE0EEEvT1_.uses_flat_scratch, 0
	.set _ZN7rocprim17ROCPRIM_400000_NS6detail17trampoline_kernelINS0_14default_configENS1_27scan_by_key_config_selectorIiiEEZZNS1_16scan_by_key_implILNS1_25lookback_scan_determinismE0ELb1ES3_N6thrust23THRUST_200600_302600_NS6detail15normal_iteratorINS9_10device_ptrIiEEEENSB_INSC_IjEEEENSB_INSC_IfEEEEiNS9_4plusIvEENS9_8equal_toIvEEiEE10hipError_tPvRmT2_T3_T4_T5_mT6_T7_P12ihipStream_tbENKUlT_T0_E_clISt17integral_constantIbLb1EES12_IbLb0EEEEDaSY_SZ_EUlSY_E_NS1_11comp_targetILNS1_3genE2ELNS1_11target_archE906ELNS1_3gpuE6ELNS1_3repE0EEENS1_30default_config_static_selectorELNS0_4arch9wavefront6targetE0EEEvT1_.has_dyn_sized_stack, 0
	.set _ZN7rocprim17ROCPRIM_400000_NS6detail17trampoline_kernelINS0_14default_configENS1_27scan_by_key_config_selectorIiiEEZZNS1_16scan_by_key_implILNS1_25lookback_scan_determinismE0ELb1ES3_N6thrust23THRUST_200600_302600_NS6detail15normal_iteratorINS9_10device_ptrIiEEEENSB_INSC_IjEEEENSB_INSC_IfEEEEiNS9_4plusIvEENS9_8equal_toIvEEiEE10hipError_tPvRmT2_T3_T4_T5_mT6_T7_P12ihipStream_tbENKUlT_T0_E_clISt17integral_constantIbLb1EES12_IbLb0EEEEDaSY_SZ_EUlSY_E_NS1_11comp_targetILNS1_3genE2ELNS1_11target_archE906ELNS1_3gpuE6ELNS1_3repE0EEENS1_30default_config_static_selectorELNS0_4arch9wavefront6targetE0EEEvT1_.has_recursion, 0
	.set _ZN7rocprim17ROCPRIM_400000_NS6detail17trampoline_kernelINS0_14default_configENS1_27scan_by_key_config_selectorIiiEEZZNS1_16scan_by_key_implILNS1_25lookback_scan_determinismE0ELb1ES3_N6thrust23THRUST_200600_302600_NS6detail15normal_iteratorINS9_10device_ptrIiEEEENSB_INSC_IjEEEENSB_INSC_IfEEEEiNS9_4plusIvEENS9_8equal_toIvEEiEE10hipError_tPvRmT2_T3_T4_T5_mT6_T7_P12ihipStream_tbENKUlT_T0_E_clISt17integral_constantIbLb1EES12_IbLb0EEEEDaSY_SZ_EUlSY_E_NS1_11comp_targetILNS1_3genE2ELNS1_11target_archE906ELNS1_3gpuE6ELNS1_3repE0EEENS1_30default_config_static_selectorELNS0_4arch9wavefront6targetE0EEEvT1_.has_indirect_call, 0
	.section	.AMDGPU.csdata,"",@progbits
; Kernel info:
; codeLenInByte = 0
; TotalNumSgprs: 0
; NumVgprs: 0
; ScratchSize: 0
; MemoryBound: 0
; FloatMode: 240
; IeeeMode: 1
; LDSByteSize: 0 bytes/workgroup (compile time only)
; SGPRBlocks: 0
; VGPRBlocks: 0
; NumSGPRsForWavesPerEU: 1
; NumVGPRsForWavesPerEU: 1
; Occupancy: 16
; WaveLimiterHint : 0
; COMPUTE_PGM_RSRC2:SCRATCH_EN: 0
; COMPUTE_PGM_RSRC2:USER_SGPR: 6
; COMPUTE_PGM_RSRC2:TRAP_HANDLER: 0
; COMPUTE_PGM_RSRC2:TGID_X_EN: 1
; COMPUTE_PGM_RSRC2:TGID_Y_EN: 0
; COMPUTE_PGM_RSRC2:TGID_Z_EN: 0
; COMPUTE_PGM_RSRC2:TIDIG_COMP_CNT: 0
	.section	.text._ZN7rocprim17ROCPRIM_400000_NS6detail17trampoline_kernelINS0_14default_configENS1_27scan_by_key_config_selectorIiiEEZZNS1_16scan_by_key_implILNS1_25lookback_scan_determinismE0ELb1ES3_N6thrust23THRUST_200600_302600_NS6detail15normal_iteratorINS9_10device_ptrIiEEEENSB_INSC_IjEEEENSB_INSC_IfEEEEiNS9_4plusIvEENS9_8equal_toIvEEiEE10hipError_tPvRmT2_T3_T4_T5_mT6_T7_P12ihipStream_tbENKUlT_T0_E_clISt17integral_constantIbLb1EES12_IbLb0EEEEDaSY_SZ_EUlSY_E_NS1_11comp_targetILNS1_3genE10ELNS1_11target_archE1200ELNS1_3gpuE4ELNS1_3repE0EEENS1_30default_config_static_selectorELNS0_4arch9wavefront6targetE0EEEvT1_,"axG",@progbits,_ZN7rocprim17ROCPRIM_400000_NS6detail17trampoline_kernelINS0_14default_configENS1_27scan_by_key_config_selectorIiiEEZZNS1_16scan_by_key_implILNS1_25lookback_scan_determinismE0ELb1ES3_N6thrust23THRUST_200600_302600_NS6detail15normal_iteratorINS9_10device_ptrIiEEEENSB_INSC_IjEEEENSB_INSC_IfEEEEiNS9_4plusIvEENS9_8equal_toIvEEiEE10hipError_tPvRmT2_T3_T4_T5_mT6_T7_P12ihipStream_tbENKUlT_T0_E_clISt17integral_constantIbLb1EES12_IbLb0EEEEDaSY_SZ_EUlSY_E_NS1_11comp_targetILNS1_3genE10ELNS1_11target_archE1200ELNS1_3gpuE4ELNS1_3repE0EEENS1_30default_config_static_selectorELNS0_4arch9wavefront6targetE0EEEvT1_,comdat
	.protected	_ZN7rocprim17ROCPRIM_400000_NS6detail17trampoline_kernelINS0_14default_configENS1_27scan_by_key_config_selectorIiiEEZZNS1_16scan_by_key_implILNS1_25lookback_scan_determinismE0ELb1ES3_N6thrust23THRUST_200600_302600_NS6detail15normal_iteratorINS9_10device_ptrIiEEEENSB_INSC_IjEEEENSB_INSC_IfEEEEiNS9_4plusIvEENS9_8equal_toIvEEiEE10hipError_tPvRmT2_T3_T4_T5_mT6_T7_P12ihipStream_tbENKUlT_T0_E_clISt17integral_constantIbLb1EES12_IbLb0EEEEDaSY_SZ_EUlSY_E_NS1_11comp_targetILNS1_3genE10ELNS1_11target_archE1200ELNS1_3gpuE4ELNS1_3repE0EEENS1_30default_config_static_selectorELNS0_4arch9wavefront6targetE0EEEvT1_ ; -- Begin function _ZN7rocprim17ROCPRIM_400000_NS6detail17trampoline_kernelINS0_14default_configENS1_27scan_by_key_config_selectorIiiEEZZNS1_16scan_by_key_implILNS1_25lookback_scan_determinismE0ELb1ES3_N6thrust23THRUST_200600_302600_NS6detail15normal_iteratorINS9_10device_ptrIiEEEENSB_INSC_IjEEEENSB_INSC_IfEEEEiNS9_4plusIvEENS9_8equal_toIvEEiEE10hipError_tPvRmT2_T3_T4_T5_mT6_T7_P12ihipStream_tbENKUlT_T0_E_clISt17integral_constantIbLb1EES12_IbLb0EEEEDaSY_SZ_EUlSY_E_NS1_11comp_targetILNS1_3genE10ELNS1_11target_archE1200ELNS1_3gpuE4ELNS1_3repE0EEENS1_30default_config_static_selectorELNS0_4arch9wavefront6targetE0EEEvT1_
	.globl	_ZN7rocprim17ROCPRIM_400000_NS6detail17trampoline_kernelINS0_14default_configENS1_27scan_by_key_config_selectorIiiEEZZNS1_16scan_by_key_implILNS1_25lookback_scan_determinismE0ELb1ES3_N6thrust23THRUST_200600_302600_NS6detail15normal_iteratorINS9_10device_ptrIiEEEENSB_INSC_IjEEEENSB_INSC_IfEEEEiNS9_4plusIvEENS9_8equal_toIvEEiEE10hipError_tPvRmT2_T3_T4_T5_mT6_T7_P12ihipStream_tbENKUlT_T0_E_clISt17integral_constantIbLb1EES12_IbLb0EEEEDaSY_SZ_EUlSY_E_NS1_11comp_targetILNS1_3genE10ELNS1_11target_archE1200ELNS1_3gpuE4ELNS1_3repE0EEENS1_30default_config_static_selectorELNS0_4arch9wavefront6targetE0EEEvT1_
	.p2align	8
	.type	_ZN7rocprim17ROCPRIM_400000_NS6detail17trampoline_kernelINS0_14default_configENS1_27scan_by_key_config_selectorIiiEEZZNS1_16scan_by_key_implILNS1_25lookback_scan_determinismE0ELb1ES3_N6thrust23THRUST_200600_302600_NS6detail15normal_iteratorINS9_10device_ptrIiEEEENSB_INSC_IjEEEENSB_INSC_IfEEEEiNS9_4plusIvEENS9_8equal_toIvEEiEE10hipError_tPvRmT2_T3_T4_T5_mT6_T7_P12ihipStream_tbENKUlT_T0_E_clISt17integral_constantIbLb1EES12_IbLb0EEEEDaSY_SZ_EUlSY_E_NS1_11comp_targetILNS1_3genE10ELNS1_11target_archE1200ELNS1_3gpuE4ELNS1_3repE0EEENS1_30default_config_static_selectorELNS0_4arch9wavefront6targetE0EEEvT1_,@function
_ZN7rocprim17ROCPRIM_400000_NS6detail17trampoline_kernelINS0_14default_configENS1_27scan_by_key_config_selectorIiiEEZZNS1_16scan_by_key_implILNS1_25lookback_scan_determinismE0ELb1ES3_N6thrust23THRUST_200600_302600_NS6detail15normal_iteratorINS9_10device_ptrIiEEEENSB_INSC_IjEEEENSB_INSC_IfEEEEiNS9_4plusIvEENS9_8equal_toIvEEiEE10hipError_tPvRmT2_T3_T4_T5_mT6_T7_P12ihipStream_tbENKUlT_T0_E_clISt17integral_constantIbLb1EES12_IbLb0EEEEDaSY_SZ_EUlSY_E_NS1_11comp_targetILNS1_3genE10ELNS1_11target_archE1200ELNS1_3gpuE4ELNS1_3repE0EEENS1_30default_config_static_selectorELNS0_4arch9wavefront6targetE0EEEvT1_: ; @_ZN7rocprim17ROCPRIM_400000_NS6detail17trampoline_kernelINS0_14default_configENS1_27scan_by_key_config_selectorIiiEEZZNS1_16scan_by_key_implILNS1_25lookback_scan_determinismE0ELb1ES3_N6thrust23THRUST_200600_302600_NS6detail15normal_iteratorINS9_10device_ptrIiEEEENSB_INSC_IjEEEENSB_INSC_IfEEEEiNS9_4plusIvEENS9_8equal_toIvEEiEE10hipError_tPvRmT2_T3_T4_T5_mT6_T7_P12ihipStream_tbENKUlT_T0_E_clISt17integral_constantIbLb1EES12_IbLb0EEEEDaSY_SZ_EUlSY_E_NS1_11comp_targetILNS1_3genE10ELNS1_11target_archE1200ELNS1_3gpuE4ELNS1_3repE0EEENS1_30default_config_static_selectorELNS0_4arch9wavefront6targetE0EEEvT1_
; %bb.0:
	.section	.rodata,"a",@progbits
	.p2align	6, 0x0
	.amdhsa_kernel _ZN7rocprim17ROCPRIM_400000_NS6detail17trampoline_kernelINS0_14default_configENS1_27scan_by_key_config_selectorIiiEEZZNS1_16scan_by_key_implILNS1_25lookback_scan_determinismE0ELb1ES3_N6thrust23THRUST_200600_302600_NS6detail15normal_iteratorINS9_10device_ptrIiEEEENSB_INSC_IjEEEENSB_INSC_IfEEEEiNS9_4plusIvEENS9_8equal_toIvEEiEE10hipError_tPvRmT2_T3_T4_T5_mT6_T7_P12ihipStream_tbENKUlT_T0_E_clISt17integral_constantIbLb1EES12_IbLb0EEEEDaSY_SZ_EUlSY_E_NS1_11comp_targetILNS1_3genE10ELNS1_11target_archE1200ELNS1_3gpuE4ELNS1_3repE0EEENS1_30default_config_static_selectorELNS0_4arch9wavefront6targetE0EEEvT1_
		.amdhsa_group_segment_fixed_size 0
		.amdhsa_private_segment_fixed_size 0
		.amdhsa_kernarg_size 112
		.amdhsa_user_sgpr_count 6
		.amdhsa_user_sgpr_private_segment_buffer 1
		.amdhsa_user_sgpr_dispatch_ptr 0
		.amdhsa_user_sgpr_queue_ptr 0
		.amdhsa_user_sgpr_kernarg_segment_ptr 1
		.amdhsa_user_sgpr_dispatch_id 0
		.amdhsa_user_sgpr_flat_scratch_init 0
		.amdhsa_user_sgpr_private_segment_size 0
		.amdhsa_wavefront_size32 1
		.amdhsa_uses_dynamic_stack 0
		.amdhsa_system_sgpr_private_segment_wavefront_offset 0
		.amdhsa_system_sgpr_workgroup_id_x 1
		.amdhsa_system_sgpr_workgroup_id_y 0
		.amdhsa_system_sgpr_workgroup_id_z 0
		.amdhsa_system_sgpr_workgroup_info 0
		.amdhsa_system_vgpr_workitem_id 0
		.amdhsa_next_free_vgpr 1
		.amdhsa_next_free_sgpr 1
		.amdhsa_reserve_vcc 0
		.amdhsa_reserve_flat_scratch 0
		.amdhsa_float_round_mode_32 0
		.amdhsa_float_round_mode_16_64 0
		.amdhsa_float_denorm_mode_32 3
		.amdhsa_float_denorm_mode_16_64 3
		.amdhsa_dx10_clamp 1
		.amdhsa_ieee_mode 1
		.amdhsa_fp16_overflow 0
		.amdhsa_workgroup_processor_mode 1
		.amdhsa_memory_ordered 1
		.amdhsa_forward_progress 1
		.amdhsa_shared_vgpr_count 0
		.amdhsa_exception_fp_ieee_invalid_op 0
		.amdhsa_exception_fp_denorm_src 0
		.amdhsa_exception_fp_ieee_div_zero 0
		.amdhsa_exception_fp_ieee_overflow 0
		.amdhsa_exception_fp_ieee_underflow 0
		.amdhsa_exception_fp_ieee_inexact 0
		.amdhsa_exception_int_div_zero 0
	.end_amdhsa_kernel
	.section	.text._ZN7rocprim17ROCPRIM_400000_NS6detail17trampoline_kernelINS0_14default_configENS1_27scan_by_key_config_selectorIiiEEZZNS1_16scan_by_key_implILNS1_25lookback_scan_determinismE0ELb1ES3_N6thrust23THRUST_200600_302600_NS6detail15normal_iteratorINS9_10device_ptrIiEEEENSB_INSC_IjEEEENSB_INSC_IfEEEEiNS9_4plusIvEENS9_8equal_toIvEEiEE10hipError_tPvRmT2_T3_T4_T5_mT6_T7_P12ihipStream_tbENKUlT_T0_E_clISt17integral_constantIbLb1EES12_IbLb0EEEEDaSY_SZ_EUlSY_E_NS1_11comp_targetILNS1_3genE10ELNS1_11target_archE1200ELNS1_3gpuE4ELNS1_3repE0EEENS1_30default_config_static_selectorELNS0_4arch9wavefront6targetE0EEEvT1_,"axG",@progbits,_ZN7rocprim17ROCPRIM_400000_NS6detail17trampoline_kernelINS0_14default_configENS1_27scan_by_key_config_selectorIiiEEZZNS1_16scan_by_key_implILNS1_25lookback_scan_determinismE0ELb1ES3_N6thrust23THRUST_200600_302600_NS6detail15normal_iteratorINS9_10device_ptrIiEEEENSB_INSC_IjEEEENSB_INSC_IfEEEEiNS9_4plusIvEENS9_8equal_toIvEEiEE10hipError_tPvRmT2_T3_T4_T5_mT6_T7_P12ihipStream_tbENKUlT_T0_E_clISt17integral_constantIbLb1EES12_IbLb0EEEEDaSY_SZ_EUlSY_E_NS1_11comp_targetILNS1_3genE10ELNS1_11target_archE1200ELNS1_3gpuE4ELNS1_3repE0EEENS1_30default_config_static_selectorELNS0_4arch9wavefront6targetE0EEEvT1_,comdat
.Lfunc_end1740:
	.size	_ZN7rocprim17ROCPRIM_400000_NS6detail17trampoline_kernelINS0_14default_configENS1_27scan_by_key_config_selectorIiiEEZZNS1_16scan_by_key_implILNS1_25lookback_scan_determinismE0ELb1ES3_N6thrust23THRUST_200600_302600_NS6detail15normal_iteratorINS9_10device_ptrIiEEEENSB_INSC_IjEEEENSB_INSC_IfEEEEiNS9_4plusIvEENS9_8equal_toIvEEiEE10hipError_tPvRmT2_T3_T4_T5_mT6_T7_P12ihipStream_tbENKUlT_T0_E_clISt17integral_constantIbLb1EES12_IbLb0EEEEDaSY_SZ_EUlSY_E_NS1_11comp_targetILNS1_3genE10ELNS1_11target_archE1200ELNS1_3gpuE4ELNS1_3repE0EEENS1_30default_config_static_selectorELNS0_4arch9wavefront6targetE0EEEvT1_, .Lfunc_end1740-_ZN7rocprim17ROCPRIM_400000_NS6detail17trampoline_kernelINS0_14default_configENS1_27scan_by_key_config_selectorIiiEEZZNS1_16scan_by_key_implILNS1_25lookback_scan_determinismE0ELb1ES3_N6thrust23THRUST_200600_302600_NS6detail15normal_iteratorINS9_10device_ptrIiEEEENSB_INSC_IjEEEENSB_INSC_IfEEEEiNS9_4plusIvEENS9_8equal_toIvEEiEE10hipError_tPvRmT2_T3_T4_T5_mT6_T7_P12ihipStream_tbENKUlT_T0_E_clISt17integral_constantIbLb1EES12_IbLb0EEEEDaSY_SZ_EUlSY_E_NS1_11comp_targetILNS1_3genE10ELNS1_11target_archE1200ELNS1_3gpuE4ELNS1_3repE0EEENS1_30default_config_static_selectorELNS0_4arch9wavefront6targetE0EEEvT1_
                                        ; -- End function
	.set _ZN7rocprim17ROCPRIM_400000_NS6detail17trampoline_kernelINS0_14default_configENS1_27scan_by_key_config_selectorIiiEEZZNS1_16scan_by_key_implILNS1_25lookback_scan_determinismE0ELb1ES3_N6thrust23THRUST_200600_302600_NS6detail15normal_iteratorINS9_10device_ptrIiEEEENSB_INSC_IjEEEENSB_INSC_IfEEEEiNS9_4plusIvEENS9_8equal_toIvEEiEE10hipError_tPvRmT2_T3_T4_T5_mT6_T7_P12ihipStream_tbENKUlT_T0_E_clISt17integral_constantIbLb1EES12_IbLb0EEEEDaSY_SZ_EUlSY_E_NS1_11comp_targetILNS1_3genE10ELNS1_11target_archE1200ELNS1_3gpuE4ELNS1_3repE0EEENS1_30default_config_static_selectorELNS0_4arch9wavefront6targetE0EEEvT1_.num_vgpr, 0
	.set _ZN7rocprim17ROCPRIM_400000_NS6detail17trampoline_kernelINS0_14default_configENS1_27scan_by_key_config_selectorIiiEEZZNS1_16scan_by_key_implILNS1_25lookback_scan_determinismE0ELb1ES3_N6thrust23THRUST_200600_302600_NS6detail15normal_iteratorINS9_10device_ptrIiEEEENSB_INSC_IjEEEENSB_INSC_IfEEEEiNS9_4plusIvEENS9_8equal_toIvEEiEE10hipError_tPvRmT2_T3_T4_T5_mT6_T7_P12ihipStream_tbENKUlT_T0_E_clISt17integral_constantIbLb1EES12_IbLb0EEEEDaSY_SZ_EUlSY_E_NS1_11comp_targetILNS1_3genE10ELNS1_11target_archE1200ELNS1_3gpuE4ELNS1_3repE0EEENS1_30default_config_static_selectorELNS0_4arch9wavefront6targetE0EEEvT1_.num_agpr, 0
	.set _ZN7rocprim17ROCPRIM_400000_NS6detail17trampoline_kernelINS0_14default_configENS1_27scan_by_key_config_selectorIiiEEZZNS1_16scan_by_key_implILNS1_25lookback_scan_determinismE0ELb1ES3_N6thrust23THRUST_200600_302600_NS6detail15normal_iteratorINS9_10device_ptrIiEEEENSB_INSC_IjEEEENSB_INSC_IfEEEEiNS9_4plusIvEENS9_8equal_toIvEEiEE10hipError_tPvRmT2_T3_T4_T5_mT6_T7_P12ihipStream_tbENKUlT_T0_E_clISt17integral_constantIbLb1EES12_IbLb0EEEEDaSY_SZ_EUlSY_E_NS1_11comp_targetILNS1_3genE10ELNS1_11target_archE1200ELNS1_3gpuE4ELNS1_3repE0EEENS1_30default_config_static_selectorELNS0_4arch9wavefront6targetE0EEEvT1_.numbered_sgpr, 0
	.set _ZN7rocprim17ROCPRIM_400000_NS6detail17trampoline_kernelINS0_14default_configENS1_27scan_by_key_config_selectorIiiEEZZNS1_16scan_by_key_implILNS1_25lookback_scan_determinismE0ELb1ES3_N6thrust23THRUST_200600_302600_NS6detail15normal_iteratorINS9_10device_ptrIiEEEENSB_INSC_IjEEEENSB_INSC_IfEEEEiNS9_4plusIvEENS9_8equal_toIvEEiEE10hipError_tPvRmT2_T3_T4_T5_mT6_T7_P12ihipStream_tbENKUlT_T0_E_clISt17integral_constantIbLb1EES12_IbLb0EEEEDaSY_SZ_EUlSY_E_NS1_11comp_targetILNS1_3genE10ELNS1_11target_archE1200ELNS1_3gpuE4ELNS1_3repE0EEENS1_30default_config_static_selectorELNS0_4arch9wavefront6targetE0EEEvT1_.num_named_barrier, 0
	.set _ZN7rocprim17ROCPRIM_400000_NS6detail17trampoline_kernelINS0_14default_configENS1_27scan_by_key_config_selectorIiiEEZZNS1_16scan_by_key_implILNS1_25lookback_scan_determinismE0ELb1ES3_N6thrust23THRUST_200600_302600_NS6detail15normal_iteratorINS9_10device_ptrIiEEEENSB_INSC_IjEEEENSB_INSC_IfEEEEiNS9_4plusIvEENS9_8equal_toIvEEiEE10hipError_tPvRmT2_T3_T4_T5_mT6_T7_P12ihipStream_tbENKUlT_T0_E_clISt17integral_constantIbLb1EES12_IbLb0EEEEDaSY_SZ_EUlSY_E_NS1_11comp_targetILNS1_3genE10ELNS1_11target_archE1200ELNS1_3gpuE4ELNS1_3repE0EEENS1_30default_config_static_selectorELNS0_4arch9wavefront6targetE0EEEvT1_.private_seg_size, 0
	.set _ZN7rocprim17ROCPRIM_400000_NS6detail17trampoline_kernelINS0_14default_configENS1_27scan_by_key_config_selectorIiiEEZZNS1_16scan_by_key_implILNS1_25lookback_scan_determinismE0ELb1ES3_N6thrust23THRUST_200600_302600_NS6detail15normal_iteratorINS9_10device_ptrIiEEEENSB_INSC_IjEEEENSB_INSC_IfEEEEiNS9_4plusIvEENS9_8equal_toIvEEiEE10hipError_tPvRmT2_T3_T4_T5_mT6_T7_P12ihipStream_tbENKUlT_T0_E_clISt17integral_constantIbLb1EES12_IbLb0EEEEDaSY_SZ_EUlSY_E_NS1_11comp_targetILNS1_3genE10ELNS1_11target_archE1200ELNS1_3gpuE4ELNS1_3repE0EEENS1_30default_config_static_selectorELNS0_4arch9wavefront6targetE0EEEvT1_.uses_vcc, 0
	.set _ZN7rocprim17ROCPRIM_400000_NS6detail17trampoline_kernelINS0_14default_configENS1_27scan_by_key_config_selectorIiiEEZZNS1_16scan_by_key_implILNS1_25lookback_scan_determinismE0ELb1ES3_N6thrust23THRUST_200600_302600_NS6detail15normal_iteratorINS9_10device_ptrIiEEEENSB_INSC_IjEEEENSB_INSC_IfEEEEiNS9_4plusIvEENS9_8equal_toIvEEiEE10hipError_tPvRmT2_T3_T4_T5_mT6_T7_P12ihipStream_tbENKUlT_T0_E_clISt17integral_constantIbLb1EES12_IbLb0EEEEDaSY_SZ_EUlSY_E_NS1_11comp_targetILNS1_3genE10ELNS1_11target_archE1200ELNS1_3gpuE4ELNS1_3repE0EEENS1_30default_config_static_selectorELNS0_4arch9wavefront6targetE0EEEvT1_.uses_flat_scratch, 0
	.set _ZN7rocprim17ROCPRIM_400000_NS6detail17trampoline_kernelINS0_14default_configENS1_27scan_by_key_config_selectorIiiEEZZNS1_16scan_by_key_implILNS1_25lookback_scan_determinismE0ELb1ES3_N6thrust23THRUST_200600_302600_NS6detail15normal_iteratorINS9_10device_ptrIiEEEENSB_INSC_IjEEEENSB_INSC_IfEEEEiNS9_4plusIvEENS9_8equal_toIvEEiEE10hipError_tPvRmT2_T3_T4_T5_mT6_T7_P12ihipStream_tbENKUlT_T0_E_clISt17integral_constantIbLb1EES12_IbLb0EEEEDaSY_SZ_EUlSY_E_NS1_11comp_targetILNS1_3genE10ELNS1_11target_archE1200ELNS1_3gpuE4ELNS1_3repE0EEENS1_30default_config_static_selectorELNS0_4arch9wavefront6targetE0EEEvT1_.has_dyn_sized_stack, 0
	.set _ZN7rocprim17ROCPRIM_400000_NS6detail17trampoline_kernelINS0_14default_configENS1_27scan_by_key_config_selectorIiiEEZZNS1_16scan_by_key_implILNS1_25lookback_scan_determinismE0ELb1ES3_N6thrust23THRUST_200600_302600_NS6detail15normal_iteratorINS9_10device_ptrIiEEEENSB_INSC_IjEEEENSB_INSC_IfEEEEiNS9_4plusIvEENS9_8equal_toIvEEiEE10hipError_tPvRmT2_T3_T4_T5_mT6_T7_P12ihipStream_tbENKUlT_T0_E_clISt17integral_constantIbLb1EES12_IbLb0EEEEDaSY_SZ_EUlSY_E_NS1_11comp_targetILNS1_3genE10ELNS1_11target_archE1200ELNS1_3gpuE4ELNS1_3repE0EEENS1_30default_config_static_selectorELNS0_4arch9wavefront6targetE0EEEvT1_.has_recursion, 0
	.set _ZN7rocprim17ROCPRIM_400000_NS6detail17trampoline_kernelINS0_14default_configENS1_27scan_by_key_config_selectorIiiEEZZNS1_16scan_by_key_implILNS1_25lookback_scan_determinismE0ELb1ES3_N6thrust23THRUST_200600_302600_NS6detail15normal_iteratorINS9_10device_ptrIiEEEENSB_INSC_IjEEEENSB_INSC_IfEEEEiNS9_4plusIvEENS9_8equal_toIvEEiEE10hipError_tPvRmT2_T3_T4_T5_mT6_T7_P12ihipStream_tbENKUlT_T0_E_clISt17integral_constantIbLb1EES12_IbLb0EEEEDaSY_SZ_EUlSY_E_NS1_11comp_targetILNS1_3genE10ELNS1_11target_archE1200ELNS1_3gpuE4ELNS1_3repE0EEENS1_30default_config_static_selectorELNS0_4arch9wavefront6targetE0EEEvT1_.has_indirect_call, 0
	.section	.AMDGPU.csdata,"",@progbits
; Kernel info:
; codeLenInByte = 0
; TotalNumSgprs: 0
; NumVgprs: 0
; ScratchSize: 0
; MemoryBound: 0
; FloatMode: 240
; IeeeMode: 1
; LDSByteSize: 0 bytes/workgroup (compile time only)
; SGPRBlocks: 0
; VGPRBlocks: 0
; NumSGPRsForWavesPerEU: 1
; NumVGPRsForWavesPerEU: 1
; Occupancy: 16
; WaveLimiterHint : 0
; COMPUTE_PGM_RSRC2:SCRATCH_EN: 0
; COMPUTE_PGM_RSRC2:USER_SGPR: 6
; COMPUTE_PGM_RSRC2:TRAP_HANDLER: 0
; COMPUTE_PGM_RSRC2:TGID_X_EN: 1
; COMPUTE_PGM_RSRC2:TGID_Y_EN: 0
; COMPUTE_PGM_RSRC2:TGID_Z_EN: 0
; COMPUTE_PGM_RSRC2:TIDIG_COMP_CNT: 0
	.section	.text._ZN7rocprim17ROCPRIM_400000_NS6detail17trampoline_kernelINS0_14default_configENS1_27scan_by_key_config_selectorIiiEEZZNS1_16scan_by_key_implILNS1_25lookback_scan_determinismE0ELb1ES3_N6thrust23THRUST_200600_302600_NS6detail15normal_iteratorINS9_10device_ptrIiEEEENSB_INSC_IjEEEENSB_INSC_IfEEEEiNS9_4plusIvEENS9_8equal_toIvEEiEE10hipError_tPvRmT2_T3_T4_T5_mT6_T7_P12ihipStream_tbENKUlT_T0_E_clISt17integral_constantIbLb1EES12_IbLb0EEEEDaSY_SZ_EUlSY_E_NS1_11comp_targetILNS1_3genE9ELNS1_11target_archE1100ELNS1_3gpuE3ELNS1_3repE0EEENS1_30default_config_static_selectorELNS0_4arch9wavefront6targetE0EEEvT1_,"axG",@progbits,_ZN7rocprim17ROCPRIM_400000_NS6detail17trampoline_kernelINS0_14default_configENS1_27scan_by_key_config_selectorIiiEEZZNS1_16scan_by_key_implILNS1_25lookback_scan_determinismE0ELb1ES3_N6thrust23THRUST_200600_302600_NS6detail15normal_iteratorINS9_10device_ptrIiEEEENSB_INSC_IjEEEENSB_INSC_IfEEEEiNS9_4plusIvEENS9_8equal_toIvEEiEE10hipError_tPvRmT2_T3_T4_T5_mT6_T7_P12ihipStream_tbENKUlT_T0_E_clISt17integral_constantIbLb1EES12_IbLb0EEEEDaSY_SZ_EUlSY_E_NS1_11comp_targetILNS1_3genE9ELNS1_11target_archE1100ELNS1_3gpuE3ELNS1_3repE0EEENS1_30default_config_static_selectorELNS0_4arch9wavefront6targetE0EEEvT1_,comdat
	.protected	_ZN7rocprim17ROCPRIM_400000_NS6detail17trampoline_kernelINS0_14default_configENS1_27scan_by_key_config_selectorIiiEEZZNS1_16scan_by_key_implILNS1_25lookback_scan_determinismE0ELb1ES3_N6thrust23THRUST_200600_302600_NS6detail15normal_iteratorINS9_10device_ptrIiEEEENSB_INSC_IjEEEENSB_INSC_IfEEEEiNS9_4plusIvEENS9_8equal_toIvEEiEE10hipError_tPvRmT2_T3_T4_T5_mT6_T7_P12ihipStream_tbENKUlT_T0_E_clISt17integral_constantIbLb1EES12_IbLb0EEEEDaSY_SZ_EUlSY_E_NS1_11comp_targetILNS1_3genE9ELNS1_11target_archE1100ELNS1_3gpuE3ELNS1_3repE0EEENS1_30default_config_static_selectorELNS0_4arch9wavefront6targetE0EEEvT1_ ; -- Begin function _ZN7rocprim17ROCPRIM_400000_NS6detail17trampoline_kernelINS0_14default_configENS1_27scan_by_key_config_selectorIiiEEZZNS1_16scan_by_key_implILNS1_25lookback_scan_determinismE0ELb1ES3_N6thrust23THRUST_200600_302600_NS6detail15normal_iteratorINS9_10device_ptrIiEEEENSB_INSC_IjEEEENSB_INSC_IfEEEEiNS9_4plusIvEENS9_8equal_toIvEEiEE10hipError_tPvRmT2_T3_T4_T5_mT6_T7_P12ihipStream_tbENKUlT_T0_E_clISt17integral_constantIbLb1EES12_IbLb0EEEEDaSY_SZ_EUlSY_E_NS1_11comp_targetILNS1_3genE9ELNS1_11target_archE1100ELNS1_3gpuE3ELNS1_3repE0EEENS1_30default_config_static_selectorELNS0_4arch9wavefront6targetE0EEEvT1_
	.globl	_ZN7rocprim17ROCPRIM_400000_NS6detail17trampoline_kernelINS0_14default_configENS1_27scan_by_key_config_selectorIiiEEZZNS1_16scan_by_key_implILNS1_25lookback_scan_determinismE0ELb1ES3_N6thrust23THRUST_200600_302600_NS6detail15normal_iteratorINS9_10device_ptrIiEEEENSB_INSC_IjEEEENSB_INSC_IfEEEEiNS9_4plusIvEENS9_8equal_toIvEEiEE10hipError_tPvRmT2_T3_T4_T5_mT6_T7_P12ihipStream_tbENKUlT_T0_E_clISt17integral_constantIbLb1EES12_IbLb0EEEEDaSY_SZ_EUlSY_E_NS1_11comp_targetILNS1_3genE9ELNS1_11target_archE1100ELNS1_3gpuE3ELNS1_3repE0EEENS1_30default_config_static_selectorELNS0_4arch9wavefront6targetE0EEEvT1_
	.p2align	8
	.type	_ZN7rocprim17ROCPRIM_400000_NS6detail17trampoline_kernelINS0_14default_configENS1_27scan_by_key_config_selectorIiiEEZZNS1_16scan_by_key_implILNS1_25lookback_scan_determinismE0ELb1ES3_N6thrust23THRUST_200600_302600_NS6detail15normal_iteratorINS9_10device_ptrIiEEEENSB_INSC_IjEEEENSB_INSC_IfEEEEiNS9_4plusIvEENS9_8equal_toIvEEiEE10hipError_tPvRmT2_T3_T4_T5_mT6_T7_P12ihipStream_tbENKUlT_T0_E_clISt17integral_constantIbLb1EES12_IbLb0EEEEDaSY_SZ_EUlSY_E_NS1_11comp_targetILNS1_3genE9ELNS1_11target_archE1100ELNS1_3gpuE3ELNS1_3repE0EEENS1_30default_config_static_selectorELNS0_4arch9wavefront6targetE0EEEvT1_,@function
_ZN7rocprim17ROCPRIM_400000_NS6detail17trampoline_kernelINS0_14default_configENS1_27scan_by_key_config_selectorIiiEEZZNS1_16scan_by_key_implILNS1_25lookback_scan_determinismE0ELb1ES3_N6thrust23THRUST_200600_302600_NS6detail15normal_iteratorINS9_10device_ptrIiEEEENSB_INSC_IjEEEENSB_INSC_IfEEEEiNS9_4plusIvEENS9_8equal_toIvEEiEE10hipError_tPvRmT2_T3_T4_T5_mT6_T7_P12ihipStream_tbENKUlT_T0_E_clISt17integral_constantIbLb1EES12_IbLb0EEEEDaSY_SZ_EUlSY_E_NS1_11comp_targetILNS1_3genE9ELNS1_11target_archE1100ELNS1_3gpuE3ELNS1_3repE0EEENS1_30default_config_static_selectorELNS0_4arch9wavefront6targetE0EEEvT1_: ; @_ZN7rocprim17ROCPRIM_400000_NS6detail17trampoline_kernelINS0_14default_configENS1_27scan_by_key_config_selectorIiiEEZZNS1_16scan_by_key_implILNS1_25lookback_scan_determinismE0ELb1ES3_N6thrust23THRUST_200600_302600_NS6detail15normal_iteratorINS9_10device_ptrIiEEEENSB_INSC_IjEEEENSB_INSC_IfEEEEiNS9_4plusIvEENS9_8equal_toIvEEiEE10hipError_tPvRmT2_T3_T4_T5_mT6_T7_P12ihipStream_tbENKUlT_T0_E_clISt17integral_constantIbLb1EES12_IbLb0EEEEDaSY_SZ_EUlSY_E_NS1_11comp_targetILNS1_3genE9ELNS1_11target_archE1100ELNS1_3gpuE3ELNS1_3repE0EEENS1_30default_config_static_selectorELNS0_4arch9wavefront6targetE0EEEvT1_
; %bb.0:
	.section	.rodata,"a",@progbits
	.p2align	6, 0x0
	.amdhsa_kernel _ZN7rocprim17ROCPRIM_400000_NS6detail17trampoline_kernelINS0_14default_configENS1_27scan_by_key_config_selectorIiiEEZZNS1_16scan_by_key_implILNS1_25lookback_scan_determinismE0ELb1ES3_N6thrust23THRUST_200600_302600_NS6detail15normal_iteratorINS9_10device_ptrIiEEEENSB_INSC_IjEEEENSB_INSC_IfEEEEiNS9_4plusIvEENS9_8equal_toIvEEiEE10hipError_tPvRmT2_T3_T4_T5_mT6_T7_P12ihipStream_tbENKUlT_T0_E_clISt17integral_constantIbLb1EES12_IbLb0EEEEDaSY_SZ_EUlSY_E_NS1_11comp_targetILNS1_3genE9ELNS1_11target_archE1100ELNS1_3gpuE3ELNS1_3repE0EEENS1_30default_config_static_selectorELNS0_4arch9wavefront6targetE0EEEvT1_
		.amdhsa_group_segment_fixed_size 0
		.amdhsa_private_segment_fixed_size 0
		.amdhsa_kernarg_size 112
		.amdhsa_user_sgpr_count 6
		.amdhsa_user_sgpr_private_segment_buffer 1
		.amdhsa_user_sgpr_dispatch_ptr 0
		.amdhsa_user_sgpr_queue_ptr 0
		.amdhsa_user_sgpr_kernarg_segment_ptr 1
		.amdhsa_user_sgpr_dispatch_id 0
		.amdhsa_user_sgpr_flat_scratch_init 0
		.amdhsa_user_sgpr_private_segment_size 0
		.amdhsa_wavefront_size32 1
		.amdhsa_uses_dynamic_stack 0
		.amdhsa_system_sgpr_private_segment_wavefront_offset 0
		.amdhsa_system_sgpr_workgroup_id_x 1
		.amdhsa_system_sgpr_workgroup_id_y 0
		.amdhsa_system_sgpr_workgroup_id_z 0
		.amdhsa_system_sgpr_workgroup_info 0
		.amdhsa_system_vgpr_workitem_id 0
		.amdhsa_next_free_vgpr 1
		.amdhsa_next_free_sgpr 1
		.amdhsa_reserve_vcc 0
		.amdhsa_reserve_flat_scratch 0
		.amdhsa_float_round_mode_32 0
		.amdhsa_float_round_mode_16_64 0
		.amdhsa_float_denorm_mode_32 3
		.amdhsa_float_denorm_mode_16_64 3
		.amdhsa_dx10_clamp 1
		.amdhsa_ieee_mode 1
		.amdhsa_fp16_overflow 0
		.amdhsa_workgroup_processor_mode 1
		.amdhsa_memory_ordered 1
		.amdhsa_forward_progress 1
		.amdhsa_shared_vgpr_count 0
		.amdhsa_exception_fp_ieee_invalid_op 0
		.amdhsa_exception_fp_denorm_src 0
		.amdhsa_exception_fp_ieee_div_zero 0
		.amdhsa_exception_fp_ieee_overflow 0
		.amdhsa_exception_fp_ieee_underflow 0
		.amdhsa_exception_fp_ieee_inexact 0
		.amdhsa_exception_int_div_zero 0
	.end_amdhsa_kernel
	.section	.text._ZN7rocprim17ROCPRIM_400000_NS6detail17trampoline_kernelINS0_14default_configENS1_27scan_by_key_config_selectorIiiEEZZNS1_16scan_by_key_implILNS1_25lookback_scan_determinismE0ELb1ES3_N6thrust23THRUST_200600_302600_NS6detail15normal_iteratorINS9_10device_ptrIiEEEENSB_INSC_IjEEEENSB_INSC_IfEEEEiNS9_4plusIvEENS9_8equal_toIvEEiEE10hipError_tPvRmT2_T3_T4_T5_mT6_T7_P12ihipStream_tbENKUlT_T0_E_clISt17integral_constantIbLb1EES12_IbLb0EEEEDaSY_SZ_EUlSY_E_NS1_11comp_targetILNS1_3genE9ELNS1_11target_archE1100ELNS1_3gpuE3ELNS1_3repE0EEENS1_30default_config_static_selectorELNS0_4arch9wavefront6targetE0EEEvT1_,"axG",@progbits,_ZN7rocprim17ROCPRIM_400000_NS6detail17trampoline_kernelINS0_14default_configENS1_27scan_by_key_config_selectorIiiEEZZNS1_16scan_by_key_implILNS1_25lookback_scan_determinismE0ELb1ES3_N6thrust23THRUST_200600_302600_NS6detail15normal_iteratorINS9_10device_ptrIiEEEENSB_INSC_IjEEEENSB_INSC_IfEEEEiNS9_4plusIvEENS9_8equal_toIvEEiEE10hipError_tPvRmT2_T3_T4_T5_mT6_T7_P12ihipStream_tbENKUlT_T0_E_clISt17integral_constantIbLb1EES12_IbLb0EEEEDaSY_SZ_EUlSY_E_NS1_11comp_targetILNS1_3genE9ELNS1_11target_archE1100ELNS1_3gpuE3ELNS1_3repE0EEENS1_30default_config_static_selectorELNS0_4arch9wavefront6targetE0EEEvT1_,comdat
.Lfunc_end1741:
	.size	_ZN7rocprim17ROCPRIM_400000_NS6detail17trampoline_kernelINS0_14default_configENS1_27scan_by_key_config_selectorIiiEEZZNS1_16scan_by_key_implILNS1_25lookback_scan_determinismE0ELb1ES3_N6thrust23THRUST_200600_302600_NS6detail15normal_iteratorINS9_10device_ptrIiEEEENSB_INSC_IjEEEENSB_INSC_IfEEEEiNS9_4plusIvEENS9_8equal_toIvEEiEE10hipError_tPvRmT2_T3_T4_T5_mT6_T7_P12ihipStream_tbENKUlT_T0_E_clISt17integral_constantIbLb1EES12_IbLb0EEEEDaSY_SZ_EUlSY_E_NS1_11comp_targetILNS1_3genE9ELNS1_11target_archE1100ELNS1_3gpuE3ELNS1_3repE0EEENS1_30default_config_static_selectorELNS0_4arch9wavefront6targetE0EEEvT1_, .Lfunc_end1741-_ZN7rocprim17ROCPRIM_400000_NS6detail17trampoline_kernelINS0_14default_configENS1_27scan_by_key_config_selectorIiiEEZZNS1_16scan_by_key_implILNS1_25lookback_scan_determinismE0ELb1ES3_N6thrust23THRUST_200600_302600_NS6detail15normal_iteratorINS9_10device_ptrIiEEEENSB_INSC_IjEEEENSB_INSC_IfEEEEiNS9_4plusIvEENS9_8equal_toIvEEiEE10hipError_tPvRmT2_T3_T4_T5_mT6_T7_P12ihipStream_tbENKUlT_T0_E_clISt17integral_constantIbLb1EES12_IbLb0EEEEDaSY_SZ_EUlSY_E_NS1_11comp_targetILNS1_3genE9ELNS1_11target_archE1100ELNS1_3gpuE3ELNS1_3repE0EEENS1_30default_config_static_selectorELNS0_4arch9wavefront6targetE0EEEvT1_
                                        ; -- End function
	.set _ZN7rocprim17ROCPRIM_400000_NS6detail17trampoline_kernelINS0_14default_configENS1_27scan_by_key_config_selectorIiiEEZZNS1_16scan_by_key_implILNS1_25lookback_scan_determinismE0ELb1ES3_N6thrust23THRUST_200600_302600_NS6detail15normal_iteratorINS9_10device_ptrIiEEEENSB_INSC_IjEEEENSB_INSC_IfEEEEiNS9_4plusIvEENS9_8equal_toIvEEiEE10hipError_tPvRmT2_T3_T4_T5_mT6_T7_P12ihipStream_tbENKUlT_T0_E_clISt17integral_constantIbLb1EES12_IbLb0EEEEDaSY_SZ_EUlSY_E_NS1_11comp_targetILNS1_3genE9ELNS1_11target_archE1100ELNS1_3gpuE3ELNS1_3repE0EEENS1_30default_config_static_selectorELNS0_4arch9wavefront6targetE0EEEvT1_.num_vgpr, 0
	.set _ZN7rocprim17ROCPRIM_400000_NS6detail17trampoline_kernelINS0_14default_configENS1_27scan_by_key_config_selectorIiiEEZZNS1_16scan_by_key_implILNS1_25lookback_scan_determinismE0ELb1ES3_N6thrust23THRUST_200600_302600_NS6detail15normal_iteratorINS9_10device_ptrIiEEEENSB_INSC_IjEEEENSB_INSC_IfEEEEiNS9_4plusIvEENS9_8equal_toIvEEiEE10hipError_tPvRmT2_T3_T4_T5_mT6_T7_P12ihipStream_tbENKUlT_T0_E_clISt17integral_constantIbLb1EES12_IbLb0EEEEDaSY_SZ_EUlSY_E_NS1_11comp_targetILNS1_3genE9ELNS1_11target_archE1100ELNS1_3gpuE3ELNS1_3repE0EEENS1_30default_config_static_selectorELNS0_4arch9wavefront6targetE0EEEvT1_.num_agpr, 0
	.set _ZN7rocprim17ROCPRIM_400000_NS6detail17trampoline_kernelINS0_14default_configENS1_27scan_by_key_config_selectorIiiEEZZNS1_16scan_by_key_implILNS1_25lookback_scan_determinismE0ELb1ES3_N6thrust23THRUST_200600_302600_NS6detail15normal_iteratorINS9_10device_ptrIiEEEENSB_INSC_IjEEEENSB_INSC_IfEEEEiNS9_4plusIvEENS9_8equal_toIvEEiEE10hipError_tPvRmT2_T3_T4_T5_mT6_T7_P12ihipStream_tbENKUlT_T0_E_clISt17integral_constantIbLb1EES12_IbLb0EEEEDaSY_SZ_EUlSY_E_NS1_11comp_targetILNS1_3genE9ELNS1_11target_archE1100ELNS1_3gpuE3ELNS1_3repE0EEENS1_30default_config_static_selectorELNS0_4arch9wavefront6targetE0EEEvT1_.numbered_sgpr, 0
	.set _ZN7rocprim17ROCPRIM_400000_NS6detail17trampoline_kernelINS0_14default_configENS1_27scan_by_key_config_selectorIiiEEZZNS1_16scan_by_key_implILNS1_25lookback_scan_determinismE0ELb1ES3_N6thrust23THRUST_200600_302600_NS6detail15normal_iteratorINS9_10device_ptrIiEEEENSB_INSC_IjEEEENSB_INSC_IfEEEEiNS9_4plusIvEENS9_8equal_toIvEEiEE10hipError_tPvRmT2_T3_T4_T5_mT6_T7_P12ihipStream_tbENKUlT_T0_E_clISt17integral_constantIbLb1EES12_IbLb0EEEEDaSY_SZ_EUlSY_E_NS1_11comp_targetILNS1_3genE9ELNS1_11target_archE1100ELNS1_3gpuE3ELNS1_3repE0EEENS1_30default_config_static_selectorELNS0_4arch9wavefront6targetE0EEEvT1_.num_named_barrier, 0
	.set _ZN7rocprim17ROCPRIM_400000_NS6detail17trampoline_kernelINS0_14default_configENS1_27scan_by_key_config_selectorIiiEEZZNS1_16scan_by_key_implILNS1_25lookback_scan_determinismE0ELb1ES3_N6thrust23THRUST_200600_302600_NS6detail15normal_iteratorINS9_10device_ptrIiEEEENSB_INSC_IjEEEENSB_INSC_IfEEEEiNS9_4plusIvEENS9_8equal_toIvEEiEE10hipError_tPvRmT2_T3_T4_T5_mT6_T7_P12ihipStream_tbENKUlT_T0_E_clISt17integral_constantIbLb1EES12_IbLb0EEEEDaSY_SZ_EUlSY_E_NS1_11comp_targetILNS1_3genE9ELNS1_11target_archE1100ELNS1_3gpuE3ELNS1_3repE0EEENS1_30default_config_static_selectorELNS0_4arch9wavefront6targetE0EEEvT1_.private_seg_size, 0
	.set _ZN7rocprim17ROCPRIM_400000_NS6detail17trampoline_kernelINS0_14default_configENS1_27scan_by_key_config_selectorIiiEEZZNS1_16scan_by_key_implILNS1_25lookback_scan_determinismE0ELb1ES3_N6thrust23THRUST_200600_302600_NS6detail15normal_iteratorINS9_10device_ptrIiEEEENSB_INSC_IjEEEENSB_INSC_IfEEEEiNS9_4plusIvEENS9_8equal_toIvEEiEE10hipError_tPvRmT2_T3_T4_T5_mT6_T7_P12ihipStream_tbENKUlT_T0_E_clISt17integral_constantIbLb1EES12_IbLb0EEEEDaSY_SZ_EUlSY_E_NS1_11comp_targetILNS1_3genE9ELNS1_11target_archE1100ELNS1_3gpuE3ELNS1_3repE0EEENS1_30default_config_static_selectorELNS0_4arch9wavefront6targetE0EEEvT1_.uses_vcc, 0
	.set _ZN7rocprim17ROCPRIM_400000_NS6detail17trampoline_kernelINS0_14default_configENS1_27scan_by_key_config_selectorIiiEEZZNS1_16scan_by_key_implILNS1_25lookback_scan_determinismE0ELb1ES3_N6thrust23THRUST_200600_302600_NS6detail15normal_iteratorINS9_10device_ptrIiEEEENSB_INSC_IjEEEENSB_INSC_IfEEEEiNS9_4plusIvEENS9_8equal_toIvEEiEE10hipError_tPvRmT2_T3_T4_T5_mT6_T7_P12ihipStream_tbENKUlT_T0_E_clISt17integral_constantIbLb1EES12_IbLb0EEEEDaSY_SZ_EUlSY_E_NS1_11comp_targetILNS1_3genE9ELNS1_11target_archE1100ELNS1_3gpuE3ELNS1_3repE0EEENS1_30default_config_static_selectorELNS0_4arch9wavefront6targetE0EEEvT1_.uses_flat_scratch, 0
	.set _ZN7rocprim17ROCPRIM_400000_NS6detail17trampoline_kernelINS0_14default_configENS1_27scan_by_key_config_selectorIiiEEZZNS1_16scan_by_key_implILNS1_25lookback_scan_determinismE0ELb1ES3_N6thrust23THRUST_200600_302600_NS6detail15normal_iteratorINS9_10device_ptrIiEEEENSB_INSC_IjEEEENSB_INSC_IfEEEEiNS9_4plusIvEENS9_8equal_toIvEEiEE10hipError_tPvRmT2_T3_T4_T5_mT6_T7_P12ihipStream_tbENKUlT_T0_E_clISt17integral_constantIbLb1EES12_IbLb0EEEEDaSY_SZ_EUlSY_E_NS1_11comp_targetILNS1_3genE9ELNS1_11target_archE1100ELNS1_3gpuE3ELNS1_3repE0EEENS1_30default_config_static_selectorELNS0_4arch9wavefront6targetE0EEEvT1_.has_dyn_sized_stack, 0
	.set _ZN7rocprim17ROCPRIM_400000_NS6detail17trampoline_kernelINS0_14default_configENS1_27scan_by_key_config_selectorIiiEEZZNS1_16scan_by_key_implILNS1_25lookback_scan_determinismE0ELb1ES3_N6thrust23THRUST_200600_302600_NS6detail15normal_iteratorINS9_10device_ptrIiEEEENSB_INSC_IjEEEENSB_INSC_IfEEEEiNS9_4plusIvEENS9_8equal_toIvEEiEE10hipError_tPvRmT2_T3_T4_T5_mT6_T7_P12ihipStream_tbENKUlT_T0_E_clISt17integral_constantIbLb1EES12_IbLb0EEEEDaSY_SZ_EUlSY_E_NS1_11comp_targetILNS1_3genE9ELNS1_11target_archE1100ELNS1_3gpuE3ELNS1_3repE0EEENS1_30default_config_static_selectorELNS0_4arch9wavefront6targetE0EEEvT1_.has_recursion, 0
	.set _ZN7rocprim17ROCPRIM_400000_NS6detail17trampoline_kernelINS0_14default_configENS1_27scan_by_key_config_selectorIiiEEZZNS1_16scan_by_key_implILNS1_25lookback_scan_determinismE0ELb1ES3_N6thrust23THRUST_200600_302600_NS6detail15normal_iteratorINS9_10device_ptrIiEEEENSB_INSC_IjEEEENSB_INSC_IfEEEEiNS9_4plusIvEENS9_8equal_toIvEEiEE10hipError_tPvRmT2_T3_T4_T5_mT6_T7_P12ihipStream_tbENKUlT_T0_E_clISt17integral_constantIbLb1EES12_IbLb0EEEEDaSY_SZ_EUlSY_E_NS1_11comp_targetILNS1_3genE9ELNS1_11target_archE1100ELNS1_3gpuE3ELNS1_3repE0EEENS1_30default_config_static_selectorELNS0_4arch9wavefront6targetE0EEEvT1_.has_indirect_call, 0
	.section	.AMDGPU.csdata,"",@progbits
; Kernel info:
; codeLenInByte = 0
; TotalNumSgprs: 0
; NumVgprs: 0
; ScratchSize: 0
; MemoryBound: 0
; FloatMode: 240
; IeeeMode: 1
; LDSByteSize: 0 bytes/workgroup (compile time only)
; SGPRBlocks: 0
; VGPRBlocks: 0
; NumSGPRsForWavesPerEU: 1
; NumVGPRsForWavesPerEU: 1
; Occupancy: 16
; WaveLimiterHint : 0
; COMPUTE_PGM_RSRC2:SCRATCH_EN: 0
; COMPUTE_PGM_RSRC2:USER_SGPR: 6
; COMPUTE_PGM_RSRC2:TRAP_HANDLER: 0
; COMPUTE_PGM_RSRC2:TGID_X_EN: 1
; COMPUTE_PGM_RSRC2:TGID_Y_EN: 0
; COMPUTE_PGM_RSRC2:TGID_Z_EN: 0
; COMPUTE_PGM_RSRC2:TIDIG_COMP_CNT: 0
	.section	.text._ZN7rocprim17ROCPRIM_400000_NS6detail17trampoline_kernelINS0_14default_configENS1_27scan_by_key_config_selectorIiiEEZZNS1_16scan_by_key_implILNS1_25lookback_scan_determinismE0ELb1ES3_N6thrust23THRUST_200600_302600_NS6detail15normal_iteratorINS9_10device_ptrIiEEEENSB_INSC_IjEEEENSB_INSC_IfEEEEiNS9_4plusIvEENS9_8equal_toIvEEiEE10hipError_tPvRmT2_T3_T4_T5_mT6_T7_P12ihipStream_tbENKUlT_T0_E_clISt17integral_constantIbLb1EES12_IbLb0EEEEDaSY_SZ_EUlSY_E_NS1_11comp_targetILNS1_3genE8ELNS1_11target_archE1030ELNS1_3gpuE2ELNS1_3repE0EEENS1_30default_config_static_selectorELNS0_4arch9wavefront6targetE0EEEvT1_,"axG",@progbits,_ZN7rocprim17ROCPRIM_400000_NS6detail17trampoline_kernelINS0_14default_configENS1_27scan_by_key_config_selectorIiiEEZZNS1_16scan_by_key_implILNS1_25lookback_scan_determinismE0ELb1ES3_N6thrust23THRUST_200600_302600_NS6detail15normal_iteratorINS9_10device_ptrIiEEEENSB_INSC_IjEEEENSB_INSC_IfEEEEiNS9_4plusIvEENS9_8equal_toIvEEiEE10hipError_tPvRmT2_T3_T4_T5_mT6_T7_P12ihipStream_tbENKUlT_T0_E_clISt17integral_constantIbLb1EES12_IbLb0EEEEDaSY_SZ_EUlSY_E_NS1_11comp_targetILNS1_3genE8ELNS1_11target_archE1030ELNS1_3gpuE2ELNS1_3repE0EEENS1_30default_config_static_selectorELNS0_4arch9wavefront6targetE0EEEvT1_,comdat
	.protected	_ZN7rocprim17ROCPRIM_400000_NS6detail17trampoline_kernelINS0_14default_configENS1_27scan_by_key_config_selectorIiiEEZZNS1_16scan_by_key_implILNS1_25lookback_scan_determinismE0ELb1ES3_N6thrust23THRUST_200600_302600_NS6detail15normal_iteratorINS9_10device_ptrIiEEEENSB_INSC_IjEEEENSB_INSC_IfEEEEiNS9_4plusIvEENS9_8equal_toIvEEiEE10hipError_tPvRmT2_T3_T4_T5_mT6_T7_P12ihipStream_tbENKUlT_T0_E_clISt17integral_constantIbLb1EES12_IbLb0EEEEDaSY_SZ_EUlSY_E_NS1_11comp_targetILNS1_3genE8ELNS1_11target_archE1030ELNS1_3gpuE2ELNS1_3repE0EEENS1_30default_config_static_selectorELNS0_4arch9wavefront6targetE0EEEvT1_ ; -- Begin function _ZN7rocprim17ROCPRIM_400000_NS6detail17trampoline_kernelINS0_14default_configENS1_27scan_by_key_config_selectorIiiEEZZNS1_16scan_by_key_implILNS1_25lookback_scan_determinismE0ELb1ES3_N6thrust23THRUST_200600_302600_NS6detail15normal_iteratorINS9_10device_ptrIiEEEENSB_INSC_IjEEEENSB_INSC_IfEEEEiNS9_4plusIvEENS9_8equal_toIvEEiEE10hipError_tPvRmT2_T3_T4_T5_mT6_T7_P12ihipStream_tbENKUlT_T0_E_clISt17integral_constantIbLb1EES12_IbLb0EEEEDaSY_SZ_EUlSY_E_NS1_11comp_targetILNS1_3genE8ELNS1_11target_archE1030ELNS1_3gpuE2ELNS1_3repE0EEENS1_30default_config_static_selectorELNS0_4arch9wavefront6targetE0EEEvT1_
	.globl	_ZN7rocprim17ROCPRIM_400000_NS6detail17trampoline_kernelINS0_14default_configENS1_27scan_by_key_config_selectorIiiEEZZNS1_16scan_by_key_implILNS1_25lookback_scan_determinismE0ELb1ES3_N6thrust23THRUST_200600_302600_NS6detail15normal_iteratorINS9_10device_ptrIiEEEENSB_INSC_IjEEEENSB_INSC_IfEEEEiNS9_4plusIvEENS9_8equal_toIvEEiEE10hipError_tPvRmT2_T3_T4_T5_mT6_T7_P12ihipStream_tbENKUlT_T0_E_clISt17integral_constantIbLb1EES12_IbLb0EEEEDaSY_SZ_EUlSY_E_NS1_11comp_targetILNS1_3genE8ELNS1_11target_archE1030ELNS1_3gpuE2ELNS1_3repE0EEENS1_30default_config_static_selectorELNS0_4arch9wavefront6targetE0EEEvT1_
	.p2align	8
	.type	_ZN7rocprim17ROCPRIM_400000_NS6detail17trampoline_kernelINS0_14default_configENS1_27scan_by_key_config_selectorIiiEEZZNS1_16scan_by_key_implILNS1_25lookback_scan_determinismE0ELb1ES3_N6thrust23THRUST_200600_302600_NS6detail15normal_iteratorINS9_10device_ptrIiEEEENSB_INSC_IjEEEENSB_INSC_IfEEEEiNS9_4plusIvEENS9_8equal_toIvEEiEE10hipError_tPvRmT2_T3_T4_T5_mT6_T7_P12ihipStream_tbENKUlT_T0_E_clISt17integral_constantIbLb1EES12_IbLb0EEEEDaSY_SZ_EUlSY_E_NS1_11comp_targetILNS1_3genE8ELNS1_11target_archE1030ELNS1_3gpuE2ELNS1_3repE0EEENS1_30default_config_static_selectorELNS0_4arch9wavefront6targetE0EEEvT1_,@function
_ZN7rocprim17ROCPRIM_400000_NS6detail17trampoline_kernelINS0_14default_configENS1_27scan_by_key_config_selectorIiiEEZZNS1_16scan_by_key_implILNS1_25lookback_scan_determinismE0ELb1ES3_N6thrust23THRUST_200600_302600_NS6detail15normal_iteratorINS9_10device_ptrIiEEEENSB_INSC_IjEEEENSB_INSC_IfEEEEiNS9_4plusIvEENS9_8equal_toIvEEiEE10hipError_tPvRmT2_T3_T4_T5_mT6_T7_P12ihipStream_tbENKUlT_T0_E_clISt17integral_constantIbLb1EES12_IbLb0EEEEDaSY_SZ_EUlSY_E_NS1_11comp_targetILNS1_3genE8ELNS1_11target_archE1030ELNS1_3gpuE2ELNS1_3repE0EEENS1_30default_config_static_selectorELNS0_4arch9wavefront6targetE0EEEvT1_: ; @_ZN7rocprim17ROCPRIM_400000_NS6detail17trampoline_kernelINS0_14default_configENS1_27scan_by_key_config_selectorIiiEEZZNS1_16scan_by_key_implILNS1_25lookback_scan_determinismE0ELb1ES3_N6thrust23THRUST_200600_302600_NS6detail15normal_iteratorINS9_10device_ptrIiEEEENSB_INSC_IjEEEENSB_INSC_IfEEEEiNS9_4plusIvEENS9_8equal_toIvEEiEE10hipError_tPvRmT2_T3_T4_T5_mT6_T7_P12ihipStream_tbENKUlT_T0_E_clISt17integral_constantIbLb1EES12_IbLb0EEEEDaSY_SZ_EUlSY_E_NS1_11comp_targetILNS1_3genE8ELNS1_11target_archE1030ELNS1_3gpuE2ELNS1_3repE0EEENS1_30default_config_static_selectorELNS0_4arch9wavefront6targetE0EEEvT1_
; %bb.0:
	s_endpgm
	.section	.rodata,"a",@progbits
	.p2align	6, 0x0
	.amdhsa_kernel _ZN7rocprim17ROCPRIM_400000_NS6detail17trampoline_kernelINS0_14default_configENS1_27scan_by_key_config_selectorIiiEEZZNS1_16scan_by_key_implILNS1_25lookback_scan_determinismE0ELb1ES3_N6thrust23THRUST_200600_302600_NS6detail15normal_iteratorINS9_10device_ptrIiEEEENSB_INSC_IjEEEENSB_INSC_IfEEEEiNS9_4plusIvEENS9_8equal_toIvEEiEE10hipError_tPvRmT2_T3_T4_T5_mT6_T7_P12ihipStream_tbENKUlT_T0_E_clISt17integral_constantIbLb1EES12_IbLb0EEEEDaSY_SZ_EUlSY_E_NS1_11comp_targetILNS1_3genE8ELNS1_11target_archE1030ELNS1_3gpuE2ELNS1_3repE0EEENS1_30default_config_static_selectorELNS0_4arch9wavefront6targetE0EEEvT1_
		.amdhsa_group_segment_fixed_size 0
		.amdhsa_private_segment_fixed_size 0
		.amdhsa_kernarg_size 112
		.amdhsa_user_sgpr_count 6
		.amdhsa_user_sgpr_private_segment_buffer 1
		.amdhsa_user_sgpr_dispatch_ptr 0
		.amdhsa_user_sgpr_queue_ptr 0
		.amdhsa_user_sgpr_kernarg_segment_ptr 1
		.amdhsa_user_sgpr_dispatch_id 0
		.amdhsa_user_sgpr_flat_scratch_init 0
		.amdhsa_user_sgpr_private_segment_size 0
		.amdhsa_wavefront_size32 1
		.amdhsa_uses_dynamic_stack 0
		.amdhsa_system_sgpr_private_segment_wavefront_offset 0
		.amdhsa_system_sgpr_workgroup_id_x 1
		.amdhsa_system_sgpr_workgroup_id_y 0
		.amdhsa_system_sgpr_workgroup_id_z 0
		.amdhsa_system_sgpr_workgroup_info 0
		.amdhsa_system_vgpr_workitem_id 0
		.amdhsa_next_free_vgpr 1
		.amdhsa_next_free_sgpr 1
		.amdhsa_reserve_vcc 0
		.amdhsa_reserve_flat_scratch 0
		.amdhsa_float_round_mode_32 0
		.amdhsa_float_round_mode_16_64 0
		.amdhsa_float_denorm_mode_32 3
		.amdhsa_float_denorm_mode_16_64 3
		.amdhsa_dx10_clamp 1
		.amdhsa_ieee_mode 1
		.amdhsa_fp16_overflow 0
		.amdhsa_workgroup_processor_mode 1
		.amdhsa_memory_ordered 1
		.amdhsa_forward_progress 1
		.amdhsa_shared_vgpr_count 0
		.amdhsa_exception_fp_ieee_invalid_op 0
		.amdhsa_exception_fp_denorm_src 0
		.amdhsa_exception_fp_ieee_div_zero 0
		.amdhsa_exception_fp_ieee_overflow 0
		.amdhsa_exception_fp_ieee_underflow 0
		.amdhsa_exception_fp_ieee_inexact 0
		.amdhsa_exception_int_div_zero 0
	.end_amdhsa_kernel
	.section	.text._ZN7rocprim17ROCPRIM_400000_NS6detail17trampoline_kernelINS0_14default_configENS1_27scan_by_key_config_selectorIiiEEZZNS1_16scan_by_key_implILNS1_25lookback_scan_determinismE0ELb1ES3_N6thrust23THRUST_200600_302600_NS6detail15normal_iteratorINS9_10device_ptrIiEEEENSB_INSC_IjEEEENSB_INSC_IfEEEEiNS9_4plusIvEENS9_8equal_toIvEEiEE10hipError_tPvRmT2_T3_T4_T5_mT6_T7_P12ihipStream_tbENKUlT_T0_E_clISt17integral_constantIbLb1EES12_IbLb0EEEEDaSY_SZ_EUlSY_E_NS1_11comp_targetILNS1_3genE8ELNS1_11target_archE1030ELNS1_3gpuE2ELNS1_3repE0EEENS1_30default_config_static_selectorELNS0_4arch9wavefront6targetE0EEEvT1_,"axG",@progbits,_ZN7rocprim17ROCPRIM_400000_NS6detail17trampoline_kernelINS0_14default_configENS1_27scan_by_key_config_selectorIiiEEZZNS1_16scan_by_key_implILNS1_25lookback_scan_determinismE0ELb1ES3_N6thrust23THRUST_200600_302600_NS6detail15normal_iteratorINS9_10device_ptrIiEEEENSB_INSC_IjEEEENSB_INSC_IfEEEEiNS9_4plusIvEENS9_8equal_toIvEEiEE10hipError_tPvRmT2_T3_T4_T5_mT6_T7_P12ihipStream_tbENKUlT_T0_E_clISt17integral_constantIbLb1EES12_IbLb0EEEEDaSY_SZ_EUlSY_E_NS1_11comp_targetILNS1_3genE8ELNS1_11target_archE1030ELNS1_3gpuE2ELNS1_3repE0EEENS1_30default_config_static_selectorELNS0_4arch9wavefront6targetE0EEEvT1_,comdat
.Lfunc_end1742:
	.size	_ZN7rocprim17ROCPRIM_400000_NS6detail17trampoline_kernelINS0_14default_configENS1_27scan_by_key_config_selectorIiiEEZZNS1_16scan_by_key_implILNS1_25lookback_scan_determinismE0ELb1ES3_N6thrust23THRUST_200600_302600_NS6detail15normal_iteratorINS9_10device_ptrIiEEEENSB_INSC_IjEEEENSB_INSC_IfEEEEiNS9_4plusIvEENS9_8equal_toIvEEiEE10hipError_tPvRmT2_T3_T4_T5_mT6_T7_P12ihipStream_tbENKUlT_T0_E_clISt17integral_constantIbLb1EES12_IbLb0EEEEDaSY_SZ_EUlSY_E_NS1_11comp_targetILNS1_3genE8ELNS1_11target_archE1030ELNS1_3gpuE2ELNS1_3repE0EEENS1_30default_config_static_selectorELNS0_4arch9wavefront6targetE0EEEvT1_, .Lfunc_end1742-_ZN7rocprim17ROCPRIM_400000_NS6detail17trampoline_kernelINS0_14default_configENS1_27scan_by_key_config_selectorIiiEEZZNS1_16scan_by_key_implILNS1_25lookback_scan_determinismE0ELb1ES3_N6thrust23THRUST_200600_302600_NS6detail15normal_iteratorINS9_10device_ptrIiEEEENSB_INSC_IjEEEENSB_INSC_IfEEEEiNS9_4plusIvEENS9_8equal_toIvEEiEE10hipError_tPvRmT2_T3_T4_T5_mT6_T7_P12ihipStream_tbENKUlT_T0_E_clISt17integral_constantIbLb1EES12_IbLb0EEEEDaSY_SZ_EUlSY_E_NS1_11comp_targetILNS1_3genE8ELNS1_11target_archE1030ELNS1_3gpuE2ELNS1_3repE0EEENS1_30default_config_static_selectorELNS0_4arch9wavefront6targetE0EEEvT1_
                                        ; -- End function
	.set _ZN7rocprim17ROCPRIM_400000_NS6detail17trampoline_kernelINS0_14default_configENS1_27scan_by_key_config_selectorIiiEEZZNS1_16scan_by_key_implILNS1_25lookback_scan_determinismE0ELb1ES3_N6thrust23THRUST_200600_302600_NS6detail15normal_iteratorINS9_10device_ptrIiEEEENSB_INSC_IjEEEENSB_INSC_IfEEEEiNS9_4plusIvEENS9_8equal_toIvEEiEE10hipError_tPvRmT2_T3_T4_T5_mT6_T7_P12ihipStream_tbENKUlT_T0_E_clISt17integral_constantIbLb1EES12_IbLb0EEEEDaSY_SZ_EUlSY_E_NS1_11comp_targetILNS1_3genE8ELNS1_11target_archE1030ELNS1_3gpuE2ELNS1_3repE0EEENS1_30default_config_static_selectorELNS0_4arch9wavefront6targetE0EEEvT1_.num_vgpr, 0
	.set _ZN7rocprim17ROCPRIM_400000_NS6detail17trampoline_kernelINS0_14default_configENS1_27scan_by_key_config_selectorIiiEEZZNS1_16scan_by_key_implILNS1_25lookback_scan_determinismE0ELb1ES3_N6thrust23THRUST_200600_302600_NS6detail15normal_iteratorINS9_10device_ptrIiEEEENSB_INSC_IjEEEENSB_INSC_IfEEEEiNS9_4plusIvEENS9_8equal_toIvEEiEE10hipError_tPvRmT2_T3_T4_T5_mT6_T7_P12ihipStream_tbENKUlT_T0_E_clISt17integral_constantIbLb1EES12_IbLb0EEEEDaSY_SZ_EUlSY_E_NS1_11comp_targetILNS1_3genE8ELNS1_11target_archE1030ELNS1_3gpuE2ELNS1_3repE0EEENS1_30default_config_static_selectorELNS0_4arch9wavefront6targetE0EEEvT1_.num_agpr, 0
	.set _ZN7rocprim17ROCPRIM_400000_NS6detail17trampoline_kernelINS0_14default_configENS1_27scan_by_key_config_selectorIiiEEZZNS1_16scan_by_key_implILNS1_25lookback_scan_determinismE0ELb1ES3_N6thrust23THRUST_200600_302600_NS6detail15normal_iteratorINS9_10device_ptrIiEEEENSB_INSC_IjEEEENSB_INSC_IfEEEEiNS9_4plusIvEENS9_8equal_toIvEEiEE10hipError_tPvRmT2_T3_T4_T5_mT6_T7_P12ihipStream_tbENKUlT_T0_E_clISt17integral_constantIbLb1EES12_IbLb0EEEEDaSY_SZ_EUlSY_E_NS1_11comp_targetILNS1_3genE8ELNS1_11target_archE1030ELNS1_3gpuE2ELNS1_3repE0EEENS1_30default_config_static_selectorELNS0_4arch9wavefront6targetE0EEEvT1_.numbered_sgpr, 0
	.set _ZN7rocprim17ROCPRIM_400000_NS6detail17trampoline_kernelINS0_14default_configENS1_27scan_by_key_config_selectorIiiEEZZNS1_16scan_by_key_implILNS1_25lookback_scan_determinismE0ELb1ES3_N6thrust23THRUST_200600_302600_NS6detail15normal_iteratorINS9_10device_ptrIiEEEENSB_INSC_IjEEEENSB_INSC_IfEEEEiNS9_4plusIvEENS9_8equal_toIvEEiEE10hipError_tPvRmT2_T3_T4_T5_mT6_T7_P12ihipStream_tbENKUlT_T0_E_clISt17integral_constantIbLb1EES12_IbLb0EEEEDaSY_SZ_EUlSY_E_NS1_11comp_targetILNS1_3genE8ELNS1_11target_archE1030ELNS1_3gpuE2ELNS1_3repE0EEENS1_30default_config_static_selectorELNS0_4arch9wavefront6targetE0EEEvT1_.num_named_barrier, 0
	.set _ZN7rocprim17ROCPRIM_400000_NS6detail17trampoline_kernelINS0_14default_configENS1_27scan_by_key_config_selectorIiiEEZZNS1_16scan_by_key_implILNS1_25lookback_scan_determinismE0ELb1ES3_N6thrust23THRUST_200600_302600_NS6detail15normal_iteratorINS9_10device_ptrIiEEEENSB_INSC_IjEEEENSB_INSC_IfEEEEiNS9_4plusIvEENS9_8equal_toIvEEiEE10hipError_tPvRmT2_T3_T4_T5_mT6_T7_P12ihipStream_tbENKUlT_T0_E_clISt17integral_constantIbLb1EES12_IbLb0EEEEDaSY_SZ_EUlSY_E_NS1_11comp_targetILNS1_3genE8ELNS1_11target_archE1030ELNS1_3gpuE2ELNS1_3repE0EEENS1_30default_config_static_selectorELNS0_4arch9wavefront6targetE0EEEvT1_.private_seg_size, 0
	.set _ZN7rocprim17ROCPRIM_400000_NS6detail17trampoline_kernelINS0_14default_configENS1_27scan_by_key_config_selectorIiiEEZZNS1_16scan_by_key_implILNS1_25lookback_scan_determinismE0ELb1ES3_N6thrust23THRUST_200600_302600_NS6detail15normal_iteratorINS9_10device_ptrIiEEEENSB_INSC_IjEEEENSB_INSC_IfEEEEiNS9_4plusIvEENS9_8equal_toIvEEiEE10hipError_tPvRmT2_T3_T4_T5_mT6_T7_P12ihipStream_tbENKUlT_T0_E_clISt17integral_constantIbLb1EES12_IbLb0EEEEDaSY_SZ_EUlSY_E_NS1_11comp_targetILNS1_3genE8ELNS1_11target_archE1030ELNS1_3gpuE2ELNS1_3repE0EEENS1_30default_config_static_selectorELNS0_4arch9wavefront6targetE0EEEvT1_.uses_vcc, 0
	.set _ZN7rocprim17ROCPRIM_400000_NS6detail17trampoline_kernelINS0_14default_configENS1_27scan_by_key_config_selectorIiiEEZZNS1_16scan_by_key_implILNS1_25lookback_scan_determinismE0ELb1ES3_N6thrust23THRUST_200600_302600_NS6detail15normal_iteratorINS9_10device_ptrIiEEEENSB_INSC_IjEEEENSB_INSC_IfEEEEiNS9_4plusIvEENS9_8equal_toIvEEiEE10hipError_tPvRmT2_T3_T4_T5_mT6_T7_P12ihipStream_tbENKUlT_T0_E_clISt17integral_constantIbLb1EES12_IbLb0EEEEDaSY_SZ_EUlSY_E_NS1_11comp_targetILNS1_3genE8ELNS1_11target_archE1030ELNS1_3gpuE2ELNS1_3repE0EEENS1_30default_config_static_selectorELNS0_4arch9wavefront6targetE0EEEvT1_.uses_flat_scratch, 0
	.set _ZN7rocprim17ROCPRIM_400000_NS6detail17trampoline_kernelINS0_14default_configENS1_27scan_by_key_config_selectorIiiEEZZNS1_16scan_by_key_implILNS1_25lookback_scan_determinismE0ELb1ES3_N6thrust23THRUST_200600_302600_NS6detail15normal_iteratorINS9_10device_ptrIiEEEENSB_INSC_IjEEEENSB_INSC_IfEEEEiNS9_4plusIvEENS9_8equal_toIvEEiEE10hipError_tPvRmT2_T3_T4_T5_mT6_T7_P12ihipStream_tbENKUlT_T0_E_clISt17integral_constantIbLb1EES12_IbLb0EEEEDaSY_SZ_EUlSY_E_NS1_11comp_targetILNS1_3genE8ELNS1_11target_archE1030ELNS1_3gpuE2ELNS1_3repE0EEENS1_30default_config_static_selectorELNS0_4arch9wavefront6targetE0EEEvT1_.has_dyn_sized_stack, 0
	.set _ZN7rocprim17ROCPRIM_400000_NS6detail17trampoline_kernelINS0_14default_configENS1_27scan_by_key_config_selectorIiiEEZZNS1_16scan_by_key_implILNS1_25lookback_scan_determinismE0ELb1ES3_N6thrust23THRUST_200600_302600_NS6detail15normal_iteratorINS9_10device_ptrIiEEEENSB_INSC_IjEEEENSB_INSC_IfEEEEiNS9_4plusIvEENS9_8equal_toIvEEiEE10hipError_tPvRmT2_T3_T4_T5_mT6_T7_P12ihipStream_tbENKUlT_T0_E_clISt17integral_constantIbLb1EES12_IbLb0EEEEDaSY_SZ_EUlSY_E_NS1_11comp_targetILNS1_3genE8ELNS1_11target_archE1030ELNS1_3gpuE2ELNS1_3repE0EEENS1_30default_config_static_selectorELNS0_4arch9wavefront6targetE0EEEvT1_.has_recursion, 0
	.set _ZN7rocprim17ROCPRIM_400000_NS6detail17trampoline_kernelINS0_14default_configENS1_27scan_by_key_config_selectorIiiEEZZNS1_16scan_by_key_implILNS1_25lookback_scan_determinismE0ELb1ES3_N6thrust23THRUST_200600_302600_NS6detail15normal_iteratorINS9_10device_ptrIiEEEENSB_INSC_IjEEEENSB_INSC_IfEEEEiNS9_4plusIvEENS9_8equal_toIvEEiEE10hipError_tPvRmT2_T3_T4_T5_mT6_T7_P12ihipStream_tbENKUlT_T0_E_clISt17integral_constantIbLb1EES12_IbLb0EEEEDaSY_SZ_EUlSY_E_NS1_11comp_targetILNS1_3genE8ELNS1_11target_archE1030ELNS1_3gpuE2ELNS1_3repE0EEENS1_30default_config_static_selectorELNS0_4arch9wavefront6targetE0EEEvT1_.has_indirect_call, 0
	.section	.AMDGPU.csdata,"",@progbits
; Kernel info:
; codeLenInByte = 4
; TotalNumSgprs: 0
; NumVgprs: 0
; ScratchSize: 0
; MemoryBound: 0
; FloatMode: 240
; IeeeMode: 1
; LDSByteSize: 0 bytes/workgroup (compile time only)
; SGPRBlocks: 0
; VGPRBlocks: 0
; NumSGPRsForWavesPerEU: 1
; NumVGPRsForWavesPerEU: 1
; Occupancy: 16
; WaveLimiterHint : 0
; COMPUTE_PGM_RSRC2:SCRATCH_EN: 0
; COMPUTE_PGM_RSRC2:USER_SGPR: 6
; COMPUTE_PGM_RSRC2:TRAP_HANDLER: 0
; COMPUTE_PGM_RSRC2:TGID_X_EN: 1
; COMPUTE_PGM_RSRC2:TGID_Y_EN: 0
; COMPUTE_PGM_RSRC2:TGID_Z_EN: 0
; COMPUTE_PGM_RSRC2:TIDIG_COMP_CNT: 0
	.section	.text._ZN7rocprim17ROCPRIM_400000_NS6detail17trampoline_kernelINS0_14default_configENS1_27scan_by_key_config_selectorIiiEEZZNS1_16scan_by_key_implILNS1_25lookback_scan_determinismE0ELb1ES3_N6thrust23THRUST_200600_302600_NS6detail15normal_iteratorINS9_10device_ptrIiEEEENSB_INSC_IjEEEENSB_INSC_IfEEEEiNS9_4plusIvEENS9_8equal_toIvEEiEE10hipError_tPvRmT2_T3_T4_T5_mT6_T7_P12ihipStream_tbENKUlT_T0_E_clISt17integral_constantIbLb0EES12_IbLb1EEEEDaSY_SZ_EUlSY_E_NS1_11comp_targetILNS1_3genE0ELNS1_11target_archE4294967295ELNS1_3gpuE0ELNS1_3repE0EEENS1_30default_config_static_selectorELNS0_4arch9wavefront6targetE0EEEvT1_,"axG",@progbits,_ZN7rocprim17ROCPRIM_400000_NS6detail17trampoline_kernelINS0_14default_configENS1_27scan_by_key_config_selectorIiiEEZZNS1_16scan_by_key_implILNS1_25lookback_scan_determinismE0ELb1ES3_N6thrust23THRUST_200600_302600_NS6detail15normal_iteratorINS9_10device_ptrIiEEEENSB_INSC_IjEEEENSB_INSC_IfEEEEiNS9_4plusIvEENS9_8equal_toIvEEiEE10hipError_tPvRmT2_T3_T4_T5_mT6_T7_P12ihipStream_tbENKUlT_T0_E_clISt17integral_constantIbLb0EES12_IbLb1EEEEDaSY_SZ_EUlSY_E_NS1_11comp_targetILNS1_3genE0ELNS1_11target_archE4294967295ELNS1_3gpuE0ELNS1_3repE0EEENS1_30default_config_static_selectorELNS0_4arch9wavefront6targetE0EEEvT1_,comdat
	.protected	_ZN7rocprim17ROCPRIM_400000_NS6detail17trampoline_kernelINS0_14default_configENS1_27scan_by_key_config_selectorIiiEEZZNS1_16scan_by_key_implILNS1_25lookback_scan_determinismE0ELb1ES3_N6thrust23THRUST_200600_302600_NS6detail15normal_iteratorINS9_10device_ptrIiEEEENSB_INSC_IjEEEENSB_INSC_IfEEEEiNS9_4plusIvEENS9_8equal_toIvEEiEE10hipError_tPvRmT2_T3_T4_T5_mT6_T7_P12ihipStream_tbENKUlT_T0_E_clISt17integral_constantIbLb0EES12_IbLb1EEEEDaSY_SZ_EUlSY_E_NS1_11comp_targetILNS1_3genE0ELNS1_11target_archE4294967295ELNS1_3gpuE0ELNS1_3repE0EEENS1_30default_config_static_selectorELNS0_4arch9wavefront6targetE0EEEvT1_ ; -- Begin function _ZN7rocprim17ROCPRIM_400000_NS6detail17trampoline_kernelINS0_14default_configENS1_27scan_by_key_config_selectorIiiEEZZNS1_16scan_by_key_implILNS1_25lookback_scan_determinismE0ELb1ES3_N6thrust23THRUST_200600_302600_NS6detail15normal_iteratorINS9_10device_ptrIiEEEENSB_INSC_IjEEEENSB_INSC_IfEEEEiNS9_4plusIvEENS9_8equal_toIvEEiEE10hipError_tPvRmT2_T3_T4_T5_mT6_T7_P12ihipStream_tbENKUlT_T0_E_clISt17integral_constantIbLb0EES12_IbLb1EEEEDaSY_SZ_EUlSY_E_NS1_11comp_targetILNS1_3genE0ELNS1_11target_archE4294967295ELNS1_3gpuE0ELNS1_3repE0EEENS1_30default_config_static_selectorELNS0_4arch9wavefront6targetE0EEEvT1_
	.globl	_ZN7rocprim17ROCPRIM_400000_NS6detail17trampoline_kernelINS0_14default_configENS1_27scan_by_key_config_selectorIiiEEZZNS1_16scan_by_key_implILNS1_25lookback_scan_determinismE0ELb1ES3_N6thrust23THRUST_200600_302600_NS6detail15normal_iteratorINS9_10device_ptrIiEEEENSB_INSC_IjEEEENSB_INSC_IfEEEEiNS9_4plusIvEENS9_8equal_toIvEEiEE10hipError_tPvRmT2_T3_T4_T5_mT6_T7_P12ihipStream_tbENKUlT_T0_E_clISt17integral_constantIbLb0EES12_IbLb1EEEEDaSY_SZ_EUlSY_E_NS1_11comp_targetILNS1_3genE0ELNS1_11target_archE4294967295ELNS1_3gpuE0ELNS1_3repE0EEENS1_30default_config_static_selectorELNS0_4arch9wavefront6targetE0EEEvT1_
	.p2align	8
	.type	_ZN7rocprim17ROCPRIM_400000_NS6detail17trampoline_kernelINS0_14default_configENS1_27scan_by_key_config_selectorIiiEEZZNS1_16scan_by_key_implILNS1_25lookback_scan_determinismE0ELb1ES3_N6thrust23THRUST_200600_302600_NS6detail15normal_iteratorINS9_10device_ptrIiEEEENSB_INSC_IjEEEENSB_INSC_IfEEEEiNS9_4plusIvEENS9_8equal_toIvEEiEE10hipError_tPvRmT2_T3_T4_T5_mT6_T7_P12ihipStream_tbENKUlT_T0_E_clISt17integral_constantIbLb0EES12_IbLb1EEEEDaSY_SZ_EUlSY_E_NS1_11comp_targetILNS1_3genE0ELNS1_11target_archE4294967295ELNS1_3gpuE0ELNS1_3repE0EEENS1_30default_config_static_selectorELNS0_4arch9wavefront6targetE0EEEvT1_,@function
_ZN7rocprim17ROCPRIM_400000_NS6detail17trampoline_kernelINS0_14default_configENS1_27scan_by_key_config_selectorIiiEEZZNS1_16scan_by_key_implILNS1_25lookback_scan_determinismE0ELb1ES3_N6thrust23THRUST_200600_302600_NS6detail15normal_iteratorINS9_10device_ptrIiEEEENSB_INSC_IjEEEENSB_INSC_IfEEEEiNS9_4plusIvEENS9_8equal_toIvEEiEE10hipError_tPvRmT2_T3_T4_T5_mT6_T7_P12ihipStream_tbENKUlT_T0_E_clISt17integral_constantIbLb0EES12_IbLb1EEEEDaSY_SZ_EUlSY_E_NS1_11comp_targetILNS1_3genE0ELNS1_11target_archE4294967295ELNS1_3gpuE0ELNS1_3repE0EEENS1_30default_config_static_selectorELNS0_4arch9wavefront6targetE0EEEvT1_: ; @_ZN7rocprim17ROCPRIM_400000_NS6detail17trampoline_kernelINS0_14default_configENS1_27scan_by_key_config_selectorIiiEEZZNS1_16scan_by_key_implILNS1_25lookback_scan_determinismE0ELb1ES3_N6thrust23THRUST_200600_302600_NS6detail15normal_iteratorINS9_10device_ptrIiEEEENSB_INSC_IjEEEENSB_INSC_IfEEEEiNS9_4plusIvEENS9_8equal_toIvEEiEE10hipError_tPvRmT2_T3_T4_T5_mT6_T7_P12ihipStream_tbENKUlT_T0_E_clISt17integral_constantIbLb0EES12_IbLb1EEEEDaSY_SZ_EUlSY_E_NS1_11comp_targetILNS1_3genE0ELNS1_11target_archE4294967295ELNS1_3gpuE0ELNS1_3repE0EEENS1_30default_config_static_selectorELNS0_4arch9wavefront6targetE0EEEvT1_
; %bb.0:
	.section	.rodata,"a",@progbits
	.p2align	6, 0x0
	.amdhsa_kernel _ZN7rocprim17ROCPRIM_400000_NS6detail17trampoline_kernelINS0_14default_configENS1_27scan_by_key_config_selectorIiiEEZZNS1_16scan_by_key_implILNS1_25lookback_scan_determinismE0ELb1ES3_N6thrust23THRUST_200600_302600_NS6detail15normal_iteratorINS9_10device_ptrIiEEEENSB_INSC_IjEEEENSB_INSC_IfEEEEiNS9_4plusIvEENS9_8equal_toIvEEiEE10hipError_tPvRmT2_T3_T4_T5_mT6_T7_P12ihipStream_tbENKUlT_T0_E_clISt17integral_constantIbLb0EES12_IbLb1EEEEDaSY_SZ_EUlSY_E_NS1_11comp_targetILNS1_3genE0ELNS1_11target_archE4294967295ELNS1_3gpuE0ELNS1_3repE0EEENS1_30default_config_static_selectorELNS0_4arch9wavefront6targetE0EEEvT1_
		.amdhsa_group_segment_fixed_size 0
		.amdhsa_private_segment_fixed_size 0
		.amdhsa_kernarg_size 112
		.amdhsa_user_sgpr_count 6
		.amdhsa_user_sgpr_private_segment_buffer 1
		.amdhsa_user_sgpr_dispatch_ptr 0
		.amdhsa_user_sgpr_queue_ptr 0
		.amdhsa_user_sgpr_kernarg_segment_ptr 1
		.amdhsa_user_sgpr_dispatch_id 0
		.amdhsa_user_sgpr_flat_scratch_init 0
		.amdhsa_user_sgpr_private_segment_size 0
		.amdhsa_wavefront_size32 1
		.amdhsa_uses_dynamic_stack 0
		.amdhsa_system_sgpr_private_segment_wavefront_offset 0
		.amdhsa_system_sgpr_workgroup_id_x 1
		.amdhsa_system_sgpr_workgroup_id_y 0
		.amdhsa_system_sgpr_workgroup_id_z 0
		.amdhsa_system_sgpr_workgroup_info 0
		.amdhsa_system_vgpr_workitem_id 0
		.amdhsa_next_free_vgpr 1
		.amdhsa_next_free_sgpr 1
		.amdhsa_reserve_vcc 0
		.amdhsa_reserve_flat_scratch 0
		.amdhsa_float_round_mode_32 0
		.amdhsa_float_round_mode_16_64 0
		.amdhsa_float_denorm_mode_32 3
		.amdhsa_float_denorm_mode_16_64 3
		.amdhsa_dx10_clamp 1
		.amdhsa_ieee_mode 1
		.amdhsa_fp16_overflow 0
		.amdhsa_workgroup_processor_mode 1
		.amdhsa_memory_ordered 1
		.amdhsa_forward_progress 1
		.amdhsa_shared_vgpr_count 0
		.amdhsa_exception_fp_ieee_invalid_op 0
		.amdhsa_exception_fp_denorm_src 0
		.amdhsa_exception_fp_ieee_div_zero 0
		.amdhsa_exception_fp_ieee_overflow 0
		.amdhsa_exception_fp_ieee_underflow 0
		.amdhsa_exception_fp_ieee_inexact 0
		.amdhsa_exception_int_div_zero 0
	.end_amdhsa_kernel
	.section	.text._ZN7rocprim17ROCPRIM_400000_NS6detail17trampoline_kernelINS0_14default_configENS1_27scan_by_key_config_selectorIiiEEZZNS1_16scan_by_key_implILNS1_25lookback_scan_determinismE0ELb1ES3_N6thrust23THRUST_200600_302600_NS6detail15normal_iteratorINS9_10device_ptrIiEEEENSB_INSC_IjEEEENSB_INSC_IfEEEEiNS9_4plusIvEENS9_8equal_toIvEEiEE10hipError_tPvRmT2_T3_T4_T5_mT6_T7_P12ihipStream_tbENKUlT_T0_E_clISt17integral_constantIbLb0EES12_IbLb1EEEEDaSY_SZ_EUlSY_E_NS1_11comp_targetILNS1_3genE0ELNS1_11target_archE4294967295ELNS1_3gpuE0ELNS1_3repE0EEENS1_30default_config_static_selectorELNS0_4arch9wavefront6targetE0EEEvT1_,"axG",@progbits,_ZN7rocprim17ROCPRIM_400000_NS6detail17trampoline_kernelINS0_14default_configENS1_27scan_by_key_config_selectorIiiEEZZNS1_16scan_by_key_implILNS1_25lookback_scan_determinismE0ELb1ES3_N6thrust23THRUST_200600_302600_NS6detail15normal_iteratorINS9_10device_ptrIiEEEENSB_INSC_IjEEEENSB_INSC_IfEEEEiNS9_4plusIvEENS9_8equal_toIvEEiEE10hipError_tPvRmT2_T3_T4_T5_mT6_T7_P12ihipStream_tbENKUlT_T0_E_clISt17integral_constantIbLb0EES12_IbLb1EEEEDaSY_SZ_EUlSY_E_NS1_11comp_targetILNS1_3genE0ELNS1_11target_archE4294967295ELNS1_3gpuE0ELNS1_3repE0EEENS1_30default_config_static_selectorELNS0_4arch9wavefront6targetE0EEEvT1_,comdat
.Lfunc_end1743:
	.size	_ZN7rocprim17ROCPRIM_400000_NS6detail17trampoline_kernelINS0_14default_configENS1_27scan_by_key_config_selectorIiiEEZZNS1_16scan_by_key_implILNS1_25lookback_scan_determinismE0ELb1ES3_N6thrust23THRUST_200600_302600_NS6detail15normal_iteratorINS9_10device_ptrIiEEEENSB_INSC_IjEEEENSB_INSC_IfEEEEiNS9_4plusIvEENS9_8equal_toIvEEiEE10hipError_tPvRmT2_T3_T4_T5_mT6_T7_P12ihipStream_tbENKUlT_T0_E_clISt17integral_constantIbLb0EES12_IbLb1EEEEDaSY_SZ_EUlSY_E_NS1_11comp_targetILNS1_3genE0ELNS1_11target_archE4294967295ELNS1_3gpuE0ELNS1_3repE0EEENS1_30default_config_static_selectorELNS0_4arch9wavefront6targetE0EEEvT1_, .Lfunc_end1743-_ZN7rocprim17ROCPRIM_400000_NS6detail17trampoline_kernelINS0_14default_configENS1_27scan_by_key_config_selectorIiiEEZZNS1_16scan_by_key_implILNS1_25lookback_scan_determinismE0ELb1ES3_N6thrust23THRUST_200600_302600_NS6detail15normal_iteratorINS9_10device_ptrIiEEEENSB_INSC_IjEEEENSB_INSC_IfEEEEiNS9_4plusIvEENS9_8equal_toIvEEiEE10hipError_tPvRmT2_T3_T4_T5_mT6_T7_P12ihipStream_tbENKUlT_T0_E_clISt17integral_constantIbLb0EES12_IbLb1EEEEDaSY_SZ_EUlSY_E_NS1_11comp_targetILNS1_3genE0ELNS1_11target_archE4294967295ELNS1_3gpuE0ELNS1_3repE0EEENS1_30default_config_static_selectorELNS0_4arch9wavefront6targetE0EEEvT1_
                                        ; -- End function
	.set _ZN7rocprim17ROCPRIM_400000_NS6detail17trampoline_kernelINS0_14default_configENS1_27scan_by_key_config_selectorIiiEEZZNS1_16scan_by_key_implILNS1_25lookback_scan_determinismE0ELb1ES3_N6thrust23THRUST_200600_302600_NS6detail15normal_iteratorINS9_10device_ptrIiEEEENSB_INSC_IjEEEENSB_INSC_IfEEEEiNS9_4plusIvEENS9_8equal_toIvEEiEE10hipError_tPvRmT2_T3_T4_T5_mT6_T7_P12ihipStream_tbENKUlT_T0_E_clISt17integral_constantIbLb0EES12_IbLb1EEEEDaSY_SZ_EUlSY_E_NS1_11comp_targetILNS1_3genE0ELNS1_11target_archE4294967295ELNS1_3gpuE0ELNS1_3repE0EEENS1_30default_config_static_selectorELNS0_4arch9wavefront6targetE0EEEvT1_.num_vgpr, 0
	.set _ZN7rocprim17ROCPRIM_400000_NS6detail17trampoline_kernelINS0_14default_configENS1_27scan_by_key_config_selectorIiiEEZZNS1_16scan_by_key_implILNS1_25lookback_scan_determinismE0ELb1ES3_N6thrust23THRUST_200600_302600_NS6detail15normal_iteratorINS9_10device_ptrIiEEEENSB_INSC_IjEEEENSB_INSC_IfEEEEiNS9_4plusIvEENS9_8equal_toIvEEiEE10hipError_tPvRmT2_T3_T4_T5_mT6_T7_P12ihipStream_tbENKUlT_T0_E_clISt17integral_constantIbLb0EES12_IbLb1EEEEDaSY_SZ_EUlSY_E_NS1_11comp_targetILNS1_3genE0ELNS1_11target_archE4294967295ELNS1_3gpuE0ELNS1_3repE0EEENS1_30default_config_static_selectorELNS0_4arch9wavefront6targetE0EEEvT1_.num_agpr, 0
	.set _ZN7rocprim17ROCPRIM_400000_NS6detail17trampoline_kernelINS0_14default_configENS1_27scan_by_key_config_selectorIiiEEZZNS1_16scan_by_key_implILNS1_25lookback_scan_determinismE0ELb1ES3_N6thrust23THRUST_200600_302600_NS6detail15normal_iteratorINS9_10device_ptrIiEEEENSB_INSC_IjEEEENSB_INSC_IfEEEEiNS9_4plusIvEENS9_8equal_toIvEEiEE10hipError_tPvRmT2_T3_T4_T5_mT6_T7_P12ihipStream_tbENKUlT_T0_E_clISt17integral_constantIbLb0EES12_IbLb1EEEEDaSY_SZ_EUlSY_E_NS1_11comp_targetILNS1_3genE0ELNS1_11target_archE4294967295ELNS1_3gpuE0ELNS1_3repE0EEENS1_30default_config_static_selectorELNS0_4arch9wavefront6targetE0EEEvT1_.numbered_sgpr, 0
	.set _ZN7rocprim17ROCPRIM_400000_NS6detail17trampoline_kernelINS0_14default_configENS1_27scan_by_key_config_selectorIiiEEZZNS1_16scan_by_key_implILNS1_25lookback_scan_determinismE0ELb1ES3_N6thrust23THRUST_200600_302600_NS6detail15normal_iteratorINS9_10device_ptrIiEEEENSB_INSC_IjEEEENSB_INSC_IfEEEEiNS9_4plusIvEENS9_8equal_toIvEEiEE10hipError_tPvRmT2_T3_T4_T5_mT6_T7_P12ihipStream_tbENKUlT_T0_E_clISt17integral_constantIbLb0EES12_IbLb1EEEEDaSY_SZ_EUlSY_E_NS1_11comp_targetILNS1_3genE0ELNS1_11target_archE4294967295ELNS1_3gpuE0ELNS1_3repE0EEENS1_30default_config_static_selectorELNS0_4arch9wavefront6targetE0EEEvT1_.num_named_barrier, 0
	.set _ZN7rocprim17ROCPRIM_400000_NS6detail17trampoline_kernelINS0_14default_configENS1_27scan_by_key_config_selectorIiiEEZZNS1_16scan_by_key_implILNS1_25lookback_scan_determinismE0ELb1ES3_N6thrust23THRUST_200600_302600_NS6detail15normal_iteratorINS9_10device_ptrIiEEEENSB_INSC_IjEEEENSB_INSC_IfEEEEiNS9_4plusIvEENS9_8equal_toIvEEiEE10hipError_tPvRmT2_T3_T4_T5_mT6_T7_P12ihipStream_tbENKUlT_T0_E_clISt17integral_constantIbLb0EES12_IbLb1EEEEDaSY_SZ_EUlSY_E_NS1_11comp_targetILNS1_3genE0ELNS1_11target_archE4294967295ELNS1_3gpuE0ELNS1_3repE0EEENS1_30default_config_static_selectorELNS0_4arch9wavefront6targetE0EEEvT1_.private_seg_size, 0
	.set _ZN7rocprim17ROCPRIM_400000_NS6detail17trampoline_kernelINS0_14default_configENS1_27scan_by_key_config_selectorIiiEEZZNS1_16scan_by_key_implILNS1_25lookback_scan_determinismE0ELb1ES3_N6thrust23THRUST_200600_302600_NS6detail15normal_iteratorINS9_10device_ptrIiEEEENSB_INSC_IjEEEENSB_INSC_IfEEEEiNS9_4plusIvEENS9_8equal_toIvEEiEE10hipError_tPvRmT2_T3_T4_T5_mT6_T7_P12ihipStream_tbENKUlT_T0_E_clISt17integral_constantIbLb0EES12_IbLb1EEEEDaSY_SZ_EUlSY_E_NS1_11comp_targetILNS1_3genE0ELNS1_11target_archE4294967295ELNS1_3gpuE0ELNS1_3repE0EEENS1_30default_config_static_selectorELNS0_4arch9wavefront6targetE0EEEvT1_.uses_vcc, 0
	.set _ZN7rocprim17ROCPRIM_400000_NS6detail17trampoline_kernelINS0_14default_configENS1_27scan_by_key_config_selectorIiiEEZZNS1_16scan_by_key_implILNS1_25lookback_scan_determinismE0ELb1ES3_N6thrust23THRUST_200600_302600_NS6detail15normal_iteratorINS9_10device_ptrIiEEEENSB_INSC_IjEEEENSB_INSC_IfEEEEiNS9_4plusIvEENS9_8equal_toIvEEiEE10hipError_tPvRmT2_T3_T4_T5_mT6_T7_P12ihipStream_tbENKUlT_T0_E_clISt17integral_constantIbLb0EES12_IbLb1EEEEDaSY_SZ_EUlSY_E_NS1_11comp_targetILNS1_3genE0ELNS1_11target_archE4294967295ELNS1_3gpuE0ELNS1_3repE0EEENS1_30default_config_static_selectorELNS0_4arch9wavefront6targetE0EEEvT1_.uses_flat_scratch, 0
	.set _ZN7rocprim17ROCPRIM_400000_NS6detail17trampoline_kernelINS0_14default_configENS1_27scan_by_key_config_selectorIiiEEZZNS1_16scan_by_key_implILNS1_25lookback_scan_determinismE0ELb1ES3_N6thrust23THRUST_200600_302600_NS6detail15normal_iteratorINS9_10device_ptrIiEEEENSB_INSC_IjEEEENSB_INSC_IfEEEEiNS9_4plusIvEENS9_8equal_toIvEEiEE10hipError_tPvRmT2_T3_T4_T5_mT6_T7_P12ihipStream_tbENKUlT_T0_E_clISt17integral_constantIbLb0EES12_IbLb1EEEEDaSY_SZ_EUlSY_E_NS1_11comp_targetILNS1_3genE0ELNS1_11target_archE4294967295ELNS1_3gpuE0ELNS1_3repE0EEENS1_30default_config_static_selectorELNS0_4arch9wavefront6targetE0EEEvT1_.has_dyn_sized_stack, 0
	.set _ZN7rocprim17ROCPRIM_400000_NS6detail17trampoline_kernelINS0_14default_configENS1_27scan_by_key_config_selectorIiiEEZZNS1_16scan_by_key_implILNS1_25lookback_scan_determinismE0ELb1ES3_N6thrust23THRUST_200600_302600_NS6detail15normal_iteratorINS9_10device_ptrIiEEEENSB_INSC_IjEEEENSB_INSC_IfEEEEiNS9_4plusIvEENS9_8equal_toIvEEiEE10hipError_tPvRmT2_T3_T4_T5_mT6_T7_P12ihipStream_tbENKUlT_T0_E_clISt17integral_constantIbLb0EES12_IbLb1EEEEDaSY_SZ_EUlSY_E_NS1_11comp_targetILNS1_3genE0ELNS1_11target_archE4294967295ELNS1_3gpuE0ELNS1_3repE0EEENS1_30default_config_static_selectorELNS0_4arch9wavefront6targetE0EEEvT1_.has_recursion, 0
	.set _ZN7rocprim17ROCPRIM_400000_NS6detail17trampoline_kernelINS0_14default_configENS1_27scan_by_key_config_selectorIiiEEZZNS1_16scan_by_key_implILNS1_25lookback_scan_determinismE0ELb1ES3_N6thrust23THRUST_200600_302600_NS6detail15normal_iteratorINS9_10device_ptrIiEEEENSB_INSC_IjEEEENSB_INSC_IfEEEEiNS9_4plusIvEENS9_8equal_toIvEEiEE10hipError_tPvRmT2_T3_T4_T5_mT6_T7_P12ihipStream_tbENKUlT_T0_E_clISt17integral_constantIbLb0EES12_IbLb1EEEEDaSY_SZ_EUlSY_E_NS1_11comp_targetILNS1_3genE0ELNS1_11target_archE4294967295ELNS1_3gpuE0ELNS1_3repE0EEENS1_30default_config_static_selectorELNS0_4arch9wavefront6targetE0EEEvT1_.has_indirect_call, 0
	.section	.AMDGPU.csdata,"",@progbits
; Kernel info:
; codeLenInByte = 0
; TotalNumSgprs: 0
; NumVgprs: 0
; ScratchSize: 0
; MemoryBound: 0
; FloatMode: 240
; IeeeMode: 1
; LDSByteSize: 0 bytes/workgroup (compile time only)
; SGPRBlocks: 0
; VGPRBlocks: 0
; NumSGPRsForWavesPerEU: 1
; NumVGPRsForWavesPerEU: 1
; Occupancy: 16
; WaveLimiterHint : 0
; COMPUTE_PGM_RSRC2:SCRATCH_EN: 0
; COMPUTE_PGM_RSRC2:USER_SGPR: 6
; COMPUTE_PGM_RSRC2:TRAP_HANDLER: 0
; COMPUTE_PGM_RSRC2:TGID_X_EN: 1
; COMPUTE_PGM_RSRC2:TGID_Y_EN: 0
; COMPUTE_PGM_RSRC2:TGID_Z_EN: 0
; COMPUTE_PGM_RSRC2:TIDIG_COMP_CNT: 0
	.section	.text._ZN7rocprim17ROCPRIM_400000_NS6detail17trampoline_kernelINS0_14default_configENS1_27scan_by_key_config_selectorIiiEEZZNS1_16scan_by_key_implILNS1_25lookback_scan_determinismE0ELb1ES3_N6thrust23THRUST_200600_302600_NS6detail15normal_iteratorINS9_10device_ptrIiEEEENSB_INSC_IjEEEENSB_INSC_IfEEEEiNS9_4plusIvEENS9_8equal_toIvEEiEE10hipError_tPvRmT2_T3_T4_T5_mT6_T7_P12ihipStream_tbENKUlT_T0_E_clISt17integral_constantIbLb0EES12_IbLb1EEEEDaSY_SZ_EUlSY_E_NS1_11comp_targetILNS1_3genE10ELNS1_11target_archE1201ELNS1_3gpuE5ELNS1_3repE0EEENS1_30default_config_static_selectorELNS0_4arch9wavefront6targetE0EEEvT1_,"axG",@progbits,_ZN7rocprim17ROCPRIM_400000_NS6detail17trampoline_kernelINS0_14default_configENS1_27scan_by_key_config_selectorIiiEEZZNS1_16scan_by_key_implILNS1_25lookback_scan_determinismE0ELb1ES3_N6thrust23THRUST_200600_302600_NS6detail15normal_iteratorINS9_10device_ptrIiEEEENSB_INSC_IjEEEENSB_INSC_IfEEEEiNS9_4plusIvEENS9_8equal_toIvEEiEE10hipError_tPvRmT2_T3_T4_T5_mT6_T7_P12ihipStream_tbENKUlT_T0_E_clISt17integral_constantIbLb0EES12_IbLb1EEEEDaSY_SZ_EUlSY_E_NS1_11comp_targetILNS1_3genE10ELNS1_11target_archE1201ELNS1_3gpuE5ELNS1_3repE0EEENS1_30default_config_static_selectorELNS0_4arch9wavefront6targetE0EEEvT1_,comdat
	.protected	_ZN7rocprim17ROCPRIM_400000_NS6detail17trampoline_kernelINS0_14default_configENS1_27scan_by_key_config_selectorIiiEEZZNS1_16scan_by_key_implILNS1_25lookback_scan_determinismE0ELb1ES3_N6thrust23THRUST_200600_302600_NS6detail15normal_iteratorINS9_10device_ptrIiEEEENSB_INSC_IjEEEENSB_INSC_IfEEEEiNS9_4plusIvEENS9_8equal_toIvEEiEE10hipError_tPvRmT2_T3_T4_T5_mT6_T7_P12ihipStream_tbENKUlT_T0_E_clISt17integral_constantIbLb0EES12_IbLb1EEEEDaSY_SZ_EUlSY_E_NS1_11comp_targetILNS1_3genE10ELNS1_11target_archE1201ELNS1_3gpuE5ELNS1_3repE0EEENS1_30default_config_static_selectorELNS0_4arch9wavefront6targetE0EEEvT1_ ; -- Begin function _ZN7rocprim17ROCPRIM_400000_NS6detail17trampoline_kernelINS0_14default_configENS1_27scan_by_key_config_selectorIiiEEZZNS1_16scan_by_key_implILNS1_25lookback_scan_determinismE0ELb1ES3_N6thrust23THRUST_200600_302600_NS6detail15normal_iteratorINS9_10device_ptrIiEEEENSB_INSC_IjEEEENSB_INSC_IfEEEEiNS9_4plusIvEENS9_8equal_toIvEEiEE10hipError_tPvRmT2_T3_T4_T5_mT6_T7_P12ihipStream_tbENKUlT_T0_E_clISt17integral_constantIbLb0EES12_IbLb1EEEEDaSY_SZ_EUlSY_E_NS1_11comp_targetILNS1_3genE10ELNS1_11target_archE1201ELNS1_3gpuE5ELNS1_3repE0EEENS1_30default_config_static_selectorELNS0_4arch9wavefront6targetE0EEEvT1_
	.globl	_ZN7rocprim17ROCPRIM_400000_NS6detail17trampoline_kernelINS0_14default_configENS1_27scan_by_key_config_selectorIiiEEZZNS1_16scan_by_key_implILNS1_25lookback_scan_determinismE0ELb1ES3_N6thrust23THRUST_200600_302600_NS6detail15normal_iteratorINS9_10device_ptrIiEEEENSB_INSC_IjEEEENSB_INSC_IfEEEEiNS9_4plusIvEENS9_8equal_toIvEEiEE10hipError_tPvRmT2_T3_T4_T5_mT6_T7_P12ihipStream_tbENKUlT_T0_E_clISt17integral_constantIbLb0EES12_IbLb1EEEEDaSY_SZ_EUlSY_E_NS1_11comp_targetILNS1_3genE10ELNS1_11target_archE1201ELNS1_3gpuE5ELNS1_3repE0EEENS1_30default_config_static_selectorELNS0_4arch9wavefront6targetE0EEEvT1_
	.p2align	8
	.type	_ZN7rocprim17ROCPRIM_400000_NS6detail17trampoline_kernelINS0_14default_configENS1_27scan_by_key_config_selectorIiiEEZZNS1_16scan_by_key_implILNS1_25lookback_scan_determinismE0ELb1ES3_N6thrust23THRUST_200600_302600_NS6detail15normal_iteratorINS9_10device_ptrIiEEEENSB_INSC_IjEEEENSB_INSC_IfEEEEiNS9_4plusIvEENS9_8equal_toIvEEiEE10hipError_tPvRmT2_T3_T4_T5_mT6_T7_P12ihipStream_tbENKUlT_T0_E_clISt17integral_constantIbLb0EES12_IbLb1EEEEDaSY_SZ_EUlSY_E_NS1_11comp_targetILNS1_3genE10ELNS1_11target_archE1201ELNS1_3gpuE5ELNS1_3repE0EEENS1_30default_config_static_selectorELNS0_4arch9wavefront6targetE0EEEvT1_,@function
_ZN7rocprim17ROCPRIM_400000_NS6detail17trampoline_kernelINS0_14default_configENS1_27scan_by_key_config_selectorIiiEEZZNS1_16scan_by_key_implILNS1_25lookback_scan_determinismE0ELb1ES3_N6thrust23THRUST_200600_302600_NS6detail15normal_iteratorINS9_10device_ptrIiEEEENSB_INSC_IjEEEENSB_INSC_IfEEEEiNS9_4plusIvEENS9_8equal_toIvEEiEE10hipError_tPvRmT2_T3_T4_T5_mT6_T7_P12ihipStream_tbENKUlT_T0_E_clISt17integral_constantIbLb0EES12_IbLb1EEEEDaSY_SZ_EUlSY_E_NS1_11comp_targetILNS1_3genE10ELNS1_11target_archE1201ELNS1_3gpuE5ELNS1_3repE0EEENS1_30default_config_static_selectorELNS0_4arch9wavefront6targetE0EEEvT1_: ; @_ZN7rocprim17ROCPRIM_400000_NS6detail17trampoline_kernelINS0_14default_configENS1_27scan_by_key_config_selectorIiiEEZZNS1_16scan_by_key_implILNS1_25lookback_scan_determinismE0ELb1ES3_N6thrust23THRUST_200600_302600_NS6detail15normal_iteratorINS9_10device_ptrIiEEEENSB_INSC_IjEEEENSB_INSC_IfEEEEiNS9_4plusIvEENS9_8equal_toIvEEiEE10hipError_tPvRmT2_T3_T4_T5_mT6_T7_P12ihipStream_tbENKUlT_T0_E_clISt17integral_constantIbLb0EES12_IbLb1EEEEDaSY_SZ_EUlSY_E_NS1_11comp_targetILNS1_3genE10ELNS1_11target_archE1201ELNS1_3gpuE5ELNS1_3repE0EEENS1_30default_config_static_selectorELNS0_4arch9wavefront6targetE0EEEvT1_
; %bb.0:
	.section	.rodata,"a",@progbits
	.p2align	6, 0x0
	.amdhsa_kernel _ZN7rocprim17ROCPRIM_400000_NS6detail17trampoline_kernelINS0_14default_configENS1_27scan_by_key_config_selectorIiiEEZZNS1_16scan_by_key_implILNS1_25lookback_scan_determinismE0ELb1ES3_N6thrust23THRUST_200600_302600_NS6detail15normal_iteratorINS9_10device_ptrIiEEEENSB_INSC_IjEEEENSB_INSC_IfEEEEiNS9_4plusIvEENS9_8equal_toIvEEiEE10hipError_tPvRmT2_T3_T4_T5_mT6_T7_P12ihipStream_tbENKUlT_T0_E_clISt17integral_constantIbLb0EES12_IbLb1EEEEDaSY_SZ_EUlSY_E_NS1_11comp_targetILNS1_3genE10ELNS1_11target_archE1201ELNS1_3gpuE5ELNS1_3repE0EEENS1_30default_config_static_selectorELNS0_4arch9wavefront6targetE0EEEvT1_
		.amdhsa_group_segment_fixed_size 0
		.amdhsa_private_segment_fixed_size 0
		.amdhsa_kernarg_size 112
		.amdhsa_user_sgpr_count 6
		.amdhsa_user_sgpr_private_segment_buffer 1
		.amdhsa_user_sgpr_dispatch_ptr 0
		.amdhsa_user_sgpr_queue_ptr 0
		.amdhsa_user_sgpr_kernarg_segment_ptr 1
		.amdhsa_user_sgpr_dispatch_id 0
		.amdhsa_user_sgpr_flat_scratch_init 0
		.amdhsa_user_sgpr_private_segment_size 0
		.amdhsa_wavefront_size32 1
		.amdhsa_uses_dynamic_stack 0
		.amdhsa_system_sgpr_private_segment_wavefront_offset 0
		.amdhsa_system_sgpr_workgroup_id_x 1
		.amdhsa_system_sgpr_workgroup_id_y 0
		.amdhsa_system_sgpr_workgroup_id_z 0
		.amdhsa_system_sgpr_workgroup_info 0
		.amdhsa_system_vgpr_workitem_id 0
		.amdhsa_next_free_vgpr 1
		.amdhsa_next_free_sgpr 1
		.amdhsa_reserve_vcc 0
		.amdhsa_reserve_flat_scratch 0
		.amdhsa_float_round_mode_32 0
		.amdhsa_float_round_mode_16_64 0
		.amdhsa_float_denorm_mode_32 3
		.amdhsa_float_denorm_mode_16_64 3
		.amdhsa_dx10_clamp 1
		.amdhsa_ieee_mode 1
		.amdhsa_fp16_overflow 0
		.amdhsa_workgroup_processor_mode 1
		.amdhsa_memory_ordered 1
		.amdhsa_forward_progress 1
		.amdhsa_shared_vgpr_count 0
		.amdhsa_exception_fp_ieee_invalid_op 0
		.amdhsa_exception_fp_denorm_src 0
		.amdhsa_exception_fp_ieee_div_zero 0
		.amdhsa_exception_fp_ieee_overflow 0
		.amdhsa_exception_fp_ieee_underflow 0
		.amdhsa_exception_fp_ieee_inexact 0
		.amdhsa_exception_int_div_zero 0
	.end_amdhsa_kernel
	.section	.text._ZN7rocprim17ROCPRIM_400000_NS6detail17trampoline_kernelINS0_14default_configENS1_27scan_by_key_config_selectorIiiEEZZNS1_16scan_by_key_implILNS1_25lookback_scan_determinismE0ELb1ES3_N6thrust23THRUST_200600_302600_NS6detail15normal_iteratorINS9_10device_ptrIiEEEENSB_INSC_IjEEEENSB_INSC_IfEEEEiNS9_4plusIvEENS9_8equal_toIvEEiEE10hipError_tPvRmT2_T3_T4_T5_mT6_T7_P12ihipStream_tbENKUlT_T0_E_clISt17integral_constantIbLb0EES12_IbLb1EEEEDaSY_SZ_EUlSY_E_NS1_11comp_targetILNS1_3genE10ELNS1_11target_archE1201ELNS1_3gpuE5ELNS1_3repE0EEENS1_30default_config_static_selectorELNS0_4arch9wavefront6targetE0EEEvT1_,"axG",@progbits,_ZN7rocprim17ROCPRIM_400000_NS6detail17trampoline_kernelINS0_14default_configENS1_27scan_by_key_config_selectorIiiEEZZNS1_16scan_by_key_implILNS1_25lookback_scan_determinismE0ELb1ES3_N6thrust23THRUST_200600_302600_NS6detail15normal_iteratorINS9_10device_ptrIiEEEENSB_INSC_IjEEEENSB_INSC_IfEEEEiNS9_4plusIvEENS9_8equal_toIvEEiEE10hipError_tPvRmT2_T3_T4_T5_mT6_T7_P12ihipStream_tbENKUlT_T0_E_clISt17integral_constantIbLb0EES12_IbLb1EEEEDaSY_SZ_EUlSY_E_NS1_11comp_targetILNS1_3genE10ELNS1_11target_archE1201ELNS1_3gpuE5ELNS1_3repE0EEENS1_30default_config_static_selectorELNS0_4arch9wavefront6targetE0EEEvT1_,comdat
.Lfunc_end1744:
	.size	_ZN7rocprim17ROCPRIM_400000_NS6detail17trampoline_kernelINS0_14default_configENS1_27scan_by_key_config_selectorIiiEEZZNS1_16scan_by_key_implILNS1_25lookback_scan_determinismE0ELb1ES3_N6thrust23THRUST_200600_302600_NS6detail15normal_iteratorINS9_10device_ptrIiEEEENSB_INSC_IjEEEENSB_INSC_IfEEEEiNS9_4plusIvEENS9_8equal_toIvEEiEE10hipError_tPvRmT2_T3_T4_T5_mT6_T7_P12ihipStream_tbENKUlT_T0_E_clISt17integral_constantIbLb0EES12_IbLb1EEEEDaSY_SZ_EUlSY_E_NS1_11comp_targetILNS1_3genE10ELNS1_11target_archE1201ELNS1_3gpuE5ELNS1_3repE0EEENS1_30default_config_static_selectorELNS0_4arch9wavefront6targetE0EEEvT1_, .Lfunc_end1744-_ZN7rocprim17ROCPRIM_400000_NS6detail17trampoline_kernelINS0_14default_configENS1_27scan_by_key_config_selectorIiiEEZZNS1_16scan_by_key_implILNS1_25lookback_scan_determinismE0ELb1ES3_N6thrust23THRUST_200600_302600_NS6detail15normal_iteratorINS9_10device_ptrIiEEEENSB_INSC_IjEEEENSB_INSC_IfEEEEiNS9_4plusIvEENS9_8equal_toIvEEiEE10hipError_tPvRmT2_T3_T4_T5_mT6_T7_P12ihipStream_tbENKUlT_T0_E_clISt17integral_constantIbLb0EES12_IbLb1EEEEDaSY_SZ_EUlSY_E_NS1_11comp_targetILNS1_3genE10ELNS1_11target_archE1201ELNS1_3gpuE5ELNS1_3repE0EEENS1_30default_config_static_selectorELNS0_4arch9wavefront6targetE0EEEvT1_
                                        ; -- End function
	.set _ZN7rocprim17ROCPRIM_400000_NS6detail17trampoline_kernelINS0_14default_configENS1_27scan_by_key_config_selectorIiiEEZZNS1_16scan_by_key_implILNS1_25lookback_scan_determinismE0ELb1ES3_N6thrust23THRUST_200600_302600_NS6detail15normal_iteratorINS9_10device_ptrIiEEEENSB_INSC_IjEEEENSB_INSC_IfEEEEiNS9_4plusIvEENS9_8equal_toIvEEiEE10hipError_tPvRmT2_T3_T4_T5_mT6_T7_P12ihipStream_tbENKUlT_T0_E_clISt17integral_constantIbLb0EES12_IbLb1EEEEDaSY_SZ_EUlSY_E_NS1_11comp_targetILNS1_3genE10ELNS1_11target_archE1201ELNS1_3gpuE5ELNS1_3repE0EEENS1_30default_config_static_selectorELNS0_4arch9wavefront6targetE0EEEvT1_.num_vgpr, 0
	.set _ZN7rocprim17ROCPRIM_400000_NS6detail17trampoline_kernelINS0_14default_configENS1_27scan_by_key_config_selectorIiiEEZZNS1_16scan_by_key_implILNS1_25lookback_scan_determinismE0ELb1ES3_N6thrust23THRUST_200600_302600_NS6detail15normal_iteratorINS9_10device_ptrIiEEEENSB_INSC_IjEEEENSB_INSC_IfEEEEiNS9_4plusIvEENS9_8equal_toIvEEiEE10hipError_tPvRmT2_T3_T4_T5_mT6_T7_P12ihipStream_tbENKUlT_T0_E_clISt17integral_constantIbLb0EES12_IbLb1EEEEDaSY_SZ_EUlSY_E_NS1_11comp_targetILNS1_3genE10ELNS1_11target_archE1201ELNS1_3gpuE5ELNS1_3repE0EEENS1_30default_config_static_selectorELNS0_4arch9wavefront6targetE0EEEvT1_.num_agpr, 0
	.set _ZN7rocprim17ROCPRIM_400000_NS6detail17trampoline_kernelINS0_14default_configENS1_27scan_by_key_config_selectorIiiEEZZNS1_16scan_by_key_implILNS1_25lookback_scan_determinismE0ELb1ES3_N6thrust23THRUST_200600_302600_NS6detail15normal_iteratorINS9_10device_ptrIiEEEENSB_INSC_IjEEEENSB_INSC_IfEEEEiNS9_4plusIvEENS9_8equal_toIvEEiEE10hipError_tPvRmT2_T3_T4_T5_mT6_T7_P12ihipStream_tbENKUlT_T0_E_clISt17integral_constantIbLb0EES12_IbLb1EEEEDaSY_SZ_EUlSY_E_NS1_11comp_targetILNS1_3genE10ELNS1_11target_archE1201ELNS1_3gpuE5ELNS1_3repE0EEENS1_30default_config_static_selectorELNS0_4arch9wavefront6targetE0EEEvT1_.numbered_sgpr, 0
	.set _ZN7rocprim17ROCPRIM_400000_NS6detail17trampoline_kernelINS0_14default_configENS1_27scan_by_key_config_selectorIiiEEZZNS1_16scan_by_key_implILNS1_25lookback_scan_determinismE0ELb1ES3_N6thrust23THRUST_200600_302600_NS6detail15normal_iteratorINS9_10device_ptrIiEEEENSB_INSC_IjEEEENSB_INSC_IfEEEEiNS9_4plusIvEENS9_8equal_toIvEEiEE10hipError_tPvRmT2_T3_T4_T5_mT6_T7_P12ihipStream_tbENKUlT_T0_E_clISt17integral_constantIbLb0EES12_IbLb1EEEEDaSY_SZ_EUlSY_E_NS1_11comp_targetILNS1_3genE10ELNS1_11target_archE1201ELNS1_3gpuE5ELNS1_3repE0EEENS1_30default_config_static_selectorELNS0_4arch9wavefront6targetE0EEEvT1_.num_named_barrier, 0
	.set _ZN7rocprim17ROCPRIM_400000_NS6detail17trampoline_kernelINS0_14default_configENS1_27scan_by_key_config_selectorIiiEEZZNS1_16scan_by_key_implILNS1_25lookback_scan_determinismE0ELb1ES3_N6thrust23THRUST_200600_302600_NS6detail15normal_iteratorINS9_10device_ptrIiEEEENSB_INSC_IjEEEENSB_INSC_IfEEEEiNS9_4plusIvEENS9_8equal_toIvEEiEE10hipError_tPvRmT2_T3_T4_T5_mT6_T7_P12ihipStream_tbENKUlT_T0_E_clISt17integral_constantIbLb0EES12_IbLb1EEEEDaSY_SZ_EUlSY_E_NS1_11comp_targetILNS1_3genE10ELNS1_11target_archE1201ELNS1_3gpuE5ELNS1_3repE0EEENS1_30default_config_static_selectorELNS0_4arch9wavefront6targetE0EEEvT1_.private_seg_size, 0
	.set _ZN7rocprim17ROCPRIM_400000_NS6detail17trampoline_kernelINS0_14default_configENS1_27scan_by_key_config_selectorIiiEEZZNS1_16scan_by_key_implILNS1_25lookback_scan_determinismE0ELb1ES3_N6thrust23THRUST_200600_302600_NS6detail15normal_iteratorINS9_10device_ptrIiEEEENSB_INSC_IjEEEENSB_INSC_IfEEEEiNS9_4plusIvEENS9_8equal_toIvEEiEE10hipError_tPvRmT2_T3_T4_T5_mT6_T7_P12ihipStream_tbENKUlT_T0_E_clISt17integral_constantIbLb0EES12_IbLb1EEEEDaSY_SZ_EUlSY_E_NS1_11comp_targetILNS1_3genE10ELNS1_11target_archE1201ELNS1_3gpuE5ELNS1_3repE0EEENS1_30default_config_static_selectorELNS0_4arch9wavefront6targetE0EEEvT1_.uses_vcc, 0
	.set _ZN7rocprim17ROCPRIM_400000_NS6detail17trampoline_kernelINS0_14default_configENS1_27scan_by_key_config_selectorIiiEEZZNS1_16scan_by_key_implILNS1_25lookback_scan_determinismE0ELb1ES3_N6thrust23THRUST_200600_302600_NS6detail15normal_iteratorINS9_10device_ptrIiEEEENSB_INSC_IjEEEENSB_INSC_IfEEEEiNS9_4plusIvEENS9_8equal_toIvEEiEE10hipError_tPvRmT2_T3_T4_T5_mT6_T7_P12ihipStream_tbENKUlT_T0_E_clISt17integral_constantIbLb0EES12_IbLb1EEEEDaSY_SZ_EUlSY_E_NS1_11comp_targetILNS1_3genE10ELNS1_11target_archE1201ELNS1_3gpuE5ELNS1_3repE0EEENS1_30default_config_static_selectorELNS0_4arch9wavefront6targetE0EEEvT1_.uses_flat_scratch, 0
	.set _ZN7rocprim17ROCPRIM_400000_NS6detail17trampoline_kernelINS0_14default_configENS1_27scan_by_key_config_selectorIiiEEZZNS1_16scan_by_key_implILNS1_25lookback_scan_determinismE0ELb1ES3_N6thrust23THRUST_200600_302600_NS6detail15normal_iteratorINS9_10device_ptrIiEEEENSB_INSC_IjEEEENSB_INSC_IfEEEEiNS9_4plusIvEENS9_8equal_toIvEEiEE10hipError_tPvRmT2_T3_T4_T5_mT6_T7_P12ihipStream_tbENKUlT_T0_E_clISt17integral_constantIbLb0EES12_IbLb1EEEEDaSY_SZ_EUlSY_E_NS1_11comp_targetILNS1_3genE10ELNS1_11target_archE1201ELNS1_3gpuE5ELNS1_3repE0EEENS1_30default_config_static_selectorELNS0_4arch9wavefront6targetE0EEEvT1_.has_dyn_sized_stack, 0
	.set _ZN7rocprim17ROCPRIM_400000_NS6detail17trampoline_kernelINS0_14default_configENS1_27scan_by_key_config_selectorIiiEEZZNS1_16scan_by_key_implILNS1_25lookback_scan_determinismE0ELb1ES3_N6thrust23THRUST_200600_302600_NS6detail15normal_iteratorINS9_10device_ptrIiEEEENSB_INSC_IjEEEENSB_INSC_IfEEEEiNS9_4plusIvEENS9_8equal_toIvEEiEE10hipError_tPvRmT2_T3_T4_T5_mT6_T7_P12ihipStream_tbENKUlT_T0_E_clISt17integral_constantIbLb0EES12_IbLb1EEEEDaSY_SZ_EUlSY_E_NS1_11comp_targetILNS1_3genE10ELNS1_11target_archE1201ELNS1_3gpuE5ELNS1_3repE0EEENS1_30default_config_static_selectorELNS0_4arch9wavefront6targetE0EEEvT1_.has_recursion, 0
	.set _ZN7rocprim17ROCPRIM_400000_NS6detail17trampoline_kernelINS0_14default_configENS1_27scan_by_key_config_selectorIiiEEZZNS1_16scan_by_key_implILNS1_25lookback_scan_determinismE0ELb1ES3_N6thrust23THRUST_200600_302600_NS6detail15normal_iteratorINS9_10device_ptrIiEEEENSB_INSC_IjEEEENSB_INSC_IfEEEEiNS9_4plusIvEENS9_8equal_toIvEEiEE10hipError_tPvRmT2_T3_T4_T5_mT6_T7_P12ihipStream_tbENKUlT_T0_E_clISt17integral_constantIbLb0EES12_IbLb1EEEEDaSY_SZ_EUlSY_E_NS1_11comp_targetILNS1_3genE10ELNS1_11target_archE1201ELNS1_3gpuE5ELNS1_3repE0EEENS1_30default_config_static_selectorELNS0_4arch9wavefront6targetE0EEEvT1_.has_indirect_call, 0
	.section	.AMDGPU.csdata,"",@progbits
; Kernel info:
; codeLenInByte = 0
; TotalNumSgprs: 0
; NumVgprs: 0
; ScratchSize: 0
; MemoryBound: 0
; FloatMode: 240
; IeeeMode: 1
; LDSByteSize: 0 bytes/workgroup (compile time only)
; SGPRBlocks: 0
; VGPRBlocks: 0
; NumSGPRsForWavesPerEU: 1
; NumVGPRsForWavesPerEU: 1
; Occupancy: 16
; WaveLimiterHint : 0
; COMPUTE_PGM_RSRC2:SCRATCH_EN: 0
; COMPUTE_PGM_RSRC2:USER_SGPR: 6
; COMPUTE_PGM_RSRC2:TRAP_HANDLER: 0
; COMPUTE_PGM_RSRC2:TGID_X_EN: 1
; COMPUTE_PGM_RSRC2:TGID_Y_EN: 0
; COMPUTE_PGM_RSRC2:TGID_Z_EN: 0
; COMPUTE_PGM_RSRC2:TIDIG_COMP_CNT: 0
	.section	.text._ZN7rocprim17ROCPRIM_400000_NS6detail17trampoline_kernelINS0_14default_configENS1_27scan_by_key_config_selectorIiiEEZZNS1_16scan_by_key_implILNS1_25lookback_scan_determinismE0ELb1ES3_N6thrust23THRUST_200600_302600_NS6detail15normal_iteratorINS9_10device_ptrIiEEEENSB_INSC_IjEEEENSB_INSC_IfEEEEiNS9_4plusIvEENS9_8equal_toIvEEiEE10hipError_tPvRmT2_T3_T4_T5_mT6_T7_P12ihipStream_tbENKUlT_T0_E_clISt17integral_constantIbLb0EES12_IbLb1EEEEDaSY_SZ_EUlSY_E_NS1_11comp_targetILNS1_3genE5ELNS1_11target_archE942ELNS1_3gpuE9ELNS1_3repE0EEENS1_30default_config_static_selectorELNS0_4arch9wavefront6targetE0EEEvT1_,"axG",@progbits,_ZN7rocprim17ROCPRIM_400000_NS6detail17trampoline_kernelINS0_14default_configENS1_27scan_by_key_config_selectorIiiEEZZNS1_16scan_by_key_implILNS1_25lookback_scan_determinismE0ELb1ES3_N6thrust23THRUST_200600_302600_NS6detail15normal_iteratorINS9_10device_ptrIiEEEENSB_INSC_IjEEEENSB_INSC_IfEEEEiNS9_4plusIvEENS9_8equal_toIvEEiEE10hipError_tPvRmT2_T3_T4_T5_mT6_T7_P12ihipStream_tbENKUlT_T0_E_clISt17integral_constantIbLb0EES12_IbLb1EEEEDaSY_SZ_EUlSY_E_NS1_11comp_targetILNS1_3genE5ELNS1_11target_archE942ELNS1_3gpuE9ELNS1_3repE0EEENS1_30default_config_static_selectorELNS0_4arch9wavefront6targetE0EEEvT1_,comdat
	.protected	_ZN7rocprim17ROCPRIM_400000_NS6detail17trampoline_kernelINS0_14default_configENS1_27scan_by_key_config_selectorIiiEEZZNS1_16scan_by_key_implILNS1_25lookback_scan_determinismE0ELb1ES3_N6thrust23THRUST_200600_302600_NS6detail15normal_iteratorINS9_10device_ptrIiEEEENSB_INSC_IjEEEENSB_INSC_IfEEEEiNS9_4plusIvEENS9_8equal_toIvEEiEE10hipError_tPvRmT2_T3_T4_T5_mT6_T7_P12ihipStream_tbENKUlT_T0_E_clISt17integral_constantIbLb0EES12_IbLb1EEEEDaSY_SZ_EUlSY_E_NS1_11comp_targetILNS1_3genE5ELNS1_11target_archE942ELNS1_3gpuE9ELNS1_3repE0EEENS1_30default_config_static_selectorELNS0_4arch9wavefront6targetE0EEEvT1_ ; -- Begin function _ZN7rocprim17ROCPRIM_400000_NS6detail17trampoline_kernelINS0_14default_configENS1_27scan_by_key_config_selectorIiiEEZZNS1_16scan_by_key_implILNS1_25lookback_scan_determinismE0ELb1ES3_N6thrust23THRUST_200600_302600_NS6detail15normal_iteratorINS9_10device_ptrIiEEEENSB_INSC_IjEEEENSB_INSC_IfEEEEiNS9_4plusIvEENS9_8equal_toIvEEiEE10hipError_tPvRmT2_T3_T4_T5_mT6_T7_P12ihipStream_tbENKUlT_T0_E_clISt17integral_constantIbLb0EES12_IbLb1EEEEDaSY_SZ_EUlSY_E_NS1_11comp_targetILNS1_3genE5ELNS1_11target_archE942ELNS1_3gpuE9ELNS1_3repE0EEENS1_30default_config_static_selectorELNS0_4arch9wavefront6targetE0EEEvT1_
	.globl	_ZN7rocprim17ROCPRIM_400000_NS6detail17trampoline_kernelINS0_14default_configENS1_27scan_by_key_config_selectorIiiEEZZNS1_16scan_by_key_implILNS1_25lookback_scan_determinismE0ELb1ES3_N6thrust23THRUST_200600_302600_NS6detail15normal_iteratorINS9_10device_ptrIiEEEENSB_INSC_IjEEEENSB_INSC_IfEEEEiNS9_4plusIvEENS9_8equal_toIvEEiEE10hipError_tPvRmT2_T3_T4_T5_mT6_T7_P12ihipStream_tbENKUlT_T0_E_clISt17integral_constantIbLb0EES12_IbLb1EEEEDaSY_SZ_EUlSY_E_NS1_11comp_targetILNS1_3genE5ELNS1_11target_archE942ELNS1_3gpuE9ELNS1_3repE0EEENS1_30default_config_static_selectorELNS0_4arch9wavefront6targetE0EEEvT1_
	.p2align	8
	.type	_ZN7rocprim17ROCPRIM_400000_NS6detail17trampoline_kernelINS0_14default_configENS1_27scan_by_key_config_selectorIiiEEZZNS1_16scan_by_key_implILNS1_25lookback_scan_determinismE0ELb1ES3_N6thrust23THRUST_200600_302600_NS6detail15normal_iteratorINS9_10device_ptrIiEEEENSB_INSC_IjEEEENSB_INSC_IfEEEEiNS9_4plusIvEENS9_8equal_toIvEEiEE10hipError_tPvRmT2_T3_T4_T5_mT6_T7_P12ihipStream_tbENKUlT_T0_E_clISt17integral_constantIbLb0EES12_IbLb1EEEEDaSY_SZ_EUlSY_E_NS1_11comp_targetILNS1_3genE5ELNS1_11target_archE942ELNS1_3gpuE9ELNS1_3repE0EEENS1_30default_config_static_selectorELNS0_4arch9wavefront6targetE0EEEvT1_,@function
_ZN7rocprim17ROCPRIM_400000_NS6detail17trampoline_kernelINS0_14default_configENS1_27scan_by_key_config_selectorIiiEEZZNS1_16scan_by_key_implILNS1_25lookback_scan_determinismE0ELb1ES3_N6thrust23THRUST_200600_302600_NS6detail15normal_iteratorINS9_10device_ptrIiEEEENSB_INSC_IjEEEENSB_INSC_IfEEEEiNS9_4plusIvEENS9_8equal_toIvEEiEE10hipError_tPvRmT2_T3_T4_T5_mT6_T7_P12ihipStream_tbENKUlT_T0_E_clISt17integral_constantIbLb0EES12_IbLb1EEEEDaSY_SZ_EUlSY_E_NS1_11comp_targetILNS1_3genE5ELNS1_11target_archE942ELNS1_3gpuE9ELNS1_3repE0EEENS1_30default_config_static_selectorELNS0_4arch9wavefront6targetE0EEEvT1_: ; @_ZN7rocprim17ROCPRIM_400000_NS6detail17trampoline_kernelINS0_14default_configENS1_27scan_by_key_config_selectorIiiEEZZNS1_16scan_by_key_implILNS1_25lookback_scan_determinismE0ELb1ES3_N6thrust23THRUST_200600_302600_NS6detail15normal_iteratorINS9_10device_ptrIiEEEENSB_INSC_IjEEEENSB_INSC_IfEEEEiNS9_4plusIvEENS9_8equal_toIvEEiEE10hipError_tPvRmT2_T3_T4_T5_mT6_T7_P12ihipStream_tbENKUlT_T0_E_clISt17integral_constantIbLb0EES12_IbLb1EEEEDaSY_SZ_EUlSY_E_NS1_11comp_targetILNS1_3genE5ELNS1_11target_archE942ELNS1_3gpuE9ELNS1_3repE0EEENS1_30default_config_static_selectorELNS0_4arch9wavefront6targetE0EEEvT1_
; %bb.0:
	.section	.rodata,"a",@progbits
	.p2align	6, 0x0
	.amdhsa_kernel _ZN7rocprim17ROCPRIM_400000_NS6detail17trampoline_kernelINS0_14default_configENS1_27scan_by_key_config_selectorIiiEEZZNS1_16scan_by_key_implILNS1_25lookback_scan_determinismE0ELb1ES3_N6thrust23THRUST_200600_302600_NS6detail15normal_iteratorINS9_10device_ptrIiEEEENSB_INSC_IjEEEENSB_INSC_IfEEEEiNS9_4plusIvEENS9_8equal_toIvEEiEE10hipError_tPvRmT2_T3_T4_T5_mT6_T7_P12ihipStream_tbENKUlT_T0_E_clISt17integral_constantIbLb0EES12_IbLb1EEEEDaSY_SZ_EUlSY_E_NS1_11comp_targetILNS1_3genE5ELNS1_11target_archE942ELNS1_3gpuE9ELNS1_3repE0EEENS1_30default_config_static_selectorELNS0_4arch9wavefront6targetE0EEEvT1_
		.amdhsa_group_segment_fixed_size 0
		.amdhsa_private_segment_fixed_size 0
		.amdhsa_kernarg_size 112
		.amdhsa_user_sgpr_count 6
		.amdhsa_user_sgpr_private_segment_buffer 1
		.amdhsa_user_sgpr_dispatch_ptr 0
		.amdhsa_user_sgpr_queue_ptr 0
		.amdhsa_user_sgpr_kernarg_segment_ptr 1
		.amdhsa_user_sgpr_dispatch_id 0
		.amdhsa_user_sgpr_flat_scratch_init 0
		.amdhsa_user_sgpr_private_segment_size 0
		.amdhsa_wavefront_size32 1
		.amdhsa_uses_dynamic_stack 0
		.amdhsa_system_sgpr_private_segment_wavefront_offset 0
		.amdhsa_system_sgpr_workgroup_id_x 1
		.amdhsa_system_sgpr_workgroup_id_y 0
		.amdhsa_system_sgpr_workgroup_id_z 0
		.amdhsa_system_sgpr_workgroup_info 0
		.amdhsa_system_vgpr_workitem_id 0
		.amdhsa_next_free_vgpr 1
		.amdhsa_next_free_sgpr 1
		.amdhsa_reserve_vcc 0
		.amdhsa_reserve_flat_scratch 0
		.amdhsa_float_round_mode_32 0
		.amdhsa_float_round_mode_16_64 0
		.amdhsa_float_denorm_mode_32 3
		.amdhsa_float_denorm_mode_16_64 3
		.amdhsa_dx10_clamp 1
		.amdhsa_ieee_mode 1
		.amdhsa_fp16_overflow 0
		.amdhsa_workgroup_processor_mode 1
		.amdhsa_memory_ordered 1
		.amdhsa_forward_progress 1
		.amdhsa_shared_vgpr_count 0
		.amdhsa_exception_fp_ieee_invalid_op 0
		.amdhsa_exception_fp_denorm_src 0
		.amdhsa_exception_fp_ieee_div_zero 0
		.amdhsa_exception_fp_ieee_overflow 0
		.amdhsa_exception_fp_ieee_underflow 0
		.amdhsa_exception_fp_ieee_inexact 0
		.amdhsa_exception_int_div_zero 0
	.end_amdhsa_kernel
	.section	.text._ZN7rocprim17ROCPRIM_400000_NS6detail17trampoline_kernelINS0_14default_configENS1_27scan_by_key_config_selectorIiiEEZZNS1_16scan_by_key_implILNS1_25lookback_scan_determinismE0ELb1ES3_N6thrust23THRUST_200600_302600_NS6detail15normal_iteratorINS9_10device_ptrIiEEEENSB_INSC_IjEEEENSB_INSC_IfEEEEiNS9_4plusIvEENS9_8equal_toIvEEiEE10hipError_tPvRmT2_T3_T4_T5_mT6_T7_P12ihipStream_tbENKUlT_T0_E_clISt17integral_constantIbLb0EES12_IbLb1EEEEDaSY_SZ_EUlSY_E_NS1_11comp_targetILNS1_3genE5ELNS1_11target_archE942ELNS1_3gpuE9ELNS1_3repE0EEENS1_30default_config_static_selectorELNS0_4arch9wavefront6targetE0EEEvT1_,"axG",@progbits,_ZN7rocprim17ROCPRIM_400000_NS6detail17trampoline_kernelINS0_14default_configENS1_27scan_by_key_config_selectorIiiEEZZNS1_16scan_by_key_implILNS1_25lookback_scan_determinismE0ELb1ES3_N6thrust23THRUST_200600_302600_NS6detail15normal_iteratorINS9_10device_ptrIiEEEENSB_INSC_IjEEEENSB_INSC_IfEEEEiNS9_4plusIvEENS9_8equal_toIvEEiEE10hipError_tPvRmT2_T3_T4_T5_mT6_T7_P12ihipStream_tbENKUlT_T0_E_clISt17integral_constantIbLb0EES12_IbLb1EEEEDaSY_SZ_EUlSY_E_NS1_11comp_targetILNS1_3genE5ELNS1_11target_archE942ELNS1_3gpuE9ELNS1_3repE0EEENS1_30default_config_static_selectorELNS0_4arch9wavefront6targetE0EEEvT1_,comdat
.Lfunc_end1745:
	.size	_ZN7rocprim17ROCPRIM_400000_NS6detail17trampoline_kernelINS0_14default_configENS1_27scan_by_key_config_selectorIiiEEZZNS1_16scan_by_key_implILNS1_25lookback_scan_determinismE0ELb1ES3_N6thrust23THRUST_200600_302600_NS6detail15normal_iteratorINS9_10device_ptrIiEEEENSB_INSC_IjEEEENSB_INSC_IfEEEEiNS9_4plusIvEENS9_8equal_toIvEEiEE10hipError_tPvRmT2_T3_T4_T5_mT6_T7_P12ihipStream_tbENKUlT_T0_E_clISt17integral_constantIbLb0EES12_IbLb1EEEEDaSY_SZ_EUlSY_E_NS1_11comp_targetILNS1_3genE5ELNS1_11target_archE942ELNS1_3gpuE9ELNS1_3repE0EEENS1_30default_config_static_selectorELNS0_4arch9wavefront6targetE0EEEvT1_, .Lfunc_end1745-_ZN7rocprim17ROCPRIM_400000_NS6detail17trampoline_kernelINS0_14default_configENS1_27scan_by_key_config_selectorIiiEEZZNS1_16scan_by_key_implILNS1_25lookback_scan_determinismE0ELb1ES3_N6thrust23THRUST_200600_302600_NS6detail15normal_iteratorINS9_10device_ptrIiEEEENSB_INSC_IjEEEENSB_INSC_IfEEEEiNS9_4plusIvEENS9_8equal_toIvEEiEE10hipError_tPvRmT2_T3_T4_T5_mT6_T7_P12ihipStream_tbENKUlT_T0_E_clISt17integral_constantIbLb0EES12_IbLb1EEEEDaSY_SZ_EUlSY_E_NS1_11comp_targetILNS1_3genE5ELNS1_11target_archE942ELNS1_3gpuE9ELNS1_3repE0EEENS1_30default_config_static_selectorELNS0_4arch9wavefront6targetE0EEEvT1_
                                        ; -- End function
	.set _ZN7rocprim17ROCPRIM_400000_NS6detail17trampoline_kernelINS0_14default_configENS1_27scan_by_key_config_selectorIiiEEZZNS1_16scan_by_key_implILNS1_25lookback_scan_determinismE0ELb1ES3_N6thrust23THRUST_200600_302600_NS6detail15normal_iteratorINS9_10device_ptrIiEEEENSB_INSC_IjEEEENSB_INSC_IfEEEEiNS9_4plusIvEENS9_8equal_toIvEEiEE10hipError_tPvRmT2_T3_T4_T5_mT6_T7_P12ihipStream_tbENKUlT_T0_E_clISt17integral_constantIbLb0EES12_IbLb1EEEEDaSY_SZ_EUlSY_E_NS1_11comp_targetILNS1_3genE5ELNS1_11target_archE942ELNS1_3gpuE9ELNS1_3repE0EEENS1_30default_config_static_selectorELNS0_4arch9wavefront6targetE0EEEvT1_.num_vgpr, 0
	.set _ZN7rocprim17ROCPRIM_400000_NS6detail17trampoline_kernelINS0_14default_configENS1_27scan_by_key_config_selectorIiiEEZZNS1_16scan_by_key_implILNS1_25lookback_scan_determinismE0ELb1ES3_N6thrust23THRUST_200600_302600_NS6detail15normal_iteratorINS9_10device_ptrIiEEEENSB_INSC_IjEEEENSB_INSC_IfEEEEiNS9_4plusIvEENS9_8equal_toIvEEiEE10hipError_tPvRmT2_T3_T4_T5_mT6_T7_P12ihipStream_tbENKUlT_T0_E_clISt17integral_constantIbLb0EES12_IbLb1EEEEDaSY_SZ_EUlSY_E_NS1_11comp_targetILNS1_3genE5ELNS1_11target_archE942ELNS1_3gpuE9ELNS1_3repE0EEENS1_30default_config_static_selectorELNS0_4arch9wavefront6targetE0EEEvT1_.num_agpr, 0
	.set _ZN7rocprim17ROCPRIM_400000_NS6detail17trampoline_kernelINS0_14default_configENS1_27scan_by_key_config_selectorIiiEEZZNS1_16scan_by_key_implILNS1_25lookback_scan_determinismE0ELb1ES3_N6thrust23THRUST_200600_302600_NS6detail15normal_iteratorINS9_10device_ptrIiEEEENSB_INSC_IjEEEENSB_INSC_IfEEEEiNS9_4plusIvEENS9_8equal_toIvEEiEE10hipError_tPvRmT2_T3_T4_T5_mT6_T7_P12ihipStream_tbENKUlT_T0_E_clISt17integral_constantIbLb0EES12_IbLb1EEEEDaSY_SZ_EUlSY_E_NS1_11comp_targetILNS1_3genE5ELNS1_11target_archE942ELNS1_3gpuE9ELNS1_3repE0EEENS1_30default_config_static_selectorELNS0_4arch9wavefront6targetE0EEEvT1_.numbered_sgpr, 0
	.set _ZN7rocprim17ROCPRIM_400000_NS6detail17trampoline_kernelINS0_14default_configENS1_27scan_by_key_config_selectorIiiEEZZNS1_16scan_by_key_implILNS1_25lookback_scan_determinismE0ELb1ES3_N6thrust23THRUST_200600_302600_NS6detail15normal_iteratorINS9_10device_ptrIiEEEENSB_INSC_IjEEEENSB_INSC_IfEEEEiNS9_4plusIvEENS9_8equal_toIvEEiEE10hipError_tPvRmT2_T3_T4_T5_mT6_T7_P12ihipStream_tbENKUlT_T0_E_clISt17integral_constantIbLb0EES12_IbLb1EEEEDaSY_SZ_EUlSY_E_NS1_11comp_targetILNS1_3genE5ELNS1_11target_archE942ELNS1_3gpuE9ELNS1_3repE0EEENS1_30default_config_static_selectorELNS0_4arch9wavefront6targetE0EEEvT1_.num_named_barrier, 0
	.set _ZN7rocprim17ROCPRIM_400000_NS6detail17trampoline_kernelINS0_14default_configENS1_27scan_by_key_config_selectorIiiEEZZNS1_16scan_by_key_implILNS1_25lookback_scan_determinismE0ELb1ES3_N6thrust23THRUST_200600_302600_NS6detail15normal_iteratorINS9_10device_ptrIiEEEENSB_INSC_IjEEEENSB_INSC_IfEEEEiNS9_4plusIvEENS9_8equal_toIvEEiEE10hipError_tPvRmT2_T3_T4_T5_mT6_T7_P12ihipStream_tbENKUlT_T0_E_clISt17integral_constantIbLb0EES12_IbLb1EEEEDaSY_SZ_EUlSY_E_NS1_11comp_targetILNS1_3genE5ELNS1_11target_archE942ELNS1_3gpuE9ELNS1_3repE0EEENS1_30default_config_static_selectorELNS0_4arch9wavefront6targetE0EEEvT1_.private_seg_size, 0
	.set _ZN7rocprim17ROCPRIM_400000_NS6detail17trampoline_kernelINS0_14default_configENS1_27scan_by_key_config_selectorIiiEEZZNS1_16scan_by_key_implILNS1_25lookback_scan_determinismE0ELb1ES3_N6thrust23THRUST_200600_302600_NS6detail15normal_iteratorINS9_10device_ptrIiEEEENSB_INSC_IjEEEENSB_INSC_IfEEEEiNS9_4plusIvEENS9_8equal_toIvEEiEE10hipError_tPvRmT2_T3_T4_T5_mT6_T7_P12ihipStream_tbENKUlT_T0_E_clISt17integral_constantIbLb0EES12_IbLb1EEEEDaSY_SZ_EUlSY_E_NS1_11comp_targetILNS1_3genE5ELNS1_11target_archE942ELNS1_3gpuE9ELNS1_3repE0EEENS1_30default_config_static_selectorELNS0_4arch9wavefront6targetE0EEEvT1_.uses_vcc, 0
	.set _ZN7rocprim17ROCPRIM_400000_NS6detail17trampoline_kernelINS0_14default_configENS1_27scan_by_key_config_selectorIiiEEZZNS1_16scan_by_key_implILNS1_25lookback_scan_determinismE0ELb1ES3_N6thrust23THRUST_200600_302600_NS6detail15normal_iteratorINS9_10device_ptrIiEEEENSB_INSC_IjEEEENSB_INSC_IfEEEEiNS9_4plusIvEENS9_8equal_toIvEEiEE10hipError_tPvRmT2_T3_T4_T5_mT6_T7_P12ihipStream_tbENKUlT_T0_E_clISt17integral_constantIbLb0EES12_IbLb1EEEEDaSY_SZ_EUlSY_E_NS1_11comp_targetILNS1_3genE5ELNS1_11target_archE942ELNS1_3gpuE9ELNS1_3repE0EEENS1_30default_config_static_selectorELNS0_4arch9wavefront6targetE0EEEvT1_.uses_flat_scratch, 0
	.set _ZN7rocprim17ROCPRIM_400000_NS6detail17trampoline_kernelINS0_14default_configENS1_27scan_by_key_config_selectorIiiEEZZNS1_16scan_by_key_implILNS1_25lookback_scan_determinismE0ELb1ES3_N6thrust23THRUST_200600_302600_NS6detail15normal_iteratorINS9_10device_ptrIiEEEENSB_INSC_IjEEEENSB_INSC_IfEEEEiNS9_4plusIvEENS9_8equal_toIvEEiEE10hipError_tPvRmT2_T3_T4_T5_mT6_T7_P12ihipStream_tbENKUlT_T0_E_clISt17integral_constantIbLb0EES12_IbLb1EEEEDaSY_SZ_EUlSY_E_NS1_11comp_targetILNS1_3genE5ELNS1_11target_archE942ELNS1_3gpuE9ELNS1_3repE0EEENS1_30default_config_static_selectorELNS0_4arch9wavefront6targetE0EEEvT1_.has_dyn_sized_stack, 0
	.set _ZN7rocprim17ROCPRIM_400000_NS6detail17trampoline_kernelINS0_14default_configENS1_27scan_by_key_config_selectorIiiEEZZNS1_16scan_by_key_implILNS1_25lookback_scan_determinismE0ELb1ES3_N6thrust23THRUST_200600_302600_NS6detail15normal_iteratorINS9_10device_ptrIiEEEENSB_INSC_IjEEEENSB_INSC_IfEEEEiNS9_4plusIvEENS9_8equal_toIvEEiEE10hipError_tPvRmT2_T3_T4_T5_mT6_T7_P12ihipStream_tbENKUlT_T0_E_clISt17integral_constantIbLb0EES12_IbLb1EEEEDaSY_SZ_EUlSY_E_NS1_11comp_targetILNS1_3genE5ELNS1_11target_archE942ELNS1_3gpuE9ELNS1_3repE0EEENS1_30default_config_static_selectorELNS0_4arch9wavefront6targetE0EEEvT1_.has_recursion, 0
	.set _ZN7rocprim17ROCPRIM_400000_NS6detail17trampoline_kernelINS0_14default_configENS1_27scan_by_key_config_selectorIiiEEZZNS1_16scan_by_key_implILNS1_25lookback_scan_determinismE0ELb1ES3_N6thrust23THRUST_200600_302600_NS6detail15normal_iteratorINS9_10device_ptrIiEEEENSB_INSC_IjEEEENSB_INSC_IfEEEEiNS9_4plusIvEENS9_8equal_toIvEEiEE10hipError_tPvRmT2_T3_T4_T5_mT6_T7_P12ihipStream_tbENKUlT_T0_E_clISt17integral_constantIbLb0EES12_IbLb1EEEEDaSY_SZ_EUlSY_E_NS1_11comp_targetILNS1_3genE5ELNS1_11target_archE942ELNS1_3gpuE9ELNS1_3repE0EEENS1_30default_config_static_selectorELNS0_4arch9wavefront6targetE0EEEvT1_.has_indirect_call, 0
	.section	.AMDGPU.csdata,"",@progbits
; Kernel info:
; codeLenInByte = 0
; TotalNumSgprs: 0
; NumVgprs: 0
; ScratchSize: 0
; MemoryBound: 0
; FloatMode: 240
; IeeeMode: 1
; LDSByteSize: 0 bytes/workgroup (compile time only)
; SGPRBlocks: 0
; VGPRBlocks: 0
; NumSGPRsForWavesPerEU: 1
; NumVGPRsForWavesPerEU: 1
; Occupancy: 16
; WaveLimiterHint : 0
; COMPUTE_PGM_RSRC2:SCRATCH_EN: 0
; COMPUTE_PGM_RSRC2:USER_SGPR: 6
; COMPUTE_PGM_RSRC2:TRAP_HANDLER: 0
; COMPUTE_PGM_RSRC2:TGID_X_EN: 1
; COMPUTE_PGM_RSRC2:TGID_Y_EN: 0
; COMPUTE_PGM_RSRC2:TGID_Z_EN: 0
; COMPUTE_PGM_RSRC2:TIDIG_COMP_CNT: 0
	.section	.text._ZN7rocprim17ROCPRIM_400000_NS6detail17trampoline_kernelINS0_14default_configENS1_27scan_by_key_config_selectorIiiEEZZNS1_16scan_by_key_implILNS1_25lookback_scan_determinismE0ELb1ES3_N6thrust23THRUST_200600_302600_NS6detail15normal_iteratorINS9_10device_ptrIiEEEENSB_INSC_IjEEEENSB_INSC_IfEEEEiNS9_4plusIvEENS9_8equal_toIvEEiEE10hipError_tPvRmT2_T3_T4_T5_mT6_T7_P12ihipStream_tbENKUlT_T0_E_clISt17integral_constantIbLb0EES12_IbLb1EEEEDaSY_SZ_EUlSY_E_NS1_11comp_targetILNS1_3genE4ELNS1_11target_archE910ELNS1_3gpuE8ELNS1_3repE0EEENS1_30default_config_static_selectorELNS0_4arch9wavefront6targetE0EEEvT1_,"axG",@progbits,_ZN7rocprim17ROCPRIM_400000_NS6detail17trampoline_kernelINS0_14default_configENS1_27scan_by_key_config_selectorIiiEEZZNS1_16scan_by_key_implILNS1_25lookback_scan_determinismE0ELb1ES3_N6thrust23THRUST_200600_302600_NS6detail15normal_iteratorINS9_10device_ptrIiEEEENSB_INSC_IjEEEENSB_INSC_IfEEEEiNS9_4plusIvEENS9_8equal_toIvEEiEE10hipError_tPvRmT2_T3_T4_T5_mT6_T7_P12ihipStream_tbENKUlT_T0_E_clISt17integral_constantIbLb0EES12_IbLb1EEEEDaSY_SZ_EUlSY_E_NS1_11comp_targetILNS1_3genE4ELNS1_11target_archE910ELNS1_3gpuE8ELNS1_3repE0EEENS1_30default_config_static_selectorELNS0_4arch9wavefront6targetE0EEEvT1_,comdat
	.protected	_ZN7rocprim17ROCPRIM_400000_NS6detail17trampoline_kernelINS0_14default_configENS1_27scan_by_key_config_selectorIiiEEZZNS1_16scan_by_key_implILNS1_25lookback_scan_determinismE0ELb1ES3_N6thrust23THRUST_200600_302600_NS6detail15normal_iteratorINS9_10device_ptrIiEEEENSB_INSC_IjEEEENSB_INSC_IfEEEEiNS9_4plusIvEENS9_8equal_toIvEEiEE10hipError_tPvRmT2_T3_T4_T5_mT6_T7_P12ihipStream_tbENKUlT_T0_E_clISt17integral_constantIbLb0EES12_IbLb1EEEEDaSY_SZ_EUlSY_E_NS1_11comp_targetILNS1_3genE4ELNS1_11target_archE910ELNS1_3gpuE8ELNS1_3repE0EEENS1_30default_config_static_selectorELNS0_4arch9wavefront6targetE0EEEvT1_ ; -- Begin function _ZN7rocprim17ROCPRIM_400000_NS6detail17trampoline_kernelINS0_14default_configENS1_27scan_by_key_config_selectorIiiEEZZNS1_16scan_by_key_implILNS1_25lookback_scan_determinismE0ELb1ES3_N6thrust23THRUST_200600_302600_NS6detail15normal_iteratorINS9_10device_ptrIiEEEENSB_INSC_IjEEEENSB_INSC_IfEEEEiNS9_4plusIvEENS9_8equal_toIvEEiEE10hipError_tPvRmT2_T3_T4_T5_mT6_T7_P12ihipStream_tbENKUlT_T0_E_clISt17integral_constantIbLb0EES12_IbLb1EEEEDaSY_SZ_EUlSY_E_NS1_11comp_targetILNS1_3genE4ELNS1_11target_archE910ELNS1_3gpuE8ELNS1_3repE0EEENS1_30default_config_static_selectorELNS0_4arch9wavefront6targetE0EEEvT1_
	.globl	_ZN7rocprim17ROCPRIM_400000_NS6detail17trampoline_kernelINS0_14default_configENS1_27scan_by_key_config_selectorIiiEEZZNS1_16scan_by_key_implILNS1_25lookback_scan_determinismE0ELb1ES3_N6thrust23THRUST_200600_302600_NS6detail15normal_iteratorINS9_10device_ptrIiEEEENSB_INSC_IjEEEENSB_INSC_IfEEEEiNS9_4plusIvEENS9_8equal_toIvEEiEE10hipError_tPvRmT2_T3_T4_T5_mT6_T7_P12ihipStream_tbENKUlT_T0_E_clISt17integral_constantIbLb0EES12_IbLb1EEEEDaSY_SZ_EUlSY_E_NS1_11comp_targetILNS1_3genE4ELNS1_11target_archE910ELNS1_3gpuE8ELNS1_3repE0EEENS1_30default_config_static_selectorELNS0_4arch9wavefront6targetE0EEEvT1_
	.p2align	8
	.type	_ZN7rocprim17ROCPRIM_400000_NS6detail17trampoline_kernelINS0_14default_configENS1_27scan_by_key_config_selectorIiiEEZZNS1_16scan_by_key_implILNS1_25lookback_scan_determinismE0ELb1ES3_N6thrust23THRUST_200600_302600_NS6detail15normal_iteratorINS9_10device_ptrIiEEEENSB_INSC_IjEEEENSB_INSC_IfEEEEiNS9_4plusIvEENS9_8equal_toIvEEiEE10hipError_tPvRmT2_T3_T4_T5_mT6_T7_P12ihipStream_tbENKUlT_T0_E_clISt17integral_constantIbLb0EES12_IbLb1EEEEDaSY_SZ_EUlSY_E_NS1_11comp_targetILNS1_3genE4ELNS1_11target_archE910ELNS1_3gpuE8ELNS1_3repE0EEENS1_30default_config_static_selectorELNS0_4arch9wavefront6targetE0EEEvT1_,@function
_ZN7rocprim17ROCPRIM_400000_NS6detail17trampoline_kernelINS0_14default_configENS1_27scan_by_key_config_selectorIiiEEZZNS1_16scan_by_key_implILNS1_25lookback_scan_determinismE0ELb1ES3_N6thrust23THRUST_200600_302600_NS6detail15normal_iteratorINS9_10device_ptrIiEEEENSB_INSC_IjEEEENSB_INSC_IfEEEEiNS9_4plusIvEENS9_8equal_toIvEEiEE10hipError_tPvRmT2_T3_T4_T5_mT6_T7_P12ihipStream_tbENKUlT_T0_E_clISt17integral_constantIbLb0EES12_IbLb1EEEEDaSY_SZ_EUlSY_E_NS1_11comp_targetILNS1_3genE4ELNS1_11target_archE910ELNS1_3gpuE8ELNS1_3repE0EEENS1_30default_config_static_selectorELNS0_4arch9wavefront6targetE0EEEvT1_: ; @_ZN7rocprim17ROCPRIM_400000_NS6detail17trampoline_kernelINS0_14default_configENS1_27scan_by_key_config_selectorIiiEEZZNS1_16scan_by_key_implILNS1_25lookback_scan_determinismE0ELb1ES3_N6thrust23THRUST_200600_302600_NS6detail15normal_iteratorINS9_10device_ptrIiEEEENSB_INSC_IjEEEENSB_INSC_IfEEEEiNS9_4plusIvEENS9_8equal_toIvEEiEE10hipError_tPvRmT2_T3_T4_T5_mT6_T7_P12ihipStream_tbENKUlT_T0_E_clISt17integral_constantIbLb0EES12_IbLb1EEEEDaSY_SZ_EUlSY_E_NS1_11comp_targetILNS1_3genE4ELNS1_11target_archE910ELNS1_3gpuE8ELNS1_3repE0EEENS1_30default_config_static_selectorELNS0_4arch9wavefront6targetE0EEEvT1_
; %bb.0:
	.section	.rodata,"a",@progbits
	.p2align	6, 0x0
	.amdhsa_kernel _ZN7rocprim17ROCPRIM_400000_NS6detail17trampoline_kernelINS0_14default_configENS1_27scan_by_key_config_selectorIiiEEZZNS1_16scan_by_key_implILNS1_25lookback_scan_determinismE0ELb1ES3_N6thrust23THRUST_200600_302600_NS6detail15normal_iteratorINS9_10device_ptrIiEEEENSB_INSC_IjEEEENSB_INSC_IfEEEEiNS9_4plusIvEENS9_8equal_toIvEEiEE10hipError_tPvRmT2_T3_T4_T5_mT6_T7_P12ihipStream_tbENKUlT_T0_E_clISt17integral_constantIbLb0EES12_IbLb1EEEEDaSY_SZ_EUlSY_E_NS1_11comp_targetILNS1_3genE4ELNS1_11target_archE910ELNS1_3gpuE8ELNS1_3repE0EEENS1_30default_config_static_selectorELNS0_4arch9wavefront6targetE0EEEvT1_
		.amdhsa_group_segment_fixed_size 0
		.amdhsa_private_segment_fixed_size 0
		.amdhsa_kernarg_size 112
		.amdhsa_user_sgpr_count 6
		.amdhsa_user_sgpr_private_segment_buffer 1
		.amdhsa_user_sgpr_dispatch_ptr 0
		.amdhsa_user_sgpr_queue_ptr 0
		.amdhsa_user_sgpr_kernarg_segment_ptr 1
		.amdhsa_user_sgpr_dispatch_id 0
		.amdhsa_user_sgpr_flat_scratch_init 0
		.amdhsa_user_sgpr_private_segment_size 0
		.amdhsa_wavefront_size32 1
		.amdhsa_uses_dynamic_stack 0
		.amdhsa_system_sgpr_private_segment_wavefront_offset 0
		.amdhsa_system_sgpr_workgroup_id_x 1
		.amdhsa_system_sgpr_workgroup_id_y 0
		.amdhsa_system_sgpr_workgroup_id_z 0
		.amdhsa_system_sgpr_workgroup_info 0
		.amdhsa_system_vgpr_workitem_id 0
		.amdhsa_next_free_vgpr 1
		.amdhsa_next_free_sgpr 1
		.amdhsa_reserve_vcc 0
		.amdhsa_reserve_flat_scratch 0
		.amdhsa_float_round_mode_32 0
		.amdhsa_float_round_mode_16_64 0
		.amdhsa_float_denorm_mode_32 3
		.amdhsa_float_denorm_mode_16_64 3
		.amdhsa_dx10_clamp 1
		.amdhsa_ieee_mode 1
		.amdhsa_fp16_overflow 0
		.amdhsa_workgroup_processor_mode 1
		.amdhsa_memory_ordered 1
		.amdhsa_forward_progress 1
		.amdhsa_shared_vgpr_count 0
		.amdhsa_exception_fp_ieee_invalid_op 0
		.amdhsa_exception_fp_denorm_src 0
		.amdhsa_exception_fp_ieee_div_zero 0
		.amdhsa_exception_fp_ieee_overflow 0
		.amdhsa_exception_fp_ieee_underflow 0
		.amdhsa_exception_fp_ieee_inexact 0
		.amdhsa_exception_int_div_zero 0
	.end_amdhsa_kernel
	.section	.text._ZN7rocprim17ROCPRIM_400000_NS6detail17trampoline_kernelINS0_14default_configENS1_27scan_by_key_config_selectorIiiEEZZNS1_16scan_by_key_implILNS1_25lookback_scan_determinismE0ELb1ES3_N6thrust23THRUST_200600_302600_NS6detail15normal_iteratorINS9_10device_ptrIiEEEENSB_INSC_IjEEEENSB_INSC_IfEEEEiNS9_4plusIvEENS9_8equal_toIvEEiEE10hipError_tPvRmT2_T3_T4_T5_mT6_T7_P12ihipStream_tbENKUlT_T0_E_clISt17integral_constantIbLb0EES12_IbLb1EEEEDaSY_SZ_EUlSY_E_NS1_11comp_targetILNS1_3genE4ELNS1_11target_archE910ELNS1_3gpuE8ELNS1_3repE0EEENS1_30default_config_static_selectorELNS0_4arch9wavefront6targetE0EEEvT1_,"axG",@progbits,_ZN7rocprim17ROCPRIM_400000_NS6detail17trampoline_kernelINS0_14default_configENS1_27scan_by_key_config_selectorIiiEEZZNS1_16scan_by_key_implILNS1_25lookback_scan_determinismE0ELb1ES3_N6thrust23THRUST_200600_302600_NS6detail15normal_iteratorINS9_10device_ptrIiEEEENSB_INSC_IjEEEENSB_INSC_IfEEEEiNS9_4plusIvEENS9_8equal_toIvEEiEE10hipError_tPvRmT2_T3_T4_T5_mT6_T7_P12ihipStream_tbENKUlT_T0_E_clISt17integral_constantIbLb0EES12_IbLb1EEEEDaSY_SZ_EUlSY_E_NS1_11comp_targetILNS1_3genE4ELNS1_11target_archE910ELNS1_3gpuE8ELNS1_3repE0EEENS1_30default_config_static_selectorELNS0_4arch9wavefront6targetE0EEEvT1_,comdat
.Lfunc_end1746:
	.size	_ZN7rocprim17ROCPRIM_400000_NS6detail17trampoline_kernelINS0_14default_configENS1_27scan_by_key_config_selectorIiiEEZZNS1_16scan_by_key_implILNS1_25lookback_scan_determinismE0ELb1ES3_N6thrust23THRUST_200600_302600_NS6detail15normal_iteratorINS9_10device_ptrIiEEEENSB_INSC_IjEEEENSB_INSC_IfEEEEiNS9_4plusIvEENS9_8equal_toIvEEiEE10hipError_tPvRmT2_T3_T4_T5_mT6_T7_P12ihipStream_tbENKUlT_T0_E_clISt17integral_constantIbLb0EES12_IbLb1EEEEDaSY_SZ_EUlSY_E_NS1_11comp_targetILNS1_3genE4ELNS1_11target_archE910ELNS1_3gpuE8ELNS1_3repE0EEENS1_30default_config_static_selectorELNS0_4arch9wavefront6targetE0EEEvT1_, .Lfunc_end1746-_ZN7rocprim17ROCPRIM_400000_NS6detail17trampoline_kernelINS0_14default_configENS1_27scan_by_key_config_selectorIiiEEZZNS1_16scan_by_key_implILNS1_25lookback_scan_determinismE0ELb1ES3_N6thrust23THRUST_200600_302600_NS6detail15normal_iteratorINS9_10device_ptrIiEEEENSB_INSC_IjEEEENSB_INSC_IfEEEEiNS9_4plusIvEENS9_8equal_toIvEEiEE10hipError_tPvRmT2_T3_T4_T5_mT6_T7_P12ihipStream_tbENKUlT_T0_E_clISt17integral_constantIbLb0EES12_IbLb1EEEEDaSY_SZ_EUlSY_E_NS1_11comp_targetILNS1_3genE4ELNS1_11target_archE910ELNS1_3gpuE8ELNS1_3repE0EEENS1_30default_config_static_selectorELNS0_4arch9wavefront6targetE0EEEvT1_
                                        ; -- End function
	.set _ZN7rocprim17ROCPRIM_400000_NS6detail17trampoline_kernelINS0_14default_configENS1_27scan_by_key_config_selectorIiiEEZZNS1_16scan_by_key_implILNS1_25lookback_scan_determinismE0ELb1ES3_N6thrust23THRUST_200600_302600_NS6detail15normal_iteratorINS9_10device_ptrIiEEEENSB_INSC_IjEEEENSB_INSC_IfEEEEiNS9_4plusIvEENS9_8equal_toIvEEiEE10hipError_tPvRmT2_T3_T4_T5_mT6_T7_P12ihipStream_tbENKUlT_T0_E_clISt17integral_constantIbLb0EES12_IbLb1EEEEDaSY_SZ_EUlSY_E_NS1_11comp_targetILNS1_3genE4ELNS1_11target_archE910ELNS1_3gpuE8ELNS1_3repE0EEENS1_30default_config_static_selectorELNS0_4arch9wavefront6targetE0EEEvT1_.num_vgpr, 0
	.set _ZN7rocprim17ROCPRIM_400000_NS6detail17trampoline_kernelINS0_14default_configENS1_27scan_by_key_config_selectorIiiEEZZNS1_16scan_by_key_implILNS1_25lookback_scan_determinismE0ELb1ES3_N6thrust23THRUST_200600_302600_NS6detail15normal_iteratorINS9_10device_ptrIiEEEENSB_INSC_IjEEEENSB_INSC_IfEEEEiNS9_4plusIvEENS9_8equal_toIvEEiEE10hipError_tPvRmT2_T3_T4_T5_mT6_T7_P12ihipStream_tbENKUlT_T0_E_clISt17integral_constantIbLb0EES12_IbLb1EEEEDaSY_SZ_EUlSY_E_NS1_11comp_targetILNS1_3genE4ELNS1_11target_archE910ELNS1_3gpuE8ELNS1_3repE0EEENS1_30default_config_static_selectorELNS0_4arch9wavefront6targetE0EEEvT1_.num_agpr, 0
	.set _ZN7rocprim17ROCPRIM_400000_NS6detail17trampoline_kernelINS0_14default_configENS1_27scan_by_key_config_selectorIiiEEZZNS1_16scan_by_key_implILNS1_25lookback_scan_determinismE0ELb1ES3_N6thrust23THRUST_200600_302600_NS6detail15normal_iteratorINS9_10device_ptrIiEEEENSB_INSC_IjEEEENSB_INSC_IfEEEEiNS9_4plusIvEENS9_8equal_toIvEEiEE10hipError_tPvRmT2_T3_T4_T5_mT6_T7_P12ihipStream_tbENKUlT_T0_E_clISt17integral_constantIbLb0EES12_IbLb1EEEEDaSY_SZ_EUlSY_E_NS1_11comp_targetILNS1_3genE4ELNS1_11target_archE910ELNS1_3gpuE8ELNS1_3repE0EEENS1_30default_config_static_selectorELNS0_4arch9wavefront6targetE0EEEvT1_.numbered_sgpr, 0
	.set _ZN7rocprim17ROCPRIM_400000_NS6detail17trampoline_kernelINS0_14default_configENS1_27scan_by_key_config_selectorIiiEEZZNS1_16scan_by_key_implILNS1_25lookback_scan_determinismE0ELb1ES3_N6thrust23THRUST_200600_302600_NS6detail15normal_iteratorINS9_10device_ptrIiEEEENSB_INSC_IjEEEENSB_INSC_IfEEEEiNS9_4plusIvEENS9_8equal_toIvEEiEE10hipError_tPvRmT2_T3_T4_T5_mT6_T7_P12ihipStream_tbENKUlT_T0_E_clISt17integral_constantIbLb0EES12_IbLb1EEEEDaSY_SZ_EUlSY_E_NS1_11comp_targetILNS1_3genE4ELNS1_11target_archE910ELNS1_3gpuE8ELNS1_3repE0EEENS1_30default_config_static_selectorELNS0_4arch9wavefront6targetE0EEEvT1_.num_named_barrier, 0
	.set _ZN7rocprim17ROCPRIM_400000_NS6detail17trampoline_kernelINS0_14default_configENS1_27scan_by_key_config_selectorIiiEEZZNS1_16scan_by_key_implILNS1_25lookback_scan_determinismE0ELb1ES3_N6thrust23THRUST_200600_302600_NS6detail15normal_iteratorINS9_10device_ptrIiEEEENSB_INSC_IjEEEENSB_INSC_IfEEEEiNS9_4plusIvEENS9_8equal_toIvEEiEE10hipError_tPvRmT2_T3_T4_T5_mT6_T7_P12ihipStream_tbENKUlT_T0_E_clISt17integral_constantIbLb0EES12_IbLb1EEEEDaSY_SZ_EUlSY_E_NS1_11comp_targetILNS1_3genE4ELNS1_11target_archE910ELNS1_3gpuE8ELNS1_3repE0EEENS1_30default_config_static_selectorELNS0_4arch9wavefront6targetE0EEEvT1_.private_seg_size, 0
	.set _ZN7rocprim17ROCPRIM_400000_NS6detail17trampoline_kernelINS0_14default_configENS1_27scan_by_key_config_selectorIiiEEZZNS1_16scan_by_key_implILNS1_25lookback_scan_determinismE0ELb1ES3_N6thrust23THRUST_200600_302600_NS6detail15normal_iteratorINS9_10device_ptrIiEEEENSB_INSC_IjEEEENSB_INSC_IfEEEEiNS9_4plusIvEENS9_8equal_toIvEEiEE10hipError_tPvRmT2_T3_T4_T5_mT6_T7_P12ihipStream_tbENKUlT_T0_E_clISt17integral_constantIbLb0EES12_IbLb1EEEEDaSY_SZ_EUlSY_E_NS1_11comp_targetILNS1_3genE4ELNS1_11target_archE910ELNS1_3gpuE8ELNS1_3repE0EEENS1_30default_config_static_selectorELNS0_4arch9wavefront6targetE0EEEvT1_.uses_vcc, 0
	.set _ZN7rocprim17ROCPRIM_400000_NS6detail17trampoline_kernelINS0_14default_configENS1_27scan_by_key_config_selectorIiiEEZZNS1_16scan_by_key_implILNS1_25lookback_scan_determinismE0ELb1ES3_N6thrust23THRUST_200600_302600_NS6detail15normal_iteratorINS9_10device_ptrIiEEEENSB_INSC_IjEEEENSB_INSC_IfEEEEiNS9_4plusIvEENS9_8equal_toIvEEiEE10hipError_tPvRmT2_T3_T4_T5_mT6_T7_P12ihipStream_tbENKUlT_T0_E_clISt17integral_constantIbLb0EES12_IbLb1EEEEDaSY_SZ_EUlSY_E_NS1_11comp_targetILNS1_3genE4ELNS1_11target_archE910ELNS1_3gpuE8ELNS1_3repE0EEENS1_30default_config_static_selectorELNS0_4arch9wavefront6targetE0EEEvT1_.uses_flat_scratch, 0
	.set _ZN7rocprim17ROCPRIM_400000_NS6detail17trampoline_kernelINS0_14default_configENS1_27scan_by_key_config_selectorIiiEEZZNS1_16scan_by_key_implILNS1_25lookback_scan_determinismE0ELb1ES3_N6thrust23THRUST_200600_302600_NS6detail15normal_iteratorINS9_10device_ptrIiEEEENSB_INSC_IjEEEENSB_INSC_IfEEEEiNS9_4plusIvEENS9_8equal_toIvEEiEE10hipError_tPvRmT2_T3_T4_T5_mT6_T7_P12ihipStream_tbENKUlT_T0_E_clISt17integral_constantIbLb0EES12_IbLb1EEEEDaSY_SZ_EUlSY_E_NS1_11comp_targetILNS1_3genE4ELNS1_11target_archE910ELNS1_3gpuE8ELNS1_3repE0EEENS1_30default_config_static_selectorELNS0_4arch9wavefront6targetE0EEEvT1_.has_dyn_sized_stack, 0
	.set _ZN7rocprim17ROCPRIM_400000_NS6detail17trampoline_kernelINS0_14default_configENS1_27scan_by_key_config_selectorIiiEEZZNS1_16scan_by_key_implILNS1_25lookback_scan_determinismE0ELb1ES3_N6thrust23THRUST_200600_302600_NS6detail15normal_iteratorINS9_10device_ptrIiEEEENSB_INSC_IjEEEENSB_INSC_IfEEEEiNS9_4plusIvEENS9_8equal_toIvEEiEE10hipError_tPvRmT2_T3_T4_T5_mT6_T7_P12ihipStream_tbENKUlT_T0_E_clISt17integral_constantIbLb0EES12_IbLb1EEEEDaSY_SZ_EUlSY_E_NS1_11comp_targetILNS1_3genE4ELNS1_11target_archE910ELNS1_3gpuE8ELNS1_3repE0EEENS1_30default_config_static_selectorELNS0_4arch9wavefront6targetE0EEEvT1_.has_recursion, 0
	.set _ZN7rocprim17ROCPRIM_400000_NS6detail17trampoline_kernelINS0_14default_configENS1_27scan_by_key_config_selectorIiiEEZZNS1_16scan_by_key_implILNS1_25lookback_scan_determinismE0ELb1ES3_N6thrust23THRUST_200600_302600_NS6detail15normal_iteratorINS9_10device_ptrIiEEEENSB_INSC_IjEEEENSB_INSC_IfEEEEiNS9_4plusIvEENS9_8equal_toIvEEiEE10hipError_tPvRmT2_T3_T4_T5_mT6_T7_P12ihipStream_tbENKUlT_T0_E_clISt17integral_constantIbLb0EES12_IbLb1EEEEDaSY_SZ_EUlSY_E_NS1_11comp_targetILNS1_3genE4ELNS1_11target_archE910ELNS1_3gpuE8ELNS1_3repE0EEENS1_30default_config_static_selectorELNS0_4arch9wavefront6targetE0EEEvT1_.has_indirect_call, 0
	.section	.AMDGPU.csdata,"",@progbits
; Kernel info:
; codeLenInByte = 0
; TotalNumSgprs: 0
; NumVgprs: 0
; ScratchSize: 0
; MemoryBound: 0
; FloatMode: 240
; IeeeMode: 1
; LDSByteSize: 0 bytes/workgroup (compile time only)
; SGPRBlocks: 0
; VGPRBlocks: 0
; NumSGPRsForWavesPerEU: 1
; NumVGPRsForWavesPerEU: 1
; Occupancy: 16
; WaveLimiterHint : 0
; COMPUTE_PGM_RSRC2:SCRATCH_EN: 0
; COMPUTE_PGM_RSRC2:USER_SGPR: 6
; COMPUTE_PGM_RSRC2:TRAP_HANDLER: 0
; COMPUTE_PGM_RSRC2:TGID_X_EN: 1
; COMPUTE_PGM_RSRC2:TGID_Y_EN: 0
; COMPUTE_PGM_RSRC2:TGID_Z_EN: 0
; COMPUTE_PGM_RSRC2:TIDIG_COMP_CNT: 0
	.section	.text._ZN7rocprim17ROCPRIM_400000_NS6detail17trampoline_kernelINS0_14default_configENS1_27scan_by_key_config_selectorIiiEEZZNS1_16scan_by_key_implILNS1_25lookback_scan_determinismE0ELb1ES3_N6thrust23THRUST_200600_302600_NS6detail15normal_iteratorINS9_10device_ptrIiEEEENSB_INSC_IjEEEENSB_INSC_IfEEEEiNS9_4plusIvEENS9_8equal_toIvEEiEE10hipError_tPvRmT2_T3_T4_T5_mT6_T7_P12ihipStream_tbENKUlT_T0_E_clISt17integral_constantIbLb0EES12_IbLb1EEEEDaSY_SZ_EUlSY_E_NS1_11comp_targetILNS1_3genE3ELNS1_11target_archE908ELNS1_3gpuE7ELNS1_3repE0EEENS1_30default_config_static_selectorELNS0_4arch9wavefront6targetE0EEEvT1_,"axG",@progbits,_ZN7rocprim17ROCPRIM_400000_NS6detail17trampoline_kernelINS0_14default_configENS1_27scan_by_key_config_selectorIiiEEZZNS1_16scan_by_key_implILNS1_25lookback_scan_determinismE0ELb1ES3_N6thrust23THRUST_200600_302600_NS6detail15normal_iteratorINS9_10device_ptrIiEEEENSB_INSC_IjEEEENSB_INSC_IfEEEEiNS9_4plusIvEENS9_8equal_toIvEEiEE10hipError_tPvRmT2_T3_T4_T5_mT6_T7_P12ihipStream_tbENKUlT_T0_E_clISt17integral_constantIbLb0EES12_IbLb1EEEEDaSY_SZ_EUlSY_E_NS1_11comp_targetILNS1_3genE3ELNS1_11target_archE908ELNS1_3gpuE7ELNS1_3repE0EEENS1_30default_config_static_selectorELNS0_4arch9wavefront6targetE0EEEvT1_,comdat
	.protected	_ZN7rocprim17ROCPRIM_400000_NS6detail17trampoline_kernelINS0_14default_configENS1_27scan_by_key_config_selectorIiiEEZZNS1_16scan_by_key_implILNS1_25lookback_scan_determinismE0ELb1ES3_N6thrust23THRUST_200600_302600_NS6detail15normal_iteratorINS9_10device_ptrIiEEEENSB_INSC_IjEEEENSB_INSC_IfEEEEiNS9_4plusIvEENS9_8equal_toIvEEiEE10hipError_tPvRmT2_T3_T4_T5_mT6_T7_P12ihipStream_tbENKUlT_T0_E_clISt17integral_constantIbLb0EES12_IbLb1EEEEDaSY_SZ_EUlSY_E_NS1_11comp_targetILNS1_3genE3ELNS1_11target_archE908ELNS1_3gpuE7ELNS1_3repE0EEENS1_30default_config_static_selectorELNS0_4arch9wavefront6targetE0EEEvT1_ ; -- Begin function _ZN7rocprim17ROCPRIM_400000_NS6detail17trampoline_kernelINS0_14default_configENS1_27scan_by_key_config_selectorIiiEEZZNS1_16scan_by_key_implILNS1_25lookback_scan_determinismE0ELb1ES3_N6thrust23THRUST_200600_302600_NS6detail15normal_iteratorINS9_10device_ptrIiEEEENSB_INSC_IjEEEENSB_INSC_IfEEEEiNS9_4plusIvEENS9_8equal_toIvEEiEE10hipError_tPvRmT2_T3_T4_T5_mT6_T7_P12ihipStream_tbENKUlT_T0_E_clISt17integral_constantIbLb0EES12_IbLb1EEEEDaSY_SZ_EUlSY_E_NS1_11comp_targetILNS1_3genE3ELNS1_11target_archE908ELNS1_3gpuE7ELNS1_3repE0EEENS1_30default_config_static_selectorELNS0_4arch9wavefront6targetE0EEEvT1_
	.globl	_ZN7rocprim17ROCPRIM_400000_NS6detail17trampoline_kernelINS0_14default_configENS1_27scan_by_key_config_selectorIiiEEZZNS1_16scan_by_key_implILNS1_25lookback_scan_determinismE0ELb1ES3_N6thrust23THRUST_200600_302600_NS6detail15normal_iteratorINS9_10device_ptrIiEEEENSB_INSC_IjEEEENSB_INSC_IfEEEEiNS9_4plusIvEENS9_8equal_toIvEEiEE10hipError_tPvRmT2_T3_T4_T5_mT6_T7_P12ihipStream_tbENKUlT_T0_E_clISt17integral_constantIbLb0EES12_IbLb1EEEEDaSY_SZ_EUlSY_E_NS1_11comp_targetILNS1_3genE3ELNS1_11target_archE908ELNS1_3gpuE7ELNS1_3repE0EEENS1_30default_config_static_selectorELNS0_4arch9wavefront6targetE0EEEvT1_
	.p2align	8
	.type	_ZN7rocprim17ROCPRIM_400000_NS6detail17trampoline_kernelINS0_14default_configENS1_27scan_by_key_config_selectorIiiEEZZNS1_16scan_by_key_implILNS1_25lookback_scan_determinismE0ELb1ES3_N6thrust23THRUST_200600_302600_NS6detail15normal_iteratorINS9_10device_ptrIiEEEENSB_INSC_IjEEEENSB_INSC_IfEEEEiNS9_4plusIvEENS9_8equal_toIvEEiEE10hipError_tPvRmT2_T3_T4_T5_mT6_T7_P12ihipStream_tbENKUlT_T0_E_clISt17integral_constantIbLb0EES12_IbLb1EEEEDaSY_SZ_EUlSY_E_NS1_11comp_targetILNS1_3genE3ELNS1_11target_archE908ELNS1_3gpuE7ELNS1_3repE0EEENS1_30default_config_static_selectorELNS0_4arch9wavefront6targetE0EEEvT1_,@function
_ZN7rocprim17ROCPRIM_400000_NS6detail17trampoline_kernelINS0_14default_configENS1_27scan_by_key_config_selectorIiiEEZZNS1_16scan_by_key_implILNS1_25lookback_scan_determinismE0ELb1ES3_N6thrust23THRUST_200600_302600_NS6detail15normal_iteratorINS9_10device_ptrIiEEEENSB_INSC_IjEEEENSB_INSC_IfEEEEiNS9_4plusIvEENS9_8equal_toIvEEiEE10hipError_tPvRmT2_T3_T4_T5_mT6_T7_P12ihipStream_tbENKUlT_T0_E_clISt17integral_constantIbLb0EES12_IbLb1EEEEDaSY_SZ_EUlSY_E_NS1_11comp_targetILNS1_3genE3ELNS1_11target_archE908ELNS1_3gpuE7ELNS1_3repE0EEENS1_30default_config_static_selectorELNS0_4arch9wavefront6targetE0EEEvT1_: ; @_ZN7rocprim17ROCPRIM_400000_NS6detail17trampoline_kernelINS0_14default_configENS1_27scan_by_key_config_selectorIiiEEZZNS1_16scan_by_key_implILNS1_25lookback_scan_determinismE0ELb1ES3_N6thrust23THRUST_200600_302600_NS6detail15normal_iteratorINS9_10device_ptrIiEEEENSB_INSC_IjEEEENSB_INSC_IfEEEEiNS9_4plusIvEENS9_8equal_toIvEEiEE10hipError_tPvRmT2_T3_T4_T5_mT6_T7_P12ihipStream_tbENKUlT_T0_E_clISt17integral_constantIbLb0EES12_IbLb1EEEEDaSY_SZ_EUlSY_E_NS1_11comp_targetILNS1_3genE3ELNS1_11target_archE908ELNS1_3gpuE7ELNS1_3repE0EEENS1_30default_config_static_selectorELNS0_4arch9wavefront6targetE0EEEvT1_
; %bb.0:
	.section	.rodata,"a",@progbits
	.p2align	6, 0x0
	.amdhsa_kernel _ZN7rocprim17ROCPRIM_400000_NS6detail17trampoline_kernelINS0_14default_configENS1_27scan_by_key_config_selectorIiiEEZZNS1_16scan_by_key_implILNS1_25lookback_scan_determinismE0ELb1ES3_N6thrust23THRUST_200600_302600_NS6detail15normal_iteratorINS9_10device_ptrIiEEEENSB_INSC_IjEEEENSB_INSC_IfEEEEiNS9_4plusIvEENS9_8equal_toIvEEiEE10hipError_tPvRmT2_T3_T4_T5_mT6_T7_P12ihipStream_tbENKUlT_T0_E_clISt17integral_constantIbLb0EES12_IbLb1EEEEDaSY_SZ_EUlSY_E_NS1_11comp_targetILNS1_3genE3ELNS1_11target_archE908ELNS1_3gpuE7ELNS1_3repE0EEENS1_30default_config_static_selectorELNS0_4arch9wavefront6targetE0EEEvT1_
		.amdhsa_group_segment_fixed_size 0
		.amdhsa_private_segment_fixed_size 0
		.amdhsa_kernarg_size 112
		.amdhsa_user_sgpr_count 6
		.amdhsa_user_sgpr_private_segment_buffer 1
		.amdhsa_user_sgpr_dispatch_ptr 0
		.amdhsa_user_sgpr_queue_ptr 0
		.amdhsa_user_sgpr_kernarg_segment_ptr 1
		.amdhsa_user_sgpr_dispatch_id 0
		.amdhsa_user_sgpr_flat_scratch_init 0
		.amdhsa_user_sgpr_private_segment_size 0
		.amdhsa_wavefront_size32 1
		.amdhsa_uses_dynamic_stack 0
		.amdhsa_system_sgpr_private_segment_wavefront_offset 0
		.amdhsa_system_sgpr_workgroup_id_x 1
		.amdhsa_system_sgpr_workgroup_id_y 0
		.amdhsa_system_sgpr_workgroup_id_z 0
		.amdhsa_system_sgpr_workgroup_info 0
		.amdhsa_system_vgpr_workitem_id 0
		.amdhsa_next_free_vgpr 1
		.amdhsa_next_free_sgpr 1
		.amdhsa_reserve_vcc 0
		.amdhsa_reserve_flat_scratch 0
		.amdhsa_float_round_mode_32 0
		.amdhsa_float_round_mode_16_64 0
		.amdhsa_float_denorm_mode_32 3
		.amdhsa_float_denorm_mode_16_64 3
		.amdhsa_dx10_clamp 1
		.amdhsa_ieee_mode 1
		.amdhsa_fp16_overflow 0
		.amdhsa_workgroup_processor_mode 1
		.amdhsa_memory_ordered 1
		.amdhsa_forward_progress 1
		.amdhsa_shared_vgpr_count 0
		.amdhsa_exception_fp_ieee_invalid_op 0
		.amdhsa_exception_fp_denorm_src 0
		.amdhsa_exception_fp_ieee_div_zero 0
		.amdhsa_exception_fp_ieee_overflow 0
		.amdhsa_exception_fp_ieee_underflow 0
		.amdhsa_exception_fp_ieee_inexact 0
		.amdhsa_exception_int_div_zero 0
	.end_amdhsa_kernel
	.section	.text._ZN7rocprim17ROCPRIM_400000_NS6detail17trampoline_kernelINS0_14default_configENS1_27scan_by_key_config_selectorIiiEEZZNS1_16scan_by_key_implILNS1_25lookback_scan_determinismE0ELb1ES3_N6thrust23THRUST_200600_302600_NS6detail15normal_iteratorINS9_10device_ptrIiEEEENSB_INSC_IjEEEENSB_INSC_IfEEEEiNS9_4plusIvEENS9_8equal_toIvEEiEE10hipError_tPvRmT2_T3_T4_T5_mT6_T7_P12ihipStream_tbENKUlT_T0_E_clISt17integral_constantIbLb0EES12_IbLb1EEEEDaSY_SZ_EUlSY_E_NS1_11comp_targetILNS1_3genE3ELNS1_11target_archE908ELNS1_3gpuE7ELNS1_3repE0EEENS1_30default_config_static_selectorELNS0_4arch9wavefront6targetE0EEEvT1_,"axG",@progbits,_ZN7rocprim17ROCPRIM_400000_NS6detail17trampoline_kernelINS0_14default_configENS1_27scan_by_key_config_selectorIiiEEZZNS1_16scan_by_key_implILNS1_25lookback_scan_determinismE0ELb1ES3_N6thrust23THRUST_200600_302600_NS6detail15normal_iteratorINS9_10device_ptrIiEEEENSB_INSC_IjEEEENSB_INSC_IfEEEEiNS9_4plusIvEENS9_8equal_toIvEEiEE10hipError_tPvRmT2_T3_T4_T5_mT6_T7_P12ihipStream_tbENKUlT_T0_E_clISt17integral_constantIbLb0EES12_IbLb1EEEEDaSY_SZ_EUlSY_E_NS1_11comp_targetILNS1_3genE3ELNS1_11target_archE908ELNS1_3gpuE7ELNS1_3repE0EEENS1_30default_config_static_selectorELNS0_4arch9wavefront6targetE0EEEvT1_,comdat
.Lfunc_end1747:
	.size	_ZN7rocprim17ROCPRIM_400000_NS6detail17trampoline_kernelINS0_14default_configENS1_27scan_by_key_config_selectorIiiEEZZNS1_16scan_by_key_implILNS1_25lookback_scan_determinismE0ELb1ES3_N6thrust23THRUST_200600_302600_NS6detail15normal_iteratorINS9_10device_ptrIiEEEENSB_INSC_IjEEEENSB_INSC_IfEEEEiNS9_4plusIvEENS9_8equal_toIvEEiEE10hipError_tPvRmT2_T3_T4_T5_mT6_T7_P12ihipStream_tbENKUlT_T0_E_clISt17integral_constantIbLb0EES12_IbLb1EEEEDaSY_SZ_EUlSY_E_NS1_11comp_targetILNS1_3genE3ELNS1_11target_archE908ELNS1_3gpuE7ELNS1_3repE0EEENS1_30default_config_static_selectorELNS0_4arch9wavefront6targetE0EEEvT1_, .Lfunc_end1747-_ZN7rocprim17ROCPRIM_400000_NS6detail17trampoline_kernelINS0_14default_configENS1_27scan_by_key_config_selectorIiiEEZZNS1_16scan_by_key_implILNS1_25lookback_scan_determinismE0ELb1ES3_N6thrust23THRUST_200600_302600_NS6detail15normal_iteratorINS9_10device_ptrIiEEEENSB_INSC_IjEEEENSB_INSC_IfEEEEiNS9_4plusIvEENS9_8equal_toIvEEiEE10hipError_tPvRmT2_T3_T4_T5_mT6_T7_P12ihipStream_tbENKUlT_T0_E_clISt17integral_constantIbLb0EES12_IbLb1EEEEDaSY_SZ_EUlSY_E_NS1_11comp_targetILNS1_3genE3ELNS1_11target_archE908ELNS1_3gpuE7ELNS1_3repE0EEENS1_30default_config_static_selectorELNS0_4arch9wavefront6targetE0EEEvT1_
                                        ; -- End function
	.set _ZN7rocprim17ROCPRIM_400000_NS6detail17trampoline_kernelINS0_14default_configENS1_27scan_by_key_config_selectorIiiEEZZNS1_16scan_by_key_implILNS1_25lookback_scan_determinismE0ELb1ES3_N6thrust23THRUST_200600_302600_NS6detail15normal_iteratorINS9_10device_ptrIiEEEENSB_INSC_IjEEEENSB_INSC_IfEEEEiNS9_4plusIvEENS9_8equal_toIvEEiEE10hipError_tPvRmT2_T3_T4_T5_mT6_T7_P12ihipStream_tbENKUlT_T0_E_clISt17integral_constantIbLb0EES12_IbLb1EEEEDaSY_SZ_EUlSY_E_NS1_11comp_targetILNS1_3genE3ELNS1_11target_archE908ELNS1_3gpuE7ELNS1_3repE0EEENS1_30default_config_static_selectorELNS0_4arch9wavefront6targetE0EEEvT1_.num_vgpr, 0
	.set _ZN7rocprim17ROCPRIM_400000_NS6detail17trampoline_kernelINS0_14default_configENS1_27scan_by_key_config_selectorIiiEEZZNS1_16scan_by_key_implILNS1_25lookback_scan_determinismE0ELb1ES3_N6thrust23THRUST_200600_302600_NS6detail15normal_iteratorINS9_10device_ptrIiEEEENSB_INSC_IjEEEENSB_INSC_IfEEEEiNS9_4plusIvEENS9_8equal_toIvEEiEE10hipError_tPvRmT2_T3_T4_T5_mT6_T7_P12ihipStream_tbENKUlT_T0_E_clISt17integral_constantIbLb0EES12_IbLb1EEEEDaSY_SZ_EUlSY_E_NS1_11comp_targetILNS1_3genE3ELNS1_11target_archE908ELNS1_3gpuE7ELNS1_3repE0EEENS1_30default_config_static_selectorELNS0_4arch9wavefront6targetE0EEEvT1_.num_agpr, 0
	.set _ZN7rocprim17ROCPRIM_400000_NS6detail17trampoline_kernelINS0_14default_configENS1_27scan_by_key_config_selectorIiiEEZZNS1_16scan_by_key_implILNS1_25lookback_scan_determinismE0ELb1ES3_N6thrust23THRUST_200600_302600_NS6detail15normal_iteratorINS9_10device_ptrIiEEEENSB_INSC_IjEEEENSB_INSC_IfEEEEiNS9_4plusIvEENS9_8equal_toIvEEiEE10hipError_tPvRmT2_T3_T4_T5_mT6_T7_P12ihipStream_tbENKUlT_T0_E_clISt17integral_constantIbLb0EES12_IbLb1EEEEDaSY_SZ_EUlSY_E_NS1_11comp_targetILNS1_3genE3ELNS1_11target_archE908ELNS1_3gpuE7ELNS1_3repE0EEENS1_30default_config_static_selectorELNS0_4arch9wavefront6targetE0EEEvT1_.numbered_sgpr, 0
	.set _ZN7rocprim17ROCPRIM_400000_NS6detail17trampoline_kernelINS0_14default_configENS1_27scan_by_key_config_selectorIiiEEZZNS1_16scan_by_key_implILNS1_25lookback_scan_determinismE0ELb1ES3_N6thrust23THRUST_200600_302600_NS6detail15normal_iteratorINS9_10device_ptrIiEEEENSB_INSC_IjEEEENSB_INSC_IfEEEEiNS9_4plusIvEENS9_8equal_toIvEEiEE10hipError_tPvRmT2_T3_T4_T5_mT6_T7_P12ihipStream_tbENKUlT_T0_E_clISt17integral_constantIbLb0EES12_IbLb1EEEEDaSY_SZ_EUlSY_E_NS1_11comp_targetILNS1_3genE3ELNS1_11target_archE908ELNS1_3gpuE7ELNS1_3repE0EEENS1_30default_config_static_selectorELNS0_4arch9wavefront6targetE0EEEvT1_.num_named_barrier, 0
	.set _ZN7rocprim17ROCPRIM_400000_NS6detail17trampoline_kernelINS0_14default_configENS1_27scan_by_key_config_selectorIiiEEZZNS1_16scan_by_key_implILNS1_25lookback_scan_determinismE0ELb1ES3_N6thrust23THRUST_200600_302600_NS6detail15normal_iteratorINS9_10device_ptrIiEEEENSB_INSC_IjEEEENSB_INSC_IfEEEEiNS9_4plusIvEENS9_8equal_toIvEEiEE10hipError_tPvRmT2_T3_T4_T5_mT6_T7_P12ihipStream_tbENKUlT_T0_E_clISt17integral_constantIbLb0EES12_IbLb1EEEEDaSY_SZ_EUlSY_E_NS1_11comp_targetILNS1_3genE3ELNS1_11target_archE908ELNS1_3gpuE7ELNS1_3repE0EEENS1_30default_config_static_selectorELNS0_4arch9wavefront6targetE0EEEvT1_.private_seg_size, 0
	.set _ZN7rocprim17ROCPRIM_400000_NS6detail17trampoline_kernelINS0_14default_configENS1_27scan_by_key_config_selectorIiiEEZZNS1_16scan_by_key_implILNS1_25lookback_scan_determinismE0ELb1ES3_N6thrust23THRUST_200600_302600_NS6detail15normal_iteratorINS9_10device_ptrIiEEEENSB_INSC_IjEEEENSB_INSC_IfEEEEiNS9_4plusIvEENS9_8equal_toIvEEiEE10hipError_tPvRmT2_T3_T4_T5_mT6_T7_P12ihipStream_tbENKUlT_T0_E_clISt17integral_constantIbLb0EES12_IbLb1EEEEDaSY_SZ_EUlSY_E_NS1_11comp_targetILNS1_3genE3ELNS1_11target_archE908ELNS1_3gpuE7ELNS1_3repE0EEENS1_30default_config_static_selectorELNS0_4arch9wavefront6targetE0EEEvT1_.uses_vcc, 0
	.set _ZN7rocprim17ROCPRIM_400000_NS6detail17trampoline_kernelINS0_14default_configENS1_27scan_by_key_config_selectorIiiEEZZNS1_16scan_by_key_implILNS1_25lookback_scan_determinismE0ELb1ES3_N6thrust23THRUST_200600_302600_NS6detail15normal_iteratorINS9_10device_ptrIiEEEENSB_INSC_IjEEEENSB_INSC_IfEEEEiNS9_4plusIvEENS9_8equal_toIvEEiEE10hipError_tPvRmT2_T3_T4_T5_mT6_T7_P12ihipStream_tbENKUlT_T0_E_clISt17integral_constantIbLb0EES12_IbLb1EEEEDaSY_SZ_EUlSY_E_NS1_11comp_targetILNS1_3genE3ELNS1_11target_archE908ELNS1_3gpuE7ELNS1_3repE0EEENS1_30default_config_static_selectorELNS0_4arch9wavefront6targetE0EEEvT1_.uses_flat_scratch, 0
	.set _ZN7rocprim17ROCPRIM_400000_NS6detail17trampoline_kernelINS0_14default_configENS1_27scan_by_key_config_selectorIiiEEZZNS1_16scan_by_key_implILNS1_25lookback_scan_determinismE0ELb1ES3_N6thrust23THRUST_200600_302600_NS6detail15normal_iteratorINS9_10device_ptrIiEEEENSB_INSC_IjEEEENSB_INSC_IfEEEEiNS9_4plusIvEENS9_8equal_toIvEEiEE10hipError_tPvRmT2_T3_T4_T5_mT6_T7_P12ihipStream_tbENKUlT_T0_E_clISt17integral_constantIbLb0EES12_IbLb1EEEEDaSY_SZ_EUlSY_E_NS1_11comp_targetILNS1_3genE3ELNS1_11target_archE908ELNS1_3gpuE7ELNS1_3repE0EEENS1_30default_config_static_selectorELNS0_4arch9wavefront6targetE0EEEvT1_.has_dyn_sized_stack, 0
	.set _ZN7rocprim17ROCPRIM_400000_NS6detail17trampoline_kernelINS0_14default_configENS1_27scan_by_key_config_selectorIiiEEZZNS1_16scan_by_key_implILNS1_25lookback_scan_determinismE0ELb1ES3_N6thrust23THRUST_200600_302600_NS6detail15normal_iteratorINS9_10device_ptrIiEEEENSB_INSC_IjEEEENSB_INSC_IfEEEEiNS9_4plusIvEENS9_8equal_toIvEEiEE10hipError_tPvRmT2_T3_T4_T5_mT6_T7_P12ihipStream_tbENKUlT_T0_E_clISt17integral_constantIbLb0EES12_IbLb1EEEEDaSY_SZ_EUlSY_E_NS1_11comp_targetILNS1_3genE3ELNS1_11target_archE908ELNS1_3gpuE7ELNS1_3repE0EEENS1_30default_config_static_selectorELNS0_4arch9wavefront6targetE0EEEvT1_.has_recursion, 0
	.set _ZN7rocprim17ROCPRIM_400000_NS6detail17trampoline_kernelINS0_14default_configENS1_27scan_by_key_config_selectorIiiEEZZNS1_16scan_by_key_implILNS1_25lookback_scan_determinismE0ELb1ES3_N6thrust23THRUST_200600_302600_NS6detail15normal_iteratorINS9_10device_ptrIiEEEENSB_INSC_IjEEEENSB_INSC_IfEEEEiNS9_4plusIvEENS9_8equal_toIvEEiEE10hipError_tPvRmT2_T3_T4_T5_mT6_T7_P12ihipStream_tbENKUlT_T0_E_clISt17integral_constantIbLb0EES12_IbLb1EEEEDaSY_SZ_EUlSY_E_NS1_11comp_targetILNS1_3genE3ELNS1_11target_archE908ELNS1_3gpuE7ELNS1_3repE0EEENS1_30default_config_static_selectorELNS0_4arch9wavefront6targetE0EEEvT1_.has_indirect_call, 0
	.section	.AMDGPU.csdata,"",@progbits
; Kernel info:
; codeLenInByte = 0
; TotalNumSgprs: 0
; NumVgprs: 0
; ScratchSize: 0
; MemoryBound: 0
; FloatMode: 240
; IeeeMode: 1
; LDSByteSize: 0 bytes/workgroup (compile time only)
; SGPRBlocks: 0
; VGPRBlocks: 0
; NumSGPRsForWavesPerEU: 1
; NumVGPRsForWavesPerEU: 1
; Occupancy: 16
; WaveLimiterHint : 0
; COMPUTE_PGM_RSRC2:SCRATCH_EN: 0
; COMPUTE_PGM_RSRC2:USER_SGPR: 6
; COMPUTE_PGM_RSRC2:TRAP_HANDLER: 0
; COMPUTE_PGM_RSRC2:TGID_X_EN: 1
; COMPUTE_PGM_RSRC2:TGID_Y_EN: 0
; COMPUTE_PGM_RSRC2:TGID_Z_EN: 0
; COMPUTE_PGM_RSRC2:TIDIG_COMP_CNT: 0
	.section	.text._ZN7rocprim17ROCPRIM_400000_NS6detail17trampoline_kernelINS0_14default_configENS1_27scan_by_key_config_selectorIiiEEZZNS1_16scan_by_key_implILNS1_25lookback_scan_determinismE0ELb1ES3_N6thrust23THRUST_200600_302600_NS6detail15normal_iteratorINS9_10device_ptrIiEEEENSB_INSC_IjEEEENSB_INSC_IfEEEEiNS9_4plusIvEENS9_8equal_toIvEEiEE10hipError_tPvRmT2_T3_T4_T5_mT6_T7_P12ihipStream_tbENKUlT_T0_E_clISt17integral_constantIbLb0EES12_IbLb1EEEEDaSY_SZ_EUlSY_E_NS1_11comp_targetILNS1_3genE2ELNS1_11target_archE906ELNS1_3gpuE6ELNS1_3repE0EEENS1_30default_config_static_selectorELNS0_4arch9wavefront6targetE0EEEvT1_,"axG",@progbits,_ZN7rocprim17ROCPRIM_400000_NS6detail17trampoline_kernelINS0_14default_configENS1_27scan_by_key_config_selectorIiiEEZZNS1_16scan_by_key_implILNS1_25lookback_scan_determinismE0ELb1ES3_N6thrust23THRUST_200600_302600_NS6detail15normal_iteratorINS9_10device_ptrIiEEEENSB_INSC_IjEEEENSB_INSC_IfEEEEiNS9_4plusIvEENS9_8equal_toIvEEiEE10hipError_tPvRmT2_T3_T4_T5_mT6_T7_P12ihipStream_tbENKUlT_T0_E_clISt17integral_constantIbLb0EES12_IbLb1EEEEDaSY_SZ_EUlSY_E_NS1_11comp_targetILNS1_3genE2ELNS1_11target_archE906ELNS1_3gpuE6ELNS1_3repE0EEENS1_30default_config_static_selectorELNS0_4arch9wavefront6targetE0EEEvT1_,comdat
	.protected	_ZN7rocprim17ROCPRIM_400000_NS6detail17trampoline_kernelINS0_14default_configENS1_27scan_by_key_config_selectorIiiEEZZNS1_16scan_by_key_implILNS1_25lookback_scan_determinismE0ELb1ES3_N6thrust23THRUST_200600_302600_NS6detail15normal_iteratorINS9_10device_ptrIiEEEENSB_INSC_IjEEEENSB_INSC_IfEEEEiNS9_4plusIvEENS9_8equal_toIvEEiEE10hipError_tPvRmT2_T3_T4_T5_mT6_T7_P12ihipStream_tbENKUlT_T0_E_clISt17integral_constantIbLb0EES12_IbLb1EEEEDaSY_SZ_EUlSY_E_NS1_11comp_targetILNS1_3genE2ELNS1_11target_archE906ELNS1_3gpuE6ELNS1_3repE0EEENS1_30default_config_static_selectorELNS0_4arch9wavefront6targetE0EEEvT1_ ; -- Begin function _ZN7rocprim17ROCPRIM_400000_NS6detail17trampoline_kernelINS0_14default_configENS1_27scan_by_key_config_selectorIiiEEZZNS1_16scan_by_key_implILNS1_25lookback_scan_determinismE0ELb1ES3_N6thrust23THRUST_200600_302600_NS6detail15normal_iteratorINS9_10device_ptrIiEEEENSB_INSC_IjEEEENSB_INSC_IfEEEEiNS9_4plusIvEENS9_8equal_toIvEEiEE10hipError_tPvRmT2_T3_T4_T5_mT6_T7_P12ihipStream_tbENKUlT_T0_E_clISt17integral_constantIbLb0EES12_IbLb1EEEEDaSY_SZ_EUlSY_E_NS1_11comp_targetILNS1_3genE2ELNS1_11target_archE906ELNS1_3gpuE6ELNS1_3repE0EEENS1_30default_config_static_selectorELNS0_4arch9wavefront6targetE0EEEvT1_
	.globl	_ZN7rocprim17ROCPRIM_400000_NS6detail17trampoline_kernelINS0_14default_configENS1_27scan_by_key_config_selectorIiiEEZZNS1_16scan_by_key_implILNS1_25lookback_scan_determinismE0ELb1ES3_N6thrust23THRUST_200600_302600_NS6detail15normal_iteratorINS9_10device_ptrIiEEEENSB_INSC_IjEEEENSB_INSC_IfEEEEiNS9_4plusIvEENS9_8equal_toIvEEiEE10hipError_tPvRmT2_T3_T4_T5_mT6_T7_P12ihipStream_tbENKUlT_T0_E_clISt17integral_constantIbLb0EES12_IbLb1EEEEDaSY_SZ_EUlSY_E_NS1_11comp_targetILNS1_3genE2ELNS1_11target_archE906ELNS1_3gpuE6ELNS1_3repE0EEENS1_30default_config_static_selectorELNS0_4arch9wavefront6targetE0EEEvT1_
	.p2align	8
	.type	_ZN7rocprim17ROCPRIM_400000_NS6detail17trampoline_kernelINS0_14default_configENS1_27scan_by_key_config_selectorIiiEEZZNS1_16scan_by_key_implILNS1_25lookback_scan_determinismE0ELb1ES3_N6thrust23THRUST_200600_302600_NS6detail15normal_iteratorINS9_10device_ptrIiEEEENSB_INSC_IjEEEENSB_INSC_IfEEEEiNS9_4plusIvEENS9_8equal_toIvEEiEE10hipError_tPvRmT2_T3_T4_T5_mT6_T7_P12ihipStream_tbENKUlT_T0_E_clISt17integral_constantIbLb0EES12_IbLb1EEEEDaSY_SZ_EUlSY_E_NS1_11comp_targetILNS1_3genE2ELNS1_11target_archE906ELNS1_3gpuE6ELNS1_3repE0EEENS1_30default_config_static_selectorELNS0_4arch9wavefront6targetE0EEEvT1_,@function
_ZN7rocprim17ROCPRIM_400000_NS6detail17trampoline_kernelINS0_14default_configENS1_27scan_by_key_config_selectorIiiEEZZNS1_16scan_by_key_implILNS1_25lookback_scan_determinismE0ELb1ES3_N6thrust23THRUST_200600_302600_NS6detail15normal_iteratorINS9_10device_ptrIiEEEENSB_INSC_IjEEEENSB_INSC_IfEEEEiNS9_4plusIvEENS9_8equal_toIvEEiEE10hipError_tPvRmT2_T3_T4_T5_mT6_T7_P12ihipStream_tbENKUlT_T0_E_clISt17integral_constantIbLb0EES12_IbLb1EEEEDaSY_SZ_EUlSY_E_NS1_11comp_targetILNS1_3genE2ELNS1_11target_archE906ELNS1_3gpuE6ELNS1_3repE0EEENS1_30default_config_static_selectorELNS0_4arch9wavefront6targetE0EEEvT1_: ; @_ZN7rocprim17ROCPRIM_400000_NS6detail17trampoline_kernelINS0_14default_configENS1_27scan_by_key_config_selectorIiiEEZZNS1_16scan_by_key_implILNS1_25lookback_scan_determinismE0ELb1ES3_N6thrust23THRUST_200600_302600_NS6detail15normal_iteratorINS9_10device_ptrIiEEEENSB_INSC_IjEEEENSB_INSC_IfEEEEiNS9_4plusIvEENS9_8equal_toIvEEiEE10hipError_tPvRmT2_T3_T4_T5_mT6_T7_P12ihipStream_tbENKUlT_T0_E_clISt17integral_constantIbLb0EES12_IbLb1EEEEDaSY_SZ_EUlSY_E_NS1_11comp_targetILNS1_3genE2ELNS1_11target_archE906ELNS1_3gpuE6ELNS1_3repE0EEENS1_30default_config_static_selectorELNS0_4arch9wavefront6targetE0EEEvT1_
; %bb.0:
	.section	.rodata,"a",@progbits
	.p2align	6, 0x0
	.amdhsa_kernel _ZN7rocprim17ROCPRIM_400000_NS6detail17trampoline_kernelINS0_14default_configENS1_27scan_by_key_config_selectorIiiEEZZNS1_16scan_by_key_implILNS1_25lookback_scan_determinismE0ELb1ES3_N6thrust23THRUST_200600_302600_NS6detail15normal_iteratorINS9_10device_ptrIiEEEENSB_INSC_IjEEEENSB_INSC_IfEEEEiNS9_4plusIvEENS9_8equal_toIvEEiEE10hipError_tPvRmT2_T3_T4_T5_mT6_T7_P12ihipStream_tbENKUlT_T0_E_clISt17integral_constantIbLb0EES12_IbLb1EEEEDaSY_SZ_EUlSY_E_NS1_11comp_targetILNS1_3genE2ELNS1_11target_archE906ELNS1_3gpuE6ELNS1_3repE0EEENS1_30default_config_static_selectorELNS0_4arch9wavefront6targetE0EEEvT1_
		.amdhsa_group_segment_fixed_size 0
		.amdhsa_private_segment_fixed_size 0
		.amdhsa_kernarg_size 112
		.amdhsa_user_sgpr_count 6
		.amdhsa_user_sgpr_private_segment_buffer 1
		.amdhsa_user_sgpr_dispatch_ptr 0
		.amdhsa_user_sgpr_queue_ptr 0
		.amdhsa_user_sgpr_kernarg_segment_ptr 1
		.amdhsa_user_sgpr_dispatch_id 0
		.amdhsa_user_sgpr_flat_scratch_init 0
		.amdhsa_user_sgpr_private_segment_size 0
		.amdhsa_wavefront_size32 1
		.amdhsa_uses_dynamic_stack 0
		.amdhsa_system_sgpr_private_segment_wavefront_offset 0
		.amdhsa_system_sgpr_workgroup_id_x 1
		.amdhsa_system_sgpr_workgroup_id_y 0
		.amdhsa_system_sgpr_workgroup_id_z 0
		.amdhsa_system_sgpr_workgroup_info 0
		.amdhsa_system_vgpr_workitem_id 0
		.amdhsa_next_free_vgpr 1
		.amdhsa_next_free_sgpr 1
		.amdhsa_reserve_vcc 0
		.amdhsa_reserve_flat_scratch 0
		.amdhsa_float_round_mode_32 0
		.amdhsa_float_round_mode_16_64 0
		.amdhsa_float_denorm_mode_32 3
		.amdhsa_float_denorm_mode_16_64 3
		.amdhsa_dx10_clamp 1
		.amdhsa_ieee_mode 1
		.amdhsa_fp16_overflow 0
		.amdhsa_workgroup_processor_mode 1
		.amdhsa_memory_ordered 1
		.amdhsa_forward_progress 1
		.amdhsa_shared_vgpr_count 0
		.amdhsa_exception_fp_ieee_invalid_op 0
		.amdhsa_exception_fp_denorm_src 0
		.amdhsa_exception_fp_ieee_div_zero 0
		.amdhsa_exception_fp_ieee_overflow 0
		.amdhsa_exception_fp_ieee_underflow 0
		.amdhsa_exception_fp_ieee_inexact 0
		.amdhsa_exception_int_div_zero 0
	.end_amdhsa_kernel
	.section	.text._ZN7rocprim17ROCPRIM_400000_NS6detail17trampoline_kernelINS0_14default_configENS1_27scan_by_key_config_selectorIiiEEZZNS1_16scan_by_key_implILNS1_25lookback_scan_determinismE0ELb1ES3_N6thrust23THRUST_200600_302600_NS6detail15normal_iteratorINS9_10device_ptrIiEEEENSB_INSC_IjEEEENSB_INSC_IfEEEEiNS9_4plusIvEENS9_8equal_toIvEEiEE10hipError_tPvRmT2_T3_T4_T5_mT6_T7_P12ihipStream_tbENKUlT_T0_E_clISt17integral_constantIbLb0EES12_IbLb1EEEEDaSY_SZ_EUlSY_E_NS1_11comp_targetILNS1_3genE2ELNS1_11target_archE906ELNS1_3gpuE6ELNS1_3repE0EEENS1_30default_config_static_selectorELNS0_4arch9wavefront6targetE0EEEvT1_,"axG",@progbits,_ZN7rocprim17ROCPRIM_400000_NS6detail17trampoline_kernelINS0_14default_configENS1_27scan_by_key_config_selectorIiiEEZZNS1_16scan_by_key_implILNS1_25lookback_scan_determinismE0ELb1ES3_N6thrust23THRUST_200600_302600_NS6detail15normal_iteratorINS9_10device_ptrIiEEEENSB_INSC_IjEEEENSB_INSC_IfEEEEiNS9_4plusIvEENS9_8equal_toIvEEiEE10hipError_tPvRmT2_T3_T4_T5_mT6_T7_P12ihipStream_tbENKUlT_T0_E_clISt17integral_constantIbLb0EES12_IbLb1EEEEDaSY_SZ_EUlSY_E_NS1_11comp_targetILNS1_3genE2ELNS1_11target_archE906ELNS1_3gpuE6ELNS1_3repE0EEENS1_30default_config_static_selectorELNS0_4arch9wavefront6targetE0EEEvT1_,comdat
.Lfunc_end1748:
	.size	_ZN7rocprim17ROCPRIM_400000_NS6detail17trampoline_kernelINS0_14default_configENS1_27scan_by_key_config_selectorIiiEEZZNS1_16scan_by_key_implILNS1_25lookback_scan_determinismE0ELb1ES3_N6thrust23THRUST_200600_302600_NS6detail15normal_iteratorINS9_10device_ptrIiEEEENSB_INSC_IjEEEENSB_INSC_IfEEEEiNS9_4plusIvEENS9_8equal_toIvEEiEE10hipError_tPvRmT2_T3_T4_T5_mT6_T7_P12ihipStream_tbENKUlT_T0_E_clISt17integral_constantIbLb0EES12_IbLb1EEEEDaSY_SZ_EUlSY_E_NS1_11comp_targetILNS1_3genE2ELNS1_11target_archE906ELNS1_3gpuE6ELNS1_3repE0EEENS1_30default_config_static_selectorELNS0_4arch9wavefront6targetE0EEEvT1_, .Lfunc_end1748-_ZN7rocprim17ROCPRIM_400000_NS6detail17trampoline_kernelINS0_14default_configENS1_27scan_by_key_config_selectorIiiEEZZNS1_16scan_by_key_implILNS1_25lookback_scan_determinismE0ELb1ES3_N6thrust23THRUST_200600_302600_NS6detail15normal_iteratorINS9_10device_ptrIiEEEENSB_INSC_IjEEEENSB_INSC_IfEEEEiNS9_4plusIvEENS9_8equal_toIvEEiEE10hipError_tPvRmT2_T3_T4_T5_mT6_T7_P12ihipStream_tbENKUlT_T0_E_clISt17integral_constantIbLb0EES12_IbLb1EEEEDaSY_SZ_EUlSY_E_NS1_11comp_targetILNS1_3genE2ELNS1_11target_archE906ELNS1_3gpuE6ELNS1_3repE0EEENS1_30default_config_static_selectorELNS0_4arch9wavefront6targetE0EEEvT1_
                                        ; -- End function
	.set _ZN7rocprim17ROCPRIM_400000_NS6detail17trampoline_kernelINS0_14default_configENS1_27scan_by_key_config_selectorIiiEEZZNS1_16scan_by_key_implILNS1_25lookback_scan_determinismE0ELb1ES3_N6thrust23THRUST_200600_302600_NS6detail15normal_iteratorINS9_10device_ptrIiEEEENSB_INSC_IjEEEENSB_INSC_IfEEEEiNS9_4plusIvEENS9_8equal_toIvEEiEE10hipError_tPvRmT2_T3_T4_T5_mT6_T7_P12ihipStream_tbENKUlT_T0_E_clISt17integral_constantIbLb0EES12_IbLb1EEEEDaSY_SZ_EUlSY_E_NS1_11comp_targetILNS1_3genE2ELNS1_11target_archE906ELNS1_3gpuE6ELNS1_3repE0EEENS1_30default_config_static_selectorELNS0_4arch9wavefront6targetE0EEEvT1_.num_vgpr, 0
	.set _ZN7rocprim17ROCPRIM_400000_NS6detail17trampoline_kernelINS0_14default_configENS1_27scan_by_key_config_selectorIiiEEZZNS1_16scan_by_key_implILNS1_25lookback_scan_determinismE0ELb1ES3_N6thrust23THRUST_200600_302600_NS6detail15normal_iteratorINS9_10device_ptrIiEEEENSB_INSC_IjEEEENSB_INSC_IfEEEEiNS9_4plusIvEENS9_8equal_toIvEEiEE10hipError_tPvRmT2_T3_T4_T5_mT6_T7_P12ihipStream_tbENKUlT_T0_E_clISt17integral_constantIbLb0EES12_IbLb1EEEEDaSY_SZ_EUlSY_E_NS1_11comp_targetILNS1_3genE2ELNS1_11target_archE906ELNS1_3gpuE6ELNS1_3repE0EEENS1_30default_config_static_selectorELNS0_4arch9wavefront6targetE0EEEvT1_.num_agpr, 0
	.set _ZN7rocprim17ROCPRIM_400000_NS6detail17trampoline_kernelINS0_14default_configENS1_27scan_by_key_config_selectorIiiEEZZNS1_16scan_by_key_implILNS1_25lookback_scan_determinismE0ELb1ES3_N6thrust23THRUST_200600_302600_NS6detail15normal_iteratorINS9_10device_ptrIiEEEENSB_INSC_IjEEEENSB_INSC_IfEEEEiNS9_4plusIvEENS9_8equal_toIvEEiEE10hipError_tPvRmT2_T3_T4_T5_mT6_T7_P12ihipStream_tbENKUlT_T0_E_clISt17integral_constantIbLb0EES12_IbLb1EEEEDaSY_SZ_EUlSY_E_NS1_11comp_targetILNS1_3genE2ELNS1_11target_archE906ELNS1_3gpuE6ELNS1_3repE0EEENS1_30default_config_static_selectorELNS0_4arch9wavefront6targetE0EEEvT1_.numbered_sgpr, 0
	.set _ZN7rocprim17ROCPRIM_400000_NS6detail17trampoline_kernelINS0_14default_configENS1_27scan_by_key_config_selectorIiiEEZZNS1_16scan_by_key_implILNS1_25lookback_scan_determinismE0ELb1ES3_N6thrust23THRUST_200600_302600_NS6detail15normal_iteratorINS9_10device_ptrIiEEEENSB_INSC_IjEEEENSB_INSC_IfEEEEiNS9_4plusIvEENS9_8equal_toIvEEiEE10hipError_tPvRmT2_T3_T4_T5_mT6_T7_P12ihipStream_tbENKUlT_T0_E_clISt17integral_constantIbLb0EES12_IbLb1EEEEDaSY_SZ_EUlSY_E_NS1_11comp_targetILNS1_3genE2ELNS1_11target_archE906ELNS1_3gpuE6ELNS1_3repE0EEENS1_30default_config_static_selectorELNS0_4arch9wavefront6targetE0EEEvT1_.num_named_barrier, 0
	.set _ZN7rocprim17ROCPRIM_400000_NS6detail17trampoline_kernelINS0_14default_configENS1_27scan_by_key_config_selectorIiiEEZZNS1_16scan_by_key_implILNS1_25lookback_scan_determinismE0ELb1ES3_N6thrust23THRUST_200600_302600_NS6detail15normal_iteratorINS9_10device_ptrIiEEEENSB_INSC_IjEEEENSB_INSC_IfEEEEiNS9_4plusIvEENS9_8equal_toIvEEiEE10hipError_tPvRmT2_T3_T4_T5_mT6_T7_P12ihipStream_tbENKUlT_T0_E_clISt17integral_constantIbLb0EES12_IbLb1EEEEDaSY_SZ_EUlSY_E_NS1_11comp_targetILNS1_3genE2ELNS1_11target_archE906ELNS1_3gpuE6ELNS1_3repE0EEENS1_30default_config_static_selectorELNS0_4arch9wavefront6targetE0EEEvT1_.private_seg_size, 0
	.set _ZN7rocprim17ROCPRIM_400000_NS6detail17trampoline_kernelINS0_14default_configENS1_27scan_by_key_config_selectorIiiEEZZNS1_16scan_by_key_implILNS1_25lookback_scan_determinismE0ELb1ES3_N6thrust23THRUST_200600_302600_NS6detail15normal_iteratorINS9_10device_ptrIiEEEENSB_INSC_IjEEEENSB_INSC_IfEEEEiNS9_4plusIvEENS9_8equal_toIvEEiEE10hipError_tPvRmT2_T3_T4_T5_mT6_T7_P12ihipStream_tbENKUlT_T0_E_clISt17integral_constantIbLb0EES12_IbLb1EEEEDaSY_SZ_EUlSY_E_NS1_11comp_targetILNS1_3genE2ELNS1_11target_archE906ELNS1_3gpuE6ELNS1_3repE0EEENS1_30default_config_static_selectorELNS0_4arch9wavefront6targetE0EEEvT1_.uses_vcc, 0
	.set _ZN7rocprim17ROCPRIM_400000_NS6detail17trampoline_kernelINS0_14default_configENS1_27scan_by_key_config_selectorIiiEEZZNS1_16scan_by_key_implILNS1_25lookback_scan_determinismE0ELb1ES3_N6thrust23THRUST_200600_302600_NS6detail15normal_iteratorINS9_10device_ptrIiEEEENSB_INSC_IjEEEENSB_INSC_IfEEEEiNS9_4plusIvEENS9_8equal_toIvEEiEE10hipError_tPvRmT2_T3_T4_T5_mT6_T7_P12ihipStream_tbENKUlT_T0_E_clISt17integral_constantIbLb0EES12_IbLb1EEEEDaSY_SZ_EUlSY_E_NS1_11comp_targetILNS1_3genE2ELNS1_11target_archE906ELNS1_3gpuE6ELNS1_3repE0EEENS1_30default_config_static_selectorELNS0_4arch9wavefront6targetE0EEEvT1_.uses_flat_scratch, 0
	.set _ZN7rocprim17ROCPRIM_400000_NS6detail17trampoline_kernelINS0_14default_configENS1_27scan_by_key_config_selectorIiiEEZZNS1_16scan_by_key_implILNS1_25lookback_scan_determinismE0ELb1ES3_N6thrust23THRUST_200600_302600_NS6detail15normal_iteratorINS9_10device_ptrIiEEEENSB_INSC_IjEEEENSB_INSC_IfEEEEiNS9_4plusIvEENS9_8equal_toIvEEiEE10hipError_tPvRmT2_T3_T4_T5_mT6_T7_P12ihipStream_tbENKUlT_T0_E_clISt17integral_constantIbLb0EES12_IbLb1EEEEDaSY_SZ_EUlSY_E_NS1_11comp_targetILNS1_3genE2ELNS1_11target_archE906ELNS1_3gpuE6ELNS1_3repE0EEENS1_30default_config_static_selectorELNS0_4arch9wavefront6targetE0EEEvT1_.has_dyn_sized_stack, 0
	.set _ZN7rocprim17ROCPRIM_400000_NS6detail17trampoline_kernelINS0_14default_configENS1_27scan_by_key_config_selectorIiiEEZZNS1_16scan_by_key_implILNS1_25lookback_scan_determinismE0ELb1ES3_N6thrust23THRUST_200600_302600_NS6detail15normal_iteratorINS9_10device_ptrIiEEEENSB_INSC_IjEEEENSB_INSC_IfEEEEiNS9_4plusIvEENS9_8equal_toIvEEiEE10hipError_tPvRmT2_T3_T4_T5_mT6_T7_P12ihipStream_tbENKUlT_T0_E_clISt17integral_constantIbLb0EES12_IbLb1EEEEDaSY_SZ_EUlSY_E_NS1_11comp_targetILNS1_3genE2ELNS1_11target_archE906ELNS1_3gpuE6ELNS1_3repE0EEENS1_30default_config_static_selectorELNS0_4arch9wavefront6targetE0EEEvT1_.has_recursion, 0
	.set _ZN7rocprim17ROCPRIM_400000_NS6detail17trampoline_kernelINS0_14default_configENS1_27scan_by_key_config_selectorIiiEEZZNS1_16scan_by_key_implILNS1_25lookback_scan_determinismE0ELb1ES3_N6thrust23THRUST_200600_302600_NS6detail15normal_iteratorINS9_10device_ptrIiEEEENSB_INSC_IjEEEENSB_INSC_IfEEEEiNS9_4plusIvEENS9_8equal_toIvEEiEE10hipError_tPvRmT2_T3_T4_T5_mT6_T7_P12ihipStream_tbENKUlT_T0_E_clISt17integral_constantIbLb0EES12_IbLb1EEEEDaSY_SZ_EUlSY_E_NS1_11comp_targetILNS1_3genE2ELNS1_11target_archE906ELNS1_3gpuE6ELNS1_3repE0EEENS1_30default_config_static_selectorELNS0_4arch9wavefront6targetE0EEEvT1_.has_indirect_call, 0
	.section	.AMDGPU.csdata,"",@progbits
; Kernel info:
; codeLenInByte = 0
; TotalNumSgprs: 0
; NumVgprs: 0
; ScratchSize: 0
; MemoryBound: 0
; FloatMode: 240
; IeeeMode: 1
; LDSByteSize: 0 bytes/workgroup (compile time only)
; SGPRBlocks: 0
; VGPRBlocks: 0
; NumSGPRsForWavesPerEU: 1
; NumVGPRsForWavesPerEU: 1
; Occupancy: 16
; WaveLimiterHint : 0
; COMPUTE_PGM_RSRC2:SCRATCH_EN: 0
; COMPUTE_PGM_RSRC2:USER_SGPR: 6
; COMPUTE_PGM_RSRC2:TRAP_HANDLER: 0
; COMPUTE_PGM_RSRC2:TGID_X_EN: 1
; COMPUTE_PGM_RSRC2:TGID_Y_EN: 0
; COMPUTE_PGM_RSRC2:TGID_Z_EN: 0
; COMPUTE_PGM_RSRC2:TIDIG_COMP_CNT: 0
	.section	.text._ZN7rocprim17ROCPRIM_400000_NS6detail17trampoline_kernelINS0_14default_configENS1_27scan_by_key_config_selectorIiiEEZZNS1_16scan_by_key_implILNS1_25lookback_scan_determinismE0ELb1ES3_N6thrust23THRUST_200600_302600_NS6detail15normal_iteratorINS9_10device_ptrIiEEEENSB_INSC_IjEEEENSB_INSC_IfEEEEiNS9_4plusIvEENS9_8equal_toIvEEiEE10hipError_tPvRmT2_T3_T4_T5_mT6_T7_P12ihipStream_tbENKUlT_T0_E_clISt17integral_constantIbLb0EES12_IbLb1EEEEDaSY_SZ_EUlSY_E_NS1_11comp_targetILNS1_3genE10ELNS1_11target_archE1200ELNS1_3gpuE4ELNS1_3repE0EEENS1_30default_config_static_selectorELNS0_4arch9wavefront6targetE0EEEvT1_,"axG",@progbits,_ZN7rocprim17ROCPRIM_400000_NS6detail17trampoline_kernelINS0_14default_configENS1_27scan_by_key_config_selectorIiiEEZZNS1_16scan_by_key_implILNS1_25lookback_scan_determinismE0ELb1ES3_N6thrust23THRUST_200600_302600_NS6detail15normal_iteratorINS9_10device_ptrIiEEEENSB_INSC_IjEEEENSB_INSC_IfEEEEiNS9_4plusIvEENS9_8equal_toIvEEiEE10hipError_tPvRmT2_T3_T4_T5_mT6_T7_P12ihipStream_tbENKUlT_T0_E_clISt17integral_constantIbLb0EES12_IbLb1EEEEDaSY_SZ_EUlSY_E_NS1_11comp_targetILNS1_3genE10ELNS1_11target_archE1200ELNS1_3gpuE4ELNS1_3repE0EEENS1_30default_config_static_selectorELNS0_4arch9wavefront6targetE0EEEvT1_,comdat
	.protected	_ZN7rocprim17ROCPRIM_400000_NS6detail17trampoline_kernelINS0_14default_configENS1_27scan_by_key_config_selectorIiiEEZZNS1_16scan_by_key_implILNS1_25lookback_scan_determinismE0ELb1ES3_N6thrust23THRUST_200600_302600_NS6detail15normal_iteratorINS9_10device_ptrIiEEEENSB_INSC_IjEEEENSB_INSC_IfEEEEiNS9_4plusIvEENS9_8equal_toIvEEiEE10hipError_tPvRmT2_T3_T4_T5_mT6_T7_P12ihipStream_tbENKUlT_T0_E_clISt17integral_constantIbLb0EES12_IbLb1EEEEDaSY_SZ_EUlSY_E_NS1_11comp_targetILNS1_3genE10ELNS1_11target_archE1200ELNS1_3gpuE4ELNS1_3repE0EEENS1_30default_config_static_selectorELNS0_4arch9wavefront6targetE0EEEvT1_ ; -- Begin function _ZN7rocprim17ROCPRIM_400000_NS6detail17trampoline_kernelINS0_14default_configENS1_27scan_by_key_config_selectorIiiEEZZNS1_16scan_by_key_implILNS1_25lookback_scan_determinismE0ELb1ES3_N6thrust23THRUST_200600_302600_NS6detail15normal_iteratorINS9_10device_ptrIiEEEENSB_INSC_IjEEEENSB_INSC_IfEEEEiNS9_4plusIvEENS9_8equal_toIvEEiEE10hipError_tPvRmT2_T3_T4_T5_mT6_T7_P12ihipStream_tbENKUlT_T0_E_clISt17integral_constantIbLb0EES12_IbLb1EEEEDaSY_SZ_EUlSY_E_NS1_11comp_targetILNS1_3genE10ELNS1_11target_archE1200ELNS1_3gpuE4ELNS1_3repE0EEENS1_30default_config_static_selectorELNS0_4arch9wavefront6targetE0EEEvT1_
	.globl	_ZN7rocprim17ROCPRIM_400000_NS6detail17trampoline_kernelINS0_14default_configENS1_27scan_by_key_config_selectorIiiEEZZNS1_16scan_by_key_implILNS1_25lookback_scan_determinismE0ELb1ES3_N6thrust23THRUST_200600_302600_NS6detail15normal_iteratorINS9_10device_ptrIiEEEENSB_INSC_IjEEEENSB_INSC_IfEEEEiNS9_4plusIvEENS9_8equal_toIvEEiEE10hipError_tPvRmT2_T3_T4_T5_mT6_T7_P12ihipStream_tbENKUlT_T0_E_clISt17integral_constantIbLb0EES12_IbLb1EEEEDaSY_SZ_EUlSY_E_NS1_11comp_targetILNS1_3genE10ELNS1_11target_archE1200ELNS1_3gpuE4ELNS1_3repE0EEENS1_30default_config_static_selectorELNS0_4arch9wavefront6targetE0EEEvT1_
	.p2align	8
	.type	_ZN7rocprim17ROCPRIM_400000_NS6detail17trampoline_kernelINS0_14default_configENS1_27scan_by_key_config_selectorIiiEEZZNS1_16scan_by_key_implILNS1_25lookback_scan_determinismE0ELb1ES3_N6thrust23THRUST_200600_302600_NS6detail15normal_iteratorINS9_10device_ptrIiEEEENSB_INSC_IjEEEENSB_INSC_IfEEEEiNS9_4plusIvEENS9_8equal_toIvEEiEE10hipError_tPvRmT2_T3_T4_T5_mT6_T7_P12ihipStream_tbENKUlT_T0_E_clISt17integral_constantIbLb0EES12_IbLb1EEEEDaSY_SZ_EUlSY_E_NS1_11comp_targetILNS1_3genE10ELNS1_11target_archE1200ELNS1_3gpuE4ELNS1_3repE0EEENS1_30default_config_static_selectorELNS0_4arch9wavefront6targetE0EEEvT1_,@function
_ZN7rocprim17ROCPRIM_400000_NS6detail17trampoline_kernelINS0_14default_configENS1_27scan_by_key_config_selectorIiiEEZZNS1_16scan_by_key_implILNS1_25lookback_scan_determinismE0ELb1ES3_N6thrust23THRUST_200600_302600_NS6detail15normal_iteratorINS9_10device_ptrIiEEEENSB_INSC_IjEEEENSB_INSC_IfEEEEiNS9_4plusIvEENS9_8equal_toIvEEiEE10hipError_tPvRmT2_T3_T4_T5_mT6_T7_P12ihipStream_tbENKUlT_T0_E_clISt17integral_constantIbLb0EES12_IbLb1EEEEDaSY_SZ_EUlSY_E_NS1_11comp_targetILNS1_3genE10ELNS1_11target_archE1200ELNS1_3gpuE4ELNS1_3repE0EEENS1_30default_config_static_selectorELNS0_4arch9wavefront6targetE0EEEvT1_: ; @_ZN7rocprim17ROCPRIM_400000_NS6detail17trampoline_kernelINS0_14default_configENS1_27scan_by_key_config_selectorIiiEEZZNS1_16scan_by_key_implILNS1_25lookback_scan_determinismE0ELb1ES3_N6thrust23THRUST_200600_302600_NS6detail15normal_iteratorINS9_10device_ptrIiEEEENSB_INSC_IjEEEENSB_INSC_IfEEEEiNS9_4plusIvEENS9_8equal_toIvEEiEE10hipError_tPvRmT2_T3_T4_T5_mT6_T7_P12ihipStream_tbENKUlT_T0_E_clISt17integral_constantIbLb0EES12_IbLb1EEEEDaSY_SZ_EUlSY_E_NS1_11comp_targetILNS1_3genE10ELNS1_11target_archE1200ELNS1_3gpuE4ELNS1_3repE0EEENS1_30default_config_static_selectorELNS0_4arch9wavefront6targetE0EEEvT1_
; %bb.0:
	.section	.rodata,"a",@progbits
	.p2align	6, 0x0
	.amdhsa_kernel _ZN7rocprim17ROCPRIM_400000_NS6detail17trampoline_kernelINS0_14default_configENS1_27scan_by_key_config_selectorIiiEEZZNS1_16scan_by_key_implILNS1_25lookback_scan_determinismE0ELb1ES3_N6thrust23THRUST_200600_302600_NS6detail15normal_iteratorINS9_10device_ptrIiEEEENSB_INSC_IjEEEENSB_INSC_IfEEEEiNS9_4plusIvEENS9_8equal_toIvEEiEE10hipError_tPvRmT2_T3_T4_T5_mT6_T7_P12ihipStream_tbENKUlT_T0_E_clISt17integral_constantIbLb0EES12_IbLb1EEEEDaSY_SZ_EUlSY_E_NS1_11comp_targetILNS1_3genE10ELNS1_11target_archE1200ELNS1_3gpuE4ELNS1_3repE0EEENS1_30default_config_static_selectorELNS0_4arch9wavefront6targetE0EEEvT1_
		.amdhsa_group_segment_fixed_size 0
		.amdhsa_private_segment_fixed_size 0
		.amdhsa_kernarg_size 112
		.amdhsa_user_sgpr_count 6
		.amdhsa_user_sgpr_private_segment_buffer 1
		.amdhsa_user_sgpr_dispatch_ptr 0
		.amdhsa_user_sgpr_queue_ptr 0
		.amdhsa_user_sgpr_kernarg_segment_ptr 1
		.amdhsa_user_sgpr_dispatch_id 0
		.amdhsa_user_sgpr_flat_scratch_init 0
		.amdhsa_user_sgpr_private_segment_size 0
		.amdhsa_wavefront_size32 1
		.amdhsa_uses_dynamic_stack 0
		.amdhsa_system_sgpr_private_segment_wavefront_offset 0
		.amdhsa_system_sgpr_workgroup_id_x 1
		.amdhsa_system_sgpr_workgroup_id_y 0
		.amdhsa_system_sgpr_workgroup_id_z 0
		.amdhsa_system_sgpr_workgroup_info 0
		.amdhsa_system_vgpr_workitem_id 0
		.amdhsa_next_free_vgpr 1
		.amdhsa_next_free_sgpr 1
		.amdhsa_reserve_vcc 0
		.amdhsa_reserve_flat_scratch 0
		.amdhsa_float_round_mode_32 0
		.amdhsa_float_round_mode_16_64 0
		.amdhsa_float_denorm_mode_32 3
		.amdhsa_float_denorm_mode_16_64 3
		.amdhsa_dx10_clamp 1
		.amdhsa_ieee_mode 1
		.amdhsa_fp16_overflow 0
		.amdhsa_workgroup_processor_mode 1
		.amdhsa_memory_ordered 1
		.amdhsa_forward_progress 1
		.amdhsa_shared_vgpr_count 0
		.amdhsa_exception_fp_ieee_invalid_op 0
		.amdhsa_exception_fp_denorm_src 0
		.amdhsa_exception_fp_ieee_div_zero 0
		.amdhsa_exception_fp_ieee_overflow 0
		.amdhsa_exception_fp_ieee_underflow 0
		.amdhsa_exception_fp_ieee_inexact 0
		.amdhsa_exception_int_div_zero 0
	.end_amdhsa_kernel
	.section	.text._ZN7rocprim17ROCPRIM_400000_NS6detail17trampoline_kernelINS0_14default_configENS1_27scan_by_key_config_selectorIiiEEZZNS1_16scan_by_key_implILNS1_25lookback_scan_determinismE0ELb1ES3_N6thrust23THRUST_200600_302600_NS6detail15normal_iteratorINS9_10device_ptrIiEEEENSB_INSC_IjEEEENSB_INSC_IfEEEEiNS9_4plusIvEENS9_8equal_toIvEEiEE10hipError_tPvRmT2_T3_T4_T5_mT6_T7_P12ihipStream_tbENKUlT_T0_E_clISt17integral_constantIbLb0EES12_IbLb1EEEEDaSY_SZ_EUlSY_E_NS1_11comp_targetILNS1_3genE10ELNS1_11target_archE1200ELNS1_3gpuE4ELNS1_3repE0EEENS1_30default_config_static_selectorELNS0_4arch9wavefront6targetE0EEEvT1_,"axG",@progbits,_ZN7rocprim17ROCPRIM_400000_NS6detail17trampoline_kernelINS0_14default_configENS1_27scan_by_key_config_selectorIiiEEZZNS1_16scan_by_key_implILNS1_25lookback_scan_determinismE0ELb1ES3_N6thrust23THRUST_200600_302600_NS6detail15normal_iteratorINS9_10device_ptrIiEEEENSB_INSC_IjEEEENSB_INSC_IfEEEEiNS9_4plusIvEENS9_8equal_toIvEEiEE10hipError_tPvRmT2_T3_T4_T5_mT6_T7_P12ihipStream_tbENKUlT_T0_E_clISt17integral_constantIbLb0EES12_IbLb1EEEEDaSY_SZ_EUlSY_E_NS1_11comp_targetILNS1_3genE10ELNS1_11target_archE1200ELNS1_3gpuE4ELNS1_3repE0EEENS1_30default_config_static_selectorELNS0_4arch9wavefront6targetE0EEEvT1_,comdat
.Lfunc_end1749:
	.size	_ZN7rocprim17ROCPRIM_400000_NS6detail17trampoline_kernelINS0_14default_configENS1_27scan_by_key_config_selectorIiiEEZZNS1_16scan_by_key_implILNS1_25lookback_scan_determinismE0ELb1ES3_N6thrust23THRUST_200600_302600_NS6detail15normal_iteratorINS9_10device_ptrIiEEEENSB_INSC_IjEEEENSB_INSC_IfEEEEiNS9_4plusIvEENS9_8equal_toIvEEiEE10hipError_tPvRmT2_T3_T4_T5_mT6_T7_P12ihipStream_tbENKUlT_T0_E_clISt17integral_constantIbLb0EES12_IbLb1EEEEDaSY_SZ_EUlSY_E_NS1_11comp_targetILNS1_3genE10ELNS1_11target_archE1200ELNS1_3gpuE4ELNS1_3repE0EEENS1_30default_config_static_selectorELNS0_4arch9wavefront6targetE0EEEvT1_, .Lfunc_end1749-_ZN7rocprim17ROCPRIM_400000_NS6detail17trampoline_kernelINS0_14default_configENS1_27scan_by_key_config_selectorIiiEEZZNS1_16scan_by_key_implILNS1_25lookback_scan_determinismE0ELb1ES3_N6thrust23THRUST_200600_302600_NS6detail15normal_iteratorINS9_10device_ptrIiEEEENSB_INSC_IjEEEENSB_INSC_IfEEEEiNS9_4plusIvEENS9_8equal_toIvEEiEE10hipError_tPvRmT2_T3_T4_T5_mT6_T7_P12ihipStream_tbENKUlT_T0_E_clISt17integral_constantIbLb0EES12_IbLb1EEEEDaSY_SZ_EUlSY_E_NS1_11comp_targetILNS1_3genE10ELNS1_11target_archE1200ELNS1_3gpuE4ELNS1_3repE0EEENS1_30default_config_static_selectorELNS0_4arch9wavefront6targetE0EEEvT1_
                                        ; -- End function
	.set _ZN7rocprim17ROCPRIM_400000_NS6detail17trampoline_kernelINS0_14default_configENS1_27scan_by_key_config_selectorIiiEEZZNS1_16scan_by_key_implILNS1_25lookback_scan_determinismE0ELb1ES3_N6thrust23THRUST_200600_302600_NS6detail15normal_iteratorINS9_10device_ptrIiEEEENSB_INSC_IjEEEENSB_INSC_IfEEEEiNS9_4plusIvEENS9_8equal_toIvEEiEE10hipError_tPvRmT2_T3_T4_T5_mT6_T7_P12ihipStream_tbENKUlT_T0_E_clISt17integral_constantIbLb0EES12_IbLb1EEEEDaSY_SZ_EUlSY_E_NS1_11comp_targetILNS1_3genE10ELNS1_11target_archE1200ELNS1_3gpuE4ELNS1_3repE0EEENS1_30default_config_static_selectorELNS0_4arch9wavefront6targetE0EEEvT1_.num_vgpr, 0
	.set _ZN7rocprim17ROCPRIM_400000_NS6detail17trampoline_kernelINS0_14default_configENS1_27scan_by_key_config_selectorIiiEEZZNS1_16scan_by_key_implILNS1_25lookback_scan_determinismE0ELb1ES3_N6thrust23THRUST_200600_302600_NS6detail15normal_iteratorINS9_10device_ptrIiEEEENSB_INSC_IjEEEENSB_INSC_IfEEEEiNS9_4plusIvEENS9_8equal_toIvEEiEE10hipError_tPvRmT2_T3_T4_T5_mT6_T7_P12ihipStream_tbENKUlT_T0_E_clISt17integral_constantIbLb0EES12_IbLb1EEEEDaSY_SZ_EUlSY_E_NS1_11comp_targetILNS1_3genE10ELNS1_11target_archE1200ELNS1_3gpuE4ELNS1_3repE0EEENS1_30default_config_static_selectorELNS0_4arch9wavefront6targetE0EEEvT1_.num_agpr, 0
	.set _ZN7rocprim17ROCPRIM_400000_NS6detail17trampoline_kernelINS0_14default_configENS1_27scan_by_key_config_selectorIiiEEZZNS1_16scan_by_key_implILNS1_25lookback_scan_determinismE0ELb1ES3_N6thrust23THRUST_200600_302600_NS6detail15normal_iteratorINS9_10device_ptrIiEEEENSB_INSC_IjEEEENSB_INSC_IfEEEEiNS9_4plusIvEENS9_8equal_toIvEEiEE10hipError_tPvRmT2_T3_T4_T5_mT6_T7_P12ihipStream_tbENKUlT_T0_E_clISt17integral_constantIbLb0EES12_IbLb1EEEEDaSY_SZ_EUlSY_E_NS1_11comp_targetILNS1_3genE10ELNS1_11target_archE1200ELNS1_3gpuE4ELNS1_3repE0EEENS1_30default_config_static_selectorELNS0_4arch9wavefront6targetE0EEEvT1_.numbered_sgpr, 0
	.set _ZN7rocprim17ROCPRIM_400000_NS6detail17trampoline_kernelINS0_14default_configENS1_27scan_by_key_config_selectorIiiEEZZNS1_16scan_by_key_implILNS1_25lookback_scan_determinismE0ELb1ES3_N6thrust23THRUST_200600_302600_NS6detail15normal_iteratorINS9_10device_ptrIiEEEENSB_INSC_IjEEEENSB_INSC_IfEEEEiNS9_4plusIvEENS9_8equal_toIvEEiEE10hipError_tPvRmT2_T3_T4_T5_mT6_T7_P12ihipStream_tbENKUlT_T0_E_clISt17integral_constantIbLb0EES12_IbLb1EEEEDaSY_SZ_EUlSY_E_NS1_11comp_targetILNS1_3genE10ELNS1_11target_archE1200ELNS1_3gpuE4ELNS1_3repE0EEENS1_30default_config_static_selectorELNS0_4arch9wavefront6targetE0EEEvT1_.num_named_barrier, 0
	.set _ZN7rocprim17ROCPRIM_400000_NS6detail17trampoline_kernelINS0_14default_configENS1_27scan_by_key_config_selectorIiiEEZZNS1_16scan_by_key_implILNS1_25lookback_scan_determinismE0ELb1ES3_N6thrust23THRUST_200600_302600_NS6detail15normal_iteratorINS9_10device_ptrIiEEEENSB_INSC_IjEEEENSB_INSC_IfEEEEiNS9_4plusIvEENS9_8equal_toIvEEiEE10hipError_tPvRmT2_T3_T4_T5_mT6_T7_P12ihipStream_tbENKUlT_T0_E_clISt17integral_constantIbLb0EES12_IbLb1EEEEDaSY_SZ_EUlSY_E_NS1_11comp_targetILNS1_3genE10ELNS1_11target_archE1200ELNS1_3gpuE4ELNS1_3repE0EEENS1_30default_config_static_selectorELNS0_4arch9wavefront6targetE0EEEvT1_.private_seg_size, 0
	.set _ZN7rocprim17ROCPRIM_400000_NS6detail17trampoline_kernelINS0_14default_configENS1_27scan_by_key_config_selectorIiiEEZZNS1_16scan_by_key_implILNS1_25lookback_scan_determinismE0ELb1ES3_N6thrust23THRUST_200600_302600_NS6detail15normal_iteratorINS9_10device_ptrIiEEEENSB_INSC_IjEEEENSB_INSC_IfEEEEiNS9_4plusIvEENS9_8equal_toIvEEiEE10hipError_tPvRmT2_T3_T4_T5_mT6_T7_P12ihipStream_tbENKUlT_T0_E_clISt17integral_constantIbLb0EES12_IbLb1EEEEDaSY_SZ_EUlSY_E_NS1_11comp_targetILNS1_3genE10ELNS1_11target_archE1200ELNS1_3gpuE4ELNS1_3repE0EEENS1_30default_config_static_selectorELNS0_4arch9wavefront6targetE0EEEvT1_.uses_vcc, 0
	.set _ZN7rocprim17ROCPRIM_400000_NS6detail17trampoline_kernelINS0_14default_configENS1_27scan_by_key_config_selectorIiiEEZZNS1_16scan_by_key_implILNS1_25lookback_scan_determinismE0ELb1ES3_N6thrust23THRUST_200600_302600_NS6detail15normal_iteratorINS9_10device_ptrIiEEEENSB_INSC_IjEEEENSB_INSC_IfEEEEiNS9_4plusIvEENS9_8equal_toIvEEiEE10hipError_tPvRmT2_T3_T4_T5_mT6_T7_P12ihipStream_tbENKUlT_T0_E_clISt17integral_constantIbLb0EES12_IbLb1EEEEDaSY_SZ_EUlSY_E_NS1_11comp_targetILNS1_3genE10ELNS1_11target_archE1200ELNS1_3gpuE4ELNS1_3repE0EEENS1_30default_config_static_selectorELNS0_4arch9wavefront6targetE0EEEvT1_.uses_flat_scratch, 0
	.set _ZN7rocprim17ROCPRIM_400000_NS6detail17trampoline_kernelINS0_14default_configENS1_27scan_by_key_config_selectorIiiEEZZNS1_16scan_by_key_implILNS1_25lookback_scan_determinismE0ELb1ES3_N6thrust23THRUST_200600_302600_NS6detail15normal_iteratorINS9_10device_ptrIiEEEENSB_INSC_IjEEEENSB_INSC_IfEEEEiNS9_4plusIvEENS9_8equal_toIvEEiEE10hipError_tPvRmT2_T3_T4_T5_mT6_T7_P12ihipStream_tbENKUlT_T0_E_clISt17integral_constantIbLb0EES12_IbLb1EEEEDaSY_SZ_EUlSY_E_NS1_11comp_targetILNS1_3genE10ELNS1_11target_archE1200ELNS1_3gpuE4ELNS1_3repE0EEENS1_30default_config_static_selectorELNS0_4arch9wavefront6targetE0EEEvT1_.has_dyn_sized_stack, 0
	.set _ZN7rocprim17ROCPRIM_400000_NS6detail17trampoline_kernelINS0_14default_configENS1_27scan_by_key_config_selectorIiiEEZZNS1_16scan_by_key_implILNS1_25lookback_scan_determinismE0ELb1ES3_N6thrust23THRUST_200600_302600_NS6detail15normal_iteratorINS9_10device_ptrIiEEEENSB_INSC_IjEEEENSB_INSC_IfEEEEiNS9_4plusIvEENS9_8equal_toIvEEiEE10hipError_tPvRmT2_T3_T4_T5_mT6_T7_P12ihipStream_tbENKUlT_T0_E_clISt17integral_constantIbLb0EES12_IbLb1EEEEDaSY_SZ_EUlSY_E_NS1_11comp_targetILNS1_3genE10ELNS1_11target_archE1200ELNS1_3gpuE4ELNS1_3repE0EEENS1_30default_config_static_selectorELNS0_4arch9wavefront6targetE0EEEvT1_.has_recursion, 0
	.set _ZN7rocprim17ROCPRIM_400000_NS6detail17trampoline_kernelINS0_14default_configENS1_27scan_by_key_config_selectorIiiEEZZNS1_16scan_by_key_implILNS1_25lookback_scan_determinismE0ELb1ES3_N6thrust23THRUST_200600_302600_NS6detail15normal_iteratorINS9_10device_ptrIiEEEENSB_INSC_IjEEEENSB_INSC_IfEEEEiNS9_4plusIvEENS9_8equal_toIvEEiEE10hipError_tPvRmT2_T3_T4_T5_mT6_T7_P12ihipStream_tbENKUlT_T0_E_clISt17integral_constantIbLb0EES12_IbLb1EEEEDaSY_SZ_EUlSY_E_NS1_11comp_targetILNS1_3genE10ELNS1_11target_archE1200ELNS1_3gpuE4ELNS1_3repE0EEENS1_30default_config_static_selectorELNS0_4arch9wavefront6targetE0EEEvT1_.has_indirect_call, 0
	.section	.AMDGPU.csdata,"",@progbits
; Kernel info:
; codeLenInByte = 0
; TotalNumSgprs: 0
; NumVgprs: 0
; ScratchSize: 0
; MemoryBound: 0
; FloatMode: 240
; IeeeMode: 1
; LDSByteSize: 0 bytes/workgroup (compile time only)
; SGPRBlocks: 0
; VGPRBlocks: 0
; NumSGPRsForWavesPerEU: 1
; NumVGPRsForWavesPerEU: 1
; Occupancy: 16
; WaveLimiterHint : 0
; COMPUTE_PGM_RSRC2:SCRATCH_EN: 0
; COMPUTE_PGM_RSRC2:USER_SGPR: 6
; COMPUTE_PGM_RSRC2:TRAP_HANDLER: 0
; COMPUTE_PGM_RSRC2:TGID_X_EN: 1
; COMPUTE_PGM_RSRC2:TGID_Y_EN: 0
; COMPUTE_PGM_RSRC2:TGID_Z_EN: 0
; COMPUTE_PGM_RSRC2:TIDIG_COMP_CNT: 0
	.section	.text._ZN7rocprim17ROCPRIM_400000_NS6detail17trampoline_kernelINS0_14default_configENS1_27scan_by_key_config_selectorIiiEEZZNS1_16scan_by_key_implILNS1_25lookback_scan_determinismE0ELb1ES3_N6thrust23THRUST_200600_302600_NS6detail15normal_iteratorINS9_10device_ptrIiEEEENSB_INSC_IjEEEENSB_INSC_IfEEEEiNS9_4plusIvEENS9_8equal_toIvEEiEE10hipError_tPvRmT2_T3_T4_T5_mT6_T7_P12ihipStream_tbENKUlT_T0_E_clISt17integral_constantIbLb0EES12_IbLb1EEEEDaSY_SZ_EUlSY_E_NS1_11comp_targetILNS1_3genE9ELNS1_11target_archE1100ELNS1_3gpuE3ELNS1_3repE0EEENS1_30default_config_static_selectorELNS0_4arch9wavefront6targetE0EEEvT1_,"axG",@progbits,_ZN7rocprim17ROCPRIM_400000_NS6detail17trampoline_kernelINS0_14default_configENS1_27scan_by_key_config_selectorIiiEEZZNS1_16scan_by_key_implILNS1_25lookback_scan_determinismE0ELb1ES3_N6thrust23THRUST_200600_302600_NS6detail15normal_iteratorINS9_10device_ptrIiEEEENSB_INSC_IjEEEENSB_INSC_IfEEEEiNS9_4plusIvEENS9_8equal_toIvEEiEE10hipError_tPvRmT2_T3_T4_T5_mT6_T7_P12ihipStream_tbENKUlT_T0_E_clISt17integral_constantIbLb0EES12_IbLb1EEEEDaSY_SZ_EUlSY_E_NS1_11comp_targetILNS1_3genE9ELNS1_11target_archE1100ELNS1_3gpuE3ELNS1_3repE0EEENS1_30default_config_static_selectorELNS0_4arch9wavefront6targetE0EEEvT1_,comdat
	.protected	_ZN7rocprim17ROCPRIM_400000_NS6detail17trampoline_kernelINS0_14default_configENS1_27scan_by_key_config_selectorIiiEEZZNS1_16scan_by_key_implILNS1_25lookback_scan_determinismE0ELb1ES3_N6thrust23THRUST_200600_302600_NS6detail15normal_iteratorINS9_10device_ptrIiEEEENSB_INSC_IjEEEENSB_INSC_IfEEEEiNS9_4plusIvEENS9_8equal_toIvEEiEE10hipError_tPvRmT2_T3_T4_T5_mT6_T7_P12ihipStream_tbENKUlT_T0_E_clISt17integral_constantIbLb0EES12_IbLb1EEEEDaSY_SZ_EUlSY_E_NS1_11comp_targetILNS1_3genE9ELNS1_11target_archE1100ELNS1_3gpuE3ELNS1_3repE0EEENS1_30default_config_static_selectorELNS0_4arch9wavefront6targetE0EEEvT1_ ; -- Begin function _ZN7rocprim17ROCPRIM_400000_NS6detail17trampoline_kernelINS0_14default_configENS1_27scan_by_key_config_selectorIiiEEZZNS1_16scan_by_key_implILNS1_25lookback_scan_determinismE0ELb1ES3_N6thrust23THRUST_200600_302600_NS6detail15normal_iteratorINS9_10device_ptrIiEEEENSB_INSC_IjEEEENSB_INSC_IfEEEEiNS9_4plusIvEENS9_8equal_toIvEEiEE10hipError_tPvRmT2_T3_T4_T5_mT6_T7_P12ihipStream_tbENKUlT_T0_E_clISt17integral_constantIbLb0EES12_IbLb1EEEEDaSY_SZ_EUlSY_E_NS1_11comp_targetILNS1_3genE9ELNS1_11target_archE1100ELNS1_3gpuE3ELNS1_3repE0EEENS1_30default_config_static_selectorELNS0_4arch9wavefront6targetE0EEEvT1_
	.globl	_ZN7rocprim17ROCPRIM_400000_NS6detail17trampoline_kernelINS0_14default_configENS1_27scan_by_key_config_selectorIiiEEZZNS1_16scan_by_key_implILNS1_25lookback_scan_determinismE0ELb1ES3_N6thrust23THRUST_200600_302600_NS6detail15normal_iteratorINS9_10device_ptrIiEEEENSB_INSC_IjEEEENSB_INSC_IfEEEEiNS9_4plusIvEENS9_8equal_toIvEEiEE10hipError_tPvRmT2_T3_T4_T5_mT6_T7_P12ihipStream_tbENKUlT_T0_E_clISt17integral_constantIbLb0EES12_IbLb1EEEEDaSY_SZ_EUlSY_E_NS1_11comp_targetILNS1_3genE9ELNS1_11target_archE1100ELNS1_3gpuE3ELNS1_3repE0EEENS1_30default_config_static_selectorELNS0_4arch9wavefront6targetE0EEEvT1_
	.p2align	8
	.type	_ZN7rocprim17ROCPRIM_400000_NS6detail17trampoline_kernelINS0_14default_configENS1_27scan_by_key_config_selectorIiiEEZZNS1_16scan_by_key_implILNS1_25lookback_scan_determinismE0ELb1ES3_N6thrust23THRUST_200600_302600_NS6detail15normal_iteratorINS9_10device_ptrIiEEEENSB_INSC_IjEEEENSB_INSC_IfEEEEiNS9_4plusIvEENS9_8equal_toIvEEiEE10hipError_tPvRmT2_T3_T4_T5_mT6_T7_P12ihipStream_tbENKUlT_T0_E_clISt17integral_constantIbLb0EES12_IbLb1EEEEDaSY_SZ_EUlSY_E_NS1_11comp_targetILNS1_3genE9ELNS1_11target_archE1100ELNS1_3gpuE3ELNS1_3repE0EEENS1_30default_config_static_selectorELNS0_4arch9wavefront6targetE0EEEvT1_,@function
_ZN7rocprim17ROCPRIM_400000_NS6detail17trampoline_kernelINS0_14default_configENS1_27scan_by_key_config_selectorIiiEEZZNS1_16scan_by_key_implILNS1_25lookback_scan_determinismE0ELb1ES3_N6thrust23THRUST_200600_302600_NS6detail15normal_iteratorINS9_10device_ptrIiEEEENSB_INSC_IjEEEENSB_INSC_IfEEEEiNS9_4plusIvEENS9_8equal_toIvEEiEE10hipError_tPvRmT2_T3_T4_T5_mT6_T7_P12ihipStream_tbENKUlT_T0_E_clISt17integral_constantIbLb0EES12_IbLb1EEEEDaSY_SZ_EUlSY_E_NS1_11comp_targetILNS1_3genE9ELNS1_11target_archE1100ELNS1_3gpuE3ELNS1_3repE0EEENS1_30default_config_static_selectorELNS0_4arch9wavefront6targetE0EEEvT1_: ; @_ZN7rocprim17ROCPRIM_400000_NS6detail17trampoline_kernelINS0_14default_configENS1_27scan_by_key_config_selectorIiiEEZZNS1_16scan_by_key_implILNS1_25lookback_scan_determinismE0ELb1ES3_N6thrust23THRUST_200600_302600_NS6detail15normal_iteratorINS9_10device_ptrIiEEEENSB_INSC_IjEEEENSB_INSC_IfEEEEiNS9_4plusIvEENS9_8equal_toIvEEiEE10hipError_tPvRmT2_T3_T4_T5_mT6_T7_P12ihipStream_tbENKUlT_T0_E_clISt17integral_constantIbLb0EES12_IbLb1EEEEDaSY_SZ_EUlSY_E_NS1_11comp_targetILNS1_3genE9ELNS1_11target_archE1100ELNS1_3gpuE3ELNS1_3repE0EEENS1_30default_config_static_selectorELNS0_4arch9wavefront6targetE0EEEvT1_
; %bb.0:
	.section	.rodata,"a",@progbits
	.p2align	6, 0x0
	.amdhsa_kernel _ZN7rocprim17ROCPRIM_400000_NS6detail17trampoline_kernelINS0_14default_configENS1_27scan_by_key_config_selectorIiiEEZZNS1_16scan_by_key_implILNS1_25lookback_scan_determinismE0ELb1ES3_N6thrust23THRUST_200600_302600_NS6detail15normal_iteratorINS9_10device_ptrIiEEEENSB_INSC_IjEEEENSB_INSC_IfEEEEiNS9_4plusIvEENS9_8equal_toIvEEiEE10hipError_tPvRmT2_T3_T4_T5_mT6_T7_P12ihipStream_tbENKUlT_T0_E_clISt17integral_constantIbLb0EES12_IbLb1EEEEDaSY_SZ_EUlSY_E_NS1_11comp_targetILNS1_3genE9ELNS1_11target_archE1100ELNS1_3gpuE3ELNS1_3repE0EEENS1_30default_config_static_selectorELNS0_4arch9wavefront6targetE0EEEvT1_
		.amdhsa_group_segment_fixed_size 0
		.amdhsa_private_segment_fixed_size 0
		.amdhsa_kernarg_size 112
		.amdhsa_user_sgpr_count 6
		.amdhsa_user_sgpr_private_segment_buffer 1
		.amdhsa_user_sgpr_dispatch_ptr 0
		.amdhsa_user_sgpr_queue_ptr 0
		.amdhsa_user_sgpr_kernarg_segment_ptr 1
		.amdhsa_user_sgpr_dispatch_id 0
		.amdhsa_user_sgpr_flat_scratch_init 0
		.amdhsa_user_sgpr_private_segment_size 0
		.amdhsa_wavefront_size32 1
		.amdhsa_uses_dynamic_stack 0
		.amdhsa_system_sgpr_private_segment_wavefront_offset 0
		.amdhsa_system_sgpr_workgroup_id_x 1
		.amdhsa_system_sgpr_workgroup_id_y 0
		.amdhsa_system_sgpr_workgroup_id_z 0
		.amdhsa_system_sgpr_workgroup_info 0
		.amdhsa_system_vgpr_workitem_id 0
		.amdhsa_next_free_vgpr 1
		.amdhsa_next_free_sgpr 1
		.amdhsa_reserve_vcc 0
		.amdhsa_reserve_flat_scratch 0
		.amdhsa_float_round_mode_32 0
		.amdhsa_float_round_mode_16_64 0
		.amdhsa_float_denorm_mode_32 3
		.amdhsa_float_denorm_mode_16_64 3
		.amdhsa_dx10_clamp 1
		.amdhsa_ieee_mode 1
		.amdhsa_fp16_overflow 0
		.amdhsa_workgroup_processor_mode 1
		.amdhsa_memory_ordered 1
		.amdhsa_forward_progress 1
		.amdhsa_shared_vgpr_count 0
		.amdhsa_exception_fp_ieee_invalid_op 0
		.amdhsa_exception_fp_denorm_src 0
		.amdhsa_exception_fp_ieee_div_zero 0
		.amdhsa_exception_fp_ieee_overflow 0
		.amdhsa_exception_fp_ieee_underflow 0
		.amdhsa_exception_fp_ieee_inexact 0
		.amdhsa_exception_int_div_zero 0
	.end_amdhsa_kernel
	.section	.text._ZN7rocprim17ROCPRIM_400000_NS6detail17trampoline_kernelINS0_14default_configENS1_27scan_by_key_config_selectorIiiEEZZNS1_16scan_by_key_implILNS1_25lookback_scan_determinismE0ELb1ES3_N6thrust23THRUST_200600_302600_NS6detail15normal_iteratorINS9_10device_ptrIiEEEENSB_INSC_IjEEEENSB_INSC_IfEEEEiNS9_4plusIvEENS9_8equal_toIvEEiEE10hipError_tPvRmT2_T3_T4_T5_mT6_T7_P12ihipStream_tbENKUlT_T0_E_clISt17integral_constantIbLb0EES12_IbLb1EEEEDaSY_SZ_EUlSY_E_NS1_11comp_targetILNS1_3genE9ELNS1_11target_archE1100ELNS1_3gpuE3ELNS1_3repE0EEENS1_30default_config_static_selectorELNS0_4arch9wavefront6targetE0EEEvT1_,"axG",@progbits,_ZN7rocprim17ROCPRIM_400000_NS6detail17trampoline_kernelINS0_14default_configENS1_27scan_by_key_config_selectorIiiEEZZNS1_16scan_by_key_implILNS1_25lookback_scan_determinismE0ELb1ES3_N6thrust23THRUST_200600_302600_NS6detail15normal_iteratorINS9_10device_ptrIiEEEENSB_INSC_IjEEEENSB_INSC_IfEEEEiNS9_4plusIvEENS9_8equal_toIvEEiEE10hipError_tPvRmT2_T3_T4_T5_mT6_T7_P12ihipStream_tbENKUlT_T0_E_clISt17integral_constantIbLb0EES12_IbLb1EEEEDaSY_SZ_EUlSY_E_NS1_11comp_targetILNS1_3genE9ELNS1_11target_archE1100ELNS1_3gpuE3ELNS1_3repE0EEENS1_30default_config_static_selectorELNS0_4arch9wavefront6targetE0EEEvT1_,comdat
.Lfunc_end1750:
	.size	_ZN7rocprim17ROCPRIM_400000_NS6detail17trampoline_kernelINS0_14default_configENS1_27scan_by_key_config_selectorIiiEEZZNS1_16scan_by_key_implILNS1_25lookback_scan_determinismE0ELb1ES3_N6thrust23THRUST_200600_302600_NS6detail15normal_iteratorINS9_10device_ptrIiEEEENSB_INSC_IjEEEENSB_INSC_IfEEEEiNS9_4plusIvEENS9_8equal_toIvEEiEE10hipError_tPvRmT2_T3_T4_T5_mT6_T7_P12ihipStream_tbENKUlT_T0_E_clISt17integral_constantIbLb0EES12_IbLb1EEEEDaSY_SZ_EUlSY_E_NS1_11comp_targetILNS1_3genE9ELNS1_11target_archE1100ELNS1_3gpuE3ELNS1_3repE0EEENS1_30default_config_static_selectorELNS0_4arch9wavefront6targetE0EEEvT1_, .Lfunc_end1750-_ZN7rocprim17ROCPRIM_400000_NS6detail17trampoline_kernelINS0_14default_configENS1_27scan_by_key_config_selectorIiiEEZZNS1_16scan_by_key_implILNS1_25lookback_scan_determinismE0ELb1ES3_N6thrust23THRUST_200600_302600_NS6detail15normal_iteratorINS9_10device_ptrIiEEEENSB_INSC_IjEEEENSB_INSC_IfEEEEiNS9_4plusIvEENS9_8equal_toIvEEiEE10hipError_tPvRmT2_T3_T4_T5_mT6_T7_P12ihipStream_tbENKUlT_T0_E_clISt17integral_constantIbLb0EES12_IbLb1EEEEDaSY_SZ_EUlSY_E_NS1_11comp_targetILNS1_3genE9ELNS1_11target_archE1100ELNS1_3gpuE3ELNS1_3repE0EEENS1_30default_config_static_selectorELNS0_4arch9wavefront6targetE0EEEvT1_
                                        ; -- End function
	.set _ZN7rocprim17ROCPRIM_400000_NS6detail17trampoline_kernelINS0_14default_configENS1_27scan_by_key_config_selectorIiiEEZZNS1_16scan_by_key_implILNS1_25lookback_scan_determinismE0ELb1ES3_N6thrust23THRUST_200600_302600_NS6detail15normal_iteratorINS9_10device_ptrIiEEEENSB_INSC_IjEEEENSB_INSC_IfEEEEiNS9_4plusIvEENS9_8equal_toIvEEiEE10hipError_tPvRmT2_T3_T4_T5_mT6_T7_P12ihipStream_tbENKUlT_T0_E_clISt17integral_constantIbLb0EES12_IbLb1EEEEDaSY_SZ_EUlSY_E_NS1_11comp_targetILNS1_3genE9ELNS1_11target_archE1100ELNS1_3gpuE3ELNS1_3repE0EEENS1_30default_config_static_selectorELNS0_4arch9wavefront6targetE0EEEvT1_.num_vgpr, 0
	.set _ZN7rocprim17ROCPRIM_400000_NS6detail17trampoline_kernelINS0_14default_configENS1_27scan_by_key_config_selectorIiiEEZZNS1_16scan_by_key_implILNS1_25lookback_scan_determinismE0ELb1ES3_N6thrust23THRUST_200600_302600_NS6detail15normal_iteratorINS9_10device_ptrIiEEEENSB_INSC_IjEEEENSB_INSC_IfEEEEiNS9_4plusIvEENS9_8equal_toIvEEiEE10hipError_tPvRmT2_T3_T4_T5_mT6_T7_P12ihipStream_tbENKUlT_T0_E_clISt17integral_constantIbLb0EES12_IbLb1EEEEDaSY_SZ_EUlSY_E_NS1_11comp_targetILNS1_3genE9ELNS1_11target_archE1100ELNS1_3gpuE3ELNS1_3repE0EEENS1_30default_config_static_selectorELNS0_4arch9wavefront6targetE0EEEvT1_.num_agpr, 0
	.set _ZN7rocprim17ROCPRIM_400000_NS6detail17trampoline_kernelINS0_14default_configENS1_27scan_by_key_config_selectorIiiEEZZNS1_16scan_by_key_implILNS1_25lookback_scan_determinismE0ELb1ES3_N6thrust23THRUST_200600_302600_NS6detail15normal_iteratorINS9_10device_ptrIiEEEENSB_INSC_IjEEEENSB_INSC_IfEEEEiNS9_4plusIvEENS9_8equal_toIvEEiEE10hipError_tPvRmT2_T3_T4_T5_mT6_T7_P12ihipStream_tbENKUlT_T0_E_clISt17integral_constantIbLb0EES12_IbLb1EEEEDaSY_SZ_EUlSY_E_NS1_11comp_targetILNS1_3genE9ELNS1_11target_archE1100ELNS1_3gpuE3ELNS1_3repE0EEENS1_30default_config_static_selectorELNS0_4arch9wavefront6targetE0EEEvT1_.numbered_sgpr, 0
	.set _ZN7rocprim17ROCPRIM_400000_NS6detail17trampoline_kernelINS0_14default_configENS1_27scan_by_key_config_selectorIiiEEZZNS1_16scan_by_key_implILNS1_25lookback_scan_determinismE0ELb1ES3_N6thrust23THRUST_200600_302600_NS6detail15normal_iteratorINS9_10device_ptrIiEEEENSB_INSC_IjEEEENSB_INSC_IfEEEEiNS9_4plusIvEENS9_8equal_toIvEEiEE10hipError_tPvRmT2_T3_T4_T5_mT6_T7_P12ihipStream_tbENKUlT_T0_E_clISt17integral_constantIbLb0EES12_IbLb1EEEEDaSY_SZ_EUlSY_E_NS1_11comp_targetILNS1_3genE9ELNS1_11target_archE1100ELNS1_3gpuE3ELNS1_3repE0EEENS1_30default_config_static_selectorELNS0_4arch9wavefront6targetE0EEEvT1_.num_named_barrier, 0
	.set _ZN7rocprim17ROCPRIM_400000_NS6detail17trampoline_kernelINS0_14default_configENS1_27scan_by_key_config_selectorIiiEEZZNS1_16scan_by_key_implILNS1_25lookback_scan_determinismE0ELb1ES3_N6thrust23THRUST_200600_302600_NS6detail15normal_iteratorINS9_10device_ptrIiEEEENSB_INSC_IjEEEENSB_INSC_IfEEEEiNS9_4plusIvEENS9_8equal_toIvEEiEE10hipError_tPvRmT2_T3_T4_T5_mT6_T7_P12ihipStream_tbENKUlT_T0_E_clISt17integral_constantIbLb0EES12_IbLb1EEEEDaSY_SZ_EUlSY_E_NS1_11comp_targetILNS1_3genE9ELNS1_11target_archE1100ELNS1_3gpuE3ELNS1_3repE0EEENS1_30default_config_static_selectorELNS0_4arch9wavefront6targetE0EEEvT1_.private_seg_size, 0
	.set _ZN7rocprim17ROCPRIM_400000_NS6detail17trampoline_kernelINS0_14default_configENS1_27scan_by_key_config_selectorIiiEEZZNS1_16scan_by_key_implILNS1_25lookback_scan_determinismE0ELb1ES3_N6thrust23THRUST_200600_302600_NS6detail15normal_iteratorINS9_10device_ptrIiEEEENSB_INSC_IjEEEENSB_INSC_IfEEEEiNS9_4plusIvEENS9_8equal_toIvEEiEE10hipError_tPvRmT2_T3_T4_T5_mT6_T7_P12ihipStream_tbENKUlT_T0_E_clISt17integral_constantIbLb0EES12_IbLb1EEEEDaSY_SZ_EUlSY_E_NS1_11comp_targetILNS1_3genE9ELNS1_11target_archE1100ELNS1_3gpuE3ELNS1_3repE0EEENS1_30default_config_static_selectorELNS0_4arch9wavefront6targetE0EEEvT1_.uses_vcc, 0
	.set _ZN7rocprim17ROCPRIM_400000_NS6detail17trampoline_kernelINS0_14default_configENS1_27scan_by_key_config_selectorIiiEEZZNS1_16scan_by_key_implILNS1_25lookback_scan_determinismE0ELb1ES3_N6thrust23THRUST_200600_302600_NS6detail15normal_iteratorINS9_10device_ptrIiEEEENSB_INSC_IjEEEENSB_INSC_IfEEEEiNS9_4plusIvEENS9_8equal_toIvEEiEE10hipError_tPvRmT2_T3_T4_T5_mT6_T7_P12ihipStream_tbENKUlT_T0_E_clISt17integral_constantIbLb0EES12_IbLb1EEEEDaSY_SZ_EUlSY_E_NS1_11comp_targetILNS1_3genE9ELNS1_11target_archE1100ELNS1_3gpuE3ELNS1_3repE0EEENS1_30default_config_static_selectorELNS0_4arch9wavefront6targetE0EEEvT1_.uses_flat_scratch, 0
	.set _ZN7rocprim17ROCPRIM_400000_NS6detail17trampoline_kernelINS0_14default_configENS1_27scan_by_key_config_selectorIiiEEZZNS1_16scan_by_key_implILNS1_25lookback_scan_determinismE0ELb1ES3_N6thrust23THRUST_200600_302600_NS6detail15normal_iteratorINS9_10device_ptrIiEEEENSB_INSC_IjEEEENSB_INSC_IfEEEEiNS9_4plusIvEENS9_8equal_toIvEEiEE10hipError_tPvRmT2_T3_T4_T5_mT6_T7_P12ihipStream_tbENKUlT_T0_E_clISt17integral_constantIbLb0EES12_IbLb1EEEEDaSY_SZ_EUlSY_E_NS1_11comp_targetILNS1_3genE9ELNS1_11target_archE1100ELNS1_3gpuE3ELNS1_3repE0EEENS1_30default_config_static_selectorELNS0_4arch9wavefront6targetE0EEEvT1_.has_dyn_sized_stack, 0
	.set _ZN7rocprim17ROCPRIM_400000_NS6detail17trampoline_kernelINS0_14default_configENS1_27scan_by_key_config_selectorIiiEEZZNS1_16scan_by_key_implILNS1_25lookback_scan_determinismE0ELb1ES3_N6thrust23THRUST_200600_302600_NS6detail15normal_iteratorINS9_10device_ptrIiEEEENSB_INSC_IjEEEENSB_INSC_IfEEEEiNS9_4plusIvEENS9_8equal_toIvEEiEE10hipError_tPvRmT2_T3_T4_T5_mT6_T7_P12ihipStream_tbENKUlT_T0_E_clISt17integral_constantIbLb0EES12_IbLb1EEEEDaSY_SZ_EUlSY_E_NS1_11comp_targetILNS1_3genE9ELNS1_11target_archE1100ELNS1_3gpuE3ELNS1_3repE0EEENS1_30default_config_static_selectorELNS0_4arch9wavefront6targetE0EEEvT1_.has_recursion, 0
	.set _ZN7rocprim17ROCPRIM_400000_NS6detail17trampoline_kernelINS0_14default_configENS1_27scan_by_key_config_selectorIiiEEZZNS1_16scan_by_key_implILNS1_25lookback_scan_determinismE0ELb1ES3_N6thrust23THRUST_200600_302600_NS6detail15normal_iteratorINS9_10device_ptrIiEEEENSB_INSC_IjEEEENSB_INSC_IfEEEEiNS9_4plusIvEENS9_8equal_toIvEEiEE10hipError_tPvRmT2_T3_T4_T5_mT6_T7_P12ihipStream_tbENKUlT_T0_E_clISt17integral_constantIbLb0EES12_IbLb1EEEEDaSY_SZ_EUlSY_E_NS1_11comp_targetILNS1_3genE9ELNS1_11target_archE1100ELNS1_3gpuE3ELNS1_3repE0EEENS1_30default_config_static_selectorELNS0_4arch9wavefront6targetE0EEEvT1_.has_indirect_call, 0
	.section	.AMDGPU.csdata,"",@progbits
; Kernel info:
; codeLenInByte = 0
; TotalNumSgprs: 0
; NumVgprs: 0
; ScratchSize: 0
; MemoryBound: 0
; FloatMode: 240
; IeeeMode: 1
; LDSByteSize: 0 bytes/workgroup (compile time only)
; SGPRBlocks: 0
; VGPRBlocks: 0
; NumSGPRsForWavesPerEU: 1
; NumVGPRsForWavesPerEU: 1
; Occupancy: 16
; WaveLimiterHint : 0
; COMPUTE_PGM_RSRC2:SCRATCH_EN: 0
; COMPUTE_PGM_RSRC2:USER_SGPR: 6
; COMPUTE_PGM_RSRC2:TRAP_HANDLER: 0
; COMPUTE_PGM_RSRC2:TGID_X_EN: 1
; COMPUTE_PGM_RSRC2:TGID_Y_EN: 0
; COMPUTE_PGM_RSRC2:TGID_Z_EN: 0
; COMPUTE_PGM_RSRC2:TIDIG_COMP_CNT: 0
	.section	.text._ZN7rocprim17ROCPRIM_400000_NS6detail17trampoline_kernelINS0_14default_configENS1_27scan_by_key_config_selectorIiiEEZZNS1_16scan_by_key_implILNS1_25lookback_scan_determinismE0ELb1ES3_N6thrust23THRUST_200600_302600_NS6detail15normal_iteratorINS9_10device_ptrIiEEEENSB_INSC_IjEEEENSB_INSC_IfEEEEiNS9_4plusIvEENS9_8equal_toIvEEiEE10hipError_tPvRmT2_T3_T4_T5_mT6_T7_P12ihipStream_tbENKUlT_T0_E_clISt17integral_constantIbLb0EES12_IbLb1EEEEDaSY_SZ_EUlSY_E_NS1_11comp_targetILNS1_3genE8ELNS1_11target_archE1030ELNS1_3gpuE2ELNS1_3repE0EEENS1_30default_config_static_selectorELNS0_4arch9wavefront6targetE0EEEvT1_,"axG",@progbits,_ZN7rocprim17ROCPRIM_400000_NS6detail17trampoline_kernelINS0_14default_configENS1_27scan_by_key_config_selectorIiiEEZZNS1_16scan_by_key_implILNS1_25lookback_scan_determinismE0ELb1ES3_N6thrust23THRUST_200600_302600_NS6detail15normal_iteratorINS9_10device_ptrIiEEEENSB_INSC_IjEEEENSB_INSC_IfEEEEiNS9_4plusIvEENS9_8equal_toIvEEiEE10hipError_tPvRmT2_T3_T4_T5_mT6_T7_P12ihipStream_tbENKUlT_T0_E_clISt17integral_constantIbLb0EES12_IbLb1EEEEDaSY_SZ_EUlSY_E_NS1_11comp_targetILNS1_3genE8ELNS1_11target_archE1030ELNS1_3gpuE2ELNS1_3repE0EEENS1_30default_config_static_selectorELNS0_4arch9wavefront6targetE0EEEvT1_,comdat
	.protected	_ZN7rocprim17ROCPRIM_400000_NS6detail17trampoline_kernelINS0_14default_configENS1_27scan_by_key_config_selectorIiiEEZZNS1_16scan_by_key_implILNS1_25lookback_scan_determinismE0ELb1ES3_N6thrust23THRUST_200600_302600_NS6detail15normal_iteratorINS9_10device_ptrIiEEEENSB_INSC_IjEEEENSB_INSC_IfEEEEiNS9_4plusIvEENS9_8equal_toIvEEiEE10hipError_tPvRmT2_T3_T4_T5_mT6_T7_P12ihipStream_tbENKUlT_T0_E_clISt17integral_constantIbLb0EES12_IbLb1EEEEDaSY_SZ_EUlSY_E_NS1_11comp_targetILNS1_3genE8ELNS1_11target_archE1030ELNS1_3gpuE2ELNS1_3repE0EEENS1_30default_config_static_selectorELNS0_4arch9wavefront6targetE0EEEvT1_ ; -- Begin function _ZN7rocprim17ROCPRIM_400000_NS6detail17trampoline_kernelINS0_14default_configENS1_27scan_by_key_config_selectorIiiEEZZNS1_16scan_by_key_implILNS1_25lookback_scan_determinismE0ELb1ES3_N6thrust23THRUST_200600_302600_NS6detail15normal_iteratorINS9_10device_ptrIiEEEENSB_INSC_IjEEEENSB_INSC_IfEEEEiNS9_4plusIvEENS9_8equal_toIvEEiEE10hipError_tPvRmT2_T3_T4_T5_mT6_T7_P12ihipStream_tbENKUlT_T0_E_clISt17integral_constantIbLb0EES12_IbLb1EEEEDaSY_SZ_EUlSY_E_NS1_11comp_targetILNS1_3genE8ELNS1_11target_archE1030ELNS1_3gpuE2ELNS1_3repE0EEENS1_30default_config_static_selectorELNS0_4arch9wavefront6targetE0EEEvT1_
	.globl	_ZN7rocprim17ROCPRIM_400000_NS6detail17trampoline_kernelINS0_14default_configENS1_27scan_by_key_config_selectorIiiEEZZNS1_16scan_by_key_implILNS1_25lookback_scan_determinismE0ELb1ES3_N6thrust23THRUST_200600_302600_NS6detail15normal_iteratorINS9_10device_ptrIiEEEENSB_INSC_IjEEEENSB_INSC_IfEEEEiNS9_4plusIvEENS9_8equal_toIvEEiEE10hipError_tPvRmT2_T3_T4_T5_mT6_T7_P12ihipStream_tbENKUlT_T0_E_clISt17integral_constantIbLb0EES12_IbLb1EEEEDaSY_SZ_EUlSY_E_NS1_11comp_targetILNS1_3genE8ELNS1_11target_archE1030ELNS1_3gpuE2ELNS1_3repE0EEENS1_30default_config_static_selectorELNS0_4arch9wavefront6targetE0EEEvT1_
	.p2align	8
	.type	_ZN7rocprim17ROCPRIM_400000_NS6detail17trampoline_kernelINS0_14default_configENS1_27scan_by_key_config_selectorIiiEEZZNS1_16scan_by_key_implILNS1_25lookback_scan_determinismE0ELb1ES3_N6thrust23THRUST_200600_302600_NS6detail15normal_iteratorINS9_10device_ptrIiEEEENSB_INSC_IjEEEENSB_INSC_IfEEEEiNS9_4plusIvEENS9_8equal_toIvEEiEE10hipError_tPvRmT2_T3_T4_T5_mT6_T7_P12ihipStream_tbENKUlT_T0_E_clISt17integral_constantIbLb0EES12_IbLb1EEEEDaSY_SZ_EUlSY_E_NS1_11comp_targetILNS1_3genE8ELNS1_11target_archE1030ELNS1_3gpuE2ELNS1_3repE0EEENS1_30default_config_static_selectorELNS0_4arch9wavefront6targetE0EEEvT1_,@function
_ZN7rocprim17ROCPRIM_400000_NS6detail17trampoline_kernelINS0_14default_configENS1_27scan_by_key_config_selectorIiiEEZZNS1_16scan_by_key_implILNS1_25lookback_scan_determinismE0ELb1ES3_N6thrust23THRUST_200600_302600_NS6detail15normal_iteratorINS9_10device_ptrIiEEEENSB_INSC_IjEEEENSB_INSC_IfEEEEiNS9_4plusIvEENS9_8equal_toIvEEiEE10hipError_tPvRmT2_T3_T4_T5_mT6_T7_P12ihipStream_tbENKUlT_T0_E_clISt17integral_constantIbLb0EES12_IbLb1EEEEDaSY_SZ_EUlSY_E_NS1_11comp_targetILNS1_3genE8ELNS1_11target_archE1030ELNS1_3gpuE2ELNS1_3repE0EEENS1_30default_config_static_selectorELNS0_4arch9wavefront6targetE0EEEvT1_: ; @_ZN7rocprim17ROCPRIM_400000_NS6detail17trampoline_kernelINS0_14default_configENS1_27scan_by_key_config_selectorIiiEEZZNS1_16scan_by_key_implILNS1_25lookback_scan_determinismE0ELb1ES3_N6thrust23THRUST_200600_302600_NS6detail15normal_iteratorINS9_10device_ptrIiEEEENSB_INSC_IjEEEENSB_INSC_IfEEEEiNS9_4plusIvEENS9_8equal_toIvEEiEE10hipError_tPvRmT2_T3_T4_T5_mT6_T7_P12ihipStream_tbENKUlT_T0_E_clISt17integral_constantIbLb0EES12_IbLb1EEEEDaSY_SZ_EUlSY_E_NS1_11comp_targetILNS1_3genE8ELNS1_11target_archE1030ELNS1_3gpuE2ELNS1_3repE0EEENS1_30default_config_static_selectorELNS0_4arch9wavefront6targetE0EEEvT1_
; %bb.0:
	s_clause 0x2
	s_load_dword s22, s[4:5], 0x20
	s_load_dwordx4 s[16:19], s[4:5], 0x28
	s_load_dwordx2 s[20:21], s[4:5], 0x38
	v_cmp_eq_u32_e64 s0, 0, v0
	s_and_saveexec_b32 s1, s0
	s_cbranch_execz .LBB1751_4
; %bb.1:
	s_mov_b32 s3, exec_lo
	s_mov_b32 s2, exec_lo
	v_mbcnt_lo_u32_b32 v1, s3, 0
                                        ; implicit-def: $vgpr2
	v_cmpx_eq_u32_e32 0, v1
	s_cbranch_execz .LBB1751_3
; %bb.2:
	s_load_dwordx2 s[6:7], s[4:5], 0x68
	s_bcnt1_i32_b32 s3, s3
	v_mov_b32_e32 v2, 0
	v_mov_b32_e32 v3, s3
	s_waitcnt lgkmcnt(0)
	global_atomic_add v2, v2, v3, s[6:7] glc
.LBB1751_3:
	s_or_b32 exec_lo, exec_lo, s2
	s_waitcnt vmcnt(0)
	v_readfirstlane_b32 s2, v2
	v_mov_b32_e32 v2, 0
	v_add_nc_u32_e32 v1, s2, v1
	ds_write_b32 v2, v1
.LBB1751_4:
	s_or_b32 exec_lo, exec_lo, s1
	v_mov_b32_e32 v2, 0
	s_clause 0x2
	s_load_dwordx8 s[8:15], s[4:5], 0x0
	s_load_dword s1, s[4:5], 0x40
	s_load_dwordx4 s[4:7], s[4:5], 0x48
	s_waitcnt lgkmcnt(0)
	s_barrier
	buffer_gl0_inv
	ds_read_b32 v5, v2
	s_waitcnt lgkmcnt(0)
	s_barrier
	buffer_gl0_inv
	s_barrier
	buffer_gl0_inv
	s_lshl_b64 s[10:11], s[10:11], 2
	s_mul_i32 s2, s21, s1
	s_add_u32 s8, s8, s10
	s_mul_hi_u32 s3, s20, s1
	s_mul_i32 s1, s20, s1
	s_addc_u32 s9, s9, s11
	v_mul_lo_u32 v1, 0x300, v5
	s_add_u32 s12, s12, s10
	s_addc_u32 s19, s13, s11
	s_add_i32 s3, s3, s2
	v_add_co_u32 v3, s1, s1, v5
	v_add_co_ci_u32_e64 v4, null, s3, 0, s1
	v_lshlrev_b64 v[9:10], 2, v[1:2]
	s_add_u32 s2, s4, -1
	s_addc_u32 s3, s5, -1
	v_readfirstlane_b32 s13, v5
	v_cmp_le_u64_e64 s1, s[2:3], v[3:4]
	v_add_co_u32 v4, vcc_lo, s8, v9
	v_add_co_ci_u32_e64 v5, null, s9, v10, vcc_lo
	v_add_co_u32 v8, vcc_lo, s12, v9
	v_add_co_ci_u32_e64 v15, null, s19, v10, vcc_lo
	s_and_b32 vcc_lo, exec_lo, s1
	s_mul_i32 s12, s2, 0xfffffd00
	s_cbranch_vccz .LBB1751_24
; %bb.5:
	flat_load_dword v1, v[4:5]
	s_add_i32 s5, s12, s18
	v_cmp_gt_u32_e32 vcc_lo, s5, v0
	s_waitcnt vmcnt(0) lgkmcnt(0)
	v_mov_b32_e32 v2, v1
	s_and_saveexec_b32 s3, vcc_lo
	s_cbranch_execz .LBB1751_7
; %bb.6:
	v_lshlrev_b32_e32 v2, 2, v0
	v_add_co_u32 v2, s2, v4, v2
	v_add_co_ci_u32_e64 v3, null, 0, v5, s2
	flat_load_dword v2, v[2:3]
.LBB1751_7:
	s_or_b32 exec_lo, exec_lo, s3
	v_or_b32_e32 v3, 0x100, v0
	v_cmp_gt_u32_e64 s2, s5, v3
	v_mov_b32_e32 v3, v1
	s_and_saveexec_b32 s4, s2
	s_cbranch_execz .LBB1751_9
; %bb.8:
	v_lshlrev_b32_e32 v3, 2, v0
	v_add_co_u32 v6, s3, v4, v3
	v_add_co_ci_u32_e64 v7, null, 0, v5, s3
	flat_load_dword v3, v[6:7] offset:1024
.LBB1751_9:
	s_or_b32 exec_lo, exec_lo, s4
	v_or_b32_e32 v6, 0x200, v0
	v_cmp_gt_u32_e64 s3, s5, v6
	v_lshlrev_b32_e32 v11, 2, v6
	s_and_saveexec_b32 s8, s3
	s_cbranch_execz .LBB1751_11
; %bb.10:
	v_add_co_u32 v6, s4, v4, v11
	v_add_co_ci_u32_e64 v7, null, 0, v5, s4
	flat_load_dword v1, v[6:7]
.LBB1751_11:
	s_or_b32 exec_lo, exec_lo, s8
	v_lshlrev_b32_e32 v12, 2, v0
	s_mov_b32 s8, exec_lo
	s_waitcnt vmcnt(0) lgkmcnt(0)
	ds_write2st64_b32 v12, v2, v3 offset1:4
	ds_write_b32 v12, v1 offset:2048
	s_waitcnt lgkmcnt(0)
	s_barrier
	buffer_gl0_inv
	flat_load_dword v16, v[4:5]
	v_lshlrev_b32_e32 v1, 3, v0
	v_add_nc_u32_e32 v17, v12, v1
	ds_read_b32 v18, v17
	ds_read2_b32 v[6:7], v17 offset0:1 offset1:2
	s_waitcnt lgkmcnt(1)
	ds_write_b32 v12, v18 offset:4096
	s_waitcnt vmcnt(0) lgkmcnt(0)
	s_barrier
	buffer_gl0_inv
	v_cmpx_ne_u32_e32 0xff, v0
; %bb.12:
	v_sub_nc_u32_e32 v1, 0, v1
	v_add_nc_u32_e32 v1, v17, v1
	ds_read_b32 v16, v1 offset:4100
; %bb.13:
	s_or_b32 exec_lo, exec_lo, s8
	v_mov_b32_e32 v1, 0
	s_waitcnt lgkmcnt(0)
	s_barrier
	buffer_gl0_inv
	v_mov_b32_e32 v2, v1
	v_mov_b32_e32 v3, v1
	s_and_saveexec_b32 s4, vcc_lo
	s_cbranch_execnz .LBB1751_94
; %bb.14:
	s_or_b32 exec_lo, exec_lo, s4
	s_and_saveexec_b32 s4, s2
	s_cbranch_execnz .LBB1751_95
.LBB1751_15:
	s_or_b32 exec_lo, exec_lo, s4
	v_mul_u32_u24_e32 v19, 3, v0
	s_and_saveexec_b32 s2, s3
	s_cbranch_execz .LBB1751_17
.LBB1751_16:
	v_add_co_u32 v13, vcc_lo, v8, v11
	v_add_co_ci_u32_e64 v14, null, 0, v15, vcc_lo
	flat_load_dword v3, v[13:14]
.LBB1751_17:
	s_or_b32 exec_lo, exec_lo, s2
	s_waitcnt vmcnt(0) lgkmcnt(0)
	ds_write2st64_b32 v12, v1, v2 offset1:4
	ds_write_b32 v12, v3 offset:2048
	v_mov_b32_e32 v11, 0
	v_mov_b32_e32 v1, 0
	;; [unrolled: 1-line block ×6, first 2 shown]
	s_mov_b32 s3, 0
	s_mov_b32 s8, 0
	s_mov_b32 s4, exec_lo
	s_waitcnt lgkmcnt(0)
	s_barrier
	buffer_gl0_inv
                                        ; implicit-def: $sgpr2
                                        ; implicit-def: $vgpr3
	v_cmpx_gt_u32_e64 s5, v19
	s_cbranch_execz .LBB1751_23
; %bb.18:
	ds_read_b32 v3, v17
	v_cmp_ne_u32_e32 vcc_lo, v18, v6
	v_mov_b32_e32 v1, 0
	v_add_nc_u32_e32 v13, 1, v19
	v_mov_b32_e32 v2, 0
	s_mov_b32 s9, 0
	v_cndmask_b32_e64 v12, 0, 1, vcc_lo
	v_cmp_eq_u32_e32 vcc_lo, v18, v6
	s_mov_b32 s8, exec_lo
                                        ; implicit-def: $sgpr2
	s_waitcnt lgkmcnt(0)
	v_cndmask_b32_e32 v11, s22, v3, vcc_lo
                                        ; implicit-def: $vgpr3
	v_cmpx_gt_u32_e64 s5, v13
	s_cbranch_execz .LBB1751_22
; %bb.19:
	ds_read2_b32 v[13:14], v17 offset0:1 offset1:2
	v_cmp_ne_u32_e32 vcc_lo, v6, v7
	v_add_nc_u32_e32 v3, 2, v19
                                        ; implicit-def: $sgpr2
	v_cndmask_b32_e64 v2, 0, 1, vcc_lo
	v_cmp_eq_u32_e32 vcc_lo, v6, v7
	s_waitcnt lgkmcnt(0)
	v_cndmask_b32_e32 v1, s22, v13, vcc_lo
	v_cmp_gt_u32_e32 vcc_lo, s5, v3
	s_mov_b32 s5, 0
                                        ; implicit-def: $vgpr3
	s_and_saveexec_b32 s9, vcc_lo
	s_xor_b32 s9, exec_lo, s9
; %bb.20:
	v_cmp_ne_u32_e64 s2, v7, v16
	s_mov_b32 s5, exec_lo
	v_cndmask_b32_e64 v3, v14, s22, s2
; %bb.21:
	s_or_b32 exec_lo, exec_lo, s9
	s_and_b32 s9, s5, exec_lo
.LBB1751_22:
	s_or_b32 exec_lo, exec_lo, s8
	v_mov_b32_e32 v14, v2
	v_mov_b32_e32 v13, v1
	s_and_b32 s8, s9, exec_lo
.LBB1751_23:
	s_or_b32 exec_lo, exec_lo, s4
	v_lshlrev_b32_e32 v20, 2, v0
	v_lshlrev_b32_e32 v21, 3, v0
	s_and_b32 vcc_lo, exec_lo, s3
	s_cbranch_vccnz .LBB1751_25
	s_branch .LBB1751_28
.LBB1751_24:
	s_mov_b32 s8, 0
                                        ; implicit-def: $sgpr2
                                        ; implicit-def: $vgpr3
                                        ; implicit-def: $vgpr11_vgpr12
                                        ; implicit-def: $vgpr1_vgpr2
                                        ; implicit-def: $vgpr13_vgpr14
	v_lshlrev_b32_e32 v20, 2, v0
	v_lshlrev_b32_e32 v21, 3, v0
	s_cbranch_execz .LBB1751_28
.LBB1751_25:
	v_add_co_u32 v1, vcc_lo, v4, v20
	v_add_co_ci_u32_e64 v2, null, 0, v5, vcc_lo
	s_mov_b32 s2, exec_lo
	v_add_co_u32 v6, vcc_lo, 0x800, v1
	v_add_co_ci_u32_e64 v7, null, 0, v2, vcc_lo
	s_clause 0x2
	flat_load_dword v3, v[1:2]
	flat_load_dword v11, v[1:2] offset:1024
	flat_load_dword v6, v[6:7]
	v_add_co_u32 v1, vcc_lo, 0x800, v4
	v_add_co_ci_u32_e64 v2, null, 0, v5, vcc_lo
	s_waitcnt vmcnt(1) lgkmcnt(1)
	ds_write2st64_b32 v20, v3, v11 offset1:4
	s_waitcnt vmcnt(0) lgkmcnt(1)
	ds_write_b32 v20, v6 offset:2048
	s_waitcnt lgkmcnt(0)
	s_barrier
	buffer_gl0_inv
	flat_load_dword v5, v[1:2] offset:1024
	v_add_nc_u32_e32 v1, v20, v21
	ds_read_b32 v6, v1
	ds_read2_b32 v[3:4], v1 offset0:1 offset1:2
	s_waitcnt lgkmcnt(1)
	ds_write_b32 v20, v6 offset:4096
	s_waitcnt vmcnt(0) lgkmcnt(0)
	s_barrier
	buffer_gl0_inv
	v_cmpx_ne_u32_e32 0xff, v0
; %bb.26:
	v_sub_nc_u32_e32 v2, 0, v21
	v_add_nc_u32_e32 v2, v1, v2
	ds_read_b32 v5, v2 offset:4100
; %bb.27:
	s_or_b32 exec_lo, exec_lo, s2
	v_add_co_u32 v7, vcc_lo, v8, v20
	v_add_co_ci_u32_e64 v8, null, 0, v15, vcc_lo
	s_waitcnt lgkmcnt(0)
	v_add_co_u32 v11, vcc_lo, 0x800, v7
	v_add_co_ci_u32_e64 v12, null, 0, v8, vcc_lo
	s_barrier
	buffer_gl0_inv
	s_clause 0x2
	flat_load_dword v2, v[7:8]
	flat_load_dword v7, v[7:8] offset:1024
	flat_load_dword v8, v[11:12]
	v_cmp_eq_u32_e32 vcc_lo, v6, v3
	v_cmp_ne_u32_e64 s2, v4, v5
	s_mov_b32 s8, -1
	s_waitcnt vmcnt(1) lgkmcnt(1)
	ds_write2st64_b32 v20, v2, v7 offset1:4
	s_waitcnt vmcnt(0) lgkmcnt(1)
	ds_write_b32 v20, v8 offset:2048
	s_waitcnt lgkmcnt(0)
	s_barrier
	buffer_gl0_inv
	ds_read2_b32 v[7:8], v1 offset1:1
	ds_read_b32 v13, v1 offset:8
	s_waitcnt lgkmcnt(1)
	v_cndmask_b32_e32 v11, s22, v7, vcc_lo
	v_cmp_eq_u32_e32 vcc_lo, v3, v4
	v_cndmask_b32_e32 v1, s22, v8, vcc_lo
	v_cmp_ne_u32_e32 vcc_lo, v3, v4
	v_cndmask_b32_e64 v2, 0, 1, vcc_lo
	v_cmp_ne_u32_e32 vcc_lo, v6, v3
	s_waitcnt lgkmcnt(0)
	v_cndmask_b32_e64 v3, v13, s22, s2
	v_mov_b32_e32 v14, v2
	v_cndmask_b32_e64 v12, 0, 1, vcc_lo
	v_mov_b32_e32 v13, v1
.LBB1751_28:
	v_mov_b32_e32 v15, 0
	v_mov_b32_e32 v16, 0
	s_and_saveexec_b32 s3, s8
; %bb.29:
	v_cndmask_b32_e64 v4, 0, 1, s2
	v_mov_b32_e32 v14, v2
	v_mov_b32_e32 v13, v1
	;; [unrolled: 1-line block ×4, first 2 shown]
; %bb.30:
	s_or_b32 exec_lo, exec_lo, s3
	v_or_b32_e32 v25, v14, v16
	v_mbcnt_lo_u32_b32 v22, -1, 0
	v_lshrrev_b32_e32 v23, 5, v0
	v_or_b32_e32 v24, 31, v0
	s_cmp_lg_u32 s13, 0
	s_mov_b32 s4, 0
	s_barrier
	buffer_gl0_inv
	s_cbranch_scc0 .LBB1751_56
; %bb.31:
	v_and_b32_e32 v2, 0xff, v25
	v_mov_b32_e32 v1, 0
	s_mov_b32 s5, 1
	v_cmp_gt_u64_e64 s2, s[4:5], v[13:14]
	v_cmp_eq_u64_e32 vcc_lo, 0, v[1:2]
	v_cndmask_b32_e64 v3, 0, v11, s2
	v_cndmask_b32_e32 v2, 1, v12, vcc_lo
	v_cmp_gt_u64_e32 vcc_lo, s[4:5], v[15:16]
	v_add_nc_u32_e32 v3, v3, v13
	v_and_b32_e32 v4, 0xff, v2
	v_and_b32_e32 v6, 1, v2
	v_cndmask_b32_e32 v3, 0, v3, vcc_lo
	v_mov_b32_dpp v5, v4 row_shr:1 row_mask:0xf bank_mask:0xf
	v_cmp_eq_u32_e32 vcc_lo, 1, v6
	v_and_b32_e32 v6, 15, v22
	v_add_nc_u32_e32 v3, v3, v15
	v_and_b32_e32 v5, 1, v5
	v_mov_b32_dpp v7, v3 row_shr:1 row_mask:0xf bank_mask:0xf
	v_cndmask_b32_e64 v5, v5, 1, vcc_lo
	v_cmp_eq_u16_e32 vcc_lo, 0, v4
	v_and_b32_e32 v8, 0xffff, v5
	v_cndmask_b32_e32 v7, 0, v7, vcc_lo
	v_cmp_eq_u32_e32 vcc_lo, 0, v6
	v_cndmask_b32_e32 v4, v8, v4, vcc_lo
	v_cndmask_b32_e32 v2, v5, v2, vcc_lo
	v_cndmask_b32_e64 v7, v7, 0, vcc_lo
	v_mov_b32_dpp v5, v4 row_shr:2 row_mask:0xf bank_mask:0xf
	v_and_b32_e32 v8, 1, v2
	v_add_nc_u32_e32 v3, v7, v3
	v_cmp_eq_u16_sdwa s4, v2, v1 src0_sel:BYTE_0 src1_sel:DWORD
	v_and_b32_e32 v5, 1, v5
	v_cmp_eq_u32_e32 vcc_lo, 1, v8
	v_cndmask_b32_e64 v5, v5, 1, vcc_lo
	v_cmp_lt_u32_e32 vcc_lo, 1, v6
	v_and_b32_e32 v8, 0xffff, v5
	v_cndmask_b32_e32 v5, v2, v5, vcc_lo
	v_mov_b32_dpp v2, v3 row_shr:2 row_mask:0xf bank_mask:0xf
	v_cndmask_b32_e32 v4, v4, v8, vcc_lo
	v_and_b32_e32 v7, 1, v5
	s_and_b32 vcc_lo, vcc_lo, s4
	v_cndmask_b32_e32 v2, 0, v2, vcc_lo
	v_mov_b32_dpp v8, v4 row_shr:4 row_mask:0xf bank_mask:0xf
	v_cmp_eq_u32_e64 s3, 1, v7
	v_cmp_lt_u32_e32 vcc_lo, 3, v6
	v_add_nc_u32_e32 v2, v2, v3
	v_and_b32_e32 v8, 1, v8
	v_cndmask_b32_e64 v7, v8, 1, s3
	v_cmp_eq_u16_sdwa s3, v5, v1 src0_sel:BYTE_0 src1_sel:DWORD
	v_and_b32_e32 v8, 0xffff, v7
	v_cndmask_b32_e32 v3, v5, v7, vcc_lo
	v_mov_b32_dpp v5, v2 row_shr:4 row_mask:0xf bank_mask:0xf
	v_cndmask_b32_e32 v4, v4, v8, vcc_lo
	s_and_b32 vcc_lo, vcc_lo, s3
	v_and_b32_e32 v8, 1, v3
	v_cndmask_b32_e32 v5, 0, v5, vcc_lo
	v_cmp_eq_u16_sdwa s3, v3, v1 src0_sel:BYTE_0 src1_sel:DWORD
	v_mov_b32_dpp v7, v4 row_shr:8 row_mask:0xf bank_mask:0xf
	v_cmp_eq_u32_e32 vcc_lo, 1, v8
	v_add_nc_u32_e32 v2, v5, v2
	v_and_b32_e32 v7, 1, v7
	v_cndmask_b32_e64 v5, v7, 1, vcc_lo
	v_cmp_lt_u32_e32 vcc_lo, 7, v6
	v_mov_b32_dpp v6, v2 row_shr:8 row_mask:0xf bank_mask:0xf
	s_and_b32 s3, vcc_lo, s3
	v_cndmask_b32_e32 v7, v3, v5, vcc_lo
	v_cndmask_b32_e64 v3, 0, v6, s3
	v_and_b32_e32 v5, 0xffff, v5
	v_and_b32_e32 v6, 16, v22
	v_add_nc_u32_e32 v2, v3, v2
	v_cndmask_b32_e32 v3, v4, v5, vcc_lo
	v_cmp_eq_u16_sdwa vcc_lo, v7, v1 src0_sel:BYTE_0 src1_sel:DWORD
	v_bfe_i32 v5, v22, 4, 1
	v_cmp_eq_u32_e64 s3, 0, v6
	ds_swizzle_b32 v4, v2 offset:swizzle(BROADCAST,32,15)
	ds_swizzle_b32 v3, v3 offset:swizzle(BROADCAST,32,15)
	s_waitcnt lgkmcnt(1)
	v_cndmask_b32_e32 v1, 0, v4, vcc_lo
	v_and_b32_e32 v4, 1, v7
	s_waitcnt lgkmcnt(0)
	v_and_b32_e32 v3, 1, v3
	v_and_b32_e32 v1, v5, v1
	v_cmp_eq_u32_e32 vcc_lo, 1, v4
	v_lshlrev_b32_e32 v5, 3, v23
	v_cndmask_b32_e64 v4, v3, 1, vcc_lo
	v_add_nc_u32_e32 v3, v1, v2
	v_cndmask_b32_e64 v4, v4, v7, s3
	s_mov_b32 s3, exec_lo
	v_cmpx_eq_u32_e64 v0, v24
	s_cbranch_execz .LBB1751_33
; %bb.32:
	ds_write_b32 v5, v3
	ds_write_b8 v5, v4 offset:4
.LBB1751_33:
	s_or_b32 exec_lo, exec_lo, s3
	s_mov_b32 s3, exec_lo
	s_waitcnt lgkmcnt(0)
	s_barrier
	buffer_gl0_inv
	v_cmpx_gt_u32_e32 8, v0
	s_cbranch_execz .LBB1751_39
; %bb.34:
	ds_read_b64 v[1:2], v21
	v_and_b32_e32 v6, 7, v22
	s_mov_b32 s4, exec_lo
	s_waitcnt lgkmcnt(0)
	v_and_b32_e32 v7, 0xffffff00, v2
	v_mov_b32_dpp v17, v1 row_shr:1 row_mask:0xf bank_mask:0xf
	v_mov_b32_dpp v18, v2 row_shr:1 row_mask:0xf bank_mask:0xf
	v_mov_b32_e32 v8, v2
	v_cmpx_ne_u32_e32 0, v6
	s_cbranch_execz .LBB1751_36
; %bb.35:
	v_mov_b32_e32 v8, 0
	v_and_b32_e32 v19, 1, v2
	v_and_b32_e32 v18, 1, v18
	v_cmp_eq_u16_sdwa vcc_lo, v2, v8 src0_sel:BYTE_0 src1_sel:DWORD
	v_cndmask_b32_e32 v2, 0, v17, vcc_lo
	v_cmp_eq_u32_e32 vcc_lo, 1, v19
	v_add_nc_u32_e32 v1, v2, v1
	v_cndmask_b32_e64 v17, v18, 1, vcc_lo
	v_or_b32_sdwa v8, v7, v17 dst_sel:DWORD dst_unused:UNUSED_PAD src0_sel:DWORD src1_sel:WORD_0
	v_mov_b32_e32 v2, v17
.LBB1751_36:
	s_or_b32 exec_lo, exec_lo, s4
	v_mov_b32_dpp v17, v1 row_shr:2 row_mask:0xf bank_mask:0xf
	v_mov_b32_dpp v18, v8 row_shr:2 row_mask:0xf bank_mask:0xf
	s_mov_b32 s4, exec_lo
	v_cmpx_lt_u32_e32 1, v6
	s_cbranch_execz .LBB1751_38
; %bb.37:
	v_mov_b32_e32 v8, 0
	v_and_b32_e32 v19, 1, v2
	v_and_b32_e32 v18, 1, v18
	v_cmp_eq_u16_sdwa vcc_lo, v2, v8 src0_sel:BYTE_0 src1_sel:DWORD
	v_cndmask_b32_e32 v2, 0, v17, vcc_lo
	v_cmp_eq_u32_e32 vcc_lo, 1, v19
	v_add_nc_u32_e32 v1, v2, v1
	v_cndmask_b32_e64 v17, v18, 1, vcc_lo
	v_or_b32_sdwa v8, v7, v17 dst_sel:DWORD dst_unused:UNUSED_PAD src0_sel:DWORD src1_sel:WORD_0
	v_mov_b32_e32 v2, v17
.LBB1751_38:
	s_or_b32 exec_lo, exec_lo, s4
	v_mov_b32_dpp v7, v8 row_shr:4 row_mask:0xf bank_mask:0xf
	v_and_b32_e32 v17, 1, v2
	v_mov_b32_e32 v8, 0
	v_and_b32_e32 v7, 1, v7
	v_cmp_eq_u32_e32 vcc_lo, 1, v17
	v_cmp_eq_u16_sdwa s4, v2, v8 src0_sel:BYTE_0 src1_sel:DWORD
	v_cndmask_b32_e64 v7, v7, 1, vcc_lo
	v_cmp_lt_u32_e32 vcc_lo, 3, v6
	v_mov_b32_dpp v6, v1 row_shr:4 row_mask:0xf bank_mask:0xf
	v_cndmask_b32_e32 v2, v2, v7, vcc_lo
	s_and_b32 vcc_lo, vcc_lo, s4
	v_cndmask_b32_e32 v6, 0, v6, vcc_lo
	v_add_nc_u32_e32 v1, v6, v1
	ds_write_b32 v21, v1
	ds_write_b8 v21, v2 offset:4
.LBB1751_39:
	s_or_b32 exec_lo, exec_lo, s3
	v_mov_b32_e32 v27, 0
	v_mov_b32_e32 v26, 0
	s_mov_b32 s4, exec_lo
	v_cmp_gt_u32_e32 vcc_lo, 32, v0
	s_waitcnt lgkmcnt(0)
	s_barrier
	buffer_gl0_inv
	v_cmpx_lt_u32_e32 31, v0
	s_cbranch_execz .LBB1751_41
; %bb.40:
	v_add_nc_u32_e32 v1, -8, v5
	v_and_b32_e32 v2, 1, v4
	ds_read_b32 v26, v1
	v_add_nc_u32_e32 v1, -4, v5
	ds_read_u8 v27, v1
	v_mov_b32_e32 v1, 0
	v_cmp_eq_u16_sdwa s3, v4, v1 src0_sel:BYTE_0 src1_sel:DWORD
	s_waitcnt lgkmcnt(1)
	v_cndmask_b32_e64 v1, 0, v26, s3
	v_cmp_eq_u32_e64 s3, 1, v2
	v_add_nc_u32_e32 v3, v1, v3
	s_waitcnt lgkmcnt(0)
	v_cndmask_b32_e64 v4, v27, 1, s3
.LBB1751_41:
	s_or_b32 exec_lo, exec_lo, s4
	v_sub_co_u32 v1, s3, v22, 1
	v_and_b32_e32 v2, 0xff, v4
	v_cmp_gt_i32_e64 s4, 0, v1
	v_cndmask_b32_e64 v1, v1, v22, s4
	v_lshlrev_b32_e32 v1, 2, v1
	ds_bpermute_b32 v28, v1, v3
	ds_bpermute_b32 v29, v1, v2
	s_and_saveexec_b32 s5, vcc_lo
	s_cbranch_execz .LBB1751_61
; %bb.42:
	v_mov_b32_e32 v4, 0
	ds_read_b64 v[1:2], v4 offset:56
	s_and_saveexec_b32 s4, s3
	s_cbranch_execz .LBB1751_44
; %bb.43:
	s_add_i32 s8, s13, 32
	s_mov_b32 s9, 0
	v_mov_b32_e32 v3, 1
	s_lshl_b64 s[8:9], s[8:9], 4
	s_add_u32 s8, s16, s8
	s_addc_u32 s9, s17, s9
	v_mov_b32_e32 v5, s8
	v_mov_b32_e32 v6, s9
	s_waitcnt lgkmcnt(0)
	;;#ASMSTART
	global_store_dwordx4 v[5:6], v[1:4] off	
s_waitcnt vmcnt(0)
	;;#ASMEND
.LBB1751_44:
	s_or_b32 exec_lo, exec_lo, s4
	v_xad_u32 v17, v22, -1, s13
	s_mov_b32 s8, 0
	v_add_nc_u32_e32 v3, 32, v17
	v_lshlrev_b64 v[5:6], 4, v[3:4]
	v_add_co_u32 v18, vcc_lo, s16, v5
	v_add_co_ci_u32_e64 v19, null, s17, v6, vcc_lo
	;;#ASMSTART
	global_load_dwordx4 v[5:8], v[18:19] off glc dlc	
s_waitcnt vmcnt(0)
	;;#ASMEND
	v_and_b32_e32 v6, 0xff, v6
	v_cmp_eq_u16_sdwa s9, v7, v4 src0_sel:BYTE_0 src1_sel:DWORD
	s_and_saveexec_b32 s4, s9
	s_cbranch_execz .LBB1751_48
; %bb.45:
	v_mov_b32_e32 v3, 0
.LBB1751_46:                            ; =>This Inner Loop Header: Depth=1
	;;#ASMSTART
	global_load_dwordx4 v[5:8], v[18:19] off glc dlc	
s_waitcnt vmcnt(0)
	;;#ASMEND
	v_cmp_ne_u16_sdwa s9, v7, v3 src0_sel:BYTE_0 src1_sel:DWORD
	s_or_b32 s8, s9, s8
	s_andn2_b32 exec_lo, exec_lo, s8
	s_cbranch_execnz .LBB1751_46
; %bb.47:
	s_or_b32 exec_lo, exec_lo, s8
	v_and_b32_e32 v6, 0xff, v6
.LBB1751_48:
	s_or_b32 exec_lo, exec_lo, s4
	v_cmp_ne_u32_e32 vcc_lo, 31, v22
	v_mov_b32_e32 v30, 2
	v_lshlrev_b32_e64 v31, v22, -1
	v_and_b32_e32 v8, 1, v6
	s_mov_b32 s8, 0
	v_add_co_ci_u32_e64 v3, null, 0, v22, vcc_lo
	v_cmp_eq_u16_sdwa s4, v7, v30 src0_sel:BYTE_0 src1_sel:DWORD
	v_cmp_eq_u32_e32 vcc_lo, 1, v8
	s_mov_b32 s9, 1
	v_lshlrev_b32_e32 v19, 2, v3
	v_add_nc_u32_e32 v39, 8, v22
	v_and_or_b32 v4, s4, v31, 0x80000000
	v_cmp_gt_u64_e64 s4, s[8:9], v[5:6]
	v_lshl_or_b32 v40, v22, 2, 64
	ds_bpermute_b32 v3, v19, v6
	ds_bpermute_b32 v18, v19, v5
	v_ffbl_b32_e32 v4, v4
	v_add_nc_u32_e32 v41, 16, v22
	s_waitcnt lgkmcnt(1)
	v_and_b32_e32 v3, 1, v3
	v_cndmask_b32_e64 v3, v3, 1, vcc_lo
	v_cmp_gt_u32_e32 vcc_lo, 30, v22
	v_and_b32_e32 v33, 0xffff, v3
	v_cndmask_b32_e64 v8, 0, 2, vcc_lo
	v_cmp_lt_u32_e32 vcc_lo, v22, v4
	v_add_lshl_u32 v32, v8, v22, 2
	v_cndmask_b32_e32 v8, v6, v33, vcc_lo
	v_cndmask_b32_e32 v3, v6, v3, vcc_lo
	s_and_b32 vcc_lo, vcc_lo, s4
	s_waitcnt lgkmcnt(0)
	v_cndmask_b32_e32 v6, 0, v18, vcc_lo
	ds_bpermute_b32 v33, v32, v8
	v_and_b32_e32 v18, 1, v3
	v_add_nc_u32_e32 v5, v6, v5
	v_cmp_eq_u32_e32 vcc_lo, 1, v18
	v_mov_b32_e32 v18, 0
	ds_bpermute_b32 v6, v32, v5
	v_cmp_eq_u16_sdwa s4, v3, v18 src0_sel:BYTE_0 src1_sel:DWORD
	s_waitcnt lgkmcnt(1)
	v_and_b32_e32 v34, 1, v33
	v_add_nc_u32_e32 v33, 2, v22
	v_cndmask_b32_e64 v35, v34, 1, vcc_lo
	v_cmp_gt_u32_e32 vcc_lo, 28, v22
	v_and_b32_e32 v36, 0xffff, v35
	v_cndmask_b32_e64 v34, 0, 4, vcc_lo
	v_cmp_gt_u32_e32 vcc_lo, v33, v4
	v_add_lshl_u32 v34, v34, v22, 2
	v_cndmask_b32_e32 v8, v36, v8, vcc_lo
	v_cndmask_b32_e32 v37, v35, v3, vcc_lo
	s_waitcnt lgkmcnt(0)
	v_cndmask_b32_e64 v3, 0, v6, s4
	v_add_nc_u32_e32 v35, 4, v22
	ds_bpermute_b32 v6, v34, v8
	v_and_b32_e32 v36, 1, v37
	v_cndmask_b32_e64 v3, v3, 0, vcc_lo
	v_cmp_eq_u16_sdwa s4, v37, v18 src0_sel:BYTE_0 src1_sel:DWORD
	v_cmp_eq_u32_e32 vcc_lo, 1, v36
	v_add_nc_u32_e32 v3, v3, v5
	ds_bpermute_b32 v5, v34, v3
	s_waitcnt lgkmcnt(1)
	v_and_b32_e32 v6, 1, v6
	v_cndmask_b32_e64 v6, v6, 1, vcc_lo
	v_cmp_gt_u32_e32 vcc_lo, 24, v22
	v_and_b32_e32 v38, 0xffff, v6
	v_cndmask_b32_e64 v36, 0, 8, vcc_lo
	v_cmp_gt_u32_e32 vcc_lo, v35, v4
	s_waitcnt lgkmcnt(0)
	v_cndmask_b32_e64 v5, 0, v5, s4
	v_add_lshl_u32 v36, v36, v22, 2
	v_cndmask_b32_e32 v8, v38, v8, vcc_lo
	v_cndmask_b32_e32 v6, v6, v37, vcc_lo
	v_cndmask_b32_e64 v5, v5, 0, vcc_lo
	ds_bpermute_b32 v37, v36, v8
	v_and_b32_e32 v38, 1, v6
	v_add_nc_u32_e32 v3, v5, v3
	v_cmp_eq_u32_e32 vcc_lo, 1, v38
	ds_bpermute_b32 v5, v36, v3
	s_waitcnt lgkmcnt(1)
	v_and_b32_e32 v37, 1, v37
	v_cndmask_b32_e64 v37, v37, 1, vcc_lo
	v_cmp_eq_u16_sdwa vcc_lo, v6, v18 src0_sel:BYTE_0 src1_sel:DWORD
	v_and_b32_e32 v38, 0xffff, v37
	s_waitcnt lgkmcnt(0)
	v_cndmask_b32_e32 v5, 0, v5, vcc_lo
	v_cmp_gt_u32_e32 vcc_lo, v39, v4
	v_cndmask_b32_e64 v5, v5, 0, vcc_lo
	v_cndmask_b32_e32 v8, v38, v8, vcc_lo
	v_cndmask_b32_e32 v6, v37, v6, vcc_lo
	v_add_nc_u32_e32 v3, v5, v3
	ds_bpermute_b32 v5, v40, v8
	v_and_b32_e32 v37, 1, v6
	v_cmp_eq_u16_sdwa vcc_lo, v6, v18 src0_sel:BYTE_0 src1_sel:DWORD
	ds_bpermute_b32 v8, v40, v3
	s_waitcnt lgkmcnt(1)
	v_and_b32_e32 v5, 1, v5
	s_waitcnt lgkmcnt(0)
	v_cndmask_b32_e32 v8, 0, v8, vcc_lo
	v_cmp_eq_u32_e32 vcc_lo, 1, v37
	v_cndmask_b32_e64 v5, v5, 1, vcc_lo
	v_cmp_gt_u32_e32 vcc_lo, v41, v4
	v_cndmask_b32_e32 v4, v5, v6, vcc_lo
	v_cndmask_b32_e64 v5, v8, 0, vcc_lo
	v_add_nc_u32_e32 v3, v5, v3
	s_branch .LBB1751_52
.LBB1751_49:                            ;   in Loop: Header=BB1751_52 Depth=1
	s_or_b32 exec_lo, exec_lo, s19
	v_and_b32_e32 v6, 0xff, v6
.LBB1751_50:                            ;   in Loop: Header=BB1751_52 Depth=1
	s_or_b32 exec_lo, exec_lo, s4
	ds_bpermute_b32 v3, v19, v6
	v_cmp_eq_u16_sdwa s4, v7, v30 src0_sel:BYTE_0 src1_sel:DWORD
	v_and_b32_e32 v4, 1, v6
	v_subrev_nc_u32_e32 v17, 32, v17
	v_and_or_b32 v8, s4, v31, 0x80000000
	v_cmp_eq_u32_e32 vcc_lo, 1, v4
	v_cmp_gt_u64_e64 s4, s[8:9], v[5:6]
	v_ffbl_b32_e32 v4, v8
	ds_bpermute_b32 v8, v19, v5
	s_waitcnt lgkmcnt(1)
	v_and_b32_e32 v3, 1, v3
	v_cndmask_b32_e64 v3, v3, 1, vcc_lo
	v_cmp_lt_u32_e32 vcc_lo, v22, v4
	v_and_b32_e32 v42, 0xffff, v3
	v_cndmask_b32_e32 v3, v6, v3, vcc_lo
	v_cndmask_b32_e32 v42, v6, v42, vcc_lo
	s_and_b32 vcc_lo, vcc_lo, s4
	v_cmp_eq_u16_sdwa s4, v3, v18 src0_sel:BYTE_0 src1_sel:DWORD
	s_waitcnt lgkmcnt(0)
	v_cndmask_b32_e32 v6, 0, v8, vcc_lo
	v_and_b32_e32 v8, 1, v3
	ds_bpermute_b32 v43, v32, v42
	v_add_nc_u32_e32 v5, v6, v5
	v_cmp_eq_u32_e32 vcc_lo, 1, v8
	ds_bpermute_b32 v6, v32, v5
	s_waitcnt lgkmcnt(1)
	v_and_b32_e32 v43, 1, v43
	v_cndmask_b32_e64 v8, v43, 1, vcc_lo
	v_cmp_gt_u32_e32 vcc_lo, v33, v4
	v_and_b32_e32 v43, 0xffff, v8
	v_cndmask_b32_e32 v8, v8, v3, vcc_lo
	s_waitcnt lgkmcnt(0)
	v_cndmask_b32_e64 v3, 0, v6, s4
	v_cndmask_b32_e32 v42, v43, v42, vcc_lo
	v_and_b32_e32 v43, 1, v8
	v_cndmask_b32_e64 v3, v3, 0, vcc_lo
	v_cmp_eq_u16_sdwa s4, v8, v18 src0_sel:BYTE_0 src1_sel:DWORD
	ds_bpermute_b32 v6, v34, v42
	v_cmp_eq_u32_e32 vcc_lo, 1, v43
	v_add_nc_u32_e32 v3, v3, v5
	ds_bpermute_b32 v5, v34, v3
	s_waitcnt lgkmcnt(1)
	v_and_b32_e32 v6, 1, v6
	v_cndmask_b32_e64 v6, v6, 1, vcc_lo
	v_cmp_gt_u32_e32 vcc_lo, v35, v4
	s_waitcnt lgkmcnt(0)
	v_cndmask_b32_e64 v5, 0, v5, s4
	s_mov_b32 s4, 0
	v_and_b32_e32 v43, 0xffff, v6
	v_cndmask_b32_e32 v6, v6, v8, vcc_lo
	v_cndmask_b32_e64 v5, v5, 0, vcc_lo
	v_cndmask_b32_e32 v8, v43, v42, vcc_lo
	v_and_b32_e32 v43, 1, v6
	v_add_nc_u32_e32 v3, v5, v3
	ds_bpermute_b32 v42, v36, v8
	v_cmp_eq_u32_e32 vcc_lo, 1, v43
	ds_bpermute_b32 v5, v36, v3
	s_waitcnt lgkmcnt(1)
	v_and_b32_e32 v42, 1, v42
	v_cndmask_b32_e64 v42, v42, 1, vcc_lo
	v_cmp_eq_u16_sdwa vcc_lo, v6, v18 src0_sel:BYTE_0 src1_sel:DWORD
	v_and_b32_e32 v43, 0xffff, v42
	s_waitcnt lgkmcnt(0)
	v_cndmask_b32_e32 v5, 0, v5, vcc_lo
	v_cmp_gt_u32_e32 vcc_lo, v39, v4
	v_cndmask_b32_e64 v5, v5, 0, vcc_lo
	v_cndmask_b32_e32 v8, v43, v8, vcc_lo
	v_cndmask_b32_e32 v6, v42, v6, vcc_lo
	v_add_nc_u32_e32 v3, v5, v3
	ds_bpermute_b32 v5, v40, v8
	v_and_b32_e32 v42, 1, v6
	ds_bpermute_b32 v8, v40, v3
	v_cmp_eq_u32_e32 vcc_lo, 1, v42
	s_waitcnt lgkmcnt(1)
	v_cndmask_b32_e64 v5, v5, 1, vcc_lo
	v_cmp_eq_u16_sdwa vcc_lo, v6, v18 src0_sel:BYTE_0 src1_sel:DWORD
	s_waitcnt lgkmcnt(0)
	v_cndmask_b32_e32 v8, 0, v8, vcc_lo
	v_cmp_gt_u32_e32 vcc_lo, v41, v4
	v_cndmask_b32_e32 v4, v5, v6, vcc_lo
	v_cndmask_b32_e64 v5, v8, 0, vcc_lo
	v_cmp_eq_u16_sdwa vcc_lo, v37, v18 src0_sel:BYTE_0 src1_sel:DWORD
	v_and_b32_e32 v4, 1, v4
	v_add_nc_u32_e32 v3, v5, v3
	v_and_b32_e32 v5, 1, v37
	v_cndmask_b32_e32 v3, 0, v3, vcc_lo
	v_cmp_eq_u32_e32 vcc_lo, 1, v5
	v_add_nc_u32_e32 v3, v3, v38
	v_cndmask_b32_e64 v4, v4, 1, vcc_lo
.LBB1751_51:                            ;   in Loop: Header=BB1751_52 Depth=1
	s_and_b32 vcc_lo, exec_lo, s4
	s_cbranch_vccnz .LBB1751_57
.LBB1751_52:                            ; =>This Loop Header: Depth=1
                                        ;     Child Loop BB1751_55 Depth 2
	v_cmp_ne_u16_sdwa s4, v7, v30 src0_sel:BYTE_0 src1_sel:DWORD
	v_mov_b32_e32 v37, v4
	v_mov_b32_e32 v38, v3
                                        ; implicit-def: $vgpr4
                                        ; implicit-def: $vgpr3
                                        ; implicit-def: $vgpr7
	s_cmp_lg_u32 s4, exec_lo
	s_mov_b32 s4, -1
	s_cbranch_scc1 .LBB1751_51
; %bb.53:                               ;   in Loop: Header=BB1751_52 Depth=1
	v_lshlrev_b64 v[3:4], 4, v[17:18]
	v_add_co_u32 v3, vcc_lo, s16, v3
	v_add_co_ci_u32_e64 v4, null, s17, v4, vcc_lo
	;;#ASMSTART
	global_load_dwordx4 v[5:8], v[3:4] off glc dlc	
s_waitcnt vmcnt(0)
	;;#ASMEND
	v_and_b32_e32 v6, 0xff, v6
	v_cmp_eq_u16_sdwa s19, v7, v18 src0_sel:BYTE_0 src1_sel:DWORD
	s_and_saveexec_b32 s4, s19
	s_cbranch_execz .LBB1751_50
; %bb.54:                               ;   in Loop: Header=BB1751_52 Depth=1
	s_mov_b32 s19, 0
.LBB1751_55:                            ;   Parent Loop BB1751_52 Depth=1
                                        ; =>  This Inner Loop Header: Depth=2
	;;#ASMSTART
	global_load_dwordx4 v[5:8], v[3:4] off glc dlc	
s_waitcnt vmcnt(0)
	;;#ASMEND
	v_cmp_ne_u16_sdwa s23, v7, v18 src0_sel:BYTE_0 src1_sel:DWORD
	s_or_b32 s19, s23, s19
	s_andn2_b32 exec_lo, exec_lo, s19
	s_cbranch_execnz .LBB1751_55
	s_branch .LBB1751_49
.LBB1751_56:
                                        ; implicit-def: $vgpr6
                                        ; implicit-def: $vgpr5
                                        ; implicit-def: $vgpr7
	s_cbranch_execnz .LBB1751_62
	s_branch .LBB1751_77
.LBB1751_57:
	s_and_saveexec_b32 s4, s3
	s_cbranch_execz .LBB1751_59
; %bb.58:
	v_mov_b32_e32 v4, 0
	v_and_b32_e32 v3, 1, v2
	s_mov_b32 s9, 0
	s_add_i32 s8, s13, 32
	v_and_b32_e32 v5, 1, v37
	v_cmp_eq_u32_sdwa vcc_lo, v2, v4 src0_sel:BYTE_0 src1_sel:DWORD
	s_lshl_b64 s[8:9], s[8:9], 4
	s_add_u32 s8, s16, s8
	s_addc_u32 s9, s17, s9
	v_cndmask_b32_e32 v2, 0, v38, vcc_lo
	v_cmp_eq_u32_e32 vcc_lo, 1, v3
	v_mov_b32_e32 v3, 2
	v_add_nc_u32_e32 v1, v2, v1
	v_cndmask_b32_e64 v2, v5, 1, vcc_lo
	v_mov_b32_e32 v5, s8
	v_mov_b32_e32 v6, s9
	;;#ASMSTART
	global_store_dwordx4 v[5:6], v[1:4] off	
s_waitcnt vmcnt(0)
	;;#ASMEND
.LBB1751_59:
	s_or_b32 exec_lo, exec_lo, s4
	s_and_b32 exec_lo, exec_lo, s0
	s_cbranch_execz .LBB1751_61
; %bb.60:
	v_mov_b32_e32 v1, 0
	ds_write_b32 v1, v38 offset:56
	ds_write_b8 v1, v37 offset:60
.LBB1751_61:
	s_or_b32 exec_lo, exec_lo, s5
	v_mov_b32_e32 v1, 0
	s_waitcnt lgkmcnt(0)
	s_barrier
	buffer_gl0_inv
	v_cndmask_b32_e64 v2, v29, v27, s3
	ds_read_b32 v3, v1 offset:56
	v_cndmask_b32_e64 v4, v28, v26, s3
	v_cmp_eq_u16_sdwa vcc_lo, v2, v1 src0_sel:BYTE_0 src1_sel:DWORD
	s_waitcnt lgkmcnt(0)
	v_cndmask_b32_e32 v2, 0, v3, vcc_lo
	v_add_nc_u32_e32 v4, v2, v4
	v_and_b32_e32 v2, 0xff, v12
	v_cndmask_b32_e64 v6, v4, v3, s0
	v_cmp_eq_u64_e32 vcc_lo, 0, v[1:2]
	v_cndmask_b32_e32 v1, 0, v6, vcc_lo
	v_add_nc_u32_e32 v5, v1, v11
	v_cndmask_b32_e64 v1, 0, v5, s2
	v_add_nc_u32_e32 v7, v1, v13
	s_branch .LBB1751_77
.LBB1751_62:
	s_cmp_eq_u64 s[20:21], 0
	v_mov_b32_e32 v3, s22
	s_cselect_b32 s2, -1, 0
	s_cmp_eq_u64 s[6:7], 0
	s_cselect_b32 s3, -1, 0
	s_or_b32 s2, s2, s3
	s_and_b32 vcc_lo, exec_lo, s2
	s_cbranch_vccnz .LBB1751_64
; %bb.63:
	v_mov_b32_e32 v1, 0
	global_load_dword v3, v1, s[6:7]
.LBB1751_64:
	v_and_b32_e32 v2, 0xff, v25
	v_mov_b32_e32 v1, 0
	s_mov_b32 s4, 0
	s_mov_b32 s5, 1
	v_cmp_gt_u64_e32 vcc_lo, s[4:5], v[13:14]
	v_cmp_eq_u64_e64 s2, 0, v[1:2]
	v_cndmask_b32_e32 v4, 0, v11, vcc_lo
	v_cndmask_b32_e64 v2, 1, v12, s2
	v_cmp_gt_u64_e64 s2, s[4:5], v[15:16]
	v_add_nc_u32_e32 v4, v4, v13
	v_and_b32_e32 v5, 0xff, v2
	v_and_b32_e32 v7, 1, v2
	v_cndmask_b32_e64 v4, 0, v4, s2
	v_mov_b32_dpp v6, v5 row_shr:1 row_mask:0xf bank_mask:0xf
	v_cmp_eq_u32_e64 s2, 1, v7
	v_and_b32_e32 v7, 15, v22
	v_add_nc_u32_e32 v4, v4, v15
	v_and_b32_e32 v6, 1, v6
	v_mov_b32_dpp v8, v4 row_shr:1 row_mask:0xf bank_mask:0xf
	v_cndmask_b32_e64 v6, v6, 1, s2
	v_cmp_eq_u16_e64 s2, 0, v5
	v_and_b32_e32 v14, 0xffff, v6
	v_cndmask_b32_e64 v8, 0, v8, s2
	v_cmp_eq_u32_e64 s2, 0, v7
	v_cndmask_b32_e64 v5, v14, v5, s2
	v_cndmask_b32_e64 v2, v6, v2, s2
	;; [unrolled: 1-line block ×3, first 2 shown]
	v_mov_b32_dpp v6, v5 row_shr:2 row_mask:0xf bank_mask:0xf
	v_and_b32_e32 v14, 1, v2
	v_add_nc_u32_e32 v4, v8, v4
	v_cmp_eq_u16_sdwa s4, v2, v1 src0_sel:BYTE_0 src1_sel:DWORD
	v_and_b32_e32 v6, 1, v6
	v_cmp_eq_u32_e64 s2, 1, v14
	v_cndmask_b32_e64 v6, v6, 1, s2
	v_cmp_lt_u32_e64 s2, 1, v7
	v_and_b32_e32 v14, 0xffff, v6
	v_cndmask_b32_e64 v6, v2, v6, s2
	v_mov_b32_dpp v2, v4 row_shr:2 row_mask:0xf bank_mask:0xf
	v_cndmask_b32_e64 v5, v5, v14, s2
	v_and_b32_e32 v8, 1, v6
	s_and_b32 s2, s2, s4
	v_cndmask_b32_e64 v2, 0, v2, s2
	v_mov_b32_dpp v14, v5 row_shr:4 row_mask:0xf bank_mask:0xf
	v_cmp_eq_u32_e64 s3, 1, v8
	v_cmp_lt_u32_e64 s2, 3, v7
	v_add_nc_u32_e32 v2, v2, v4
	v_and_b32_e32 v14, 1, v14
	v_cndmask_b32_e64 v8, v14, 1, s3
	v_cmp_eq_u16_sdwa s3, v6, v1 src0_sel:BYTE_0 src1_sel:DWORD
	v_and_b32_e32 v14, 0xffff, v8
	v_cndmask_b32_e64 v4, v6, v8, s2
	v_mov_b32_dpp v6, v2 row_shr:4 row_mask:0xf bank_mask:0xf
	v_cndmask_b32_e64 v5, v5, v14, s2
	s_and_b32 s2, s2, s3
	v_and_b32_e32 v14, 1, v4
	v_cndmask_b32_e64 v6, 0, v6, s2
	v_cmp_eq_u16_sdwa s3, v4, v1 src0_sel:BYTE_0 src1_sel:DWORD
	v_mov_b32_dpp v8, v5 row_shr:8 row_mask:0xf bank_mask:0xf
	v_cmp_eq_u32_e64 s2, 1, v14
	v_add_nc_u32_e32 v2, v6, v2
	v_and_b32_e32 v8, 1, v8
	v_cndmask_b32_e64 v6, v8, 1, s2
	v_cmp_lt_u32_e64 s2, 7, v7
	v_mov_b32_dpp v7, v2 row_shr:8 row_mask:0xf bank_mask:0xf
	s_and_b32 s3, s2, s3
	v_cndmask_b32_e64 v8, v4, v6, s2
	v_cndmask_b32_e64 v4, 0, v7, s3
	v_and_b32_e32 v6, 0xffff, v6
	v_and_b32_e32 v7, 16, v22
	v_add_nc_u32_e32 v2, v4, v2
	v_cndmask_b32_e64 v4, v5, v6, s2
	v_cmp_eq_u16_sdwa s2, v8, v1 src0_sel:BYTE_0 src1_sel:DWORD
	v_bfe_i32 v6, v22, 4, 1
	v_cmp_eq_u32_e64 s3, 0, v7
	ds_swizzle_b32 v5, v2 offset:swizzle(BROADCAST,32,15)
	ds_swizzle_b32 v4, v4 offset:swizzle(BROADCAST,32,15)
	s_waitcnt lgkmcnt(1)
	v_cndmask_b32_e64 v1, 0, v5, s2
	v_and_b32_e32 v5, 1, v8
	s_waitcnt lgkmcnt(0)
	v_and_b32_e32 v4, 1, v4
	v_and_b32_e32 v1, v6, v1
	v_cmp_eq_u32_e64 s2, 1, v5
	v_lshlrev_b32_e32 v6, 3, v23
	v_cndmask_b32_e64 v5, v4, 1, s2
	v_add_nc_u32_e32 v4, v1, v2
	v_cndmask_b32_e64 v5, v5, v8, s3
	s_mov_b32 s3, exec_lo
	v_cmpx_eq_u32_e64 v0, v24
	s_cbranch_execz .LBB1751_66
; %bb.65:
	ds_write_b32 v6, v4
	ds_write_b8 v6, v5 offset:4
.LBB1751_66:
	s_or_b32 exec_lo, exec_lo, s3
	s_mov_b32 s3, exec_lo
	s_waitcnt vmcnt(0) lgkmcnt(0)
	s_barrier
	buffer_gl0_inv
	v_cmpx_gt_u32_e32 8, v0
	s_cbranch_execz .LBB1751_72
; %bb.67:
	ds_read_b64 v[1:2], v21
	v_and_b32_e32 v7, 7, v22
	s_mov_b32 s4, exec_lo
	s_waitcnt lgkmcnt(0)
	v_and_b32_e32 v8, 0xffffff00, v2
	v_mov_b32_dpp v15, v1 row_shr:1 row_mask:0xf bank_mask:0xf
	v_mov_b32_dpp v16, v2 row_shr:1 row_mask:0xf bank_mask:0xf
	v_mov_b32_e32 v14, v2
	v_cmpx_ne_u32_e32 0, v7
	s_cbranch_execz .LBB1751_69
; %bb.68:
	v_mov_b32_e32 v14, 0
	v_and_b32_e32 v17, 1, v2
	v_and_b32_e32 v16, 1, v16
	v_cmp_eq_u16_sdwa s2, v2, v14 src0_sel:BYTE_0 src1_sel:DWORD
	v_cndmask_b32_e64 v2, 0, v15, s2
	v_cmp_eq_u32_e64 s2, 1, v17
	v_add_nc_u32_e32 v1, v2, v1
	v_cndmask_b32_e64 v15, v16, 1, s2
	v_or_b32_sdwa v14, v8, v15 dst_sel:DWORD dst_unused:UNUSED_PAD src0_sel:DWORD src1_sel:WORD_0
	v_mov_b32_e32 v2, v15
.LBB1751_69:
	s_or_b32 exec_lo, exec_lo, s4
	v_mov_b32_dpp v15, v1 row_shr:2 row_mask:0xf bank_mask:0xf
	v_mov_b32_dpp v16, v14 row_shr:2 row_mask:0xf bank_mask:0xf
	s_mov_b32 s4, exec_lo
	v_cmpx_lt_u32_e32 1, v7
	s_cbranch_execz .LBB1751_71
; %bb.70:
	v_mov_b32_e32 v14, 0
	v_and_b32_e32 v17, 1, v2
	v_and_b32_e32 v16, 1, v16
	v_cmp_eq_u16_sdwa s2, v2, v14 src0_sel:BYTE_0 src1_sel:DWORD
	v_cndmask_b32_e64 v2, 0, v15, s2
	v_cmp_eq_u32_e64 s2, 1, v17
	v_add_nc_u32_e32 v1, v2, v1
	v_cndmask_b32_e64 v15, v16, 1, s2
	v_or_b32_sdwa v14, v8, v15 dst_sel:DWORD dst_unused:UNUSED_PAD src0_sel:DWORD src1_sel:WORD_0
	v_mov_b32_e32 v2, v15
.LBB1751_71:
	s_or_b32 exec_lo, exec_lo, s4
	v_mov_b32_dpp v8, v14 row_shr:4 row_mask:0xf bank_mask:0xf
	v_and_b32_e32 v15, 1, v2
	v_mov_b32_e32 v14, 0
	v_and_b32_e32 v8, 1, v8
	v_cmp_eq_u32_e64 s2, 1, v15
	v_cmp_eq_u16_sdwa s4, v2, v14 src0_sel:BYTE_0 src1_sel:DWORD
	v_cndmask_b32_e64 v8, v8, 1, s2
	v_cmp_lt_u32_e64 s2, 3, v7
	v_mov_b32_dpp v7, v1 row_shr:4 row_mask:0xf bank_mask:0xf
	v_cndmask_b32_e64 v2, v2, v8, s2
	s_and_b32 s2, s2, s4
	v_cndmask_b32_e64 v7, 0, v7, s2
	v_add_nc_u32_e32 v1, v7, v1
	ds_write_b32 v21, v1
	ds_write_b8 v21, v2 offset:4
.LBB1751_72:
	s_or_b32 exec_lo, exec_lo, s3
	v_mov_b32_e32 v2, v3
	s_mov_b32 s3, exec_lo
	s_waitcnt lgkmcnt(0)
	s_barrier
	buffer_gl0_inv
	v_cmpx_lt_u32_e32 31, v0
	s_cbranch_execz .LBB1751_74
; %bb.73:
	v_add_nc_u32_e32 v1, -4, v6
	v_add_nc_u32_e32 v2, -8, v6
	ds_read_u8 v1, v1
	ds_read_b32 v2, v2
	s_waitcnt lgkmcnt(1)
	v_cmp_eq_u16_e64 s2, 0, v1
	v_cndmask_b32_e64 v1, 0, v3, s2
	s_waitcnt lgkmcnt(0)
	v_add_nc_u32_e32 v2, v1, v2
.LBB1751_74:
	s_or_b32 exec_lo, exec_lo, s3
	v_mov_b32_e32 v1, 0
	v_sub_co_u32 v6, s2, v22, 1
	v_cmp_eq_u16_sdwa s3, v5, v1 src0_sel:BYTE_0 src1_sel:DWORD
	v_cndmask_b32_e64 v5, 0, v2, s3
	v_cmp_gt_i32_e64 s3, 0, v6
	v_add_nc_u32_e32 v4, v5, v4
	v_cndmask_b32_e64 v6, v6, v22, s3
	v_lshlrev_b32_e32 v5, 2, v6
	ds_bpermute_b32 v4, v5, v4
	s_waitcnt lgkmcnt(0)
	v_cndmask_b32_e64 v6, v4, v2, s2
	v_and_b32_e32 v2, 0xff, v12
	v_cndmask_b32_e64 v4, v6, v3, s0
	v_cmp_eq_u64_e64 s2, 0, v[1:2]
	v_cndmask_b32_e64 v2, 0, v4, s2
	v_add_nc_u32_e32 v5, v2, v11
	v_cndmask_b32_e32 v2, 0, v5, vcc_lo
	s_and_saveexec_b32 s2, s0
	s_cbranch_execz .LBB1751_76
; %bb.75:
	ds_read_u8 v4, v1 offset:60
	ds_read_b32 v6, v1 offset:56
	v_mov_b32_e32 v16, v1
	s_add_u32 s4, s16, 0x200
	s_addc_u32 s5, s17, 0
	v_mov_b32_e32 v17, v1
	v_mov_b32_e32 v8, s5
	v_mov_b32_e32 v7, s4
	s_waitcnt lgkmcnt(1)
	v_and_b32_e32 v15, 0xffff, v4
	v_cmp_eq_u64_e32 vcc_lo, 0, v[15:16]
	v_mov_b32_e32 v16, 2
	v_cndmask_b32_e32 v4, 0, v3, vcc_lo
	s_waitcnt lgkmcnt(0)
	v_add_nc_u32_e32 v14, v4, v6
	v_mov_b32_e32 v6, v3
	;;#ASMSTART
	global_store_dwordx4 v[7:8], v[14:17] off	
s_waitcnt vmcnt(0)
	;;#ASMEND
.LBB1751_76:
	s_or_b32 exec_lo, exec_lo, s2
	v_add_nc_u32_e32 v7, v2, v13
.LBB1751_77:
	s_add_u32 s0, s14, s10
	s_addc_u32 s2, s15, s11
	v_add_co_u32 v8, vcc_lo, s0, v9
	v_add_co_ci_u32_e64 v9, null, s2, v10, vcc_lo
	v_mov_b32_e32 v3, 0
	s_and_b32 vcc_lo, exec_lo, s1
	s_cbranch_vccz .LBB1751_89
; %bb.78:
	v_mul_u32_u24_e32 v1, 3, v0
	v_mov_b32_e32 v4, 0
	v_mov_b32_e32 v2, 0
	s_add_i32 s12, s12, s18
	s_mov_b32 s0, exec_lo
	v_cmpx_gt_u32_e64 s12, v1
	s_cbranch_execz .LBB1751_84
; %bb.79:
	v_add_nc_u32_e32 v3, 1, v1
	v_mov_b32_e32 v2, 0
	v_mov_b32_e32 v4, 0
	s_mov_b32 s1, exec_lo
	v_cmpx_gt_u32_e64 s12, v3
	s_cbranch_execz .LBB1751_83
; %bb.80:
	v_add_nc_u32_e32 v2, 2, v1
	v_cmp_gt_u32_e32 vcc_lo, s12, v2
	v_mov_b32_e32 v2, 0
	s_and_saveexec_b32 s2, vcc_lo
; %bb.81:
	v_mov_b32_e32 v2, v7
; %bb.82:
	s_or_b32 exec_lo, exec_lo, s2
	v_mov_b32_e32 v4, v5
.LBB1751_83:
	s_or_b32 exec_lo, exec_lo, s1
	v_mov_b32_e32 v3, v6
.LBB1751_84:
	s_or_b32 exec_lo, exec_lo, s0
	v_lshlrev_b32_e32 v10, 2, v1
	s_barrier
	buffer_gl0_inv
	s_mov_b32 s0, exec_lo
	v_sub_nc_u32_e32 v1, v10, v21
	ds_write2_b32 v10, v3, v4 offset1:1
	ds_write_b32 v10, v2 offset:8
	s_waitcnt lgkmcnt(0)
	s_barrier
	buffer_gl0_inv
	ds_read2st64_b32 v[1:2], v1 offset0:4 offset1:8
	v_add_co_u32 v3, vcc_lo, v8, v20
	v_add_co_ci_u32_e64 v4, null, 0, v9, vcc_lo
	v_cmpx_gt_u32_e64 s12, v0
	s_cbranch_execz .LBB1751_86
; %bb.85:
	v_sub_nc_u32_e32 v11, 0, v21
	v_add_nc_u32_e32 v10, v10, v11
	ds_read_b32 v10, v10
	s_waitcnt lgkmcnt(0)
	v_cvt_f32_i32_e32 v10, v10
	flat_store_dword v[3:4], v10
.LBB1751_86:
	s_or_b32 exec_lo, exec_lo, s0
	v_or_b32_e32 v10, 0x100, v0
	s_mov_b32 s0, exec_lo
	v_cmpx_gt_u32_e64 s12, v10
	s_cbranch_execz .LBB1751_88
; %bb.87:
	s_waitcnt lgkmcnt(0)
	v_cvt_f32_i32_e32 v1, v1
	flat_store_dword v[3:4], v1 offset:1024
.LBB1751_88:
	s_or_b32 exec_lo, exec_lo, s0
	s_waitcnt lgkmcnt(0)
	v_or_b32_e32 v1, 0x200, v0
	v_cmp_gt_u32_e64 s0, s12, v1
	s_branch .LBB1751_91
.LBB1751_89:
	s_mov_b32 s0, 0
                                        ; implicit-def: $vgpr2
	s_cbranch_execz .LBB1751_91
; %bb.90:
	v_mul_u32_u24_e32 v1, 12, v0
	s_waitcnt_vscnt null, 0x0
	s_barrier
	buffer_gl0_inv
	s_or_b32 s0, s0, exec_lo
	v_sub_nc_u32_e32 v2, v1, v21
	ds_write2_b32 v1, v6, v5 offset1:1
	ds_write_b32 v1, v7 offset:8
	s_waitcnt lgkmcnt(0)
	s_barrier
	buffer_gl0_inv
	ds_read2st64_b32 v[3:4], v2 offset1:4
	ds_read_b32 v2, v2 offset:2048
	v_add_co_u32 v5, vcc_lo, v8, v20
	v_add_co_ci_u32_e64 v6, null, 0, v9, vcc_lo
	s_waitcnt lgkmcnt(1)
	v_cvt_f32_i32_e32 v1, v3
	v_cvt_f32_i32_e32 v3, v4
	flat_store_dword v[5:6], v1
	flat_store_dword v[5:6], v3 offset:1024
.LBB1751_91:
	s_and_saveexec_b32 s1, s0
	s_cbranch_execnz .LBB1751_93
; %bb.92:
	s_endpgm
.LBB1751_93:
	v_lshlrev_b32_e32 v0, 2, v0
	s_waitcnt lgkmcnt(2)
	v_cvt_f32_i32_e32 v2, v2
	v_add_co_u32 v0, vcc_lo, v8, v0
	v_add_co_ci_u32_e64 v1, null, 0, v9, vcc_lo
	v_add_co_u32 v0, vcc_lo, 0x800, v0
	v_add_co_ci_u32_e64 v1, null, 0, v1, vcc_lo
	flat_store_dword v[0:1], v2
	s_endpgm
.LBB1751_94:
	v_add_co_u32 v2, vcc_lo, v8, v12
	v_add_co_ci_u32_e64 v3, null, 0, v15, vcc_lo
	v_mov_b32_e32 v20, v1
	v_mov_b32_e32 v21, v1
	flat_load_dword v19, v[2:3]
	s_waitcnt vmcnt(0) lgkmcnt(0)
	v_mov_b32_e32 v1, v19
	v_mov_b32_e32 v2, v20
	;; [unrolled: 1-line block ×3, first 2 shown]
	s_or_b32 exec_lo, exec_lo, s4
	s_and_saveexec_b32 s4, s2
	s_cbranch_execz .LBB1751_15
.LBB1751_95:
	v_add_co_u32 v13, vcc_lo, v8, v12
	v_add_co_ci_u32_e64 v14, null, 0, v15, vcc_lo
	flat_load_dword v2, v[13:14] offset:1024
	s_or_b32 exec_lo, exec_lo, s4
	v_mul_u32_u24_e32 v19, 3, v0
	s_and_saveexec_b32 s2, s3
	s_cbranch_execnz .LBB1751_16
	s_branch .LBB1751_17
	.section	.rodata,"a",@progbits
	.p2align	6, 0x0
	.amdhsa_kernel _ZN7rocprim17ROCPRIM_400000_NS6detail17trampoline_kernelINS0_14default_configENS1_27scan_by_key_config_selectorIiiEEZZNS1_16scan_by_key_implILNS1_25lookback_scan_determinismE0ELb1ES3_N6thrust23THRUST_200600_302600_NS6detail15normal_iteratorINS9_10device_ptrIiEEEENSB_INSC_IjEEEENSB_INSC_IfEEEEiNS9_4plusIvEENS9_8equal_toIvEEiEE10hipError_tPvRmT2_T3_T4_T5_mT6_T7_P12ihipStream_tbENKUlT_T0_E_clISt17integral_constantIbLb0EES12_IbLb1EEEEDaSY_SZ_EUlSY_E_NS1_11comp_targetILNS1_3genE8ELNS1_11target_archE1030ELNS1_3gpuE2ELNS1_3repE0EEENS1_30default_config_static_selectorELNS0_4arch9wavefront6targetE0EEEvT1_
		.amdhsa_group_segment_fixed_size 5120
		.amdhsa_private_segment_fixed_size 0
		.amdhsa_kernarg_size 112
		.amdhsa_user_sgpr_count 6
		.amdhsa_user_sgpr_private_segment_buffer 1
		.amdhsa_user_sgpr_dispatch_ptr 0
		.amdhsa_user_sgpr_queue_ptr 0
		.amdhsa_user_sgpr_kernarg_segment_ptr 1
		.amdhsa_user_sgpr_dispatch_id 0
		.amdhsa_user_sgpr_flat_scratch_init 0
		.amdhsa_user_sgpr_private_segment_size 0
		.amdhsa_wavefront_size32 1
		.amdhsa_uses_dynamic_stack 0
		.amdhsa_system_sgpr_private_segment_wavefront_offset 0
		.amdhsa_system_sgpr_workgroup_id_x 1
		.amdhsa_system_sgpr_workgroup_id_y 0
		.amdhsa_system_sgpr_workgroup_id_z 0
		.amdhsa_system_sgpr_workgroup_info 0
		.amdhsa_system_vgpr_workitem_id 0
		.amdhsa_next_free_vgpr 44
		.amdhsa_next_free_sgpr 24
		.amdhsa_reserve_vcc 1
		.amdhsa_reserve_flat_scratch 1
		.amdhsa_float_round_mode_32 0
		.amdhsa_float_round_mode_16_64 0
		.amdhsa_float_denorm_mode_32 3
		.amdhsa_float_denorm_mode_16_64 3
		.amdhsa_dx10_clamp 1
		.amdhsa_ieee_mode 1
		.amdhsa_fp16_overflow 0
		.amdhsa_workgroup_processor_mode 1
		.amdhsa_memory_ordered 1
		.amdhsa_forward_progress 1
		.amdhsa_shared_vgpr_count 0
		.amdhsa_exception_fp_ieee_invalid_op 0
		.amdhsa_exception_fp_denorm_src 0
		.amdhsa_exception_fp_ieee_div_zero 0
		.amdhsa_exception_fp_ieee_overflow 0
		.amdhsa_exception_fp_ieee_underflow 0
		.amdhsa_exception_fp_ieee_inexact 0
		.amdhsa_exception_int_div_zero 0
	.end_amdhsa_kernel
	.section	.text._ZN7rocprim17ROCPRIM_400000_NS6detail17trampoline_kernelINS0_14default_configENS1_27scan_by_key_config_selectorIiiEEZZNS1_16scan_by_key_implILNS1_25lookback_scan_determinismE0ELb1ES3_N6thrust23THRUST_200600_302600_NS6detail15normal_iteratorINS9_10device_ptrIiEEEENSB_INSC_IjEEEENSB_INSC_IfEEEEiNS9_4plusIvEENS9_8equal_toIvEEiEE10hipError_tPvRmT2_T3_T4_T5_mT6_T7_P12ihipStream_tbENKUlT_T0_E_clISt17integral_constantIbLb0EES12_IbLb1EEEEDaSY_SZ_EUlSY_E_NS1_11comp_targetILNS1_3genE8ELNS1_11target_archE1030ELNS1_3gpuE2ELNS1_3repE0EEENS1_30default_config_static_selectorELNS0_4arch9wavefront6targetE0EEEvT1_,"axG",@progbits,_ZN7rocprim17ROCPRIM_400000_NS6detail17trampoline_kernelINS0_14default_configENS1_27scan_by_key_config_selectorIiiEEZZNS1_16scan_by_key_implILNS1_25lookback_scan_determinismE0ELb1ES3_N6thrust23THRUST_200600_302600_NS6detail15normal_iteratorINS9_10device_ptrIiEEEENSB_INSC_IjEEEENSB_INSC_IfEEEEiNS9_4plusIvEENS9_8equal_toIvEEiEE10hipError_tPvRmT2_T3_T4_T5_mT6_T7_P12ihipStream_tbENKUlT_T0_E_clISt17integral_constantIbLb0EES12_IbLb1EEEEDaSY_SZ_EUlSY_E_NS1_11comp_targetILNS1_3genE8ELNS1_11target_archE1030ELNS1_3gpuE2ELNS1_3repE0EEENS1_30default_config_static_selectorELNS0_4arch9wavefront6targetE0EEEvT1_,comdat
.Lfunc_end1751:
	.size	_ZN7rocprim17ROCPRIM_400000_NS6detail17trampoline_kernelINS0_14default_configENS1_27scan_by_key_config_selectorIiiEEZZNS1_16scan_by_key_implILNS1_25lookback_scan_determinismE0ELb1ES3_N6thrust23THRUST_200600_302600_NS6detail15normal_iteratorINS9_10device_ptrIiEEEENSB_INSC_IjEEEENSB_INSC_IfEEEEiNS9_4plusIvEENS9_8equal_toIvEEiEE10hipError_tPvRmT2_T3_T4_T5_mT6_T7_P12ihipStream_tbENKUlT_T0_E_clISt17integral_constantIbLb0EES12_IbLb1EEEEDaSY_SZ_EUlSY_E_NS1_11comp_targetILNS1_3genE8ELNS1_11target_archE1030ELNS1_3gpuE2ELNS1_3repE0EEENS1_30default_config_static_selectorELNS0_4arch9wavefront6targetE0EEEvT1_, .Lfunc_end1751-_ZN7rocprim17ROCPRIM_400000_NS6detail17trampoline_kernelINS0_14default_configENS1_27scan_by_key_config_selectorIiiEEZZNS1_16scan_by_key_implILNS1_25lookback_scan_determinismE0ELb1ES3_N6thrust23THRUST_200600_302600_NS6detail15normal_iteratorINS9_10device_ptrIiEEEENSB_INSC_IjEEEENSB_INSC_IfEEEEiNS9_4plusIvEENS9_8equal_toIvEEiEE10hipError_tPvRmT2_T3_T4_T5_mT6_T7_P12ihipStream_tbENKUlT_T0_E_clISt17integral_constantIbLb0EES12_IbLb1EEEEDaSY_SZ_EUlSY_E_NS1_11comp_targetILNS1_3genE8ELNS1_11target_archE1030ELNS1_3gpuE2ELNS1_3repE0EEENS1_30default_config_static_selectorELNS0_4arch9wavefront6targetE0EEEvT1_
                                        ; -- End function
	.set _ZN7rocprim17ROCPRIM_400000_NS6detail17trampoline_kernelINS0_14default_configENS1_27scan_by_key_config_selectorIiiEEZZNS1_16scan_by_key_implILNS1_25lookback_scan_determinismE0ELb1ES3_N6thrust23THRUST_200600_302600_NS6detail15normal_iteratorINS9_10device_ptrIiEEEENSB_INSC_IjEEEENSB_INSC_IfEEEEiNS9_4plusIvEENS9_8equal_toIvEEiEE10hipError_tPvRmT2_T3_T4_T5_mT6_T7_P12ihipStream_tbENKUlT_T0_E_clISt17integral_constantIbLb0EES12_IbLb1EEEEDaSY_SZ_EUlSY_E_NS1_11comp_targetILNS1_3genE8ELNS1_11target_archE1030ELNS1_3gpuE2ELNS1_3repE0EEENS1_30default_config_static_selectorELNS0_4arch9wavefront6targetE0EEEvT1_.num_vgpr, 44
	.set _ZN7rocprim17ROCPRIM_400000_NS6detail17trampoline_kernelINS0_14default_configENS1_27scan_by_key_config_selectorIiiEEZZNS1_16scan_by_key_implILNS1_25lookback_scan_determinismE0ELb1ES3_N6thrust23THRUST_200600_302600_NS6detail15normal_iteratorINS9_10device_ptrIiEEEENSB_INSC_IjEEEENSB_INSC_IfEEEEiNS9_4plusIvEENS9_8equal_toIvEEiEE10hipError_tPvRmT2_T3_T4_T5_mT6_T7_P12ihipStream_tbENKUlT_T0_E_clISt17integral_constantIbLb0EES12_IbLb1EEEEDaSY_SZ_EUlSY_E_NS1_11comp_targetILNS1_3genE8ELNS1_11target_archE1030ELNS1_3gpuE2ELNS1_3repE0EEENS1_30default_config_static_selectorELNS0_4arch9wavefront6targetE0EEEvT1_.num_agpr, 0
	.set _ZN7rocprim17ROCPRIM_400000_NS6detail17trampoline_kernelINS0_14default_configENS1_27scan_by_key_config_selectorIiiEEZZNS1_16scan_by_key_implILNS1_25lookback_scan_determinismE0ELb1ES3_N6thrust23THRUST_200600_302600_NS6detail15normal_iteratorINS9_10device_ptrIiEEEENSB_INSC_IjEEEENSB_INSC_IfEEEEiNS9_4plusIvEENS9_8equal_toIvEEiEE10hipError_tPvRmT2_T3_T4_T5_mT6_T7_P12ihipStream_tbENKUlT_T0_E_clISt17integral_constantIbLb0EES12_IbLb1EEEEDaSY_SZ_EUlSY_E_NS1_11comp_targetILNS1_3genE8ELNS1_11target_archE1030ELNS1_3gpuE2ELNS1_3repE0EEENS1_30default_config_static_selectorELNS0_4arch9wavefront6targetE0EEEvT1_.numbered_sgpr, 24
	.set _ZN7rocprim17ROCPRIM_400000_NS6detail17trampoline_kernelINS0_14default_configENS1_27scan_by_key_config_selectorIiiEEZZNS1_16scan_by_key_implILNS1_25lookback_scan_determinismE0ELb1ES3_N6thrust23THRUST_200600_302600_NS6detail15normal_iteratorINS9_10device_ptrIiEEEENSB_INSC_IjEEEENSB_INSC_IfEEEEiNS9_4plusIvEENS9_8equal_toIvEEiEE10hipError_tPvRmT2_T3_T4_T5_mT6_T7_P12ihipStream_tbENKUlT_T0_E_clISt17integral_constantIbLb0EES12_IbLb1EEEEDaSY_SZ_EUlSY_E_NS1_11comp_targetILNS1_3genE8ELNS1_11target_archE1030ELNS1_3gpuE2ELNS1_3repE0EEENS1_30default_config_static_selectorELNS0_4arch9wavefront6targetE0EEEvT1_.num_named_barrier, 0
	.set _ZN7rocprim17ROCPRIM_400000_NS6detail17trampoline_kernelINS0_14default_configENS1_27scan_by_key_config_selectorIiiEEZZNS1_16scan_by_key_implILNS1_25lookback_scan_determinismE0ELb1ES3_N6thrust23THRUST_200600_302600_NS6detail15normal_iteratorINS9_10device_ptrIiEEEENSB_INSC_IjEEEENSB_INSC_IfEEEEiNS9_4plusIvEENS9_8equal_toIvEEiEE10hipError_tPvRmT2_T3_T4_T5_mT6_T7_P12ihipStream_tbENKUlT_T0_E_clISt17integral_constantIbLb0EES12_IbLb1EEEEDaSY_SZ_EUlSY_E_NS1_11comp_targetILNS1_3genE8ELNS1_11target_archE1030ELNS1_3gpuE2ELNS1_3repE0EEENS1_30default_config_static_selectorELNS0_4arch9wavefront6targetE0EEEvT1_.private_seg_size, 0
	.set _ZN7rocprim17ROCPRIM_400000_NS6detail17trampoline_kernelINS0_14default_configENS1_27scan_by_key_config_selectorIiiEEZZNS1_16scan_by_key_implILNS1_25lookback_scan_determinismE0ELb1ES3_N6thrust23THRUST_200600_302600_NS6detail15normal_iteratorINS9_10device_ptrIiEEEENSB_INSC_IjEEEENSB_INSC_IfEEEEiNS9_4plusIvEENS9_8equal_toIvEEiEE10hipError_tPvRmT2_T3_T4_T5_mT6_T7_P12ihipStream_tbENKUlT_T0_E_clISt17integral_constantIbLb0EES12_IbLb1EEEEDaSY_SZ_EUlSY_E_NS1_11comp_targetILNS1_3genE8ELNS1_11target_archE1030ELNS1_3gpuE2ELNS1_3repE0EEENS1_30default_config_static_selectorELNS0_4arch9wavefront6targetE0EEEvT1_.uses_vcc, 1
	.set _ZN7rocprim17ROCPRIM_400000_NS6detail17trampoline_kernelINS0_14default_configENS1_27scan_by_key_config_selectorIiiEEZZNS1_16scan_by_key_implILNS1_25lookback_scan_determinismE0ELb1ES3_N6thrust23THRUST_200600_302600_NS6detail15normal_iteratorINS9_10device_ptrIiEEEENSB_INSC_IjEEEENSB_INSC_IfEEEEiNS9_4plusIvEENS9_8equal_toIvEEiEE10hipError_tPvRmT2_T3_T4_T5_mT6_T7_P12ihipStream_tbENKUlT_T0_E_clISt17integral_constantIbLb0EES12_IbLb1EEEEDaSY_SZ_EUlSY_E_NS1_11comp_targetILNS1_3genE8ELNS1_11target_archE1030ELNS1_3gpuE2ELNS1_3repE0EEENS1_30default_config_static_selectorELNS0_4arch9wavefront6targetE0EEEvT1_.uses_flat_scratch, 1
	.set _ZN7rocprim17ROCPRIM_400000_NS6detail17trampoline_kernelINS0_14default_configENS1_27scan_by_key_config_selectorIiiEEZZNS1_16scan_by_key_implILNS1_25lookback_scan_determinismE0ELb1ES3_N6thrust23THRUST_200600_302600_NS6detail15normal_iteratorINS9_10device_ptrIiEEEENSB_INSC_IjEEEENSB_INSC_IfEEEEiNS9_4plusIvEENS9_8equal_toIvEEiEE10hipError_tPvRmT2_T3_T4_T5_mT6_T7_P12ihipStream_tbENKUlT_T0_E_clISt17integral_constantIbLb0EES12_IbLb1EEEEDaSY_SZ_EUlSY_E_NS1_11comp_targetILNS1_3genE8ELNS1_11target_archE1030ELNS1_3gpuE2ELNS1_3repE0EEENS1_30default_config_static_selectorELNS0_4arch9wavefront6targetE0EEEvT1_.has_dyn_sized_stack, 0
	.set _ZN7rocprim17ROCPRIM_400000_NS6detail17trampoline_kernelINS0_14default_configENS1_27scan_by_key_config_selectorIiiEEZZNS1_16scan_by_key_implILNS1_25lookback_scan_determinismE0ELb1ES3_N6thrust23THRUST_200600_302600_NS6detail15normal_iteratorINS9_10device_ptrIiEEEENSB_INSC_IjEEEENSB_INSC_IfEEEEiNS9_4plusIvEENS9_8equal_toIvEEiEE10hipError_tPvRmT2_T3_T4_T5_mT6_T7_P12ihipStream_tbENKUlT_T0_E_clISt17integral_constantIbLb0EES12_IbLb1EEEEDaSY_SZ_EUlSY_E_NS1_11comp_targetILNS1_3genE8ELNS1_11target_archE1030ELNS1_3gpuE2ELNS1_3repE0EEENS1_30default_config_static_selectorELNS0_4arch9wavefront6targetE0EEEvT1_.has_recursion, 0
	.set _ZN7rocprim17ROCPRIM_400000_NS6detail17trampoline_kernelINS0_14default_configENS1_27scan_by_key_config_selectorIiiEEZZNS1_16scan_by_key_implILNS1_25lookback_scan_determinismE0ELb1ES3_N6thrust23THRUST_200600_302600_NS6detail15normal_iteratorINS9_10device_ptrIiEEEENSB_INSC_IjEEEENSB_INSC_IfEEEEiNS9_4plusIvEENS9_8equal_toIvEEiEE10hipError_tPvRmT2_T3_T4_T5_mT6_T7_P12ihipStream_tbENKUlT_T0_E_clISt17integral_constantIbLb0EES12_IbLb1EEEEDaSY_SZ_EUlSY_E_NS1_11comp_targetILNS1_3genE8ELNS1_11target_archE1030ELNS1_3gpuE2ELNS1_3repE0EEENS1_30default_config_static_selectorELNS0_4arch9wavefront6targetE0EEEvT1_.has_indirect_call, 0
	.section	.AMDGPU.csdata,"",@progbits
; Kernel info:
; codeLenInByte = 6368
; TotalNumSgprs: 26
; NumVgprs: 44
; ScratchSize: 0
; MemoryBound: 0
; FloatMode: 240
; IeeeMode: 1
; LDSByteSize: 5120 bytes/workgroup (compile time only)
; SGPRBlocks: 0
; VGPRBlocks: 5
; NumSGPRsForWavesPerEU: 26
; NumVGPRsForWavesPerEU: 44
; Occupancy: 16
; WaveLimiterHint : 1
; COMPUTE_PGM_RSRC2:SCRATCH_EN: 0
; COMPUTE_PGM_RSRC2:USER_SGPR: 6
; COMPUTE_PGM_RSRC2:TRAP_HANDLER: 0
; COMPUTE_PGM_RSRC2:TGID_X_EN: 1
; COMPUTE_PGM_RSRC2:TGID_Y_EN: 0
; COMPUTE_PGM_RSRC2:TGID_Z_EN: 0
; COMPUTE_PGM_RSRC2:TIDIG_COMP_CNT: 0
	.section	.text._ZN7rocprim17ROCPRIM_400000_NS6detail17trampoline_kernelINS0_14default_configENS1_27scan_by_key_config_selectorIiiEEZZNS1_16scan_by_key_implILNS1_25lookback_scan_determinismE0ELb1ES3_N6thrust23THRUST_200600_302600_NS6detail15normal_iteratorINS9_10device_ptrIiEEEENSB_INSC_IjEEEESE_iNS9_4plusIvEENS9_8equal_toIvEEiEE10hipError_tPvRmT2_T3_T4_T5_mT6_T7_P12ihipStream_tbENKUlT_T0_E_clISt17integral_constantIbLb0EES11_EEDaSW_SX_EUlSW_E_NS1_11comp_targetILNS1_3genE0ELNS1_11target_archE4294967295ELNS1_3gpuE0ELNS1_3repE0EEENS1_30default_config_static_selectorELNS0_4arch9wavefront6targetE0EEEvT1_,"axG",@progbits,_ZN7rocprim17ROCPRIM_400000_NS6detail17trampoline_kernelINS0_14default_configENS1_27scan_by_key_config_selectorIiiEEZZNS1_16scan_by_key_implILNS1_25lookback_scan_determinismE0ELb1ES3_N6thrust23THRUST_200600_302600_NS6detail15normal_iteratorINS9_10device_ptrIiEEEENSB_INSC_IjEEEESE_iNS9_4plusIvEENS9_8equal_toIvEEiEE10hipError_tPvRmT2_T3_T4_T5_mT6_T7_P12ihipStream_tbENKUlT_T0_E_clISt17integral_constantIbLb0EES11_EEDaSW_SX_EUlSW_E_NS1_11comp_targetILNS1_3genE0ELNS1_11target_archE4294967295ELNS1_3gpuE0ELNS1_3repE0EEENS1_30default_config_static_selectorELNS0_4arch9wavefront6targetE0EEEvT1_,comdat
	.protected	_ZN7rocprim17ROCPRIM_400000_NS6detail17trampoline_kernelINS0_14default_configENS1_27scan_by_key_config_selectorIiiEEZZNS1_16scan_by_key_implILNS1_25lookback_scan_determinismE0ELb1ES3_N6thrust23THRUST_200600_302600_NS6detail15normal_iteratorINS9_10device_ptrIiEEEENSB_INSC_IjEEEESE_iNS9_4plusIvEENS9_8equal_toIvEEiEE10hipError_tPvRmT2_T3_T4_T5_mT6_T7_P12ihipStream_tbENKUlT_T0_E_clISt17integral_constantIbLb0EES11_EEDaSW_SX_EUlSW_E_NS1_11comp_targetILNS1_3genE0ELNS1_11target_archE4294967295ELNS1_3gpuE0ELNS1_3repE0EEENS1_30default_config_static_selectorELNS0_4arch9wavefront6targetE0EEEvT1_ ; -- Begin function _ZN7rocprim17ROCPRIM_400000_NS6detail17trampoline_kernelINS0_14default_configENS1_27scan_by_key_config_selectorIiiEEZZNS1_16scan_by_key_implILNS1_25lookback_scan_determinismE0ELb1ES3_N6thrust23THRUST_200600_302600_NS6detail15normal_iteratorINS9_10device_ptrIiEEEENSB_INSC_IjEEEESE_iNS9_4plusIvEENS9_8equal_toIvEEiEE10hipError_tPvRmT2_T3_T4_T5_mT6_T7_P12ihipStream_tbENKUlT_T0_E_clISt17integral_constantIbLb0EES11_EEDaSW_SX_EUlSW_E_NS1_11comp_targetILNS1_3genE0ELNS1_11target_archE4294967295ELNS1_3gpuE0ELNS1_3repE0EEENS1_30default_config_static_selectorELNS0_4arch9wavefront6targetE0EEEvT1_
	.globl	_ZN7rocprim17ROCPRIM_400000_NS6detail17trampoline_kernelINS0_14default_configENS1_27scan_by_key_config_selectorIiiEEZZNS1_16scan_by_key_implILNS1_25lookback_scan_determinismE0ELb1ES3_N6thrust23THRUST_200600_302600_NS6detail15normal_iteratorINS9_10device_ptrIiEEEENSB_INSC_IjEEEESE_iNS9_4plusIvEENS9_8equal_toIvEEiEE10hipError_tPvRmT2_T3_T4_T5_mT6_T7_P12ihipStream_tbENKUlT_T0_E_clISt17integral_constantIbLb0EES11_EEDaSW_SX_EUlSW_E_NS1_11comp_targetILNS1_3genE0ELNS1_11target_archE4294967295ELNS1_3gpuE0ELNS1_3repE0EEENS1_30default_config_static_selectorELNS0_4arch9wavefront6targetE0EEEvT1_
	.p2align	8
	.type	_ZN7rocprim17ROCPRIM_400000_NS6detail17trampoline_kernelINS0_14default_configENS1_27scan_by_key_config_selectorIiiEEZZNS1_16scan_by_key_implILNS1_25lookback_scan_determinismE0ELb1ES3_N6thrust23THRUST_200600_302600_NS6detail15normal_iteratorINS9_10device_ptrIiEEEENSB_INSC_IjEEEESE_iNS9_4plusIvEENS9_8equal_toIvEEiEE10hipError_tPvRmT2_T3_T4_T5_mT6_T7_P12ihipStream_tbENKUlT_T0_E_clISt17integral_constantIbLb0EES11_EEDaSW_SX_EUlSW_E_NS1_11comp_targetILNS1_3genE0ELNS1_11target_archE4294967295ELNS1_3gpuE0ELNS1_3repE0EEENS1_30default_config_static_selectorELNS0_4arch9wavefront6targetE0EEEvT1_,@function
_ZN7rocprim17ROCPRIM_400000_NS6detail17trampoline_kernelINS0_14default_configENS1_27scan_by_key_config_selectorIiiEEZZNS1_16scan_by_key_implILNS1_25lookback_scan_determinismE0ELb1ES3_N6thrust23THRUST_200600_302600_NS6detail15normal_iteratorINS9_10device_ptrIiEEEENSB_INSC_IjEEEESE_iNS9_4plusIvEENS9_8equal_toIvEEiEE10hipError_tPvRmT2_T3_T4_T5_mT6_T7_P12ihipStream_tbENKUlT_T0_E_clISt17integral_constantIbLb0EES11_EEDaSW_SX_EUlSW_E_NS1_11comp_targetILNS1_3genE0ELNS1_11target_archE4294967295ELNS1_3gpuE0ELNS1_3repE0EEENS1_30default_config_static_selectorELNS0_4arch9wavefront6targetE0EEEvT1_: ; @_ZN7rocprim17ROCPRIM_400000_NS6detail17trampoline_kernelINS0_14default_configENS1_27scan_by_key_config_selectorIiiEEZZNS1_16scan_by_key_implILNS1_25lookback_scan_determinismE0ELb1ES3_N6thrust23THRUST_200600_302600_NS6detail15normal_iteratorINS9_10device_ptrIiEEEENSB_INSC_IjEEEESE_iNS9_4plusIvEENS9_8equal_toIvEEiEE10hipError_tPvRmT2_T3_T4_T5_mT6_T7_P12ihipStream_tbENKUlT_T0_E_clISt17integral_constantIbLb0EES11_EEDaSW_SX_EUlSW_E_NS1_11comp_targetILNS1_3genE0ELNS1_11target_archE4294967295ELNS1_3gpuE0ELNS1_3repE0EEENS1_30default_config_static_selectorELNS0_4arch9wavefront6targetE0EEEvT1_
; %bb.0:
	.section	.rodata,"a",@progbits
	.p2align	6, 0x0
	.amdhsa_kernel _ZN7rocprim17ROCPRIM_400000_NS6detail17trampoline_kernelINS0_14default_configENS1_27scan_by_key_config_selectorIiiEEZZNS1_16scan_by_key_implILNS1_25lookback_scan_determinismE0ELb1ES3_N6thrust23THRUST_200600_302600_NS6detail15normal_iteratorINS9_10device_ptrIiEEEENSB_INSC_IjEEEESE_iNS9_4plusIvEENS9_8equal_toIvEEiEE10hipError_tPvRmT2_T3_T4_T5_mT6_T7_P12ihipStream_tbENKUlT_T0_E_clISt17integral_constantIbLb0EES11_EEDaSW_SX_EUlSW_E_NS1_11comp_targetILNS1_3genE0ELNS1_11target_archE4294967295ELNS1_3gpuE0ELNS1_3repE0EEENS1_30default_config_static_selectorELNS0_4arch9wavefront6targetE0EEEvT1_
		.amdhsa_group_segment_fixed_size 0
		.amdhsa_private_segment_fixed_size 0
		.amdhsa_kernarg_size 112
		.amdhsa_user_sgpr_count 6
		.amdhsa_user_sgpr_private_segment_buffer 1
		.amdhsa_user_sgpr_dispatch_ptr 0
		.amdhsa_user_sgpr_queue_ptr 0
		.amdhsa_user_sgpr_kernarg_segment_ptr 1
		.amdhsa_user_sgpr_dispatch_id 0
		.amdhsa_user_sgpr_flat_scratch_init 0
		.amdhsa_user_sgpr_private_segment_size 0
		.amdhsa_wavefront_size32 1
		.amdhsa_uses_dynamic_stack 0
		.amdhsa_system_sgpr_private_segment_wavefront_offset 0
		.amdhsa_system_sgpr_workgroup_id_x 1
		.amdhsa_system_sgpr_workgroup_id_y 0
		.amdhsa_system_sgpr_workgroup_id_z 0
		.amdhsa_system_sgpr_workgroup_info 0
		.amdhsa_system_vgpr_workitem_id 0
		.amdhsa_next_free_vgpr 1
		.amdhsa_next_free_sgpr 1
		.amdhsa_reserve_vcc 0
		.amdhsa_reserve_flat_scratch 0
		.amdhsa_float_round_mode_32 0
		.amdhsa_float_round_mode_16_64 0
		.amdhsa_float_denorm_mode_32 3
		.amdhsa_float_denorm_mode_16_64 3
		.amdhsa_dx10_clamp 1
		.amdhsa_ieee_mode 1
		.amdhsa_fp16_overflow 0
		.amdhsa_workgroup_processor_mode 1
		.amdhsa_memory_ordered 1
		.amdhsa_forward_progress 1
		.amdhsa_shared_vgpr_count 0
		.amdhsa_exception_fp_ieee_invalid_op 0
		.amdhsa_exception_fp_denorm_src 0
		.amdhsa_exception_fp_ieee_div_zero 0
		.amdhsa_exception_fp_ieee_overflow 0
		.amdhsa_exception_fp_ieee_underflow 0
		.amdhsa_exception_fp_ieee_inexact 0
		.amdhsa_exception_int_div_zero 0
	.end_amdhsa_kernel
	.section	.text._ZN7rocprim17ROCPRIM_400000_NS6detail17trampoline_kernelINS0_14default_configENS1_27scan_by_key_config_selectorIiiEEZZNS1_16scan_by_key_implILNS1_25lookback_scan_determinismE0ELb1ES3_N6thrust23THRUST_200600_302600_NS6detail15normal_iteratorINS9_10device_ptrIiEEEENSB_INSC_IjEEEESE_iNS9_4plusIvEENS9_8equal_toIvEEiEE10hipError_tPvRmT2_T3_T4_T5_mT6_T7_P12ihipStream_tbENKUlT_T0_E_clISt17integral_constantIbLb0EES11_EEDaSW_SX_EUlSW_E_NS1_11comp_targetILNS1_3genE0ELNS1_11target_archE4294967295ELNS1_3gpuE0ELNS1_3repE0EEENS1_30default_config_static_selectorELNS0_4arch9wavefront6targetE0EEEvT1_,"axG",@progbits,_ZN7rocprim17ROCPRIM_400000_NS6detail17trampoline_kernelINS0_14default_configENS1_27scan_by_key_config_selectorIiiEEZZNS1_16scan_by_key_implILNS1_25lookback_scan_determinismE0ELb1ES3_N6thrust23THRUST_200600_302600_NS6detail15normal_iteratorINS9_10device_ptrIiEEEENSB_INSC_IjEEEESE_iNS9_4plusIvEENS9_8equal_toIvEEiEE10hipError_tPvRmT2_T3_T4_T5_mT6_T7_P12ihipStream_tbENKUlT_T0_E_clISt17integral_constantIbLb0EES11_EEDaSW_SX_EUlSW_E_NS1_11comp_targetILNS1_3genE0ELNS1_11target_archE4294967295ELNS1_3gpuE0ELNS1_3repE0EEENS1_30default_config_static_selectorELNS0_4arch9wavefront6targetE0EEEvT1_,comdat
.Lfunc_end1752:
	.size	_ZN7rocprim17ROCPRIM_400000_NS6detail17trampoline_kernelINS0_14default_configENS1_27scan_by_key_config_selectorIiiEEZZNS1_16scan_by_key_implILNS1_25lookback_scan_determinismE0ELb1ES3_N6thrust23THRUST_200600_302600_NS6detail15normal_iteratorINS9_10device_ptrIiEEEENSB_INSC_IjEEEESE_iNS9_4plusIvEENS9_8equal_toIvEEiEE10hipError_tPvRmT2_T3_T4_T5_mT6_T7_P12ihipStream_tbENKUlT_T0_E_clISt17integral_constantIbLb0EES11_EEDaSW_SX_EUlSW_E_NS1_11comp_targetILNS1_3genE0ELNS1_11target_archE4294967295ELNS1_3gpuE0ELNS1_3repE0EEENS1_30default_config_static_selectorELNS0_4arch9wavefront6targetE0EEEvT1_, .Lfunc_end1752-_ZN7rocprim17ROCPRIM_400000_NS6detail17trampoline_kernelINS0_14default_configENS1_27scan_by_key_config_selectorIiiEEZZNS1_16scan_by_key_implILNS1_25lookback_scan_determinismE0ELb1ES3_N6thrust23THRUST_200600_302600_NS6detail15normal_iteratorINS9_10device_ptrIiEEEENSB_INSC_IjEEEESE_iNS9_4plusIvEENS9_8equal_toIvEEiEE10hipError_tPvRmT2_T3_T4_T5_mT6_T7_P12ihipStream_tbENKUlT_T0_E_clISt17integral_constantIbLb0EES11_EEDaSW_SX_EUlSW_E_NS1_11comp_targetILNS1_3genE0ELNS1_11target_archE4294967295ELNS1_3gpuE0ELNS1_3repE0EEENS1_30default_config_static_selectorELNS0_4arch9wavefront6targetE0EEEvT1_
                                        ; -- End function
	.set _ZN7rocprim17ROCPRIM_400000_NS6detail17trampoline_kernelINS0_14default_configENS1_27scan_by_key_config_selectorIiiEEZZNS1_16scan_by_key_implILNS1_25lookback_scan_determinismE0ELb1ES3_N6thrust23THRUST_200600_302600_NS6detail15normal_iteratorINS9_10device_ptrIiEEEENSB_INSC_IjEEEESE_iNS9_4plusIvEENS9_8equal_toIvEEiEE10hipError_tPvRmT2_T3_T4_T5_mT6_T7_P12ihipStream_tbENKUlT_T0_E_clISt17integral_constantIbLb0EES11_EEDaSW_SX_EUlSW_E_NS1_11comp_targetILNS1_3genE0ELNS1_11target_archE4294967295ELNS1_3gpuE0ELNS1_3repE0EEENS1_30default_config_static_selectorELNS0_4arch9wavefront6targetE0EEEvT1_.num_vgpr, 0
	.set _ZN7rocprim17ROCPRIM_400000_NS6detail17trampoline_kernelINS0_14default_configENS1_27scan_by_key_config_selectorIiiEEZZNS1_16scan_by_key_implILNS1_25lookback_scan_determinismE0ELb1ES3_N6thrust23THRUST_200600_302600_NS6detail15normal_iteratorINS9_10device_ptrIiEEEENSB_INSC_IjEEEESE_iNS9_4plusIvEENS9_8equal_toIvEEiEE10hipError_tPvRmT2_T3_T4_T5_mT6_T7_P12ihipStream_tbENKUlT_T0_E_clISt17integral_constantIbLb0EES11_EEDaSW_SX_EUlSW_E_NS1_11comp_targetILNS1_3genE0ELNS1_11target_archE4294967295ELNS1_3gpuE0ELNS1_3repE0EEENS1_30default_config_static_selectorELNS0_4arch9wavefront6targetE0EEEvT1_.num_agpr, 0
	.set _ZN7rocprim17ROCPRIM_400000_NS6detail17trampoline_kernelINS0_14default_configENS1_27scan_by_key_config_selectorIiiEEZZNS1_16scan_by_key_implILNS1_25lookback_scan_determinismE0ELb1ES3_N6thrust23THRUST_200600_302600_NS6detail15normal_iteratorINS9_10device_ptrIiEEEENSB_INSC_IjEEEESE_iNS9_4plusIvEENS9_8equal_toIvEEiEE10hipError_tPvRmT2_T3_T4_T5_mT6_T7_P12ihipStream_tbENKUlT_T0_E_clISt17integral_constantIbLb0EES11_EEDaSW_SX_EUlSW_E_NS1_11comp_targetILNS1_3genE0ELNS1_11target_archE4294967295ELNS1_3gpuE0ELNS1_3repE0EEENS1_30default_config_static_selectorELNS0_4arch9wavefront6targetE0EEEvT1_.numbered_sgpr, 0
	.set _ZN7rocprim17ROCPRIM_400000_NS6detail17trampoline_kernelINS0_14default_configENS1_27scan_by_key_config_selectorIiiEEZZNS1_16scan_by_key_implILNS1_25lookback_scan_determinismE0ELb1ES3_N6thrust23THRUST_200600_302600_NS6detail15normal_iteratorINS9_10device_ptrIiEEEENSB_INSC_IjEEEESE_iNS9_4plusIvEENS9_8equal_toIvEEiEE10hipError_tPvRmT2_T3_T4_T5_mT6_T7_P12ihipStream_tbENKUlT_T0_E_clISt17integral_constantIbLb0EES11_EEDaSW_SX_EUlSW_E_NS1_11comp_targetILNS1_3genE0ELNS1_11target_archE4294967295ELNS1_3gpuE0ELNS1_3repE0EEENS1_30default_config_static_selectorELNS0_4arch9wavefront6targetE0EEEvT1_.num_named_barrier, 0
	.set _ZN7rocprim17ROCPRIM_400000_NS6detail17trampoline_kernelINS0_14default_configENS1_27scan_by_key_config_selectorIiiEEZZNS1_16scan_by_key_implILNS1_25lookback_scan_determinismE0ELb1ES3_N6thrust23THRUST_200600_302600_NS6detail15normal_iteratorINS9_10device_ptrIiEEEENSB_INSC_IjEEEESE_iNS9_4plusIvEENS9_8equal_toIvEEiEE10hipError_tPvRmT2_T3_T4_T5_mT6_T7_P12ihipStream_tbENKUlT_T0_E_clISt17integral_constantIbLb0EES11_EEDaSW_SX_EUlSW_E_NS1_11comp_targetILNS1_3genE0ELNS1_11target_archE4294967295ELNS1_3gpuE0ELNS1_3repE0EEENS1_30default_config_static_selectorELNS0_4arch9wavefront6targetE0EEEvT1_.private_seg_size, 0
	.set _ZN7rocprim17ROCPRIM_400000_NS6detail17trampoline_kernelINS0_14default_configENS1_27scan_by_key_config_selectorIiiEEZZNS1_16scan_by_key_implILNS1_25lookback_scan_determinismE0ELb1ES3_N6thrust23THRUST_200600_302600_NS6detail15normal_iteratorINS9_10device_ptrIiEEEENSB_INSC_IjEEEESE_iNS9_4plusIvEENS9_8equal_toIvEEiEE10hipError_tPvRmT2_T3_T4_T5_mT6_T7_P12ihipStream_tbENKUlT_T0_E_clISt17integral_constantIbLb0EES11_EEDaSW_SX_EUlSW_E_NS1_11comp_targetILNS1_3genE0ELNS1_11target_archE4294967295ELNS1_3gpuE0ELNS1_3repE0EEENS1_30default_config_static_selectorELNS0_4arch9wavefront6targetE0EEEvT1_.uses_vcc, 0
	.set _ZN7rocprim17ROCPRIM_400000_NS6detail17trampoline_kernelINS0_14default_configENS1_27scan_by_key_config_selectorIiiEEZZNS1_16scan_by_key_implILNS1_25lookback_scan_determinismE0ELb1ES3_N6thrust23THRUST_200600_302600_NS6detail15normal_iteratorINS9_10device_ptrIiEEEENSB_INSC_IjEEEESE_iNS9_4plusIvEENS9_8equal_toIvEEiEE10hipError_tPvRmT2_T3_T4_T5_mT6_T7_P12ihipStream_tbENKUlT_T0_E_clISt17integral_constantIbLb0EES11_EEDaSW_SX_EUlSW_E_NS1_11comp_targetILNS1_3genE0ELNS1_11target_archE4294967295ELNS1_3gpuE0ELNS1_3repE0EEENS1_30default_config_static_selectorELNS0_4arch9wavefront6targetE0EEEvT1_.uses_flat_scratch, 0
	.set _ZN7rocprim17ROCPRIM_400000_NS6detail17trampoline_kernelINS0_14default_configENS1_27scan_by_key_config_selectorIiiEEZZNS1_16scan_by_key_implILNS1_25lookback_scan_determinismE0ELb1ES3_N6thrust23THRUST_200600_302600_NS6detail15normal_iteratorINS9_10device_ptrIiEEEENSB_INSC_IjEEEESE_iNS9_4plusIvEENS9_8equal_toIvEEiEE10hipError_tPvRmT2_T3_T4_T5_mT6_T7_P12ihipStream_tbENKUlT_T0_E_clISt17integral_constantIbLb0EES11_EEDaSW_SX_EUlSW_E_NS1_11comp_targetILNS1_3genE0ELNS1_11target_archE4294967295ELNS1_3gpuE0ELNS1_3repE0EEENS1_30default_config_static_selectorELNS0_4arch9wavefront6targetE0EEEvT1_.has_dyn_sized_stack, 0
	.set _ZN7rocprim17ROCPRIM_400000_NS6detail17trampoline_kernelINS0_14default_configENS1_27scan_by_key_config_selectorIiiEEZZNS1_16scan_by_key_implILNS1_25lookback_scan_determinismE0ELb1ES3_N6thrust23THRUST_200600_302600_NS6detail15normal_iteratorINS9_10device_ptrIiEEEENSB_INSC_IjEEEESE_iNS9_4plusIvEENS9_8equal_toIvEEiEE10hipError_tPvRmT2_T3_T4_T5_mT6_T7_P12ihipStream_tbENKUlT_T0_E_clISt17integral_constantIbLb0EES11_EEDaSW_SX_EUlSW_E_NS1_11comp_targetILNS1_3genE0ELNS1_11target_archE4294967295ELNS1_3gpuE0ELNS1_3repE0EEENS1_30default_config_static_selectorELNS0_4arch9wavefront6targetE0EEEvT1_.has_recursion, 0
	.set _ZN7rocprim17ROCPRIM_400000_NS6detail17trampoline_kernelINS0_14default_configENS1_27scan_by_key_config_selectorIiiEEZZNS1_16scan_by_key_implILNS1_25lookback_scan_determinismE0ELb1ES3_N6thrust23THRUST_200600_302600_NS6detail15normal_iteratorINS9_10device_ptrIiEEEENSB_INSC_IjEEEESE_iNS9_4plusIvEENS9_8equal_toIvEEiEE10hipError_tPvRmT2_T3_T4_T5_mT6_T7_P12ihipStream_tbENKUlT_T0_E_clISt17integral_constantIbLb0EES11_EEDaSW_SX_EUlSW_E_NS1_11comp_targetILNS1_3genE0ELNS1_11target_archE4294967295ELNS1_3gpuE0ELNS1_3repE0EEENS1_30default_config_static_selectorELNS0_4arch9wavefront6targetE0EEEvT1_.has_indirect_call, 0
	.section	.AMDGPU.csdata,"",@progbits
; Kernel info:
; codeLenInByte = 0
; TotalNumSgprs: 0
; NumVgprs: 0
; ScratchSize: 0
; MemoryBound: 0
; FloatMode: 240
; IeeeMode: 1
; LDSByteSize: 0 bytes/workgroup (compile time only)
; SGPRBlocks: 0
; VGPRBlocks: 0
; NumSGPRsForWavesPerEU: 1
; NumVGPRsForWavesPerEU: 1
; Occupancy: 16
; WaveLimiterHint : 0
; COMPUTE_PGM_RSRC2:SCRATCH_EN: 0
; COMPUTE_PGM_RSRC2:USER_SGPR: 6
; COMPUTE_PGM_RSRC2:TRAP_HANDLER: 0
; COMPUTE_PGM_RSRC2:TGID_X_EN: 1
; COMPUTE_PGM_RSRC2:TGID_Y_EN: 0
; COMPUTE_PGM_RSRC2:TGID_Z_EN: 0
; COMPUTE_PGM_RSRC2:TIDIG_COMP_CNT: 0
	.section	.text._ZN7rocprim17ROCPRIM_400000_NS6detail17trampoline_kernelINS0_14default_configENS1_27scan_by_key_config_selectorIiiEEZZNS1_16scan_by_key_implILNS1_25lookback_scan_determinismE0ELb1ES3_N6thrust23THRUST_200600_302600_NS6detail15normal_iteratorINS9_10device_ptrIiEEEENSB_INSC_IjEEEESE_iNS9_4plusIvEENS9_8equal_toIvEEiEE10hipError_tPvRmT2_T3_T4_T5_mT6_T7_P12ihipStream_tbENKUlT_T0_E_clISt17integral_constantIbLb0EES11_EEDaSW_SX_EUlSW_E_NS1_11comp_targetILNS1_3genE10ELNS1_11target_archE1201ELNS1_3gpuE5ELNS1_3repE0EEENS1_30default_config_static_selectorELNS0_4arch9wavefront6targetE0EEEvT1_,"axG",@progbits,_ZN7rocprim17ROCPRIM_400000_NS6detail17trampoline_kernelINS0_14default_configENS1_27scan_by_key_config_selectorIiiEEZZNS1_16scan_by_key_implILNS1_25lookback_scan_determinismE0ELb1ES3_N6thrust23THRUST_200600_302600_NS6detail15normal_iteratorINS9_10device_ptrIiEEEENSB_INSC_IjEEEESE_iNS9_4plusIvEENS9_8equal_toIvEEiEE10hipError_tPvRmT2_T3_T4_T5_mT6_T7_P12ihipStream_tbENKUlT_T0_E_clISt17integral_constantIbLb0EES11_EEDaSW_SX_EUlSW_E_NS1_11comp_targetILNS1_3genE10ELNS1_11target_archE1201ELNS1_3gpuE5ELNS1_3repE0EEENS1_30default_config_static_selectorELNS0_4arch9wavefront6targetE0EEEvT1_,comdat
	.protected	_ZN7rocprim17ROCPRIM_400000_NS6detail17trampoline_kernelINS0_14default_configENS1_27scan_by_key_config_selectorIiiEEZZNS1_16scan_by_key_implILNS1_25lookback_scan_determinismE0ELb1ES3_N6thrust23THRUST_200600_302600_NS6detail15normal_iteratorINS9_10device_ptrIiEEEENSB_INSC_IjEEEESE_iNS9_4plusIvEENS9_8equal_toIvEEiEE10hipError_tPvRmT2_T3_T4_T5_mT6_T7_P12ihipStream_tbENKUlT_T0_E_clISt17integral_constantIbLb0EES11_EEDaSW_SX_EUlSW_E_NS1_11comp_targetILNS1_3genE10ELNS1_11target_archE1201ELNS1_3gpuE5ELNS1_3repE0EEENS1_30default_config_static_selectorELNS0_4arch9wavefront6targetE0EEEvT1_ ; -- Begin function _ZN7rocprim17ROCPRIM_400000_NS6detail17trampoline_kernelINS0_14default_configENS1_27scan_by_key_config_selectorIiiEEZZNS1_16scan_by_key_implILNS1_25lookback_scan_determinismE0ELb1ES3_N6thrust23THRUST_200600_302600_NS6detail15normal_iteratorINS9_10device_ptrIiEEEENSB_INSC_IjEEEESE_iNS9_4plusIvEENS9_8equal_toIvEEiEE10hipError_tPvRmT2_T3_T4_T5_mT6_T7_P12ihipStream_tbENKUlT_T0_E_clISt17integral_constantIbLb0EES11_EEDaSW_SX_EUlSW_E_NS1_11comp_targetILNS1_3genE10ELNS1_11target_archE1201ELNS1_3gpuE5ELNS1_3repE0EEENS1_30default_config_static_selectorELNS0_4arch9wavefront6targetE0EEEvT1_
	.globl	_ZN7rocprim17ROCPRIM_400000_NS6detail17trampoline_kernelINS0_14default_configENS1_27scan_by_key_config_selectorIiiEEZZNS1_16scan_by_key_implILNS1_25lookback_scan_determinismE0ELb1ES3_N6thrust23THRUST_200600_302600_NS6detail15normal_iteratorINS9_10device_ptrIiEEEENSB_INSC_IjEEEESE_iNS9_4plusIvEENS9_8equal_toIvEEiEE10hipError_tPvRmT2_T3_T4_T5_mT6_T7_P12ihipStream_tbENKUlT_T0_E_clISt17integral_constantIbLb0EES11_EEDaSW_SX_EUlSW_E_NS1_11comp_targetILNS1_3genE10ELNS1_11target_archE1201ELNS1_3gpuE5ELNS1_3repE0EEENS1_30default_config_static_selectorELNS0_4arch9wavefront6targetE0EEEvT1_
	.p2align	8
	.type	_ZN7rocprim17ROCPRIM_400000_NS6detail17trampoline_kernelINS0_14default_configENS1_27scan_by_key_config_selectorIiiEEZZNS1_16scan_by_key_implILNS1_25lookback_scan_determinismE0ELb1ES3_N6thrust23THRUST_200600_302600_NS6detail15normal_iteratorINS9_10device_ptrIiEEEENSB_INSC_IjEEEESE_iNS9_4plusIvEENS9_8equal_toIvEEiEE10hipError_tPvRmT2_T3_T4_T5_mT6_T7_P12ihipStream_tbENKUlT_T0_E_clISt17integral_constantIbLb0EES11_EEDaSW_SX_EUlSW_E_NS1_11comp_targetILNS1_3genE10ELNS1_11target_archE1201ELNS1_3gpuE5ELNS1_3repE0EEENS1_30default_config_static_selectorELNS0_4arch9wavefront6targetE0EEEvT1_,@function
_ZN7rocprim17ROCPRIM_400000_NS6detail17trampoline_kernelINS0_14default_configENS1_27scan_by_key_config_selectorIiiEEZZNS1_16scan_by_key_implILNS1_25lookback_scan_determinismE0ELb1ES3_N6thrust23THRUST_200600_302600_NS6detail15normal_iteratorINS9_10device_ptrIiEEEENSB_INSC_IjEEEESE_iNS9_4plusIvEENS9_8equal_toIvEEiEE10hipError_tPvRmT2_T3_T4_T5_mT6_T7_P12ihipStream_tbENKUlT_T0_E_clISt17integral_constantIbLb0EES11_EEDaSW_SX_EUlSW_E_NS1_11comp_targetILNS1_3genE10ELNS1_11target_archE1201ELNS1_3gpuE5ELNS1_3repE0EEENS1_30default_config_static_selectorELNS0_4arch9wavefront6targetE0EEEvT1_: ; @_ZN7rocprim17ROCPRIM_400000_NS6detail17trampoline_kernelINS0_14default_configENS1_27scan_by_key_config_selectorIiiEEZZNS1_16scan_by_key_implILNS1_25lookback_scan_determinismE0ELb1ES3_N6thrust23THRUST_200600_302600_NS6detail15normal_iteratorINS9_10device_ptrIiEEEENSB_INSC_IjEEEESE_iNS9_4plusIvEENS9_8equal_toIvEEiEE10hipError_tPvRmT2_T3_T4_T5_mT6_T7_P12ihipStream_tbENKUlT_T0_E_clISt17integral_constantIbLb0EES11_EEDaSW_SX_EUlSW_E_NS1_11comp_targetILNS1_3genE10ELNS1_11target_archE1201ELNS1_3gpuE5ELNS1_3repE0EEENS1_30default_config_static_selectorELNS0_4arch9wavefront6targetE0EEEvT1_
; %bb.0:
	.section	.rodata,"a",@progbits
	.p2align	6, 0x0
	.amdhsa_kernel _ZN7rocprim17ROCPRIM_400000_NS6detail17trampoline_kernelINS0_14default_configENS1_27scan_by_key_config_selectorIiiEEZZNS1_16scan_by_key_implILNS1_25lookback_scan_determinismE0ELb1ES3_N6thrust23THRUST_200600_302600_NS6detail15normal_iteratorINS9_10device_ptrIiEEEENSB_INSC_IjEEEESE_iNS9_4plusIvEENS9_8equal_toIvEEiEE10hipError_tPvRmT2_T3_T4_T5_mT6_T7_P12ihipStream_tbENKUlT_T0_E_clISt17integral_constantIbLb0EES11_EEDaSW_SX_EUlSW_E_NS1_11comp_targetILNS1_3genE10ELNS1_11target_archE1201ELNS1_3gpuE5ELNS1_3repE0EEENS1_30default_config_static_selectorELNS0_4arch9wavefront6targetE0EEEvT1_
		.amdhsa_group_segment_fixed_size 0
		.amdhsa_private_segment_fixed_size 0
		.amdhsa_kernarg_size 112
		.amdhsa_user_sgpr_count 6
		.amdhsa_user_sgpr_private_segment_buffer 1
		.amdhsa_user_sgpr_dispatch_ptr 0
		.amdhsa_user_sgpr_queue_ptr 0
		.amdhsa_user_sgpr_kernarg_segment_ptr 1
		.amdhsa_user_sgpr_dispatch_id 0
		.amdhsa_user_sgpr_flat_scratch_init 0
		.amdhsa_user_sgpr_private_segment_size 0
		.amdhsa_wavefront_size32 1
		.amdhsa_uses_dynamic_stack 0
		.amdhsa_system_sgpr_private_segment_wavefront_offset 0
		.amdhsa_system_sgpr_workgroup_id_x 1
		.amdhsa_system_sgpr_workgroup_id_y 0
		.amdhsa_system_sgpr_workgroup_id_z 0
		.amdhsa_system_sgpr_workgroup_info 0
		.amdhsa_system_vgpr_workitem_id 0
		.amdhsa_next_free_vgpr 1
		.amdhsa_next_free_sgpr 1
		.amdhsa_reserve_vcc 0
		.amdhsa_reserve_flat_scratch 0
		.amdhsa_float_round_mode_32 0
		.amdhsa_float_round_mode_16_64 0
		.amdhsa_float_denorm_mode_32 3
		.amdhsa_float_denorm_mode_16_64 3
		.amdhsa_dx10_clamp 1
		.amdhsa_ieee_mode 1
		.amdhsa_fp16_overflow 0
		.amdhsa_workgroup_processor_mode 1
		.amdhsa_memory_ordered 1
		.amdhsa_forward_progress 1
		.amdhsa_shared_vgpr_count 0
		.amdhsa_exception_fp_ieee_invalid_op 0
		.amdhsa_exception_fp_denorm_src 0
		.amdhsa_exception_fp_ieee_div_zero 0
		.amdhsa_exception_fp_ieee_overflow 0
		.amdhsa_exception_fp_ieee_underflow 0
		.amdhsa_exception_fp_ieee_inexact 0
		.amdhsa_exception_int_div_zero 0
	.end_amdhsa_kernel
	.section	.text._ZN7rocprim17ROCPRIM_400000_NS6detail17trampoline_kernelINS0_14default_configENS1_27scan_by_key_config_selectorIiiEEZZNS1_16scan_by_key_implILNS1_25lookback_scan_determinismE0ELb1ES3_N6thrust23THRUST_200600_302600_NS6detail15normal_iteratorINS9_10device_ptrIiEEEENSB_INSC_IjEEEESE_iNS9_4plusIvEENS9_8equal_toIvEEiEE10hipError_tPvRmT2_T3_T4_T5_mT6_T7_P12ihipStream_tbENKUlT_T0_E_clISt17integral_constantIbLb0EES11_EEDaSW_SX_EUlSW_E_NS1_11comp_targetILNS1_3genE10ELNS1_11target_archE1201ELNS1_3gpuE5ELNS1_3repE0EEENS1_30default_config_static_selectorELNS0_4arch9wavefront6targetE0EEEvT1_,"axG",@progbits,_ZN7rocprim17ROCPRIM_400000_NS6detail17trampoline_kernelINS0_14default_configENS1_27scan_by_key_config_selectorIiiEEZZNS1_16scan_by_key_implILNS1_25lookback_scan_determinismE0ELb1ES3_N6thrust23THRUST_200600_302600_NS6detail15normal_iteratorINS9_10device_ptrIiEEEENSB_INSC_IjEEEESE_iNS9_4plusIvEENS9_8equal_toIvEEiEE10hipError_tPvRmT2_T3_T4_T5_mT6_T7_P12ihipStream_tbENKUlT_T0_E_clISt17integral_constantIbLb0EES11_EEDaSW_SX_EUlSW_E_NS1_11comp_targetILNS1_3genE10ELNS1_11target_archE1201ELNS1_3gpuE5ELNS1_3repE0EEENS1_30default_config_static_selectorELNS0_4arch9wavefront6targetE0EEEvT1_,comdat
.Lfunc_end1753:
	.size	_ZN7rocprim17ROCPRIM_400000_NS6detail17trampoline_kernelINS0_14default_configENS1_27scan_by_key_config_selectorIiiEEZZNS1_16scan_by_key_implILNS1_25lookback_scan_determinismE0ELb1ES3_N6thrust23THRUST_200600_302600_NS6detail15normal_iteratorINS9_10device_ptrIiEEEENSB_INSC_IjEEEESE_iNS9_4plusIvEENS9_8equal_toIvEEiEE10hipError_tPvRmT2_T3_T4_T5_mT6_T7_P12ihipStream_tbENKUlT_T0_E_clISt17integral_constantIbLb0EES11_EEDaSW_SX_EUlSW_E_NS1_11comp_targetILNS1_3genE10ELNS1_11target_archE1201ELNS1_3gpuE5ELNS1_3repE0EEENS1_30default_config_static_selectorELNS0_4arch9wavefront6targetE0EEEvT1_, .Lfunc_end1753-_ZN7rocprim17ROCPRIM_400000_NS6detail17trampoline_kernelINS0_14default_configENS1_27scan_by_key_config_selectorIiiEEZZNS1_16scan_by_key_implILNS1_25lookback_scan_determinismE0ELb1ES3_N6thrust23THRUST_200600_302600_NS6detail15normal_iteratorINS9_10device_ptrIiEEEENSB_INSC_IjEEEESE_iNS9_4plusIvEENS9_8equal_toIvEEiEE10hipError_tPvRmT2_T3_T4_T5_mT6_T7_P12ihipStream_tbENKUlT_T0_E_clISt17integral_constantIbLb0EES11_EEDaSW_SX_EUlSW_E_NS1_11comp_targetILNS1_3genE10ELNS1_11target_archE1201ELNS1_3gpuE5ELNS1_3repE0EEENS1_30default_config_static_selectorELNS0_4arch9wavefront6targetE0EEEvT1_
                                        ; -- End function
	.set _ZN7rocprim17ROCPRIM_400000_NS6detail17trampoline_kernelINS0_14default_configENS1_27scan_by_key_config_selectorIiiEEZZNS1_16scan_by_key_implILNS1_25lookback_scan_determinismE0ELb1ES3_N6thrust23THRUST_200600_302600_NS6detail15normal_iteratorINS9_10device_ptrIiEEEENSB_INSC_IjEEEESE_iNS9_4plusIvEENS9_8equal_toIvEEiEE10hipError_tPvRmT2_T3_T4_T5_mT6_T7_P12ihipStream_tbENKUlT_T0_E_clISt17integral_constantIbLb0EES11_EEDaSW_SX_EUlSW_E_NS1_11comp_targetILNS1_3genE10ELNS1_11target_archE1201ELNS1_3gpuE5ELNS1_3repE0EEENS1_30default_config_static_selectorELNS0_4arch9wavefront6targetE0EEEvT1_.num_vgpr, 0
	.set _ZN7rocprim17ROCPRIM_400000_NS6detail17trampoline_kernelINS0_14default_configENS1_27scan_by_key_config_selectorIiiEEZZNS1_16scan_by_key_implILNS1_25lookback_scan_determinismE0ELb1ES3_N6thrust23THRUST_200600_302600_NS6detail15normal_iteratorINS9_10device_ptrIiEEEENSB_INSC_IjEEEESE_iNS9_4plusIvEENS9_8equal_toIvEEiEE10hipError_tPvRmT2_T3_T4_T5_mT6_T7_P12ihipStream_tbENKUlT_T0_E_clISt17integral_constantIbLb0EES11_EEDaSW_SX_EUlSW_E_NS1_11comp_targetILNS1_3genE10ELNS1_11target_archE1201ELNS1_3gpuE5ELNS1_3repE0EEENS1_30default_config_static_selectorELNS0_4arch9wavefront6targetE0EEEvT1_.num_agpr, 0
	.set _ZN7rocprim17ROCPRIM_400000_NS6detail17trampoline_kernelINS0_14default_configENS1_27scan_by_key_config_selectorIiiEEZZNS1_16scan_by_key_implILNS1_25lookback_scan_determinismE0ELb1ES3_N6thrust23THRUST_200600_302600_NS6detail15normal_iteratorINS9_10device_ptrIiEEEENSB_INSC_IjEEEESE_iNS9_4plusIvEENS9_8equal_toIvEEiEE10hipError_tPvRmT2_T3_T4_T5_mT6_T7_P12ihipStream_tbENKUlT_T0_E_clISt17integral_constantIbLb0EES11_EEDaSW_SX_EUlSW_E_NS1_11comp_targetILNS1_3genE10ELNS1_11target_archE1201ELNS1_3gpuE5ELNS1_3repE0EEENS1_30default_config_static_selectorELNS0_4arch9wavefront6targetE0EEEvT1_.numbered_sgpr, 0
	.set _ZN7rocprim17ROCPRIM_400000_NS6detail17trampoline_kernelINS0_14default_configENS1_27scan_by_key_config_selectorIiiEEZZNS1_16scan_by_key_implILNS1_25lookback_scan_determinismE0ELb1ES3_N6thrust23THRUST_200600_302600_NS6detail15normal_iteratorINS9_10device_ptrIiEEEENSB_INSC_IjEEEESE_iNS9_4plusIvEENS9_8equal_toIvEEiEE10hipError_tPvRmT2_T3_T4_T5_mT6_T7_P12ihipStream_tbENKUlT_T0_E_clISt17integral_constantIbLb0EES11_EEDaSW_SX_EUlSW_E_NS1_11comp_targetILNS1_3genE10ELNS1_11target_archE1201ELNS1_3gpuE5ELNS1_3repE0EEENS1_30default_config_static_selectorELNS0_4arch9wavefront6targetE0EEEvT1_.num_named_barrier, 0
	.set _ZN7rocprim17ROCPRIM_400000_NS6detail17trampoline_kernelINS0_14default_configENS1_27scan_by_key_config_selectorIiiEEZZNS1_16scan_by_key_implILNS1_25lookback_scan_determinismE0ELb1ES3_N6thrust23THRUST_200600_302600_NS6detail15normal_iteratorINS9_10device_ptrIiEEEENSB_INSC_IjEEEESE_iNS9_4plusIvEENS9_8equal_toIvEEiEE10hipError_tPvRmT2_T3_T4_T5_mT6_T7_P12ihipStream_tbENKUlT_T0_E_clISt17integral_constantIbLb0EES11_EEDaSW_SX_EUlSW_E_NS1_11comp_targetILNS1_3genE10ELNS1_11target_archE1201ELNS1_3gpuE5ELNS1_3repE0EEENS1_30default_config_static_selectorELNS0_4arch9wavefront6targetE0EEEvT1_.private_seg_size, 0
	.set _ZN7rocprim17ROCPRIM_400000_NS6detail17trampoline_kernelINS0_14default_configENS1_27scan_by_key_config_selectorIiiEEZZNS1_16scan_by_key_implILNS1_25lookback_scan_determinismE0ELb1ES3_N6thrust23THRUST_200600_302600_NS6detail15normal_iteratorINS9_10device_ptrIiEEEENSB_INSC_IjEEEESE_iNS9_4plusIvEENS9_8equal_toIvEEiEE10hipError_tPvRmT2_T3_T4_T5_mT6_T7_P12ihipStream_tbENKUlT_T0_E_clISt17integral_constantIbLb0EES11_EEDaSW_SX_EUlSW_E_NS1_11comp_targetILNS1_3genE10ELNS1_11target_archE1201ELNS1_3gpuE5ELNS1_3repE0EEENS1_30default_config_static_selectorELNS0_4arch9wavefront6targetE0EEEvT1_.uses_vcc, 0
	.set _ZN7rocprim17ROCPRIM_400000_NS6detail17trampoline_kernelINS0_14default_configENS1_27scan_by_key_config_selectorIiiEEZZNS1_16scan_by_key_implILNS1_25lookback_scan_determinismE0ELb1ES3_N6thrust23THRUST_200600_302600_NS6detail15normal_iteratorINS9_10device_ptrIiEEEENSB_INSC_IjEEEESE_iNS9_4plusIvEENS9_8equal_toIvEEiEE10hipError_tPvRmT2_T3_T4_T5_mT6_T7_P12ihipStream_tbENKUlT_T0_E_clISt17integral_constantIbLb0EES11_EEDaSW_SX_EUlSW_E_NS1_11comp_targetILNS1_3genE10ELNS1_11target_archE1201ELNS1_3gpuE5ELNS1_3repE0EEENS1_30default_config_static_selectorELNS0_4arch9wavefront6targetE0EEEvT1_.uses_flat_scratch, 0
	.set _ZN7rocprim17ROCPRIM_400000_NS6detail17trampoline_kernelINS0_14default_configENS1_27scan_by_key_config_selectorIiiEEZZNS1_16scan_by_key_implILNS1_25lookback_scan_determinismE0ELb1ES3_N6thrust23THRUST_200600_302600_NS6detail15normal_iteratorINS9_10device_ptrIiEEEENSB_INSC_IjEEEESE_iNS9_4plusIvEENS9_8equal_toIvEEiEE10hipError_tPvRmT2_T3_T4_T5_mT6_T7_P12ihipStream_tbENKUlT_T0_E_clISt17integral_constantIbLb0EES11_EEDaSW_SX_EUlSW_E_NS1_11comp_targetILNS1_3genE10ELNS1_11target_archE1201ELNS1_3gpuE5ELNS1_3repE0EEENS1_30default_config_static_selectorELNS0_4arch9wavefront6targetE0EEEvT1_.has_dyn_sized_stack, 0
	.set _ZN7rocprim17ROCPRIM_400000_NS6detail17trampoline_kernelINS0_14default_configENS1_27scan_by_key_config_selectorIiiEEZZNS1_16scan_by_key_implILNS1_25lookback_scan_determinismE0ELb1ES3_N6thrust23THRUST_200600_302600_NS6detail15normal_iteratorINS9_10device_ptrIiEEEENSB_INSC_IjEEEESE_iNS9_4plusIvEENS9_8equal_toIvEEiEE10hipError_tPvRmT2_T3_T4_T5_mT6_T7_P12ihipStream_tbENKUlT_T0_E_clISt17integral_constantIbLb0EES11_EEDaSW_SX_EUlSW_E_NS1_11comp_targetILNS1_3genE10ELNS1_11target_archE1201ELNS1_3gpuE5ELNS1_3repE0EEENS1_30default_config_static_selectorELNS0_4arch9wavefront6targetE0EEEvT1_.has_recursion, 0
	.set _ZN7rocprim17ROCPRIM_400000_NS6detail17trampoline_kernelINS0_14default_configENS1_27scan_by_key_config_selectorIiiEEZZNS1_16scan_by_key_implILNS1_25lookback_scan_determinismE0ELb1ES3_N6thrust23THRUST_200600_302600_NS6detail15normal_iteratorINS9_10device_ptrIiEEEENSB_INSC_IjEEEESE_iNS9_4plusIvEENS9_8equal_toIvEEiEE10hipError_tPvRmT2_T3_T4_T5_mT6_T7_P12ihipStream_tbENKUlT_T0_E_clISt17integral_constantIbLb0EES11_EEDaSW_SX_EUlSW_E_NS1_11comp_targetILNS1_3genE10ELNS1_11target_archE1201ELNS1_3gpuE5ELNS1_3repE0EEENS1_30default_config_static_selectorELNS0_4arch9wavefront6targetE0EEEvT1_.has_indirect_call, 0
	.section	.AMDGPU.csdata,"",@progbits
; Kernel info:
; codeLenInByte = 0
; TotalNumSgprs: 0
; NumVgprs: 0
; ScratchSize: 0
; MemoryBound: 0
; FloatMode: 240
; IeeeMode: 1
; LDSByteSize: 0 bytes/workgroup (compile time only)
; SGPRBlocks: 0
; VGPRBlocks: 0
; NumSGPRsForWavesPerEU: 1
; NumVGPRsForWavesPerEU: 1
; Occupancy: 16
; WaveLimiterHint : 0
; COMPUTE_PGM_RSRC2:SCRATCH_EN: 0
; COMPUTE_PGM_RSRC2:USER_SGPR: 6
; COMPUTE_PGM_RSRC2:TRAP_HANDLER: 0
; COMPUTE_PGM_RSRC2:TGID_X_EN: 1
; COMPUTE_PGM_RSRC2:TGID_Y_EN: 0
; COMPUTE_PGM_RSRC2:TGID_Z_EN: 0
; COMPUTE_PGM_RSRC2:TIDIG_COMP_CNT: 0
	.section	.text._ZN7rocprim17ROCPRIM_400000_NS6detail17trampoline_kernelINS0_14default_configENS1_27scan_by_key_config_selectorIiiEEZZNS1_16scan_by_key_implILNS1_25lookback_scan_determinismE0ELb1ES3_N6thrust23THRUST_200600_302600_NS6detail15normal_iteratorINS9_10device_ptrIiEEEENSB_INSC_IjEEEESE_iNS9_4plusIvEENS9_8equal_toIvEEiEE10hipError_tPvRmT2_T3_T4_T5_mT6_T7_P12ihipStream_tbENKUlT_T0_E_clISt17integral_constantIbLb0EES11_EEDaSW_SX_EUlSW_E_NS1_11comp_targetILNS1_3genE5ELNS1_11target_archE942ELNS1_3gpuE9ELNS1_3repE0EEENS1_30default_config_static_selectorELNS0_4arch9wavefront6targetE0EEEvT1_,"axG",@progbits,_ZN7rocprim17ROCPRIM_400000_NS6detail17trampoline_kernelINS0_14default_configENS1_27scan_by_key_config_selectorIiiEEZZNS1_16scan_by_key_implILNS1_25lookback_scan_determinismE0ELb1ES3_N6thrust23THRUST_200600_302600_NS6detail15normal_iteratorINS9_10device_ptrIiEEEENSB_INSC_IjEEEESE_iNS9_4plusIvEENS9_8equal_toIvEEiEE10hipError_tPvRmT2_T3_T4_T5_mT6_T7_P12ihipStream_tbENKUlT_T0_E_clISt17integral_constantIbLb0EES11_EEDaSW_SX_EUlSW_E_NS1_11comp_targetILNS1_3genE5ELNS1_11target_archE942ELNS1_3gpuE9ELNS1_3repE0EEENS1_30default_config_static_selectorELNS0_4arch9wavefront6targetE0EEEvT1_,comdat
	.protected	_ZN7rocprim17ROCPRIM_400000_NS6detail17trampoline_kernelINS0_14default_configENS1_27scan_by_key_config_selectorIiiEEZZNS1_16scan_by_key_implILNS1_25lookback_scan_determinismE0ELb1ES3_N6thrust23THRUST_200600_302600_NS6detail15normal_iteratorINS9_10device_ptrIiEEEENSB_INSC_IjEEEESE_iNS9_4plusIvEENS9_8equal_toIvEEiEE10hipError_tPvRmT2_T3_T4_T5_mT6_T7_P12ihipStream_tbENKUlT_T0_E_clISt17integral_constantIbLb0EES11_EEDaSW_SX_EUlSW_E_NS1_11comp_targetILNS1_3genE5ELNS1_11target_archE942ELNS1_3gpuE9ELNS1_3repE0EEENS1_30default_config_static_selectorELNS0_4arch9wavefront6targetE0EEEvT1_ ; -- Begin function _ZN7rocprim17ROCPRIM_400000_NS6detail17trampoline_kernelINS0_14default_configENS1_27scan_by_key_config_selectorIiiEEZZNS1_16scan_by_key_implILNS1_25lookback_scan_determinismE0ELb1ES3_N6thrust23THRUST_200600_302600_NS6detail15normal_iteratorINS9_10device_ptrIiEEEENSB_INSC_IjEEEESE_iNS9_4plusIvEENS9_8equal_toIvEEiEE10hipError_tPvRmT2_T3_T4_T5_mT6_T7_P12ihipStream_tbENKUlT_T0_E_clISt17integral_constantIbLb0EES11_EEDaSW_SX_EUlSW_E_NS1_11comp_targetILNS1_3genE5ELNS1_11target_archE942ELNS1_3gpuE9ELNS1_3repE0EEENS1_30default_config_static_selectorELNS0_4arch9wavefront6targetE0EEEvT1_
	.globl	_ZN7rocprim17ROCPRIM_400000_NS6detail17trampoline_kernelINS0_14default_configENS1_27scan_by_key_config_selectorIiiEEZZNS1_16scan_by_key_implILNS1_25lookback_scan_determinismE0ELb1ES3_N6thrust23THRUST_200600_302600_NS6detail15normal_iteratorINS9_10device_ptrIiEEEENSB_INSC_IjEEEESE_iNS9_4plusIvEENS9_8equal_toIvEEiEE10hipError_tPvRmT2_T3_T4_T5_mT6_T7_P12ihipStream_tbENKUlT_T0_E_clISt17integral_constantIbLb0EES11_EEDaSW_SX_EUlSW_E_NS1_11comp_targetILNS1_3genE5ELNS1_11target_archE942ELNS1_3gpuE9ELNS1_3repE0EEENS1_30default_config_static_selectorELNS0_4arch9wavefront6targetE0EEEvT1_
	.p2align	8
	.type	_ZN7rocprim17ROCPRIM_400000_NS6detail17trampoline_kernelINS0_14default_configENS1_27scan_by_key_config_selectorIiiEEZZNS1_16scan_by_key_implILNS1_25lookback_scan_determinismE0ELb1ES3_N6thrust23THRUST_200600_302600_NS6detail15normal_iteratorINS9_10device_ptrIiEEEENSB_INSC_IjEEEESE_iNS9_4plusIvEENS9_8equal_toIvEEiEE10hipError_tPvRmT2_T3_T4_T5_mT6_T7_P12ihipStream_tbENKUlT_T0_E_clISt17integral_constantIbLb0EES11_EEDaSW_SX_EUlSW_E_NS1_11comp_targetILNS1_3genE5ELNS1_11target_archE942ELNS1_3gpuE9ELNS1_3repE0EEENS1_30default_config_static_selectorELNS0_4arch9wavefront6targetE0EEEvT1_,@function
_ZN7rocprim17ROCPRIM_400000_NS6detail17trampoline_kernelINS0_14default_configENS1_27scan_by_key_config_selectorIiiEEZZNS1_16scan_by_key_implILNS1_25lookback_scan_determinismE0ELb1ES3_N6thrust23THRUST_200600_302600_NS6detail15normal_iteratorINS9_10device_ptrIiEEEENSB_INSC_IjEEEESE_iNS9_4plusIvEENS9_8equal_toIvEEiEE10hipError_tPvRmT2_T3_T4_T5_mT6_T7_P12ihipStream_tbENKUlT_T0_E_clISt17integral_constantIbLb0EES11_EEDaSW_SX_EUlSW_E_NS1_11comp_targetILNS1_3genE5ELNS1_11target_archE942ELNS1_3gpuE9ELNS1_3repE0EEENS1_30default_config_static_selectorELNS0_4arch9wavefront6targetE0EEEvT1_: ; @_ZN7rocprim17ROCPRIM_400000_NS6detail17trampoline_kernelINS0_14default_configENS1_27scan_by_key_config_selectorIiiEEZZNS1_16scan_by_key_implILNS1_25lookback_scan_determinismE0ELb1ES3_N6thrust23THRUST_200600_302600_NS6detail15normal_iteratorINS9_10device_ptrIiEEEENSB_INSC_IjEEEESE_iNS9_4plusIvEENS9_8equal_toIvEEiEE10hipError_tPvRmT2_T3_T4_T5_mT6_T7_P12ihipStream_tbENKUlT_T0_E_clISt17integral_constantIbLb0EES11_EEDaSW_SX_EUlSW_E_NS1_11comp_targetILNS1_3genE5ELNS1_11target_archE942ELNS1_3gpuE9ELNS1_3repE0EEENS1_30default_config_static_selectorELNS0_4arch9wavefront6targetE0EEEvT1_
; %bb.0:
	.section	.rodata,"a",@progbits
	.p2align	6, 0x0
	.amdhsa_kernel _ZN7rocprim17ROCPRIM_400000_NS6detail17trampoline_kernelINS0_14default_configENS1_27scan_by_key_config_selectorIiiEEZZNS1_16scan_by_key_implILNS1_25lookback_scan_determinismE0ELb1ES3_N6thrust23THRUST_200600_302600_NS6detail15normal_iteratorINS9_10device_ptrIiEEEENSB_INSC_IjEEEESE_iNS9_4plusIvEENS9_8equal_toIvEEiEE10hipError_tPvRmT2_T3_T4_T5_mT6_T7_P12ihipStream_tbENKUlT_T0_E_clISt17integral_constantIbLb0EES11_EEDaSW_SX_EUlSW_E_NS1_11comp_targetILNS1_3genE5ELNS1_11target_archE942ELNS1_3gpuE9ELNS1_3repE0EEENS1_30default_config_static_selectorELNS0_4arch9wavefront6targetE0EEEvT1_
		.amdhsa_group_segment_fixed_size 0
		.amdhsa_private_segment_fixed_size 0
		.amdhsa_kernarg_size 112
		.amdhsa_user_sgpr_count 6
		.amdhsa_user_sgpr_private_segment_buffer 1
		.amdhsa_user_sgpr_dispatch_ptr 0
		.amdhsa_user_sgpr_queue_ptr 0
		.amdhsa_user_sgpr_kernarg_segment_ptr 1
		.amdhsa_user_sgpr_dispatch_id 0
		.amdhsa_user_sgpr_flat_scratch_init 0
		.amdhsa_user_sgpr_private_segment_size 0
		.amdhsa_wavefront_size32 1
		.amdhsa_uses_dynamic_stack 0
		.amdhsa_system_sgpr_private_segment_wavefront_offset 0
		.amdhsa_system_sgpr_workgroup_id_x 1
		.amdhsa_system_sgpr_workgroup_id_y 0
		.amdhsa_system_sgpr_workgroup_id_z 0
		.amdhsa_system_sgpr_workgroup_info 0
		.amdhsa_system_vgpr_workitem_id 0
		.amdhsa_next_free_vgpr 1
		.amdhsa_next_free_sgpr 1
		.amdhsa_reserve_vcc 0
		.amdhsa_reserve_flat_scratch 0
		.amdhsa_float_round_mode_32 0
		.amdhsa_float_round_mode_16_64 0
		.amdhsa_float_denorm_mode_32 3
		.amdhsa_float_denorm_mode_16_64 3
		.amdhsa_dx10_clamp 1
		.amdhsa_ieee_mode 1
		.amdhsa_fp16_overflow 0
		.amdhsa_workgroup_processor_mode 1
		.amdhsa_memory_ordered 1
		.amdhsa_forward_progress 1
		.amdhsa_shared_vgpr_count 0
		.amdhsa_exception_fp_ieee_invalid_op 0
		.amdhsa_exception_fp_denorm_src 0
		.amdhsa_exception_fp_ieee_div_zero 0
		.amdhsa_exception_fp_ieee_overflow 0
		.amdhsa_exception_fp_ieee_underflow 0
		.amdhsa_exception_fp_ieee_inexact 0
		.amdhsa_exception_int_div_zero 0
	.end_amdhsa_kernel
	.section	.text._ZN7rocprim17ROCPRIM_400000_NS6detail17trampoline_kernelINS0_14default_configENS1_27scan_by_key_config_selectorIiiEEZZNS1_16scan_by_key_implILNS1_25lookback_scan_determinismE0ELb1ES3_N6thrust23THRUST_200600_302600_NS6detail15normal_iteratorINS9_10device_ptrIiEEEENSB_INSC_IjEEEESE_iNS9_4plusIvEENS9_8equal_toIvEEiEE10hipError_tPvRmT2_T3_T4_T5_mT6_T7_P12ihipStream_tbENKUlT_T0_E_clISt17integral_constantIbLb0EES11_EEDaSW_SX_EUlSW_E_NS1_11comp_targetILNS1_3genE5ELNS1_11target_archE942ELNS1_3gpuE9ELNS1_3repE0EEENS1_30default_config_static_selectorELNS0_4arch9wavefront6targetE0EEEvT1_,"axG",@progbits,_ZN7rocprim17ROCPRIM_400000_NS6detail17trampoline_kernelINS0_14default_configENS1_27scan_by_key_config_selectorIiiEEZZNS1_16scan_by_key_implILNS1_25lookback_scan_determinismE0ELb1ES3_N6thrust23THRUST_200600_302600_NS6detail15normal_iteratorINS9_10device_ptrIiEEEENSB_INSC_IjEEEESE_iNS9_4plusIvEENS9_8equal_toIvEEiEE10hipError_tPvRmT2_T3_T4_T5_mT6_T7_P12ihipStream_tbENKUlT_T0_E_clISt17integral_constantIbLb0EES11_EEDaSW_SX_EUlSW_E_NS1_11comp_targetILNS1_3genE5ELNS1_11target_archE942ELNS1_3gpuE9ELNS1_3repE0EEENS1_30default_config_static_selectorELNS0_4arch9wavefront6targetE0EEEvT1_,comdat
.Lfunc_end1754:
	.size	_ZN7rocprim17ROCPRIM_400000_NS6detail17trampoline_kernelINS0_14default_configENS1_27scan_by_key_config_selectorIiiEEZZNS1_16scan_by_key_implILNS1_25lookback_scan_determinismE0ELb1ES3_N6thrust23THRUST_200600_302600_NS6detail15normal_iteratorINS9_10device_ptrIiEEEENSB_INSC_IjEEEESE_iNS9_4plusIvEENS9_8equal_toIvEEiEE10hipError_tPvRmT2_T3_T4_T5_mT6_T7_P12ihipStream_tbENKUlT_T0_E_clISt17integral_constantIbLb0EES11_EEDaSW_SX_EUlSW_E_NS1_11comp_targetILNS1_3genE5ELNS1_11target_archE942ELNS1_3gpuE9ELNS1_3repE0EEENS1_30default_config_static_selectorELNS0_4arch9wavefront6targetE0EEEvT1_, .Lfunc_end1754-_ZN7rocprim17ROCPRIM_400000_NS6detail17trampoline_kernelINS0_14default_configENS1_27scan_by_key_config_selectorIiiEEZZNS1_16scan_by_key_implILNS1_25lookback_scan_determinismE0ELb1ES3_N6thrust23THRUST_200600_302600_NS6detail15normal_iteratorINS9_10device_ptrIiEEEENSB_INSC_IjEEEESE_iNS9_4plusIvEENS9_8equal_toIvEEiEE10hipError_tPvRmT2_T3_T4_T5_mT6_T7_P12ihipStream_tbENKUlT_T0_E_clISt17integral_constantIbLb0EES11_EEDaSW_SX_EUlSW_E_NS1_11comp_targetILNS1_3genE5ELNS1_11target_archE942ELNS1_3gpuE9ELNS1_3repE0EEENS1_30default_config_static_selectorELNS0_4arch9wavefront6targetE0EEEvT1_
                                        ; -- End function
	.set _ZN7rocprim17ROCPRIM_400000_NS6detail17trampoline_kernelINS0_14default_configENS1_27scan_by_key_config_selectorIiiEEZZNS1_16scan_by_key_implILNS1_25lookback_scan_determinismE0ELb1ES3_N6thrust23THRUST_200600_302600_NS6detail15normal_iteratorINS9_10device_ptrIiEEEENSB_INSC_IjEEEESE_iNS9_4plusIvEENS9_8equal_toIvEEiEE10hipError_tPvRmT2_T3_T4_T5_mT6_T7_P12ihipStream_tbENKUlT_T0_E_clISt17integral_constantIbLb0EES11_EEDaSW_SX_EUlSW_E_NS1_11comp_targetILNS1_3genE5ELNS1_11target_archE942ELNS1_3gpuE9ELNS1_3repE0EEENS1_30default_config_static_selectorELNS0_4arch9wavefront6targetE0EEEvT1_.num_vgpr, 0
	.set _ZN7rocprim17ROCPRIM_400000_NS6detail17trampoline_kernelINS0_14default_configENS1_27scan_by_key_config_selectorIiiEEZZNS1_16scan_by_key_implILNS1_25lookback_scan_determinismE0ELb1ES3_N6thrust23THRUST_200600_302600_NS6detail15normal_iteratorINS9_10device_ptrIiEEEENSB_INSC_IjEEEESE_iNS9_4plusIvEENS9_8equal_toIvEEiEE10hipError_tPvRmT2_T3_T4_T5_mT6_T7_P12ihipStream_tbENKUlT_T0_E_clISt17integral_constantIbLb0EES11_EEDaSW_SX_EUlSW_E_NS1_11comp_targetILNS1_3genE5ELNS1_11target_archE942ELNS1_3gpuE9ELNS1_3repE0EEENS1_30default_config_static_selectorELNS0_4arch9wavefront6targetE0EEEvT1_.num_agpr, 0
	.set _ZN7rocprim17ROCPRIM_400000_NS6detail17trampoline_kernelINS0_14default_configENS1_27scan_by_key_config_selectorIiiEEZZNS1_16scan_by_key_implILNS1_25lookback_scan_determinismE0ELb1ES3_N6thrust23THRUST_200600_302600_NS6detail15normal_iteratorINS9_10device_ptrIiEEEENSB_INSC_IjEEEESE_iNS9_4plusIvEENS9_8equal_toIvEEiEE10hipError_tPvRmT2_T3_T4_T5_mT6_T7_P12ihipStream_tbENKUlT_T0_E_clISt17integral_constantIbLb0EES11_EEDaSW_SX_EUlSW_E_NS1_11comp_targetILNS1_3genE5ELNS1_11target_archE942ELNS1_3gpuE9ELNS1_3repE0EEENS1_30default_config_static_selectorELNS0_4arch9wavefront6targetE0EEEvT1_.numbered_sgpr, 0
	.set _ZN7rocprim17ROCPRIM_400000_NS6detail17trampoline_kernelINS0_14default_configENS1_27scan_by_key_config_selectorIiiEEZZNS1_16scan_by_key_implILNS1_25lookback_scan_determinismE0ELb1ES3_N6thrust23THRUST_200600_302600_NS6detail15normal_iteratorINS9_10device_ptrIiEEEENSB_INSC_IjEEEESE_iNS9_4plusIvEENS9_8equal_toIvEEiEE10hipError_tPvRmT2_T3_T4_T5_mT6_T7_P12ihipStream_tbENKUlT_T0_E_clISt17integral_constantIbLb0EES11_EEDaSW_SX_EUlSW_E_NS1_11comp_targetILNS1_3genE5ELNS1_11target_archE942ELNS1_3gpuE9ELNS1_3repE0EEENS1_30default_config_static_selectorELNS0_4arch9wavefront6targetE0EEEvT1_.num_named_barrier, 0
	.set _ZN7rocprim17ROCPRIM_400000_NS6detail17trampoline_kernelINS0_14default_configENS1_27scan_by_key_config_selectorIiiEEZZNS1_16scan_by_key_implILNS1_25lookback_scan_determinismE0ELb1ES3_N6thrust23THRUST_200600_302600_NS6detail15normal_iteratorINS9_10device_ptrIiEEEENSB_INSC_IjEEEESE_iNS9_4plusIvEENS9_8equal_toIvEEiEE10hipError_tPvRmT2_T3_T4_T5_mT6_T7_P12ihipStream_tbENKUlT_T0_E_clISt17integral_constantIbLb0EES11_EEDaSW_SX_EUlSW_E_NS1_11comp_targetILNS1_3genE5ELNS1_11target_archE942ELNS1_3gpuE9ELNS1_3repE0EEENS1_30default_config_static_selectorELNS0_4arch9wavefront6targetE0EEEvT1_.private_seg_size, 0
	.set _ZN7rocprim17ROCPRIM_400000_NS6detail17trampoline_kernelINS0_14default_configENS1_27scan_by_key_config_selectorIiiEEZZNS1_16scan_by_key_implILNS1_25lookback_scan_determinismE0ELb1ES3_N6thrust23THRUST_200600_302600_NS6detail15normal_iteratorINS9_10device_ptrIiEEEENSB_INSC_IjEEEESE_iNS9_4plusIvEENS9_8equal_toIvEEiEE10hipError_tPvRmT2_T3_T4_T5_mT6_T7_P12ihipStream_tbENKUlT_T0_E_clISt17integral_constantIbLb0EES11_EEDaSW_SX_EUlSW_E_NS1_11comp_targetILNS1_3genE5ELNS1_11target_archE942ELNS1_3gpuE9ELNS1_3repE0EEENS1_30default_config_static_selectorELNS0_4arch9wavefront6targetE0EEEvT1_.uses_vcc, 0
	.set _ZN7rocprim17ROCPRIM_400000_NS6detail17trampoline_kernelINS0_14default_configENS1_27scan_by_key_config_selectorIiiEEZZNS1_16scan_by_key_implILNS1_25lookback_scan_determinismE0ELb1ES3_N6thrust23THRUST_200600_302600_NS6detail15normal_iteratorINS9_10device_ptrIiEEEENSB_INSC_IjEEEESE_iNS9_4plusIvEENS9_8equal_toIvEEiEE10hipError_tPvRmT2_T3_T4_T5_mT6_T7_P12ihipStream_tbENKUlT_T0_E_clISt17integral_constantIbLb0EES11_EEDaSW_SX_EUlSW_E_NS1_11comp_targetILNS1_3genE5ELNS1_11target_archE942ELNS1_3gpuE9ELNS1_3repE0EEENS1_30default_config_static_selectorELNS0_4arch9wavefront6targetE0EEEvT1_.uses_flat_scratch, 0
	.set _ZN7rocprim17ROCPRIM_400000_NS6detail17trampoline_kernelINS0_14default_configENS1_27scan_by_key_config_selectorIiiEEZZNS1_16scan_by_key_implILNS1_25lookback_scan_determinismE0ELb1ES3_N6thrust23THRUST_200600_302600_NS6detail15normal_iteratorINS9_10device_ptrIiEEEENSB_INSC_IjEEEESE_iNS9_4plusIvEENS9_8equal_toIvEEiEE10hipError_tPvRmT2_T3_T4_T5_mT6_T7_P12ihipStream_tbENKUlT_T0_E_clISt17integral_constantIbLb0EES11_EEDaSW_SX_EUlSW_E_NS1_11comp_targetILNS1_3genE5ELNS1_11target_archE942ELNS1_3gpuE9ELNS1_3repE0EEENS1_30default_config_static_selectorELNS0_4arch9wavefront6targetE0EEEvT1_.has_dyn_sized_stack, 0
	.set _ZN7rocprim17ROCPRIM_400000_NS6detail17trampoline_kernelINS0_14default_configENS1_27scan_by_key_config_selectorIiiEEZZNS1_16scan_by_key_implILNS1_25lookback_scan_determinismE0ELb1ES3_N6thrust23THRUST_200600_302600_NS6detail15normal_iteratorINS9_10device_ptrIiEEEENSB_INSC_IjEEEESE_iNS9_4plusIvEENS9_8equal_toIvEEiEE10hipError_tPvRmT2_T3_T4_T5_mT6_T7_P12ihipStream_tbENKUlT_T0_E_clISt17integral_constantIbLb0EES11_EEDaSW_SX_EUlSW_E_NS1_11comp_targetILNS1_3genE5ELNS1_11target_archE942ELNS1_3gpuE9ELNS1_3repE0EEENS1_30default_config_static_selectorELNS0_4arch9wavefront6targetE0EEEvT1_.has_recursion, 0
	.set _ZN7rocprim17ROCPRIM_400000_NS6detail17trampoline_kernelINS0_14default_configENS1_27scan_by_key_config_selectorIiiEEZZNS1_16scan_by_key_implILNS1_25lookback_scan_determinismE0ELb1ES3_N6thrust23THRUST_200600_302600_NS6detail15normal_iteratorINS9_10device_ptrIiEEEENSB_INSC_IjEEEESE_iNS9_4plusIvEENS9_8equal_toIvEEiEE10hipError_tPvRmT2_T3_T4_T5_mT6_T7_P12ihipStream_tbENKUlT_T0_E_clISt17integral_constantIbLb0EES11_EEDaSW_SX_EUlSW_E_NS1_11comp_targetILNS1_3genE5ELNS1_11target_archE942ELNS1_3gpuE9ELNS1_3repE0EEENS1_30default_config_static_selectorELNS0_4arch9wavefront6targetE0EEEvT1_.has_indirect_call, 0
	.section	.AMDGPU.csdata,"",@progbits
; Kernel info:
; codeLenInByte = 0
; TotalNumSgprs: 0
; NumVgprs: 0
; ScratchSize: 0
; MemoryBound: 0
; FloatMode: 240
; IeeeMode: 1
; LDSByteSize: 0 bytes/workgroup (compile time only)
; SGPRBlocks: 0
; VGPRBlocks: 0
; NumSGPRsForWavesPerEU: 1
; NumVGPRsForWavesPerEU: 1
; Occupancy: 16
; WaveLimiterHint : 0
; COMPUTE_PGM_RSRC2:SCRATCH_EN: 0
; COMPUTE_PGM_RSRC2:USER_SGPR: 6
; COMPUTE_PGM_RSRC2:TRAP_HANDLER: 0
; COMPUTE_PGM_RSRC2:TGID_X_EN: 1
; COMPUTE_PGM_RSRC2:TGID_Y_EN: 0
; COMPUTE_PGM_RSRC2:TGID_Z_EN: 0
; COMPUTE_PGM_RSRC2:TIDIG_COMP_CNT: 0
	.section	.text._ZN7rocprim17ROCPRIM_400000_NS6detail17trampoline_kernelINS0_14default_configENS1_27scan_by_key_config_selectorIiiEEZZNS1_16scan_by_key_implILNS1_25lookback_scan_determinismE0ELb1ES3_N6thrust23THRUST_200600_302600_NS6detail15normal_iteratorINS9_10device_ptrIiEEEENSB_INSC_IjEEEESE_iNS9_4plusIvEENS9_8equal_toIvEEiEE10hipError_tPvRmT2_T3_T4_T5_mT6_T7_P12ihipStream_tbENKUlT_T0_E_clISt17integral_constantIbLb0EES11_EEDaSW_SX_EUlSW_E_NS1_11comp_targetILNS1_3genE4ELNS1_11target_archE910ELNS1_3gpuE8ELNS1_3repE0EEENS1_30default_config_static_selectorELNS0_4arch9wavefront6targetE0EEEvT1_,"axG",@progbits,_ZN7rocprim17ROCPRIM_400000_NS6detail17trampoline_kernelINS0_14default_configENS1_27scan_by_key_config_selectorIiiEEZZNS1_16scan_by_key_implILNS1_25lookback_scan_determinismE0ELb1ES3_N6thrust23THRUST_200600_302600_NS6detail15normal_iteratorINS9_10device_ptrIiEEEENSB_INSC_IjEEEESE_iNS9_4plusIvEENS9_8equal_toIvEEiEE10hipError_tPvRmT2_T3_T4_T5_mT6_T7_P12ihipStream_tbENKUlT_T0_E_clISt17integral_constantIbLb0EES11_EEDaSW_SX_EUlSW_E_NS1_11comp_targetILNS1_3genE4ELNS1_11target_archE910ELNS1_3gpuE8ELNS1_3repE0EEENS1_30default_config_static_selectorELNS0_4arch9wavefront6targetE0EEEvT1_,comdat
	.protected	_ZN7rocprim17ROCPRIM_400000_NS6detail17trampoline_kernelINS0_14default_configENS1_27scan_by_key_config_selectorIiiEEZZNS1_16scan_by_key_implILNS1_25lookback_scan_determinismE0ELb1ES3_N6thrust23THRUST_200600_302600_NS6detail15normal_iteratorINS9_10device_ptrIiEEEENSB_INSC_IjEEEESE_iNS9_4plusIvEENS9_8equal_toIvEEiEE10hipError_tPvRmT2_T3_T4_T5_mT6_T7_P12ihipStream_tbENKUlT_T0_E_clISt17integral_constantIbLb0EES11_EEDaSW_SX_EUlSW_E_NS1_11comp_targetILNS1_3genE4ELNS1_11target_archE910ELNS1_3gpuE8ELNS1_3repE0EEENS1_30default_config_static_selectorELNS0_4arch9wavefront6targetE0EEEvT1_ ; -- Begin function _ZN7rocprim17ROCPRIM_400000_NS6detail17trampoline_kernelINS0_14default_configENS1_27scan_by_key_config_selectorIiiEEZZNS1_16scan_by_key_implILNS1_25lookback_scan_determinismE0ELb1ES3_N6thrust23THRUST_200600_302600_NS6detail15normal_iteratorINS9_10device_ptrIiEEEENSB_INSC_IjEEEESE_iNS9_4plusIvEENS9_8equal_toIvEEiEE10hipError_tPvRmT2_T3_T4_T5_mT6_T7_P12ihipStream_tbENKUlT_T0_E_clISt17integral_constantIbLb0EES11_EEDaSW_SX_EUlSW_E_NS1_11comp_targetILNS1_3genE4ELNS1_11target_archE910ELNS1_3gpuE8ELNS1_3repE0EEENS1_30default_config_static_selectorELNS0_4arch9wavefront6targetE0EEEvT1_
	.globl	_ZN7rocprim17ROCPRIM_400000_NS6detail17trampoline_kernelINS0_14default_configENS1_27scan_by_key_config_selectorIiiEEZZNS1_16scan_by_key_implILNS1_25lookback_scan_determinismE0ELb1ES3_N6thrust23THRUST_200600_302600_NS6detail15normal_iteratorINS9_10device_ptrIiEEEENSB_INSC_IjEEEESE_iNS9_4plusIvEENS9_8equal_toIvEEiEE10hipError_tPvRmT2_T3_T4_T5_mT6_T7_P12ihipStream_tbENKUlT_T0_E_clISt17integral_constantIbLb0EES11_EEDaSW_SX_EUlSW_E_NS1_11comp_targetILNS1_3genE4ELNS1_11target_archE910ELNS1_3gpuE8ELNS1_3repE0EEENS1_30default_config_static_selectorELNS0_4arch9wavefront6targetE0EEEvT1_
	.p2align	8
	.type	_ZN7rocprim17ROCPRIM_400000_NS6detail17trampoline_kernelINS0_14default_configENS1_27scan_by_key_config_selectorIiiEEZZNS1_16scan_by_key_implILNS1_25lookback_scan_determinismE0ELb1ES3_N6thrust23THRUST_200600_302600_NS6detail15normal_iteratorINS9_10device_ptrIiEEEENSB_INSC_IjEEEESE_iNS9_4plusIvEENS9_8equal_toIvEEiEE10hipError_tPvRmT2_T3_T4_T5_mT6_T7_P12ihipStream_tbENKUlT_T0_E_clISt17integral_constantIbLb0EES11_EEDaSW_SX_EUlSW_E_NS1_11comp_targetILNS1_3genE4ELNS1_11target_archE910ELNS1_3gpuE8ELNS1_3repE0EEENS1_30default_config_static_selectorELNS0_4arch9wavefront6targetE0EEEvT1_,@function
_ZN7rocprim17ROCPRIM_400000_NS6detail17trampoline_kernelINS0_14default_configENS1_27scan_by_key_config_selectorIiiEEZZNS1_16scan_by_key_implILNS1_25lookback_scan_determinismE0ELb1ES3_N6thrust23THRUST_200600_302600_NS6detail15normal_iteratorINS9_10device_ptrIiEEEENSB_INSC_IjEEEESE_iNS9_4plusIvEENS9_8equal_toIvEEiEE10hipError_tPvRmT2_T3_T4_T5_mT6_T7_P12ihipStream_tbENKUlT_T0_E_clISt17integral_constantIbLb0EES11_EEDaSW_SX_EUlSW_E_NS1_11comp_targetILNS1_3genE4ELNS1_11target_archE910ELNS1_3gpuE8ELNS1_3repE0EEENS1_30default_config_static_selectorELNS0_4arch9wavefront6targetE0EEEvT1_: ; @_ZN7rocprim17ROCPRIM_400000_NS6detail17trampoline_kernelINS0_14default_configENS1_27scan_by_key_config_selectorIiiEEZZNS1_16scan_by_key_implILNS1_25lookback_scan_determinismE0ELb1ES3_N6thrust23THRUST_200600_302600_NS6detail15normal_iteratorINS9_10device_ptrIiEEEENSB_INSC_IjEEEESE_iNS9_4plusIvEENS9_8equal_toIvEEiEE10hipError_tPvRmT2_T3_T4_T5_mT6_T7_P12ihipStream_tbENKUlT_T0_E_clISt17integral_constantIbLb0EES11_EEDaSW_SX_EUlSW_E_NS1_11comp_targetILNS1_3genE4ELNS1_11target_archE910ELNS1_3gpuE8ELNS1_3repE0EEENS1_30default_config_static_selectorELNS0_4arch9wavefront6targetE0EEEvT1_
; %bb.0:
	.section	.rodata,"a",@progbits
	.p2align	6, 0x0
	.amdhsa_kernel _ZN7rocprim17ROCPRIM_400000_NS6detail17trampoline_kernelINS0_14default_configENS1_27scan_by_key_config_selectorIiiEEZZNS1_16scan_by_key_implILNS1_25lookback_scan_determinismE0ELb1ES3_N6thrust23THRUST_200600_302600_NS6detail15normal_iteratorINS9_10device_ptrIiEEEENSB_INSC_IjEEEESE_iNS9_4plusIvEENS9_8equal_toIvEEiEE10hipError_tPvRmT2_T3_T4_T5_mT6_T7_P12ihipStream_tbENKUlT_T0_E_clISt17integral_constantIbLb0EES11_EEDaSW_SX_EUlSW_E_NS1_11comp_targetILNS1_3genE4ELNS1_11target_archE910ELNS1_3gpuE8ELNS1_3repE0EEENS1_30default_config_static_selectorELNS0_4arch9wavefront6targetE0EEEvT1_
		.amdhsa_group_segment_fixed_size 0
		.amdhsa_private_segment_fixed_size 0
		.amdhsa_kernarg_size 112
		.amdhsa_user_sgpr_count 6
		.amdhsa_user_sgpr_private_segment_buffer 1
		.amdhsa_user_sgpr_dispatch_ptr 0
		.amdhsa_user_sgpr_queue_ptr 0
		.amdhsa_user_sgpr_kernarg_segment_ptr 1
		.amdhsa_user_sgpr_dispatch_id 0
		.amdhsa_user_sgpr_flat_scratch_init 0
		.amdhsa_user_sgpr_private_segment_size 0
		.amdhsa_wavefront_size32 1
		.amdhsa_uses_dynamic_stack 0
		.amdhsa_system_sgpr_private_segment_wavefront_offset 0
		.amdhsa_system_sgpr_workgroup_id_x 1
		.amdhsa_system_sgpr_workgroup_id_y 0
		.amdhsa_system_sgpr_workgroup_id_z 0
		.amdhsa_system_sgpr_workgroup_info 0
		.amdhsa_system_vgpr_workitem_id 0
		.amdhsa_next_free_vgpr 1
		.amdhsa_next_free_sgpr 1
		.amdhsa_reserve_vcc 0
		.amdhsa_reserve_flat_scratch 0
		.amdhsa_float_round_mode_32 0
		.amdhsa_float_round_mode_16_64 0
		.amdhsa_float_denorm_mode_32 3
		.amdhsa_float_denorm_mode_16_64 3
		.amdhsa_dx10_clamp 1
		.amdhsa_ieee_mode 1
		.amdhsa_fp16_overflow 0
		.amdhsa_workgroup_processor_mode 1
		.amdhsa_memory_ordered 1
		.amdhsa_forward_progress 1
		.amdhsa_shared_vgpr_count 0
		.amdhsa_exception_fp_ieee_invalid_op 0
		.amdhsa_exception_fp_denorm_src 0
		.amdhsa_exception_fp_ieee_div_zero 0
		.amdhsa_exception_fp_ieee_overflow 0
		.amdhsa_exception_fp_ieee_underflow 0
		.amdhsa_exception_fp_ieee_inexact 0
		.amdhsa_exception_int_div_zero 0
	.end_amdhsa_kernel
	.section	.text._ZN7rocprim17ROCPRIM_400000_NS6detail17trampoline_kernelINS0_14default_configENS1_27scan_by_key_config_selectorIiiEEZZNS1_16scan_by_key_implILNS1_25lookback_scan_determinismE0ELb1ES3_N6thrust23THRUST_200600_302600_NS6detail15normal_iteratorINS9_10device_ptrIiEEEENSB_INSC_IjEEEESE_iNS9_4plusIvEENS9_8equal_toIvEEiEE10hipError_tPvRmT2_T3_T4_T5_mT6_T7_P12ihipStream_tbENKUlT_T0_E_clISt17integral_constantIbLb0EES11_EEDaSW_SX_EUlSW_E_NS1_11comp_targetILNS1_3genE4ELNS1_11target_archE910ELNS1_3gpuE8ELNS1_3repE0EEENS1_30default_config_static_selectorELNS0_4arch9wavefront6targetE0EEEvT1_,"axG",@progbits,_ZN7rocprim17ROCPRIM_400000_NS6detail17trampoline_kernelINS0_14default_configENS1_27scan_by_key_config_selectorIiiEEZZNS1_16scan_by_key_implILNS1_25lookback_scan_determinismE0ELb1ES3_N6thrust23THRUST_200600_302600_NS6detail15normal_iteratorINS9_10device_ptrIiEEEENSB_INSC_IjEEEESE_iNS9_4plusIvEENS9_8equal_toIvEEiEE10hipError_tPvRmT2_T3_T4_T5_mT6_T7_P12ihipStream_tbENKUlT_T0_E_clISt17integral_constantIbLb0EES11_EEDaSW_SX_EUlSW_E_NS1_11comp_targetILNS1_3genE4ELNS1_11target_archE910ELNS1_3gpuE8ELNS1_3repE0EEENS1_30default_config_static_selectorELNS0_4arch9wavefront6targetE0EEEvT1_,comdat
.Lfunc_end1755:
	.size	_ZN7rocprim17ROCPRIM_400000_NS6detail17trampoline_kernelINS0_14default_configENS1_27scan_by_key_config_selectorIiiEEZZNS1_16scan_by_key_implILNS1_25lookback_scan_determinismE0ELb1ES3_N6thrust23THRUST_200600_302600_NS6detail15normal_iteratorINS9_10device_ptrIiEEEENSB_INSC_IjEEEESE_iNS9_4plusIvEENS9_8equal_toIvEEiEE10hipError_tPvRmT2_T3_T4_T5_mT6_T7_P12ihipStream_tbENKUlT_T0_E_clISt17integral_constantIbLb0EES11_EEDaSW_SX_EUlSW_E_NS1_11comp_targetILNS1_3genE4ELNS1_11target_archE910ELNS1_3gpuE8ELNS1_3repE0EEENS1_30default_config_static_selectorELNS0_4arch9wavefront6targetE0EEEvT1_, .Lfunc_end1755-_ZN7rocprim17ROCPRIM_400000_NS6detail17trampoline_kernelINS0_14default_configENS1_27scan_by_key_config_selectorIiiEEZZNS1_16scan_by_key_implILNS1_25lookback_scan_determinismE0ELb1ES3_N6thrust23THRUST_200600_302600_NS6detail15normal_iteratorINS9_10device_ptrIiEEEENSB_INSC_IjEEEESE_iNS9_4plusIvEENS9_8equal_toIvEEiEE10hipError_tPvRmT2_T3_T4_T5_mT6_T7_P12ihipStream_tbENKUlT_T0_E_clISt17integral_constantIbLb0EES11_EEDaSW_SX_EUlSW_E_NS1_11comp_targetILNS1_3genE4ELNS1_11target_archE910ELNS1_3gpuE8ELNS1_3repE0EEENS1_30default_config_static_selectorELNS0_4arch9wavefront6targetE0EEEvT1_
                                        ; -- End function
	.set _ZN7rocprim17ROCPRIM_400000_NS6detail17trampoline_kernelINS0_14default_configENS1_27scan_by_key_config_selectorIiiEEZZNS1_16scan_by_key_implILNS1_25lookback_scan_determinismE0ELb1ES3_N6thrust23THRUST_200600_302600_NS6detail15normal_iteratorINS9_10device_ptrIiEEEENSB_INSC_IjEEEESE_iNS9_4plusIvEENS9_8equal_toIvEEiEE10hipError_tPvRmT2_T3_T4_T5_mT6_T7_P12ihipStream_tbENKUlT_T0_E_clISt17integral_constantIbLb0EES11_EEDaSW_SX_EUlSW_E_NS1_11comp_targetILNS1_3genE4ELNS1_11target_archE910ELNS1_3gpuE8ELNS1_3repE0EEENS1_30default_config_static_selectorELNS0_4arch9wavefront6targetE0EEEvT1_.num_vgpr, 0
	.set _ZN7rocprim17ROCPRIM_400000_NS6detail17trampoline_kernelINS0_14default_configENS1_27scan_by_key_config_selectorIiiEEZZNS1_16scan_by_key_implILNS1_25lookback_scan_determinismE0ELb1ES3_N6thrust23THRUST_200600_302600_NS6detail15normal_iteratorINS9_10device_ptrIiEEEENSB_INSC_IjEEEESE_iNS9_4plusIvEENS9_8equal_toIvEEiEE10hipError_tPvRmT2_T3_T4_T5_mT6_T7_P12ihipStream_tbENKUlT_T0_E_clISt17integral_constantIbLb0EES11_EEDaSW_SX_EUlSW_E_NS1_11comp_targetILNS1_3genE4ELNS1_11target_archE910ELNS1_3gpuE8ELNS1_3repE0EEENS1_30default_config_static_selectorELNS0_4arch9wavefront6targetE0EEEvT1_.num_agpr, 0
	.set _ZN7rocprim17ROCPRIM_400000_NS6detail17trampoline_kernelINS0_14default_configENS1_27scan_by_key_config_selectorIiiEEZZNS1_16scan_by_key_implILNS1_25lookback_scan_determinismE0ELb1ES3_N6thrust23THRUST_200600_302600_NS6detail15normal_iteratorINS9_10device_ptrIiEEEENSB_INSC_IjEEEESE_iNS9_4plusIvEENS9_8equal_toIvEEiEE10hipError_tPvRmT2_T3_T4_T5_mT6_T7_P12ihipStream_tbENKUlT_T0_E_clISt17integral_constantIbLb0EES11_EEDaSW_SX_EUlSW_E_NS1_11comp_targetILNS1_3genE4ELNS1_11target_archE910ELNS1_3gpuE8ELNS1_3repE0EEENS1_30default_config_static_selectorELNS0_4arch9wavefront6targetE0EEEvT1_.numbered_sgpr, 0
	.set _ZN7rocprim17ROCPRIM_400000_NS6detail17trampoline_kernelINS0_14default_configENS1_27scan_by_key_config_selectorIiiEEZZNS1_16scan_by_key_implILNS1_25lookback_scan_determinismE0ELb1ES3_N6thrust23THRUST_200600_302600_NS6detail15normal_iteratorINS9_10device_ptrIiEEEENSB_INSC_IjEEEESE_iNS9_4plusIvEENS9_8equal_toIvEEiEE10hipError_tPvRmT2_T3_T4_T5_mT6_T7_P12ihipStream_tbENKUlT_T0_E_clISt17integral_constantIbLb0EES11_EEDaSW_SX_EUlSW_E_NS1_11comp_targetILNS1_3genE4ELNS1_11target_archE910ELNS1_3gpuE8ELNS1_3repE0EEENS1_30default_config_static_selectorELNS0_4arch9wavefront6targetE0EEEvT1_.num_named_barrier, 0
	.set _ZN7rocprim17ROCPRIM_400000_NS6detail17trampoline_kernelINS0_14default_configENS1_27scan_by_key_config_selectorIiiEEZZNS1_16scan_by_key_implILNS1_25lookback_scan_determinismE0ELb1ES3_N6thrust23THRUST_200600_302600_NS6detail15normal_iteratorINS9_10device_ptrIiEEEENSB_INSC_IjEEEESE_iNS9_4plusIvEENS9_8equal_toIvEEiEE10hipError_tPvRmT2_T3_T4_T5_mT6_T7_P12ihipStream_tbENKUlT_T0_E_clISt17integral_constantIbLb0EES11_EEDaSW_SX_EUlSW_E_NS1_11comp_targetILNS1_3genE4ELNS1_11target_archE910ELNS1_3gpuE8ELNS1_3repE0EEENS1_30default_config_static_selectorELNS0_4arch9wavefront6targetE0EEEvT1_.private_seg_size, 0
	.set _ZN7rocprim17ROCPRIM_400000_NS6detail17trampoline_kernelINS0_14default_configENS1_27scan_by_key_config_selectorIiiEEZZNS1_16scan_by_key_implILNS1_25lookback_scan_determinismE0ELb1ES3_N6thrust23THRUST_200600_302600_NS6detail15normal_iteratorINS9_10device_ptrIiEEEENSB_INSC_IjEEEESE_iNS9_4plusIvEENS9_8equal_toIvEEiEE10hipError_tPvRmT2_T3_T4_T5_mT6_T7_P12ihipStream_tbENKUlT_T0_E_clISt17integral_constantIbLb0EES11_EEDaSW_SX_EUlSW_E_NS1_11comp_targetILNS1_3genE4ELNS1_11target_archE910ELNS1_3gpuE8ELNS1_3repE0EEENS1_30default_config_static_selectorELNS0_4arch9wavefront6targetE0EEEvT1_.uses_vcc, 0
	.set _ZN7rocprim17ROCPRIM_400000_NS6detail17trampoline_kernelINS0_14default_configENS1_27scan_by_key_config_selectorIiiEEZZNS1_16scan_by_key_implILNS1_25lookback_scan_determinismE0ELb1ES3_N6thrust23THRUST_200600_302600_NS6detail15normal_iteratorINS9_10device_ptrIiEEEENSB_INSC_IjEEEESE_iNS9_4plusIvEENS9_8equal_toIvEEiEE10hipError_tPvRmT2_T3_T4_T5_mT6_T7_P12ihipStream_tbENKUlT_T0_E_clISt17integral_constantIbLb0EES11_EEDaSW_SX_EUlSW_E_NS1_11comp_targetILNS1_3genE4ELNS1_11target_archE910ELNS1_3gpuE8ELNS1_3repE0EEENS1_30default_config_static_selectorELNS0_4arch9wavefront6targetE0EEEvT1_.uses_flat_scratch, 0
	.set _ZN7rocprim17ROCPRIM_400000_NS6detail17trampoline_kernelINS0_14default_configENS1_27scan_by_key_config_selectorIiiEEZZNS1_16scan_by_key_implILNS1_25lookback_scan_determinismE0ELb1ES3_N6thrust23THRUST_200600_302600_NS6detail15normal_iteratorINS9_10device_ptrIiEEEENSB_INSC_IjEEEESE_iNS9_4plusIvEENS9_8equal_toIvEEiEE10hipError_tPvRmT2_T3_T4_T5_mT6_T7_P12ihipStream_tbENKUlT_T0_E_clISt17integral_constantIbLb0EES11_EEDaSW_SX_EUlSW_E_NS1_11comp_targetILNS1_3genE4ELNS1_11target_archE910ELNS1_3gpuE8ELNS1_3repE0EEENS1_30default_config_static_selectorELNS0_4arch9wavefront6targetE0EEEvT1_.has_dyn_sized_stack, 0
	.set _ZN7rocprim17ROCPRIM_400000_NS6detail17trampoline_kernelINS0_14default_configENS1_27scan_by_key_config_selectorIiiEEZZNS1_16scan_by_key_implILNS1_25lookback_scan_determinismE0ELb1ES3_N6thrust23THRUST_200600_302600_NS6detail15normal_iteratorINS9_10device_ptrIiEEEENSB_INSC_IjEEEESE_iNS9_4plusIvEENS9_8equal_toIvEEiEE10hipError_tPvRmT2_T3_T4_T5_mT6_T7_P12ihipStream_tbENKUlT_T0_E_clISt17integral_constantIbLb0EES11_EEDaSW_SX_EUlSW_E_NS1_11comp_targetILNS1_3genE4ELNS1_11target_archE910ELNS1_3gpuE8ELNS1_3repE0EEENS1_30default_config_static_selectorELNS0_4arch9wavefront6targetE0EEEvT1_.has_recursion, 0
	.set _ZN7rocprim17ROCPRIM_400000_NS6detail17trampoline_kernelINS0_14default_configENS1_27scan_by_key_config_selectorIiiEEZZNS1_16scan_by_key_implILNS1_25lookback_scan_determinismE0ELb1ES3_N6thrust23THRUST_200600_302600_NS6detail15normal_iteratorINS9_10device_ptrIiEEEENSB_INSC_IjEEEESE_iNS9_4plusIvEENS9_8equal_toIvEEiEE10hipError_tPvRmT2_T3_T4_T5_mT6_T7_P12ihipStream_tbENKUlT_T0_E_clISt17integral_constantIbLb0EES11_EEDaSW_SX_EUlSW_E_NS1_11comp_targetILNS1_3genE4ELNS1_11target_archE910ELNS1_3gpuE8ELNS1_3repE0EEENS1_30default_config_static_selectorELNS0_4arch9wavefront6targetE0EEEvT1_.has_indirect_call, 0
	.section	.AMDGPU.csdata,"",@progbits
; Kernel info:
; codeLenInByte = 0
; TotalNumSgprs: 0
; NumVgprs: 0
; ScratchSize: 0
; MemoryBound: 0
; FloatMode: 240
; IeeeMode: 1
; LDSByteSize: 0 bytes/workgroup (compile time only)
; SGPRBlocks: 0
; VGPRBlocks: 0
; NumSGPRsForWavesPerEU: 1
; NumVGPRsForWavesPerEU: 1
; Occupancy: 16
; WaveLimiterHint : 0
; COMPUTE_PGM_RSRC2:SCRATCH_EN: 0
; COMPUTE_PGM_RSRC2:USER_SGPR: 6
; COMPUTE_PGM_RSRC2:TRAP_HANDLER: 0
; COMPUTE_PGM_RSRC2:TGID_X_EN: 1
; COMPUTE_PGM_RSRC2:TGID_Y_EN: 0
; COMPUTE_PGM_RSRC2:TGID_Z_EN: 0
; COMPUTE_PGM_RSRC2:TIDIG_COMP_CNT: 0
	.section	.text._ZN7rocprim17ROCPRIM_400000_NS6detail17trampoline_kernelINS0_14default_configENS1_27scan_by_key_config_selectorIiiEEZZNS1_16scan_by_key_implILNS1_25lookback_scan_determinismE0ELb1ES3_N6thrust23THRUST_200600_302600_NS6detail15normal_iteratorINS9_10device_ptrIiEEEENSB_INSC_IjEEEESE_iNS9_4plusIvEENS9_8equal_toIvEEiEE10hipError_tPvRmT2_T3_T4_T5_mT6_T7_P12ihipStream_tbENKUlT_T0_E_clISt17integral_constantIbLb0EES11_EEDaSW_SX_EUlSW_E_NS1_11comp_targetILNS1_3genE3ELNS1_11target_archE908ELNS1_3gpuE7ELNS1_3repE0EEENS1_30default_config_static_selectorELNS0_4arch9wavefront6targetE0EEEvT1_,"axG",@progbits,_ZN7rocprim17ROCPRIM_400000_NS6detail17trampoline_kernelINS0_14default_configENS1_27scan_by_key_config_selectorIiiEEZZNS1_16scan_by_key_implILNS1_25lookback_scan_determinismE0ELb1ES3_N6thrust23THRUST_200600_302600_NS6detail15normal_iteratorINS9_10device_ptrIiEEEENSB_INSC_IjEEEESE_iNS9_4plusIvEENS9_8equal_toIvEEiEE10hipError_tPvRmT2_T3_T4_T5_mT6_T7_P12ihipStream_tbENKUlT_T0_E_clISt17integral_constantIbLb0EES11_EEDaSW_SX_EUlSW_E_NS1_11comp_targetILNS1_3genE3ELNS1_11target_archE908ELNS1_3gpuE7ELNS1_3repE0EEENS1_30default_config_static_selectorELNS0_4arch9wavefront6targetE0EEEvT1_,comdat
	.protected	_ZN7rocprim17ROCPRIM_400000_NS6detail17trampoline_kernelINS0_14default_configENS1_27scan_by_key_config_selectorIiiEEZZNS1_16scan_by_key_implILNS1_25lookback_scan_determinismE0ELb1ES3_N6thrust23THRUST_200600_302600_NS6detail15normal_iteratorINS9_10device_ptrIiEEEENSB_INSC_IjEEEESE_iNS9_4plusIvEENS9_8equal_toIvEEiEE10hipError_tPvRmT2_T3_T4_T5_mT6_T7_P12ihipStream_tbENKUlT_T0_E_clISt17integral_constantIbLb0EES11_EEDaSW_SX_EUlSW_E_NS1_11comp_targetILNS1_3genE3ELNS1_11target_archE908ELNS1_3gpuE7ELNS1_3repE0EEENS1_30default_config_static_selectorELNS0_4arch9wavefront6targetE0EEEvT1_ ; -- Begin function _ZN7rocprim17ROCPRIM_400000_NS6detail17trampoline_kernelINS0_14default_configENS1_27scan_by_key_config_selectorIiiEEZZNS1_16scan_by_key_implILNS1_25lookback_scan_determinismE0ELb1ES3_N6thrust23THRUST_200600_302600_NS6detail15normal_iteratorINS9_10device_ptrIiEEEENSB_INSC_IjEEEESE_iNS9_4plusIvEENS9_8equal_toIvEEiEE10hipError_tPvRmT2_T3_T4_T5_mT6_T7_P12ihipStream_tbENKUlT_T0_E_clISt17integral_constantIbLb0EES11_EEDaSW_SX_EUlSW_E_NS1_11comp_targetILNS1_3genE3ELNS1_11target_archE908ELNS1_3gpuE7ELNS1_3repE0EEENS1_30default_config_static_selectorELNS0_4arch9wavefront6targetE0EEEvT1_
	.globl	_ZN7rocprim17ROCPRIM_400000_NS6detail17trampoline_kernelINS0_14default_configENS1_27scan_by_key_config_selectorIiiEEZZNS1_16scan_by_key_implILNS1_25lookback_scan_determinismE0ELb1ES3_N6thrust23THRUST_200600_302600_NS6detail15normal_iteratorINS9_10device_ptrIiEEEENSB_INSC_IjEEEESE_iNS9_4plusIvEENS9_8equal_toIvEEiEE10hipError_tPvRmT2_T3_T4_T5_mT6_T7_P12ihipStream_tbENKUlT_T0_E_clISt17integral_constantIbLb0EES11_EEDaSW_SX_EUlSW_E_NS1_11comp_targetILNS1_3genE3ELNS1_11target_archE908ELNS1_3gpuE7ELNS1_3repE0EEENS1_30default_config_static_selectorELNS0_4arch9wavefront6targetE0EEEvT1_
	.p2align	8
	.type	_ZN7rocprim17ROCPRIM_400000_NS6detail17trampoline_kernelINS0_14default_configENS1_27scan_by_key_config_selectorIiiEEZZNS1_16scan_by_key_implILNS1_25lookback_scan_determinismE0ELb1ES3_N6thrust23THRUST_200600_302600_NS6detail15normal_iteratorINS9_10device_ptrIiEEEENSB_INSC_IjEEEESE_iNS9_4plusIvEENS9_8equal_toIvEEiEE10hipError_tPvRmT2_T3_T4_T5_mT6_T7_P12ihipStream_tbENKUlT_T0_E_clISt17integral_constantIbLb0EES11_EEDaSW_SX_EUlSW_E_NS1_11comp_targetILNS1_3genE3ELNS1_11target_archE908ELNS1_3gpuE7ELNS1_3repE0EEENS1_30default_config_static_selectorELNS0_4arch9wavefront6targetE0EEEvT1_,@function
_ZN7rocprim17ROCPRIM_400000_NS6detail17trampoline_kernelINS0_14default_configENS1_27scan_by_key_config_selectorIiiEEZZNS1_16scan_by_key_implILNS1_25lookback_scan_determinismE0ELb1ES3_N6thrust23THRUST_200600_302600_NS6detail15normal_iteratorINS9_10device_ptrIiEEEENSB_INSC_IjEEEESE_iNS9_4plusIvEENS9_8equal_toIvEEiEE10hipError_tPvRmT2_T3_T4_T5_mT6_T7_P12ihipStream_tbENKUlT_T0_E_clISt17integral_constantIbLb0EES11_EEDaSW_SX_EUlSW_E_NS1_11comp_targetILNS1_3genE3ELNS1_11target_archE908ELNS1_3gpuE7ELNS1_3repE0EEENS1_30default_config_static_selectorELNS0_4arch9wavefront6targetE0EEEvT1_: ; @_ZN7rocprim17ROCPRIM_400000_NS6detail17trampoline_kernelINS0_14default_configENS1_27scan_by_key_config_selectorIiiEEZZNS1_16scan_by_key_implILNS1_25lookback_scan_determinismE0ELb1ES3_N6thrust23THRUST_200600_302600_NS6detail15normal_iteratorINS9_10device_ptrIiEEEENSB_INSC_IjEEEESE_iNS9_4plusIvEENS9_8equal_toIvEEiEE10hipError_tPvRmT2_T3_T4_T5_mT6_T7_P12ihipStream_tbENKUlT_T0_E_clISt17integral_constantIbLb0EES11_EEDaSW_SX_EUlSW_E_NS1_11comp_targetILNS1_3genE3ELNS1_11target_archE908ELNS1_3gpuE7ELNS1_3repE0EEENS1_30default_config_static_selectorELNS0_4arch9wavefront6targetE0EEEvT1_
; %bb.0:
	.section	.rodata,"a",@progbits
	.p2align	6, 0x0
	.amdhsa_kernel _ZN7rocprim17ROCPRIM_400000_NS6detail17trampoline_kernelINS0_14default_configENS1_27scan_by_key_config_selectorIiiEEZZNS1_16scan_by_key_implILNS1_25lookback_scan_determinismE0ELb1ES3_N6thrust23THRUST_200600_302600_NS6detail15normal_iteratorINS9_10device_ptrIiEEEENSB_INSC_IjEEEESE_iNS9_4plusIvEENS9_8equal_toIvEEiEE10hipError_tPvRmT2_T3_T4_T5_mT6_T7_P12ihipStream_tbENKUlT_T0_E_clISt17integral_constantIbLb0EES11_EEDaSW_SX_EUlSW_E_NS1_11comp_targetILNS1_3genE3ELNS1_11target_archE908ELNS1_3gpuE7ELNS1_3repE0EEENS1_30default_config_static_selectorELNS0_4arch9wavefront6targetE0EEEvT1_
		.amdhsa_group_segment_fixed_size 0
		.amdhsa_private_segment_fixed_size 0
		.amdhsa_kernarg_size 112
		.amdhsa_user_sgpr_count 6
		.amdhsa_user_sgpr_private_segment_buffer 1
		.amdhsa_user_sgpr_dispatch_ptr 0
		.amdhsa_user_sgpr_queue_ptr 0
		.amdhsa_user_sgpr_kernarg_segment_ptr 1
		.amdhsa_user_sgpr_dispatch_id 0
		.amdhsa_user_sgpr_flat_scratch_init 0
		.amdhsa_user_sgpr_private_segment_size 0
		.amdhsa_wavefront_size32 1
		.amdhsa_uses_dynamic_stack 0
		.amdhsa_system_sgpr_private_segment_wavefront_offset 0
		.amdhsa_system_sgpr_workgroup_id_x 1
		.amdhsa_system_sgpr_workgroup_id_y 0
		.amdhsa_system_sgpr_workgroup_id_z 0
		.amdhsa_system_sgpr_workgroup_info 0
		.amdhsa_system_vgpr_workitem_id 0
		.amdhsa_next_free_vgpr 1
		.amdhsa_next_free_sgpr 1
		.amdhsa_reserve_vcc 0
		.amdhsa_reserve_flat_scratch 0
		.amdhsa_float_round_mode_32 0
		.amdhsa_float_round_mode_16_64 0
		.amdhsa_float_denorm_mode_32 3
		.amdhsa_float_denorm_mode_16_64 3
		.amdhsa_dx10_clamp 1
		.amdhsa_ieee_mode 1
		.amdhsa_fp16_overflow 0
		.amdhsa_workgroup_processor_mode 1
		.amdhsa_memory_ordered 1
		.amdhsa_forward_progress 1
		.amdhsa_shared_vgpr_count 0
		.amdhsa_exception_fp_ieee_invalid_op 0
		.amdhsa_exception_fp_denorm_src 0
		.amdhsa_exception_fp_ieee_div_zero 0
		.amdhsa_exception_fp_ieee_overflow 0
		.amdhsa_exception_fp_ieee_underflow 0
		.amdhsa_exception_fp_ieee_inexact 0
		.amdhsa_exception_int_div_zero 0
	.end_amdhsa_kernel
	.section	.text._ZN7rocprim17ROCPRIM_400000_NS6detail17trampoline_kernelINS0_14default_configENS1_27scan_by_key_config_selectorIiiEEZZNS1_16scan_by_key_implILNS1_25lookback_scan_determinismE0ELb1ES3_N6thrust23THRUST_200600_302600_NS6detail15normal_iteratorINS9_10device_ptrIiEEEENSB_INSC_IjEEEESE_iNS9_4plusIvEENS9_8equal_toIvEEiEE10hipError_tPvRmT2_T3_T4_T5_mT6_T7_P12ihipStream_tbENKUlT_T0_E_clISt17integral_constantIbLb0EES11_EEDaSW_SX_EUlSW_E_NS1_11comp_targetILNS1_3genE3ELNS1_11target_archE908ELNS1_3gpuE7ELNS1_3repE0EEENS1_30default_config_static_selectorELNS0_4arch9wavefront6targetE0EEEvT1_,"axG",@progbits,_ZN7rocprim17ROCPRIM_400000_NS6detail17trampoline_kernelINS0_14default_configENS1_27scan_by_key_config_selectorIiiEEZZNS1_16scan_by_key_implILNS1_25lookback_scan_determinismE0ELb1ES3_N6thrust23THRUST_200600_302600_NS6detail15normal_iteratorINS9_10device_ptrIiEEEENSB_INSC_IjEEEESE_iNS9_4plusIvEENS9_8equal_toIvEEiEE10hipError_tPvRmT2_T3_T4_T5_mT6_T7_P12ihipStream_tbENKUlT_T0_E_clISt17integral_constantIbLb0EES11_EEDaSW_SX_EUlSW_E_NS1_11comp_targetILNS1_3genE3ELNS1_11target_archE908ELNS1_3gpuE7ELNS1_3repE0EEENS1_30default_config_static_selectorELNS0_4arch9wavefront6targetE0EEEvT1_,comdat
.Lfunc_end1756:
	.size	_ZN7rocprim17ROCPRIM_400000_NS6detail17trampoline_kernelINS0_14default_configENS1_27scan_by_key_config_selectorIiiEEZZNS1_16scan_by_key_implILNS1_25lookback_scan_determinismE0ELb1ES3_N6thrust23THRUST_200600_302600_NS6detail15normal_iteratorINS9_10device_ptrIiEEEENSB_INSC_IjEEEESE_iNS9_4plusIvEENS9_8equal_toIvEEiEE10hipError_tPvRmT2_T3_T4_T5_mT6_T7_P12ihipStream_tbENKUlT_T0_E_clISt17integral_constantIbLb0EES11_EEDaSW_SX_EUlSW_E_NS1_11comp_targetILNS1_3genE3ELNS1_11target_archE908ELNS1_3gpuE7ELNS1_3repE0EEENS1_30default_config_static_selectorELNS0_4arch9wavefront6targetE0EEEvT1_, .Lfunc_end1756-_ZN7rocprim17ROCPRIM_400000_NS6detail17trampoline_kernelINS0_14default_configENS1_27scan_by_key_config_selectorIiiEEZZNS1_16scan_by_key_implILNS1_25lookback_scan_determinismE0ELb1ES3_N6thrust23THRUST_200600_302600_NS6detail15normal_iteratorINS9_10device_ptrIiEEEENSB_INSC_IjEEEESE_iNS9_4plusIvEENS9_8equal_toIvEEiEE10hipError_tPvRmT2_T3_T4_T5_mT6_T7_P12ihipStream_tbENKUlT_T0_E_clISt17integral_constantIbLb0EES11_EEDaSW_SX_EUlSW_E_NS1_11comp_targetILNS1_3genE3ELNS1_11target_archE908ELNS1_3gpuE7ELNS1_3repE0EEENS1_30default_config_static_selectorELNS0_4arch9wavefront6targetE0EEEvT1_
                                        ; -- End function
	.set _ZN7rocprim17ROCPRIM_400000_NS6detail17trampoline_kernelINS0_14default_configENS1_27scan_by_key_config_selectorIiiEEZZNS1_16scan_by_key_implILNS1_25lookback_scan_determinismE0ELb1ES3_N6thrust23THRUST_200600_302600_NS6detail15normal_iteratorINS9_10device_ptrIiEEEENSB_INSC_IjEEEESE_iNS9_4plusIvEENS9_8equal_toIvEEiEE10hipError_tPvRmT2_T3_T4_T5_mT6_T7_P12ihipStream_tbENKUlT_T0_E_clISt17integral_constantIbLb0EES11_EEDaSW_SX_EUlSW_E_NS1_11comp_targetILNS1_3genE3ELNS1_11target_archE908ELNS1_3gpuE7ELNS1_3repE0EEENS1_30default_config_static_selectorELNS0_4arch9wavefront6targetE0EEEvT1_.num_vgpr, 0
	.set _ZN7rocprim17ROCPRIM_400000_NS6detail17trampoline_kernelINS0_14default_configENS1_27scan_by_key_config_selectorIiiEEZZNS1_16scan_by_key_implILNS1_25lookback_scan_determinismE0ELb1ES3_N6thrust23THRUST_200600_302600_NS6detail15normal_iteratorINS9_10device_ptrIiEEEENSB_INSC_IjEEEESE_iNS9_4plusIvEENS9_8equal_toIvEEiEE10hipError_tPvRmT2_T3_T4_T5_mT6_T7_P12ihipStream_tbENKUlT_T0_E_clISt17integral_constantIbLb0EES11_EEDaSW_SX_EUlSW_E_NS1_11comp_targetILNS1_3genE3ELNS1_11target_archE908ELNS1_3gpuE7ELNS1_3repE0EEENS1_30default_config_static_selectorELNS0_4arch9wavefront6targetE0EEEvT1_.num_agpr, 0
	.set _ZN7rocprim17ROCPRIM_400000_NS6detail17trampoline_kernelINS0_14default_configENS1_27scan_by_key_config_selectorIiiEEZZNS1_16scan_by_key_implILNS1_25lookback_scan_determinismE0ELb1ES3_N6thrust23THRUST_200600_302600_NS6detail15normal_iteratorINS9_10device_ptrIiEEEENSB_INSC_IjEEEESE_iNS9_4plusIvEENS9_8equal_toIvEEiEE10hipError_tPvRmT2_T3_T4_T5_mT6_T7_P12ihipStream_tbENKUlT_T0_E_clISt17integral_constantIbLb0EES11_EEDaSW_SX_EUlSW_E_NS1_11comp_targetILNS1_3genE3ELNS1_11target_archE908ELNS1_3gpuE7ELNS1_3repE0EEENS1_30default_config_static_selectorELNS0_4arch9wavefront6targetE0EEEvT1_.numbered_sgpr, 0
	.set _ZN7rocprim17ROCPRIM_400000_NS6detail17trampoline_kernelINS0_14default_configENS1_27scan_by_key_config_selectorIiiEEZZNS1_16scan_by_key_implILNS1_25lookback_scan_determinismE0ELb1ES3_N6thrust23THRUST_200600_302600_NS6detail15normal_iteratorINS9_10device_ptrIiEEEENSB_INSC_IjEEEESE_iNS9_4plusIvEENS9_8equal_toIvEEiEE10hipError_tPvRmT2_T3_T4_T5_mT6_T7_P12ihipStream_tbENKUlT_T0_E_clISt17integral_constantIbLb0EES11_EEDaSW_SX_EUlSW_E_NS1_11comp_targetILNS1_3genE3ELNS1_11target_archE908ELNS1_3gpuE7ELNS1_3repE0EEENS1_30default_config_static_selectorELNS0_4arch9wavefront6targetE0EEEvT1_.num_named_barrier, 0
	.set _ZN7rocprim17ROCPRIM_400000_NS6detail17trampoline_kernelINS0_14default_configENS1_27scan_by_key_config_selectorIiiEEZZNS1_16scan_by_key_implILNS1_25lookback_scan_determinismE0ELb1ES3_N6thrust23THRUST_200600_302600_NS6detail15normal_iteratorINS9_10device_ptrIiEEEENSB_INSC_IjEEEESE_iNS9_4plusIvEENS9_8equal_toIvEEiEE10hipError_tPvRmT2_T3_T4_T5_mT6_T7_P12ihipStream_tbENKUlT_T0_E_clISt17integral_constantIbLb0EES11_EEDaSW_SX_EUlSW_E_NS1_11comp_targetILNS1_3genE3ELNS1_11target_archE908ELNS1_3gpuE7ELNS1_3repE0EEENS1_30default_config_static_selectorELNS0_4arch9wavefront6targetE0EEEvT1_.private_seg_size, 0
	.set _ZN7rocprim17ROCPRIM_400000_NS6detail17trampoline_kernelINS0_14default_configENS1_27scan_by_key_config_selectorIiiEEZZNS1_16scan_by_key_implILNS1_25lookback_scan_determinismE0ELb1ES3_N6thrust23THRUST_200600_302600_NS6detail15normal_iteratorINS9_10device_ptrIiEEEENSB_INSC_IjEEEESE_iNS9_4plusIvEENS9_8equal_toIvEEiEE10hipError_tPvRmT2_T3_T4_T5_mT6_T7_P12ihipStream_tbENKUlT_T0_E_clISt17integral_constantIbLb0EES11_EEDaSW_SX_EUlSW_E_NS1_11comp_targetILNS1_3genE3ELNS1_11target_archE908ELNS1_3gpuE7ELNS1_3repE0EEENS1_30default_config_static_selectorELNS0_4arch9wavefront6targetE0EEEvT1_.uses_vcc, 0
	.set _ZN7rocprim17ROCPRIM_400000_NS6detail17trampoline_kernelINS0_14default_configENS1_27scan_by_key_config_selectorIiiEEZZNS1_16scan_by_key_implILNS1_25lookback_scan_determinismE0ELb1ES3_N6thrust23THRUST_200600_302600_NS6detail15normal_iteratorINS9_10device_ptrIiEEEENSB_INSC_IjEEEESE_iNS9_4plusIvEENS9_8equal_toIvEEiEE10hipError_tPvRmT2_T3_T4_T5_mT6_T7_P12ihipStream_tbENKUlT_T0_E_clISt17integral_constantIbLb0EES11_EEDaSW_SX_EUlSW_E_NS1_11comp_targetILNS1_3genE3ELNS1_11target_archE908ELNS1_3gpuE7ELNS1_3repE0EEENS1_30default_config_static_selectorELNS0_4arch9wavefront6targetE0EEEvT1_.uses_flat_scratch, 0
	.set _ZN7rocprim17ROCPRIM_400000_NS6detail17trampoline_kernelINS0_14default_configENS1_27scan_by_key_config_selectorIiiEEZZNS1_16scan_by_key_implILNS1_25lookback_scan_determinismE0ELb1ES3_N6thrust23THRUST_200600_302600_NS6detail15normal_iteratorINS9_10device_ptrIiEEEENSB_INSC_IjEEEESE_iNS9_4plusIvEENS9_8equal_toIvEEiEE10hipError_tPvRmT2_T3_T4_T5_mT6_T7_P12ihipStream_tbENKUlT_T0_E_clISt17integral_constantIbLb0EES11_EEDaSW_SX_EUlSW_E_NS1_11comp_targetILNS1_3genE3ELNS1_11target_archE908ELNS1_3gpuE7ELNS1_3repE0EEENS1_30default_config_static_selectorELNS0_4arch9wavefront6targetE0EEEvT1_.has_dyn_sized_stack, 0
	.set _ZN7rocprim17ROCPRIM_400000_NS6detail17trampoline_kernelINS0_14default_configENS1_27scan_by_key_config_selectorIiiEEZZNS1_16scan_by_key_implILNS1_25lookback_scan_determinismE0ELb1ES3_N6thrust23THRUST_200600_302600_NS6detail15normal_iteratorINS9_10device_ptrIiEEEENSB_INSC_IjEEEESE_iNS9_4plusIvEENS9_8equal_toIvEEiEE10hipError_tPvRmT2_T3_T4_T5_mT6_T7_P12ihipStream_tbENKUlT_T0_E_clISt17integral_constantIbLb0EES11_EEDaSW_SX_EUlSW_E_NS1_11comp_targetILNS1_3genE3ELNS1_11target_archE908ELNS1_3gpuE7ELNS1_3repE0EEENS1_30default_config_static_selectorELNS0_4arch9wavefront6targetE0EEEvT1_.has_recursion, 0
	.set _ZN7rocprim17ROCPRIM_400000_NS6detail17trampoline_kernelINS0_14default_configENS1_27scan_by_key_config_selectorIiiEEZZNS1_16scan_by_key_implILNS1_25lookback_scan_determinismE0ELb1ES3_N6thrust23THRUST_200600_302600_NS6detail15normal_iteratorINS9_10device_ptrIiEEEENSB_INSC_IjEEEESE_iNS9_4plusIvEENS9_8equal_toIvEEiEE10hipError_tPvRmT2_T3_T4_T5_mT6_T7_P12ihipStream_tbENKUlT_T0_E_clISt17integral_constantIbLb0EES11_EEDaSW_SX_EUlSW_E_NS1_11comp_targetILNS1_3genE3ELNS1_11target_archE908ELNS1_3gpuE7ELNS1_3repE0EEENS1_30default_config_static_selectorELNS0_4arch9wavefront6targetE0EEEvT1_.has_indirect_call, 0
	.section	.AMDGPU.csdata,"",@progbits
; Kernel info:
; codeLenInByte = 0
; TotalNumSgprs: 0
; NumVgprs: 0
; ScratchSize: 0
; MemoryBound: 0
; FloatMode: 240
; IeeeMode: 1
; LDSByteSize: 0 bytes/workgroup (compile time only)
; SGPRBlocks: 0
; VGPRBlocks: 0
; NumSGPRsForWavesPerEU: 1
; NumVGPRsForWavesPerEU: 1
; Occupancy: 16
; WaveLimiterHint : 0
; COMPUTE_PGM_RSRC2:SCRATCH_EN: 0
; COMPUTE_PGM_RSRC2:USER_SGPR: 6
; COMPUTE_PGM_RSRC2:TRAP_HANDLER: 0
; COMPUTE_PGM_RSRC2:TGID_X_EN: 1
; COMPUTE_PGM_RSRC2:TGID_Y_EN: 0
; COMPUTE_PGM_RSRC2:TGID_Z_EN: 0
; COMPUTE_PGM_RSRC2:TIDIG_COMP_CNT: 0
	.section	.text._ZN7rocprim17ROCPRIM_400000_NS6detail17trampoline_kernelINS0_14default_configENS1_27scan_by_key_config_selectorIiiEEZZNS1_16scan_by_key_implILNS1_25lookback_scan_determinismE0ELb1ES3_N6thrust23THRUST_200600_302600_NS6detail15normal_iteratorINS9_10device_ptrIiEEEENSB_INSC_IjEEEESE_iNS9_4plusIvEENS9_8equal_toIvEEiEE10hipError_tPvRmT2_T3_T4_T5_mT6_T7_P12ihipStream_tbENKUlT_T0_E_clISt17integral_constantIbLb0EES11_EEDaSW_SX_EUlSW_E_NS1_11comp_targetILNS1_3genE2ELNS1_11target_archE906ELNS1_3gpuE6ELNS1_3repE0EEENS1_30default_config_static_selectorELNS0_4arch9wavefront6targetE0EEEvT1_,"axG",@progbits,_ZN7rocprim17ROCPRIM_400000_NS6detail17trampoline_kernelINS0_14default_configENS1_27scan_by_key_config_selectorIiiEEZZNS1_16scan_by_key_implILNS1_25lookback_scan_determinismE0ELb1ES3_N6thrust23THRUST_200600_302600_NS6detail15normal_iteratorINS9_10device_ptrIiEEEENSB_INSC_IjEEEESE_iNS9_4plusIvEENS9_8equal_toIvEEiEE10hipError_tPvRmT2_T3_T4_T5_mT6_T7_P12ihipStream_tbENKUlT_T0_E_clISt17integral_constantIbLb0EES11_EEDaSW_SX_EUlSW_E_NS1_11comp_targetILNS1_3genE2ELNS1_11target_archE906ELNS1_3gpuE6ELNS1_3repE0EEENS1_30default_config_static_selectorELNS0_4arch9wavefront6targetE0EEEvT1_,comdat
	.protected	_ZN7rocprim17ROCPRIM_400000_NS6detail17trampoline_kernelINS0_14default_configENS1_27scan_by_key_config_selectorIiiEEZZNS1_16scan_by_key_implILNS1_25lookback_scan_determinismE0ELb1ES3_N6thrust23THRUST_200600_302600_NS6detail15normal_iteratorINS9_10device_ptrIiEEEENSB_INSC_IjEEEESE_iNS9_4plusIvEENS9_8equal_toIvEEiEE10hipError_tPvRmT2_T3_T4_T5_mT6_T7_P12ihipStream_tbENKUlT_T0_E_clISt17integral_constantIbLb0EES11_EEDaSW_SX_EUlSW_E_NS1_11comp_targetILNS1_3genE2ELNS1_11target_archE906ELNS1_3gpuE6ELNS1_3repE0EEENS1_30default_config_static_selectorELNS0_4arch9wavefront6targetE0EEEvT1_ ; -- Begin function _ZN7rocprim17ROCPRIM_400000_NS6detail17trampoline_kernelINS0_14default_configENS1_27scan_by_key_config_selectorIiiEEZZNS1_16scan_by_key_implILNS1_25lookback_scan_determinismE0ELb1ES3_N6thrust23THRUST_200600_302600_NS6detail15normal_iteratorINS9_10device_ptrIiEEEENSB_INSC_IjEEEESE_iNS9_4plusIvEENS9_8equal_toIvEEiEE10hipError_tPvRmT2_T3_T4_T5_mT6_T7_P12ihipStream_tbENKUlT_T0_E_clISt17integral_constantIbLb0EES11_EEDaSW_SX_EUlSW_E_NS1_11comp_targetILNS1_3genE2ELNS1_11target_archE906ELNS1_3gpuE6ELNS1_3repE0EEENS1_30default_config_static_selectorELNS0_4arch9wavefront6targetE0EEEvT1_
	.globl	_ZN7rocprim17ROCPRIM_400000_NS6detail17trampoline_kernelINS0_14default_configENS1_27scan_by_key_config_selectorIiiEEZZNS1_16scan_by_key_implILNS1_25lookback_scan_determinismE0ELb1ES3_N6thrust23THRUST_200600_302600_NS6detail15normal_iteratorINS9_10device_ptrIiEEEENSB_INSC_IjEEEESE_iNS9_4plusIvEENS9_8equal_toIvEEiEE10hipError_tPvRmT2_T3_T4_T5_mT6_T7_P12ihipStream_tbENKUlT_T0_E_clISt17integral_constantIbLb0EES11_EEDaSW_SX_EUlSW_E_NS1_11comp_targetILNS1_3genE2ELNS1_11target_archE906ELNS1_3gpuE6ELNS1_3repE0EEENS1_30default_config_static_selectorELNS0_4arch9wavefront6targetE0EEEvT1_
	.p2align	8
	.type	_ZN7rocprim17ROCPRIM_400000_NS6detail17trampoline_kernelINS0_14default_configENS1_27scan_by_key_config_selectorIiiEEZZNS1_16scan_by_key_implILNS1_25lookback_scan_determinismE0ELb1ES3_N6thrust23THRUST_200600_302600_NS6detail15normal_iteratorINS9_10device_ptrIiEEEENSB_INSC_IjEEEESE_iNS9_4plusIvEENS9_8equal_toIvEEiEE10hipError_tPvRmT2_T3_T4_T5_mT6_T7_P12ihipStream_tbENKUlT_T0_E_clISt17integral_constantIbLb0EES11_EEDaSW_SX_EUlSW_E_NS1_11comp_targetILNS1_3genE2ELNS1_11target_archE906ELNS1_3gpuE6ELNS1_3repE0EEENS1_30default_config_static_selectorELNS0_4arch9wavefront6targetE0EEEvT1_,@function
_ZN7rocprim17ROCPRIM_400000_NS6detail17trampoline_kernelINS0_14default_configENS1_27scan_by_key_config_selectorIiiEEZZNS1_16scan_by_key_implILNS1_25lookback_scan_determinismE0ELb1ES3_N6thrust23THRUST_200600_302600_NS6detail15normal_iteratorINS9_10device_ptrIiEEEENSB_INSC_IjEEEESE_iNS9_4plusIvEENS9_8equal_toIvEEiEE10hipError_tPvRmT2_T3_T4_T5_mT6_T7_P12ihipStream_tbENKUlT_T0_E_clISt17integral_constantIbLb0EES11_EEDaSW_SX_EUlSW_E_NS1_11comp_targetILNS1_3genE2ELNS1_11target_archE906ELNS1_3gpuE6ELNS1_3repE0EEENS1_30default_config_static_selectorELNS0_4arch9wavefront6targetE0EEEvT1_: ; @_ZN7rocprim17ROCPRIM_400000_NS6detail17trampoline_kernelINS0_14default_configENS1_27scan_by_key_config_selectorIiiEEZZNS1_16scan_by_key_implILNS1_25lookback_scan_determinismE0ELb1ES3_N6thrust23THRUST_200600_302600_NS6detail15normal_iteratorINS9_10device_ptrIiEEEENSB_INSC_IjEEEESE_iNS9_4plusIvEENS9_8equal_toIvEEiEE10hipError_tPvRmT2_T3_T4_T5_mT6_T7_P12ihipStream_tbENKUlT_T0_E_clISt17integral_constantIbLb0EES11_EEDaSW_SX_EUlSW_E_NS1_11comp_targetILNS1_3genE2ELNS1_11target_archE906ELNS1_3gpuE6ELNS1_3repE0EEENS1_30default_config_static_selectorELNS0_4arch9wavefront6targetE0EEEvT1_
; %bb.0:
	.section	.rodata,"a",@progbits
	.p2align	6, 0x0
	.amdhsa_kernel _ZN7rocprim17ROCPRIM_400000_NS6detail17trampoline_kernelINS0_14default_configENS1_27scan_by_key_config_selectorIiiEEZZNS1_16scan_by_key_implILNS1_25lookback_scan_determinismE0ELb1ES3_N6thrust23THRUST_200600_302600_NS6detail15normal_iteratorINS9_10device_ptrIiEEEENSB_INSC_IjEEEESE_iNS9_4plusIvEENS9_8equal_toIvEEiEE10hipError_tPvRmT2_T3_T4_T5_mT6_T7_P12ihipStream_tbENKUlT_T0_E_clISt17integral_constantIbLb0EES11_EEDaSW_SX_EUlSW_E_NS1_11comp_targetILNS1_3genE2ELNS1_11target_archE906ELNS1_3gpuE6ELNS1_3repE0EEENS1_30default_config_static_selectorELNS0_4arch9wavefront6targetE0EEEvT1_
		.amdhsa_group_segment_fixed_size 0
		.amdhsa_private_segment_fixed_size 0
		.amdhsa_kernarg_size 112
		.amdhsa_user_sgpr_count 6
		.amdhsa_user_sgpr_private_segment_buffer 1
		.amdhsa_user_sgpr_dispatch_ptr 0
		.amdhsa_user_sgpr_queue_ptr 0
		.amdhsa_user_sgpr_kernarg_segment_ptr 1
		.amdhsa_user_sgpr_dispatch_id 0
		.amdhsa_user_sgpr_flat_scratch_init 0
		.amdhsa_user_sgpr_private_segment_size 0
		.amdhsa_wavefront_size32 1
		.amdhsa_uses_dynamic_stack 0
		.amdhsa_system_sgpr_private_segment_wavefront_offset 0
		.amdhsa_system_sgpr_workgroup_id_x 1
		.amdhsa_system_sgpr_workgroup_id_y 0
		.amdhsa_system_sgpr_workgroup_id_z 0
		.amdhsa_system_sgpr_workgroup_info 0
		.amdhsa_system_vgpr_workitem_id 0
		.amdhsa_next_free_vgpr 1
		.amdhsa_next_free_sgpr 1
		.amdhsa_reserve_vcc 0
		.amdhsa_reserve_flat_scratch 0
		.amdhsa_float_round_mode_32 0
		.amdhsa_float_round_mode_16_64 0
		.amdhsa_float_denorm_mode_32 3
		.amdhsa_float_denorm_mode_16_64 3
		.amdhsa_dx10_clamp 1
		.amdhsa_ieee_mode 1
		.amdhsa_fp16_overflow 0
		.amdhsa_workgroup_processor_mode 1
		.amdhsa_memory_ordered 1
		.amdhsa_forward_progress 1
		.amdhsa_shared_vgpr_count 0
		.amdhsa_exception_fp_ieee_invalid_op 0
		.amdhsa_exception_fp_denorm_src 0
		.amdhsa_exception_fp_ieee_div_zero 0
		.amdhsa_exception_fp_ieee_overflow 0
		.amdhsa_exception_fp_ieee_underflow 0
		.amdhsa_exception_fp_ieee_inexact 0
		.amdhsa_exception_int_div_zero 0
	.end_amdhsa_kernel
	.section	.text._ZN7rocprim17ROCPRIM_400000_NS6detail17trampoline_kernelINS0_14default_configENS1_27scan_by_key_config_selectorIiiEEZZNS1_16scan_by_key_implILNS1_25lookback_scan_determinismE0ELb1ES3_N6thrust23THRUST_200600_302600_NS6detail15normal_iteratorINS9_10device_ptrIiEEEENSB_INSC_IjEEEESE_iNS9_4plusIvEENS9_8equal_toIvEEiEE10hipError_tPvRmT2_T3_T4_T5_mT6_T7_P12ihipStream_tbENKUlT_T0_E_clISt17integral_constantIbLb0EES11_EEDaSW_SX_EUlSW_E_NS1_11comp_targetILNS1_3genE2ELNS1_11target_archE906ELNS1_3gpuE6ELNS1_3repE0EEENS1_30default_config_static_selectorELNS0_4arch9wavefront6targetE0EEEvT1_,"axG",@progbits,_ZN7rocprim17ROCPRIM_400000_NS6detail17trampoline_kernelINS0_14default_configENS1_27scan_by_key_config_selectorIiiEEZZNS1_16scan_by_key_implILNS1_25lookback_scan_determinismE0ELb1ES3_N6thrust23THRUST_200600_302600_NS6detail15normal_iteratorINS9_10device_ptrIiEEEENSB_INSC_IjEEEESE_iNS9_4plusIvEENS9_8equal_toIvEEiEE10hipError_tPvRmT2_T3_T4_T5_mT6_T7_P12ihipStream_tbENKUlT_T0_E_clISt17integral_constantIbLb0EES11_EEDaSW_SX_EUlSW_E_NS1_11comp_targetILNS1_3genE2ELNS1_11target_archE906ELNS1_3gpuE6ELNS1_3repE0EEENS1_30default_config_static_selectorELNS0_4arch9wavefront6targetE0EEEvT1_,comdat
.Lfunc_end1757:
	.size	_ZN7rocprim17ROCPRIM_400000_NS6detail17trampoline_kernelINS0_14default_configENS1_27scan_by_key_config_selectorIiiEEZZNS1_16scan_by_key_implILNS1_25lookback_scan_determinismE0ELb1ES3_N6thrust23THRUST_200600_302600_NS6detail15normal_iteratorINS9_10device_ptrIiEEEENSB_INSC_IjEEEESE_iNS9_4plusIvEENS9_8equal_toIvEEiEE10hipError_tPvRmT2_T3_T4_T5_mT6_T7_P12ihipStream_tbENKUlT_T0_E_clISt17integral_constantIbLb0EES11_EEDaSW_SX_EUlSW_E_NS1_11comp_targetILNS1_3genE2ELNS1_11target_archE906ELNS1_3gpuE6ELNS1_3repE0EEENS1_30default_config_static_selectorELNS0_4arch9wavefront6targetE0EEEvT1_, .Lfunc_end1757-_ZN7rocprim17ROCPRIM_400000_NS6detail17trampoline_kernelINS0_14default_configENS1_27scan_by_key_config_selectorIiiEEZZNS1_16scan_by_key_implILNS1_25lookback_scan_determinismE0ELb1ES3_N6thrust23THRUST_200600_302600_NS6detail15normal_iteratorINS9_10device_ptrIiEEEENSB_INSC_IjEEEESE_iNS9_4plusIvEENS9_8equal_toIvEEiEE10hipError_tPvRmT2_T3_T4_T5_mT6_T7_P12ihipStream_tbENKUlT_T0_E_clISt17integral_constantIbLb0EES11_EEDaSW_SX_EUlSW_E_NS1_11comp_targetILNS1_3genE2ELNS1_11target_archE906ELNS1_3gpuE6ELNS1_3repE0EEENS1_30default_config_static_selectorELNS0_4arch9wavefront6targetE0EEEvT1_
                                        ; -- End function
	.set _ZN7rocprim17ROCPRIM_400000_NS6detail17trampoline_kernelINS0_14default_configENS1_27scan_by_key_config_selectorIiiEEZZNS1_16scan_by_key_implILNS1_25lookback_scan_determinismE0ELb1ES3_N6thrust23THRUST_200600_302600_NS6detail15normal_iteratorINS9_10device_ptrIiEEEENSB_INSC_IjEEEESE_iNS9_4plusIvEENS9_8equal_toIvEEiEE10hipError_tPvRmT2_T3_T4_T5_mT6_T7_P12ihipStream_tbENKUlT_T0_E_clISt17integral_constantIbLb0EES11_EEDaSW_SX_EUlSW_E_NS1_11comp_targetILNS1_3genE2ELNS1_11target_archE906ELNS1_3gpuE6ELNS1_3repE0EEENS1_30default_config_static_selectorELNS0_4arch9wavefront6targetE0EEEvT1_.num_vgpr, 0
	.set _ZN7rocprim17ROCPRIM_400000_NS6detail17trampoline_kernelINS0_14default_configENS1_27scan_by_key_config_selectorIiiEEZZNS1_16scan_by_key_implILNS1_25lookback_scan_determinismE0ELb1ES3_N6thrust23THRUST_200600_302600_NS6detail15normal_iteratorINS9_10device_ptrIiEEEENSB_INSC_IjEEEESE_iNS9_4plusIvEENS9_8equal_toIvEEiEE10hipError_tPvRmT2_T3_T4_T5_mT6_T7_P12ihipStream_tbENKUlT_T0_E_clISt17integral_constantIbLb0EES11_EEDaSW_SX_EUlSW_E_NS1_11comp_targetILNS1_3genE2ELNS1_11target_archE906ELNS1_3gpuE6ELNS1_3repE0EEENS1_30default_config_static_selectorELNS0_4arch9wavefront6targetE0EEEvT1_.num_agpr, 0
	.set _ZN7rocprim17ROCPRIM_400000_NS6detail17trampoline_kernelINS0_14default_configENS1_27scan_by_key_config_selectorIiiEEZZNS1_16scan_by_key_implILNS1_25lookback_scan_determinismE0ELb1ES3_N6thrust23THRUST_200600_302600_NS6detail15normal_iteratorINS9_10device_ptrIiEEEENSB_INSC_IjEEEESE_iNS9_4plusIvEENS9_8equal_toIvEEiEE10hipError_tPvRmT2_T3_T4_T5_mT6_T7_P12ihipStream_tbENKUlT_T0_E_clISt17integral_constantIbLb0EES11_EEDaSW_SX_EUlSW_E_NS1_11comp_targetILNS1_3genE2ELNS1_11target_archE906ELNS1_3gpuE6ELNS1_3repE0EEENS1_30default_config_static_selectorELNS0_4arch9wavefront6targetE0EEEvT1_.numbered_sgpr, 0
	.set _ZN7rocprim17ROCPRIM_400000_NS6detail17trampoline_kernelINS0_14default_configENS1_27scan_by_key_config_selectorIiiEEZZNS1_16scan_by_key_implILNS1_25lookback_scan_determinismE0ELb1ES3_N6thrust23THRUST_200600_302600_NS6detail15normal_iteratorINS9_10device_ptrIiEEEENSB_INSC_IjEEEESE_iNS9_4plusIvEENS9_8equal_toIvEEiEE10hipError_tPvRmT2_T3_T4_T5_mT6_T7_P12ihipStream_tbENKUlT_T0_E_clISt17integral_constantIbLb0EES11_EEDaSW_SX_EUlSW_E_NS1_11comp_targetILNS1_3genE2ELNS1_11target_archE906ELNS1_3gpuE6ELNS1_3repE0EEENS1_30default_config_static_selectorELNS0_4arch9wavefront6targetE0EEEvT1_.num_named_barrier, 0
	.set _ZN7rocprim17ROCPRIM_400000_NS6detail17trampoline_kernelINS0_14default_configENS1_27scan_by_key_config_selectorIiiEEZZNS1_16scan_by_key_implILNS1_25lookback_scan_determinismE0ELb1ES3_N6thrust23THRUST_200600_302600_NS6detail15normal_iteratorINS9_10device_ptrIiEEEENSB_INSC_IjEEEESE_iNS9_4plusIvEENS9_8equal_toIvEEiEE10hipError_tPvRmT2_T3_T4_T5_mT6_T7_P12ihipStream_tbENKUlT_T0_E_clISt17integral_constantIbLb0EES11_EEDaSW_SX_EUlSW_E_NS1_11comp_targetILNS1_3genE2ELNS1_11target_archE906ELNS1_3gpuE6ELNS1_3repE0EEENS1_30default_config_static_selectorELNS0_4arch9wavefront6targetE0EEEvT1_.private_seg_size, 0
	.set _ZN7rocprim17ROCPRIM_400000_NS6detail17trampoline_kernelINS0_14default_configENS1_27scan_by_key_config_selectorIiiEEZZNS1_16scan_by_key_implILNS1_25lookback_scan_determinismE0ELb1ES3_N6thrust23THRUST_200600_302600_NS6detail15normal_iteratorINS9_10device_ptrIiEEEENSB_INSC_IjEEEESE_iNS9_4plusIvEENS9_8equal_toIvEEiEE10hipError_tPvRmT2_T3_T4_T5_mT6_T7_P12ihipStream_tbENKUlT_T0_E_clISt17integral_constantIbLb0EES11_EEDaSW_SX_EUlSW_E_NS1_11comp_targetILNS1_3genE2ELNS1_11target_archE906ELNS1_3gpuE6ELNS1_3repE0EEENS1_30default_config_static_selectorELNS0_4arch9wavefront6targetE0EEEvT1_.uses_vcc, 0
	.set _ZN7rocprim17ROCPRIM_400000_NS6detail17trampoline_kernelINS0_14default_configENS1_27scan_by_key_config_selectorIiiEEZZNS1_16scan_by_key_implILNS1_25lookback_scan_determinismE0ELb1ES3_N6thrust23THRUST_200600_302600_NS6detail15normal_iteratorINS9_10device_ptrIiEEEENSB_INSC_IjEEEESE_iNS9_4plusIvEENS9_8equal_toIvEEiEE10hipError_tPvRmT2_T3_T4_T5_mT6_T7_P12ihipStream_tbENKUlT_T0_E_clISt17integral_constantIbLb0EES11_EEDaSW_SX_EUlSW_E_NS1_11comp_targetILNS1_3genE2ELNS1_11target_archE906ELNS1_3gpuE6ELNS1_3repE0EEENS1_30default_config_static_selectorELNS0_4arch9wavefront6targetE0EEEvT1_.uses_flat_scratch, 0
	.set _ZN7rocprim17ROCPRIM_400000_NS6detail17trampoline_kernelINS0_14default_configENS1_27scan_by_key_config_selectorIiiEEZZNS1_16scan_by_key_implILNS1_25lookback_scan_determinismE0ELb1ES3_N6thrust23THRUST_200600_302600_NS6detail15normal_iteratorINS9_10device_ptrIiEEEENSB_INSC_IjEEEESE_iNS9_4plusIvEENS9_8equal_toIvEEiEE10hipError_tPvRmT2_T3_T4_T5_mT6_T7_P12ihipStream_tbENKUlT_T0_E_clISt17integral_constantIbLb0EES11_EEDaSW_SX_EUlSW_E_NS1_11comp_targetILNS1_3genE2ELNS1_11target_archE906ELNS1_3gpuE6ELNS1_3repE0EEENS1_30default_config_static_selectorELNS0_4arch9wavefront6targetE0EEEvT1_.has_dyn_sized_stack, 0
	.set _ZN7rocprim17ROCPRIM_400000_NS6detail17trampoline_kernelINS0_14default_configENS1_27scan_by_key_config_selectorIiiEEZZNS1_16scan_by_key_implILNS1_25lookback_scan_determinismE0ELb1ES3_N6thrust23THRUST_200600_302600_NS6detail15normal_iteratorINS9_10device_ptrIiEEEENSB_INSC_IjEEEESE_iNS9_4plusIvEENS9_8equal_toIvEEiEE10hipError_tPvRmT2_T3_T4_T5_mT6_T7_P12ihipStream_tbENKUlT_T0_E_clISt17integral_constantIbLb0EES11_EEDaSW_SX_EUlSW_E_NS1_11comp_targetILNS1_3genE2ELNS1_11target_archE906ELNS1_3gpuE6ELNS1_3repE0EEENS1_30default_config_static_selectorELNS0_4arch9wavefront6targetE0EEEvT1_.has_recursion, 0
	.set _ZN7rocprim17ROCPRIM_400000_NS6detail17trampoline_kernelINS0_14default_configENS1_27scan_by_key_config_selectorIiiEEZZNS1_16scan_by_key_implILNS1_25lookback_scan_determinismE0ELb1ES3_N6thrust23THRUST_200600_302600_NS6detail15normal_iteratorINS9_10device_ptrIiEEEENSB_INSC_IjEEEESE_iNS9_4plusIvEENS9_8equal_toIvEEiEE10hipError_tPvRmT2_T3_T4_T5_mT6_T7_P12ihipStream_tbENKUlT_T0_E_clISt17integral_constantIbLb0EES11_EEDaSW_SX_EUlSW_E_NS1_11comp_targetILNS1_3genE2ELNS1_11target_archE906ELNS1_3gpuE6ELNS1_3repE0EEENS1_30default_config_static_selectorELNS0_4arch9wavefront6targetE0EEEvT1_.has_indirect_call, 0
	.section	.AMDGPU.csdata,"",@progbits
; Kernel info:
; codeLenInByte = 0
; TotalNumSgprs: 0
; NumVgprs: 0
; ScratchSize: 0
; MemoryBound: 0
; FloatMode: 240
; IeeeMode: 1
; LDSByteSize: 0 bytes/workgroup (compile time only)
; SGPRBlocks: 0
; VGPRBlocks: 0
; NumSGPRsForWavesPerEU: 1
; NumVGPRsForWavesPerEU: 1
; Occupancy: 16
; WaveLimiterHint : 0
; COMPUTE_PGM_RSRC2:SCRATCH_EN: 0
; COMPUTE_PGM_RSRC2:USER_SGPR: 6
; COMPUTE_PGM_RSRC2:TRAP_HANDLER: 0
; COMPUTE_PGM_RSRC2:TGID_X_EN: 1
; COMPUTE_PGM_RSRC2:TGID_Y_EN: 0
; COMPUTE_PGM_RSRC2:TGID_Z_EN: 0
; COMPUTE_PGM_RSRC2:TIDIG_COMP_CNT: 0
	.section	.text._ZN7rocprim17ROCPRIM_400000_NS6detail17trampoline_kernelINS0_14default_configENS1_27scan_by_key_config_selectorIiiEEZZNS1_16scan_by_key_implILNS1_25lookback_scan_determinismE0ELb1ES3_N6thrust23THRUST_200600_302600_NS6detail15normal_iteratorINS9_10device_ptrIiEEEENSB_INSC_IjEEEESE_iNS9_4plusIvEENS9_8equal_toIvEEiEE10hipError_tPvRmT2_T3_T4_T5_mT6_T7_P12ihipStream_tbENKUlT_T0_E_clISt17integral_constantIbLb0EES11_EEDaSW_SX_EUlSW_E_NS1_11comp_targetILNS1_3genE10ELNS1_11target_archE1200ELNS1_3gpuE4ELNS1_3repE0EEENS1_30default_config_static_selectorELNS0_4arch9wavefront6targetE0EEEvT1_,"axG",@progbits,_ZN7rocprim17ROCPRIM_400000_NS6detail17trampoline_kernelINS0_14default_configENS1_27scan_by_key_config_selectorIiiEEZZNS1_16scan_by_key_implILNS1_25lookback_scan_determinismE0ELb1ES3_N6thrust23THRUST_200600_302600_NS6detail15normal_iteratorINS9_10device_ptrIiEEEENSB_INSC_IjEEEESE_iNS9_4plusIvEENS9_8equal_toIvEEiEE10hipError_tPvRmT2_T3_T4_T5_mT6_T7_P12ihipStream_tbENKUlT_T0_E_clISt17integral_constantIbLb0EES11_EEDaSW_SX_EUlSW_E_NS1_11comp_targetILNS1_3genE10ELNS1_11target_archE1200ELNS1_3gpuE4ELNS1_3repE0EEENS1_30default_config_static_selectorELNS0_4arch9wavefront6targetE0EEEvT1_,comdat
	.protected	_ZN7rocprim17ROCPRIM_400000_NS6detail17trampoline_kernelINS0_14default_configENS1_27scan_by_key_config_selectorIiiEEZZNS1_16scan_by_key_implILNS1_25lookback_scan_determinismE0ELb1ES3_N6thrust23THRUST_200600_302600_NS6detail15normal_iteratorINS9_10device_ptrIiEEEENSB_INSC_IjEEEESE_iNS9_4plusIvEENS9_8equal_toIvEEiEE10hipError_tPvRmT2_T3_T4_T5_mT6_T7_P12ihipStream_tbENKUlT_T0_E_clISt17integral_constantIbLb0EES11_EEDaSW_SX_EUlSW_E_NS1_11comp_targetILNS1_3genE10ELNS1_11target_archE1200ELNS1_3gpuE4ELNS1_3repE0EEENS1_30default_config_static_selectorELNS0_4arch9wavefront6targetE0EEEvT1_ ; -- Begin function _ZN7rocprim17ROCPRIM_400000_NS6detail17trampoline_kernelINS0_14default_configENS1_27scan_by_key_config_selectorIiiEEZZNS1_16scan_by_key_implILNS1_25lookback_scan_determinismE0ELb1ES3_N6thrust23THRUST_200600_302600_NS6detail15normal_iteratorINS9_10device_ptrIiEEEENSB_INSC_IjEEEESE_iNS9_4plusIvEENS9_8equal_toIvEEiEE10hipError_tPvRmT2_T3_T4_T5_mT6_T7_P12ihipStream_tbENKUlT_T0_E_clISt17integral_constantIbLb0EES11_EEDaSW_SX_EUlSW_E_NS1_11comp_targetILNS1_3genE10ELNS1_11target_archE1200ELNS1_3gpuE4ELNS1_3repE0EEENS1_30default_config_static_selectorELNS0_4arch9wavefront6targetE0EEEvT1_
	.globl	_ZN7rocprim17ROCPRIM_400000_NS6detail17trampoline_kernelINS0_14default_configENS1_27scan_by_key_config_selectorIiiEEZZNS1_16scan_by_key_implILNS1_25lookback_scan_determinismE0ELb1ES3_N6thrust23THRUST_200600_302600_NS6detail15normal_iteratorINS9_10device_ptrIiEEEENSB_INSC_IjEEEESE_iNS9_4plusIvEENS9_8equal_toIvEEiEE10hipError_tPvRmT2_T3_T4_T5_mT6_T7_P12ihipStream_tbENKUlT_T0_E_clISt17integral_constantIbLb0EES11_EEDaSW_SX_EUlSW_E_NS1_11comp_targetILNS1_3genE10ELNS1_11target_archE1200ELNS1_3gpuE4ELNS1_3repE0EEENS1_30default_config_static_selectorELNS0_4arch9wavefront6targetE0EEEvT1_
	.p2align	8
	.type	_ZN7rocprim17ROCPRIM_400000_NS6detail17trampoline_kernelINS0_14default_configENS1_27scan_by_key_config_selectorIiiEEZZNS1_16scan_by_key_implILNS1_25lookback_scan_determinismE0ELb1ES3_N6thrust23THRUST_200600_302600_NS6detail15normal_iteratorINS9_10device_ptrIiEEEENSB_INSC_IjEEEESE_iNS9_4plusIvEENS9_8equal_toIvEEiEE10hipError_tPvRmT2_T3_T4_T5_mT6_T7_P12ihipStream_tbENKUlT_T0_E_clISt17integral_constantIbLb0EES11_EEDaSW_SX_EUlSW_E_NS1_11comp_targetILNS1_3genE10ELNS1_11target_archE1200ELNS1_3gpuE4ELNS1_3repE0EEENS1_30default_config_static_selectorELNS0_4arch9wavefront6targetE0EEEvT1_,@function
_ZN7rocprim17ROCPRIM_400000_NS6detail17trampoline_kernelINS0_14default_configENS1_27scan_by_key_config_selectorIiiEEZZNS1_16scan_by_key_implILNS1_25lookback_scan_determinismE0ELb1ES3_N6thrust23THRUST_200600_302600_NS6detail15normal_iteratorINS9_10device_ptrIiEEEENSB_INSC_IjEEEESE_iNS9_4plusIvEENS9_8equal_toIvEEiEE10hipError_tPvRmT2_T3_T4_T5_mT6_T7_P12ihipStream_tbENKUlT_T0_E_clISt17integral_constantIbLb0EES11_EEDaSW_SX_EUlSW_E_NS1_11comp_targetILNS1_3genE10ELNS1_11target_archE1200ELNS1_3gpuE4ELNS1_3repE0EEENS1_30default_config_static_selectorELNS0_4arch9wavefront6targetE0EEEvT1_: ; @_ZN7rocprim17ROCPRIM_400000_NS6detail17trampoline_kernelINS0_14default_configENS1_27scan_by_key_config_selectorIiiEEZZNS1_16scan_by_key_implILNS1_25lookback_scan_determinismE0ELb1ES3_N6thrust23THRUST_200600_302600_NS6detail15normal_iteratorINS9_10device_ptrIiEEEENSB_INSC_IjEEEESE_iNS9_4plusIvEENS9_8equal_toIvEEiEE10hipError_tPvRmT2_T3_T4_T5_mT6_T7_P12ihipStream_tbENKUlT_T0_E_clISt17integral_constantIbLb0EES11_EEDaSW_SX_EUlSW_E_NS1_11comp_targetILNS1_3genE10ELNS1_11target_archE1200ELNS1_3gpuE4ELNS1_3repE0EEENS1_30default_config_static_selectorELNS0_4arch9wavefront6targetE0EEEvT1_
; %bb.0:
	.section	.rodata,"a",@progbits
	.p2align	6, 0x0
	.amdhsa_kernel _ZN7rocprim17ROCPRIM_400000_NS6detail17trampoline_kernelINS0_14default_configENS1_27scan_by_key_config_selectorIiiEEZZNS1_16scan_by_key_implILNS1_25lookback_scan_determinismE0ELb1ES3_N6thrust23THRUST_200600_302600_NS6detail15normal_iteratorINS9_10device_ptrIiEEEENSB_INSC_IjEEEESE_iNS9_4plusIvEENS9_8equal_toIvEEiEE10hipError_tPvRmT2_T3_T4_T5_mT6_T7_P12ihipStream_tbENKUlT_T0_E_clISt17integral_constantIbLb0EES11_EEDaSW_SX_EUlSW_E_NS1_11comp_targetILNS1_3genE10ELNS1_11target_archE1200ELNS1_3gpuE4ELNS1_3repE0EEENS1_30default_config_static_selectorELNS0_4arch9wavefront6targetE0EEEvT1_
		.amdhsa_group_segment_fixed_size 0
		.amdhsa_private_segment_fixed_size 0
		.amdhsa_kernarg_size 112
		.amdhsa_user_sgpr_count 6
		.amdhsa_user_sgpr_private_segment_buffer 1
		.amdhsa_user_sgpr_dispatch_ptr 0
		.amdhsa_user_sgpr_queue_ptr 0
		.amdhsa_user_sgpr_kernarg_segment_ptr 1
		.amdhsa_user_sgpr_dispatch_id 0
		.amdhsa_user_sgpr_flat_scratch_init 0
		.amdhsa_user_sgpr_private_segment_size 0
		.amdhsa_wavefront_size32 1
		.amdhsa_uses_dynamic_stack 0
		.amdhsa_system_sgpr_private_segment_wavefront_offset 0
		.amdhsa_system_sgpr_workgroup_id_x 1
		.amdhsa_system_sgpr_workgroup_id_y 0
		.amdhsa_system_sgpr_workgroup_id_z 0
		.amdhsa_system_sgpr_workgroup_info 0
		.amdhsa_system_vgpr_workitem_id 0
		.amdhsa_next_free_vgpr 1
		.amdhsa_next_free_sgpr 1
		.amdhsa_reserve_vcc 0
		.amdhsa_reserve_flat_scratch 0
		.amdhsa_float_round_mode_32 0
		.amdhsa_float_round_mode_16_64 0
		.amdhsa_float_denorm_mode_32 3
		.amdhsa_float_denorm_mode_16_64 3
		.amdhsa_dx10_clamp 1
		.amdhsa_ieee_mode 1
		.amdhsa_fp16_overflow 0
		.amdhsa_workgroup_processor_mode 1
		.amdhsa_memory_ordered 1
		.amdhsa_forward_progress 1
		.amdhsa_shared_vgpr_count 0
		.amdhsa_exception_fp_ieee_invalid_op 0
		.amdhsa_exception_fp_denorm_src 0
		.amdhsa_exception_fp_ieee_div_zero 0
		.amdhsa_exception_fp_ieee_overflow 0
		.amdhsa_exception_fp_ieee_underflow 0
		.amdhsa_exception_fp_ieee_inexact 0
		.amdhsa_exception_int_div_zero 0
	.end_amdhsa_kernel
	.section	.text._ZN7rocprim17ROCPRIM_400000_NS6detail17trampoline_kernelINS0_14default_configENS1_27scan_by_key_config_selectorIiiEEZZNS1_16scan_by_key_implILNS1_25lookback_scan_determinismE0ELb1ES3_N6thrust23THRUST_200600_302600_NS6detail15normal_iteratorINS9_10device_ptrIiEEEENSB_INSC_IjEEEESE_iNS9_4plusIvEENS9_8equal_toIvEEiEE10hipError_tPvRmT2_T3_T4_T5_mT6_T7_P12ihipStream_tbENKUlT_T0_E_clISt17integral_constantIbLb0EES11_EEDaSW_SX_EUlSW_E_NS1_11comp_targetILNS1_3genE10ELNS1_11target_archE1200ELNS1_3gpuE4ELNS1_3repE0EEENS1_30default_config_static_selectorELNS0_4arch9wavefront6targetE0EEEvT1_,"axG",@progbits,_ZN7rocprim17ROCPRIM_400000_NS6detail17trampoline_kernelINS0_14default_configENS1_27scan_by_key_config_selectorIiiEEZZNS1_16scan_by_key_implILNS1_25lookback_scan_determinismE0ELb1ES3_N6thrust23THRUST_200600_302600_NS6detail15normal_iteratorINS9_10device_ptrIiEEEENSB_INSC_IjEEEESE_iNS9_4plusIvEENS9_8equal_toIvEEiEE10hipError_tPvRmT2_T3_T4_T5_mT6_T7_P12ihipStream_tbENKUlT_T0_E_clISt17integral_constantIbLb0EES11_EEDaSW_SX_EUlSW_E_NS1_11comp_targetILNS1_3genE10ELNS1_11target_archE1200ELNS1_3gpuE4ELNS1_3repE0EEENS1_30default_config_static_selectorELNS0_4arch9wavefront6targetE0EEEvT1_,comdat
.Lfunc_end1758:
	.size	_ZN7rocprim17ROCPRIM_400000_NS6detail17trampoline_kernelINS0_14default_configENS1_27scan_by_key_config_selectorIiiEEZZNS1_16scan_by_key_implILNS1_25lookback_scan_determinismE0ELb1ES3_N6thrust23THRUST_200600_302600_NS6detail15normal_iteratorINS9_10device_ptrIiEEEENSB_INSC_IjEEEESE_iNS9_4plusIvEENS9_8equal_toIvEEiEE10hipError_tPvRmT2_T3_T4_T5_mT6_T7_P12ihipStream_tbENKUlT_T0_E_clISt17integral_constantIbLb0EES11_EEDaSW_SX_EUlSW_E_NS1_11comp_targetILNS1_3genE10ELNS1_11target_archE1200ELNS1_3gpuE4ELNS1_3repE0EEENS1_30default_config_static_selectorELNS0_4arch9wavefront6targetE0EEEvT1_, .Lfunc_end1758-_ZN7rocprim17ROCPRIM_400000_NS6detail17trampoline_kernelINS0_14default_configENS1_27scan_by_key_config_selectorIiiEEZZNS1_16scan_by_key_implILNS1_25lookback_scan_determinismE0ELb1ES3_N6thrust23THRUST_200600_302600_NS6detail15normal_iteratorINS9_10device_ptrIiEEEENSB_INSC_IjEEEESE_iNS9_4plusIvEENS9_8equal_toIvEEiEE10hipError_tPvRmT2_T3_T4_T5_mT6_T7_P12ihipStream_tbENKUlT_T0_E_clISt17integral_constantIbLb0EES11_EEDaSW_SX_EUlSW_E_NS1_11comp_targetILNS1_3genE10ELNS1_11target_archE1200ELNS1_3gpuE4ELNS1_3repE0EEENS1_30default_config_static_selectorELNS0_4arch9wavefront6targetE0EEEvT1_
                                        ; -- End function
	.set _ZN7rocprim17ROCPRIM_400000_NS6detail17trampoline_kernelINS0_14default_configENS1_27scan_by_key_config_selectorIiiEEZZNS1_16scan_by_key_implILNS1_25lookback_scan_determinismE0ELb1ES3_N6thrust23THRUST_200600_302600_NS6detail15normal_iteratorINS9_10device_ptrIiEEEENSB_INSC_IjEEEESE_iNS9_4plusIvEENS9_8equal_toIvEEiEE10hipError_tPvRmT2_T3_T4_T5_mT6_T7_P12ihipStream_tbENKUlT_T0_E_clISt17integral_constantIbLb0EES11_EEDaSW_SX_EUlSW_E_NS1_11comp_targetILNS1_3genE10ELNS1_11target_archE1200ELNS1_3gpuE4ELNS1_3repE0EEENS1_30default_config_static_selectorELNS0_4arch9wavefront6targetE0EEEvT1_.num_vgpr, 0
	.set _ZN7rocprim17ROCPRIM_400000_NS6detail17trampoline_kernelINS0_14default_configENS1_27scan_by_key_config_selectorIiiEEZZNS1_16scan_by_key_implILNS1_25lookback_scan_determinismE0ELb1ES3_N6thrust23THRUST_200600_302600_NS6detail15normal_iteratorINS9_10device_ptrIiEEEENSB_INSC_IjEEEESE_iNS9_4plusIvEENS9_8equal_toIvEEiEE10hipError_tPvRmT2_T3_T4_T5_mT6_T7_P12ihipStream_tbENKUlT_T0_E_clISt17integral_constantIbLb0EES11_EEDaSW_SX_EUlSW_E_NS1_11comp_targetILNS1_3genE10ELNS1_11target_archE1200ELNS1_3gpuE4ELNS1_3repE0EEENS1_30default_config_static_selectorELNS0_4arch9wavefront6targetE0EEEvT1_.num_agpr, 0
	.set _ZN7rocprim17ROCPRIM_400000_NS6detail17trampoline_kernelINS0_14default_configENS1_27scan_by_key_config_selectorIiiEEZZNS1_16scan_by_key_implILNS1_25lookback_scan_determinismE0ELb1ES3_N6thrust23THRUST_200600_302600_NS6detail15normal_iteratorINS9_10device_ptrIiEEEENSB_INSC_IjEEEESE_iNS9_4plusIvEENS9_8equal_toIvEEiEE10hipError_tPvRmT2_T3_T4_T5_mT6_T7_P12ihipStream_tbENKUlT_T0_E_clISt17integral_constantIbLb0EES11_EEDaSW_SX_EUlSW_E_NS1_11comp_targetILNS1_3genE10ELNS1_11target_archE1200ELNS1_3gpuE4ELNS1_3repE0EEENS1_30default_config_static_selectorELNS0_4arch9wavefront6targetE0EEEvT1_.numbered_sgpr, 0
	.set _ZN7rocprim17ROCPRIM_400000_NS6detail17trampoline_kernelINS0_14default_configENS1_27scan_by_key_config_selectorIiiEEZZNS1_16scan_by_key_implILNS1_25lookback_scan_determinismE0ELb1ES3_N6thrust23THRUST_200600_302600_NS6detail15normal_iteratorINS9_10device_ptrIiEEEENSB_INSC_IjEEEESE_iNS9_4plusIvEENS9_8equal_toIvEEiEE10hipError_tPvRmT2_T3_T4_T5_mT6_T7_P12ihipStream_tbENKUlT_T0_E_clISt17integral_constantIbLb0EES11_EEDaSW_SX_EUlSW_E_NS1_11comp_targetILNS1_3genE10ELNS1_11target_archE1200ELNS1_3gpuE4ELNS1_3repE0EEENS1_30default_config_static_selectorELNS0_4arch9wavefront6targetE0EEEvT1_.num_named_barrier, 0
	.set _ZN7rocprim17ROCPRIM_400000_NS6detail17trampoline_kernelINS0_14default_configENS1_27scan_by_key_config_selectorIiiEEZZNS1_16scan_by_key_implILNS1_25lookback_scan_determinismE0ELb1ES3_N6thrust23THRUST_200600_302600_NS6detail15normal_iteratorINS9_10device_ptrIiEEEENSB_INSC_IjEEEESE_iNS9_4plusIvEENS9_8equal_toIvEEiEE10hipError_tPvRmT2_T3_T4_T5_mT6_T7_P12ihipStream_tbENKUlT_T0_E_clISt17integral_constantIbLb0EES11_EEDaSW_SX_EUlSW_E_NS1_11comp_targetILNS1_3genE10ELNS1_11target_archE1200ELNS1_3gpuE4ELNS1_3repE0EEENS1_30default_config_static_selectorELNS0_4arch9wavefront6targetE0EEEvT1_.private_seg_size, 0
	.set _ZN7rocprim17ROCPRIM_400000_NS6detail17trampoline_kernelINS0_14default_configENS1_27scan_by_key_config_selectorIiiEEZZNS1_16scan_by_key_implILNS1_25lookback_scan_determinismE0ELb1ES3_N6thrust23THRUST_200600_302600_NS6detail15normal_iteratorINS9_10device_ptrIiEEEENSB_INSC_IjEEEESE_iNS9_4plusIvEENS9_8equal_toIvEEiEE10hipError_tPvRmT2_T3_T4_T5_mT6_T7_P12ihipStream_tbENKUlT_T0_E_clISt17integral_constantIbLb0EES11_EEDaSW_SX_EUlSW_E_NS1_11comp_targetILNS1_3genE10ELNS1_11target_archE1200ELNS1_3gpuE4ELNS1_3repE0EEENS1_30default_config_static_selectorELNS0_4arch9wavefront6targetE0EEEvT1_.uses_vcc, 0
	.set _ZN7rocprim17ROCPRIM_400000_NS6detail17trampoline_kernelINS0_14default_configENS1_27scan_by_key_config_selectorIiiEEZZNS1_16scan_by_key_implILNS1_25lookback_scan_determinismE0ELb1ES3_N6thrust23THRUST_200600_302600_NS6detail15normal_iteratorINS9_10device_ptrIiEEEENSB_INSC_IjEEEESE_iNS9_4plusIvEENS9_8equal_toIvEEiEE10hipError_tPvRmT2_T3_T4_T5_mT6_T7_P12ihipStream_tbENKUlT_T0_E_clISt17integral_constantIbLb0EES11_EEDaSW_SX_EUlSW_E_NS1_11comp_targetILNS1_3genE10ELNS1_11target_archE1200ELNS1_3gpuE4ELNS1_3repE0EEENS1_30default_config_static_selectorELNS0_4arch9wavefront6targetE0EEEvT1_.uses_flat_scratch, 0
	.set _ZN7rocprim17ROCPRIM_400000_NS6detail17trampoline_kernelINS0_14default_configENS1_27scan_by_key_config_selectorIiiEEZZNS1_16scan_by_key_implILNS1_25lookback_scan_determinismE0ELb1ES3_N6thrust23THRUST_200600_302600_NS6detail15normal_iteratorINS9_10device_ptrIiEEEENSB_INSC_IjEEEESE_iNS9_4plusIvEENS9_8equal_toIvEEiEE10hipError_tPvRmT2_T3_T4_T5_mT6_T7_P12ihipStream_tbENKUlT_T0_E_clISt17integral_constantIbLb0EES11_EEDaSW_SX_EUlSW_E_NS1_11comp_targetILNS1_3genE10ELNS1_11target_archE1200ELNS1_3gpuE4ELNS1_3repE0EEENS1_30default_config_static_selectorELNS0_4arch9wavefront6targetE0EEEvT1_.has_dyn_sized_stack, 0
	.set _ZN7rocprim17ROCPRIM_400000_NS6detail17trampoline_kernelINS0_14default_configENS1_27scan_by_key_config_selectorIiiEEZZNS1_16scan_by_key_implILNS1_25lookback_scan_determinismE0ELb1ES3_N6thrust23THRUST_200600_302600_NS6detail15normal_iteratorINS9_10device_ptrIiEEEENSB_INSC_IjEEEESE_iNS9_4plusIvEENS9_8equal_toIvEEiEE10hipError_tPvRmT2_T3_T4_T5_mT6_T7_P12ihipStream_tbENKUlT_T0_E_clISt17integral_constantIbLb0EES11_EEDaSW_SX_EUlSW_E_NS1_11comp_targetILNS1_3genE10ELNS1_11target_archE1200ELNS1_3gpuE4ELNS1_3repE0EEENS1_30default_config_static_selectorELNS0_4arch9wavefront6targetE0EEEvT1_.has_recursion, 0
	.set _ZN7rocprim17ROCPRIM_400000_NS6detail17trampoline_kernelINS0_14default_configENS1_27scan_by_key_config_selectorIiiEEZZNS1_16scan_by_key_implILNS1_25lookback_scan_determinismE0ELb1ES3_N6thrust23THRUST_200600_302600_NS6detail15normal_iteratorINS9_10device_ptrIiEEEENSB_INSC_IjEEEESE_iNS9_4plusIvEENS9_8equal_toIvEEiEE10hipError_tPvRmT2_T3_T4_T5_mT6_T7_P12ihipStream_tbENKUlT_T0_E_clISt17integral_constantIbLb0EES11_EEDaSW_SX_EUlSW_E_NS1_11comp_targetILNS1_3genE10ELNS1_11target_archE1200ELNS1_3gpuE4ELNS1_3repE0EEENS1_30default_config_static_selectorELNS0_4arch9wavefront6targetE0EEEvT1_.has_indirect_call, 0
	.section	.AMDGPU.csdata,"",@progbits
; Kernel info:
; codeLenInByte = 0
; TotalNumSgprs: 0
; NumVgprs: 0
; ScratchSize: 0
; MemoryBound: 0
; FloatMode: 240
; IeeeMode: 1
; LDSByteSize: 0 bytes/workgroup (compile time only)
; SGPRBlocks: 0
; VGPRBlocks: 0
; NumSGPRsForWavesPerEU: 1
; NumVGPRsForWavesPerEU: 1
; Occupancy: 16
; WaveLimiterHint : 0
; COMPUTE_PGM_RSRC2:SCRATCH_EN: 0
; COMPUTE_PGM_RSRC2:USER_SGPR: 6
; COMPUTE_PGM_RSRC2:TRAP_HANDLER: 0
; COMPUTE_PGM_RSRC2:TGID_X_EN: 1
; COMPUTE_PGM_RSRC2:TGID_Y_EN: 0
; COMPUTE_PGM_RSRC2:TGID_Z_EN: 0
; COMPUTE_PGM_RSRC2:TIDIG_COMP_CNT: 0
	.section	.text._ZN7rocprim17ROCPRIM_400000_NS6detail17trampoline_kernelINS0_14default_configENS1_27scan_by_key_config_selectorIiiEEZZNS1_16scan_by_key_implILNS1_25lookback_scan_determinismE0ELb1ES3_N6thrust23THRUST_200600_302600_NS6detail15normal_iteratorINS9_10device_ptrIiEEEENSB_INSC_IjEEEESE_iNS9_4plusIvEENS9_8equal_toIvEEiEE10hipError_tPvRmT2_T3_T4_T5_mT6_T7_P12ihipStream_tbENKUlT_T0_E_clISt17integral_constantIbLb0EES11_EEDaSW_SX_EUlSW_E_NS1_11comp_targetILNS1_3genE9ELNS1_11target_archE1100ELNS1_3gpuE3ELNS1_3repE0EEENS1_30default_config_static_selectorELNS0_4arch9wavefront6targetE0EEEvT1_,"axG",@progbits,_ZN7rocprim17ROCPRIM_400000_NS6detail17trampoline_kernelINS0_14default_configENS1_27scan_by_key_config_selectorIiiEEZZNS1_16scan_by_key_implILNS1_25lookback_scan_determinismE0ELb1ES3_N6thrust23THRUST_200600_302600_NS6detail15normal_iteratorINS9_10device_ptrIiEEEENSB_INSC_IjEEEESE_iNS9_4plusIvEENS9_8equal_toIvEEiEE10hipError_tPvRmT2_T3_T4_T5_mT6_T7_P12ihipStream_tbENKUlT_T0_E_clISt17integral_constantIbLb0EES11_EEDaSW_SX_EUlSW_E_NS1_11comp_targetILNS1_3genE9ELNS1_11target_archE1100ELNS1_3gpuE3ELNS1_3repE0EEENS1_30default_config_static_selectorELNS0_4arch9wavefront6targetE0EEEvT1_,comdat
	.protected	_ZN7rocprim17ROCPRIM_400000_NS6detail17trampoline_kernelINS0_14default_configENS1_27scan_by_key_config_selectorIiiEEZZNS1_16scan_by_key_implILNS1_25lookback_scan_determinismE0ELb1ES3_N6thrust23THRUST_200600_302600_NS6detail15normal_iteratorINS9_10device_ptrIiEEEENSB_INSC_IjEEEESE_iNS9_4plusIvEENS9_8equal_toIvEEiEE10hipError_tPvRmT2_T3_T4_T5_mT6_T7_P12ihipStream_tbENKUlT_T0_E_clISt17integral_constantIbLb0EES11_EEDaSW_SX_EUlSW_E_NS1_11comp_targetILNS1_3genE9ELNS1_11target_archE1100ELNS1_3gpuE3ELNS1_3repE0EEENS1_30default_config_static_selectorELNS0_4arch9wavefront6targetE0EEEvT1_ ; -- Begin function _ZN7rocprim17ROCPRIM_400000_NS6detail17trampoline_kernelINS0_14default_configENS1_27scan_by_key_config_selectorIiiEEZZNS1_16scan_by_key_implILNS1_25lookback_scan_determinismE0ELb1ES3_N6thrust23THRUST_200600_302600_NS6detail15normal_iteratorINS9_10device_ptrIiEEEENSB_INSC_IjEEEESE_iNS9_4plusIvEENS9_8equal_toIvEEiEE10hipError_tPvRmT2_T3_T4_T5_mT6_T7_P12ihipStream_tbENKUlT_T0_E_clISt17integral_constantIbLb0EES11_EEDaSW_SX_EUlSW_E_NS1_11comp_targetILNS1_3genE9ELNS1_11target_archE1100ELNS1_3gpuE3ELNS1_3repE0EEENS1_30default_config_static_selectorELNS0_4arch9wavefront6targetE0EEEvT1_
	.globl	_ZN7rocprim17ROCPRIM_400000_NS6detail17trampoline_kernelINS0_14default_configENS1_27scan_by_key_config_selectorIiiEEZZNS1_16scan_by_key_implILNS1_25lookback_scan_determinismE0ELb1ES3_N6thrust23THRUST_200600_302600_NS6detail15normal_iteratorINS9_10device_ptrIiEEEENSB_INSC_IjEEEESE_iNS9_4plusIvEENS9_8equal_toIvEEiEE10hipError_tPvRmT2_T3_T4_T5_mT6_T7_P12ihipStream_tbENKUlT_T0_E_clISt17integral_constantIbLb0EES11_EEDaSW_SX_EUlSW_E_NS1_11comp_targetILNS1_3genE9ELNS1_11target_archE1100ELNS1_3gpuE3ELNS1_3repE0EEENS1_30default_config_static_selectorELNS0_4arch9wavefront6targetE0EEEvT1_
	.p2align	8
	.type	_ZN7rocprim17ROCPRIM_400000_NS6detail17trampoline_kernelINS0_14default_configENS1_27scan_by_key_config_selectorIiiEEZZNS1_16scan_by_key_implILNS1_25lookback_scan_determinismE0ELb1ES3_N6thrust23THRUST_200600_302600_NS6detail15normal_iteratorINS9_10device_ptrIiEEEENSB_INSC_IjEEEESE_iNS9_4plusIvEENS9_8equal_toIvEEiEE10hipError_tPvRmT2_T3_T4_T5_mT6_T7_P12ihipStream_tbENKUlT_T0_E_clISt17integral_constantIbLb0EES11_EEDaSW_SX_EUlSW_E_NS1_11comp_targetILNS1_3genE9ELNS1_11target_archE1100ELNS1_3gpuE3ELNS1_3repE0EEENS1_30default_config_static_selectorELNS0_4arch9wavefront6targetE0EEEvT1_,@function
_ZN7rocprim17ROCPRIM_400000_NS6detail17trampoline_kernelINS0_14default_configENS1_27scan_by_key_config_selectorIiiEEZZNS1_16scan_by_key_implILNS1_25lookback_scan_determinismE0ELb1ES3_N6thrust23THRUST_200600_302600_NS6detail15normal_iteratorINS9_10device_ptrIiEEEENSB_INSC_IjEEEESE_iNS9_4plusIvEENS9_8equal_toIvEEiEE10hipError_tPvRmT2_T3_T4_T5_mT6_T7_P12ihipStream_tbENKUlT_T0_E_clISt17integral_constantIbLb0EES11_EEDaSW_SX_EUlSW_E_NS1_11comp_targetILNS1_3genE9ELNS1_11target_archE1100ELNS1_3gpuE3ELNS1_3repE0EEENS1_30default_config_static_selectorELNS0_4arch9wavefront6targetE0EEEvT1_: ; @_ZN7rocprim17ROCPRIM_400000_NS6detail17trampoline_kernelINS0_14default_configENS1_27scan_by_key_config_selectorIiiEEZZNS1_16scan_by_key_implILNS1_25lookback_scan_determinismE0ELb1ES3_N6thrust23THRUST_200600_302600_NS6detail15normal_iteratorINS9_10device_ptrIiEEEENSB_INSC_IjEEEESE_iNS9_4plusIvEENS9_8equal_toIvEEiEE10hipError_tPvRmT2_T3_T4_T5_mT6_T7_P12ihipStream_tbENKUlT_T0_E_clISt17integral_constantIbLb0EES11_EEDaSW_SX_EUlSW_E_NS1_11comp_targetILNS1_3genE9ELNS1_11target_archE1100ELNS1_3gpuE3ELNS1_3repE0EEENS1_30default_config_static_selectorELNS0_4arch9wavefront6targetE0EEEvT1_
; %bb.0:
	.section	.rodata,"a",@progbits
	.p2align	6, 0x0
	.amdhsa_kernel _ZN7rocprim17ROCPRIM_400000_NS6detail17trampoline_kernelINS0_14default_configENS1_27scan_by_key_config_selectorIiiEEZZNS1_16scan_by_key_implILNS1_25lookback_scan_determinismE0ELb1ES3_N6thrust23THRUST_200600_302600_NS6detail15normal_iteratorINS9_10device_ptrIiEEEENSB_INSC_IjEEEESE_iNS9_4plusIvEENS9_8equal_toIvEEiEE10hipError_tPvRmT2_T3_T4_T5_mT6_T7_P12ihipStream_tbENKUlT_T0_E_clISt17integral_constantIbLb0EES11_EEDaSW_SX_EUlSW_E_NS1_11comp_targetILNS1_3genE9ELNS1_11target_archE1100ELNS1_3gpuE3ELNS1_3repE0EEENS1_30default_config_static_selectorELNS0_4arch9wavefront6targetE0EEEvT1_
		.amdhsa_group_segment_fixed_size 0
		.amdhsa_private_segment_fixed_size 0
		.amdhsa_kernarg_size 112
		.amdhsa_user_sgpr_count 6
		.amdhsa_user_sgpr_private_segment_buffer 1
		.amdhsa_user_sgpr_dispatch_ptr 0
		.amdhsa_user_sgpr_queue_ptr 0
		.amdhsa_user_sgpr_kernarg_segment_ptr 1
		.amdhsa_user_sgpr_dispatch_id 0
		.amdhsa_user_sgpr_flat_scratch_init 0
		.amdhsa_user_sgpr_private_segment_size 0
		.amdhsa_wavefront_size32 1
		.amdhsa_uses_dynamic_stack 0
		.amdhsa_system_sgpr_private_segment_wavefront_offset 0
		.amdhsa_system_sgpr_workgroup_id_x 1
		.amdhsa_system_sgpr_workgroup_id_y 0
		.amdhsa_system_sgpr_workgroup_id_z 0
		.amdhsa_system_sgpr_workgroup_info 0
		.amdhsa_system_vgpr_workitem_id 0
		.amdhsa_next_free_vgpr 1
		.amdhsa_next_free_sgpr 1
		.amdhsa_reserve_vcc 0
		.amdhsa_reserve_flat_scratch 0
		.amdhsa_float_round_mode_32 0
		.amdhsa_float_round_mode_16_64 0
		.amdhsa_float_denorm_mode_32 3
		.amdhsa_float_denorm_mode_16_64 3
		.amdhsa_dx10_clamp 1
		.amdhsa_ieee_mode 1
		.amdhsa_fp16_overflow 0
		.amdhsa_workgroup_processor_mode 1
		.amdhsa_memory_ordered 1
		.amdhsa_forward_progress 1
		.amdhsa_shared_vgpr_count 0
		.amdhsa_exception_fp_ieee_invalid_op 0
		.amdhsa_exception_fp_denorm_src 0
		.amdhsa_exception_fp_ieee_div_zero 0
		.amdhsa_exception_fp_ieee_overflow 0
		.amdhsa_exception_fp_ieee_underflow 0
		.amdhsa_exception_fp_ieee_inexact 0
		.amdhsa_exception_int_div_zero 0
	.end_amdhsa_kernel
	.section	.text._ZN7rocprim17ROCPRIM_400000_NS6detail17trampoline_kernelINS0_14default_configENS1_27scan_by_key_config_selectorIiiEEZZNS1_16scan_by_key_implILNS1_25lookback_scan_determinismE0ELb1ES3_N6thrust23THRUST_200600_302600_NS6detail15normal_iteratorINS9_10device_ptrIiEEEENSB_INSC_IjEEEESE_iNS9_4plusIvEENS9_8equal_toIvEEiEE10hipError_tPvRmT2_T3_T4_T5_mT6_T7_P12ihipStream_tbENKUlT_T0_E_clISt17integral_constantIbLb0EES11_EEDaSW_SX_EUlSW_E_NS1_11comp_targetILNS1_3genE9ELNS1_11target_archE1100ELNS1_3gpuE3ELNS1_3repE0EEENS1_30default_config_static_selectorELNS0_4arch9wavefront6targetE0EEEvT1_,"axG",@progbits,_ZN7rocprim17ROCPRIM_400000_NS6detail17trampoline_kernelINS0_14default_configENS1_27scan_by_key_config_selectorIiiEEZZNS1_16scan_by_key_implILNS1_25lookback_scan_determinismE0ELb1ES3_N6thrust23THRUST_200600_302600_NS6detail15normal_iteratorINS9_10device_ptrIiEEEENSB_INSC_IjEEEESE_iNS9_4plusIvEENS9_8equal_toIvEEiEE10hipError_tPvRmT2_T3_T4_T5_mT6_T7_P12ihipStream_tbENKUlT_T0_E_clISt17integral_constantIbLb0EES11_EEDaSW_SX_EUlSW_E_NS1_11comp_targetILNS1_3genE9ELNS1_11target_archE1100ELNS1_3gpuE3ELNS1_3repE0EEENS1_30default_config_static_selectorELNS0_4arch9wavefront6targetE0EEEvT1_,comdat
.Lfunc_end1759:
	.size	_ZN7rocprim17ROCPRIM_400000_NS6detail17trampoline_kernelINS0_14default_configENS1_27scan_by_key_config_selectorIiiEEZZNS1_16scan_by_key_implILNS1_25lookback_scan_determinismE0ELb1ES3_N6thrust23THRUST_200600_302600_NS6detail15normal_iteratorINS9_10device_ptrIiEEEENSB_INSC_IjEEEESE_iNS9_4plusIvEENS9_8equal_toIvEEiEE10hipError_tPvRmT2_T3_T4_T5_mT6_T7_P12ihipStream_tbENKUlT_T0_E_clISt17integral_constantIbLb0EES11_EEDaSW_SX_EUlSW_E_NS1_11comp_targetILNS1_3genE9ELNS1_11target_archE1100ELNS1_3gpuE3ELNS1_3repE0EEENS1_30default_config_static_selectorELNS0_4arch9wavefront6targetE0EEEvT1_, .Lfunc_end1759-_ZN7rocprim17ROCPRIM_400000_NS6detail17trampoline_kernelINS0_14default_configENS1_27scan_by_key_config_selectorIiiEEZZNS1_16scan_by_key_implILNS1_25lookback_scan_determinismE0ELb1ES3_N6thrust23THRUST_200600_302600_NS6detail15normal_iteratorINS9_10device_ptrIiEEEENSB_INSC_IjEEEESE_iNS9_4plusIvEENS9_8equal_toIvEEiEE10hipError_tPvRmT2_T3_T4_T5_mT6_T7_P12ihipStream_tbENKUlT_T0_E_clISt17integral_constantIbLb0EES11_EEDaSW_SX_EUlSW_E_NS1_11comp_targetILNS1_3genE9ELNS1_11target_archE1100ELNS1_3gpuE3ELNS1_3repE0EEENS1_30default_config_static_selectorELNS0_4arch9wavefront6targetE0EEEvT1_
                                        ; -- End function
	.set _ZN7rocprim17ROCPRIM_400000_NS6detail17trampoline_kernelINS0_14default_configENS1_27scan_by_key_config_selectorIiiEEZZNS1_16scan_by_key_implILNS1_25lookback_scan_determinismE0ELb1ES3_N6thrust23THRUST_200600_302600_NS6detail15normal_iteratorINS9_10device_ptrIiEEEENSB_INSC_IjEEEESE_iNS9_4plusIvEENS9_8equal_toIvEEiEE10hipError_tPvRmT2_T3_T4_T5_mT6_T7_P12ihipStream_tbENKUlT_T0_E_clISt17integral_constantIbLb0EES11_EEDaSW_SX_EUlSW_E_NS1_11comp_targetILNS1_3genE9ELNS1_11target_archE1100ELNS1_3gpuE3ELNS1_3repE0EEENS1_30default_config_static_selectorELNS0_4arch9wavefront6targetE0EEEvT1_.num_vgpr, 0
	.set _ZN7rocprim17ROCPRIM_400000_NS6detail17trampoline_kernelINS0_14default_configENS1_27scan_by_key_config_selectorIiiEEZZNS1_16scan_by_key_implILNS1_25lookback_scan_determinismE0ELb1ES3_N6thrust23THRUST_200600_302600_NS6detail15normal_iteratorINS9_10device_ptrIiEEEENSB_INSC_IjEEEESE_iNS9_4plusIvEENS9_8equal_toIvEEiEE10hipError_tPvRmT2_T3_T4_T5_mT6_T7_P12ihipStream_tbENKUlT_T0_E_clISt17integral_constantIbLb0EES11_EEDaSW_SX_EUlSW_E_NS1_11comp_targetILNS1_3genE9ELNS1_11target_archE1100ELNS1_3gpuE3ELNS1_3repE0EEENS1_30default_config_static_selectorELNS0_4arch9wavefront6targetE0EEEvT1_.num_agpr, 0
	.set _ZN7rocprim17ROCPRIM_400000_NS6detail17trampoline_kernelINS0_14default_configENS1_27scan_by_key_config_selectorIiiEEZZNS1_16scan_by_key_implILNS1_25lookback_scan_determinismE0ELb1ES3_N6thrust23THRUST_200600_302600_NS6detail15normal_iteratorINS9_10device_ptrIiEEEENSB_INSC_IjEEEESE_iNS9_4plusIvEENS9_8equal_toIvEEiEE10hipError_tPvRmT2_T3_T4_T5_mT6_T7_P12ihipStream_tbENKUlT_T0_E_clISt17integral_constantIbLb0EES11_EEDaSW_SX_EUlSW_E_NS1_11comp_targetILNS1_3genE9ELNS1_11target_archE1100ELNS1_3gpuE3ELNS1_3repE0EEENS1_30default_config_static_selectorELNS0_4arch9wavefront6targetE0EEEvT1_.numbered_sgpr, 0
	.set _ZN7rocprim17ROCPRIM_400000_NS6detail17trampoline_kernelINS0_14default_configENS1_27scan_by_key_config_selectorIiiEEZZNS1_16scan_by_key_implILNS1_25lookback_scan_determinismE0ELb1ES3_N6thrust23THRUST_200600_302600_NS6detail15normal_iteratorINS9_10device_ptrIiEEEENSB_INSC_IjEEEESE_iNS9_4plusIvEENS9_8equal_toIvEEiEE10hipError_tPvRmT2_T3_T4_T5_mT6_T7_P12ihipStream_tbENKUlT_T0_E_clISt17integral_constantIbLb0EES11_EEDaSW_SX_EUlSW_E_NS1_11comp_targetILNS1_3genE9ELNS1_11target_archE1100ELNS1_3gpuE3ELNS1_3repE0EEENS1_30default_config_static_selectorELNS0_4arch9wavefront6targetE0EEEvT1_.num_named_barrier, 0
	.set _ZN7rocprim17ROCPRIM_400000_NS6detail17trampoline_kernelINS0_14default_configENS1_27scan_by_key_config_selectorIiiEEZZNS1_16scan_by_key_implILNS1_25lookback_scan_determinismE0ELb1ES3_N6thrust23THRUST_200600_302600_NS6detail15normal_iteratorINS9_10device_ptrIiEEEENSB_INSC_IjEEEESE_iNS9_4plusIvEENS9_8equal_toIvEEiEE10hipError_tPvRmT2_T3_T4_T5_mT6_T7_P12ihipStream_tbENKUlT_T0_E_clISt17integral_constantIbLb0EES11_EEDaSW_SX_EUlSW_E_NS1_11comp_targetILNS1_3genE9ELNS1_11target_archE1100ELNS1_3gpuE3ELNS1_3repE0EEENS1_30default_config_static_selectorELNS0_4arch9wavefront6targetE0EEEvT1_.private_seg_size, 0
	.set _ZN7rocprim17ROCPRIM_400000_NS6detail17trampoline_kernelINS0_14default_configENS1_27scan_by_key_config_selectorIiiEEZZNS1_16scan_by_key_implILNS1_25lookback_scan_determinismE0ELb1ES3_N6thrust23THRUST_200600_302600_NS6detail15normal_iteratorINS9_10device_ptrIiEEEENSB_INSC_IjEEEESE_iNS9_4plusIvEENS9_8equal_toIvEEiEE10hipError_tPvRmT2_T3_T4_T5_mT6_T7_P12ihipStream_tbENKUlT_T0_E_clISt17integral_constantIbLb0EES11_EEDaSW_SX_EUlSW_E_NS1_11comp_targetILNS1_3genE9ELNS1_11target_archE1100ELNS1_3gpuE3ELNS1_3repE0EEENS1_30default_config_static_selectorELNS0_4arch9wavefront6targetE0EEEvT1_.uses_vcc, 0
	.set _ZN7rocprim17ROCPRIM_400000_NS6detail17trampoline_kernelINS0_14default_configENS1_27scan_by_key_config_selectorIiiEEZZNS1_16scan_by_key_implILNS1_25lookback_scan_determinismE0ELb1ES3_N6thrust23THRUST_200600_302600_NS6detail15normal_iteratorINS9_10device_ptrIiEEEENSB_INSC_IjEEEESE_iNS9_4plusIvEENS9_8equal_toIvEEiEE10hipError_tPvRmT2_T3_T4_T5_mT6_T7_P12ihipStream_tbENKUlT_T0_E_clISt17integral_constantIbLb0EES11_EEDaSW_SX_EUlSW_E_NS1_11comp_targetILNS1_3genE9ELNS1_11target_archE1100ELNS1_3gpuE3ELNS1_3repE0EEENS1_30default_config_static_selectorELNS0_4arch9wavefront6targetE0EEEvT1_.uses_flat_scratch, 0
	.set _ZN7rocprim17ROCPRIM_400000_NS6detail17trampoline_kernelINS0_14default_configENS1_27scan_by_key_config_selectorIiiEEZZNS1_16scan_by_key_implILNS1_25lookback_scan_determinismE0ELb1ES3_N6thrust23THRUST_200600_302600_NS6detail15normal_iteratorINS9_10device_ptrIiEEEENSB_INSC_IjEEEESE_iNS9_4plusIvEENS9_8equal_toIvEEiEE10hipError_tPvRmT2_T3_T4_T5_mT6_T7_P12ihipStream_tbENKUlT_T0_E_clISt17integral_constantIbLb0EES11_EEDaSW_SX_EUlSW_E_NS1_11comp_targetILNS1_3genE9ELNS1_11target_archE1100ELNS1_3gpuE3ELNS1_3repE0EEENS1_30default_config_static_selectorELNS0_4arch9wavefront6targetE0EEEvT1_.has_dyn_sized_stack, 0
	.set _ZN7rocprim17ROCPRIM_400000_NS6detail17trampoline_kernelINS0_14default_configENS1_27scan_by_key_config_selectorIiiEEZZNS1_16scan_by_key_implILNS1_25lookback_scan_determinismE0ELb1ES3_N6thrust23THRUST_200600_302600_NS6detail15normal_iteratorINS9_10device_ptrIiEEEENSB_INSC_IjEEEESE_iNS9_4plusIvEENS9_8equal_toIvEEiEE10hipError_tPvRmT2_T3_T4_T5_mT6_T7_P12ihipStream_tbENKUlT_T0_E_clISt17integral_constantIbLb0EES11_EEDaSW_SX_EUlSW_E_NS1_11comp_targetILNS1_3genE9ELNS1_11target_archE1100ELNS1_3gpuE3ELNS1_3repE0EEENS1_30default_config_static_selectorELNS0_4arch9wavefront6targetE0EEEvT1_.has_recursion, 0
	.set _ZN7rocprim17ROCPRIM_400000_NS6detail17trampoline_kernelINS0_14default_configENS1_27scan_by_key_config_selectorIiiEEZZNS1_16scan_by_key_implILNS1_25lookback_scan_determinismE0ELb1ES3_N6thrust23THRUST_200600_302600_NS6detail15normal_iteratorINS9_10device_ptrIiEEEENSB_INSC_IjEEEESE_iNS9_4plusIvEENS9_8equal_toIvEEiEE10hipError_tPvRmT2_T3_T4_T5_mT6_T7_P12ihipStream_tbENKUlT_T0_E_clISt17integral_constantIbLb0EES11_EEDaSW_SX_EUlSW_E_NS1_11comp_targetILNS1_3genE9ELNS1_11target_archE1100ELNS1_3gpuE3ELNS1_3repE0EEENS1_30default_config_static_selectorELNS0_4arch9wavefront6targetE0EEEvT1_.has_indirect_call, 0
	.section	.AMDGPU.csdata,"",@progbits
; Kernel info:
; codeLenInByte = 0
; TotalNumSgprs: 0
; NumVgprs: 0
; ScratchSize: 0
; MemoryBound: 0
; FloatMode: 240
; IeeeMode: 1
; LDSByteSize: 0 bytes/workgroup (compile time only)
; SGPRBlocks: 0
; VGPRBlocks: 0
; NumSGPRsForWavesPerEU: 1
; NumVGPRsForWavesPerEU: 1
; Occupancy: 16
; WaveLimiterHint : 0
; COMPUTE_PGM_RSRC2:SCRATCH_EN: 0
; COMPUTE_PGM_RSRC2:USER_SGPR: 6
; COMPUTE_PGM_RSRC2:TRAP_HANDLER: 0
; COMPUTE_PGM_RSRC2:TGID_X_EN: 1
; COMPUTE_PGM_RSRC2:TGID_Y_EN: 0
; COMPUTE_PGM_RSRC2:TGID_Z_EN: 0
; COMPUTE_PGM_RSRC2:TIDIG_COMP_CNT: 0
	.section	.text._ZN7rocprim17ROCPRIM_400000_NS6detail17trampoline_kernelINS0_14default_configENS1_27scan_by_key_config_selectorIiiEEZZNS1_16scan_by_key_implILNS1_25lookback_scan_determinismE0ELb1ES3_N6thrust23THRUST_200600_302600_NS6detail15normal_iteratorINS9_10device_ptrIiEEEENSB_INSC_IjEEEESE_iNS9_4plusIvEENS9_8equal_toIvEEiEE10hipError_tPvRmT2_T3_T4_T5_mT6_T7_P12ihipStream_tbENKUlT_T0_E_clISt17integral_constantIbLb0EES11_EEDaSW_SX_EUlSW_E_NS1_11comp_targetILNS1_3genE8ELNS1_11target_archE1030ELNS1_3gpuE2ELNS1_3repE0EEENS1_30default_config_static_selectorELNS0_4arch9wavefront6targetE0EEEvT1_,"axG",@progbits,_ZN7rocprim17ROCPRIM_400000_NS6detail17trampoline_kernelINS0_14default_configENS1_27scan_by_key_config_selectorIiiEEZZNS1_16scan_by_key_implILNS1_25lookback_scan_determinismE0ELb1ES3_N6thrust23THRUST_200600_302600_NS6detail15normal_iteratorINS9_10device_ptrIiEEEENSB_INSC_IjEEEESE_iNS9_4plusIvEENS9_8equal_toIvEEiEE10hipError_tPvRmT2_T3_T4_T5_mT6_T7_P12ihipStream_tbENKUlT_T0_E_clISt17integral_constantIbLb0EES11_EEDaSW_SX_EUlSW_E_NS1_11comp_targetILNS1_3genE8ELNS1_11target_archE1030ELNS1_3gpuE2ELNS1_3repE0EEENS1_30default_config_static_selectorELNS0_4arch9wavefront6targetE0EEEvT1_,comdat
	.protected	_ZN7rocprim17ROCPRIM_400000_NS6detail17trampoline_kernelINS0_14default_configENS1_27scan_by_key_config_selectorIiiEEZZNS1_16scan_by_key_implILNS1_25lookback_scan_determinismE0ELb1ES3_N6thrust23THRUST_200600_302600_NS6detail15normal_iteratorINS9_10device_ptrIiEEEENSB_INSC_IjEEEESE_iNS9_4plusIvEENS9_8equal_toIvEEiEE10hipError_tPvRmT2_T3_T4_T5_mT6_T7_P12ihipStream_tbENKUlT_T0_E_clISt17integral_constantIbLb0EES11_EEDaSW_SX_EUlSW_E_NS1_11comp_targetILNS1_3genE8ELNS1_11target_archE1030ELNS1_3gpuE2ELNS1_3repE0EEENS1_30default_config_static_selectorELNS0_4arch9wavefront6targetE0EEEvT1_ ; -- Begin function _ZN7rocprim17ROCPRIM_400000_NS6detail17trampoline_kernelINS0_14default_configENS1_27scan_by_key_config_selectorIiiEEZZNS1_16scan_by_key_implILNS1_25lookback_scan_determinismE0ELb1ES3_N6thrust23THRUST_200600_302600_NS6detail15normal_iteratorINS9_10device_ptrIiEEEENSB_INSC_IjEEEESE_iNS9_4plusIvEENS9_8equal_toIvEEiEE10hipError_tPvRmT2_T3_T4_T5_mT6_T7_P12ihipStream_tbENKUlT_T0_E_clISt17integral_constantIbLb0EES11_EEDaSW_SX_EUlSW_E_NS1_11comp_targetILNS1_3genE8ELNS1_11target_archE1030ELNS1_3gpuE2ELNS1_3repE0EEENS1_30default_config_static_selectorELNS0_4arch9wavefront6targetE0EEEvT1_
	.globl	_ZN7rocprim17ROCPRIM_400000_NS6detail17trampoline_kernelINS0_14default_configENS1_27scan_by_key_config_selectorIiiEEZZNS1_16scan_by_key_implILNS1_25lookback_scan_determinismE0ELb1ES3_N6thrust23THRUST_200600_302600_NS6detail15normal_iteratorINS9_10device_ptrIiEEEENSB_INSC_IjEEEESE_iNS9_4plusIvEENS9_8equal_toIvEEiEE10hipError_tPvRmT2_T3_T4_T5_mT6_T7_P12ihipStream_tbENKUlT_T0_E_clISt17integral_constantIbLb0EES11_EEDaSW_SX_EUlSW_E_NS1_11comp_targetILNS1_3genE8ELNS1_11target_archE1030ELNS1_3gpuE2ELNS1_3repE0EEENS1_30default_config_static_selectorELNS0_4arch9wavefront6targetE0EEEvT1_
	.p2align	8
	.type	_ZN7rocprim17ROCPRIM_400000_NS6detail17trampoline_kernelINS0_14default_configENS1_27scan_by_key_config_selectorIiiEEZZNS1_16scan_by_key_implILNS1_25lookback_scan_determinismE0ELb1ES3_N6thrust23THRUST_200600_302600_NS6detail15normal_iteratorINS9_10device_ptrIiEEEENSB_INSC_IjEEEESE_iNS9_4plusIvEENS9_8equal_toIvEEiEE10hipError_tPvRmT2_T3_T4_T5_mT6_T7_P12ihipStream_tbENKUlT_T0_E_clISt17integral_constantIbLb0EES11_EEDaSW_SX_EUlSW_E_NS1_11comp_targetILNS1_3genE8ELNS1_11target_archE1030ELNS1_3gpuE2ELNS1_3repE0EEENS1_30default_config_static_selectorELNS0_4arch9wavefront6targetE0EEEvT1_,@function
_ZN7rocprim17ROCPRIM_400000_NS6detail17trampoline_kernelINS0_14default_configENS1_27scan_by_key_config_selectorIiiEEZZNS1_16scan_by_key_implILNS1_25lookback_scan_determinismE0ELb1ES3_N6thrust23THRUST_200600_302600_NS6detail15normal_iteratorINS9_10device_ptrIiEEEENSB_INSC_IjEEEESE_iNS9_4plusIvEENS9_8equal_toIvEEiEE10hipError_tPvRmT2_T3_T4_T5_mT6_T7_P12ihipStream_tbENKUlT_T0_E_clISt17integral_constantIbLb0EES11_EEDaSW_SX_EUlSW_E_NS1_11comp_targetILNS1_3genE8ELNS1_11target_archE1030ELNS1_3gpuE2ELNS1_3repE0EEENS1_30default_config_static_selectorELNS0_4arch9wavefront6targetE0EEEvT1_: ; @_ZN7rocprim17ROCPRIM_400000_NS6detail17trampoline_kernelINS0_14default_configENS1_27scan_by_key_config_selectorIiiEEZZNS1_16scan_by_key_implILNS1_25lookback_scan_determinismE0ELb1ES3_N6thrust23THRUST_200600_302600_NS6detail15normal_iteratorINS9_10device_ptrIiEEEENSB_INSC_IjEEEESE_iNS9_4plusIvEENS9_8equal_toIvEEiEE10hipError_tPvRmT2_T3_T4_T5_mT6_T7_P12ihipStream_tbENKUlT_T0_E_clISt17integral_constantIbLb0EES11_EEDaSW_SX_EUlSW_E_NS1_11comp_targetILNS1_3genE8ELNS1_11target_archE1030ELNS1_3gpuE2ELNS1_3repE0EEENS1_30default_config_static_selectorELNS0_4arch9wavefront6targetE0EEEvT1_
; %bb.0:
	s_clause 0x5
	s_load_dwordx8 s[8:15], s[4:5], 0x0
	s_load_dwordx2 s[24:25], s[4:5], 0x38
	s_load_dword s2, s[4:5], 0x40
	s_load_dwordx4 s[20:23], s[4:5], 0x48
	s_load_dword s26, s[4:5], 0x20
	s_load_dwordx4 s[16:19], s[4:5], 0x28
	s_mov_b32 s1, 0
	s_mul_i32 s0, s6, 0x300
	s_waitcnt lgkmcnt(0)
	s_barrier
	buffer_gl0_inv
	s_lshl_b64 s[4:5], s[10:11], 2
	s_add_u32 s10, s8, s4
	s_addc_u32 s11, s9, s5
	s_mul_i32 s3, s25, s2
	s_mul_hi_u32 s7, s24, s2
	s_add_u32 s12, s12, s4
	s_addc_u32 s13, s13, s5
	s_lshl_b64 s[8:9], s[0:1], 2
	s_add_i32 s7, s7, s3
	s_add_u32 s10, s10, s8
	s_addc_u32 s11, s11, s9
	s_mul_i32 s0, s24, s2
	s_add_u32 s3, s12, s8
	s_addc_u32 s13, s13, s9
	s_add_u32 s28, s0, s6
	s_addc_u32 s29, s7, 0
	s_add_u32 s20, s20, -1
	s_addc_u32 s21, s21, -1
	s_mul_i32 s12, s20, 0xfffffd00
	v_cmp_ge_u64_e64 s7, s[28:29], s[20:21]
	s_and_b32 vcc_lo, exec_lo, s7
	s_cbranch_vccz .LBB1760_20
; %bb.1:
	v_mov_b32_e32 v1, s10
	v_mov_b32_e32 v2, s11
	s_add_i32 s19, s12, s18
	v_cmp_gt_u32_e32 vcc_lo, s19, v0
	flat_load_dword v1, v[1:2]
	s_waitcnt vmcnt(0) lgkmcnt(0)
	v_mov_b32_e32 v2, v1
	s_and_saveexec_b32 s0, vcc_lo
	s_cbranch_execz .LBB1760_3
; %bb.2:
	v_lshlrev_b32_e32 v2, 2, v0
	v_add_co_u32 v2, s1, s10, v2
	v_add_co_ci_u32_e64 v3, null, s11, 0, s1
	flat_load_dword v2, v[2:3]
.LBB1760_3:
	s_or_b32 exec_lo, exec_lo, s0
	v_or_b32_e32 v3, 0x100, v0
	v_cmp_gt_u32_e64 s0, s19, v3
	v_mov_b32_e32 v3, v1
	s_and_saveexec_b32 s1, s0
	s_cbranch_execz .LBB1760_5
; %bb.4:
	v_lshlrev_b32_e32 v3, 2, v0
	v_add_co_u32 v3, s2, s10, v3
	v_add_co_ci_u32_e64 v4, null, s11, 0, s2
	flat_load_dword v3, v[3:4] offset:1024
.LBB1760_5:
	s_or_b32 exec_lo, exec_lo, s1
	v_or_b32_e32 v4, 0x200, v0
	v_cmp_gt_u32_e64 s1, s19, v4
	v_lshlrev_b32_e32 v9, 2, v4
	s_and_saveexec_b32 s2, s1
	s_cbranch_execz .LBB1760_7
; %bb.6:
	v_add_co_u32 v4, s20, s10, v9
	v_add_co_ci_u32_e64 v5, null, s11, 0, s20
	flat_load_dword v1, v[4:5]
.LBB1760_7:
	s_or_b32 exec_lo, exec_lo, s2
	v_mov_b32_e32 v4, s10
	v_lshlrev_b32_e32 v10, 2, v0
	v_mov_b32_e32 v5, s11
	s_mov_b32 s20, exec_lo
	s_waitcnt vmcnt(0) lgkmcnt(0)
	ds_write2st64_b32 v10, v2, v3 offset1:4
	ds_write_b32 v10, v1 offset:2048
	s_waitcnt lgkmcnt(0)
	s_barrier
	buffer_gl0_inv
	flat_load_dword v8, v[4:5]
	v_lshlrev_b32_e32 v1, 3, v0
	v_add_nc_u32_e32 v6, v10, v1
	ds_read_b32 v7, v6
	ds_read2_b32 v[4:5], v6 offset0:1 offset1:2
	s_waitcnt lgkmcnt(1)
	ds_write_b32 v10, v7 offset:4096
	s_waitcnt vmcnt(0) lgkmcnt(0)
	s_barrier
	buffer_gl0_inv
	v_cmpx_ne_u32_e32 0xff, v0
; %bb.8:
	v_sub_nc_u32_e32 v1, 0, v1
	v_add_nc_u32_e32 v1, v6, v1
	ds_read_b32 v8, v1 offset:4100
; %bb.9:
	s_or_b32 exec_lo, exec_lo, s20
	v_mov_b32_e32 v1, 0
	s_waitcnt lgkmcnt(0)
	s_barrier
	buffer_gl0_inv
	v_mov_b32_e32 v2, v1
	v_mov_b32_e32 v3, v1
	s_and_saveexec_b32 s2, vcc_lo
	s_cbranch_execnz .LBB1760_90
; %bb.10:
	s_or_b32 exec_lo, exec_lo, s2
	s_and_saveexec_b32 s2, s0
	s_cbranch_execnz .LBB1760_91
.LBB1760_11:
	s_or_b32 exec_lo, exec_lo, s2
	v_mul_u32_u24_e32 v13, 3, v0
	s_and_saveexec_b32 s0, s1
	s_cbranch_execz .LBB1760_13
.LBB1760_12:
	v_add_co_u32 v11, s1, s3, v9
	v_add_co_ci_u32_e64 v12, null, s13, 0, s1
	flat_load_dword v3, v[11:12]
.LBB1760_13:
	s_or_b32 exec_lo, exec_lo, s0
	s_waitcnt vmcnt(0) lgkmcnt(0)
	ds_write2st64_b32 v10, v1, v2 offset1:4
	ds_write_b32 v10, v3 offset:2048
	v_mov_b32_e32 v9, 0
	v_mov_b32_e32 v1, 0
	;; [unrolled: 1-line block ×6, first 2 shown]
	s_mov_b32 s2, 0
	s_mov_b32 s1, 0
	s_mov_b32 s20, exec_lo
	s_waitcnt lgkmcnt(0)
	s_barrier
	buffer_gl0_inv
                                        ; implicit-def: $sgpr0
                                        ; implicit-def: $vgpr3
	v_cmpx_gt_u32_e64 s19, v13
	s_cbranch_execz .LBB1760_19
; %bb.14:
	ds_read_b32 v3, v6
	v_cmp_ne_u32_e32 vcc_lo, v7, v4
	v_mov_b32_e32 v1, 0
	v_add_nc_u32_e32 v11, 1, v13
	v_mov_b32_e32 v2, 0
	s_mov_b32 s21, 0
	v_cndmask_b32_e64 v10, 0, 1, vcc_lo
	v_cmp_eq_u32_e32 vcc_lo, v7, v4
	s_mov_b32 s1, exec_lo
                                        ; implicit-def: $sgpr0
	s_waitcnt lgkmcnt(0)
	v_cndmask_b32_e32 v9, s26, v3, vcc_lo
                                        ; implicit-def: $vgpr3
	v_cmpx_gt_u32_e64 s19, v11
	s_cbranch_execz .LBB1760_18
; %bb.15:
	ds_read2_b32 v[6:7], v6 offset0:1 offset1:2
	v_cmp_ne_u32_e32 vcc_lo, v4, v5
	v_add_nc_u32_e32 v3, 2, v13
                                        ; implicit-def: $sgpr0
	v_cndmask_b32_e64 v2, 0, 1, vcc_lo
	v_cmp_eq_u32_e32 vcc_lo, v4, v5
	s_waitcnt lgkmcnt(0)
	v_cndmask_b32_e32 v1, s26, v6, vcc_lo
	v_cmp_gt_u32_e32 vcc_lo, s19, v3
	s_mov_b32 s19, 0
                                        ; implicit-def: $vgpr3
	s_and_saveexec_b32 s21, vcc_lo
	s_xor_b32 s21, exec_lo, s21
; %bb.16:
	v_cmp_ne_u32_e64 s0, v5, v8
	s_mov_b32 s19, exec_lo
	v_cndmask_b32_e64 v3, v7, s26, s0
; %bb.17:
	s_or_b32 exec_lo, exec_lo, s21
	s_and_b32 s21, s19, exec_lo
.LBB1760_18:
	s_or_b32 exec_lo, exec_lo, s1
	v_mov_b32_e32 v12, v2
	v_mov_b32_e32 v11, v1
	s_and_b32 s1, s21, exec_lo
.LBB1760_19:
	s_or_b32 exec_lo, exec_lo, s20
	v_lshlrev_b32_e32 v18, 2, v0
	v_lshlrev_b32_e32 v19, 3, v0
	s_and_b32 vcc_lo, exec_lo, s2
	s_cbranch_vccnz .LBB1760_21
	s_branch .LBB1760_24
.LBB1760_20:
                                        ; implicit-def: $sgpr0
                                        ; implicit-def: $vgpr3
                                        ; implicit-def: $vgpr9_vgpr10
                                        ; implicit-def: $vgpr1_vgpr2
                                        ; implicit-def: $vgpr11_vgpr12
	v_lshlrev_b32_e32 v18, 2, v0
	v_lshlrev_b32_e32 v19, 3, v0
	s_cbranch_execz .LBB1760_24
.LBB1760_21:
	v_add_co_u32 v1, s0, s10, v18
	v_add_co_ci_u32_e64 v2, null, s11, 0, s0
	v_add_co_u32 v3, vcc_lo, 0x800, v1
	v_add_co_ci_u32_e64 v4, null, 0, v2, vcc_lo
	s_clause 0x2
	flat_load_dword v5, v[1:2]
	flat_load_dword v6, v[1:2] offset:1024
	flat_load_dword v3, v[3:4]
	v_add_co_u32 v1, s0, 0x800, s10
	v_add_co_ci_u32_e64 v2, null, 0, s11, s0
	s_mov_b32 s0, exec_lo
	s_waitcnt vmcnt(1) lgkmcnt(1)
	ds_write2st64_b32 v18, v5, v6 offset1:4
	s_waitcnt vmcnt(0) lgkmcnt(1)
	ds_write_b32 v18, v3 offset:2048
	s_waitcnt lgkmcnt(0)
	s_barrier
	buffer_gl0_inv
	flat_load_dword v5, v[1:2] offset:1024
	v_add_nc_u32_e32 v1, v18, v19
	ds_read_b32 v6, v1
	ds_read2_b32 v[3:4], v1 offset0:1 offset1:2
	s_waitcnt lgkmcnt(1)
	ds_write_b32 v18, v6 offset:4096
	s_waitcnt vmcnt(0) lgkmcnt(0)
	s_barrier
	buffer_gl0_inv
	v_cmpx_ne_u32_e32 0xff, v0
; %bb.22:
	v_sub_nc_u32_e32 v2, 0, v19
	v_add_nc_u32_e32 v2, v1, v2
	ds_read_b32 v5, v2 offset:4100
; %bb.23:
	s_or_b32 exec_lo, exec_lo, s0
	v_add_co_u32 v7, s0, s3, v18
	v_add_co_ci_u32_e64 v8, null, s13, 0, s0
	s_waitcnt lgkmcnt(0)
	v_add_co_u32 v9, vcc_lo, 0x800, v7
	v_add_co_ci_u32_e64 v10, null, 0, v8, vcc_lo
	s_barrier
	buffer_gl0_inv
	s_clause 0x2
	flat_load_dword v2, v[7:8]
	flat_load_dword v7, v[7:8] offset:1024
	flat_load_dword v8, v[9:10]
	v_cmp_eq_u32_e32 vcc_lo, v6, v3
	v_cmp_ne_u32_e64 s0, v4, v5
	s_mov_b32 s1, -1
	s_waitcnt vmcnt(1) lgkmcnt(1)
	ds_write2st64_b32 v18, v2, v7 offset1:4
	s_waitcnt vmcnt(0) lgkmcnt(1)
	ds_write_b32 v18, v8 offset:2048
	s_waitcnt lgkmcnt(0)
	s_barrier
	buffer_gl0_inv
	ds_read2_b32 v[7:8], v1 offset1:1
	ds_read_b32 v11, v1 offset:8
	s_waitcnt lgkmcnt(1)
	v_cndmask_b32_e32 v9, s26, v7, vcc_lo
	v_cmp_eq_u32_e32 vcc_lo, v3, v4
	v_cndmask_b32_e32 v1, s26, v8, vcc_lo
	v_cmp_ne_u32_e32 vcc_lo, v3, v4
	v_cndmask_b32_e64 v2, 0, 1, vcc_lo
	v_cmp_ne_u32_e32 vcc_lo, v6, v3
	s_waitcnt lgkmcnt(0)
	v_cndmask_b32_e64 v3, v11, s26, s0
	v_mov_b32_e32 v12, v2
	v_cndmask_b32_e64 v10, 0, 1, vcc_lo
	v_mov_b32_e32 v11, v1
.LBB1760_24:
	v_mov_b32_e32 v13, 0
	v_mov_b32_e32 v14, 0
	s_and_saveexec_b32 s2, s1
; %bb.25:
	v_cndmask_b32_e64 v4, 0, 1, s0
	v_mov_b32_e32 v12, v2
	v_mov_b32_e32 v11, v1
	;; [unrolled: 1-line block ×4, first 2 shown]
; %bb.26:
	s_or_b32 exec_lo, exec_lo, s2
	v_or_b32_e32 v23, v12, v14
	v_mbcnt_lo_u32_b32 v20, -1, 0
	v_lshrrev_b32_e32 v21, 5, v0
	v_or_b32_e32 v22, 31, v0
	s_cmp_lg_u32 s6, 0
	s_mov_b32 s2, 0
	s_barrier
	buffer_gl0_inv
	s_cbranch_scc0 .LBB1760_52
; %bb.27:
	v_and_b32_e32 v2, 0xff, v23
	v_mov_b32_e32 v1, 0
	s_mov_b32 s3, 1
	v_cmp_gt_u64_e64 s0, s[2:3], v[11:12]
	v_cmp_eq_u64_e32 vcc_lo, 0, v[1:2]
	v_cndmask_b32_e64 v3, 0, v9, s0
	v_cndmask_b32_e32 v2, 1, v10, vcc_lo
	v_cmp_gt_u64_e32 vcc_lo, s[2:3], v[13:14]
	v_add_nc_u32_e32 v3, v3, v11
	v_and_b32_e32 v4, 0xff, v2
	v_and_b32_e32 v6, 1, v2
	v_cndmask_b32_e32 v3, 0, v3, vcc_lo
	v_mov_b32_dpp v5, v4 row_shr:1 row_mask:0xf bank_mask:0xf
	v_cmp_eq_u32_e32 vcc_lo, 1, v6
	v_and_b32_e32 v6, 15, v20
	v_add_nc_u32_e32 v3, v3, v13
	v_and_b32_e32 v5, 1, v5
	v_mov_b32_dpp v7, v3 row_shr:1 row_mask:0xf bank_mask:0xf
	v_cndmask_b32_e64 v5, v5, 1, vcc_lo
	v_cmp_eq_u16_e32 vcc_lo, 0, v4
	v_and_b32_e32 v8, 0xffff, v5
	v_cndmask_b32_e32 v7, 0, v7, vcc_lo
	v_cmp_eq_u32_e32 vcc_lo, 0, v6
	v_cndmask_b32_e32 v4, v8, v4, vcc_lo
	v_cndmask_b32_e32 v2, v5, v2, vcc_lo
	v_cndmask_b32_e64 v7, v7, 0, vcc_lo
	v_mov_b32_dpp v5, v4 row_shr:2 row_mask:0xf bank_mask:0xf
	v_and_b32_e32 v8, 1, v2
	v_add_nc_u32_e32 v3, v7, v3
	v_cmp_eq_u16_sdwa s2, v2, v1 src0_sel:BYTE_0 src1_sel:DWORD
	v_and_b32_e32 v5, 1, v5
	v_cmp_eq_u32_e32 vcc_lo, 1, v8
	v_cndmask_b32_e64 v5, v5, 1, vcc_lo
	v_cmp_lt_u32_e32 vcc_lo, 1, v6
	v_and_b32_e32 v8, 0xffff, v5
	v_cndmask_b32_e32 v5, v2, v5, vcc_lo
	v_mov_b32_dpp v2, v3 row_shr:2 row_mask:0xf bank_mask:0xf
	v_cndmask_b32_e32 v4, v4, v8, vcc_lo
	v_and_b32_e32 v7, 1, v5
	s_and_b32 vcc_lo, vcc_lo, s2
	v_cndmask_b32_e32 v2, 0, v2, vcc_lo
	v_mov_b32_dpp v8, v4 row_shr:4 row_mask:0xf bank_mask:0xf
	v_cmp_eq_u32_e64 s1, 1, v7
	v_cmp_lt_u32_e32 vcc_lo, 3, v6
	v_add_nc_u32_e32 v2, v2, v3
	v_and_b32_e32 v8, 1, v8
	v_cndmask_b32_e64 v7, v8, 1, s1
	v_cmp_eq_u16_sdwa s1, v5, v1 src0_sel:BYTE_0 src1_sel:DWORD
	v_and_b32_e32 v8, 0xffff, v7
	v_cndmask_b32_e32 v3, v5, v7, vcc_lo
	v_mov_b32_dpp v5, v2 row_shr:4 row_mask:0xf bank_mask:0xf
	v_cndmask_b32_e32 v4, v4, v8, vcc_lo
	s_and_b32 vcc_lo, vcc_lo, s1
	v_and_b32_e32 v8, 1, v3
	v_cndmask_b32_e32 v5, 0, v5, vcc_lo
	v_cmp_eq_u16_sdwa s1, v3, v1 src0_sel:BYTE_0 src1_sel:DWORD
	v_mov_b32_dpp v7, v4 row_shr:8 row_mask:0xf bank_mask:0xf
	v_cmp_eq_u32_e32 vcc_lo, 1, v8
	v_add_nc_u32_e32 v2, v5, v2
	v_and_b32_e32 v7, 1, v7
	v_cndmask_b32_e64 v5, v7, 1, vcc_lo
	v_cmp_lt_u32_e32 vcc_lo, 7, v6
	v_mov_b32_dpp v6, v2 row_shr:8 row_mask:0xf bank_mask:0xf
	s_and_b32 s1, vcc_lo, s1
	v_cndmask_b32_e32 v7, v3, v5, vcc_lo
	v_cndmask_b32_e64 v3, 0, v6, s1
	v_and_b32_e32 v5, 0xffff, v5
	v_and_b32_e32 v6, 16, v20
	v_add_nc_u32_e32 v2, v3, v2
	v_cndmask_b32_e32 v3, v4, v5, vcc_lo
	v_cmp_eq_u16_sdwa vcc_lo, v7, v1 src0_sel:BYTE_0 src1_sel:DWORD
	v_bfe_i32 v5, v20, 4, 1
	v_cmp_eq_u32_e64 s1, 0, v6
	ds_swizzle_b32 v4, v2 offset:swizzle(BROADCAST,32,15)
	ds_swizzle_b32 v3, v3 offset:swizzle(BROADCAST,32,15)
	s_waitcnt lgkmcnt(1)
	v_cndmask_b32_e32 v1, 0, v4, vcc_lo
	v_and_b32_e32 v4, 1, v7
	s_waitcnt lgkmcnt(0)
	v_and_b32_e32 v3, 1, v3
	v_and_b32_e32 v1, v5, v1
	v_cmp_eq_u32_e32 vcc_lo, 1, v4
	v_lshlrev_b32_e32 v5, 3, v21
	v_cndmask_b32_e64 v4, v3, 1, vcc_lo
	v_add_nc_u32_e32 v3, v1, v2
	v_cndmask_b32_e64 v4, v4, v7, s1
	s_mov_b32 s1, exec_lo
	v_cmpx_eq_u32_e64 v0, v22
	s_cbranch_execz .LBB1760_29
; %bb.28:
	ds_write_b32 v5, v3
	ds_write_b8 v5, v4 offset:4
.LBB1760_29:
	s_or_b32 exec_lo, exec_lo, s1
	s_mov_b32 s1, exec_lo
	s_waitcnt lgkmcnt(0)
	s_barrier
	buffer_gl0_inv
	v_cmpx_gt_u32_e32 8, v0
	s_cbranch_execz .LBB1760_35
; %bb.30:
	ds_read_b64 v[1:2], v19
	v_and_b32_e32 v6, 7, v20
	s_mov_b32 s2, exec_lo
	s_waitcnt lgkmcnt(0)
	v_and_b32_e32 v7, 0xffffff00, v2
	v_mov_b32_dpp v15, v1 row_shr:1 row_mask:0xf bank_mask:0xf
	v_mov_b32_dpp v16, v2 row_shr:1 row_mask:0xf bank_mask:0xf
	v_mov_b32_e32 v8, v2
	v_cmpx_ne_u32_e32 0, v6
	s_cbranch_execz .LBB1760_32
; %bb.31:
	v_mov_b32_e32 v8, 0
	v_and_b32_e32 v17, 1, v2
	v_and_b32_e32 v16, 1, v16
	v_cmp_eq_u16_sdwa vcc_lo, v2, v8 src0_sel:BYTE_0 src1_sel:DWORD
	v_cndmask_b32_e32 v2, 0, v15, vcc_lo
	v_cmp_eq_u32_e32 vcc_lo, 1, v17
	v_add_nc_u32_e32 v1, v2, v1
	v_cndmask_b32_e64 v15, v16, 1, vcc_lo
	v_or_b32_sdwa v8, v7, v15 dst_sel:DWORD dst_unused:UNUSED_PAD src0_sel:DWORD src1_sel:WORD_0
	v_mov_b32_e32 v2, v15
.LBB1760_32:
	s_or_b32 exec_lo, exec_lo, s2
	v_mov_b32_dpp v15, v1 row_shr:2 row_mask:0xf bank_mask:0xf
	v_mov_b32_dpp v16, v8 row_shr:2 row_mask:0xf bank_mask:0xf
	s_mov_b32 s2, exec_lo
	v_cmpx_lt_u32_e32 1, v6
	s_cbranch_execz .LBB1760_34
; %bb.33:
	v_mov_b32_e32 v8, 0
	v_and_b32_e32 v17, 1, v2
	v_and_b32_e32 v16, 1, v16
	v_cmp_eq_u16_sdwa vcc_lo, v2, v8 src0_sel:BYTE_0 src1_sel:DWORD
	v_cndmask_b32_e32 v2, 0, v15, vcc_lo
	v_cmp_eq_u32_e32 vcc_lo, 1, v17
	v_add_nc_u32_e32 v1, v2, v1
	v_cndmask_b32_e64 v15, v16, 1, vcc_lo
	v_or_b32_sdwa v8, v7, v15 dst_sel:DWORD dst_unused:UNUSED_PAD src0_sel:DWORD src1_sel:WORD_0
	v_mov_b32_e32 v2, v15
.LBB1760_34:
	s_or_b32 exec_lo, exec_lo, s2
	v_mov_b32_dpp v7, v8 row_shr:4 row_mask:0xf bank_mask:0xf
	v_and_b32_e32 v15, 1, v2
	v_mov_b32_e32 v8, 0
	v_and_b32_e32 v7, 1, v7
	v_cmp_eq_u32_e32 vcc_lo, 1, v15
	v_cmp_eq_u16_sdwa s2, v2, v8 src0_sel:BYTE_0 src1_sel:DWORD
	v_cndmask_b32_e64 v7, v7, 1, vcc_lo
	v_cmp_lt_u32_e32 vcc_lo, 3, v6
	v_mov_b32_dpp v6, v1 row_shr:4 row_mask:0xf bank_mask:0xf
	v_cndmask_b32_e32 v2, v2, v7, vcc_lo
	s_and_b32 vcc_lo, vcc_lo, s2
	v_cndmask_b32_e32 v6, 0, v6, vcc_lo
	v_add_nc_u32_e32 v1, v6, v1
	ds_write_b32 v19, v1
	ds_write_b8 v19, v2 offset:4
.LBB1760_35:
	s_or_b32 exec_lo, exec_lo, s1
	v_mov_b32_e32 v25, 0
	v_mov_b32_e32 v24, 0
	s_mov_b32 s2, exec_lo
	v_cmp_gt_u32_e32 vcc_lo, 32, v0
	s_waitcnt lgkmcnt(0)
	s_barrier
	buffer_gl0_inv
	v_cmpx_lt_u32_e32 31, v0
	s_cbranch_execz .LBB1760_37
; %bb.36:
	v_add_nc_u32_e32 v1, -8, v5
	v_and_b32_e32 v2, 1, v4
	ds_read_b32 v24, v1
	v_add_nc_u32_e32 v1, -4, v5
	ds_read_u8 v25, v1
	v_mov_b32_e32 v1, 0
	v_cmp_eq_u16_sdwa s1, v4, v1 src0_sel:BYTE_0 src1_sel:DWORD
	s_waitcnt lgkmcnt(1)
	v_cndmask_b32_e64 v1, 0, v24, s1
	v_cmp_eq_u32_e64 s1, 1, v2
	v_add_nc_u32_e32 v3, v1, v3
	s_waitcnt lgkmcnt(0)
	v_cndmask_b32_e64 v4, v25, 1, s1
.LBB1760_37:
	s_or_b32 exec_lo, exec_lo, s2
	v_sub_co_u32 v1, s1, v20, 1
	v_and_b32_e32 v2, 0xff, v4
	v_cmp_gt_i32_e64 s2, 0, v1
	v_cndmask_b32_e64 v1, v1, v20, s2
	v_lshlrev_b32_e32 v1, 2, v1
	ds_bpermute_b32 v26, v1, v3
	ds_bpermute_b32 v27, v1, v2
	s_and_saveexec_b32 s3, vcc_lo
	s_cbranch_execz .LBB1760_57
; %bb.38:
	v_mov_b32_e32 v4, 0
	ds_read_b64 v[1:2], v4 offset:56
	s_and_saveexec_b32 s2, s1
	s_cbranch_execz .LBB1760_40
; %bb.39:
	s_add_i32 s10, s6, 32
	s_mov_b32 s11, 0
	v_mov_b32_e32 v3, 1
	s_lshl_b64 s[10:11], s[10:11], 4
	s_add_u32 s10, s16, s10
	s_addc_u32 s11, s17, s11
	v_mov_b32_e32 v5, s10
	v_mov_b32_e32 v6, s11
	s_waitcnt lgkmcnt(0)
	;;#ASMSTART
	global_store_dwordx4 v[5:6], v[1:4] off	
s_waitcnt vmcnt(0)
	;;#ASMEND
.LBB1760_40:
	s_or_b32 exec_lo, exec_lo, s2
	v_xad_u32 v15, v20, -1, s6
	s_mov_b32 s10, 0
	v_add_nc_u32_e32 v3, 32, v15
	v_lshlrev_b64 v[5:6], 4, v[3:4]
	v_add_co_u32 v16, vcc_lo, s16, v5
	v_add_co_ci_u32_e64 v17, null, s17, v6, vcc_lo
	;;#ASMSTART
	global_load_dwordx4 v[5:8], v[16:17] off glc dlc	
s_waitcnt vmcnt(0)
	;;#ASMEND
	v_and_b32_e32 v6, 0xff, v6
	v_cmp_eq_u16_sdwa s11, v7, v4 src0_sel:BYTE_0 src1_sel:DWORD
	s_and_saveexec_b32 s2, s11
	s_cbranch_execz .LBB1760_44
; %bb.41:
	v_mov_b32_e32 v3, 0
.LBB1760_42:                            ; =>This Inner Loop Header: Depth=1
	;;#ASMSTART
	global_load_dwordx4 v[5:8], v[16:17] off glc dlc	
s_waitcnt vmcnt(0)
	;;#ASMEND
	v_cmp_ne_u16_sdwa s11, v7, v3 src0_sel:BYTE_0 src1_sel:DWORD
	s_or_b32 s10, s11, s10
	s_andn2_b32 exec_lo, exec_lo, s10
	s_cbranch_execnz .LBB1760_42
; %bb.43:
	s_or_b32 exec_lo, exec_lo, s10
	v_and_b32_e32 v6, 0xff, v6
.LBB1760_44:
	s_or_b32 exec_lo, exec_lo, s2
	v_cmp_ne_u32_e32 vcc_lo, 31, v20
	v_mov_b32_e32 v28, 2
	v_lshlrev_b32_e64 v29, v20, -1
	v_and_b32_e32 v8, 1, v6
	s_mov_b32 s10, 0
	v_add_co_ci_u32_e64 v3, null, 0, v20, vcc_lo
	v_cmp_eq_u16_sdwa s2, v7, v28 src0_sel:BYTE_0 src1_sel:DWORD
	v_cmp_eq_u32_e32 vcc_lo, 1, v8
	s_mov_b32 s11, 1
	v_lshlrev_b32_e32 v17, 2, v3
	v_add_nc_u32_e32 v37, 8, v20
	v_and_or_b32 v4, s2, v29, 0x80000000
	v_cmp_gt_u64_e64 s2, s[10:11], v[5:6]
	v_lshl_or_b32 v38, v20, 2, 64
	ds_bpermute_b32 v3, v17, v6
	ds_bpermute_b32 v16, v17, v5
	v_ffbl_b32_e32 v4, v4
	v_add_nc_u32_e32 v39, 16, v20
	s_waitcnt lgkmcnt(1)
	v_and_b32_e32 v3, 1, v3
	v_cndmask_b32_e64 v3, v3, 1, vcc_lo
	v_cmp_gt_u32_e32 vcc_lo, 30, v20
	v_and_b32_e32 v31, 0xffff, v3
	v_cndmask_b32_e64 v8, 0, 2, vcc_lo
	v_cmp_lt_u32_e32 vcc_lo, v20, v4
	v_add_lshl_u32 v30, v8, v20, 2
	v_cndmask_b32_e32 v8, v6, v31, vcc_lo
	v_cndmask_b32_e32 v3, v6, v3, vcc_lo
	s_and_b32 vcc_lo, vcc_lo, s2
	s_waitcnt lgkmcnt(0)
	v_cndmask_b32_e32 v6, 0, v16, vcc_lo
	ds_bpermute_b32 v31, v30, v8
	v_and_b32_e32 v16, 1, v3
	v_add_nc_u32_e32 v5, v6, v5
	v_cmp_eq_u32_e32 vcc_lo, 1, v16
	v_mov_b32_e32 v16, 0
	ds_bpermute_b32 v6, v30, v5
	v_cmp_eq_u16_sdwa s2, v3, v16 src0_sel:BYTE_0 src1_sel:DWORD
	s_waitcnt lgkmcnt(1)
	v_and_b32_e32 v32, 1, v31
	v_add_nc_u32_e32 v31, 2, v20
	v_cndmask_b32_e64 v33, v32, 1, vcc_lo
	v_cmp_gt_u32_e32 vcc_lo, 28, v20
	v_and_b32_e32 v34, 0xffff, v33
	v_cndmask_b32_e64 v32, 0, 4, vcc_lo
	v_cmp_gt_u32_e32 vcc_lo, v31, v4
	v_add_lshl_u32 v32, v32, v20, 2
	v_cndmask_b32_e32 v8, v34, v8, vcc_lo
	v_cndmask_b32_e32 v35, v33, v3, vcc_lo
	s_waitcnt lgkmcnt(0)
	v_cndmask_b32_e64 v3, 0, v6, s2
	v_add_nc_u32_e32 v33, 4, v20
	ds_bpermute_b32 v6, v32, v8
	v_and_b32_e32 v34, 1, v35
	v_cndmask_b32_e64 v3, v3, 0, vcc_lo
	v_cmp_eq_u16_sdwa s2, v35, v16 src0_sel:BYTE_0 src1_sel:DWORD
	v_cmp_eq_u32_e32 vcc_lo, 1, v34
	v_add_nc_u32_e32 v3, v3, v5
	ds_bpermute_b32 v5, v32, v3
	s_waitcnt lgkmcnt(1)
	v_and_b32_e32 v6, 1, v6
	v_cndmask_b32_e64 v6, v6, 1, vcc_lo
	v_cmp_gt_u32_e32 vcc_lo, 24, v20
	v_and_b32_e32 v36, 0xffff, v6
	v_cndmask_b32_e64 v34, 0, 8, vcc_lo
	v_cmp_gt_u32_e32 vcc_lo, v33, v4
	s_waitcnt lgkmcnt(0)
	v_cndmask_b32_e64 v5, 0, v5, s2
	v_add_lshl_u32 v34, v34, v20, 2
	v_cndmask_b32_e32 v8, v36, v8, vcc_lo
	v_cndmask_b32_e32 v6, v6, v35, vcc_lo
	v_cndmask_b32_e64 v5, v5, 0, vcc_lo
	ds_bpermute_b32 v35, v34, v8
	v_and_b32_e32 v36, 1, v6
	v_add_nc_u32_e32 v3, v5, v3
	v_cmp_eq_u32_e32 vcc_lo, 1, v36
	ds_bpermute_b32 v5, v34, v3
	s_waitcnt lgkmcnt(1)
	v_and_b32_e32 v35, 1, v35
	v_cndmask_b32_e64 v35, v35, 1, vcc_lo
	v_cmp_eq_u16_sdwa vcc_lo, v6, v16 src0_sel:BYTE_0 src1_sel:DWORD
	v_and_b32_e32 v36, 0xffff, v35
	s_waitcnt lgkmcnt(0)
	v_cndmask_b32_e32 v5, 0, v5, vcc_lo
	v_cmp_gt_u32_e32 vcc_lo, v37, v4
	v_cndmask_b32_e64 v5, v5, 0, vcc_lo
	v_cndmask_b32_e32 v8, v36, v8, vcc_lo
	v_cndmask_b32_e32 v6, v35, v6, vcc_lo
	v_add_nc_u32_e32 v3, v5, v3
	ds_bpermute_b32 v5, v38, v8
	v_and_b32_e32 v35, 1, v6
	v_cmp_eq_u16_sdwa vcc_lo, v6, v16 src0_sel:BYTE_0 src1_sel:DWORD
	ds_bpermute_b32 v8, v38, v3
	s_waitcnt lgkmcnt(1)
	v_and_b32_e32 v5, 1, v5
	s_waitcnt lgkmcnt(0)
	v_cndmask_b32_e32 v8, 0, v8, vcc_lo
	v_cmp_eq_u32_e32 vcc_lo, 1, v35
	v_cndmask_b32_e64 v5, v5, 1, vcc_lo
	v_cmp_gt_u32_e32 vcc_lo, v39, v4
	v_cndmask_b32_e32 v4, v5, v6, vcc_lo
	v_cndmask_b32_e64 v5, v8, 0, vcc_lo
	v_add_nc_u32_e32 v3, v5, v3
	s_branch .LBB1760_48
.LBB1760_45:                            ;   in Loop: Header=BB1760_48 Depth=1
	s_or_b32 exec_lo, exec_lo, s13
	v_and_b32_e32 v6, 0xff, v6
.LBB1760_46:                            ;   in Loop: Header=BB1760_48 Depth=1
	s_or_b32 exec_lo, exec_lo, s2
	ds_bpermute_b32 v3, v17, v6
	v_cmp_eq_u16_sdwa s2, v7, v28 src0_sel:BYTE_0 src1_sel:DWORD
	v_and_b32_e32 v4, 1, v6
	v_subrev_nc_u32_e32 v15, 32, v15
	v_and_or_b32 v8, s2, v29, 0x80000000
	v_cmp_eq_u32_e32 vcc_lo, 1, v4
	v_cmp_gt_u64_e64 s2, s[10:11], v[5:6]
	v_ffbl_b32_e32 v4, v8
	ds_bpermute_b32 v8, v17, v5
	s_waitcnt lgkmcnt(1)
	v_and_b32_e32 v3, 1, v3
	v_cndmask_b32_e64 v3, v3, 1, vcc_lo
	v_cmp_lt_u32_e32 vcc_lo, v20, v4
	v_and_b32_e32 v40, 0xffff, v3
	v_cndmask_b32_e32 v3, v6, v3, vcc_lo
	v_cndmask_b32_e32 v40, v6, v40, vcc_lo
	s_and_b32 vcc_lo, vcc_lo, s2
	v_cmp_eq_u16_sdwa s2, v3, v16 src0_sel:BYTE_0 src1_sel:DWORD
	s_waitcnt lgkmcnt(0)
	v_cndmask_b32_e32 v6, 0, v8, vcc_lo
	v_and_b32_e32 v8, 1, v3
	ds_bpermute_b32 v41, v30, v40
	v_add_nc_u32_e32 v5, v6, v5
	v_cmp_eq_u32_e32 vcc_lo, 1, v8
	ds_bpermute_b32 v6, v30, v5
	s_waitcnt lgkmcnt(1)
	v_and_b32_e32 v41, 1, v41
	v_cndmask_b32_e64 v8, v41, 1, vcc_lo
	v_cmp_gt_u32_e32 vcc_lo, v31, v4
	v_and_b32_e32 v41, 0xffff, v8
	v_cndmask_b32_e32 v8, v8, v3, vcc_lo
	s_waitcnt lgkmcnt(0)
	v_cndmask_b32_e64 v3, 0, v6, s2
	v_cndmask_b32_e32 v40, v41, v40, vcc_lo
	v_and_b32_e32 v41, 1, v8
	v_cndmask_b32_e64 v3, v3, 0, vcc_lo
	v_cmp_eq_u16_sdwa s2, v8, v16 src0_sel:BYTE_0 src1_sel:DWORD
	ds_bpermute_b32 v6, v32, v40
	v_cmp_eq_u32_e32 vcc_lo, 1, v41
	v_add_nc_u32_e32 v3, v3, v5
	ds_bpermute_b32 v5, v32, v3
	s_waitcnt lgkmcnt(1)
	v_and_b32_e32 v6, 1, v6
	v_cndmask_b32_e64 v6, v6, 1, vcc_lo
	v_cmp_gt_u32_e32 vcc_lo, v33, v4
	s_waitcnt lgkmcnt(0)
	v_cndmask_b32_e64 v5, 0, v5, s2
	s_mov_b32 s2, 0
	v_and_b32_e32 v41, 0xffff, v6
	v_cndmask_b32_e32 v6, v6, v8, vcc_lo
	v_cndmask_b32_e64 v5, v5, 0, vcc_lo
	v_cndmask_b32_e32 v8, v41, v40, vcc_lo
	v_and_b32_e32 v41, 1, v6
	v_add_nc_u32_e32 v3, v5, v3
	ds_bpermute_b32 v40, v34, v8
	v_cmp_eq_u32_e32 vcc_lo, 1, v41
	ds_bpermute_b32 v5, v34, v3
	s_waitcnt lgkmcnt(1)
	v_and_b32_e32 v40, 1, v40
	v_cndmask_b32_e64 v40, v40, 1, vcc_lo
	v_cmp_eq_u16_sdwa vcc_lo, v6, v16 src0_sel:BYTE_0 src1_sel:DWORD
	v_and_b32_e32 v41, 0xffff, v40
	s_waitcnt lgkmcnt(0)
	v_cndmask_b32_e32 v5, 0, v5, vcc_lo
	v_cmp_gt_u32_e32 vcc_lo, v37, v4
	v_cndmask_b32_e64 v5, v5, 0, vcc_lo
	v_cndmask_b32_e32 v8, v41, v8, vcc_lo
	v_cndmask_b32_e32 v6, v40, v6, vcc_lo
	v_add_nc_u32_e32 v3, v5, v3
	ds_bpermute_b32 v5, v38, v8
	v_and_b32_e32 v40, 1, v6
	ds_bpermute_b32 v8, v38, v3
	v_cmp_eq_u32_e32 vcc_lo, 1, v40
	s_waitcnt lgkmcnt(1)
	v_cndmask_b32_e64 v5, v5, 1, vcc_lo
	v_cmp_eq_u16_sdwa vcc_lo, v6, v16 src0_sel:BYTE_0 src1_sel:DWORD
	s_waitcnt lgkmcnt(0)
	v_cndmask_b32_e32 v8, 0, v8, vcc_lo
	v_cmp_gt_u32_e32 vcc_lo, v39, v4
	v_cndmask_b32_e32 v4, v5, v6, vcc_lo
	v_cndmask_b32_e64 v5, v8, 0, vcc_lo
	v_cmp_eq_u16_sdwa vcc_lo, v35, v16 src0_sel:BYTE_0 src1_sel:DWORD
	v_and_b32_e32 v4, 1, v4
	v_add_nc_u32_e32 v3, v5, v3
	v_and_b32_e32 v5, 1, v35
	v_cndmask_b32_e32 v3, 0, v3, vcc_lo
	v_cmp_eq_u32_e32 vcc_lo, 1, v5
	v_add_nc_u32_e32 v3, v3, v36
	v_cndmask_b32_e64 v4, v4, 1, vcc_lo
.LBB1760_47:                            ;   in Loop: Header=BB1760_48 Depth=1
	s_and_b32 vcc_lo, exec_lo, s2
	s_cbranch_vccnz .LBB1760_53
.LBB1760_48:                            ; =>This Loop Header: Depth=1
                                        ;     Child Loop BB1760_51 Depth 2
	v_cmp_ne_u16_sdwa s2, v7, v28 src0_sel:BYTE_0 src1_sel:DWORD
	v_mov_b32_e32 v35, v4
	v_mov_b32_e32 v36, v3
                                        ; implicit-def: $vgpr4
                                        ; implicit-def: $vgpr3
                                        ; implicit-def: $vgpr7
	s_cmp_lg_u32 s2, exec_lo
	s_mov_b32 s2, -1
	s_cbranch_scc1 .LBB1760_47
; %bb.49:                               ;   in Loop: Header=BB1760_48 Depth=1
	v_lshlrev_b64 v[3:4], 4, v[15:16]
	v_add_co_u32 v3, vcc_lo, s16, v3
	v_add_co_ci_u32_e64 v4, null, s17, v4, vcc_lo
	;;#ASMSTART
	global_load_dwordx4 v[5:8], v[3:4] off glc dlc	
s_waitcnt vmcnt(0)
	;;#ASMEND
	v_and_b32_e32 v6, 0xff, v6
	v_cmp_eq_u16_sdwa s13, v7, v16 src0_sel:BYTE_0 src1_sel:DWORD
	s_and_saveexec_b32 s2, s13
	s_cbranch_execz .LBB1760_46
; %bb.50:                               ;   in Loop: Header=BB1760_48 Depth=1
	s_mov_b32 s13, 0
.LBB1760_51:                            ;   Parent Loop BB1760_48 Depth=1
                                        ; =>  This Inner Loop Header: Depth=2
	;;#ASMSTART
	global_load_dwordx4 v[5:8], v[3:4] off glc dlc	
s_waitcnt vmcnt(0)
	;;#ASMEND
	v_cmp_ne_u16_sdwa s19, v7, v16 src0_sel:BYTE_0 src1_sel:DWORD
	s_or_b32 s13, s19, s13
	s_andn2_b32 exec_lo, exec_lo, s13
	s_cbranch_execnz .LBB1760_51
	s_branch .LBB1760_45
.LBB1760_52:
                                        ; implicit-def: $vgpr6
                                        ; implicit-def: $vgpr5
                                        ; implicit-def: $vgpr7
	s_cbranch_execnz .LBB1760_58
	s_branch .LBB1760_73
.LBB1760_53:
	s_and_saveexec_b32 s2, s1
	s_cbranch_execz .LBB1760_55
; %bb.54:
	v_mov_b32_e32 v4, 0
	v_and_b32_e32 v3, 1, v2
	s_mov_b32 s11, 0
	s_add_i32 s10, s6, 32
	v_and_b32_e32 v5, 1, v35
	v_cmp_eq_u32_sdwa vcc_lo, v2, v4 src0_sel:BYTE_0 src1_sel:DWORD
	s_lshl_b64 s[10:11], s[10:11], 4
	s_add_u32 s10, s16, s10
	s_addc_u32 s11, s17, s11
	v_cndmask_b32_e32 v2, 0, v36, vcc_lo
	v_cmp_eq_u32_e32 vcc_lo, 1, v3
	v_mov_b32_e32 v3, 2
	v_add_nc_u32_e32 v1, v2, v1
	v_cndmask_b32_e64 v2, v5, 1, vcc_lo
	v_mov_b32_e32 v5, s10
	v_mov_b32_e32 v6, s11
	;;#ASMSTART
	global_store_dwordx4 v[5:6], v[1:4] off	
s_waitcnt vmcnt(0)
	;;#ASMEND
.LBB1760_55:
	s_or_b32 exec_lo, exec_lo, s2
	v_cmp_eq_u32_e32 vcc_lo, 0, v0
	s_and_b32 exec_lo, exec_lo, vcc_lo
	s_cbranch_execz .LBB1760_57
; %bb.56:
	v_mov_b32_e32 v1, 0
	ds_write_b32 v1, v36 offset:56
	ds_write_b8 v1, v35 offset:60
.LBB1760_57:
	s_or_b32 exec_lo, exec_lo, s3
	v_mov_b32_e32 v1, 0
	s_waitcnt lgkmcnt(0)
	s_barrier
	buffer_gl0_inv
	v_cndmask_b32_e64 v2, v27, v25, s1
	ds_read_b32 v3, v1 offset:56
	v_cndmask_b32_e64 v4, v26, v24, s1
	v_cmp_eq_u16_sdwa vcc_lo, v2, v1 src0_sel:BYTE_0 src1_sel:DWORD
	s_waitcnt lgkmcnt(0)
	v_cndmask_b32_e32 v2, 0, v3, vcc_lo
	v_cmp_eq_u32_e32 vcc_lo, 0, v0
	v_add_nc_u32_e32 v4, v2, v4
	v_and_b32_e32 v2, 0xff, v10
	v_cndmask_b32_e32 v6, v4, v3, vcc_lo
	v_cmp_eq_u64_e32 vcc_lo, 0, v[1:2]
	v_cndmask_b32_e32 v1, 0, v6, vcc_lo
	v_add_nc_u32_e32 v5, v1, v9
	v_cndmask_b32_e64 v1, 0, v5, s0
	v_add_nc_u32_e32 v7, v1, v11
	s_branch .LBB1760_73
.LBB1760_58:
	s_cmp_eq_u64 s[24:25], 0
	v_mov_b32_e32 v3, s26
	s_cselect_b32 s0, -1, 0
	s_cmp_eq_u64 s[22:23], 0
	s_cselect_b32 s1, -1, 0
	s_or_b32 s0, s0, s1
	s_and_b32 vcc_lo, exec_lo, s0
	s_cbranch_vccnz .LBB1760_60
; %bb.59:
	v_mov_b32_e32 v1, 0
	global_load_dword v3, v1, s[22:23]
.LBB1760_60:
	v_and_b32_e32 v2, 0xff, v23
	v_mov_b32_e32 v1, 0
	s_mov_b32 s2, 0
	s_mov_b32 s3, 1
	v_cmp_gt_u64_e32 vcc_lo, s[2:3], v[11:12]
	v_cmp_eq_u64_e64 s0, 0, v[1:2]
	v_cndmask_b32_e32 v4, 0, v9, vcc_lo
	v_cndmask_b32_e64 v2, 1, v10, s0
	v_cmp_gt_u64_e64 s0, s[2:3], v[13:14]
	v_add_nc_u32_e32 v4, v4, v11
	v_and_b32_e32 v5, 0xff, v2
	v_and_b32_e32 v7, 1, v2
	v_cndmask_b32_e64 v4, 0, v4, s0
	v_mov_b32_dpp v6, v5 row_shr:1 row_mask:0xf bank_mask:0xf
	v_cmp_eq_u32_e64 s0, 1, v7
	v_and_b32_e32 v7, 15, v20
	v_add_nc_u32_e32 v4, v4, v13
	v_and_b32_e32 v6, 1, v6
	v_mov_b32_dpp v8, v4 row_shr:1 row_mask:0xf bank_mask:0xf
	v_cndmask_b32_e64 v6, v6, 1, s0
	v_cmp_eq_u16_e64 s0, 0, v5
	v_and_b32_e32 v12, 0xffff, v6
	v_cndmask_b32_e64 v8, 0, v8, s0
	v_cmp_eq_u32_e64 s0, 0, v7
	v_cndmask_b32_e64 v5, v12, v5, s0
	v_cndmask_b32_e64 v2, v6, v2, s0
	v_cndmask_b32_e64 v8, v8, 0, s0
	v_mov_b32_dpp v6, v5 row_shr:2 row_mask:0xf bank_mask:0xf
	v_and_b32_e32 v12, 1, v2
	v_add_nc_u32_e32 v4, v8, v4
	v_cmp_eq_u16_sdwa s2, v2, v1 src0_sel:BYTE_0 src1_sel:DWORD
	v_and_b32_e32 v6, 1, v6
	v_cmp_eq_u32_e64 s0, 1, v12
	v_cndmask_b32_e64 v6, v6, 1, s0
	v_cmp_lt_u32_e64 s0, 1, v7
	v_and_b32_e32 v12, 0xffff, v6
	v_cndmask_b32_e64 v6, v2, v6, s0
	v_mov_b32_dpp v2, v4 row_shr:2 row_mask:0xf bank_mask:0xf
	v_cndmask_b32_e64 v5, v5, v12, s0
	v_and_b32_e32 v8, 1, v6
	s_and_b32 s0, s0, s2
	v_cndmask_b32_e64 v2, 0, v2, s0
	v_mov_b32_dpp v12, v5 row_shr:4 row_mask:0xf bank_mask:0xf
	v_cmp_eq_u32_e64 s1, 1, v8
	v_cmp_lt_u32_e64 s0, 3, v7
	v_add_nc_u32_e32 v2, v2, v4
	v_and_b32_e32 v12, 1, v12
	v_cndmask_b32_e64 v8, v12, 1, s1
	v_cmp_eq_u16_sdwa s1, v6, v1 src0_sel:BYTE_0 src1_sel:DWORD
	v_and_b32_e32 v12, 0xffff, v8
	v_cndmask_b32_e64 v4, v6, v8, s0
	v_mov_b32_dpp v6, v2 row_shr:4 row_mask:0xf bank_mask:0xf
	v_cndmask_b32_e64 v5, v5, v12, s0
	s_and_b32 s0, s0, s1
	v_and_b32_e32 v12, 1, v4
	v_cndmask_b32_e64 v6, 0, v6, s0
	v_cmp_eq_u16_sdwa s1, v4, v1 src0_sel:BYTE_0 src1_sel:DWORD
	v_mov_b32_dpp v8, v5 row_shr:8 row_mask:0xf bank_mask:0xf
	v_cmp_eq_u32_e64 s0, 1, v12
	v_add_nc_u32_e32 v2, v6, v2
	v_and_b32_e32 v8, 1, v8
	v_cndmask_b32_e64 v6, v8, 1, s0
	v_cmp_lt_u32_e64 s0, 7, v7
	v_mov_b32_dpp v7, v2 row_shr:8 row_mask:0xf bank_mask:0xf
	s_and_b32 s1, s0, s1
	v_cndmask_b32_e64 v8, v4, v6, s0
	v_cndmask_b32_e64 v4, 0, v7, s1
	v_and_b32_e32 v6, 0xffff, v6
	v_and_b32_e32 v7, 16, v20
	v_add_nc_u32_e32 v2, v4, v2
	v_cndmask_b32_e64 v4, v5, v6, s0
	v_cmp_eq_u16_sdwa s0, v8, v1 src0_sel:BYTE_0 src1_sel:DWORD
	v_bfe_i32 v6, v20, 4, 1
	v_cmp_eq_u32_e64 s1, 0, v7
	ds_swizzle_b32 v5, v2 offset:swizzle(BROADCAST,32,15)
	ds_swizzle_b32 v4, v4 offset:swizzle(BROADCAST,32,15)
	s_waitcnt lgkmcnt(1)
	v_cndmask_b32_e64 v1, 0, v5, s0
	v_and_b32_e32 v5, 1, v8
	s_waitcnt lgkmcnt(0)
	v_and_b32_e32 v4, 1, v4
	v_and_b32_e32 v1, v6, v1
	v_cmp_eq_u32_e64 s0, 1, v5
	v_lshlrev_b32_e32 v6, 3, v21
	v_cndmask_b32_e64 v5, v4, 1, s0
	v_add_nc_u32_e32 v4, v1, v2
	v_cndmask_b32_e64 v5, v5, v8, s1
	s_mov_b32 s1, exec_lo
	v_cmpx_eq_u32_e64 v0, v22
	s_cbranch_execz .LBB1760_62
; %bb.61:
	ds_write_b32 v6, v4
	ds_write_b8 v6, v5 offset:4
.LBB1760_62:
	s_or_b32 exec_lo, exec_lo, s1
	s_mov_b32 s1, exec_lo
	s_waitcnt vmcnt(0) lgkmcnt(0)
	s_barrier
	buffer_gl0_inv
	v_cmpx_gt_u32_e32 8, v0
	s_cbranch_execz .LBB1760_68
; %bb.63:
	ds_read_b64 v[1:2], v19
	v_and_b32_e32 v7, 7, v20
	s_mov_b32 s2, exec_lo
	s_waitcnt lgkmcnt(0)
	v_and_b32_e32 v8, 0xffffff00, v2
	v_mov_b32_dpp v13, v1 row_shr:1 row_mask:0xf bank_mask:0xf
	v_mov_b32_dpp v14, v2 row_shr:1 row_mask:0xf bank_mask:0xf
	v_mov_b32_e32 v12, v2
	v_cmpx_ne_u32_e32 0, v7
	s_cbranch_execz .LBB1760_65
; %bb.64:
	v_mov_b32_e32 v12, 0
	v_and_b32_e32 v15, 1, v2
	v_and_b32_e32 v14, 1, v14
	v_cmp_eq_u16_sdwa s0, v2, v12 src0_sel:BYTE_0 src1_sel:DWORD
	v_cndmask_b32_e64 v2, 0, v13, s0
	v_cmp_eq_u32_e64 s0, 1, v15
	v_add_nc_u32_e32 v1, v2, v1
	v_cndmask_b32_e64 v13, v14, 1, s0
	v_or_b32_sdwa v12, v8, v13 dst_sel:DWORD dst_unused:UNUSED_PAD src0_sel:DWORD src1_sel:WORD_0
	v_mov_b32_e32 v2, v13
.LBB1760_65:
	s_or_b32 exec_lo, exec_lo, s2
	v_mov_b32_dpp v13, v1 row_shr:2 row_mask:0xf bank_mask:0xf
	v_mov_b32_dpp v14, v12 row_shr:2 row_mask:0xf bank_mask:0xf
	s_mov_b32 s2, exec_lo
	v_cmpx_lt_u32_e32 1, v7
	s_cbranch_execz .LBB1760_67
; %bb.66:
	v_mov_b32_e32 v12, 0
	v_and_b32_e32 v15, 1, v2
	v_and_b32_e32 v14, 1, v14
	v_cmp_eq_u16_sdwa s0, v2, v12 src0_sel:BYTE_0 src1_sel:DWORD
	v_cndmask_b32_e64 v2, 0, v13, s0
	v_cmp_eq_u32_e64 s0, 1, v15
	v_add_nc_u32_e32 v1, v2, v1
	v_cndmask_b32_e64 v13, v14, 1, s0
	v_or_b32_sdwa v12, v8, v13 dst_sel:DWORD dst_unused:UNUSED_PAD src0_sel:DWORD src1_sel:WORD_0
	v_mov_b32_e32 v2, v13
.LBB1760_67:
	s_or_b32 exec_lo, exec_lo, s2
	v_mov_b32_dpp v8, v12 row_shr:4 row_mask:0xf bank_mask:0xf
	v_and_b32_e32 v13, 1, v2
	v_mov_b32_e32 v12, 0
	v_and_b32_e32 v8, 1, v8
	v_cmp_eq_u32_e64 s0, 1, v13
	v_cmp_eq_u16_sdwa s2, v2, v12 src0_sel:BYTE_0 src1_sel:DWORD
	v_cndmask_b32_e64 v8, v8, 1, s0
	v_cmp_lt_u32_e64 s0, 3, v7
	v_mov_b32_dpp v7, v1 row_shr:4 row_mask:0xf bank_mask:0xf
	v_cndmask_b32_e64 v2, v2, v8, s0
	s_and_b32 s0, s0, s2
	v_cndmask_b32_e64 v7, 0, v7, s0
	v_add_nc_u32_e32 v1, v7, v1
	ds_write_b32 v19, v1
	ds_write_b8 v19, v2 offset:4
.LBB1760_68:
	s_or_b32 exec_lo, exec_lo, s1
	v_mov_b32_e32 v2, v3
	s_mov_b32 s1, exec_lo
	s_waitcnt lgkmcnt(0)
	s_barrier
	buffer_gl0_inv
	v_cmpx_lt_u32_e32 31, v0
	s_cbranch_execz .LBB1760_70
; %bb.69:
	v_add_nc_u32_e32 v1, -4, v6
	v_add_nc_u32_e32 v2, -8, v6
	ds_read_u8 v1, v1
	ds_read_b32 v2, v2
	s_waitcnt lgkmcnt(1)
	v_cmp_eq_u16_e64 s0, 0, v1
	v_cndmask_b32_e64 v1, 0, v3, s0
	s_waitcnt lgkmcnt(0)
	v_add_nc_u32_e32 v2, v1, v2
.LBB1760_70:
	s_or_b32 exec_lo, exec_lo, s1
	v_mov_b32_e32 v1, 0
	v_sub_co_u32 v6, s0, v20, 1
	v_cmp_eq_u16_sdwa s1, v5, v1 src0_sel:BYTE_0 src1_sel:DWORD
	v_cndmask_b32_e64 v5, 0, v2, s1
	v_cmp_gt_i32_e64 s1, 0, v6
	v_add_nc_u32_e32 v4, v5, v4
	v_cndmask_b32_e64 v6, v6, v20, s1
	v_lshlrev_b32_e32 v5, 2, v6
	ds_bpermute_b32 v4, v5, v4
	s_waitcnt lgkmcnt(0)
	v_cndmask_b32_e64 v6, v4, v2, s0
	v_and_b32_e32 v2, 0xff, v10
	v_cmp_eq_u32_e64 s0, 0, v0
	v_cmp_eq_u64_e64 s1, 0, v[1:2]
	v_cndmask_b32_e64 v4, v6, v3, s0
	v_cndmask_b32_e64 v2, 0, v4, s1
	v_add_nc_u32_e32 v5, v2, v9
	v_cndmask_b32_e32 v2, 0, v5, vcc_lo
	s_and_saveexec_b32 s1, s0
	s_cbranch_execz .LBB1760_72
; %bb.71:
	ds_read_u8 v4, v1 offset:60
	ds_read_b32 v6, v1 offset:56
	v_mov_b32_e32 v9, v1
	s_add_u32 s2, s16, 0x200
	s_addc_u32 s3, s17, 0
	v_mov_b32_e32 v10, v1
	v_mov_b32_e32 v13, s3
	;; [unrolled: 1-line block ×3, first 2 shown]
	s_waitcnt lgkmcnt(1)
	v_and_b32_e32 v8, 0xffff, v4
	v_cmp_eq_u64_e32 vcc_lo, 0, v[8:9]
	v_mov_b32_e32 v9, 2
	v_cndmask_b32_e32 v4, 0, v3, vcc_lo
	s_waitcnt lgkmcnt(0)
	v_add_nc_u32_e32 v7, v4, v6
	v_mov_b32_e32 v6, v3
	;;#ASMSTART
	global_store_dwordx4 v[12:13], v[7:10] off	
s_waitcnt vmcnt(0)
	;;#ASMEND
.LBB1760_72:
	s_or_b32 exec_lo, exec_lo, s1
	v_add_nc_u32_e32 v7, v2, v11
.LBB1760_73:
	s_add_u32 s0, s14, s4
	v_mov_b32_e32 v3, 0
	s_addc_u32 s1, s15, s5
	s_add_u32 s0, s0, s8
	s_addc_u32 s1, s1, s9
	s_and_b32 vcc_lo, exec_lo, s7
	s_cbranch_vccz .LBB1760_85
; %bb.74:
	v_mul_u32_u24_e32 v1, 3, v0
	v_mov_b32_e32 v4, 0
	v_mov_b32_e32 v2, 0
	s_add_i32 s12, s12, s18
	s_mov_b32 s2, exec_lo
	v_cmpx_gt_u32_e64 s12, v1
	s_cbranch_execz .LBB1760_80
; %bb.75:
	v_add_nc_u32_e32 v3, 1, v1
	v_mov_b32_e32 v2, 0
	v_mov_b32_e32 v4, 0
	s_mov_b32 s3, exec_lo
	v_cmpx_gt_u32_e64 s12, v3
	s_cbranch_execz .LBB1760_79
; %bb.76:
	v_add_nc_u32_e32 v2, 2, v1
	v_cmp_gt_u32_e32 vcc_lo, s12, v2
	v_mov_b32_e32 v2, 0
	s_and_saveexec_b32 s4, vcc_lo
; %bb.77:
	v_mov_b32_e32 v2, v7
; %bb.78:
	s_or_b32 exec_lo, exec_lo, s4
	v_mov_b32_e32 v4, v5
.LBB1760_79:
	s_or_b32 exec_lo, exec_lo, s3
	v_mov_b32_e32 v3, v6
.LBB1760_80:
	s_or_b32 exec_lo, exec_lo, s2
	v_lshlrev_b32_e32 v8, 2, v1
	s_barrier
	buffer_gl0_inv
	v_sub_nc_u32_e32 v1, v8, v19
	ds_write2_b32 v8, v3, v4 offset1:1
	ds_write_b32 v8, v2 offset:8
	s_waitcnt lgkmcnt(0)
	s_barrier
	buffer_gl0_inv
	ds_read2st64_b32 v[1:2], v1 offset0:4 offset1:8
	v_add_co_u32 v3, s2, s0, v18
	v_add_co_ci_u32_e64 v4, null, s1, 0, s2
	s_mov_b32 s2, exec_lo
	v_cmpx_gt_u32_e64 s12, v0
	s_cbranch_execz .LBB1760_82
; %bb.81:
	v_sub_nc_u32_e32 v9, 0, v19
	v_add_nc_u32_e32 v8, v8, v9
	ds_read_b32 v8, v8
	s_waitcnt lgkmcnt(0)
	flat_store_dword v[3:4], v8
.LBB1760_82:
	s_or_b32 exec_lo, exec_lo, s2
	v_or_b32_e32 v8, 0x100, v0
	s_mov_b32 s2, exec_lo
	v_cmpx_gt_u32_e64 s12, v8
	s_cbranch_execz .LBB1760_84
; %bb.83:
	s_waitcnt lgkmcnt(0)
	flat_store_dword v[3:4], v1 offset:1024
.LBB1760_84:
	s_or_b32 exec_lo, exec_lo, s2
	s_waitcnt lgkmcnt(0)
	v_or_b32_e32 v1, 0x200, v0
	v_cmp_gt_u32_e64 s2, s12, v1
	s_branch .LBB1760_87
.LBB1760_85:
	s_mov_b32 s2, 0
                                        ; implicit-def: $vgpr2
	s_cbranch_execz .LBB1760_87
; %bb.86:
	v_mul_u32_u24_e32 v1, 12, v0
	s_waitcnt_vscnt null, 0x0
	s_barrier
	buffer_gl0_inv
	s_or_b32 s2, s2, exec_lo
	v_sub_nc_u32_e32 v2, v1, v19
	ds_write2_b32 v1, v6, v5 offset1:1
	ds_write_b32 v1, v7 offset:8
	s_waitcnt lgkmcnt(0)
	s_barrier
	buffer_gl0_inv
	ds_read2st64_b32 v[3:4], v2 offset1:4
	ds_read_b32 v2, v2 offset:2048
	v_add_co_u32 v5, s3, s0, v18
	v_add_co_ci_u32_e64 v6, null, s1, 0, s3
	s_waitcnt lgkmcnt(1)
	flat_store_dword v[5:6], v3
	flat_store_dword v[5:6], v4 offset:1024
.LBB1760_87:
	s_and_saveexec_b32 s3, s2
	s_cbranch_execnz .LBB1760_89
; %bb.88:
	s_endpgm
.LBB1760_89:
	v_lshlrev_b32_e32 v0, 2, v0
	v_add_co_u32 v0, s0, s0, v0
	v_add_co_ci_u32_e64 v1, null, s1, 0, s0
	v_add_co_u32 v0, vcc_lo, 0x800, v0
	v_add_co_ci_u32_e64 v1, null, 0, v1, vcc_lo
	s_waitcnt lgkmcnt(2)
	flat_store_dword v[0:1], v2
	s_endpgm
.LBB1760_90:
	v_add_co_u32 v2, s20, s3, v10
	v_add_co_ci_u32_e64 v3, null, s13, 0, s20
	v_mov_b32_e32 v12, v1
	v_mov_b32_e32 v13, v1
	flat_load_dword v11, v[2:3]
	s_waitcnt vmcnt(0) lgkmcnt(0)
	v_mov_b32_e32 v1, v11
	v_mov_b32_e32 v2, v12
	v_mov_b32_e32 v3, v13
	s_or_b32 exec_lo, exec_lo, s2
	s_and_saveexec_b32 s2, s0
	s_cbranch_execz .LBB1760_11
.LBB1760_91:
	v_add_co_u32 v11, s0, s3, v10
	v_add_co_ci_u32_e64 v12, null, s13, 0, s0
	flat_load_dword v2, v[11:12] offset:1024
	s_or_b32 exec_lo, exec_lo, s2
	v_mul_u32_u24_e32 v13, 3, v0
	s_and_saveexec_b32 s0, s1
	s_cbranch_execnz .LBB1760_12
	s_branch .LBB1760_13
	.section	.rodata,"a",@progbits
	.p2align	6, 0x0
	.amdhsa_kernel _ZN7rocprim17ROCPRIM_400000_NS6detail17trampoline_kernelINS0_14default_configENS1_27scan_by_key_config_selectorIiiEEZZNS1_16scan_by_key_implILNS1_25lookback_scan_determinismE0ELb1ES3_N6thrust23THRUST_200600_302600_NS6detail15normal_iteratorINS9_10device_ptrIiEEEENSB_INSC_IjEEEESE_iNS9_4plusIvEENS9_8equal_toIvEEiEE10hipError_tPvRmT2_T3_T4_T5_mT6_T7_P12ihipStream_tbENKUlT_T0_E_clISt17integral_constantIbLb0EES11_EEDaSW_SX_EUlSW_E_NS1_11comp_targetILNS1_3genE8ELNS1_11target_archE1030ELNS1_3gpuE2ELNS1_3repE0EEENS1_30default_config_static_selectorELNS0_4arch9wavefront6targetE0EEEvT1_
		.amdhsa_group_segment_fixed_size 5120
		.amdhsa_private_segment_fixed_size 0
		.amdhsa_kernarg_size 112
		.amdhsa_user_sgpr_count 6
		.amdhsa_user_sgpr_private_segment_buffer 1
		.amdhsa_user_sgpr_dispatch_ptr 0
		.amdhsa_user_sgpr_queue_ptr 0
		.amdhsa_user_sgpr_kernarg_segment_ptr 1
		.amdhsa_user_sgpr_dispatch_id 0
		.amdhsa_user_sgpr_flat_scratch_init 0
		.amdhsa_user_sgpr_private_segment_size 0
		.amdhsa_wavefront_size32 1
		.amdhsa_uses_dynamic_stack 0
		.amdhsa_system_sgpr_private_segment_wavefront_offset 0
		.amdhsa_system_sgpr_workgroup_id_x 1
		.amdhsa_system_sgpr_workgroup_id_y 0
		.amdhsa_system_sgpr_workgroup_id_z 0
		.amdhsa_system_sgpr_workgroup_info 0
		.amdhsa_system_vgpr_workitem_id 0
		.amdhsa_next_free_vgpr 42
		.amdhsa_next_free_sgpr 30
		.amdhsa_reserve_vcc 1
		.amdhsa_reserve_flat_scratch 1
		.amdhsa_float_round_mode_32 0
		.amdhsa_float_round_mode_16_64 0
		.amdhsa_float_denorm_mode_32 3
		.amdhsa_float_denorm_mode_16_64 3
		.amdhsa_dx10_clamp 1
		.amdhsa_ieee_mode 1
		.amdhsa_fp16_overflow 0
		.amdhsa_workgroup_processor_mode 1
		.amdhsa_memory_ordered 1
		.amdhsa_forward_progress 1
		.amdhsa_shared_vgpr_count 0
		.amdhsa_exception_fp_ieee_invalid_op 0
		.amdhsa_exception_fp_denorm_src 0
		.amdhsa_exception_fp_ieee_div_zero 0
		.amdhsa_exception_fp_ieee_overflow 0
		.amdhsa_exception_fp_ieee_underflow 0
		.amdhsa_exception_fp_ieee_inexact 0
		.amdhsa_exception_int_div_zero 0
	.end_amdhsa_kernel
	.section	.text._ZN7rocprim17ROCPRIM_400000_NS6detail17trampoline_kernelINS0_14default_configENS1_27scan_by_key_config_selectorIiiEEZZNS1_16scan_by_key_implILNS1_25lookback_scan_determinismE0ELb1ES3_N6thrust23THRUST_200600_302600_NS6detail15normal_iteratorINS9_10device_ptrIiEEEENSB_INSC_IjEEEESE_iNS9_4plusIvEENS9_8equal_toIvEEiEE10hipError_tPvRmT2_T3_T4_T5_mT6_T7_P12ihipStream_tbENKUlT_T0_E_clISt17integral_constantIbLb0EES11_EEDaSW_SX_EUlSW_E_NS1_11comp_targetILNS1_3genE8ELNS1_11target_archE1030ELNS1_3gpuE2ELNS1_3repE0EEENS1_30default_config_static_selectorELNS0_4arch9wavefront6targetE0EEEvT1_,"axG",@progbits,_ZN7rocprim17ROCPRIM_400000_NS6detail17trampoline_kernelINS0_14default_configENS1_27scan_by_key_config_selectorIiiEEZZNS1_16scan_by_key_implILNS1_25lookback_scan_determinismE0ELb1ES3_N6thrust23THRUST_200600_302600_NS6detail15normal_iteratorINS9_10device_ptrIiEEEENSB_INSC_IjEEEESE_iNS9_4plusIvEENS9_8equal_toIvEEiEE10hipError_tPvRmT2_T3_T4_T5_mT6_T7_P12ihipStream_tbENKUlT_T0_E_clISt17integral_constantIbLb0EES11_EEDaSW_SX_EUlSW_E_NS1_11comp_targetILNS1_3genE8ELNS1_11target_archE1030ELNS1_3gpuE2ELNS1_3repE0EEENS1_30default_config_static_selectorELNS0_4arch9wavefront6targetE0EEEvT1_,comdat
.Lfunc_end1760:
	.size	_ZN7rocprim17ROCPRIM_400000_NS6detail17trampoline_kernelINS0_14default_configENS1_27scan_by_key_config_selectorIiiEEZZNS1_16scan_by_key_implILNS1_25lookback_scan_determinismE0ELb1ES3_N6thrust23THRUST_200600_302600_NS6detail15normal_iteratorINS9_10device_ptrIiEEEENSB_INSC_IjEEEESE_iNS9_4plusIvEENS9_8equal_toIvEEiEE10hipError_tPvRmT2_T3_T4_T5_mT6_T7_P12ihipStream_tbENKUlT_T0_E_clISt17integral_constantIbLb0EES11_EEDaSW_SX_EUlSW_E_NS1_11comp_targetILNS1_3genE8ELNS1_11target_archE1030ELNS1_3gpuE2ELNS1_3repE0EEENS1_30default_config_static_selectorELNS0_4arch9wavefront6targetE0EEEvT1_, .Lfunc_end1760-_ZN7rocprim17ROCPRIM_400000_NS6detail17trampoline_kernelINS0_14default_configENS1_27scan_by_key_config_selectorIiiEEZZNS1_16scan_by_key_implILNS1_25lookback_scan_determinismE0ELb1ES3_N6thrust23THRUST_200600_302600_NS6detail15normal_iteratorINS9_10device_ptrIiEEEENSB_INSC_IjEEEESE_iNS9_4plusIvEENS9_8equal_toIvEEiEE10hipError_tPvRmT2_T3_T4_T5_mT6_T7_P12ihipStream_tbENKUlT_T0_E_clISt17integral_constantIbLb0EES11_EEDaSW_SX_EUlSW_E_NS1_11comp_targetILNS1_3genE8ELNS1_11target_archE1030ELNS1_3gpuE2ELNS1_3repE0EEENS1_30default_config_static_selectorELNS0_4arch9wavefront6targetE0EEEvT1_
                                        ; -- End function
	.set _ZN7rocprim17ROCPRIM_400000_NS6detail17trampoline_kernelINS0_14default_configENS1_27scan_by_key_config_selectorIiiEEZZNS1_16scan_by_key_implILNS1_25lookback_scan_determinismE0ELb1ES3_N6thrust23THRUST_200600_302600_NS6detail15normal_iteratorINS9_10device_ptrIiEEEENSB_INSC_IjEEEESE_iNS9_4plusIvEENS9_8equal_toIvEEiEE10hipError_tPvRmT2_T3_T4_T5_mT6_T7_P12ihipStream_tbENKUlT_T0_E_clISt17integral_constantIbLb0EES11_EEDaSW_SX_EUlSW_E_NS1_11comp_targetILNS1_3genE8ELNS1_11target_archE1030ELNS1_3gpuE2ELNS1_3repE0EEENS1_30default_config_static_selectorELNS0_4arch9wavefront6targetE0EEEvT1_.num_vgpr, 42
	.set _ZN7rocprim17ROCPRIM_400000_NS6detail17trampoline_kernelINS0_14default_configENS1_27scan_by_key_config_selectorIiiEEZZNS1_16scan_by_key_implILNS1_25lookback_scan_determinismE0ELb1ES3_N6thrust23THRUST_200600_302600_NS6detail15normal_iteratorINS9_10device_ptrIiEEEENSB_INSC_IjEEEESE_iNS9_4plusIvEENS9_8equal_toIvEEiEE10hipError_tPvRmT2_T3_T4_T5_mT6_T7_P12ihipStream_tbENKUlT_T0_E_clISt17integral_constantIbLb0EES11_EEDaSW_SX_EUlSW_E_NS1_11comp_targetILNS1_3genE8ELNS1_11target_archE1030ELNS1_3gpuE2ELNS1_3repE0EEENS1_30default_config_static_selectorELNS0_4arch9wavefront6targetE0EEEvT1_.num_agpr, 0
	.set _ZN7rocprim17ROCPRIM_400000_NS6detail17trampoline_kernelINS0_14default_configENS1_27scan_by_key_config_selectorIiiEEZZNS1_16scan_by_key_implILNS1_25lookback_scan_determinismE0ELb1ES3_N6thrust23THRUST_200600_302600_NS6detail15normal_iteratorINS9_10device_ptrIiEEEENSB_INSC_IjEEEESE_iNS9_4plusIvEENS9_8equal_toIvEEiEE10hipError_tPvRmT2_T3_T4_T5_mT6_T7_P12ihipStream_tbENKUlT_T0_E_clISt17integral_constantIbLb0EES11_EEDaSW_SX_EUlSW_E_NS1_11comp_targetILNS1_3genE8ELNS1_11target_archE1030ELNS1_3gpuE2ELNS1_3repE0EEENS1_30default_config_static_selectorELNS0_4arch9wavefront6targetE0EEEvT1_.numbered_sgpr, 30
	.set _ZN7rocprim17ROCPRIM_400000_NS6detail17trampoline_kernelINS0_14default_configENS1_27scan_by_key_config_selectorIiiEEZZNS1_16scan_by_key_implILNS1_25lookback_scan_determinismE0ELb1ES3_N6thrust23THRUST_200600_302600_NS6detail15normal_iteratorINS9_10device_ptrIiEEEENSB_INSC_IjEEEESE_iNS9_4plusIvEENS9_8equal_toIvEEiEE10hipError_tPvRmT2_T3_T4_T5_mT6_T7_P12ihipStream_tbENKUlT_T0_E_clISt17integral_constantIbLb0EES11_EEDaSW_SX_EUlSW_E_NS1_11comp_targetILNS1_3genE8ELNS1_11target_archE1030ELNS1_3gpuE2ELNS1_3repE0EEENS1_30default_config_static_selectorELNS0_4arch9wavefront6targetE0EEEvT1_.num_named_barrier, 0
	.set _ZN7rocprim17ROCPRIM_400000_NS6detail17trampoline_kernelINS0_14default_configENS1_27scan_by_key_config_selectorIiiEEZZNS1_16scan_by_key_implILNS1_25lookback_scan_determinismE0ELb1ES3_N6thrust23THRUST_200600_302600_NS6detail15normal_iteratorINS9_10device_ptrIiEEEENSB_INSC_IjEEEESE_iNS9_4plusIvEENS9_8equal_toIvEEiEE10hipError_tPvRmT2_T3_T4_T5_mT6_T7_P12ihipStream_tbENKUlT_T0_E_clISt17integral_constantIbLb0EES11_EEDaSW_SX_EUlSW_E_NS1_11comp_targetILNS1_3genE8ELNS1_11target_archE1030ELNS1_3gpuE2ELNS1_3repE0EEENS1_30default_config_static_selectorELNS0_4arch9wavefront6targetE0EEEvT1_.private_seg_size, 0
	.set _ZN7rocprim17ROCPRIM_400000_NS6detail17trampoline_kernelINS0_14default_configENS1_27scan_by_key_config_selectorIiiEEZZNS1_16scan_by_key_implILNS1_25lookback_scan_determinismE0ELb1ES3_N6thrust23THRUST_200600_302600_NS6detail15normal_iteratorINS9_10device_ptrIiEEEENSB_INSC_IjEEEESE_iNS9_4plusIvEENS9_8equal_toIvEEiEE10hipError_tPvRmT2_T3_T4_T5_mT6_T7_P12ihipStream_tbENKUlT_T0_E_clISt17integral_constantIbLb0EES11_EEDaSW_SX_EUlSW_E_NS1_11comp_targetILNS1_3genE8ELNS1_11target_archE1030ELNS1_3gpuE2ELNS1_3repE0EEENS1_30default_config_static_selectorELNS0_4arch9wavefront6targetE0EEEvT1_.uses_vcc, 1
	.set _ZN7rocprim17ROCPRIM_400000_NS6detail17trampoline_kernelINS0_14default_configENS1_27scan_by_key_config_selectorIiiEEZZNS1_16scan_by_key_implILNS1_25lookback_scan_determinismE0ELb1ES3_N6thrust23THRUST_200600_302600_NS6detail15normal_iteratorINS9_10device_ptrIiEEEENSB_INSC_IjEEEESE_iNS9_4plusIvEENS9_8equal_toIvEEiEE10hipError_tPvRmT2_T3_T4_T5_mT6_T7_P12ihipStream_tbENKUlT_T0_E_clISt17integral_constantIbLb0EES11_EEDaSW_SX_EUlSW_E_NS1_11comp_targetILNS1_3genE8ELNS1_11target_archE1030ELNS1_3gpuE2ELNS1_3repE0EEENS1_30default_config_static_selectorELNS0_4arch9wavefront6targetE0EEEvT1_.uses_flat_scratch, 1
	.set _ZN7rocprim17ROCPRIM_400000_NS6detail17trampoline_kernelINS0_14default_configENS1_27scan_by_key_config_selectorIiiEEZZNS1_16scan_by_key_implILNS1_25lookback_scan_determinismE0ELb1ES3_N6thrust23THRUST_200600_302600_NS6detail15normal_iteratorINS9_10device_ptrIiEEEENSB_INSC_IjEEEESE_iNS9_4plusIvEENS9_8equal_toIvEEiEE10hipError_tPvRmT2_T3_T4_T5_mT6_T7_P12ihipStream_tbENKUlT_T0_E_clISt17integral_constantIbLb0EES11_EEDaSW_SX_EUlSW_E_NS1_11comp_targetILNS1_3genE8ELNS1_11target_archE1030ELNS1_3gpuE2ELNS1_3repE0EEENS1_30default_config_static_selectorELNS0_4arch9wavefront6targetE0EEEvT1_.has_dyn_sized_stack, 0
	.set _ZN7rocprim17ROCPRIM_400000_NS6detail17trampoline_kernelINS0_14default_configENS1_27scan_by_key_config_selectorIiiEEZZNS1_16scan_by_key_implILNS1_25lookback_scan_determinismE0ELb1ES3_N6thrust23THRUST_200600_302600_NS6detail15normal_iteratorINS9_10device_ptrIiEEEENSB_INSC_IjEEEESE_iNS9_4plusIvEENS9_8equal_toIvEEiEE10hipError_tPvRmT2_T3_T4_T5_mT6_T7_P12ihipStream_tbENKUlT_T0_E_clISt17integral_constantIbLb0EES11_EEDaSW_SX_EUlSW_E_NS1_11comp_targetILNS1_3genE8ELNS1_11target_archE1030ELNS1_3gpuE2ELNS1_3repE0EEENS1_30default_config_static_selectorELNS0_4arch9wavefront6targetE0EEEvT1_.has_recursion, 0
	.set _ZN7rocprim17ROCPRIM_400000_NS6detail17trampoline_kernelINS0_14default_configENS1_27scan_by_key_config_selectorIiiEEZZNS1_16scan_by_key_implILNS1_25lookback_scan_determinismE0ELb1ES3_N6thrust23THRUST_200600_302600_NS6detail15normal_iteratorINS9_10device_ptrIiEEEENSB_INSC_IjEEEESE_iNS9_4plusIvEENS9_8equal_toIvEEiEE10hipError_tPvRmT2_T3_T4_T5_mT6_T7_P12ihipStream_tbENKUlT_T0_E_clISt17integral_constantIbLb0EES11_EEDaSW_SX_EUlSW_E_NS1_11comp_targetILNS1_3genE8ELNS1_11target_archE1030ELNS1_3gpuE2ELNS1_3repE0EEENS1_30default_config_static_selectorELNS0_4arch9wavefront6targetE0EEEvT1_.has_indirect_call, 0
	.section	.AMDGPU.csdata,"",@progbits
; Kernel info:
; codeLenInByte = 6184
; TotalNumSgprs: 32
; NumVgprs: 42
; ScratchSize: 0
; MemoryBound: 0
; FloatMode: 240
; IeeeMode: 1
; LDSByteSize: 5120 bytes/workgroup (compile time only)
; SGPRBlocks: 0
; VGPRBlocks: 5
; NumSGPRsForWavesPerEU: 32
; NumVGPRsForWavesPerEU: 42
; Occupancy: 16
; WaveLimiterHint : 1
; COMPUTE_PGM_RSRC2:SCRATCH_EN: 0
; COMPUTE_PGM_RSRC2:USER_SGPR: 6
; COMPUTE_PGM_RSRC2:TRAP_HANDLER: 0
; COMPUTE_PGM_RSRC2:TGID_X_EN: 1
; COMPUTE_PGM_RSRC2:TGID_Y_EN: 0
; COMPUTE_PGM_RSRC2:TGID_Z_EN: 0
; COMPUTE_PGM_RSRC2:TIDIG_COMP_CNT: 0
	.section	.text._ZN7rocprim17ROCPRIM_400000_NS6detail17trampoline_kernelINS0_14default_configENS1_27scan_by_key_config_selectorIiiEEZZNS1_16scan_by_key_implILNS1_25lookback_scan_determinismE0ELb1ES3_N6thrust23THRUST_200600_302600_NS6detail15normal_iteratorINS9_10device_ptrIiEEEENSB_INSC_IjEEEESE_iNS9_4plusIvEENS9_8equal_toIvEEiEE10hipError_tPvRmT2_T3_T4_T5_mT6_T7_P12ihipStream_tbENKUlT_T0_E_clISt17integral_constantIbLb1EES11_EEDaSW_SX_EUlSW_E_NS1_11comp_targetILNS1_3genE0ELNS1_11target_archE4294967295ELNS1_3gpuE0ELNS1_3repE0EEENS1_30default_config_static_selectorELNS0_4arch9wavefront6targetE0EEEvT1_,"axG",@progbits,_ZN7rocprim17ROCPRIM_400000_NS6detail17trampoline_kernelINS0_14default_configENS1_27scan_by_key_config_selectorIiiEEZZNS1_16scan_by_key_implILNS1_25lookback_scan_determinismE0ELb1ES3_N6thrust23THRUST_200600_302600_NS6detail15normal_iteratorINS9_10device_ptrIiEEEENSB_INSC_IjEEEESE_iNS9_4plusIvEENS9_8equal_toIvEEiEE10hipError_tPvRmT2_T3_T4_T5_mT6_T7_P12ihipStream_tbENKUlT_T0_E_clISt17integral_constantIbLb1EES11_EEDaSW_SX_EUlSW_E_NS1_11comp_targetILNS1_3genE0ELNS1_11target_archE4294967295ELNS1_3gpuE0ELNS1_3repE0EEENS1_30default_config_static_selectorELNS0_4arch9wavefront6targetE0EEEvT1_,comdat
	.protected	_ZN7rocprim17ROCPRIM_400000_NS6detail17trampoline_kernelINS0_14default_configENS1_27scan_by_key_config_selectorIiiEEZZNS1_16scan_by_key_implILNS1_25lookback_scan_determinismE0ELb1ES3_N6thrust23THRUST_200600_302600_NS6detail15normal_iteratorINS9_10device_ptrIiEEEENSB_INSC_IjEEEESE_iNS9_4plusIvEENS9_8equal_toIvEEiEE10hipError_tPvRmT2_T3_T4_T5_mT6_T7_P12ihipStream_tbENKUlT_T0_E_clISt17integral_constantIbLb1EES11_EEDaSW_SX_EUlSW_E_NS1_11comp_targetILNS1_3genE0ELNS1_11target_archE4294967295ELNS1_3gpuE0ELNS1_3repE0EEENS1_30default_config_static_selectorELNS0_4arch9wavefront6targetE0EEEvT1_ ; -- Begin function _ZN7rocprim17ROCPRIM_400000_NS6detail17trampoline_kernelINS0_14default_configENS1_27scan_by_key_config_selectorIiiEEZZNS1_16scan_by_key_implILNS1_25lookback_scan_determinismE0ELb1ES3_N6thrust23THRUST_200600_302600_NS6detail15normal_iteratorINS9_10device_ptrIiEEEENSB_INSC_IjEEEESE_iNS9_4plusIvEENS9_8equal_toIvEEiEE10hipError_tPvRmT2_T3_T4_T5_mT6_T7_P12ihipStream_tbENKUlT_T0_E_clISt17integral_constantIbLb1EES11_EEDaSW_SX_EUlSW_E_NS1_11comp_targetILNS1_3genE0ELNS1_11target_archE4294967295ELNS1_3gpuE0ELNS1_3repE0EEENS1_30default_config_static_selectorELNS0_4arch9wavefront6targetE0EEEvT1_
	.globl	_ZN7rocprim17ROCPRIM_400000_NS6detail17trampoline_kernelINS0_14default_configENS1_27scan_by_key_config_selectorIiiEEZZNS1_16scan_by_key_implILNS1_25lookback_scan_determinismE0ELb1ES3_N6thrust23THRUST_200600_302600_NS6detail15normal_iteratorINS9_10device_ptrIiEEEENSB_INSC_IjEEEESE_iNS9_4plusIvEENS9_8equal_toIvEEiEE10hipError_tPvRmT2_T3_T4_T5_mT6_T7_P12ihipStream_tbENKUlT_T0_E_clISt17integral_constantIbLb1EES11_EEDaSW_SX_EUlSW_E_NS1_11comp_targetILNS1_3genE0ELNS1_11target_archE4294967295ELNS1_3gpuE0ELNS1_3repE0EEENS1_30default_config_static_selectorELNS0_4arch9wavefront6targetE0EEEvT1_
	.p2align	8
	.type	_ZN7rocprim17ROCPRIM_400000_NS6detail17trampoline_kernelINS0_14default_configENS1_27scan_by_key_config_selectorIiiEEZZNS1_16scan_by_key_implILNS1_25lookback_scan_determinismE0ELb1ES3_N6thrust23THRUST_200600_302600_NS6detail15normal_iteratorINS9_10device_ptrIiEEEENSB_INSC_IjEEEESE_iNS9_4plusIvEENS9_8equal_toIvEEiEE10hipError_tPvRmT2_T3_T4_T5_mT6_T7_P12ihipStream_tbENKUlT_T0_E_clISt17integral_constantIbLb1EES11_EEDaSW_SX_EUlSW_E_NS1_11comp_targetILNS1_3genE0ELNS1_11target_archE4294967295ELNS1_3gpuE0ELNS1_3repE0EEENS1_30default_config_static_selectorELNS0_4arch9wavefront6targetE0EEEvT1_,@function
_ZN7rocprim17ROCPRIM_400000_NS6detail17trampoline_kernelINS0_14default_configENS1_27scan_by_key_config_selectorIiiEEZZNS1_16scan_by_key_implILNS1_25lookback_scan_determinismE0ELb1ES3_N6thrust23THRUST_200600_302600_NS6detail15normal_iteratorINS9_10device_ptrIiEEEENSB_INSC_IjEEEESE_iNS9_4plusIvEENS9_8equal_toIvEEiEE10hipError_tPvRmT2_T3_T4_T5_mT6_T7_P12ihipStream_tbENKUlT_T0_E_clISt17integral_constantIbLb1EES11_EEDaSW_SX_EUlSW_E_NS1_11comp_targetILNS1_3genE0ELNS1_11target_archE4294967295ELNS1_3gpuE0ELNS1_3repE0EEENS1_30default_config_static_selectorELNS0_4arch9wavefront6targetE0EEEvT1_: ; @_ZN7rocprim17ROCPRIM_400000_NS6detail17trampoline_kernelINS0_14default_configENS1_27scan_by_key_config_selectorIiiEEZZNS1_16scan_by_key_implILNS1_25lookback_scan_determinismE0ELb1ES3_N6thrust23THRUST_200600_302600_NS6detail15normal_iteratorINS9_10device_ptrIiEEEENSB_INSC_IjEEEESE_iNS9_4plusIvEENS9_8equal_toIvEEiEE10hipError_tPvRmT2_T3_T4_T5_mT6_T7_P12ihipStream_tbENKUlT_T0_E_clISt17integral_constantIbLb1EES11_EEDaSW_SX_EUlSW_E_NS1_11comp_targetILNS1_3genE0ELNS1_11target_archE4294967295ELNS1_3gpuE0ELNS1_3repE0EEENS1_30default_config_static_selectorELNS0_4arch9wavefront6targetE0EEEvT1_
; %bb.0:
	.section	.rodata,"a",@progbits
	.p2align	6, 0x0
	.amdhsa_kernel _ZN7rocprim17ROCPRIM_400000_NS6detail17trampoline_kernelINS0_14default_configENS1_27scan_by_key_config_selectorIiiEEZZNS1_16scan_by_key_implILNS1_25lookback_scan_determinismE0ELb1ES3_N6thrust23THRUST_200600_302600_NS6detail15normal_iteratorINS9_10device_ptrIiEEEENSB_INSC_IjEEEESE_iNS9_4plusIvEENS9_8equal_toIvEEiEE10hipError_tPvRmT2_T3_T4_T5_mT6_T7_P12ihipStream_tbENKUlT_T0_E_clISt17integral_constantIbLb1EES11_EEDaSW_SX_EUlSW_E_NS1_11comp_targetILNS1_3genE0ELNS1_11target_archE4294967295ELNS1_3gpuE0ELNS1_3repE0EEENS1_30default_config_static_selectorELNS0_4arch9wavefront6targetE0EEEvT1_
		.amdhsa_group_segment_fixed_size 0
		.amdhsa_private_segment_fixed_size 0
		.amdhsa_kernarg_size 112
		.amdhsa_user_sgpr_count 6
		.amdhsa_user_sgpr_private_segment_buffer 1
		.amdhsa_user_sgpr_dispatch_ptr 0
		.amdhsa_user_sgpr_queue_ptr 0
		.amdhsa_user_sgpr_kernarg_segment_ptr 1
		.amdhsa_user_sgpr_dispatch_id 0
		.amdhsa_user_sgpr_flat_scratch_init 0
		.amdhsa_user_sgpr_private_segment_size 0
		.amdhsa_wavefront_size32 1
		.amdhsa_uses_dynamic_stack 0
		.amdhsa_system_sgpr_private_segment_wavefront_offset 0
		.amdhsa_system_sgpr_workgroup_id_x 1
		.amdhsa_system_sgpr_workgroup_id_y 0
		.amdhsa_system_sgpr_workgroup_id_z 0
		.amdhsa_system_sgpr_workgroup_info 0
		.amdhsa_system_vgpr_workitem_id 0
		.amdhsa_next_free_vgpr 1
		.amdhsa_next_free_sgpr 1
		.amdhsa_reserve_vcc 0
		.amdhsa_reserve_flat_scratch 0
		.amdhsa_float_round_mode_32 0
		.amdhsa_float_round_mode_16_64 0
		.amdhsa_float_denorm_mode_32 3
		.amdhsa_float_denorm_mode_16_64 3
		.amdhsa_dx10_clamp 1
		.amdhsa_ieee_mode 1
		.amdhsa_fp16_overflow 0
		.amdhsa_workgroup_processor_mode 1
		.amdhsa_memory_ordered 1
		.amdhsa_forward_progress 1
		.amdhsa_shared_vgpr_count 0
		.amdhsa_exception_fp_ieee_invalid_op 0
		.amdhsa_exception_fp_denorm_src 0
		.amdhsa_exception_fp_ieee_div_zero 0
		.amdhsa_exception_fp_ieee_overflow 0
		.amdhsa_exception_fp_ieee_underflow 0
		.amdhsa_exception_fp_ieee_inexact 0
		.amdhsa_exception_int_div_zero 0
	.end_amdhsa_kernel
	.section	.text._ZN7rocprim17ROCPRIM_400000_NS6detail17trampoline_kernelINS0_14default_configENS1_27scan_by_key_config_selectorIiiEEZZNS1_16scan_by_key_implILNS1_25lookback_scan_determinismE0ELb1ES3_N6thrust23THRUST_200600_302600_NS6detail15normal_iteratorINS9_10device_ptrIiEEEENSB_INSC_IjEEEESE_iNS9_4plusIvEENS9_8equal_toIvEEiEE10hipError_tPvRmT2_T3_T4_T5_mT6_T7_P12ihipStream_tbENKUlT_T0_E_clISt17integral_constantIbLb1EES11_EEDaSW_SX_EUlSW_E_NS1_11comp_targetILNS1_3genE0ELNS1_11target_archE4294967295ELNS1_3gpuE0ELNS1_3repE0EEENS1_30default_config_static_selectorELNS0_4arch9wavefront6targetE0EEEvT1_,"axG",@progbits,_ZN7rocprim17ROCPRIM_400000_NS6detail17trampoline_kernelINS0_14default_configENS1_27scan_by_key_config_selectorIiiEEZZNS1_16scan_by_key_implILNS1_25lookback_scan_determinismE0ELb1ES3_N6thrust23THRUST_200600_302600_NS6detail15normal_iteratorINS9_10device_ptrIiEEEENSB_INSC_IjEEEESE_iNS9_4plusIvEENS9_8equal_toIvEEiEE10hipError_tPvRmT2_T3_T4_T5_mT6_T7_P12ihipStream_tbENKUlT_T0_E_clISt17integral_constantIbLb1EES11_EEDaSW_SX_EUlSW_E_NS1_11comp_targetILNS1_3genE0ELNS1_11target_archE4294967295ELNS1_3gpuE0ELNS1_3repE0EEENS1_30default_config_static_selectorELNS0_4arch9wavefront6targetE0EEEvT1_,comdat
.Lfunc_end1761:
	.size	_ZN7rocprim17ROCPRIM_400000_NS6detail17trampoline_kernelINS0_14default_configENS1_27scan_by_key_config_selectorIiiEEZZNS1_16scan_by_key_implILNS1_25lookback_scan_determinismE0ELb1ES3_N6thrust23THRUST_200600_302600_NS6detail15normal_iteratorINS9_10device_ptrIiEEEENSB_INSC_IjEEEESE_iNS9_4plusIvEENS9_8equal_toIvEEiEE10hipError_tPvRmT2_T3_T4_T5_mT6_T7_P12ihipStream_tbENKUlT_T0_E_clISt17integral_constantIbLb1EES11_EEDaSW_SX_EUlSW_E_NS1_11comp_targetILNS1_3genE0ELNS1_11target_archE4294967295ELNS1_3gpuE0ELNS1_3repE0EEENS1_30default_config_static_selectorELNS0_4arch9wavefront6targetE0EEEvT1_, .Lfunc_end1761-_ZN7rocprim17ROCPRIM_400000_NS6detail17trampoline_kernelINS0_14default_configENS1_27scan_by_key_config_selectorIiiEEZZNS1_16scan_by_key_implILNS1_25lookback_scan_determinismE0ELb1ES3_N6thrust23THRUST_200600_302600_NS6detail15normal_iteratorINS9_10device_ptrIiEEEENSB_INSC_IjEEEESE_iNS9_4plusIvEENS9_8equal_toIvEEiEE10hipError_tPvRmT2_T3_T4_T5_mT6_T7_P12ihipStream_tbENKUlT_T0_E_clISt17integral_constantIbLb1EES11_EEDaSW_SX_EUlSW_E_NS1_11comp_targetILNS1_3genE0ELNS1_11target_archE4294967295ELNS1_3gpuE0ELNS1_3repE0EEENS1_30default_config_static_selectorELNS0_4arch9wavefront6targetE0EEEvT1_
                                        ; -- End function
	.set _ZN7rocprim17ROCPRIM_400000_NS6detail17trampoline_kernelINS0_14default_configENS1_27scan_by_key_config_selectorIiiEEZZNS1_16scan_by_key_implILNS1_25lookback_scan_determinismE0ELb1ES3_N6thrust23THRUST_200600_302600_NS6detail15normal_iteratorINS9_10device_ptrIiEEEENSB_INSC_IjEEEESE_iNS9_4plusIvEENS9_8equal_toIvEEiEE10hipError_tPvRmT2_T3_T4_T5_mT6_T7_P12ihipStream_tbENKUlT_T0_E_clISt17integral_constantIbLb1EES11_EEDaSW_SX_EUlSW_E_NS1_11comp_targetILNS1_3genE0ELNS1_11target_archE4294967295ELNS1_3gpuE0ELNS1_3repE0EEENS1_30default_config_static_selectorELNS0_4arch9wavefront6targetE0EEEvT1_.num_vgpr, 0
	.set _ZN7rocprim17ROCPRIM_400000_NS6detail17trampoline_kernelINS0_14default_configENS1_27scan_by_key_config_selectorIiiEEZZNS1_16scan_by_key_implILNS1_25lookback_scan_determinismE0ELb1ES3_N6thrust23THRUST_200600_302600_NS6detail15normal_iteratorINS9_10device_ptrIiEEEENSB_INSC_IjEEEESE_iNS9_4plusIvEENS9_8equal_toIvEEiEE10hipError_tPvRmT2_T3_T4_T5_mT6_T7_P12ihipStream_tbENKUlT_T0_E_clISt17integral_constantIbLb1EES11_EEDaSW_SX_EUlSW_E_NS1_11comp_targetILNS1_3genE0ELNS1_11target_archE4294967295ELNS1_3gpuE0ELNS1_3repE0EEENS1_30default_config_static_selectorELNS0_4arch9wavefront6targetE0EEEvT1_.num_agpr, 0
	.set _ZN7rocprim17ROCPRIM_400000_NS6detail17trampoline_kernelINS0_14default_configENS1_27scan_by_key_config_selectorIiiEEZZNS1_16scan_by_key_implILNS1_25lookback_scan_determinismE0ELb1ES3_N6thrust23THRUST_200600_302600_NS6detail15normal_iteratorINS9_10device_ptrIiEEEENSB_INSC_IjEEEESE_iNS9_4plusIvEENS9_8equal_toIvEEiEE10hipError_tPvRmT2_T3_T4_T5_mT6_T7_P12ihipStream_tbENKUlT_T0_E_clISt17integral_constantIbLb1EES11_EEDaSW_SX_EUlSW_E_NS1_11comp_targetILNS1_3genE0ELNS1_11target_archE4294967295ELNS1_3gpuE0ELNS1_3repE0EEENS1_30default_config_static_selectorELNS0_4arch9wavefront6targetE0EEEvT1_.numbered_sgpr, 0
	.set _ZN7rocprim17ROCPRIM_400000_NS6detail17trampoline_kernelINS0_14default_configENS1_27scan_by_key_config_selectorIiiEEZZNS1_16scan_by_key_implILNS1_25lookback_scan_determinismE0ELb1ES3_N6thrust23THRUST_200600_302600_NS6detail15normal_iteratorINS9_10device_ptrIiEEEENSB_INSC_IjEEEESE_iNS9_4plusIvEENS9_8equal_toIvEEiEE10hipError_tPvRmT2_T3_T4_T5_mT6_T7_P12ihipStream_tbENKUlT_T0_E_clISt17integral_constantIbLb1EES11_EEDaSW_SX_EUlSW_E_NS1_11comp_targetILNS1_3genE0ELNS1_11target_archE4294967295ELNS1_3gpuE0ELNS1_3repE0EEENS1_30default_config_static_selectorELNS0_4arch9wavefront6targetE0EEEvT1_.num_named_barrier, 0
	.set _ZN7rocprim17ROCPRIM_400000_NS6detail17trampoline_kernelINS0_14default_configENS1_27scan_by_key_config_selectorIiiEEZZNS1_16scan_by_key_implILNS1_25lookback_scan_determinismE0ELb1ES3_N6thrust23THRUST_200600_302600_NS6detail15normal_iteratorINS9_10device_ptrIiEEEENSB_INSC_IjEEEESE_iNS9_4plusIvEENS9_8equal_toIvEEiEE10hipError_tPvRmT2_T3_T4_T5_mT6_T7_P12ihipStream_tbENKUlT_T0_E_clISt17integral_constantIbLb1EES11_EEDaSW_SX_EUlSW_E_NS1_11comp_targetILNS1_3genE0ELNS1_11target_archE4294967295ELNS1_3gpuE0ELNS1_3repE0EEENS1_30default_config_static_selectorELNS0_4arch9wavefront6targetE0EEEvT1_.private_seg_size, 0
	.set _ZN7rocprim17ROCPRIM_400000_NS6detail17trampoline_kernelINS0_14default_configENS1_27scan_by_key_config_selectorIiiEEZZNS1_16scan_by_key_implILNS1_25lookback_scan_determinismE0ELb1ES3_N6thrust23THRUST_200600_302600_NS6detail15normal_iteratorINS9_10device_ptrIiEEEENSB_INSC_IjEEEESE_iNS9_4plusIvEENS9_8equal_toIvEEiEE10hipError_tPvRmT2_T3_T4_T5_mT6_T7_P12ihipStream_tbENKUlT_T0_E_clISt17integral_constantIbLb1EES11_EEDaSW_SX_EUlSW_E_NS1_11comp_targetILNS1_3genE0ELNS1_11target_archE4294967295ELNS1_3gpuE0ELNS1_3repE0EEENS1_30default_config_static_selectorELNS0_4arch9wavefront6targetE0EEEvT1_.uses_vcc, 0
	.set _ZN7rocprim17ROCPRIM_400000_NS6detail17trampoline_kernelINS0_14default_configENS1_27scan_by_key_config_selectorIiiEEZZNS1_16scan_by_key_implILNS1_25lookback_scan_determinismE0ELb1ES3_N6thrust23THRUST_200600_302600_NS6detail15normal_iteratorINS9_10device_ptrIiEEEENSB_INSC_IjEEEESE_iNS9_4plusIvEENS9_8equal_toIvEEiEE10hipError_tPvRmT2_T3_T4_T5_mT6_T7_P12ihipStream_tbENKUlT_T0_E_clISt17integral_constantIbLb1EES11_EEDaSW_SX_EUlSW_E_NS1_11comp_targetILNS1_3genE0ELNS1_11target_archE4294967295ELNS1_3gpuE0ELNS1_3repE0EEENS1_30default_config_static_selectorELNS0_4arch9wavefront6targetE0EEEvT1_.uses_flat_scratch, 0
	.set _ZN7rocprim17ROCPRIM_400000_NS6detail17trampoline_kernelINS0_14default_configENS1_27scan_by_key_config_selectorIiiEEZZNS1_16scan_by_key_implILNS1_25lookback_scan_determinismE0ELb1ES3_N6thrust23THRUST_200600_302600_NS6detail15normal_iteratorINS9_10device_ptrIiEEEENSB_INSC_IjEEEESE_iNS9_4plusIvEENS9_8equal_toIvEEiEE10hipError_tPvRmT2_T3_T4_T5_mT6_T7_P12ihipStream_tbENKUlT_T0_E_clISt17integral_constantIbLb1EES11_EEDaSW_SX_EUlSW_E_NS1_11comp_targetILNS1_3genE0ELNS1_11target_archE4294967295ELNS1_3gpuE0ELNS1_3repE0EEENS1_30default_config_static_selectorELNS0_4arch9wavefront6targetE0EEEvT1_.has_dyn_sized_stack, 0
	.set _ZN7rocprim17ROCPRIM_400000_NS6detail17trampoline_kernelINS0_14default_configENS1_27scan_by_key_config_selectorIiiEEZZNS1_16scan_by_key_implILNS1_25lookback_scan_determinismE0ELb1ES3_N6thrust23THRUST_200600_302600_NS6detail15normal_iteratorINS9_10device_ptrIiEEEENSB_INSC_IjEEEESE_iNS9_4plusIvEENS9_8equal_toIvEEiEE10hipError_tPvRmT2_T3_T4_T5_mT6_T7_P12ihipStream_tbENKUlT_T0_E_clISt17integral_constantIbLb1EES11_EEDaSW_SX_EUlSW_E_NS1_11comp_targetILNS1_3genE0ELNS1_11target_archE4294967295ELNS1_3gpuE0ELNS1_3repE0EEENS1_30default_config_static_selectorELNS0_4arch9wavefront6targetE0EEEvT1_.has_recursion, 0
	.set _ZN7rocprim17ROCPRIM_400000_NS6detail17trampoline_kernelINS0_14default_configENS1_27scan_by_key_config_selectorIiiEEZZNS1_16scan_by_key_implILNS1_25lookback_scan_determinismE0ELb1ES3_N6thrust23THRUST_200600_302600_NS6detail15normal_iteratorINS9_10device_ptrIiEEEENSB_INSC_IjEEEESE_iNS9_4plusIvEENS9_8equal_toIvEEiEE10hipError_tPvRmT2_T3_T4_T5_mT6_T7_P12ihipStream_tbENKUlT_T0_E_clISt17integral_constantIbLb1EES11_EEDaSW_SX_EUlSW_E_NS1_11comp_targetILNS1_3genE0ELNS1_11target_archE4294967295ELNS1_3gpuE0ELNS1_3repE0EEENS1_30default_config_static_selectorELNS0_4arch9wavefront6targetE0EEEvT1_.has_indirect_call, 0
	.section	.AMDGPU.csdata,"",@progbits
; Kernel info:
; codeLenInByte = 0
; TotalNumSgprs: 0
; NumVgprs: 0
; ScratchSize: 0
; MemoryBound: 0
; FloatMode: 240
; IeeeMode: 1
; LDSByteSize: 0 bytes/workgroup (compile time only)
; SGPRBlocks: 0
; VGPRBlocks: 0
; NumSGPRsForWavesPerEU: 1
; NumVGPRsForWavesPerEU: 1
; Occupancy: 16
; WaveLimiterHint : 0
; COMPUTE_PGM_RSRC2:SCRATCH_EN: 0
; COMPUTE_PGM_RSRC2:USER_SGPR: 6
; COMPUTE_PGM_RSRC2:TRAP_HANDLER: 0
; COMPUTE_PGM_RSRC2:TGID_X_EN: 1
; COMPUTE_PGM_RSRC2:TGID_Y_EN: 0
; COMPUTE_PGM_RSRC2:TGID_Z_EN: 0
; COMPUTE_PGM_RSRC2:TIDIG_COMP_CNT: 0
	.section	.text._ZN7rocprim17ROCPRIM_400000_NS6detail17trampoline_kernelINS0_14default_configENS1_27scan_by_key_config_selectorIiiEEZZNS1_16scan_by_key_implILNS1_25lookback_scan_determinismE0ELb1ES3_N6thrust23THRUST_200600_302600_NS6detail15normal_iteratorINS9_10device_ptrIiEEEENSB_INSC_IjEEEESE_iNS9_4plusIvEENS9_8equal_toIvEEiEE10hipError_tPvRmT2_T3_T4_T5_mT6_T7_P12ihipStream_tbENKUlT_T0_E_clISt17integral_constantIbLb1EES11_EEDaSW_SX_EUlSW_E_NS1_11comp_targetILNS1_3genE10ELNS1_11target_archE1201ELNS1_3gpuE5ELNS1_3repE0EEENS1_30default_config_static_selectorELNS0_4arch9wavefront6targetE0EEEvT1_,"axG",@progbits,_ZN7rocprim17ROCPRIM_400000_NS6detail17trampoline_kernelINS0_14default_configENS1_27scan_by_key_config_selectorIiiEEZZNS1_16scan_by_key_implILNS1_25lookback_scan_determinismE0ELb1ES3_N6thrust23THRUST_200600_302600_NS6detail15normal_iteratorINS9_10device_ptrIiEEEENSB_INSC_IjEEEESE_iNS9_4plusIvEENS9_8equal_toIvEEiEE10hipError_tPvRmT2_T3_T4_T5_mT6_T7_P12ihipStream_tbENKUlT_T0_E_clISt17integral_constantIbLb1EES11_EEDaSW_SX_EUlSW_E_NS1_11comp_targetILNS1_3genE10ELNS1_11target_archE1201ELNS1_3gpuE5ELNS1_3repE0EEENS1_30default_config_static_selectorELNS0_4arch9wavefront6targetE0EEEvT1_,comdat
	.protected	_ZN7rocprim17ROCPRIM_400000_NS6detail17trampoline_kernelINS0_14default_configENS1_27scan_by_key_config_selectorIiiEEZZNS1_16scan_by_key_implILNS1_25lookback_scan_determinismE0ELb1ES3_N6thrust23THRUST_200600_302600_NS6detail15normal_iteratorINS9_10device_ptrIiEEEENSB_INSC_IjEEEESE_iNS9_4plusIvEENS9_8equal_toIvEEiEE10hipError_tPvRmT2_T3_T4_T5_mT6_T7_P12ihipStream_tbENKUlT_T0_E_clISt17integral_constantIbLb1EES11_EEDaSW_SX_EUlSW_E_NS1_11comp_targetILNS1_3genE10ELNS1_11target_archE1201ELNS1_3gpuE5ELNS1_3repE0EEENS1_30default_config_static_selectorELNS0_4arch9wavefront6targetE0EEEvT1_ ; -- Begin function _ZN7rocprim17ROCPRIM_400000_NS6detail17trampoline_kernelINS0_14default_configENS1_27scan_by_key_config_selectorIiiEEZZNS1_16scan_by_key_implILNS1_25lookback_scan_determinismE0ELb1ES3_N6thrust23THRUST_200600_302600_NS6detail15normal_iteratorINS9_10device_ptrIiEEEENSB_INSC_IjEEEESE_iNS9_4plusIvEENS9_8equal_toIvEEiEE10hipError_tPvRmT2_T3_T4_T5_mT6_T7_P12ihipStream_tbENKUlT_T0_E_clISt17integral_constantIbLb1EES11_EEDaSW_SX_EUlSW_E_NS1_11comp_targetILNS1_3genE10ELNS1_11target_archE1201ELNS1_3gpuE5ELNS1_3repE0EEENS1_30default_config_static_selectorELNS0_4arch9wavefront6targetE0EEEvT1_
	.globl	_ZN7rocprim17ROCPRIM_400000_NS6detail17trampoline_kernelINS0_14default_configENS1_27scan_by_key_config_selectorIiiEEZZNS1_16scan_by_key_implILNS1_25lookback_scan_determinismE0ELb1ES3_N6thrust23THRUST_200600_302600_NS6detail15normal_iteratorINS9_10device_ptrIiEEEENSB_INSC_IjEEEESE_iNS9_4plusIvEENS9_8equal_toIvEEiEE10hipError_tPvRmT2_T3_T4_T5_mT6_T7_P12ihipStream_tbENKUlT_T0_E_clISt17integral_constantIbLb1EES11_EEDaSW_SX_EUlSW_E_NS1_11comp_targetILNS1_3genE10ELNS1_11target_archE1201ELNS1_3gpuE5ELNS1_3repE0EEENS1_30default_config_static_selectorELNS0_4arch9wavefront6targetE0EEEvT1_
	.p2align	8
	.type	_ZN7rocprim17ROCPRIM_400000_NS6detail17trampoline_kernelINS0_14default_configENS1_27scan_by_key_config_selectorIiiEEZZNS1_16scan_by_key_implILNS1_25lookback_scan_determinismE0ELb1ES3_N6thrust23THRUST_200600_302600_NS6detail15normal_iteratorINS9_10device_ptrIiEEEENSB_INSC_IjEEEESE_iNS9_4plusIvEENS9_8equal_toIvEEiEE10hipError_tPvRmT2_T3_T4_T5_mT6_T7_P12ihipStream_tbENKUlT_T0_E_clISt17integral_constantIbLb1EES11_EEDaSW_SX_EUlSW_E_NS1_11comp_targetILNS1_3genE10ELNS1_11target_archE1201ELNS1_3gpuE5ELNS1_3repE0EEENS1_30default_config_static_selectorELNS0_4arch9wavefront6targetE0EEEvT1_,@function
_ZN7rocprim17ROCPRIM_400000_NS6detail17trampoline_kernelINS0_14default_configENS1_27scan_by_key_config_selectorIiiEEZZNS1_16scan_by_key_implILNS1_25lookback_scan_determinismE0ELb1ES3_N6thrust23THRUST_200600_302600_NS6detail15normal_iteratorINS9_10device_ptrIiEEEENSB_INSC_IjEEEESE_iNS9_4plusIvEENS9_8equal_toIvEEiEE10hipError_tPvRmT2_T3_T4_T5_mT6_T7_P12ihipStream_tbENKUlT_T0_E_clISt17integral_constantIbLb1EES11_EEDaSW_SX_EUlSW_E_NS1_11comp_targetILNS1_3genE10ELNS1_11target_archE1201ELNS1_3gpuE5ELNS1_3repE0EEENS1_30default_config_static_selectorELNS0_4arch9wavefront6targetE0EEEvT1_: ; @_ZN7rocprim17ROCPRIM_400000_NS6detail17trampoline_kernelINS0_14default_configENS1_27scan_by_key_config_selectorIiiEEZZNS1_16scan_by_key_implILNS1_25lookback_scan_determinismE0ELb1ES3_N6thrust23THRUST_200600_302600_NS6detail15normal_iteratorINS9_10device_ptrIiEEEENSB_INSC_IjEEEESE_iNS9_4plusIvEENS9_8equal_toIvEEiEE10hipError_tPvRmT2_T3_T4_T5_mT6_T7_P12ihipStream_tbENKUlT_T0_E_clISt17integral_constantIbLb1EES11_EEDaSW_SX_EUlSW_E_NS1_11comp_targetILNS1_3genE10ELNS1_11target_archE1201ELNS1_3gpuE5ELNS1_3repE0EEENS1_30default_config_static_selectorELNS0_4arch9wavefront6targetE0EEEvT1_
; %bb.0:
	.section	.rodata,"a",@progbits
	.p2align	6, 0x0
	.amdhsa_kernel _ZN7rocprim17ROCPRIM_400000_NS6detail17trampoline_kernelINS0_14default_configENS1_27scan_by_key_config_selectorIiiEEZZNS1_16scan_by_key_implILNS1_25lookback_scan_determinismE0ELb1ES3_N6thrust23THRUST_200600_302600_NS6detail15normal_iteratorINS9_10device_ptrIiEEEENSB_INSC_IjEEEESE_iNS9_4plusIvEENS9_8equal_toIvEEiEE10hipError_tPvRmT2_T3_T4_T5_mT6_T7_P12ihipStream_tbENKUlT_T0_E_clISt17integral_constantIbLb1EES11_EEDaSW_SX_EUlSW_E_NS1_11comp_targetILNS1_3genE10ELNS1_11target_archE1201ELNS1_3gpuE5ELNS1_3repE0EEENS1_30default_config_static_selectorELNS0_4arch9wavefront6targetE0EEEvT1_
		.amdhsa_group_segment_fixed_size 0
		.amdhsa_private_segment_fixed_size 0
		.amdhsa_kernarg_size 112
		.amdhsa_user_sgpr_count 6
		.amdhsa_user_sgpr_private_segment_buffer 1
		.amdhsa_user_sgpr_dispatch_ptr 0
		.amdhsa_user_sgpr_queue_ptr 0
		.amdhsa_user_sgpr_kernarg_segment_ptr 1
		.amdhsa_user_sgpr_dispatch_id 0
		.amdhsa_user_sgpr_flat_scratch_init 0
		.amdhsa_user_sgpr_private_segment_size 0
		.amdhsa_wavefront_size32 1
		.amdhsa_uses_dynamic_stack 0
		.amdhsa_system_sgpr_private_segment_wavefront_offset 0
		.amdhsa_system_sgpr_workgroup_id_x 1
		.amdhsa_system_sgpr_workgroup_id_y 0
		.amdhsa_system_sgpr_workgroup_id_z 0
		.amdhsa_system_sgpr_workgroup_info 0
		.amdhsa_system_vgpr_workitem_id 0
		.amdhsa_next_free_vgpr 1
		.amdhsa_next_free_sgpr 1
		.amdhsa_reserve_vcc 0
		.amdhsa_reserve_flat_scratch 0
		.amdhsa_float_round_mode_32 0
		.amdhsa_float_round_mode_16_64 0
		.amdhsa_float_denorm_mode_32 3
		.amdhsa_float_denorm_mode_16_64 3
		.amdhsa_dx10_clamp 1
		.amdhsa_ieee_mode 1
		.amdhsa_fp16_overflow 0
		.amdhsa_workgroup_processor_mode 1
		.amdhsa_memory_ordered 1
		.amdhsa_forward_progress 1
		.amdhsa_shared_vgpr_count 0
		.amdhsa_exception_fp_ieee_invalid_op 0
		.amdhsa_exception_fp_denorm_src 0
		.amdhsa_exception_fp_ieee_div_zero 0
		.amdhsa_exception_fp_ieee_overflow 0
		.amdhsa_exception_fp_ieee_underflow 0
		.amdhsa_exception_fp_ieee_inexact 0
		.amdhsa_exception_int_div_zero 0
	.end_amdhsa_kernel
	.section	.text._ZN7rocprim17ROCPRIM_400000_NS6detail17trampoline_kernelINS0_14default_configENS1_27scan_by_key_config_selectorIiiEEZZNS1_16scan_by_key_implILNS1_25lookback_scan_determinismE0ELb1ES3_N6thrust23THRUST_200600_302600_NS6detail15normal_iteratorINS9_10device_ptrIiEEEENSB_INSC_IjEEEESE_iNS9_4plusIvEENS9_8equal_toIvEEiEE10hipError_tPvRmT2_T3_T4_T5_mT6_T7_P12ihipStream_tbENKUlT_T0_E_clISt17integral_constantIbLb1EES11_EEDaSW_SX_EUlSW_E_NS1_11comp_targetILNS1_3genE10ELNS1_11target_archE1201ELNS1_3gpuE5ELNS1_3repE0EEENS1_30default_config_static_selectorELNS0_4arch9wavefront6targetE0EEEvT1_,"axG",@progbits,_ZN7rocprim17ROCPRIM_400000_NS6detail17trampoline_kernelINS0_14default_configENS1_27scan_by_key_config_selectorIiiEEZZNS1_16scan_by_key_implILNS1_25lookback_scan_determinismE0ELb1ES3_N6thrust23THRUST_200600_302600_NS6detail15normal_iteratorINS9_10device_ptrIiEEEENSB_INSC_IjEEEESE_iNS9_4plusIvEENS9_8equal_toIvEEiEE10hipError_tPvRmT2_T3_T4_T5_mT6_T7_P12ihipStream_tbENKUlT_T0_E_clISt17integral_constantIbLb1EES11_EEDaSW_SX_EUlSW_E_NS1_11comp_targetILNS1_3genE10ELNS1_11target_archE1201ELNS1_3gpuE5ELNS1_3repE0EEENS1_30default_config_static_selectorELNS0_4arch9wavefront6targetE0EEEvT1_,comdat
.Lfunc_end1762:
	.size	_ZN7rocprim17ROCPRIM_400000_NS6detail17trampoline_kernelINS0_14default_configENS1_27scan_by_key_config_selectorIiiEEZZNS1_16scan_by_key_implILNS1_25lookback_scan_determinismE0ELb1ES3_N6thrust23THRUST_200600_302600_NS6detail15normal_iteratorINS9_10device_ptrIiEEEENSB_INSC_IjEEEESE_iNS9_4plusIvEENS9_8equal_toIvEEiEE10hipError_tPvRmT2_T3_T4_T5_mT6_T7_P12ihipStream_tbENKUlT_T0_E_clISt17integral_constantIbLb1EES11_EEDaSW_SX_EUlSW_E_NS1_11comp_targetILNS1_3genE10ELNS1_11target_archE1201ELNS1_3gpuE5ELNS1_3repE0EEENS1_30default_config_static_selectorELNS0_4arch9wavefront6targetE0EEEvT1_, .Lfunc_end1762-_ZN7rocprim17ROCPRIM_400000_NS6detail17trampoline_kernelINS0_14default_configENS1_27scan_by_key_config_selectorIiiEEZZNS1_16scan_by_key_implILNS1_25lookback_scan_determinismE0ELb1ES3_N6thrust23THRUST_200600_302600_NS6detail15normal_iteratorINS9_10device_ptrIiEEEENSB_INSC_IjEEEESE_iNS9_4plusIvEENS9_8equal_toIvEEiEE10hipError_tPvRmT2_T3_T4_T5_mT6_T7_P12ihipStream_tbENKUlT_T0_E_clISt17integral_constantIbLb1EES11_EEDaSW_SX_EUlSW_E_NS1_11comp_targetILNS1_3genE10ELNS1_11target_archE1201ELNS1_3gpuE5ELNS1_3repE0EEENS1_30default_config_static_selectorELNS0_4arch9wavefront6targetE0EEEvT1_
                                        ; -- End function
	.set _ZN7rocprim17ROCPRIM_400000_NS6detail17trampoline_kernelINS0_14default_configENS1_27scan_by_key_config_selectorIiiEEZZNS1_16scan_by_key_implILNS1_25lookback_scan_determinismE0ELb1ES3_N6thrust23THRUST_200600_302600_NS6detail15normal_iteratorINS9_10device_ptrIiEEEENSB_INSC_IjEEEESE_iNS9_4plusIvEENS9_8equal_toIvEEiEE10hipError_tPvRmT2_T3_T4_T5_mT6_T7_P12ihipStream_tbENKUlT_T0_E_clISt17integral_constantIbLb1EES11_EEDaSW_SX_EUlSW_E_NS1_11comp_targetILNS1_3genE10ELNS1_11target_archE1201ELNS1_3gpuE5ELNS1_3repE0EEENS1_30default_config_static_selectorELNS0_4arch9wavefront6targetE0EEEvT1_.num_vgpr, 0
	.set _ZN7rocprim17ROCPRIM_400000_NS6detail17trampoline_kernelINS0_14default_configENS1_27scan_by_key_config_selectorIiiEEZZNS1_16scan_by_key_implILNS1_25lookback_scan_determinismE0ELb1ES3_N6thrust23THRUST_200600_302600_NS6detail15normal_iteratorINS9_10device_ptrIiEEEENSB_INSC_IjEEEESE_iNS9_4plusIvEENS9_8equal_toIvEEiEE10hipError_tPvRmT2_T3_T4_T5_mT6_T7_P12ihipStream_tbENKUlT_T0_E_clISt17integral_constantIbLb1EES11_EEDaSW_SX_EUlSW_E_NS1_11comp_targetILNS1_3genE10ELNS1_11target_archE1201ELNS1_3gpuE5ELNS1_3repE0EEENS1_30default_config_static_selectorELNS0_4arch9wavefront6targetE0EEEvT1_.num_agpr, 0
	.set _ZN7rocprim17ROCPRIM_400000_NS6detail17trampoline_kernelINS0_14default_configENS1_27scan_by_key_config_selectorIiiEEZZNS1_16scan_by_key_implILNS1_25lookback_scan_determinismE0ELb1ES3_N6thrust23THRUST_200600_302600_NS6detail15normal_iteratorINS9_10device_ptrIiEEEENSB_INSC_IjEEEESE_iNS9_4plusIvEENS9_8equal_toIvEEiEE10hipError_tPvRmT2_T3_T4_T5_mT6_T7_P12ihipStream_tbENKUlT_T0_E_clISt17integral_constantIbLb1EES11_EEDaSW_SX_EUlSW_E_NS1_11comp_targetILNS1_3genE10ELNS1_11target_archE1201ELNS1_3gpuE5ELNS1_3repE0EEENS1_30default_config_static_selectorELNS0_4arch9wavefront6targetE0EEEvT1_.numbered_sgpr, 0
	.set _ZN7rocprim17ROCPRIM_400000_NS6detail17trampoline_kernelINS0_14default_configENS1_27scan_by_key_config_selectorIiiEEZZNS1_16scan_by_key_implILNS1_25lookback_scan_determinismE0ELb1ES3_N6thrust23THRUST_200600_302600_NS6detail15normal_iteratorINS9_10device_ptrIiEEEENSB_INSC_IjEEEESE_iNS9_4plusIvEENS9_8equal_toIvEEiEE10hipError_tPvRmT2_T3_T4_T5_mT6_T7_P12ihipStream_tbENKUlT_T0_E_clISt17integral_constantIbLb1EES11_EEDaSW_SX_EUlSW_E_NS1_11comp_targetILNS1_3genE10ELNS1_11target_archE1201ELNS1_3gpuE5ELNS1_3repE0EEENS1_30default_config_static_selectorELNS0_4arch9wavefront6targetE0EEEvT1_.num_named_barrier, 0
	.set _ZN7rocprim17ROCPRIM_400000_NS6detail17trampoline_kernelINS0_14default_configENS1_27scan_by_key_config_selectorIiiEEZZNS1_16scan_by_key_implILNS1_25lookback_scan_determinismE0ELb1ES3_N6thrust23THRUST_200600_302600_NS6detail15normal_iteratorINS9_10device_ptrIiEEEENSB_INSC_IjEEEESE_iNS9_4plusIvEENS9_8equal_toIvEEiEE10hipError_tPvRmT2_T3_T4_T5_mT6_T7_P12ihipStream_tbENKUlT_T0_E_clISt17integral_constantIbLb1EES11_EEDaSW_SX_EUlSW_E_NS1_11comp_targetILNS1_3genE10ELNS1_11target_archE1201ELNS1_3gpuE5ELNS1_3repE0EEENS1_30default_config_static_selectorELNS0_4arch9wavefront6targetE0EEEvT1_.private_seg_size, 0
	.set _ZN7rocprim17ROCPRIM_400000_NS6detail17trampoline_kernelINS0_14default_configENS1_27scan_by_key_config_selectorIiiEEZZNS1_16scan_by_key_implILNS1_25lookback_scan_determinismE0ELb1ES3_N6thrust23THRUST_200600_302600_NS6detail15normal_iteratorINS9_10device_ptrIiEEEENSB_INSC_IjEEEESE_iNS9_4plusIvEENS9_8equal_toIvEEiEE10hipError_tPvRmT2_T3_T4_T5_mT6_T7_P12ihipStream_tbENKUlT_T0_E_clISt17integral_constantIbLb1EES11_EEDaSW_SX_EUlSW_E_NS1_11comp_targetILNS1_3genE10ELNS1_11target_archE1201ELNS1_3gpuE5ELNS1_3repE0EEENS1_30default_config_static_selectorELNS0_4arch9wavefront6targetE0EEEvT1_.uses_vcc, 0
	.set _ZN7rocprim17ROCPRIM_400000_NS6detail17trampoline_kernelINS0_14default_configENS1_27scan_by_key_config_selectorIiiEEZZNS1_16scan_by_key_implILNS1_25lookback_scan_determinismE0ELb1ES3_N6thrust23THRUST_200600_302600_NS6detail15normal_iteratorINS9_10device_ptrIiEEEENSB_INSC_IjEEEESE_iNS9_4plusIvEENS9_8equal_toIvEEiEE10hipError_tPvRmT2_T3_T4_T5_mT6_T7_P12ihipStream_tbENKUlT_T0_E_clISt17integral_constantIbLb1EES11_EEDaSW_SX_EUlSW_E_NS1_11comp_targetILNS1_3genE10ELNS1_11target_archE1201ELNS1_3gpuE5ELNS1_3repE0EEENS1_30default_config_static_selectorELNS0_4arch9wavefront6targetE0EEEvT1_.uses_flat_scratch, 0
	.set _ZN7rocprim17ROCPRIM_400000_NS6detail17trampoline_kernelINS0_14default_configENS1_27scan_by_key_config_selectorIiiEEZZNS1_16scan_by_key_implILNS1_25lookback_scan_determinismE0ELb1ES3_N6thrust23THRUST_200600_302600_NS6detail15normal_iteratorINS9_10device_ptrIiEEEENSB_INSC_IjEEEESE_iNS9_4plusIvEENS9_8equal_toIvEEiEE10hipError_tPvRmT2_T3_T4_T5_mT6_T7_P12ihipStream_tbENKUlT_T0_E_clISt17integral_constantIbLb1EES11_EEDaSW_SX_EUlSW_E_NS1_11comp_targetILNS1_3genE10ELNS1_11target_archE1201ELNS1_3gpuE5ELNS1_3repE0EEENS1_30default_config_static_selectorELNS0_4arch9wavefront6targetE0EEEvT1_.has_dyn_sized_stack, 0
	.set _ZN7rocprim17ROCPRIM_400000_NS6detail17trampoline_kernelINS0_14default_configENS1_27scan_by_key_config_selectorIiiEEZZNS1_16scan_by_key_implILNS1_25lookback_scan_determinismE0ELb1ES3_N6thrust23THRUST_200600_302600_NS6detail15normal_iteratorINS9_10device_ptrIiEEEENSB_INSC_IjEEEESE_iNS9_4plusIvEENS9_8equal_toIvEEiEE10hipError_tPvRmT2_T3_T4_T5_mT6_T7_P12ihipStream_tbENKUlT_T0_E_clISt17integral_constantIbLb1EES11_EEDaSW_SX_EUlSW_E_NS1_11comp_targetILNS1_3genE10ELNS1_11target_archE1201ELNS1_3gpuE5ELNS1_3repE0EEENS1_30default_config_static_selectorELNS0_4arch9wavefront6targetE0EEEvT1_.has_recursion, 0
	.set _ZN7rocprim17ROCPRIM_400000_NS6detail17trampoline_kernelINS0_14default_configENS1_27scan_by_key_config_selectorIiiEEZZNS1_16scan_by_key_implILNS1_25lookback_scan_determinismE0ELb1ES3_N6thrust23THRUST_200600_302600_NS6detail15normal_iteratorINS9_10device_ptrIiEEEENSB_INSC_IjEEEESE_iNS9_4plusIvEENS9_8equal_toIvEEiEE10hipError_tPvRmT2_T3_T4_T5_mT6_T7_P12ihipStream_tbENKUlT_T0_E_clISt17integral_constantIbLb1EES11_EEDaSW_SX_EUlSW_E_NS1_11comp_targetILNS1_3genE10ELNS1_11target_archE1201ELNS1_3gpuE5ELNS1_3repE0EEENS1_30default_config_static_selectorELNS0_4arch9wavefront6targetE0EEEvT1_.has_indirect_call, 0
	.section	.AMDGPU.csdata,"",@progbits
; Kernel info:
; codeLenInByte = 0
; TotalNumSgprs: 0
; NumVgprs: 0
; ScratchSize: 0
; MemoryBound: 0
; FloatMode: 240
; IeeeMode: 1
; LDSByteSize: 0 bytes/workgroup (compile time only)
; SGPRBlocks: 0
; VGPRBlocks: 0
; NumSGPRsForWavesPerEU: 1
; NumVGPRsForWavesPerEU: 1
; Occupancy: 16
; WaveLimiterHint : 0
; COMPUTE_PGM_RSRC2:SCRATCH_EN: 0
; COMPUTE_PGM_RSRC2:USER_SGPR: 6
; COMPUTE_PGM_RSRC2:TRAP_HANDLER: 0
; COMPUTE_PGM_RSRC2:TGID_X_EN: 1
; COMPUTE_PGM_RSRC2:TGID_Y_EN: 0
; COMPUTE_PGM_RSRC2:TGID_Z_EN: 0
; COMPUTE_PGM_RSRC2:TIDIG_COMP_CNT: 0
	.section	.text._ZN7rocprim17ROCPRIM_400000_NS6detail17trampoline_kernelINS0_14default_configENS1_27scan_by_key_config_selectorIiiEEZZNS1_16scan_by_key_implILNS1_25lookback_scan_determinismE0ELb1ES3_N6thrust23THRUST_200600_302600_NS6detail15normal_iteratorINS9_10device_ptrIiEEEENSB_INSC_IjEEEESE_iNS9_4plusIvEENS9_8equal_toIvEEiEE10hipError_tPvRmT2_T3_T4_T5_mT6_T7_P12ihipStream_tbENKUlT_T0_E_clISt17integral_constantIbLb1EES11_EEDaSW_SX_EUlSW_E_NS1_11comp_targetILNS1_3genE5ELNS1_11target_archE942ELNS1_3gpuE9ELNS1_3repE0EEENS1_30default_config_static_selectorELNS0_4arch9wavefront6targetE0EEEvT1_,"axG",@progbits,_ZN7rocprim17ROCPRIM_400000_NS6detail17trampoline_kernelINS0_14default_configENS1_27scan_by_key_config_selectorIiiEEZZNS1_16scan_by_key_implILNS1_25lookback_scan_determinismE0ELb1ES3_N6thrust23THRUST_200600_302600_NS6detail15normal_iteratorINS9_10device_ptrIiEEEENSB_INSC_IjEEEESE_iNS9_4plusIvEENS9_8equal_toIvEEiEE10hipError_tPvRmT2_T3_T4_T5_mT6_T7_P12ihipStream_tbENKUlT_T0_E_clISt17integral_constantIbLb1EES11_EEDaSW_SX_EUlSW_E_NS1_11comp_targetILNS1_3genE5ELNS1_11target_archE942ELNS1_3gpuE9ELNS1_3repE0EEENS1_30default_config_static_selectorELNS0_4arch9wavefront6targetE0EEEvT1_,comdat
	.protected	_ZN7rocprim17ROCPRIM_400000_NS6detail17trampoline_kernelINS0_14default_configENS1_27scan_by_key_config_selectorIiiEEZZNS1_16scan_by_key_implILNS1_25lookback_scan_determinismE0ELb1ES3_N6thrust23THRUST_200600_302600_NS6detail15normal_iteratorINS9_10device_ptrIiEEEENSB_INSC_IjEEEESE_iNS9_4plusIvEENS9_8equal_toIvEEiEE10hipError_tPvRmT2_T3_T4_T5_mT6_T7_P12ihipStream_tbENKUlT_T0_E_clISt17integral_constantIbLb1EES11_EEDaSW_SX_EUlSW_E_NS1_11comp_targetILNS1_3genE5ELNS1_11target_archE942ELNS1_3gpuE9ELNS1_3repE0EEENS1_30default_config_static_selectorELNS0_4arch9wavefront6targetE0EEEvT1_ ; -- Begin function _ZN7rocprim17ROCPRIM_400000_NS6detail17trampoline_kernelINS0_14default_configENS1_27scan_by_key_config_selectorIiiEEZZNS1_16scan_by_key_implILNS1_25lookback_scan_determinismE0ELb1ES3_N6thrust23THRUST_200600_302600_NS6detail15normal_iteratorINS9_10device_ptrIiEEEENSB_INSC_IjEEEESE_iNS9_4plusIvEENS9_8equal_toIvEEiEE10hipError_tPvRmT2_T3_T4_T5_mT6_T7_P12ihipStream_tbENKUlT_T0_E_clISt17integral_constantIbLb1EES11_EEDaSW_SX_EUlSW_E_NS1_11comp_targetILNS1_3genE5ELNS1_11target_archE942ELNS1_3gpuE9ELNS1_3repE0EEENS1_30default_config_static_selectorELNS0_4arch9wavefront6targetE0EEEvT1_
	.globl	_ZN7rocprim17ROCPRIM_400000_NS6detail17trampoline_kernelINS0_14default_configENS1_27scan_by_key_config_selectorIiiEEZZNS1_16scan_by_key_implILNS1_25lookback_scan_determinismE0ELb1ES3_N6thrust23THRUST_200600_302600_NS6detail15normal_iteratorINS9_10device_ptrIiEEEENSB_INSC_IjEEEESE_iNS9_4plusIvEENS9_8equal_toIvEEiEE10hipError_tPvRmT2_T3_T4_T5_mT6_T7_P12ihipStream_tbENKUlT_T0_E_clISt17integral_constantIbLb1EES11_EEDaSW_SX_EUlSW_E_NS1_11comp_targetILNS1_3genE5ELNS1_11target_archE942ELNS1_3gpuE9ELNS1_3repE0EEENS1_30default_config_static_selectorELNS0_4arch9wavefront6targetE0EEEvT1_
	.p2align	8
	.type	_ZN7rocprim17ROCPRIM_400000_NS6detail17trampoline_kernelINS0_14default_configENS1_27scan_by_key_config_selectorIiiEEZZNS1_16scan_by_key_implILNS1_25lookback_scan_determinismE0ELb1ES3_N6thrust23THRUST_200600_302600_NS6detail15normal_iteratorINS9_10device_ptrIiEEEENSB_INSC_IjEEEESE_iNS9_4plusIvEENS9_8equal_toIvEEiEE10hipError_tPvRmT2_T3_T4_T5_mT6_T7_P12ihipStream_tbENKUlT_T0_E_clISt17integral_constantIbLb1EES11_EEDaSW_SX_EUlSW_E_NS1_11comp_targetILNS1_3genE5ELNS1_11target_archE942ELNS1_3gpuE9ELNS1_3repE0EEENS1_30default_config_static_selectorELNS0_4arch9wavefront6targetE0EEEvT1_,@function
_ZN7rocprim17ROCPRIM_400000_NS6detail17trampoline_kernelINS0_14default_configENS1_27scan_by_key_config_selectorIiiEEZZNS1_16scan_by_key_implILNS1_25lookback_scan_determinismE0ELb1ES3_N6thrust23THRUST_200600_302600_NS6detail15normal_iteratorINS9_10device_ptrIiEEEENSB_INSC_IjEEEESE_iNS9_4plusIvEENS9_8equal_toIvEEiEE10hipError_tPvRmT2_T3_T4_T5_mT6_T7_P12ihipStream_tbENKUlT_T0_E_clISt17integral_constantIbLb1EES11_EEDaSW_SX_EUlSW_E_NS1_11comp_targetILNS1_3genE5ELNS1_11target_archE942ELNS1_3gpuE9ELNS1_3repE0EEENS1_30default_config_static_selectorELNS0_4arch9wavefront6targetE0EEEvT1_: ; @_ZN7rocprim17ROCPRIM_400000_NS6detail17trampoline_kernelINS0_14default_configENS1_27scan_by_key_config_selectorIiiEEZZNS1_16scan_by_key_implILNS1_25lookback_scan_determinismE0ELb1ES3_N6thrust23THRUST_200600_302600_NS6detail15normal_iteratorINS9_10device_ptrIiEEEENSB_INSC_IjEEEESE_iNS9_4plusIvEENS9_8equal_toIvEEiEE10hipError_tPvRmT2_T3_T4_T5_mT6_T7_P12ihipStream_tbENKUlT_T0_E_clISt17integral_constantIbLb1EES11_EEDaSW_SX_EUlSW_E_NS1_11comp_targetILNS1_3genE5ELNS1_11target_archE942ELNS1_3gpuE9ELNS1_3repE0EEENS1_30default_config_static_selectorELNS0_4arch9wavefront6targetE0EEEvT1_
; %bb.0:
	.section	.rodata,"a",@progbits
	.p2align	6, 0x0
	.amdhsa_kernel _ZN7rocprim17ROCPRIM_400000_NS6detail17trampoline_kernelINS0_14default_configENS1_27scan_by_key_config_selectorIiiEEZZNS1_16scan_by_key_implILNS1_25lookback_scan_determinismE0ELb1ES3_N6thrust23THRUST_200600_302600_NS6detail15normal_iteratorINS9_10device_ptrIiEEEENSB_INSC_IjEEEESE_iNS9_4plusIvEENS9_8equal_toIvEEiEE10hipError_tPvRmT2_T3_T4_T5_mT6_T7_P12ihipStream_tbENKUlT_T0_E_clISt17integral_constantIbLb1EES11_EEDaSW_SX_EUlSW_E_NS1_11comp_targetILNS1_3genE5ELNS1_11target_archE942ELNS1_3gpuE9ELNS1_3repE0EEENS1_30default_config_static_selectorELNS0_4arch9wavefront6targetE0EEEvT1_
		.amdhsa_group_segment_fixed_size 0
		.amdhsa_private_segment_fixed_size 0
		.amdhsa_kernarg_size 112
		.amdhsa_user_sgpr_count 6
		.amdhsa_user_sgpr_private_segment_buffer 1
		.amdhsa_user_sgpr_dispatch_ptr 0
		.amdhsa_user_sgpr_queue_ptr 0
		.amdhsa_user_sgpr_kernarg_segment_ptr 1
		.amdhsa_user_sgpr_dispatch_id 0
		.amdhsa_user_sgpr_flat_scratch_init 0
		.amdhsa_user_sgpr_private_segment_size 0
		.amdhsa_wavefront_size32 1
		.amdhsa_uses_dynamic_stack 0
		.amdhsa_system_sgpr_private_segment_wavefront_offset 0
		.amdhsa_system_sgpr_workgroup_id_x 1
		.amdhsa_system_sgpr_workgroup_id_y 0
		.amdhsa_system_sgpr_workgroup_id_z 0
		.amdhsa_system_sgpr_workgroup_info 0
		.amdhsa_system_vgpr_workitem_id 0
		.amdhsa_next_free_vgpr 1
		.amdhsa_next_free_sgpr 1
		.amdhsa_reserve_vcc 0
		.amdhsa_reserve_flat_scratch 0
		.amdhsa_float_round_mode_32 0
		.amdhsa_float_round_mode_16_64 0
		.amdhsa_float_denorm_mode_32 3
		.amdhsa_float_denorm_mode_16_64 3
		.amdhsa_dx10_clamp 1
		.amdhsa_ieee_mode 1
		.amdhsa_fp16_overflow 0
		.amdhsa_workgroup_processor_mode 1
		.amdhsa_memory_ordered 1
		.amdhsa_forward_progress 1
		.amdhsa_shared_vgpr_count 0
		.amdhsa_exception_fp_ieee_invalid_op 0
		.amdhsa_exception_fp_denorm_src 0
		.amdhsa_exception_fp_ieee_div_zero 0
		.amdhsa_exception_fp_ieee_overflow 0
		.amdhsa_exception_fp_ieee_underflow 0
		.amdhsa_exception_fp_ieee_inexact 0
		.amdhsa_exception_int_div_zero 0
	.end_amdhsa_kernel
	.section	.text._ZN7rocprim17ROCPRIM_400000_NS6detail17trampoline_kernelINS0_14default_configENS1_27scan_by_key_config_selectorIiiEEZZNS1_16scan_by_key_implILNS1_25lookback_scan_determinismE0ELb1ES3_N6thrust23THRUST_200600_302600_NS6detail15normal_iteratorINS9_10device_ptrIiEEEENSB_INSC_IjEEEESE_iNS9_4plusIvEENS9_8equal_toIvEEiEE10hipError_tPvRmT2_T3_T4_T5_mT6_T7_P12ihipStream_tbENKUlT_T0_E_clISt17integral_constantIbLb1EES11_EEDaSW_SX_EUlSW_E_NS1_11comp_targetILNS1_3genE5ELNS1_11target_archE942ELNS1_3gpuE9ELNS1_3repE0EEENS1_30default_config_static_selectorELNS0_4arch9wavefront6targetE0EEEvT1_,"axG",@progbits,_ZN7rocprim17ROCPRIM_400000_NS6detail17trampoline_kernelINS0_14default_configENS1_27scan_by_key_config_selectorIiiEEZZNS1_16scan_by_key_implILNS1_25lookback_scan_determinismE0ELb1ES3_N6thrust23THRUST_200600_302600_NS6detail15normal_iteratorINS9_10device_ptrIiEEEENSB_INSC_IjEEEESE_iNS9_4plusIvEENS9_8equal_toIvEEiEE10hipError_tPvRmT2_T3_T4_T5_mT6_T7_P12ihipStream_tbENKUlT_T0_E_clISt17integral_constantIbLb1EES11_EEDaSW_SX_EUlSW_E_NS1_11comp_targetILNS1_3genE5ELNS1_11target_archE942ELNS1_3gpuE9ELNS1_3repE0EEENS1_30default_config_static_selectorELNS0_4arch9wavefront6targetE0EEEvT1_,comdat
.Lfunc_end1763:
	.size	_ZN7rocprim17ROCPRIM_400000_NS6detail17trampoline_kernelINS0_14default_configENS1_27scan_by_key_config_selectorIiiEEZZNS1_16scan_by_key_implILNS1_25lookback_scan_determinismE0ELb1ES3_N6thrust23THRUST_200600_302600_NS6detail15normal_iteratorINS9_10device_ptrIiEEEENSB_INSC_IjEEEESE_iNS9_4plusIvEENS9_8equal_toIvEEiEE10hipError_tPvRmT2_T3_T4_T5_mT6_T7_P12ihipStream_tbENKUlT_T0_E_clISt17integral_constantIbLb1EES11_EEDaSW_SX_EUlSW_E_NS1_11comp_targetILNS1_3genE5ELNS1_11target_archE942ELNS1_3gpuE9ELNS1_3repE0EEENS1_30default_config_static_selectorELNS0_4arch9wavefront6targetE0EEEvT1_, .Lfunc_end1763-_ZN7rocprim17ROCPRIM_400000_NS6detail17trampoline_kernelINS0_14default_configENS1_27scan_by_key_config_selectorIiiEEZZNS1_16scan_by_key_implILNS1_25lookback_scan_determinismE0ELb1ES3_N6thrust23THRUST_200600_302600_NS6detail15normal_iteratorINS9_10device_ptrIiEEEENSB_INSC_IjEEEESE_iNS9_4plusIvEENS9_8equal_toIvEEiEE10hipError_tPvRmT2_T3_T4_T5_mT6_T7_P12ihipStream_tbENKUlT_T0_E_clISt17integral_constantIbLb1EES11_EEDaSW_SX_EUlSW_E_NS1_11comp_targetILNS1_3genE5ELNS1_11target_archE942ELNS1_3gpuE9ELNS1_3repE0EEENS1_30default_config_static_selectorELNS0_4arch9wavefront6targetE0EEEvT1_
                                        ; -- End function
	.set _ZN7rocprim17ROCPRIM_400000_NS6detail17trampoline_kernelINS0_14default_configENS1_27scan_by_key_config_selectorIiiEEZZNS1_16scan_by_key_implILNS1_25lookback_scan_determinismE0ELb1ES3_N6thrust23THRUST_200600_302600_NS6detail15normal_iteratorINS9_10device_ptrIiEEEENSB_INSC_IjEEEESE_iNS9_4plusIvEENS9_8equal_toIvEEiEE10hipError_tPvRmT2_T3_T4_T5_mT6_T7_P12ihipStream_tbENKUlT_T0_E_clISt17integral_constantIbLb1EES11_EEDaSW_SX_EUlSW_E_NS1_11comp_targetILNS1_3genE5ELNS1_11target_archE942ELNS1_3gpuE9ELNS1_3repE0EEENS1_30default_config_static_selectorELNS0_4arch9wavefront6targetE0EEEvT1_.num_vgpr, 0
	.set _ZN7rocprim17ROCPRIM_400000_NS6detail17trampoline_kernelINS0_14default_configENS1_27scan_by_key_config_selectorIiiEEZZNS1_16scan_by_key_implILNS1_25lookback_scan_determinismE0ELb1ES3_N6thrust23THRUST_200600_302600_NS6detail15normal_iteratorINS9_10device_ptrIiEEEENSB_INSC_IjEEEESE_iNS9_4plusIvEENS9_8equal_toIvEEiEE10hipError_tPvRmT2_T3_T4_T5_mT6_T7_P12ihipStream_tbENKUlT_T0_E_clISt17integral_constantIbLb1EES11_EEDaSW_SX_EUlSW_E_NS1_11comp_targetILNS1_3genE5ELNS1_11target_archE942ELNS1_3gpuE9ELNS1_3repE0EEENS1_30default_config_static_selectorELNS0_4arch9wavefront6targetE0EEEvT1_.num_agpr, 0
	.set _ZN7rocprim17ROCPRIM_400000_NS6detail17trampoline_kernelINS0_14default_configENS1_27scan_by_key_config_selectorIiiEEZZNS1_16scan_by_key_implILNS1_25lookback_scan_determinismE0ELb1ES3_N6thrust23THRUST_200600_302600_NS6detail15normal_iteratorINS9_10device_ptrIiEEEENSB_INSC_IjEEEESE_iNS9_4plusIvEENS9_8equal_toIvEEiEE10hipError_tPvRmT2_T3_T4_T5_mT6_T7_P12ihipStream_tbENKUlT_T0_E_clISt17integral_constantIbLb1EES11_EEDaSW_SX_EUlSW_E_NS1_11comp_targetILNS1_3genE5ELNS1_11target_archE942ELNS1_3gpuE9ELNS1_3repE0EEENS1_30default_config_static_selectorELNS0_4arch9wavefront6targetE0EEEvT1_.numbered_sgpr, 0
	.set _ZN7rocprim17ROCPRIM_400000_NS6detail17trampoline_kernelINS0_14default_configENS1_27scan_by_key_config_selectorIiiEEZZNS1_16scan_by_key_implILNS1_25lookback_scan_determinismE0ELb1ES3_N6thrust23THRUST_200600_302600_NS6detail15normal_iteratorINS9_10device_ptrIiEEEENSB_INSC_IjEEEESE_iNS9_4plusIvEENS9_8equal_toIvEEiEE10hipError_tPvRmT2_T3_T4_T5_mT6_T7_P12ihipStream_tbENKUlT_T0_E_clISt17integral_constantIbLb1EES11_EEDaSW_SX_EUlSW_E_NS1_11comp_targetILNS1_3genE5ELNS1_11target_archE942ELNS1_3gpuE9ELNS1_3repE0EEENS1_30default_config_static_selectorELNS0_4arch9wavefront6targetE0EEEvT1_.num_named_barrier, 0
	.set _ZN7rocprim17ROCPRIM_400000_NS6detail17trampoline_kernelINS0_14default_configENS1_27scan_by_key_config_selectorIiiEEZZNS1_16scan_by_key_implILNS1_25lookback_scan_determinismE0ELb1ES3_N6thrust23THRUST_200600_302600_NS6detail15normal_iteratorINS9_10device_ptrIiEEEENSB_INSC_IjEEEESE_iNS9_4plusIvEENS9_8equal_toIvEEiEE10hipError_tPvRmT2_T3_T4_T5_mT6_T7_P12ihipStream_tbENKUlT_T0_E_clISt17integral_constantIbLb1EES11_EEDaSW_SX_EUlSW_E_NS1_11comp_targetILNS1_3genE5ELNS1_11target_archE942ELNS1_3gpuE9ELNS1_3repE0EEENS1_30default_config_static_selectorELNS0_4arch9wavefront6targetE0EEEvT1_.private_seg_size, 0
	.set _ZN7rocprim17ROCPRIM_400000_NS6detail17trampoline_kernelINS0_14default_configENS1_27scan_by_key_config_selectorIiiEEZZNS1_16scan_by_key_implILNS1_25lookback_scan_determinismE0ELb1ES3_N6thrust23THRUST_200600_302600_NS6detail15normal_iteratorINS9_10device_ptrIiEEEENSB_INSC_IjEEEESE_iNS9_4plusIvEENS9_8equal_toIvEEiEE10hipError_tPvRmT2_T3_T4_T5_mT6_T7_P12ihipStream_tbENKUlT_T0_E_clISt17integral_constantIbLb1EES11_EEDaSW_SX_EUlSW_E_NS1_11comp_targetILNS1_3genE5ELNS1_11target_archE942ELNS1_3gpuE9ELNS1_3repE0EEENS1_30default_config_static_selectorELNS0_4arch9wavefront6targetE0EEEvT1_.uses_vcc, 0
	.set _ZN7rocprim17ROCPRIM_400000_NS6detail17trampoline_kernelINS0_14default_configENS1_27scan_by_key_config_selectorIiiEEZZNS1_16scan_by_key_implILNS1_25lookback_scan_determinismE0ELb1ES3_N6thrust23THRUST_200600_302600_NS6detail15normal_iteratorINS9_10device_ptrIiEEEENSB_INSC_IjEEEESE_iNS9_4plusIvEENS9_8equal_toIvEEiEE10hipError_tPvRmT2_T3_T4_T5_mT6_T7_P12ihipStream_tbENKUlT_T0_E_clISt17integral_constantIbLb1EES11_EEDaSW_SX_EUlSW_E_NS1_11comp_targetILNS1_3genE5ELNS1_11target_archE942ELNS1_3gpuE9ELNS1_3repE0EEENS1_30default_config_static_selectorELNS0_4arch9wavefront6targetE0EEEvT1_.uses_flat_scratch, 0
	.set _ZN7rocprim17ROCPRIM_400000_NS6detail17trampoline_kernelINS0_14default_configENS1_27scan_by_key_config_selectorIiiEEZZNS1_16scan_by_key_implILNS1_25lookback_scan_determinismE0ELb1ES3_N6thrust23THRUST_200600_302600_NS6detail15normal_iteratorINS9_10device_ptrIiEEEENSB_INSC_IjEEEESE_iNS9_4plusIvEENS9_8equal_toIvEEiEE10hipError_tPvRmT2_T3_T4_T5_mT6_T7_P12ihipStream_tbENKUlT_T0_E_clISt17integral_constantIbLb1EES11_EEDaSW_SX_EUlSW_E_NS1_11comp_targetILNS1_3genE5ELNS1_11target_archE942ELNS1_3gpuE9ELNS1_3repE0EEENS1_30default_config_static_selectorELNS0_4arch9wavefront6targetE0EEEvT1_.has_dyn_sized_stack, 0
	.set _ZN7rocprim17ROCPRIM_400000_NS6detail17trampoline_kernelINS0_14default_configENS1_27scan_by_key_config_selectorIiiEEZZNS1_16scan_by_key_implILNS1_25lookback_scan_determinismE0ELb1ES3_N6thrust23THRUST_200600_302600_NS6detail15normal_iteratorINS9_10device_ptrIiEEEENSB_INSC_IjEEEESE_iNS9_4plusIvEENS9_8equal_toIvEEiEE10hipError_tPvRmT2_T3_T4_T5_mT6_T7_P12ihipStream_tbENKUlT_T0_E_clISt17integral_constantIbLb1EES11_EEDaSW_SX_EUlSW_E_NS1_11comp_targetILNS1_3genE5ELNS1_11target_archE942ELNS1_3gpuE9ELNS1_3repE0EEENS1_30default_config_static_selectorELNS0_4arch9wavefront6targetE0EEEvT1_.has_recursion, 0
	.set _ZN7rocprim17ROCPRIM_400000_NS6detail17trampoline_kernelINS0_14default_configENS1_27scan_by_key_config_selectorIiiEEZZNS1_16scan_by_key_implILNS1_25lookback_scan_determinismE0ELb1ES3_N6thrust23THRUST_200600_302600_NS6detail15normal_iteratorINS9_10device_ptrIiEEEENSB_INSC_IjEEEESE_iNS9_4plusIvEENS9_8equal_toIvEEiEE10hipError_tPvRmT2_T3_T4_T5_mT6_T7_P12ihipStream_tbENKUlT_T0_E_clISt17integral_constantIbLb1EES11_EEDaSW_SX_EUlSW_E_NS1_11comp_targetILNS1_3genE5ELNS1_11target_archE942ELNS1_3gpuE9ELNS1_3repE0EEENS1_30default_config_static_selectorELNS0_4arch9wavefront6targetE0EEEvT1_.has_indirect_call, 0
	.section	.AMDGPU.csdata,"",@progbits
; Kernel info:
; codeLenInByte = 0
; TotalNumSgprs: 0
; NumVgprs: 0
; ScratchSize: 0
; MemoryBound: 0
; FloatMode: 240
; IeeeMode: 1
; LDSByteSize: 0 bytes/workgroup (compile time only)
; SGPRBlocks: 0
; VGPRBlocks: 0
; NumSGPRsForWavesPerEU: 1
; NumVGPRsForWavesPerEU: 1
; Occupancy: 16
; WaveLimiterHint : 0
; COMPUTE_PGM_RSRC2:SCRATCH_EN: 0
; COMPUTE_PGM_RSRC2:USER_SGPR: 6
; COMPUTE_PGM_RSRC2:TRAP_HANDLER: 0
; COMPUTE_PGM_RSRC2:TGID_X_EN: 1
; COMPUTE_PGM_RSRC2:TGID_Y_EN: 0
; COMPUTE_PGM_RSRC2:TGID_Z_EN: 0
; COMPUTE_PGM_RSRC2:TIDIG_COMP_CNT: 0
	.section	.text._ZN7rocprim17ROCPRIM_400000_NS6detail17trampoline_kernelINS0_14default_configENS1_27scan_by_key_config_selectorIiiEEZZNS1_16scan_by_key_implILNS1_25lookback_scan_determinismE0ELb1ES3_N6thrust23THRUST_200600_302600_NS6detail15normal_iteratorINS9_10device_ptrIiEEEENSB_INSC_IjEEEESE_iNS9_4plusIvEENS9_8equal_toIvEEiEE10hipError_tPvRmT2_T3_T4_T5_mT6_T7_P12ihipStream_tbENKUlT_T0_E_clISt17integral_constantIbLb1EES11_EEDaSW_SX_EUlSW_E_NS1_11comp_targetILNS1_3genE4ELNS1_11target_archE910ELNS1_3gpuE8ELNS1_3repE0EEENS1_30default_config_static_selectorELNS0_4arch9wavefront6targetE0EEEvT1_,"axG",@progbits,_ZN7rocprim17ROCPRIM_400000_NS6detail17trampoline_kernelINS0_14default_configENS1_27scan_by_key_config_selectorIiiEEZZNS1_16scan_by_key_implILNS1_25lookback_scan_determinismE0ELb1ES3_N6thrust23THRUST_200600_302600_NS6detail15normal_iteratorINS9_10device_ptrIiEEEENSB_INSC_IjEEEESE_iNS9_4plusIvEENS9_8equal_toIvEEiEE10hipError_tPvRmT2_T3_T4_T5_mT6_T7_P12ihipStream_tbENKUlT_T0_E_clISt17integral_constantIbLb1EES11_EEDaSW_SX_EUlSW_E_NS1_11comp_targetILNS1_3genE4ELNS1_11target_archE910ELNS1_3gpuE8ELNS1_3repE0EEENS1_30default_config_static_selectorELNS0_4arch9wavefront6targetE0EEEvT1_,comdat
	.protected	_ZN7rocprim17ROCPRIM_400000_NS6detail17trampoline_kernelINS0_14default_configENS1_27scan_by_key_config_selectorIiiEEZZNS1_16scan_by_key_implILNS1_25lookback_scan_determinismE0ELb1ES3_N6thrust23THRUST_200600_302600_NS6detail15normal_iteratorINS9_10device_ptrIiEEEENSB_INSC_IjEEEESE_iNS9_4plusIvEENS9_8equal_toIvEEiEE10hipError_tPvRmT2_T3_T4_T5_mT6_T7_P12ihipStream_tbENKUlT_T0_E_clISt17integral_constantIbLb1EES11_EEDaSW_SX_EUlSW_E_NS1_11comp_targetILNS1_3genE4ELNS1_11target_archE910ELNS1_3gpuE8ELNS1_3repE0EEENS1_30default_config_static_selectorELNS0_4arch9wavefront6targetE0EEEvT1_ ; -- Begin function _ZN7rocprim17ROCPRIM_400000_NS6detail17trampoline_kernelINS0_14default_configENS1_27scan_by_key_config_selectorIiiEEZZNS1_16scan_by_key_implILNS1_25lookback_scan_determinismE0ELb1ES3_N6thrust23THRUST_200600_302600_NS6detail15normal_iteratorINS9_10device_ptrIiEEEENSB_INSC_IjEEEESE_iNS9_4plusIvEENS9_8equal_toIvEEiEE10hipError_tPvRmT2_T3_T4_T5_mT6_T7_P12ihipStream_tbENKUlT_T0_E_clISt17integral_constantIbLb1EES11_EEDaSW_SX_EUlSW_E_NS1_11comp_targetILNS1_3genE4ELNS1_11target_archE910ELNS1_3gpuE8ELNS1_3repE0EEENS1_30default_config_static_selectorELNS0_4arch9wavefront6targetE0EEEvT1_
	.globl	_ZN7rocprim17ROCPRIM_400000_NS6detail17trampoline_kernelINS0_14default_configENS1_27scan_by_key_config_selectorIiiEEZZNS1_16scan_by_key_implILNS1_25lookback_scan_determinismE0ELb1ES3_N6thrust23THRUST_200600_302600_NS6detail15normal_iteratorINS9_10device_ptrIiEEEENSB_INSC_IjEEEESE_iNS9_4plusIvEENS9_8equal_toIvEEiEE10hipError_tPvRmT2_T3_T4_T5_mT6_T7_P12ihipStream_tbENKUlT_T0_E_clISt17integral_constantIbLb1EES11_EEDaSW_SX_EUlSW_E_NS1_11comp_targetILNS1_3genE4ELNS1_11target_archE910ELNS1_3gpuE8ELNS1_3repE0EEENS1_30default_config_static_selectorELNS0_4arch9wavefront6targetE0EEEvT1_
	.p2align	8
	.type	_ZN7rocprim17ROCPRIM_400000_NS6detail17trampoline_kernelINS0_14default_configENS1_27scan_by_key_config_selectorIiiEEZZNS1_16scan_by_key_implILNS1_25lookback_scan_determinismE0ELb1ES3_N6thrust23THRUST_200600_302600_NS6detail15normal_iteratorINS9_10device_ptrIiEEEENSB_INSC_IjEEEESE_iNS9_4plusIvEENS9_8equal_toIvEEiEE10hipError_tPvRmT2_T3_T4_T5_mT6_T7_P12ihipStream_tbENKUlT_T0_E_clISt17integral_constantIbLb1EES11_EEDaSW_SX_EUlSW_E_NS1_11comp_targetILNS1_3genE4ELNS1_11target_archE910ELNS1_3gpuE8ELNS1_3repE0EEENS1_30default_config_static_selectorELNS0_4arch9wavefront6targetE0EEEvT1_,@function
_ZN7rocprim17ROCPRIM_400000_NS6detail17trampoline_kernelINS0_14default_configENS1_27scan_by_key_config_selectorIiiEEZZNS1_16scan_by_key_implILNS1_25lookback_scan_determinismE0ELb1ES3_N6thrust23THRUST_200600_302600_NS6detail15normal_iteratorINS9_10device_ptrIiEEEENSB_INSC_IjEEEESE_iNS9_4plusIvEENS9_8equal_toIvEEiEE10hipError_tPvRmT2_T3_T4_T5_mT6_T7_P12ihipStream_tbENKUlT_T0_E_clISt17integral_constantIbLb1EES11_EEDaSW_SX_EUlSW_E_NS1_11comp_targetILNS1_3genE4ELNS1_11target_archE910ELNS1_3gpuE8ELNS1_3repE0EEENS1_30default_config_static_selectorELNS0_4arch9wavefront6targetE0EEEvT1_: ; @_ZN7rocprim17ROCPRIM_400000_NS6detail17trampoline_kernelINS0_14default_configENS1_27scan_by_key_config_selectorIiiEEZZNS1_16scan_by_key_implILNS1_25lookback_scan_determinismE0ELb1ES3_N6thrust23THRUST_200600_302600_NS6detail15normal_iteratorINS9_10device_ptrIiEEEENSB_INSC_IjEEEESE_iNS9_4plusIvEENS9_8equal_toIvEEiEE10hipError_tPvRmT2_T3_T4_T5_mT6_T7_P12ihipStream_tbENKUlT_T0_E_clISt17integral_constantIbLb1EES11_EEDaSW_SX_EUlSW_E_NS1_11comp_targetILNS1_3genE4ELNS1_11target_archE910ELNS1_3gpuE8ELNS1_3repE0EEENS1_30default_config_static_selectorELNS0_4arch9wavefront6targetE0EEEvT1_
; %bb.0:
	.section	.rodata,"a",@progbits
	.p2align	6, 0x0
	.amdhsa_kernel _ZN7rocprim17ROCPRIM_400000_NS6detail17trampoline_kernelINS0_14default_configENS1_27scan_by_key_config_selectorIiiEEZZNS1_16scan_by_key_implILNS1_25lookback_scan_determinismE0ELb1ES3_N6thrust23THRUST_200600_302600_NS6detail15normal_iteratorINS9_10device_ptrIiEEEENSB_INSC_IjEEEESE_iNS9_4plusIvEENS9_8equal_toIvEEiEE10hipError_tPvRmT2_T3_T4_T5_mT6_T7_P12ihipStream_tbENKUlT_T0_E_clISt17integral_constantIbLb1EES11_EEDaSW_SX_EUlSW_E_NS1_11comp_targetILNS1_3genE4ELNS1_11target_archE910ELNS1_3gpuE8ELNS1_3repE0EEENS1_30default_config_static_selectorELNS0_4arch9wavefront6targetE0EEEvT1_
		.amdhsa_group_segment_fixed_size 0
		.amdhsa_private_segment_fixed_size 0
		.amdhsa_kernarg_size 112
		.amdhsa_user_sgpr_count 6
		.amdhsa_user_sgpr_private_segment_buffer 1
		.amdhsa_user_sgpr_dispatch_ptr 0
		.amdhsa_user_sgpr_queue_ptr 0
		.amdhsa_user_sgpr_kernarg_segment_ptr 1
		.amdhsa_user_sgpr_dispatch_id 0
		.amdhsa_user_sgpr_flat_scratch_init 0
		.amdhsa_user_sgpr_private_segment_size 0
		.amdhsa_wavefront_size32 1
		.amdhsa_uses_dynamic_stack 0
		.amdhsa_system_sgpr_private_segment_wavefront_offset 0
		.amdhsa_system_sgpr_workgroup_id_x 1
		.amdhsa_system_sgpr_workgroup_id_y 0
		.amdhsa_system_sgpr_workgroup_id_z 0
		.amdhsa_system_sgpr_workgroup_info 0
		.amdhsa_system_vgpr_workitem_id 0
		.amdhsa_next_free_vgpr 1
		.amdhsa_next_free_sgpr 1
		.amdhsa_reserve_vcc 0
		.amdhsa_reserve_flat_scratch 0
		.amdhsa_float_round_mode_32 0
		.amdhsa_float_round_mode_16_64 0
		.amdhsa_float_denorm_mode_32 3
		.amdhsa_float_denorm_mode_16_64 3
		.amdhsa_dx10_clamp 1
		.amdhsa_ieee_mode 1
		.amdhsa_fp16_overflow 0
		.amdhsa_workgroup_processor_mode 1
		.amdhsa_memory_ordered 1
		.amdhsa_forward_progress 1
		.amdhsa_shared_vgpr_count 0
		.amdhsa_exception_fp_ieee_invalid_op 0
		.amdhsa_exception_fp_denorm_src 0
		.amdhsa_exception_fp_ieee_div_zero 0
		.amdhsa_exception_fp_ieee_overflow 0
		.amdhsa_exception_fp_ieee_underflow 0
		.amdhsa_exception_fp_ieee_inexact 0
		.amdhsa_exception_int_div_zero 0
	.end_amdhsa_kernel
	.section	.text._ZN7rocprim17ROCPRIM_400000_NS6detail17trampoline_kernelINS0_14default_configENS1_27scan_by_key_config_selectorIiiEEZZNS1_16scan_by_key_implILNS1_25lookback_scan_determinismE0ELb1ES3_N6thrust23THRUST_200600_302600_NS6detail15normal_iteratorINS9_10device_ptrIiEEEENSB_INSC_IjEEEESE_iNS9_4plusIvEENS9_8equal_toIvEEiEE10hipError_tPvRmT2_T3_T4_T5_mT6_T7_P12ihipStream_tbENKUlT_T0_E_clISt17integral_constantIbLb1EES11_EEDaSW_SX_EUlSW_E_NS1_11comp_targetILNS1_3genE4ELNS1_11target_archE910ELNS1_3gpuE8ELNS1_3repE0EEENS1_30default_config_static_selectorELNS0_4arch9wavefront6targetE0EEEvT1_,"axG",@progbits,_ZN7rocprim17ROCPRIM_400000_NS6detail17trampoline_kernelINS0_14default_configENS1_27scan_by_key_config_selectorIiiEEZZNS1_16scan_by_key_implILNS1_25lookback_scan_determinismE0ELb1ES3_N6thrust23THRUST_200600_302600_NS6detail15normal_iteratorINS9_10device_ptrIiEEEENSB_INSC_IjEEEESE_iNS9_4plusIvEENS9_8equal_toIvEEiEE10hipError_tPvRmT2_T3_T4_T5_mT6_T7_P12ihipStream_tbENKUlT_T0_E_clISt17integral_constantIbLb1EES11_EEDaSW_SX_EUlSW_E_NS1_11comp_targetILNS1_3genE4ELNS1_11target_archE910ELNS1_3gpuE8ELNS1_3repE0EEENS1_30default_config_static_selectorELNS0_4arch9wavefront6targetE0EEEvT1_,comdat
.Lfunc_end1764:
	.size	_ZN7rocprim17ROCPRIM_400000_NS6detail17trampoline_kernelINS0_14default_configENS1_27scan_by_key_config_selectorIiiEEZZNS1_16scan_by_key_implILNS1_25lookback_scan_determinismE0ELb1ES3_N6thrust23THRUST_200600_302600_NS6detail15normal_iteratorINS9_10device_ptrIiEEEENSB_INSC_IjEEEESE_iNS9_4plusIvEENS9_8equal_toIvEEiEE10hipError_tPvRmT2_T3_T4_T5_mT6_T7_P12ihipStream_tbENKUlT_T0_E_clISt17integral_constantIbLb1EES11_EEDaSW_SX_EUlSW_E_NS1_11comp_targetILNS1_3genE4ELNS1_11target_archE910ELNS1_3gpuE8ELNS1_3repE0EEENS1_30default_config_static_selectorELNS0_4arch9wavefront6targetE0EEEvT1_, .Lfunc_end1764-_ZN7rocprim17ROCPRIM_400000_NS6detail17trampoline_kernelINS0_14default_configENS1_27scan_by_key_config_selectorIiiEEZZNS1_16scan_by_key_implILNS1_25lookback_scan_determinismE0ELb1ES3_N6thrust23THRUST_200600_302600_NS6detail15normal_iteratorINS9_10device_ptrIiEEEENSB_INSC_IjEEEESE_iNS9_4plusIvEENS9_8equal_toIvEEiEE10hipError_tPvRmT2_T3_T4_T5_mT6_T7_P12ihipStream_tbENKUlT_T0_E_clISt17integral_constantIbLb1EES11_EEDaSW_SX_EUlSW_E_NS1_11comp_targetILNS1_3genE4ELNS1_11target_archE910ELNS1_3gpuE8ELNS1_3repE0EEENS1_30default_config_static_selectorELNS0_4arch9wavefront6targetE0EEEvT1_
                                        ; -- End function
	.set _ZN7rocprim17ROCPRIM_400000_NS6detail17trampoline_kernelINS0_14default_configENS1_27scan_by_key_config_selectorIiiEEZZNS1_16scan_by_key_implILNS1_25lookback_scan_determinismE0ELb1ES3_N6thrust23THRUST_200600_302600_NS6detail15normal_iteratorINS9_10device_ptrIiEEEENSB_INSC_IjEEEESE_iNS9_4plusIvEENS9_8equal_toIvEEiEE10hipError_tPvRmT2_T3_T4_T5_mT6_T7_P12ihipStream_tbENKUlT_T0_E_clISt17integral_constantIbLb1EES11_EEDaSW_SX_EUlSW_E_NS1_11comp_targetILNS1_3genE4ELNS1_11target_archE910ELNS1_3gpuE8ELNS1_3repE0EEENS1_30default_config_static_selectorELNS0_4arch9wavefront6targetE0EEEvT1_.num_vgpr, 0
	.set _ZN7rocprim17ROCPRIM_400000_NS6detail17trampoline_kernelINS0_14default_configENS1_27scan_by_key_config_selectorIiiEEZZNS1_16scan_by_key_implILNS1_25lookback_scan_determinismE0ELb1ES3_N6thrust23THRUST_200600_302600_NS6detail15normal_iteratorINS9_10device_ptrIiEEEENSB_INSC_IjEEEESE_iNS9_4plusIvEENS9_8equal_toIvEEiEE10hipError_tPvRmT2_T3_T4_T5_mT6_T7_P12ihipStream_tbENKUlT_T0_E_clISt17integral_constantIbLb1EES11_EEDaSW_SX_EUlSW_E_NS1_11comp_targetILNS1_3genE4ELNS1_11target_archE910ELNS1_3gpuE8ELNS1_3repE0EEENS1_30default_config_static_selectorELNS0_4arch9wavefront6targetE0EEEvT1_.num_agpr, 0
	.set _ZN7rocprim17ROCPRIM_400000_NS6detail17trampoline_kernelINS0_14default_configENS1_27scan_by_key_config_selectorIiiEEZZNS1_16scan_by_key_implILNS1_25lookback_scan_determinismE0ELb1ES3_N6thrust23THRUST_200600_302600_NS6detail15normal_iteratorINS9_10device_ptrIiEEEENSB_INSC_IjEEEESE_iNS9_4plusIvEENS9_8equal_toIvEEiEE10hipError_tPvRmT2_T3_T4_T5_mT6_T7_P12ihipStream_tbENKUlT_T0_E_clISt17integral_constantIbLb1EES11_EEDaSW_SX_EUlSW_E_NS1_11comp_targetILNS1_3genE4ELNS1_11target_archE910ELNS1_3gpuE8ELNS1_3repE0EEENS1_30default_config_static_selectorELNS0_4arch9wavefront6targetE0EEEvT1_.numbered_sgpr, 0
	.set _ZN7rocprim17ROCPRIM_400000_NS6detail17trampoline_kernelINS0_14default_configENS1_27scan_by_key_config_selectorIiiEEZZNS1_16scan_by_key_implILNS1_25lookback_scan_determinismE0ELb1ES3_N6thrust23THRUST_200600_302600_NS6detail15normal_iteratorINS9_10device_ptrIiEEEENSB_INSC_IjEEEESE_iNS9_4plusIvEENS9_8equal_toIvEEiEE10hipError_tPvRmT2_T3_T4_T5_mT6_T7_P12ihipStream_tbENKUlT_T0_E_clISt17integral_constantIbLb1EES11_EEDaSW_SX_EUlSW_E_NS1_11comp_targetILNS1_3genE4ELNS1_11target_archE910ELNS1_3gpuE8ELNS1_3repE0EEENS1_30default_config_static_selectorELNS0_4arch9wavefront6targetE0EEEvT1_.num_named_barrier, 0
	.set _ZN7rocprim17ROCPRIM_400000_NS6detail17trampoline_kernelINS0_14default_configENS1_27scan_by_key_config_selectorIiiEEZZNS1_16scan_by_key_implILNS1_25lookback_scan_determinismE0ELb1ES3_N6thrust23THRUST_200600_302600_NS6detail15normal_iteratorINS9_10device_ptrIiEEEENSB_INSC_IjEEEESE_iNS9_4plusIvEENS9_8equal_toIvEEiEE10hipError_tPvRmT2_T3_T4_T5_mT6_T7_P12ihipStream_tbENKUlT_T0_E_clISt17integral_constantIbLb1EES11_EEDaSW_SX_EUlSW_E_NS1_11comp_targetILNS1_3genE4ELNS1_11target_archE910ELNS1_3gpuE8ELNS1_3repE0EEENS1_30default_config_static_selectorELNS0_4arch9wavefront6targetE0EEEvT1_.private_seg_size, 0
	.set _ZN7rocprim17ROCPRIM_400000_NS6detail17trampoline_kernelINS0_14default_configENS1_27scan_by_key_config_selectorIiiEEZZNS1_16scan_by_key_implILNS1_25lookback_scan_determinismE0ELb1ES3_N6thrust23THRUST_200600_302600_NS6detail15normal_iteratorINS9_10device_ptrIiEEEENSB_INSC_IjEEEESE_iNS9_4plusIvEENS9_8equal_toIvEEiEE10hipError_tPvRmT2_T3_T4_T5_mT6_T7_P12ihipStream_tbENKUlT_T0_E_clISt17integral_constantIbLb1EES11_EEDaSW_SX_EUlSW_E_NS1_11comp_targetILNS1_3genE4ELNS1_11target_archE910ELNS1_3gpuE8ELNS1_3repE0EEENS1_30default_config_static_selectorELNS0_4arch9wavefront6targetE0EEEvT1_.uses_vcc, 0
	.set _ZN7rocprim17ROCPRIM_400000_NS6detail17trampoline_kernelINS0_14default_configENS1_27scan_by_key_config_selectorIiiEEZZNS1_16scan_by_key_implILNS1_25lookback_scan_determinismE0ELb1ES3_N6thrust23THRUST_200600_302600_NS6detail15normal_iteratorINS9_10device_ptrIiEEEENSB_INSC_IjEEEESE_iNS9_4plusIvEENS9_8equal_toIvEEiEE10hipError_tPvRmT2_T3_T4_T5_mT6_T7_P12ihipStream_tbENKUlT_T0_E_clISt17integral_constantIbLb1EES11_EEDaSW_SX_EUlSW_E_NS1_11comp_targetILNS1_3genE4ELNS1_11target_archE910ELNS1_3gpuE8ELNS1_3repE0EEENS1_30default_config_static_selectorELNS0_4arch9wavefront6targetE0EEEvT1_.uses_flat_scratch, 0
	.set _ZN7rocprim17ROCPRIM_400000_NS6detail17trampoline_kernelINS0_14default_configENS1_27scan_by_key_config_selectorIiiEEZZNS1_16scan_by_key_implILNS1_25lookback_scan_determinismE0ELb1ES3_N6thrust23THRUST_200600_302600_NS6detail15normal_iteratorINS9_10device_ptrIiEEEENSB_INSC_IjEEEESE_iNS9_4plusIvEENS9_8equal_toIvEEiEE10hipError_tPvRmT2_T3_T4_T5_mT6_T7_P12ihipStream_tbENKUlT_T0_E_clISt17integral_constantIbLb1EES11_EEDaSW_SX_EUlSW_E_NS1_11comp_targetILNS1_3genE4ELNS1_11target_archE910ELNS1_3gpuE8ELNS1_3repE0EEENS1_30default_config_static_selectorELNS0_4arch9wavefront6targetE0EEEvT1_.has_dyn_sized_stack, 0
	.set _ZN7rocprim17ROCPRIM_400000_NS6detail17trampoline_kernelINS0_14default_configENS1_27scan_by_key_config_selectorIiiEEZZNS1_16scan_by_key_implILNS1_25lookback_scan_determinismE0ELb1ES3_N6thrust23THRUST_200600_302600_NS6detail15normal_iteratorINS9_10device_ptrIiEEEENSB_INSC_IjEEEESE_iNS9_4plusIvEENS9_8equal_toIvEEiEE10hipError_tPvRmT2_T3_T4_T5_mT6_T7_P12ihipStream_tbENKUlT_T0_E_clISt17integral_constantIbLb1EES11_EEDaSW_SX_EUlSW_E_NS1_11comp_targetILNS1_3genE4ELNS1_11target_archE910ELNS1_3gpuE8ELNS1_3repE0EEENS1_30default_config_static_selectorELNS0_4arch9wavefront6targetE0EEEvT1_.has_recursion, 0
	.set _ZN7rocprim17ROCPRIM_400000_NS6detail17trampoline_kernelINS0_14default_configENS1_27scan_by_key_config_selectorIiiEEZZNS1_16scan_by_key_implILNS1_25lookback_scan_determinismE0ELb1ES3_N6thrust23THRUST_200600_302600_NS6detail15normal_iteratorINS9_10device_ptrIiEEEENSB_INSC_IjEEEESE_iNS9_4plusIvEENS9_8equal_toIvEEiEE10hipError_tPvRmT2_T3_T4_T5_mT6_T7_P12ihipStream_tbENKUlT_T0_E_clISt17integral_constantIbLb1EES11_EEDaSW_SX_EUlSW_E_NS1_11comp_targetILNS1_3genE4ELNS1_11target_archE910ELNS1_3gpuE8ELNS1_3repE0EEENS1_30default_config_static_selectorELNS0_4arch9wavefront6targetE0EEEvT1_.has_indirect_call, 0
	.section	.AMDGPU.csdata,"",@progbits
; Kernel info:
; codeLenInByte = 0
; TotalNumSgprs: 0
; NumVgprs: 0
; ScratchSize: 0
; MemoryBound: 0
; FloatMode: 240
; IeeeMode: 1
; LDSByteSize: 0 bytes/workgroup (compile time only)
; SGPRBlocks: 0
; VGPRBlocks: 0
; NumSGPRsForWavesPerEU: 1
; NumVGPRsForWavesPerEU: 1
; Occupancy: 16
; WaveLimiterHint : 0
; COMPUTE_PGM_RSRC2:SCRATCH_EN: 0
; COMPUTE_PGM_RSRC2:USER_SGPR: 6
; COMPUTE_PGM_RSRC2:TRAP_HANDLER: 0
; COMPUTE_PGM_RSRC2:TGID_X_EN: 1
; COMPUTE_PGM_RSRC2:TGID_Y_EN: 0
; COMPUTE_PGM_RSRC2:TGID_Z_EN: 0
; COMPUTE_PGM_RSRC2:TIDIG_COMP_CNT: 0
	.section	.text._ZN7rocprim17ROCPRIM_400000_NS6detail17trampoline_kernelINS0_14default_configENS1_27scan_by_key_config_selectorIiiEEZZNS1_16scan_by_key_implILNS1_25lookback_scan_determinismE0ELb1ES3_N6thrust23THRUST_200600_302600_NS6detail15normal_iteratorINS9_10device_ptrIiEEEENSB_INSC_IjEEEESE_iNS9_4plusIvEENS9_8equal_toIvEEiEE10hipError_tPvRmT2_T3_T4_T5_mT6_T7_P12ihipStream_tbENKUlT_T0_E_clISt17integral_constantIbLb1EES11_EEDaSW_SX_EUlSW_E_NS1_11comp_targetILNS1_3genE3ELNS1_11target_archE908ELNS1_3gpuE7ELNS1_3repE0EEENS1_30default_config_static_selectorELNS0_4arch9wavefront6targetE0EEEvT1_,"axG",@progbits,_ZN7rocprim17ROCPRIM_400000_NS6detail17trampoline_kernelINS0_14default_configENS1_27scan_by_key_config_selectorIiiEEZZNS1_16scan_by_key_implILNS1_25lookback_scan_determinismE0ELb1ES3_N6thrust23THRUST_200600_302600_NS6detail15normal_iteratorINS9_10device_ptrIiEEEENSB_INSC_IjEEEESE_iNS9_4plusIvEENS9_8equal_toIvEEiEE10hipError_tPvRmT2_T3_T4_T5_mT6_T7_P12ihipStream_tbENKUlT_T0_E_clISt17integral_constantIbLb1EES11_EEDaSW_SX_EUlSW_E_NS1_11comp_targetILNS1_3genE3ELNS1_11target_archE908ELNS1_3gpuE7ELNS1_3repE0EEENS1_30default_config_static_selectorELNS0_4arch9wavefront6targetE0EEEvT1_,comdat
	.protected	_ZN7rocprim17ROCPRIM_400000_NS6detail17trampoline_kernelINS0_14default_configENS1_27scan_by_key_config_selectorIiiEEZZNS1_16scan_by_key_implILNS1_25lookback_scan_determinismE0ELb1ES3_N6thrust23THRUST_200600_302600_NS6detail15normal_iteratorINS9_10device_ptrIiEEEENSB_INSC_IjEEEESE_iNS9_4plusIvEENS9_8equal_toIvEEiEE10hipError_tPvRmT2_T3_T4_T5_mT6_T7_P12ihipStream_tbENKUlT_T0_E_clISt17integral_constantIbLb1EES11_EEDaSW_SX_EUlSW_E_NS1_11comp_targetILNS1_3genE3ELNS1_11target_archE908ELNS1_3gpuE7ELNS1_3repE0EEENS1_30default_config_static_selectorELNS0_4arch9wavefront6targetE0EEEvT1_ ; -- Begin function _ZN7rocprim17ROCPRIM_400000_NS6detail17trampoline_kernelINS0_14default_configENS1_27scan_by_key_config_selectorIiiEEZZNS1_16scan_by_key_implILNS1_25lookback_scan_determinismE0ELb1ES3_N6thrust23THRUST_200600_302600_NS6detail15normal_iteratorINS9_10device_ptrIiEEEENSB_INSC_IjEEEESE_iNS9_4plusIvEENS9_8equal_toIvEEiEE10hipError_tPvRmT2_T3_T4_T5_mT6_T7_P12ihipStream_tbENKUlT_T0_E_clISt17integral_constantIbLb1EES11_EEDaSW_SX_EUlSW_E_NS1_11comp_targetILNS1_3genE3ELNS1_11target_archE908ELNS1_3gpuE7ELNS1_3repE0EEENS1_30default_config_static_selectorELNS0_4arch9wavefront6targetE0EEEvT1_
	.globl	_ZN7rocprim17ROCPRIM_400000_NS6detail17trampoline_kernelINS0_14default_configENS1_27scan_by_key_config_selectorIiiEEZZNS1_16scan_by_key_implILNS1_25lookback_scan_determinismE0ELb1ES3_N6thrust23THRUST_200600_302600_NS6detail15normal_iteratorINS9_10device_ptrIiEEEENSB_INSC_IjEEEESE_iNS9_4plusIvEENS9_8equal_toIvEEiEE10hipError_tPvRmT2_T3_T4_T5_mT6_T7_P12ihipStream_tbENKUlT_T0_E_clISt17integral_constantIbLb1EES11_EEDaSW_SX_EUlSW_E_NS1_11comp_targetILNS1_3genE3ELNS1_11target_archE908ELNS1_3gpuE7ELNS1_3repE0EEENS1_30default_config_static_selectorELNS0_4arch9wavefront6targetE0EEEvT1_
	.p2align	8
	.type	_ZN7rocprim17ROCPRIM_400000_NS6detail17trampoline_kernelINS0_14default_configENS1_27scan_by_key_config_selectorIiiEEZZNS1_16scan_by_key_implILNS1_25lookback_scan_determinismE0ELb1ES3_N6thrust23THRUST_200600_302600_NS6detail15normal_iteratorINS9_10device_ptrIiEEEENSB_INSC_IjEEEESE_iNS9_4plusIvEENS9_8equal_toIvEEiEE10hipError_tPvRmT2_T3_T4_T5_mT6_T7_P12ihipStream_tbENKUlT_T0_E_clISt17integral_constantIbLb1EES11_EEDaSW_SX_EUlSW_E_NS1_11comp_targetILNS1_3genE3ELNS1_11target_archE908ELNS1_3gpuE7ELNS1_3repE0EEENS1_30default_config_static_selectorELNS0_4arch9wavefront6targetE0EEEvT1_,@function
_ZN7rocprim17ROCPRIM_400000_NS6detail17trampoline_kernelINS0_14default_configENS1_27scan_by_key_config_selectorIiiEEZZNS1_16scan_by_key_implILNS1_25lookback_scan_determinismE0ELb1ES3_N6thrust23THRUST_200600_302600_NS6detail15normal_iteratorINS9_10device_ptrIiEEEENSB_INSC_IjEEEESE_iNS9_4plusIvEENS9_8equal_toIvEEiEE10hipError_tPvRmT2_T3_T4_T5_mT6_T7_P12ihipStream_tbENKUlT_T0_E_clISt17integral_constantIbLb1EES11_EEDaSW_SX_EUlSW_E_NS1_11comp_targetILNS1_3genE3ELNS1_11target_archE908ELNS1_3gpuE7ELNS1_3repE0EEENS1_30default_config_static_selectorELNS0_4arch9wavefront6targetE0EEEvT1_: ; @_ZN7rocprim17ROCPRIM_400000_NS6detail17trampoline_kernelINS0_14default_configENS1_27scan_by_key_config_selectorIiiEEZZNS1_16scan_by_key_implILNS1_25lookback_scan_determinismE0ELb1ES3_N6thrust23THRUST_200600_302600_NS6detail15normal_iteratorINS9_10device_ptrIiEEEENSB_INSC_IjEEEESE_iNS9_4plusIvEENS9_8equal_toIvEEiEE10hipError_tPvRmT2_T3_T4_T5_mT6_T7_P12ihipStream_tbENKUlT_T0_E_clISt17integral_constantIbLb1EES11_EEDaSW_SX_EUlSW_E_NS1_11comp_targetILNS1_3genE3ELNS1_11target_archE908ELNS1_3gpuE7ELNS1_3repE0EEENS1_30default_config_static_selectorELNS0_4arch9wavefront6targetE0EEEvT1_
; %bb.0:
	.section	.rodata,"a",@progbits
	.p2align	6, 0x0
	.amdhsa_kernel _ZN7rocprim17ROCPRIM_400000_NS6detail17trampoline_kernelINS0_14default_configENS1_27scan_by_key_config_selectorIiiEEZZNS1_16scan_by_key_implILNS1_25lookback_scan_determinismE0ELb1ES3_N6thrust23THRUST_200600_302600_NS6detail15normal_iteratorINS9_10device_ptrIiEEEENSB_INSC_IjEEEESE_iNS9_4plusIvEENS9_8equal_toIvEEiEE10hipError_tPvRmT2_T3_T4_T5_mT6_T7_P12ihipStream_tbENKUlT_T0_E_clISt17integral_constantIbLb1EES11_EEDaSW_SX_EUlSW_E_NS1_11comp_targetILNS1_3genE3ELNS1_11target_archE908ELNS1_3gpuE7ELNS1_3repE0EEENS1_30default_config_static_selectorELNS0_4arch9wavefront6targetE0EEEvT1_
		.amdhsa_group_segment_fixed_size 0
		.amdhsa_private_segment_fixed_size 0
		.amdhsa_kernarg_size 112
		.amdhsa_user_sgpr_count 6
		.amdhsa_user_sgpr_private_segment_buffer 1
		.amdhsa_user_sgpr_dispatch_ptr 0
		.amdhsa_user_sgpr_queue_ptr 0
		.amdhsa_user_sgpr_kernarg_segment_ptr 1
		.amdhsa_user_sgpr_dispatch_id 0
		.amdhsa_user_sgpr_flat_scratch_init 0
		.amdhsa_user_sgpr_private_segment_size 0
		.amdhsa_wavefront_size32 1
		.amdhsa_uses_dynamic_stack 0
		.amdhsa_system_sgpr_private_segment_wavefront_offset 0
		.amdhsa_system_sgpr_workgroup_id_x 1
		.amdhsa_system_sgpr_workgroup_id_y 0
		.amdhsa_system_sgpr_workgroup_id_z 0
		.amdhsa_system_sgpr_workgroup_info 0
		.amdhsa_system_vgpr_workitem_id 0
		.amdhsa_next_free_vgpr 1
		.amdhsa_next_free_sgpr 1
		.amdhsa_reserve_vcc 0
		.amdhsa_reserve_flat_scratch 0
		.amdhsa_float_round_mode_32 0
		.amdhsa_float_round_mode_16_64 0
		.amdhsa_float_denorm_mode_32 3
		.amdhsa_float_denorm_mode_16_64 3
		.amdhsa_dx10_clamp 1
		.amdhsa_ieee_mode 1
		.amdhsa_fp16_overflow 0
		.amdhsa_workgroup_processor_mode 1
		.amdhsa_memory_ordered 1
		.amdhsa_forward_progress 1
		.amdhsa_shared_vgpr_count 0
		.amdhsa_exception_fp_ieee_invalid_op 0
		.amdhsa_exception_fp_denorm_src 0
		.amdhsa_exception_fp_ieee_div_zero 0
		.amdhsa_exception_fp_ieee_overflow 0
		.amdhsa_exception_fp_ieee_underflow 0
		.amdhsa_exception_fp_ieee_inexact 0
		.amdhsa_exception_int_div_zero 0
	.end_amdhsa_kernel
	.section	.text._ZN7rocprim17ROCPRIM_400000_NS6detail17trampoline_kernelINS0_14default_configENS1_27scan_by_key_config_selectorIiiEEZZNS1_16scan_by_key_implILNS1_25lookback_scan_determinismE0ELb1ES3_N6thrust23THRUST_200600_302600_NS6detail15normal_iteratorINS9_10device_ptrIiEEEENSB_INSC_IjEEEESE_iNS9_4plusIvEENS9_8equal_toIvEEiEE10hipError_tPvRmT2_T3_T4_T5_mT6_T7_P12ihipStream_tbENKUlT_T0_E_clISt17integral_constantIbLb1EES11_EEDaSW_SX_EUlSW_E_NS1_11comp_targetILNS1_3genE3ELNS1_11target_archE908ELNS1_3gpuE7ELNS1_3repE0EEENS1_30default_config_static_selectorELNS0_4arch9wavefront6targetE0EEEvT1_,"axG",@progbits,_ZN7rocprim17ROCPRIM_400000_NS6detail17trampoline_kernelINS0_14default_configENS1_27scan_by_key_config_selectorIiiEEZZNS1_16scan_by_key_implILNS1_25lookback_scan_determinismE0ELb1ES3_N6thrust23THRUST_200600_302600_NS6detail15normal_iteratorINS9_10device_ptrIiEEEENSB_INSC_IjEEEESE_iNS9_4plusIvEENS9_8equal_toIvEEiEE10hipError_tPvRmT2_T3_T4_T5_mT6_T7_P12ihipStream_tbENKUlT_T0_E_clISt17integral_constantIbLb1EES11_EEDaSW_SX_EUlSW_E_NS1_11comp_targetILNS1_3genE3ELNS1_11target_archE908ELNS1_3gpuE7ELNS1_3repE0EEENS1_30default_config_static_selectorELNS0_4arch9wavefront6targetE0EEEvT1_,comdat
.Lfunc_end1765:
	.size	_ZN7rocprim17ROCPRIM_400000_NS6detail17trampoline_kernelINS0_14default_configENS1_27scan_by_key_config_selectorIiiEEZZNS1_16scan_by_key_implILNS1_25lookback_scan_determinismE0ELb1ES3_N6thrust23THRUST_200600_302600_NS6detail15normal_iteratorINS9_10device_ptrIiEEEENSB_INSC_IjEEEESE_iNS9_4plusIvEENS9_8equal_toIvEEiEE10hipError_tPvRmT2_T3_T4_T5_mT6_T7_P12ihipStream_tbENKUlT_T0_E_clISt17integral_constantIbLb1EES11_EEDaSW_SX_EUlSW_E_NS1_11comp_targetILNS1_3genE3ELNS1_11target_archE908ELNS1_3gpuE7ELNS1_3repE0EEENS1_30default_config_static_selectorELNS0_4arch9wavefront6targetE0EEEvT1_, .Lfunc_end1765-_ZN7rocprim17ROCPRIM_400000_NS6detail17trampoline_kernelINS0_14default_configENS1_27scan_by_key_config_selectorIiiEEZZNS1_16scan_by_key_implILNS1_25lookback_scan_determinismE0ELb1ES3_N6thrust23THRUST_200600_302600_NS6detail15normal_iteratorINS9_10device_ptrIiEEEENSB_INSC_IjEEEESE_iNS9_4plusIvEENS9_8equal_toIvEEiEE10hipError_tPvRmT2_T3_T4_T5_mT6_T7_P12ihipStream_tbENKUlT_T0_E_clISt17integral_constantIbLb1EES11_EEDaSW_SX_EUlSW_E_NS1_11comp_targetILNS1_3genE3ELNS1_11target_archE908ELNS1_3gpuE7ELNS1_3repE0EEENS1_30default_config_static_selectorELNS0_4arch9wavefront6targetE0EEEvT1_
                                        ; -- End function
	.set _ZN7rocprim17ROCPRIM_400000_NS6detail17trampoline_kernelINS0_14default_configENS1_27scan_by_key_config_selectorIiiEEZZNS1_16scan_by_key_implILNS1_25lookback_scan_determinismE0ELb1ES3_N6thrust23THRUST_200600_302600_NS6detail15normal_iteratorINS9_10device_ptrIiEEEENSB_INSC_IjEEEESE_iNS9_4plusIvEENS9_8equal_toIvEEiEE10hipError_tPvRmT2_T3_T4_T5_mT6_T7_P12ihipStream_tbENKUlT_T0_E_clISt17integral_constantIbLb1EES11_EEDaSW_SX_EUlSW_E_NS1_11comp_targetILNS1_3genE3ELNS1_11target_archE908ELNS1_3gpuE7ELNS1_3repE0EEENS1_30default_config_static_selectorELNS0_4arch9wavefront6targetE0EEEvT1_.num_vgpr, 0
	.set _ZN7rocprim17ROCPRIM_400000_NS6detail17trampoline_kernelINS0_14default_configENS1_27scan_by_key_config_selectorIiiEEZZNS1_16scan_by_key_implILNS1_25lookback_scan_determinismE0ELb1ES3_N6thrust23THRUST_200600_302600_NS6detail15normal_iteratorINS9_10device_ptrIiEEEENSB_INSC_IjEEEESE_iNS9_4plusIvEENS9_8equal_toIvEEiEE10hipError_tPvRmT2_T3_T4_T5_mT6_T7_P12ihipStream_tbENKUlT_T0_E_clISt17integral_constantIbLb1EES11_EEDaSW_SX_EUlSW_E_NS1_11comp_targetILNS1_3genE3ELNS1_11target_archE908ELNS1_3gpuE7ELNS1_3repE0EEENS1_30default_config_static_selectorELNS0_4arch9wavefront6targetE0EEEvT1_.num_agpr, 0
	.set _ZN7rocprim17ROCPRIM_400000_NS6detail17trampoline_kernelINS0_14default_configENS1_27scan_by_key_config_selectorIiiEEZZNS1_16scan_by_key_implILNS1_25lookback_scan_determinismE0ELb1ES3_N6thrust23THRUST_200600_302600_NS6detail15normal_iteratorINS9_10device_ptrIiEEEENSB_INSC_IjEEEESE_iNS9_4plusIvEENS9_8equal_toIvEEiEE10hipError_tPvRmT2_T3_T4_T5_mT6_T7_P12ihipStream_tbENKUlT_T0_E_clISt17integral_constantIbLb1EES11_EEDaSW_SX_EUlSW_E_NS1_11comp_targetILNS1_3genE3ELNS1_11target_archE908ELNS1_3gpuE7ELNS1_3repE0EEENS1_30default_config_static_selectorELNS0_4arch9wavefront6targetE0EEEvT1_.numbered_sgpr, 0
	.set _ZN7rocprim17ROCPRIM_400000_NS6detail17trampoline_kernelINS0_14default_configENS1_27scan_by_key_config_selectorIiiEEZZNS1_16scan_by_key_implILNS1_25lookback_scan_determinismE0ELb1ES3_N6thrust23THRUST_200600_302600_NS6detail15normal_iteratorINS9_10device_ptrIiEEEENSB_INSC_IjEEEESE_iNS9_4plusIvEENS9_8equal_toIvEEiEE10hipError_tPvRmT2_T3_T4_T5_mT6_T7_P12ihipStream_tbENKUlT_T0_E_clISt17integral_constantIbLb1EES11_EEDaSW_SX_EUlSW_E_NS1_11comp_targetILNS1_3genE3ELNS1_11target_archE908ELNS1_3gpuE7ELNS1_3repE0EEENS1_30default_config_static_selectorELNS0_4arch9wavefront6targetE0EEEvT1_.num_named_barrier, 0
	.set _ZN7rocprim17ROCPRIM_400000_NS6detail17trampoline_kernelINS0_14default_configENS1_27scan_by_key_config_selectorIiiEEZZNS1_16scan_by_key_implILNS1_25lookback_scan_determinismE0ELb1ES3_N6thrust23THRUST_200600_302600_NS6detail15normal_iteratorINS9_10device_ptrIiEEEENSB_INSC_IjEEEESE_iNS9_4plusIvEENS9_8equal_toIvEEiEE10hipError_tPvRmT2_T3_T4_T5_mT6_T7_P12ihipStream_tbENKUlT_T0_E_clISt17integral_constantIbLb1EES11_EEDaSW_SX_EUlSW_E_NS1_11comp_targetILNS1_3genE3ELNS1_11target_archE908ELNS1_3gpuE7ELNS1_3repE0EEENS1_30default_config_static_selectorELNS0_4arch9wavefront6targetE0EEEvT1_.private_seg_size, 0
	.set _ZN7rocprim17ROCPRIM_400000_NS6detail17trampoline_kernelINS0_14default_configENS1_27scan_by_key_config_selectorIiiEEZZNS1_16scan_by_key_implILNS1_25lookback_scan_determinismE0ELb1ES3_N6thrust23THRUST_200600_302600_NS6detail15normal_iteratorINS9_10device_ptrIiEEEENSB_INSC_IjEEEESE_iNS9_4plusIvEENS9_8equal_toIvEEiEE10hipError_tPvRmT2_T3_T4_T5_mT6_T7_P12ihipStream_tbENKUlT_T0_E_clISt17integral_constantIbLb1EES11_EEDaSW_SX_EUlSW_E_NS1_11comp_targetILNS1_3genE3ELNS1_11target_archE908ELNS1_3gpuE7ELNS1_3repE0EEENS1_30default_config_static_selectorELNS0_4arch9wavefront6targetE0EEEvT1_.uses_vcc, 0
	.set _ZN7rocprim17ROCPRIM_400000_NS6detail17trampoline_kernelINS0_14default_configENS1_27scan_by_key_config_selectorIiiEEZZNS1_16scan_by_key_implILNS1_25lookback_scan_determinismE0ELb1ES3_N6thrust23THRUST_200600_302600_NS6detail15normal_iteratorINS9_10device_ptrIiEEEENSB_INSC_IjEEEESE_iNS9_4plusIvEENS9_8equal_toIvEEiEE10hipError_tPvRmT2_T3_T4_T5_mT6_T7_P12ihipStream_tbENKUlT_T0_E_clISt17integral_constantIbLb1EES11_EEDaSW_SX_EUlSW_E_NS1_11comp_targetILNS1_3genE3ELNS1_11target_archE908ELNS1_3gpuE7ELNS1_3repE0EEENS1_30default_config_static_selectorELNS0_4arch9wavefront6targetE0EEEvT1_.uses_flat_scratch, 0
	.set _ZN7rocprim17ROCPRIM_400000_NS6detail17trampoline_kernelINS0_14default_configENS1_27scan_by_key_config_selectorIiiEEZZNS1_16scan_by_key_implILNS1_25lookback_scan_determinismE0ELb1ES3_N6thrust23THRUST_200600_302600_NS6detail15normal_iteratorINS9_10device_ptrIiEEEENSB_INSC_IjEEEESE_iNS9_4plusIvEENS9_8equal_toIvEEiEE10hipError_tPvRmT2_T3_T4_T5_mT6_T7_P12ihipStream_tbENKUlT_T0_E_clISt17integral_constantIbLb1EES11_EEDaSW_SX_EUlSW_E_NS1_11comp_targetILNS1_3genE3ELNS1_11target_archE908ELNS1_3gpuE7ELNS1_3repE0EEENS1_30default_config_static_selectorELNS0_4arch9wavefront6targetE0EEEvT1_.has_dyn_sized_stack, 0
	.set _ZN7rocprim17ROCPRIM_400000_NS6detail17trampoline_kernelINS0_14default_configENS1_27scan_by_key_config_selectorIiiEEZZNS1_16scan_by_key_implILNS1_25lookback_scan_determinismE0ELb1ES3_N6thrust23THRUST_200600_302600_NS6detail15normal_iteratorINS9_10device_ptrIiEEEENSB_INSC_IjEEEESE_iNS9_4plusIvEENS9_8equal_toIvEEiEE10hipError_tPvRmT2_T3_T4_T5_mT6_T7_P12ihipStream_tbENKUlT_T0_E_clISt17integral_constantIbLb1EES11_EEDaSW_SX_EUlSW_E_NS1_11comp_targetILNS1_3genE3ELNS1_11target_archE908ELNS1_3gpuE7ELNS1_3repE0EEENS1_30default_config_static_selectorELNS0_4arch9wavefront6targetE0EEEvT1_.has_recursion, 0
	.set _ZN7rocprim17ROCPRIM_400000_NS6detail17trampoline_kernelINS0_14default_configENS1_27scan_by_key_config_selectorIiiEEZZNS1_16scan_by_key_implILNS1_25lookback_scan_determinismE0ELb1ES3_N6thrust23THRUST_200600_302600_NS6detail15normal_iteratorINS9_10device_ptrIiEEEENSB_INSC_IjEEEESE_iNS9_4plusIvEENS9_8equal_toIvEEiEE10hipError_tPvRmT2_T3_T4_T5_mT6_T7_P12ihipStream_tbENKUlT_T0_E_clISt17integral_constantIbLb1EES11_EEDaSW_SX_EUlSW_E_NS1_11comp_targetILNS1_3genE3ELNS1_11target_archE908ELNS1_3gpuE7ELNS1_3repE0EEENS1_30default_config_static_selectorELNS0_4arch9wavefront6targetE0EEEvT1_.has_indirect_call, 0
	.section	.AMDGPU.csdata,"",@progbits
; Kernel info:
; codeLenInByte = 0
; TotalNumSgprs: 0
; NumVgprs: 0
; ScratchSize: 0
; MemoryBound: 0
; FloatMode: 240
; IeeeMode: 1
; LDSByteSize: 0 bytes/workgroup (compile time only)
; SGPRBlocks: 0
; VGPRBlocks: 0
; NumSGPRsForWavesPerEU: 1
; NumVGPRsForWavesPerEU: 1
; Occupancy: 16
; WaveLimiterHint : 0
; COMPUTE_PGM_RSRC2:SCRATCH_EN: 0
; COMPUTE_PGM_RSRC2:USER_SGPR: 6
; COMPUTE_PGM_RSRC2:TRAP_HANDLER: 0
; COMPUTE_PGM_RSRC2:TGID_X_EN: 1
; COMPUTE_PGM_RSRC2:TGID_Y_EN: 0
; COMPUTE_PGM_RSRC2:TGID_Z_EN: 0
; COMPUTE_PGM_RSRC2:TIDIG_COMP_CNT: 0
	.section	.text._ZN7rocprim17ROCPRIM_400000_NS6detail17trampoline_kernelINS0_14default_configENS1_27scan_by_key_config_selectorIiiEEZZNS1_16scan_by_key_implILNS1_25lookback_scan_determinismE0ELb1ES3_N6thrust23THRUST_200600_302600_NS6detail15normal_iteratorINS9_10device_ptrIiEEEENSB_INSC_IjEEEESE_iNS9_4plusIvEENS9_8equal_toIvEEiEE10hipError_tPvRmT2_T3_T4_T5_mT6_T7_P12ihipStream_tbENKUlT_T0_E_clISt17integral_constantIbLb1EES11_EEDaSW_SX_EUlSW_E_NS1_11comp_targetILNS1_3genE2ELNS1_11target_archE906ELNS1_3gpuE6ELNS1_3repE0EEENS1_30default_config_static_selectorELNS0_4arch9wavefront6targetE0EEEvT1_,"axG",@progbits,_ZN7rocprim17ROCPRIM_400000_NS6detail17trampoline_kernelINS0_14default_configENS1_27scan_by_key_config_selectorIiiEEZZNS1_16scan_by_key_implILNS1_25lookback_scan_determinismE0ELb1ES3_N6thrust23THRUST_200600_302600_NS6detail15normal_iteratorINS9_10device_ptrIiEEEENSB_INSC_IjEEEESE_iNS9_4plusIvEENS9_8equal_toIvEEiEE10hipError_tPvRmT2_T3_T4_T5_mT6_T7_P12ihipStream_tbENKUlT_T0_E_clISt17integral_constantIbLb1EES11_EEDaSW_SX_EUlSW_E_NS1_11comp_targetILNS1_3genE2ELNS1_11target_archE906ELNS1_3gpuE6ELNS1_3repE0EEENS1_30default_config_static_selectorELNS0_4arch9wavefront6targetE0EEEvT1_,comdat
	.protected	_ZN7rocprim17ROCPRIM_400000_NS6detail17trampoline_kernelINS0_14default_configENS1_27scan_by_key_config_selectorIiiEEZZNS1_16scan_by_key_implILNS1_25lookback_scan_determinismE0ELb1ES3_N6thrust23THRUST_200600_302600_NS6detail15normal_iteratorINS9_10device_ptrIiEEEENSB_INSC_IjEEEESE_iNS9_4plusIvEENS9_8equal_toIvEEiEE10hipError_tPvRmT2_T3_T4_T5_mT6_T7_P12ihipStream_tbENKUlT_T0_E_clISt17integral_constantIbLb1EES11_EEDaSW_SX_EUlSW_E_NS1_11comp_targetILNS1_3genE2ELNS1_11target_archE906ELNS1_3gpuE6ELNS1_3repE0EEENS1_30default_config_static_selectorELNS0_4arch9wavefront6targetE0EEEvT1_ ; -- Begin function _ZN7rocprim17ROCPRIM_400000_NS6detail17trampoline_kernelINS0_14default_configENS1_27scan_by_key_config_selectorIiiEEZZNS1_16scan_by_key_implILNS1_25lookback_scan_determinismE0ELb1ES3_N6thrust23THRUST_200600_302600_NS6detail15normal_iteratorINS9_10device_ptrIiEEEENSB_INSC_IjEEEESE_iNS9_4plusIvEENS9_8equal_toIvEEiEE10hipError_tPvRmT2_T3_T4_T5_mT6_T7_P12ihipStream_tbENKUlT_T0_E_clISt17integral_constantIbLb1EES11_EEDaSW_SX_EUlSW_E_NS1_11comp_targetILNS1_3genE2ELNS1_11target_archE906ELNS1_3gpuE6ELNS1_3repE0EEENS1_30default_config_static_selectorELNS0_4arch9wavefront6targetE0EEEvT1_
	.globl	_ZN7rocprim17ROCPRIM_400000_NS6detail17trampoline_kernelINS0_14default_configENS1_27scan_by_key_config_selectorIiiEEZZNS1_16scan_by_key_implILNS1_25lookback_scan_determinismE0ELb1ES3_N6thrust23THRUST_200600_302600_NS6detail15normal_iteratorINS9_10device_ptrIiEEEENSB_INSC_IjEEEESE_iNS9_4plusIvEENS9_8equal_toIvEEiEE10hipError_tPvRmT2_T3_T4_T5_mT6_T7_P12ihipStream_tbENKUlT_T0_E_clISt17integral_constantIbLb1EES11_EEDaSW_SX_EUlSW_E_NS1_11comp_targetILNS1_3genE2ELNS1_11target_archE906ELNS1_3gpuE6ELNS1_3repE0EEENS1_30default_config_static_selectorELNS0_4arch9wavefront6targetE0EEEvT1_
	.p2align	8
	.type	_ZN7rocprim17ROCPRIM_400000_NS6detail17trampoline_kernelINS0_14default_configENS1_27scan_by_key_config_selectorIiiEEZZNS1_16scan_by_key_implILNS1_25lookback_scan_determinismE0ELb1ES3_N6thrust23THRUST_200600_302600_NS6detail15normal_iteratorINS9_10device_ptrIiEEEENSB_INSC_IjEEEESE_iNS9_4plusIvEENS9_8equal_toIvEEiEE10hipError_tPvRmT2_T3_T4_T5_mT6_T7_P12ihipStream_tbENKUlT_T0_E_clISt17integral_constantIbLb1EES11_EEDaSW_SX_EUlSW_E_NS1_11comp_targetILNS1_3genE2ELNS1_11target_archE906ELNS1_3gpuE6ELNS1_3repE0EEENS1_30default_config_static_selectorELNS0_4arch9wavefront6targetE0EEEvT1_,@function
_ZN7rocprim17ROCPRIM_400000_NS6detail17trampoline_kernelINS0_14default_configENS1_27scan_by_key_config_selectorIiiEEZZNS1_16scan_by_key_implILNS1_25lookback_scan_determinismE0ELb1ES3_N6thrust23THRUST_200600_302600_NS6detail15normal_iteratorINS9_10device_ptrIiEEEENSB_INSC_IjEEEESE_iNS9_4plusIvEENS9_8equal_toIvEEiEE10hipError_tPvRmT2_T3_T4_T5_mT6_T7_P12ihipStream_tbENKUlT_T0_E_clISt17integral_constantIbLb1EES11_EEDaSW_SX_EUlSW_E_NS1_11comp_targetILNS1_3genE2ELNS1_11target_archE906ELNS1_3gpuE6ELNS1_3repE0EEENS1_30default_config_static_selectorELNS0_4arch9wavefront6targetE0EEEvT1_: ; @_ZN7rocprim17ROCPRIM_400000_NS6detail17trampoline_kernelINS0_14default_configENS1_27scan_by_key_config_selectorIiiEEZZNS1_16scan_by_key_implILNS1_25lookback_scan_determinismE0ELb1ES3_N6thrust23THRUST_200600_302600_NS6detail15normal_iteratorINS9_10device_ptrIiEEEENSB_INSC_IjEEEESE_iNS9_4plusIvEENS9_8equal_toIvEEiEE10hipError_tPvRmT2_T3_T4_T5_mT6_T7_P12ihipStream_tbENKUlT_T0_E_clISt17integral_constantIbLb1EES11_EEDaSW_SX_EUlSW_E_NS1_11comp_targetILNS1_3genE2ELNS1_11target_archE906ELNS1_3gpuE6ELNS1_3repE0EEENS1_30default_config_static_selectorELNS0_4arch9wavefront6targetE0EEEvT1_
; %bb.0:
	.section	.rodata,"a",@progbits
	.p2align	6, 0x0
	.amdhsa_kernel _ZN7rocprim17ROCPRIM_400000_NS6detail17trampoline_kernelINS0_14default_configENS1_27scan_by_key_config_selectorIiiEEZZNS1_16scan_by_key_implILNS1_25lookback_scan_determinismE0ELb1ES3_N6thrust23THRUST_200600_302600_NS6detail15normal_iteratorINS9_10device_ptrIiEEEENSB_INSC_IjEEEESE_iNS9_4plusIvEENS9_8equal_toIvEEiEE10hipError_tPvRmT2_T3_T4_T5_mT6_T7_P12ihipStream_tbENKUlT_T0_E_clISt17integral_constantIbLb1EES11_EEDaSW_SX_EUlSW_E_NS1_11comp_targetILNS1_3genE2ELNS1_11target_archE906ELNS1_3gpuE6ELNS1_3repE0EEENS1_30default_config_static_selectorELNS0_4arch9wavefront6targetE0EEEvT1_
		.amdhsa_group_segment_fixed_size 0
		.amdhsa_private_segment_fixed_size 0
		.amdhsa_kernarg_size 112
		.amdhsa_user_sgpr_count 6
		.amdhsa_user_sgpr_private_segment_buffer 1
		.amdhsa_user_sgpr_dispatch_ptr 0
		.amdhsa_user_sgpr_queue_ptr 0
		.amdhsa_user_sgpr_kernarg_segment_ptr 1
		.amdhsa_user_sgpr_dispatch_id 0
		.amdhsa_user_sgpr_flat_scratch_init 0
		.amdhsa_user_sgpr_private_segment_size 0
		.amdhsa_wavefront_size32 1
		.amdhsa_uses_dynamic_stack 0
		.amdhsa_system_sgpr_private_segment_wavefront_offset 0
		.amdhsa_system_sgpr_workgroup_id_x 1
		.amdhsa_system_sgpr_workgroup_id_y 0
		.amdhsa_system_sgpr_workgroup_id_z 0
		.amdhsa_system_sgpr_workgroup_info 0
		.amdhsa_system_vgpr_workitem_id 0
		.amdhsa_next_free_vgpr 1
		.amdhsa_next_free_sgpr 1
		.amdhsa_reserve_vcc 0
		.amdhsa_reserve_flat_scratch 0
		.amdhsa_float_round_mode_32 0
		.amdhsa_float_round_mode_16_64 0
		.amdhsa_float_denorm_mode_32 3
		.amdhsa_float_denorm_mode_16_64 3
		.amdhsa_dx10_clamp 1
		.amdhsa_ieee_mode 1
		.amdhsa_fp16_overflow 0
		.amdhsa_workgroup_processor_mode 1
		.amdhsa_memory_ordered 1
		.amdhsa_forward_progress 1
		.amdhsa_shared_vgpr_count 0
		.amdhsa_exception_fp_ieee_invalid_op 0
		.amdhsa_exception_fp_denorm_src 0
		.amdhsa_exception_fp_ieee_div_zero 0
		.amdhsa_exception_fp_ieee_overflow 0
		.amdhsa_exception_fp_ieee_underflow 0
		.amdhsa_exception_fp_ieee_inexact 0
		.amdhsa_exception_int_div_zero 0
	.end_amdhsa_kernel
	.section	.text._ZN7rocprim17ROCPRIM_400000_NS6detail17trampoline_kernelINS0_14default_configENS1_27scan_by_key_config_selectorIiiEEZZNS1_16scan_by_key_implILNS1_25lookback_scan_determinismE0ELb1ES3_N6thrust23THRUST_200600_302600_NS6detail15normal_iteratorINS9_10device_ptrIiEEEENSB_INSC_IjEEEESE_iNS9_4plusIvEENS9_8equal_toIvEEiEE10hipError_tPvRmT2_T3_T4_T5_mT6_T7_P12ihipStream_tbENKUlT_T0_E_clISt17integral_constantIbLb1EES11_EEDaSW_SX_EUlSW_E_NS1_11comp_targetILNS1_3genE2ELNS1_11target_archE906ELNS1_3gpuE6ELNS1_3repE0EEENS1_30default_config_static_selectorELNS0_4arch9wavefront6targetE0EEEvT1_,"axG",@progbits,_ZN7rocprim17ROCPRIM_400000_NS6detail17trampoline_kernelINS0_14default_configENS1_27scan_by_key_config_selectorIiiEEZZNS1_16scan_by_key_implILNS1_25lookback_scan_determinismE0ELb1ES3_N6thrust23THRUST_200600_302600_NS6detail15normal_iteratorINS9_10device_ptrIiEEEENSB_INSC_IjEEEESE_iNS9_4plusIvEENS9_8equal_toIvEEiEE10hipError_tPvRmT2_T3_T4_T5_mT6_T7_P12ihipStream_tbENKUlT_T0_E_clISt17integral_constantIbLb1EES11_EEDaSW_SX_EUlSW_E_NS1_11comp_targetILNS1_3genE2ELNS1_11target_archE906ELNS1_3gpuE6ELNS1_3repE0EEENS1_30default_config_static_selectorELNS0_4arch9wavefront6targetE0EEEvT1_,comdat
.Lfunc_end1766:
	.size	_ZN7rocprim17ROCPRIM_400000_NS6detail17trampoline_kernelINS0_14default_configENS1_27scan_by_key_config_selectorIiiEEZZNS1_16scan_by_key_implILNS1_25lookback_scan_determinismE0ELb1ES3_N6thrust23THRUST_200600_302600_NS6detail15normal_iteratorINS9_10device_ptrIiEEEENSB_INSC_IjEEEESE_iNS9_4plusIvEENS9_8equal_toIvEEiEE10hipError_tPvRmT2_T3_T4_T5_mT6_T7_P12ihipStream_tbENKUlT_T0_E_clISt17integral_constantIbLb1EES11_EEDaSW_SX_EUlSW_E_NS1_11comp_targetILNS1_3genE2ELNS1_11target_archE906ELNS1_3gpuE6ELNS1_3repE0EEENS1_30default_config_static_selectorELNS0_4arch9wavefront6targetE0EEEvT1_, .Lfunc_end1766-_ZN7rocprim17ROCPRIM_400000_NS6detail17trampoline_kernelINS0_14default_configENS1_27scan_by_key_config_selectorIiiEEZZNS1_16scan_by_key_implILNS1_25lookback_scan_determinismE0ELb1ES3_N6thrust23THRUST_200600_302600_NS6detail15normal_iteratorINS9_10device_ptrIiEEEENSB_INSC_IjEEEESE_iNS9_4plusIvEENS9_8equal_toIvEEiEE10hipError_tPvRmT2_T3_T4_T5_mT6_T7_P12ihipStream_tbENKUlT_T0_E_clISt17integral_constantIbLb1EES11_EEDaSW_SX_EUlSW_E_NS1_11comp_targetILNS1_3genE2ELNS1_11target_archE906ELNS1_3gpuE6ELNS1_3repE0EEENS1_30default_config_static_selectorELNS0_4arch9wavefront6targetE0EEEvT1_
                                        ; -- End function
	.set _ZN7rocprim17ROCPRIM_400000_NS6detail17trampoline_kernelINS0_14default_configENS1_27scan_by_key_config_selectorIiiEEZZNS1_16scan_by_key_implILNS1_25lookback_scan_determinismE0ELb1ES3_N6thrust23THRUST_200600_302600_NS6detail15normal_iteratorINS9_10device_ptrIiEEEENSB_INSC_IjEEEESE_iNS9_4plusIvEENS9_8equal_toIvEEiEE10hipError_tPvRmT2_T3_T4_T5_mT6_T7_P12ihipStream_tbENKUlT_T0_E_clISt17integral_constantIbLb1EES11_EEDaSW_SX_EUlSW_E_NS1_11comp_targetILNS1_3genE2ELNS1_11target_archE906ELNS1_3gpuE6ELNS1_3repE0EEENS1_30default_config_static_selectorELNS0_4arch9wavefront6targetE0EEEvT1_.num_vgpr, 0
	.set _ZN7rocprim17ROCPRIM_400000_NS6detail17trampoline_kernelINS0_14default_configENS1_27scan_by_key_config_selectorIiiEEZZNS1_16scan_by_key_implILNS1_25lookback_scan_determinismE0ELb1ES3_N6thrust23THRUST_200600_302600_NS6detail15normal_iteratorINS9_10device_ptrIiEEEENSB_INSC_IjEEEESE_iNS9_4plusIvEENS9_8equal_toIvEEiEE10hipError_tPvRmT2_T3_T4_T5_mT6_T7_P12ihipStream_tbENKUlT_T0_E_clISt17integral_constantIbLb1EES11_EEDaSW_SX_EUlSW_E_NS1_11comp_targetILNS1_3genE2ELNS1_11target_archE906ELNS1_3gpuE6ELNS1_3repE0EEENS1_30default_config_static_selectorELNS0_4arch9wavefront6targetE0EEEvT1_.num_agpr, 0
	.set _ZN7rocprim17ROCPRIM_400000_NS6detail17trampoline_kernelINS0_14default_configENS1_27scan_by_key_config_selectorIiiEEZZNS1_16scan_by_key_implILNS1_25lookback_scan_determinismE0ELb1ES3_N6thrust23THRUST_200600_302600_NS6detail15normal_iteratorINS9_10device_ptrIiEEEENSB_INSC_IjEEEESE_iNS9_4plusIvEENS9_8equal_toIvEEiEE10hipError_tPvRmT2_T3_T4_T5_mT6_T7_P12ihipStream_tbENKUlT_T0_E_clISt17integral_constantIbLb1EES11_EEDaSW_SX_EUlSW_E_NS1_11comp_targetILNS1_3genE2ELNS1_11target_archE906ELNS1_3gpuE6ELNS1_3repE0EEENS1_30default_config_static_selectorELNS0_4arch9wavefront6targetE0EEEvT1_.numbered_sgpr, 0
	.set _ZN7rocprim17ROCPRIM_400000_NS6detail17trampoline_kernelINS0_14default_configENS1_27scan_by_key_config_selectorIiiEEZZNS1_16scan_by_key_implILNS1_25lookback_scan_determinismE0ELb1ES3_N6thrust23THRUST_200600_302600_NS6detail15normal_iteratorINS9_10device_ptrIiEEEENSB_INSC_IjEEEESE_iNS9_4plusIvEENS9_8equal_toIvEEiEE10hipError_tPvRmT2_T3_T4_T5_mT6_T7_P12ihipStream_tbENKUlT_T0_E_clISt17integral_constantIbLb1EES11_EEDaSW_SX_EUlSW_E_NS1_11comp_targetILNS1_3genE2ELNS1_11target_archE906ELNS1_3gpuE6ELNS1_3repE0EEENS1_30default_config_static_selectorELNS0_4arch9wavefront6targetE0EEEvT1_.num_named_barrier, 0
	.set _ZN7rocprim17ROCPRIM_400000_NS6detail17trampoline_kernelINS0_14default_configENS1_27scan_by_key_config_selectorIiiEEZZNS1_16scan_by_key_implILNS1_25lookback_scan_determinismE0ELb1ES3_N6thrust23THRUST_200600_302600_NS6detail15normal_iteratorINS9_10device_ptrIiEEEENSB_INSC_IjEEEESE_iNS9_4plusIvEENS9_8equal_toIvEEiEE10hipError_tPvRmT2_T3_T4_T5_mT6_T7_P12ihipStream_tbENKUlT_T0_E_clISt17integral_constantIbLb1EES11_EEDaSW_SX_EUlSW_E_NS1_11comp_targetILNS1_3genE2ELNS1_11target_archE906ELNS1_3gpuE6ELNS1_3repE0EEENS1_30default_config_static_selectorELNS0_4arch9wavefront6targetE0EEEvT1_.private_seg_size, 0
	.set _ZN7rocprim17ROCPRIM_400000_NS6detail17trampoline_kernelINS0_14default_configENS1_27scan_by_key_config_selectorIiiEEZZNS1_16scan_by_key_implILNS1_25lookback_scan_determinismE0ELb1ES3_N6thrust23THRUST_200600_302600_NS6detail15normal_iteratorINS9_10device_ptrIiEEEENSB_INSC_IjEEEESE_iNS9_4plusIvEENS9_8equal_toIvEEiEE10hipError_tPvRmT2_T3_T4_T5_mT6_T7_P12ihipStream_tbENKUlT_T0_E_clISt17integral_constantIbLb1EES11_EEDaSW_SX_EUlSW_E_NS1_11comp_targetILNS1_3genE2ELNS1_11target_archE906ELNS1_3gpuE6ELNS1_3repE0EEENS1_30default_config_static_selectorELNS0_4arch9wavefront6targetE0EEEvT1_.uses_vcc, 0
	.set _ZN7rocprim17ROCPRIM_400000_NS6detail17trampoline_kernelINS0_14default_configENS1_27scan_by_key_config_selectorIiiEEZZNS1_16scan_by_key_implILNS1_25lookback_scan_determinismE0ELb1ES3_N6thrust23THRUST_200600_302600_NS6detail15normal_iteratorINS9_10device_ptrIiEEEENSB_INSC_IjEEEESE_iNS9_4plusIvEENS9_8equal_toIvEEiEE10hipError_tPvRmT2_T3_T4_T5_mT6_T7_P12ihipStream_tbENKUlT_T0_E_clISt17integral_constantIbLb1EES11_EEDaSW_SX_EUlSW_E_NS1_11comp_targetILNS1_3genE2ELNS1_11target_archE906ELNS1_3gpuE6ELNS1_3repE0EEENS1_30default_config_static_selectorELNS0_4arch9wavefront6targetE0EEEvT1_.uses_flat_scratch, 0
	.set _ZN7rocprim17ROCPRIM_400000_NS6detail17trampoline_kernelINS0_14default_configENS1_27scan_by_key_config_selectorIiiEEZZNS1_16scan_by_key_implILNS1_25lookback_scan_determinismE0ELb1ES3_N6thrust23THRUST_200600_302600_NS6detail15normal_iteratorINS9_10device_ptrIiEEEENSB_INSC_IjEEEESE_iNS9_4plusIvEENS9_8equal_toIvEEiEE10hipError_tPvRmT2_T3_T4_T5_mT6_T7_P12ihipStream_tbENKUlT_T0_E_clISt17integral_constantIbLb1EES11_EEDaSW_SX_EUlSW_E_NS1_11comp_targetILNS1_3genE2ELNS1_11target_archE906ELNS1_3gpuE6ELNS1_3repE0EEENS1_30default_config_static_selectorELNS0_4arch9wavefront6targetE0EEEvT1_.has_dyn_sized_stack, 0
	.set _ZN7rocprim17ROCPRIM_400000_NS6detail17trampoline_kernelINS0_14default_configENS1_27scan_by_key_config_selectorIiiEEZZNS1_16scan_by_key_implILNS1_25lookback_scan_determinismE0ELb1ES3_N6thrust23THRUST_200600_302600_NS6detail15normal_iteratorINS9_10device_ptrIiEEEENSB_INSC_IjEEEESE_iNS9_4plusIvEENS9_8equal_toIvEEiEE10hipError_tPvRmT2_T3_T4_T5_mT6_T7_P12ihipStream_tbENKUlT_T0_E_clISt17integral_constantIbLb1EES11_EEDaSW_SX_EUlSW_E_NS1_11comp_targetILNS1_3genE2ELNS1_11target_archE906ELNS1_3gpuE6ELNS1_3repE0EEENS1_30default_config_static_selectorELNS0_4arch9wavefront6targetE0EEEvT1_.has_recursion, 0
	.set _ZN7rocprim17ROCPRIM_400000_NS6detail17trampoline_kernelINS0_14default_configENS1_27scan_by_key_config_selectorIiiEEZZNS1_16scan_by_key_implILNS1_25lookback_scan_determinismE0ELb1ES3_N6thrust23THRUST_200600_302600_NS6detail15normal_iteratorINS9_10device_ptrIiEEEENSB_INSC_IjEEEESE_iNS9_4plusIvEENS9_8equal_toIvEEiEE10hipError_tPvRmT2_T3_T4_T5_mT6_T7_P12ihipStream_tbENKUlT_T0_E_clISt17integral_constantIbLb1EES11_EEDaSW_SX_EUlSW_E_NS1_11comp_targetILNS1_3genE2ELNS1_11target_archE906ELNS1_3gpuE6ELNS1_3repE0EEENS1_30default_config_static_selectorELNS0_4arch9wavefront6targetE0EEEvT1_.has_indirect_call, 0
	.section	.AMDGPU.csdata,"",@progbits
; Kernel info:
; codeLenInByte = 0
; TotalNumSgprs: 0
; NumVgprs: 0
; ScratchSize: 0
; MemoryBound: 0
; FloatMode: 240
; IeeeMode: 1
; LDSByteSize: 0 bytes/workgroup (compile time only)
; SGPRBlocks: 0
; VGPRBlocks: 0
; NumSGPRsForWavesPerEU: 1
; NumVGPRsForWavesPerEU: 1
; Occupancy: 16
; WaveLimiterHint : 0
; COMPUTE_PGM_RSRC2:SCRATCH_EN: 0
; COMPUTE_PGM_RSRC2:USER_SGPR: 6
; COMPUTE_PGM_RSRC2:TRAP_HANDLER: 0
; COMPUTE_PGM_RSRC2:TGID_X_EN: 1
; COMPUTE_PGM_RSRC2:TGID_Y_EN: 0
; COMPUTE_PGM_RSRC2:TGID_Z_EN: 0
; COMPUTE_PGM_RSRC2:TIDIG_COMP_CNT: 0
	.section	.text._ZN7rocprim17ROCPRIM_400000_NS6detail17trampoline_kernelINS0_14default_configENS1_27scan_by_key_config_selectorIiiEEZZNS1_16scan_by_key_implILNS1_25lookback_scan_determinismE0ELb1ES3_N6thrust23THRUST_200600_302600_NS6detail15normal_iteratorINS9_10device_ptrIiEEEENSB_INSC_IjEEEESE_iNS9_4plusIvEENS9_8equal_toIvEEiEE10hipError_tPvRmT2_T3_T4_T5_mT6_T7_P12ihipStream_tbENKUlT_T0_E_clISt17integral_constantIbLb1EES11_EEDaSW_SX_EUlSW_E_NS1_11comp_targetILNS1_3genE10ELNS1_11target_archE1200ELNS1_3gpuE4ELNS1_3repE0EEENS1_30default_config_static_selectorELNS0_4arch9wavefront6targetE0EEEvT1_,"axG",@progbits,_ZN7rocprim17ROCPRIM_400000_NS6detail17trampoline_kernelINS0_14default_configENS1_27scan_by_key_config_selectorIiiEEZZNS1_16scan_by_key_implILNS1_25lookback_scan_determinismE0ELb1ES3_N6thrust23THRUST_200600_302600_NS6detail15normal_iteratorINS9_10device_ptrIiEEEENSB_INSC_IjEEEESE_iNS9_4plusIvEENS9_8equal_toIvEEiEE10hipError_tPvRmT2_T3_T4_T5_mT6_T7_P12ihipStream_tbENKUlT_T0_E_clISt17integral_constantIbLb1EES11_EEDaSW_SX_EUlSW_E_NS1_11comp_targetILNS1_3genE10ELNS1_11target_archE1200ELNS1_3gpuE4ELNS1_3repE0EEENS1_30default_config_static_selectorELNS0_4arch9wavefront6targetE0EEEvT1_,comdat
	.protected	_ZN7rocprim17ROCPRIM_400000_NS6detail17trampoline_kernelINS0_14default_configENS1_27scan_by_key_config_selectorIiiEEZZNS1_16scan_by_key_implILNS1_25lookback_scan_determinismE0ELb1ES3_N6thrust23THRUST_200600_302600_NS6detail15normal_iteratorINS9_10device_ptrIiEEEENSB_INSC_IjEEEESE_iNS9_4plusIvEENS9_8equal_toIvEEiEE10hipError_tPvRmT2_T3_T4_T5_mT6_T7_P12ihipStream_tbENKUlT_T0_E_clISt17integral_constantIbLb1EES11_EEDaSW_SX_EUlSW_E_NS1_11comp_targetILNS1_3genE10ELNS1_11target_archE1200ELNS1_3gpuE4ELNS1_3repE0EEENS1_30default_config_static_selectorELNS0_4arch9wavefront6targetE0EEEvT1_ ; -- Begin function _ZN7rocprim17ROCPRIM_400000_NS6detail17trampoline_kernelINS0_14default_configENS1_27scan_by_key_config_selectorIiiEEZZNS1_16scan_by_key_implILNS1_25lookback_scan_determinismE0ELb1ES3_N6thrust23THRUST_200600_302600_NS6detail15normal_iteratorINS9_10device_ptrIiEEEENSB_INSC_IjEEEESE_iNS9_4plusIvEENS9_8equal_toIvEEiEE10hipError_tPvRmT2_T3_T4_T5_mT6_T7_P12ihipStream_tbENKUlT_T0_E_clISt17integral_constantIbLb1EES11_EEDaSW_SX_EUlSW_E_NS1_11comp_targetILNS1_3genE10ELNS1_11target_archE1200ELNS1_3gpuE4ELNS1_3repE0EEENS1_30default_config_static_selectorELNS0_4arch9wavefront6targetE0EEEvT1_
	.globl	_ZN7rocprim17ROCPRIM_400000_NS6detail17trampoline_kernelINS0_14default_configENS1_27scan_by_key_config_selectorIiiEEZZNS1_16scan_by_key_implILNS1_25lookback_scan_determinismE0ELb1ES3_N6thrust23THRUST_200600_302600_NS6detail15normal_iteratorINS9_10device_ptrIiEEEENSB_INSC_IjEEEESE_iNS9_4plusIvEENS9_8equal_toIvEEiEE10hipError_tPvRmT2_T3_T4_T5_mT6_T7_P12ihipStream_tbENKUlT_T0_E_clISt17integral_constantIbLb1EES11_EEDaSW_SX_EUlSW_E_NS1_11comp_targetILNS1_3genE10ELNS1_11target_archE1200ELNS1_3gpuE4ELNS1_3repE0EEENS1_30default_config_static_selectorELNS0_4arch9wavefront6targetE0EEEvT1_
	.p2align	8
	.type	_ZN7rocprim17ROCPRIM_400000_NS6detail17trampoline_kernelINS0_14default_configENS1_27scan_by_key_config_selectorIiiEEZZNS1_16scan_by_key_implILNS1_25lookback_scan_determinismE0ELb1ES3_N6thrust23THRUST_200600_302600_NS6detail15normal_iteratorINS9_10device_ptrIiEEEENSB_INSC_IjEEEESE_iNS9_4plusIvEENS9_8equal_toIvEEiEE10hipError_tPvRmT2_T3_T4_T5_mT6_T7_P12ihipStream_tbENKUlT_T0_E_clISt17integral_constantIbLb1EES11_EEDaSW_SX_EUlSW_E_NS1_11comp_targetILNS1_3genE10ELNS1_11target_archE1200ELNS1_3gpuE4ELNS1_3repE0EEENS1_30default_config_static_selectorELNS0_4arch9wavefront6targetE0EEEvT1_,@function
_ZN7rocprim17ROCPRIM_400000_NS6detail17trampoline_kernelINS0_14default_configENS1_27scan_by_key_config_selectorIiiEEZZNS1_16scan_by_key_implILNS1_25lookback_scan_determinismE0ELb1ES3_N6thrust23THRUST_200600_302600_NS6detail15normal_iteratorINS9_10device_ptrIiEEEENSB_INSC_IjEEEESE_iNS9_4plusIvEENS9_8equal_toIvEEiEE10hipError_tPvRmT2_T3_T4_T5_mT6_T7_P12ihipStream_tbENKUlT_T0_E_clISt17integral_constantIbLb1EES11_EEDaSW_SX_EUlSW_E_NS1_11comp_targetILNS1_3genE10ELNS1_11target_archE1200ELNS1_3gpuE4ELNS1_3repE0EEENS1_30default_config_static_selectorELNS0_4arch9wavefront6targetE0EEEvT1_: ; @_ZN7rocprim17ROCPRIM_400000_NS6detail17trampoline_kernelINS0_14default_configENS1_27scan_by_key_config_selectorIiiEEZZNS1_16scan_by_key_implILNS1_25lookback_scan_determinismE0ELb1ES3_N6thrust23THRUST_200600_302600_NS6detail15normal_iteratorINS9_10device_ptrIiEEEENSB_INSC_IjEEEESE_iNS9_4plusIvEENS9_8equal_toIvEEiEE10hipError_tPvRmT2_T3_T4_T5_mT6_T7_P12ihipStream_tbENKUlT_T0_E_clISt17integral_constantIbLb1EES11_EEDaSW_SX_EUlSW_E_NS1_11comp_targetILNS1_3genE10ELNS1_11target_archE1200ELNS1_3gpuE4ELNS1_3repE0EEENS1_30default_config_static_selectorELNS0_4arch9wavefront6targetE0EEEvT1_
; %bb.0:
	.section	.rodata,"a",@progbits
	.p2align	6, 0x0
	.amdhsa_kernel _ZN7rocprim17ROCPRIM_400000_NS6detail17trampoline_kernelINS0_14default_configENS1_27scan_by_key_config_selectorIiiEEZZNS1_16scan_by_key_implILNS1_25lookback_scan_determinismE0ELb1ES3_N6thrust23THRUST_200600_302600_NS6detail15normal_iteratorINS9_10device_ptrIiEEEENSB_INSC_IjEEEESE_iNS9_4plusIvEENS9_8equal_toIvEEiEE10hipError_tPvRmT2_T3_T4_T5_mT6_T7_P12ihipStream_tbENKUlT_T0_E_clISt17integral_constantIbLb1EES11_EEDaSW_SX_EUlSW_E_NS1_11comp_targetILNS1_3genE10ELNS1_11target_archE1200ELNS1_3gpuE4ELNS1_3repE0EEENS1_30default_config_static_selectorELNS0_4arch9wavefront6targetE0EEEvT1_
		.amdhsa_group_segment_fixed_size 0
		.amdhsa_private_segment_fixed_size 0
		.amdhsa_kernarg_size 112
		.amdhsa_user_sgpr_count 6
		.amdhsa_user_sgpr_private_segment_buffer 1
		.amdhsa_user_sgpr_dispatch_ptr 0
		.amdhsa_user_sgpr_queue_ptr 0
		.amdhsa_user_sgpr_kernarg_segment_ptr 1
		.amdhsa_user_sgpr_dispatch_id 0
		.amdhsa_user_sgpr_flat_scratch_init 0
		.amdhsa_user_sgpr_private_segment_size 0
		.amdhsa_wavefront_size32 1
		.amdhsa_uses_dynamic_stack 0
		.amdhsa_system_sgpr_private_segment_wavefront_offset 0
		.amdhsa_system_sgpr_workgroup_id_x 1
		.amdhsa_system_sgpr_workgroup_id_y 0
		.amdhsa_system_sgpr_workgroup_id_z 0
		.amdhsa_system_sgpr_workgroup_info 0
		.amdhsa_system_vgpr_workitem_id 0
		.amdhsa_next_free_vgpr 1
		.amdhsa_next_free_sgpr 1
		.amdhsa_reserve_vcc 0
		.amdhsa_reserve_flat_scratch 0
		.amdhsa_float_round_mode_32 0
		.amdhsa_float_round_mode_16_64 0
		.amdhsa_float_denorm_mode_32 3
		.amdhsa_float_denorm_mode_16_64 3
		.amdhsa_dx10_clamp 1
		.amdhsa_ieee_mode 1
		.amdhsa_fp16_overflow 0
		.amdhsa_workgroup_processor_mode 1
		.amdhsa_memory_ordered 1
		.amdhsa_forward_progress 1
		.amdhsa_shared_vgpr_count 0
		.amdhsa_exception_fp_ieee_invalid_op 0
		.amdhsa_exception_fp_denorm_src 0
		.amdhsa_exception_fp_ieee_div_zero 0
		.amdhsa_exception_fp_ieee_overflow 0
		.amdhsa_exception_fp_ieee_underflow 0
		.amdhsa_exception_fp_ieee_inexact 0
		.amdhsa_exception_int_div_zero 0
	.end_amdhsa_kernel
	.section	.text._ZN7rocprim17ROCPRIM_400000_NS6detail17trampoline_kernelINS0_14default_configENS1_27scan_by_key_config_selectorIiiEEZZNS1_16scan_by_key_implILNS1_25lookback_scan_determinismE0ELb1ES3_N6thrust23THRUST_200600_302600_NS6detail15normal_iteratorINS9_10device_ptrIiEEEENSB_INSC_IjEEEESE_iNS9_4plusIvEENS9_8equal_toIvEEiEE10hipError_tPvRmT2_T3_T4_T5_mT6_T7_P12ihipStream_tbENKUlT_T0_E_clISt17integral_constantIbLb1EES11_EEDaSW_SX_EUlSW_E_NS1_11comp_targetILNS1_3genE10ELNS1_11target_archE1200ELNS1_3gpuE4ELNS1_3repE0EEENS1_30default_config_static_selectorELNS0_4arch9wavefront6targetE0EEEvT1_,"axG",@progbits,_ZN7rocprim17ROCPRIM_400000_NS6detail17trampoline_kernelINS0_14default_configENS1_27scan_by_key_config_selectorIiiEEZZNS1_16scan_by_key_implILNS1_25lookback_scan_determinismE0ELb1ES3_N6thrust23THRUST_200600_302600_NS6detail15normal_iteratorINS9_10device_ptrIiEEEENSB_INSC_IjEEEESE_iNS9_4plusIvEENS9_8equal_toIvEEiEE10hipError_tPvRmT2_T3_T4_T5_mT6_T7_P12ihipStream_tbENKUlT_T0_E_clISt17integral_constantIbLb1EES11_EEDaSW_SX_EUlSW_E_NS1_11comp_targetILNS1_3genE10ELNS1_11target_archE1200ELNS1_3gpuE4ELNS1_3repE0EEENS1_30default_config_static_selectorELNS0_4arch9wavefront6targetE0EEEvT1_,comdat
.Lfunc_end1767:
	.size	_ZN7rocprim17ROCPRIM_400000_NS6detail17trampoline_kernelINS0_14default_configENS1_27scan_by_key_config_selectorIiiEEZZNS1_16scan_by_key_implILNS1_25lookback_scan_determinismE0ELb1ES3_N6thrust23THRUST_200600_302600_NS6detail15normal_iteratorINS9_10device_ptrIiEEEENSB_INSC_IjEEEESE_iNS9_4plusIvEENS9_8equal_toIvEEiEE10hipError_tPvRmT2_T3_T4_T5_mT6_T7_P12ihipStream_tbENKUlT_T0_E_clISt17integral_constantIbLb1EES11_EEDaSW_SX_EUlSW_E_NS1_11comp_targetILNS1_3genE10ELNS1_11target_archE1200ELNS1_3gpuE4ELNS1_3repE0EEENS1_30default_config_static_selectorELNS0_4arch9wavefront6targetE0EEEvT1_, .Lfunc_end1767-_ZN7rocprim17ROCPRIM_400000_NS6detail17trampoline_kernelINS0_14default_configENS1_27scan_by_key_config_selectorIiiEEZZNS1_16scan_by_key_implILNS1_25lookback_scan_determinismE0ELb1ES3_N6thrust23THRUST_200600_302600_NS6detail15normal_iteratorINS9_10device_ptrIiEEEENSB_INSC_IjEEEESE_iNS9_4plusIvEENS9_8equal_toIvEEiEE10hipError_tPvRmT2_T3_T4_T5_mT6_T7_P12ihipStream_tbENKUlT_T0_E_clISt17integral_constantIbLb1EES11_EEDaSW_SX_EUlSW_E_NS1_11comp_targetILNS1_3genE10ELNS1_11target_archE1200ELNS1_3gpuE4ELNS1_3repE0EEENS1_30default_config_static_selectorELNS0_4arch9wavefront6targetE0EEEvT1_
                                        ; -- End function
	.set _ZN7rocprim17ROCPRIM_400000_NS6detail17trampoline_kernelINS0_14default_configENS1_27scan_by_key_config_selectorIiiEEZZNS1_16scan_by_key_implILNS1_25lookback_scan_determinismE0ELb1ES3_N6thrust23THRUST_200600_302600_NS6detail15normal_iteratorINS9_10device_ptrIiEEEENSB_INSC_IjEEEESE_iNS9_4plusIvEENS9_8equal_toIvEEiEE10hipError_tPvRmT2_T3_T4_T5_mT6_T7_P12ihipStream_tbENKUlT_T0_E_clISt17integral_constantIbLb1EES11_EEDaSW_SX_EUlSW_E_NS1_11comp_targetILNS1_3genE10ELNS1_11target_archE1200ELNS1_3gpuE4ELNS1_3repE0EEENS1_30default_config_static_selectorELNS0_4arch9wavefront6targetE0EEEvT1_.num_vgpr, 0
	.set _ZN7rocprim17ROCPRIM_400000_NS6detail17trampoline_kernelINS0_14default_configENS1_27scan_by_key_config_selectorIiiEEZZNS1_16scan_by_key_implILNS1_25lookback_scan_determinismE0ELb1ES3_N6thrust23THRUST_200600_302600_NS6detail15normal_iteratorINS9_10device_ptrIiEEEENSB_INSC_IjEEEESE_iNS9_4plusIvEENS9_8equal_toIvEEiEE10hipError_tPvRmT2_T3_T4_T5_mT6_T7_P12ihipStream_tbENKUlT_T0_E_clISt17integral_constantIbLb1EES11_EEDaSW_SX_EUlSW_E_NS1_11comp_targetILNS1_3genE10ELNS1_11target_archE1200ELNS1_3gpuE4ELNS1_3repE0EEENS1_30default_config_static_selectorELNS0_4arch9wavefront6targetE0EEEvT1_.num_agpr, 0
	.set _ZN7rocprim17ROCPRIM_400000_NS6detail17trampoline_kernelINS0_14default_configENS1_27scan_by_key_config_selectorIiiEEZZNS1_16scan_by_key_implILNS1_25lookback_scan_determinismE0ELb1ES3_N6thrust23THRUST_200600_302600_NS6detail15normal_iteratorINS9_10device_ptrIiEEEENSB_INSC_IjEEEESE_iNS9_4plusIvEENS9_8equal_toIvEEiEE10hipError_tPvRmT2_T3_T4_T5_mT6_T7_P12ihipStream_tbENKUlT_T0_E_clISt17integral_constantIbLb1EES11_EEDaSW_SX_EUlSW_E_NS1_11comp_targetILNS1_3genE10ELNS1_11target_archE1200ELNS1_3gpuE4ELNS1_3repE0EEENS1_30default_config_static_selectorELNS0_4arch9wavefront6targetE0EEEvT1_.numbered_sgpr, 0
	.set _ZN7rocprim17ROCPRIM_400000_NS6detail17trampoline_kernelINS0_14default_configENS1_27scan_by_key_config_selectorIiiEEZZNS1_16scan_by_key_implILNS1_25lookback_scan_determinismE0ELb1ES3_N6thrust23THRUST_200600_302600_NS6detail15normal_iteratorINS9_10device_ptrIiEEEENSB_INSC_IjEEEESE_iNS9_4plusIvEENS9_8equal_toIvEEiEE10hipError_tPvRmT2_T3_T4_T5_mT6_T7_P12ihipStream_tbENKUlT_T0_E_clISt17integral_constantIbLb1EES11_EEDaSW_SX_EUlSW_E_NS1_11comp_targetILNS1_3genE10ELNS1_11target_archE1200ELNS1_3gpuE4ELNS1_3repE0EEENS1_30default_config_static_selectorELNS0_4arch9wavefront6targetE0EEEvT1_.num_named_barrier, 0
	.set _ZN7rocprim17ROCPRIM_400000_NS6detail17trampoline_kernelINS0_14default_configENS1_27scan_by_key_config_selectorIiiEEZZNS1_16scan_by_key_implILNS1_25lookback_scan_determinismE0ELb1ES3_N6thrust23THRUST_200600_302600_NS6detail15normal_iteratorINS9_10device_ptrIiEEEENSB_INSC_IjEEEESE_iNS9_4plusIvEENS9_8equal_toIvEEiEE10hipError_tPvRmT2_T3_T4_T5_mT6_T7_P12ihipStream_tbENKUlT_T0_E_clISt17integral_constantIbLb1EES11_EEDaSW_SX_EUlSW_E_NS1_11comp_targetILNS1_3genE10ELNS1_11target_archE1200ELNS1_3gpuE4ELNS1_3repE0EEENS1_30default_config_static_selectorELNS0_4arch9wavefront6targetE0EEEvT1_.private_seg_size, 0
	.set _ZN7rocprim17ROCPRIM_400000_NS6detail17trampoline_kernelINS0_14default_configENS1_27scan_by_key_config_selectorIiiEEZZNS1_16scan_by_key_implILNS1_25lookback_scan_determinismE0ELb1ES3_N6thrust23THRUST_200600_302600_NS6detail15normal_iteratorINS9_10device_ptrIiEEEENSB_INSC_IjEEEESE_iNS9_4plusIvEENS9_8equal_toIvEEiEE10hipError_tPvRmT2_T3_T4_T5_mT6_T7_P12ihipStream_tbENKUlT_T0_E_clISt17integral_constantIbLb1EES11_EEDaSW_SX_EUlSW_E_NS1_11comp_targetILNS1_3genE10ELNS1_11target_archE1200ELNS1_3gpuE4ELNS1_3repE0EEENS1_30default_config_static_selectorELNS0_4arch9wavefront6targetE0EEEvT1_.uses_vcc, 0
	.set _ZN7rocprim17ROCPRIM_400000_NS6detail17trampoline_kernelINS0_14default_configENS1_27scan_by_key_config_selectorIiiEEZZNS1_16scan_by_key_implILNS1_25lookback_scan_determinismE0ELb1ES3_N6thrust23THRUST_200600_302600_NS6detail15normal_iteratorINS9_10device_ptrIiEEEENSB_INSC_IjEEEESE_iNS9_4plusIvEENS9_8equal_toIvEEiEE10hipError_tPvRmT2_T3_T4_T5_mT6_T7_P12ihipStream_tbENKUlT_T0_E_clISt17integral_constantIbLb1EES11_EEDaSW_SX_EUlSW_E_NS1_11comp_targetILNS1_3genE10ELNS1_11target_archE1200ELNS1_3gpuE4ELNS1_3repE0EEENS1_30default_config_static_selectorELNS0_4arch9wavefront6targetE0EEEvT1_.uses_flat_scratch, 0
	.set _ZN7rocprim17ROCPRIM_400000_NS6detail17trampoline_kernelINS0_14default_configENS1_27scan_by_key_config_selectorIiiEEZZNS1_16scan_by_key_implILNS1_25lookback_scan_determinismE0ELb1ES3_N6thrust23THRUST_200600_302600_NS6detail15normal_iteratorINS9_10device_ptrIiEEEENSB_INSC_IjEEEESE_iNS9_4plusIvEENS9_8equal_toIvEEiEE10hipError_tPvRmT2_T3_T4_T5_mT6_T7_P12ihipStream_tbENKUlT_T0_E_clISt17integral_constantIbLb1EES11_EEDaSW_SX_EUlSW_E_NS1_11comp_targetILNS1_3genE10ELNS1_11target_archE1200ELNS1_3gpuE4ELNS1_3repE0EEENS1_30default_config_static_selectorELNS0_4arch9wavefront6targetE0EEEvT1_.has_dyn_sized_stack, 0
	.set _ZN7rocprim17ROCPRIM_400000_NS6detail17trampoline_kernelINS0_14default_configENS1_27scan_by_key_config_selectorIiiEEZZNS1_16scan_by_key_implILNS1_25lookback_scan_determinismE0ELb1ES3_N6thrust23THRUST_200600_302600_NS6detail15normal_iteratorINS9_10device_ptrIiEEEENSB_INSC_IjEEEESE_iNS9_4plusIvEENS9_8equal_toIvEEiEE10hipError_tPvRmT2_T3_T4_T5_mT6_T7_P12ihipStream_tbENKUlT_T0_E_clISt17integral_constantIbLb1EES11_EEDaSW_SX_EUlSW_E_NS1_11comp_targetILNS1_3genE10ELNS1_11target_archE1200ELNS1_3gpuE4ELNS1_3repE0EEENS1_30default_config_static_selectorELNS0_4arch9wavefront6targetE0EEEvT1_.has_recursion, 0
	.set _ZN7rocprim17ROCPRIM_400000_NS6detail17trampoline_kernelINS0_14default_configENS1_27scan_by_key_config_selectorIiiEEZZNS1_16scan_by_key_implILNS1_25lookback_scan_determinismE0ELb1ES3_N6thrust23THRUST_200600_302600_NS6detail15normal_iteratorINS9_10device_ptrIiEEEENSB_INSC_IjEEEESE_iNS9_4plusIvEENS9_8equal_toIvEEiEE10hipError_tPvRmT2_T3_T4_T5_mT6_T7_P12ihipStream_tbENKUlT_T0_E_clISt17integral_constantIbLb1EES11_EEDaSW_SX_EUlSW_E_NS1_11comp_targetILNS1_3genE10ELNS1_11target_archE1200ELNS1_3gpuE4ELNS1_3repE0EEENS1_30default_config_static_selectorELNS0_4arch9wavefront6targetE0EEEvT1_.has_indirect_call, 0
	.section	.AMDGPU.csdata,"",@progbits
; Kernel info:
; codeLenInByte = 0
; TotalNumSgprs: 0
; NumVgprs: 0
; ScratchSize: 0
; MemoryBound: 0
; FloatMode: 240
; IeeeMode: 1
; LDSByteSize: 0 bytes/workgroup (compile time only)
; SGPRBlocks: 0
; VGPRBlocks: 0
; NumSGPRsForWavesPerEU: 1
; NumVGPRsForWavesPerEU: 1
; Occupancy: 16
; WaveLimiterHint : 0
; COMPUTE_PGM_RSRC2:SCRATCH_EN: 0
; COMPUTE_PGM_RSRC2:USER_SGPR: 6
; COMPUTE_PGM_RSRC2:TRAP_HANDLER: 0
; COMPUTE_PGM_RSRC2:TGID_X_EN: 1
; COMPUTE_PGM_RSRC2:TGID_Y_EN: 0
; COMPUTE_PGM_RSRC2:TGID_Z_EN: 0
; COMPUTE_PGM_RSRC2:TIDIG_COMP_CNT: 0
	.section	.text._ZN7rocprim17ROCPRIM_400000_NS6detail17trampoline_kernelINS0_14default_configENS1_27scan_by_key_config_selectorIiiEEZZNS1_16scan_by_key_implILNS1_25lookback_scan_determinismE0ELb1ES3_N6thrust23THRUST_200600_302600_NS6detail15normal_iteratorINS9_10device_ptrIiEEEENSB_INSC_IjEEEESE_iNS9_4plusIvEENS9_8equal_toIvEEiEE10hipError_tPvRmT2_T3_T4_T5_mT6_T7_P12ihipStream_tbENKUlT_T0_E_clISt17integral_constantIbLb1EES11_EEDaSW_SX_EUlSW_E_NS1_11comp_targetILNS1_3genE9ELNS1_11target_archE1100ELNS1_3gpuE3ELNS1_3repE0EEENS1_30default_config_static_selectorELNS0_4arch9wavefront6targetE0EEEvT1_,"axG",@progbits,_ZN7rocprim17ROCPRIM_400000_NS6detail17trampoline_kernelINS0_14default_configENS1_27scan_by_key_config_selectorIiiEEZZNS1_16scan_by_key_implILNS1_25lookback_scan_determinismE0ELb1ES3_N6thrust23THRUST_200600_302600_NS6detail15normal_iteratorINS9_10device_ptrIiEEEENSB_INSC_IjEEEESE_iNS9_4plusIvEENS9_8equal_toIvEEiEE10hipError_tPvRmT2_T3_T4_T5_mT6_T7_P12ihipStream_tbENKUlT_T0_E_clISt17integral_constantIbLb1EES11_EEDaSW_SX_EUlSW_E_NS1_11comp_targetILNS1_3genE9ELNS1_11target_archE1100ELNS1_3gpuE3ELNS1_3repE0EEENS1_30default_config_static_selectorELNS0_4arch9wavefront6targetE0EEEvT1_,comdat
	.protected	_ZN7rocprim17ROCPRIM_400000_NS6detail17trampoline_kernelINS0_14default_configENS1_27scan_by_key_config_selectorIiiEEZZNS1_16scan_by_key_implILNS1_25lookback_scan_determinismE0ELb1ES3_N6thrust23THRUST_200600_302600_NS6detail15normal_iteratorINS9_10device_ptrIiEEEENSB_INSC_IjEEEESE_iNS9_4plusIvEENS9_8equal_toIvEEiEE10hipError_tPvRmT2_T3_T4_T5_mT6_T7_P12ihipStream_tbENKUlT_T0_E_clISt17integral_constantIbLb1EES11_EEDaSW_SX_EUlSW_E_NS1_11comp_targetILNS1_3genE9ELNS1_11target_archE1100ELNS1_3gpuE3ELNS1_3repE0EEENS1_30default_config_static_selectorELNS0_4arch9wavefront6targetE0EEEvT1_ ; -- Begin function _ZN7rocprim17ROCPRIM_400000_NS6detail17trampoline_kernelINS0_14default_configENS1_27scan_by_key_config_selectorIiiEEZZNS1_16scan_by_key_implILNS1_25lookback_scan_determinismE0ELb1ES3_N6thrust23THRUST_200600_302600_NS6detail15normal_iteratorINS9_10device_ptrIiEEEENSB_INSC_IjEEEESE_iNS9_4plusIvEENS9_8equal_toIvEEiEE10hipError_tPvRmT2_T3_T4_T5_mT6_T7_P12ihipStream_tbENKUlT_T0_E_clISt17integral_constantIbLb1EES11_EEDaSW_SX_EUlSW_E_NS1_11comp_targetILNS1_3genE9ELNS1_11target_archE1100ELNS1_3gpuE3ELNS1_3repE0EEENS1_30default_config_static_selectorELNS0_4arch9wavefront6targetE0EEEvT1_
	.globl	_ZN7rocprim17ROCPRIM_400000_NS6detail17trampoline_kernelINS0_14default_configENS1_27scan_by_key_config_selectorIiiEEZZNS1_16scan_by_key_implILNS1_25lookback_scan_determinismE0ELb1ES3_N6thrust23THRUST_200600_302600_NS6detail15normal_iteratorINS9_10device_ptrIiEEEENSB_INSC_IjEEEESE_iNS9_4plusIvEENS9_8equal_toIvEEiEE10hipError_tPvRmT2_T3_T4_T5_mT6_T7_P12ihipStream_tbENKUlT_T0_E_clISt17integral_constantIbLb1EES11_EEDaSW_SX_EUlSW_E_NS1_11comp_targetILNS1_3genE9ELNS1_11target_archE1100ELNS1_3gpuE3ELNS1_3repE0EEENS1_30default_config_static_selectorELNS0_4arch9wavefront6targetE0EEEvT1_
	.p2align	8
	.type	_ZN7rocprim17ROCPRIM_400000_NS6detail17trampoline_kernelINS0_14default_configENS1_27scan_by_key_config_selectorIiiEEZZNS1_16scan_by_key_implILNS1_25lookback_scan_determinismE0ELb1ES3_N6thrust23THRUST_200600_302600_NS6detail15normal_iteratorINS9_10device_ptrIiEEEENSB_INSC_IjEEEESE_iNS9_4plusIvEENS9_8equal_toIvEEiEE10hipError_tPvRmT2_T3_T4_T5_mT6_T7_P12ihipStream_tbENKUlT_T0_E_clISt17integral_constantIbLb1EES11_EEDaSW_SX_EUlSW_E_NS1_11comp_targetILNS1_3genE9ELNS1_11target_archE1100ELNS1_3gpuE3ELNS1_3repE0EEENS1_30default_config_static_selectorELNS0_4arch9wavefront6targetE0EEEvT1_,@function
_ZN7rocprim17ROCPRIM_400000_NS6detail17trampoline_kernelINS0_14default_configENS1_27scan_by_key_config_selectorIiiEEZZNS1_16scan_by_key_implILNS1_25lookback_scan_determinismE0ELb1ES3_N6thrust23THRUST_200600_302600_NS6detail15normal_iteratorINS9_10device_ptrIiEEEENSB_INSC_IjEEEESE_iNS9_4plusIvEENS9_8equal_toIvEEiEE10hipError_tPvRmT2_T3_T4_T5_mT6_T7_P12ihipStream_tbENKUlT_T0_E_clISt17integral_constantIbLb1EES11_EEDaSW_SX_EUlSW_E_NS1_11comp_targetILNS1_3genE9ELNS1_11target_archE1100ELNS1_3gpuE3ELNS1_3repE0EEENS1_30default_config_static_selectorELNS0_4arch9wavefront6targetE0EEEvT1_: ; @_ZN7rocprim17ROCPRIM_400000_NS6detail17trampoline_kernelINS0_14default_configENS1_27scan_by_key_config_selectorIiiEEZZNS1_16scan_by_key_implILNS1_25lookback_scan_determinismE0ELb1ES3_N6thrust23THRUST_200600_302600_NS6detail15normal_iteratorINS9_10device_ptrIiEEEENSB_INSC_IjEEEESE_iNS9_4plusIvEENS9_8equal_toIvEEiEE10hipError_tPvRmT2_T3_T4_T5_mT6_T7_P12ihipStream_tbENKUlT_T0_E_clISt17integral_constantIbLb1EES11_EEDaSW_SX_EUlSW_E_NS1_11comp_targetILNS1_3genE9ELNS1_11target_archE1100ELNS1_3gpuE3ELNS1_3repE0EEENS1_30default_config_static_selectorELNS0_4arch9wavefront6targetE0EEEvT1_
; %bb.0:
	.section	.rodata,"a",@progbits
	.p2align	6, 0x0
	.amdhsa_kernel _ZN7rocprim17ROCPRIM_400000_NS6detail17trampoline_kernelINS0_14default_configENS1_27scan_by_key_config_selectorIiiEEZZNS1_16scan_by_key_implILNS1_25lookback_scan_determinismE0ELb1ES3_N6thrust23THRUST_200600_302600_NS6detail15normal_iteratorINS9_10device_ptrIiEEEENSB_INSC_IjEEEESE_iNS9_4plusIvEENS9_8equal_toIvEEiEE10hipError_tPvRmT2_T3_T4_T5_mT6_T7_P12ihipStream_tbENKUlT_T0_E_clISt17integral_constantIbLb1EES11_EEDaSW_SX_EUlSW_E_NS1_11comp_targetILNS1_3genE9ELNS1_11target_archE1100ELNS1_3gpuE3ELNS1_3repE0EEENS1_30default_config_static_selectorELNS0_4arch9wavefront6targetE0EEEvT1_
		.amdhsa_group_segment_fixed_size 0
		.amdhsa_private_segment_fixed_size 0
		.amdhsa_kernarg_size 112
		.amdhsa_user_sgpr_count 6
		.amdhsa_user_sgpr_private_segment_buffer 1
		.amdhsa_user_sgpr_dispatch_ptr 0
		.amdhsa_user_sgpr_queue_ptr 0
		.amdhsa_user_sgpr_kernarg_segment_ptr 1
		.amdhsa_user_sgpr_dispatch_id 0
		.amdhsa_user_sgpr_flat_scratch_init 0
		.amdhsa_user_sgpr_private_segment_size 0
		.amdhsa_wavefront_size32 1
		.amdhsa_uses_dynamic_stack 0
		.amdhsa_system_sgpr_private_segment_wavefront_offset 0
		.amdhsa_system_sgpr_workgroup_id_x 1
		.amdhsa_system_sgpr_workgroup_id_y 0
		.amdhsa_system_sgpr_workgroup_id_z 0
		.amdhsa_system_sgpr_workgroup_info 0
		.amdhsa_system_vgpr_workitem_id 0
		.amdhsa_next_free_vgpr 1
		.amdhsa_next_free_sgpr 1
		.amdhsa_reserve_vcc 0
		.amdhsa_reserve_flat_scratch 0
		.amdhsa_float_round_mode_32 0
		.amdhsa_float_round_mode_16_64 0
		.amdhsa_float_denorm_mode_32 3
		.amdhsa_float_denorm_mode_16_64 3
		.amdhsa_dx10_clamp 1
		.amdhsa_ieee_mode 1
		.amdhsa_fp16_overflow 0
		.amdhsa_workgroup_processor_mode 1
		.amdhsa_memory_ordered 1
		.amdhsa_forward_progress 1
		.amdhsa_shared_vgpr_count 0
		.amdhsa_exception_fp_ieee_invalid_op 0
		.amdhsa_exception_fp_denorm_src 0
		.amdhsa_exception_fp_ieee_div_zero 0
		.amdhsa_exception_fp_ieee_overflow 0
		.amdhsa_exception_fp_ieee_underflow 0
		.amdhsa_exception_fp_ieee_inexact 0
		.amdhsa_exception_int_div_zero 0
	.end_amdhsa_kernel
	.section	.text._ZN7rocprim17ROCPRIM_400000_NS6detail17trampoline_kernelINS0_14default_configENS1_27scan_by_key_config_selectorIiiEEZZNS1_16scan_by_key_implILNS1_25lookback_scan_determinismE0ELb1ES3_N6thrust23THRUST_200600_302600_NS6detail15normal_iteratorINS9_10device_ptrIiEEEENSB_INSC_IjEEEESE_iNS9_4plusIvEENS9_8equal_toIvEEiEE10hipError_tPvRmT2_T3_T4_T5_mT6_T7_P12ihipStream_tbENKUlT_T0_E_clISt17integral_constantIbLb1EES11_EEDaSW_SX_EUlSW_E_NS1_11comp_targetILNS1_3genE9ELNS1_11target_archE1100ELNS1_3gpuE3ELNS1_3repE0EEENS1_30default_config_static_selectorELNS0_4arch9wavefront6targetE0EEEvT1_,"axG",@progbits,_ZN7rocprim17ROCPRIM_400000_NS6detail17trampoline_kernelINS0_14default_configENS1_27scan_by_key_config_selectorIiiEEZZNS1_16scan_by_key_implILNS1_25lookback_scan_determinismE0ELb1ES3_N6thrust23THRUST_200600_302600_NS6detail15normal_iteratorINS9_10device_ptrIiEEEENSB_INSC_IjEEEESE_iNS9_4plusIvEENS9_8equal_toIvEEiEE10hipError_tPvRmT2_T3_T4_T5_mT6_T7_P12ihipStream_tbENKUlT_T0_E_clISt17integral_constantIbLb1EES11_EEDaSW_SX_EUlSW_E_NS1_11comp_targetILNS1_3genE9ELNS1_11target_archE1100ELNS1_3gpuE3ELNS1_3repE0EEENS1_30default_config_static_selectorELNS0_4arch9wavefront6targetE0EEEvT1_,comdat
.Lfunc_end1768:
	.size	_ZN7rocprim17ROCPRIM_400000_NS6detail17trampoline_kernelINS0_14default_configENS1_27scan_by_key_config_selectorIiiEEZZNS1_16scan_by_key_implILNS1_25lookback_scan_determinismE0ELb1ES3_N6thrust23THRUST_200600_302600_NS6detail15normal_iteratorINS9_10device_ptrIiEEEENSB_INSC_IjEEEESE_iNS9_4plusIvEENS9_8equal_toIvEEiEE10hipError_tPvRmT2_T3_T4_T5_mT6_T7_P12ihipStream_tbENKUlT_T0_E_clISt17integral_constantIbLb1EES11_EEDaSW_SX_EUlSW_E_NS1_11comp_targetILNS1_3genE9ELNS1_11target_archE1100ELNS1_3gpuE3ELNS1_3repE0EEENS1_30default_config_static_selectorELNS0_4arch9wavefront6targetE0EEEvT1_, .Lfunc_end1768-_ZN7rocprim17ROCPRIM_400000_NS6detail17trampoline_kernelINS0_14default_configENS1_27scan_by_key_config_selectorIiiEEZZNS1_16scan_by_key_implILNS1_25lookback_scan_determinismE0ELb1ES3_N6thrust23THRUST_200600_302600_NS6detail15normal_iteratorINS9_10device_ptrIiEEEENSB_INSC_IjEEEESE_iNS9_4plusIvEENS9_8equal_toIvEEiEE10hipError_tPvRmT2_T3_T4_T5_mT6_T7_P12ihipStream_tbENKUlT_T0_E_clISt17integral_constantIbLb1EES11_EEDaSW_SX_EUlSW_E_NS1_11comp_targetILNS1_3genE9ELNS1_11target_archE1100ELNS1_3gpuE3ELNS1_3repE0EEENS1_30default_config_static_selectorELNS0_4arch9wavefront6targetE0EEEvT1_
                                        ; -- End function
	.set _ZN7rocprim17ROCPRIM_400000_NS6detail17trampoline_kernelINS0_14default_configENS1_27scan_by_key_config_selectorIiiEEZZNS1_16scan_by_key_implILNS1_25lookback_scan_determinismE0ELb1ES3_N6thrust23THRUST_200600_302600_NS6detail15normal_iteratorINS9_10device_ptrIiEEEENSB_INSC_IjEEEESE_iNS9_4plusIvEENS9_8equal_toIvEEiEE10hipError_tPvRmT2_T3_T4_T5_mT6_T7_P12ihipStream_tbENKUlT_T0_E_clISt17integral_constantIbLb1EES11_EEDaSW_SX_EUlSW_E_NS1_11comp_targetILNS1_3genE9ELNS1_11target_archE1100ELNS1_3gpuE3ELNS1_3repE0EEENS1_30default_config_static_selectorELNS0_4arch9wavefront6targetE0EEEvT1_.num_vgpr, 0
	.set _ZN7rocprim17ROCPRIM_400000_NS6detail17trampoline_kernelINS0_14default_configENS1_27scan_by_key_config_selectorIiiEEZZNS1_16scan_by_key_implILNS1_25lookback_scan_determinismE0ELb1ES3_N6thrust23THRUST_200600_302600_NS6detail15normal_iteratorINS9_10device_ptrIiEEEENSB_INSC_IjEEEESE_iNS9_4plusIvEENS9_8equal_toIvEEiEE10hipError_tPvRmT2_T3_T4_T5_mT6_T7_P12ihipStream_tbENKUlT_T0_E_clISt17integral_constantIbLb1EES11_EEDaSW_SX_EUlSW_E_NS1_11comp_targetILNS1_3genE9ELNS1_11target_archE1100ELNS1_3gpuE3ELNS1_3repE0EEENS1_30default_config_static_selectorELNS0_4arch9wavefront6targetE0EEEvT1_.num_agpr, 0
	.set _ZN7rocprim17ROCPRIM_400000_NS6detail17trampoline_kernelINS0_14default_configENS1_27scan_by_key_config_selectorIiiEEZZNS1_16scan_by_key_implILNS1_25lookback_scan_determinismE0ELb1ES3_N6thrust23THRUST_200600_302600_NS6detail15normal_iteratorINS9_10device_ptrIiEEEENSB_INSC_IjEEEESE_iNS9_4plusIvEENS9_8equal_toIvEEiEE10hipError_tPvRmT2_T3_T4_T5_mT6_T7_P12ihipStream_tbENKUlT_T0_E_clISt17integral_constantIbLb1EES11_EEDaSW_SX_EUlSW_E_NS1_11comp_targetILNS1_3genE9ELNS1_11target_archE1100ELNS1_3gpuE3ELNS1_3repE0EEENS1_30default_config_static_selectorELNS0_4arch9wavefront6targetE0EEEvT1_.numbered_sgpr, 0
	.set _ZN7rocprim17ROCPRIM_400000_NS6detail17trampoline_kernelINS0_14default_configENS1_27scan_by_key_config_selectorIiiEEZZNS1_16scan_by_key_implILNS1_25lookback_scan_determinismE0ELb1ES3_N6thrust23THRUST_200600_302600_NS6detail15normal_iteratorINS9_10device_ptrIiEEEENSB_INSC_IjEEEESE_iNS9_4plusIvEENS9_8equal_toIvEEiEE10hipError_tPvRmT2_T3_T4_T5_mT6_T7_P12ihipStream_tbENKUlT_T0_E_clISt17integral_constantIbLb1EES11_EEDaSW_SX_EUlSW_E_NS1_11comp_targetILNS1_3genE9ELNS1_11target_archE1100ELNS1_3gpuE3ELNS1_3repE0EEENS1_30default_config_static_selectorELNS0_4arch9wavefront6targetE0EEEvT1_.num_named_barrier, 0
	.set _ZN7rocprim17ROCPRIM_400000_NS6detail17trampoline_kernelINS0_14default_configENS1_27scan_by_key_config_selectorIiiEEZZNS1_16scan_by_key_implILNS1_25lookback_scan_determinismE0ELb1ES3_N6thrust23THRUST_200600_302600_NS6detail15normal_iteratorINS9_10device_ptrIiEEEENSB_INSC_IjEEEESE_iNS9_4plusIvEENS9_8equal_toIvEEiEE10hipError_tPvRmT2_T3_T4_T5_mT6_T7_P12ihipStream_tbENKUlT_T0_E_clISt17integral_constantIbLb1EES11_EEDaSW_SX_EUlSW_E_NS1_11comp_targetILNS1_3genE9ELNS1_11target_archE1100ELNS1_3gpuE3ELNS1_3repE0EEENS1_30default_config_static_selectorELNS0_4arch9wavefront6targetE0EEEvT1_.private_seg_size, 0
	.set _ZN7rocprim17ROCPRIM_400000_NS6detail17trampoline_kernelINS0_14default_configENS1_27scan_by_key_config_selectorIiiEEZZNS1_16scan_by_key_implILNS1_25lookback_scan_determinismE0ELb1ES3_N6thrust23THRUST_200600_302600_NS6detail15normal_iteratorINS9_10device_ptrIiEEEENSB_INSC_IjEEEESE_iNS9_4plusIvEENS9_8equal_toIvEEiEE10hipError_tPvRmT2_T3_T4_T5_mT6_T7_P12ihipStream_tbENKUlT_T0_E_clISt17integral_constantIbLb1EES11_EEDaSW_SX_EUlSW_E_NS1_11comp_targetILNS1_3genE9ELNS1_11target_archE1100ELNS1_3gpuE3ELNS1_3repE0EEENS1_30default_config_static_selectorELNS0_4arch9wavefront6targetE0EEEvT1_.uses_vcc, 0
	.set _ZN7rocprim17ROCPRIM_400000_NS6detail17trampoline_kernelINS0_14default_configENS1_27scan_by_key_config_selectorIiiEEZZNS1_16scan_by_key_implILNS1_25lookback_scan_determinismE0ELb1ES3_N6thrust23THRUST_200600_302600_NS6detail15normal_iteratorINS9_10device_ptrIiEEEENSB_INSC_IjEEEESE_iNS9_4plusIvEENS9_8equal_toIvEEiEE10hipError_tPvRmT2_T3_T4_T5_mT6_T7_P12ihipStream_tbENKUlT_T0_E_clISt17integral_constantIbLb1EES11_EEDaSW_SX_EUlSW_E_NS1_11comp_targetILNS1_3genE9ELNS1_11target_archE1100ELNS1_3gpuE3ELNS1_3repE0EEENS1_30default_config_static_selectorELNS0_4arch9wavefront6targetE0EEEvT1_.uses_flat_scratch, 0
	.set _ZN7rocprim17ROCPRIM_400000_NS6detail17trampoline_kernelINS0_14default_configENS1_27scan_by_key_config_selectorIiiEEZZNS1_16scan_by_key_implILNS1_25lookback_scan_determinismE0ELb1ES3_N6thrust23THRUST_200600_302600_NS6detail15normal_iteratorINS9_10device_ptrIiEEEENSB_INSC_IjEEEESE_iNS9_4plusIvEENS9_8equal_toIvEEiEE10hipError_tPvRmT2_T3_T4_T5_mT6_T7_P12ihipStream_tbENKUlT_T0_E_clISt17integral_constantIbLb1EES11_EEDaSW_SX_EUlSW_E_NS1_11comp_targetILNS1_3genE9ELNS1_11target_archE1100ELNS1_3gpuE3ELNS1_3repE0EEENS1_30default_config_static_selectorELNS0_4arch9wavefront6targetE0EEEvT1_.has_dyn_sized_stack, 0
	.set _ZN7rocprim17ROCPRIM_400000_NS6detail17trampoline_kernelINS0_14default_configENS1_27scan_by_key_config_selectorIiiEEZZNS1_16scan_by_key_implILNS1_25lookback_scan_determinismE0ELb1ES3_N6thrust23THRUST_200600_302600_NS6detail15normal_iteratorINS9_10device_ptrIiEEEENSB_INSC_IjEEEESE_iNS9_4plusIvEENS9_8equal_toIvEEiEE10hipError_tPvRmT2_T3_T4_T5_mT6_T7_P12ihipStream_tbENKUlT_T0_E_clISt17integral_constantIbLb1EES11_EEDaSW_SX_EUlSW_E_NS1_11comp_targetILNS1_3genE9ELNS1_11target_archE1100ELNS1_3gpuE3ELNS1_3repE0EEENS1_30default_config_static_selectorELNS0_4arch9wavefront6targetE0EEEvT1_.has_recursion, 0
	.set _ZN7rocprim17ROCPRIM_400000_NS6detail17trampoline_kernelINS0_14default_configENS1_27scan_by_key_config_selectorIiiEEZZNS1_16scan_by_key_implILNS1_25lookback_scan_determinismE0ELb1ES3_N6thrust23THRUST_200600_302600_NS6detail15normal_iteratorINS9_10device_ptrIiEEEENSB_INSC_IjEEEESE_iNS9_4plusIvEENS9_8equal_toIvEEiEE10hipError_tPvRmT2_T3_T4_T5_mT6_T7_P12ihipStream_tbENKUlT_T0_E_clISt17integral_constantIbLb1EES11_EEDaSW_SX_EUlSW_E_NS1_11comp_targetILNS1_3genE9ELNS1_11target_archE1100ELNS1_3gpuE3ELNS1_3repE0EEENS1_30default_config_static_selectorELNS0_4arch9wavefront6targetE0EEEvT1_.has_indirect_call, 0
	.section	.AMDGPU.csdata,"",@progbits
; Kernel info:
; codeLenInByte = 0
; TotalNumSgprs: 0
; NumVgprs: 0
; ScratchSize: 0
; MemoryBound: 0
; FloatMode: 240
; IeeeMode: 1
; LDSByteSize: 0 bytes/workgroup (compile time only)
; SGPRBlocks: 0
; VGPRBlocks: 0
; NumSGPRsForWavesPerEU: 1
; NumVGPRsForWavesPerEU: 1
; Occupancy: 16
; WaveLimiterHint : 0
; COMPUTE_PGM_RSRC2:SCRATCH_EN: 0
; COMPUTE_PGM_RSRC2:USER_SGPR: 6
; COMPUTE_PGM_RSRC2:TRAP_HANDLER: 0
; COMPUTE_PGM_RSRC2:TGID_X_EN: 1
; COMPUTE_PGM_RSRC2:TGID_Y_EN: 0
; COMPUTE_PGM_RSRC2:TGID_Z_EN: 0
; COMPUTE_PGM_RSRC2:TIDIG_COMP_CNT: 0
	.section	.text._ZN7rocprim17ROCPRIM_400000_NS6detail17trampoline_kernelINS0_14default_configENS1_27scan_by_key_config_selectorIiiEEZZNS1_16scan_by_key_implILNS1_25lookback_scan_determinismE0ELb1ES3_N6thrust23THRUST_200600_302600_NS6detail15normal_iteratorINS9_10device_ptrIiEEEENSB_INSC_IjEEEESE_iNS9_4plusIvEENS9_8equal_toIvEEiEE10hipError_tPvRmT2_T3_T4_T5_mT6_T7_P12ihipStream_tbENKUlT_T0_E_clISt17integral_constantIbLb1EES11_EEDaSW_SX_EUlSW_E_NS1_11comp_targetILNS1_3genE8ELNS1_11target_archE1030ELNS1_3gpuE2ELNS1_3repE0EEENS1_30default_config_static_selectorELNS0_4arch9wavefront6targetE0EEEvT1_,"axG",@progbits,_ZN7rocprim17ROCPRIM_400000_NS6detail17trampoline_kernelINS0_14default_configENS1_27scan_by_key_config_selectorIiiEEZZNS1_16scan_by_key_implILNS1_25lookback_scan_determinismE0ELb1ES3_N6thrust23THRUST_200600_302600_NS6detail15normal_iteratorINS9_10device_ptrIiEEEENSB_INSC_IjEEEESE_iNS9_4plusIvEENS9_8equal_toIvEEiEE10hipError_tPvRmT2_T3_T4_T5_mT6_T7_P12ihipStream_tbENKUlT_T0_E_clISt17integral_constantIbLb1EES11_EEDaSW_SX_EUlSW_E_NS1_11comp_targetILNS1_3genE8ELNS1_11target_archE1030ELNS1_3gpuE2ELNS1_3repE0EEENS1_30default_config_static_selectorELNS0_4arch9wavefront6targetE0EEEvT1_,comdat
	.protected	_ZN7rocprim17ROCPRIM_400000_NS6detail17trampoline_kernelINS0_14default_configENS1_27scan_by_key_config_selectorIiiEEZZNS1_16scan_by_key_implILNS1_25lookback_scan_determinismE0ELb1ES3_N6thrust23THRUST_200600_302600_NS6detail15normal_iteratorINS9_10device_ptrIiEEEENSB_INSC_IjEEEESE_iNS9_4plusIvEENS9_8equal_toIvEEiEE10hipError_tPvRmT2_T3_T4_T5_mT6_T7_P12ihipStream_tbENKUlT_T0_E_clISt17integral_constantIbLb1EES11_EEDaSW_SX_EUlSW_E_NS1_11comp_targetILNS1_3genE8ELNS1_11target_archE1030ELNS1_3gpuE2ELNS1_3repE0EEENS1_30default_config_static_selectorELNS0_4arch9wavefront6targetE0EEEvT1_ ; -- Begin function _ZN7rocprim17ROCPRIM_400000_NS6detail17trampoline_kernelINS0_14default_configENS1_27scan_by_key_config_selectorIiiEEZZNS1_16scan_by_key_implILNS1_25lookback_scan_determinismE0ELb1ES3_N6thrust23THRUST_200600_302600_NS6detail15normal_iteratorINS9_10device_ptrIiEEEENSB_INSC_IjEEEESE_iNS9_4plusIvEENS9_8equal_toIvEEiEE10hipError_tPvRmT2_T3_T4_T5_mT6_T7_P12ihipStream_tbENKUlT_T0_E_clISt17integral_constantIbLb1EES11_EEDaSW_SX_EUlSW_E_NS1_11comp_targetILNS1_3genE8ELNS1_11target_archE1030ELNS1_3gpuE2ELNS1_3repE0EEENS1_30default_config_static_selectorELNS0_4arch9wavefront6targetE0EEEvT1_
	.globl	_ZN7rocprim17ROCPRIM_400000_NS6detail17trampoline_kernelINS0_14default_configENS1_27scan_by_key_config_selectorIiiEEZZNS1_16scan_by_key_implILNS1_25lookback_scan_determinismE0ELb1ES3_N6thrust23THRUST_200600_302600_NS6detail15normal_iteratorINS9_10device_ptrIiEEEENSB_INSC_IjEEEESE_iNS9_4plusIvEENS9_8equal_toIvEEiEE10hipError_tPvRmT2_T3_T4_T5_mT6_T7_P12ihipStream_tbENKUlT_T0_E_clISt17integral_constantIbLb1EES11_EEDaSW_SX_EUlSW_E_NS1_11comp_targetILNS1_3genE8ELNS1_11target_archE1030ELNS1_3gpuE2ELNS1_3repE0EEENS1_30default_config_static_selectorELNS0_4arch9wavefront6targetE0EEEvT1_
	.p2align	8
	.type	_ZN7rocprim17ROCPRIM_400000_NS6detail17trampoline_kernelINS0_14default_configENS1_27scan_by_key_config_selectorIiiEEZZNS1_16scan_by_key_implILNS1_25lookback_scan_determinismE0ELb1ES3_N6thrust23THRUST_200600_302600_NS6detail15normal_iteratorINS9_10device_ptrIiEEEENSB_INSC_IjEEEESE_iNS9_4plusIvEENS9_8equal_toIvEEiEE10hipError_tPvRmT2_T3_T4_T5_mT6_T7_P12ihipStream_tbENKUlT_T0_E_clISt17integral_constantIbLb1EES11_EEDaSW_SX_EUlSW_E_NS1_11comp_targetILNS1_3genE8ELNS1_11target_archE1030ELNS1_3gpuE2ELNS1_3repE0EEENS1_30default_config_static_selectorELNS0_4arch9wavefront6targetE0EEEvT1_,@function
_ZN7rocprim17ROCPRIM_400000_NS6detail17trampoline_kernelINS0_14default_configENS1_27scan_by_key_config_selectorIiiEEZZNS1_16scan_by_key_implILNS1_25lookback_scan_determinismE0ELb1ES3_N6thrust23THRUST_200600_302600_NS6detail15normal_iteratorINS9_10device_ptrIiEEEENSB_INSC_IjEEEESE_iNS9_4plusIvEENS9_8equal_toIvEEiEE10hipError_tPvRmT2_T3_T4_T5_mT6_T7_P12ihipStream_tbENKUlT_T0_E_clISt17integral_constantIbLb1EES11_EEDaSW_SX_EUlSW_E_NS1_11comp_targetILNS1_3genE8ELNS1_11target_archE1030ELNS1_3gpuE2ELNS1_3repE0EEENS1_30default_config_static_selectorELNS0_4arch9wavefront6targetE0EEEvT1_: ; @_ZN7rocprim17ROCPRIM_400000_NS6detail17trampoline_kernelINS0_14default_configENS1_27scan_by_key_config_selectorIiiEEZZNS1_16scan_by_key_implILNS1_25lookback_scan_determinismE0ELb1ES3_N6thrust23THRUST_200600_302600_NS6detail15normal_iteratorINS9_10device_ptrIiEEEENSB_INSC_IjEEEESE_iNS9_4plusIvEENS9_8equal_toIvEEiEE10hipError_tPvRmT2_T3_T4_T5_mT6_T7_P12ihipStream_tbENKUlT_T0_E_clISt17integral_constantIbLb1EES11_EEDaSW_SX_EUlSW_E_NS1_11comp_targetILNS1_3genE8ELNS1_11target_archE1030ELNS1_3gpuE2ELNS1_3repE0EEENS1_30default_config_static_selectorELNS0_4arch9wavefront6targetE0EEEvT1_
; %bb.0:
	s_endpgm
	.section	.rodata,"a",@progbits
	.p2align	6, 0x0
	.amdhsa_kernel _ZN7rocprim17ROCPRIM_400000_NS6detail17trampoline_kernelINS0_14default_configENS1_27scan_by_key_config_selectorIiiEEZZNS1_16scan_by_key_implILNS1_25lookback_scan_determinismE0ELb1ES3_N6thrust23THRUST_200600_302600_NS6detail15normal_iteratorINS9_10device_ptrIiEEEENSB_INSC_IjEEEESE_iNS9_4plusIvEENS9_8equal_toIvEEiEE10hipError_tPvRmT2_T3_T4_T5_mT6_T7_P12ihipStream_tbENKUlT_T0_E_clISt17integral_constantIbLb1EES11_EEDaSW_SX_EUlSW_E_NS1_11comp_targetILNS1_3genE8ELNS1_11target_archE1030ELNS1_3gpuE2ELNS1_3repE0EEENS1_30default_config_static_selectorELNS0_4arch9wavefront6targetE0EEEvT1_
		.amdhsa_group_segment_fixed_size 0
		.amdhsa_private_segment_fixed_size 0
		.amdhsa_kernarg_size 112
		.amdhsa_user_sgpr_count 6
		.amdhsa_user_sgpr_private_segment_buffer 1
		.amdhsa_user_sgpr_dispatch_ptr 0
		.amdhsa_user_sgpr_queue_ptr 0
		.amdhsa_user_sgpr_kernarg_segment_ptr 1
		.amdhsa_user_sgpr_dispatch_id 0
		.amdhsa_user_sgpr_flat_scratch_init 0
		.amdhsa_user_sgpr_private_segment_size 0
		.amdhsa_wavefront_size32 1
		.amdhsa_uses_dynamic_stack 0
		.amdhsa_system_sgpr_private_segment_wavefront_offset 0
		.amdhsa_system_sgpr_workgroup_id_x 1
		.amdhsa_system_sgpr_workgroup_id_y 0
		.amdhsa_system_sgpr_workgroup_id_z 0
		.amdhsa_system_sgpr_workgroup_info 0
		.amdhsa_system_vgpr_workitem_id 0
		.amdhsa_next_free_vgpr 1
		.amdhsa_next_free_sgpr 1
		.amdhsa_reserve_vcc 0
		.amdhsa_reserve_flat_scratch 0
		.amdhsa_float_round_mode_32 0
		.amdhsa_float_round_mode_16_64 0
		.amdhsa_float_denorm_mode_32 3
		.amdhsa_float_denorm_mode_16_64 3
		.amdhsa_dx10_clamp 1
		.amdhsa_ieee_mode 1
		.amdhsa_fp16_overflow 0
		.amdhsa_workgroup_processor_mode 1
		.amdhsa_memory_ordered 1
		.amdhsa_forward_progress 1
		.amdhsa_shared_vgpr_count 0
		.amdhsa_exception_fp_ieee_invalid_op 0
		.amdhsa_exception_fp_denorm_src 0
		.amdhsa_exception_fp_ieee_div_zero 0
		.amdhsa_exception_fp_ieee_overflow 0
		.amdhsa_exception_fp_ieee_underflow 0
		.amdhsa_exception_fp_ieee_inexact 0
		.amdhsa_exception_int_div_zero 0
	.end_amdhsa_kernel
	.section	.text._ZN7rocprim17ROCPRIM_400000_NS6detail17trampoline_kernelINS0_14default_configENS1_27scan_by_key_config_selectorIiiEEZZNS1_16scan_by_key_implILNS1_25lookback_scan_determinismE0ELb1ES3_N6thrust23THRUST_200600_302600_NS6detail15normal_iteratorINS9_10device_ptrIiEEEENSB_INSC_IjEEEESE_iNS9_4plusIvEENS9_8equal_toIvEEiEE10hipError_tPvRmT2_T3_T4_T5_mT6_T7_P12ihipStream_tbENKUlT_T0_E_clISt17integral_constantIbLb1EES11_EEDaSW_SX_EUlSW_E_NS1_11comp_targetILNS1_3genE8ELNS1_11target_archE1030ELNS1_3gpuE2ELNS1_3repE0EEENS1_30default_config_static_selectorELNS0_4arch9wavefront6targetE0EEEvT1_,"axG",@progbits,_ZN7rocprim17ROCPRIM_400000_NS6detail17trampoline_kernelINS0_14default_configENS1_27scan_by_key_config_selectorIiiEEZZNS1_16scan_by_key_implILNS1_25lookback_scan_determinismE0ELb1ES3_N6thrust23THRUST_200600_302600_NS6detail15normal_iteratorINS9_10device_ptrIiEEEENSB_INSC_IjEEEESE_iNS9_4plusIvEENS9_8equal_toIvEEiEE10hipError_tPvRmT2_T3_T4_T5_mT6_T7_P12ihipStream_tbENKUlT_T0_E_clISt17integral_constantIbLb1EES11_EEDaSW_SX_EUlSW_E_NS1_11comp_targetILNS1_3genE8ELNS1_11target_archE1030ELNS1_3gpuE2ELNS1_3repE0EEENS1_30default_config_static_selectorELNS0_4arch9wavefront6targetE0EEEvT1_,comdat
.Lfunc_end1769:
	.size	_ZN7rocprim17ROCPRIM_400000_NS6detail17trampoline_kernelINS0_14default_configENS1_27scan_by_key_config_selectorIiiEEZZNS1_16scan_by_key_implILNS1_25lookback_scan_determinismE0ELb1ES3_N6thrust23THRUST_200600_302600_NS6detail15normal_iteratorINS9_10device_ptrIiEEEENSB_INSC_IjEEEESE_iNS9_4plusIvEENS9_8equal_toIvEEiEE10hipError_tPvRmT2_T3_T4_T5_mT6_T7_P12ihipStream_tbENKUlT_T0_E_clISt17integral_constantIbLb1EES11_EEDaSW_SX_EUlSW_E_NS1_11comp_targetILNS1_3genE8ELNS1_11target_archE1030ELNS1_3gpuE2ELNS1_3repE0EEENS1_30default_config_static_selectorELNS0_4arch9wavefront6targetE0EEEvT1_, .Lfunc_end1769-_ZN7rocprim17ROCPRIM_400000_NS6detail17trampoline_kernelINS0_14default_configENS1_27scan_by_key_config_selectorIiiEEZZNS1_16scan_by_key_implILNS1_25lookback_scan_determinismE0ELb1ES3_N6thrust23THRUST_200600_302600_NS6detail15normal_iteratorINS9_10device_ptrIiEEEENSB_INSC_IjEEEESE_iNS9_4plusIvEENS9_8equal_toIvEEiEE10hipError_tPvRmT2_T3_T4_T5_mT6_T7_P12ihipStream_tbENKUlT_T0_E_clISt17integral_constantIbLb1EES11_EEDaSW_SX_EUlSW_E_NS1_11comp_targetILNS1_3genE8ELNS1_11target_archE1030ELNS1_3gpuE2ELNS1_3repE0EEENS1_30default_config_static_selectorELNS0_4arch9wavefront6targetE0EEEvT1_
                                        ; -- End function
	.set _ZN7rocprim17ROCPRIM_400000_NS6detail17trampoline_kernelINS0_14default_configENS1_27scan_by_key_config_selectorIiiEEZZNS1_16scan_by_key_implILNS1_25lookback_scan_determinismE0ELb1ES3_N6thrust23THRUST_200600_302600_NS6detail15normal_iteratorINS9_10device_ptrIiEEEENSB_INSC_IjEEEESE_iNS9_4plusIvEENS9_8equal_toIvEEiEE10hipError_tPvRmT2_T3_T4_T5_mT6_T7_P12ihipStream_tbENKUlT_T0_E_clISt17integral_constantIbLb1EES11_EEDaSW_SX_EUlSW_E_NS1_11comp_targetILNS1_3genE8ELNS1_11target_archE1030ELNS1_3gpuE2ELNS1_3repE0EEENS1_30default_config_static_selectorELNS0_4arch9wavefront6targetE0EEEvT1_.num_vgpr, 0
	.set _ZN7rocprim17ROCPRIM_400000_NS6detail17trampoline_kernelINS0_14default_configENS1_27scan_by_key_config_selectorIiiEEZZNS1_16scan_by_key_implILNS1_25lookback_scan_determinismE0ELb1ES3_N6thrust23THRUST_200600_302600_NS6detail15normal_iteratorINS9_10device_ptrIiEEEENSB_INSC_IjEEEESE_iNS9_4plusIvEENS9_8equal_toIvEEiEE10hipError_tPvRmT2_T3_T4_T5_mT6_T7_P12ihipStream_tbENKUlT_T0_E_clISt17integral_constantIbLb1EES11_EEDaSW_SX_EUlSW_E_NS1_11comp_targetILNS1_3genE8ELNS1_11target_archE1030ELNS1_3gpuE2ELNS1_3repE0EEENS1_30default_config_static_selectorELNS0_4arch9wavefront6targetE0EEEvT1_.num_agpr, 0
	.set _ZN7rocprim17ROCPRIM_400000_NS6detail17trampoline_kernelINS0_14default_configENS1_27scan_by_key_config_selectorIiiEEZZNS1_16scan_by_key_implILNS1_25lookback_scan_determinismE0ELb1ES3_N6thrust23THRUST_200600_302600_NS6detail15normal_iteratorINS9_10device_ptrIiEEEENSB_INSC_IjEEEESE_iNS9_4plusIvEENS9_8equal_toIvEEiEE10hipError_tPvRmT2_T3_T4_T5_mT6_T7_P12ihipStream_tbENKUlT_T0_E_clISt17integral_constantIbLb1EES11_EEDaSW_SX_EUlSW_E_NS1_11comp_targetILNS1_3genE8ELNS1_11target_archE1030ELNS1_3gpuE2ELNS1_3repE0EEENS1_30default_config_static_selectorELNS0_4arch9wavefront6targetE0EEEvT1_.numbered_sgpr, 0
	.set _ZN7rocprim17ROCPRIM_400000_NS6detail17trampoline_kernelINS0_14default_configENS1_27scan_by_key_config_selectorIiiEEZZNS1_16scan_by_key_implILNS1_25lookback_scan_determinismE0ELb1ES3_N6thrust23THRUST_200600_302600_NS6detail15normal_iteratorINS9_10device_ptrIiEEEENSB_INSC_IjEEEESE_iNS9_4plusIvEENS9_8equal_toIvEEiEE10hipError_tPvRmT2_T3_T4_T5_mT6_T7_P12ihipStream_tbENKUlT_T0_E_clISt17integral_constantIbLb1EES11_EEDaSW_SX_EUlSW_E_NS1_11comp_targetILNS1_3genE8ELNS1_11target_archE1030ELNS1_3gpuE2ELNS1_3repE0EEENS1_30default_config_static_selectorELNS0_4arch9wavefront6targetE0EEEvT1_.num_named_barrier, 0
	.set _ZN7rocprim17ROCPRIM_400000_NS6detail17trampoline_kernelINS0_14default_configENS1_27scan_by_key_config_selectorIiiEEZZNS1_16scan_by_key_implILNS1_25lookback_scan_determinismE0ELb1ES3_N6thrust23THRUST_200600_302600_NS6detail15normal_iteratorINS9_10device_ptrIiEEEENSB_INSC_IjEEEESE_iNS9_4plusIvEENS9_8equal_toIvEEiEE10hipError_tPvRmT2_T3_T4_T5_mT6_T7_P12ihipStream_tbENKUlT_T0_E_clISt17integral_constantIbLb1EES11_EEDaSW_SX_EUlSW_E_NS1_11comp_targetILNS1_3genE8ELNS1_11target_archE1030ELNS1_3gpuE2ELNS1_3repE0EEENS1_30default_config_static_selectorELNS0_4arch9wavefront6targetE0EEEvT1_.private_seg_size, 0
	.set _ZN7rocprim17ROCPRIM_400000_NS6detail17trampoline_kernelINS0_14default_configENS1_27scan_by_key_config_selectorIiiEEZZNS1_16scan_by_key_implILNS1_25lookback_scan_determinismE0ELb1ES3_N6thrust23THRUST_200600_302600_NS6detail15normal_iteratorINS9_10device_ptrIiEEEENSB_INSC_IjEEEESE_iNS9_4plusIvEENS9_8equal_toIvEEiEE10hipError_tPvRmT2_T3_T4_T5_mT6_T7_P12ihipStream_tbENKUlT_T0_E_clISt17integral_constantIbLb1EES11_EEDaSW_SX_EUlSW_E_NS1_11comp_targetILNS1_3genE8ELNS1_11target_archE1030ELNS1_3gpuE2ELNS1_3repE0EEENS1_30default_config_static_selectorELNS0_4arch9wavefront6targetE0EEEvT1_.uses_vcc, 0
	.set _ZN7rocprim17ROCPRIM_400000_NS6detail17trampoline_kernelINS0_14default_configENS1_27scan_by_key_config_selectorIiiEEZZNS1_16scan_by_key_implILNS1_25lookback_scan_determinismE0ELb1ES3_N6thrust23THRUST_200600_302600_NS6detail15normal_iteratorINS9_10device_ptrIiEEEENSB_INSC_IjEEEESE_iNS9_4plusIvEENS9_8equal_toIvEEiEE10hipError_tPvRmT2_T3_T4_T5_mT6_T7_P12ihipStream_tbENKUlT_T0_E_clISt17integral_constantIbLb1EES11_EEDaSW_SX_EUlSW_E_NS1_11comp_targetILNS1_3genE8ELNS1_11target_archE1030ELNS1_3gpuE2ELNS1_3repE0EEENS1_30default_config_static_selectorELNS0_4arch9wavefront6targetE0EEEvT1_.uses_flat_scratch, 0
	.set _ZN7rocprim17ROCPRIM_400000_NS6detail17trampoline_kernelINS0_14default_configENS1_27scan_by_key_config_selectorIiiEEZZNS1_16scan_by_key_implILNS1_25lookback_scan_determinismE0ELb1ES3_N6thrust23THRUST_200600_302600_NS6detail15normal_iteratorINS9_10device_ptrIiEEEENSB_INSC_IjEEEESE_iNS9_4plusIvEENS9_8equal_toIvEEiEE10hipError_tPvRmT2_T3_T4_T5_mT6_T7_P12ihipStream_tbENKUlT_T0_E_clISt17integral_constantIbLb1EES11_EEDaSW_SX_EUlSW_E_NS1_11comp_targetILNS1_3genE8ELNS1_11target_archE1030ELNS1_3gpuE2ELNS1_3repE0EEENS1_30default_config_static_selectorELNS0_4arch9wavefront6targetE0EEEvT1_.has_dyn_sized_stack, 0
	.set _ZN7rocprim17ROCPRIM_400000_NS6detail17trampoline_kernelINS0_14default_configENS1_27scan_by_key_config_selectorIiiEEZZNS1_16scan_by_key_implILNS1_25lookback_scan_determinismE0ELb1ES3_N6thrust23THRUST_200600_302600_NS6detail15normal_iteratorINS9_10device_ptrIiEEEENSB_INSC_IjEEEESE_iNS9_4plusIvEENS9_8equal_toIvEEiEE10hipError_tPvRmT2_T3_T4_T5_mT6_T7_P12ihipStream_tbENKUlT_T0_E_clISt17integral_constantIbLb1EES11_EEDaSW_SX_EUlSW_E_NS1_11comp_targetILNS1_3genE8ELNS1_11target_archE1030ELNS1_3gpuE2ELNS1_3repE0EEENS1_30default_config_static_selectorELNS0_4arch9wavefront6targetE0EEEvT1_.has_recursion, 0
	.set _ZN7rocprim17ROCPRIM_400000_NS6detail17trampoline_kernelINS0_14default_configENS1_27scan_by_key_config_selectorIiiEEZZNS1_16scan_by_key_implILNS1_25lookback_scan_determinismE0ELb1ES3_N6thrust23THRUST_200600_302600_NS6detail15normal_iteratorINS9_10device_ptrIiEEEENSB_INSC_IjEEEESE_iNS9_4plusIvEENS9_8equal_toIvEEiEE10hipError_tPvRmT2_T3_T4_T5_mT6_T7_P12ihipStream_tbENKUlT_T0_E_clISt17integral_constantIbLb1EES11_EEDaSW_SX_EUlSW_E_NS1_11comp_targetILNS1_3genE8ELNS1_11target_archE1030ELNS1_3gpuE2ELNS1_3repE0EEENS1_30default_config_static_selectorELNS0_4arch9wavefront6targetE0EEEvT1_.has_indirect_call, 0
	.section	.AMDGPU.csdata,"",@progbits
; Kernel info:
; codeLenInByte = 4
; TotalNumSgprs: 0
; NumVgprs: 0
; ScratchSize: 0
; MemoryBound: 0
; FloatMode: 240
; IeeeMode: 1
; LDSByteSize: 0 bytes/workgroup (compile time only)
; SGPRBlocks: 0
; VGPRBlocks: 0
; NumSGPRsForWavesPerEU: 1
; NumVGPRsForWavesPerEU: 1
; Occupancy: 16
; WaveLimiterHint : 0
; COMPUTE_PGM_RSRC2:SCRATCH_EN: 0
; COMPUTE_PGM_RSRC2:USER_SGPR: 6
; COMPUTE_PGM_RSRC2:TRAP_HANDLER: 0
; COMPUTE_PGM_RSRC2:TGID_X_EN: 1
; COMPUTE_PGM_RSRC2:TGID_Y_EN: 0
; COMPUTE_PGM_RSRC2:TGID_Z_EN: 0
; COMPUTE_PGM_RSRC2:TIDIG_COMP_CNT: 0
	.section	.text._ZN7rocprim17ROCPRIM_400000_NS6detail17trampoline_kernelINS0_14default_configENS1_27scan_by_key_config_selectorIiiEEZZNS1_16scan_by_key_implILNS1_25lookback_scan_determinismE0ELb1ES3_N6thrust23THRUST_200600_302600_NS6detail15normal_iteratorINS9_10device_ptrIiEEEENSB_INSC_IjEEEESE_iNS9_4plusIvEENS9_8equal_toIvEEiEE10hipError_tPvRmT2_T3_T4_T5_mT6_T7_P12ihipStream_tbENKUlT_T0_E_clISt17integral_constantIbLb1EES10_IbLb0EEEEDaSW_SX_EUlSW_E_NS1_11comp_targetILNS1_3genE0ELNS1_11target_archE4294967295ELNS1_3gpuE0ELNS1_3repE0EEENS1_30default_config_static_selectorELNS0_4arch9wavefront6targetE0EEEvT1_,"axG",@progbits,_ZN7rocprim17ROCPRIM_400000_NS6detail17trampoline_kernelINS0_14default_configENS1_27scan_by_key_config_selectorIiiEEZZNS1_16scan_by_key_implILNS1_25lookback_scan_determinismE0ELb1ES3_N6thrust23THRUST_200600_302600_NS6detail15normal_iteratorINS9_10device_ptrIiEEEENSB_INSC_IjEEEESE_iNS9_4plusIvEENS9_8equal_toIvEEiEE10hipError_tPvRmT2_T3_T4_T5_mT6_T7_P12ihipStream_tbENKUlT_T0_E_clISt17integral_constantIbLb1EES10_IbLb0EEEEDaSW_SX_EUlSW_E_NS1_11comp_targetILNS1_3genE0ELNS1_11target_archE4294967295ELNS1_3gpuE0ELNS1_3repE0EEENS1_30default_config_static_selectorELNS0_4arch9wavefront6targetE0EEEvT1_,comdat
	.protected	_ZN7rocprim17ROCPRIM_400000_NS6detail17trampoline_kernelINS0_14default_configENS1_27scan_by_key_config_selectorIiiEEZZNS1_16scan_by_key_implILNS1_25lookback_scan_determinismE0ELb1ES3_N6thrust23THRUST_200600_302600_NS6detail15normal_iteratorINS9_10device_ptrIiEEEENSB_INSC_IjEEEESE_iNS9_4plusIvEENS9_8equal_toIvEEiEE10hipError_tPvRmT2_T3_T4_T5_mT6_T7_P12ihipStream_tbENKUlT_T0_E_clISt17integral_constantIbLb1EES10_IbLb0EEEEDaSW_SX_EUlSW_E_NS1_11comp_targetILNS1_3genE0ELNS1_11target_archE4294967295ELNS1_3gpuE0ELNS1_3repE0EEENS1_30default_config_static_selectorELNS0_4arch9wavefront6targetE0EEEvT1_ ; -- Begin function _ZN7rocprim17ROCPRIM_400000_NS6detail17trampoline_kernelINS0_14default_configENS1_27scan_by_key_config_selectorIiiEEZZNS1_16scan_by_key_implILNS1_25lookback_scan_determinismE0ELb1ES3_N6thrust23THRUST_200600_302600_NS6detail15normal_iteratorINS9_10device_ptrIiEEEENSB_INSC_IjEEEESE_iNS9_4plusIvEENS9_8equal_toIvEEiEE10hipError_tPvRmT2_T3_T4_T5_mT6_T7_P12ihipStream_tbENKUlT_T0_E_clISt17integral_constantIbLb1EES10_IbLb0EEEEDaSW_SX_EUlSW_E_NS1_11comp_targetILNS1_3genE0ELNS1_11target_archE4294967295ELNS1_3gpuE0ELNS1_3repE0EEENS1_30default_config_static_selectorELNS0_4arch9wavefront6targetE0EEEvT1_
	.globl	_ZN7rocprim17ROCPRIM_400000_NS6detail17trampoline_kernelINS0_14default_configENS1_27scan_by_key_config_selectorIiiEEZZNS1_16scan_by_key_implILNS1_25lookback_scan_determinismE0ELb1ES3_N6thrust23THRUST_200600_302600_NS6detail15normal_iteratorINS9_10device_ptrIiEEEENSB_INSC_IjEEEESE_iNS9_4plusIvEENS9_8equal_toIvEEiEE10hipError_tPvRmT2_T3_T4_T5_mT6_T7_P12ihipStream_tbENKUlT_T0_E_clISt17integral_constantIbLb1EES10_IbLb0EEEEDaSW_SX_EUlSW_E_NS1_11comp_targetILNS1_3genE0ELNS1_11target_archE4294967295ELNS1_3gpuE0ELNS1_3repE0EEENS1_30default_config_static_selectorELNS0_4arch9wavefront6targetE0EEEvT1_
	.p2align	8
	.type	_ZN7rocprim17ROCPRIM_400000_NS6detail17trampoline_kernelINS0_14default_configENS1_27scan_by_key_config_selectorIiiEEZZNS1_16scan_by_key_implILNS1_25lookback_scan_determinismE0ELb1ES3_N6thrust23THRUST_200600_302600_NS6detail15normal_iteratorINS9_10device_ptrIiEEEENSB_INSC_IjEEEESE_iNS9_4plusIvEENS9_8equal_toIvEEiEE10hipError_tPvRmT2_T3_T4_T5_mT6_T7_P12ihipStream_tbENKUlT_T0_E_clISt17integral_constantIbLb1EES10_IbLb0EEEEDaSW_SX_EUlSW_E_NS1_11comp_targetILNS1_3genE0ELNS1_11target_archE4294967295ELNS1_3gpuE0ELNS1_3repE0EEENS1_30default_config_static_selectorELNS0_4arch9wavefront6targetE0EEEvT1_,@function
_ZN7rocprim17ROCPRIM_400000_NS6detail17trampoline_kernelINS0_14default_configENS1_27scan_by_key_config_selectorIiiEEZZNS1_16scan_by_key_implILNS1_25lookback_scan_determinismE0ELb1ES3_N6thrust23THRUST_200600_302600_NS6detail15normal_iteratorINS9_10device_ptrIiEEEENSB_INSC_IjEEEESE_iNS9_4plusIvEENS9_8equal_toIvEEiEE10hipError_tPvRmT2_T3_T4_T5_mT6_T7_P12ihipStream_tbENKUlT_T0_E_clISt17integral_constantIbLb1EES10_IbLb0EEEEDaSW_SX_EUlSW_E_NS1_11comp_targetILNS1_3genE0ELNS1_11target_archE4294967295ELNS1_3gpuE0ELNS1_3repE0EEENS1_30default_config_static_selectorELNS0_4arch9wavefront6targetE0EEEvT1_: ; @_ZN7rocprim17ROCPRIM_400000_NS6detail17trampoline_kernelINS0_14default_configENS1_27scan_by_key_config_selectorIiiEEZZNS1_16scan_by_key_implILNS1_25lookback_scan_determinismE0ELb1ES3_N6thrust23THRUST_200600_302600_NS6detail15normal_iteratorINS9_10device_ptrIiEEEENSB_INSC_IjEEEESE_iNS9_4plusIvEENS9_8equal_toIvEEiEE10hipError_tPvRmT2_T3_T4_T5_mT6_T7_P12ihipStream_tbENKUlT_T0_E_clISt17integral_constantIbLb1EES10_IbLb0EEEEDaSW_SX_EUlSW_E_NS1_11comp_targetILNS1_3genE0ELNS1_11target_archE4294967295ELNS1_3gpuE0ELNS1_3repE0EEENS1_30default_config_static_selectorELNS0_4arch9wavefront6targetE0EEEvT1_
; %bb.0:
	.section	.rodata,"a",@progbits
	.p2align	6, 0x0
	.amdhsa_kernel _ZN7rocprim17ROCPRIM_400000_NS6detail17trampoline_kernelINS0_14default_configENS1_27scan_by_key_config_selectorIiiEEZZNS1_16scan_by_key_implILNS1_25lookback_scan_determinismE0ELb1ES3_N6thrust23THRUST_200600_302600_NS6detail15normal_iteratorINS9_10device_ptrIiEEEENSB_INSC_IjEEEESE_iNS9_4plusIvEENS9_8equal_toIvEEiEE10hipError_tPvRmT2_T3_T4_T5_mT6_T7_P12ihipStream_tbENKUlT_T0_E_clISt17integral_constantIbLb1EES10_IbLb0EEEEDaSW_SX_EUlSW_E_NS1_11comp_targetILNS1_3genE0ELNS1_11target_archE4294967295ELNS1_3gpuE0ELNS1_3repE0EEENS1_30default_config_static_selectorELNS0_4arch9wavefront6targetE0EEEvT1_
		.amdhsa_group_segment_fixed_size 0
		.amdhsa_private_segment_fixed_size 0
		.amdhsa_kernarg_size 112
		.amdhsa_user_sgpr_count 6
		.amdhsa_user_sgpr_private_segment_buffer 1
		.amdhsa_user_sgpr_dispatch_ptr 0
		.amdhsa_user_sgpr_queue_ptr 0
		.amdhsa_user_sgpr_kernarg_segment_ptr 1
		.amdhsa_user_sgpr_dispatch_id 0
		.amdhsa_user_sgpr_flat_scratch_init 0
		.amdhsa_user_sgpr_private_segment_size 0
		.amdhsa_wavefront_size32 1
		.amdhsa_uses_dynamic_stack 0
		.amdhsa_system_sgpr_private_segment_wavefront_offset 0
		.amdhsa_system_sgpr_workgroup_id_x 1
		.amdhsa_system_sgpr_workgroup_id_y 0
		.amdhsa_system_sgpr_workgroup_id_z 0
		.amdhsa_system_sgpr_workgroup_info 0
		.amdhsa_system_vgpr_workitem_id 0
		.amdhsa_next_free_vgpr 1
		.amdhsa_next_free_sgpr 1
		.amdhsa_reserve_vcc 0
		.amdhsa_reserve_flat_scratch 0
		.amdhsa_float_round_mode_32 0
		.amdhsa_float_round_mode_16_64 0
		.amdhsa_float_denorm_mode_32 3
		.amdhsa_float_denorm_mode_16_64 3
		.amdhsa_dx10_clamp 1
		.amdhsa_ieee_mode 1
		.amdhsa_fp16_overflow 0
		.amdhsa_workgroup_processor_mode 1
		.amdhsa_memory_ordered 1
		.amdhsa_forward_progress 1
		.amdhsa_shared_vgpr_count 0
		.amdhsa_exception_fp_ieee_invalid_op 0
		.amdhsa_exception_fp_denorm_src 0
		.amdhsa_exception_fp_ieee_div_zero 0
		.amdhsa_exception_fp_ieee_overflow 0
		.amdhsa_exception_fp_ieee_underflow 0
		.amdhsa_exception_fp_ieee_inexact 0
		.amdhsa_exception_int_div_zero 0
	.end_amdhsa_kernel
	.section	.text._ZN7rocprim17ROCPRIM_400000_NS6detail17trampoline_kernelINS0_14default_configENS1_27scan_by_key_config_selectorIiiEEZZNS1_16scan_by_key_implILNS1_25lookback_scan_determinismE0ELb1ES3_N6thrust23THRUST_200600_302600_NS6detail15normal_iteratorINS9_10device_ptrIiEEEENSB_INSC_IjEEEESE_iNS9_4plusIvEENS9_8equal_toIvEEiEE10hipError_tPvRmT2_T3_T4_T5_mT6_T7_P12ihipStream_tbENKUlT_T0_E_clISt17integral_constantIbLb1EES10_IbLb0EEEEDaSW_SX_EUlSW_E_NS1_11comp_targetILNS1_3genE0ELNS1_11target_archE4294967295ELNS1_3gpuE0ELNS1_3repE0EEENS1_30default_config_static_selectorELNS0_4arch9wavefront6targetE0EEEvT1_,"axG",@progbits,_ZN7rocprim17ROCPRIM_400000_NS6detail17trampoline_kernelINS0_14default_configENS1_27scan_by_key_config_selectorIiiEEZZNS1_16scan_by_key_implILNS1_25lookback_scan_determinismE0ELb1ES3_N6thrust23THRUST_200600_302600_NS6detail15normal_iteratorINS9_10device_ptrIiEEEENSB_INSC_IjEEEESE_iNS9_4plusIvEENS9_8equal_toIvEEiEE10hipError_tPvRmT2_T3_T4_T5_mT6_T7_P12ihipStream_tbENKUlT_T0_E_clISt17integral_constantIbLb1EES10_IbLb0EEEEDaSW_SX_EUlSW_E_NS1_11comp_targetILNS1_3genE0ELNS1_11target_archE4294967295ELNS1_3gpuE0ELNS1_3repE0EEENS1_30default_config_static_selectorELNS0_4arch9wavefront6targetE0EEEvT1_,comdat
.Lfunc_end1770:
	.size	_ZN7rocprim17ROCPRIM_400000_NS6detail17trampoline_kernelINS0_14default_configENS1_27scan_by_key_config_selectorIiiEEZZNS1_16scan_by_key_implILNS1_25lookback_scan_determinismE0ELb1ES3_N6thrust23THRUST_200600_302600_NS6detail15normal_iteratorINS9_10device_ptrIiEEEENSB_INSC_IjEEEESE_iNS9_4plusIvEENS9_8equal_toIvEEiEE10hipError_tPvRmT2_T3_T4_T5_mT6_T7_P12ihipStream_tbENKUlT_T0_E_clISt17integral_constantIbLb1EES10_IbLb0EEEEDaSW_SX_EUlSW_E_NS1_11comp_targetILNS1_3genE0ELNS1_11target_archE4294967295ELNS1_3gpuE0ELNS1_3repE0EEENS1_30default_config_static_selectorELNS0_4arch9wavefront6targetE0EEEvT1_, .Lfunc_end1770-_ZN7rocprim17ROCPRIM_400000_NS6detail17trampoline_kernelINS0_14default_configENS1_27scan_by_key_config_selectorIiiEEZZNS1_16scan_by_key_implILNS1_25lookback_scan_determinismE0ELb1ES3_N6thrust23THRUST_200600_302600_NS6detail15normal_iteratorINS9_10device_ptrIiEEEENSB_INSC_IjEEEESE_iNS9_4plusIvEENS9_8equal_toIvEEiEE10hipError_tPvRmT2_T3_T4_T5_mT6_T7_P12ihipStream_tbENKUlT_T0_E_clISt17integral_constantIbLb1EES10_IbLb0EEEEDaSW_SX_EUlSW_E_NS1_11comp_targetILNS1_3genE0ELNS1_11target_archE4294967295ELNS1_3gpuE0ELNS1_3repE0EEENS1_30default_config_static_selectorELNS0_4arch9wavefront6targetE0EEEvT1_
                                        ; -- End function
	.set _ZN7rocprim17ROCPRIM_400000_NS6detail17trampoline_kernelINS0_14default_configENS1_27scan_by_key_config_selectorIiiEEZZNS1_16scan_by_key_implILNS1_25lookback_scan_determinismE0ELb1ES3_N6thrust23THRUST_200600_302600_NS6detail15normal_iteratorINS9_10device_ptrIiEEEENSB_INSC_IjEEEESE_iNS9_4plusIvEENS9_8equal_toIvEEiEE10hipError_tPvRmT2_T3_T4_T5_mT6_T7_P12ihipStream_tbENKUlT_T0_E_clISt17integral_constantIbLb1EES10_IbLb0EEEEDaSW_SX_EUlSW_E_NS1_11comp_targetILNS1_3genE0ELNS1_11target_archE4294967295ELNS1_3gpuE0ELNS1_3repE0EEENS1_30default_config_static_selectorELNS0_4arch9wavefront6targetE0EEEvT1_.num_vgpr, 0
	.set _ZN7rocprim17ROCPRIM_400000_NS6detail17trampoline_kernelINS0_14default_configENS1_27scan_by_key_config_selectorIiiEEZZNS1_16scan_by_key_implILNS1_25lookback_scan_determinismE0ELb1ES3_N6thrust23THRUST_200600_302600_NS6detail15normal_iteratorINS9_10device_ptrIiEEEENSB_INSC_IjEEEESE_iNS9_4plusIvEENS9_8equal_toIvEEiEE10hipError_tPvRmT2_T3_T4_T5_mT6_T7_P12ihipStream_tbENKUlT_T0_E_clISt17integral_constantIbLb1EES10_IbLb0EEEEDaSW_SX_EUlSW_E_NS1_11comp_targetILNS1_3genE0ELNS1_11target_archE4294967295ELNS1_3gpuE0ELNS1_3repE0EEENS1_30default_config_static_selectorELNS0_4arch9wavefront6targetE0EEEvT1_.num_agpr, 0
	.set _ZN7rocprim17ROCPRIM_400000_NS6detail17trampoline_kernelINS0_14default_configENS1_27scan_by_key_config_selectorIiiEEZZNS1_16scan_by_key_implILNS1_25lookback_scan_determinismE0ELb1ES3_N6thrust23THRUST_200600_302600_NS6detail15normal_iteratorINS9_10device_ptrIiEEEENSB_INSC_IjEEEESE_iNS9_4plusIvEENS9_8equal_toIvEEiEE10hipError_tPvRmT2_T3_T4_T5_mT6_T7_P12ihipStream_tbENKUlT_T0_E_clISt17integral_constantIbLb1EES10_IbLb0EEEEDaSW_SX_EUlSW_E_NS1_11comp_targetILNS1_3genE0ELNS1_11target_archE4294967295ELNS1_3gpuE0ELNS1_3repE0EEENS1_30default_config_static_selectorELNS0_4arch9wavefront6targetE0EEEvT1_.numbered_sgpr, 0
	.set _ZN7rocprim17ROCPRIM_400000_NS6detail17trampoline_kernelINS0_14default_configENS1_27scan_by_key_config_selectorIiiEEZZNS1_16scan_by_key_implILNS1_25lookback_scan_determinismE0ELb1ES3_N6thrust23THRUST_200600_302600_NS6detail15normal_iteratorINS9_10device_ptrIiEEEENSB_INSC_IjEEEESE_iNS9_4plusIvEENS9_8equal_toIvEEiEE10hipError_tPvRmT2_T3_T4_T5_mT6_T7_P12ihipStream_tbENKUlT_T0_E_clISt17integral_constantIbLb1EES10_IbLb0EEEEDaSW_SX_EUlSW_E_NS1_11comp_targetILNS1_3genE0ELNS1_11target_archE4294967295ELNS1_3gpuE0ELNS1_3repE0EEENS1_30default_config_static_selectorELNS0_4arch9wavefront6targetE0EEEvT1_.num_named_barrier, 0
	.set _ZN7rocprim17ROCPRIM_400000_NS6detail17trampoline_kernelINS0_14default_configENS1_27scan_by_key_config_selectorIiiEEZZNS1_16scan_by_key_implILNS1_25lookback_scan_determinismE0ELb1ES3_N6thrust23THRUST_200600_302600_NS6detail15normal_iteratorINS9_10device_ptrIiEEEENSB_INSC_IjEEEESE_iNS9_4plusIvEENS9_8equal_toIvEEiEE10hipError_tPvRmT2_T3_T4_T5_mT6_T7_P12ihipStream_tbENKUlT_T0_E_clISt17integral_constantIbLb1EES10_IbLb0EEEEDaSW_SX_EUlSW_E_NS1_11comp_targetILNS1_3genE0ELNS1_11target_archE4294967295ELNS1_3gpuE0ELNS1_3repE0EEENS1_30default_config_static_selectorELNS0_4arch9wavefront6targetE0EEEvT1_.private_seg_size, 0
	.set _ZN7rocprim17ROCPRIM_400000_NS6detail17trampoline_kernelINS0_14default_configENS1_27scan_by_key_config_selectorIiiEEZZNS1_16scan_by_key_implILNS1_25lookback_scan_determinismE0ELb1ES3_N6thrust23THRUST_200600_302600_NS6detail15normal_iteratorINS9_10device_ptrIiEEEENSB_INSC_IjEEEESE_iNS9_4plusIvEENS9_8equal_toIvEEiEE10hipError_tPvRmT2_T3_T4_T5_mT6_T7_P12ihipStream_tbENKUlT_T0_E_clISt17integral_constantIbLb1EES10_IbLb0EEEEDaSW_SX_EUlSW_E_NS1_11comp_targetILNS1_3genE0ELNS1_11target_archE4294967295ELNS1_3gpuE0ELNS1_3repE0EEENS1_30default_config_static_selectorELNS0_4arch9wavefront6targetE0EEEvT1_.uses_vcc, 0
	.set _ZN7rocprim17ROCPRIM_400000_NS6detail17trampoline_kernelINS0_14default_configENS1_27scan_by_key_config_selectorIiiEEZZNS1_16scan_by_key_implILNS1_25lookback_scan_determinismE0ELb1ES3_N6thrust23THRUST_200600_302600_NS6detail15normal_iteratorINS9_10device_ptrIiEEEENSB_INSC_IjEEEESE_iNS9_4plusIvEENS9_8equal_toIvEEiEE10hipError_tPvRmT2_T3_T4_T5_mT6_T7_P12ihipStream_tbENKUlT_T0_E_clISt17integral_constantIbLb1EES10_IbLb0EEEEDaSW_SX_EUlSW_E_NS1_11comp_targetILNS1_3genE0ELNS1_11target_archE4294967295ELNS1_3gpuE0ELNS1_3repE0EEENS1_30default_config_static_selectorELNS0_4arch9wavefront6targetE0EEEvT1_.uses_flat_scratch, 0
	.set _ZN7rocprim17ROCPRIM_400000_NS6detail17trampoline_kernelINS0_14default_configENS1_27scan_by_key_config_selectorIiiEEZZNS1_16scan_by_key_implILNS1_25lookback_scan_determinismE0ELb1ES3_N6thrust23THRUST_200600_302600_NS6detail15normal_iteratorINS9_10device_ptrIiEEEENSB_INSC_IjEEEESE_iNS9_4plusIvEENS9_8equal_toIvEEiEE10hipError_tPvRmT2_T3_T4_T5_mT6_T7_P12ihipStream_tbENKUlT_T0_E_clISt17integral_constantIbLb1EES10_IbLb0EEEEDaSW_SX_EUlSW_E_NS1_11comp_targetILNS1_3genE0ELNS1_11target_archE4294967295ELNS1_3gpuE0ELNS1_3repE0EEENS1_30default_config_static_selectorELNS0_4arch9wavefront6targetE0EEEvT1_.has_dyn_sized_stack, 0
	.set _ZN7rocprim17ROCPRIM_400000_NS6detail17trampoline_kernelINS0_14default_configENS1_27scan_by_key_config_selectorIiiEEZZNS1_16scan_by_key_implILNS1_25lookback_scan_determinismE0ELb1ES3_N6thrust23THRUST_200600_302600_NS6detail15normal_iteratorINS9_10device_ptrIiEEEENSB_INSC_IjEEEESE_iNS9_4plusIvEENS9_8equal_toIvEEiEE10hipError_tPvRmT2_T3_T4_T5_mT6_T7_P12ihipStream_tbENKUlT_T0_E_clISt17integral_constantIbLb1EES10_IbLb0EEEEDaSW_SX_EUlSW_E_NS1_11comp_targetILNS1_3genE0ELNS1_11target_archE4294967295ELNS1_3gpuE0ELNS1_3repE0EEENS1_30default_config_static_selectorELNS0_4arch9wavefront6targetE0EEEvT1_.has_recursion, 0
	.set _ZN7rocprim17ROCPRIM_400000_NS6detail17trampoline_kernelINS0_14default_configENS1_27scan_by_key_config_selectorIiiEEZZNS1_16scan_by_key_implILNS1_25lookback_scan_determinismE0ELb1ES3_N6thrust23THRUST_200600_302600_NS6detail15normal_iteratorINS9_10device_ptrIiEEEENSB_INSC_IjEEEESE_iNS9_4plusIvEENS9_8equal_toIvEEiEE10hipError_tPvRmT2_T3_T4_T5_mT6_T7_P12ihipStream_tbENKUlT_T0_E_clISt17integral_constantIbLb1EES10_IbLb0EEEEDaSW_SX_EUlSW_E_NS1_11comp_targetILNS1_3genE0ELNS1_11target_archE4294967295ELNS1_3gpuE0ELNS1_3repE0EEENS1_30default_config_static_selectorELNS0_4arch9wavefront6targetE0EEEvT1_.has_indirect_call, 0
	.section	.AMDGPU.csdata,"",@progbits
; Kernel info:
; codeLenInByte = 0
; TotalNumSgprs: 0
; NumVgprs: 0
; ScratchSize: 0
; MemoryBound: 0
; FloatMode: 240
; IeeeMode: 1
; LDSByteSize: 0 bytes/workgroup (compile time only)
; SGPRBlocks: 0
; VGPRBlocks: 0
; NumSGPRsForWavesPerEU: 1
; NumVGPRsForWavesPerEU: 1
; Occupancy: 16
; WaveLimiterHint : 0
; COMPUTE_PGM_RSRC2:SCRATCH_EN: 0
; COMPUTE_PGM_RSRC2:USER_SGPR: 6
; COMPUTE_PGM_RSRC2:TRAP_HANDLER: 0
; COMPUTE_PGM_RSRC2:TGID_X_EN: 1
; COMPUTE_PGM_RSRC2:TGID_Y_EN: 0
; COMPUTE_PGM_RSRC2:TGID_Z_EN: 0
; COMPUTE_PGM_RSRC2:TIDIG_COMP_CNT: 0
	.section	.text._ZN7rocprim17ROCPRIM_400000_NS6detail17trampoline_kernelINS0_14default_configENS1_27scan_by_key_config_selectorIiiEEZZNS1_16scan_by_key_implILNS1_25lookback_scan_determinismE0ELb1ES3_N6thrust23THRUST_200600_302600_NS6detail15normal_iteratorINS9_10device_ptrIiEEEENSB_INSC_IjEEEESE_iNS9_4plusIvEENS9_8equal_toIvEEiEE10hipError_tPvRmT2_T3_T4_T5_mT6_T7_P12ihipStream_tbENKUlT_T0_E_clISt17integral_constantIbLb1EES10_IbLb0EEEEDaSW_SX_EUlSW_E_NS1_11comp_targetILNS1_3genE10ELNS1_11target_archE1201ELNS1_3gpuE5ELNS1_3repE0EEENS1_30default_config_static_selectorELNS0_4arch9wavefront6targetE0EEEvT1_,"axG",@progbits,_ZN7rocprim17ROCPRIM_400000_NS6detail17trampoline_kernelINS0_14default_configENS1_27scan_by_key_config_selectorIiiEEZZNS1_16scan_by_key_implILNS1_25lookback_scan_determinismE0ELb1ES3_N6thrust23THRUST_200600_302600_NS6detail15normal_iteratorINS9_10device_ptrIiEEEENSB_INSC_IjEEEESE_iNS9_4plusIvEENS9_8equal_toIvEEiEE10hipError_tPvRmT2_T3_T4_T5_mT6_T7_P12ihipStream_tbENKUlT_T0_E_clISt17integral_constantIbLb1EES10_IbLb0EEEEDaSW_SX_EUlSW_E_NS1_11comp_targetILNS1_3genE10ELNS1_11target_archE1201ELNS1_3gpuE5ELNS1_3repE0EEENS1_30default_config_static_selectorELNS0_4arch9wavefront6targetE0EEEvT1_,comdat
	.protected	_ZN7rocprim17ROCPRIM_400000_NS6detail17trampoline_kernelINS0_14default_configENS1_27scan_by_key_config_selectorIiiEEZZNS1_16scan_by_key_implILNS1_25lookback_scan_determinismE0ELb1ES3_N6thrust23THRUST_200600_302600_NS6detail15normal_iteratorINS9_10device_ptrIiEEEENSB_INSC_IjEEEESE_iNS9_4plusIvEENS9_8equal_toIvEEiEE10hipError_tPvRmT2_T3_T4_T5_mT6_T7_P12ihipStream_tbENKUlT_T0_E_clISt17integral_constantIbLb1EES10_IbLb0EEEEDaSW_SX_EUlSW_E_NS1_11comp_targetILNS1_3genE10ELNS1_11target_archE1201ELNS1_3gpuE5ELNS1_3repE0EEENS1_30default_config_static_selectorELNS0_4arch9wavefront6targetE0EEEvT1_ ; -- Begin function _ZN7rocprim17ROCPRIM_400000_NS6detail17trampoline_kernelINS0_14default_configENS1_27scan_by_key_config_selectorIiiEEZZNS1_16scan_by_key_implILNS1_25lookback_scan_determinismE0ELb1ES3_N6thrust23THRUST_200600_302600_NS6detail15normal_iteratorINS9_10device_ptrIiEEEENSB_INSC_IjEEEESE_iNS9_4plusIvEENS9_8equal_toIvEEiEE10hipError_tPvRmT2_T3_T4_T5_mT6_T7_P12ihipStream_tbENKUlT_T0_E_clISt17integral_constantIbLb1EES10_IbLb0EEEEDaSW_SX_EUlSW_E_NS1_11comp_targetILNS1_3genE10ELNS1_11target_archE1201ELNS1_3gpuE5ELNS1_3repE0EEENS1_30default_config_static_selectorELNS0_4arch9wavefront6targetE0EEEvT1_
	.globl	_ZN7rocprim17ROCPRIM_400000_NS6detail17trampoline_kernelINS0_14default_configENS1_27scan_by_key_config_selectorIiiEEZZNS1_16scan_by_key_implILNS1_25lookback_scan_determinismE0ELb1ES3_N6thrust23THRUST_200600_302600_NS6detail15normal_iteratorINS9_10device_ptrIiEEEENSB_INSC_IjEEEESE_iNS9_4plusIvEENS9_8equal_toIvEEiEE10hipError_tPvRmT2_T3_T4_T5_mT6_T7_P12ihipStream_tbENKUlT_T0_E_clISt17integral_constantIbLb1EES10_IbLb0EEEEDaSW_SX_EUlSW_E_NS1_11comp_targetILNS1_3genE10ELNS1_11target_archE1201ELNS1_3gpuE5ELNS1_3repE0EEENS1_30default_config_static_selectorELNS0_4arch9wavefront6targetE0EEEvT1_
	.p2align	8
	.type	_ZN7rocprim17ROCPRIM_400000_NS6detail17trampoline_kernelINS0_14default_configENS1_27scan_by_key_config_selectorIiiEEZZNS1_16scan_by_key_implILNS1_25lookback_scan_determinismE0ELb1ES3_N6thrust23THRUST_200600_302600_NS6detail15normal_iteratorINS9_10device_ptrIiEEEENSB_INSC_IjEEEESE_iNS9_4plusIvEENS9_8equal_toIvEEiEE10hipError_tPvRmT2_T3_T4_T5_mT6_T7_P12ihipStream_tbENKUlT_T0_E_clISt17integral_constantIbLb1EES10_IbLb0EEEEDaSW_SX_EUlSW_E_NS1_11comp_targetILNS1_3genE10ELNS1_11target_archE1201ELNS1_3gpuE5ELNS1_3repE0EEENS1_30default_config_static_selectorELNS0_4arch9wavefront6targetE0EEEvT1_,@function
_ZN7rocprim17ROCPRIM_400000_NS6detail17trampoline_kernelINS0_14default_configENS1_27scan_by_key_config_selectorIiiEEZZNS1_16scan_by_key_implILNS1_25lookback_scan_determinismE0ELb1ES3_N6thrust23THRUST_200600_302600_NS6detail15normal_iteratorINS9_10device_ptrIiEEEENSB_INSC_IjEEEESE_iNS9_4plusIvEENS9_8equal_toIvEEiEE10hipError_tPvRmT2_T3_T4_T5_mT6_T7_P12ihipStream_tbENKUlT_T0_E_clISt17integral_constantIbLb1EES10_IbLb0EEEEDaSW_SX_EUlSW_E_NS1_11comp_targetILNS1_3genE10ELNS1_11target_archE1201ELNS1_3gpuE5ELNS1_3repE0EEENS1_30default_config_static_selectorELNS0_4arch9wavefront6targetE0EEEvT1_: ; @_ZN7rocprim17ROCPRIM_400000_NS6detail17trampoline_kernelINS0_14default_configENS1_27scan_by_key_config_selectorIiiEEZZNS1_16scan_by_key_implILNS1_25lookback_scan_determinismE0ELb1ES3_N6thrust23THRUST_200600_302600_NS6detail15normal_iteratorINS9_10device_ptrIiEEEENSB_INSC_IjEEEESE_iNS9_4plusIvEENS9_8equal_toIvEEiEE10hipError_tPvRmT2_T3_T4_T5_mT6_T7_P12ihipStream_tbENKUlT_T0_E_clISt17integral_constantIbLb1EES10_IbLb0EEEEDaSW_SX_EUlSW_E_NS1_11comp_targetILNS1_3genE10ELNS1_11target_archE1201ELNS1_3gpuE5ELNS1_3repE0EEENS1_30default_config_static_selectorELNS0_4arch9wavefront6targetE0EEEvT1_
; %bb.0:
	.section	.rodata,"a",@progbits
	.p2align	6, 0x0
	.amdhsa_kernel _ZN7rocprim17ROCPRIM_400000_NS6detail17trampoline_kernelINS0_14default_configENS1_27scan_by_key_config_selectorIiiEEZZNS1_16scan_by_key_implILNS1_25lookback_scan_determinismE0ELb1ES3_N6thrust23THRUST_200600_302600_NS6detail15normal_iteratorINS9_10device_ptrIiEEEENSB_INSC_IjEEEESE_iNS9_4plusIvEENS9_8equal_toIvEEiEE10hipError_tPvRmT2_T3_T4_T5_mT6_T7_P12ihipStream_tbENKUlT_T0_E_clISt17integral_constantIbLb1EES10_IbLb0EEEEDaSW_SX_EUlSW_E_NS1_11comp_targetILNS1_3genE10ELNS1_11target_archE1201ELNS1_3gpuE5ELNS1_3repE0EEENS1_30default_config_static_selectorELNS0_4arch9wavefront6targetE0EEEvT1_
		.amdhsa_group_segment_fixed_size 0
		.amdhsa_private_segment_fixed_size 0
		.amdhsa_kernarg_size 112
		.amdhsa_user_sgpr_count 6
		.amdhsa_user_sgpr_private_segment_buffer 1
		.amdhsa_user_sgpr_dispatch_ptr 0
		.amdhsa_user_sgpr_queue_ptr 0
		.amdhsa_user_sgpr_kernarg_segment_ptr 1
		.amdhsa_user_sgpr_dispatch_id 0
		.amdhsa_user_sgpr_flat_scratch_init 0
		.amdhsa_user_sgpr_private_segment_size 0
		.amdhsa_wavefront_size32 1
		.amdhsa_uses_dynamic_stack 0
		.amdhsa_system_sgpr_private_segment_wavefront_offset 0
		.amdhsa_system_sgpr_workgroup_id_x 1
		.amdhsa_system_sgpr_workgroup_id_y 0
		.amdhsa_system_sgpr_workgroup_id_z 0
		.amdhsa_system_sgpr_workgroup_info 0
		.amdhsa_system_vgpr_workitem_id 0
		.amdhsa_next_free_vgpr 1
		.amdhsa_next_free_sgpr 1
		.amdhsa_reserve_vcc 0
		.amdhsa_reserve_flat_scratch 0
		.amdhsa_float_round_mode_32 0
		.amdhsa_float_round_mode_16_64 0
		.amdhsa_float_denorm_mode_32 3
		.amdhsa_float_denorm_mode_16_64 3
		.amdhsa_dx10_clamp 1
		.amdhsa_ieee_mode 1
		.amdhsa_fp16_overflow 0
		.amdhsa_workgroup_processor_mode 1
		.amdhsa_memory_ordered 1
		.amdhsa_forward_progress 1
		.amdhsa_shared_vgpr_count 0
		.amdhsa_exception_fp_ieee_invalid_op 0
		.amdhsa_exception_fp_denorm_src 0
		.amdhsa_exception_fp_ieee_div_zero 0
		.amdhsa_exception_fp_ieee_overflow 0
		.amdhsa_exception_fp_ieee_underflow 0
		.amdhsa_exception_fp_ieee_inexact 0
		.amdhsa_exception_int_div_zero 0
	.end_amdhsa_kernel
	.section	.text._ZN7rocprim17ROCPRIM_400000_NS6detail17trampoline_kernelINS0_14default_configENS1_27scan_by_key_config_selectorIiiEEZZNS1_16scan_by_key_implILNS1_25lookback_scan_determinismE0ELb1ES3_N6thrust23THRUST_200600_302600_NS6detail15normal_iteratorINS9_10device_ptrIiEEEENSB_INSC_IjEEEESE_iNS9_4plusIvEENS9_8equal_toIvEEiEE10hipError_tPvRmT2_T3_T4_T5_mT6_T7_P12ihipStream_tbENKUlT_T0_E_clISt17integral_constantIbLb1EES10_IbLb0EEEEDaSW_SX_EUlSW_E_NS1_11comp_targetILNS1_3genE10ELNS1_11target_archE1201ELNS1_3gpuE5ELNS1_3repE0EEENS1_30default_config_static_selectorELNS0_4arch9wavefront6targetE0EEEvT1_,"axG",@progbits,_ZN7rocprim17ROCPRIM_400000_NS6detail17trampoline_kernelINS0_14default_configENS1_27scan_by_key_config_selectorIiiEEZZNS1_16scan_by_key_implILNS1_25lookback_scan_determinismE0ELb1ES3_N6thrust23THRUST_200600_302600_NS6detail15normal_iteratorINS9_10device_ptrIiEEEENSB_INSC_IjEEEESE_iNS9_4plusIvEENS9_8equal_toIvEEiEE10hipError_tPvRmT2_T3_T4_T5_mT6_T7_P12ihipStream_tbENKUlT_T0_E_clISt17integral_constantIbLb1EES10_IbLb0EEEEDaSW_SX_EUlSW_E_NS1_11comp_targetILNS1_3genE10ELNS1_11target_archE1201ELNS1_3gpuE5ELNS1_3repE0EEENS1_30default_config_static_selectorELNS0_4arch9wavefront6targetE0EEEvT1_,comdat
.Lfunc_end1771:
	.size	_ZN7rocprim17ROCPRIM_400000_NS6detail17trampoline_kernelINS0_14default_configENS1_27scan_by_key_config_selectorIiiEEZZNS1_16scan_by_key_implILNS1_25lookback_scan_determinismE0ELb1ES3_N6thrust23THRUST_200600_302600_NS6detail15normal_iteratorINS9_10device_ptrIiEEEENSB_INSC_IjEEEESE_iNS9_4plusIvEENS9_8equal_toIvEEiEE10hipError_tPvRmT2_T3_T4_T5_mT6_T7_P12ihipStream_tbENKUlT_T0_E_clISt17integral_constantIbLb1EES10_IbLb0EEEEDaSW_SX_EUlSW_E_NS1_11comp_targetILNS1_3genE10ELNS1_11target_archE1201ELNS1_3gpuE5ELNS1_3repE0EEENS1_30default_config_static_selectorELNS0_4arch9wavefront6targetE0EEEvT1_, .Lfunc_end1771-_ZN7rocprim17ROCPRIM_400000_NS6detail17trampoline_kernelINS0_14default_configENS1_27scan_by_key_config_selectorIiiEEZZNS1_16scan_by_key_implILNS1_25lookback_scan_determinismE0ELb1ES3_N6thrust23THRUST_200600_302600_NS6detail15normal_iteratorINS9_10device_ptrIiEEEENSB_INSC_IjEEEESE_iNS9_4plusIvEENS9_8equal_toIvEEiEE10hipError_tPvRmT2_T3_T4_T5_mT6_T7_P12ihipStream_tbENKUlT_T0_E_clISt17integral_constantIbLb1EES10_IbLb0EEEEDaSW_SX_EUlSW_E_NS1_11comp_targetILNS1_3genE10ELNS1_11target_archE1201ELNS1_3gpuE5ELNS1_3repE0EEENS1_30default_config_static_selectorELNS0_4arch9wavefront6targetE0EEEvT1_
                                        ; -- End function
	.set _ZN7rocprim17ROCPRIM_400000_NS6detail17trampoline_kernelINS0_14default_configENS1_27scan_by_key_config_selectorIiiEEZZNS1_16scan_by_key_implILNS1_25lookback_scan_determinismE0ELb1ES3_N6thrust23THRUST_200600_302600_NS6detail15normal_iteratorINS9_10device_ptrIiEEEENSB_INSC_IjEEEESE_iNS9_4plusIvEENS9_8equal_toIvEEiEE10hipError_tPvRmT2_T3_T4_T5_mT6_T7_P12ihipStream_tbENKUlT_T0_E_clISt17integral_constantIbLb1EES10_IbLb0EEEEDaSW_SX_EUlSW_E_NS1_11comp_targetILNS1_3genE10ELNS1_11target_archE1201ELNS1_3gpuE5ELNS1_3repE0EEENS1_30default_config_static_selectorELNS0_4arch9wavefront6targetE0EEEvT1_.num_vgpr, 0
	.set _ZN7rocprim17ROCPRIM_400000_NS6detail17trampoline_kernelINS0_14default_configENS1_27scan_by_key_config_selectorIiiEEZZNS1_16scan_by_key_implILNS1_25lookback_scan_determinismE0ELb1ES3_N6thrust23THRUST_200600_302600_NS6detail15normal_iteratorINS9_10device_ptrIiEEEENSB_INSC_IjEEEESE_iNS9_4plusIvEENS9_8equal_toIvEEiEE10hipError_tPvRmT2_T3_T4_T5_mT6_T7_P12ihipStream_tbENKUlT_T0_E_clISt17integral_constantIbLb1EES10_IbLb0EEEEDaSW_SX_EUlSW_E_NS1_11comp_targetILNS1_3genE10ELNS1_11target_archE1201ELNS1_3gpuE5ELNS1_3repE0EEENS1_30default_config_static_selectorELNS0_4arch9wavefront6targetE0EEEvT1_.num_agpr, 0
	.set _ZN7rocprim17ROCPRIM_400000_NS6detail17trampoline_kernelINS0_14default_configENS1_27scan_by_key_config_selectorIiiEEZZNS1_16scan_by_key_implILNS1_25lookback_scan_determinismE0ELb1ES3_N6thrust23THRUST_200600_302600_NS6detail15normal_iteratorINS9_10device_ptrIiEEEENSB_INSC_IjEEEESE_iNS9_4plusIvEENS9_8equal_toIvEEiEE10hipError_tPvRmT2_T3_T4_T5_mT6_T7_P12ihipStream_tbENKUlT_T0_E_clISt17integral_constantIbLb1EES10_IbLb0EEEEDaSW_SX_EUlSW_E_NS1_11comp_targetILNS1_3genE10ELNS1_11target_archE1201ELNS1_3gpuE5ELNS1_3repE0EEENS1_30default_config_static_selectorELNS0_4arch9wavefront6targetE0EEEvT1_.numbered_sgpr, 0
	.set _ZN7rocprim17ROCPRIM_400000_NS6detail17trampoline_kernelINS0_14default_configENS1_27scan_by_key_config_selectorIiiEEZZNS1_16scan_by_key_implILNS1_25lookback_scan_determinismE0ELb1ES3_N6thrust23THRUST_200600_302600_NS6detail15normal_iteratorINS9_10device_ptrIiEEEENSB_INSC_IjEEEESE_iNS9_4plusIvEENS9_8equal_toIvEEiEE10hipError_tPvRmT2_T3_T4_T5_mT6_T7_P12ihipStream_tbENKUlT_T0_E_clISt17integral_constantIbLb1EES10_IbLb0EEEEDaSW_SX_EUlSW_E_NS1_11comp_targetILNS1_3genE10ELNS1_11target_archE1201ELNS1_3gpuE5ELNS1_3repE0EEENS1_30default_config_static_selectorELNS0_4arch9wavefront6targetE0EEEvT1_.num_named_barrier, 0
	.set _ZN7rocprim17ROCPRIM_400000_NS6detail17trampoline_kernelINS0_14default_configENS1_27scan_by_key_config_selectorIiiEEZZNS1_16scan_by_key_implILNS1_25lookback_scan_determinismE0ELb1ES3_N6thrust23THRUST_200600_302600_NS6detail15normal_iteratorINS9_10device_ptrIiEEEENSB_INSC_IjEEEESE_iNS9_4plusIvEENS9_8equal_toIvEEiEE10hipError_tPvRmT2_T3_T4_T5_mT6_T7_P12ihipStream_tbENKUlT_T0_E_clISt17integral_constantIbLb1EES10_IbLb0EEEEDaSW_SX_EUlSW_E_NS1_11comp_targetILNS1_3genE10ELNS1_11target_archE1201ELNS1_3gpuE5ELNS1_3repE0EEENS1_30default_config_static_selectorELNS0_4arch9wavefront6targetE0EEEvT1_.private_seg_size, 0
	.set _ZN7rocprim17ROCPRIM_400000_NS6detail17trampoline_kernelINS0_14default_configENS1_27scan_by_key_config_selectorIiiEEZZNS1_16scan_by_key_implILNS1_25lookback_scan_determinismE0ELb1ES3_N6thrust23THRUST_200600_302600_NS6detail15normal_iteratorINS9_10device_ptrIiEEEENSB_INSC_IjEEEESE_iNS9_4plusIvEENS9_8equal_toIvEEiEE10hipError_tPvRmT2_T3_T4_T5_mT6_T7_P12ihipStream_tbENKUlT_T0_E_clISt17integral_constantIbLb1EES10_IbLb0EEEEDaSW_SX_EUlSW_E_NS1_11comp_targetILNS1_3genE10ELNS1_11target_archE1201ELNS1_3gpuE5ELNS1_3repE0EEENS1_30default_config_static_selectorELNS0_4arch9wavefront6targetE0EEEvT1_.uses_vcc, 0
	.set _ZN7rocprim17ROCPRIM_400000_NS6detail17trampoline_kernelINS0_14default_configENS1_27scan_by_key_config_selectorIiiEEZZNS1_16scan_by_key_implILNS1_25lookback_scan_determinismE0ELb1ES3_N6thrust23THRUST_200600_302600_NS6detail15normal_iteratorINS9_10device_ptrIiEEEENSB_INSC_IjEEEESE_iNS9_4plusIvEENS9_8equal_toIvEEiEE10hipError_tPvRmT2_T3_T4_T5_mT6_T7_P12ihipStream_tbENKUlT_T0_E_clISt17integral_constantIbLb1EES10_IbLb0EEEEDaSW_SX_EUlSW_E_NS1_11comp_targetILNS1_3genE10ELNS1_11target_archE1201ELNS1_3gpuE5ELNS1_3repE0EEENS1_30default_config_static_selectorELNS0_4arch9wavefront6targetE0EEEvT1_.uses_flat_scratch, 0
	.set _ZN7rocprim17ROCPRIM_400000_NS6detail17trampoline_kernelINS0_14default_configENS1_27scan_by_key_config_selectorIiiEEZZNS1_16scan_by_key_implILNS1_25lookback_scan_determinismE0ELb1ES3_N6thrust23THRUST_200600_302600_NS6detail15normal_iteratorINS9_10device_ptrIiEEEENSB_INSC_IjEEEESE_iNS9_4plusIvEENS9_8equal_toIvEEiEE10hipError_tPvRmT2_T3_T4_T5_mT6_T7_P12ihipStream_tbENKUlT_T0_E_clISt17integral_constantIbLb1EES10_IbLb0EEEEDaSW_SX_EUlSW_E_NS1_11comp_targetILNS1_3genE10ELNS1_11target_archE1201ELNS1_3gpuE5ELNS1_3repE0EEENS1_30default_config_static_selectorELNS0_4arch9wavefront6targetE0EEEvT1_.has_dyn_sized_stack, 0
	.set _ZN7rocprim17ROCPRIM_400000_NS6detail17trampoline_kernelINS0_14default_configENS1_27scan_by_key_config_selectorIiiEEZZNS1_16scan_by_key_implILNS1_25lookback_scan_determinismE0ELb1ES3_N6thrust23THRUST_200600_302600_NS6detail15normal_iteratorINS9_10device_ptrIiEEEENSB_INSC_IjEEEESE_iNS9_4plusIvEENS9_8equal_toIvEEiEE10hipError_tPvRmT2_T3_T4_T5_mT6_T7_P12ihipStream_tbENKUlT_T0_E_clISt17integral_constantIbLb1EES10_IbLb0EEEEDaSW_SX_EUlSW_E_NS1_11comp_targetILNS1_3genE10ELNS1_11target_archE1201ELNS1_3gpuE5ELNS1_3repE0EEENS1_30default_config_static_selectorELNS0_4arch9wavefront6targetE0EEEvT1_.has_recursion, 0
	.set _ZN7rocprim17ROCPRIM_400000_NS6detail17trampoline_kernelINS0_14default_configENS1_27scan_by_key_config_selectorIiiEEZZNS1_16scan_by_key_implILNS1_25lookback_scan_determinismE0ELb1ES3_N6thrust23THRUST_200600_302600_NS6detail15normal_iteratorINS9_10device_ptrIiEEEENSB_INSC_IjEEEESE_iNS9_4plusIvEENS9_8equal_toIvEEiEE10hipError_tPvRmT2_T3_T4_T5_mT6_T7_P12ihipStream_tbENKUlT_T0_E_clISt17integral_constantIbLb1EES10_IbLb0EEEEDaSW_SX_EUlSW_E_NS1_11comp_targetILNS1_3genE10ELNS1_11target_archE1201ELNS1_3gpuE5ELNS1_3repE0EEENS1_30default_config_static_selectorELNS0_4arch9wavefront6targetE0EEEvT1_.has_indirect_call, 0
	.section	.AMDGPU.csdata,"",@progbits
; Kernel info:
; codeLenInByte = 0
; TotalNumSgprs: 0
; NumVgprs: 0
; ScratchSize: 0
; MemoryBound: 0
; FloatMode: 240
; IeeeMode: 1
; LDSByteSize: 0 bytes/workgroup (compile time only)
; SGPRBlocks: 0
; VGPRBlocks: 0
; NumSGPRsForWavesPerEU: 1
; NumVGPRsForWavesPerEU: 1
; Occupancy: 16
; WaveLimiterHint : 0
; COMPUTE_PGM_RSRC2:SCRATCH_EN: 0
; COMPUTE_PGM_RSRC2:USER_SGPR: 6
; COMPUTE_PGM_RSRC2:TRAP_HANDLER: 0
; COMPUTE_PGM_RSRC2:TGID_X_EN: 1
; COMPUTE_PGM_RSRC2:TGID_Y_EN: 0
; COMPUTE_PGM_RSRC2:TGID_Z_EN: 0
; COMPUTE_PGM_RSRC2:TIDIG_COMP_CNT: 0
	.section	.text._ZN7rocprim17ROCPRIM_400000_NS6detail17trampoline_kernelINS0_14default_configENS1_27scan_by_key_config_selectorIiiEEZZNS1_16scan_by_key_implILNS1_25lookback_scan_determinismE0ELb1ES3_N6thrust23THRUST_200600_302600_NS6detail15normal_iteratorINS9_10device_ptrIiEEEENSB_INSC_IjEEEESE_iNS9_4plusIvEENS9_8equal_toIvEEiEE10hipError_tPvRmT2_T3_T4_T5_mT6_T7_P12ihipStream_tbENKUlT_T0_E_clISt17integral_constantIbLb1EES10_IbLb0EEEEDaSW_SX_EUlSW_E_NS1_11comp_targetILNS1_3genE5ELNS1_11target_archE942ELNS1_3gpuE9ELNS1_3repE0EEENS1_30default_config_static_selectorELNS0_4arch9wavefront6targetE0EEEvT1_,"axG",@progbits,_ZN7rocprim17ROCPRIM_400000_NS6detail17trampoline_kernelINS0_14default_configENS1_27scan_by_key_config_selectorIiiEEZZNS1_16scan_by_key_implILNS1_25lookback_scan_determinismE0ELb1ES3_N6thrust23THRUST_200600_302600_NS6detail15normal_iteratorINS9_10device_ptrIiEEEENSB_INSC_IjEEEESE_iNS9_4plusIvEENS9_8equal_toIvEEiEE10hipError_tPvRmT2_T3_T4_T5_mT6_T7_P12ihipStream_tbENKUlT_T0_E_clISt17integral_constantIbLb1EES10_IbLb0EEEEDaSW_SX_EUlSW_E_NS1_11comp_targetILNS1_3genE5ELNS1_11target_archE942ELNS1_3gpuE9ELNS1_3repE0EEENS1_30default_config_static_selectorELNS0_4arch9wavefront6targetE0EEEvT1_,comdat
	.protected	_ZN7rocprim17ROCPRIM_400000_NS6detail17trampoline_kernelINS0_14default_configENS1_27scan_by_key_config_selectorIiiEEZZNS1_16scan_by_key_implILNS1_25lookback_scan_determinismE0ELb1ES3_N6thrust23THRUST_200600_302600_NS6detail15normal_iteratorINS9_10device_ptrIiEEEENSB_INSC_IjEEEESE_iNS9_4plusIvEENS9_8equal_toIvEEiEE10hipError_tPvRmT2_T3_T4_T5_mT6_T7_P12ihipStream_tbENKUlT_T0_E_clISt17integral_constantIbLb1EES10_IbLb0EEEEDaSW_SX_EUlSW_E_NS1_11comp_targetILNS1_3genE5ELNS1_11target_archE942ELNS1_3gpuE9ELNS1_3repE0EEENS1_30default_config_static_selectorELNS0_4arch9wavefront6targetE0EEEvT1_ ; -- Begin function _ZN7rocprim17ROCPRIM_400000_NS6detail17trampoline_kernelINS0_14default_configENS1_27scan_by_key_config_selectorIiiEEZZNS1_16scan_by_key_implILNS1_25lookback_scan_determinismE0ELb1ES3_N6thrust23THRUST_200600_302600_NS6detail15normal_iteratorINS9_10device_ptrIiEEEENSB_INSC_IjEEEESE_iNS9_4plusIvEENS9_8equal_toIvEEiEE10hipError_tPvRmT2_T3_T4_T5_mT6_T7_P12ihipStream_tbENKUlT_T0_E_clISt17integral_constantIbLb1EES10_IbLb0EEEEDaSW_SX_EUlSW_E_NS1_11comp_targetILNS1_3genE5ELNS1_11target_archE942ELNS1_3gpuE9ELNS1_3repE0EEENS1_30default_config_static_selectorELNS0_4arch9wavefront6targetE0EEEvT1_
	.globl	_ZN7rocprim17ROCPRIM_400000_NS6detail17trampoline_kernelINS0_14default_configENS1_27scan_by_key_config_selectorIiiEEZZNS1_16scan_by_key_implILNS1_25lookback_scan_determinismE0ELb1ES3_N6thrust23THRUST_200600_302600_NS6detail15normal_iteratorINS9_10device_ptrIiEEEENSB_INSC_IjEEEESE_iNS9_4plusIvEENS9_8equal_toIvEEiEE10hipError_tPvRmT2_T3_T4_T5_mT6_T7_P12ihipStream_tbENKUlT_T0_E_clISt17integral_constantIbLb1EES10_IbLb0EEEEDaSW_SX_EUlSW_E_NS1_11comp_targetILNS1_3genE5ELNS1_11target_archE942ELNS1_3gpuE9ELNS1_3repE0EEENS1_30default_config_static_selectorELNS0_4arch9wavefront6targetE0EEEvT1_
	.p2align	8
	.type	_ZN7rocprim17ROCPRIM_400000_NS6detail17trampoline_kernelINS0_14default_configENS1_27scan_by_key_config_selectorIiiEEZZNS1_16scan_by_key_implILNS1_25lookback_scan_determinismE0ELb1ES3_N6thrust23THRUST_200600_302600_NS6detail15normal_iteratorINS9_10device_ptrIiEEEENSB_INSC_IjEEEESE_iNS9_4plusIvEENS9_8equal_toIvEEiEE10hipError_tPvRmT2_T3_T4_T5_mT6_T7_P12ihipStream_tbENKUlT_T0_E_clISt17integral_constantIbLb1EES10_IbLb0EEEEDaSW_SX_EUlSW_E_NS1_11comp_targetILNS1_3genE5ELNS1_11target_archE942ELNS1_3gpuE9ELNS1_3repE0EEENS1_30default_config_static_selectorELNS0_4arch9wavefront6targetE0EEEvT1_,@function
_ZN7rocprim17ROCPRIM_400000_NS6detail17trampoline_kernelINS0_14default_configENS1_27scan_by_key_config_selectorIiiEEZZNS1_16scan_by_key_implILNS1_25lookback_scan_determinismE0ELb1ES3_N6thrust23THRUST_200600_302600_NS6detail15normal_iteratorINS9_10device_ptrIiEEEENSB_INSC_IjEEEESE_iNS9_4plusIvEENS9_8equal_toIvEEiEE10hipError_tPvRmT2_T3_T4_T5_mT6_T7_P12ihipStream_tbENKUlT_T0_E_clISt17integral_constantIbLb1EES10_IbLb0EEEEDaSW_SX_EUlSW_E_NS1_11comp_targetILNS1_3genE5ELNS1_11target_archE942ELNS1_3gpuE9ELNS1_3repE0EEENS1_30default_config_static_selectorELNS0_4arch9wavefront6targetE0EEEvT1_: ; @_ZN7rocprim17ROCPRIM_400000_NS6detail17trampoline_kernelINS0_14default_configENS1_27scan_by_key_config_selectorIiiEEZZNS1_16scan_by_key_implILNS1_25lookback_scan_determinismE0ELb1ES3_N6thrust23THRUST_200600_302600_NS6detail15normal_iteratorINS9_10device_ptrIiEEEENSB_INSC_IjEEEESE_iNS9_4plusIvEENS9_8equal_toIvEEiEE10hipError_tPvRmT2_T3_T4_T5_mT6_T7_P12ihipStream_tbENKUlT_T0_E_clISt17integral_constantIbLb1EES10_IbLb0EEEEDaSW_SX_EUlSW_E_NS1_11comp_targetILNS1_3genE5ELNS1_11target_archE942ELNS1_3gpuE9ELNS1_3repE0EEENS1_30default_config_static_selectorELNS0_4arch9wavefront6targetE0EEEvT1_
; %bb.0:
	.section	.rodata,"a",@progbits
	.p2align	6, 0x0
	.amdhsa_kernel _ZN7rocprim17ROCPRIM_400000_NS6detail17trampoline_kernelINS0_14default_configENS1_27scan_by_key_config_selectorIiiEEZZNS1_16scan_by_key_implILNS1_25lookback_scan_determinismE0ELb1ES3_N6thrust23THRUST_200600_302600_NS6detail15normal_iteratorINS9_10device_ptrIiEEEENSB_INSC_IjEEEESE_iNS9_4plusIvEENS9_8equal_toIvEEiEE10hipError_tPvRmT2_T3_T4_T5_mT6_T7_P12ihipStream_tbENKUlT_T0_E_clISt17integral_constantIbLb1EES10_IbLb0EEEEDaSW_SX_EUlSW_E_NS1_11comp_targetILNS1_3genE5ELNS1_11target_archE942ELNS1_3gpuE9ELNS1_3repE0EEENS1_30default_config_static_selectorELNS0_4arch9wavefront6targetE0EEEvT1_
		.amdhsa_group_segment_fixed_size 0
		.amdhsa_private_segment_fixed_size 0
		.amdhsa_kernarg_size 112
		.amdhsa_user_sgpr_count 6
		.amdhsa_user_sgpr_private_segment_buffer 1
		.amdhsa_user_sgpr_dispatch_ptr 0
		.amdhsa_user_sgpr_queue_ptr 0
		.amdhsa_user_sgpr_kernarg_segment_ptr 1
		.amdhsa_user_sgpr_dispatch_id 0
		.amdhsa_user_sgpr_flat_scratch_init 0
		.amdhsa_user_sgpr_private_segment_size 0
		.amdhsa_wavefront_size32 1
		.amdhsa_uses_dynamic_stack 0
		.amdhsa_system_sgpr_private_segment_wavefront_offset 0
		.amdhsa_system_sgpr_workgroup_id_x 1
		.amdhsa_system_sgpr_workgroup_id_y 0
		.amdhsa_system_sgpr_workgroup_id_z 0
		.amdhsa_system_sgpr_workgroup_info 0
		.amdhsa_system_vgpr_workitem_id 0
		.amdhsa_next_free_vgpr 1
		.amdhsa_next_free_sgpr 1
		.amdhsa_reserve_vcc 0
		.amdhsa_reserve_flat_scratch 0
		.amdhsa_float_round_mode_32 0
		.amdhsa_float_round_mode_16_64 0
		.amdhsa_float_denorm_mode_32 3
		.amdhsa_float_denorm_mode_16_64 3
		.amdhsa_dx10_clamp 1
		.amdhsa_ieee_mode 1
		.amdhsa_fp16_overflow 0
		.amdhsa_workgroup_processor_mode 1
		.amdhsa_memory_ordered 1
		.amdhsa_forward_progress 1
		.amdhsa_shared_vgpr_count 0
		.amdhsa_exception_fp_ieee_invalid_op 0
		.amdhsa_exception_fp_denorm_src 0
		.amdhsa_exception_fp_ieee_div_zero 0
		.amdhsa_exception_fp_ieee_overflow 0
		.amdhsa_exception_fp_ieee_underflow 0
		.amdhsa_exception_fp_ieee_inexact 0
		.amdhsa_exception_int_div_zero 0
	.end_amdhsa_kernel
	.section	.text._ZN7rocprim17ROCPRIM_400000_NS6detail17trampoline_kernelINS0_14default_configENS1_27scan_by_key_config_selectorIiiEEZZNS1_16scan_by_key_implILNS1_25lookback_scan_determinismE0ELb1ES3_N6thrust23THRUST_200600_302600_NS6detail15normal_iteratorINS9_10device_ptrIiEEEENSB_INSC_IjEEEESE_iNS9_4plusIvEENS9_8equal_toIvEEiEE10hipError_tPvRmT2_T3_T4_T5_mT6_T7_P12ihipStream_tbENKUlT_T0_E_clISt17integral_constantIbLb1EES10_IbLb0EEEEDaSW_SX_EUlSW_E_NS1_11comp_targetILNS1_3genE5ELNS1_11target_archE942ELNS1_3gpuE9ELNS1_3repE0EEENS1_30default_config_static_selectorELNS0_4arch9wavefront6targetE0EEEvT1_,"axG",@progbits,_ZN7rocprim17ROCPRIM_400000_NS6detail17trampoline_kernelINS0_14default_configENS1_27scan_by_key_config_selectorIiiEEZZNS1_16scan_by_key_implILNS1_25lookback_scan_determinismE0ELb1ES3_N6thrust23THRUST_200600_302600_NS6detail15normal_iteratorINS9_10device_ptrIiEEEENSB_INSC_IjEEEESE_iNS9_4plusIvEENS9_8equal_toIvEEiEE10hipError_tPvRmT2_T3_T4_T5_mT6_T7_P12ihipStream_tbENKUlT_T0_E_clISt17integral_constantIbLb1EES10_IbLb0EEEEDaSW_SX_EUlSW_E_NS1_11comp_targetILNS1_3genE5ELNS1_11target_archE942ELNS1_3gpuE9ELNS1_3repE0EEENS1_30default_config_static_selectorELNS0_4arch9wavefront6targetE0EEEvT1_,comdat
.Lfunc_end1772:
	.size	_ZN7rocprim17ROCPRIM_400000_NS6detail17trampoline_kernelINS0_14default_configENS1_27scan_by_key_config_selectorIiiEEZZNS1_16scan_by_key_implILNS1_25lookback_scan_determinismE0ELb1ES3_N6thrust23THRUST_200600_302600_NS6detail15normal_iteratorINS9_10device_ptrIiEEEENSB_INSC_IjEEEESE_iNS9_4plusIvEENS9_8equal_toIvEEiEE10hipError_tPvRmT2_T3_T4_T5_mT6_T7_P12ihipStream_tbENKUlT_T0_E_clISt17integral_constantIbLb1EES10_IbLb0EEEEDaSW_SX_EUlSW_E_NS1_11comp_targetILNS1_3genE5ELNS1_11target_archE942ELNS1_3gpuE9ELNS1_3repE0EEENS1_30default_config_static_selectorELNS0_4arch9wavefront6targetE0EEEvT1_, .Lfunc_end1772-_ZN7rocprim17ROCPRIM_400000_NS6detail17trampoline_kernelINS0_14default_configENS1_27scan_by_key_config_selectorIiiEEZZNS1_16scan_by_key_implILNS1_25lookback_scan_determinismE0ELb1ES3_N6thrust23THRUST_200600_302600_NS6detail15normal_iteratorINS9_10device_ptrIiEEEENSB_INSC_IjEEEESE_iNS9_4plusIvEENS9_8equal_toIvEEiEE10hipError_tPvRmT2_T3_T4_T5_mT6_T7_P12ihipStream_tbENKUlT_T0_E_clISt17integral_constantIbLb1EES10_IbLb0EEEEDaSW_SX_EUlSW_E_NS1_11comp_targetILNS1_3genE5ELNS1_11target_archE942ELNS1_3gpuE9ELNS1_3repE0EEENS1_30default_config_static_selectorELNS0_4arch9wavefront6targetE0EEEvT1_
                                        ; -- End function
	.set _ZN7rocprim17ROCPRIM_400000_NS6detail17trampoline_kernelINS0_14default_configENS1_27scan_by_key_config_selectorIiiEEZZNS1_16scan_by_key_implILNS1_25lookback_scan_determinismE0ELb1ES3_N6thrust23THRUST_200600_302600_NS6detail15normal_iteratorINS9_10device_ptrIiEEEENSB_INSC_IjEEEESE_iNS9_4plusIvEENS9_8equal_toIvEEiEE10hipError_tPvRmT2_T3_T4_T5_mT6_T7_P12ihipStream_tbENKUlT_T0_E_clISt17integral_constantIbLb1EES10_IbLb0EEEEDaSW_SX_EUlSW_E_NS1_11comp_targetILNS1_3genE5ELNS1_11target_archE942ELNS1_3gpuE9ELNS1_3repE0EEENS1_30default_config_static_selectorELNS0_4arch9wavefront6targetE0EEEvT1_.num_vgpr, 0
	.set _ZN7rocprim17ROCPRIM_400000_NS6detail17trampoline_kernelINS0_14default_configENS1_27scan_by_key_config_selectorIiiEEZZNS1_16scan_by_key_implILNS1_25lookback_scan_determinismE0ELb1ES3_N6thrust23THRUST_200600_302600_NS6detail15normal_iteratorINS9_10device_ptrIiEEEENSB_INSC_IjEEEESE_iNS9_4plusIvEENS9_8equal_toIvEEiEE10hipError_tPvRmT2_T3_T4_T5_mT6_T7_P12ihipStream_tbENKUlT_T0_E_clISt17integral_constantIbLb1EES10_IbLb0EEEEDaSW_SX_EUlSW_E_NS1_11comp_targetILNS1_3genE5ELNS1_11target_archE942ELNS1_3gpuE9ELNS1_3repE0EEENS1_30default_config_static_selectorELNS0_4arch9wavefront6targetE0EEEvT1_.num_agpr, 0
	.set _ZN7rocprim17ROCPRIM_400000_NS6detail17trampoline_kernelINS0_14default_configENS1_27scan_by_key_config_selectorIiiEEZZNS1_16scan_by_key_implILNS1_25lookback_scan_determinismE0ELb1ES3_N6thrust23THRUST_200600_302600_NS6detail15normal_iteratorINS9_10device_ptrIiEEEENSB_INSC_IjEEEESE_iNS9_4plusIvEENS9_8equal_toIvEEiEE10hipError_tPvRmT2_T3_T4_T5_mT6_T7_P12ihipStream_tbENKUlT_T0_E_clISt17integral_constantIbLb1EES10_IbLb0EEEEDaSW_SX_EUlSW_E_NS1_11comp_targetILNS1_3genE5ELNS1_11target_archE942ELNS1_3gpuE9ELNS1_3repE0EEENS1_30default_config_static_selectorELNS0_4arch9wavefront6targetE0EEEvT1_.numbered_sgpr, 0
	.set _ZN7rocprim17ROCPRIM_400000_NS6detail17trampoline_kernelINS0_14default_configENS1_27scan_by_key_config_selectorIiiEEZZNS1_16scan_by_key_implILNS1_25lookback_scan_determinismE0ELb1ES3_N6thrust23THRUST_200600_302600_NS6detail15normal_iteratorINS9_10device_ptrIiEEEENSB_INSC_IjEEEESE_iNS9_4plusIvEENS9_8equal_toIvEEiEE10hipError_tPvRmT2_T3_T4_T5_mT6_T7_P12ihipStream_tbENKUlT_T0_E_clISt17integral_constantIbLb1EES10_IbLb0EEEEDaSW_SX_EUlSW_E_NS1_11comp_targetILNS1_3genE5ELNS1_11target_archE942ELNS1_3gpuE9ELNS1_3repE0EEENS1_30default_config_static_selectorELNS0_4arch9wavefront6targetE0EEEvT1_.num_named_barrier, 0
	.set _ZN7rocprim17ROCPRIM_400000_NS6detail17trampoline_kernelINS0_14default_configENS1_27scan_by_key_config_selectorIiiEEZZNS1_16scan_by_key_implILNS1_25lookback_scan_determinismE0ELb1ES3_N6thrust23THRUST_200600_302600_NS6detail15normal_iteratorINS9_10device_ptrIiEEEENSB_INSC_IjEEEESE_iNS9_4plusIvEENS9_8equal_toIvEEiEE10hipError_tPvRmT2_T3_T4_T5_mT6_T7_P12ihipStream_tbENKUlT_T0_E_clISt17integral_constantIbLb1EES10_IbLb0EEEEDaSW_SX_EUlSW_E_NS1_11comp_targetILNS1_3genE5ELNS1_11target_archE942ELNS1_3gpuE9ELNS1_3repE0EEENS1_30default_config_static_selectorELNS0_4arch9wavefront6targetE0EEEvT1_.private_seg_size, 0
	.set _ZN7rocprim17ROCPRIM_400000_NS6detail17trampoline_kernelINS0_14default_configENS1_27scan_by_key_config_selectorIiiEEZZNS1_16scan_by_key_implILNS1_25lookback_scan_determinismE0ELb1ES3_N6thrust23THRUST_200600_302600_NS6detail15normal_iteratorINS9_10device_ptrIiEEEENSB_INSC_IjEEEESE_iNS9_4plusIvEENS9_8equal_toIvEEiEE10hipError_tPvRmT2_T3_T4_T5_mT6_T7_P12ihipStream_tbENKUlT_T0_E_clISt17integral_constantIbLb1EES10_IbLb0EEEEDaSW_SX_EUlSW_E_NS1_11comp_targetILNS1_3genE5ELNS1_11target_archE942ELNS1_3gpuE9ELNS1_3repE0EEENS1_30default_config_static_selectorELNS0_4arch9wavefront6targetE0EEEvT1_.uses_vcc, 0
	.set _ZN7rocprim17ROCPRIM_400000_NS6detail17trampoline_kernelINS0_14default_configENS1_27scan_by_key_config_selectorIiiEEZZNS1_16scan_by_key_implILNS1_25lookback_scan_determinismE0ELb1ES3_N6thrust23THRUST_200600_302600_NS6detail15normal_iteratorINS9_10device_ptrIiEEEENSB_INSC_IjEEEESE_iNS9_4plusIvEENS9_8equal_toIvEEiEE10hipError_tPvRmT2_T3_T4_T5_mT6_T7_P12ihipStream_tbENKUlT_T0_E_clISt17integral_constantIbLb1EES10_IbLb0EEEEDaSW_SX_EUlSW_E_NS1_11comp_targetILNS1_3genE5ELNS1_11target_archE942ELNS1_3gpuE9ELNS1_3repE0EEENS1_30default_config_static_selectorELNS0_4arch9wavefront6targetE0EEEvT1_.uses_flat_scratch, 0
	.set _ZN7rocprim17ROCPRIM_400000_NS6detail17trampoline_kernelINS0_14default_configENS1_27scan_by_key_config_selectorIiiEEZZNS1_16scan_by_key_implILNS1_25lookback_scan_determinismE0ELb1ES3_N6thrust23THRUST_200600_302600_NS6detail15normal_iteratorINS9_10device_ptrIiEEEENSB_INSC_IjEEEESE_iNS9_4plusIvEENS9_8equal_toIvEEiEE10hipError_tPvRmT2_T3_T4_T5_mT6_T7_P12ihipStream_tbENKUlT_T0_E_clISt17integral_constantIbLb1EES10_IbLb0EEEEDaSW_SX_EUlSW_E_NS1_11comp_targetILNS1_3genE5ELNS1_11target_archE942ELNS1_3gpuE9ELNS1_3repE0EEENS1_30default_config_static_selectorELNS0_4arch9wavefront6targetE0EEEvT1_.has_dyn_sized_stack, 0
	.set _ZN7rocprim17ROCPRIM_400000_NS6detail17trampoline_kernelINS0_14default_configENS1_27scan_by_key_config_selectorIiiEEZZNS1_16scan_by_key_implILNS1_25lookback_scan_determinismE0ELb1ES3_N6thrust23THRUST_200600_302600_NS6detail15normal_iteratorINS9_10device_ptrIiEEEENSB_INSC_IjEEEESE_iNS9_4plusIvEENS9_8equal_toIvEEiEE10hipError_tPvRmT2_T3_T4_T5_mT6_T7_P12ihipStream_tbENKUlT_T0_E_clISt17integral_constantIbLb1EES10_IbLb0EEEEDaSW_SX_EUlSW_E_NS1_11comp_targetILNS1_3genE5ELNS1_11target_archE942ELNS1_3gpuE9ELNS1_3repE0EEENS1_30default_config_static_selectorELNS0_4arch9wavefront6targetE0EEEvT1_.has_recursion, 0
	.set _ZN7rocprim17ROCPRIM_400000_NS6detail17trampoline_kernelINS0_14default_configENS1_27scan_by_key_config_selectorIiiEEZZNS1_16scan_by_key_implILNS1_25lookback_scan_determinismE0ELb1ES3_N6thrust23THRUST_200600_302600_NS6detail15normal_iteratorINS9_10device_ptrIiEEEENSB_INSC_IjEEEESE_iNS9_4plusIvEENS9_8equal_toIvEEiEE10hipError_tPvRmT2_T3_T4_T5_mT6_T7_P12ihipStream_tbENKUlT_T0_E_clISt17integral_constantIbLb1EES10_IbLb0EEEEDaSW_SX_EUlSW_E_NS1_11comp_targetILNS1_3genE5ELNS1_11target_archE942ELNS1_3gpuE9ELNS1_3repE0EEENS1_30default_config_static_selectorELNS0_4arch9wavefront6targetE0EEEvT1_.has_indirect_call, 0
	.section	.AMDGPU.csdata,"",@progbits
; Kernel info:
; codeLenInByte = 0
; TotalNumSgprs: 0
; NumVgprs: 0
; ScratchSize: 0
; MemoryBound: 0
; FloatMode: 240
; IeeeMode: 1
; LDSByteSize: 0 bytes/workgroup (compile time only)
; SGPRBlocks: 0
; VGPRBlocks: 0
; NumSGPRsForWavesPerEU: 1
; NumVGPRsForWavesPerEU: 1
; Occupancy: 16
; WaveLimiterHint : 0
; COMPUTE_PGM_RSRC2:SCRATCH_EN: 0
; COMPUTE_PGM_RSRC2:USER_SGPR: 6
; COMPUTE_PGM_RSRC2:TRAP_HANDLER: 0
; COMPUTE_PGM_RSRC2:TGID_X_EN: 1
; COMPUTE_PGM_RSRC2:TGID_Y_EN: 0
; COMPUTE_PGM_RSRC2:TGID_Z_EN: 0
; COMPUTE_PGM_RSRC2:TIDIG_COMP_CNT: 0
	.section	.text._ZN7rocprim17ROCPRIM_400000_NS6detail17trampoline_kernelINS0_14default_configENS1_27scan_by_key_config_selectorIiiEEZZNS1_16scan_by_key_implILNS1_25lookback_scan_determinismE0ELb1ES3_N6thrust23THRUST_200600_302600_NS6detail15normal_iteratorINS9_10device_ptrIiEEEENSB_INSC_IjEEEESE_iNS9_4plusIvEENS9_8equal_toIvEEiEE10hipError_tPvRmT2_T3_T4_T5_mT6_T7_P12ihipStream_tbENKUlT_T0_E_clISt17integral_constantIbLb1EES10_IbLb0EEEEDaSW_SX_EUlSW_E_NS1_11comp_targetILNS1_3genE4ELNS1_11target_archE910ELNS1_3gpuE8ELNS1_3repE0EEENS1_30default_config_static_selectorELNS0_4arch9wavefront6targetE0EEEvT1_,"axG",@progbits,_ZN7rocprim17ROCPRIM_400000_NS6detail17trampoline_kernelINS0_14default_configENS1_27scan_by_key_config_selectorIiiEEZZNS1_16scan_by_key_implILNS1_25lookback_scan_determinismE0ELb1ES3_N6thrust23THRUST_200600_302600_NS6detail15normal_iteratorINS9_10device_ptrIiEEEENSB_INSC_IjEEEESE_iNS9_4plusIvEENS9_8equal_toIvEEiEE10hipError_tPvRmT2_T3_T4_T5_mT6_T7_P12ihipStream_tbENKUlT_T0_E_clISt17integral_constantIbLb1EES10_IbLb0EEEEDaSW_SX_EUlSW_E_NS1_11comp_targetILNS1_3genE4ELNS1_11target_archE910ELNS1_3gpuE8ELNS1_3repE0EEENS1_30default_config_static_selectorELNS0_4arch9wavefront6targetE0EEEvT1_,comdat
	.protected	_ZN7rocprim17ROCPRIM_400000_NS6detail17trampoline_kernelINS0_14default_configENS1_27scan_by_key_config_selectorIiiEEZZNS1_16scan_by_key_implILNS1_25lookback_scan_determinismE0ELb1ES3_N6thrust23THRUST_200600_302600_NS6detail15normal_iteratorINS9_10device_ptrIiEEEENSB_INSC_IjEEEESE_iNS9_4plusIvEENS9_8equal_toIvEEiEE10hipError_tPvRmT2_T3_T4_T5_mT6_T7_P12ihipStream_tbENKUlT_T0_E_clISt17integral_constantIbLb1EES10_IbLb0EEEEDaSW_SX_EUlSW_E_NS1_11comp_targetILNS1_3genE4ELNS1_11target_archE910ELNS1_3gpuE8ELNS1_3repE0EEENS1_30default_config_static_selectorELNS0_4arch9wavefront6targetE0EEEvT1_ ; -- Begin function _ZN7rocprim17ROCPRIM_400000_NS6detail17trampoline_kernelINS0_14default_configENS1_27scan_by_key_config_selectorIiiEEZZNS1_16scan_by_key_implILNS1_25lookback_scan_determinismE0ELb1ES3_N6thrust23THRUST_200600_302600_NS6detail15normal_iteratorINS9_10device_ptrIiEEEENSB_INSC_IjEEEESE_iNS9_4plusIvEENS9_8equal_toIvEEiEE10hipError_tPvRmT2_T3_T4_T5_mT6_T7_P12ihipStream_tbENKUlT_T0_E_clISt17integral_constantIbLb1EES10_IbLb0EEEEDaSW_SX_EUlSW_E_NS1_11comp_targetILNS1_3genE4ELNS1_11target_archE910ELNS1_3gpuE8ELNS1_3repE0EEENS1_30default_config_static_selectorELNS0_4arch9wavefront6targetE0EEEvT1_
	.globl	_ZN7rocprim17ROCPRIM_400000_NS6detail17trampoline_kernelINS0_14default_configENS1_27scan_by_key_config_selectorIiiEEZZNS1_16scan_by_key_implILNS1_25lookback_scan_determinismE0ELb1ES3_N6thrust23THRUST_200600_302600_NS6detail15normal_iteratorINS9_10device_ptrIiEEEENSB_INSC_IjEEEESE_iNS9_4plusIvEENS9_8equal_toIvEEiEE10hipError_tPvRmT2_T3_T4_T5_mT6_T7_P12ihipStream_tbENKUlT_T0_E_clISt17integral_constantIbLb1EES10_IbLb0EEEEDaSW_SX_EUlSW_E_NS1_11comp_targetILNS1_3genE4ELNS1_11target_archE910ELNS1_3gpuE8ELNS1_3repE0EEENS1_30default_config_static_selectorELNS0_4arch9wavefront6targetE0EEEvT1_
	.p2align	8
	.type	_ZN7rocprim17ROCPRIM_400000_NS6detail17trampoline_kernelINS0_14default_configENS1_27scan_by_key_config_selectorIiiEEZZNS1_16scan_by_key_implILNS1_25lookback_scan_determinismE0ELb1ES3_N6thrust23THRUST_200600_302600_NS6detail15normal_iteratorINS9_10device_ptrIiEEEENSB_INSC_IjEEEESE_iNS9_4plusIvEENS9_8equal_toIvEEiEE10hipError_tPvRmT2_T3_T4_T5_mT6_T7_P12ihipStream_tbENKUlT_T0_E_clISt17integral_constantIbLb1EES10_IbLb0EEEEDaSW_SX_EUlSW_E_NS1_11comp_targetILNS1_3genE4ELNS1_11target_archE910ELNS1_3gpuE8ELNS1_3repE0EEENS1_30default_config_static_selectorELNS0_4arch9wavefront6targetE0EEEvT1_,@function
_ZN7rocprim17ROCPRIM_400000_NS6detail17trampoline_kernelINS0_14default_configENS1_27scan_by_key_config_selectorIiiEEZZNS1_16scan_by_key_implILNS1_25lookback_scan_determinismE0ELb1ES3_N6thrust23THRUST_200600_302600_NS6detail15normal_iteratorINS9_10device_ptrIiEEEENSB_INSC_IjEEEESE_iNS9_4plusIvEENS9_8equal_toIvEEiEE10hipError_tPvRmT2_T3_T4_T5_mT6_T7_P12ihipStream_tbENKUlT_T0_E_clISt17integral_constantIbLb1EES10_IbLb0EEEEDaSW_SX_EUlSW_E_NS1_11comp_targetILNS1_3genE4ELNS1_11target_archE910ELNS1_3gpuE8ELNS1_3repE0EEENS1_30default_config_static_selectorELNS0_4arch9wavefront6targetE0EEEvT1_: ; @_ZN7rocprim17ROCPRIM_400000_NS6detail17trampoline_kernelINS0_14default_configENS1_27scan_by_key_config_selectorIiiEEZZNS1_16scan_by_key_implILNS1_25lookback_scan_determinismE0ELb1ES3_N6thrust23THRUST_200600_302600_NS6detail15normal_iteratorINS9_10device_ptrIiEEEENSB_INSC_IjEEEESE_iNS9_4plusIvEENS9_8equal_toIvEEiEE10hipError_tPvRmT2_T3_T4_T5_mT6_T7_P12ihipStream_tbENKUlT_T0_E_clISt17integral_constantIbLb1EES10_IbLb0EEEEDaSW_SX_EUlSW_E_NS1_11comp_targetILNS1_3genE4ELNS1_11target_archE910ELNS1_3gpuE8ELNS1_3repE0EEENS1_30default_config_static_selectorELNS0_4arch9wavefront6targetE0EEEvT1_
; %bb.0:
	.section	.rodata,"a",@progbits
	.p2align	6, 0x0
	.amdhsa_kernel _ZN7rocprim17ROCPRIM_400000_NS6detail17trampoline_kernelINS0_14default_configENS1_27scan_by_key_config_selectorIiiEEZZNS1_16scan_by_key_implILNS1_25lookback_scan_determinismE0ELb1ES3_N6thrust23THRUST_200600_302600_NS6detail15normal_iteratorINS9_10device_ptrIiEEEENSB_INSC_IjEEEESE_iNS9_4plusIvEENS9_8equal_toIvEEiEE10hipError_tPvRmT2_T3_T4_T5_mT6_T7_P12ihipStream_tbENKUlT_T0_E_clISt17integral_constantIbLb1EES10_IbLb0EEEEDaSW_SX_EUlSW_E_NS1_11comp_targetILNS1_3genE4ELNS1_11target_archE910ELNS1_3gpuE8ELNS1_3repE0EEENS1_30default_config_static_selectorELNS0_4arch9wavefront6targetE0EEEvT1_
		.amdhsa_group_segment_fixed_size 0
		.amdhsa_private_segment_fixed_size 0
		.amdhsa_kernarg_size 112
		.amdhsa_user_sgpr_count 6
		.amdhsa_user_sgpr_private_segment_buffer 1
		.amdhsa_user_sgpr_dispatch_ptr 0
		.amdhsa_user_sgpr_queue_ptr 0
		.amdhsa_user_sgpr_kernarg_segment_ptr 1
		.amdhsa_user_sgpr_dispatch_id 0
		.amdhsa_user_sgpr_flat_scratch_init 0
		.amdhsa_user_sgpr_private_segment_size 0
		.amdhsa_wavefront_size32 1
		.amdhsa_uses_dynamic_stack 0
		.amdhsa_system_sgpr_private_segment_wavefront_offset 0
		.amdhsa_system_sgpr_workgroup_id_x 1
		.amdhsa_system_sgpr_workgroup_id_y 0
		.amdhsa_system_sgpr_workgroup_id_z 0
		.amdhsa_system_sgpr_workgroup_info 0
		.amdhsa_system_vgpr_workitem_id 0
		.amdhsa_next_free_vgpr 1
		.amdhsa_next_free_sgpr 1
		.amdhsa_reserve_vcc 0
		.amdhsa_reserve_flat_scratch 0
		.amdhsa_float_round_mode_32 0
		.amdhsa_float_round_mode_16_64 0
		.amdhsa_float_denorm_mode_32 3
		.amdhsa_float_denorm_mode_16_64 3
		.amdhsa_dx10_clamp 1
		.amdhsa_ieee_mode 1
		.amdhsa_fp16_overflow 0
		.amdhsa_workgroup_processor_mode 1
		.amdhsa_memory_ordered 1
		.amdhsa_forward_progress 1
		.amdhsa_shared_vgpr_count 0
		.amdhsa_exception_fp_ieee_invalid_op 0
		.amdhsa_exception_fp_denorm_src 0
		.amdhsa_exception_fp_ieee_div_zero 0
		.amdhsa_exception_fp_ieee_overflow 0
		.amdhsa_exception_fp_ieee_underflow 0
		.amdhsa_exception_fp_ieee_inexact 0
		.amdhsa_exception_int_div_zero 0
	.end_amdhsa_kernel
	.section	.text._ZN7rocprim17ROCPRIM_400000_NS6detail17trampoline_kernelINS0_14default_configENS1_27scan_by_key_config_selectorIiiEEZZNS1_16scan_by_key_implILNS1_25lookback_scan_determinismE0ELb1ES3_N6thrust23THRUST_200600_302600_NS6detail15normal_iteratorINS9_10device_ptrIiEEEENSB_INSC_IjEEEESE_iNS9_4plusIvEENS9_8equal_toIvEEiEE10hipError_tPvRmT2_T3_T4_T5_mT6_T7_P12ihipStream_tbENKUlT_T0_E_clISt17integral_constantIbLb1EES10_IbLb0EEEEDaSW_SX_EUlSW_E_NS1_11comp_targetILNS1_3genE4ELNS1_11target_archE910ELNS1_3gpuE8ELNS1_3repE0EEENS1_30default_config_static_selectorELNS0_4arch9wavefront6targetE0EEEvT1_,"axG",@progbits,_ZN7rocprim17ROCPRIM_400000_NS6detail17trampoline_kernelINS0_14default_configENS1_27scan_by_key_config_selectorIiiEEZZNS1_16scan_by_key_implILNS1_25lookback_scan_determinismE0ELb1ES3_N6thrust23THRUST_200600_302600_NS6detail15normal_iteratorINS9_10device_ptrIiEEEENSB_INSC_IjEEEESE_iNS9_4plusIvEENS9_8equal_toIvEEiEE10hipError_tPvRmT2_T3_T4_T5_mT6_T7_P12ihipStream_tbENKUlT_T0_E_clISt17integral_constantIbLb1EES10_IbLb0EEEEDaSW_SX_EUlSW_E_NS1_11comp_targetILNS1_3genE4ELNS1_11target_archE910ELNS1_3gpuE8ELNS1_3repE0EEENS1_30default_config_static_selectorELNS0_4arch9wavefront6targetE0EEEvT1_,comdat
.Lfunc_end1773:
	.size	_ZN7rocprim17ROCPRIM_400000_NS6detail17trampoline_kernelINS0_14default_configENS1_27scan_by_key_config_selectorIiiEEZZNS1_16scan_by_key_implILNS1_25lookback_scan_determinismE0ELb1ES3_N6thrust23THRUST_200600_302600_NS6detail15normal_iteratorINS9_10device_ptrIiEEEENSB_INSC_IjEEEESE_iNS9_4plusIvEENS9_8equal_toIvEEiEE10hipError_tPvRmT2_T3_T4_T5_mT6_T7_P12ihipStream_tbENKUlT_T0_E_clISt17integral_constantIbLb1EES10_IbLb0EEEEDaSW_SX_EUlSW_E_NS1_11comp_targetILNS1_3genE4ELNS1_11target_archE910ELNS1_3gpuE8ELNS1_3repE0EEENS1_30default_config_static_selectorELNS0_4arch9wavefront6targetE0EEEvT1_, .Lfunc_end1773-_ZN7rocprim17ROCPRIM_400000_NS6detail17trampoline_kernelINS0_14default_configENS1_27scan_by_key_config_selectorIiiEEZZNS1_16scan_by_key_implILNS1_25lookback_scan_determinismE0ELb1ES3_N6thrust23THRUST_200600_302600_NS6detail15normal_iteratorINS9_10device_ptrIiEEEENSB_INSC_IjEEEESE_iNS9_4plusIvEENS9_8equal_toIvEEiEE10hipError_tPvRmT2_T3_T4_T5_mT6_T7_P12ihipStream_tbENKUlT_T0_E_clISt17integral_constantIbLb1EES10_IbLb0EEEEDaSW_SX_EUlSW_E_NS1_11comp_targetILNS1_3genE4ELNS1_11target_archE910ELNS1_3gpuE8ELNS1_3repE0EEENS1_30default_config_static_selectorELNS0_4arch9wavefront6targetE0EEEvT1_
                                        ; -- End function
	.set _ZN7rocprim17ROCPRIM_400000_NS6detail17trampoline_kernelINS0_14default_configENS1_27scan_by_key_config_selectorIiiEEZZNS1_16scan_by_key_implILNS1_25lookback_scan_determinismE0ELb1ES3_N6thrust23THRUST_200600_302600_NS6detail15normal_iteratorINS9_10device_ptrIiEEEENSB_INSC_IjEEEESE_iNS9_4plusIvEENS9_8equal_toIvEEiEE10hipError_tPvRmT2_T3_T4_T5_mT6_T7_P12ihipStream_tbENKUlT_T0_E_clISt17integral_constantIbLb1EES10_IbLb0EEEEDaSW_SX_EUlSW_E_NS1_11comp_targetILNS1_3genE4ELNS1_11target_archE910ELNS1_3gpuE8ELNS1_3repE0EEENS1_30default_config_static_selectorELNS0_4arch9wavefront6targetE0EEEvT1_.num_vgpr, 0
	.set _ZN7rocprim17ROCPRIM_400000_NS6detail17trampoline_kernelINS0_14default_configENS1_27scan_by_key_config_selectorIiiEEZZNS1_16scan_by_key_implILNS1_25lookback_scan_determinismE0ELb1ES3_N6thrust23THRUST_200600_302600_NS6detail15normal_iteratorINS9_10device_ptrIiEEEENSB_INSC_IjEEEESE_iNS9_4plusIvEENS9_8equal_toIvEEiEE10hipError_tPvRmT2_T3_T4_T5_mT6_T7_P12ihipStream_tbENKUlT_T0_E_clISt17integral_constantIbLb1EES10_IbLb0EEEEDaSW_SX_EUlSW_E_NS1_11comp_targetILNS1_3genE4ELNS1_11target_archE910ELNS1_3gpuE8ELNS1_3repE0EEENS1_30default_config_static_selectorELNS0_4arch9wavefront6targetE0EEEvT1_.num_agpr, 0
	.set _ZN7rocprim17ROCPRIM_400000_NS6detail17trampoline_kernelINS0_14default_configENS1_27scan_by_key_config_selectorIiiEEZZNS1_16scan_by_key_implILNS1_25lookback_scan_determinismE0ELb1ES3_N6thrust23THRUST_200600_302600_NS6detail15normal_iteratorINS9_10device_ptrIiEEEENSB_INSC_IjEEEESE_iNS9_4plusIvEENS9_8equal_toIvEEiEE10hipError_tPvRmT2_T3_T4_T5_mT6_T7_P12ihipStream_tbENKUlT_T0_E_clISt17integral_constantIbLb1EES10_IbLb0EEEEDaSW_SX_EUlSW_E_NS1_11comp_targetILNS1_3genE4ELNS1_11target_archE910ELNS1_3gpuE8ELNS1_3repE0EEENS1_30default_config_static_selectorELNS0_4arch9wavefront6targetE0EEEvT1_.numbered_sgpr, 0
	.set _ZN7rocprim17ROCPRIM_400000_NS6detail17trampoline_kernelINS0_14default_configENS1_27scan_by_key_config_selectorIiiEEZZNS1_16scan_by_key_implILNS1_25lookback_scan_determinismE0ELb1ES3_N6thrust23THRUST_200600_302600_NS6detail15normal_iteratorINS9_10device_ptrIiEEEENSB_INSC_IjEEEESE_iNS9_4plusIvEENS9_8equal_toIvEEiEE10hipError_tPvRmT2_T3_T4_T5_mT6_T7_P12ihipStream_tbENKUlT_T0_E_clISt17integral_constantIbLb1EES10_IbLb0EEEEDaSW_SX_EUlSW_E_NS1_11comp_targetILNS1_3genE4ELNS1_11target_archE910ELNS1_3gpuE8ELNS1_3repE0EEENS1_30default_config_static_selectorELNS0_4arch9wavefront6targetE0EEEvT1_.num_named_barrier, 0
	.set _ZN7rocprim17ROCPRIM_400000_NS6detail17trampoline_kernelINS0_14default_configENS1_27scan_by_key_config_selectorIiiEEZZNS1_16scan_by_key_implILNS1_25lookback_scan_determinismE0ELb1ES3_N6thrust23THRUST_200600_302600_NS6detail15normal_iteratorINS9_10device_ptrIiEEEENSB_INSC_IjEEEESE_iNS9_4plusIvEENS9_8equal_toIvEEiEE10hipError_tPvRmT2_T3_T4_T5_mT6_T7_P12ihipStream_tbENKUlT_T0_E_clISt17integral_constantIbLb1EES10_IbLb0EEEEDaSW_SX_EUlSW_E_NS1_11comp_targetILNS1_3genE4ELNS1_11target_archE910ELNS1_3gpuE8ELNS1_3repE0EEENS1_30default_config_static_selectorELNS0_4arch9wavefront6targetE0EEEvT1_.private_seg_size, 0
	.set _ZN7rocprim17ROCPRIM_400000_NS6detail17trampoline_kernelINS0_14default_configENS1_27scan_by_key_config_selectorIiiEEZZNS1_16scan_by_key_implILNS1_25lookback_scan_determinismE0ELb1ES3_N6thrust23THRUST_200600_302600_NS6detail15normal_iteratorINS9_10device_ptrIiEEEENSB_INSC_IjEEEESE_iNS9_4plusIvEENS9_8equal_toIvEEiEE10hipError_tPvRmT2_T3_T4_T5_mT6_T7_P12ihipStream_tbENKUlT_T0_E_clISt17integral_constantIbLb1EES10_IbLb0EEEEDaSW_SX_EUlSW_E_NS1_11comp_targetILNS1_3genE4ELNS1_11target_archE910ELNS1_3gpuE8ELNS1_3repE0EEENS1_30default_config_static_selectorELNS0_4arch9wavefront6targetE0EEEvT1_.uses_vcc, 0
	.set _ZN7rocprim17ROCPRIM_400000_NS6detail17trampoline_kernelINS0_14default_configENS1_27scan_by_key_config_selectorIiiEEZZNS1_16scan_by_key_implILNS1_25lookback_scan_determinismE0ELb1ES3_N6thrust23THRUST_200600_302600_NS6detail15normal_iteratorINS9_10device_ptrIiEEEENSB_INSC_IjEEEESE_iNS9_4plusIvEENS9_8equal_toIvEEiEE10hipError_tPvRmT2_T3_T4_T5_mT6_T7_P12ihipStream_tbENKUlT_T0_E_clISt17integral_constantIbLb1EES10_IbLb0EEEEDaSW_SX_EUlSW_E_NS1_11comp_targetILNS1_3genE4ELNS1_11target_archE910ELNS1_3gpuE8ELNS1_3repE0EEENS1_30default_config_static_selectorELNS0_4arch9wavefront6targetE0EEEvT1_.uses_flat_scratch, 0
	.set _ZN7rocprim17ROCPRIM_400000_NS6detail17trampoline_kernelINS0_14default_configENS1_27scan_by_key_config_selectorIiiEEZZNS1_16scan_by_key_implILNS1_25lookback_scan_determinismE0ELb1ES3_N6thrust23THRUST_200600_302600_NS6detail15normal_iteratorINS9_10device_ptrIiEEEENSB_INSC_IjEEEESE_iNS9_4plusIvEENS9_8equal_toIvEEiEE10hipError_tPvRmT2_T3_T4_T5_mT6_T7_P12ihipStream_tbENKUlT_T0_E_clISt17integral_constantIbLb1EES10_IbLb0EEEEDaSW_SX_EUlSW_E_NS1_11comp_targetILNS1_3genE4ELNS1_11target_archE910ELNS1_3gpuE8ELNS1_3repE0EEENS1_30default_config_static_selectorELNS0_4arch9wavefront6targetE0EEEvT1_.has_dyn_sized_stack, 0
	.set _ZN7rocprim17ROCPRIM_400000_NS6detail17trampoline_kernelINS0_14default_configENS1_27scan_by_key_config_selectorIiiEEZZNS1_16scan_by_key_implILNS1_25lookback_scan_determinismE0ELb1ES3_N6thrust23THRUST_200600_302600_NS6detail15normal_iteratorINS9_10device_ptrIiEEEENSB_INSC_IjEEEESE_iNS9_4plusIvEENS9_8equal_toIvEEiEE10hipError_tPvRmT2_T3_T4_T5_mT6_T7_P12ihipStream_tbENKUlT_T0_E_clISt17integral_constantIbLb1EES10_IbLb0EEEEDaSW_SX_EUlSW_E_NS1_11comp_targetILNS1_3genE4ELNS1_11target_archE910ELNS1_3gpuE8ELNS1_3repE0EEENS1_30default_config_static_selectorELNS0_4arch9wavefront6targetE0EEEvT1_.has_recursion, 0
	.set _ZN7rocprim17ROCPRIM_400000_NS6detail17trampoline_kernelINS0_14default_configENS1_27scan_by_key_config_selectorIiiEEZZNS1_16scan_by_key_implILNS1_25lookback_scan_determinismE0ELb1ES3_N6thrust23THRUST_200600_302600_NS6detail15normal_iteratorINS9_10device_ptrIiEEEENSB_INSC_IjEEEESE_iNS9_4plusIvEENS9_8equal_toIvEEiEE10hipError_tPvRmT2_T3_T4_T5_mT6_T7_P12ihipStream_tbENKUlT_T0_E_clISt17integral_constantIbLb1EES10_IbLb0EEEEDaSW_SX_EUlSW_E_NS1_11comp_targetILNS1_3genE4ELNS1_11target_archE910ELNS1_3gpuE8ELNS1_3repE0EEENS1_30default_config_static_selectorELNS0_4arch9wavefront6targetE0EEEvT1_.has_indirect_call, 0
	.section	.AMDGPU.csdata,"",@progbits
; Kernel info:
; codeLenInByte = 0
; TotalNumSgprs: 0
; NumVgprs: 0
; ScratchSize: 0
; MemoryBound: 0
; FloatMode: 240
; IeeeMode: 1
; LDSByteSize: 0 bytes/workgroup (compile time only)
; SGPRBlocks: 0
; VGPRBlocks: 0
; NumSGPRsForWavesPerEU: 1
; NumVGPRsForWavesPerEU: 1
; Occupancy: 16
; WaveLimiterHint : 0
; COMPUTE_PGM_RSRC2:SCRATCH_EN: 0
; COMPUTE_PGM_RSRC2:USER_SGPR: 6
; COMPUTE_PGM_RSRC2:TRAP_HANDLER: 0
; COMPUTE_PGM_RSRC2:TGID_X_EN: 1
; COMPUTE_PGM_RSRC2:TGID_Y_EN: 0
; COMPUTE_PGM_RSRC2:TGID_Z_EN: 0
; COMPUTE_PGM_RSRC2:TIDIG_COMP_CNT: 0
	.section	.text._ZN7rocprim17ROCPRIM_400000_NS6detail17trampoline_kernelINS0_14default_configENS1_27scan_by_key_config_selectorIiiEEZZNS1_16scan_by_key_implILNS1_25lookback_scan_determinismE0ELb1ES3_N6thrust23THRUST_200600_302600_NS6detail15normal_iteratorINS9_10device_ptrIiEEEENSB_INSC_IjEEEESE_iNS9_4plusIvEENS9_8equal_toIvEEiEE10hipError_tPvRmT2_T3_T4_T5_mT6_T7_P12ihipStream_tbENKUlT_T0_E_clISt17integral_constantIbLb1EES10_IbLb0EEEEDaSW_SX_EUlSW_E_NS1_11comp_targetILNS1_3genE3ELNS1_11target_archE908ELNS1_3gpuE7ELNS1_3repE0EEENS1_30default_config_static_selectorELNS0_4arch9wavefront6targetE0EEEvT1_,"axG",@progbits,_ZN7rocprim17ROCPRIM_400000_NS6detail17trampoline_kernelINS0_14default_configENS1_27scan_by_key_config_selectorIiiEEZZNS1_16scan_by_key_implILNS1_25lookback_scan_determinismE0ELb1ES3_N6thrust23THRUST_200600_302600_NS6detail15normal_iteratorINS9_10device_ptrIiEEEENSB_INSC_IjEEEESE_iNS9_4plusIvEENS9_8equal_toIvEEiEE10hipError_tPvRmT2_T3_T4_T5_mT6_T7_P12ihipStream_tbENKUlT_T0_E_clISt17integral_constantIbLb1EES10_IbLb0EEEEDaSW_SX_EUlSW_E_NS1_11comp_targetILNS1_3genE3ELNS1_11target_archE908ELNS1_3gpuE7ELNS1_3repE0EEENS1_30default_config_static_selectorELNS0_4arch9wavefront6targetE0EEEvT1_,comdat
	.protected	_ZN7rocprim17ROCPRIM_400000_NS6detail17trampoline_kernelINS0_14default_configENS1_27scan_by_key_config_selectorIiiEEZZNS1_16scan_by_key_implILNS1_25lookback_scan_determinismE0ELb1ES3_N6thrust23THRUST_200600_302600_NS6detail15normal_iteratorINS9_10device_ptrIiEEEENSB_INSC_IjEEEESE_iNS9_4plusIvEENS9_8equal_toIvEEiEE10hipError_tPvRmT2_T3_T4_T5_mT6_T7_P12ihipStream_tbENKUlT_T0_E_clISt17integral_constantIbLb1EES10_IbLb0EEEEDaSW_SX_EUlSW_E_NS1_11comp_targetILNS1_3genE3ELNS1_11target_archE908ELNS1_3gpuE7ELNS1_3repE0EEENS1_30default_config_static_selectorELNS0_4arch9wavefront6targetE0EEEvT1_ ; -- Begin function _ZN7rocprim17ROCPRIM_400000_NS6detail17trampoline_kernelINS0_14default_configENS1_27scan_by_key_config_selectorIiiEEZZNS1_16scan_by_key_implILNS1_25lookback_scan_determinismE0ELb1ES3_N6thrust23THRUST_200600_302600_NS6detail15normal_iteratorINS9_10device_ptrIiEEEENSB_INSC_IjEEEESE_iNS9_4plusIvEENS9_8equal_toIvEEiEE10hipError_tPvRmT2_T3_T4_T5_mT6_T7_P12ihipStream_tbENKUlT_T0_E_clISt17integral_constantIbLb1EES10_IbLb0EEEEDaSW_SX_EUlSW_E_NS1_11comp_targetILNS1_3genE3ELNS1_11target_archE908ELNS1_3gpuE7ELNS1_3repE0EEENS1_30default_config_static_selectorELNS0_4arch9wavefront6targetE0EEEvT1_
	.globl	_ZN7rocprim17ROCPRIM_400000_NS6detail17trampoline_kernelINS0_14default_configENS1_27scan_by_key_config_selectorIiiEEZZNS1_16scan_by_key_implILNS1_25lookback_scan_determinismE0ELb1ES3_N6thrust23THRUST_200600_302600_NS6detail15normal_iteratorINS9_10device_ptrIiEEEENSB_INSC_IjEEEESE_iNS9_4plusIvEENS9_8equal_toIvEEiEE10hipError_tPvRmT2_T3_T4_T5_mT6_T7_P12ihipStream_tbENKUlT_T0_E_clISt17integral_constantIbLb1EES10_IbLb0EEEEDaSW_SX_EUlSW_E_NS1_11comp_targetILNS1_3genE3ELNS1_11target_archE908ELNS1_3gpuE7ELNS1_3repE0EEENS1_30default_config_static_selectorELNS0_4arch9wavefront6targetE0EEEvT1_
	.p2align	8
	.type	_ZN7rocprim17ROCPRIM_400000_NS6detail17trampoline_kernelINS0_14default_configENS1_27scan_by_key_config_selectorIiiEEZZNS1_16scan_by_key_implILNS1_25lookback_scan_determinismE0ELb1ES3_N6thrust23THRUST_200600_302600_NS6detail15normal_iteratorINS9_10device_ptrIiEEEENSB_INSC_IjEEEESE_iNS9_4plusIvEENS9_8equal_toIvEEiEE10hipError_tPvRmT2_T3_T4_T5_mT6_T7_P12ihipStream_tbENKUlT_T0_E_clISt17integral_constantIbLb1EES10_IbLb0EEEEDaSW_SX_EUlSW_E_NS1_11comp_targetILNS1_3genE3ELNS1_11target_archE908ELNS1_3gpuE7ELNS1_3repE0EEENS1_30default_config_static_selectorELNS0_4arch9wavefront6targetE0EEEvT1_,@function
_ZN7rocprim17ROCPRIM_400000_NS6detail17trampoline_kernelINS0_14default_configENS1_27scan_by_key_config_selectorIiiEEZZNS1_16scan_by_key_implILNS1_25lookback_scan_determinismE0ELb1ES3_N6thrust23THRUST_200600_302600_NS6detail15normal_iteratorINS9_10device_ptrIiEEEENSB_INSC_IjEEEESE_iNS9_4plusIvEENS9_8equal_toIvEEiEE10hipError_tPvRmT2_T3_T4_T5_mT6_T7_P12ihipStream_tbENKUlT_T0_E_clISt17integral_constantIbLb1EES10_IbLb0EEEEDaSW_SX_EUlSW_E_NS1_11comp_targetILNS1_3genE3ELNS1_11target_archE908ELNS1_3gpuE7ELNS1_3repE0EEENS1_30default_config_static_selectorELNS0_4arch9wavefront6targetE0EEEvT1_: ; @_ZN7rocprim17ROCPRIM_400000_NS6detail17trampoline_kernelINS0_14default_configENS1_27scan_by_key_config_selectorIiiEEZZNS1_16scan_by_key_implILNS1_25lookback_scan_determinismE0ELb1ES3_N6thrust23THRUST_200600_302600_NS6detail15normal_iteratorINS9_10device_ptrIiEEEENSB_INSC_IjEEEESE_iNS9_4plusIvEENS9_8equal_toIvEEiEE10hipError_tPvRmT2_T3_T4_T5_mT6_T7_P12ihipStream_tbENKUlT_T0_E_clISt17integral_constantIbLb1EES10_IbLb0EEEEDaSW_SX_EUlSW_E_NS1_11comp_targetILNS1_3genE3ELNS1_11target_archE908ELNS1_3gpuE7ELNS1_3repE0EEENS1_30default_config_static_selectorELNS0_4arch9wavefront6targetE0EEEvT1_
; %bb.0:
	.section	.rodata,"a",@progbits
	.p2align	6, 0x0
	.amdhsa_kernel _ZN7rocprim17ROCPRIM_400000_NS6detail17trampoline_kernelINS0_14default_configENS1_27scan_by_key_config_selectorIiiEEZZNS1_16scan_by_key_implILNS1_25lookback_scan_determinismE0ELb1ES3_N6thrust23THRUST_200600_302600_NS6detail15normal_iteratorINS9_10device_ptrIiEEEENSB_INSC_IjEEEESE_iNS9_4plusIvEENS9_8equal_toIvEEiEE10hipError_tPvRmT2_T3_T4_T5_mT6_T7_P12ihipStream_tbENKUlT_T0_E_clISt17integral_constantIbLb1EES10_IbLb0EEEEDaSW_SX_EUlSW_E_NS1_11comp_targetILNS1_3genE3ELNS1_11target_archE908ELNS1_3gpuE7ELNS1_3repE0EEENS1_30default_config_static_selectorELNS0_4arch9wavefront6targetE0EEEvT1_
		.amdhsa_group_segment_fixed_size 0
		.amdhsa_private_segment_fixed_size 0
		.amdhsa_kernarg_size 112
		.amdhsa_user_sgpr_count 6
		.amdhsa_user_sgpr_private_segment_buffer 1
		.amdhsa_user_sgpr_dispatch_ptr 0
		.amdhsa_user_sgpr_queue_ptr 0
		.amdhsa_user_sgpr_kernarg_segment_ptr 1
		.amdhsa_user_sgpr_dispatch_id 0
		.amdhsa_user_sgpr_flat_scratch_init 0
		.amdhsa_user_sgpr_private_segment_size 0
		.amdhsa_wavefront_size32 1
		.amdhsa_uses_dynamic_stack 0
		.amdhsa_system_sgpr_private_segment_wavefront_offset 0
		.amdhsa_system_sgpr_workgroup_id_x 1
		.amdhsa_system_sgpr_workgroup_id_y 0
		.amdhsa_system_sgpr_workgroup_id_z 0
		.amdhsa_system_sgpr_workgroup_info 0
		.amdhsa_system_vgpr_workitem_id 0
		.amdhsa_next_free_vgpr 1
		.amdhsa_next_free_sgpr 1
		.amdhsa_reserve_vcc 0
		.amdhsa_reserve_flat_scratch 0
		.amdhsa_float_round_mode_32 0
		.amdhsa_float_round_mode_16_64 0
		.amdhsa_float_denorm_mode_32 3
		.amdhsa_float_denorm_mode_16_64 3
		.amdhsa_dx10_clamp 1
		.amdhsa_ieee_mode 1
		.amdhsa_fp16_overflow 0
		.amdhsa_workgroup_processor_mode 1
		.amdhsa_memory_ordered 1
		.amdhsa_forward_progress 1
		.amdhsa_shared_vgpr_count 0
		.amdhsa_exception_fp_ieee_invalid_op 0
		.amdhsa_exception_fp_denorm_src 0
		.amdhsa_exception_fp_ieee_div_zero 0
		.amdhsa_exception_fp_ieee_overflow 0
		.amdhsa_exception_fp_ieee_underflow 0
		.amdhsa_exception_fp_ieee_inexact 0
		.amdhsa_exception_int_div_zero 0
	.end_amdhsa_kernel
	.section	.text._ZN7rocprim17ROCPRIM_400000_NS6detail17trampoline_kernelINS0_14default_configENS1_27scan_by_key_config_selectorIiiEEZZNS1_16scan_by_key_implILNS1_25lookback_scan_determinismE0ELb1ES3_N6thrust23THRUST_200600_302600_NS6detail15normal_iteratorINS9_10device_ptrIiEEEENSB_INSC_IjEEEESE_iNS9_4plusIvEENS9_8equal_toIvEEiEE10hipError_tPvRmT2_T3_T4_T5_mT6_T7_P12ihipStream_tbENKUlT_T0_E_clISt17integral_constantIbLb1EES10_IbLb0EEEEDaSW_SX_EUlSW_E_NS1_11comp_targetILNS1_3genE3ELNS1_11target_archE908ELNS1_3gpuE7ELNS1_3repE0EEENS1_30default_config_static_selectorELNS0_4arch9wavefront6targetE0EEEvT1_,"axG",@progbits,_ZN7rocprim17ROCPRIM_400000_NS6detail17trampoline_kernelINS0_14default_configENS1_27scan_by_key_config_selectorIiiEEZZNS1_16scan_by_key_implILNS1_25lookback_scan_determinismE0ELb1ES3_N6thrust23THRUST_200600_302600_NS6detail15normal_iteratorINS9_10device_ptrIiEEEENSB_INSC_IjEEEESE_iNS9_4plusIvEENS9_8equal_toIvEEiEE10hipError_tPvRmT2_T3_T4_T5_mT6_T7_P12ihipStream_tbENKUlT_T0_E_clISt17integral_constantIbLb1EES10_IbLb0EEEEDaSW_SX_EUlSW_E_NS1_11comp_targetILNS1_3genE3ELNS1_11target_archE908ELNS1_3gpuE7ELNS1_3repE0EEENS1_30default_config_static_selectorELNS0_4arch9wavefront6targetE0EEEvT1_,comdat
.Lfunc_end1774:
	.size	_ZN7rocprim17ROCPRIM_400000_NS6detail17trampoline_kernelINS0_14default_configENS1_27scan_by_key_config_selectorIiiEEZZNS1_16scan_by_key_implILNS1_25lookback_scan_determinismE0ELb1ES3_N6thrust23THRUST_200600_302600_NS6detail15normal_iteratorINS9_10device_ptrIiEEEENSB_INSC_IjEEEESE_iNS9_4plusIvEENS9_8equal_toIvEEiEE10hipError_tPvRmT2_T3_T4_T5_mT6_T7_P12ihipStream_tbENKUlT_T0_E_clISt17integral_constantIbLb1EES10_IbLb0EEEEDaSW_SX_EUlSW_E_NS1_11comp_targetILNS1_3genE3ELNS1_11target_archE908ELNS1_3gpuE7ELNS1_3repE0EEENS1_30default_config_static_selectorELNS0_4arch9wavefront6targetE0EEEvT1_, .Lfunc_end1774-_ZN7rocprim17ROCPRIM_400000_NS6detail17trampoline_kernelINS0_14default_configENS1_27scan_by_key_config_selectorIiiEEZZNS1_16scan_by_key_implILNS1_25lookback_scan_determinismE0ELb1ES3_N6thrust23THRUST_200600_302600_NS6detail15normal_iteratorINS9_10device_ptrIiEEEENSB_INSC_IjEEEESE_iNS9_4plusIvEENS9_8equal_toIvEEiEE10hipError_tPvRmT2_T3_T4_T5_mT6_T7_P12ihipStream_tbENKUlT_T0_E_clISt17integral_constantIbLb1EES10_IbLb0EEEEDaSW_SX_EUlSW_E_NS1_11comp_targetILNS1_3genE3ELNS1_11target_archE908ELNS1_3gpuE7ELNS1_3repE0EEENS1_30default_config_static_selectorELNS0_4arch9wavefront6targetE0EEEvT1_
                                        ; -- End function
	.set _ZN7rocprim17ROCPRIM_400000_NS6detail17trampoline_kernelINS0_14default_configENS1_27scan_by_key_config_selectorIiiEEZZNS1_16scan_by_key_implILNS1_25lookback_scan_determinismE0ELb1ES3_N6thrust23THRUST_200600_302600_NS6detail15normal_iteratorINS9_10device_ptrIiEEEENSB_INSC_IjEEEESE_iNS9_4plusIvEENS9_8equal_toIvEEiEE10hipError_tPvRmT2_T3_T4_T5_mT6_T7_P12ihipStream_tbENKUlT_T0_E_clISt17integral_constantIbLb1EES10_IbLb0EEEEDaSW_SX_EUlSW_E_NS1_11comp_targetILNS1_3genE3ELNS1_11target_archE908ELNS1_3gpuE7ELNS1_3repE0EEENS1_30default_config_static_selectorELNS0_4arch9wavefront6targetE0EEEvT1_.num_vgpr, 0
	.set _ZN7rocprim17ROCPRIM_400000_NS6detail17trampoline_kernelINS0_14default_configENS1_27scan_by_key_config_selectorIiiEEZZNS1_16scan_by_key_implILNS1_25lookback_scan_determinismE0ELb1ES3_N6thrust23THRUST_200600_302600_NS6detail15normal_iteratorINS9_10device_ptrIiEEEENSB_INSC_IjEEEESE_iNS9_4plusIvEENS9_8equal_toIvEEiEE10hipError_tPvRmT2_T3_T4_T5_mT6_T7_P12ihipStream_tbENKUlT_T0_E_clISt17integral_constantIbLb1EES10_IbLb0EEEEDaSW_SX_EUlSW_E_NS1_11comp_targetILNS1_3genE3ELNS1_11target_archE908ELNS1_3gpuE7ELNS1_3repE0EEENS1_30default_config_static_selectorELNS0_4arch9wavefront6targetE0EEEvT1_.num_agpr, 0
	.set _ZN7rocprim17ROCPRIM_400000_NS6detail17trampoline_kernelINS0_14default_configENS1_27scan_by_key_config_selectorIiiEEZZNS1_16scan_by_key_implILNS1_25lookback_scan_determinismE0ELb1ES3_N6thrust23THRUST_200600_302600_NS6detail15normal_iteratorINS9_10device_ptrIiEEEENSB_INSC_IjEEEESE_iNS9_4plusIvEENS9_8equal_toIvEEiEE10hipError_tPvRmT2_T3_T4_T5_mT6_T7_P12ihipStream_tbENKUlT_T0_E_clISt17integral_constantIbLb1EES10_IbLb0EEEEDaSW_SX_EUlSW_E_NS1_11comp_targetILNS1_3genE3ELNS1_11target_archE908ELNS1_3gpuE7ELNS1_3repE0EEENS1_30default_config_static_selectorELNS0_4arch9wavefront6targetE0EEEvT1_.numbered_sgpr, 0
	.set _ZN7rocprim17ROCPRIM_400000_NS6detail17trampoline_kernelINS0_14default_configENS1_27scan_by_key_config_selectorIiiEEZZNS1_16scan_by_key_implILNS1_25lookback_scan_determinismE0ELb1ES3_N6thrust23THRUST_200600_302600_NS6detail15normal_iteratorINS9_10device_ptrIiEEEENSB_INSC_IjEEEESE_iNS9_4plusIvEENS9_8equal_toIvEEiEE10hipError_tPvRmT2_T3_T4_T5_mT6_T7_P12ihipStream_tbENKUlT_T0_E_clISt17integral_constantIbLb1EES10_IbLb0EEEEDaSW_SX_EUlSW_E_NS1_11comp_targetILNS1_3genE3ELNS1_11target_archE908ELNS1_3gpuE7ELNS1_3repE0EEENS1_30default_config_static_selectorELNS0_4arch9wavefront6targetE0EEEvT1_.num_named_barrier, 0
	.set _ZN7rocprim17ROCPRIM_400000_NS6detail17trampoline_kernelINS0_14default_configENS1_27scan_by_key_config_selectorIiiEEZZNS1_16scan_by_key_implILNS1_25lookback_scan_determinismE0ELb1ES3_N6thrust23THRUST_200600_302600_NS6detail15normal_iteratorINS9_10device_ptrIiEEEENSB_INSC_IjEEEESE_iNS9_4plusIvEENS9_8equal_toIvEEiEE10hipError_tPvRmT2_T3_T4_T5_mT6_T7_P12ihipStream_tbENKUlT_T0_E_clISt17integral_constantIbLb1EES10_IbLb0EEEEDaSW_SX_EUlSW_E_NS1_11comp_targetILNS1_3genE3ELNS1_11target_archE908ELNS1_3gpuE7ELNS1_3repE0EEENS1_30default_config_static_selectorELNS0_4arch9wavefront6targetE0EEEvT1_.private_seg_size, 0
	.set _ZN7rocprim17ROCPRIM_400000_NS6detail17trampoline_kernelINS0_14default_configENS1_27scan_by_key_config_selectorIiiEEZZNS1_16scan_by_key_implILNS1_25lookback_scan_determinismE0ELb1ES3_N6thrust23THRUST_200600_302600_NS6detail15normal_iteratorINS9_10device_ptrIiEEEENSB_INSC_IjEEEESE_iNS9_4plusIvEENS9_8equal_toIvEEiEE10hipError_tPvRmT2_T3_T4_T5_mT6_T7_P12ihipStream_tbENKUlT_T0_E_clISt17integral_constantIbLb1EES10_IbLb0EEEEDaSW_SX_EUlSW_E_NS1_11comp_targetILNS1_3genE3ELNS1_11target_archE908ELNS1_3gpuE7ELNS1_3repE0EEENS1_30default_config_static_selectorELNS0_4arch9wavefront6targetE0EEEvT1_.uses_vcc, 0
	.set _ZN7rocprim17ROCPRIM_400000_NS6detail17trampoline_kernelINS0_14default_configENS1_27scan_by_key_config_selectorIiiEEZZNS1_16scan_by_key_implILNS1_25lookback_scan_determinismE0ELb1ES3_N6thrust23THRUST_200600_302600_NS6detail15normal_iteratorINS9_10device_ptrIiEEEENSB_INSC_IjEEEESE_iNS9_4plusIvEENS9_8equal_toIvEEiEE10hipError_tPvRmT2_T3_T4_T5_mT6_T7_P12ihipStream_tbENKUlT_T0_E_clISt17integral_constantIbLb1EES10_IbLb0EEEEDaSW_SX_EUlSW_E_NS1_11comp_targetILNS1_3genE3ELNS1_11target_archE908ELNS1_3gpuE7ELNS1_3repE0EEENS1_30default_config_static_selectorELNS0_4arch9wavefront6targetE0EEEvT1_.uses_flat_scratch, 0
	.set _ZN7rocprim17ROCPRIM_400000_NS6detail17trampoline_kernelINS0_14default_configENS1_27scan_by_key_config_selectorIiiEEZZNS1_16scan_by_key_implILNS1_25lookback_scan_determinismE0ELb1ES3_N6thrust23THRUST_200600_302600_NS6detail15normal_iteratorINS9_10device_ptrIiEEEENSB_INSC_IjEEEESE_iNS9_4plusIvEENS9_8equal_toIvEEiEE10hipError_tPvRmT2_T3_T4_T5_mT6_T7_P12ihipStream_tbENKUlT_T0_E_clISt17integral_constantIbLb1EES10_IbLb0EEEEDaSW_SX_EUlSW_E_NS1_11comp_targetILNS1_3genE3ELNS1_11target_archE908ELNS1_3gpuE7ELNS1_3repE0EEENS1_30default_config_static_selectorELNS0_4arch9wavefront6targetE0EEEvT1_.has_dyn_sized_stack, 0
	.set _ZN7rocprim17ROCPRIM_400000_NS6detail17trampoline_kernelINS0_14default_configENS1_27scan_by_key_config_selectorIiiEEZZNS1_16scan_by_key_implILNS1_25lookback_scan_determinismE0ELb1ES3_N6thrust23THRUST_200600_302600_NS6detail15normal_iteratorINS9_10device_ptrIiEEEENSB_INSC_IjEEEESE_iNS9_4plusIvEENS9_8equal_toIvEEiEE10hipError_tPvRmT2_T3_T4_T5_mT6_T7_P12ihipStream_tbENKUlT_T0_E_clISt17integral_constantIbLb1EES10_IbLb0EEEEDaSW_SX_EUlSW_E_NS1_11comp_targetILNS1_3genE3ELNS1_11target_archE908ELNS1_3gpuE7ELNS1_3repE0EEENS1_30default_config_static_selectorELNS0_4arch9wavefront6targetE0EEEvT1_.has_recursion, 0
	.set _ZN7rocprim17ROCPRIM_400000_NS6detail17trampoline_kernelINS0_14default_configENS1_27scan_by_key_config_selectorIiiEEZZNS1_16scan_by_key_implILNS1_25lookback_scan_determinismE0ELb1ES3_N6thrust23THRUST_200600_302600_NS6detail15normal_iteratorINS9_10device_ptrIiEEEENSB_INSC_IjEEEESE_iNS9_4plusIvEENS9_8equal_toIvEEiEE10hipError_tPvRmT2_T3_T4_T5_mT6_T7_P12ihipStream_tbENKUlT_T0_E_clISt17integral_constantIbLb1EES10_IbLb0EEEEDaSW_SX_EUlSW_E_NS1_11comp_targetILNS1_3genE3ELNS1_11target_archE908ELNS1_3gpuE7ELNS1_3repE0EEENS1_30default_config_static_selectorELNS0_4arch9wavefront6targetE0EEEvT1_.has_indirect_call, 0
	.section	.AMDGPU.csdata,"",@progbits
; Kernel info:
; codeLenInByte = 0
; TotalNumSgprs: 0
; NumVgprs: 0
; ScratchSize: 0
; MemoryBound: 0
; FloatMode: 240
; IeeeMode: 1
; LDSByteSize: 0 bytes/workgroup (compile time only)
; SGPRBlocks: 0
; VGPRBlocks: 0
; NumSGPRsForWavesPerEU: 1
; NumVGPRsForWavesPerEU: 1
; Occupancy: 16
; WaveLimiterHint : 0
; COMPUTE_PGM_RSRC2:SCRATCH_EN: 0
; COMPUTE_PGM_RSRC2:USER_SGPR: 6
; COMPUTE_PGM_RSRC2:TRAP_HANDLER: 0
; COMPUTE_PGM_RSRC2:TGID_X_EN: 1
; COMPUTE_PGM_RSRC2:TGID_Y_EN: 0
; COMPUTE_PGM_RSRC2:TGID_Z_EN: 0
; COMPUTE_PGM_RSRC2:TIDIG_COMP_CNT: 0
	.section	.text._ZN7rocprim17ROCPRIM_400000_NS6detail17trampoline_kernelINS0_14default_configENS1_27scan_by_key_config_selectorIiiEEZZNS1_16scan_by_key_implILNS1_25lookback_scan_determinismE0ELb1ES3_N6thrust23THRUST_200600_302600_NS6detail15normal_iteratorINS9_10device_ptrIiEEEENSB_INSC_IjEEEESE_iNS9_4plusIvEENS9_8equal_toIvEEiEE10hipError_tPvRmT2_T3_T4_T5_mT6_T7_P12ihipStream_tbENKUlT_T0_E_clISt17integral_constantIbLb1EES10_IbLb0EEEEDaSW_SX_EUlSW_E_NS1_11comp_targetILNS1_3genE2ELNS1_11target_archE906ELNS1_3gpuE6ELNS1_3repE0EEENS1_30default_config_static_selectorELNS0_4arch9wavefront6targetE0EEEvT1_,"axG",@progbits,_ZN7rocprim17ROCPRIM_400000_NS6detail17trampoline_kernelINS0_14default_configENS1_27scan_by_key_config_selectorIiiEEZZNS1_16scan_by_key_implILNS1_25lookback_scan_determinismE0ELb1ES3_N6thrust23THRUST_200600_302600_NS6detail15normal_iteratorINS9_10device_ptrIiEEEENSB_INSC_IjEEEESE_iNS9_4plusIvEENS9_8equal_toIvEEiEE10hipError_tPvRmT2_T3_T4_T5_mT6_T7_P12ihipStream_tbENKUlT_T0_E_clISt17integral_constantIbLb1EES10_IbLb0EEEEDaSW_SX_EUlSW_E_NS1_11comp_targetILNS1_3genE2ELNS1_11target_archE906ELNS1_3gpuE6ELNS1_3repE0EEENS1_30default_config_static_selectorELNS0_4arch9wavefront6targetE0EEEvT1_,comdat
	.protected	_ZN7rocprim17ROCPRIM_400000_NS6detail17trampoline_kernelINS0_14default_configENS1_27scan_by_key_config_selectorIiiEEZZNS1_16scan_by_key_implILNS1_25lookback_scan_determinismE0ELb1ES3_N6thrust23THRUST_200600_302600_NS6detail15normal_iteratorINS9_10device_ptrIiEEEENSB_INSC_IjEEEESE_iNS9_4plusIvEENS9_8equal_toIvEEiEE10hipError_tPvRmT2_T3_T4_T5_mT6_T7_P12ihipStream_tbENKUlT_T0_E_clISt17integral_constantIbLb1EES10_IbLb0EEEEDaSW_SX_EUlSW_E_NS1_11comp_targetILNS1_3genE2ELNS1_11target_archE906ELNS1_3gpuE6ELNS1_3repE0EEENS1_30default_config_static_selectorELNS0_4arch9wavefront6targetE0EEEvT1_ ; -- Begin function _ZN7rocprim17ROCPRIM_400000_NS6detail17trampoline_kernelINS0_14default_configENS1_27scan_by_key_config_selectorIiiEEZZNS1_16scan_by_key_implILNS1_25lookback_scan_determinismE0ELb1ES3_N6thrust23THRUST_200600_302600_NS6detail15normal_iteratorINS9_10device_ptrIiEEEENSB_INSC_IjEEEESE_iNS9_4plusIvEENS9_8equal_toIvEEiEE10hipError_tPvRmT2_T3_T4_T5_mT6_T7_P12ihipStream_tbENKUlT_T0_E_clISt17integral_constantIbLb1EES10_IbLb0EEEEDaSW_SX_EUlSW_E_NS1_11comp_targetILNS1_3genE2ELNS1_11target_archE906ELNS1_3gpuE6ELNS1_3repE0EEENS1_30default_config_static_selectorELNS0_4arch9wavefront6targetE0EEEvT1_
	.globl	_ZN7rocprim17ROCPRIM_400000_NS6detail17trampoline_kernelINS0_14default_configENS1_27scan_by_key_config_selectorIiiEEZZNS1_16scan_by_key_implILNS1_25lookback_scan_determinismE0ELb1ES3_N6thrust23THRUST_200600_302600_NS6detail15normal_iteratorINS9_10device_ptrIiEEEENSB_INSC_IjEEEESE_iNS9_4plusIvEENS9_8equal_toIvEEiEE10hipError_tPvRmT2_T3_T4_T5_mT6_T7_P12ihipStream_tbENKUlT_T0_E_clISt17integral_constantIbLb1EES10_IbLb0EEEEDaSW_SX_EUlSW_E_NS1_11comp_targetILNS1_3genE2ELNS1_11target_archE906ELNS1_3gpuE6ELNS1_3repE0EEENS1_30default_config_static_selectorELNS0_4arch9wavefront6targetE0EEEvT1_
	.p2align	8
	.type	_ZN7rocprim17ROCPRIM_400000_NS6detail17trampoline_kernelINS0_14default_configENS1_27scan_by_key_config_selectorIiiEEZZNS1_16scan_by_key_implILNS1_25lookback_scan_determinismE0ELb1ES3_N6thrust23THRUST_200600_302600_NS6detail15normal_iteratorINS9_10device_ptrIiEEEENSB_INSC_IjEEEESE_iNS9_4plusIvEENS9_8equal_toIvEEiEE10hipError_tPvRmT2_T3_T4_T5_mT6_T7_P12ihipStream_tbENKUlT_T0_E_clISt17integral_constantIbLb1EES10_IbLb0EEEEDaSW_SX_EUlSW_E_NS1_11comp_targetILNS1_3genE2ELNS1_11target_archE906ELNS1_3gpuE6ELNS1_3repE0EEENS1_30default_config_static_selectorELNS0_4arch9wavefront6targetE0EEEvT1_,@function
_ZN7rocprim17ROCPRIM_400000_NS6detail17trampoline_kernelINS0_14default_configENS1_27scan_by_key_config_selectorIiiEEZZNS1_16scan_by_key_implILNS1_25lookback_scan_determinismE0ELb1ES3_N6thrust23THRUST_200600_302600_NS6detail15normal_iteratorINS9_10device_ptrIiEEEENSB_INSC_IjEEEESE_iNS9_4plusIvEENS9_8equal_toIvEEiEE10hipError_tPvRmT2_T3_T4_T5_mT6_T7_P12ihipStream_tbENKUlT_T0_E_clISt17integral_constantIbLb1EES10_IbLb0EEEEDaSW_SX_EUlSW_E_NS1_11comp_targetILNS1_3genE2ELNS1_11target_archE906ELNS1_3gpuE6ELNS1_3repE0EEENS1_30default_config_static_selectorELNS0_4arch9wavefront6targetE0EEEvT1_: ; @_ZN7rocprim17ROCPRIM_400000_NS6detail17trampoline_kernelINS0_14default_configENS1_27scan_by_key_config_selectorIiiEEZZNS1_16scan_by_key_implILNS1_25lookback_scan_determinismE0ELb1ES3_N6thrust23THRUST_200600_302600_NS6detail15normal_iteratorINS9_10device_ptrIiEEEENSB_INSC_IjEEEESE_iNS9_4plusIvEENS9_8equal_toIvEEiEE10hipError_tPvRmT2_T3_T4_T5_mT6_T7_P12ihipStream_tbENKUlT_T0_E_clISt17integral_constantIbLb1EES10_IbLb0EEEEDaSW_SX_EUlSW_E_NS1_11comp_targetILNS1_3genE2ELNS1_11target_archE906ELNS1_3gpuE6ELNS1_3repE0EEENS1_30default_config_static_selectorELNS0_4arch9wavefront6targetE0EEEvT1_
; %bb.0:
	.section	.rodata,"a",@progbits
	.p2align	6, 0x0
	.amdhsa_kernel _ZN7rocprim17ROCPRIM_400000_NS6detail17trampoline_kernelINS0_14default_configENS1_27scan_by_key_config_selectorIiiEEZZNS1_16scan_by_key_implILNS1_25lookback_scan_determinismE0ELb1ES3_N6thrust23THRUST_200600_302600_NS6detail15normal_iteratorINS9_10device_ptrIiEEEENSB_INSC_IjEEEESE_iNS9_4plusIvEENS9_8equal_toIvEEiEE10hipError_tPvRmT2_T3_T4_T5_mT6_T7_P12ihipStream_tbENKUlT_T0_E_clISt17integral_constantIbLb1EES10_IbLb0EEEEDaSW_SX_EUlSW_E_NS1_11comp_targetILNS1_3genE2ELNS1_11target_archE906ELNS1_3gpuE6ELNS1_3repE0EEENS1_30default_config_static_selectorELNS0_4arch9wavefront6targetE0EEEvT1_
		.amdhsa_group_segment_fixed_size 0
		.amdhsa_private_segment_fixed_size 0
		.amdhsa_kernarg_size 112
		.amdhsa_user_sgpr_count 6
		.amdhsa_user_sgpr_private_segment_buffer 1
		.amdhsa_user_sgpr_dispatch_ptr 0
		.amdhsa_user_sgpr_queue_ptr 0
		.amdhsa_user_sgpr_kernarg_segment_ptr 1
		.amdhsa_user_sgpr_dispatch_id 0
		.amdhsa_user_sgpr_flat_scratch_init 0
		.amdhsa_user_sgpr_private_segment_size 0
		.amdhsa_wavefront_size32 1
		.amdhsa_uses_dynamic_stack 0
		.amdhsa_system_sgpr_private_segment_wavefront_offset 0
		.amdhsa_system_sgpr_workgroup_id_x 1
		.amdhsa_system_sgpr_workgroup_id_y 0
		.amdhsa_system_sgpr_workgroup_id_z 0
		.amdhsa_system_sgpr_workgroup_info 0
		.amdhsa_system_vgpr_workitem_id 0
		.amdhsa_next_free_vgpr 1
		.amdhsa_next_free_sgpr 1
		.amdhsa_reserve_vcc 0
		.amdhsa_reserve_flat_scratch 0
		.amdhsa_float_round_mode_32 0
		.amdhsa_float_round_mode_16_64 0
		.amdhsa_float_denorm_mode_32 3
		.amdhsa_float_denorm_mode_16_64 3
		.amdhsa_dx10_clamp 1
		.amdhsa_ieee_mode 1
		.amdhsa_fp16_overflow 0
		.amdhsa_workgroup_processor_mode 1
		.amdhsa_memory_ordered 1
		.amdhsa_forward_progress 1
		.amdhsa_shared_vgpr_count 0
		.amdhsa_exception_fp_ieee_invalid_op 0
		.amdhsa_exception_fp_denorm_src 0
		.amdhsa_exception_fp_ieee_div_zero 0
		.amdhsa_exception_fp_ieee_overflow 0
		.amdhsa_exception_fp_ieee_underflow 0
		.amdhsa_exception_fp_ieee_inexact 0
		.amdhsa_exception_int_div_zero 0
	.end_amdhsa_kernel
	.section	.text._ZN7rocprim17ROCPRIM_400000_NS6detail17trampoline_kernelINS0_14default_configENS1_27scan_by_key_config_selectorIiiEEZZNS1_16scan_by_key_implILNS1_25lookback_scan_determinismE0ELb1ES3_N6thrust23THRUST_200600_302600_NS6detail15normal_iteratorINS9_10device_ptrIiEEEENSB_INSC_IjEEEESE_iNS9_4plusIvEENS9_8equal_toIvEEiEE10hipError_tPvRmT2_T3_T4_T5_mT6_T7_P12ihipStream_tbENKUlT_T0_E_clISt17integral_constantIbLb1EES10_IbLb0EEEEDaSW_SX_EUlSW_E_NS1_11comp_targetILNS1_3genE2ELNS1_11target_archE906ELNS1_3gpuE6ELNS1_3repE0EEENS1_30default_config_static_selectorELNS0_4arch9wavefront6targetE0EEEvT1_,"axG",@progbits,_ZN7rocprim17ROCPRIM_400000_NS6detail17trampoline_kernelINS0_14default_configENS1_27scan_by_key_config_selectorIiiEEZZNS1_16scan_by_key_implILNS1_25lookback_scan_determinismE0ELb1ES3_N6thrust23THRUST_200600_302600_NS6detail15normal_iteratorINS9_10device_ptrIiEEEENSB_INSC_IjEEEESE_iNS9_4plusIvEENS9_8equal_toIvEEiEE10hipError_tPvRmT2_T3_T4_T5_mT6_T7_P12ihipStream_tbENKUlT_T0_E_clISt17integral_constantIbLb1EES10_IbLb0EEEEDaSW_SX_EUlSW_E_NS1_11comp_targetILNS1_3genE2ELNS1_11target_archE906ELNS1_3gpuE6ELNS1_3repE0EEENS1_30default_config_static_selectorELNS0_4arch9wavefront6targetE0EEEvT1_,comdat
.Lfunc_end1775:
	.size	_ZN7rocprim17ROCPRIM_400000_NS6detail17trampoline_kernelINS0_14default_configENS1_27scan_by_key_config_selectorIiiEEZZNS1_16scan_by_key_implILNS1_25lookback_scan_determinismE0ELb1ES3_N6thrust23THRUST_200600_302600_NS6detail15normal_iteratorINS9_10device_ptrIiEEEENSB_INSC_IjEEEESE_iNS9_4plusIvEENS9_8equal_toIvEEiEE10hipError_tPvRmT2_T3_T4_T5_mT6_T7_P12ihipStream_tbENKUlT_T0_E_clISt17integral_constantIbLb1EES10_IbLb0EEEEDaSW_SX_EUlSW_E_NS1_11comp_targetILNS1_3genE2ELNS1_11target_archE906ELNS1_3gpuE6ELNS1_3repE0EEENS1_30default_config_static_selectorELNS0_4arch9wavefront6targetE0EEEvT1_, .Lfunc_end1775-_ZN7rocprim17ROCPRIM_400000_NS6detail17trampoline_kernelINS0_14default_configENS1_27scan_by_key_config_selectorIiiEEZZNS1_16scan_by_key_implILNS1_25lookback_scan_determinismE0ELb1ES3_N6thrust23THRUST_200600_302600_NS6detail15normal_iteratorINS9_10device_ptrIiEEEENSB_INSC_IjEEEESE_iNS9_4plusIvEENS9_8equal_toIvEEiEE10hipError_tPvRmT2_T3_T4_T5_mT6_T7_P12ihipStream_tbENKUlT_T0_E_clISt17integral_constantIbLb1EES10_IbLb0EEEEDaSW_SX_EUlSW_E_NS1_11comp_targetILNS1_3genE2ELNS1_11target_archE906ELNS1_3gpuE6ELNS1_3repE0EEENS1_30default_config_static_selectorELNS0_4arch9wavefront6targetE0EEEvT1_
                                        ; -- End function
	.set _ZN7rocprim17ROCPRIM_400000_NS6detail17trampoline_kernelINS0_14default_configENS1_27scan_by_key_config_selectorIiiEEZZNS1_16scan_by_key_implILNS1_25lookback_scan_determinismE0ELb1ES3_N6thrust23THRUST_200600_302600_NS6detail15normal_iteratorINS9_10device_ptrIiEEEENSB_INSC_IjEEEESE_iNS9_4plusIvEENS9_8equal_toIvEEiEE10hipError_tPvRmT2_T3_T4_T5_mT6_T7_P12ihipStream_tbENKUlT_T0_E_clISt17integral_constantIbLb1EES10_IbLb0EEEEDaSW_SX_EUlSW_E_NS1_11comp_targetILNS1_3genE2ELNS1_11target_archE906ELNS1_3gpuE6ELNS1_3repE0EEENS1_30default_config_static_selectorELNS0_4arch9wavefront6targetE0EEEvT1_.num_vgpr, 0
	.set _ZN7rocprim17ROCPRIM_400000_NS6detail17trampoline_kernelINS0_14default_configENS1_27scan_by_key_config_selectorIiiEEZZNS1_16scan_by_key_implILNS1_25lookback_scan_determinismE0ELb1ES3_N6thrust23THRUST_200600_302600_NS6detail15normal_iteratorINS9_10device_ptrIiEEEENSB_INSC_IjEEEESE_iNS9_4plusIvEENS9_8equal_toIvEEiEE10hipError_tPvRmT2_T3_T4_T5_mT6_T7_P12ihipStream_tbENKUlT_T0_E_clISt17integral_constantIbLb1EES10_IbLb0EEEEDaSW_SX_EUlSW_E_NS1_11comp_targetILNS1_3genE2ELNS1_11target_archE906ELNS1_3gpuE6ELNS1_3repE0EEENS1_30default_config_static_selectorELNS0_4arch9wavefront6targetE0EEEvT1_.num_agpr, 0
	.set _ZN7rocprim17ROCPRIM_400000_NS6detail17trampoline_kernelINS0_14default_configENS1_27scan_by_key_config_selectorIiiEEZZNS1_16scan_by_key_implILNS1_25lookback_scan_determinismE0ELb1ES3_N6thrust23THRUST_200600_302600_NS6detail15normal_iteratorINS9_10device_ptrIiEEEENSB_INSC_IjEEEESE_iNS9_4plusIvEENS9_8equal_toIvEEiEE10hipError_tPvRmT2_T3_T4_T5_mT6_T7_P12ihipStream_tbENKUlT_T0_E_clISt17integral_constantIbLb1EES10_IbLb0EEEEDaSW_SX_EUlSW_E_NS1_11comp_targetILNS1_3genE2ELNS1_11target_archE906ELNS1_3gpuE6ELNS1_3repE0EEENS1_30default_config_static_selectorELNS0_4arch9wavefront6targetE0EEEvT1_.numbered_sgpr, 0
	.set _ZN7rocprim17ROCPRIM_400000_NS6detail17trampoline_kernelINS0_14default_configENS1_27scan_by_key_config_selectorIiiEEZZNS1_16scan_by_key_implILNS1_25lookback_scan_determinismE0ELb1ES3_N6thrust23THRUST_200600_302600_NS6detail15normal_iteratorINS9_10device_ptrIiEEEENSB_INSC_IjEEEESE_iNS9_4plusIvEENS9_8equal_toIvEEiEE10hipError_tPvRmT2_T3_T4_T5_mT6_T7_P12ihipStream_tbENKUlT_T0_E_clISt17integral_constantIbLb1EES10_IbLb0EEEEDaSW_SX_EUlSW_E_NS1_11comp_targetILNS1_3genE2ELNS1_11target_archE906ELNS1_3gpuE6ELNS1_3repE0EEENS1_30default_config_static_selectorELNS0_4arch9wavefront6targetE0EEEvT1_.num_named_barrier, 0
	.set _ZN7rocprim17ROCPRIM_400000_NS6detail17trampoline_kernelINS0_14default_configENS1_27scan_by_key_config_selectorIiiEEZZNS1_16scan_by_key_implILNS1_25lookback_scan_determinismE0ELb1ES3_N6thrust23THRUST_200600_302600_NS6detail15normal_iteratorINS9_10device_ptrIiEEEENSB_INSC_IjEEEESE_iNS9_4plusIvEENS9_8equal_toIvEEiEE10hipError_tPvRmT2_T3_T4_T5_mT6_T7_P12ihipStream_tbENKUlT_T0_E_clISt17integral_constantIbLb1EES10_IbLb0EEEEDaSW_SX_EUlSW_E_NS1_11comp_targetILNS1_3genE2ELNS1_11target_archE906ELNS1_3gpuE6ELNS1_3repE0EEENS1_30default_config_static_selectorELNS0_4arch9wavefront6targetE0EEEvT1_.private_seg_size, 0
	.set _ZN7rocprim17ROCPRIM_400000_NS6detail17trampoline_kernelINS0_14default_configENS1_27scan_by_key_config_selectorIiiEEZZNS1_16scan_by_key_implILNS1_25lookback_scan_determinismE0ELb1ES3_N6thrust23THRUST_200600_302600_NS6detail15normal_iteratorINS9_10device_ptrIiEEEENSB_INSC_IjEEEESE_iNS9_4plusIvEENS9_8equal_toIvEEiEE10hipError_tPvRmT2_T3_T4_T5_mT6_T7_P12ihipStream_tbENKUlT_T0_E_clISt17integral_constantIbLb1EES10_IbLb0EEEEDaSW_SX_EUlSW_E_NS1_11comp_targetILNS1_3genE2ELNS1_11target_archE906ELNS1_3gpuE6ELNS1_3repE0EEENS1_30default_config_static_selectorELNS0_4arch9wavefront6targetE0EEEvT1_.uses_vcc, 0
	.set _ZN7rocprim17ROCPRIM_400000_NS6detail17trampoline_kernelINS0_14default_configENS1_27scan_by_key_config_selectorIiiEEZZNS1_16scan_by_key_implILNS1_25lookback_scan_determinismE0ELb1ES3_N6thrust23THRUST_200600_302600_NS6detail15normal_iteratorINS9_10device_ptrIiEEEENSB_INSC_IjEEEESE_iNS9_4plusIvEENS9_8equal_toIvEEiEE10hipError_tPvRmT2_T3_T4_T5_mT6_T7_P12ihipStream_tbENKUlT_T0_E_clISt17integral_constantIbLb1EES10_IbLb0EEEEDaSW_SX_EUlSW_E_NS1_11comp_targetILNS1_3genE2ELNS1_11target_archE906ELNS1_3gpuE6ELNS1_3repE0EEENS1_30default_config_static_selectorELNS0_4arch9wavefront6targetE0EEEvT1_.uses_flat_scratch, 0
	.set _ZN7rocprim17ROCPRIM_400000_NS6detail17trampoline_kernelINS0_14default_configENS1_27scan_by_key_config_selectorIiiEEZZNS1_16scan_by_key_implILNS1_25lookback_scan_determinismE0ELb1ES3_N6thrust23THRUST_200600_302600_NS6detail15normal_iteratorINS9_10device_ptrIiEEEENSB_INSC_IjEEEESE_iNS9_4plusIvEENS9_8equal_toIvEEiEE10hipError_tPvRmT2_T3_T4_T5_mT6_T7_P12ihipStream_tbENKUlT_T0_E_clISt17integral_constantIbLb1EES10_IbLb0EEEEDaSW_SX_EUlSW_E_NS1_11comp_targetILNS1_3genE2ELNS1_11target_archE906ELNS1_3gpuE6ELNS1_3repE0EEENS1_30default_config_static_selectorELNS0_4arch9wavefront6targetE0EEEvT1_.has_dyn_sized_stack, 0
	.set _ZN7rocprim17ROCPRIM_400000_NS6detail17trampoline_kernelINS0_14default_configENS1_27scan_by_key_config_selectorIiiEEZZNS1_16scan_by_key_implILNS1_25lookback_scan_determinismE0ELb1ES3_N6thrust23THRUST_200600_302600_NS6detail15normal_iteratorINS9_10device_ptrIiEEEENSB_INSC_IjEEEESE_iNS9_4plusIvEENS9_8equal_toIvEEiEE10hipError_tPvRmT2_T3_T4_T5_mT6_T7_P12ihipStream_tbENKUlT_T0_E_clISt17integral_constantIbLb1EES10_IbLb0EEEEDaSW_SX_EUlSW_E_NS1_11comp_targetILNS1_3genE2ELNS1_11target_archE906ELNS1_3gpuE6ELNS1_3repE0EEENS1_30default_config_static_selectorELNS0_4arch9wavefront6targetE0EEEvT1_.has_recursion, 0
	.set _ZN7rocprim17ROCPRIM_400000_NS6detail17trampoline_kernelINS0_14default_configENS1_27scan_by_key_config_selectorIiiEEZZNS1_16scan_by_key_implILNS1_25lookback_scan_determinismE0ELb1ES3_N6thrust23THRUST_200600_302600_NS6detail15normal_iteratorINS9_10device_ptrIiEEEENSB_INSC_IjEEEESE_iNS9_4plusIvEENS9_8equal_toIvEEiEE10hipError_tPvRmT2_T3_T4_T5_mT6_T7_P12ihipStream_tbENKUlT_T0_E_clISt17integral_constantIbLb1EES10_IbLb0EEEEDaSW_SX_EUlSW_E_NS1_11comp_targetILNS1_3genE2ELNS1_11target_archE906ELNS1_3gpuE6ELNS1_3repE0EEENS1_30default_config_static_selectorELNS0_4arch9wavefront6targetE0EEEvT1_.has_indirect_call, 0
	.section	.AMDGPU.csdata,"",@progbits
; Kernel info:
; codeLenInByte = 0
; TotalNumSgprs: 0
; NumVgprs: 0
; ScratchSize: 0
; MemoryBound: 0
; FloatMode: 240
; IeeeMode: 1
; LDSByteSize: 0 bytes/workgroup (compile time only)
; SGPRBlocks: 0
; VGPRBlocks: 0
; NumSGPRsForWavesPerEU: 1
; NumVGPRsForWavesPerEU: 1
; Occupancy: 16
; WaveLimiterHint : 0
; COMPUTE_PGM_RSRC2:SCRATCH_EN: 0
; COMPUTE_PGM_RSRC2:USER_SGPR: 6
; COMPUTE_PGM_RSRC2:TRAP_HANDLER: 0
; COMPUTE_PGM_RSRC2:TGID_X_EN: 1
; COMPUTE_PGM_RSRC2:TGID_Y_EN: 0
; COMPUTE_PGM_RSRC2:TGID_Z_EN: 0
; COMPUTE_PGM_RSRC2:TIDIG_COMP_CNT: 0
	.section	.text._ZN7rocprim17ROCPRIM_400000_NS6detail17trampoline_kernelINS0_14default_configENS1_27scan_by_key_config_selectorIiiEEZZNS1_16scan_by_key_implILNS1_25lookback_scan_determinismE0ELb1ES3_N6thrust23THRUST_200600_302600_NS6detail15normal_iteratorINS9_10device_ptrIiEEEENSB_INSC_IjEEEESE_iNS9_4plusIvEENS9_8equal_toIvEEiEE10hipError_tPvRmT2_T3_T4_T5_mT6_T7_P12ihipStream_tbENKUlT_T0_E_clISt17integral_constantIbLb1EES10_IbLb0EEEEDaSW_SX_EUlSW_E_NS1_11comp_targetILNS1_3genE10ELNS1_11target_archE1200ELNS1_3gpuE4ELNS1_3repE0EEENS1_30default_config_static_selectorELNS0_4arch9wavefront6targetE0EEEvT1_,"axG",@progbits,_ZN7rocprim17ROCPRIM_400000_NS6detail17trampoline_kernelINS0_14default_configENS1_27scan_by_key_config_selectorIiiEEZZNS1_16scan_by_key_implILNS1_25lookback_scan_determinismE0ELb1ES3_N6thrust23THRUST_200600_302600_NS6detail15normal_iteratorINS9_10device_ptrIiEEEENSB_INSC_IjEEEESE_iNS9_4plusIvEENS9_8equal_toIvEEiEE10hipError_tPvRmT2_T3_T4_T5_mT6_T7_P12ihipStream_tbENKUlT_T0_E_clISt17integral_constantIbLb1EES10_IbLb0EEEEDaSW_SX_EUlSW_E_NS1_11comp_targetILNS1_3genE10ELNS1_11target_archE1200ELNS1_3gpuE4ELNS1_3repE0EEENS1_30default_config_static_selectorELNS0_4arch9wavefront6targetE0EEEvT1_,comdat
	.protected	_ZN7rocprim17ROCPRIM_400000_NS6detail17trampoline_kernelINS0_14default_configENS1_27scan_by_key_config_selectorIiiEEZZNS1_16scan_by_key_implILNS1_25lookback_scan_determinismE0ELb1ES3_N6thrust23THRUST_200600_302600_NS6detail15normal_iteratorINS9_10device_ptrIiEEEENSB_INSC_IjEEEESE_iNS9_4plusIvEENS9_8equal_toIvEEiEE10hipError_tPvRmT2_T3_T4_T5_mT6_T7_P12ihipStream_tbENKUlT_T0_E_clISt17integral_constantIbLb1EES10_IbLb0EEEEDaSW_SX_EUlSW_E_NS1_11comp_targetILNS1_3genE10ELNS1_11target_archE1200ELNS1_3gpuE4ELNS1_3repE0EEENS1_30default_config_static_selectorELNS0_4arch9wavefront6targetE0EEEvT1_ ; -- Begin function _ZN7rocprim17ROCPRIM_400000_NS6detail17trampoline_kernelINS0_14default_configENS1_27scan_by_key_config_selectorIiiEEZZNS1_16scan_by_key_implILNS1_25lookback_scan_determinismE0ELb1ES3_N6thrust23THRUST_200600_302600_NS6detail15normal_iteratorINS9_10device_ptrIiEEEENSB_INSC_IjEEEESE_iNS9_4plusIvEENS9_8equal_toIvEEiEE10hipError_tPvRmT2_T3_T4_T5_mT6_T7_P12ihipStream_tbENKUlT_T0_E_clISt17integral_constantIbLb1EES10_IbLb0EEEEDaSW_SX_EUlSW_E_NS1_11comp_targetILNS1_3genE10ELNS1_11target_archE1200ELNS1_3gpuE4ELNS1_3repE0EEENS1_30default_config_static_selectorELNS0_4arch9wavefront6targetE0EEEvT1_
	.globl	_ZN7rocprim17ROCPRIM_400000_NS6detail17trampoline_kernelINS0_14default_configENS1_27scan_by_key_config_selectorIiiEEZZNS1_16scan_by_key_implILNS1_25lookback_scan_determinismE0ELb1ES3_N6thrust23THRUST_200600_302600_NS6detail15normal_iteratorINS9_10device_ptrIiEEEENSB_INSC_IjEEEESE_iNS9_4plusIvEENS9_8equal_toIvEEiEE10hipError_tPvRmT2_T3_T4_T5_mT6_T7_P12ihipStream_tbENKUlT_T0_E_clISt17integral_constantIbLb1EES10_IbLb0EEEEDaSW_SX_EUlSW_E_NS1_11comp_targetILNS1_3genE10ELNS1_11target_archE1200ELNS1_3gpuE4ELNS1_3repE0EEENS1_30default_config_static_selectorELNS0_4arch9wavefront6targetE0EEEvT1_
	.p2align	8
	.type	_ZN7rocprim17ROCPRIM_400000_NS6detail17trampoline_kernelINS0_14default_configENS1_27scan_by_key_config_selectorIiiEEZZNS1_16scan_by_key_implILNS1_25lookback_scan_determinismE0ELb1ES3_N6thrust23THRUST_200600_302600_NS6detail15normal_iteratorINS9_10device_ptrIiEEEENSB_INSC_IjEEEESE_iNS9_4plusIvEENS9_8equal_toIvEEiEE10hipError_tPvRmT2_T3_T4_T5_mT6_T7_P12ihipStream_tbENKUlT_T0_E_clISt17integral_constantIbLb1EES10_IbLb0EEEEDaSW_SX_EUlSW_E_NS1_11comp_targetILNS1_3genE10ELNS1_11target_archE1200ELNS1_3gpuE4ELNS1_3repE0EEENS1_30default_config_static_selectorELNS0_4arch9wavefront6targetE0EEEvT1_,@function
_ZN7rocprim17ROCPRIM_400000_NS6detail17trampoline_kernelINS0_14default_configENS1_27scan_by_key_config_selectorIiiEEZZNS1_16scan_by_key_implILNS1_25lookback_scan_determinismE0ELb1ES3_N6thrust23THRUST_200600_302600_NS6detail15normal_iteratorINS9_10device_ptrIiEEEENSB_INSC_IjEEEESE_iNS9_4plusIvEENS9_8equal_toIvEEiEE10hipError_tPvRmT2_T3_T4_T5_mT6_T7_P12ihipStream_tbENKUlT_T0_E_clISt17integral_constantIbLb1EES10_IbLb0EEEEDaSW_SX_EUlSW_E_NS1_11comp_targetILNS1_3genE10ELNS1_11target_archE1200ELNS1_3gpuE4ELNS1_3repE0EEENS1_30default_config_static_selectorELNS0_4arch9wavefront6targetE0EEEvT1_: ; @_ZN7rocprim17ROCPRIM_400000_NS6detail17trampoline_kernelINS0_14default_configENS1_27scan_by_key_config_selectorIiiEEZZNS1_16scan_by_key_implILNS1_25lookback_scan_determinismE0ELb1ES3_N6thrust23THRUST_200600_302600_NS6detail15normal_iteratorINS9_10device_ptrIiEEEENSB_INSC_IjEEEESE_iNS9_4plusIvEENS9_8equal_toIvEEiEE10hipError_tPvRmT2_T3_T4_T5_mT6_T7_P12ihipStream_tbENKUlT_T0_E_clISt17integral_constantIbLb1EES10_IbLb0EEEEDaSW_SX_EUlSW_E_NS1_11comp_targetILNS1_3genE10ELNS1_11target_archE1200ELNS1_3gpuE4ELNS1_3repE0EEENS1_30default_config_static_selectorELNS0_4arch9wavefront6targetE0EEEvT1_
; %bb.0:
	.section	.rodata,"a",@progbits
	.p2align	6, 0x0
	.amdhsa_kernel _ZN7rocprim17ROCPRIM_400000_NS6detail17trampoline_kernelINS0_14default_configENS1_27scan_by_key_config_selectorIiiEEZZNS1_16scan_by_key_implILNS1_25lookback_scan_determinismE0ELb1ES3_N6thrust23THRUST_200600_302600_NS6detail15normal_iteratorINS9_10device_ptrIiEEEENSB_INSC_IjEEEESE_iNS9_4plusIvEENS9_8equal_toIvEEiEE10hipError_tPvRmT2_T3_T4_T5_mT6_T7_P12ihipStream_tbENKUlT_T0_E_clISt17integral_constantIbLb1EES10_IbLb0EEEEDaSW_SX_EUlSW_E_NS1_11comp_targetILNS1_3genE10ELNS1_11target_archE1200ELNS1_3gpuE4ELNS1_3repE0EEENS1_30default_config_static_selectorELNS0_4arch9wavefront6targetE0EEEvT1_
		.amdhsa_group_segment_fixed_size 0
		.amdhsa_private_segment_fixed_size 0
		.amdhsa_kernarg_size 112
		.amdhsa_user_sgpr_count 6
		.amdhsa_user_sgpr_private_segment_buffer 1
		.amdhsa_user_sgpr_dispatch_ptr 0
		.amdhsa_user_sgpr_queue_ptr 0
		.amdhsa_user_sgpr_kernarg_segment_ptr 1
		.amdhsa_user_sgpr_dispatch_id 0
		.amdhsa_user_sgpr_flat_scratch_init 0
		.amdhsa_user_sgpr_private_segment_size 0
		.amdhsa_wavefront_size32 1
		.amdhsa_uses_dynamic_stack 0
		.amdhsa_system_sgpr_private_segment_wavefront_offset 0
		.amdhsa_system_sgpr_workgroup_id_x 1
		.amdhsa_system_sgpr_workgroup_id_y 0
		.amdhsa_system_sgpr_workgroup_id_z 0
		.amdhsa_system_sgpr_workgroup_info 0
		.amdhsa_system_vgpr_workitem_id 0
		.amdhsa_next_free_vgpr 1
		.amdhsa_next_free_sgpr 1
		.amdhsa_reserve_vcc 0
		.amdhsa_reserve_flat_scratch 0
		.amdhsa_float_round_mode_32 0
		.amdhsa_float_round_mode_16_64 0
		.amdhsa_float_denorm_mode_32 3
		.amdhsa_float_denorm_mode_16_64 3
		.amdhsa_dx10_clamp 1
		.amdhsa_ieee_mode 1
		.amdhsa_fp16_overflow 0
		.amdhsa_workgroup_processor_mode 1
		.amdhsa_memory_ordered 1
		.amdhsa_forward_progress 1
		.amdhsa_shared_vgpr_count 0
		.amdhsa_exception_fp_ieee_invalid_op 0
		.amdhsa_exception_fp_denorm_src 0
		.amdhsa_exception_fp_ieee_div_zero 0
		.amdhsa_exception_fp_ieee_overflow 0
		.amdhsa_exception_fp_ieee_underflow 0
		.amdhsa_exception_fp_ieee_inexact 0
		.amdhsa_exception_int_div_zero 0
	.end_amdhsa_kernel
	.section	.text._ZN7rocprim17ROCPRIM_400000_NS6detail17trampoline_kernelINS0_14default_configENS1_27scan_by_key_config_selectorIiiEEZZNS1_16scan_by_key_implILNS1_25lookback_scan_determinismE0ELb1ES3_N6thrust23THRUST_200600_302600_NS6detail15normal_iteratorINS9_10device_ptrIiEEEENSB_INSC_IjEEEESE_iNS9_4plusIvEENS9_8equal_toIvEEiEE10hipError_tPvRmT2_T3_T4_T5_mT6_T7_P12ihipStream_tbENKUlT_T0_E_clISt17integral_constantIbLb1EES10_IbLb0EEEEDaSW_SX_EUlSW_E_NS1_11comp_targetILNS1_3genE10ELNS1_11target_archE1200ELNS1_3gpuE4ELNS1_3repE0EEENS1_30default_config_static_selectorELNS0_4arch9wavefront6targetE0EEEvT1_,"axG",@progbits,_ZN7rocprim17ROCPRIM_400000_NS6detail17trampoline_kernelINS0_14default_configENS1_27scan_by_key_config_selectorIiiEEZZNS1_16scan_by_key_implILNS1_25lookback_scan_determinismE0ELb1ES3_N6thrust23THRUST_200600_302600_NS6detail15normal_iteratorINS9_10device_ptrIiEEEENSB_INSC_IjEEEESE_iNS9_4plusIvEENS9_8equal_toIvEEiEE10hipError_tPvRmT2_T3_T4_T5_mT6_T7_P12ihipStream_tbENKUlT_T0_E_clISt17integral_constantIbLb1EES10_IbLb0EEEEDaSW_SX_EUlSW_E_NS1_11comp_targetILNS1_3genE10ELNS1_11target_archE1200ELNS1_3gpuE4ELNS1_3repE0EEENS1_30default_config_static_selectorELNS0_4arch9wavefront6targetE0EEEvT1_,comdat
.Lfunc_end1776:
	.size	_ZN7rocprim17ROCPRIM_400000_NS6detail17trampoline_kernelINS0_14default_configENS1_27scan_by_key_config_selectorIiiEEZZNS1_16scan_by_key_implILNS1_25lookback_scan_determinismE0ELb1ES3_N6thrust23THRUST_200600_302600_NS6detail15normal_iteratorINS9_10device_ptrIiEEEENSB_INSC_IjEEEESE_iNS9_4plusIvEENS9_8equal_toIvEEiEE10hipError_tPvRmT2_T3_T4_T5_mT6_T7_P12ihipStream_tbENKUlT_T0_E_clISt17integral_constantIbLb1EES10_IbLb0EEEEDaSW_SX_EUlSW_E_NS1_11comp_targetILNS1_3genE10ELNS1_11target_archE1200ELNS1_3gpuE4ELNS1_3repE0EEENS1_30default_config_static_selectorELNS0_4arch9wavefront6targetE0EEEvT1_, .Lfunc_end1776-_ZN7rocprim17ROCPRIM_400000_NS6detail17trampoline_kernelINS0_14default_configENS1_27scan_by_key_config_selectorIiiEEZZNS1_16scan_by_key_implILNS1_25lookback_scan_determinismE0ELb1ES3_N6thrust23THRUST_200600_302600_NS6detail15normal_iteratorINS9_10device_ptrIiEEEENSB_INSC_IjEEEESE_iNS9_4plusIvEENS9_8equal_toIvEEiEE10hipError_tPvRmT2_T3_T4_T5_mT6_T7_P12ihipStream_tbENKUlT_T0_E_clISt17integral_constantIbLb1EES10_IbLb0EEEEDaSW_SX_EUlSW_E_NS1_11comp_targetILNS1_3genE10ELNS1_11target_archE1200ELNS1_3gpuE4ELNS1_3repE0EEENS1_30default_config_static_selectorELNS0_4arch9wavefront6targetE0EEEvT1_
                                        ; -- End function
	.set _ZN7rocprim17ROCPRIM_400000_NS6detail17trampoline_kernelINS0_14default_configENS1_27scan_by_key_config_selectorIiiEEZZNS1_16scan_by_key_implILNS1_25lookback_scan_determinismE0ELb1ES3_N6thrust23THRUST_200600_302600_NS6detail15normal_iteratorINS9_10device_ptrIiEEEENSB_INSC_IjEEEESE_iNS9_4plusIvEENS9_8equal_toIvEEiEE10hipError_tPvRmT2_T3_T4_T5_mT6_T7_P12ihipStream_tbENKUlT_T0_E_clISt17integral_constantIbLb1EES10_IbLb0EEEEDaSW_SX_EUlSW_E_NS1_11comp_targetILNS1_3genE10ELNS1_11target_archE1200ELNS1_3gpuE4ELNS1_3repE0EEENS1_30default_config_static_selectorELNS0_4arch9wavefront6targetE0EEEvT1_.num_vgpr, 0
	.set _ZN7rocprim17ROCPRIM_400000_NS6detail17trampoline_kernelINS0_14default_configENS1_27scan_by_key_config_selectorIiiEEZZNS1_16scan_by_key_implILNS1_25lookback_scan_determinismE0ELb1ES3_N6thrust23THRUST_200600_302600_NS6detail15normal_iteratorINS9_10device_ptrIiEEEENSB_INSC_IjEEEESE_iNS9_4plusIvEENS9_8equal_toIvEEiEE10hipError_tPvRmT2_T3_T4_T5_mT6_T7_P12ihipStream_tbENKUlT_T0_E_clISt17integral_constantIbLb1EES10_IbLb0EEEEDaSW_SX_EUlSW_E_NS1_11comp_targetILNS1_3genE10ELNS1_11target_archE1200ELNS1_3gpuE4ELNS1_3repE0EEENS1_30default_config_static_selectorELNS0_4arch9wavefront6targetE0EEEvT1_.num_agpr, 0
	.set _ZN7rocprim17ROCPRIM_400000_NS6detail17trampoline_kernelINS0_14default_configENS1_27scan_by_key_config_selectorIiiEEZZNS1_16scan_by_key_implILNS1_25lookback_scan_determinismE0ELb1ES3_N6thrust23THRUST_200600_302600_NS6detail15normal_iteratorINS9_10device_ptrIiEEEENSB_INSC_IjEEEESE_iNS9_4plusIvEENS9_8equal_toIvEEiEE10hipError_tPvRmT2_T3_T4_T5_mT6_T7_P12ihipStream_tbENKUlT_T0_E_clISt17integral_constantIbLb1EES10_IbLb0EEEEDaSW_SX_EUlSW_E_NS1_11comp_targetILNS1_3genE10ELNS1_11target_archE1200ELNS1_3gpuE4ELNS1_3repE0EEENS1_30default_config_static_selectorELNS0_4arch9wavefront6targetE0EEEvT1_.numbered_sgpr, 0
	.set _ZN7rocprim17ROCPRIM_400000_NS6detail17trampoline_kernelINS0_14default_configENS1_27scan_by_key_config_selectorIiiEEZZNS1_16scan_by_key_implILNS1_25lookback_scan_determinismE0ELb1ES3_N6thrust23THRUST_200600_302600_NS6detail15normal_iteratorINS9_10device_ptrIiEEEENSB_INSC_IjEEEESE_iNS9_4plusIvEENS9_8equal_toIvEEiEE10hipError_tPvRmT2_T3_T4_T5_mT6_T7_P12ihipStream_tbENKUlT_T0_E_clISt17integral_constantIbLb1EES10_IbLb0EEEEDaSW_SX_EUlSW_E_NS1_11comp_targetILNS1_3genE10ELNS1_11target_archE1200ELNS1_3gpuE4ELNS1_3repE0EEENS1_30default_config_static_selectorELNS0_4arch9wavefront6targetE0EEEvT1_.num_named_barrier, 0
	.set _ZN7rocprim17ROCPRIM_400000_NS6detail17trampoline_kernelINS0_14default_configENS1_27scan_by_key_config_selectorIiiEEZZNS1_16scan_by_key_implILNS1_25lookback_scan_determinismE0ELb1ES3_N6thrust23THRUST_200600_302600_NS6detail15normal_iteratorINS9_10device_ptrIiEEEENSB_INSC_IjEEEESE_iNS9_4plusIvEENS9_8equal_toIvEEiEE10hipError_tPvRmT2_T3_T4_T5_mT6_T7_P12ihipStream_tbENKUlT_T0_E_clISt17integral_constantIbLb1EES10_IbLb0EEEEDaSW_SX_EUlSW_E_NS1_11comp_targetILNS1_3genE10ELNS1_11target_archE1200ELNS1_3gpuE4ELNS1_3repE0EEENS1_30default_config_static_selectorELNS0_4arch9wavefront6targetE0EEEvT1_.private_seg_size, 0
	.set _ZN7rocprim17ROCPRIM_400000_NS6detail17trampoline_kernelINS0_14default_configENS1_27scan_by_key_config_selectorIiiEEZZNS1_16scan_by_key_implILNS1_25lookback_scan_determinismE0ELb1ES3_N6thrust23THRUST_200600_302600_NS6detail15normal_iteratorINS9_10device_ptrIiEEEENSB_INSC_IjEEEESE_iNS9_4plusIvEENS9_8equal_toIvEEiEE10hipError_tPvRmT2_T3_T4_T5_mT6_T7_P12ihipStream_tbENKUlT_T0_E_clISt17integral_constantIbLb1EES10_IbLb0EEEEDaSW_SX_EUlSW_E_NS1_11comp_targetILNS1_3genE10ELNS1_11target_archE1200ELNS1_3gpuE4ELNS1_3repE0EEENS1_30default_config_static_selectorELNS0_4arch9wavefront6targetE0EEEvT1_.uses_vcc, 0
	.set _ZN7rocprim17ROCPRIM_400000_NS6detail17trampoline_kernelINS0_14default_configENS1_27scan_by_key_config_selectorIiiEEZZNS1_16scan_by_key_implILNS1_25lookback_scan_determinismE0ELb1ES3_N6thrust23THRUST_200600_302600_NS6detail15normal_iteratorINS9_10device_ptrIiEEEENSB_INSC_IjEEEESE_iNS9_4plusIvEENS9_8equal_toIvEEiEE10hipError_tPvRmT2_T3_T4_T5_mT6_T7_P12ihipStream_tbENKUlT_T0_E_clISt17integral_constantIbLb1EES10_IbLb0EEEEDaSW_SX_EUlSW_E_NS1_11comp_targetILNS1_3genE10ELNS1_11target_archE1200ELNS1_3gpuE4ELNS1_3repE0EEENS1_30default_config_static_selectorELNS0_4arch9wavefront6targetE0EEEvT1_.uses_flat_scratch, 0
	.set _ZN7rocprim17ROCPRIM_400000_NS6detail17trampoline_kernelINS0_14default_configENS1_27scan_by_key_config_selectorIiiEEZZNS1_16scan_by_key_implILNS1_25lookback_scan_determinismE0ELb1ES3_N6thrust23THRUST_200600_302600_NS6detail15normal_iteratorINS9_10device_ptrIiEEEENSB_INSC_IjEEEESE_iNS9_4plusIvEENS9_8equal_toIvEEiEE10hipError_tPvRmT2_T3_T4_T5_mT6_T7_P12ihipStream_tbENKUlT_T0_E_clISt17integral_constantIbLb1EES10_IbLb0EEEEDaSW_SX_EUlSW_E_NS1_11comp_targetILNS1_3genE10ELNS1_11target_archE1200ELNS1_3gpuE4ELNS1_3repE0EEENS1_30default_config_static_selectorELNS0_4arch9wavefront6targetE0EEEvT1_.has_dyn_sized_stack, 0
	.set _ZN7rocprim17ROCPRIM_400000_NS6detail17trampoline_kernelINS0_14default_configENS1_27scan_by_key_config_selectorIiiEEZZNS1_16scan_by_key_implILNS1_25lookback_scan_determinismE0ELb1ES3_N6thrust23THRUST_200600_302600_NS6detail15normal_iteratorINS9_10device_ptrIiEEEENSB_INSC_IjEEEESE_iNS9_4plusIvEENS9_8equal_toIvEEiEE10hipError_tPvRmT2_T3_T4_T5_mT6_T7_P12ihipStream_tbENKUlT_T0_E_clISt17integral_constantIbLb1EES10_IbLb0EEEEDaSW_SX_EUlSW_E_NS1_11comp_targetILNS1_3genE10ELNS1_11target_archE1200ELNS1_3gpuE4ELNS1_3repE0EEENS1_30default_config_static_selectorELNS0_4arch9wavefront6targetE0EEEvT1_.has_recursion, 0
	.set _ZN7rocprim17ROCPRIM_400000_NS6detail17trampoline_kernelINS0_14default_configENS1_27scan_by_key_config_selectorIiiEEZZNS1_16scan_by_key_implILNS1_25lookback_scan_determinismE0ELb1ES3_N6thrust23THRUST_200600_302600_NS6detail15normal_iteratorINS9_10device_ptrIiEEEENSB_INSC_IjEEEESE_iNS9_4plusIvEENS9_8equal_toIvEEiEE10hipError_tPvRmT2_T3_T4_T5_mT6_T7_P12ihipStream_tbENKUlT_T0_E_clISt17integral_constantIbLb1EES10_IbLb0EEEEDaSW_SX_EUlSW_E_NS1_11comp_targetILNS1_3genE10ELNS1_11target_archE1200ELNS1_3gpuE4ELNS1_3repE0EEENS1_30default_config_static_selectorELNS0_4arch9wavefront6targetE0EEEvT1_.has_indirect_call, 0
	.section	.AMDGPU.csdata,"",@progbits
; Kernel info:
; codeLenInByte = 0
; TotalNumSgprs: 0
; NumVgprs: 0
; ScratchSize: 0
; MemoryBound: 0
; FloatMode: 240
; IeeeMode: 1
; LDSByteSize: 0 bytes/workgroup (compile time only)
; SGPRBlocks: 0
; VGPRBlocks: 0
; NumSGPRsForWavesPerEU: 1
; NumVGPRsForWavesPerEU: 1
; Occupancy: 16
; WaveLimiterHint : 0
; COMPUTE_PGM_RSRC2:SCRATCH_EN: 0
; COMPUTE_PGM_RSRC2:USER_SGPR: 6
; COMPUTE_PGM_RSRC2:TRAP_HANDLER: 0
; COMPUTE_PGM_RSRC2:TGID_X_EN: 1
; COMPUTE_PGM_RSRC2:TGID_Y_EN: 0
; COMPUTE_PGM_RSRC2:TGID_Z_EN: 0
; COMPUTE_PGM_RSRC2:TIDIG_COMP_CNT: 0
	.section	.text._ZN7rocprim17ROCPRIM_400000_NS6detail17trampoline_kernelINS0_14default_configENS1_27scan_by_key_config_selectorIiiEEZZNS1_16scan_by_key_implILNS1_25lookback_scan_determinismE0ELb1ES3_N6thrust23THRUST_200600_302600_NS6detail15normal_iteratorINS9_10device_ptrIiEEEENSB_INSC_IjEEEESE_iNS9_4plusIvEENS9_8equal_toIvEEiEE10hipError_tPvRmT2_T3_T4_T5_mT6_T7_P12ihipStream_tbENKUlT_T0_E_clISt17integral_constantIbLb1EES10_IbLb0EEEEDaSW_SX_EUlSW_E_NS1_11comp_targetILNS1_3genE9ELNS1_11target_archE1100ELNS1_3gpuE3ELNS1_3repE0EEENS1_30default_config_static_selectorELNS0_4arch9wavefront6targetE0EEEvT1_,"axG",@progbits,_ZN7rocprim17ROCPRIM_400000_NS6detail17trampoline_kernelINS0_14default_configENS1_27scan_by_key_config_selectorIiiEEZZNS1_16scan_by_key_implILNS1_25lookback_scan_determinismE0ELb1ES3_N6thrust23THRUST_200600_302600_NS6detail15normal_iteratorINS9_10device_ptrIiEEEENSB_INSC_IjEEEESE_iNS9_4plusIvEENS9_8equal_toIvEEiEE10hipError_tPvRmT2_T3_T4_T5_mT6_T7_P12ihipStream_tbENKUlT_T0_E_clISt17integral_constantIbLb1EES10_IbLb0EEEEDaSW_SX_EUlSW_E_NS1_11comp_targetILNS1_3genE9ELNS1_11target_archE1100ELNS1_3gpuE3ELNS1_3repE0EEENS1_30default_config_static_selectorELNS0_4arch9wavefront6targetE0EEEvT1_,comdat
	.protected	_ZN7rocprim17ROCPRIM_400000_NS6detail17trampoline_kernelINS0_14default_configENS1_27scan_by_key_config_selectorIiiEEZZNS1_16scan_by_key_implILNS1_25lookback_scan_determinismE0ELb1ES3_N6thrust23THRUST_200600_302600_NS6detail15normal_iteratorINS9_10device_ptrIiEEEENSB_INSC_IjEEEESE_iNS9_4plusIvEENS9_8equal_toIvEEiEE10hipError_tPvRmT2_T3_T4_T5_mT6_T7_P12ihipStream_tbENKUlT_T0_E_clISt17integral_constantIbLb1EES10_IbLb0EEEEDaSW_SX_EUlSW_E_NS1_11comp_targetILNS1_3genE9ELNS1_11target_archE1100ELNS1_3gpuE3ELNS1_3repE0EEENS1_30default_config_static_selectorELNS0_4arch9wavefront6targetE0EEEvT1_ ; -- Begin function _ZN7rocprim17ROCPRIM_400000_NS6detail17trampoline_kernelINS0_14default_configENS1_27scan_by_key_config_selectorIiiEEZZNS1_16scan_by_key_implILNS1_25lookback_scan_determinismE0ELb1ES3_N6thrust23THRUST_200600_302600_NS6detail15normal_iteratorINS9_10device_ptrIiEEEENSB_INSC_IjEEEESE_iNS9_4plusIvEENS9_8equal_toIvEEiEE10hipError_tPvRmT2_T3_T4_T5_mT6_T7_P12ihipStream_tbENKUlT_T0_E_clISt17integral_constantIbLb1EES10_IbLb0EEEEDaSW_SX_EUlSW_E_NS1_11comp_targetILNS1_3genE9ELNS1_11target_archE1100ELNS1_3gpuE3ELNS1_3repE0EEENS1_30default_config_static_selectorELNS0_4arch9wavefront6targetE0EEEvT1_
	.globl	_ZN7rocprim17ROCPRIM_400000_NS6detail17trampoline_kernelINS0_14default_configENS1_27scan_by_key_config_selectorIiiEEZZNS1_16scan_by_key_implILNS1_25lookback_scan_determinismE0ELb1ES3_N6thrust23THRUST_200600_302600_NS6detail15normal_iteratorINS9_10device_ptrIiEEEENSB_INSC_IjEEEESE_iNS9_4plusIvEENS9_8equal_toIvEEiEE10hipError_tPvRmT2_T3_T4_T5_mT6_T7_P12ihipStream_tbENKUlT_T0_E_clISt17integral_constantIbLb1EES10_IbLb0EEEEDaSW_SX_EUlSW_E_NS1_11comp_targetILNS1_3genE9ELNS1_11target_archE1100ELNS1_3gpuE3ELNS1_3repE0EEENS1_30default_config_static_selectorELNS0_4arch9wavefront6targetE0EEEvT1_
	.p2align	8
	.type	_ZN7rocprim17ROCPRIM_400000_NS6detail17trampoline_kernelINS0_14default_configENS1_27scan_by_key_config_selectorIiiEEZZNS1_16scan_by_key_implILNS1_25lookback_scan_determinismE0ELb1ES3_N6thrust23THRUST_200600_302600_NS6detail15normal_iteratorINS9_10device_ptrIiEEEENSB_INSC_IjEEEESE_iNS9_4plusIvEENS9_8equal_toIvEEiEE10hipError_tPvRmT2_T3_T4_T5_mT6_T7_P12ihipStream_tbENKUlT_T0_E_clISt17integral_constantIbLb1EES10_IbLb0EEEEDaSW_SX_EUlSW_E_NS1_11comp_targetILNS1_3genE9ELNS1_11target_archE1100ELNS1_3gpuE3ELNS1_3repE0EEENS1_30default_config_static_selectorELNS0_4arch9wavefront6targetE0EEEvT1_,@function
_ZN7rocprim17ROCPRIM_400000_NS6detail17trampoline_kernelINS0_14default_configENS1_27scan_by_key_config_selectorIiiEEZZNS1_16scan_by_key_implILNS1_25lookback_scan_determinismE0ELb1ES3_N6thrust23THRUST_200600_302600_NS6detail15normal_iteratorINS9_10device_ptrIiEEEENSB_INSC_IjEEEESE_iNS9_4plusIvEENS9_8equal_toIvEEiEE10hipError_tPvRmT2_T3_T4_T5_mT6_T7_P12ihipStream_tbENKUlT_T0_E_clISt17integral_constantIbLb1EES10_IbLb0EEEEDaSW_SX_EUlSW_E_NS1_11comp_targetILNS1_3genE9ELNS1_11target_archE1100ELNS1_3gpuE3ELNS1_3repE0EEENS1_30default_config_static_selectorELNS0_4arch9wavefront6targetE0EEEvT1_: ; @_ZN7rocprim17ROCPRIM_400000_NS6detail17trampoline_kernelINS0_14default_configENS1_27scan_by_key_config_selectorIiiEEZZNS1_16scan_by_key_implILNS1_25lookback_scan_determinismE0ELb1ES3_N6thrust23THRUST_200600_302600_NS6detail15normal_iteratorINS9_10device_ptrIiEEEENSB_INSC_IjEEEESE_iNS9_4plusIvEENS9_8equal_toIvEEiEE10hipError_tPvRmT2_T3_T4_T5_mT6_T7_P12ihipStream_tbENKUlT_T0_E_clISt17integral_constantIbLb1EES10_IbLb0EEEEDaSW_SX_EUlSW_E_NS1_11comp_targetILNS1_3genE9ELNS1_11target_archE1100ELNS1_3gpuE3ELNS1_3repE0EEENS1_30default_config_static_selectorELNS0_4arch9wavefront6targetE0EEEvT1_
; %bb.0:
	.section	.rodata,"a",@progbits
	.p2align	6, 0x0
	.amdhsa_kernel _ZN7rocprim17ROCPRIM_400000_NS6detail17trampoline_kernelINS0_14default_configENS1_27scan_by_key_config_selectorIiiEEZZNS1_16scan_by_key_implILNS1_25lookback_scan_determinismE0ELb1ES3_N6thrust23THRUST_200600_302600_NS6detail15normal_iteratorINS9_10device_ptrIiEEEENSB_INSC_IjEEEESE_iNS9_4plusIvEENS9_8equal_toIvEEiEE10hipError_tPvRmT2_T3_T4_T5_mT6_T7_P12ihipStream_tbENKUlT_T0_E_clISt17integral_constantIbLb1EES10_IbLb0EEEEDaSW_SX_EUlSW_E_NS1_11comp_targetILNS1_3genE9ELNS1_11target_archE1100ELNS1_3gpuE3ELNS1_3repE0EEENS1_30default_config_static_selectorELNS0_4arch9wavefront6targetE0EEEvT1_
		.amdhsa_group_segment_fixed_size 0
		.amdhsa_private_segment_fixed_size 0
		.amdhsa_kernarg_size 112
		.amdhsa_user_sgpr_count 6
		.amdhsa_user_sgpr_private_segment_buffer 1
		.amdhsa_user_sgpr_dispatch_ptr 0
		.amdhsa_user_sgpr_queue_ptr 0
		.amdhsa_user_sgpr_kernarg_segment_ptr 1
		.amdhsa_user_sgpr_dispatch_id 0
		.amdhsa_user_sgpr_flat_scratch_init 0
		.amdhsa_user_sgpr_private_segment_size 0
		.amdhsa_wavefront_size32 1
		.amdhsa_uses_dynamic_stack 0
		.amdhsa_system_sgpr_private_segment_wavefront_offset 0
		.amdhsa_system_sgpr_workgroup_id_x 1
		.amdhsa_system_sgpr_workgroup_id_y 0
		.amdhsa_system_sgpr_workgroup_id_z 0
		.amdhsa_system_sgpr_workgroup_info 0
		.amdhsa_system_vgpr_workitem_id 0
		.amdhsa_next_free_vgpr 1
		.amdhsa_next_free_sgpr 1
		.amdhsa_reserve_vcc 0
		.amdhsa_reserve_flat_scratch 0
		.amdhsa_float_round_mode_32 0
		.amdhsa_float_round_mode_16_64 0
		.amdhsa_float_denorm_mode_32 3
		.amdhsa_float_denorm_mode_16_64 3
		.amdhsa_dx10_clamp 1
		.amdhsa_ieee_mode 1
		.amdhsa_fp16_overflow 0
		.amdhsa_workgroup_processor_mode 1
		.amdhsa_memory_ordered 1
		.amdhsa_forward_progress 1
		.amdhsa_shared_vgpr_count 0
		.amdhsa_exception_fp_ieee_invalid_op 0
		.amdhsa_exception_fp_denorm_src 0
		.amdhsa_exception_fp_ieee_div_zero 0
		.amdhsa_exception_fp_ieee_overflow 0
		.amdhsa_exception_fp_ieee_underflow 0
		.amdhsa_exception_fp_ieee_inexact 0
		.amdhsa_exception_int_div_zero 0
	.end_amdhsa_kernel
	.section	.text._ZN7rocprim17ROCPRIM_400000_NS6detail17trampoline_kernelINS0_14default_configENS1_27scan_by_key_config_selectorIiiEEZZNS1_16scan_by_key_implILNS1_25lookback_scan_determinismE0ELb1ES3_N6thrust23THRUST_200600_302600_NS6detail15normal_iteratorINS9_10device_ptrIiEEEENSB_INSC_IjEEEESE_iNS9_4plusIvEENS9_8equal_toIvEEiEE10hipError_tPvRmT2_T3_T4_T5_mT6_T7_P12ihipStream_tbENKUlT_T0_E_clISt17integral_constantIbLb1EES10_IbLb0EEEEDaSW_SX_EUlSW_E_NS1_11comp_targetILNS1_3genE9ELNS1_11target_archE1100ELNS1_3gpuE3ELNS1_3repE0EEENS1_30default_config_static_selectorELNS0_4arch9wavefront6targetE0EEEvT1_,"axG",@progbits,_ZN7rocprim17ROCPRIM_400000_NS6detail17trampoline_kernelINS0_14default_configENS1_27scan_by_key_config_selectorIiiEEZZNS1_16scan_by_key_implILNS1_25lookback_scan_determinismE0ELb1ES3_N6thrust23THRUST_200600_302600_NS6detail15normal_iteratorINS9_10device_ptrIiEEEENSB_INSC_IjEEEESE_iNS9_4plusIvEENS9_8equal_toIvEEiEE10hipError_tPvRmT2_T3_T4_T5_mT6_T7_P12ihipStream_tbENKUlT_T0_E_clISt17integral_constantIbLb1EES10_IbLb0EEEEDaSW_SX_EUlSW_E_NS1_11comp_targetILNS1_3genE9ELNS1_11target_archE1100ELNS1_3gpuE3ELNS1_3repE0EEENS1_30default_config_static_selectorELNS0_4arch9wavefront6targetE0EEEvT1_,comdat
.Lfunc_end1777:
	.size	_ZN7rocprim17ROCPRIM_400000_NS6detail17trampoline_kernelINS0_14default_configENS1_27scan_by_key_config_selectorIiiEEZZNS1_16scan_by_key_implILNS1_25lookback_scan_determinismE0ELb1ES3_N6thrust23THRUST_200600_302600_NS6detail15normal_iteratorINS9_10device_ptrIiEEEENSB_INSC_IjEEEESE_iNS9_4plusIvEENS9_8equal_toIvEEiEE10hipError_tPvRmT2_T3_T4_T5_mT6_T7_P12ihipStream_tbENKUlT_T0_E_clISt17integral_constantIbLb1EES10_IbLb0EEEEDaSW_SX_EUlSW_E_NS1_11comp_targetILNS1_3genE9ELNS1_11target_archE1100ELNS1_3gpuE3ELNS1_3repE0EEENS1_30default_config_static_selectorELNS0_4arch9wavefront6targetE0EEEvT1_, .Lfunc_end1777-_ZN7rocprim17ROCPRIM_400000_NS6detail17trampoline_kernelINS0_14default_configENS1_27scan_by_key_config_selectorIiiEEZZNS1_16scan_by_key_implILNS1_25lookback_scan_determinismE0ELb1ES3_N6thrust23THRUST_200600_302600_NS6detail15normal_iteratorINS9_10device_ptrIiEEEENSB_INSC_IjEEEESE_iNS9_4plusIvEENS9_8equal_toIvEEiEE10hipError_tPvRmT2_T3_T4_T5_mT6_T7_P12ihipStream_tbENKUlT_T0_E_clISt17integral_constantIbLb1EES10_IbLb0EEEEDaSW_SX_EUlSW_E_NS1_11comp_targetILNS1_3genE9ELNS1_11target_archE1100ELNS1_3gpuE3ELNS1_3repE0EEENS1_30default_config_static_selectorELNS0_4arch9wavefront6targetE0EEEvT1_
                                        ; -- End function
	.set _ZN7rocprim17ROCPRIM_400000_NS6detail17trampoline_kernelINS0_14default_configENS1_27scan_by_key_config_selectorIiiEEZZNS1_16scan_by_key_implILNS1_25lookback_scan_determinismE0ELb1ES3_N6thrust23THRUST_200600_302600_NS6detail15normal_iteratorINS9_10device_ptrIiEEEENSB_INSC_IjEEEESE_iNS9_4plusIvEENS9_8equal_toIvEEiEE10hipError_tPvRmT2_T3_T4_T5_mT6_T7_P12ihipStream_tbENKUlT_T0_E_clISt17integral_constantIbLb1EES10_IbLb0EEEEDaSW_SX_EUlSW_E_NS1_11comp_targetILNS1_3genE9ELNS1_11target_archE1100ELNS1_3gpuE3ELNS1_3repE0EEENS1_30default_config_static_selectorELNS0_4arch9wavefront6targetE0EEEvT1_.num_vgpr, 0
	.set _ZN7rocprim17ROCPRIM_400000_NS6detail17trampoline_kernelINS0_14default_configENS1_27scan_by_key_config_selectorIiiEEZZNS1_16scan_by_key_implILNS1_25lookback_scan_determinismE0ELb1ES3_N6thrust23THRUST_200600_302600_NS6detail15normal_iteratorINS9_10device_ptrIiEEEENSB_INSC_IjEEEESE_iNS9_4plusIvEENS9_8equal_toIvEEiEE10hipError_tPvRmT2_T3_T4_T5_mT6_T7_P12ihipStream_tbENKUlT_T0_E_clISt17integral_constantIbLb1EES10_IbLb0EEEEDaSW_SX_EUlSW_E_NS1_11comp_targetILNS1_3genE9ELNS1_11target_archE1100ELNS1_3gpuE3ELNS1_3repE0EEENS1_30default_config_static_selectorELNS0_4arch9wavefront6targetE0EEEvT1_.num_agpr, 0
	.set _ZN7rocprim17ROCPRIM_400000_NS6detail17trampoline_kernelINS0_14default_configENS1_27scan_by_key_config_selectorIiiEEZZNS1_16scan_by_key_implILNS1_25lookback_scan_determinismE0ELb1ES3_N6thrust23THRUST_200600_302600_NS6detail15normal_iteratorINS9_10device_ptrIiEEEENSB_INSC_IjEEEESE_iNS9_4plusIvEENS9_8equal_toIvEEiEE10hipError_tPvRmT2_T3_T4_T5_mT6_T7_P12ihipStream_tbENKUlT_T0_E_clISt17integral_constantIbLb1EES10_IbLb0EEEEDaSW_SX_EUlSW_E_NS1_11comp_targetILNS1_3genE9ELNS1_11target_archE1100ELNS1_3gpuE3ELNS1_3repE0EEENS1_30default_config_static_selectorELNS0_4arch9wavefront6targetE0EEEvT1_.numbered_sgpr, 0
	.set _ZN7rocprim17ROCPRIM_400000_NS6detail17trampoline_kernelINS0_14default_configENS1_27scan_by_key_config_selectorIiiEEZZNS1_16scan_by_key_implILNS1_25lookback_scan_determinismE0ELb1ES3_N6thrust23THRUST_200600_302600_NS6detail15normal_iteratorINS9_10device_ptrIiEEEENSB_INSC_IjEEEESE_iNS9_4plusIvEENS9_8equal_toIvEEiEE10hipError_tPvRmT2_T3_T4_T5_mT6_T7_P12ihipStream_tbENKUlT_T0_E_clISt17integral_constantIbLb1EES10_IbLb0EEEEDaSW_SX_EUlSW_E_NS1_11comp_targetILNS1_3genE9ELNS1_11target_archE1100ELNS1_3gpuE3ELNS1_3repE0EEENS1_30default_config_static_selectorELNS0_4arch9wavefront6targetE0EEEvT1_.num_named_barrier, 0
	.set _ZN7rocprim17ROCPRIM_400000_NS6detail17trampoline_kernelINS0_14default_configENS1_27scan_by_key_config_selectorIiiEEZZNS1_16scan_by_key_implILNS1_25lookback_scan_determinismE0ELb1ES3_N6thrust23THRUST_200600_302600_NS6detail15normal_iteratorINS9_10device_ptrIiEEEENSB_INSC_IjEEEESE_iNS9_4plusIvEENS9_8equal_toIvEEiEE10hipError_tPvRmT2_T3_T4_T5_mT6_T7_P12ihipStream_tbENKUlT_T0_E_clISt17integral_constantIbLb1EES10_IbLb0EEEEDaSW_SX_EUlSW_E_NS1_11comp_targetILNS1_3genE9ELNS1_11target_archE1100ELNS1_3gpuE3ELNS1_3repE0EEENS1_30default_config_static_selectorELNS0_4arch9wavefront6targetE0EEEvT1_.private_seg_size, 0
	.set _ZN7rocprim17ROCPRIM_400000_NS6detail17trampoline_kernelINS0_14default_configENS1_27scan_by_key_config_selectorIiiEEZZNS1_16scan_by_key_implILNS1_25lookback_scan_determinismE0ELb1ES3_N6thrust23THRUST_200600_302600_NS6detail15normal_iteratorINS9_10device_ptrIiEEEENSB_INSC_IjEEEESE_iNS9_4plusIvEENS9_8equal_toIvEEiEE10hipError_tPvRmT2_T3_T4_T5_mT6_T7_P12ihipStream_tbENKUlT_T0_E_clISt17integral_constantIbLb1EES10_IbLb0EEEEDaSW_SX_EUlSW_E_NS1_11comp_targetILNS1_3genE9ELNS1_11target_archE1100ELNS1_3gpuE3ELNS1_3repE0EEENS1_30default_config_static_selectorELNS0_4arch9wavefront6targetE0EEEvT1_.uses_vcc, 0
	.set _ZN7rocprim17ROCPRIM_400000_NS6detail17trampoline_kernelINS0_14default_configENS1_27scan_by_key_config_selectorIiiEEZZNS1_16scan_by_key_implILNS1_25lookback_scan_determinismE0ELb1ES3_N6thrust23THRUST_200600_302600_NS6detail15normal_iteratorINS9_10device_ptrIiEEEENSB_INSC_IjEEEESE_iNS9_4plusIvEENS9_8equal_toIvEEiEE10hipError_tPvRmT2_T3_T4_T5_mT6_T7_P12ihipStream_tbENKUlT_T0_E_clISt17integral_constantIbLb1EES10_IbLb0EEEEDaSW_SX_EUlSW_E_NS1_11comp_targetILNS1_3genE9ELNS1_11target_archE1100ELNS1_3gpuE3ELNS1_3repE0EEENS1_30default_config_static_selectorELNS0_4arch9wavefront6targetE0EEEvT1_.uses_flat_scratch, 0
	.set _ZN7rocprim17ROCPRIM_400000_NS6detail17trampoline_kernelINS0_14default_configENS1_27scan_by_key_config_selectorIiiEEZZNS1_16scan_by_key_implILNS1_25lookback_scan_determinismE0ELb1ES3_N6thrust23THRUST_200600_302600_NS6detail15normal_iteratorINS9_10device_ptrIiEEEENSB_INSC_IjEEEESE_iNS9_4plusIvEENS9_8equal_toIvEEiEE10hipError_tPvRmT2_T3_T4_T5_mT6_T7_P12ihipStream_tbENKUlT_T0_E_clISt17integral_constantIbLb1EES10_IbLb0EEEEDaSW_SX_EUlSW_E_NS1_11comp_targetILNS1_3genE9ELNS1_11target_archE1100ELNS1_3gpuE3ELNS1_3repE0EEENS1_30default_config_static_selectorELNS0_4arch9wavefront6targetE0EEEvT1_.has_dyn_sized_stack, 0
	.set _ZN7rocprim17ROCPRIM_400000_NS6detail17trampoline_kernelINS0_14default_configENS1_27scan_by_key_config_selectorIiiEEZZNS1_16scan_by_key_implILNS1_25lookback_scan_determinismE0ELb1ES3_N6thrust23THRUST_200600_302600_NS6detail15normal_iteratorINS9_10device_ptrIiEEEENSB_INSC_IjEEEESE_iNS9_4plusIvEENS9_8equal_toIvEEiEE10hipError_tPvRmT2_T3_T4_T5_mT6_T7_P12ihipStream_tbENKUlT_T0_E_clISt17integral_constantIbLb1EES10_IbLb0EEEEDaSW_SX_EUlSW_E_NS1_11comp_targetILNS1_3genE9ELNS1_11target_archE1100ELNS1_3gpuE3ELNS1_3repE0EEENS1_30default_config_static_selectorELNS0_4arch9wavefront6targetE0EEEvT1_.has_recursion, 0
	.set _ZN7rocprim17ROCPRIM_400000_NS6detail17trampoline_kernelINS0_14default_configENS1_27scan_by_key_config_selectorIiiEEZZNS1_16scan_by_key_implILNS1_25lookback_scan_determinismE0ELb1ES3_N6thrust23THRUST_200600_302600_NS6detail15normal_iteratorINS9_10device_ptrIiEEEENSB_INSC_IjEEEESE_iNS9_4plusIvEENS9_8equal_toIvEEiEE10hipError_tPvRmT2_T3_T4_T5_mT6_T7_P12ihipStream_tbENKUlT_T0_E_clISt17integral_constantIbLb1EES10_IbLb0EEEEDaSW_SX_EUlSW_E_NS1_11comp_targetILNS1_3genE9ELNS1_11target_archE1100ELNS1_3gpuE3ELNS1_3repE0EEENS1_30default_config_static_selectorELNS0_4arch9wavefront6targetE0EEEvT1_.has_indirect_call, 0
	.section	.AMDGPU.csdata,"",@progbits
; Kernel info:
; codeLenInByte = 0
; TotalNumSgprs: 0
; NumVgprs: 0
; ScratchSize: 0
; MemoryBound: 0
; FloatMode: 240
; IeeeMode: 1
; LDSByteSize: 0 bytes/workgroup (compile time only)
; SGPRBlocks: 0
; VGPRBlocks: 0
; NumSGPRsForWavesPerEU: 1
; NumVGPRsForWavesPerEU: 1
; Occupancy: 16
; WaveLimiterHint : 0
; COMPUTE_PGM_RSRC2:SCRATCH_EN: 0
; COMPUTE_PGM_RSRC2:USER_SGPR: 6
; COMPUTE_PGM_RSRC2:TRAP_HANDLER: 0
; COMPUTE_PGM_RSRC2:TGID_X_EN: 1
; COMPUTE_PGM_RSRC2:TGID_Y_EN: 0
; COMPUTE_PGM_RSRC2:TGID_Z_EN: 0
; COMPUTE_PGM_RSRC2:TIDIG_COMP_CNT: 0
	.section	.text._ZN7rocprim17ROCPRIM_400000_NS6detail17trampoline_kernelINS0_14default_configENS1_27scan_by_key_config_selectorIiiEEZZNS1_16scan_by_key_implILNS1_25lookback_scan_determinismE0ELb1ES3_N6thrust23THRUST_200600_302600_NS6detail15normal_iteratorINS9_10device_ptrIiEEEENSB_INSC_IjEEEESE_iNS9_4plusIvEENS9_8equal_toIvEEiEE10hipError_tPvRmT2_T3_T4_T5_mT6_T7_P12ihipStream_tbENKUlT_T0_E_clISt17integral_constantIbLb1EES10_IbLb0EEEEDaSW_SX_EUlSW_E_NS1_11comp_targetILNS1_3genE8ELNS1_11target_archE1030ELNS1_3gpuE2ELNS1_3repE0EEENS1_30default_config_static_selectorELNS0_4arch9wavefront6targetE0EEEvT1_,"axG",@progbits,_ZN7rocprim17ROCPRIM_400000_NS6detail17trampoline_kernelINS0_14default_configENS1_27scan_by_key_config_selectorIiiEEZZNS1_16scan_by_key_implILNS1_25lookback_scan_determinismE0ELb1ES3_N6thrust23THRUST_200600_302600_NS6detail15normal_iteratorINS9_10device_ptrIiEEEENSB_INSC_IjEEEESE_iNS9_4plusIvEENS9_8equal_toIvEEiEE10hipError_tPvRmT2_T3_T4_T5_mT6_T7_P12ihipStream_tbENKUlT_T0_E_clISt17integral_constantIbLb1EES10_IbLb0EEEEDaSW_SX_EUlSW_E_NS1_11comp_targetILNS1_3genE8ELNS1_11target_archE1030ELNS1_3gpuE2ELNS1_3repE0EEENS1_30default_config_static_selectorELNS0_4arch9wavefront6targetE0EEEvT1_,comdat
	.protected	_ZN7rocprim17ROCPRIM_400000_NS6detail17trampoline_kernelINS0_14default_configENS1_27scan_by_key_config_selectorIiiEEZZNS1_16scan_by_key_implILNS1_25lookback_scan_determinismE0ELb1ES3_N6thrust23THRUST_200600_302600_NS6detail15normal_iteratorINS9_10device_ptrIiEEEENSB_INSC_IjEEEESE_iNS9_4plusIvEENS9_8equal_toIvEEiEE10hipError_tPvRmT2_T3_T4_T5_mT6_T7_P12ihipStream_tbENKUlT_T0_E_clISt17integral_constantIbLb1EES10_IbLb0EEEEDaSW_SX_EUlSW_E_NS1_11comp_targetILNS1_3genE8ELNS1_11target_archE1030ELNS1_3gpuE2ELNS1_3repE0EEENS1_30default_config_static_selectorELNS0_4arch9wavefront6targetE0EEEvT1_ ; -- Begin function _ZN7rocprim17ROCPRIM_400000_NS6detail17trampoline_kernelINS0_14default_configENS1_27scan_by_key_config_selectorIiiEEZZNS1_16scan_by_key_implILNS1_25lookback_scan_determinismE0ELb1ES3_N6thrust23THRUST_200600_302600_NS6detail15normal_iteratorINS9_10device_ptrIiEEEENSB_INSC_IjEEEESE_iNS9_4plusIvEENS9_8equal_toIvEEiEE10hipError_tPvRmT2_T3_T4_T5_mT6_T7_P12ihipStream_tbENKUlT_T0_E_clISt17integral_constantIbLb1EES10_IbLb0EEEEDaSW_SX_EUlSW_E_NS1_11comp_targetILNS1_3genE8ELNS1_11target_archE1030ELNS1_3gpuE2ELNS1_3repE0EEENS1_30default_config_static_selectorELNS0_4arch9wavefront6targetE0EEEvT1_
	.globl	_ZN7rocprim17ROCPRIM_400000_NS6detail17trampoline_kernelINS0_14default_configENS1_27scan_by_key_config_selectorIiiEEZZNS1_16scan_by_key_implILNS1_25lookback_scan_determinismE0ELb1ES3_N6thrust23THRUST_200600_302600_NS6detail15normal_iteratorINS9_10device_ptrIiEEEENSB_INSC_IjEEEESE_iNS9_4plusIvEENS9_8equal_toIvEEiEE10hipError_tPvRmT2_T3_T4_T5_mT6_T7_P12ihipStream_tbENKUlT_T0_E_clISt17integral_constantIbLb1EES10_IbLb0EEEEDaSW_SX_EUlSW_E_NS1_11comp_targetILNS1_3genE8ELNS1_11target_archE1030ELNS1_3gpuE2ELNS1_3repE0EEENS1_30default_config_static_selectorELNS0_4arch9wavefront6targetE0EEEvT1_
	.p2align	8
	.type	_ZN7rocprim17ROCPRIM_400000_NS6detail17trampoline_kernelINS0_14default_configENS1_27scan_by_key_config_selectorIiiEEZZNS1_16scan_by_key_implILNS1_25lookback_scan_determinismE0ELb1ES3_N6thrust23THRUST_200600_302600_NS6detail15normal_iteratorINS9_10device_ptrIiEEEENSB_INSC_IjEEEESE_iNS9_4plusIvEENS9_8equal_toIvEEiEE10hipError_tPvRmT2_T3_T4_T5_mT6_T7_P12ihipStream_tbENKUlT_T0_E_clISt17integral_constantIbLb1EES10_IbLb0EEEEDaSW_SX_EUlSW_E_NS1_11comp_targetILNS1_3genE8ELNS1_11target_archE1030ELNS1_3gpuE2ELNS1_3repE0EEENS1_30default_config_static_selectorELNS0_4arch9wavefront6targetE0EEEvT1_,@function
_ZN7rocprim17ROCPRIM_400000_NS6detail17trampoline_kernelINS0_14default_configENS1_27scan_by_key_config_selectorIiiEEZZNS1_16scan_by_key_implILNS1_25lookback_scan_determinismE0ELb1ES3_N6thrust23THRUST_200600_302600_NS6detail15normal_iteratorINS9_10device_ptrIiEEEENSB_INSC_IjEEEESE_iNS9_4plusIvEENS9_8equal_toIvEEiEE10hipError_tPvRmT2_T3_T4_T5_mT6_T7_P12ihipStream_tbENKUlT_T0_E_clISt17integral_constantIbLb1EES10_IbLb0EEEEDaSW_SX_EUlSW_E_NS1_11comp_targetILNS1_3genE8ELNS1_11target_archE1030ELNS1_3gpuE2ELNS1_3repE0EEENS1_30default_config_static_selectorELNS0_4arch9wavefront6targetE0EEEvT1_: ; @_ZN7rocprim17ROCPRIM_400000_NS6detail17trampoline_kernelINS0_14default_configENS1_27scan_by_key_config_selectorIiiEEZZNS1_16scan_by_key_implILNS1_25lookback_scan_determinismE0ELb1ES3_N6thrust23THRUST_200600_302600_NS6detail15normal_iteratorINS9_10device_ptrIiEEEENSB_INSC_IjEEEESE_iNS9_4plusIvEENS9_8equal_toIvEEiEE10hipError_tPvRmT2_T3_T4_T5_mT6_T7_P12ihipStream_tbENKUlT_T0_E_clISt17integral_constantIbLb1EES10_IbLb0EEEEDaSW_SX_EUlSW_E_NS1_11comp_targetILNS1_3genE8ELNS1_11target_archE1030ELNS1_3gpuE2ELNS1_3repE0EEENS1_30default_config_static_selectorELNS0_4arch9wavefront6targetE0EEEvT1_
; %bb.0:
	s_endpgm
	.section	.rodata,"a",@progbits
	.p2align	6, 0x0
	.amdhsa_kernel _ZN7rocprim17ROCPRIM_400000_NS6detail17trampoline_kernelINS0_14default_configENS1_27scan_by_key_config_selectorIiiEEZZNS1_16scan_by_key_implILNS1_25lookback_scan_determinismE0ELb1ES3_N6thrust23THRUST_200600_302600_NS6detail15normal_iteratorINS9_10device_ptrIiEEEENSB_INSC_IjEEEESE_iNS9_4plusIvEENS9_8equal_toIvEEiEE10hipError_tPvRmT2_T3_T4_T5_mT6_T7_P12ihipStream_tbENKUlT_T0_E_clISt17integral_constantIbLb1EES10_IbLb0EEEEDaSW_SX_EUlSW_E_NS1_11comp_targetILNS1_3genE8ELNS1_11target_archE1030ELNS1_3gpuE2ELNS1_3repE0EEENS1_30default_config_static_selectorELNS0_4arch9wavefront6targetE0EEEvT1_
		.amdhsa_group_segment_fixed_size 0
		.amdhsa_private_segment_fixed_size 0
		.amdhsa_kernarg_size 112
		.amdhsa_user_sgpr_count 6
		.amdhsa_user_sgpr_private_segment_buffer 1
		.amdhsa_user_sgpr_dispatch_ptr 0
		.amdhsa_user_sgpr_queue_ptr 0
		.amdhsa_user_sgpr_kernarg_segment_ptr 1
		.amdhsa_user_sgpr_dispatch_id 0
		.amdhsa_user_sgpr_flat_scratch_init 0
		.amdhsa_user_sgpr_private_segment_size 0
		.amdhsa_wavefront_size32 1
		.amdhsa_uses_dynamic_stack 0
		.amdhsa_system_sgpr_private_segment_wavefront_offset 0
		.amdhsa_system_sgpr_workgroup_id_x 1
		.amdhsa_system_sgpr_workgroup_id_y 0
		.amdhsa_system_sgpr_workgroup_id_z 0
		.amdhsa_system_sgpr_workgroup_info 0
		.amdhsa_system_vgpr_workitem_id 0
		.amdhsa_next_free_vgpr 1
		.amdhsa_next_free_sgpr 1
		.amdhsa_reserve_vcc 0
		.amdhsa_reserve_flat_scratch 0
		.amdhsa_float_round_mode_32 0
		.amdhsa_float_round_mode_16_64 0
		.amdhsa_float_denorm_mode_32 3
		.amdhsa_float_denorm_mode_16_64 3
		.amdhsa_dx10_clamp 1
		.amdhsa_ieee_mode 1
		.amdhsa_fp16_overflow 0
		.amdhsa_workgroup_processor_mode 1
		.amdhsa_memory_ordered 1
		.amdhsa_forward_progress 1
		.amdhsa_shared_vgpr_count 0
		.amdhsa_exception_fp_ieee_invalid_op 0
		.amdhsa_exception_fp_denorm_src 0
		.amdhsa_exception_fp_ieee_div_zero 0
		.amdhsa_exception_fp_ieee_overflow 0
		.amdhsa_exception_fp_ieee_underflow 0
		.amdhsa_exception_fp_ieee_inexact 0
		.amdhsa_exception_int_div_zero 0
	.end_amdhsa_kernel
	.section	.text._ZN7rocprim17ROCPRIM_400000_NS6detail17trampoline_kernelINS0_14default_configENS1_27scan_by_key_config_selectorIiiEEZZNS1_16scan_by_key_implILNS1_25lookback_scan_determinismE0ELb1ES3_N6thrust23THRUST_200600_302600_NS6detail15normal_iteratorINS9_10device_ptrIiEEEENSB_INSC_IjEEEESE_iNS9_4plusIvEENS9_8equal_toIvEEiEE10hipError_tPvRmT2_T3_T4_T5_mT6_T7_P12ihipStream_tbENKUlT_T0_E_clISt17integral_constantIbLb1EES10_IbLb0EEEEDaSW_SX_EUlSW_E_NS1_11comp_targetILNS1_3genE8ELNS1_11target_archE1030ELNS1_3gpuE2ELNS1_3repE0EEENS1_30default_config_static_selectorELNS0_4arch9wavefront6targetE0EEEvT1_,"axG",@progbits,_ZN7rocprim17ROCPRIM_400000_NS6detail17trampoline_kernelINS0_14default_configENS1_27scan_by_key_config_selectorIiiEEZZNS1_16scan_by_key_implILNS1_25lookback_scan_determinismE0ELb1ES3_N6thrust23THRUST_200600_302600_NS6detail15normal_iteratorINS9_10device_ptrIiEEEENSB_INSC_IjEEEESE_iNS9_4plusIvEENS9_8equal_toIvEEiEE10hipError_tPvRmT2_T3_T4_T5_mT6_T7_P12ihipStream_tbENKUlT_T0_E_clISt17integral_constantIbLb1EES10_IbLb0EEEEDaSW_SX_EUlSW_E_NS1_11comp_targetILNS1_3genE8ELNS1_11target_archE1030ELNS1_3gpuE2ELNS1_3repE0EEENS1_30default_config_static_selectorELNS0_4arch9wavefront6targetE0EEEvT1_,comdat
.Lfunc_end1778:
	.size	_ZN7rocprim17ROCPRIM_400000_NS6detail17trampoline_kernelINS0_14default_configENS1_27scan_by_key_config_selectorIiiEEZZNS1_16scan_by_key_implILNS1_25lookback_scan_determinismE0ELb1ES3_N6thrust23THRUST_200600_302600_NS6detail15normal_iteratorINS9_10device_ptrIiEEEENSB_INSC_IjEEEESE_iNS9_4plusIvEENS9_8equal_toIvEEiEE10hipError_tPvRmT2_T3_T4_T5_mT6_T7_P12ihipStream_tbENKUlT_T0_E_clISt17integral_constantIbLb1EES10_IbLb0EEEEDaSW_SX_EUlSW_E_NS1_11comp_targetILNS1_3genE8ELNS1_11target_archE1030ELNS1_3gpuE2ELNS1_3repE0EEENS1_30default_config_static_selectorELNS0_4arch9wavefront6targetE0EEEvT1_, .Lfunc_end1778-_ZN7rocprim17ROCPRIM_400000_NS6detail17trampoline_kernelINS0_14default_configENS1_27scan_by_key_config_selectorIiiEEZZNS1_16scan_by_key_implILNS1_25lookback_scan_determinismE0ELb1ES3_N6thrust23THRUST_200600_302600_NS6detail15normal_iteratorINS9_10device_ptrIiEEEENSB_INSC_IjEEEESE_iNS9_4plusIvEENS9_8equal_toIvEEiEE10hipError_tPvRmT2_T3_T4_T5_mT6_T7_P12ihipStream_tbENKUlT_T0_E_clISt17integral_constantIbLb1EES10_IbLb0EEEEDaSW_SX_EUlSW_E_NS1_11comp_targetILNS1_3genE8ELNS1_11target_archE1030ELNS1_3gpuE2ELNS1_3repE0EEENS1_30default_config_static_selectorELNS0_4arch9wavefront6targetE0EEEvT1_
                                        ; -- End function
	.set _ZN7rocprim17ROCPRIM_400000_NS6detail17trampoline_kernelINS0_14default_configENS1_27scan_by_key_config_selectorIiiEEZZNS1_16scan_by_key_implILNS1_25lookback_scan_determinismE0ELb1ES3_N6thrust23THRUST_200600_302600_NS6detail15normal_iteratorINS9_10device_ptrIiEEEENSB_INSC_IjEEEESE_iNS9_4plusIvEENS9_8equal_toIvEEiEE10hipError_tPvRmT2_T3_T4_T5_mT6_T7_P12ihipStream_tbENKUlT_T0_E_clISt17integral_constantIbLb1EES10_IbLb0EEEEDaSW_SX_EUlSW_E_NS1_11comp_targetILNS1_3genE8ELNS1_11target_archE1030ELNS1_3gpuE2ELNS1_3repE0EEENS1_30default_config_static_selectorELNS0_4arch9wavefront6targetE0EEEvT1_.num_vgpr, 0
	.set _ZN7rocprim17ROCPRIM_400000_NS6detail17trampoline_kernelINS0_14default_configENS1_27scan_by_key_config_selectorIiiEEZZNS1_16scan_by_key_implILNS1_25lookback_scan_determinismE0ELb1ES3_N6thrust23THRUST_200600_302600_NS6detail15normal_iteratorINS9_10device_ptrIiEEEENSB_INSC_IjEEEESE_iNS9_4plusIvEENS9_8equal_toIvEEiEE10hipError_tPvRmT2_T3_T4_T5_mT6_T7_P12ihipStream_tbENKUlT_T0_E_clISt17integral_constantIbLb1EES10_IbLb0EEEEDaSW_SX_EUlSW_E_NS1_11comp_targetILNS1_3genE8ELNS1_11target_archE1030ELNS1_3gpuE2ELNS1_3repE0EEENS1_30default_config_static_selectorELNS0_4arch9wavefront6targetE0EEEvT1_.num_agpr, 0
	.set _ZN7rocprim17ROCPRIM_400000_NS6detail17trampoline_kernelINS0_14default_configENS1_27scan_by_key_config_selectorIiiEEZZNS1_16scan_by_key_implILNS1_25lookback_scan_determinismE0ELb1ES3_N6thrust23THRUST_200600_302600_NS6detail15normal_iteratorINS9_10device_ptrIiEEEENSB_INSC_IjEEEESE_iNS9_4plusIvEENS9_8equal_toIvEEiEE10hipError_tPvRmT2_T3_T4_T5_mT6_T7_P12ihipStream_tbENKUlT_T0_E_clISt17integral_constantIbLb1EES10_IbLb0EEEEDaSW_SX_EUlSW_E_NS1_11comp_targetILNS1_3genE8ELNS1_11target_archE1030ELNS1_3gpuE2ELNS1_3repE0EEENS1_30default_config_static_selectorELNS0_4arch9wavefront6targetE0EEEvT1_.numbered_sgpr, 0
	.set _ZN7rocprim17ROCPRIM_400000_NS6detail17trampoline_kernelINS0_14default_configENS1_27scan_by_key_config_selectorIiiEEZZNS1_16scan_by_key_implILNS1_25lookback_scan_determinismE0ELb1ES3_N6thrust23THRUST_200600_302600_NS6detail15normal_iteratorINS9_10device_ptrIiEEEENSB_INSC_IjEEEESE_iNS9_4plusIvEENS9_8equal_toIvEEiEE10hipError_tPvRmT2_T3_T4_T5_mT6_T7_P12ihipStream_tbENKUlT_T0_E_clISt17integral_constantIbLb1EES10_IbLb0EEEEDaSW_SX_EUlSW_E_NS1_11comp_targetILNS1_3genE8ELNS1_11target_archE1030ELNS1_3gpuE2ELNS1_3repE0EEENS1_30default_config_static_selectorELNS0_4arch9wavefront6targetE0EEEvT1_.num_named_barrier, 0
	.set _ZN7rocprim17ROCPRIM_400000_NS6detail17trampoline_kernelINS0_14default_configENS1_27scan_by_key_config_selectorIiiEEZZNS1_16scan_by_key_implILNS1_25lookback_scan_determinismE0ELb1ES3_N6thrust23THRUST_200600_302600_NS6detail15normal_iteratorINS9_10device_ptrIiEEEENSB_INSC_IjEEEESE_iNS9_4plusIvEENS9_8equal_toIvEEiEE10hipError_tPvRmT2_T3_T4_T5_mT6_T7_P12ihipStream_tbENKUlT_T0_E_clISt17integral_constantIbLb1EES10_IbLb0EEEEDaSW_SX_EUlSW_E_NS1_11comp_targetILNS1_3genE8ELNS1_11target_archE1030ELNS1_3gpuE2ELNS1_3repE0EEENS1_30default_config_static_selectorELNS0_4arch9wavefront6targetE0EEEvT1_.private_seg_size, 0
	.set _ZN7rocprim17ROCPRIM_400000_NS6detail17trampoline_kernelINS0_14default_configENS1_27scan_by_key_config_selectorIiiEEZZNS1_16scan_by_key_implILNS1_25lookback_scan_determinismE0ELb1ES3_N6thrust23THRUST_200600_302600_NS6detail15normal_iteratorINS9_10device_ptrIiEEEENSB_INSC_IjEEEESE_iNS9_4plusIvEENS9_8equal_toIvEEiEE10hipError_tPvRmT2_T3_T4_T5_mT6_T7_P12ihipStream_tbENKUlT_T0_E_clISt17integral_constantIbLb1EES10_IbLb0EEEEDaSW_SX_EUlSW_E_NS1_11comp_targetILNS1_3genE8ELNS1_11target_archE1030ELNS1_3gpuE2ELNS1_3repE0EEENS1_30default_config_static_selectorELNS0_4arch9wavefront6targetE0EEEvT1_.uses_vcc, 0
	.set _ZN7rocprim17ROCPRIM_400000_NS6detail17trampoline_kernelINS0_14default_configENS1_27scan_by_key_config_selectorIiiEEZZNS1_16scan_by_key_implILNS1_25lookback_scan_determinismE0ELb1ES3_N6thrust23THRUST_200600_302600_NS6detail15normal_iteratorINS9_10device_ptrIiEEEENSB_INSC_IjEEEESE_iNS9_4plusIvEENS9_8equal_toIvEEiEE10hipError_tPvRmT2_T3_T4_T5_mT6_T7_P12ihipStream_tbENKUlT_T0_E_clISt17integral_constantIbLb1EES10_IbLb0EEEEDaSW_SX_EUlSW_E_NS1_11comp_targetILNS1_3genE8ELNS1_11target_archE1030ELNS1_3gpuE2ELNS1_3repE0EEENS1_30default_config_static_selectorELNS0_4arch9wavefront6targetE0EEEvT1_.uses_flat_scratch, 0
	.set _ZN7rocprim17ROCPRIM_400000_NS6detail17trampoline_kernelINS0_14default_configENS1_27scan_by_key_config_selectorIiiEEZZNS1_16scan_by_key_implILNS1_25lookback_scan_determinismE0ELb1ES3_N6thrust23THRUST_200600_302600_NS6detail15normal_iteratorINS9_10device_ptrIiEEEENSB_INSC_IjEEEESE_iNS9_4plusIvEENS9_8equal_toIvEEiEE10hipError_tPvRmT2_T3_T4_T5_mT6_T7_P12ihipStream_tbENKUlT_T0_E_clISt17integral_constantIbLb1EES10_IbLb0EEEEDaSW_SX_EUlSW_E_NS1_11comp_targetILNS1_3genE8ELNS1_11target_archE1030ELNS1_3gpuE2ELNS1_3repE0EEENS1_30default_config_static_selectorELNS0_4arch9wavefront6targetE0EEEvT1_.has_dyn_sized_stack, 0
	.set _ZN7rocprim17ROCPRIM_400000_NS6detail17trampoline_kernelINS0_14default_configENS1_27scan_by_key_config_selectorIiiEEZZNS1_16scan_by_key_implILNS1_25lookback_scan_determinismE0ELb1ES3_N6thrust23THRUST_200600_302600_NS6detail15normal_iteratorINS9_10device_ptrIiEEEENSB_INSC_IjEEEESE_iNS9_4plusIvEENS9_8equal_toIvEEiEE10hipError_tPvRmT2_T3_T4_T5_mT6_T7_P12ihipStream_tbENKUlT_T0_E_clISt17integral_constantIbLb1EES10_IbLb0EEEEDaSW_SX_EUlSW_E_NS1_11comp_targetILNS1_3genE8ELNS1_11target_archE1030ELNS1_3gpuE2ELNS1_3repE0EEENS1_30default_config_static_selectorELNS0_4arch9wavefront6targetE0EEEvT1_.has_recursion, 0
	.set _ZN7rocprim17ROCPRIM_400000_NS6detail17trampoline_kernelINS0_14default_configENS1_27scan_by_key_config_selectorIiiEEZZNS1_16scan_by_key_implILNS1_25lookback_scan_determinismE0ELb1ES3_N6thrust23THRUST_200600_302600_NS6detail15normal_iteratorINS9_10device_ptrIiEEEENSB_INSC_IjEEEESE_iNS9_4plusIvEENS9_8equal_toIvEEiEE10hipError_tPvRmT2_T3_T4_T5_mT6_T7_P12ihipStream_tbENKUlT_T0_E_clISt17integral_constantIbLb1EES10_IbLb0EEEEDaSW_SX_EUlSW_E_NS1_11comp_targetILNS1_3genE8ELNS1_11target_archE1030ELNS1_3gpuE2ELNS1_3repE0EEENS1_30default_config_static_selectorELNS0_4arch9wavefront6targetE0EEEvT1_.has_indirect_call, 0
	.section	.AMDGPU.csdata,"",@progbits
; Kernel info:
; codeLenInByte = 4
; TotalNumSgprs: 0
; NumVgprs: 0
; ScratchSize: 0
; MemoryBound: 0
; FloatMode: 240
; IeeeMode: 1
; LDSByteSize: 0 bytes/workgroup (compile time only)
; SGPRBlocks: 0
; VGPRBlocks: 0
; NumSGPRsForWavesPerEU: 1
; NumVGPRsForWavesPerEU: 1
; Occupancy: 16
; WaveLimiterHint : 0
; COMPUTE_PGM_RSRC2:SCRATCH_EN: 0
; COMPUTE_PGM_RSRC2:USER_SGPR: 6
; COMPUTE_PGM_RSRC2:TRAP_HANDLER: 0
; COMPUTE_PGM_RSRC2:TGID_X_EN: 1
; COMPUTE_PGM_RSRC2:TGID_Y_EN: 0
; COMPUTE_PGM_RSRC2:TGID_Z_EN: 0
; COMPUTE_PGM_RSRC2:TIDIG_COMP_CNT: 0
	.section	.text._ZN7rocprim17ROCPRIM_400000_NS6detail17trampoline_kernelINS0_14default_configENS1_27scan_by_key_config_selectorIiiEEZZNS1_16scan_by_key_implILNS1_25lookback_scan_determinismE0ELb1ES3_N6thrust23THRUST_200600_302600_NS6detail15normal_iteratorINS9_10device_ptrIiEEEENSB_INSC_IjEEEESE_iNS9_4plusIvEENS9_8equal_toIvEEiEE10hipError_tPvRmT2_T3_T4_T5_mT6_T7_P12ihipStream_tbENKUlT_T0_E_clISt17integral_constantIbLb0EES10_IbLb1EEEEDaSW_SX_EUlSW_E_NS1_11comp_targetILNS1_3genE0ELNS1_11target_archE4294967295ELNS1_3gpuE0ELNS1_3repE0EEENS1_30default_config_static_selectorELNS0_4arch9wavefront6targetE0EEEvT1_,"axG",@progbits,_ZN7rocprim17ROCPRIM_400000_NS6detail17trampoline_kernelINS0_14default_configENS1_27scan_by_key_config_selectorIiiEEZZNS1_16scan_by_key_implILNS1_25lookback_scan_determinismE0ELb1ES3_N6thrust23THRUST_200600_302600_NS6detail15normal_iteratorINS9_10device_ptrIiEEEENSB_INSC_IjEEEESE_iNS9_4plusIvEENS9_8equal_toIvEEiEE10hipError_tPvRmT2_T3_T4_T5_mT6_T7_P12ihipStream_tbENKUlT_T0_E_clISt17integral_constantIbLb0EES10_IbLb1EEEEDaSW_SX_EUlSW_E_NS1_11comp_targetILNS1_3genE0ELNS1_11target_archE4294967295ELNS1_3gpuE0ELNS1_3repE0EEENS1_30default_config_static_selectorELNS0_4arch9wavefront6targetE0EEEvT1_,comdat
	.protected	_ZN7rocprim17ROCPRIM_400000_NS6detail17trampoline_kernelINS0_14default_configENS1_27scan_by_key_config_selectorIiiEEZZNS1_16scan_by_key_implILNS1_25lookback_scan_determinismE0ELb1ES3_N6thrust23THRUST_200600_302600_NS6detail15normal_iteratorINS9_10device_ptrIiEEEENSB_INSC_IjEEEESE_iNS9_4plusIvEENS9_8equal_toIvEEiEE10hipError_tPvRmT2_T3_T4_T5_mT6_T7_P12ihipStream_tbENKUlT_T0_E_clISt17integral_constantIbLb0EES10_IbLb1EEEEDaSW_SX_EUlSW_E_NS1_11comp_targetILNS1_3genE0ELNS1_11target_archE4294967295ELNS1_3gpuE0ELNS1_3repE0EEENS1_30default_config_static_selectorELNS0_4arch9wavefront6targetE0EEEvT1_ ; -- Begin function _ZN7rocprim17ROCPRIM_400000_NS6detail17trampoline_kernelINS0_14default_configENS1_27scan_by_key_config_selectorIiiEEZZNS1_16scan_by_key_implILNS1_25lookback_scan_determinismE0ELb1ES3_N6thrust23THRUST_200600_302600_NS6detail15normal_iteratorINS9_10device_ptrIiEEEENSB_INSC_IjEEEESE_iNS9_4plusIvEENS9_8equal_toIvEEiEE10hipError_tPvRmT2_T3_T4_T5_mT6_T7_P12ihipStream_tbENKUlT_T0_E_clISt17integral_constantIbLb0EES10_IbLb1EEEEDaSW_SX_EUlSW_E_NS1_11comp_targetILNS1_3genE0ELNS1_11target_archE4294967295ELNS1_3gpuE0ELNS1_3repE0EEENS1_30default_config_static_selectorELNS0_4arch9wavefront6targetE0EEEvT1_
	.globl	_ZN7rocprim17ROCPRIM_400000_NS6detail17trampoline_kernelINS0_14default_configENS1_27scan_by_key_config_selectorIiiEEZZNS1_16scan_by_key_implILNS1_25lookback_scan_determinismE0ELb1ES3_N6thrust23THRUST_200600_302600_NS6detail15normal_iteratorINS9_10device_ptrIiEEEENSB_INSC_IjEEEESE_iNS9_4plusIvEENS9_8equal_toIvEEiEE10hipError_tPvRmT2_T3_T4_T5_mT6_T7_P12ihipStream_tbENKUlT_T0_E_clISt17integral_constantIbLb0EES10_IbLb1EEEEDaSW_SX_EUlSW_E_NS1_11comp_targetILNS1_3genE0ELNS1_11target_archE4294967295ELNS1_3gpuE0ELNS1_3repE0EEENS1_30default_config_static_selectorELNS0_4arch9wavefront6targetE0EEEvT1_
	.p2align	8
	.type	_ZN7rocprim17ROCPRIM_400000_NS6detail17trampoline_kernelINS0_14default_configENS1_27scan_by_key_config_selectorIiiEEZZNS1_16scan_by_key_implILNS1_25lookback_scan_determinismE0ELb1ES3_N6thrust23THRUST_200600_302600_NS6detail15normal_iteratorINS9_10device_ptrIiEEEENSB_INSC_IjEEEESE_iNS9_4plusIvEENS9_8equal_toIvEEiEE10hipError_tPvRmT2_T3_T4_T5_mT6_T7_P12ihipStream_tbENKUlT_T0_E_clISt17integral_constantIbLb0EES10_IbLb1EEEEDaSW_SX_EUlSW_E_NS1_11comp_targetILNS1_3genE0ELNS1_11target_archE4294967295ELNS1_3gpuE0ELNS1_3repE0EEENS1_30default_config_static_selectorELNS0_4arch9wavefront6targetE0EEEvT1_,@function
_ZN7rocprim17ROCPRIM_400000_NS6detail17trampoline_kernelINS0_14default_configENS1_27scan_by_key_config_selectorIiiEEZZNS1_16scan_by_key_implILNS1_25lookback_scan_determinismE0ELb1ES3_N6thrust23THRUST_200600_302600_NS6detail15normal_iteratorINS9_10device_ptrIiEEEENSB_INSC_IjEEEESE_iNS9_4plusIvEENS9_8equal_toIvEEiEE10hipError_tPvRmT2_T3_T4_T5_mT6_T7_P12ihipStream_tbENKUlT_T0_E_clISt17integral_constantIbLb0EES10_IbLb1EEEEDaSW_SX_EUlSW_E_NS1_11comp_targetILNS1_3genE0ELNS1_11target_archE4294967295ELNS1_3gpuE0ELNS1_3repE0EEENS1_30default_config_static_selectorELNS0_4arch9wavefront6targetE0EEEvT1_: ; @_ZN7rocprim17ROCPRIM_400000_NS6detail17trampoline_kernelINS0_14default_configENS1_27scan_by_key_config_selectorIiiEEZZNS1_16scan_by_key_implILNS1_25lookback_scan_determinismE0ELb1ES3_N6thrust23THRUST_200600_302600_NS6detail15normal_iteratorINS9_10device_ptrIiEEEENSB_INSC_IjEEEESE_iNS9_4plusIvEENS9_8equal_toIvEEiEE10hipError_tPvRmT2_T3_T4_T5_mT6_T7_P12ihipStream_tbENKUlT_T0_E_clISt17integral_constantIbLb0EES10_IbLb1EEEEDaSW_SX_EUlSW_E_NS1_11comp_targetILNS1_3genE0ELNS1_11target_archE4294967295ELNS1_3gpuE0ELNS1_3repE0EEENS1_30default_config_static_selectorELNS0_4arch9wavefront6targetE0EEEvT1_
; %bb.0:
	.section	.rodata,"a",@progbits
	.p2align	6, 0x0
	.amdhsa_kernel _ZN7rocprim17ROCPRIM_400000_NS6detail17trampoline_kernelINS0_14default_configENS1_27scan_by_key_config_selectorIiiEEZZNS1_16scan_by_key_implILNS1_25lookback_scan_determinismE0ELb1ES3_N6thrust23THRUST_200600_302600_NS6detail15normal_iteratorINS9_10device_ptrIiEEEENSB_INSC_IjEEEESE_iNS9_4plusIvEENS9_8equal_toIvEEiEE10hipError_tPvRmT2_T3_T4_T5_mT6_T7_P12ihipStream_tbENKUlT_T0_E_clISt17integral_constantIbLb0EES10_IbLb1EEEEDaSW_SX_EUlSW_E_NS1_11comp_targetILNS1_3genE0ELNS1_11target_archE4294967295ELNS1_3gpuE0ELNS1_3repE0EEENS1_30default_config_static_selectorELNS0_4arch9wavefront6targetE0EEEvT1_
		.amdhsa_group_segment_fixed_size 0
		.amdhsa_private_segment_fixed_size 0
		.amdhsa_kernarg_size 112
		.amdhsa_user_sgpr_count 6
		.amdhsa_user_sgpr_private_segment_buffer 1
		.amdhsa_user_sgpr_dispatch_ptr 0
		.amdhsa_user_sgpr_queue_ptr 0
		.amdhsa_user_sgpr_kernarg_segment_ptr 1
		.amdhsa_user_sgpr_dispatch_id 0
		.amdhsa_user_sgpr_flat_scratch_init 0
		.amdhsa_user_sgpr_private_segment_size 0
		.amdhsa_wavefront_size32 1
		.amdhsa_uses_dynamic_stack 0
		.amdhsa_system_sgpr_private_segment_wavefront_offset 0
		.amdhsa_system_sgpr_workgroup_id_x 1
		.amdhsa_system_sgpr_workgroup_id_y 0
		.amdhsa_system_sgpr_workgroup_id_z 0
		.amdhsa_system_sgpr_workgroup_info 0
		.amdhsa_system_vgpr_workitem_id 0
		.amdhsa_next_free_vgpr 1
		.amdhsa_next_free_sgpr 1
		.amdhsa_reserve_vcc 0
		.amdhsa_reserve_flat_scratch 0
		.amdhsa_float_round_mode_32 0
		.amdhsa_float_round_mode_16_64 0
		.amdhsa_float_denorm_mode_32 3
		.amdhsa_float_denorm_mode_16_64 3
		.amdhsa_dx10_clamp 1
		.amdhsa_ieee_mode 1
		.amdhsa_fp16_overflow 0
		.amdhsa_workgroup_processor_mode 1
		.amdhsa_memory_ordered 1
		.amdhsa_forward_progress 1
		.amdhsa_shared_vgpr_count 0
		.amdhsa_exception_fp_ieee_invalid_op 0
		.amdhsa_exception_fp_denorm_src 0
		.amdhsa_exception_fp_ieee_div_zero 0
		.amdhsa_exception_fp_ieee_overflow 0
		.amdhsa_exception_fp_ieee_underflow 0
		.amdhsa_exception_fp_ieee_inexact 0
		.amdhsa_exception_int_div_zero 0
	.end_amdhsa_kernel
	.section	.text._ZN7rocprim17ROCPRIM_400000_NS6detail17trampoline_kernelINS0_14default_configENS1_27scan_by_key_config_selectorIiiEEZZNS1_16scan_by_key_implILNS1_25lookback_scan_determinismE0ELb1ES3_N6thrust23THRUST_200600_302600_NS6detail15normal_iteratorINS9_10device_ptrIiEEEENSB_INSC_IjEEEESE_iNS9_4plusIvEENS9_8equal_toIvEEiEE10hipError_tPvRmT2_T3_T4_T5_mT6_T7_P12ihipStream_tbENKUlT_T0_E_clISt17integral_constantIbLb0EES10_IbLb1EEEEDaSW_SX_EUlSW_E_NS1_11comp_targetILNS1_3genE0ELNS1_11target_archE4294967295ELNS1_3gpuE0ELNS1_3repE0EEENS1_30default_config_static_selectorELNS0_4arch9wavefront6targetE0EEEvT1_,"axG",@progbits,_ZN7rocprim17ROCPRIM_400000_NS6detail17trampoline_kernelINS0_14default_configENS1_27scan_by_key_config_selectorIiiEEZZNS1_16scan_by_key_implILNS1_25lookback_scan_determinismE0ELb1ES3_N6thrust23THRUST_200600_302600_NS6detail15normal_iteratorINS9_10device_ptrIiEEEENSB_INSC_IjEEEESE_iNS9_4plusIvEENS9_8equal_toIvEEiEE10hipError_tPvRmT2_T3_T4_T5_mT6_T7_P12ihipStream_tbENKUlT_T0_E_clISt17integral_constantIbLb0EES10_IbLb1EEEEDaSW_SX_EUlSW_E_NS1_11comp_targetILNS1_3genE0ELNS1_11target_archE4294967295ELNS1_3gpuE0ELNS1_3repE0EEENS1_30default_config_static_selectorELNS0_4arch9wavefront6targetE0EEEvT1_,comdat
.Lfunc_end1779:
	.size	_ZN7rocprim17ROCPRIM_400000_NS6detail17trampoline_kernelINS0_14default_configENS1_27scan_by_key_config_selectorIiiEEZZNS1_16scan_by_key_implILNS1_25lookback_scan_determinismE0ELb1ES3_N6thrust23THRUST_200600_302600_NS6detail15normal_iteratorINS9_10device_ptrIiEEEENSB_INSC_IjEEEESE_iNS9_4plusIvEENS9_8equal_toIvEEiEE10hipError_tPvRmT2_T3_T4_T5_mT6_T7_P12ihipStream_tbENKUlT_T0_E_clISt17integral_constantIbLb0EES10_IbLb1EEEEDaSW_SX_EUlSW_E_NS1_11comp_targetILNS1_3genE0ELNS1_11target_archE4294967295ELNS1_3gpuE0ELNS1_3repE0EEENS1_30default_config_static_selectorELNS0_4arch9wavefront6targetE0EEEvT1_, .Lfunc_end1779-_ZN7rocprim17ROCPRIM_400000_NS6detail17trampoline_kernelINS0_14default_configENS1_27scan_by_key_config_selectorIiiEEZZNS1_16scan_by_key_implILNS1_25lookback_scan_determinismE0ELb1ES3_N6thrust23THRUST_200600_302600_NS6detail15normal_iteratorINS9_10device_ptrIiEEEENSB_INSC_IjEEEESE_iNS9_4plusIvEENS9_8equal_toIvEEiEE10hipError_tPvRmT2_T3_T4_T5_mT6_T7_P12ihipStream_tbENKUlT_T0_E_clISt17integral_constantIbLb0EES10_IbLb1EEEEDaSW_SX_EUlSW_E_NS1_11comp_targetILNS1_3genE0ELNS1_11target_archE4294967295ELNS1_3gpuE0ELNS1_3repE0EEENS1_30default_config_static_selectorELNS0_4arch9wavefront6targetE0EEEvT1_
                                        ; -- End function
	.set _ZN7rocprim17ROCPRIM_400000_NS6detail17trampoline_kernelINS0_14default_configENS1_27scan_by_key_config_selectorIiiEEZZNS1_16scan_by_key_implILNS1_25lookback_scan_determinismE0ELb1ES3_N6thrust23THRUST_200600_302600_NS6detail15normal_iteratorINS9_10device_ptrIiEEEENSB_INSC_IjEEEESE_iNS9_4plusIvEENS9_8equal_toIvEEiEE10hipError_tPvRmT2_T3_T4_T5_mT6_T7_P12ihipStream_tbENKUlT_T0_E_clISt17integral_constantIbLb0EES10_IbLb1EEEEDaSW_SX_EUlSW_E_NS1_11comp_targetILNS1_3genE0ELNS1_11target_archE4294967295ELNS1_3gpuE0ELNS1_3repE0EEENS1_30default_config_static_selectorELNS0_4arch9wavefront6targetE0EEEvT1_.num_vgpr, 0
	.set _ZN7rocprim17ROCPRIM_400000_NS6detail17trampoline_kernelINS0_14default_configENS1_27scan_by_key_config_selectorIiiEEZZNS1_16scan_by_key_implILNS1_25lookback_scan_determinismE0ELb1ES3_N6thrust23THRUST_200600_302600_NS6detail15normal_iteratorINS9_10device_ptrIiEEEENSB_INSC_IjEEEESE_iNS9_4plusIvEENS9_8equal_toIvEEiEE10hipError_tPvRmT2_T3_T4_T5_mT6_T7_P12ihipStream_tbENKUlT_T0_E_clISt17integral_constantIbLb0EES10_IbLb1EEEEDaSW_SX_EUlSW_E_NS1_11comp_targetILNS1_3genE0ELNS1_11target_archE4294967295ELNS1_3gpuE0ELNS1_3repE0EEENS1_30default_config_static_selectorELNS0_4arch9wavefront6targetE0EEEvT1_.num_agpr, 0
	.set _ZN7rocprim17ROCPRIM_400000_NS6detail17trampoline_kernelINS0_14default_configENS1_27scan_by_key_config_selectorIiiEEZZNS1_16scan_by_key_implILNS1_25lookback_scan_determinismE0ELb1ES3_N6thrust23THRUST_200600_302600_NS6detail15normal_iteratorINS9_10device_ptrIiEEEENSB_INSC_IjEEEESE_iNS9_4plusIvEENS9_8equal_toIvEEiEE10hipError_tPvRmT2_T3_T4_T5_mT6_T7_P12ihipStream_tbENKUlT_T0_E_clISt17integral_constantIbLb0EES10_IbLb1EEEEDaSW_SX_EUlSW_E_NS1_11comp_targetILNS1_3genE0ELNS1_11target_archE4294967295ELNS1_3gpuE0ELNS1_3repE0EEENS1_30default_config_static_selectorELNS0_4arch9wavefront6targetE0EEEvT1_.numbered_sgpr, 0
	.set _ZN7rocprim17ROCPRIM_400000_NS6detail17trampoline_kernelINS0_14default_configENS1_27scan_by_key_config_selectorIiiEEZZNS1_16scan_by_key_implILNS1_25lookback_scan_determinismE0ELb1ES3_N6thrust23THRUST_200600_302600_NS6detail15normal_iteratorINS9_10device_ptrIiEEEENSB_INSC_IjEEEESE_iNS9_4plusIvEENS9_8equal_toIvEEiEE10hipError_tPvRmT2_T3_T4_T5_mT6_T7_P12ihipStream_tbENKUlT_T0_E_clISt17integral_constantIbLb0EES10_IbLb1EEEEDaSW_SX_EUlSW_E_NS1_11comp_targetILNS1_3genE0ELNS1_11target_archE4294967295ELNS1_3gpuE0ELNS1_3repE0EEENS1_30default_config_static_selectorELNS0_4arch9wavefront6targetE0EEEvT1_.num_named_barrier, 0
	.set _ZN7rocprim17ROCPRIM_400000_NS6detail17trampoline_kernelINS0_14default_configENS1_27scan_by_key_config_selectorIiiEEZZNS1_16scan_by_key_implILNS1_25lookback_scan_determinismE0ELb1ES3_N6thrust23THRUST_200600_302600_NS6detail15normal_iteratorINS9_10device_ptrIiEEEENSB_INSC_IjEEEESE_iNS9_4plusIvEENS9_8equal_toIvEEiEE10hipError_tPvRmT2_T3_T4_T5_mT6_T7_P12ihipStream_tbENKUlT_T0_E_clISt17integral_constantIbLb0EES10_IbLb1EEEEDaSW_SX_EUlSW_E_NS1_11comp_targetILNS1_3genE0ELNS1_11target_archE4294967295ELNS1_3gpuE0ELNS1_3repE0EEENS1_30default_config_static_selectorELNS0_4arch9wavefront6targetE0EEEvT1_.private_seg_size, 0
	.set _ZN7rocprim17ROCPRIM_400000_NS6detail17trampoline_kernelINS0_14default_configENS1_27scan_by_key_config_selectorIiiEEZZNS1_16scan_by_key_implILNS1_25lookback_scan_determinismE0ELb1ES3_N6thrust23THRUST_200600_302600_NS6detail15normal_iteratorINS9_10device_ptrIiEEEENSB_INSC_IjEEEESE_iNS9_4plusIvEENS9_8equal_toIvEEiEE10hipError_tPvRmT2_T3_T4_T5_mT6_T7_P12ihipStream_tbENKUlT_T0_E_clISt17integral_constantIbLb0EES10_IbLb1EEEEDaSW_SX_EUlSW_E_NS1_11comp_targetILNS1_3genE0ELNS1_11target_archE4294967295ELNS1_3gpuE0ELNS1_3repE0EEENS1_30default_config_static_selectorELNS0_4arch9wavefront6targetE0EEEvT1_.uses_vcc, 0
	.set _ZN7rocprim17ROCPRIM_400000_NS6detail17trampoline_kernelINS0_14default_configENS1_27scan_by_key_config_selectorIiiEEZZNS1_16scan_by_key_implILNS1_25lookback_scan_determinismE0ELb1ES3_N6thrust23THRUST_200600_302600_NS6detail15normal_iteratorINS9_10device_ptrIiEEEENSB_INSC_IjEEEESE_iNS9_4plusIvEENS9_8equal_toIvEEiEE10hipError_tPvRmT2_T3_T4_T5_mT6_T7_P12ihipStream_tbENKUlT_T0_E_clISt17integral_constantIbLb0EES10_IbLb1EEEEDaSW_SX_EUlSW_E_NS1_11comp_targetILNS1_3genE0ELNS1_11target_archE4294967295ELNS1_3gpuE0ELNS1_3repE0EEENS1_30default_config_static_selectorELNS0_4arch9wavefront6targetE0EEEvT1_.uses_flat_scratch, 0
	.set _ZN7rocprim17ROCPRIM_400000_NS6detail17trampoline_kernelINS0_14default_configENS1_27scan_by_key_config_selectorIiiEEZZNS1_16scan_by_key_implILNS1_25lookback_scan_determinismE0ELb1ES3_N6thrust23THRUST_200600_302600_NS6detail15normal_iteratorINS9_10device_ptrIiEEEENSB_INSC_IjEEEESE_iNS9_4plusIvEENS9_8equal_toIvEEiEE10hipError_tPvRmT2_T3_T4_T5_mT6_T7_P12ihipStream_tbENKUlT_T0_E_clISt17integral_constantIbLb0EES10_IbLb1EEEEDaSW_SX_EUlSW_E_NS1_11comp_targetILNS1_3genE0ELNS1_11target_archE4294967295ELNS1_3gpuE0ELNS1_3repE0EEENS1_30default_config_static_selectorELNS0_4arch9wavefront6targetE0EEEvT1_.has_dyn_sized_stack, 0
	.set _ZN7rocprim17ROCPRIM_400000_NS6detail17trampoline_kernelINS0_14default_configENS1_27scan_by_key_config_selectorIiiEEZZNS1_16scan_by_key_implILNS1_25lookback_scan_determinismE0ELb1ES3_N6thrust23THRUST_200600_302600_NS6detail15normal_iteratorINS9_10device_ptrIiEEEENSB_INSC_IjEEEESE_iNS9_4plusIvEENS9_8equal_toIvEEiEE10hipError_tPvRmT2_T3_T4_T5_mT6_T7_P12ihipStream_tbENKUlT_T0_E_clISt17integral_constantIbLb0EES10_IbLb1EEEEDaSW_SX_EUlSW_E_NS1_11comp_targetILNS1_3genE0ELNS1_11target_archE4294967295ELNS1_3gpuE0ELNS1_3repE0EEENS1_30default_config_static_selectorELNS0_4arch9wavefront6targetE0EEEvT1_.has_recursion, 0
	.set _ZN7rocprim17ROCPRIM_400000_NS6detail17trampoline_kernelINS0_14default_configENS1_27scan_by_key_config_selectorIiiEEZZNS1_16scan_by_key_implILNS1_25lookback_scan_determinismE0ELb1ES3_N6thrust23THRUST_200600_302600_NS6detail15normal_iteratorINS9_10device_ptrIiEEEENSB_INSC_IjEEEESE_iNS9_4plusIvEENS9_8equal_toIvEEiEE10hipError_tPvRmT2_T3_T4_T5_mT6_T7_P12ihipStream_tbENKUlT_T0_E_clISt17integral_constantIbLb0EES10_IbLb1EEEEDaSW_SX_EUlSW_E_NS1_11comp_targetILNS1_3genE0ELNS1_11target_archE4294967295ELNS1_3gpuE0ELNS1_3repE0EEENS1_30default_config_static_selectorELNS0_4arch9wavefront6targetE0EEEvT1_.has_indirect_call, 0
	.section	.AMDGPU.csdata,"",@progbits
; Kernel info:
; codeLenInByte = 0
; TotalNumSgprs: 0
; NumVgprs: 0
; ScratchSize: 0
; MemoryBound: 0
; FloatMode: 240
; IeeeMode: 1
; LDSByteSize: 0 bytes/workgroup (compile time only)
; SGPRBlocks: 0
; VGPRBlocks: 0
; NumSGPRsForWavesPerEU: 1
; NumVGPRsForWavesPerEU: 1
; Occupancy: 16
; WaveLimiterHint : 0
; COMPUTE_PGM_RSRC2:SCRATCH_EN: 0
; COMPUTE_PGM_RSRC2:USER_SGPR: 6
; COMPUTE_PGM_RSRC2:TRAP_HANDLER: 0
; COMPUTE_PGM_RSRC2:TGID_X_EN: 1
; COMPUTE_PGM_RSRC2:TGID_Y_EN: 0
; COMPUTE_PGM_RSRC2:TGID_Z_EN: 0
; COMPUTE_PGM_RSRC2:TIDIG_COMP_CNT: 0
	.section	.text._ZN7rocprim17ROCPRIM_400000_NS6detail17trampoline_kernelINS0_14default_configENS1_27scan_by_key_config_selectorIiiEEZZNS1_16scan_by_key_implILNS1_25lookback_scan_determinismE0ELb1ES3_N6thrust23THRUST_200600_302600_NS6detail15normal_iteratorINS9_10device_ptrIiEEEENSB_INSC_IjEEEESE_iNS9_4plusIvEENS9_8equal_toIvEEiEE10hipError_tPvRmT2_T3_T4_T5_mT6_T7_P12ihipStream_tbENKUlT_T0_E_clISt17integral_constantIbLb0EES10_IbLb1EEEEDaSW_SX_EUlSW_E_NS1_11comp_targetILNS1_3genE10ELNS1_11target_archE1201ELNS1_3gpuE5ELNS1_3repE0EEENS1_30default_config_static_selectorELNS0_4arch9wavefront6targetE0EEEvT1_,"axG",@progbits,_ZN7rocprim17ROCPRIM_400000_NS6detail17trampoline_kernelINS0_14default_configENS1_27scan_by_key_config_selectorIiiEEZZNS1_16scan_by_key_implILNS1_25lookback_scan_determinismE0ELb1ES3_N6thrust23THRUST_200600_302600_NS6detail15normal_iteratorINS9_10device_ptrIiEEEENSB_INSC_IjEEEESE_iNS9_4plusIvEENS9_8equal_toIvEEiEE10hipError_tPvRmT2_T3_T4_T5_mT6_T7_P12ihipStream_tbENKUlT_T0_E_clISt17integral_constantIbLb0EES10_IbLb1EEEEDaSW_SX_EUlSW_E_NS1_11comp_targetILNS1_3genE10ELNS1_11target_archE1201ELNS1_3gpuE5ELNS1_3repE0EEENS1_30default_config_static_selectorELNS0_4arch9wavefront6targetE0EEEvT1_,comdat
	.protected	_ZN7rocprim17ROCPRIM_400000_NS6detail17trampoline_kernelINS0_14default_configENS1_27scan_by_key_config_selectorIiiEEZZNS1_16scan_by_key_implILNS1_25lookback_scan_determinismE0ELb1ES3_N6thrust23THRUST_200600_302600_NS6detail15normal_iteratorINS9_10device_ptrIiEEEENSB_INSC_IjEEEESE_iNS9_4plusIvEENS9_8equal_toIvEEiEE10hipError_tPvRmT2_T3_T4_T5_mT6_T7_P12ihipStream_tbENKUlT_T0_E_clISt17integral_constantIbLb0EES10_IbLb1EEEEDaSW_SX_EUlSW_E_NS1_11comp_targetILNS1_3genE10ELNS1_11target_archE1201ELNS1_3gpuE5ELNS1_3repE0EEENS1_30default_config_static_selectorELNS0_4arch9wavefront6targetE0EEEvT1_ ; -- Begin function _ZN7rocprim17ROCPRIM_400000_NS6detail17trampoline_kernelINS0_14default_configENS1_27scan_by_key_config_selectorIiiEEZZNS1_16scan_by_key_implILNS1_25lookback_scan_determinismE0ELb1ES3_N6thrust23THRUST_200600_302600_NS6detail15normal_iteratorINS9_10device_ptrIiEEEENSB_INSC_IjEEEESE_iNS9_4plusIvEENS9_8equal_toIvEEiEE10hipError_tPvRmT2_T3_T4_T5_mT6_T7_P12ihipStream_tbENKUlT_T0_E_clISt17integral_constantIbLb0EES10_IbLb1EEEEDaSW_SX_EUlSW_E_NS1_11comp_targetILNS1_3genE10ELNS1_11target_archE1201ELNS1_3gpuE5ELNS1_3repE0EEENS1_30default_config_static_selectorELNS0_4arch9wavefront6targetE0EEEvT1_
	.globl	_ZN7rocprim17ROCPRIM_400000_NS6detail17trampoline_kernelINS0_14default_configENS1_27scan_by_key_config_selectorIiiEEZZNS1_16scan_by_key_implILNS1_25lookback_scan_determinismE0ELb1ES3_N6thrust23THRUST_200600_302600_NS6detail15normal_iteratorINS9_10device_ptrIiEEEENSB_INSC_IjEEEESE_iNS9_4plusIvEENS9_8equal_toIvEEiEE10hipError_tPvRmT2_T3_T4_T5_mT6_T7_P12ihipStream_tbENKUlT_T0_E_clISt17integral_constantIbLb0EES10_IbLb1EEEEDaSW_SX_EUlSW_E_NS1_11comp_targetILNS1_3genE10ELNS1_11target_archE1201ELNS1_3gpuE5ELNS1_3repE0EEENS1_30default_config_static_selectorELNS0_4arch9wavefront6targetE0EEEvT1_
	.p2align	8
	.type	_ZN7rocprim17ROCPRIM_400000_NS6detail17trampoline_kernelINS0_14default_configENS1_27scan_by_key_config_selectorIiiEEZZNS1_16scan_by_key_implILNS1_25lookback_scan_determinismE0ELb1ES3_N6thrust23THRUST_200600_302600_NS6detail15normal_iteratorINS9_10device_ptrIiEEEENSB_INSC_IjEEEESE_iNS9_4plusIvEENS9_8equal_toIvEEiEE10hipError_tPvRmT2_T3_T4_T5_mT6_T7_P12ihipStream_tbENKUlT_T0_E_clISt17integral_constantIbLb0EES10_IbLb1EEEEDaSW_SX_EUlSW_E_NS1_11comp_targetILNS1_3genE10ELNS1_11target_archE1201ELNS1_3gpuE5ELNS1_3repE0EEENS1_30default_config_static_selectorELNS0_4arch9wavefront6targetE0EEEvT1_,@function
_ZN7rocprim17ROCPRIM_400000_NS6detail17trampoline_kernelINS0_14default_configENS1_27scan_by_key_config_selectorIiiEEZZNS1_16scan_by_key_implILNS1_25lookback_scan_determinismE0ELb1ES3_N6thrust23THRUST_200600_302600_NS6detail15normal_iteratorINS9_10device_ptrIiEEEENSB_INSC_IjEEEESE_iNS9_4plusIvEENS9_8equal_toIvEEiEE10hipError_tPvRmT2_T3_T4_T5_mT6_T7_P12ihipStream_tbENKUlT_T0_E_clISt17integral_constantIbLb0EES10_IbLb1EEEEDaSW_SX_EUlSW_E_NS1_11comp_targetILNS1_3genE10ELNS1_11target_archE1201ELNS1_3gpuE5ELNS1_3repE0EEENS1_30default_config_static_selectorELNS0_4arch9wavefront6targetE0EEEvT1_: ; @_ZN7rocprim17ROCPRIM_400000_NS6detail17trampoline_kernelINS0_14default_configENS1_27scan_by_key_config_selectorIiiEEZZNS1_16scan_by_key_implILNS1_25lookback_scan_determinismE0ELb1ES3_N6thrust23THRUST_200600_302600_NS6detail15normal_iteratorINS9_10device_ptrIiEEEENSB_INSC_IjEEEESE_iNS9_4plusIvEENS9_8equal_toIvEEiEE10hipError_tPvRmT2_T3_T4_T5_mT6_T7_P12ihipStream_tbENKUlT_T0_E_clISt17integral_constantIbLb0EES10_IbLb1EEEEDaSW_SX_EUlSW_E_NS1_11comp_targetILNS1_3genE10ELNS1_11target_archE1201ELNS1_3gpuE5ELNS1_3repE0EEENS1_30default_config_static_selectorELNS0_4arch9wavefront6targetE0EEEvT1_
; %bb.0:
	.section	.rodata,"a",@progbits
	.p2align	6, 0x0
	.amdhsa_kernel _ZN7rocprim17ROCPRIM_400000_NS6detail17trampoline_kernelINS0_14default_configENS1_27scan_by_key_config_selectorIiiEEZZNS1_16scan_by_key_implILNS1_25lookback_scan_determinismE0ELb1ES3_N6thrust23THRUST_200600_302600_NS6detail15normal_iteratorINS9_10device_ptrIiEEEENSB_INSC_IjEEEESE_iNS9_4plusIvEENS9_8equal_toIvEEiEE10hipError_tPvRmT2_T3_T4_T5_mT6_T7_P12ihipStream_tbENKUlT_T0_E_clISt17integral_constantIbLb0EES10_IbLb1EEEEDaSW_SX_EUlSW_E_NS1_11comp_targetILNS1_3genE10ELNS1_11target_archE1201ELNS1_3gpuE5ELNS1_3repE0EEENS1_30default_config_static_selectorELNS0_4arch9wavefront6targetE0EEEvT1_
		.amdhsa_group_segment_fixed_size 0
		.amdhsa_private_segment_fixed_size 0
		.amdhsa_kernarg_size 112
		.amdhsa_user_sgpr_count 6
		.amdhsa_user_sgpr_private_segment_buffer 1
		.amdhsa_user_sgpr_dispatch_ptr 0
		.amdhsa_user_sgpr_queue_ptr 0
		.amdhsa_user_sgpr_kernarg_segment_ptr 1
		.amdhsa_user_sgpr_dispatch_id 0
		.amdhsa_user_sgpr_flat_scratch_init 0
		.amdhsa_user_sgpr_private_segment_size 0
		.amdhsa_wavefront_size32 1
		.amdhsa_uses_dynamic_stack 0
		.amdhsa_system_sgpr_private_segment_wavefront_offset 0
		.amdhsa_system_sgpr_workgroup_id_x 1
		.amdhsa_system_sgpr_workgroup_id_y 0
		.amdhsa_system_sgpr_workgroup_id_z 0
		.amdhsa_system_sgpr_workgroup_info 0
		.amdhsa_system_vgpr_workitem_id 0
		.amdhsa_next_free_vgpr 1
		.amdhsa_next_free_sgpr 1
		.amdhsa_reserve_vcc 0
		.amdhsa_reserve_flat_scratch 0
		.amdhsa_float_round_mode_32 0
		.amdhsa_float_round_mode_16_64 0
		.amdhsa_float_denorm_mode_32 3
		.amdhsa_float_denorm_mode_16_64 3
		.amdhsa_dx10_clamp 1
		.amdhsa_ieee_mode 1
		.amdhsa_fp16_overflow 0
		.amdhsa_workgroup_processor_mode 1
		.amdhsa_memory_ordered 1
		.amdhsa_forward_progress 1
		.amdhsa_shared_vgpr_count 0
		.amdhsa_exception_fp_ieee_invalid_op 0
		.amdhsa_exception_fp_denorm_src 0
		.amdhsa_exception_fp_ieee_div_zero 0
		.amdhsa_exception_fp_ieee_overflow 0
		.amdhsa_exception_fp_ieee_underflow 0
		.amdhsa_exception_fp_ieee_inexact 0
		.amdhsa_exception_int_div_zero 0
	.end_amdhsa_kernel
	.section	.text._ZN7rocprim17ROCPRIM_400000_NS6detail17trampoline_kernelINS0_14default_configENS1_27scan_by_key_config_selectorIiiEEZZNS1_16scan_by_key_implILNS1_25lookback_scan_determinismE0ELb1ES3_N6thrust23THRUST_200600_302600_NS6detail15normal_iteratorINS9_10device_ptrIiEEEENSB_INSC_IjEEEESE_iNS9_4plusIvEENS9_8equal_toIvEEiEE10hipError_tPvRmT2_T3_T4_T5_mT6_T7_P12ihipStream_tbENKUlT_T0_E_clISt17integral_constantIbLb0EES10_IbLb1EEEEDaSW_SX_EUlSW_E_NS1_11comp_targetILNS1_3genE10ELNS1_11target_archE1201ELNS1_3gpuE5ELNS1_3repE0EEENS1_30default_config_static_selectorELNS0_4arch9wavefront6targetE0EEEvT1_,"axG",@progbits,_ZN7rocprim17ROCPRIM_400000_NS6detail17trampoline_kernelINS0_14default_configENS1_27scan_by_key_config_selectorIiiEEZZNS1_16scan_by_key_implILNS1_25lookback_scan_determinismE0ELb1ES3_N6thrust23THRUST_200600_302600_NS6detail15normal_iteratorINS9_10device_ptrIiEEEENSB_INSC_IjEEEESE_iNS9_4plusIvEENS9_8equal_toIvEEiEE10hipError_tPvRmT2_T3_T4_T5_mT6_T7_P12ihipStream_tbENKUlT_T0_E_clISt17integral_constantIbLb0EES10_IbLb1EEEEDaSW_SX_EUlSW_E_NS1_11comp_targetILNS1_3genE10ELNS1_11target_archE1201ELNS1_3gpuE5ELNS1_3repE0EEENS1_30default_config_static_selectorELNS0_4arch9wavefront6targetE0EEEvT1_,comdat
.Lfunc_end1780:
	.size	_ZN7rocprim17ROCPRIM_400000_NS6detail17trampoline_kernelINS0_14default_configENS1_27scan_by_key_config_selectorIiiEEZZNS1_16scan_by_key_implILNS1_25lookback_scan_determinismE0ELb1ES3_N6thrust23THRUST_200600_302600_NS6detail15normal_iteratorINS9_10device_ptrIiEEEENSB_INSC_IjEEEESE_iNS9_4plusIvEENS9_8equal_toIvEEiEE10hipError_tPvRmT2_T3_T4_T5_mT6_T7_P12ihipStream_tbENKUlT_T0_E_clISt17integral_constantIbLb0EES10_IbLb1EEEEDaSW_SX_EUlSW_E_NS1_11comp_targetILNS1_3genE10ELNS1_11target_archE1201ELNS1_3gpuE5ELNS1_3repE0EEENS1_30default_config_static_selectorELNS0_4arch9wavefront6targetE0EEEvT1_, .Lfunc_end1780-_ZN7rocprim17ROCPRIM_400000_NS6detail17trampoline_kernelINS0_14default_configENS1_27scan_by_key_config_selectorIiiEEZZNS1_16scan_by_key_implILNS1_25lookback_scan_determinismE0ELb1ES3_N6thrust23THRUST_200600_302600_NS6detail15normal_iteratorINS9_10device_ptrIiEEEENSB_INSC_IjEEEESE_iNS9_4plusIvEENS9_8equal_toIvEEiEE10hipError_tPvRmT2_T3_T4_T5_mT6_T7_P12ihipStream_tbENKUlT_T0_E_clISt17integral_constantIbLb0EES10_IbLb1EEEEDaSW_SX_EUlSW_E_NS1_11comp_targetILNS1_3genE10ELNS1_11target_archE1201ELNS1_3gpuE5ELNS1_3repE0EEENS1_30default_config_static_selectorELNS0_4arch9wavefront6targetE0EEEvT1_
                                        ; -- End function
	.set _ZN7rocprim17ROCPRIM_400000_NS6detail17trampoline_kernelINS0_14default_configENS1_27scan_by_key_config_selectorIiiEEZZNS1_16scan_by_key_implILNS1_25lookback_scan_determinismE0ELb1ES3_N6thrust23THRUST_200600_302600_NS6detail15normal_iteratorINS9_10device_ptrIiEEEENSB_INSC_IjEEEESE_iNS9_4plusIvEENS9_8equal_toIvEEiEE10hipError_tPvRmT2_T3_T4_T5_mT6_T7_P12ihipStream_tbENKUlT_T0_E_clISt17integral_constantIbLb0EES10_IbLb1EEEEDaSW_SX_EUlSW_E_NS1_11comp_targetILNS1_3genE10ELNS1_11target_archE1201ELNS1_3gpuE5ELNS1_3repE0EEENS1_30default_config_static_selectorELNS0_4arch9wavefront6targetE0EEEvT1_.num_vgpr, 0
	.set _ZN7rocprim17ROCPRIM_400000_NS6detail17trampoline_kernelINS0_14default_configENS1_27scan_by_key_config_selectorIiiEEZZNS1_16scan_by_key_implILNS1_25lookback_scan_determinismE0ELb1ES3_N6thrust23THRUST_200600_302600_NS6detail15normal_iteratorINS9_10device_ptrIiEEEENSB_INSC_IjEEEESE_iNS9_4plusIvEENS9_8equal_toIvEEiEE10hipError_tPvRmT2_T3_T4_T5_mT6_T7_P12ihipStream_tbENKUlT_T0_E_clISt17integral_constantIbLb0EES10_IbLb1EEEEDaSW_SX_EUlSW_E_NS1_11comp_targetILNS1_3genE10ELNS1_11target_archE1201ELNS1_3gpuE5ELNS1_3repE0EEENS1_30default_config_static_selectorELNS0_4arch9wavefront6targetE0EEEvT1_.num_agpr, 0
	.set _ZN7rocprim17ROCPRIM_400000_NS6detail17trampoline_kernelINS0_14default_configENS1_27scan_by_key_config_selectorIiiEEZZNS1_16scan_by_key_implILNS1_25lookback_scan_determinismE0ELb1ES3_N6thrust23THRUST_200600_302600_NS6detail15normal_iteratorINS9_10device_ptrIiEEEENSB_INSC_IjEEEESE_iNS9_4plusIvEENS9_8equal_toIvEEiEE10hipError_tPvRmT2_T3_T4_T5_mT6_T7_P12ihipStream_tbENKUlT_T0_E_clISt17integral_constantIbLb0EES10_IbLb1EEEEDaSW_SX_EUlSW_E_NS1_11comp_targetILNS1_3genE10ELNS1_11target_archE1201ELNS1_3gpuE5ELNS1_3repE0EEENS1_30default_config_static_selectorELNS0_4arch9wavefront6targetE0EEEvT1_.numbered_sgpr, 0
	.set _ZN7rocprim17ROCPRIM_400000_NS6detail17trampoline_kernelINS0_14default_configENS1_27scan_by_key_config_selectorIiiEEZZNS1_16scan_by_key_implILNS1_25lookback_scan_determinismE0ELb1ES3_N6thrust23THRUST_200600_302600_NS6detail15normal_iteratorINS9_10device_ptrIiEEEENSB_INSC_IjEEEESE_iNS9_4plusIvEENS9_8equal_toIvEEiEE10hipError_tPvRmT2_T3_T4_T5_mT6_T7_P12ihipStream_tbENKUlT_T0_E_clISt17integral_constantIbLb0EES10_IbLb1EEEEDaSW_SX_EUlSW_E_NS1_11comp_targetILNS1_3genE10ELNS1_11target_archE1201ELNS1_3gpuE5ELNS1_3repE0EEENS1_30default_config_static_selectorELNS0_4arch9wavefront6targetE0EEEvT1_.num_named_barrier, 0
	.set _ZN7rocprim17ROCPRIM_400000_NS6detail17trampoline_kernelINS0_14default_configENS1_27scan_by_key_config_selectorIiiEEZZNS1_16scan_by_key_implILNS1_25lookback_scan_determinismE0ELb1ES3_N6thrust23THRUST_200600_302600_NS6detail15normal_iteratorINS9_10device_ptrIiEEEENSB_INSC_IjEEEESE_iNS9_4plusIvEENS9_8equal_toIvEEiEE10hipError_tPvRmT2_T3_T4_T5_mT6_T7_P12ihipStream_tbENKUlT_T0_E_clISt17integral_constantIbLb0EES10_IbLb1EEEEDaSW_SX_EUlSW_E_NS1_11comp_targetILNS1_3genE10ELNS1_11target_archE1201ELNS1_3gpuE5ELNS1_3repE0EEENS1_30default_config_static_selectorELNS0_4arch9wavefront6targetE0EEEvT1_.private_seg_size, 0
	.set _ZN7rocprim17ROCPRIM_400000_NS6detail17trampoline_kernelINS0_14default_configENS1_27scan_by_key_config_selectorIiiEEZZNS1_16scan_by_key_implILNS1_25lookback_scan_determinismE0ELb1ES3_N6thrust23THRUST_200600_302600_NS6detail15normal_iteratorINS9_10device_ptrIiEEEENSB_INSC_IjEEEESE_iNS9_4plusIvEENS9_8equal_toIvEEiEE10hipError_tPvRmT2_T3_T4_T5_mT6_T7_P12ihipStream_tbENKUlT_T0_E_clISt17integral_constantIbLb0EES10_IbLb1EEEEDaSW_SX_EUlSW_E_NS1_11comp_targetILNS1_3genE10ELNS1_11target_archE1201ELNS1_3gpuE5ELNS1_3repE0EEENS1_30default_config_static_selectorELNS0_4arch9wavefront6targetE0EEEvT1_.uses_vcc, 0
	.set _ZN7rocprim17ROCPRIM_400000_NS6detail17trampoline_kernelINS0_14default_configENS1_27scan_by_key_config_selectorIiiEEZZNS1_16scan_by_key_implILNS1_25lookback_scan_determinismE0ELb1ES3_N6thrust23THRUST_200600_302600_NS6detail15normal_iteratorINS9_10device_ptrIiEEEENSB_INSC_IjEEEESE_iNS9_4plusIvEENS9_8equal_toIvEEiEE10hipError_tPvRmT2_T3_T4_T5_mT6_T7_P12ihipStream_tbENKUlT_T0_E_clISt17integral_constantIbLb0EES10_IbLb1EEEEDaSW_SX_EUlSW_E_NS1_11comp_targetILNS1_3genE10ELNS1_11target_archE1201ELNS1_3gpuE5ELNS1_3repE0EEENS1_30default_config_static_selectorELNS0_4arch9wavefront6targetE0EEEvT1_.uses_flat_scratch, 0
	.set _ZN7rocprim17ROCPRIM_400000_NS6detail17trampoline_kernelINS0_14default_configENS1_27scan_by_key_config_selectorIiiEEZZNS1_16scan_by_key_implILNS1_25lookback_scan_determinismE0ELb1ES3_N6thrust23THRUST_200600_302600_NS6detail15normal_iteratorINS9_10device_ptrIiEEEENSB_INSC_IjEEEESE_iNS9_4plusIvEENS9_8equal_toIvEEiEE10hipError_tPvRmT2_T3_T4_T5_mT6_T7_P12ihipStream_tbENKUlT_T0_E_clISt17integral_constantIbLb0EES10_IbLb1EEEEDaSW_SX_EUlSW_E_NS1_11comp_targetILNS1_3genE10ELNS1_11target_archE1201ELNS1_3gpuE5ELNS1_3repE0EEENS1_30default_config_static_selectorELNS0_4arch9wavefront6targetE0EEEvT1_.has_dyn_sized_stack, 0
	.set _ZN7rocprim17ROCPRIM_400000_NS6detail17trampoline_kernelINS0_14default_configENS1_27scan_by_key_config_selectorIiiEEZZNS1_16scan_by_key_implILNS1_25lookback_scan_determinismE0ELb1ES3_N6thrust23THRUST_200600_302600_NS6detail15normal_iteratorINS9_10device_ptrIiEEEENSB_INSC_IjEEEESE_iNS9_4plusIvEENS9_8equal_toIvEEiEE10hipError_tPvRmT2_T3_T4_T5_mT6_T7_P12ihipStream_tbENKUlT_T0_E_clISt17integral_constantIbLb0EES10_IbLb1EEEEDaSW_SX_EUlSW_E_NS1_11comp_targetILNS1_3genE10ELNS1_11target_archE1201ELNS1_3gpuE5ELNS1_3repE0EEENS1_30default_config_static_selectorELNS0_4arch9wavefront6targetE0EEEvT1_.has_recursion, 0
	.set _ZN7rocprim17ROCPRIM_400000_NS6detail17trampoline_kernelINS0_14default_configENS1_27scan_by_key_config_selectorIiiEEZZNS1_16scan_by_key_implILNS1_25lookback_scan_determinismE0ELb1ES3_N6thrust23THRUST_200600_302600_NS6detail15normal_iteratorINS9_10device_ptrIiEEEENSB_INSC_IjEEEESE_iNS9_4plusIvEENS9_8equal_toIvEEiEE10hipError_tPvRmT2_T3_T4_T5_mT6_T7_P12ihipStream_tbENKUlT_T0_E_clISt17integral_constantIbLb0EES10_IbLb1EEEEDaSW_SX_EUlSW_E_NS1_11comp_targetILNS1_3genE10ELNS1_11target_archE1201ELNS1_3gpuE5ELNS1_3repE0EEENS1_30default_config_static_selectorELNS0_4arch9wavefront6targetE0EEEvT1_.has_indirect_call, 0
	.section	.AMDGPU.csdata,"",@progbits
; Kernel info:
; codeLenInByte = 0
; TotalNumSgprs: 0
; NumVgprs: 0
; ScratchSize: 0
; MemoryBound: 0
; FloatMode: 240
; IeeeMode: 1
; LDSByteSize: 0 bytes/workgroup (compile time only)
; SGPRBlocks: 0
; VGPRBlocks: 0
; NumSGPRsForWavesPerEU: 1
; NumVGPRsForWavesPerEU: 1
; Occupancy: 16
; WaveLimiterHint : 0
; COMPUTE_PGM_RSRC2:SCRATCH_EN: 0
; COMPUTE_PGM_RSRC2:USER_SGPR: 6
; COMPUTE_PGM_RSRC2:TRAP_HANDLER: 0
; COMPUTE_PGM_RSRC2:TGID_X_EN: 1
; COMPUTE_PGM_RSRC2:TGID_Y_EN: 0
; COMPUTE_PGM_RSRC2:TGID_Z_EN: 0
; COMPUTE_PGM_RSRC2:TIDIG_COMP_CNT: 0
	.section	.text._ZN7rocprim17ROCPRIM_400000_NS6detail17trampoline_kernelINS0_14default_configENS1_27scan_by_key_config_selectorIiiEEZZNS1_16scan_by_key_implILNS1_25lookback_scan_determinismE0ELb1ES3_N6thrust23THRUST_200600_302600_NS6detail15normal_iteratorINS9_10device_ptrIiEEEENSB_INSC_IjEEEESE_iNS9_4plusIvEENS9_8equal_toIvEEiEE10hipError_tPvRmT2_T3_T4_T5_mT6_T7_P12ihipStream_tbENKUlT_T0_E_clISt17integral_constantIbLb0EES10_IbLb1EEEEDaSW_SX_EUlSW_E_NS1_11comp_targetILNS1_3genE5ELNS1_11target_archE942ELNS1_3gpuE9ELNS1_3repE0EEENS1_30default_config_static_selectorELNS0_4arch9wavefront6targetE0EEEvT1_,"axG",@progbits,_ZN7rocprim17ROCPRIM_400000_NS6detail17trampoline_kernelINS0_14default_configENS1_27scan_by_key_config_selectorIiiEEZZNS1_16scan_by_key_implILNS1_25lookback_scan_determinismE0ELb1ES3_N6thrust23THRUST_200600_302600_NS6detail15normal_iteratorINS9_10device_ptrIiEEEENSB_INSC_IjEEEESE_iNS9_4plusIvEENS9_8equal_toIvEEiEE10hipError_tPvRmT2_T3_T4_T5_mT6_T7_P12ihipStream_tbENKUlT_T0_E_clISt17integral_constantIbLb0EES10_IbLb1EEEEDaSW_SX_EUlSW_E_NS1_11comp_targetILNS1_3genE5ELNS1_11target_archE942ELNS1_3gpuE9ELNS1_3repE0EEENS1_30default_config_static_selectorELNS0_4arch9wavefront6targetE0EEEvT1_,comdat
	.protected	_ZN7rocprim17ROCPRIM_400000_NS6detail17trampoline_kernelINS0_14default_configENS1_27scan_by_key_config_selectorIiiEEZZNS1_16scan_by_key_implILNS1_25lookback_scan_determinismE0ELb1ES3_N6thrust23THRUST_200600_302600_NS6detail15normal_iteratorINS9_10device_ptrIiEEEENSB_INSC_IjEEEESE_iNS9_4plusIvEENS9_8equal_toIvEEiEE10hipError_tPvRmT2_T3_T4_T5_mT6_T7_P12ihipStream_tbENKUlT_T0_E_clISt17integral_constantIbLb0EES10_IbLb1EEEEDaSW_SX_EUlSW_E_NS1_11comp_targetILNS1_3genE5ELNS1_11target_archE942ELNS1_3gpuE9ELNS1_3repE0EEENS1_30default_config_static_selectorELNS0_4arch9wavefront6targetE0EEEvT1_ ; -- Begin function _ZN7rocprim17ROCPRIM_400000_NS6detail17trampoline_kernelINS0_14default_configENS1_27scan_by_key_config_selectorIiiEEZZNS1_16scan_by_key_implILNS1_25lookback_scan_determinismE0ELb1ES3_N6thrust23THRUST_200600_302600_NS6detail15normal_iteratorINS9_10device_ptrIiEEEENSB_INSC_IjEEEESE_iNS9_4plusIvEENS9_8equal_toIvEEiEE10hipError_tPvRmT2_T3_T4_T5_mT6_T7_P12ihipStream_tbENKUlT_T0_E_clISt17integral_constantIbLb0EES10_IbLb1EEEEDaSW_SX_EUlSW_E_NS1_11comp_targetILNS1_3genE5ELNS1_11target_archE942ELNS1_3gpuE9ELNS1_3repE0EEENS1_30default_config_static_selectorELNS0_4arch9wavefront6targetE0EEEvT1_
	.globl	_ZN7rocprim17ROCPRIM_400000_NS6detail17trampoline_kernelINS0_14default_configENS1_27scan_by_key_config_selectorIiiEEZZNS1_16scan_by_key_implILNS1_25lookback_scan_determinismE0ELb1ES3_N6thrust23THRUST_200600_302600_NS6detail15normal_iteratorINS9_10device_ptrIiEEEENSB_INSC_IjEEEESE_iNS9_4plusIvEENS9_8equal_toIvEEiEE10hipError_tPvRmT2_T3_T4_T5_mT6_T7_P12ihipStream_tbENKUlT_T0_E_clISt17integral_constantIbLb0EES10_IbLb1EEEEDaSW_SX_EUlSW_E_NS1_11comp_targetILNS1_3genE5ELNS1_11target_archE942ELNS1_3gpuE9ELNS1_3repE0EEENS1_30default_config_static_selectorELNS0_4arch9wavefront6targetE0EEEvT1_
	.p2align	8
	.type	_ZN7rocprim17ROCPRIM_400000_NS6detail17trampoline_kernelINS0_14default_configENS1_27scan_by_key_config_selectorIiiEEZZNS1_16scan_by_key_implILNS1_25lookback_scan_determinismE0ELb1ES3_N6thrust23THRUST_200600_302600_NS6detail15normal_iteratorINS9_10device_ptrIiEEEENSB_INSC_IjEEEESE_iNS9_4plusIvEENS9_8equal_toIvEEiEE10hipError_tPvRmT2_T3_T4_T5_mT6_T7_P12ihipStream_tbENKUlT_T0_E_clISt17integral_constantIbLb0EES10_IbLb1EEEEDaSW_SX_EUlSW_E_NS1_11comp_targetILNS1_3genE5ELNS1_11target_archE942ELNS1_3gpuE9ELNS1_3repE0EEENS1_30default_config_static_selectorELNS0_4arch9wavefront6targetE0EEEvT1_,@function
_ZN7rocprim17ROCPRIM_400000_NS6detail17trampoline_kernelINS0_14default_configENS1_27scan_by_key_config_selectorIiiEEZZNS1_16scan_by_key_implILNS1_25lookback_scan_determinismE0ELb1ES3_N6thrust23THRUST_200600_302600_NS6detail15normal_iteratorINS9_10device_ptrIiEEEENSB_INSC_IjEEEESE_iNS9_4plusIvEENS9_8equal_toIvEEiEE10hipError_tPvRmT2_T3_T4_T5_mT6_T7_P12ihipStream_tbENKUlT_T0_E_clISt17integral_constantIbLb0EES10_IbLb1EEEEDaSW_SX_EUlSW_E_NS1_11comp_targetILNS1_3genE5ELNS1_11target_archE942ELNS1_3gpuE9ELNS1_3repE0EEENS1_30default_config_static_selectorELNS0_4arch9wavefront6targetE0EEEvT1_: ; @_ZN7rocprim17ROCPRIM_400000_NS6detail17trampoline_kernelINS0_14default_configENS1_27scan_by_key_config_selectorIiiEEZZNS1_16scan_by_key_implILNS1_25lookback_scan_determinismE0ELb1ES3_N6thrust23THRUST_200600_302600_NS6detail15normal_iteratorINS9_10device_ptrIiEEEENSB_INSC_IjEEEESE_iNS9_4plusIvEENS9_8equal_toIvEEiEE10hipError_tPvRmT2_T3_T4_T5_mT6_T7_P12ihipStream_tbENKUlT_T0_E_clISt17integral_constantIbLb0EES10_IbLb1EEEEDaSW_SX_EUlSW_E_NS1_11comp_targetILNS1_3genE5ELNS1_11target_archE942ELNS1_3gpuE9ELNS1_3repE0EEENS1_30default_config_static_selectorELNS0_4arch9wavefront6targetE0EEEvT1_
; %bb.0:
	.section	.rodata,"a",@progbits
	.p2align	6, 0x0
	.amdhsa_kernel _ZN7rocprim17ROCPRIM_400000_NS6detail17trampoline_kernelINS0_14default_configENS1_27scan_by_key_config_selectorIiiEEZZNS1_16scan_by_key_implILNS1_25lookback_scan_determinismE0ELb1ES3_N6thrust23THRUST_200600_302600_NS6detail15normal_iteratorINS9_10device_ptrIiEEEENSB_INSC_IjEEEESE_iNS9_4plusIvEENS9_8equal_toIvEEiEE10hipError_tPvRmT2_T3_T4_T5_mT6_T7_P12ihipStream_tbENKUlT_T0_E_clISt17integral_constantIbLb0EES10_IbLb1EEEEDaSW_SX_EUlSW_E_NS1_11comp_targetILNS1_3genE5ELNS1_11target_archE942ELNS1_3gpuE9ELNS1_3repE0EEENS1_30default_config_static_selectorELNS0_4arch9wavefront6targetE0EEEvT1_
		.amdhsa_group_segment_fixed_size 0
		.amdhsa_private_segment_fixed_size 0
		.amdhsa_kernarg_size 112
		.amdhsa_user_sgpr_count 6
		.amdhsa_user_sgpr_private_segment_buffer 1
		.amdhsa_user_sgpr_dispatch_ptr 0
		.amdhsa_user_sgpr_queue_ptr 0
		.amdhsa_user_sgpr_kernarg_segment_ptr 1
		.amdhsa_user_sgpr_dispatch_id 0
		.amdhsa_user_sgpr_flat_scratch_init 0
		.amdhsa_user_sgpr_private_segment_size 0
		.amdhsa_wavefront_size32 1
		.amdhsa_uses_dynamic_stack 0
		.amdhsa_system_sgpr_private_segment_wavefront_offset 0
		.amdhsa_system_sgpr_workgroup_id_x 1
		.amdhsa_system_sgpr_workgroup_id_y 0
		.amdhsa_system_sgpr_workgroup_id_z 0
		.amdhsa_system_sgpr_workgroup_info 0
		.amdhsa_system_vgpr_workitem_id 0
		.amdhsa_next_free_vgpr 1
		.amdhsa_next_free_sgpr 1
		.amdhsa_reserve_vcc 0
		.amdhsa_reserve_flat_scratch 0
		.amdhsa_float_round_mode_32 0
		.amdhsa_float_round_mode_16_64 0
		.amdhsa_float_denorm_mode_32 3
		.amdhsa_float_denorm_mode_16_64 3
		.amdhsa_dx10_clamp 1
		.amdhsa_ieee_mode 1
		.amdhsa_fp16_overflow 0
		.amdhsa_workgroup_processor_mode 1
		.amdhsa_memory_ordered 1
		.amdhsa_forward_progress 1
		.amdhsa_shared_vgpr_count 0
		.amdhsa_exception_fp_ieee_invalid_op 0
		.amdhsa_exception_fp_denorm_src 0
		.amdhsa_exception_fp_ieee_div_zero 0
		.amdhsa_exception_fp_ieee_overflow 0
		.amdhsa_exception_fp_ieee_underflow 0
		.amdhsa_exception_fp_ieee_inexact 0
		.amdhsa_exception_int_div_zero 0
	.end_amdhsa_kernel
	.section	.text._ZN7rocprim17ROCPRIM_400000_NS6detail17trampoline_kernelINS0_14default_configENS1_27scan_by_key_config_selectorIiiEEZZNS1_16scan_by_key_implILNS1_25lookback_scan_determinismE0ELb1ES3_N6thrust23THRUST_200600_302600_NS6detail15normal_iteratorINS9_10device_ptrIiEEEENSB_INSC_IjEEEESE_iNS9_4plusIvEENS9_8equal_toIvEEiEE10hipError_tPvRmT2_T3_T4_T5_mT6_T7_P12ihipStream_tbENKUlT_T0_E_clISt17integral_constantIbLb0EES10_IbLb1EEEEDaSW_SX_EUlSW_E_NS1_11comp_targetILNS1_3genE5ELNS1_11target_archE942ELNS1_3gpuE9ELNS1_3repE0EEENS1_30default_config_static_selectorELNS0_4arch9wavefront6targetE0EEEvT1_,"axG",@progbits,_ZN7rocprim17ROCPRIM_400000_NS6detail17trampoline_kernelINS0_14default_configENS1_27scan_by_key_config_selectorIiiEEZZNS1_16scan_by_key_implILNS1_25lookback_scan_determinismE0ELb1ES3_N6thrust23THRUST_200600_302600_NS6detail15normal_iteratorINS9_10device_ptrIiEEEENSB_INSC_IjEEEESE_iNS9_4plusIvEENS9_8equal_toIvEEiEE10hipError_tPvRmT2_T3_T4_T5_mT6_T7_P12ihipStream_tbENKUlT_T0_E_clISt17integral_constantIbLb0EES10_IbLb1EEEEDaSW_SX_EUlSW_E_NS1_11comp_targetILNS1_3genE5ELNS1_11target_archE942ELNS1_3gpuE9ELNS1_3repE0EEENS1_30default_config_static_selectorELNS0_4arch9wavefront6targetE0EEEvT1_,comdat
.Lfunc_end1781:
	.size	_ZN7rocprim17ROCPRIM_400000_NS6detail17trampoline_kernelINS0_14default_configENS1_27scan_by_key_config_selectorIiiEEZZNS1_16scan_by_key_implILNS1_25lookback_scan_determinismE0ELb1ES3_N6thrust23THRUST_200600_302600_NS6detail15normal_iteratorINS9_10device_ptrIiEEEENSB_INSC_IjEEEESE_iNS9_4plusIvEENS9_8equal_toIvEEiEE10hipError_tPvRmT2_T3_T4_T5_mT6_T7_P12ihipStream_tbENKUlT_T0_E_clISt17integral_constantIbLb0EES10_IbLb1EEEEDaSW_SX_EUlSW_E_NS1_11comp_targetILNS1_3genE5ELNS1_11target_archE942ELNS1_3gpuE9ELNS1_3repE0EEENS1_30default_config_static_selectorELNS0_4arch9wavefront6targetE0EEEvT1_, .Lfunc_end1781-_ZN7rocprim17ROCPRIM_400000_NS6detail17trampoline_kernelINS0_14default_configENS1_27scan_by_key_config_selectorIiiEEZZNS1_16scan_by_key_implILNS1_25lookback_scan_determinismE0ELb1ES3_N6thrust23THRUST_200600_302600_NS6detail15normal_iteratorINS9_10device_ptrIiEEEENSB_INSC_IjEEEESE_iNS9_4plusIvEENS9_8equal_toIvEEiEE10hipError_tPvRmT2_T3_T4_T5_mT6_T7_P12ihipStream_tbENKUlT_T0_E_clISt17integral_constantIbLb0EES10_IbLb1EEEEDaSW_SX_EUlSW_E_NS1_11comp_targetILNS1_3genE5ELNS1_11target_archE942ELNS1_3gpuE9ELNS1_3repE0EEENS1_30default_config_static_selectorELNS0_4arch9wavefront6targetE0EEEvT1_
                                        ; -- End function
	.set _ZN7rocprim17ROCPRIM_400000_NS6detail17trampoline_kernelINS0_14default_configENS1_27scan_by_key_config_selectorIiiEEZZNS1_16scan_by_key_implILNS1_25lookback_scan_determinismE0ELb1ES3_N6thrust23THRUST_200600_302600_NS6detail15normal_iteratorINS9_10device_ptrIiEEEENSB_INSC_IjEEEESE_iNS9_4plusIvEENS9_8equal_toIvEEiEE10hipError_tPvRmT2_T3_T4_T5_mT6_T7_P12ihipStream_tbENKUlT_T0_E_clISt17integral_constantIbLb0EES10_IbLb1EEEEDaSW_SX_EUlSW_E_NS1_11comp_targetILNS1_3genE5ELNS1_11target_archE942ELNS1_3gpuE9ELNS1_3repE0EEENS1_30default_config_static_selectorELNS0_4arch9wavefront6targetE0EEEvT1_.num_vgpr, 0
	.set _ZN7rocprim17ROCPRIM_400000_NS6detail17trampoline_kernelINS0_14default_configENS1_27scan_by_key_config_selectorIiiEEZZNS1_16scan_by_key_implILNS1_25lookback_scan_determinismE0ELb1ES3_N6thrust23THRUST_200600_302600_NS6detail15normal_iteratorINS9_10device_ptrIiEEEENSB_INSC_IjEEEESE_iNS9_4plusIvEENS9_8equal_toIvEEiEE10hipError_tPvRmT2_T3_T4_T5_mT6_T7_P12ihipStream_tbENKUlT_T0_E_clISt17integral_constantIbLb0EES10_IbLb1EEEEDaSW_SX_EUlSW_E_NS1_11comp_targetILNS1_3genE5ELNS1_11target_archE942ELNS1_3gpuE9ELNS1_3repE0EEENS1_30default_config_static_selectorELNS0_4arch9wavefront6targetE0EEEvT1_.num_agpr, 0
	.set _ZN7rocprim17ROCPRIM_400000_NS6detail17trampoline_kernelINS0_14default_configENS1_27scan_by_key_config_selectorIiiEEZZNS1_16scan_by_key_implILNS1_25lookback_scan_determinismE0ELb1ES3_N6thrust23THRUST_200600_302600_NS6detail15normal_iteratorINS9_10device_ptrIiEEEENSB_INSC_IjEEEESE_iNS9_4plusIvEENS9_8equal_toIvEEiEE10hipError_tPvRmT2_T3_T4_T5_mT6_T7_P12ihipStream_tbENKUlT_T0_E_clISt17integral_constantIbLb0EES10_IbLb1EEEEDaSW_SX_EUlSW_E_NS1_11comp_targetILNS1_3genE5ELNS1_11target_archE942ELNS1_3gpuE9ELNS1_3repE0EEENS1_30default_config_static_selectorELNS0_4arch9wavefront6targetE0EEEvT1_.numbered_sgpr, 0
	.set _ZN7rocprim17ROCPRIM_400000_NS6detail17trampoline_kernelINS0_14default_configENS1_27scan_by_key_config_selectorIiiEEZZNS1_16scan_by_key_implILNS1_25lookback_scan_determinismE0ELb1ES3_N6thrust23THRUST_200600_302600_NS6detail15normal_iteratorINS9_10device_ptrIiEEEENSB_INSC_IjEEEESE_iNS9_4plusIvEENS9_8equal_toIvEEiEE10hipError_tPvRmT2_T3_T4_T5_mT6_T7_P12ihipStream_tbENKUlT_T0_E_clISt17integral_constantIbLb0EES10_IbLb1EEEEDaSW_SX_EUlSW_E_NS1_11comp_targetILNS1_3genE5ELNS1_11target_archE942ELNS1_3gpuE9ELNS1_3repE0EEENS1_30default_config_static_selectorELNS0_4arch9wavefront6targetE0EEEvT1_.num_named_barrier, 0
	.set _ZN7rocprim17ROCPRIM_400000_NS6detail17trampoline_kernelINS0_14default_configENS1_27scan_by_key_config_selectorIiiEEZZNS1_16scan_by_key_implILNS1_25lookback_scan_determinismE0ELb1ES3_N6thrust23THRUST_200600_302600_NS6detail15normal_iteratorINS9_10device_ptrIiEEEENSB_INSC_IjEEEESE_iNS9_4plusIvEENS9_8equal_toIvEEiEE10hipError_tPvRmT2_T3_T4_T5_mT6_T7_P12ihipStream_tbENKUlT_T0_E_clISt17integral_constantIbLb0EES10_IbLb1EEEEDaSW_SX_EUlSW_E_NS1_11comp_targetILNS1_3genE5ELNS1_11target_archE942ELNS1_3gpuE9ELNS1_3repE0EEENS1_30default_config_static_selectorELNS0_4arch9wavefront6targetE0EEEvT1_.private_seg_size, 0
	.set _ZN7rocprim17ROCPRIM_400000_NS6detail17trampoline_kernelINS0_14default_configENS1_27scan_by_key_config_selectorIiiEEZZNS1_16scan_by_key_implILNS1_25lookback_scan_determinismE0ELb1ES3_N6thrust23THRUST_200600_302600_NS6detail15normal_iteratorINS9_10device_ptrIiEEEENSB_INSC_IjEEEESE_iNS9_4plusIvEENS9_8equal_toIvEEiEE10hipError_tPvRmT2_T3_T4_T5_mT6_T7_P12ihipStream_tbENKUlT_T0_E_clISt17integral_constantIbLb0EES10_IbLb1EEEEDaSW_SX_EUlSW_E_NS1_11comp_targetILNS1_3genE5ELNS1_11target_archE942ELNS1_3gpuE9ELNS1_3repE0EEENS1_30default_config_static_selectorELNS0_4arch9wavefront6targetE0EEEvT1_.uses_vcc, 0
	.set _ZN7rocprim17ROCPRIM_400000_NS6detail17trampoline_kernelINS0_14default_configENS1_27scan_by_key_config_selectorIiiEEZZNS1_16scan_by_key_implILNS1_25lookback_scan_determinismE0ELb1ES3_N6thrust23THRUST_200600_302600_NS6detail15normal_iteratorINS9_10device_ptrIiEEEENSB_INSC_IjEEEESE_iNS9_4plusIvEENS9_8equal_toIvEEiEE10hipError_tPvRmT2_T3_T4_T5_mT6_T7_P12ihipStream_tbENKUlT_T0_E_clISt17integral_constantIbLb0EES10_IbLb1EEEEDaSW_SX_EUlSW_E_NS1_11comp_targetILNS1_3genE5ELNS1_11target_archE942ELNS1_3gpuE9ELNS1_3repE0EEENS1_30default_config_static_selectorELNS0_4arch9wavefront6targetE0EEEvT1_.uses_flat_scratch, 0
	.set _ZN7rocprim17ROCPRIM_400000_NS6detail17trampoline_kernelINS0_14default_configENS1_27scan_by_key_config_selectorIiiEEZZNS1_16scan_by_key_implILNS1_25lookback_scan_determinismE0ELb1ES3_N6thrust23THRUST_200600_302600_NS6detail15normal_iteratorINS9_10device_ptrIiEEEENSB_INSC_IjEEEESE_iNS9_4plusIvEENS9_8equal_toIvEEiEE10hipError_tPvRmT2_T3_T4_T5_mT6_T7_P12ihipStream_tbENKUlT_T0_E_clISt17integral_constantIbLb0EES10_IbLb1EEEEDaSW_SX_EUlSW_E_NS1_11comp_targetILNS1_3genE5ELNS1_11target_archE942ELNS1_3gpuE9ELNS1_3repE0EEENS1_30default_config_static_selectorELNS0_4arch9wavefront6targetE0EEEvT1_.has_dyn_sized_stack, 0
	.set _ZN7rocprim17ROCPRIM_400000_NS6detail17trampoline_kernelINS0_14default_configENS1_27scan_by_key_config_selectorIiiEEZZNS1_16scan_by_key_implILNS1_25lookback_scan_determinismE0ELb1ES3_N6thrust23THRUST_200600_302600_NS6detail15normal_iteratorINS9_10device_ptrIiEEEENSB_INSC_IjEEEESE_iNS9_4plusIvEENS9_8equal_toIvEEiEE10hipError_tPvRmT2_T3_T4_T5_mT6_T7_P12ihipStream_tbENKUlT_T0_E_clISt17integral_constantIbLb0EES10_IbLb1EEEEDaSW_SX_EUlSW_E_NS1_11comp_targetILNS1_3genE5ELNS1_11target_archE942ELNS1_3gpuE9ELNS1_3repE0EEENS1_30default_config_static_selectorELNS0_4arch9wavefront6targetE0EEEvT1_.has_recursion, 0
	.set _ZN7rocprim17ROCPRIM_400000_NS6detail17trampoline_kernelINS0_14default_configENS1_27scan_by_key_config_selectorIiiEEZZNS1_16scan_by_key_implILNS1_25lookback_scan_determinismE0ELb1ES3_N6thrust23THRUST_200600_302600_NS6detail15normal_iteratorINS9_10device_ptrIiEEEENSB_INSC_IjEEEESE_iNS9_4plusIvEENS9_8equal_toIvEEiEE10hipError_tPvRmT2_T3_T4_T5_mT6_T7_P12ihipStream_tbENKUlT_T0_E_clISt17integral_constantIbLb0EES10_IbLb1EEEEDaSW_SX_EUlSW_E_NS1_11comp_targetILNS1_3genE5ELNS1_11target_archE942ELNS1_3gpuE9ELNS1_3repE0EEENS1_30default_config_static_selectorELNS0_4arch9wavefront6targetE0EEEvT1_.has_indirect_call, 0
	.section	.AMDGPU.csdata,"",@progbits
; Kernel info:
; codeLenInByte = 0
; TotalNumSgprs: 0
; NumVgprs: 0
; ScratchSize: 0
; MemoryBound: 0
; FloatMode: 240
; IeeeMode: 1
; LDSByteSize: 0 bytes/workgroup (compile time only)
; SGPRBlocks: 0
; VGPRBlocks: 0
; NumSGPRsForWavesPerEU: 1
; NumVGPRsForWavesPerEU: 1
; Occupancy: 16
; WaveLimiterHint : 0
; COMPUTE_PGM_RSRC2:SCRATCH_EN: 0
; COMPUTE_PGM_RSRC2:USER_SGPR: 6
; COMPUTE_PGM_RSRC2:TRAP_HANDLER: 0
; COMPUTE_PGM_RSRC2:TGID_X_EN: 1
; COMPUTE_PGM_RSRC2:TGID_Y_EN: 0
; COMPUTE_PGM_RSRC2:TGID_Z_EN: 0
; COMPUTE_PGM_RSRC2:TIDIG_COMP_CNT: 0
	.section	.text._ZN7rocprim17ROCPRIM_400000_NS6detail17trampoline_kernelINS0_14default_configENS1_27scan_by_key_config_selectorIiiEEZZNS1_16scan_by_key_implILNS1_25lookback_scan_determinismE0ELb1ES3_N6thrust23THRUST_200600_302600_NS6detail15normal_iteratorINS9_10device_ptrIiEEEENSB_INSC_IjEEEESE_iNS9_4plusIvEENS9_8equal_toIvEEiEE10hipError_tPvRmT2_T3_T4_T5_mT6_T7_P12ihipStream_tbENKUlT_T0_E_clISt17integral_constantIbLb0EES10_IbLb1EEEEDaSW_SX_EUlSW_E_NS1_11comp_targetILNS1_3genE4ELNS1_11target_archE910ELNS1_3gpuE8ELNS1_3repE0EEENS1_30default_config_static_selectorELNS0_4arch9wavefront6targetE0EEEvT1_,"axG",@progbits,_ZN7rocprim17ROCPRIM_400000_NS6detail17trampoline_kernelINS0_14default_configENS1_27scan_by_key_config_selectorIiiEEZZNS1_16scan_by_key_implILNS1_25lookback_scan_determinismE0ELb1ES3_N6thrust23THRUST_200600_302600_NS6detail15normal_iteratorINS9_10device_ptrIiEEEENSB_INSC_IjEEEESE_iNS9_4plusIvEENS9_8equal_toIvEEiEE10hipError_tPvRmT2_T3_T4_T5_mT6_T7_P12ihipStream_tbENKUlT_T0_E_clISt17integral_constantIbLb0EES10_IbLb1EEEEDaSW_SX_EUlSW_E_NS1_11comp_targetILNS1_3genE4ELNS1_11target_archE910ELNS1_3gpuE8ELNS1_3repE0EEENS1_30default_config_static_selectorELNS0_4arch9wavefront6targetE0EEEvT1_,comdat
	.protected	_ZN7rocprim17ROCPRIM_400000_NS6detail17trampoline_kernelINS0_14default_configENS1_27scan_by_key_config_selectorIiiEEZZNS1_16scan_by_key_implILNS1_25lookback_scan_determinismE0ELb1ES3_N6thrust23THRUST_200600_302600_NS6detail15normal_iteratorINS9_10device_ptrIiEEEENSB_INSC_IjEEEESE_iNS9_4plusIvEENS9_8equal_toIvEEiEE10hipError_tPvRmT2_T3_T4_T5_mT6_T7_P12ihipStream_tbENKUlT_T0_E_clISt17integral_constantIbLb0EES10_IbLb1EEEEDaSW_SX_EUlSW_E_NS1_11comp_targetILNS1_3genE4ELNS1_11target_archE910ELNS1_3gpuE8ELNS1_3repE0EEENS1_30default_config_static_selectorELNS0_4arch9wavefront6targetE0EEEvT1_ ; -- Begin function _ZN7rocprim17ROCPRIM_400000_NS6detail17trampoline_kernelINS0_14default_configENS1_27scan_by_key_config_selectorIiiEEZZNS1_16scan_by_key_implILNS1_25lookback_scan_determinismE0ELb1ES3_N6thrust23THRUST_200600_302600_NS6detail15normal_iteratorINS9_10device_ptrIiEEEENSB_INSC_IjEEEESE_iNS9_4plusIvEENS9_8equal_toIvEEiEE10hipError_tPvRmT2_T3_T4_T5_mT6_T7_P12ihipStream_tbENKUlT_T0_E_clISt17integral_constantIbLb0EES10_IbLb1EEEEDaSW_SX_EUlSW_E_NS1_11comp_targetILNS1_3genE4ELNS1_11target_archE910ELNS1_3gpuE8ELNS1_3repE0EEENS1_30default_config_static_selectorELNS0_4arch9wavefront6targetE0EEEvT1_
	.globl	_ZN7rocprim17ROCPRIM_400000_NS6detail17trampoline_kernelINS0_14default_configENS1_27scan_by_key_config_selectorIiiEEZZNS1_16scan_by_key_implILNS1_25lookback_scan_determinismE0ELb1ES3_N6thrust23THRUST_200600_302600_NS6detail15normal_iteratorINS9_10device_ptrIiEEEENSB_INSC_IjEEEESE_iNS9_4plusIvEENS9_8equal_toIvEEiEE10hipError_tPvRmT2_T3_T4_T5_mT6_T7_P12ihipStream_tbENKUlT_T0_E_clISt17integral_constantIbLb0EES10_IbLb1EEEEDaSW_SX_EUlSW_E_NS1_11comp_targetILNS1_3genE4ELNS1_11target_archE910ELNS1_3gpuE8ELNS1_3repE0EEENS1_30default_config_static_selectorELNS0_4arch9wavefront6targetE0EEEvT1_
	.p2align	8
	.type	_ZN7rocprim17ROCPRIM_400000_NS6detail17trampoline_kernelINS0_14default_configENS1_27scan_by_key_config_selectorIiiEEZZNS1_16scan_by_key_implILNS1_25lookback_scan_determinismE0ELb1ES3_N6thrust23THRUST_200600_302600_NS6detail15normal_iteratorINS9_10device_ptrIiEEEENSB_INSC_IjEEEESE_iNS9_4plusIvEENS9_8equal_toIvEEiEE10hipError_tPvRmT2_T3_T4_T5_mT6_T7_P12ihipStream_tbENKUlT_T0_E_clISt17integral_constantIbLb0EES10_IbLb1EEEEDaSW_SX_EUlSW_E_NS1_11comp_targetILNS1_3genE4ELNS1_11target_archE910ELNS1_3gpuE8ELNS1_3repE0EEENS1_30default_config_static_selectorELNS0_4arch9wavefront6targetE0EEEvT1_,@function
_ZN7rocprim17ROCPRIM_400000_NS6detail17trampoline_kernelINS0_14default_configENS1_27scan_by_key_config_selectorIiiEEZZNS1_16scan_by_key_implILNS1_25lookback_scan_determinismE0ELb1ES3_N6thrust23THRUST_200600_302600_NS6detail15normal_iteratorINS9_10device_ptrIiEEEENSB_INSC_IjEEEESE_iNS9_4plusIvEENS9_8equal_toIvEEiEE10hipError_tPvRmT2_T3_T4_T5_mT6_T7_P12ihipStream_tbENKUlT_T0_E_clISt17integral_constantIbLb0EES10_IbLb1EEEEDaSW_SX_EUlSW_E_NS1_11comp_targetILNS1_3genE4ELNS1_11target_archE910ELNS1_3gpuE8ELNS1_3repE0EEENS1_30default_config_static_selectorELNS0_4arch9wavefront6targetE0EEEvT1_: ; @_ZN7rocprim17ROCPRIM_400000_NS6detail17trampoline_kernelINS0_14default_configENS1_27scan_by_key_config_selectorIiiEEZZNS1_16scan_by_key_implILNS1_25lookback_scan_determinismE0ELb1ES3_N6thrust23THRUST_200600_302600_NS6detail15normal_iteratorINS9_10device_ptrIiEEEENSB_INSC_IjEEEESE_iNS9_4plusIvEENS9_8equal_toIvEEiEE10hipError_tPvRmT2_T3_T4_T5_mT6_T7_P12ihipStream_tbENKUlT_T0_E_clISt17integral_constantIbLb0EES10_IbLb1EEEEDaSW_SX_EUlSW_E_NS1_11comp_targetILNS1_3genE4ELNS1_11target_archE910ELNS1_3gpuE8ELNS1_3repE0EEENS1_30default_config_static_selectorELNS0_4arch9wavefront6targetE0EEEvT1_
; %bb.0:
	.section	.rodata,"a",@progbits
	.p2align	6, 0x0
	.amdhsa_kernel _ZN7rocprim17ROCPRIM_400000_NS6detail17trampoline_kernelINS0_14default_configENS1_27scan_by_key_config_selectorIiiEEZZNS1_16scan_by_key_implILNS1_25lookback_scan_determinismE0ELb1ES3_N6thrust23THRUST_200600_302600_NS6detail15normal_iteratorINS9_10device_ptrIiEEEENSB_INSC_IjEEEESE_iNS9_4plusIvEENS9_8equal_toIvEEiEE10hipError_tPvRmT2_T3_T4_T5_mT6_T7_P12ihipStream_tbENKUlT_T0_E_clISt17integral_constantIbLb0EES10_IbLb1EEEEDaSW_SX_EUlSW_E_NS1_11comp_targetILNS1_3genE4ELNS1_11target_archE910ELNS1_3gpuE8ELNS1_3repE0EEENS1_30default_config_static_selectorELNS0_4arch9wavefront6targetE0EEEvT1_
		.amdhsa_group_segment_fixed_size 0
		.amdhsa_private_segment_fixed_size 0
		.amdhsa_kernarg_size 112
		.amdhsa_user_sgpr_count 6
		.amdhsa_user_sgpr_private_segment_buffer 1
		.amdhsa_user_sgpr_dispatch_ptr 0
		.amdhsa_user_sgpr_queue_ptr 0
		.amdhsa_user_sgpr_kernarg_segment_ptr 1
		.amdhsa_user_sgpr_dispatch_id 0
		.amdhsa_user_sgpr_flat_scratch_init 0
		.amdhsa_user_sgpr_private_segment_size 0
		.amdhsa_wavefront_size32 1
		.amdhsa_uses_dynamic_stack 0
		.amdhsa_system_sgpr_private_segment_wavefront_offset 0
		.amdhsa_system_sgpr_workgroup_id_x 1
		.amdhsa_system_sgpr_workgroup_id_y 0
		.amdhsa_system_sgpr_workgroup_id_z 0
		.amdhsa_system_sgpr_workgroup_info 0
		.amdhsa_system_vgpr_workitem_id 0
		.amdhsa_next_free_vgpr 1
		.amdhsa_next_free_sgpr 1
		.amdhsa_reserve_vcc 0
		.amdhsa_reserve_flat_scratch 0
		.amdhsa_float_round_mode_32 0
		.amdhsa_float_round_mode_16_64 0
		.amdhsa_float_denorm_mode_32 3
		.amdhsa_float_denorm_mode_16_64 3
		.amdhsa_dx10_clamp 1
		.amdhsa_ieee_mode 1
		.amdhsa_fp16_overflow 0
		.amdhsa_workgroup_processor_mode 1
		.amdhsa_memory_ordered 1
		.amdhsa_forward_progress 1
		.amdhsa_shared_vgpr_count 0
		.amdhsa_exception_fp_ieee_invalid_op 0
		.amdhsa_exception_fp_denorm_src 0
		.amdhsa_exception_fp_ieee_div_zero 0
		.amdhsa_exception_fp_ieee_overflow 0
		.amdhsa_exception_fp_ieee_underflow 0
		.amdhsa_exception_fp_ieee_inexact 0
		.amdhsa_exception_int_div_zero 0
	.end_amdhsa_kernel
	.section	.text._ZN7rocprim17ROCPRIM_400000_NS6detail17trampoline_kernelINS0_14default_configENS1_27scan_by_key_config_selectorIiiEEZZNS1_16scan_by_key_implILNS1_25lookback_scan_determinismE0ELb1ES3_N6thrust23THRUST_200600_302600_NS6detail15normal_iteratorINS9_10device_ptrIiEEEENSB_INSC_IjEEEESE_iNS9_4plusIvEENS9_8equal_toIvEEiEE10hipError_tPvRmT2_T3_T4_T5_mT6_T7_P12ihipStream_tbENKUlT_T0_E_clISt17integral_constantIbLb0EES10_IbLb1EEEEDaSW_SX_EUlSW_E_NS1_11comp_targetILNS1_3genE4ELNS1_11target_archE910ELNS1_3gpuE8ELNS1_3repE0EEENS1_30default_config_static_selectorELNS0_4arch9wavefront6targetE0EEEvT1_,"axG",@progbits,_ZN7rocprim17ROCPRIM_400000_NS6detail17trampoline_kernelINS0_14default_configENS1_27scan_by_key_config_selectorIiiEEZZNS1_16scan_by_key_implILNS1_25lookback_scan_determinismE0ELb1ES3_N6thrust23THRUST_200600_302600_NS6detail15normal_iteratorINS9_10device_ptrIiEEEENSB_INSC_IjEEEESE_iNS9_4plusIvEENS9_8equal_toIvEEiEE10hipError_tPvRmT2_T3_T4_T5_mT6_T7_P12ihipStream_tbENKUlT_T0_E_clISt17integral_constantIbLb0EES10_IbLb1EEEEDaSW_SX_EUlSW_E_NS1_11comp_targetILNS1_3genE4ELNS1_11target_archE910ELNS1_3gpuE8ELNS1_3repE0EEENS1_30default_config_static_selectorELNS0_4arch9wavefront6targetE0EEEvT1_,comdat
.Lfunc_end1782:
	.size	_ZN7rocprim17ROCPRIM_400000_NS6detail17trampoline_kernelINS0_14default_configENS1_27scan_by_key_config_selectorIiiEEZZNS1_16scan_by_key_implILNS1_25lookback_scan_determinismE0ELb1ES3_N6thrust23THRUST_200600_302600_NS6detail15normal_iteratorINS9_10device_ptrIiEEEENSB_INSC_IjEEEESE_iNS9_4plusIvEENS9_8equal_toIvEEiEE10hipError_tPvRmT2_T3_T4_T5_mT6_T7_P12ihipStream_tbENKUlT_T0_E_clISt17integral_constantIbLb0EES10_IbLb1EEEEDaSW_SX_EUlSW_E_NS1_11comp_targetILNS1_3genE4ELNS1_11target_archE910ELNS1_3gpuE8ELNS1_3repE0EEENS1_30default_config_static_selectorELNS0_4arch9wavefront6targetE0EEEvT1_, .Lfunc_end1782-_ZN7rocprim17ROCPRIM_400000_NS6detail17trampoline_kernelINS0_14default_configENS1_27scan_by_key_config_selectorIiiEEZZNS1_16scan_by_key_implILNS1_25lookback_scan_determinismE0ELb1ES3_N6thrust23THRUST_200600_302600_NS6detail15normal_iteratorINS9_10device_ptrIiEEEENSB_INSC_IjEEEESE_iNS9_4plusIvEENS9_8equal_toIvEEiEE10hipError_tPvRmT2_T3_T4_T5_mT6_T7_P12ihipStream_tbENKUlT_T0_E_clISt17integral_constantIbLb0EES10_IbLb1EEEEDaSW_SX_EUlSW_E_NS1_11comp_targetILNS1_3genE4ELNS1_11target_archE910ELNS1_3gpuE8ELNS1_3repE0EEENS1_30default_config_static_selectorELNS0_4arch9wavefront6targetE0EEEvT1_
                                        ; -- End function
	.set _ZN7rocprim17ROCPRIM_400000_NS6detail17trampoline_kernelINS0_14default_configENS1_27scan_by_key_config_selectorIiiEEZZNS1_16scan_by_key_implILNS1_25lookback_scan_determinismE0ELb1ES3_N6thrust23THRUST_200600_302600_NS6detail15normal_iteratorINS9_10device_ptrIiEEEENSB_INSC_IjEEEESE_iNS9_4plusIvEENS9_8equal_toIvEEiEE10hipError_tPvRmT2_T3_T4_T5_mT6_T7_P12ihipStream_tbENKUlT_T0_E_clISt17integral_constantIbLb0EES10_IbLb1EEEEDaSW_SX_EUlSW_E_NS1_11comp_targetILNS1_3genE4ELNS1_11target_archE910ELNS1_3gpuE8ELNS1_3repE0EEENS1_30default_config_static_selectorELNS0_4arch9wavefront6targetE0EEEvT1_.num_vgpr, 0
	.set _ZN7rocprim17ROCPRIM_400000_NS6detail17trampoline_kernelINS0_14default_configENS1_27scan_by_key_config_selectorIiiEEZZNS1_16scan_by_key_implILNS1_25lookback_scan_determinismE0ELb1ES3_N6thrust23THRUST_200600_302600_NS6detail15normal_iteratorINS9_10device_ptrIiEEEENSB_INSC_IjEEEESE_iNS9_4plusIvEENS9_8equal_toIvEEiEE10hipError_tPvRmT2_T3_T4_T5_mT6_T7_P12ihipStream_tbENKUlT_T0_E_clISt17integral_constantIbLb0EES10_IbLb1EEEEDaSW_SX_EUlSW_E_NS1_11comp_targetILNS1_3genE4ELNS1_11target_archE910ELNS1_3gpuE8ELNS1_3repE0EEENS1_30default_config_static_selectorELNS0_4arch9wavefront6targetE0EEEvT1_.num_agpr, 0
	.set _ZN7rocprim17ROCPRIM_400000_NS6detail17trampoline_kernelINS0_14default_configENS1_27scan_by_key_config_selectorIiiEEZZNS1_16scan_by_key_implILNS1_25lookback_scan_determinismE0ELb1ES3_N6thrust23THRUST_200600_302600_NS6detail15normal_iteratorINS9_10device_ptrIiEEEENSB_INSC_IjEEEESE_iNS9_4plusIvEENS9_8equal_toIvEEiEE10hipError_tPvRmT2_T3_T4_T5_mT6_T7_P12ihipStream_tbENKUlT_T0_E_clISt17integral_constantIbLb0EES10_IbLb1EEEEDaSW_SX_EUlSW_E_NS1_11comp_targetILNS1_3genE4ELNS1_11target_archE910ELNS1_3gpuE8ELNS1_3repE0EEENS1_30default_config_static_selectorELNS0_4arch9wavefront6targetE0EEEvT1_.numbered_sgpr, 0
	.set _ZN7rocprim17ROCPRIM_400000_NS6detail17trampoline_kernelINS0_14default_configENS1_27scan_by_key_config_selectorIiiEEZZNS1_16scan_by_key_implILNS1_25lookback_scan_determinismE0ELb1ES3_N6thrust23THRUST_200600_302600_NS6detail15normal_iteratorINS9_10device_ptrIiEEEENSB_INSC_IjEEEESE_iNS9_4plusIvEENS9_8equal_toIvEEiEE10hipError_tPvRmT2_T3_T4_T5_mT6_T7_P12ihipStream_tbENKUlT_T0_E_clISt17integral_constantIbLb0EES10_IbLb1EEEEDaSW_SX_EUlSW_E_NS1_11comp_targetILNS1_3genE4ELNS1_11target_archE910ELNS1_3gpuE8ELNS1_3repE0EEENS1_30default_config_static_selectorELNS0_4arch9wavefront6targetE0EEEvT1_.num_named_barrier, 0
	.set _ZN7rocprim17ROCPRIM_400000_NS6detail17trampoline_kernelINS0_14default_configENS1_27scan_by_key_config_selectorIiiEEZZNS1_16scan_by_key_implILNS1_25lookback_scan_determinismE0ELb1ES3_N6thrust23THRUST_200600_302600_NS6detail15normal_iteratorINS9_10device_ptrIiEEEENSB_INSC_IjEEEESE_iNS9_4plusIvEENS9_8equal_toIvEEiEE10hipError_tPvRmT2_T3_T4_T5_mT6_T7_P12ihipStream_tbENKUlT_T0_E_clISt17integral_constantIbLb0EES10_IbLb1EEEEDaSW_SX_EUlSW_E_NS1_11comp_targetILNS1_3genE4ELNS1_11target_archE910ELNS1_3gpuE8ELNS1_3repE0EEENS1_30default_config_static_selectorELNS0_4arch9wavefront6targetE0EEEvT1_.private_seg_size, 0
	.set _ZN7rocprim17ROCPRIM_400000_NS6detail17trampoline_kernelINS0_14default_configENS1_27scan_by_key_config_selectorIiiEEZZNS1_16scan_by_key_implILNS1_25lookback_scan_determinismE0ELb1ES3_N6thrust23THRUST_200600_302600_NS6detail15normal_iteratorINS9_10device_ptrIiEEEENSB_INSC_IjEEEESE_iNS9_4plusIvEENS9_8equal_toIvEEiEE10hipError_tPvRmT2_T3_T4_T5_mT6_T7_P12ihipStream_tbENKUlT_T0_E_clISt17integral_constantIbLb0EES10_IbLb1EEEEDaSW_SX_EUlSW_E_NS1_11comp_targetILNS1_3genE4ELNS1_11target_archE910ELNS1_3gpuE8ELNS1_3repE0EEENS1_30default_config_static_selectorELNS0_4arch9wavefront6targetE0EEEvT1_.uses_vcc, 0
	.set _ZN7rocprim17ROCPRIM_400000_NS6detail17trampoline_kernelINS0_14default_configENS1_27scan_by_key_config_selectorIiiEEZZNS1_16scan_by_key_implILNS1_25lookback_scan_determinismE0ELb1ES3_N6thrust23THRUST_200600_302600_NS6detail15normal_iteratorINS9_10device_ptrIiEEEENSB_INSC_IjEEEESE_iNS9_4plusIvEENS9_8equal_toIvEEiEE10hipError_tPvRmT2_T3_T4_T5_mT6_T7_P12ihipStream_tbENKUlT_T0_E_clISt17integral_constantIbLb0EES10_IbLb1EEEEDaSW_SX_EUlSW_E_NS1_11comp_targetILNS1_3genE4ELNS1_11target_archE910ELNS1_3gpuE8ELNS1_3repE0EEENS1_30default_config_static_selectorELNS0_4arch9wavefront6targetE0EEEvT1_.uses_flat_scratch, 0
	.set _ZN7rocprim17ROCPRIM_400000_NS6detail17trampoline_kernelINS0_14default_configENS1_27scan_by_key_config_selectorIiiEEZZNS1_16scan_by_key_implILNS1_25lookback_scan_determinismE0ELb1ES3_N6thrust23THRUST_200600_302600_NS6detail15normal_iteratorINS9_10device_ptrIiEEEENSB_INSC_IjEEEESE_iNS9_4plusIvEENS9_8equal_toIvEEiEE10hipError_tPvRmT2_T3_T4_T5_mT6_T7_P12ihipStream_tbENKUlT_T0_E_clISt17integral_constantIbLb0EES10_IbLb1EEEEDaSW_SX_EUlSW_E_NS1_11comp_targetILNS1_3genE4ELNS1_11target_archE910ELNS1_3gpuE8ELNS1_3repE0EEENS1_30default_config_static_selectorELNS0_4arch9wavefront6targetE0EEEvT1_.has_dyn_sized_stack, 0
	.set _ZN7rocprim17ROCPRIM_400000_NS6detail17trampoline_kernelINS0_14default_configENS1_27scan_by_key_config_selectorIiiEEZZNS1_16scan_by_key_implILNS1_25lookback_scan_determinismE0ELb1ES3_N6thrust23THRUST_200600_302600_NS6detail15normal_iteratorINS9_10device_ptrIiEEEENSB_INSC_IjEEEESE_iNS9_4plusIvEENS9_8equal_toIvEEiEE10hipError_tPvRmT2_T3_T4_T5_mT6_T7_P12ihipStream_tbENKUlT_T0_E_clISt17integral_constantIbLb0EES10_IbLb1EEEEDaSW_SX_EUlSW_E_NS1_11comp_targetILNS1_3genE4ELNS1_11target_archE910ELNS1_3gpuE8ELNS1_3repE0EEENS1_30default_config_static_selectorELNS0_4arch9wavefront6targetE0EEEvT1_.has_recursion, 0
	.set _ZN7rocprim17ROCPRIM_400000_NS6detail17trampoline_kernelINS0_14default_configENS1_27scan_by_key_config_selectorIiiEEZZNS1_16scan_by_key_implILNS1_25lookback_scan_determinismE0ELb1ES3_N6thrust23THRUST_200600_302600_NS6detail15normal_iteratorINS9_10device_ptrIiEEEENSB_INSC_IjEEEESE_iNS9_4plusIvEENS9_8equal_toIvEEiEE10hipError_tPvRmT2_T3_T4_T5_mT6_T7_P12ihipStream_tbENKUlT_T0_E_clISt17integral_constantIbLb0EES10_IbLb1EEEEDaSW_SX_EUlSW_E_NS1_11comp_targetILNS1_3genE4ELNS1_11target_archE910ELNS1_3gpuE8ELNS1_3repE0EEENS1_30default_config_static_selectorELNS0_4arch9wavefront6targetE0EEEvT1_.has_indirect_call, 0
	.section	.AMDGPU.csdata,"",@progbits
; Kernel info:
; codeLenInByte = 0
; TotalNumSgprs: 0
; NumVgprs: 0
; ScratchSize: 0
; MemoryBound: 0
; FloatMode: 240
; IeeeMode: 1
; LDSByteSize: 0 bytes/workgroup (compile time only)
; SGPRBlocks: 0
; VGPRBlocks: 0
; NumSGPRsForWavesPerEU: 1
; NumVGPRsForWavesPerEU: 1
; Occupancy: 16
; WaveLimiterHint : 0
; COMPUTE_PGM_RSRC2:SCRATCH_EN: 0
; COMPUTE_PGM_RSRC2:USER_SGPR: 6
; COMPUTE_PGM_RSRC2:TRAP_HANDLER: 0
; COMPUTE_PGM_RSRC2:TGID_X_EN: 1
; COMPUTE_PGM_RSRC2:TGID_Y_EN: 0
; COMPUTE_PGM_RSRC2:TGID_Z_EN: 0
; COMPUTE_PGM_RSRC2:TIDIG_COMP_CNT: 0
	.section	.text._ZN7rocprim17ROCPRIM_400000_NS6detail17trampoline_kernelINS0_14default_configENS1_27scan_by_key_config_selectorIiiEEZZNS1_16scan_by_key_implILNS1_25lookback_scan_determinismE0ELb1ES3_N6thrust23THRUST_200600_302600_NS6detail15normal_iteratorINS9_10device_ptrIiEEEENSB_INSC_IjEEEESE_iNS9_4plusIvEENS9_8equal_toIvEEiEE10hipError_tPvRmT2_T3_T4_T5_mT6_T7_P12ihipStream_tbENKUlT_T0_E_clISt17integral_constantIbLb0EES10_IbLb1EEEEDaSW_SX_EUlSW_E_NS1_11comp_targetILNS1_3genE3ELNS1_11target_archE908ELNS1_3gpuE7ELNS1_3repE0EEENS1_30default_config_static_selectorELNS0_4arch9wavefront6targetE0EEEvT1_,"axG",@progbits,_ZN7rocprim17ROCPRIM_400000_NS6detail17trampoline_kernelINS0_14default_configENS1_27scan_by_key_config_selectorIiiEEZZNS1_16scan_by_key_implILNS1_25lookback_scan_determinismE0ELb1ES3_N6thrust23THRUST_200600_302600_NS6detail15normal_iteratorINS9_10device_ptrIiEEEENSB_INSC_IjEEEESE_iNS9_4plusIvEENS9_8equal_toIvEEiEE10hipError_tPvRmT2_T3_T4_T5_mT6_T7_P12ihipStream_tbENKUlT_T0_E_clISt17integral_constantIbLb0EES10_IbLb1EEEEDaSW_SX_EUlSW_E_NS1_11comp_targetILNS1_3genE3ELNS1_11target_archE908ELNS1_3gpuE7ELNS1_3repE0EEENS1_30default_config_static_selectorELNS0_4arch9wavefront6targetE0EEEvT1_,comdat
	.protected	_ZN7rocprim17ROCPRIM_400000_NS6detail17trampoline_kernelINS0_14default_configENS1_27scan_by_key_config_selectorIiiEEZZNS1_16scan_by_key_implILNS1_25lookback_scan_determinismE0ELb1ES3_N6thrust23THRUST_200600_302600_NS6detail15normal_iteratorINS9_10device_ptrIiEEEENSB_INSC_IjEEEESE_iNS9_4plusIvEENS9_8equal_toIvEEiEE10hipError_tPvRmT2_T3_T4_T5_mT6_T7_P12ihipStream_tbENKUlT_T0_E_clISt17integral_constantIbLb0EES10_IbLb1EEEEDaSW_SX_EUlSW_E_NS1_11comp_targetILNS1_3genE3ELNS1_11target_archE908ELNS1_3gpuE7ELNS1_3repE0EEENS1_30default_config_static_selectorELNS0_4arch9wavefront6targetE0EEEvT1_ ; -- Begin function _ZN7rocprim17ROCPRIM_400000_NS6detail17trampoline_kernelINS0_14default_configENS1_27scan_by_key_config_selectorIiiEEZZNS1_16scan_by_key_implILNS1_25lookback_scan_determinismE0ELb1ES3_N6thrust23THRUST_200600_302600_NS6detail15normal_iteratorINS9_10device_ptrIiEEEENSB_INSC_IjEEEESE_iNS9_4plusIvEENS9_8equal_toIvEEiEE10hipError_tPvRmT2_T3_T4_T5_mT6_T7_P12ihipStream_tbENKUlT_T0_E_clISt17integral_constantIbLb0EES10_IbLb1EEEEDaSW_SX_EUlSW_E_NS1_11comp_targetILNS1_3genE3ELNS1_11target_archE908ELNS1_3gpuE7ELNS1_3repE0EEENS1_30default_config_static_selectorELNS0_4arch9wavefront6targetE0EEEvT1_
	.globl	_ZN7rocprim17ROCPRIM_400000_NS6detail17trampoline_kernelINS0_14default_configENS1_27scan_by_key_config_selectorIiiEEZZNS1_16scan_by_key_implILNS1_25lookback_scan_determinismE0ELb1ES3_N6thrust23THRUST_200600_302600_NS6detail15normal_iteratorINS9_10device_ptrIiEEEENSB_INSC_IjEEEESE_iNS9_4plusIvEENS9_8equal_toIvEEiEE10hipError_tPvRmT2_T3_T4_T5_mT6_T7_P12ihipStream_tbENKUlT_T0_E_clISt17integral_constantIbLb0EES10_IbLb1EEEEDaSW_SX_EUlSW_E_NS1_11comp_targetILNS1_3genE3ELNS1_11target_archE908ELNS1_3gpuE7ELNS1_3repE0EEENS1_30default_config_static_selectorELNS0_4arch9wavefront6targetE0EEEvT1_
	.p2align	8
	.type	_ZN7rocprim17ROCPRIM_400000_NS6detail17trampoline_kernelINS0_14default_configENS1_27scan_by_key_config_selectorIiiEEZZNS1_16scan_by_key_implILNS1_25lookback_scan_determinismE0ELb1ES3_N6thrust23THRUST_200600_302600_NS6detail15normal_iteratorINS9_10device_ptrIiEEEENSB_INSC_IjEEEESE_iNS9_4plusIvEENS9_8equal_toIvEEiEE10hipError_tPvRmT2_T3_T4_T5_mT6_T7_P12ihipStream_tbENKUlT_T0_E_clISt17integral_constantIbLb0EES10_IbLb1EEEEDaSW_SX_EUlSW_E_NS1_11comp_targetILNS1_3genE3ELNS1_11target_archE908ELNS1_3gpuE7ELNS1_3repE0EEENS1_30default_config_static_selectorELNS0_4arch9wavefront6targetE0EEEvT1_,@function
_ZN7rocprim17ROCPRIM_400000_NS6detail17trampoline_kernelINS0_14default_configENS1_27scan_by_key_config_selectorIiiEEZZNS1_16scan_by_key_implILNS1_25lookback_scan_determinismE0ELb1ES3_N6thrust23THRUST_200600_302600_NS6detail15normal_iteratorINS9_10device_ptrIiEEEENSB_INSC_IjEEEESE_iNS9_4plusIvEENS9_8equal_toIvEEiEE10hipError_tPvRmT2_T3_T4_T5_mT6_T7_P12ihipStream_tbENKUlT_T0_E_clISt17integral_constantIbLb0EES10_IbLb1EEEEDaSW_SX_EUlSW_E_NS1_11comp_targetILNS1_3genE3ELNS1_11target_archE908ELNS1_3gpuE7ELNS1_3repE0EEENS1_30default_config_static_selectorELNS0_4arch9wavefront6targetE0EEEvT1_: ; @_ZN7rocprim17ROCPRIM_400000_NS6detail17trampoline_kernelINS0_14default_configENS1_27scan_by_key_config_selectorIiiEEZZNS1_16scan_by_key_implILNS1_25lookback_scan_determinismE0ELb1ES3_N6thrust23THRUST_200600_302600_NS6detail15normal_iteratorINS9_10device_ptrIiEEEENSB_INSC_IjEEEESE_iNS9_4plusIvEENS9_8equal_toIvEEiEE10hipError_tPvRmT2_T3_T4_T5_mT6_T7_P12ihipStream_tbENKUlT_T0_E_clISt17integral_constantIbLb0EES10_IbLb1EEEEDaSW_SX_EUlSW_E_NS1_11comp_targetILNS1_3genE3ELNS1_11target_archE908ELNS1_3gpuE7ELNS1_3repE0EEENS1_30default_config_static_selectorELNS0_4arch9wavefront6targetE0EEEvT1_
; %bb.0:
	.section	.rodata,"a",@progbits
	.p2align	6, 0x0
	.amdhsa_kernel _ZN7rocprim17ROCPRIM_400000_NS6detail17trampoline_kernelINS0_14default_configENS1_27scan_by_key_config_selectorIiiEEZZNS1_16scan_by_key_implILNS1_25lookback_scan_determinismE0ELb1ES3_N6thrust23THRUST_200600_302600_NS6detail15normal_iteratorINS9_10device_ptrIiEEEENSB_INSC_IjEEEESE_iNS9_4plusIvEENS9_8equal_toIvEEiEE10hipError_tPvRmT2_T3_T4_T5_mT6_T7_P12ihipStream_tbENKUlT_T0_E_clISt17integral_constantIbLb0EES10_IbLb1EEEEDaSW_SX_EUlSW_E_NS1_11comp_targetILNS1_3genE3ELNS1_11target_archE908ELNS1_3gpuE7ELNS1_3repE0EEENS1_30default_config_static_selectorELNS0_4arch9wavefront6targetE0EEEvT1_
		.amdhsa_group_segment_fixed_size 0
		.amdhsa_private_segment_fixed_size 0
		.amdhsa_kernarg_size 112
		.amdhsa_user_sgpr_count 6
		.amdhsa_user_sgpr_private_segment_buffer 1
		.amdhsa_user_sgpr_dispatch_ptr 0
		.amdhsa_user_sgpr_queue_ptr 0
		.amdhsa_user_sgpr_kernarg_segment_ptr 1
		.amdhsa_user_sgpr_dispatch_id 0
		.amdhsa_user_sgpr_flat_scratch_init 0
		.amdhsa_user_sgpr_private_segment_size 0
		.amdhsa_wavefront_size32 1
		.amdhsa_uses_dynamic_stack 0
		.amdhsa_system_sgpr_private_segment_wavefront_offset 0
		.amdhsa_system_sgpr_workgroup_id_x 1
		.amdhsa_system_sgpr_workgroup_id_y 0
		.amdhsa_system_sgpr_workgroup_id_z 0
		.amdhsa_system_sgpr_workgroup_info 0
		.amdhsa_system_vgpr_workitem_id 0
		.amdhsa_next_free_vgpr 1
		.amdhsa_next_free_sgpr 1
		.amdhsa_reserve_vcc 0
		.amdhsa_reserve_flat_scratch 0
		.amdhsa_float_round_mode_32 0
		.amdhsa_float_round_mode_16_64 0
		.amdhsa_float_denorm_mode_32 3
		.amdhsa_float_denorm_mode_16_64 3
		.amdhsa_dx10_clamp 1
		.amdhsa_ieee_mode 1
		.amdhsa_fp16_overflow 0
		.amdhsa_workgroup_processor_mode 1
		.amdhsa_memory_ordered 1
		.amdhsa_forward_progress 1
		.amdhsa_shared_vgpr_count 0
		.amdhsa_exception_fp_ieee_invalid_op 0
		.amdhsa_exception_fp_denorm_src 0
		.amdhsa_exception_fp_ieee_div_zero 0
		.amdhsa_exception_fp_ieee_overflow 0
		.amdhsa_exception_fp_ieee_underflow 0
		.amdhsa_exception_fp_ieee_inexact 0
		.amdhsa_exception_int_div_zero 0
	.end_amdhsa_kernel
	.section	.text._ZN7rocprim17ROCPRIM_400000_NS6detail17trampoline_kernelINS0_14default_configENS1_27scan_by_key_config_selectorIiiEEZZNS1_16scan_by_key_implILNS1_25lookback_scan_determinismE0ELb1ES3_N6thrust23THRUST_200600_302600_NS6detail15normal_iteratorINS9_10device_ptrIiEEEENSB_INSC_IjEEEESE_iNS9_4plusIvEENS9_8equal_toIvEEiEE10hipError_tPvRmT2_T3_T4_T5_mT6_T7_P12ihipStream_tbENKUlT_T0_E_clISt17integral_constantIbLb0EES10_IbLb1EEEEDaSW_SX_EUlSW_E_NS1_11comp_targetILNS1_3genE3ELNS1_11target_archE908ELNS1_3gpuE7ELNS1_3repE0EEENS1_30default_config_static_selectorELNS0_4arch9wavefront6targetE0EEEvT1_,"axG",@progbits,_ZN7rocprim17ROCPRIM_400000_NS6detail17trampoline_kernelINS0_14default_configENS1_27scan_by_key_config_selectorIiiEEZZNS1_16scan_by_key_implILNS1_25lookback_scan_determinismE0ELb1ES3_N6thrust23THRUST_200600_302600_NS6detail15normal_iteratorINS9_10device_ptrIiEEEENSB_INSC_IjEEEESE_iNS9_4plusIvEENS9_8equal_toIvEEiEE10hipError_tPvRmT2_T3_T4_T5_mT6_T7_P12ihipStream_tbENKUlT_T0_E_clISt17integral_constantIbLb0EES10_IbLb1EEEEDaSW_SX_EUlSW_E_NS1_11comp_targetILNS1_3genE3ELNS1_11target_archE908ELNS1_3gpuE7ELNS1_3repE0EEENS1_30default_config_static_selectorELNS0_4arch9wavefront6targetE0EEEvT1_,comdat
.Lfunc_end1783:
	.size	_ZN7rocprim17ROCPRIM_400000_NS6detail17trampoline_kernelINS0_14default_configENS1_27scan_by_key_config_selectorIiiEEZZNS1_16scan_by_key_implILNS1_25lookback_scan_determinismE0ELb1ES3_N6thrust23THRUST_200600_302600_NS6detail15normal_iteratorINS9_10device_ptrIiEEEENSB_INSC_IjEEEESE_iNS9_4plusIvEENS9_8equal_toIvEEiEE10hipError_tPvRmT2_T3_T4_T5_mT6_T7_P12ihipStream_tbENKUlT_T0_E_clISt17integral_constantIbLb0EES10_IbLb1EEEEDaSW_SX_EUlSW_E_NS1_11comp_targetILNS1_3genE3ELNS1_11target_archE908ELNS1_3gpuE7ELNS1_3repE0EEENS1_30default_config_static_selectorELNS0_4arch9wavefront6targetE0EEEvT1_, .Lfunc_end1783-_ZN7rocprim17ROCPRIM_400000_NS6detail17trampoline_kernelINS0_14default_configENS1_27scan_by_key_config_selectorIiiEEZZNS1_16scan_by_key_implILNS1_25lookback_scan_determinismE0ELb1ES3_N6thrust23THRUST_200600_302600_NS6detail15normal_iteratorINS9_10device_ptrIiEEEENSB_INSC_IjEEEESE_iNS9_4plusIvEENS9_8equal_toIvEEiEE10hipError_tPvRmT2_T3_T4_T5_mT6_T7_P12ihipStream_tbENKUlT_T0_E_clISt17integral_constantIbLb0EES10_IbLb1EEEEDaSW_SX_EUlSW_E_NS1_11comp_targetILNS1_3genE3ELNS1_11target_archE908ELNS1_3gpuE7ELNS1_3repE0EEENS1_30default_config_static_selectorELNS0_4arch9wavefront6targetE0EEEvT1_
                                        ; -- End function
	.set _ZN7rocprim17ROCPRIM_400000_NS6detail17trampoline_kernelINS0_14default_configENS1_27scan_by_key_config_selectorIiiEEZZNS1_16scan_by_key_implILNS1_25lookback_scan_determinismE0ELb1ES3_N6thrust23THRUST_200600_302600_NS6detail15normal_iteratorINS9_10device_ptrIiEEEENSB_INSC_IjEEEESE_iNS9_4plusIvEENS9_8equal_toIvEEiEE10hipError_tPvRmT2_T3_T4_T5_mT6_T7_P12ihipStream_tbENKUlT_T0_E_clISt17integral_constantIbLb0EES10_IbLb1EEEEDaSW_SX_EUlSW_E_NS1_11comp_targetILNS1_3genE3ELNS1_11target_archE908ELNS1_3gpuE7ELNS1_3repE0EEENS1_30default_config_static_selectorELNS0_4arch9wavefront6targetE0EEEvT1_.num_vgpr, 0
	.set _ZN7rocprim17ROCPRIM_400000_NS6detail17trampoline_kernelINS0_14default_configENS1_27scan_by_key_config_selectorIiiEEZZNS1_16scan_by_key_implILNS1_25lookback_scan_determinismE0ELb1ES3_N6thrust23THRUST_200600_302600_NS6detail15normal_iteratorINS9_10device_ptrIiEEEENSB_INSC_IjEEEESE_iNS9_4plusIvEENS9_8equal_toIvEEiEE10hipError_tPvRmT2_T3_T4_T5_mT6_T7_P12ihipStream_tbENKUlT_T0_E_clISt17integral_constantIbLb0EES10_IbLb1EEEEDaSW_SX_EUlSW_E_NS1_11comp_targetILNS1_3genE3ELNS1_11target_archE908ELNS1_3gpuE7ELNS1_3repE0EEENS1_30default_config_static_selectorELNS0_4arch9wavefront6targetE0EEEvT1_.num_agpr, 0
	.set _ZN7rocprim17ROCPRIM_400000_NS6detail17trampoline_kernelINS0_14default_configENS1_27scan_by_key_config_selectorIiiEEZZNS1_16scan_by_key_implILNS1_25lookback_scan_determinismE0ELb1ES3_N6thrust23THRUST_200600_302600_NS6detail15normal_iteratorINS9_10device_ptrIiEEEENSB_INSC_IjEEEESE_iNS9_4plusIvEENS9_8equal_toIvEEiEE10hipError_tPvRmT2_T3_T4_T5_mT6_T7_P12ihipStream_tbENKUlT_T0_E_clISt17integral_constantIbLb0EES10_IbLb1EEEEDaSW_SX_EUlSW_E_NS1_11comp_targetILNS1_3genE3ELNS1_11target_archE908ELNS1_3gpuE7ELNS1_3repE0EEENS1_30default_config_static_selectorELNS0_4arch9wavefront6targetE0EEEvT1_.numbered_sgpr, 0
	.set _ZN7rocprim17ROCPRIM_400000_NS6detail17trampoline_kernelINS0_14default_configENS1_27scan_by_key_config_selectorIiiEEZZNS1_16scan_by_key_implILNS1_25lookback_scan_determinismE0ELb1ES3_N6thrust23THRUST_200600_302600_NS6detail15normal_iteratorINS9_10device_ptrIiEEEENSB_INSC_IjEEEESE_iNS9_4plusIvEENS9_8equal_toIvEEiEE10hipError_tPvRmT2_T3_T4_T5_mT6_T7_P12ihipStream_tbENKUlT_T0_E_clISt17integral_constantIbLb0EES10_IbLb1EEEEDaSW_SX_EUlSW_E_NS1_11comp_targetILNS1_3genE3ELNS1_11target_archE908ELNS1_3gpuE7ELNS1_3repE0EEENS1_30default_config_static_selectorELNS0_4arch9wavefront6targetE0EEEvT1_.num_named_barrier, 0
	.set _ZN7rocprim17ROCPRIM_400000_NS6detail17trampoline_kernelINS0_14default_configENS1_27scan_by_key_config_selectorIiiEEZZNS1_16scan_by_key_implILNS1_25lookback_scan_determinismE0ELb1ES3_N6thrust23THRUST_200600_302600_NS6detail15normal_iteratorINS9_10device_ptrIiEEEENSB_INSC_IjEEEESE_iNS9_4plusIvEENS9_8equal_toIvEEiEE10hipError_tPvRmT2_T3_T4_T5_mT6_T7_P12ihipStream_tbENKUlT_T0_E_clISt17integral_constantIbLb0EES10_IbLb1EEEEDaSW_SX_EUlSW_E_NS1_11comp_targetILNS1_3genE3ELNS1_11target_archE908ELNS1_3gpuE7ELNS1_3repE0EEENS1_30default_config_static_selectorELNS0_4arch9wavefront6targetE0EEEvT1_.private_seg_size, 0
	.set _ZN7rocprim17ROCPRIM_400000_NS6detail17trampoline_kernelINS0_14default_configENS1_27scan_by_key_config_selectorIiiEEZZNS1_16scan_by_key_implILNS1_25lookback_scan_determinismE0ELb1ES3_N6thrust23THRUST_200600_302600_NS6detail15normal_iteratorINS9_10device_ptrIiEEEENSB_INSC_IjEEEESE_iNS9_4plusIvEENS9_8equal_toIvEEiEE10hipError_tPvRmT2_T3_T4_T5_mT6_T7_P12ihipStream_tbENKUlT_T0_E_clISt17integral_constantIbLb0EES10_IbLb1EEEEDaSW_SX_EUlSW_E_NS1_11comp_targetILNS1_3genE3ELNS1_11target_archE908ELNS1_3gpuE7ELNS1_3repE0EEENS1_30default_config_static_selectorELNS0_4arch9wavefront6targetE0EEEvT1_.uses_vcc, 0
	.set _ZN7rocprim17ROCPRIM_400000_NS6detail17trampoline_kernelINS0_14default_configENS1_27scan_by_key_config_selectorIiiEEZZNS1_16scan_by_key_implILNS1_25lookback_scan_determinismE0ELb1ES3_N6thrust23THRUST_200600_302600_NS6detail15normal_iteratorINS9_10device_ptrIiEEEENSB_INSC_IjEEEESE_iNS9_4plusIvEENS9_8equal_toIvEEiEE10hipError_tPvRmT2_T3_T4_T5_mT6_T7_P12ihipStream_tbENKUlT_T0_E_clISt17integral_constantIbLb0EES10_IbLb1EEEEDaSW_SX_EUlSW_E_NS1_11comp_targetILNS1_3genE3ELNS1_11target_archE908ELNS1_3gpuE7ELNS1_3repE0EEENS1_30default_config_static_selectorELNS0_4arch9wavefront6targetE0EEEvT1_.uses_flat_scratch, 0
	.set _ZN7rocprim17ROCPRIM_400000_NS6detail17trampoline_kernelINS0_14default_configENS1_27scan_by_key_config_selectorIiiEEZZNS1_16scan_by_key_implILNS1_25lookback_scan_determinismE0ELb1ES3_N6thrust23THRUST_200600_302600_NS6detail15normal_iteratorINS9_10device_ptrIiEEEENSB_INSC_IjEEEESE_iNS9_4plusIvEENS9_8equal_toIvEEiEE10hipError_tPvRmT2_T3_T4_T5_mT6_T7_P12ihipStream_tbENKUlT_T0_E_clISt17integral_constantIbLb0EES10_IbLb1EEEEDaSW_SX_EUlSW_E_NS1_11comp_targetILNS1_3genE3ELNS1_11target_archE908ELNS1_3gpuE7ELNS1_3repE0EEENS1_30default_config_static_selectorELNS0_4arch9wavefront6targetE0EEEvT1_.has_dyn_sized_stack, 0
	.set _ZN7rocprim17ROCPRIM_400000_NS6detail17trampoline_kernelINS0_14default_configENS1_27scan_by_key_config_selectorIiiEEZZNS1_16scan_by_key_implILNS1_25lookback_scan_determinismE0ELb1ES3_N6thrust23THRUST_200600_302600_NS6detail15normal_iteratorINS9_10device_ptrIiEEEENSB_INSC_IjEEEESE_iNS9_4plusIvEENS9_8equal_toIvEEiEE10hipError_tPvRmT2_T3_T4_T5_mT6_T7_P12ihipStream_tbENKUlT_T0_E_clISt17integral_constantIbLb0EES10_IbLb1EEEEDaSW_SX_EUlSW_E_NS1_11comp_targetILNS1_3genE3ELNS1_11target_archE908ELNS1_3gpuE7ELNS1_3repE0EEENS1_30default_config_static_selectorELNS0_4arch9wavefront6targetE0EEEvT1_.has_recursion, 0
	.set _ZN7rocprim17ROCPRIM_400000_NS6detail17trampoline_kernelINS0_14default_configENS1_27scan_by_key_config_selectorIiiEEZZNS1_16scan_by_key_implILNS1_25lookback_scan_determinismE0ELb1ES3_N6thrust23THRUST_200600_302600_NS6detail15normal_iteratorINS9_10device_ptrIiEEEENSB_INSC_IjEEEESE_iNS9_4plusIvEENS9_8equal_toIvEEiEE10hipError_tPvRmT2_T3_T4_T5_mT6_T7_P12ihipStream_tbENKUlT_T0_E_clISt17integral_constantIbLb0EES10_IbLb1EEEEDaSW_SX_EUlSW_E_NS1_11comp_targetILNS1_3genE3ELNS1_11target_archE908ELNS1_3gpuE7ELNS1_3repE0EEENS1_30default_config_static_selectorELNS0_4arch9wavefront6targetE0EEEvT1_.has_indirect_call, 0
	.section	.AMDGPU.csdata,"",@progbits
; Kernel info:
; codeLenInByte = 0
; TotalNumSgprs: 0
; NumVgprs: 0
; ScratchSize: 0
; MemoryBound: 0
; FloatMode: 240
; IeeeMode: 1
; LDSByteSize: 0 bytes/workgroup (compile time only)
; SGPRBlocks: 0
; VGPRBlocks: 0
; NumSGPRsForWavesPerEU: 1
; NumVGPRsForWavesPerEU: 1
; Occupancy: 16
; WaveLimiterHint : 0
; COMPUTE_PGM_RSRC2:SCRATCH_EN: 0
; COMPUTE_PGM_RSRC2:USER_SGPR: 6
; COMPUTE_PGM_RSRC2:TRAP_HANDLER: 0
; COMPUTE_PGM_RSRC2:TGID_X_EN: 1
; COMPUTE_PGM_RSRC2:TGID_Y_EN: 0
; COMPUTE_PGM_RSRC2:TGID_Z_EN: 0
; COMPUTE_PGM_RSRC2:TIDIG_COMP_CNT: 0
	.section	.text._ZN7rocprim17ROCPRIM_400000_NS6detail17trampoline_kernelINS0_14default_configENS1_27scan_by_key_config_selectorIiiEEZZNS1_16scan_by_key_implILNS1_25lookback_scan_determinismE0ELb1ES3_N6thrust23THRUST_200600_302600_NS6detail15normal_iteratorINS9_10device_ptrIiEEEENSB_INSC_IjEEEESE_iNS9_4plusIvEENS9_8equal_toIvEEiEE10hipError_tPvRmT2_T3_T4_T5_mT6_T7_P12ihipStream_tbENKUlT_T0_E_clISt17integral_constantIbLb0EES10_IbLb1EEEEDaSW_SX_EUlSW_E_NS1_11comp_targetILNS1_3genE2ELNS1_11target_archE906ELNS1_3gpuE6ELNS1_3repE0EEENS1_30default_config_static_selectorELNS0_4arch9wavefront6targetE0EEEvT1_,"axG",@progbits,_ZN7rocprim17ROCPRIM_400000_NS6detail17trampoline_kernelINS0_14default_configENS1_27scan_by_key_config_selectorIiiEEZZNS1_16scan_by_key_implILNS1_25lookback_scan_determinismE0ELb1ES3_N6thrust23THRUST_200600_302600_NS6detail15normal_iteratorINS9_10device_ptrIiEEEENSB_INSC_IjEEEESE_iNS9_4plusIvEENS9_8equal_toIvEEiEE10hipError_tPvRmT2_T3_T4_T5_mT6_T7_P12ihipStream_tbENKUlT_T0_E_clISt17integral_constantIbLb0EES10_IbLb1EEEEDaSW_SX_EUlSW_E_NS1_11comp_targetILNS1_3genE2ELNS1_11target_archE906ELNS1_3gpuE6ELNS1_3repE0EEENS1_30default_config_static_selectorELNS0_4arch9wavefront6targetE0EEEvT1_,comdat
	.protected	_ZN7rocprim17ROCPRIM_400000_NS6detail17trampoline_kernelINS0_14default_configENS1_27scan_by_key_config_selectorIiiEEZZNS1_16scan_by_key_implILNS1_25lookback_scan_determinismE0ELb1ES3_N6thrust23THRUST_200600_302600_NS6detail15normal_iteratorINS9_10device_ptrIiEEEENSB_INSC_IjEEEESE_iNS9_4plusIvEENS9_8equal_toIvEEiEE10hipError_tPvRmT2_T3_T4_T5_mT6_T7_P12ihipStream_tbENKUlT_T0_E_clISt17integral_constantIbLb0EES10_IbLb1EEEEDaSW_SX_EUlSW_E_NS1_11comp_targetILNS1_3genE2ELNS1_11target_archE906ELNS1_3gpuE6ELNS1_3repE0EEENS1_30default_config_static_selectorELNS0_4arch9wavefront6targetE0EEEvT1_ ; -- Begin function _ZN7rocprim17ROCPRIM_400000_NS6detail17trampoline_kernelINS0_14default_configENS1_27scan_by_key_config_selectorIiiEEZZNS1_16scan_by_key_implILNS1_25lookback_scan_determinismE0ELb1ES3_N6thrust23THRUST_200600_302600_NS6detail15normal_iteratorINS9_10device_ptrIiEEEENSB_INSC_IjEEEESE_iNS9_4plusIvEENS9_8equal_toIvEEiEE10hipError_tPvRmT2_T3_T4_T5_mT6_T7_P12ihipStream_tbENKUlT_T0_E_clISt17integral_constantIbLb0EES10_IbLb1EEEEDaSW_SX_EUlSW_E_NS1_11comp_targetILNS1_3genE2ELNS1_11target_archE906ELNS1_3gpuE6ELNS1_3repE0EEENS1_30default_config_static_selectorELNS0_4arch9wavefront6targetE0EEEvT1_
	.globl	_ZN7rocprim17ROCPRIM_400000_NS6detail17trampoline_kernelINS0_14default_configENS1_27scan_by_key_config_selectorIiiEEZZNS1_16scan_by_key_implILNS1_25lookback_scan_determinismE0ELb1ES3_N6thrust23THRUST_200600_302600_NS6detail15normal_iteratorINS9_10device_ptrIiEEEENSB_INSC_IjEEEESE_iNS9_4plusIvEENS9_8equal_toIvEEiEE10hipError_tPvRmT2_T3_T4_T5_mT6_T7_P12ihipStream_tbENKUlT_T0_E_clISt17integral_constantIbLb0EES10_IbLb1EEEEDaSW_SX_EUlSW_E_NS1_11comp_targetILNS1_3genE2ELNS1_11target_archE906ELNS1_3gpuE6ELNS1_3repE0EEENS1_30default_config_static_selectorELNS0_4arch9wavefront6targetE0EEEvT1_
	.p2align	8
	.type	_ZN7rocprim17ROCPRIM_400000_NS6detail17trampoline_kernelINS0_14default_configENS1_27scan_by_key_config_selectorIiiEEZZNS1_16scan_by_key_implILNS1_25lookback_scan_determinismE0ELb1ES3_N6thrust23THRUST_200600_302600_NS6detail15normal_iteratorINS9_10device_ptrIiEEEENSB_INSC_IjEEEESE_iNS9_4plusIvEENS9_8equal_toIvEEiEE10hipError_tPvRmT2_T3_T4_T5_mT6_T7_P12ihipStream_tbENKUlT_T0_E_clISt17integral_constantIbLb0EES10_IbLb1EEEEDaSW_SX_EUlSW_E_NS1_11comp_targetILNS1_3genE2ELNS1_11target_archE906ELNS1_3gpuE6ELNS1_3repE0EEENS1_30default_config_static_selectorELNS0_4arch9wavefront6targetE0EEEvT1_,@function
_ZN7rocprim17ROCPRIM_400000_NS6detail17trampoline_kernelINS0_14default_configENS1_27scan_by_key_config_selectorIiiEEZZNS1_16scan_by_key_implILNS1_25lookback_scan_determinismE0ELb1ES3_N6thrust23THRUST_200600_302600_NS6detail15normal_iteratorINS9_10device_ptrIiEEEENSB_INSC_IjEEEESE_iNS9_4plusIvEENS9_8equal_toIvEEiEE10hipError_tPvRmT2_T3_T4_T5_mT6_T7_P12ihipStream_tbENKUlT_T0_E_clISt17integral_constantIbLb0EES10_IbLb1EEEEDaSW_SX_EUlSW_E_NS1_11comp_targetILNS1_3genE2ELNS1_11target_archE906ELNS1_3gpuE6ELNS1_3repE0EEENS1_30default_config_static_selectorELNS0_4arch9wavefront6targetE0EEEvT1_: ; @_ZN7rocprim17ROCPRIM_400000_NS6detail17trampoline_kernelINS0_14default_configENS1_27scan_by_key_config_selectorIiiEEZZNS1_16scan_by_key_implILNS1_25lookback_scan_determinismE0ELb1ES3_N6thrust23THRUST_200600_302600_NS6detail15normal_iteratorINS9_10device_ptrIiEEEENSB_INSC_IjEEEESE_iNS9_4plusIvEENS9_8equal_toIvEEiEE10hipError_tPvRmT2_T3_T4_T5_mT6_T7_P12ihipStream_tbENKUlT_T0_E_clISt17integral_constantIbLb0EES10_IbLb1EEEEDaSW_SX_EUlSW_E_NS1_11comp_targetILNS1_3genE2ELNS1_11target_archE906ELNS1_3gpuE6ELNS1_3repE0EEENS1_30default_config_static_selectorELNS0_4arch9wavefront6targetE0EEEvT1_
; %bb.0:
	.section	.rodata,"a",@progbits
	.p2align	6, 0x0
	.amdhsa_kernel _ZN7rocprim17ROCPRIM_400000_NS6detail17trampoline_kernelINS0_14default_configENS1_27scan_by_key_config_selectorIiiEEZZNS1_16scan_by_key_implILNS1_25lookback_scan_determinismE0ELb1ES3_N6thrust23THRUST_200600_302600_NS6detail15normal_iteratorINS9_10device_ptrIiEEEENSB_INSC_IjEEEESE_iNS9_4plusIvEENS9_8equal_toIvEEiEE10hipError_tPvRmT2_T3_T4_T5_mT6_T7_P12ihipStream_tbENKUlT_T0_E_clISt17integral_constantIbLb0EES10_IbLb1EEEEDaSW_SX_EUlSW_E_NS1_11comp_targetILNS1_3genE2ELNS1_11target_archE906ELNS1_3gpuE6ELNS1_3repE0EEENS1_30default_config_static_selectorELNS0_4arch9wavefront6targetE0EEEvT1_
		.amdhsa_group_segment_fixed_size 0
		.amdhsa_private_segment_fixed_size 0
		.amdhsa_kernarg_size 112
		.amdhsa_user_sgpr_count 6
		.amdhsa_user_sgpr_private_segment_buffer 1
		.amdhsa_user_sgpr_dispatch_ptr 0
		.amdhsa_user_sgpr_queue_ptr 0
		.amdhsa_user_sgpr_kernarg_segment_ptr 1
		.amdhsa_user_sgpr_dispatch_id 0
		.amdhsa_user_sgpr_flat_scratch_init 0
		.amdhsa_user_sgpr_private_segment_size 0
		.amdhsa_wavefront_size32 1
		.amdhsa_uses_dynamic_stack 0
		.amdhsa_system_sgpr_private_segment_wavefront_offset 0
		.amdhsa_system_sgpr_workgroup_id_x 1
		.amdhsa_system_sgpr_workgroup_id_y 0
		.amdhsa_system_sgpr_workgroup_id_z 0
		.amdhsa_system_sgpr_workgroup_info 0
		.amdhsa_system_vgpr_workitem_id 0
		.amdhsa_next_free_vgpr 1
		.amdhsa_next_free_sgpr 1
		.amdhsa_reserve_vcc 0
		.amdhsa_reserve_flat_scratch 0
		.amdhsa_float_round_mode_32 0
		.amdhsa_float_round_mode_16_64 0
		.amdhsa_float_denorm_mode_32 3
		.amdhsa_float_denorm_mode_16_64 3
		.amdhsa_dx10_clamp 1
		.amdhsa_ieee_mode 1
		.amdhsa_fp16_overflow 0
		.amdhsa_workgroup_processor_mode 1
		.amdhsa_memory_ordered 1
		.amdhsa_forward_progress 1
		.amdhsa_shared_vgpr_count 0
		.amdhsa_exception_fp_ieee_invalid_op 0
		.amdhsa_exception_fp_denorm_src 0
		.amdhsa_exception_fp_ieee_div_zero 0
		.amdhsa_exception_fp_ieee_overflow 0
		.amdhsa_exception_fp_ieee_underflow 0
		.amdhsa_exception_fp_ieee_inexact 0
		.amdhsa_exception_int_div_zero 0
	.end_amdhsa_kernel
	.section	.text._ZN7rocprim17ROCPRIM_400000_NS6detail17trampoline_kernelINS0_14default_configENS1_27scan_by_key_config_selectorIiiEEZZNS1_16scan_by_key_implILNS1_25lookback_scan_determinismE0ELb1ES3_N6thrust23THRUST_200600_302600_NS6detail15normal_iteratorINS9_10device_ptrIiEEEENSB_INSC_IjEEEESE_iNS9_4plusIvEENS9_8equal_toIvEEiEE10hipError_tPvRmT2_T3_T4_T5_mT6_T7_P12ihipStream_tbENKUlT_T0_E_clISt17integral_constantIbLb0EES10_IbLb1EEEEDaSW_SX_EUlSW_E_NS1_11comp_targetILNS1_3genE2ELNS1_11target_archE906ELNS1_3gpuE6ELNS1_3repE0EEENS1_30default_config_static_selectorELNS0_4arch9wavefront6targetE0EEEvT1_,"axG",@progbits,_ZN7rocprim17ROCPRIM_400000_NS6detail17trampoline_kernelINS0_14default_configENS1_27scan_by_key_config_selectorIiiEEZZNS1_16scan_by_key_implILNS1_25lookback_scan_determinismE0ELb1ES3_N6thrust23THRUST_200600_302600_NS6detail15normal_iteratorINS9_10device_ptrIiEEEENSB_INSC_IjEEEESE_iNS9_4plusIvEENS9_8equal_toIvEEiEE10hipError_tPvRmT2_T3_T4_T5_mT6_T7_P12ihipStream_tbENKUlT_T0_E_clISt17integral_constantIbLb0EES10_IbLb1EEEEDaSW_SX_EUlSW_E_NS1_11comp_targetILNS1_3genE2ELNS1_11target_archE906ELNS1_3gpuE6ELNS1_3repE0EEENS1_30default_config_static_selectorELNS0_4arch9wavefront6targetE0EEEvT1_,comdat
.Lfunc_end1784:
	.size	_ZN7rocprim17ROCPRIM_400000_NS6detail17trampoline_kernelINS0_14default_configENS1_27scan_by_key_config_selectorIiiEEZZNS1_16scan_by_key_implILNS1_25lookback_scan_determinismE0ELb1ES3_N6thrust23THRUST_200600_302600_NS6detail15normal_iteratorINS9_10device_ptrIiEEEENSB_INSC_IjEEEESE_iNS9_4plusIvEENS9_8equal_toIvEEiEE10hipError_tPvRmT2_T3_T4_T5_mT6_T7_P12ihipStream_tbENKUlT_T0_E_clISt17integral_constantIbLb0EES10_IbLb1EEEEDaSW_SX_EUlSW_E_NS1_11comp_targetILNS1_3genE2ELNS1_11target_archE906ELNS1_3gpuE6ELNS1_3repE0EEENS1_30default_config_static_selectorELNS0_4arch9wavefront6targetE0EEEvT1_, .Lfunc_end1784-_ZN7rocprim17ROCPRIM_400000_NS6detail17trampoline_kernelINS0_14default_configENS1_27scan_by_key_config_selectorIiiEEZZNS1_16scan_by_key_implILNS1_25lookback_scan_determinismE0ELb1ES3_N6thrust23THRUST_200600_302600_NS6detail15normal_iteratorINS9_10device_ptrIiEEEENSB_INSC_IjEEEESE_iNS9_4plusIvEENS9_8equal_toIvEEiEE10hipError_tPvRmT2_T3_T4_T5_mT6_T7_P12ihipStream_tbENKUlT_T0_E_clISt17integral_constantIbLb0EES10_IbLb1EEEEDaSW_SX_EUlSW_E_NS1_11comp_targetILNS1_3genE2ELNS1_11target_archE906ELNS1_3gpuE6ELNS1_3repE0EEENS1_30default_config_static_selectorELNS0_4arch9wavefront6targetE0EEEvT1_
                                        ; -- End function
	.set _ZN7rocprim17ROCPRIM_400000_NS6detail17trampoline_kernelINS0_14default_configENS1_27scan_by_key_config_selectorIiiEEZZNS1_16scan_by_key_implILNS1_25lookback_scan_determinismE0ELb1ES3_N6thrust23THRUST_200600_302600_NS6detail15normal_iteratorINS9_10device_ptrIiEEEENSB_INSC_IjEEEESE_iNS9_4plusIvEENS9_8equal_toIvEEiEE10hipError_tPvRmT2_T3_T4_T5_mT6_T7_P12ihipStream_tbENKUlT_T0_E_clISt17integral_constantIbLb0EES10_IbLb1EEEEDaSW_SX_EUlSW_E_NS1_11comp_targetILNS1_3genE2ELNS1_11target_archE906ELNS1_3gpuE6ELNS1_3repE0EEENS1_30default_config_static_selectorELNS0_4arch9wavefront6targetE0EEEvT1_.num_vgpr, 0
	.set _ZN7rocprim17ROCPRIM_400000_NS6detail17trampoline_kernelINS0_14default_configENS1_27scan_by_key_config_selectorIiiEEZZNS1_16scan_by_key_implILNS1_25lookback_scan_determinismE0ELb1ES3_N6thrust23THRUST_200600_302600_NS6detail15normal_iteratorINS9_10device_ptrIiEEEENSB_INSC_IjEEEESE_iNS9_4plusIvEENS9_8equal_toIvEEiEE10hipError_tPvRmT2_T3_T4_T5_mT6_T7_P12ihipStream_tbENKUlT_T0_E_clISt17integral_constantIbLb0EES10_IbLb1EEEEDaSW_SX_EUlSW_E_NS1_11comp_targetILNS1_3genE2ELNS1_11target_archE906ELNS1_3gpuE6ELNS1_3repE0EEENS1_30default_config_static_selectorELNS0_4arch9wavefront6targetE0EEEvT1_.num_agpr, 0
	.set _ZN7rocprim17ROCPRIM_400000_NS6detail17trampoline_kernelINS0_14default_configENS1_27scan_by_key_config_selectorIiiEEZZNS1_16scan_by_key_implILNS1_25lookback_scan_determinismE0ELb1ES3_N6thrust23THRUST_200600_302600_NS6detail15normal_iteratorINS9_10device_ptrIiEEEENSB_INSC_IjEEEESE_iNS9_4plusIvEENS9_8equal_toIvEEiEE10hipError_tPvRmT2_T3_T4_T5_mT6_T7_P12ihipStream_tbENKUlT_T0_E_clISt17integral_constantIbLb0EES10_IbLb1EEEEDaSW_SX_EUlSW_E_NS1_11comp_targetILNS1_3genE2ELNS1_11target_archE906ELNS1_3gpuE6ELNS1_3repE0EEENS1_30default_config_static_selectorELNS0_4arch9wavefront6targetE0EEEvT1_.numbered_sgpr, 0
	.set _ZN7rocprim17ROCPRIM_400000_NS6detail17trampoline_kernelINS0_14default_configENS1_27scan_by_key_config_selectorIiiEEZZNS1_16scan_by_key_implILNS1_25lookback_scan_determinismE0ELb1ES3_N6thrust23THRUST_200600_302600_NS6detail15normal_iteratorINS9_10device_ptrIiEEEENSB_INSC_IjEEEESE_iNS9_4plusIvEENS9_8equal_toIvEEiEE10hipError_tPvRmT2_T3_T4_T5_mT6_T7_P12ihipStream_tbENKUlT_T0_E_clISt17integral_constantIbLb0EES10_IbLb1EEEEDaSW_SX_EUlSW_E_NS1_11comp_targetILNS1_3genE2ELNS1_11target_archE906ELNS1_3gpuE6ELNS1_3repE0EEENS1_30default_config_static_selectorELNS0_4arch9wavefront6targetE0EEEvT1_.num_named_barrier, 0
	.set _ZN7rocprim17ROCPRIM_400000_NS6detail17trampoline_kernelINS0_14default_configENS1_27scan_by_key_config_selectorIiiEEZZNS1_16scan_by_key_implILNS1_25lookback_scan_determinismE0ELb1ES3_N6thrust23THRUST_200600_302600_NS6detail15normal_iteratorINS9_10device_ptrIiEEEENSB_INSC_IjEEEESE_iNS9_4plusIvEENS9_8equal_toIvEEiEE10hipError_tPvRmT2_T3_T4_T5_mT6_T7_P12ihipStream_tbENKUlT_T0_E_clISt17integral_constantIbLb0EES10_IbLb1EEEEDaSW_SX_EUlSW_E_NS1_11comp_targetILNS1_3genE2ELNS1_11target_archE906ELNS1_3gpuE6ELNS1_3repE0EEENS1_30default_config_static_selectorELNS0_4arch9wavefront6targetE0EEEvT1_.private_seg_size, 0
	.set _ZN7rocprim17ROCPRIM_400000_NS6detail17trampoline_kernelINS0_14default_configENS1_27scan_by_key_config_selectorIiiEEZZNS1_16scan_by_key_implILNS1_25lookback_scan_determinismE0ELb1ES3_N6thrust23THRUST_200600_302600_NS6detail15normal_iteratorINS9_10device_ptrIiEEEENSB_INSC_IjEEEESE_iNS9_4plusIvEENS9_8equal_toIvEEiEE10hipError_tPvRmT2_T3_T4_T5_mT6_T7_P12ihipStream_tbENKUlT_T0_E_clISt17integral_constantIbLb0EES10_IbLb1EEEEDaSW_SX_EUlSW_E_NS1_11comp_targetILNS1_3genE2ELNS1_11target_archE906ELNS1_3gpuE6ELNS1_3repE0EEENS1_30default_config_static_selectorELNS0_4arch9wavefront6targetE0EEEvT1_.uses_vcc, 0
	.set _ZN7rocprim17ROCPRIM_400000_NS6detail17trampoline_kernelINS0_14default_configENS1_27scan_by_key_config_selectorIiiEEZZNS1_16scan_by_key_implILNS1_25lookback_scan_determinismE0ELb1ES3_N6thrust23THRUST_200600_302600_NS6detail15normal_iteratorINS9_10device_ptrIiEEEENSB_INSC_IjEEEESE_iNS9_4plusIvEENS9_8equal_toIvEEiEE10hipError_tPvRmT2_T3_T4_T5_mT6_T7_P12ihipStream_tbENKUlT_T0_E_clISt17integral_constantIbLb0EES10_IbLb1EEEEDaSW_SX_EUlSW_E_NS1_11comp_targetILNS1_3genE2ELNS1_11target_archE906ELNS1_3gpuE6ELNS1_3repE0EEENS1_30default_config_static_selectorELNS0_4arch9wavefront6targetE0EEEvT1_.uses_flat_scratch, 0
	.set _ZN7rocprim17ROCPRIM_400000_NS6detail17trampoline_kernelINS0_14default_configENS1_27scan_by_key_config_selectorIiiEEZZNS1_16scan_by_key_implILNS1_25lookback_scan_determinismE0ELb1ES3_N6thrust23THRUST_200600_302600_NS6detail15normal_iteratorINS9_10device_ptrIiEEEENSB_INSC_IjEEEESE_iNS9_4plusIvEENS9_8equal_toIvEEiEE10hipError_tPvRmT2_T3_T4_T5_mT6_T7_P12ihipStream_tbENKUlT_T0_E_clISt17integral_constantIbLb0EES10_IbLb1EEEEDaSW_SX_EUlSW_E_NS1_11comp_targetILNS1_3genE2ELNS1_11target_archE906ELNS1_3gpuE6ELNS1_3repE0EEENS1_30default_config_static_selectorELNS0_4arch9wavefront6targetE0EEEvT1_.has_dyn_sized_stack, 0
	.set _ZN7rocprim17ROCPRIM_400000_NS6detail17trampoline_kernelINS0_14default_configENS1_27scan_by_key_config_selectorIiiEEZZNS1_16scan_by_key_implILNS1_25lookback_scan_determinismE0ELb1ES3_N6thrust23THRUST_200600_302600_NS6detail15normal_iteratorINS9_10device_ptrIiEEEENSB_INSC_IjEEEESE_iNS9_4plusIvEENS9_8equal_toIvEEiEE10hipError_tPvRmT2_T3_T4_T5_mT6_T7_P12ihipStream_tbENKUlT_T0_E_clISt17integral_constantIbLb0EES10_IbLb1EEEEDaSW_SX_EUlSW_E_NS1_11comp_targetILNS1_3genE2ELNS1_11target_archE906ELNS1_3gpuE6ELNS1_3repE0EEENS1_30default_config_static_selectorELNS0_4arch9wavefront6targetE0EEEvT1_.has_recursion, 0
	.set _ZN7rocprim17ROCPRIM_400000_NS6detail17trampoline_kernelINS0_14default_configENS1_27scan_by_key_config_selectorIiiEEZZNS1_16scan_by_key_implILNS1_25lookback_scan_determinismE0ELb1ES3_N6thrust23THRUST_200600_302600_NS6detail15normal_iteratorINS9_10device_ptrIiEEEENSB_INSC_IjEEEESE_iNS9_4plusIvEENS9_8equal_toIvEEiEE10hipError_tPvRmT2_T3_T4_T5_mT6_T7_P12ihipStream_tbENKUlT_T0_E_clISt17integral_constantIbLb0EES10_IbLb1EEEEDaSW_SX_EUlSW_E_NS1_11comp_targetILNS1_3genE2ELNS1_11target_archE906ELNS1_3gpuE6ELNS1_3repE0EEENS1_30default_config_static_selectorELNS0_4arch9wavefront6targetE0EEEvT1_.has_indirect_call, 0
	.section	.AMDGPU.csdata,"",@progbits
; Kernel info:
; codeLenInByte = 0
; TotalNumSgprs: 0
; NumVgprs: 0
; ScratchSize: 0
; MemoryBound: 0
; FloatMode: 240
; IeeeMode: 1
; LDSByteSize: 0 bytes/workgroup (compile time only)
; SGPRBlocks: 0
; VGPRBlocks: 0
; NumSGPRsForWavesPerEU: 1
; NumVGPRsForWavesPerEU: 1
; Occupancy: 16
; WaveLimiterHint : 0
; COMPUTE_PGM_RSRC2:SCRATCH_EN: 0
; COMPUTE_PGM_RSRC2:USER_SGPR: 6
; COMPUTE_PGM_RSRC2:TRAP_HANDLER: 0
; COMPUTE_PGM_RSRC2:TGID_X_EN: 1
; COMPUTE_PGM_RSRC2:TGID_Y_EN: 0
; COMPUTE_PGM_RSRC2:TGID_Z_EN: 0
; COMPUTE_PGM_RSRC2:TIDIG_COMP_CNT: 0
	.section	.text._ZN7rocprim17ROCPRIM_400000_NS6detail17trampoline_kernelINS0_14default_configENS1_27scan_by_key_config_selectorIiiEEZZNS1_16scan_by_key_implILNS1_25lookback_scan_determinismE0ELb1ES3_N6thrust23THRUST_200600_302600_NS6detail15normal_iteratorINS9_10device_ptrIiEEEENSB_INSC_IjEEEESE_iNS9_4plusIvEENS9_8equal_toIvEEiEE10hipError_tPvRmT2_T3_T4_T5_mT6_T7_P12ihipStream_tbENKUlT_T0_E_clISt17integral_constantIbLb0EES10_IbLb1EEEEDaSW_SX_EUlSW_E_NS1_11comp_targetILNS1_3genE10ELNS1_11target_archE1200ELNS1_3gpuE4ELNS1_3repE0EEENS1_30default_config_static_selectorELNS0_4arch9wavefront6targetE0EEEvT1_,"axG",@progbits,_ZN7rocprim17ROCPRIM_400000_NS6detail17trampoline_kernelINS0_14default_configENS1_27scan_by_key_config_selectorIiiEEZZNS1_16scan_by_key_implILNS1_25lookback_scan_determinismE0ELb1ES3_N6thrust23THRUST_200600_302600_NS6detail15normal_iteratorINS9_10device_ptrIiEEEENSB_INSC_IjEEEESE_iNS9_4plusIvEENS9_8equal_toIvEEiEE10hipError_tPvRmT2_T3_T4_T5_mT6_T7_P12ihipStream_tbENKUlT_T0_E_clISt17integral_constantIbLb0EES10_IbLb1EEEEDaSW_SX_EUlSW_E_NS1_11comp_targetILNS1_3genE10ELNS1_11target_archE1200ELNS1_3gpuE4ELNS1_3repE0EEENS1_30default_config_static_selectorELNS0_4arch9wavefront6targetE0EEEvT1_,comdat
	.protected	_ZN7rocprim17ROCPRIM_400000_NS6detail17trampoline_kernelINS0_14default_configENS1_27scan_by_key_config_selectorIiiEEZZNS1_16scan_by_key_implILNS1_25lookback_scan_determinismE0ELb1ES3_N6thrust23THRUST_200600_302600_NS6detail15normal_iteratorINS9_10device_ptrIiEEEENSB_INSC_IjEEEESE_iNS9_4plusIvEENS9_8equal_toIvEEiEE10hipError_tPvRmT2_T3_T4_T5_mT6_T7_P12ihipStream_tbENKUlT_T0_E_clISt17integral_constantIbLb0EES10_IbLb1EEEEDaSW_SX_EUlSW_E_NS1_11comp_targetILNS1_3genE10ELNS1_11target_archE1200ELNS1_3gpuE4ELNS1_3repE0EEENS1_30default_config_static_selectorELNS0_4arch9wavefront6targetE0EEEvT1_ ; -- Begin function _ZN7rocprim17ROCPRIM_400000_NS6detail17trampoline_kernelINS0_14default_configENS1_27scan_by_key_config_selectorIiiEEZZNS1_16scan_by_key_implILNS1_25lookback_scan_determinismE0ELb1ES3_N6thrust23THRUST_200600_302600_NS6detail15normal_iteratorINS9_10device_ptrIiEEEENSB_INSC_IjEEEESE_iNS9_4plusIvEENS9_8equal_toIvEEiEE10hipError_tPvRmT2_T3_T4_T5_mT6_T7_P12ihipStream_tbENKUlT_T0_E_clISt17integral_constantIbLb0EES10_IbLb1EEEEDaSW_SX_EUlSW_E_NS1_11comp_targetILNS1_3genE10ELNS1_11target_archE1200ELNS1_3gpuE4ELNS1_3repE0EEENS1_30default_config_static_selectorELNS0_4arch9wavefront6targetE0EEEvT1_
	.globl	_ZN7rocprim17ROCPRIM_400000_NS6detail17trampoline_kernelINS0_14default_configENS1_27scan_by_key_config_selectorIiiEEZZNS1_16scan_by_key_implILNS1_25lookback_scan_determinismE0ELb1ES3_N6thrust23THRUST_200600_302600_NS6detail15normal_iteratorINS9_10device_ptrIiEEEENSB_INSC_IjEEEESE_iNS9_4plusIvEENS9_8equal_toIvEEiEE10hipError_tPvRmT2_T3_T4_T5_mT6_T7_P12ihipStream_tbENKUlT_T0_E_clISt17integral_constantIbLb0EES10_IbLb1EEEEDaSW_SX_EUlSW_E_NS1_11comp_targetILNS1_3genE10ELNS1_11target_archE1200ELNS1_3gpuE4ELNS1_3repE0EEENS1_30default_config_static_selectorELNS0_4arch9wavefront6targetE0EEEvT1_
	.p2align	8
	.type	_ZN7rocprim17ROCPRIM_400000_NS6detail17trampoline_kernelINS0_14default_configENS1_27scan_by_key_config_selectorIiiEEZZNS1_16scan_by_key_implILNS1_25lookback_scan_determinismE0ELb1ES3_N6thrust23THRUST_200600_302600_NS6detail15normal_iteratorINS9_10device_ptrIiEEEENSB_INSC_IjEEEESE_iNS9_4plusIvEENS9_8equal_toIvEEiEE10hipError_tPvRmT2_T3_T4_T5_mT6_T7_P12ihipStream_tbENKUlT_T0_E_clISt17integral_constantIbLb0EES10_IbLb1EEEEDaSW_SX_EUlSW_E_NS1_11comp_targetILNS1_3genE10ELNS1_11target_archE1200ELNS1_3gpuE4ELNS1_3repE0EEENS1_30default_config_static_selectorELNS0_4arch9wavefront6targetE0EEEvT1_,@function
_ZN7rocprim17ROCPRIM_400000_NS6detail17trampoline_kernelINS0_14default_configENS1_27scan_by_key_config_selectorIiiEEZZNS1_16scan_by_key_implILNS1_25lookback_scan_determinismE0ELb1ES3_N6thrust23THRUST_200600_302600_NS6detail15normal_iteratorINS9_10device_ptrIiEEEENSB_INSC_IjEEEESE_iNS9_4plusIvEENS9_8equal_toIvEEiEE10hipError_tPvRmT2_T3_T4_T5_mT6_T7_P12ihipStream_tbENKUlT_T0_E_clISt17integral_constantIbLb0EES10_IbLb1EEEEDaSW_SX_EUlSW_E_NS1_11comp_targetILNS1_3genE10ELNS1_11target_archE1200ELNS1_3gpuE4ELNS1_3repE0EEENS1_30default_config_static_selectorELNS0_4arch9wavefront6targetE0EEEvT1_: ; @_ZN7rocprim17ROCPRIM_400000_NS6detail17trampoline_kernelINS0_14default_configENS1_27scan_by_key_config_selectorIiiEEZZNS1_16scan_by_key_implILNS1_25lookback_scan_determinismE0ELb1ES3_N6thrust23THRUST_200600_302600_NS6detail15normal_iteratorINS9_10device_ptrIiEEEENSB_INSC_IjEEEESE_iNS9_4plusIvEENS9_8equal_toIvEEiEE10hipError_tPvRmT2_T3_T4_T5_mT6_T7_P12ihipStream_tbENKUlT_T0_E_clISt17integral_constantIbLb0EES10_IbLb1EEEEDaSW_SX_EUlSW_E_NS1_11comp_targetILNS1_3genE10ELNS1_11target_archE1200ELNS1_3gpuE4ELNS1_3repE0EEENS1_30default_config_static_selectorELNS0_4arch9wavefront6targetE0EEEvT1_
; %bb.0:
	.section	.rodata,"a",@progbits
	.p2align	6, 0x0
	.amdhsa_kernel _ZN7rocprim17ROCPRIM_400000_NS6detail17trampoline_kernelINS0_14default_configENS1_27scan_by_key_config_selectorIiiEEZZNS1_16scan_by_key_implILNS1_25lookback_scan_determinismE0ELb1ES3_N6thrust23THRUST_200600_302600_NS6detail15normal_iteratorINS9_10device_ptrIiEEEENSB_INSC_IjEEEESE_iNS9_4plusIvEENS9_8equal_toIvEEiEE10hipError_tPvRmT2_T3_T4_T5_mT6_T7_P12ihipStream_tbENKUlT_T0_E_clISt17integral_constantIbLb0EES10_IbLb1EEEEDaSW_SX_EUlSW_E_NS1_11comp_targetILNS1_3genE10ELNS1_11target_archE1200ELNS1_3gpuE4ELNS1_3repE0EEENS1_30default_config_static_selectorELNS0_4arch9wavefront6targetE0EEEvT1_
		.amdhsa_group_segment_fixed_size 0
		.amdhsa_private_segment_fixed_size 0
		.amdhsa_kernarg_size 112
		.amdhsa_user_sgpr_count 6
		.amdhsa_user_sgpr_private_segment_buffer 1
		.amdhsa_user_sgpr_dispatch_ptr 0
		.amdhsa_user_sgpr_queue_ptr 0
		.amdhsa_user_sgpr_kernarg_segment_ptr 1
		.amdhsa_user_sgpr_dispatch_id 0
		.amdhsa_user_sgpr_flat_scratch_init 0
		.amdhsa_user_sgpr_private_segment_size 0
		.amdhsa_wavefront_size32 1
		.amdhsa_uses_dynamic_stack 0
		.amdhsa_system_sgpr_private_segment_wavefront_offset 0
		.amdhsa_system_sgpr_workgroup_id_x 1
		.amdhsa_system_sgpr_workgroup_id_y 0
		.amdhsa_system_sgpr_workgroup_id_z 0
		.amdhsa_system_sgpr_workgroup_info 0
		.amdhsa_system_vgpr_workitem_id 0
		.amdhsa_next_free_vgpr 1
		.amdhsa_next_free_sgpr 1
		.amdhsa_reserve_vcc 0
		.amdhsa_reserve_flat_scratch 0
		.amdhsa_float_round_mode_32 0
		.amdhsa_float_round_mode_16_64 0
		.amdhsa_float_denorm_mode_32 3
		.amdhsa_float_denorm_mode_16_64 3
		.amdhsa_dx10_clamp 1
		.amdhsa_ieee_mode 1
		.amdhsa_fp16_overflow 0
		.amdhsa_workgroup_processor_mode 1
		.amdhsa_memory_ordered 1
		.amdhsa_forward_progress 1
		.amdhsa_shared_vgpr_count 0
		.amdhsa_exception_fp_ieee_invalid_op 0
		.amdhsa_exception_fp_denorm_src 0
		.amdhsa_exception_fp_ieee_div_zero 0
		.amdhsa_exception_fp_ieee_overflow 0
		.amdhsa_exception_fp_ieee_underflow 0
		.amdhsa_exception_fp_ieee_inexact 0
		.amdhsa_exception_int_div_zero 0
	.end_amdhsa_kernel
	.section	.text._ZN7rocprim17ROCPRIM_400000_NS6detail17trampoline_kernelINS0_14default_configENS1_27scan_by_key_config_selectorIiiEEZZNS1_16scan_by_key_implILNS1_25lookback_scan_determinismE0ELb1ES3_N6thrust23THRUST_200600_302600_NS6detail15normal_iteratorINS9_10device_ptrIiEEEENSB_INSC_IjEEEESE_iNS9_4plusIvEENS9_8equal_toIvEEiEE10hipError_tPvRmT2_T3_T4_T5_mT6_T7_P12ihipStream_tbENKUlT_T0_E_clISt17integral_constantIbLb0EES10_IbLb1EEEEDaSW_SX_EUlSW_E_NS1_11comp_targetILNS1_3genE10ELNS1_11target_archE1200ELNS1_3gpuE4ELNS1_3repE0EEENS1_30default_config_static_selectorELNS0_4arch9wavefront6targetE0EEEvT1_,"axG",@progbits,_ZN7rocprim17ROCPRIM_400000_NS6detail17trampoline_kernelINS0_14default_configENS1_27scan_by_key_config_selectorIiiEEZZNS1_16scan_by_key_implILNS1_25lookback_scan_determinismE0ELb1ES3_N6thrust23THRUST_200600_302600_NS6detail15normal_iteratorINS9_10device_ptrIiEEEENSB_INSC_IjEEEESE_iNS9_4plusIvEENS9_8equal_toIvEEiEE10hipError_tPvRmT2_T3_T4_T5_mT6_T7_P12ihipStream_tbENKUlT_T0_E_clISt17integral_constantIbLb0EES10_IbLb1EEEEDaSW_SX_EUlSW_E_NS1_11comp_targetILNS1_3genE10ELNS1_11target_archE1200ELNS1_3gpuE4ELNS1_3repE0EEENS1_30default_config_static_selectorELNS0_4arch9wavefront6targetE0EEEvT1_,comdat
.Lfunc_end1785:
	.size	_ZN7rocprim17ROCPRIM_400000_NS6detail17trampoline_kernelINS0_14default_configENS1_27scan_by_key_config_selectorIiiEEZZNS1_16scan_by_key_implILNS1_25lookback_scan_determinismE0ELb1ES3_N6thrust23THRUST_200600_302600_NS6detail15normal_iteratorINS9_10device_ptrIiEEEENSB_INSC_IjEEEESE_iNS9_4plusIvEENS9_8equal_toIvEEiEE10hipError_tPvRmT2_T3_T4_T5_mT6_T7_P12ihipStream_tbENKUlT_T0_E_clISt17integral_constantIbLb0EES10_IbLb1EEEEDaSW_SX_EUlSW_E_NS1_11comp_targetILNS1_3genE10ELNS1_11target_archE1200ELNS1_3gpuE4ELNS1_3repE0EEENS1_30default_config_static_selectorELNS0_4arch9wavefront6targetE0EEEvT1_, .Lfunc_end1785-_ZN7rocprim17ROCPRIM_400000_NS6detail17trampoline_kernelINS0_14default_configENS1_27scan_by_key_config_selectorIiiEEZZNS1_16scan_by_key_implILNS1_25lookback_scan_determinismE0ELb1ES3_N6thrust23THRUST_200600_302600_NS6detail15normal_iteratorINS9_10device_ptrIiEEEENSB_INSC_IjEEEESE_iNS9_4plusIvEENS9_8equal_toIvEEiEE10hipError_tPvRmT2_T3_T4_T5_mT6_T7_P12ihipStream_tbENKUlT_T0_E_clISt17integral_constantIbLb0EES10_IbLb1EEEEDaSW_SX_EUlSW_E_NS1_11comp_targetILNS1_3genE10ELNS1_11target_archE1200ELNS1_3gpuE4ELNS1_3repE0EEENS1_30default_config_static_selectorELNS0_4arch9wavefront6targetE0EEEvT1_
                                        ; -- End function
	.set _ZN7rocprim17ROCPRIM_400000_NS6detail17trampoline_kernelINS0_14default_configENS1_27scan_by_key_config_selectorIiiEEZZNS1_16scan_by_key_implILNS1_25lookback_scan_determinismE0ELb1ES3_N6thrust23THRUST_200600_302600_NS6detail15normal_iteratorINS9_10device_ptrIiEEEENSB_INSC_IjEEEESE_iNS9_4plusIvEENS9_8equal_toIvEEiEE10hipError_tPvRmT2_T3_T4_T5_mT6_T7_P12ihipStream_tbENKUlT_T0_E_clISt17integral_constantIbLb0EES10_IbLb1EEEEDaSW_SX_EUlSW_E_NS1_11comp_targetILNS1_3genE10ELNS1_11target_archE1200ELNS1_3gpuE4ELNS1_3repE0EEENS1_30default_config_static_selectorELNS0_4arch9wavefront6targetE0EEEvT1_.num_vgpr, 0
	.set _ZN7rocprim17ROCPRIM_400000_NS6detail17trampoline_kernelINS0_14default_configENS1_27scan_by_key_config_selectorIiiEEZZNS1_16scan_by_key_implILNS1_25lookback_scan_determinismE0ELb1ES3_N6thrust23THRUST_200600_302600_NS6detail15normal_iteratorINS9_10device_ptrIiEEEENSB_INSC_IjEEEESE_iNS9_4plusIvEENS9_8equal_toIvEEiEE10hipError_tPvRmT2_T3_T4_T5_mT6_T7_P12ihipStream_tbENKUlT_T0_E_clISt17integral_constantIbLb0EES10_IbLb1EEEEDaSW_SX_EUlSW_E_NS1_11comp_targetILNS1_3genE10ELNS1_11target_archE1200ELNS1_3gpuE4ELNS1_3repE0EEENS1_30default_config_static_selectorELNS0_4arch9wavefront6targetE0EEEvT1_.num_agpr, 0
	.set _ZN7rocprim17ROCPRIM_400000_NS6detail17trampoline_kernelINS0_14default_configENS1_27scan_by_key_config_selectorIiiEEZZNS1_16scan_by_key_implILNS1_25lookback_scan_determinismE0ELb1ES3_N6thrust23THRUST_200600_302600_NS6detail15normal_iteratorINS9_10device_ptrIiEEEENSB_INSC_IjEEEESE_iNS9_4plusIvEENS9_8equal_toIvEEiEE10hipError_tPvRmT2_T3_T4_T5_mT6_T7_P12ihipStream_tbENKUlT_T0_E_clISt17integral_constantIbLb0EES10_IbLb1EEEEDaSW_SX_EUlSW_E_NS1_11comp_targetILNS1_3genE10ELNS1_11target_archE1200ELNS1_3gpuE4ELNS1_3repE0EEENS1_30default_config_static_selectorELNS0_4arch9wavefront6targetE0EEEvT1_.numbered_sgpr, 0
	.set _ZN7rocprim17ROCPRIM_400000_NS6detail17trampoline_kernelINS0_14default_configENS1_27scan_by_key_config_selectorIiiEEZZNS1_16scan_by_key_implILNS1_25lookback_scan_determinismE0ELb1ES3_N6thrust23THRUST_200600_302600_NS6detail15normal_iteratorINS9_10device_ptrIiEEEENSB_INSC_IjEEEESE_iNS9_4plusIvEENS9_8equal_toIvEEiEE10hipError_tPvRmT2_T3_T4_T5_mT6_T7_P12ihipStream_tbENKUlT_T0_E_clISt17integral_constantIbLb0EES10_IbLb1EEEEDaSW_SX_EUlSW_E_NS1_11comp_targetILNS1_3genE10ELNS1_11target_archE1200ELNS1_3gpuE4ELNS1_3repE0EEENS1_30default_config_static_selectorELNS0_4arch9wavefront6targetE0EEEvT1_.num_named_barrier, 0
	.set _ZN7rocprim17ROCPRIM_400000_NS6detail17trampoline_kernelINS0_14default_configENS1_27scan_by_key_config_selectorIiiEEZZNS1_16scan_by_key_implILNS1_25lookback_scan_determinismE0ELb1ES3_N6thrust23THRUST_200600_302600_NS6detail15normal_iteratorINS9_10device_ptrIiEEEENSB_INSC_IjEEEESE_iNS9_4plusIvEENS9_8equal_toIvEEiEE10hipError_tPvRmT2_T3_T4_T5_mT6_T7_P12ihipStream_tbENKUlT_T0_E_clISt17integral_constantIbLb0EES10_IbLb1EEEEDaSW_SX_EUlSW_E_NS1_11comp_targetILNS1_3genE10ELNS1_11target_archE1200ELNS1_3gpuE4ELNS1_3repE0EEENS1_30default_config_static_selectorELNS0_4arch9wavefront6targetE0EEEvT1_.private_seg_size, 0
	.set _ZN7rocprim17ROCPRIM_400000_NS6detail17trampoline_kernelINS0_14default_configENS1_27scan_by_key_config_selectorIiiEEZZNS1_16scan_by_key_implILNS1_25lookback_scan_determinismE0ELb1ES3_N6thrust23THRUST_200600_302600_NS6detail15normal_iteratorINS9_10device_ptrIiEEEENSB_INSC_IjEEEESE_iNS9_4plusIvEENS9_8equal_toIvEEiEE10hipError_tPvRmT2_T3_T4_T5_mT6_T7_P12ihipStream_tbENKUlT_T0_E_clISt17integral_constantIbLb0EES10_IbLb1EEEEDaSW_SX_EUlSW_E_NS1_11comp_targetILNS1_3genE10ELNS1_11target_archE1200ELNS1_3gpuE4ELNS1_3repE0EEENS1_30default_config_static_selectorELNS0_4arch9wavefront6targetE0EEEvT1_.uses_vcc, 0
	.set _ZN7rocprim17ROCPRIM_400000_NS6detail17trampoline_kernelINS0_14default_configENS1_27scan_by_key_config_selectorIiiEEZZNS1_16scan_by_key_implILNS1_25lookback_scan_determinismE0ELb1ES3_N6thrust23THRUST_200600_302600_NS6detail15normal_iteratorINS9_10device_ptrIiEEEENSB_INSC_IjEEEESE_iNS9_4plusIvEENS9_8equal_toIvEEiEE10hipError_tPvRmT2_T3_T4_T5_mT6_T7_P12ihipStream_tbENKUlT_T0_E_clISt17integral_constantIbLb0EES10_IbLb1EEEEDaSW_SX_EUlSW_E_NS1_11comp_targetILNS1_3genE10ELNS1_11target_archE1200ELNS1_3gpuE4ELNS1_3repE0EEENS1_30default_config_static_selectorELNS0_4arch9wavefront6targetE0EEEvT1_.uses_flat_scratch, 0
	.set _ZN7rocprim17ROCPRIM_400000_NS6detail17trampoline_kernelINS0_14default_configENS1_27scan_by_key_config_selectorIiiEEZZNS1_16scan_by_key_implILNS1_25lookback_scan_determinismE0ELb1ES3_N6thrust23THRUST_200600_302600_NS6detail15normal_iteratorINS9_10device_ptrIiEEEENSB_INSC_IjEEEESE_iNS9_4plusIvEENS9_8equal_toIvEEiEE10hipError_tPvRmT2_T3_T4_T5_mT6_T7_P12ihipStream_tbENKUlT_T0_E_clISt17integral_constantIbLb0EES10_IbLb1EEEEDaSW_SX_EUlSW_E_NS1_11comp_targetILNS1_3genE10ELNS1_11target_archE1200ELNS1_3gpuE4ELNS1_3repE0EEENS1_30default_config_static_selectorELNS0_4arch9wavefront6targetE0EEEvT1_.has_dyn_sized_stack, 0
	.set _ZN7rocprim17ROCPRIM_400000_NS6detail17trampoline_kernelINS0_14default_configENS1_27scan_by_key_config_selectorIiiEEZZNS1_16scan_by_key_implILNS1_25lookback_scan_determinismE0ELb1ES3_N6thrust23THRUST_200600_302600_NS6detail15normal_iteratorINS9_10device_ptrIiEEEENSB_INSC_IjEEEESE_iNS9_4plusIvEENS9_8equal_toIvEEiEE10hipError_tPvRmT2_T3_T4_T5_mT6_T7_P12ihipStream_tbENKUlT_T0_E_clISt17integral_constantIbLb0EES10_IbLb1EEEEDaSW_SX_EUlSW_E_NS1_11comp_targetILNS1_3genE10ELNS1_11target_archE1200ELNS1_3gpuE4ELNS1_3repE0EEENS1_30default_config_static_selectorELNS0_4arch9wavefront6targetE0EEEvT1_.has_recursion, 0
	.set _ZN7rocprim17ROCPRIM_400000_NS6detail17trampoline_kernelINS0_14default_configENS1_27scan_by_key_config_selectorIiiEEZZNS1_16scan_by_key_implILNS1_25lookback_scan_determinismE0ELb1ES3_N6thrust23THRUST_200600_302600_NS6detail15normal_iteratorINS9_10device_ptrIiEEEENSB_INSC_IjEEEESE_iNS9_4plusIvEENS9_8equal_toIvEEiEE10hipError_tPvRmT2_T3_T4_T5_mT6_T7_P12ihipStream_tbENKUlT_T0_E_clISt17integral_constantIbLb0EES10_IbLb1EEEEDaSW_SX_EUlSW_E_NS1_11comp_targetILNS1_3genE10ELNS1_11target_archE1200ELNS1_3gpuE4ELNS1_3repE0EEENS1_30default_config_static_selectorELNS0_4arch9wavefront6targetE0EEEvT1_.has_indirect_call, 0
	.section	.AMDGPU.csdata,"",@progbits
; Kernel info:
; codeLenInByte = 0
; TotalNumSgprs: 0
; NumVgprs: 0
; ScratchSize: 0
; MemoryBound: 0
; FloatMode: 240
; IeeeMode: 1
; LDSByteSize: 0 bytes/workgroup (compile time only)
; SGPRBlocks: 0
; VGPRBlocks: 0
; NumSGPRsForWavesPerEU: 1
; NumVGPRsForWavesPerEU: 1
; Occupancy: 16
; WaveLimiterHint : 0
; COMPUTE_PGM_RSRC2:SCRATCH_EN: 0
; COMPUTE_PGM_RSRC2:USER_SGPR: 6
; COMPUTE_PGM_RSRC2:TRAP_HANDLER: 0
; COMPUTE_PGM_RSRC2:TGID_X_EN: 1
; COMPUTE_PGM_RSRC2:TGID_Y_EN: 0
; COMPUTE_PGM_RSRC2:TGID_Z_EN: 0
; COMPUTE_PGM_RSRC2:TIDIG_COMP_CNT: 0
	.section	.text._ZN7rocprim17ROCPRIM_400000_NS6detail17trampoline_kernelINS0_14default_configENS1_27scan_by_key_config_selectorIiiEEZZNS1_16scan_by_key_implILNS1_25lookback_scan_determinismE0ELb1ES3_N6thrust23THRUST_200600_302600_NS6detail15normal_iteratorINS9_10device_ptrIiEEEENSB_INSC_IjEEEESE_iNS9_4plusIvEENS9_8equal_toIvEEiEE10hipError_tPvRmT2_T3_T4_T5_mT6_T7_P12ihipStream_tbENKUlT_T0_E_clISt17integral_constantIbLb0EES10_IbLb1EEEEDaSW_SX_EUlSW_E_NS1_11comp_targetILNS1_3genE9ELNS1_11target_archE1100ELNS1_3gpuE3ELNS1_3repE0EEENS1_30default_config_static_selectorELNS0_4arch9wavefront6targetE0EEEvT1_,"axG",@progbits,_ZN7rocprim17ROCPRIM_400000_NS6detail17trampoline_kernelINS0_14default_configENS1_27scan_by_key_config_selectorIiiEEZZNS1_16scan_by_key_implILNS1_25lookback_scan_determinismE0ELb1ES3_N6thrust23THRUST_200600_302600_NS6detail15normal_iteratorINS9_10device_ptrIiEEEENSB_INSC_IjEEEESE_iNS9_4plusIvEENS9_8equal_toIvEEiEE10hipError_tPvRmT2_T3_T4_T5_mT6_T7_P12ihipStream_tbENKUlT_T0_E_clISt17integral_constantIbLb0EES10_IbLb1EEEEDaSW_SX_EUlSW_E_NS1_11comp_targetILNS1_3genE9ELNS1_11target_archE1100ELNS1_3gpuE3ELNS1_3repE0EEENS1_30default_config_static_selectorELNS0_4arch9wavefront6targetE0EEEvT1_,comdat
	.protected	_ZN7rocprim17ROCPRIM_400000_NS6detail17trampoline_kernelINS0_14default_configENS1_27scan_by_key_config_selectorIiiEEZZNS1_16scan_by_key_implILNS1_25lookback_scan_determinismE0ELb1ES3_N6thrust23THRUST_200600_302600_NS6detail15normal_iteratorINS9_10device_ptrIiEEEENSB_INSC_IjEEEESE_iNS9_4plusIvEENS9_8equal_toIvEEiEE10hipError_tPvRmT2_T3_T4_T5_mT6_T7_P12ihipStream_tbENKUlT_T0_E_clISt17integral_constantIbLb0EES10_IbLb1EEEEDaSW_SX_EUlSW_E_NS1_11comp_targetILNS1_3genE9ELNS1_11target_archE1100ELNS1_3gpuE3ELNS1_3repE0EEENS1_30default_config_static_selectorELNS0_4arch9wavefront6targetE0EEEvT1_ ; -- Begin function _ZN7rocprim17ROCPRIM_400000_NS6detail17trampoline_kernelINS0_14default_configENS1_27scan_by_key_config_selectorIiiEEZZNS1_16scan_by_key_implILNS1_25lookback_scan_determinismE0ELb1ES3_N6thrust23THRUST_200600_302600_NS6detail15normal_iteratorINS9_10device_ptrIiEEEENSB_INSC_IjEEEESE_iNS9_4plusIvEENS9_8equal_toIvEEiEE10hipError_tPvRmT2_T3_T4_T5_mT6_T7_P12ihipStream_tbENKUlT_T0_E_clISt17integral_constantIbLb0EES10_IbLb1EEEEDaSW_SX_EUlSW_E_NS1_11comp_targetILNS1_3genE9ELNS1_11target_archE1100ELNS1_3gpuE3ELNS1_3repE0EEENS1_30default_config_static_selectorELNS0_4arch9wavefront6targetE0EEEvT1_
	.globl	_ZN7rocprim17ROCPRIM_400000_NS6detail17trampoline_kernelINS0_14default_configENS1_27scan_by_key_config_selectorIiiEEZZNS1_16scan_by_key_implILNS1_25lookback_scan_determinismE0ELb1ES3_N6thrust23THRUST_200600_302600_NS6detail15normal_iteratorINS9_10device_ptrIiEEEENSB_INSC_IjEEEESE_iNS9_4plusIvEENS9_8equal_toIvEEiEE10hipError_tPvRmT2_T3_T4_T5_mT6_T7_P12ihipStream_tbENKUlT_T0_E_clISt17integral_constantIbLb0EES10_IbLb1EEEEDaSW_SX_EUlSW_E_NS1_11comp_targetILNS1_3genE9ELNS1_11target_archE1100ELNS1_3gpuE3ELNS1_3repE0EEENS1_30default_config_static_selectorELNS0_4arch9wavefront6targetE0EEEvT1_
	.p2align	8
	.type	_ZN7rocprim17ROCPRIM_400000_NS6detail17trampoline_kernelINS0_14default_configENS1_27scan_by_key_config_selectorIiiEEZZNS1_16scan_by_key_implILNS1_25lookback_scan_determinismE0ELb1ES3_N6thrust23THRUST_200600_302600_NS6detail15normal_iteratorINS9_10device_ptrIiEEEENSB_INSC_IjEEEESE_iNS9_4plusIvEENS9_8equal_toIvEEiEE10hipError_tPvRmT2_T3_T4_T5_mT6_T7_P12ihipStream_tbENKUlT_T0_E_clISt17integral_constantIbLb0EES10_IbLb1EEEEDaSW_SX_EUlSW_E_NS1_11comp_targetILNS1_3genE9ELNS1_11target_archE1100ELNS1_3gpuE3ELNS1_3repE0EEENS1_30default_config_static_selectorELNS0_4arch9wavefront6targetE0EEEvT1_,@function
_ZN7rocprim17ROCPRIM_400000_NS6detail17trampoline_kernelINS0_14default_configENS1_27scan_by_key_config_selectorIiiEEZZNS1_16scan_by_key_implILNS1_25lookback_scan_determinismE0ELb1ES3_N6thrust23THRUST_200600_302600_NS6detail15normal_iteratorINS9_10device_ptrIiEEEENSB_INSC_IjEEEESE_iNS9_4plusIvEENS9_8equal_toIvEEiEE10hipError_tPvRmT2_T3_T4_T5_mT6_T7_P12ihipStream_tbENKUlT_T0_E_clISt17integral_constantIbLb0EES10_IbLb1EEEEDaSW_SX_EUlSW_E_NS1_11comp_targetILNS1_3genE9ELNS1_11target_archE1100ELNS1_3gpuE3ELNS1_3repE0EEENS1_30default_config_static_selectorELNS0_4arch9wavefront6targetE0EEEvT1_: ; @_ZN7rocprim17ROCPRIM_400000_NS6detail17trampoline_kernelINS0_14default_configENS1_27scan_by_key_config_selectorIiiEEZZNS1_16scan_by_key_implILNS1_25lookback_scan_determinismE0ELb1ES3_N6thrust23THRUST_200600_302600_NS6detail15normal_iteratorINS9_10device_ptrIiEEEENSB_INSC_IjEEEESE_iNS9_4plusIvEENS9_8equal_toIvEEiEE10hipError_tPvRmT2_T3_T4_T5_mT6_T7_P12ihipStream_tbENKUlT_T0_E_clISt17integral_constantIbLb0EES10_IbLb1EEEEDaSW_SX_EUlSW_E_NS1_11comp_targetILNS1_3genE9ELNS1_11target_archE1100ELNS1_3gpuE3ELNS1_3repE0EEENS1_30default_config_static_selectorELNS0_4arch9wavefront6targetE0EEEvT1_
; %bb.0:
	.section	.rodata,"a",@progbits
	.p2align	6, 0x0
	.amdhsa_kernel _ZN7rocprim17ROCPRIM_400000_NS6detail17trampoline_kernelINS0_14default_configENS1_27scan_by_key_config_selectorIiiEEZZNS1_16scan_by_key_implILNS1_25lookback_scan_determinismE0ELb1ES3_N6thrust23THRUST_200600_302600_NS6detail15normal_iteratorINS9_10device_ptrIiEEEENSB_INSC_IjEEEESE_iNS9_4plusIvEENS9_8equal_toIvEEiEE10hipError_tPvRmT2_T3_T4_T5_mT6_T7_P12ihipStream_tbENKUlT_T0_E_clISt17integral_constantIbLb0EES10_IbLb1EEEEDaSW_SX_EUlSW_E_NS1_11comp_targetILNS1_3genE9ELNS1_11target_archE1100ELNS1_3gpuE3ELNS1_3repE0EEENS1_30default_config_static_selectorELNS0_4arch9wavefront6targetE0EEEvT1_
		.amdhsa_group_segment_fixed_size 0
		.amdhsa_private_segment_fixed_size 0
		.amdhsa_kernarg_size 112
		.amdhsa_user_sgpr_count 6
		.amdhsa_user_sgpr_private_segment_buffer 1
		.amdhsa_user_sgpr_dispatch_ptr 0
		.amdhsa_user_sgpr_queue_ptr 0
		.amdhsa_user_sgpr_kernarg_segment_ptr 1
		.amdhsa_user_sgpr_dispatch_id 0
		.amdhsa_user_sgpr_flat_scratch_init 0
		.amdhsa_user_sgpr_private_segment_size 0
		.amdhsa_wavefront_size32 1
		.amdhsa_uses_dynamic_stack 0
		.amdhsa_system_sgpr_private_segment_wavefront_offset 0
		.amdhsa_system_sgpr_workgroup_id_x 1
		.amdhsa_system_sgpr_workgroup_id_y 0
		.amdhsa_system_sgpr_workgroup_id_z 0
		.amdhsa_system_sgpr_workgroup_info 0
		.amdhsa_system_vgpr_workitem_id 0
		.amdhsa_next_free_vgpr 1
		.amdhsa_next_free_sgpr 1
		.amdhsa_reserve_vcc 0
		.amdhsa_reserve_flat_scratch 0
		.amdhsa_float_round_mode_32 0
		.amdhsa_float_round_mode_16_64 0
		.amdhsa_float_denorm_mode_32 3
		.amdhsa_float_denorm_mode_16_64 3
		.amdhsa_dx10_clamp 1
		.amdhsa_ieee_mode 1
		.amdhsa_fp16_overflow 0
		.amdhsa_workgroup_processor_mode 1
		.amdhsa_memory_ordered 1
		.amdhsa_forward_progress 1
		.amdhsa_shared_vgpr_count 0
		.amdhsa_exception_fp_ieee_invalid_op 0
		.amdhsa_exception_fp_denorm_src 0
		.amdhsa_exception_fp_ieee_div_zero 0
		.amdhsa_exception_fp_ieee_overflow 0
		.amdhsa_exception_fp_ieee_underflow 0
		.amdhsa_exception_fp_ieee_inexact 0
		.amdhsa_exception_int_div_zero 0
	.end_amdhsa_kernel
	.section	.text._ZN7rocprim17ROCPRIM_400000_NS6detail17trampoline_kernelINS0_14default_configENS1_27scan_by_key_config_selectorIiiEEZZNS1_16scan_by_key_implILNS1_25lookback_scan_determinismE0ELb1ES3_N6thrust23THRUST_200600_302600_NS6detail15normal_iteratorINS9_10device_ptrIiEEEENSB_INSC_IjEEEESE_iNS9_4plusIvEENS9_8equal_toIvEEiEE10hipError_tPvRmT2_T3_T4_T5_mT6_T7_P12ihipStream_tbENKUlT_T0_E_clISt17integral_constantIbLb0EES10_IbLb1EEEEDaSW_SX_EUlSW_E_NS1_11comp_targetILNS1_3genE9ELNS1_11target_archE1100ELNS1_3gpuE3ELNS1_3repE0EEENS1_30default_config_static_selectorELNS0_4arch9wavefront6targetE0EEEvT1_,"axG",@progbits,_ZN7rocprim17ROCPRIM_400000_NS6detail17trampoline_kernelINS0_14default_configENS1_27scan_by_key_config_selectorIiiEEZZNS1_16scan_by_key_implILNS1_25lookback_scan_determinismE0ELb1ES3_N6thrust23THRUST_200600_302600_NS6detail15normal_iteratorINS9_10device_ptrIiEEEENSB_INSC_IjEEEESE_iNS9_4plusIvEENS9_8equal_toIvEEiEE10hipError_tPvRmT2_T3_T4_T5_mT6_T7_P12ihipStream_tbENKUlT_T0_E_clISt17integral_constantIbLb0EES10_IbLb1EEEEDaSW_SX_EUlSW_E_NS1_11comp_targetILNS1_3genE9ELNS1_11target_archE1100ELNS1_3gpuE3ELNS1_3repE0EEENS1_30default_config_static_selectorELNS0_4arch9wavefront6targetE0EEEvT1_,comdat
.Lfunc_end1786:
	.size	_ZN7rocprim17ROCPRIM_400000_NS6detail17trampoline_kernelINS0_14default_configENS1_27scan_by_key_config_selectorIiiEEZZNS1_16scan_by_key_implILNS1_25lookback_scan_determinismE0ELb1ES3_N6thrust23THRUST_200600_302600_NS6detail15normal_iteratorINS9_10device_ptrIiEEEENSB_INSC_IjEEEESE_iNS9_4plusIvEENS9_8equal_toIvEEiEE10hipError_tPvRmT2_T3_T4_T5_mT6_T7_P12ihipStream_tbENKUlT_T0_E_clISt17integral_constantIbLb0EES10_IbLb1EEEEDaSW_SX_EUlSW_E_NS1_11comp_targetILNS1_3genE9ELNS1_11target_archE1100ELNS1_3gpuE3ELNS1_3repE0EEENS1_30default_config_static_selectorELNS0_4arch9wavefront6targetE0EEEvT1_, .Lfunc_end1786-_ZN7rocprim17ROCPRIM_400000_NS6detail17trampoline_kernelINS0_14default_configENS1_27scan_by_key_config_selectorIiiEEZZNS1_16scan_by_key_implILNS1_25lookback_scan_determinismE0ELb1ES3_N6thrust23THRUST_200600_302600_NS6detail15normal_iteratorINS9_10device_ptrIiEEEENSB_INSC_IjEEEESE_iNS9_4plusIvEENS9_8equal_toIvEEiEE10hipError_tPvRmT2_T3_T4_T5_mT6_T7_P12ihipStream_tbENKUlT_T0_E_clISt17integral_constantIbLb0EES10_IbLb1EEEEDaSW_SX_EUlSW_E_NS1_11comp_targetILNS1_3genE9ELNS1_11target_archE1100ELNS1_3gpuE3ELNS1_3repE0EEENS1_30default_config_static_selectorELNS0_4arch9wavefront6targetE0EEEvT1_
                                        ; -- End function
	.set _ZN7rocprim17ROCPRIM_400000_NS6detail17trampoline_kernelINS0_14default_configENS1_27scan_by_key_config_selectorIiiEEZZNS1_16scan_by_key_implILNS1_25lookback_scan_determinismE0ELb1ES3_N6thrust23THRUST_200600_302600_NS6detail15normal_iteratorINS9_10device_ptrIiEEEENSB_INSC_IjEEEESE_iNS9_4plusIvEENS9_8equal_toIvEEiEE10hipError_tPvRmT2_T3_T4_T5_mT6_T7_P12ihipStream_tbENKUlT_T0_E_clISt17integral_constantIbLb0EES10_IbLb1EEEEDaSW_SX_EUlSW_E_NS1_11comp_targetILNS1_3genE9ELNS1_11target_archE1100ELNS1_3gpuE3ELNS1_3repE0EEENS1_30default_config_static_selectorELNS0_4arch9wavefront6targetE0EEEvT1_.num_vgpr, 0
	.set _ZN7rocprim17ROCPRIM_400000_NS6detail17trampoline_kernelINS0_14default_configENS1_27scan_by_key_config_selectorIiiEEZZNS1_16scan_by_key_implILNS1_25lookback_scan_determinismE0ELb1ES3_N6thrust23THRUST_200600_302600_NS6detail15normal_iteratorINS9_10device_ptrIiEEEENSB_INSC_IjEEEESE_iNS9_4plusIvEENS9_8equal_toIvEEiEE10hipError_tPvRmT2_T3_T4_T5_mT6_T7_P12ihipStream_tbENKUlT_T0_E_clISt17integral_constantIbLb0EES10_IbLb1EEEEDaSW_SX_EUlSW_E_NS1_11comp_targetILNS1_3genE9ELNS1_11target_archE1100ELNS1_3gpuE3ELNS1_3repE0EEENS1_30default_config_static_selectorELNS0_4arch9wavefront6targetE0EEEvT1_.num_agpr, 0
	.set _ZN7rocprim17ROCPRIM_400000_NS6detail17trampoline_kernelINS0_14default_configENS1_27scan_by_key_config_selectorIiiEEZZNS1_16scan_by_key_implILNS1_25lookback_scan_determinismE0ELb1ES3_N6thrust23THRUST_200600_302600_NS6detail15normal_iteratorINS9_10device_ptrIiEEEENSB_INSC_IjEEEESE_iNS9_4plusIvEENS9_8equal_toIvEEiEE10hipError_tPvRmT2_T3_T4_T5_mT6_T7_P12ihipStream_tbENKUlT_T0_E_clISt17integral_constantIbLb0EES10_IbLb1EEEEDaSW_SX_EUlSW_E_NS1_11comp_targetILNS1_3genE9ELNS1_11target_archE1100ELNS1_3gpuE3ELNS1_3repE0EEENS1_30default_config_static_selectorELNS0_4arch9wavefront6targetE0EEEvT1_.numbered_sgpr, 0
	.set _ZN7rocprim17ROCPRIM_400000_NS6detail17trampoline_kernelINS0_14default_configENS1_27scan_by_key_config_selectorIiiEEZZNS1_16scan_by_key_implILNS1_25lookback_scan_determinismE0ELb1ES3_N6thrust23THRUST_200600_302600_NS6detail15normal_iteratorINS9_10device_ptrIiEEEENSB_INSC_IjEEEESE_iNS9_4plusIvEENS9_8equal_toIvEEiEE10hipError_tPvRmT2_T3_T4_T5_mT6_T7_P12ihipStream_tbENKUlT_T0_E_clISt17integral_constantIbLb0EES10_IbLb1EEEEDaSW_SX_EUlSW_E_NS1_11comp_targetILNS1_3genE9ELNS1_11target_archE1100ELNS1_3gpuE3ELNS1_3repE0EEENS1_30default_config_static_selectorELNS0_4arch9wavefront6targetE0EEEvT1_.num_named_barrier, 0
	.set _ZN7rocprim17ROCPRIM_400000_NS6detail17trampoline_kernelINS0_14default_configENS1_27scan_by_key_config_selectorIiiEEZZNS1_16scan_by_key_implILNS1_25lookback_scan_determinismE0ELb1ES3_N6thrust23THRUST_200600_302600_NS6detail15normal_iteratorINS9_10device_ptrIiEEEENSB_INSC_IjEEEESE_iNS9_4plusIvEENS9_8equal_toIvEEiEE10hipError_tPvRmT2_T3_T4_T5_mT6_T7_P12ihipStream_tbENKUlT_T0_E_clISt17integral_constantIbLb0EES10_IbLb1EEEEDaSW_SX_EUlSW_E_NS1_11comp_targetILNS1_3genE9ELNS1_11target_archE1100ELNS1_3gpuE3ELNS1_3repE0EEENS1_30default_config_static_selectorELNS0_4arch9wavefront6targetE0EEEvT1_.private_seg_size, 0
	.set _ZN7rocprim17ROCPRIM_400000_NS6detail17trampoline_kernelINS0_14default_configENS1_27scan_by_key_config_selectorIiiEEZZNS1_16scan_by_key_implILNS1_25lookback_scan_determinismE0ELb1ES3_N6thrust23THRUST_200600_302600_NS6detail15normal_iteratorINS9_10device_ptrIiEEEENSB_INSC_IjEEEESE_iNS9_4plusIvEENS9_8equal_toIvEEiEE10hipError_tPvRmT2_T3_T4_T5_mT6_T7_P12ihipStream_tbENKUlT_T0_E_clISt17integral_constantIbLb0EES10_IbLb1EEEEDaSW_SX_EUlSW_E_NS1_11comp_targetILNS1_3genE9ELNS1_11target_archE1100ELNS1_3gpuE3ELNS1_3repE0EEENS1_30default_config_static_selectorELNS0_4arch9wavefront6targetE0EEEvT1_.uses_vcc, 0
	.set _ZN7rocprim17ROCPRIM_400000_NS6detail17trampoline_kernelINS0_14default_configENS1_27scan_by_key_config_selectorIiiEEZZNS1_16scan_by_key_implILNS1_25lookback_scan_determinismE0ELb1ES3_N6thrust23THRUST_200600_302600_NS6detail15normal_iteratorINS9_10device_ptrIiEEEENSB_INSC_IjEEEESE_iNS9_4plusIvEENS9_8equal_toIvEEiEE10hipError_tPvRmT2_T3_T4_T5_mT6_T7_P12ihipStream_tbENKUlT_T0_E_clISt17integral_constantIbLb0EES10_IbLb1EEEEDaSW_SX_EUlSW_E_NS1_11comp_targetILNS1_3genE9ELNS1_11target_archE1100ELNS1_3gpuE3ELNS1_3repE0EEENS1_30default_config_static_selectorELNS0_4arch9wavefront6targetE0EEEvT1_.uses_flat_scratch, 0
	.set _ZN7rocprim17ROCPRIM_400000_NS6detail17trampoline_kernelINS0_14default_configENS1_27scan_by_key_config_selectorIiiEEZZNS1_16scan_by_key_implILNS1_25lookback_scan_determinismE0ELb1ES3_N6thrust23THRUST_200600_302600_NS6detail15normal_iteratorINS9_10device_ptrIiEEEENSB_INSC_IjEEEESE_iNS9_4plusIvEENS9_8equal_toIvEEiEE10hipError_tPvRmT2_T3_T4_T5_mT6_T7_P12ihipStream_tbENKUlT_T0_E_clISt17integral_constantIbLb0EES10_IbLb1EEEEDaSW_SX_EUlSW_E_NS1_11comp_targetILNS1_3genE9ELNS1_11target_archE1100ELNS1_3gpuE3ELNS1_3repE0EEENS1_30default_config_static_selectorELNS0_4arch9wavefront6targetE0EEEvT1_.has_dyn_sized_stack, 0
	.set _ZN7rocprim17ROCPRIM_400000_NS6detail17trampoline_kernelINS0_14default_configENS1_27scan_by_key_config_selectorIiiEEZZNS1_16scan_by_key_implILNS1_25lookback_scan_determinismE0ELb1ES3_N6thrust23THRUST_200600_302600_NS6detail15normal_iteratorINS9_10device_ptrIiEEEENSB_INSC_IjEEEESE_iNS9_4plusIvEENS9_8equal_toIvEEiEE10hipError_tPvRmT2_T3_T4_T5_mT6_T7_P12ihipStream_tbENKUlT_T0_E_clISt17integral_constantIbLb0EES10_IbLb1EEEEDaSW_SX_EUlSW_E_NS1_11comp_targetILNS1_3genE9ELNS1_11target_archE1100ELNS1_3gpuE3ELNS1_3repE0EEENS1_30default_config_static_selectorELNS0_4arch9wavefront6targetE0EEEvT1_.has_recursion, 0
	.set _ZN7rocprim17ROCPRIM_400000_NS6detail17trampoline_kernelINS0_14default_configENS1_27scan_by_key_config_selectorIiiEEZZNS1_16scan_by_key_implILNS1_25lookback_scan_determinismE0ELb1ES3_N6thrust23THRUST_200600_302600_NS6detail15normal_iteratorINS9_10device_ptrIiEEEENSB_INSC_IjEEEESE_iNS9_4plusIvEENS9_8equal_toIvEEiEE10hipError_tPvRmT2_T3_T4_T5_mT6_T7_P12ihipStream_tbENKUlT_T0_E_clISt17integral_constantIbLb0EES10_IbLb1EEEEDaSW_SX_EUlSW_E_NS1_11comp_targetILNS1_3genE9ELNS1_11target_archE1100ELNS1_3gpuE3ELNS1_3repE0EEENS1_30default_config_static_selectorELNS0_4arch9wavefront6targetE0EEEvT1_.has_indirect_call, 0
	.section	.AMDGPU.csdata,"",@progbits
; Kernel info:
; codeLenInByte = 0
; TotalNumSgprs: 0
; NumVgprs: 0
; ScratchSize: 0
; MemoryBound: 0
; FloatMode: 240
; IeeeMode: 1
; LDSByteSize: 0 bytes/workgroup (compile time only)
; SGPRBlocks: 0
; VGPRBlocks: 0
; NumSGPRsForWavesPerEU: 1
; NumVGPRsForWavesPerEU: 1
; Occupancy: 16
; WaveLimiterHint : 0
; COMPUTE_PGM_RSRC2:SCRATCH_EN: 0
; COMPUTE_PGM_RSRC2:USER_SGPR: 6
; COMPUTE_PGM_RSRC2:TRAP_HANDLER: 0
; COMPUTE_PGM_RSRC2:TGID_X_EN: 1
; COMPUTE_PGM_RSRC2:TGID_Y_EN: 0
; COMPUTE_PGM_RSRC2:TGID_Z_EN: 0
; COMPUTE_PGM_RSRC2:TIDIG_COMP_CNT: 0
	.section	.text._ZN7rocprim17ROCPRIM_400000_NS6detail17trampoline_kernelINS0_14default_configENS1_27scan_by_key_config_selectorIiiEEZZNS1_16scan_by_key_implILNS1_25lookback_scan_determinismE0ELb1ES3_N6thrust23THRUST_200600_302600_NS6detail15normal_iteratorINS9_10device_ptrIiEEEENSB_INSC_IjEEEESE_iNS9_4plusIvEENS9_8equal_toIvEEiEE10hipError_tPvRmT2_T3_T4_T5_mT6_T7_P12ihipStream_tbENKUlT_T0_E_clISt17integral_constantIbLb0EES10_IbLb1EEEEDaSW_SX_EUlSW_E_NS1_11comp_targetILNS1_3genE8ELNS1_11target_archE1030ELNS1_3gpuE2ELNS1_3repE0EEENS1_30default_config_static_selectorELNS0_4arch9wavefront6targetE0EEEvT1_,"axG",@progbits,_ZN7rocprim17ROCPRIM_400000_NS6detail17trampoline_kernelINS0_14default_configENS1_27scan_by_key_config_selectorIiiEEZZNS1_16scan_by_key_implILNS1_25lookback_scan_determinismE0ELb1ES3_N6thrust23THRUST_200600_302600_NS6detail15normal_iteratorINS9_10device_ptrIiEEEENSB_INSC_IjEEEESE_iNS9_4plusIvEENS9_8equal_toIvEEiEE10hipError_tPvRmT2_T3_T4_T5_mT6_T7_P12ihipStream_tbENKUlT_T0_E_clISt17integral_constantIbLb0EES10_IbLb1EEEEDaSW_SX_EUlSW_E_NS1_11comp_targetILNS1_3genE8ELNS1_11target_archE1030ELNS1_3gpuE2ELNS1_3repE0EEENS1_30default_config_static_selectorELNS0_4arch9wavefront6targetE0EEEvT1_,comdat
	.protected	_ZN7rocprim17ROCPRIM_400000_NS6detail17trampoline_kernelINS0_14default_configENS1_27scan_by_key_config_selectorIiiEEZZNS1_16scan_by_key_implILNS1_25lookback_scan_determinismE0ELb1ES3_N6thrust23THRUST_200600_302600_NS6detail15normal_iteratorINS9_10device_ptrIiEEEENSB_INSC_IjEEEESE_iNS9_4plusIvEENS9_8equal_toIvEEiEE10hipError_tPvRmT2_T3_T4_T5_mT6_T7_P12ihipStream_tbENKUlT_T0_E_clISt17integral_constantIbLb0EES10_IbLb1EEEEDaSW_SX_EUlSW_E_NS1_11comp_targetILNS1_3genE8ELNS1_11target_archE1030ELNS1_3gpuE2ELNS1_3repE0EEENS1_30default_config_static_selectorELNS0_4arch9wavefront6targetE0EEEvT1_ ; -- Begin function _ZN7rocprim17ROCPRIM_400000_NS6detail17trampoline_kernelINS0_14default_configENS1_27scan_by_key_config_selectorIiiEEZZNS1_16scan_by_key_implILNS1_25lookback_scan_determinismE0ELb1ES3_N6thrust23THRUST_200600_302600_NS6detail15normal_iteratorINS9_10device_ptrIiEEEENSB_INSC_IjEEEESE_iNS9_4plusIvEENS9_8equal_toIvEEiEE10hipError_tPvRmT2_T3_T4_T5_mT6_T7_P12ihipStream_tbENKUlT_T0_E_clISt17integral_constantIbLb0EES10_IbLb1EEEEDaSW_SX_EUlSW_E_NS1_11comp_targetILNS1_3genE8ELNS1_11target_archE1030ELNS1_3gpuE2ELNS1_3repE0EEENS1_30default_config_static_selectorELNS0_4arch9wavefront6targetE0EEEvT1_
	.globl	_ZN7rocprim17ROCPRIM_400000_NS6detail17trampoline_kernelINS0_14default_configENS1_27scan_by_key_config_selectorIiiEEZZNS1_16scan_by_key_implILNS1_25lookback_scan_determinismE0ELb1ES3_N6thrust23THRUST_200600_302600_NS6detail15normal_iteratorINS9_10device_ptrIiEEEENSB_INSC_IjEEEESE_iNS9_4plusIvEENS9_8equal_toIvEEiEE10hipError_tPvRmT2_T3_T4_T5_mT6_T7_P12ihipStream_tbENKUlT_T0_E_clISt17integral_constantIbLb0EES10_IbLb1EEEEDaSW_SX_EUlSW_E_NS1_11comp_targetILNS1_3genE8ELNS1_11target_archE1030ELNS1_3gpuE2ELNS1_3repE0EEENS1_30default_config_static_selectorELNS0_4arch9wavefront6targetE0EEEvT1_
	.p2align	8
	.type	_ZN7rocprim17ROCPRIM_400000_NS6detail17trampoline_kernelINS0_14default_configENS1_27scan_by_key_config_selectorIiiEEZZNS1_16scan_by_key_implILNS1_25lookback_scan_determinismE0ELb1ES3_N6thrust23THRUST_200600_302600_NS6detail15normal_iteratorINS9_10device_ptrIiEEEENSB_INSC_IjEEEESE_iNS9_4plusIvEENS9_8equal_toIvEEiEE10hipError_tPvRmT2_T3_T4_T5_mT6_T7_P12ihipStream_tbENKUlT_T0_E_clISt17integral_constantIbLb0EES10_IbLb1EEEEDaSW_SX_EUlSW_E_NS1_11comp_targetILNS1_3genE8ELNS1_11target_archE1030ELNS1_3gpuE2ELNS1_3repE0EEENS1_30default_config_static_selectorELNS0_4arch9wavefront6targetE0EEEvT1_,@function
_ZN7rocprim17ROCPRIM_400000_NS6detail17trampoline_kernelINS0_14default_configENS1_27scan_by_key_config_selectorIiiEEZZNS1_16scan_by_key_implILNS1_25lookback_scan_determinismE0ELb1ES3_N6thrust23THRUST_200600_302600_NS6detail15normal_iteratorINS9_10device_ptrIiEEEENSB_INSC_IjEEEESE_iNS9_4plusIvEENS9_8equal_toIvEEiEE10hipError_tPvRmT2_T3_T4_T5_mT6_T7_P12ihipStream_tbENKUlT_T0_E_clISt17integral_constantIbLb0EES10_IbLb1EEEEDaSW_SX_EUlSW_E_NS1_11comp_targetILNS1_3genE8ELNS1_11target_archE1030ELNS1_3gpuE2ELNS1_3repE0EEENS1_30default_config_static_selectorELNS0_4arch9wavefront6targetE0EEEvT1_: ; @_ZN7rocprim17ROCPRIM_400000_NS6detail17trampoline_kernelINS0_14default_configENS1_27scan_by_key_config_selectorIiiEEZZNS1_16scan_by_key_implILNS1_25lookback_scan_determinismE0ELb1ES3_N6thrust23THRUST_200600_302600_NS6detail15normal_iteratorINS9_10device_ptrIiEEEENSB_INSC_IjEEEESE_iNS9_4plusIvEENS9_8equal_toIvEEiEE10hipError_tPvRmT2_T3_T4_T5_mT6_T7_P12ihipStream_tbENKUlT_T0_E_clISt17integral_constantIbLb0EES10_IbLb1EEEEDaSW_SX_EUlSW_E_NS1_11comp_targetILNS1_3genE8ELNS1_11target_archE1030ELNS1_3gpuE2ELNS1_3repE0EEENS1_30default_config_static_selectorELNS0_4arch9wavefront6targetE0EEEvT1_
; %bb.0:
	s_clause 0x2
	s_load_dword s22, s[4:5], 0x20
	s_load_dwordx4 s[16:19], s[4:5], 0x28
	s_load_dwordx2 s[20:21], s[4:5], 0x38
	v_cmp_eq_u32_e64 s0, 0, v0
	s_and_saveexec_b32 s1, s0
	s_cbranch_execz .LBB1787_4
; %bb.1:
	s_mov_b32 s3, exec_lo
	s_mov_b32 s2, exec_lo
	v_mbcnt_lo_u32_b32 v1, s3, 0
                                        ; implicit-def: $vgpr2
	v_cmpx_eq_u32_e32 0, v1
	s_cbranch_execz .LBB1787_3
; %bb.2:
	s_load_dwordx2 s[6:7], s[4:5], 0x68
	s_bcnt1_i32_b32 s3, s3
	v_mov_b32_e32 v2, 0
	v_mov_b32_e32 v3, s3
	s_waitcnt lgkmcnt(0)
	global_atomic_add v2, v2, v3, s[6:7] glc
.LBB1787_3:
	s_or_b32 exec_lo, exec_lo, s2
	s_waitcnt vmcnt(0)
	v_readfirstlane_b32 s2, v2
	v_mov_b32_e32 v2, 0
	v_add_nc_u32_e32 v1, s2, v1
	ds_write_b32 v2, v1
.LBB1787_4:
	s_or_b32 exec_lo, exec_lo, s1
	v_mov_b32_e32 v2, 0
	s_clause 0x2
	s_load_dwordx8 s[8:15], s[4:5], 0x0
	s_load_dword s1, s[4:5], 0x40
	s_load_dwordx4 s[4:7], s[4:5], 0x48
	s_waitcnt lgkmcnt(0)
	s_barrier
	buffer_gl0_inv
	ds_read_b32 v5, v2
	s_waitcnt lgkmcnt(0)
	s_barrier
	buffer_gl0_inv
	s_barrier
	buffer_gl0_inv
	s_lshl_b64 s[10:11], s[10:11], 2
	s_mul_i32 s2, s21, s1
	s_add_u32 s8, s8, s10
	s_mul_hi_u32 s3, s20, s1
	s_mul_i32 s1, s20, s1
	s_addc_u32 s9, s9, s11
	v_mul_lo_u32 v1, 0x300, v5
	s_add_u32 s12, s12, s10
	s_addc_u32 s19, s13, s11
	s_add_i32 s3, s3, s2
	v_add_co_u32 v3, s1, s1, v5
	v_add_co_ci_u32_e64 v4, null, s3, 0, s1
	v_lshlrev_b64 v[9:10], 2, v[1:2]
	s_add_u32 s2, s4, -1
	s_addc_u32 s3, s5, -1
	v_readfirstlane_b32 s13, v5
	v_cmp_le_u64_e64 s1, s[2:3], v[3:4]
	v_add_co_u32 v4, vcc_lo, s8, v9
	v_add_co_ci_u32_e64 v5, null, s9, v10, vcc_lo
	v_add_co_u32 v8, vcc_lo, s12, v9
	v_add_co_ci_u32_e64 v15, null, s19, v10, vcc_lo
	s_and_b32 vcc_lo, exec_lo, s1
	s_mul_i32 s12, s2, 0xfffffd00
	s_cbranch_vccz .LBB1787_24
; %bb.5:
	flat_load_dword v1, v[4:5]
	s_add_i32 s5, s12, s18
	v_cmp_gt_u32_e32 vcc_lo, s5, v0
	s_waitcnt vmcnt(0) lgkmcnt(0)
	v_mov_b32_e32 v2, v1
	s_and_saveexec_b32 s3, vcc_lo
	s_cbranch_execz .LBB1787_7
; %bb.6:
	v_lshlrev_b32_e32 v2, 2, v0
	v_add_co_u32 v2, s2, v4, v2
	v_add_co_ci_u32_e64 v3, null, 0, v5, s2
	flat_load_dword v2, v[2:3]
.LBB1787_7:
	s_or_b32 exec_lo, exec_lo, s3
	v_or_b32_e32 v3, 0x100, v0
	v_cmp_gt_u32_e64 s2, s5, v3
	v_mov_b32_e32 v3, v1
	s_and_saveexec_b32 s4, s2
	s_cbranch_execz .LBB1787_9
; %bb.8:
	v_lshlrev_b32_e32 v3, 2, v0
	v_add_co_u32 v6, s3, v4, v3
	v_add_co_ci_u32_e64 v7, null, 0, v5, s3
	flat_load_dword v3, v[6:7] offset:1024
.LBB1787_9:
	s_or_b32 exec_lo, exec_lo, s4
	v_or_b32_e32 v6, 0x200, v0
	v_cmp_gt_u32_e64 s3, s5, v6
	v_lshlrev_b32_e32 v11, 2, v6
	s_and_saveexec_b32 s8, s3
	s_cbranch_execz .LBB1787_11
; %bb.10:
	v_add_co_u32 v6, s4, v4, v11
	v_add_co_ci_u32_e64 v7, null, 0, v5, s4
	flat_load_dword v1, v[6:7]
.LBB1787_11:
	s_or_b32 exec_lo, exec_lo, s8
	v_lshlrev_b32_e32 v12, 2, v0
	s_mov_b32 s8, exec_lo
	s_waitcnt vmcnt(0) lgkmcnt(0)
	ds_write2st64_b32 v12, v2, v3 offset1:4
	ds_write_b32 v12, v1 offset:2048
	s_waitcnt lgkmcnt(0)
	s_barrier
	buffer_gl0_inv
	flat_load_dword v16, v[4:5]
	v_lshlrev_b32_e32 v1, 3, v0
	v_add_nc_u32_e32 v17, v12, v1
	ds_read_b32 v18, v17
	ds_read2_b32 v[6:7], v17 offset0:1 offset1:2
	s_waitcnt lgkmcnt(1)
	ds_write_b32 v12, v18 offset:4096
	s_waitcnt vmcnt(0) lgkmcnt(0)
	s_barrier
	buffer_gl0_inv
	v_cmpx_ne_u32_e32 0xff, v0
; %bb.12:
	v_sub_nc_u32_e32 v1, 0, v1
	v_add_nc_u32_e32 v1, v17, v1
	ds_read_b32 v16, v1 offset:4100
; %bb.13:
	s_or_b32 exec_lo, exec_lo, s8
	v_mov_b32_e32 v1, 0
	s_waitcnt lgkmcnt(0)
	s_barrier
	buffer_gl0_inv
	v_mov_b32_e32 v2, v1
	v_mov_b32_e32 v3, v1
	s_and_saveexec_b32 s4, vcc_lo
	s_cbranch_execnz .LBB1787_94
; %bb.14:
	s_or_b32 exec_lo, exec_lo, s4
	s_and_saveexec_b32 s4, s2
	s_cbranch_execnz .LBB1787_95
.LBB1787_15:
	s_or_b32 exec_lo, exec_lo, s4
	v_mul_u32_u24_e32 v19, 3, v0
	s_and_saveexec_b32 s2, s3
	s_cbranch_execz .LBB1787_17
.LBB1787_16:
	v_add_co_u32 v13, vcc_lo, v8, v11
	v_add_co_ci_u32_e64 v14, null, 0, v15, vcc_lo
	flat_load_dword v3, v[13:14]
.LBB1787_17:
	s_or_b32 exec_lo, exec_lo, s2
	s_waitcnt vmcnt(0) lgkmcnt(0)
	ds_write2st64_b32 v12, v1, v2 offset1:4
	ds_write_b32 v12, v3 offset:2048
	v_mov_b32_e32 v11, 0
	v_mov_b32_e32 v1, 0
	;; [unrolled: 1-line block ×6, first 2 shown]
	s_mov_b32 s3, 0
	s_mov_b32 s8, 0
	s_mov_b32 s4, exec_lo
	s_waitcnt lgkmcnt(0)
	s_barrier
	buffer_gl0_inv
                                        ; implicit-def: $sgpr2
                                        ; implicit-def: $vgpr3
	v_cmpx_gt_u32_e64 s5, v19
	s_cbranch_execz .LBB1787_23
; %bb.18:
	ds_read_b32 v3, v17
	v_cmp_ne_u32_e32 vcc_lo, v18, v6
	v_mov_b32_e32 v1, 0
	v_add_nc_u32_e32 v13, 1, v19
	v_mov_b32_e32 v2, 0
	s_mov_b32 s9, 0
	v_cndmask_b32_e64 v12, 0, 1, vcc_lo
	v_cmp_eq_u32_e32 vcc_lo, v18, v6
	s_mov_b32 s8, exec_lo
                                        ; implicit-def: $sgpr2
	s_waitcnt lgkmcnt(0)
	v_cndmask_b32_e32 v11, s22, v3, vcc_lo
                                        ; implicit-def: $vgpr3
	v_cmpx_gt_u32_e64 s5, v13
	s_cbranch_execz .LBB1787_22
; %bb.19:
	ds_read2_b32 v[13:14], v17 offset0:1 offset1:2
	v_cmp_ne_u32_e32 vcc_lo, v6, v7
	v_add_nc_u32_e32 v3, 2, v19
                                        ; implicit-def: $sgpr2
	v_cndmask_b32_e64 v2, 0, 1, vcc_lo
	v_cmp_eq_u32_e32 vcc_lo, v6, v7
	s_waitcnt lgkmcnt(0)
	v_cndmask_b32_e32 v1, s22, v13, vcc_lo
	v_cmp_gt_u32_e32 vcc_lo, s5, v3
	s_mov_b32 s5, 0
                                        ; implicit-def: $vgpr3
	s_and_saveexec_b32 s9, vcc_lo
	s_xor_b32 s9, exec_lo, s9
; %bb.20:
	v_cmp_ne_u32_e64 s2, v7, v16
	s_mov_b32 s5, exec_lo
	v_cndmask_b32_e64 v3, v14, s22, s2
; %bb.21:
	s_or_b32 exec_lo, exec_lo, s9
	s_and_b32 s9, s5, exec_lo
.LBB1787_22:
	s_or_b32 exec_lo, exec_lo, s8
	v_mov_b32_e32 v14, v2
	v_mov_b32_e32 v13, v1
	s_and_b32 s8, s9, exec_lo
.LBB1787_23:
	s_or_b32 exec_lo, exec_lo, s4
	v_lshlrev_b32_e32 v20, 2, v0
	v_lshlrev_b32_e32 v21, 3, v0
	s_and_b32 vcc_lo, exec_lo, s3
	s_cbranch_vccnz .LBB1787_25
	s_branch .LBB1787_28
.LBB1787_24:
	s_mov_b32 s8, 0
                                        ; implicit-def: $sgpr2
                                        ; implicit-def: $vgpr3
                                        ; implicit-def: $vgpr11_vgpr12
                                        ; implicit-def: $vgpr1_vgpr2
                                        ; implicit-def: $vgpr13_vgpr14
	v_lshlrev_b32_e32 v20, 2, v0
	v_lshlrev_b32_e32 v21, 3, v0
	s_cbranch_execz .LBB1787_28
.LBB1787_25:
	v_add_co_u32 v1, vcc_lo, v4, v20
	v_add_co_ci_u32_e64 v2, null, 0, v5, vcc_lo
	s_mov_b32 s2, exec_lo
	v_add_co_u32 v6, vcc_lo, 0x800, v1
	v_add_co_ci_u32_e64 v7, null, 0, v2, vcc_lo
	s_clause 0x2
	flat_load_dword v3, v[1:2]
	flat_load_dword v11, v[1:2] offset:1024
	flat_load_dword v6, v[6:7]
	v_add_co_u32 v1, vcc_lo, 0x800, v4
	v_add_co_ci_u32_e64 v2, null, 0, v5, vcc_lo
	s_waitcnt vmcnt(1) lgkmcnt(1)
	ds_write2st64_b32 v20, v3, v11 offset1:4
	s_waitcnt vmcnt(0) lgkmcnt(1)
	ds_write_b32 v20, v6 offset:2048
	s_waitcnt lgkmcnt(0)
	s_barrier
	buffer_gl0_inv
	flat_load_dword v5, v[1:2] offset:1024
	v_add_nc_u32_e32 v1, v20, v21
	ds_read_b32 v6, v1
	ds_read2_b32 v[3:4], v1 offset0:1 offset1:2
	s_waitcnt lgkmcnt(1)
	ds_write_b32 v20, v6 offset:4096
	s_waitcnt vmcnt(0) lgkmcnt(0)
	s_barrier
	buffer_gl0_inv
	v_cmpx_ne_u32_e32 0xff, v0
; %bb.26:
	v_sub_nc_u32_e32 v2, 0, v21
	v_add_nc_u32_e32 v2, v1, v2
	ds_read_b32 v5, v2 offset:4100
; %bb.27:
	s_or_b32 exec_lo, exec_lo, s2
	v_add_co_u32 v7, vcc_lo, v8, v20
	v_add_co_ci_u32_e64 v8, null, 0, v15, vcc_lo
	s_waitcnt lgkmcnt(0)
	v_add_co_u32 v11, vcc_lo, 0x800, v7
	v_add_co_ci_u32_e64 v12, null, 0, v8, vcc_lo
	s_barrier
	buffer_gl0_inv
	s_clause 0x2
	flat_load_dword v2, v[7:8]
	flat_load_dword v7, v[7:8] offset:1024
	flat_load_dword v8, v[11:12]
	v_cmp_eq_u32_e32 vcc_lo, v6, v3
	v_cmp_ne_u32_e64 s2, v4, v5
	s_mov_b32 s8, -1
	s_waitcnt vmcnt(1) lgkmcnt(1)
	ds_write2st64_b32 v20, v2, v7 offset1:4
	s_waitcnt vmcnt(0) lgkmcnt(1)
	ds_write_b32 v20, v8 offset:2048
	s_waitcnt lgkmcnt(0)
	s_barrier
	buffer_gl0_inv
	ds_read2_b32 v[7:8], v1 offset1:1
	ds_read_b32 v13, v1 offset:8
	s_waitcnt lgkmcnt(1)
	v_cndmask_b32_e32 v11, s22, v7, vcc_lo
	v_cmp_eq_u32_e32 vcc_lo, v3, v4
	v_cndmask_b32_e32 v1, s22, v8, vcc_lo
	v_cmp_ne_u32_e32 vcc_lo, v3, v4
	v_cndmask_b32_e64 v2, 0, 1, vcc_lo
	v_cmp_ne_u32_e32 vcc_lo, v6, v3
	s_waitcnt lgkmcnt(0)
	v_cndmask_b32_e64 v3, v13, s22, s2
	v_mov_b32_e32 v14, v2
	v_cndmask_b32_e64 v12, 0, 1, vcc_lo
	v_mov_b32_e32 v13, v1
.LBB1787_28:
	v_mov_b32_e32 v15, 0
	v_mov_b32_e32 v16, 0
	s_and_saveexec_b32 s3, s8
; %bb.29:
	v_cndmask_b32_e64 v4, 0, 1, s2
	v_mov_b32_e32 v14, v2
	v_mov_b32_e32 v13, v1
	;; [unrolled: 1-line block ×4, first 2 shown]
; %bb.30:
	s_or_b32 exec_lo, exec_lo, s3
	v_or_b32_e32 v25, v14, v16
	v_mbcnt_lo_u32_b32 v22, -1, 0
	v_lshrrev_b32_e32 v23, 5, v0
	v_or_b32_e32 v24, 31, v0
	s_cmp_lg_u32 s13, 0
	s_mov_b32 s4, 0
	s_barrier
	buffer_gl0_inv
	s_cbranch_scc0 .LBB1787_56
; %bb.31:
	v_and_b32_e32 v2, 0xff, v25
	v_mov_b32_e32 v1, 0
	s_mov_b32 s5, 1
	v_cmp_gt_u64_e64 s2, s[4:5], v[13:14]
	v_cmp_eq_u64_e32 vcc_lo, 0, v[1:2]
	v_cndmask_b32_e64 v3, 0, v11, s2
	v_cndmask_b32_e32 v2, 1, v12, vcc_lo
	v_cmp_gt_u64_e32 vcc_lo, s[4:5], v[15:16]
	v_add_nc_u32_e32 v3, v3, v13
	v_and_b32_e32 v4, 0xff, v2
	v_and_b32_e32 v6, 1, v2
	v_cndmask_b32_e32 v3, 0, v3, vcc_lo
	v_mov_b32_dpp v5, v4 row_shr:1 row_mask:0xf bank_mask:0xf
	v_cmp_eq_u32_e32 vcc_lo, 1, v6
	v_and_b32_e32 v6, 15, v22
	v_add_nc_u32_e32 v3, v3, v15
	v_and_b32_e32 v5, 1, v5
	v_mov_b32_dpp v7, v3 row_shr:1 row_mask:0xf bank_mask:0xf
	v_cndmask_b32_e64 v5, v5, 1, vcc_lo
	v_cmp_eq_u16_e32 vcc_lo, 0, v4
	v_and_b32_e32 v8, 0xffff, v5
	v_cndmask_b32_e32 v7, 0, v7, vcc_lo
	v_cmp_eq_u32_e32 vcc_lo, 0, v6
	v_cndmask_b32_e32 v4, v8, v4, vcc_lo
	v_cndmask_b32_e32 v2, v5, v2, vcc_lo
	v_cndmask_b32_e64 v7, v7, 0, vcc_lo
	v_mov_b32_dpp v5, v4 row_shr:2 row_mask:0xf bank_mask:0xf
	v_and_b32_e32 v8, 1, v2
	v_add_nc_u32_e32 v3, v7, v3
	v_cmp_eq_u16_sdwa s4, v2, v1 src0_sel:BYTE_0 src1_sel:DWORD
	v_and_b32_e32 v5, 1, v5
	v_cmp_eq_u32_e32 vcc_lo, 1, v8
	v_cndmask_b32_e64 v5, v5, 1, vcc_lo
	v_cmp_lt_u32_e32 vcc_lo, 1, v6
	v_and_b32_e32 v8, 0xffff, v5
	v_cndmask_b32_e32 v5, v2, v5, vcc_lo
	v_mov_b32_dpp v2, v3 row_shr:2 row_mask:0xf bank_mask:0xf
	v_cndmask_b32_e32 v4, v4, v8, vcc_lo
	v_and_b32_e32 v7, 1, v5
	s_and_b32 vcc_lo, vcc_lo, s4
	v_cndmask_b32_e32 v2, 0, v2, vcc_lo
	v_mov_b32_dpp v8, v4 row_shr:4 row_mask:0xf bank_mask:0xf
	v_cmp_eq_u32_e64 s3, 1, v7
	v_cmp_lt_u32_e32 vcc_lo, 3, v6
	v_add_nc_u32_e32 v2, v2, v3
	v_and_b32_e32 v8, 1, v8
	v_cndmask_b32_e64 v7, v8, 1, s3
	v_cmp_eq_u16_sdwa s3, v5, v1 src0_sel:BYTE_0 src1_sel:DWORD
	v_and_b32_e32 v8, 0xffff, v7
	v_cndmask_b32_e32 v3, v5, v7, vcc_lo
	v_mov_b32_dpp v5, v2 row_shr:4 row_mask:0xf bank_mask:0xf
	v_cndmask_b32_e32 v4, v4, v8, vcc_lo
	s_and_b32 vcc_lo, vcc_lo, s3
	v_and_b32_e32 v8, 1, v3
	v_cndmask_b32_e32 v5, 0, v5, vcc_lo
	v_cmp_eq_u16_sdwa s3, v3, v1 src0_sel:BYTE_0 src1_sel:DWORD
	v_mov_b32_dpp v7, v4 row_shr:8 row_mask:0xf bank_mask:0xf
	v_cmp_eq_u32_e32 vcc_lo, 1, v8
	v_add_nc_u32_e32 v2, v5, v2
	v_and_b32_e32 v7, 1, v7
	v_cndmask_b32_e64 v5, v7, 1, vcc_lo
	v_cmp_lt_u32_e32 vcc_lo, 7, v6
	v_mov_b32_dpp v6, v2 row_shr:8 row_mask:0xf bank_mask:0xf
	s_and_b32 s3, vcc_lo, s3
	v_cndmask_b32_e32 v7, v3, v5, vcc_lo
	v_cndmask_b32_e64 v3, 0, v6, s3
	v_and_b32_e32 v5, 0xffff, v5
	v_and_b32_e32 v6, 16, v22
	v_add_nc_u32_e32 v2, v3, v2
	v_cndmask_b32_e32 v3, v4, v5, vcc_lo
	v_cmp_eq_u16_sdwa vcc_lo, v7, v1 src0_sel:BYTE_0 src1_sel:DWORD
	v_bfe_i32 v5, v22, 4, 1
	v_cmp_eq_u32_e64 s3, 0, v6
	ds_swizzle_b32 v4, v2 offset:swizzle(BROADCAST,32,15)
	ds_swizzle_b32 v3, v3 offset:swizzle(BROADCAST,32,15)
	s_waitcnt lgkmcnt(1)
	v_cndmask_b32_e32 v1, 0, v4, vcc_lo
	v_and_b32_e32 v4, 1, v7
	s_waitcnt lgkmcnt(0)
	v_and_b32_e32 v3, 1, v3
	v_and_b32_e32 v1, v5, v1
	v_cmp_eq_u32_e32 vcc_lo, 1, v4
	v_lshlrev_b32_e32 v5, 3, v23
	v_cndmask_b32_e64 v4, v3, 1, vcc_lo
	v_add_nc_u32_e32 v3, v1, v2
	v_cndmask_b32_e64 v4, v4, v7, s3
	s_mov_b32 s3, exec_lo
	v_cmpx_eq_u32_e64 v0, v24
	s_cbranch_execz .LBB1787_33
; %bb.32:
	ds_write_b32 v5, v3
	ds_write_b8 v5, v4 offset:4
.LBB1787_33:
	s_or_b32 exec_lo, exec_lo, s3
	s_mov_b32 s3, exec_lo
	s_waitcnt lgkmcnt(0)
	s_barrier
	buffer_gl0_inv
	v_cmpx_gt_u32_e32 8, v0
	s_cbranch_execz .LBB1787_39
; %bb.34:
	ds_read_b64 v[1:2], v21
	v_and_b32_e32 v6, 7, v22
	s_mov_b32 s4, exec_lo
	s_waitcnt lgkmcnt(0)
	v_and_b32_e32 v7, 0xffffff00, v2
	v_mov_b32_dpp v17, v1 row_shr:1 row_mask:0xf bank_mask:0xf
	v_mov_b32_dpp v18, v2 row_shr:1 row_mask:0xf bank_mask:0xf
	v_mov_b32_e32 v8, v2
	v_cmpx_ne_u32_e32 0, v6
	s_cbranch_execz .LBB1787_36
; %bb.35:
	v_mov_b32_e32 v8, 0
	v_and_b32_e32 v19, 1, v2
	v_and_b32_e32 v18, 1, v18
	v_cmp_eq_u16_sdwa vcc_lo, v2, v8 src0_sel:BYTE_0 src1_sel:DWORD
	v_cndmask_b32_e32 v2, 0, v17, vcc_lo
	v_cmp_eq_u32_e32 vcc_lo, 1, v19
	v_add_nc_u32_e32 v1, v2, v1
	v_cndmask_b32_e64 v17, v18, 1, vcc_lo
	v_or_b32_sdwa v8, v7, v17 dst_sel:DWORD dst_unused:UNUSED_PAD src0_sel:DWORD src1_sel:WORD_0
	v_mov_b32_e32 v2, v17
.LBB1787_36:
	s_or_b32 exec_lo, exec_lo, s4
	v_mov_b32_dpp v17, v1 row_shr:2 row_mask:0xf bank_mask:0xf
	v_mov_b32_dpp v18, v8 row_shr:2 row_mask:0xf bank_mask:0xf
	s_mov_b32 s4, exec_lo
	v_cmpx_lt_u32_e32 1, v6
	s_cbranch_execz .LBB1787_38
; %bb.37:
	v_mov_b32_e32 v8, 0
	v_and_b32_e32 v19, 1, v2
	v_and_b32_e32 v18, 1, v18
	v_cmp_eq_u16_sdwa vcc_lo, v2, v8 src0_sel:BYTE_0 src1_sel:DWORD
	v_cndmask_b32_e32 v2, 0, v17, vcc_lo
	v_cmp_eq_u32_e32 vcc_lo, 1, v19
	v_add_nc_u32_e32 v1, v2, v1
	v_cndmask_b32_e64 v17, v18, 1, vcc_lo
	v_or_b32_sdwa v8, v7, v17 dst_sel:DWORD dst_unused:UNUSED_PAD src0_sel:DWORD src1_sel:WORD_0
	v_mov_b32_e32 v2, v17
.LBB1787_38:
	s_or_b32 exec_lo, exec_lo, s4
	v_mov_b32_dpp v7, v8 row_shr:4 row_mask:0xf bank_mask:0xf
	v_and_b32_e32 v17, 1, v2
	v_mov_b32_e32 v8, 0
	v_and_b32_e32 v7, 1, v7
	v_cmp_eq_u32_e32 vcc_lo, 1, v17
	v_cmp_eq_u16_sdwa s4, v2, v8 src0_sel:BYTE_0 src1_sel:DWORD
	v_cndmask_b32_e64 v7, v7, 1, vcc_lo
	v_cmp_lt_u32_e32 vcc_lo, 3, v6
	v_mov_b32_dpp v6, v1 row_shr:4 row_mask:0xf bank_mask:0xf
	v_cndmask_b32_e32 v2, v2, v7, vcc_lo
	s_and_b32 vcc_lo, vcc_lo, s4
	v_cndmask_b32_e32 v6, 0, v6, vcc_lo
	v_add_nc_u32_e32 v1, v6, v1
	ds_write_b32 v21, v1
	ds_write_b8 v21, v2 offset:4
.LBB1787_39:
	s_or_b32 exec_lo, exec_lo, s3
	v_mov_b32_e32 v27, 0
	v_mov_b32_e32 v26, 0
	s_mov_b32 s4, exec_lo
	v_cmp_gt_u32_e32 vcc_lo, 32, v0
	s_waitcnt lgkmcnt(0)
	s_barrier
	buffer_gl0_inv
	v_cmpx_lt_u32_e32 31, v0
	s_cbranch_execz .LBB1787_41
; %bb.40:
	v_add_nc_u32_e32 v1, -8, v5
	v_and_b32_e32 v2, 1, v4
	ds_read_b32 v26, v1
	v_add_nc_u32_e32 v1, -4, v5
	ds_read_u8 v27, v1
	v_mov_b32_e32 v1, 0
	v_cmp_eq_u16_sdwa s3, v4, v1 src0_sel:BYTE_0 src1_sel:DWORD
	s_waitcnt lgkmcnt(1)
	v_cndmask_b32_e64 v1, 0, v26, s3
	v_cmp_eq_u32_e64 s3, 1, v2
	v_add_nc_u32_e32 v3, v1, v3
	s_waitcnt lgkmcnt(0)
	v_cndmask_b32_e64 v4, v27, 1, s3
.LBB1787_41:
	s_or_b32 exec_lo, exec_lo, s4
	v_sub_co_u32 v1, s3, v22, 1
	v_and_b32_e32 v2, 0xff, v4
	v_cmp_gt_i32_e64 s4, 0, v1
	v_cndmask_b32_e64 v1, v1, v22, s4
	v_lshlrev_b32_e32 v1, 2, v1
	ds_bpermute_b32 v28, v1, v3
	ds_bpermute_b32 v29, v1, v2
	s_and_saveexec_b32 s5, vcc_lo
	s_cbranch_execz .LBB1787_61
; %bb.42:
	v_mov_b32_e32 v4, 0
	ds_read_b64 v[1:2], v4 offset:56
	s_and_saveexec_b32 s4, s3
	s_cbranch_execz .LBB1787_44
; %bb.43:
	s_add_i32 s8, s13, 32
	s_mov_b32 s9, 0
	v_mov_b32_e32 v3, 1
	s_lshl_b64 s[8:9], s[8:9], 4
	s_add_u32 s8, s16, s8
	s_addc_u32 s9, s17, s9
	v_mov_b32_e32 v5, s8
	v_mov_b32_e32 v6, s9
	s_waitcnt lgkmcnt(0)
	;;#ASMSTART
	global_store_dwordx4 v[5:6], v[1:4] off	
s_waitcnt vmcnt(0)
	;;#ASMEND
.LBB1787_44:
	s_or_b32 exec_lo, exec_lo, s4
	v_xad_u32 v17, v22, -1, s13
	s_mov_b32 s8, 0
	v_add_nc_u32_e32 v3, 32, v17
	v_lshlrev_b64 v[5:6], 4, v[3:4]
	v_add_co_u32 v18, vcc_lo, s16, v5
	v_add_co_ci_u32_e64 v19, null, s17, v6, vcc_lo
	;;#ASMSTART
	global_load_dwordx4 v[5:8], v[18:19] off glc dlc	
s_waitcnt vmcnt(0)
	;;#ASMEND
	v_and_b32_e32 v6, 0xff, v6
	v_cmp_eq_u16_sdwa s9, v7, v4 src0_sel:BYTE_0 src1_sel:DWORD
	s_and_saveexec_b32 s4, s9
	s_cbranch_execz .LBB1787_48
; %bb.45:
	v_mov_b32_e32 v3, 0
.LBB1787_46:                            ; =>This Inner Loop Header: Depth=1
	;;#ASMSTART
	global_load_dwordx4 v[5:8], v[18:19] off glc dlc	
s_waitcnt vmcnt(0)
	;;#ASMEND
	v_cmp_ne_u16_sdwa s9, v7, v3 src0_sel:BYTE_0 src1_sel:DWORD
	s_or_b32 s8, s9, s8
	s_andn2_b32 exec_lo, exec_lo, s8
	s_cbranch_execnz .LBB1787_46
; %bb.47:
	s_or_b32 exec_lo, exec_lo, s8
	v_and_b32_e32 v6, 0xff, v6
.LBB1787_48:
	s_or_b32 exec_lo, exec_lo, s4
	v_cmp_ne_u32_e32 vcc_lo, 31, v22
	v_mov_b32_e32 v30, 2
	v_lshlrev_b32_e64 v31, v22, -1
	v_and_b32_e32 v8, 1, v6
	s_mov_b32 s8, 0
	v_add_co_ci_u32_e64 v3, null, 0, v22, vcc_lo
	v_cmp_eq_u16_sdwa s4, v7, v30 src0_sel:BYTE_0 src1_sel:DWORD
	v_cmp_eq_u32_e32 vcc_lo, 1, v8
	s_mov_b32 s9, 1
	v_lshlrev_b32_e32 v19, 2, v3
	v_add_nc_u32_e32 v39, 8, v22
	v_and_or_b32 v4, s4, v31, 0x80000000
	v_cmp_gt_u64_e64 s4, s[8:9], v[5:6]
	v_lshl_or_b32 v40, v22, 2, 64
	ds_bpermute_b32 v3, v19, v6
	ds_bpermute_b32 v18, v19, v5
	v_ffbl_b32_e32 v4, v4
	v_add_nc_u32_e32 v41, 16, v22
	s_waitcnt lgkmcnt(1)
	v_and_b32_e32 v3, 1, v3
	v_cndmask_b32_e64 v3, v3, 1, vcc_lo
	v_cmp_gt_u32_e32 vcc_lo, 30, v22
	v_and_b32_e32 v33, 0xffff, v3
	v_cndmask_b32_e64 v8, 0, 2, vcc_lo
	v_cmp_lt_u32_e32 vcc_lo, v22, v4
	v_add_lshl_u32 v32, v8, v22, 2
	v_cndmask_b32_e32 v8, v6, v33, vcc_lo
	v_cndmask_b32_e32 v3, v6, v3, vcc_lo
	s_and_b32 vcc_lo, vcc_lo, s4
	s_waitcnt lgkmcnt(0)
	v_cndmask_b32_e32 v6, 0, v18, vcc_lo
	ds_bpermute_b32 v33, v32, v8
	v_and_b32_e32 v18, 1, v3
	v_add_nc_u32_e32 v5, v6, v5
	v_cmp_eq_u32_e32 vcc_lo, 1, v18
	v_mov_b32_e32 v18, 0
	ds_bpermute_b32 v6, v32, v5
	v_cmp_eq_u16_sdwa s4, v3, v18 src0_sel:BYTE_0 src1_sel:DWORD
	s_waitcnt lgkmcnt(1)
	v_and_b32_e32 v34, 1, v33
	v_add_nc_u32_e32 v33, 2, v22
	v_cndmask_b32_e64 v35, v34, 1, vcc_lo
	v_cmp_gt_u32_e32 vcc_lo, 28, v22
	v_and_b32_e32 v36, 0xffff, v35
	v_cndmask_b32_e64 v34, 0, 4, vcc_lo
	v_cmp_gt_u32_e32 vcc_lo, v33, v4
	v_add_lshl_u32 v34, v34, v22, 2
	v_cndmask_b32_e32 v8, v36, v8, vcc_lo
	v_cndmask_b32_e32 v37, v35, v3, vcc_lo
	s_waitcnt lgkmcnt(0)
	v_cndmask_b32_e64 v3, 0, v6, s4
	v_add_nc_u32_e32 v35, 4, v22
	ds_bpermute_b32 v6, v34, v8
	v_and_b32_e32 v36, 1, v37
	v_cndmask_b32_e64 v3, v3, 0, vcc_lo
	v_cmp_eq_u16_sdwa s4, v37, v18 src0_sel:BYTE_0 src1_sel:DWORD
	v_cmp_eq_u32_e32 vcc_lo, 1, v36
	v_add_nc_u32_e32 v3, v3, v5
	ds_bpermute_b32 v5, v34, v3
	s_waitcnt lgkmcnt(1)
	v_and_b32_e32 v6, 1, v6
	v_cndmask_b32_e64 v6, v6, 1, vcc_lo
	v_cmp_gt_u32_e32 vcc_lo, 24, v22
	v_and_b32_e32 v38, 0xffff, v6
	v_cndmask_b32_e64 v36, 0, 8, vcc_lo
	v_cmp_gt_u32_e32 vcc_lo, v35, v4
	s_waitcnt lgkmcnt(0)
	v_cndmask_b32_e64 v5, 0, v5, s4
	v_add_lshl_u32 v36, v36, v22, 2
	v_cndmask_b32_e32 v8, v38, v8, vcc_lo
	v_cndmask_b32_e32 v6, v6, v37, vcc_lo
	v_cndmask_b32_e64 v5, v5, 0, vcc_lo
	ds_bpermute_b32 v37, v36, v8
	v_and_b32_e32 v38, 1, v6
	v_add_nc_u32_e32 v3, v5, v3
	v_cmp_eq_u32_e32 vcc_lo, 1, v38
	ds_bpermute_b32 v5, v36, v3
	s_waitcnt lgkmcnt(1)
	v_and_b32_e32 v37, 1, v37
	v_cndmask_b32_e64 v37, v37, 1, vcc_lo
	v_cmp_eq_u16_sdwa vcc_lo, v6, v18 src0_sel:BYTE_0 src1_sel:DWORD
	v_and_b32_e32 v38, 0xffff, v37
	s_waitcnt lgkmcnt(0)
	v_cndmask_b32_e32 v5, 0, v5, vcc_lo
	v_cmp_gt_u32_e32 vcc_lo, v39, v4
	v_cndmask_b32_e64 v5, v5, 0, vcc_lo
	v_cndmask_b32_e32 v8, v38, v8, vcc_lo
	v_cndmask_b32_e32 v6, v37, v6, vcc_lo
	v_add_nc_u32_e32 v3, v5, v3
	ds_bpermute_b32 v5, v40, v8
	v_and_b32_e32 v37, 1, v6
	v_cmp_eq_u16_sdwa vcc_lo, v6, v18 src0_sel:BYTE_0 src1_sel:DWORD
	ds_bpermute_b32 v8, v40, v3
	s_waitcnt lgkmcnt(1)
	v_and_b32_e32 v5, 1, v5
	s_waitcnt lgkmcnt(0)
	v_cndmask_b32_e32 v8, 0, v8, vcc_lo
	v_cmp_eq_u32_e32 vcc_lo, 1, v37
	v_cndmask_b32_e64 v5, v5, 1, vcc_lo
	v_cmp_gt_u32_e32 vcc_lo, v41, v4
	v_cndmask_b32_e32 v4, v5, v6, vcc_lo
	v_cndmask_b32_e64 v5, v8, 0, vcc_lo
	v_add_nc_u32_e32 v3, v5, v3
	s_branch .LBB1787_52
.LBB1787_49:                            ;   in Loop: Header=BB1787_52 Depth=1
	s_or_b32 exec_lo, exec_lo, s19
	v_and_b32_e32 v6, 0xff, v6
.LBB1787_50:                            ;   in Loop: Header=BB1787_52 Depth=1
	s_or_b32 exec_lo, exec_lo, s4
	ds_bpermute_b32 v3, v19, v6
	v_cmp_eq_u16_sdwa s4, v7, v30 src0_sel:BYTE_0 src1_sel:DWORD
	v_and_b32_e32 v4, 1, v6
	v_subrev_nc_u32_e32 v17, 32, v17
	v_and_or_b32 v8, s4, v31, 0x80000000
	v_cmp_eq_u32_e32 vcc_lo, 1, v4
	v_cmp_gt_u64_e64 s4, s[8:9], v[5:6]
	v_ffbl_b32_e32 v4, v8
	ds_bpermute_b32 v8, v19, v5
	s_waitcnt lgkmcnt(1)
	v_and_b32_e32 v3, 1, v3
	v_cndmask_b32_e64 v3, v3, 1, vcc_lo
	v_cmp_lt_u32_e32 vcc_lo, v22, v4
	v_and_b32_e32 v42, 0xffff, v3
	v_cndmask_b32_e32 v3, v6, v3, vcc_lo
	v_cndmask_b32_e32 v42, v6, v42, vcc_lo
	s_and_b32 vcc_lo, vcc_lo, s4
	v_cmp_eq_u16_sdwa s4, v3, v18 src0_sel:BYTE_0 src1_sel:DWORD
	s_waitcnt lgkmcnt(0)
	v_cndmask_b32_e32 v6, 0, v8, vcc_lo
	v_and_b32_e32 v8, 1, v3
	ds_bpermute_b32 v43, v32, v42
	v_add_nc_u32_e32 v5, v6, v5
	v_cmp_eq_u32_e32 vcc_lo, 1, v8
	ds_bpermute_b32 v6, v32, v5
	s_waitcnt lgkmcnt(1)
	v_and_b32_e32 v43, 1, v43
	v_cndmask_b32_e64 v8, v43, 1, vcc_lo
	v_cmp_gt_u32_e32 vcc_lo, v33, v4
	v_and_b32_e32 v43, 0xffff, v8
	v_cndmask_b32_e32 v8, v8, v3, vcc_lo
	s_waitcnt lgkmcnt(0)
	v_cndmask_b32_e64 v3, 0, v6, s4
	v_cndmask_b32_e32 v42, v43, v42, vcc_lo
	v_and_b32_e32 v43, 1, v8
	v_cndmask_b32_e64 v3, v3, 0, vcc_lo
	v_cmp_eq_u16_sdwa s4, v8, v18 src0_sel:BYTE_0 src1_sel:DWORD
	ds_bpermute_b32 v6, v34, v42
	v_cmp_eq_u32_e32 vcc_lo, 1, v43
	v_add_nc_u32_e32 v3, v3, v5
	ds_bpermute_b32 v5, v34, v3
	s_waitcnt lgkmcnt(1)
	v_and_b32_e32 v6, 1, v6
	v_cndmask_b32_e64 v6, v6, 1, vcc_lo
	v_cmp_gt_u32_e32 vcc_lo, v35, v4
	s_waitcnt lgkmcnt(0)
	v_cndmask_b32_e64 v5, 0, v5, s4
	s_mov_b32 s4, 0
	v_and_b32_e32 v43, 0xffff, v6
	v_cndmask_b32_e32 v6, v6, v8, vcc_lo
	v_cndmask_b32_e64 v5, v5, 0, vcc_lo
	v_cndmask_b32_e32 v8, v43, v42, vcc_lo
	v_and_b32_e32 v43, 1, v6
	v_add_nc_u32_e32 v3, v5, v3
	ds_bpermute_b32 v42, v36, v8
	v_cmp_eq_u32_e32 vcc_lo, 1, v43
	ds_bpermute_b32 v5, v36, v3
	s_waitcnt lgkmcnt(1)
	v_and_b32_e32 v42, 1, v42
	v_cndmask_b32_e64 v42, v42, 1, vcc_lo
	v_cmp_eq_u16_sdwa vcc_lo, v6, v18 src0_sel:BYTE_0 src1_sel:DWORD
	v_and_b32_e32 v43, 0xffff, v42
	s_waitcnt lgkmcnt(0)
	v_cndmask_b32_e32 v5, 0, v5, vcc_lo
	v_cmp_gt_u32_e32 vcc_lo, v39, v4
	v_cndmask_b32_e64 v5, v5, 0, vcc_lo
	v_cndmask_b32_e32 v8, v43, v8, vcc_lo
	v_cndmask_b32_e32 v6, v42, v6, vcc_lo
	v_add_nc_u32_e32 v3, v5, v3
	ds_bpermute_b32 v5, v40, v8
	v_and_b32_e32 v42, 1, v6
	ds_bpermute_b32 v8, v40, v3
	v_cmp_eq_u32_e32 vcc_lo, 1, v42
	s_waitcnt lgkmcnt(1)
	v_cndmask_b32_e64 v5, v5, 1, vcc_lo
	v_cmp_eq_u16_sdwa vcc_lo, v6, v18 src0_sel:BYTE_0 src1_sel:DWORD
	s_waitcnt lgkmcnt(0)
	v_cndmask_b32_e32 v8, 0, v8, vcc_lo
	v_cmp_gt_u32_e32 vcc_lo, v41, v4
	v_cndmask_b32_e32 v4, v5, v6, vcc_lo
	v_cndmask_b32_e64 v5, v8, 0, vcc_lo
	v_cmp_eq_u16_sdwa vcc_lo, v37, v18 src0_sel:BYTE_0 src1_sel:DWORD
	v_and_b32_e32 v4, 1, v4
	v_add_nc_u32_e32 v3, v5, v3
	v_and_b32_e32 v5, 1, v37
	v_cndmask_b32_e32 v3, 0, v3, vcc_lo
	v_cmp_eq_u32_e32 vcc_lo, 1, v5
	v_add_nc_u32_e32 v3, v3, v38
	v_cndmask_b32_e64 v4, v4, 1, vcc_lo
.LBB1787_51:                            ;   in Loop: Header=BB1787_52 Depth=1
	s_and_b32 vcc_lo, exec_lo, s4
	s_cbranch_vccnz .LBB1787_57
.LBB1787_52:                            ; =>This Loop Header: Depth=1
                                        ;     Child Loop BB1787_55 Depth 2
	v_cmp_ne_u16_sdwa s4, v7, v30 src0_sel:BYTE_0 src1_sel:DWORD
	v_mov_b32_e32 v37, v4
	v_mov_b32_e32 v38, v3
                                        ; implicit-def: $vgpr4
                                        ; implicit-def: $vgpr3
                                        ; implicit-def: $vgpr7
	s_cmp_lg_u32 s4, exec_lo
	s_mov_b32 s4, -1
	s_cbranch_scc1 .LBB1787_51
; %bb.53:                               ;   in Loop: Header=BB1787_52 Depth=1
	v_lshlrev_b64 v[3:4], 4, v[17:18]
	v_add_co_u32 v3, vcc_lo, s16, v3
	v_add_co_ci_u32_e64 v4, null, s17, v4, vcc_lo
	;;#ASMSTART
	global_load_dwordx4 v[5:8], v[3:4] off glc dlc	
s_waitcnt vmcnt(0)
	;;#ASMEND
	v_and_b32_e32 v6, 0xff, v6
	v_cmp_eq_u16_sdwa s19, v7, v18 src0_sel:BYTE_0 src1_sel:DWORD
	s_and_saveexec_b32 s4, s19
	s_cbranch_execz .LBB1787_50
; %bb.54:                               ;   in Loop: Header=BB1787_52 Depth=1
	s_mov_b32 s19, 0
.LBB1787_55:                            ;   Parent Loop BB1787_52 Depth=1
                                        ; =>  This Inner Loop Header: Depth=2
	;;#ASMSTART
	global_load_dwordx4 v[5:8], v[3:4] off glc dlc	
s_waitcnt vmcnt(0)
	;;#ASMEND
	v_cmp_ne_u16_sdwa s23, v7, v18 src0_sel:BYTE_0 src1_sel:DWORD
	s_or_b32 s19, s23, s19
	s_andn2_b32 exec_lo, exec_lo, s19
	s_cbranch_execnz .LBB1787_55
	s_branch .LBB1787_49
.LBB1787_56:
                                        ; implicit-def: $vgpr6
                                        ; implicit-def: $vgpr5
                                        ; implicit-def: $vgpr7
	s_cbranch_execnz .LBB1787_62
	s_branch .LBB1787_77
.LBB1787_57:
	s_and_saveexec_b32 s4, s3
	s_cbranch_execz .LBB1787_59
; %bb.58:
	v_mov_b32_e32 v4, 0
	v_and_b32_e32 v3, 1, v2
	s_mov_b32 s9, 0
	s_add_i32 s8, s13, 32
	v_and_b32_e32 v5, 1, v37
	v_cmp_eq_u32_sdwa vcc_lo, v2, v4 src0_sel:BYTE_0 src1_sel:DWORD
	s_lshl_b64 s[8:9], s[8:9], 4
	s_add_u32 s8, s16, s8
	s_addc_u32 s9, s17, s9
	v_cndmask_b32_e32 v2, 0, v38, vcc_lo
	v_cmp_eq_u32_e32 vcc_lo, 1, v3
	v_mov_b32_e32 v3, 2
	v_add_nc_u32_e32 v1, v2, v1
	v_cndmask_b32_e64 v2, v5, 1, vcc_lo
	v_mov_b32_e32 v5, s8
	v_mov_b32_e32 v6, s9
	;;#ASMSTART
	global_store_dwordx4 v[5:6], v[1:4] off	
s_waitcnt vmcnt(0)
	;;#ASMEND
.LBB1787_59:
	s_or_b32 exec_lo, exec_lo, s4
	s_and_b32 exec_lo, exec_lo, s0
	s_cbranch_execz .LBB1787_61
; %bb.60:
	v_mov_b32_e32 v1, 0
	ds_write_b32 v1, v38 offset:56
	ds_write_b8 v1, v37 offset:60
.LBB1787_61:
	s_or_b32 exec_lo, exec_lo, s5
	v_mov_b32_e32 v1, 0
	s_waitcnt lgkmcnt(0)
	s_barrier
	buffer_gl0_inv
	v_cndmask_b32_e64 v2, v29, v27, s3
	ds_read_b32 v3, v1 offset:56
	v_cndmask_b32_e64 v4, v28, v26, s3
	v_cmp_eq_u16_sdwa vcc_lo, v2, v1 src0_sel:BYTE_0 src1_sel:DWORD
	s_waitcnt lgkmcnt(0)
	v_cndmask_b32_e32 v2, 0, v3, vcc_lo
	v_add_nc_u32_e32 v4, v2, v4
	v_and_b32_e32 v2, 0xff, v12
	v_cndmask_b32_e64 v6, v4, v3, s0
	v_cmp_eq_u64_e32 vcc_lo, 0, v[1:2]
	v_cndmask_b32_e32 v1, 0, v6, vcc_lo
	v_add_nc_u32_e32 v5, v1, v11
	v_cndmask_b32_e64 v1, 0, v5, s2
	v_add_nc_u32_e32 v7, v1, v13
	s_branch .LBB1787_77
.LBB1787_62:
	s_cmp_eq_u64 s[20:21], 0
	v_mov_b32_e32 v3, s22
	s_cselect_b32 s2, -1, 0
	s_cmp_eq_u64 s[6:7], 0
	s_cselect_b32 s3, -1, 0
	s_or_b32 s2, s2, s3
	s_and_b32 vcc_lo, exec_lo, s2
	s_cbranch_vccnz .LBB1787_64
; %bb.63:
	v_mov_b32_e32 v1, 0
	global_load_dword v3, v1, s[6:7]
.LBB1787_64:
	v_and_b32_e32 v2, 0xff, v25
	v_mov_b32_e32 v1, 0
	s_mov_b32 s4, 0
	s_mov_b32 s5, 1
	v_cmp_gt_u64_e32 vcc_lo, s[4:5], v[13:14]
	v_cmp_eq_u64_e64 s2, 0, v[1:2]
	v_cndmask_b32_e32 v4, 0, v11, vcc_lo
	v_cndmask_b32_e64 v2, 1, v12, s2
	v_cmp_gt_u64_e64 s2, s[4:5], v[15:16]
	v_add_nc_u32_e32 v4, v4, v13
	v_and_b32_e32 v5, 0xff, v2
	v_and_b32_e32 v7, 1, v2
	v_cndmask_b32_e64 v4, 0, v4, s2
	v_mov_b32_dpp v6, v5 row_shr:1 row_mask:0xf bank_mask:0xf
	v_cmp_eq_u32_e64 s2, 1, v7
	v_and_b32_e32 v7, 15, v22
	v_add_nc_u32_e32 v4, v4, v15
	v_and_b32_e32 v6, 1, v6
	v_mov_b32_dpp v8, v4 row_shr:1 row_mask:0xf bank_mask:0xf
	v_cndmask_b32_e64 v6, v6, 1, s2
	v_cmp_eq_u16_e64 s2, 0, v5
	v_and_b32_e32 v14, 0xffff, v6
	v_cndmask_b32_e64 v8, 0, v8, s2
	v_cmp_eq_u32_e64 s2, 0, v7
	v_cndmask_b32_e64 v5, v14, v5, s2
	v_cndmask_b32_e64 v2, v6, v2, s2
	;; [unrolled: 1-line block ×3, first 2 shown]
	v_mov_b32_dpp v6, v5 row_shr:2 row_mask:0xf bank_mask:0xf
	v_and_b32_e32 v14, 1, v2
	v_add_nc_u32_e32 v4, v8, v4
	v_cmp_eq_u16_sdwa s4, v2, v1 src0_sel:BYTE_0 src1_sel:DWORD
	v_and_b32_e32 v6, 1, v6
	v_cmp_eq_u32_e64 s2, 1, v14
	v_cndmask_b32_e64 v6, v6, 1, s2
	v_cmp_lt_u32_e64 s2, 1, v7
	v_and_b32_e32 v14, 0xffff, v6
	v_cndmask_b32_e64 v6, v2, v6, s2
	v_mov_b32_dpp v2, v4 row_shr:2 row_mask:0xf bank_mask:0xf
	v_cndmask_b32_e64 v5, v5, v14, s2
	v_and_b32_e32 v8, 1, v6
	s_and_b32 s2, s2, s4
	v_cndmask_b32_e64 v2, 0, v2, s2
	v_mov_b32_dpp v14, v5 row_shr:4 row_mask:0xf bank_mask:0xf
	v_cmp_eq_u32_e64 s3, 1, v8
	v_cmp_lt_u32_e64 s2, 3, v7
	v_add_nc_u32_e32 v2, v2, v4
	v_and_b32_e32 v14, 1, v14
	v_cndmask_b32_e64 v8, v14, 1, s3
	v_cmp_eq_u16_sdwa s3, v6, v1 src0_sel:BYTE_0 src1_sel:DWORD
	v_and_b32_e32 v14, 0xffff, v8
	v_cndmask_b32_e64 v4, v6, v8, s2
	v_mov_b32_dpp v6, v2 row_shr:4 row_mask:0xf bank_mask:0xf
	v_cndmask_b32_e64 v5, v5, v14, s2
	s_and_b32 s2, s2, s3
	v_and_b32_e32 v14, 1, v4
	v_cndmask_b32_e64 v6, 0, v6, s2
	v_cmp_eq_u16_sdwa s3, v4, v1 src0_sel:BYTE_0 src1_sel:DWORD
	v_mov_b32_dpp v8, v5 row_shr:8 row_mask:0xf bank_mask:0xf
	v_cmp_eq_u32_e64 s2, 1, v14
	v_add_nc_u32_e32 v2, v6, v2
	v_and_b32_e32 v8, 1, v8
	v_cndmask_b32_e64 v6, v8, 1, s2
	v_cmp_lt_u32_e64 s2, 7, v7
	v_mov_b32_dpp v7, v2 row_shr:8 row_mask:0xf bank_mask:0xf
	s_and_b32 s3, s2, s3
	v_cndmask_b32_e64 v8, v4, v6, s2
	v_cndmask_b32_e64 v4, 0, v7, s3
	v_and_b32_e32 v6, 0xffff, v6
	v_and_b32_e32 v7, 16, v22
	v_add_nc_u32_e32 v2, v4, v2
	v_cndmask_b32_e64 v4, v5, v6, s2
	v_cmp_eq_u16_sdwa s2, v8, v1 src0_sel:BYTE_0 src1_sel:DWORD
	v_bfe_i32 v6, v22, 4, 1
	v_cmp_eq_u32_e64 s3, 0, v7
	ds_swizzle_b32 v5, v2 offset:swizzle(BROADCAST,32,15)
	ds_swizzle_b32 v4, v4 offset:swizzle(BROADCAST,32,15)
	s_waitcnt lgkmcnt(1)
	v_cndmask_b32_e64 v1, 0, v5, s2
	v_and_b32_e32 v5, 1, v8
	s_waitcnt lgkmcnt(0)
	v_and_b32_e32 v4, 1, v4
	v_and_b32_e32 v1, v6, v1
	v_cmp_eq_u32_e64 s2, 1, v5
	v_lshlrev_b32_e32 v6, 3, v23
	v_cndmask_b32_e64 v5, v4, 1, s2
	v_add_nc_u32_e32 v4, v1, v2
	v_cndmask_b32_e64 v5, v5, v8, s3
	s_mov_b32 s3, exec_lo
	v_cmpx_eq_u32_e64 v0, v24
	s_cbranch_execz .LBB1787_66
; %bb.65:
	ds_write_b32 v6, v4
	ds_write_b8 v6, v5 offset:4
.LBB1787_66:
	s_or_b32 exec_lo, exec_lo, s3
	s_mov_b32 s3, exec_lo
	s_waitcnt vmcnt(0) lgkmcnt(0)
	s_barrier
	buffer_gl0_inv
	v_cmpx_gt_u32_e32 8, v0
	s_cbranch_execz .LBB1787_72
; %bb.67:
	ds_read_b64 v[1:2], v21
	v_and_b32_e32 v7, 7, v22
	s_mov_b32 s4, exec_lo
	s_waitcnt lgkmcnt(0)
	v_and_b32_e32 v8, 0xffffff00, v2
	v_mov_b32_dpp v15, v1 row_shr:1 row_mask:0xf bank_mask:0xf
	v_mov_b32_dpp v16, v2 row_shr:1 row_mask:0xf bank_mask:0xf
	v_mov_b32_e32 v14, v2
	v_cmpx_ne_u32_e32 0, v7
	s_cbranch_execz .LBB1787_69
; %bb.68:
	v_mov_b32_e32 v14, 0
	v_and_b32_e32 v17, 1, v2
	v_and_b32_e32 v16, 1, v16
	v_cmp_eq_u16_sdwa s2, v2, v14 src0_sel:BYTE_0 src1_sel:DWORD
	v_cndmask_b32_e64 v2, 0, v15, s2
	v_cmp_eq_u32_e64 s2, 1, v17
	v_add_nc_u32_e32 v1, v2, v1
	v_cndmask_b32_e64 v15, v16, 1, s2
	v_or_b32_sdwa v14, v8, v15 dst_sel:DWORD dst_unused:UNUSED_PAD src0_sel:DWORD src1_sel:WORD_0
	v_mov_b32_e32 v2, v15
.LBB1787_69:
	s_or_b32 exec_lo, exec_lo, s4
	v_mov_b32_dpp v15, v1 row_shr:2 row_mask:0xf bank_mask:0xf
	v_mov_b32_dpp v16, v14 row_shr:2 row_mask:0xf bank_mask:0xf
	s_mov_b32 s4, exec_lo
	v_cmpx_lt_u32_e32 1, v7
	s_cbranch_execz .LBB1787_71
; %bb.70:
	v_mov_b32_e32 v14, 0
	v_and_b32_e32 v17, 1, v2
	v_and_b32_e32 v16, 1, v16
	v_cmp_eq_u16_sdwa s2, v2, v14 src0_sel:BYTE_0 src1_sel:DWORD
	v_cndmask_b32_e64 v2, 0, v15, s2
	v_cmp_eq_u32_e64 s2, 1, v17
	v_add_nc_u32_e32 v1, v2, v1
	v_cndmask_b32_e64 v15, v16, 1, s2
	v_or_b32_sdwa v14, v8, v15 dst_sel:DWORD dst_unused:UNUSED_PAD src0_sel:DWORD src1_sel:WORD_0
	v_mov_b32_e32 v2, v15
.LBB1787_71:
	s_or_b32 exec_lo, exec_lo, s4
	v_mov_b32_dpp v8, v14 row_shr:4 row_mask:0xf bank_mask:0xf
	v_and_b32_e32 v15, 1, v2
	v_mov_b32_e32 v14, 0
	v_and_b32_e32 v8, 1, v8
	v_cmp_eq_u32_e64 s2, 1, v15
	v_cmp_eq_u16_sdwa s4, v2, v14 src0_sel:BYTE_0 src1_sel:DWORD
	v_cndmask_b32_e64 v8, v8, 1, s2
	v_cmp_lt_u32_e64 s2, 3, v7
	v_mov_b32_dpp v7, v1 row_shr:4 row_mask:0xf bank_mask:0xf
	v_cndmask_b32_e64 v2, v2, v8, s2
	s_and_b32 s2, s2, s4
	v_cndmask_b32_e64 v7, 0, v7, s2
	v_add_nc_u32_e32 v1, v7, v1
	ds_write_b32 v21, v1
	ds_write_b8 v21, v2 offset:4
.LBB1787_72:
	s_or_b32 exec_lo, exec_lo, s3
	v_mov_b32_e32 v2, v3
	s_mov_b32 s3, exec_lo
	s_waitcnt lgkmcnt(0)
	s_barrier
	buffer_gl0_inv
	v_cmpx_lt_u32_e32 31, v0
	s_cbranch_execz .LBB1787_74
; %bb.73:
	v_add_nc_u32_e32 v1, -4, v6
	v_add_nc_u32_e32 v2, -8, v6
	ds_read_u8 v1, v1
	ds_read_b32 v2, v2
	s_waitcnt lgkmcnt(1)
	v_cmp_eq_u16_e64 s2, 0, v1
	v_cndmask_b32_e64 v1, 0, v3, s2
	s_waitcnt lgkmcnt(0)
	v_add_nc_u32_e32 v2, v1, v2
.LBB1787_74:
	s_or_b32 exec_lo, exec_lo, s3
	v_mov_b32_e32 v1, 0
	v_sub_co_u32 v6, s2, v22, 1
	v_cmp_eq_u16_sdwa s3, v5, v1 src0_sel:BYTE_0 src1_sel:DWORD
	v_cndmask_b32_e64 v5, 0, v2, s3
	v_cmp_gt_i32_e64 s3, 0, v6
	v_add_nc_u32_e32 v4, v5, v4
	v_cndmask_b32_e64 v6, v6, v22, s3
	v_lshlrev_b32_e32 v5, 2, v6
	ds_bpermute_b32 v4, v5, v4
	s_waitcnt lgkmcnt(0)
	v_cndmask_b32_e64 v6, v4, v2, s2
	v_and_b32_e32 v2, 0xff, v12
	v_cndmask_b32_e64 v4, v6, v3, s0
	v_cmp_eq_u64_e64 s2, 0, v[1:2]
	v_cndmask_b32_e64 v2, 0, v4, s2
	v_add_nc_u32_e32 v5, v2, v11
	v_cndmask_b32_e32 v2, 0, v5, vcc_lo
	s_and_saveexec_b32 s2, s0
	s_cbranch_execz .LBB1787_76
; %bb.75:
	ds_read_u8 v4, v1 offset:60
	ds_read_b32 v6, v1 offset:56
	v_mov_b32_e32 v16, v1
	s_add_u32 s4, s16, 0x200
	s_addc_u32 s5, s17, 0
	v_mov_b32_e32 v17, v1
	v_mov_b32_e32 v8, s5
	;; [unrolled: 1-line block ×3, first 2 shown]
	s_waitcnt lgkmcnt(1)
	v_and_b32_e32 v15, 0xffff, v4
	v_cmp_eq_u64_e32 vcc_lo, 0, v[15:16]
	v_mov_b32_e32 v16, 2
	v_cndmask_b32_e32 v4, 0, v3, vcc_lo
	s_waitcnt lgkmcnt(0)
	v_add_nc_u32_e32 v14, v4, v6
	v_mov_b32_e32 v6, v3
	;;#ASMSTART
	global_store_dwordx4 v[7:8], v[14:17] off	
s_waitcnt vmcnt(0)
	;;#ASMEND
.LBB1787_76:
	s_or_b32 exec_lo, exec_lo, s2
	v_add_nc_u32_e32 v7, v2, v13
.LBB1787_77:
	s_add_u32 s0, s14, s10
	s_addc_u32 s2, s15, s11
	v_add_co_u32 v8, vcc_lo, s0, v9
	v_add_co_ci_u32_e64 v9, null, s2, v10, vcc_lo
	v_mov_b32_e32 v3, 0
	s_and_b32 vcc_lo, exec_lo, s1
	s_cbranch_vccz .LBB1787_89
; %bb.78:
	v_mul_u32_u24_e32 v1, 3, v0
	v_mov_b32_e32 v4, 0
	v_mov_b32_e32 v2, 0
	s_add_i32 s12, s12, s18
	s_mov_b32 s0, exec_lo
	v_cmpx_gt_u32_e64 s12, v1
	s_cbranch_execz .LBB1787_84
; %bb.79:
	v_add_nc_u32_e32 v3, 1, v1
	v_mov_b32_e32 v2, 0
	v_mov_b32_e32 v4, 0
	s_mov_b32 s1, exec_lo
	v_cmpx_gt_u32_e64 s12, v3
	s_cbranch_execz .LBB1787_83
; %bb.80:
	v_add_nc_u32_e32 v2, 2, v1
	v_cmp_gt_u32_e32 vcc_lo, s12, v2
	v_mov_b32_e32 v2, 0
	s_and_saveexec_b32 s2, vcc_lo
; %bb.81:
	v_mov_b32_e32 v2, v7
; %bb.82:
	s_or_b32 exec_lo, exec_lo, s2
	v_mov_b32_e32 v4, v5
.LBB1787_83:
	s_or_b32 exec_lo, exec_lo, s1
	v_mov_b32_e32 v3, v6
.LBB1787_84:
	s_or_b32 exec_lo, exec_lo, s0
	v_lshlrev_b32_e32 v10, 2, v1
	s_barrier
	buffer_gl0_inv
	s_mov_b32 s0, exec_lo
	v_sub_nc_u32_e32 v1, v10, v21
	ds_write2_b32 v10, v3, v4 offset1:1
	ds_write_b32 v10, v2 offset:8
	s_waitcnt lgkmcnt(0)
	s_barrier
	buffer_gl0_inv
	ds_read2st64_b32 v[1:2], v1 offset0:4 offset1:8
	v_add_co_u32 v3, vcc_lo, v8, v20
	v_add_co_ci_u32_e64 v4, null, 0, v9, vcc_lo
	v_cmpx_gt_u32_e64 s12, v0
	s_cbranch_execz .LBB1787_86
; %bb.85:
	v_sub_nc_u32_e32 v11, 0, v21
	v_add_nc_u32_e32 v10, v10, v11
	ds_read_b32 v10, v10
	s_waitcnt lgkmcnt(0)
	flat_store_dword v[3:4], v10
.LBB1787_86:
	s_or_b32 exec_lo, exec_lo, s0
	v_or_b32_e32 v10, 0x100, v0
	s_mov_b32 s0, exec_lo
	v_cmpx_gt_u32_e64 s12, v10
	s_cbranch_execz .LBB1787_88
; %bb.87:
	s_waitcnt lgkmcnt(0)
	flat_store_dword v[3:4], v1 offset:1024
.LBB1787_88:
	s_or_b32 exec_lo, exec_lo, s0
	s_waitcnt lgkmcnt(0)
	v_or_b32_e32 v1, 0x200, v0
	v_cmp_gt_u32_e64 s0, s12, v1
	s_branch .LBB1787_91
.LBB1787_89:
	s_mov_b32 s0, 0
                                        ; implicit-def: $vgpr2
	s_cbranch_execz .LBB1787_91
; %bb.90:
	v_mul_u32_u24_e32 v1, 12, v0
	s_waitcnt_vscnt null, 0x0
	s_barrier
	buffer_gl0_inv
	s_or_b32 s0, s0, exec_lo
	v_sub_nc_u32_e32 v2, v1, v21
	ds_write2_b32 v1, v6, v5 offset1:1
	ds_write_b32 v1, v7 offset:8
	s_waitcnt lgkmcnt(0)
	s_barrier
	buffer_gl0_inv
	ds_read2st64_b32 v[3:4], v2 offset1:4
	ds_read_b32 v2, v2 offset:2048
	v_add_co_u32 v5, vcc_lo, v8, v20
	v_add_co_ci_u32_e64 v6, null, 0, v9, vcc_lo
	s_waitcnt lgkmcnt(1)
	flat_store_dword v[5:6], v3
	flat_store_dword v[5:6], v4 offset:1024
.LBB1787_91:
	s_and_saveexec_b32 s1, s0
	s_cbranch_execnz .LBB1787_93
; %bb.92:
	s_endpgm
.LBB1787_93:
	v_lshlrev_b32_e32 v0, 2, v0
	v_add_co_u32 v0, vcc_lo, v8, v0
	v_add_co_ci_u32_e64 v1, null, 0, v9, vcc_lo
	v_add_co_u32 v0, vcc_lo, 0x800, v0
	v_add_co_ci_u32_e64 v1, null, 0, v1, vcc_lo
	s_waitcnt lgkmcnt(2)
	flat_store_dword v[0:1], v2
	s_endpgm
.LBB1787_94:
	v_add_co_u32 v2, vcc_lo, v8, v12
	v_add_co_ci_u32_e64 v3, null, 0, v15, vcc_lo
	v_mov_b32_e32 v20, v1
	v_mov_b32_e32 v21, v1
	flat_load_dword v19, v[2:3]
	s_waitcnt vmcnt(0) lgkmcnt(0)
	v_mov_b32_e32 v1, v19
	v_mov_b32_e32 v2, v20
	;; [unrolled: 1-line block ×3, first 2 shown]
	s_or_b32 exec_lo, exec_lo, s4
	s_and_saveexec_b32 s4, s2
	s_cbranch_execz .LBB1787_15
.LBB1787_95:
	v_add_co_u32 v13, vcc_lo, v8, v12
	v_add_co_ci_u32_e64 v14, null, 0, v15, vcc_lo
	flat_load_dword v2, v[13:14] offset:1024
	s_or_b32 exec_lo, exec_lo, s4
	v_mul_u32_u24_e32 v19, 3, v0
	s_and_saveexec_b32 s2, s3
	s_cbranch_execnz .LBB1787_16
	s_branch .LBB1787_17
	.section	.rodata,"a",@progbits
	.p2align	6, 0x0
	.amdhsa_kernel _ZN7rocprim17ROCPRIM_400000_NS6detail17trampoline_kernelINS0_14default_configENS1_27scan_by_key_config_selectorIiiEEZZNS1_16scan_by_key_implILNS1_25lookback_scan_determinismE0ELb1ES3_N6thrust23THRUST_200600_302600_NS6detail15normal_iteratorINS9_10device_ptrIiEEEENSB_INSC_IjEEEESE_iNS9_4plusIvEENS9_8equal_toIvEEiEE10hipError_tPvRmT2_T3_T4_T5_mT6_T7_P12ihipStream_tbENKUlT_T0_E_clISt17integral_constantIbLb0EES10_IbLb1EEEEDaSW_SX_EUlSW_E_NS1_11comp_targetILNS1_3genE8ELNS1_11target_archE1030ELNS1_3gpuE2ELNS1_3repE0EEENS1_30default_config_static_selectorELNS0_4arch9wavefront6targetE0EEEvT1_
		.amdhsa_group_segment_fixed_size 5120
		.amdhsa_private_segment_fixed_size 0
		.amdhsa_kernarg_size 112
		.amdhsa_user_sgpr_count 6
		.amdhsa_user_sgpr_private_segment_buffer 1
		.amdhsa_user_sgpr_dispatch_ptr 0
		.amdhsa_user_sgpr_queue_ptr 0
		.amdhsa_user_sgpr_kernarg_segment_ptr 1
		.amdhsa_user_sgpr_dispatch_id 0
		.amdhsa_user_sgpr_flat_scratch_init 0
		.amdhsa_user_sgpr_private_segment_size 0
		.amdhsa_wavefront_size32 1
		.amdhsa_uses_dynamic_stack 0
		.amdhsa_system_sgpr_private_segment_wavefront_offset 0
		.amdhsa_system_sgpr_workgroup_id_x 1
		.amdhsa_system_sgpr_workgroup_id_y 0
		.amdhsa_system_sgpr_workgroup_id_z 0
		.amdhsa_system_sgpr_workgroup_info 0
		.amdhsa_system_vgpr_workitem_id 0
		.amdhsa_next_free_vgpr 44
		.amdhsa_next_free_sgpr 24
		.amdhsa_reserve_vcc 1
		.amdhsa_reserve_flat_scratch 1
		.amdhsa_float_round_mode_32 0
		.amdhsa_float_round_mode_16_64 0
		.amdhsa_float_denorm_mode_32 3
		.amdhsa_float_denorm_mode_16_64 3
		.amdhsa_dx10_clamp 1
		.amdhsa_ieee_mode 1
		.amdhsa_fp16_overflow 0
		.amdhsa_workgroup_processor_mode 1
		.amdhsa_memory_ordered 1
		.amdhsa_forward_progress 1
		.amdhsa_shared_vgpr_count 0
		.amdhsa_exception_fp_ieee_invalid_op 0
		.amdhsa_exception_fp_denorm_src 0
		.amdhsa_exception_fp_ieee_div_zero 0
		.amdhsa_exception_fp_ieee_overflow 0
		.amdhsa_exception_fp_ieee_underflow 0
		.amdhsa_exception_fp_ieee_inexact 0
		.amdhsa_exception_int_div_zero 0
	.end_amdhsa_kernel
	.section	.text._ZN7rocprim17ROCPRIM_400000_NS6detail17trampoline_kernelINS0_14default_configENS1_27scan_by_key_config_selectorIiiEEZZNS1_16scan_by_key_implILNS1_25lookback_scan_determinismE0ELb1ES3_N6thrust23THRUST_200600_302600_NS6detail15normal_iteratorINS9_10device_ptrIiEEEENSB_INSC_IjEEEESE_iNS9_4plusIvEENS9_8equal_toIvEEiEE10hipError_tPvRmT2_T3_T4_T5_mT6_T7_P12ihipStream_tbENKUlT_T0_E_clISt17integral_constantIbLb0EES10_IbLb1EEEEDaSW_SX_EUlSW_E_NS1_11comp_targetILNS1_3genE8ELNS1_11target_archE1030ELNS1_3gpuE2ELNS1_3repE0EEENS1_30default_config_static_selectorELNS0_4arch9wavefront6targetE0EEEvT1_,"axG",@progbits,_ZN7rocprim17ROCPRIM_400000_NS6detail17trampoline_kernelINS0_14default_configENS1_27scan_by_key_config_selectorIiiEEZZNS1_16scan_by_key_implILNS1_25lookback_scan_determinismE0ELb1ES3_N6thrust23THRUST_200600_302600_NS6detail15normal_iteratorINS9_10device_ptrIiEEEENSB_INSC_IjEEEESE_iNS9_4plusIvEENS9_8equal_toIvEEiEE10hipError_tPvRmT2_T3_T4_T5_mT6_T7_P12ihipStream_tbENKUlT_T0_E_clISt17integral_constantIbLb0EES10_IbLb1EEEEDaSW_SX_EUlSW_E_NS1_11comp_targetILNS1_3genE8ELNS1_11target_archE1030ELNS1_3gpuE2ELNS1_3repE0EEENS1_30default_config_static_selectorELNS0_4arch9wavefront6targetE0EEEvT1_,comdat
.Lfunc_end1787:
	.size	_ZN7rocprim17ROCPRIM_400000_NS6detail17trampoline_kernelINS0_14default_configENS1_27scan_by_key_config_selectorIiiEEZZNS1_16scan_by_key_implILNS1_25lookback_scan_determinismE0ELb1ES3_N6thrust23THRUST_200600_302600_NS6detail15normal_iteratorINS9_10device_ptrIiEEEENSB_INSC_IjEEEESE_iNS9_4plusIvEENS9_8equal_toIvEEiEE10hipError_tPvRmT2_T3_T4_T5_mT6_T7_P12ihipStream_tbENKUlT_T0_E_clISt17integral_constantIbLb0EES10_IbLb1EEEEDaSW_SX_EUlSW_E_NS1_11comp_targetILNS1_3genE8ELNS1_11target_archE1030ELNS1_3gpuE2ELNS1_3repE0EEENS1_30default_config_static_selectorELNS0_4arch9wavefront6targetE0EEEvT1_, .Lfunc_end1787-_ZN7rocprim17ROCPRIM_400000_NS6detail17trampoline_kernelINS0_14default_configENS1_27scan_by_key_config_selectorIiiEEZZNS1_16scan_by_key_implILNS1_25lookback_scan_determinismE0ELb1ES3_N6thrust23THRUST_200600_302600_NS6detail15normal_iteratorINS9_10device_ptrIiEEEENSB_INSC_IjEEEESE_iNS9_4plusIvEENS9_8equal_toIvEEiEE10hipError_tPvRmT2_T3_T4_T5_mT6_T7_P12ihipStream_tbENKUlT_T0_E_clISt17integral_constantIbLb0EES10_IbLb1EEEEDaSW_SX_EUlSW_E_NS1_11comp_targetILNS1_3genE8ELNS1_11target_archE1030ELNS1_3gpuE2ELNS1_3repE0EEENS1_30default_config_static_selectorELNS0_4arch9wavefront6targetE0EEEvT1_
                                        ; -- End function
	.set _ZN7rocprim17ROCPRIM_400000_NS6detail17trampoline_kernelINS0_14default_configENS1_27scan_by_key_config_selectorIiiEEZZNS1_16scan_by_key_implILNS1_25lookback_scan_determinismE0ELb1ES3_N6thrust23THRUST_200600_302600_NS6detail15normal_iteratorINS9_10device_ptrIiEEEENSB_INSC_IjEEEESE_iNS9_4plusIvEENS9_8equal_toIvEEiEE10hipError_tPvRmT2_T3_T4_T5_mT6_T7_P12ihipStream_tbENKUlT_T0_E_clISt17integral_constantIbLb0EES10_IbLb1EEEEDaSW_SX_EUlSW_E_NS1_11comp_targetILNS1_3genE8ELNS1_11target_archE1030ELNS1_3gpuE2ELNS1_3repE0EEENS1_30default_config_static_selectorELNS0_4arch9wavefront6targetE0EEEvT1_.num_vgpr, 44
	.set _ZN7rocprim17ROCPRIM_400000_NS6detail17trampoline_kernelINS0_14default_configENS1_27scan_by_key_config_selectorIiiEEZZNS1_16scan_by_key_implILNS1_25lookback_scan_determinismE0ELb1ES3_N6thrust23THRUST_200600_302600_NS6detail15normal_iteratorINS9_10device_ptrIiEEEENSB_INSC_IjEEEESE_iNS9_4plusIvEENS9_8equal_toIvEEiEE10hipError_tPvRmT2_T3_T4_T5_mT6_T7_P12ihipStream_tbENKUlT_T0_E_clISt17integral_constantIbLb0EES10_IbLb1EEEEDaSW_SX_EUlSW_E_NS1_11comp_targetILNS1_3genE8ELNS1_11target_archE1030ELNS1_3gpuE2ELNS1_3repE0EEENS1_30default_config_static_selectorELNS0_4arch9wavefront6targetE0EEEvT1_.num_agpr, 0
	.set _ZN7rocprim17ROCPRIM_400000_NS6detail17trampoline_kernelINS0_14default_configENS1_27scan_by_key_config_selectorIiiEEZZNS1_16scan_by_key_implILNS1_25lookback_scan_determinismE0ELb1ES3_N6thrust23THRUST_200600_302600_NS6detail15normal_iteratorINS9_10device_ptrIiEEEENSB_INSC_IjEEEESE_iNS9_4plusIvEENS9_8equal_toIvEEiEE10hipError_tPvRmT2_T3_T4_T5_mT6_T7_P12ihipStream_tbENKUlT_T0_E_clISt17integral_constantIbLb0EES10_IbLb1EEEEDaSW_SX_EUlSW_E_NS1_11comp_targetILNS1_3genE8ELNS1_11target_archE1030ELNS1_3gpuE2ELNS1_3repE0EEENS1_30default_config_static_selectorELNS0_4arch9wavefront6targetE0EEEvT1_.numbered_sgpr, 24
	.set _ZN7rocprim17ROCPRIM_400000_NS6detail17trampoline_kernelINS0_14default_configENS1_27scan_by_key_config_selectorIiiEEZZNS1_16scan_by_key_implILNS1_25lookback_scan_determinismE0ELb1ES3_N6thrust23THRUST_200600_302600_NS6detail15normal_iteratorINS9_10device_ptrIiEEEENSB_INSC_IjEEEESE_iNS9_4plusIvEENS9_8equal_toIvEEiEE10hipError_tPvRmT2_T3_T4_T5_mT6_T7_P12ihipStream_tbENKUlT_T0_E_clISt17integral_constantIbLb0EES10_IbLb1EEEEDaSW_SX_EUlSW_E_NS1_11comp_targetILNS1_3genE8ELNS1_11target_archE1030ELNS1_3gpuE2ELNS1_3repE0EEENS1_30default_config_static_selectorELNS0_4arch9wavefront6targetE0EEEvT1_.num_named_barrier, 0
	.set _ZN7rocprim17ROCPRIM_400000_NS6detail17trampoline_kernelINS0_14default_configENS1_27scan_by_key_config_selectorIiiEEZZNS1_16scan_by_key_implILNS1_25lookback_scan_determinismE0ELb1ES3_N6thrust23THRUST_200600_302600_NS6detail15normal_iteratorINS9_10device_ptrIiEEEENSB_INSC_IjEEEESE_iNS9_4plusIvEENS9_8equal_toIvEEiEE10hipError_tPvRmT2_T3_T4_T5_mT6_T7_P12ihipStream_tbENKUlT_T0_E_clISt17integral_constantIbLb0EES10_IbLb1EEEEDaSW_SX_EUlSW_E_NS1_11comp_targetILNS1_3genE8ELNS1_11target_archE1030ELNS1_3gpuE2ELNS1_3repE0EEENS1_30default_config_static_selectorELNS0_4arch9wavefront6targetE0EEEvT1_.private_seg_size, 0
	.set _ZN7rocprim17ROCPRIM_400000_NS6detail17trampoline_kernelINS0_14default_configENS1_27scan_by_key_config_selectorIiiEEZZNS1_16scan_by_key_implILNS1_25lookback_scan_determinismE0ELb1ES3_N6thrust23THRUST_200600_302600_NS6detail15normal_iteratorINS9_10device_ptrIiEEEENSB_INSC_IjEEEESE_iNS9_4plusIvEENS9_8equal_toIvEEiEE10hipError_tPvRmT2_T3_T4_T5_mT6_T7_P12ihipStream_tbENKUlT_T0_E_clISt17integral_constantIbLb0EES10_IbLb1EEEEDaSW_SX_EUlSW_E_NS1_11comp_targetILNS1_3genE8ELNS1_11target_archE1030ELNS1_3gpuE2ELNS1_3repE0EEENS1_30default_config_static_selectorELNS0_4arch9wavefront6targetE0EEEvT1_.uses_vcc, 1
	.set _ZN7rocprim17ROCPRIM_400000_NS6detail17trampoline_kernelINS0_14default_configENS1_27scan_by_key_config_selectorIiiEEZZNS1_16scan_by_key_implILNS1_25lookback_scan_determinismE0ELb1ES3_N6thrust23THRUST_200600_302600_NS6detail15normal_iteratorINS9_10device_ptrIiEEEENSB_INSC_IjEEEESE_iNS9_4plusIvEENS9_8equal_toIvEEiEE10hipError_tPvRmT2_T3_T4_T5_mT6_T7_P12ihipStream_tbENKUlT_T0_E_clISt17integral_constantIbLb0EES10_IbLb1EEEEDaSW_SX_EUlSW_E_NS1_11comp_targetILNS1_3genE8ELNS1_11target_archE1030ELNS1_3gpuE2ELNS1_3repE0EEENS1_30default_config_static_selectorELNS0_4arch9wavefront6targetE0EEEvT1_.uses_flat_scratch, 1
	.set _ZN7rocprim17ROCPRIM_400000_NS6detail17trampoline_kernelINS0_14default_configENS1_27scan_by_key_config_selectorIiiEEZZNS1_16scan_by_key_implILNS1_25lookback_scan_determinismE0ELb1ES3_N6thrust23THRUST_200600_302600_NS6detail15normal_iteratorINS9_10device_ptrIiEEEENSB_INSC_IjEEEESE_iNS9_4plusIvEENS9_8equal_toIvEEiEE10hipError_tPvRmT2_T3_T4_T5_mT6_T7_P12ihipStream_tbENKUlT_T0_E_clISt17integral_constantIbLb0EES10_IbLb1EEEEDaSW_SX_EUlSW_E_NS1_11comp_targetILNS1_3genE8ELNS1_11target_archE1030ELNS1_3gpuE2ELNS1_3repE0EEENS1_30default_config_static_selectorELNS0_4arch9wavefront6targetE0EEEvT1_.has_dyn_sized_stack, 0
	.set _ZN7rocprim17ROCPRIM_400000_NS6detail17trampoline_kernelINS0_14default_configENS1_27scan_by_key_config_selectorIiiEEZZNS1_16scan_by_key_implILNS1_25lookback_scan_determinismE0ELb1ES3_N6thrust23THRUST_200600_302600_NS6detail15normal_iteratorINS9_10device_ptrIiEEEENSB_INSC_IjEEEESE_iNS9_4plusIvEENS9_8equal_toIvEEiEE10hipError_tPvRmT2_T3_T4_T5_mT6_T7_P12ihipStream_tbENKUlT_T0_E_clISt17integral_constantIbLb0EES10_IbLb1EEEEDaSW_SX_EUlSW_E_NS1_11comp_targetILNS1_3genE8ELNS1_11target_archE1030ELNS1_3gpuE2ELNS1_3repE0EEENS1_30default_config_static_selectorELNS0_4arch9wavefront6targetE0EEEvT1_.has_recursion, 0
	.set _ZN7rocprim17ROCPRIM_400000_NS6detail17trampoline_kernelINS0_14default_configENS1_27scan_by_key_config_selectorIiiEEZZNS1_16scan_by_key_implILNS1_25lookback_scan_determinismE0ELb1ES3_N6thrust23THRUST_200600_302600_NS6detail15normal_iteratorINS9_10device_ptrIiEEEENSB_INSC_IjEEEESE_iNS9_4plusIvEENS9_8equal_toIvEEiEE10hipError_tPvRmT2_T3_T4_T5_mT6_T7_P12ihipStream_tbENKUlT_T0_E_clISt17integral_constantIbLb0EES10_IbLb1EEEEDaSW_SX_EUlSW_E_NS1_11comp_targetILNS1_3genE8ELNS1_11target_archE1030ELNS1_3gpuE2ELNS1_3repE0EEENS1_30default_config_static_selectorELNS0_4arch9wavefront6targetE0EEEvT1_.has_indirect_call, 0
	.section	.AMDGPU.csdata,"",@progbits
; Kernel info:
; codeLenInByte = 6348
; TotalNumSgprs: 26
; NumVgprs: 44
; ScratchSize: 0
; MemoryBound: 0
; FloatMode: 240
; IeeeMode: 1
; LDSByteSize: 5120 bytes/workgroup (compile time only)
; SGPRBlocks: 0
; VGPRBlocks: 5
; NumSGPRsForWavesPerEU: 26
; NumVGPRsForWavesPerEU: 44
; Occupancy: 16
; WaveLimiterHint : 1
; COMPUTE_PGM_RSRC2:SCRATCH_EN: 0
; COMPUTE_PGM_RSRC2:USER_SGPR: 6
; COMPUTE_PGM_RSRC2:TRAP_HANDLER: 0
; COMPUTE_PGM_RSRC2:TGID_X_EN: 1
; COMPUTE_PGM_RSRC2:TGID_Y_EN: 0
; COMPUTE_PGM_RSRC2:TGID_Z_EN: 0
; COMPUTE_PGM_RSRC2:TIDIG_COMP_CNT: 0
	.section	.text._ZN7rocprim17ROCPRIM_400000_NS6detail17trampoline_kernelINS0_14default_configENS1_27scan_by_key_config_selectorIifEEZZNS1_16scan_by_key_implILNS1_25lookback_scan_determinismE0ELb1ES3_N6thrust23THRUST_200600_302600_NS6detail15normal_iteratorINS9_10device_ptrIiEEEENSB_INSC_IjEEEESE_fNS9_4plusIvEENS9_8equal_toIvEEfEE10hipError_tPvRmT2_T3_T4_T5_mT6_T7_P12ihipStream_tbENKUlT_T0_E_clISt17integral_constantIbLb0EES11_EEDaSW_SX_EUlSW_E_NS1_11comp_targetILNS1_3genE0ELNS1_11target_archE4294967295ELNS1_3gpuE0ELNS1_3repE0EEENS1_30default_config_static_selectorELNS0_4arch9wavefront6targetE0EEEvT1_,"axG",@progbits,_ZN7rocprim17ROCPRIM_400000_NS6detail17trampoline_kernelINS0_14default_configENS1_27scan_by_key_config_selectorIifEEZZNS1_16scan_by_key_implILNS1_25lookback_scan_determinismE0ELb1ES3_N6thrust23THRUST_200600_302600_NS6detail15normal_iteratorINS9_10device_ptrIiEEEENSB_INSC_IjEEEESE_fNS9_4plusIvEENS9_8equal_toIvEEfEE10hipError_tPvRmT2_T3_T4_T5_mT6_T7_P12ihipStream_tbENKUlT_T0_E_clISt17integral_constantIbLb0EES11_EEDaSW_SX_EUlSW_E_NS1_11comp_targetILNS1_3genE0ELNS1_11target_archE4294967295ELNS1_3gpuE0ELNS1_3repE0EEENS1_30default_config_static_selectorELNS0_4arch9wavefront6targetE0EEEvT1_,comdat
	.protected	_ZN7rocprim17ROCPRIM_400000_NS6detail17trampoline_kernelINS0_14default_configENS1_27scan_by_key_config_selectorIifEEZZNS1_16scan_by_key_implILNS1_25lookback_scan_determinismE0ELb1ES3_N6thrust23THRUST_200600_302600_NS6detail15normal_iteratorINS9_10device_ptrIiEEEENSB_INSC_IjEEEESE_fNS9_4plusIvEENS9_8equal_toIvEEfEE10hipError_tPvRmT2_T3_T4_T5_mT6_T7_P12ihipStream_tbENKUlT_T0_E_clISt17integral_constantIbLb0EES11_EEDaSW_SX_EUlSW_E_NS1_11comp_targetILNS1_3genE0ELNS1_11target_archE4294967295ELNS1_3gpuE0ELNS1_3repE0EEENS1_30default_config_static_selectorELNS0_4arch9wavefront6targetE0EEEvT1_ ; -- Begin function _ZN7rocprim17ROCPRIM_400000_NS6detail17trampoline_kernelINS0_14default_configENS1_27scan_by_key_config_selectorIifEEZZNS1_16scan_by_key_implILNS1_25lookback_scan_determinismE0ELb1ES3_N6thrust23THRUST_200600_302600_NS6detail15normal_iteratorINS9_10device_ptrIiEEEENSB_INSC_IjEEEESE_fNS9_4plusIvEENS9_8equal_toIvEEfEE10hipError_tPvRmT2_T3_T4_T5_mT6_T7_P12ihipStream_tbENKUlT_T0_E_clISt17integral_constantIbLb0EES11_EEDaSW_SX_EUlSW_E_NS1_11comp_targetILNS1_3genE0ELNS1_11target_archE4294967295ELNS1_3gpuE0ELNS1_3repE0EEENS1_30default_config_static_selectorELNS0_4arch9wavefront6targetE0EEEvT1_
	.globl	_ZN7rocprim17ROCPRIM_400000_NS6detail17trampoline_kernelINS0_14default_configENS1_27scan_by_key_config_selectorIifEEZZNS1_16scan_by_key_implILNS1_25lookback_scan_determinismE0ELb1ES3_N6thrust23THRUST_200600_302600_NS6detail15normal_iteratorINS9_10device_ptrIiEEEENSB_INSC_IjEEEESE_fNS9_4plusIvEENS9_8equal_toIvEEfEE10hipError_tPvRmT2_T3_T4_T5_mT6_T7_P12ihipStream_tbENKUlT_T0_E_clISt17integral_constantIbLb0EES11_EEDaSW_SX_EUlSW_E_NS1_11comp_targetILNS1_3genE0ELNS1_11target_archE4294967295ELNS1_3gpuE0ELNS1_3repE0EEENS1_30default_config_static_selectorELNS0_4arch9wavefront6targetE0EEEvT1_
	.p2align	8
	.type	_ZN7rocprim17ROCPRIM_400000_NS6detail17trampoline_kernelINS0_14default_configENS1_27scan_by_key_config_selectorIifEEZZNS1_16scan_by_key_implILNS1_25lookback_scan_determinismE0ELb1ES3_N6thrust23THRUST_200600_302600_NS6detail15normal_iteratorINS9_10device_ptrIiEEEENSB_INSC_IjEEEESE_fNS9_4plusIvEENS9_8equal_toIvEEfEE10hipError_tPvRmT2_T3_T4_T5_mT6_T7_P12ihipStream_tbENKUlT_T0_E_clISt17integral_constantIbLb0EES11_EEDaSW_SX_EUlSW_E_NS1_11comp_targetILNS1_3genE0ELNS1_11target_archE4294967295ELNS1_3gpuE0ELNS1_3repE0EEENS1_30default_config_static_selectorELNS0_4arch9wavefront6targetE0EEEvT1_,@function
_ZN7rocprim17ROCPRIM_400000_NS6detail17trampoline_kernelINS0_14default_configENS1_27scan_by_key_config_selectorIifEEZZNS1_16scan_by_key_implILNS1_25lookback_scan_determinismE0ELb1ES3_N6thrust23THRUST_200600_302600_NS6detail15normal_iteratorINS9_10device_ptrIiEEEENSB_INSC_IjEEEESE_fNS9_4plusIvEENS9_8equal_toIvEEfEE10hipError_tPvRmT2_T3_T4_T5_mT6_T7_P12ihipStream_tbENKUlT_T0_E_clISt17integral_constantIbLb0EES11_EEDaSW_SX_EUlSW_E_NS1_11comp_targetILNS1_3genE0ELNS1_11target_archE4294967295ELNS1_3gpuE0ELNS1_3repE0EEENS1_30default_config_static_selectorELNS0_4arch9wavefront6targetE0EEEvT1_: ; @_ZN7rocprim17ROCPRIM_400000_NS6detail17trampoline_kernelINS0_14default_configENS1_27scan_by_key_config_selectorIifEEZZNS1_16scan_by_key_implILNS1_25lookback_scan_determinismE0ELb1ES3_N6thrust23THRUST_200600_302600_NS6detail15normal_iteratorINS9_10device_ptrIiEEEENSB_INSC_IjEEEESE_fNS9_4plusIvEENS9_8equal_toIvEEfEE10hipError_tPvRmT2_T3_T4_T5_mT6_T7_P12ihipStream_tbENKUlT_T0_E_clISt17integral_constantIbLb0EES11_EEDaSW_SX_EUlSW_E_NS1_11comp_targetILNS1_3genE0ELNS1_11target_archE4294967295ELNS1_3gpuE0ELNS1_3repE0EEENS1_30default_config_static_selectorELNS0_4arch9wavefront6targetE0EEEvT1_
; %bb.0:
	.section	.rodata,"a",@progbits
	.p2align	6, 0x0
	.amdhsa_kernel _ZN7rocprim17ROCPRIM_400000_NS6detail17trampoline_kernelINS0_14default_configENS1_27scan_by_key_config_selectorIifEEZZNS1_16scan_by_key_implILNS1_25lookback_scan_determinismE0ELb1ES3_N6thrust23THRUST_200600_302600_NS6detail15normal_iteratorINS9_10device_ptrIiEEEENSB_INSC_IjEEEESE_fNS9_4plusIvEENS9_8equal_toIvEEfEE10hipError_tPvRmT2_T3_T4_T5_mT6_T7_P12ihipStream_tbENKUlT_T0_E_clISt17integral_constantIbLb0EES11_EEDaSW_SX_EUlSW_E_NS1_11comp_targetILNS1_3genE0ELNS1_11target_archE4294967295ELNS1_3gpuE0ELNS1_3repE0EEENS1_30default_config_static_selectorELNS0_4arch9wavefront6targetE0EEEvT1_
		.amdhsa_group_segment_fixed_size 0
		.amdhsa_private_segment_fixed_size 0
		.amdhsa_kernarg_size 112
		.amdhsa_user_sgpr_count 6
		.amdhsa_user_sgpr_private_segment_buffer 1
		.amdhsa_user_sgpr_dispatch_ptr 0
		.amdhsa_user_sgpr_queue_ptr 0
		.amdhsa_user_sgpr_kernarg_segment_ptr 1
		.amdhsa_user_sgpr_dispatch_id 0
		.amdhsa_user_sgpr_flat_scratch_init 0
		.amdhsa_user_sgpr_private_segment_size 0
		.amdhsa_wavefront_size32 1
		.amdhsa_uses_dynamic_stack 0
		.amdhsa_system_sgpr_private_segment_wavefront_offset 0
		.amdhsa_system_sgpr_workgroup_id_x 1
		.amdhsa_system_sgpr_workgroup_id_y 0
		.amdhsa_system_sgpr_workgroup_id_z 0
		.amdhsa_system_sgpr_workgroup_info 0
		.amdhsa_system_vgpr_workitem_id 0
		.amdhsa_next_free_vgpr 1
		.amdhsa_next_free_sgpr 1
		.amdhsa_reserve_vcc 0
		.amdhsa_reserve_flat_scratch 0
		.amdhsa_float_round_mode_32 0
		.amdhsa_float_round_mode_16_64 0
		.amdhsa_float_denorm_mode_32 3
		.amdhsa_float_denorm_mode_16_64 3
		.amdhsa_dx10_clamp 1
		.amdhsa_ieee_mode 1
		.amdhsa_fp16_overflow 0
		.amdhsa_workgroup_processor_mode 1
		.amdhsa_memory_ordered 1
		.amdhsa_forward_progress 1
		.amdhsa_shared_vgpr_count 0
		.amdhsa_exception_fp_ieee_invalid_op 0
		.amdhsa_exception_fp_denorm_src 0
		.amdhsa_exception_fp_ieee_div_zero 0
		.amdhsa_exception_fp_ieee_overflow 0
		.amdhsa_exception_fp_ieee_underflow 0
		.amdhsa_exception_fp_ieee_inexact 0
		.amdhsa_exception_int_div_zero 0
	.end_amdhsa_kernel
	.section	.text._ZN7rocprim17ROCPRIM_400000_NS6detail17trampoline_kernelINS0_14default_configENS1_27scan_by_key_config_selectorIifEEZZNS1_16scan_by_key_implILNS1_25lookback_scan_determinismE0ELb1ES3_N6thrust23THRUST_200600_302600_NS6detail15normal_iteratorINS9_10device_ptrIiEEEENSB_INSC_IjEEEESE_fNS9_4plusIvEENS9_8equal_toIvEEfEE10hipError_tPvRmT2_T3_T4_T5_mT6_T7_P12ihipStream_tbENKUlT_T0_E_clISt17integral_constantIbLb0EES11_EEDaSW_SX_EUlSW_E_NS1_11comp_targetILNS1_3genE0ELNS1_11target_archE4294967295ELNS1_3gpuE0ELNS1_3repE0EEENS1_30default_config_static_selectorELNS0_4arch9wavefront6targetE0EEEvT1_,"axG",@progbits,_ZN7rocprim17ROCPRIM_400000_NS6detail17trampoline_kernelINS0_14default_configENS1_27scan_by_key_config_selectorIifEEZZNS1_16scan_by_key_implILNS1_25lookback_scan_determinismE0ELb1ES3_N6thrust23THRUST_200600_302600_NS6detail15normal_iteratorINS9_10device_ptrIiEEEENSB_INSC_IjEEEESE_fNS9_4plusIvEENS9_8equal_toIvEEfEE10hipError_tPvRmT2_T3_T4_T5_mT6_T7_P12ihipStream_tbENKUlT_T0_E_clISt17integral_constantIbLb0EES11_EEDaSW_SX_EUlSW_E_NS1_11comp_targetILNS1_3genE0ELNS1_11target_archE4294967295ELNS1_3gpuE0ELNS1_3repE0EEENS1_30default_config_static_selectorELNS0_4arch9wavefront6targetE0EEEvT1_,comdat
.Lfunc_end1788:
	.size	_ZN7rocprim17ROCPRIM_400000_NS6detail17trampoline_kernelINS0_14default_configENS1_27scan_by_key_config_selectorIifEEZZNS1_16scan_by_key_implILNS1_25lookback_scan_determinismE0ELb1ES3_N6thrust23THRUST_200600_302600_NS6detail15normal_iteratorINS9_10device_ptrIiEEEENSB_INSC_IjEEEESE_fNS9_4plusIvEENS9_8equal_toIvEEfEE10hipError_tPvRmT2_T3_T4_T5_mT6_T7_P12ihipStream_tbENKUlT_T0_E_clISt17integral_constantIbLb0EES11_EEDaSW_SX_EUlSW_E_NS1_11comp_targetILNS1_3genE0ELNS1_11target_archE4294967295ELNS1_3gpuE0ELNS1_3repE0EEENS1_30default_config_static_selectorELNS0_4arch9wavefront6targetE0EEEvT1_, .Lfunc_end1788-_ZN7rocprim17ROCPRIM_400000_NS6detail17trampoline_kernelINS0_14default_configENS1_27scan_by_key_config_selectorIifEEZZNS1_16scan_by_key_implILNS1_25lookback_scan_determinismE0ELb1ES3_N6thrust23THRUST_200600_302600_NS6detail15normal_iteratorINS9_10device_ptrIiEEEENSB_INSC_IjEEEESE_fNS9_4plusIvEENS9_8equal_toIvEEfEE10hipError_tPvRmT2_T3_T4_T5_mT6_T7_P12ihipStream_tbENKUlT_T0_E_clISt17integral_constantIbLb0EES11_EEDaSW_SX_EUlSW_E_NS1_11comp_targetILNS1_3genE0ELNS1_11target_archE4294967295ELNS1_3gpuE0ELNS1_3repE0EEENS1_30default_config_static_selectorELNS0_4arch9wavefront6targetE0EEEvT1_
                                        ; -- End function
	.set _ZN7rocprim17ROCPRIM_400000_NS6detail17trampoline_kernelINS0_14default_configENS1_27scan_by_key_config_selectorIifEEZZNS1_16scan_by_key_implILNS1_25lookback_scan_determinismE0ELb1ES3_N6thrust23THRUST_200600_302600_NS6detail15normal_iteratorINS9_10device_ptrIiEEEENSB_INSC_IjEEEESE_fNS9_4plusIvEENS9_8equal_toIvEEfEE10hipError_tPvRmT2_T3_T4_T5_mT6_T7_P12ihipStream_tbENKUlT_T0_E_clISt17integral_constantIbLb0EES11_EEDaSW_SX_EUlSW_E_NS1_11comp_targetILNS1_3genE0ELNS1_11target_archE4294967295ELNS1_3gpuE0ELNS1_3repE0EEENS1_30default_config_static_selectorELNS0_4arch9wavefront6targetE0EEEvT1_.num_vgpr, 0
	.set _ZN7rocprim17ROCPRIM_400000_NS6detail17trampoline_kernelINS0_14default_configENS1_27scan_by_key_config_selectorIifEEZZNS1_16scan_by_key_implILNS1_25lookback_scan_determinismE0ELb1ES3_N6thrust23THRUST_200600_302600_NS6detail15normal_iteratorINS9_10device_ptrIiEEEENSB_INSC_IjEEEESE_fNS9_4plusIvEENS9_8equal_toIvEEfEE10hipError_tPvRmT2_T3_T4_T5_mT6_T7_P12ihipStream_tbENKUlT_T0_E_clISt17integral_constantIbLb0EES11_EEDaSW_SX_EUlSW_E_NS1_11comp_targetILNS1_3genE0ELNS1_11target_archE4294967295ELNS1_3gpuE0ELNS1_3repE0EEENS1_30default_config_static_selectorELNS0_4arch9wavefront6targetE0EEEvT1_.num_agpr, 0
	.set _ZN7rocprim17ROCPRIM_400000_NS6detail17trampoline_kernelINS0_14default_configENS1_27scan_by_key_config_selectorIifEEZZNS1_16scan_by_key_implILNS1_25lookback_scan_determinismE0ELb1ES3_N6thrust23THRUST_200600_302600_NS6detail15normal_iteratorINS9_10device_ptrIiEEEENSB_INSC_IjEEEESE_fNS9_4plusIvEENS9_8equal_toIvEEfEE10hipError_tPvRmT2_T3_T4_T5_mT6_T7_P12ihipStream_tbENKUlT_T0_E_clISt17integral_constantIbLb0EES11_EEDaSW_SX_EUlSW_E_NS1_11comp_targetILNS1_3genE0ELNS1_11target_archE4294967295ELNS1_3gpuE0ELNS1_3repE0EEENS1_30default_config_static_selectorELNS0_4arch9wavefront6targetE0EEEvT1_.numbered_sgpr, 0
	.set _ZN7rocprim17ROCPRIM_400000_NS6detail17trampoline_kernelINS0_14default_configENS1_27scan_by_key_config_selectorIifEEZZNS1_16scan_by_key_implILNS1_25lookback_scan_determinismE0ELb1ES3_N6thrust23THRUST_200600_302600_NS6detail15normal_iteratorINS9_10device_ptrIiEEEENSB_INSC_IjEEEESE_fNS9_4plusIvEENS9_8equal_toIvEEfEE10hipError_tPvRmT2_T3_T4_T5_mT6_T7_P12ihipStream_tbENKUlT_T0_E_clISt17integral_constantIbLb0EES11_EEDaSW_SX_EUlSW_E_NS1_11comp_targetILNS1_3genE0ELNS1_11target_archE4294967295ELNS1_3gpuE0ELNS1_3repE0EEENS1_30default_config_static_selectorELNS0_4arch9wavefront6targetE0EEEvT1_.num_named_barrier, 0
	.set _ZN7rocprim17ROCPRIM_400000_NS6detail17trampoline_kernelINS0_14default_configENS1_27scan_by_key_config_selectorIifEEZZNS1_16scan_by_key_implILNS1_25lookback_scan_determinismE0ELb1ES3_N6thrust23THRUST_200600_302600_NS6detail15normal_iteratorINS9_10device_ptrIiEEEENSB_INSC_IjEEEESE_fNS9_4plusIvEENS9_8equal_toIvEEfEE10hipError_tPvRmT2_T3_T4_T5_mT6_T7_P12ihipStream_tbENKUlT_T0_E_clISt17integral_constantIbLb0EES11_EEDaSW_SX_EUlSW_E_NS1_11comp_targetILNS1_3genE0ELNS1_11target_archE4294967295ELNS1_3gpuE0ELNS1_3repE0EEENS1_30default_config_static_selectorELNS0_4arch9wavefront6targetE0EEEvT1_.private_seg_size, 0
	.set _ZN7rocprim17ROCPRIM_400000_NS6detail17trampoline_kernelINS0_14default_configENS1_27scan_by_key_config_selectorIifEEZZNS1_16scan_by_key_implILNS1_25lookback_scan_determinismE0ELb1ES3_N6thrust23THRUST_200600_302600_NS6detail15normal_iteratorINS9_10device_ptrIiEEEENSB_INSC_IjEEEESE_fNS9_4plusIvEENS9_8equal_toIvEEfEE10hipError_tPvRmT2_T3_T4_T5_mT6_T7_P12ihipStream_tbENKUlT_T0_E_clISt17integral_constantIbLb0EES11_EEDaSW_SX_EUlSW_E_NS1_11comp_targetILNS1_3genE0ELNS1_11target_archE4294967295ELNS1_3gpuE0ELNS1_3repE0EEENS1_30default_config_static_selectorELNS0_4arch9wavefront6targetE0EEEvT1_.uses_vcc, 0
	.set _ZN7rocprim17ROCPRIM_400000_NS6detail17trampoline_kernelINS0_14default_configENS1_27scan_by_key_config_selectorIifEEZZNS1_16scan_by_key_implILNS1_25lookback_scan_determinismE0ELb1ES3_N6thrust23THRUST_200600_302600_NS6detail15normal_iteratorINS9_10device_ptrIiEEEENSB_INSC_IjEEEESE_fNS9_4plusIvEENS9_8equal_toIvEEfEE10hipError_tPvRmT2_T3_T4_T5_mT6_T7_P12ihipStream_tbENKUlT_T0_E_clISt17integral_constantIbLb0EES11_EEDaSW_SX_EUlSW_E_NS1_11comp_targetILNS1_3genE0ELNS1_11target_archE4294967295ELNS1_3gpuE0ELNS1_3repE0EEENS1_30default_config_static_selectorELNS0_4arch9wavefront6targetE0EEEvT1_.uses_flat_scratch, 0
	.set _ZN7rocprim17ROCPRIM_400000_NS6detail17trampoline_kernelINS0_14default_configENS1_27scan_by_key_config_selectorIifEEZZNS1_16scan_by_key_implILNS1_25lookback_scan_determinismE0ELb1ES3_N6thrust23THRUST_200600_302600_NS6detail15normal_iteratorINS9_10device_ptrIiEEEENSB_INSC_IjEEEESE_fNS9_4plusIvEENS9_8equal_toIvEEfEE10hipError_tPvRmT2_T3_T4_T5_mT6_T7_P12ihipStream_tbENKUlT_T0_E_clISt17integral_constantIbLb0EES11_EEDaSW_SX_EUlSW_E_NS1_11comp_targetILNS1_3genE0ELNS1_11target_archE4294967295ELNS1_3gpuE0ELNS1_3repE0EEENS1_30default_config_static_selectorELNS0_4arch9wavefront6targetE0EEEvT1_.has_dyn_sized_stack, 0
	.set _ZN7rocprim17ROCPRIM_400000_NS6detail17trampoline_kernelINS0_14default_configENS1_27scan_by_key_config_selectorIifEEZZNS1_16scan_by_key_implILNS1_25lookback_scan_determinismE0ELb1ES3_N6thrust23THRUST_200600_302600_NS6detail15normal_iteratorINS9_10device_ptrIiEEEENSB_INSC_IjEEEESE_fNS9_4plusIvEENS9_8equal_toIvEEfEE10hipError_tPvRmT2_T3_T4_T5_mT6_T7_P12ihipStream_tbENKUlT_T0_E_clISt17integral_constantIbLb0EES11_EEDaSW_SX_EUlSW_E_NS1_11comp_targetILNS1_3genE0ELNS1_11target_archE4294967295ELNS1_3gpuE0ELNS1_3repE0EEENS1_30default_config_static_selectorELNS0_4arch9wavefront6targetE0EEEvT1_.has_recursion, 0
	.set _ZN7rocprim17ROCPRIM_400000_NS6detail17trampoline_kernelINS0_14default_configENS1_27scan_by_key_config_selectorIifEEZZNS1_16scan_by_key_implILNS1_25lookback_scan_determinismE0ELb1ES3_N6thrust23THRUST_200600_302600_NS6detail15normal_iteratorINS9_10device_ptrIiEEEENSB_INSC_IjEEEESE_fNS9_4plusIvEENS9_8equal_toIvEEfEE10hipError_tPvRmT2_T3_T4_T5_mT6_T7_P12ihipStream_tbENKUlT_T0_E_clISt17integral_constantIbLb0EES11_EEDaSW_SX_EUlSW_E_NS1_11comp_targetILNS1_3genE0ELNS1_11target_archE4294967295ELNS1_3gpuE0ELNS1_3repE0EEENS1_30default_config_static_selectorELNS0_4arch9wavefront6targetE0EEEvT1_.has_indirect_call, 0
	.section	.AMDGPU.csdata,"",@progbits
; Kernel info:
; codeLenInByte = 0
; TotalNumSgprs: 0
; NumVgprs: 0
; ScratchSize: 0
; MemoryBound: 0
; FloatMode: 240
; IeeeMode: 1
; LDSByteSize: 0 bytes/workgroup (compile time only)
; SGPRBlocks: 0
; VGPRBlocks: 0
; NumSGPRsForWavesPerEU: 1
; NumVGPRsForWavesPerEU: 1
; Occupancy: 16
; WaveLimiterHint : 0
; COMPUTE_PGM_RSRC2:SCRATCH_EN: 0
; COMPUTE_PGM_RSRC2:USER_SGPR: 6
; COMPUTE_PGM_RSRC2:TRAP_HANDLER: 0
; COMPUTE_PGM_RSRC2:TGID_X_EN: 1
; COMPUTE_PGM_RSRC2:TGID_Y_EN: 0
; COMPUTE_PGM_RSRC2:TGID_Z_EN: 0
; COMPUTE_PGM_RSRC2:TIDIG_COMP_CNT: 0
	.section	.text._ZN7rocprim17ROCPRIM_400000_NS6detail17trampoline_kernelINS0_14default_configENS1_27scan_by_key_config_selectorIifEEZZNS1_16scan_by_key_implILNS1_25lookback_scan_determinismE0ELb1ES3_N6thrust23THRUST_200600_302600_NS6detail15normal_iteratorINS9_10device_ptrIiEEEENSB_INSC_IjEEEESE_fNS9_4plusIvEENS9_8equal_toIvEEfEE10hipError_tPvRmT2_T3_T4_T5_mT6_T7_P12ihipStream_tbENKUlT_T0_E_clISt17integral_constantIbLb0EES11_EEDaSW_SX_EUlSW_E_NS1_11comp_targetILNS1_3genE10ELNS1_11target_archE1201ELNS1_3gpuE5ELNS1_3repE0EEENS1_30default_config_static_selectorELNS0_4arch9wavefront6targetE0EEEvT1_,"axG",@progbits,_ZN7rocprim17ROCPRIM_400000_NS6detail17trampoline_kernelINS0_14default_configENS1_27scan_by_key_config_selectorIifEEZZNS1_16scan_by_key_implILNS1_25lookback_scan_determinismE0ELb1ES3_N6thrust23THRUST_200600_302600_NS6detail15normal_iteratorINS9_10device_ptrIiEEEENSB_INSC_IjEEEESE_fNS9_4plusIvEENS9_8equal_toIvEEfEE10hipError_tPvRmT2_T3_T4_T5_mT6_T7_P12ihipStream_tbENKUlT_T0_E_clISt17integral_constantIbLb0EES11_EEDaSW_SX_EUlSW_E_NS1_11comp_targetILNS1_3genE10ELNS1_11target_archE1201ELNS1_3gpuE5ELNS1_3repE0EEENS1_30default_config_static_selectorELNS0_4arch9wavefront6targetE0EEEvT1_,comdat
	.protected	_ZN7rocprim17ROCPRIM_400000_NS6detail17trampoline_kernelINS0_14default_configENS1_27scan_by_key_config_selectorIifEEZZNS1_16scan_by_key_implILNS1_25lookback_scan_determinismE0ELb1ES3_N6thrust23THRUST_200600_302600_NS6detail15normal_iteratorINS9_10device_ptrIiEEEENSB_INSC_IjEEEESE_fNS9_4plusIvEENS9_8equal_toIvEEfEE10hipError_tPvRmT2_T3_T4_T5_mT6_T7_P12ihipStream_tbENKUlT_T0_E_clISt17integral_constantIbLb0EES11_EEDaSW_SX_EUlSW_E_NS1_11comp_targetILNS1_3genE10ELNS1_11target_archE1201ELNS1_3gpuE5ELNS1_3repE0EEENS1_30default_config_static_selectorELNS0_4arch9wavefront6targetE0EEEvT1_ ; -- Begin function _ZN7rocprim17ROCPRIM_400000_NS6detail17trampoline_kernelINS0_14default_configENS1_27scan_by_key_config_selectorIifEEZZNS1_16scan_by_key_implILNS1_25lookback_scan_determinismE0ELb1ES3_N6thrust23THRUST_200600_302600_NS6detail15normal_iteratorINS9_10device_ptrIiEEEENSB_INSC_IjEEEESE_fNS9_4plusIvEENS9_8equal_toIvEEfEE10hipError_tPvRmT2_T3_T4_T5_mT6_T7_P12ihipStream_tbENKUlT_T0_E_clISt17integral_constantIbLb0EES11_EEDaSW_SX_EUlSW_E_NS1_11comp_targetILNS1_3genE10ELNS1_11target_archE1201ELNS1_3gpuE5ELNS1_3repE0EEENS1_30default_config_static_selectorELNS0_4arch9wavefront6targetE0EEEvT1_
	.globl	_ZN7rocprim17ROCPRIM_400000_NS6detail17trampoline_kernelINS0_14default_configENS1_27scan_by_key_config_selectorIifEEZZNS1_16scan_by_key_implILNS1_25lookback_scan_determinismE0ELb1ES3_N6thrust23THRUST_200600_302600_NS6detail15normal_iteratorINS9_10device_ptrIiEEEENSB_INSC_IjEEEESE_fNS9_4plusIvEENS9_8equal_toIvEEfEE10hipError_tPvRmT2_T3_T4_T5_mT6_T7_P12ihipStream_tbENKUlT_T0_E_clISt17integral_constantIbLb0EES11_EEDaSW_SX_EUlSW_E_NS1_11comp_targetILNS1_3genE10ELNS1_11target_archE1201ELNS1_3gpuE5ELNS1_3repE0EEENS1_30default_config_static_selectorELNS0_4arch9wavefront6targetE0EEEvT1_
	.p2align	8
	.type	_ZN7rocprim17ROCPRIM_400000_NS6detail17trampoline_kernelINS0_14default_configENS1_27scan_by_key_config_selectorIifEEZZNS1_16scan_by_key_implILNS1_25lookback_scan_determinismE0ELb1ES3_N6thrust23THRUST_200600_302600_NS6detail15normal_iteratorINS9_10device_ptrIiEEEENSB_INSC_IjEEEESE_fNS9_4plusIvEENS9_8equal_toIvEEfEE10hipError_tPvRmT2_T3_T4_T5_mT6_T7_P12ihipStream_tbENKUlT_T0_E_clISt17integral_constantIbLb0EES11_EEDaSW_SX_EUlSW_E_NS1_11comp_targetILNS1_3genE10ELNS1_11target_archE1201ELNS1_3gpuE5ELNS1_3repE0EEENS1_30default_config_static_selectorELNS0_4arch9wavefront6targetE0EEEvT1_,@function
_ZN7rocprim17ROCPRIM_400000_NS6detail17trampoline_kernelINS0_14default_configENS1_27scan_by_key_config_selectorIifEEZZNS1_16scan_by_key_implILNS1_25lookback_scan_determinismE0ELb1ES3_N6thrust23THRUST_200600_302600_NS6detail15normal_iteratorINS9_10device_ptrIiEEEENSB_INSC_IjEEEESE_fNS9_4plusIvEENS9_8equal_toIvEEfEE10hipError_tPvRmT2_T3_T4_T5_mT6_T7_P12ihipStream_tbENKUlT_T0_E_clISt17integral_constantIbLb0EES11_EEDaSW_SX_EUlSW_E_NS1_11comp_targetILNS1_3genE10ELNS1_11target_archE1201ELNS1_3gpuE5ELNS1_3repE0EEENS1_30default_config_static_selectorELNS0_4arch9wavefront6targetE0EEEvT1_: ; @_ZN7rocprim17ROCPRIM_400000_NS6detail17trampoline_kernelINS0_14default_configENS1_27scan_by_key_config_selectorIifEEZZNS1_16scan_by_key_implILNS1_25lookback_scan_determinismE0ELb1ES3_N6thrust23THRUST_200600_302600_NS6detail15normal_iteratorINS9_10device_ptrIiEEEENSB_INSC_IjEEEESE_fNS9_4plusIvEENS9_8equal_toIvEEfEE10hipError_tPvRmT2_T3_T4_T5_mT6_T7_P12ihipStream_tbENKUlT_T0_E_clISt17integral_constantIbLb0EES11_EEDaSW_SX_EUlSW_E_NS1_11comp_targetILNS1_3genE10ELNS1_11target_archE1201ELNS1_3gpuE5ELNS1_3repE0EEENS1_30default_config_static_selectorELNS0_4arch9wavefront6targetE0EEEvT1_
; %bb.0:
	.section	.rodata,"a",@progbits
	.p2align	6, 0x0
	.amdhsa_kernel _ZN7rocprim17ROCPRIM_400000_NS6detail17trampoline_kernelINS0_14default_configENS1_27scan_by_key_config_selectorIifEEZZNS1_16scan_by_key_implILNS1_25lookback_scan_determinismE0ELb1ES3_N6thrust23THRUST_200600_302600_NS6detail15normal_iteratorINS9_10device_ptrIiEEEENSB_INSC_IjEEEESE_fNS9_4plusIvEENS9_8equal_toIvEEfEE10hipError_tPvRmT2_T3_T4_T5_mT6_T7_P12ihipStream_tbENKUlT_T0_E_clISt17integral_constantIbLb0EES11_EEDaSW_SX_EUlSW_E_NS1_11comp_targetILNS1_3genE10ELNS1_11target_archE1201ELNS1_3gpuE5ELNS1_3repE0EEENS1_30default_config_static_selectorELNS0_4arch9wavefront6targetE0EEEvT1_
		.amdhsa_group_segment_fixed_size 0
		.amdhsa_private_segment_fixed_size 0
		.amdhsa_kernarg_size 112
		.amdhsa_user_sgpr_count 6
		.amdhsa_user_sgpr_private_segment_buffer 1
		.amdhsa_user_sgpr_dispatch_ptr 0
		.amdhsa_user_sgpr_queue_ptr 0
		.amdhsa_user_sgpr_kernarg_segment_ptr 1
		.amdhsa_user_sgpr_dispatch_id 0
		.amdhsa_user_sgpr_flat_scratch_init 0
		.amdhsa_user_sgpr_private_segment_size 0
		.amdhsa_wavefront_size32 1
		.amdhsa_uses_dynamic_stack 0
		.amdhsa_system_sgpr_private_segment_wavefront_offset 0
		.amdhsa_system_sgpr_workgroup_id_x 1
		.amdhsa_system_sgpr_workgroup_id_y 0
		.amdhsa_system_sgpr_workgroup_id_z 0
		.amdhsa_system_sgpr_workgroup_info 0
		.amdhsa_system_vgpr_workitem_id 0
		.amdhsa_next_free_vgpr 1
		.amdhsa_next_free_sgpr 1
		.amdhsa_reserve_vcc 0
		.amdhsa_reserve_flat_scratch 0
		.amdhsa_float_round_mode_32 0
		.amdhsa_float_round_mode_16_64 0
		.amdhsa_float_denorm_mode_32 3
		.amdhsa_float_denorm_mode_16_64 3
		.amdhsa_dx10_clamp 1
		.amdhsa_ieee_mode 1
		.amdhsa_fp16_overflow 0
		.amdhsa_workgroup_processor_mode 1
		.amdhsa_memory_ordered 1
		.amdhsa_forward_progress 1
		.amdhsa_shared_vgpr_count 0
		.amdhsa_exception_fp_ieee_invalid_op 0
		.amdhsa_exception_fp_denorm_src 0
		.amdhsa_exception_fp_ieee_div_zero 0
		.amdhsa_exception_fp_ieee_overflow 0
		.amdhsa_exception_fp_ieee_underflow 0
		.amdhsa_exception_fp_ieee_inexact 0
		.amdhsa_exception_int_div_zero 0
	.end_amdhsa_kernel
	.section	.text._ZN7rocprim17ROCPRIM_400000_NS6detail17trampoline_kernelINS0_14default_configENS1_27scan_by_key_config_selectorIifEEZZNS1_16scan_by_key_implILNS1_25lookback_scan_determinismE0ELb1ES3_N6thrust23THRUST_200600_302600_NS6detail15normal_iteratorINS9_10device_ptrIiEEEENSB_INSC_IjEEEESE_fNS9_4plusIvEENS9_8equal_toIvEEfEE10hipError_tPvRmT2_T3_T4_T5_mT6_T7_P12ihipStream_tbENKUlT_T0_E_clISt17integral_constantIbLb0EES11_EEDaSW_SX_EUlSW_E_NS1_11comp_targetILNS1_3genE10ELNS1_11target_archE1201ELNS1_3gpuE5ELNS1_3repE0EEENS1_30default_config_static_selectorELNS0_4arch9wavefront6targetE0EEEvT1_,"axG",@progbits,_ZN7rocprim17ROCPRIM_400000_NS6detail17trampoline_kernelINS0_14default_configENS1_27scan_by_key_config_selectorIifEEZZNS1_16scan_by_key_implILNS1_25lookback_scan_determinismE0ELb1ES3_N6thrust23THRUST_200600_302600_NS6detail15normal_iteratorINS9_10device_ptrIiEEEENSB_INSC_IjEEEESE_fNS9_4plusIvEENS9_8equal_toIvEEfEE10hipError_tPvRmT2_T3_T4_T5_mT6_T7_P12ihipStream_tbENKUlT_T0_E_clISt17integral_constantIbLb0EES11_EEDaSW_SX_EUlSW_E_NS1_11comp_targetILNS1_3genE10ELNS1_11target_archE1201ELNS1_3gpuE5ELNS1_3repE0EEENS1_30default_config_static_selectorELNS0_4arch9wavefront6targetE0EEEvT1_,comdat
.Lfunc_end1789:
	.size	_ZN7rocprim17ROCPRIM_400000_NS6detail17trampoline_kernelINS0_14default_configENS1_27scan_by_key_config_selectorIifEEZZNS1_16scan_by_key_implILNS1_25lookback_scan_determinismE0ELb1ES3_N6thrust23THRUST_200600_302600_NS6detail15normal_iteratorINS9_10device_ptrIiEEEENSB_INSC_IjEEEESE_fNS9_4plusIvEENS9_8equal_toIvEEfEE10hipError_tPvRmT2_T3_T4_T5_mT6_T7_P12ihipStream_tbENKUlT_T0_E_clISt17integral_constantIbLb0EES11_EEDaSW_SX_EUlSW_E_NS1_11comp_targetILNS1_3genE10ELNS1_11target_archE1201ELNS1_3gpuE5ELNS1_3repE0EEENS1_30default_config_static_selectorELNS0_4arch9wavefront6targetE0EEEvT1_, .Lfunc_end1789-_ZN7rocprim17ROCPRIM_400000_NS6detail17trampoline_kernelINS0_14default_configENS1_27scan_by_key_config_selectorIifEEZZNS1_16scan_by_key_implILNS1_25lookback_scan_determinismE0ELb1ES3_N6thrust23THRUST_200600_302600_NS6detail15normal_iteratorINS9_10device_ptrIiEEEENSB_INSC_IjEEEESE_fNS9_4plusIvEENS9_8equal_toIvEEfEE10hipError_tPvRmT2_T3_T4_T5_mT6_T7_P12ihipStream_tbENKUlT_T0_E_clISt17integral_constantIbLb0EES11_EEDaSW_SX_EUlSW_E_NS1_11comp_targetILNS1_3genE10ELNS1_11target_archE1201ELNS1_3gpuE5ELNS1_3repE0EEENS1_30default_config_static_selectorELNS0_4arch9wavefront6targetE0EEEvT1_
                                        ; -- End function
	.set _ZN7rocprim17ROCPRIM_400000_NS6detail17trampoline_kernelINS0_14default_configENS1_27scan_by_key_config_selectorIifEEZZNS1_16scan_by_key_implILNS1_25lookback_scan_determinismE0ELb1ES3_N6thrust23THRUST_200600_302600_NS6detail15normal_iteratorINS9_10device_ptrIiEEEENSB_INSC_IjEEEESE_fNS9_4plusIvEENS9_8equal_toIvEEfEE10hipError_tPvRmT2_T3_T4_T5_mT6_T7_P12ihipStream_tbENKUlT_T0_E_clISt17integral_constantIbLb0EES11_EEDaSW_SX_EUlSW_E_NS1_11comp_targetILNS1_3genE10ELNS1_11target_archE1201ELNS1_3gpuE5ELNS1_3repE0EEENS1_30default_config_static_selectorELNS0_4arch9wavefront6targetE0EEEvT1_.num_vgpr, 0
	.set _ZN7rocprim17ROCPRIM_400000_NS6detail17trampoline_kernelINS0_14default_configENS1_27scan_by_key_config_selectorIifEEZZNS1_16scan_by_key_implILNS1_25lookback_scan_determinismE0ELb1ES3_N6thrust23THRUST_200600_302600_NS6detail15normal_iteratorINS9_10device_ptrIiEEEENSB_INSC_IjEEEESE_fNS9_4plusIvEENS9_8equal_toIvEEfEE10hipError_tPvRmT2_T3_T4_T5_mT6_T7_P12ihipStream_tbENKUlT_T0_E_clISt17integral_constantIbLb0EES11_EEDaSW_SX_EUlSW_E_NS1_11comp_targetILNS1_3genE10ELNS1_11target_archE1201ELNS1_3gpuE5ELNS1_3repE0EEENS1_30default_config_static_selectorELNS0_4arch9wavefront6targetE0EEEvT1_.num_agpr, 0
	.set _ZN7rocprim17ROCPRIM_400000_NS6detail17trampoline_kernelINS0_14default_configENS1_27scan_by_key_config_selectorIifEEZZNS1_16scan_by_key_implILNS1_25lookback_scan_determinismE0ELb1ES3_N6thrust23THRUST_200600_302600_NS6detail15normal_iteratorINS9_10device_ptrIiEEEENSB_INSC_IjEEEESE_fNS9_4plusIvEENS9_8equal_toIvEEfEE10hipError_tPvRmT2_T3_T4_T5_mT6_T7_P12ihipStream_tbENKUlT_T0_E_clISt17integral_constantIbLb0EES11_EEDaSW_SX_EUlSW_E_NS1_11comp_targetILNS1_3genE10ELNS1_11target_archE1201ELNS1_3gpuE5ELNS1_3repE0EEENS1_30default_config_static_selectorELNS0_4arch9wavefront6targetE0EEEvT1_.numbered_sgpr, 0
	.set _ZN7rocprim17ROCPRIM_400000_NS6detail17trampoline_kernelINS0_14default_configENS1_27scan_by_key_config_selectorIifEEZZNS1_16scan_by_key_implILNS1_25lookback_scan_determinismE0ELb1ES3_N6thrust23THRUST_200600_302600_NS6detail15normal_iteratorINS9_10device_ptrIiEEEENSB_INSC_IjEEEESE_fNS9_4plusIvEENS9_8equal_toIvEEfEE10hipError_tPvRmT2_T3_T4_T5_mT6_T7_P12ihipStream_tbENKUlT_T0_E_clISt17integral_constantIbLb0EES11_EEDaSW_SX_EUlSW_E_NS1_11comp_targetILNS1_3genE10ELNS1_11target_archE1201ELNS1_3gpuE5ELNS1_3repE0EEENS1_30default_config_static_selectorELNS0_4arch9wavefront6targetE0EEEvT1_.num_named_barrier, 0
	.set _ZN7rocprim17ROCPRIM_400000_NS6detail17trampoline_kernelINS0_14default_configENS1_27scan_by_key_config_selectorIifEEZZNS1_16scan_by_key_implILNS1_25lookback_scan_determinismE0ELb1ES3_N6thrust23THRUST_200600_302600_NS6detail15normal_iteratorINS9_10device_ptrIiEEEENSB_INSC_IjEEEESE_fNS9_4plusIvEENS9_8equal_toIvEEfEE10hipError_tPvRmT2_T3_T4_T5_mT6_T7_P12ihipStream_tbENKUlT_T0_E_clISt17integral_constantIbLb0EES11_EEDaSW_SX_EUlSW_E_NS1_11comp_targetILNS1_3genE10ELNS1_11target_archE1201ELNS1_3gpuE5ELNS1_3repE0EEENS1_30default_config_static_selectorELNS0_4arch9wavefront6targetE0EEEvT1_.private_seg_size, 0
	.set _ZN7rocprim17ROCPRIM_400000_NS6detail17trampoline_kernelINS0_14default_configENS1_27scan_by_key_config_selectorIifEEZZNS1_16scan_by_key_implILNS1_25lookback_scan_determinismE0ELb1ES3_N6thrust23THRUST_200600_302600_NS6detail15normal_iteratorINS9_10device_ptrIiEEEENSB_INSC_IjEEEESE_fNS9_4plusIvEENS9_8equal_toIvEEfEE10hipError_tPvRmT2_T3_T4_T5_mT6_T7_P12ihipStream_tbENKUlT_T0_E_clISt17integral_constantIbLb0EES11_EEDaSW_SX_EUlSW_E_NS1_11comp_targetILNS1_3genE10ELNS1_11target_archE1201ELNS1_3gpuE5ELNS1_3repE0EEENS1_30default_config_static_selectorELNS0_4arch9wavefront6targetE0EEEvT1_.uses_vcc, 0
	.set _ZN7rocprim17ROCPRIM_400000_NS6detail17trampoline_kernelINS0_14default_configENS1_27scan_by_key_config_selectorIifEEZZNS1_16scan_by_key_implILNS1_25lookback_scan_determinismE0ELb1ES3_N6thrust23THRUST_200600_302600_NS6detail15normal_iteratorINS9_10device_ptrIiEEEENSB_INSC_IjEEEESE_fNS9_4plusIvEENS9_8equal_toIvEEfEE10hipError_tPvRmT2_T3_T4_T5_mT6_T7_P12ihipStream_tbENKUlT_T0_E_clISt17integral_constantIbLb0EES11_EEDaSW_SX_EUlSW_E_NS1_11comp_targetILNS1_3genE10ELNS1_11target_archE1201ELNS1_3gpuE5ELNS1_3repE0EEENS1_30default_config_static_selectorELNS0_4arch9wavefront6targetE0EEEvT1_.uses_flat_scratch, 0
	.set _ZN7rocprim17ROCPRIM_400000_NS6detail17trampoline_kernelINS0_14default_configENS1_27scan_by_key_config_selectorIifEEZZNS1_16scan_by_key_implILNS1_25lookback_scan_determinismE0ELb1ES3_N6thrust23THRUST_200600_302600_NS6detail15normal_iteratorINS9_10device_ptrIiEEEENSB_INSC_IjEEEESE_fNS9_4plusIvEENS9_8equal_toIvEEfEE10hipError_tPvRmT2_T3_T4_T5_mT6_T7_P12ihipStream_tbENKUlT_T0_E_clISt17integral_constantIbLb0EES11_EEDaSW_SX_EUlSW_E_NS1_11comp_targetILNS1_3genE10ELNS1_11target_archE1201ELNS1_3gpuE5ELNS1_3repE0EEENS1_30default_config_static_selectorELNS0_4arch9wavefront6targetE0EEEvT1_.has_dyn_sized_stack, 0
	.set _ZN7rocprim17ROCPRIM_400000_NS6detail17trampoline_kernelINS0_14default_configENS1_27scan_by_key_config_selectorIifEEZZNS1_16scan_by_key_implILNS1_25lookback_scan_determinismE0ELb1ES3_N6thrust23THRUST_200600_302600_NS6detail15normal_iteratorINS9_10device_ptrIiEEEENSB_INSC_IjEEEESE_fNS9_4plusIvEENS9_8equal_toIvEEfEE10hipError_tPvRmT2_T3_T4_T5_mT6_T7_P12ihipStream_tbENKUlT_T0_E_clISt17integral_constantIbLb0EES11_EEDaSW_SX_EUlSW_E_NS1_11comp_targetILNS1_3genE10ELNS1_11target_archE1201ELNS1_3gpuE5ELNS1_3repE0EEENS1_30default_config_static_selectorELNS0_4arch9wavefront6targetE0EEEvT1_.has_recursion, 0
	.set _ZN7rocprim17ROCPRIM_400000_NS6detail17trampoline_kernelINS0_14default_configENS1_27scan_by_key_config_selectorIifEEZZNS1_16scan_by_key_implILNS1_25lookback_scan_determinismE0ELb1ES3_N6thrust23THRUST_200600_302600_NS6detail15normal_iteratorINS9_10device_ptrIiEEEENSB_INSC_IjEEEESE_fNS9_4plusIvEENS9_8equal_toIvEEfEE10hipError_tPvRmT2_T3_T4_T5_mT6_T7_P12ihipStream_tbENKUlT_T0_E_clISt17integral_constantIbLb0EES11_EEDaSW_SX_EUlSW_E_NS1_11comp_targetILNS1_3genE10ELNS1_11target_archE1201ELNS1_3gpuE5ELNS1_3repE0EEENS1_30default_config_static_selectorELNS0_4arch9wavefront6targetE0EEEvT1_.has_indirect_call, 0
	.section	.AMDGPU.csdata,"",@progbits
; Kernel info:
; codeLenInByte = 0
; TotalNumSgprs: 0
; NumVgprs: 0
; ScratchSize: 0
; MemoryBound: 0
; FloatMode: 240
; IeeeMode: 1
; LDSByteSize: 0 bytes/workgroup (compile time only)
; SGPRBlocks: 0
; VGPRBlocks: 0
; NumSGPRsForWavesPerEU: 1
; NumVGPRsForWavesPerEU: 1
; Occupancy: 16
; WaveLimiterHint : 0
; COMPUTE_PGM_RSRC2:SCRATCH_EN: 0
; COMPUTE_PGM_RSRC2:USER_SGPR: 6
; COMPUTE_PGM_RSRC2:TRAP_HANDLER: 0
; COMPUTE_PGM_RSRC2:TGID_X_EN: 1
; COMPUTE_PGM_RSRC2:TGID_Y_EN: 0
; COMPUTE_PGM_RSRC2:TGID_Z_EN: 0
; COMPUTE_PGM_RSRC2:TIDIG_COMP_CNT: 0
	.section	.text._ZN7rocprim17ROCPRIM_400000_NS6detail17trampoline_kernelINS0_14default_configENS1_27scan_by_key_config_selectorIifEEZZNS1_16scan_by_key_implILNS1_25lookback_scan_determinismE0ELb1ES3_N6thrust23THRUST_200600_302600_NS6detail15normal_iteratorINS9_10device_ptrIiEEEENSB_INSC_IjEEEESE_fNS9_4plusIvEENS9_8equal_toIvEEfEE10hipError_tPvRmT2_T3_T4_T5_mT6_T7_P12ihipStream_tbENKUlT_T0_E_clISt17integral_constantIbLb0EES11_EEDaSW_SX_EUlSW_E_NS1_11comp_targetILNS1_3genE5ELNS1_11target_archE942ELNS1_3gpuE9ELNS1_3repE0EEENS1_30default_config_static_selectorELNS0_4arch9wavefront6targetE0EEEvT1_,"axG",@progbits,_ZN7rocprim17ROCPRIM_400000_NS6detail17trampoline_kernelINS0_14default_configENS1_27scan_by_key_config_selectorIifEEZZNS1_16scan_by_key_implILNS1_25lookback_scan_determinismE0ELb1ES3_N6thrust23THRUST_200600_302600_NS6detail15normal_iteratorINS9_10device_ptrIiEEEENSB_INSC_IjEEEESE_fNS9_4plusIvEENS9_8equal_toIvEEfEE10hipError_tPvRmT2_T3_T4_T5_mT6_T7_P12ihipStream_tbENKUlT_T0_E_clISt17integral_constantIbLb0EES11_EEDaSW_SX_EUlSW_E_NS1_11comp_targetILNS1_3genE5ELNS1_11target_archE942ELNS1_3gpuE9ELNS1_3repE0EEENS1_30default_config_static_selectorELNS0_4arch9wavefront6targetE0EEEvT1_,comdat
	.protected	_ZN7rocprim17ROCPRIM_400000_NS6detail17trampoline_kernelINS0_14default_configENS1_27scan_by_key_config_selectorIifEEZZNS1_16scan_by_key_implILNS1_25lookback_scan_determinismE0ELb1ES3_N6thrust23THRUST_200600_302600_NS6detail15normal_iteratorINS9_10device_ptrIiEEEENSB_INSC_IjEEEESE_fNS9_4plusIvEENS9_8equal_toIvEEfEE10hipError_tPvRmT2_T3_T4_T5_mT6_T7_P12ihipStream_tbENKUlT_T0_E_clISt17integral_constantIbLb0EES11_EEDaSW_SX_EUlSW_E_NS1_11comp_targetILNS1_3genE5ELNS1_11target_archE942ELNS1_3gpuE9ELNS1_3repE0EEENS1_30default_config_static_selectorELNS0_4arch9wavefront6targetE0EEEvT1_ ; -- Begin function _ZN7rocprim17ROCPRIM_400000_NS6detail17trampoline_kernelINS0_14default_configENS1_27scan_by_key_config_selectorIifEEZZNS1_16scan_by_key_implILNS1_25lookback_scan_determinismE0ELb1ES3_N6thrust23THRUST_200600_302600_NS6detail15normal_iteratorINS9_10device_ptrIiEEEENSB_INSC_IjEEEESE_fNS9_4plusIvEENS9_8equal_toIvEEfEE10hipError_tPvRmT2_T3_T4_T5_mT6_T7_P12ihipStream_tbENKUlT_T0_E_clISt17integral_constantIbLb0EES11_EEDaSW_SX_EUlSW_E_NS1_11comp_targetILNS1_3genE5ELNS1_11target_archE942ELNS1_3gpuE9ELNS1_3repE0EEENS1_30default_config_static_selectorELNS0_4arch9wavefront6targetE0EEEvT1_
	.globl	_ZN7rocprim17ROCPRIM_400000_NS6detail17trampoline_kernelINS0_14default_configENS1_27scan_by_key_config_selectorIifEEZZNS1_16scan_by_key_implILNS1_25lookback_scan_determinismE0ELb1ES3_N6thrust23THRUST_200600_302600_NS6detail15normal_iteratorINS9_10device_ptrIiEEEENSB_INSC_IjEEEESE_fNS9_4plusIvEENS9_8equal_toIvEEfEE10hipError_tPvRmT2_T3_T4_T5_mT6_T7_P12ihipStream_tbENKUlT_T0_E_clISt17integral_constantIbLb0EES11_EEDaSW_SX_EUlSW_E_NS1_11comp_targetILNS1_3genE5ELNS1_11target_archE942ELNS1_3gpuE9ELNS1_3repE0EEENS1_30default_config_static_selectorELNS0_4arch9wavefront6targetE0EEEvT1_
	.p2align	8
	.type	_ZN7rocprim17ROCPRIM_400000_NS6detail17trampoline_kernelINS0_14default_configENS1_27scan_by_key_config_selectorIifEEZZNS1_16scan_by_key_implILNS1_25lookback_scan_determinismE0ELb1ES3_N6thrust23THRUST_200600_302600_NS6detail15normal_iteratorINS9_10device_ptrIiEEEENSB_INSC_IjEEEESE_fNS9_4plusIvEENS9_8equal_toIvEEfEE10hipError_tPvRmT2_T3_T4_T5_mT6_T7_P12ihipStream_tbENKUlT_T0_E_clISt17integral_constantIbLb0EES11_EEDaSW_SX_EUlSW_E_NS1_11comp_targetILNS1_3genE5ELNS1_11target_archE942ELNS1_3gpuE9ELNS1_3repE0EEENS1_30default_config_static_selectorELNS0_4arch9wavefront6targetE0EEEvT1_,@function
_ZN7rocprim17ROCPRIM_400000_NS6detail17trampoline_kernelINS0_14default_configENS1_27scan_by_key_config_selectorIifEEZZNS1_16scan_by_key_implILNS1_25lookback_scan_determinismE0ELb1ES3_N6thrust23THRUST_200600_302600_NS6detail15normal_iteratorINS9_10device_ptrIiEEEENSB_INSC_IjEEEESE_fNS9_4plusIvEENS9_8equal_toIvEEfEE10hipError_tPvRmT2_T3_T4_T5_mT6_T7_P12ihipStream_tbENKUlT_T0_E_clISt17integral_constantIbLb0EES11_EEDaSW_SX_EUlSW_E_NS1_11comp_targetILNS1_3genE5ELNS1_11target_archE942ELNS1_3gpuE9ELNS1_3repE0EEENS1_30default_config_static_selectorELNS0_4arch9wavefront6targetE0EEEvT1_: ; @_ZN7rocprim17ROCPRIM_400000_NS6detail17trampoline_kernelINS0_14default_configENS1_27scan_by_key_config_selectorIifEEZZNS1_16scan_by_key_implILNS1_25lookback_scan_determinismE0ELb1ES3_N6thrust23THRUST_200600_302600_NS6detail15normal_iteratorINS9_10device_ptrIiEEEENSB_INSC_IjEEEESE_fNS9_4plusIvEENS9_8equal_toIvEEfEE10hipError_tPvRmT2_T3_T4_T5_mT6_T7_P12ihipStream_tbENKUlT_T0_E_clISt17integral_constantIbLb0EES11_EEDaSW_SX_EUlSW_E_NS1_11comp_targetILNS1_3genE5ELNS1_11target_archE942ELNS1_3gpuE9ELNS1_3repE0EEENS1_30default_config_static_selectorELNS0_4arch9wavefront6targetE0EEEvT1_
; %bb.0:
	.section	.rodata,"a",@progbits
	.p2align	6, 0x0
	.amdhsa_kernel _ZN7rocprim17ROCPRIM_400000_NS6detail17trampoline_kernelINS0_14default_configENS1_27scan_by_key_config_selectorIifEEZZNS1_16scan_by_key_implILNS1_25lookback_scan_determinismE0ELb1ES3_N6thrust23THRUST_200600_302600_NS6detail15normal_iteratorINS9_10device_ptrIiEEEENSB_INSC_IjEEEESE_fNS9_4plusIvEENS9_8equal_toIvEEfEE10hipError_tPvRmT2_T3_T4_T5_mT6_T7_P12ihipStream_tbENKUlT_T0_E_clISt17integral_constantIbLb0EES11_EEDaSW_SX_EUlSW_E_NS1_11comp_targetILNS1_3genE5ELNS1_11target_archE942ELNS1_3gpuE9ELNS1_3repE0EEENS1_30default_config_static_selectorELNS0_4arch9wavefront6targetE0EEEvT1_
		.amdhsa_group_segment_fixed_size 0
		.amdhsa_private_segment_fixed_size 0
		.amdhsa_kernarg_size 112
		.amdhsa_user_sgpr_count 6
		.amdhsa_user_sgpr_private_segment_buffer 1
		.amdhsa_user_sgpr_dispatch_ptr 0
		.amdhsa_user_sgpr_queue_ptr 0
		.amdhsa_user_sgpr_kernarg_segment_ptr 1
		.amdhsa_user_sgpr_dispatch_id 0
		.amdhsa_user_sgpr_flat_scratch_init 0
		.amdhsa_user_sgpr_private_segment_size 0
		.amdhsa_wavefront_size32 1
		.amdhsa_uses_dynamic_stack 0
		.amdhsa_system_sgpr_private_segment_wavefront_offset 0
		.amdhsa_system_sgpr_workgroup_id_x 1
		.amdhsa_system_sgpr_workgroup_id_y 0
		.amdhsa_system_sgpr_workgroup_id_z 0
		.amdhsa_system_sgpr_workgroup_info 0
		.amdhsa_system_vgpr_workitem_id 0
		.amdhsa_next_free_vgpr 1
		.amdhsa_next_free_sgpr 1
		.amdhsa_reserve_vcc 0
		.amdhsa_reserve_flat_scratch 0
		.amdhsa_float_round_mode_32 0
		.amdhsa_float_round_mode_16_64 0
		.amdhsa_float_denorm_mode_32 3
		.amdhsa_float_denorm_mode_16_64 3
		.amdhsa_dx10_clamp 1
		.amdhsa_ieee_mode 1
		.amdhsa_fp16_overflow 0
		.amdhsa_workgroup_processor_mode 1
		.amdhsa_memory_ordered 1
		.amdhsa_forward_progress 1
		.amdhsa_shared_vgpr_count 0
		.amdhsa_exception_fp_ieee_invalid_op 0
		.amdhsa_exception_fp_denorm_src 0
		.amdhsa_exception_fp_ieee_div_zero 0
		.amdhsa_exception_fp_ieee_overflow 0
		.amdhsa_exception_fp_ieee_underflow 0
		.amdhsa_exception_fp_ieee_inexact 0
		.amdhsa_exception_int_div_zero 0
	.end_amdhsa_kernel
	.section	.text._ZN7rocprim17ROCPRIM_400000_NS6detail17trampoline_kernelINS0_14default_configENS1_27scan_by_key_config_selectorIifEEZZNS1_16scan_by_key_implILNS1_25lookback_scan_determinismE0ELb1ES3_N6thrust23THRUST_200600_302600_NS6detail15normal_iteratorINS9_10device_ptrIiEEEENSB_INSC_IjEEEESE_fNS9_4plusIvEENS9_8equal_toIvEEfEE10hipError_tPvRmT2_T3_T4_T5_mT6_T7_P12ihipStream_tbENKUlT_T0_E_clISt17integral_constantIbLb0EES11_EEDaSW_SX_EUlSW_E_NS1_11comp_targetILNS1_3genE5ELNS1_11target_archE942ELNS1_3gpuE9ELNS1_3repE0EEENS1_30default_config_static_selectorELNS0_4arch9wavefront6targetE0EEEvT1_,"axG",@progbits,_ZN7rocprim17ROCPRIM_400000_NS6detail17trampoline_kernelINS0_14default_configENS1_27scan_by_key_config_selectorIifEEZZNS1_16scan_by_key_implILNS1_25lookback_scan_determinismE0ELb1ES3_N6thrust23THRUST_200600_302600_NS6detail15normal_iteratorINS9_10device_ptrIiEEEENSB_INSC_IjEEEESE_fNS9_4plusIvEENS9_8equal_toIvEEfEE10hipError_tPvRmT2_T3_T4_T5_mT6_T7_P12ihipStream_tbENKUlT_T0_E_clISt17integral_constantIbLb0EES11_EEDaSW_SX_EUlSW_E_NS1_11comp_targetILNS1_3genE5ELNS1_11target_archE942ELNS1_3gpuE9ELNS1_3repE0EEENS1_30default_config_static_selectorELNS0_4arch9wavefront6targetE0EEEvT1_,comdat
.Lfunc_end1790:
	.size	_ZN7rocprim17ROCPRIM_400000_NS6detail17trampoline_kernelINS0_14default_configENS1_27scan_by_key_config_selectorIifEEZZNS1_16scan_by_key_implILNS1_25lookback_scan_determinismE0ELb1ES3_N6thrust23THRUST_200600_302600_NS6detail15normal_iteratorINS9_10device_ptrIiEEEENSB_INSC_IjEEEESE_fNS9_4plusIvEENS9_8equal_toIvEEfEE10hipError_tPvRmT2_T3_T4_T5_mT6_T7_P12ihipStream_tbENKUlT_T0_E_clISt17integral_constantIbLb0EES11_EEDaSW_SX_EUlSW_E_NS1_11comp_targetILNS1_3genE5ELNS1_11target_archE942ELNS1_3gpuE9ELNS1_3repE0EEENS1_30default_config_static_selectorELNS0_4arch9wavefront6targetE0EEEvT1_, .Lfunc_end1790-_ZN7rocprim17ROCPRIM_400000_NS6detail17trampoline_kernelINS0_14default_configENS1_27scan_by_key_config_selectorIifEEZZNS1_16scan_by_key_implILNS1_25lookback_scan_determinismE0ELb1ES3_N6thrust23THRUST_200600_302600_NS6detail15normal_iteratorINS9_10device_ptrIiEEEENSB_INSC_IjEEEESE_fNS9_4plusIvEENS9_8equal_toIvEEfEE10hipError_tPvRmT2_T3_T4_T5_mT6_T7_P12ihipStream_tbENKUlT_T0_E_clISt17integral_constantIbLb0EES11_EEDaSW_SX_EUlSW_E_NS1_11comp_targetILNS1_3genE5ELNS1_11target_archE942ELNS1_3gpuE9ELNS1_3repE0EEENS1_30default_config_static_selectorELNS0_4arch9wavefront6targetE0EEEvT1_
                                        ; -- End function
	.set _ZN7rocprim17ROCPRIM_400000_NS6detail17trampoline_kernelINS0_14default_configENS1_27scan_by_key_config_selectorIifEEZZNS1_16scan_by_key_implILNS1_25lookback_scan_determinismE0ELb1ES3_N6thrust23THRUST_200600_302600_NS6detail15normal_iteratorINS9_10device_ptrIiEEEENSB_INSC_IjEEEESE_fNS9_4plusIvEENS9_8equal_toIvEEfEE10hipError_tPvRmT2_T3_T4_T5_mT6_T7_P12ihipStream_tbENKUlT_T0_E_clISt17integral_constantIbLb0EES11_EEDaSW_SX_EUlSW_E_NS1_11comp_targetILNS1_3genE5ELNS1_11target_archE942ELNS1_3gpuE9ELNS1_3repE0EEENS1_30default_config_static_selectorELNS0_4arch9wavefront6targetE0EEEvT1_.num_vgpr, 0
	.set _ZN7rocprim17ROCPRIM_400000_NS6detail17trampoline_kernelINS0_14default_configENS1_27scan_by_key_config_selectorIifEEZZNS1_16scan_by_key_implILNS1_25lookback_scan_determinismE0ELb1ES3_N6thrust23THRUST_200600_302600_NS6detail15normal_iteratorINS9_10device_ptrIiEEEENSB_INSC_IjEEEESE_fNS9_4plusIvEENS9_8equal_toIvEEfEE10hipError_tPvRmT2_T3_T4_T5_mT6_T7_P12ihipStream_tbENKUlT_T0_E_clISt17integral_constantIbLb0EES11_EEDaSW_SX_EUlSW_E_NS1_11comp_targetILNS1_3genE5ELNS1_11target_archE942ELNS1_3gpuE9ELNS1_3repE0EEENS1_30default_config_static_selectorELNS0_4arch9wavefront6targetE0EEEvT1_.num_agpr, 0
	.set _ZN7rocprim17ROCPRIM_400000_NS6detail17trampoline_kernelINS0_14default_configENS1_27scan_by_key_config_selectorIifEEZZNS1_16scan_by_key_implILNS1_25lookback_scan_determinismE0ELb1ES3_N6thrust23THRUST_200600_302600_NS6detail15normal_iteratorINS9_10device_ptrIiEEEENSB_INSC_IjEEEESE_fNS9_4plusIvEENS9_8equal_toIvEEfEE10hipError_tPvRmT2_T3_T4_T5_mT6_T7_P12ihipStream_tbENKUlT_T0_E_clISt17integral_constantIbLb0EES11_EEDaSW_SX_EUlSW_E_NS1_11comp_targetILNS1_3genE5ELNS1_11target_archE942ELNS1_3gpuE9ELNS1_3repE0EEENS1_30default_config_static_selectorELNS0_4arch9wavefront6targetE0EEEvT1_.numbered_sgpr, 0
	.set _ZN7rocprim17ROCPRIM_400000_NS6detail17trampoline_kernelINS0_14default_configENS1_27scan_by_key_config_selectorIifEEZZNS1_16scan_by_key_implILNS1_25lookback_scan_determinismE0ELb1ES3_N6thrust23THRUST_200600_302600_NS6detail15normal_iteratorINS9_10device_ptrIiEEEENSB_INSC_IjEEEESE_fNS9_4plusIvEENS9_8equal_toIvEEfEE10hipError_tPvRmT2_T3_T4_T5_mT6_T7_P12ihipStream_tbENKUlT_T0_E_clISt17integral_constantIbLb0EES11_EEDaSW_SX_EUlSW_E_NS1_11comp_targetILNS1_3genE5ELNS1_11target_archE942ELNS1_3gpuE9ELNS1_3repE0EEENS1_30default_config_static_selectorELNS0_4arch9wavefront6targetE0EEEvT1_.num_named_barrier, 0
	.set _ZN7rocprim17ROCPRIM_400000_NS6detail17trampoline_kernelINS0_14default_configENS1_27scan_by_key_config_selectorIifEEZZNS1_16scan_by_key_implILNS1_25lookback_scan_determinismE0ELb1ES3_N6thrust23THRUST_200600_302600_NS6detail15normal_iteratorINS9_10device_ptrIiEEEENSB_INSC_IjEEEESE_fNS9_4plusIvEENS9_8equal_toIvEEfEE10hipError_tPvRmT2_T3_T4_T5_mT6_T7_P12ihipStream_tbENKUlT_T0_E_clISt17integral_constantIbLb0EES11_EEDaSW_SX_EUlSW_E_NS1_11comp_targetILNS1_3genE5ELNS1_11target_archE942ELNS1_3gpuE9ELNS1_3repE0EEENS1_30default_config_static_selectorELNS0_4arch9wavefront6targetE0EEEvT1_.private_seg_size, 0
	.set _ZN7rocprim17ROCPRIM_400000_NS6detail17trampoline_kernelINS0_14default_configENS1_27scan_by_key_config_selectorIifEEZZNS1_16scan_by_key_implILNS1_25lookback_scan_determinismE0ELb1ES3_N6thrust23THRUST_200600_302600_NS6detail15normal_iteratorINS9_10device_ptrIiEEEENSB_INSC_IjEEEESE_fNS9_4plusIvEENS9_8equal_toIvEEfEE10hipError_tPvRmT2_T3_T4_T5_mT6_T7_P12ihipStream_tbENKUlT_T0_E_clISt17integral_constantIbLb0EES11_EEDaSW_SX_EUlSW_E_NS1_11comp_targetILNS1_3genE5ELNS1_11target_archE942ELNS1_3gpuE9ELNS1_3repE0EEENS1_30default_config_static_selectorELNS0_4arch9wavefront6targetE0EEEvT1_.uses_vcc, 0
	.set _ZN7rocprim17ROCPRIM_400000_NS6detail17trampoline_kernelINS0_14default_configENS1_27scan_by_key_config_selectorIifEEZZNS1_16scan_by_key_implILNS1_25lookback_scan_determinismE0ELb1ES3_N6thrust23THRUST_200600_302600_NS6detail15normal_iteratorINS9_10device_ptrIiEEEENSB_INSC_IjEEEESE_fNS9_4plusIvEENS9_8equal_toIvEEfEE10hipError_tPvRmT2_T3_T4_T5_mT6_T7_P12ihipStream_tbENKUlT_T0_E_clISt17integral_constantIbLb0EES11_EEDaSW_SX_EUlSW_E_NS1_11comp_targetILNS1_3genE5ELNS1_11target_archE942ELNS1_3gpuE9ELNS1_3repE0EEENS1_30default_config_static_selectorELNS0_4arch9wavefront6targetE0EEEvT1_.uses_flat_scratch, 0
	.set _ZN7rocprim17ROCPRIM_400000_NS6detail17trampoline_kernelINS0_14default_configENS1_27scan_by_key_config_selectorIifEEZZNS1_16scan_by_key_implILNS1_25lookback_scan_determinismE0ELb1ES3_N6thrust23THRUST_200600_302600_NS6detail15normal_iteratorINS9_10device_ptrIiEEEENSB_INSC_IjEEEESE_fNS9_4plusIvEENS9_8equal_toIvEEfEE10hipError_tPvRmT2_T3_T4_T5_mT6_T7_P12ihipStream_tbENKUlT_T0_E_clISt17integral_constantIbLb0EES11_EEDaSW_SX_EUlSW_E_NS1_11comp_targetILNS1_3genE5ELNS1_11target_archE942ELNS1_3gpuE9ELNS1_3repE0EEENS1_30default_config_static_selectorELNS0_4arch9wavefront6targetE0EEEvT1_.has_dyn_sized_stack, 0
	.set _ZN7rocprim17ROCPRIM_400000_NS6detail17trampoline_kernelINS0_14default_configENS1_27scan_by_key_config_selectorIifEEZZNS1_16scan_by_key_implILNS1_25lookback_scan_determinismE0ELb1ES3_N6thrust23THRUST_200600_302600_NS6detail15normal_iteratorINS9_10device_ptrIiEEEENSB_INSC_IjEEEESE_fNS9_4plusIvEENS9_8equal_toIvEEfEE10hipError_tPvRmT2_T3_T4_T5_mT6_T7_P12ihipStream_tbENKUlT_T0_E_clISt17integral_constantIbLb0EES11_EEDaSW_SX_EUlSW_E_NS1_11comp_targetILNS1_3genE5ELNS1_11target_archE942ELNS1_3gpuE9ELNS1_3repE0EEENS1_30default_config_static_selectorELNS0_4arch9wavefront6targetE0EEEvT1_.has_recursion, 0
	.set _ZN7rocprim17ROCPRIM_400000_NS6detail17trampoline_kernelINS0_14default_configENS1_27scan_by_key_config_selectorIifEEZZNS1_16scan_by_key_implILNS1_25lookback_scan_determinismE0ELb1ES3_N6thrust23THRUST_200600_302600_NS6detail15normal_iteratorINS9_10device_ptrIiEEEENSB_INSC_IjEEEESE_fNS9_4plusIvEENS9_8equal_toIvEEfEE10hipError_tPvRmT2_T3_T4_T5_mT6_T7_P12ihipStream_tbENKUlT_T0_E_clISt17integral_constantIbLb0EES11_EEDaSW_SX_EUlSW_E_NS1_11comp_targetILNS1_3genE5ELNS1_11target_archE942ELNS1_3gpuE9ELNS1_3repE0EEENS1_30default_config_static_selectorELNS0_4arch9wavefront6targetE0EEEvT1_.has_indirect_call, 0
	.section	.AMDGPU.csdata,"",@progbits
; Kernel info:
; codeLenInByte = 0
; TotalNumSgprs: 0
; NumVgprs: 0
; ScratchSize: 0
; MemoryBound: 0
; FloatMode: 240
; IeeeMode: 1
; LDSByteSize: 0 bytes/workgroup (compile time only)
; SGPRBlocks: 0
; VGPRBlocks: 0
; NumSGPRsForWavesPerEU: 1
; NumVGPRsForWavesPerEU: 1
; Occupancy: 16
; WaveLimiterHint : 0
; COMPUTE_PGM_RSRC2:SCRATCH_EN: 0
; COMPUTE_PGM_RSRC2:USER_SGPR: 6
; COMPUTE_PGM_RSRC2:TRAP_HANDLER: 0
; COMPUTE_PGM_RSRC2:TGID_X_EN: 1
; COMPUTE_PGM_RSRC2:TGID_Y_EN: 0
; COMPUTE_PGM_RSRC2:TGID_Z_EN: 0
; COMPUTE_PGM_RSRC2:TIDIG_COMP_CNT: 0
	.section	.text._ZN7rocprim17ROCPRIM_400000_NS6detail17trampoline_kernelINS0_14default_configENS1_27scan_by_key_config_selectorIifEEZZNS1_16scan_by_key_implILNS1_25lookback_scan_determinismE0ELb1ES3_N6thrust23THRUST_200600_302600_NS6detail15normal_iteratorINS9_10device_ptrIiEEEENSB_INSC_IjEEEESE_fNS9_4plusIvEENS9_8equal_toIvEEfEE10hipError_tPvRmT2_T3_T4_T5_mT6_T7_P12ihipStream_tbENKUlT_T0_E_clISt17integral_constantIbLb0EES11_EEDaSW_SX_EUlSW_E_NS1_11comp_targetILNS1_3genE4ELNS1_11target_archE910ELNS1_3gpuE8ELNS1_3repE0EEENS1_30default_config_static_selectorELNS0_4arch9wavefront6targetE0EEEvT1_,"axG",@progbits,_ZN7rocprim17ROCPRIM_400000_NS6detail17trampoline_kernelINS0_14default_configENS1_27scan_by_key_config_selectorIifEEZZNS1_16scan_by_key_implILNS1_25lookback_scan_determinismE0ELb1ES3_N6thrust23THRUST_200600_302600_NS6detail15normal_iteratorINS9_10device_ptrIiEEEENSB_INSC_IjEEEESE_fNS9_4plusIvEENS9_8equal_toIvEEfEE10hipError_tPvRmT2_T3_T4_T5_mT6_T7_P12ihipStream_tbENKUlT_T0_E_clISt17integral_constantIbLb0EES11_EEDaSW_SX_EUlSW_E_NS1_11comp_targetILNS1_3genE4ELNS1_11target_archE910ELNS1_3gpuE8ELNS1_3repE0EEENS1_30default_config_static_selectorELNS0_4arch9wavefront6targetE0EEEvT1_,comdat
	.protected	_ZN7rocprim17ROCPRIM_400000_NS6detail17trampoline_kernelINS0_14default_configENS1_27scan_by_key_config_selectorIifEEZZNS1_16scan_by_key_implILNS1_25lookback_scan_determinismE0ELb1ES3_N6thrust23THRUST_200600_302600_NS6detail15normal_iteratorINS9_10device_ptrIiEEEENSB_INSC_IjEEEESE_fNS9_4plusIvEENS9_8equal_toIvEEfEE10hipError_tPvRmT2_T3_T4_T5_mT6_T7_P12ihipStream_tbENKUlT_T0_E_clISt17integral_constantIbLb0EES11_EEDaSW_SX_EUlSW_E_NS1_11comp_targetILNS1_3genE4ELNS1_11target_archE910ELNS1_3gpuE8ELNS1_3repE0EEENS1_30default_config_static_selectorELNS0_4arch9wavefront6targetE0EEEvT1_ ; -- Begin function _ZN7rocprim17ROCPRIM_400000_NS6detail17trampoline_kernelINS0_14default_configENS1_27scan_by_key_config_selectorIifEEZZNS1_16scan_by_key_implILNS1_25lookback_scan_determinismE0ELb1ES3_N6thrust23THRUST_200600_302600_NS6detail15normal_iteratorINS9_10device_ptrIiEEEENSB_INSC_IjEEEESE_fNS9_4plusIvEENS9_8equal_toIvEEfEE10hipError_tPvRmT2_T3_T4_T5_mT6_T7_P12ihipStream_tbENKUlT_T0_E_clISt17integral_constantIbLb0EES11_EEDaSW_SX_EUlSW_E_NS1_11comp_targetILNS1_3genE4ELNS1_11target_archE910ELNS1_3gpuE8ELNS1_3repE0EEENS1_30default_config_static_selectorELNS0_4arch9wavefront6targetE0EEEvT1_
	.globl	_ZN7rocprim17ROCPRIM_400000_NS6detail17trampoline_kernelINS0_14default_configENS1_27scan_by_key_config_selectorIifEEZZNS1_16scan_by_key_implILNS1_25lookback_scan_determinismE0ELb1ES3_N6thrust23THRUST_200600_302600_NS6detail15normal_iteratorINS9_10device_ptrIiEEEENSB_INSC_IjEEEESE_fNS9_4plusIvEENS9_8equal_toIvEEfEE10hipError_tPvRmT2_T3_T4_T5_mT6_T7_P12ihipStream_tbENKUlT_T0_E_clISt17integral_constantIbLb0EES11_EEDaSW_SX_EUlSW_E_NS1_11comp_targetILNS1_3genE4ELNS1_11target_archE910ELNS1_3gpuE8ELNS1_3repE0EEENS1_30default_config_static_selectorELNS0_4arch9wavefront6targetE0EEEvT1_
	.p2align	8
	.type	_ZN7rocprim17ROCPRIM_400000_NS6detail17trampoline_kernelINS0_14default_configENS1_27scan_by_key_config_selectorIifEEZZNS1_16scan_by_key_implILNS1_25lookback_scan_determinismE0ELb1ES3_N6thrust23THRUST_200600_302600_NS6detail15normal_iteratorINS9_10device_ptrIiEEEENSB_INSC_IjEEEESE_fNS9_4plusIvEENS9_8equal_toIvEEfEE10hipError_tPvRmT2_T3_T4_T5_mT6_T7_P12ihipStream_tbENKUlT_T0_E_clISt17integral_constantIbLb0EES11_EEDaSW_SX_EUlSW_E_NS1_11comp_targetILNS1_3genE4ELNS1_11target_archE910ELNS1_3gpuE8ELNS1_3repE0EEENS1_30default_config_static_selectorELNS0_4arch9wavefront6targetE0EEEvT1_,@function
_ZN7rocprim17ROCPRIM_400000_NS6detail17trampoline_kernelINS0_14default_configENS1_27scan_by_key_config_selectorIifEEZZNS1_16scan_by_key_implILNS1_25lookback_scan_determinismE0ELb1ES3_N6thrust23THRUST_200600_302600_NS6detail15normal_iteratorINS9_10device_ptrIiEEEENSB_INSC_IjEEEESE_fNS9_4plusIvEENS9_8equal_toIvEEfEE10hipError_tPvRmT2_T3_T4_T5_mT6_T7_P12ihipStream_tbENKUlT_T0_E_clISt17integral_constantIbLb0EES11_EEDaSW_SX_EUlSW_E_NS1_11comp_targetILNS1_3genE4ELNS1_11target_archE910ELNS1_3gpuE8ELNS1_3repE0EEENS1_30default_config_static_selectorELNS0_4arch9wavefront6targetE0EEEvT1_: ; @_ZN7rocprim17ROCPRIM_400000_NS6detail17trampoline_kernelINS0_14default_configENS1_27scan_by_key_config_selectorIifEEZZNS1_16scan_by_key_implILNS1_25lookback_scan_determinismE0ELb1ES3_N6thrust23THRUST_200600_302600_NS6detail15normal_iteratorINS9_10device_ptrIiEEEENSB_INSC_IjEEEESE_fNS9_4plusIvEENS9_8equal_toIvEEfEE10hipError_tPvRmT2_T3_T4_T5_mT6_T7_P12ihipStream_tbENKUlT_T0_E_clISt17integral_constantIbLb0EES11_EEDaSW_SX_EUlSW_E_NS1_11comp_targetILNS1_3genE4ELNS1_11target_archE910ELNS1_3gpuE8ELNS1_3repE0EEENS1_30default_config_static_selectorELNS0_4arch9wavefront6targetE0EEEvT1_
; %bb.0:
	.section	.rodata,"a",@progbits
	.p2align	6, 0x0
	.amdhsa_kernel _ZN7rocprim17ROCPRIM_400000_NS6detail17trampoline_kernelINS0_14default_configENS1_27scan_by_key_config_selectorIifEEZZNS1_16scan_by_key_implILNS1_25lookback_scan_determinismE0ELb1ES3_N6thrust23THRUST_200600_302600_NS6detail15normal_iteratorINS9_10device_ptrIiEEEENSB_INSC_IjEEEESE_fNS9_4plusIvEENS9_8equal_toIvEEfEE10hipError_tPvRmT2_T3_T4_T5_mT6_T7_P12ihipStream_tbENKUlT_T0_E_clISt17integral_constantIbLb0EES11_EEDaSW_SX_EUlSW_E_NS1_11comp_targetILNS1_3genE4ELNS1_11target_archE910ELNS1_3gpuE8ELNS1_3repE0EEENS1_30default_config_static_selectorELNS0_4arch9wavefront6targetE0EEEvT1_
		.amdhsa_group_segment_fixed_size 0
		.amdhsa_private_segment_fixed_size 0
		.amdhsa_kernarg_size 112
		.amdhsa_user_sgpr_count 6
		.amdhsa_user_sgpr_private_segment_buffer 1
		.amdhsa_user_sgpr_dispatch_ptr 0
		.amdhsa_user_sgpr_queue_ptr 0
		.amdhsa_user_sgpr_kernarg_segment_ptr 1
		.amdhsa_user_sgpr_dispatch_id 0
		.amdhsa_user_sgpr_flat_scratch_init 0
		.amdhsa_user_sgpr_private_segment_size 0
		.amdhsa_wavefront_size32 1
		.amdhsa_uses_dynamic_stack 0
		.amdhsa_system_sgpr_private_segment_wavefront_offset 0
		.amdhsa_system_sgpr_workgroup_id_x 1
		.amdhsa_system_sgpr_workgroup_id_y 0
		.amdhsa_system_sgpr_workgroup_id_z 0
		.amdhsa_system_sgpr_workgroup_info 0
		.amdhsa_system_vgpr_workitem_id 0
		.amdhsa_next_free_vgpr 1
		.amdhsa_next_free_sgpr 1
		.amdhsa_reserve_vcc 0
		.amdhsa_reserve_flat_scratch 0
		.amdhsa_float_round_mode_32 0
		.amdhsa_float_round_mode_16_64 0
		.amdhsa_float_denorm_mode_32 3
		.amdhsa_float_denorm_mode_16_64 3
		.amdhsa_dx10_clamp 1
		.amdhsa_ieee_mode 1
		.amdhsa_fp16_overflow 0
		.amdhsa_workgroup_processor_mode 1
		.amdhsa_memory_ordered 1
		.amdhsa_forward_progress 1
		.amdhsa_shared_vgpr_count 0
		.amdhsa_exception_fp_ieee_invalid_op 0
		.amdhsa_exception_fp_denorm_src 0
		.amdhsa_exception_fp_ieee_div_zero 0
		.amdhsa_exception_fp_ieee_overflow 0
		.amdhsa_exception_fp_ieee_underflow 0
		.amdhsa_exception_fp_ieee_inexact 0
		.amdhsa_exception_int_div_zero 0
	.end_amdhsa_kernel
	.section	.text._ZN7rocprim17ROCPRIM_400000_NS6detail17trampoline_kernelINS0_14default_configENS1_27scan_by_key_config_selectorIifEEZZNS1_16scan_by_key_implILNS1_25lookback_scan_determinismE0ELb1ES3_N6thrust23THRUST_200600_302600_NS6detail15normal_iteratorINS9_10device_ptrIiEEEENSB_INSC_IjEEEESE_fNS9_4plusIvEENS9_8equal_toIvEEfEE10hipError_tPvRmT2_T3_T4_T5_mT6_T7_P12ihipStream_tbENKUlT_T0_E_clISt17integral_constantIbLb0EES11_EEDaSW_SX_EUlSW_E_NS1_11comp_targetILNS1_3genE4ELNS1_11target_archE910ELNS1_3gpuE8ELNS1_3repE0EEENS1_30default_config_static_selectorELNS0_4arch9wavefront6targetE0EEEvT1_,"axG",@progbits,_ZN7rocprim17ROCPRIM_400000_NS6detail17trampoline_kernelINS0_14default_configENS1_27scan_by_key_config_selectorIifEEZZNS1_16scan_by_key_implILNS1_25lookback_scan_determinismE0ELb1ES3_N6thrust23THRUST_200600_302600_NS6detail15normal_iteratorINS9_10device_ptrIiEEEENSB_INSC_IjEEEESE_fNS9_4plusIvEENS9_8equal_toIvEEfEE10hipError_tPvRmT2_T3_T4_T5_mT6_T7_P12ihipStream_tbENKUlT_T0_E_clISt17integral_constantIbLb0EES11_EEDaSW_SX_EUlSW_E_NS1_11comp_targetILNS1_3genE4ELNS1_11target_archE910ELNS1_3gpuE8ELNS1_3repE0EEENS1_30default_config_static_selectorELNS0_4arch9wavefront6targetE0EEEvT1_,comdat
.Lfunc_end1791:
	.size	_ZN7rocprim17ROCPRIM_400000_NS6detail17trampoline_kernelINS0_14default_configENS1_27scan_by_key_config_selectorIifEEZZNS1_16scan_by_key_implILNS1_25lookback_scan_determinismE0ELb1ES3_N6thrust23THRUST_200600_302600_NS6detail15normal_iteratorINS9_10device_ptrIiEEEENSB_INSC_IjEEEESE_fNS9_4plusIvEENS9_8equal_toIvEEfEE10hipError_tPvRmT2_T3_T4_T5_mT6_T7_P12ihipStream_tbENKUlT_T0_E_clISt17integral_constantIbLb0EES11_EEDaSW_SX_EUlSW_E_NS1_11comp_targetILNS1_3genE4ELNS1_11target_archE910ELNS1_3gpuE8ELNS1_3repE0EEENS1_30default_config_static_selectorELNS0_4arch9wavefront6targetE0EEEvT1_, .Lfunc_end1791-_ZN7rocprim17ROCPRIM_400000_NS6detail17trampoline_kernelINS0_14default_configENS1_27scan_by_key_config_selectorIifEEZZNS1_16scan_by_key_implILNS1_25lookback_scan_determinismE0ELb1ES3_N6thrust23THRUST_200600_302600_NS6detail15normal_iteratorINS9_10device_ptrIiEEEENSB_INSC_IjEEEESE_fNS9_4plusIvEENS9_8equal_toIvEEfEE10hipError_tPvRmT2_T3_T4_T5_mT6_T7_P12ihipStream_tbENKUlT_T0_E_clISt17integral_constantIbLb0EES11_EEDaSW_SX_EUlSW_E_NS1_11comp_targetILNS1_3genE4ELNS1_11target_archE910ELNS1_3gpuE8ELNS1_3repE0EEENS1_30default_config_static_selectorELNS0_4arch9wavefront6targetE0EEEvT1_
                                        ; -- End function
	.set _ZN7rocprim17ROCPRIM_400000_NS6detail17trampoline_kernelINS0_14default_configENS1_27scan_by_key_config_selectorIifEEZZNS1_16scan_by_key_implILNS1_25lookback_scan_determinismE0ELb1ES3_N6thrust23THRUST_200600_302600_NS6detail15normal_iteratorINS9_10device_ptrIiEEEENSB_INSC_IjEEEESE_fNS9_4plusIvEENS9_8equal_toIvEEfEE10hipError_tPvRmT2_T3_T4_T5_mT6_T7_P12ihipStream_tbENKUlT_T0_E_clISt17integral_constantIbLb0EES11_EEDaSW_SX_EUlSW_E_NS1_11comp_targetILNS1_3genE4ELNS1_11target_archE910ELNS1_3gpuE8ELNS1_3repE0EEENS1_30default_config_static_selectorELNS0_4arch9wavefront6targetE0EEEvT1_.num_vgpr, 0
	.set _ZN7rocprim17ROCPRIM_400000_NS6detail17trampoline_kernelINS0_14default_configENS1_27scan_by_key_config_selectorIifEEZZNS1_16scan_by_key_implILNS1_25lookback_scan_determinismE0ELb1ES3_N6thrust23THRUST_200600_302600_NS6detail15normal_iteratorINS9_10device_ptrIiEEEENSB_INSC_IjEEEESE_fNS9_4plusIvEENS9_8equal_toIvEEfEE10hipError_tPvRmT2_T3_T4_T5_mT6_T7_P12ihipStream_tbENKUlT_T0_E_clISt17integral_constantIbLb0EES11_EEDaSW_SX_EUlSW_E_NS1_11comp_targetILNS1_3genE4ELNS1_11target_archE910ELNS1_3gpuE8ELNS1_3repE0EEENS1_30default_config_static_selectorELNS0_4arch9wavefront6targetE0EEEvT1_.num_agpr, 0
	.set _ZN7rocprim17ROCPRIM_400000_NS6detail17trampoline_kernelINS0_14default_configENS1_27scan_by_key_config_selectorIifEEZZNS1_16scan_by_key_implILNS1_25lookback_scan_determinismE0ELb1ES3_N6thrust23THRUST_200600_302600_NS6detail15normal_iteratorINS9_10device_ptrIiEEEENSB_INSC_IjEEEESE_fNS9_4plusIvEENS9_8equal_toIvEEfEE10hipError_tPvRmT2_T3_T4_T5_mT6_T7_P12ihipStream_tbENKUlT_T0_E_clISt17integral_constantIbLb0EES11_EEDaSW_SX_EUlSW_E_NS1_11comp_targetILNS1_3genE4ELNS1_11target_archE910ELNS1_3gpuE8ELNS1_3repE0EEENS1_30default_config_static_selectorELNS0_4arch9wavefront6targetE0EEEvT1_.numbered_sgpr, 0
	.set _ZN7rocprim17ROCPRIM_400000_NS6detail17trampoline_kernelINS0_14default_configENS1_27scan_by_key_config_selectorIifEEZZNS1_16scan_by_key_implILNS1_25lookback_scan_determinismE0ELb1ES3_N6thrust23THRUST_200600_302600_NS6detail15normal_iteratorINS9_10device_ptrIiEEEENSB_INSC_IjEEEESE_fNS9_4plusIvEENS9_8equal_toIvEEfEE10hipError_tPvRmT2_T3_T4_T5_mT6_T7_P12ihipStream_tbENKUlT_T0_E_clISt17integral_constantIbLb0EES11_EEDaSW_SX_EUlSW_E_NS1_11comp_targetILNS1_3genE4ELNS1_11target_archE910ELNS1_3gpuE8ELNS1_3repE0EEENS1_30default_config_static_selectorELNS0_4arch9wavefront6targetE0EEEvT1_.num_named_barrier, 0
	.set _ZN7rocprim17ROCPRIM_400000_NS6detail17trampoline_kernelINS0_14default_configENS1_27scan_by_key_config_selectorIifEEZZNS1_16scan_by_key_implILNS1_25lookback_scan_determinismE0ELb1ES3_N6thrust23THRUST_200600_302600_NS6detail15normal_iteratorINS9_10device_ptrIiEEEENSB_INSC_IjEEEESE_fNS9_4plusIvEENS9_8equal_toIvEEfEE10hipError_tPvRmT2_T3_T4_T5_mT6_T7_P12ihipStream_tbENKUlT_T0_E_clISt17integral_constantIbLb0EES11_EEDaSW_SX_EUlSW_E_NS1_11comp_targetILNS1_3genE4ELNS1_11target_archE910ELNS1_3gpuE8ELNS1_3repE0EEENS1_30default_config_static_selectorELNS0_4arch9wavefront6targetE0EEEvT1_.private_seg_size, 0
	.set _ZN7rocprim17ROCPRIM_400000_NS6detail17trampoline_kernelINS0_14default_configENS1_27scan_by_key_config_selectorIifEEZZNS1_16scan_by_key_implILNS1_25lookback_scan_determinismE0ELb1ES3_N6thrust23THRUST_200600_302600_NS6detail15normal_iteratorINS9_10device_ptrIiEEEENSB_INSC_IjEEEESE_fNS9_4plusIvEENS9_8equal_toIvEEfEE10hipError_tPvRmT2_T3_T4_T5_mT6_T7_P12ihipStream_tbENKUlT_T0_E_clISt17integral_constantIbLb0EES11_EEDaSW_SX_EUlSW_E_NS1_11comp_targetILNS1_3genE4ELNS1_11target_archE910ELNS1_3gpuE8ELNS1_3repE0EEENS1_30default_config_static_selectorELNS0_4arch9wavefront6targetE0EEEvT1_.uses_vcc, 0
	.set _ZN7rocprim17ROCPRIM_400000_NS6detail17trampoline_kernelINS0_14default_configENS1_27scan_by_key_config_selectorIifEEZZNS1_16scan_by_key_implILNS1_25lookback_scan_determinismE0ELb1ES3_N6thrust23THRUST_200600_302600_NS6detail15normal_iteratorINS9_10device_ptrIiEEEENSB_INSC_IjEEEESE_fNS9_4plusIvEENS9_8equal_toIvEEfEE10hipError_tPvRmT2_T3_T4_T5_mT6_T7_P12ihipStream_tbENKUlT_T0_E_clISt17integral_constantIbLb0EES11_EEDaSW_SX_EUlSW_E_NS1_11comp_targetILNS1_3genE4ELNS1_11target_archE910ELNS1_3gpuE8ELNS1_3repE0EEENS1_30default_config_static_selectorELNS0_4arch9wavefront6targetE0EEEvT1_.uses_flat_scratch, 0
	.set _ZN7rocprim17ROCPRIM_400000_NS6detail17trampoline_kernelINS0_14default_configENS1_27scan_by_key_config_selectorIifEEZZNS1_16scan_by_key_implILNS1_25lookback_scan_determinismE0ELb1ES3_N6thrust23THRUST_200600_302600_NS6detail15normal_iteratorINS9_10device_ptrIiEEEENSB_INSC_IjEEEESE_fNS9_4plusIvEENS9_8equal_toIvEEfEE10hipError_tPvRmT2_T3_T4_T5_mT6_T7_P12ihipStream_tbENKUlT_T0_E_clISt17integral_constantIbLb0EES11_EEDaSW_SX_EUlSW_E_NS1_11comp_targetILNS1_3genE4ELNS1_11target_archE910ELNS1_3gpuE8ELNS1_3repE0EEENS1_30default_config_static_selectorELNS0_4arch9wavefront6targetE0EEEvT1_.has_dyn_sized_stack, 0
	.set _ZN7rocprim17ROCPRIM_400000_NS6detail17trampoline_kernelINS0_14default_configENS1_27scan_by_key_config_selectorIifEEZZNS1_16scan_by_key_implILNS1_25lookback_scan_determinismE0ELb1ES3_N6thrust23THRUST_200600_302600_NS6detail15normal_iteratorINS9_10device_ptrIiEEEENSB_INSC_IjEEEESE_fNS9_4plusIvEENS9_8equal_toIvEEfEE10hipError_tPvRmT2_T3_T4_T5_mT6_T7_P12ihipStream_tbENKUlT_T0_E_clISt17integral_constantIbLb0EES11_EEDaSW_SX_EUlSW_E_NS1_11comp_targetILNS1_3genE4ELNS1_11target_archE910ELNS1_3gpuE8ELNS1_3repE0EEENS1_30default_config_static_selectorELNS0_4arch9wavefront6targetE0EEEvT1_.has_recursion, 0
	.set _ZN7rocprim17ROCPRIM_400000_NS6detail17trampoline_kernelINS0_14default_configENS1_27scan_by_key_config_selectorIifEEZZNS1_16scan_by_key_implILNS1_25lookback_scan_determinismE0ELb1ES3_N6thrust23THRUST_200600_302600_NS6detail15normal_iteratorINS9_10device_ptrIiEEEENSB_INSC_IjEEEESE_fNS9_4plusIvEENS9_8equal_toIvEEfEE10hipError_tPvRmT2_T3_T4_T5_mT6_T7_P12ihipStream_tbENKUlT_T0_E_clISt17integral_constantIbLb0EES11_EEDaSW_SX_EUlSW_E_NS1_11comp_targetILNS1_3genE4ELNS1_11target_archE910ELNS1_3gpuE8ELNS1_3repE0EEENS1_30default_config_static_selectorELNS0_4arch9wavefront6targetE0EEEvT1_.has_indirect_call, 0
	.section	.AMDGPU.csdata,"",@progbits
; Kernel info:
; codeLenInByte = 0
; TotalNumSgprs: 0
; NumVgprs: 0
; ScratchSize: 0
; MemoryBound: 0
; FloatMode: 240
; IeeeMode: 1
; LDSByteSize: 0 bytes/workgroup (compile time only)
; SGPRBlocks: 0
; VGPRBlocks: 0
; NumSGPRsForWavesPerEU: 1
; NumVGPRsForWavesPerEU: 1
; Occupancy: 16
; WaveLimiterHint : 0
; COMPUTE_PGM_RSRC2:SCRATCH_EN: 0
; COMPUTE_PGM_RSRC2:USER_SGPR: 6
; COMPUTE_PGM_RSRC2:TRAP_HANDLER: 0
; COMPUTE_PGM_RSRC2:TGID_X_EN: 1
; COMPUTE_PGM_RSRC2:TGID_Y_EN: 0
; COMPUTE_PGM_RSRC2:TGID_Z_EN: 0
; COMPUTE_PGM_RSRC2:TIDIG_COMP_CNT: 0
	.section	.text._ZN7rocprim17ROCPRIM_400000_NS6detail17trampoline_kernelINS0_14default_configENS1_27scan_by_key_config_selectorIifEEZZNS1_16scan_by_key_implILNS1_25lookback_scan_determinismE0ELb1ES3_N6thrust23THRUST_200600_302600_NS6detail15normal_iteratorINS9_10device_ptrIiEEEENSB_INSC_IjEEEESE_fNS9_4plusIvEENS9_8equal_toIvEEfEE10hipError_tPvRmT2_T3_T4_T5_mT6_T7_P12ihipStream_tbENKUlT_T0_E_clISt17integral_constantIbLb0EES11_EEDaSW_SX_EUlSW_E_NS1_11comp_targetILNS1_3genE3ELNS1_11target_archE908ELNS1_3gpuE7ELNS1_3repE0EEENS1_30default_config_static_selectorELNS0_4arch9wavefront6targetE0EEEvT1_,"axG",@progbits,_ZN7rocprim17ROCPRIM_400000_NS6detail17trampoline_kernelINS0_14default_configENS1_27scan_by_key_config_selectorIifEEZZNS1_16scan_by_key_implILNS1_25lookback_scan_determinismE0ELb1ES3_N6thrust23THRUST_200600_302600_NS6detail15normal_iteratorINS9_10device_ptrIiEEEENSB_INSC_IjEEEESE_fNS9_4plusIvEENS9_8equal_toIvEEfEE10hipError_tPvRmT2_T3_T4_T5_mT6_T7_P12ihipStream_tbENKUlT_T0_E_clISt17integral_constantIbLb0EES11_EEDaSW_SX_EUlSW_E_NS1_11comp_targetILNS1_3genE3ELNS1_11target_archE908ELNS1_3gpuE7ELNS1_3repE0EEENS1_30default_config_static_selectorELNS0_4arch9wavefront6targetE0EEEvT1_,comdat
	.protected	_ZN7rocprim17ROCPRIM_400000_NS6detail17trampoline_kernelINS0_14default_configENS1_27scan_by_key_config_selectorIifEEZZNS1_16scan_by_key_implILNS1_25lookback_scan_determinismE0ELb1ES3_N6thrust23THRUST_200600_302600_NS6detail15normal_iteratorINS9_10device_ptrIiEEEENSB_INSC_IjEEEESE_fNS9_4plusIvEENS9_8equal_toIvEEfEE10hipError_tPvRmT2_T3_T4_T5_mT6_T7_P12ihipStream_tbENKUlT_T0_E_clISt17integral_constantIbLb0EES11_EEDaSW_SX_EUlSW_E_NS1_11comp_targetILNS1_3genE3ELNS1_11target_archE908ELNS1_3gpuE7ELNS1_3repE0EEENS1_30default_config_static_selectorELNS0_4arch9wavefront6targetE0EEEvT1_ ; -- Begin function _ZN7rocprim17ROCPRIM_400000_NS6detail17trampoline_kernelINS0_14default_configENS1_27scan_by_key_config_selectorIifEEZZNS1_16scan_by_key_implILNS1_25lookback_scan_determinismE0ELb1ES3_N6thrust23THRUST_200600_302600_NS6detail15normal_iteratorINS9_10device_ptrIiEEEENSB_INSC_IjEEEESE_fNS9_4plusIvEENS9_8equal_toIvEEfEE10hipError_tPvRmT2_T3_T4_T5_mT6_T7_P12ihipStream_tbENKUlT_T0_E_clISt17integral_constantIbLb0EES11_EEDaSW_SX_EUlSW_E_NS1_11comp_targetILNS1_3genE3ELNS1_11target_archE908ELNS1_3gpuE7ELNS1_3repE0EEENS1_30default_config_static_selectorELNS0_4arch9wavefront6targetE0EEEvT1_
	.globl	_ZN7rocprim17ROCPRIM_400000_NS6detail17trampoline_kernelINS0_14default_configENS1_27scan_by_key_config_selectorIifEEZZNS1_16scan_by_key_implILNS1_25lookback_scan_determinismE0ELb1ES3_N6thrust23THRUST_200600_302600_NS6detail15normal_iteratorINS9_10device_ptrIiEEEENSB_INSC_IjEEEESE_fNS9_4plusIvEENS9_8equal_toIvEEfEE10hipError_tPvRmT2_T3_T4_T5_mT6_T7_P12ihipStream_tbENKUlT_T0_E_clISt17integral_constantIbLb0EES11_EEDaSW_SX_EUlSW_E_NS1_11comp_targetILNS1_3genE3ELNS1_11target_archE908ELNS1_3gpuE7ELNS1_3repE0EEENS1_30default_config_static_selectorELNS0_4arch9wavefront6targetE0EEEvT1_
	.p2align	8
	.type	_ZN7rocprim17ROCPRIM_400000_NS6detail17trampoline_kernelINS0_14default_configENS1_27scan_by_key_config_selectorIifEEZZNS1_16scan_by_key_implILNS1_25lookback_scan_determinismE0ELb1ES3_N6thrust23THRUST_200600_302600_NS6detail15normal_iteratorINS9_10device_ptrIiEEEENSB_INSC_IjEEEESE_fNS9_4plusIvEENS9_8equal_toIvEEfEE10hipError_tPvRmT2_T3_T4_T5_mT6_T7_P12ihipStream_tbENKUlT_T0_E_clISt17integral_constantIbLb0EES11_EEDaSW_SX_EUlSW_E_NS1_11comp_targetILNS1_3genE3ELNS1_11target_archE908ELNS1_3gpuE7ELNS1_3repE0EEENS1_30default_config_static_selectorELNS0_4arch9wavefront6targetE0EEEvT1_,@function
_ZN7rocprim17ROCPRIM_400000_NS6detail17trampoline_kernelINS0_14default_configENS1_27scan_by_key_config_selectorIifEEZZNS1_16scan_by_key_implILNS1_25lookback_scan_determinismE0ELb1ES3_N6thrust23THRUST_200600_302600_NS6detail15normal_iteratorINS9_10device_ptrIiEEEENSB_INSC_IjEEEESE_fNS9_4plusIvEENS9_8equal_toIvEEfEE10hipError_tPvRmT2_T3_T4_T5_mT6_T7_P12ihipStream_tbENKUlT_T0_E_clISt17integral_constantIbLb0EES11_EEDaSW_SX_EUlSW_E_NS1_11comp_targetILNS1_3genE3ELNS1_11target_archE908ELNS1_3gpuE7ELNS1_3repE0EEENS1_30default_config_static_selectorELNS0_4arch9wavefront6targetE0EEEvT1_: ; @_ZN7rocprim17ROCPRIM_400000_NS6detail17trampoline_kernelINS0_14default_configENS1_27scan_by_key_config_selectorIifEEZZNS1_16scan_by_key_implILNS1_25lookback_scan_determinismE0ELb1ES3_N6thrust23THRUST_200600_302600_NS6detail15normal_iteratorINS9_10device_ptrIiEEEENSB_INSC_IjEEEESE_fNS9_4plusIvEENS9_8equal_toIvEEfEE10hipError_tPvRmT2_T3_T4_T5_mT6_T7_P12ihipStream_tbENKUlT_T0_E_clISt17integral_constantIbLb0EES11_EEDaSW_SX_EUlSW_E_NS1_11comp_targetILNS1_3genE3ELNS1_11target_archE908ELNS1_3gpuE7ELNS1_3repE0EEENS1_30default_config_static_selectorELNS0_4arch9wavefront6targetE0EEEvT1_
; %bb.0:
	.section	.rodata,"a",@progbits
	.p2align	6, 0x0
	.amdhsa_kernel _ZN7rocprim17ROCPRIM_400000_NS6detail17trampoline_kernelINS0_14default_configENS1_27scan_by_key_config_selectorIifEEZZNS1_16scan_by_key_implILNS1_25lookback_scan_determinismE0ELb1ES3_N6thrust23THRUST_200600_302600_NS6detail15normal_iteratorINS9_10device_ptrIiEEEENSB_INSC_IjEEEESE_fNS9_4plusIvEENS9_8equal_toIvEEfEE10hipError_tPvRmT2_T3_T4_T5_mT6_T7_P12ihipStream_tbENKUlT_T0_E_clISt17integral_constantIbLb0EES11_EEDaSW_SX_EUlSW_E_NS1_11comp_targetILNS1_3genE3ELNS1_11target_archE908ELNS1_3gpuE7ELNS1_3repE0EEENS1_30default_config_static_selectorELNS0_4arch9wavefront6targetE0EEEvT1_
		.amdhsa_group_segment_fixed_size 0
		.amdhsa_private_segment_fixed_size 0
		.amdhsa_kernarg_size 112
		.amdhsa_user_sgpr_count 6
		.amdhsa_user_sgpr_private_segment_buffer 1
		.amdhsa_user_sgpr_dispatch_ptr 0
		.amdhsa_user_sgpr_queue_ptr 0
		.amdhsa_user_sgpr_kernarg_segment_ptr 1
		.amdhsa_user_sgpr_dispatch_id 0
		.amdhsa_user_sgpr_flat_scratch_init 0
		.amdhsa_user_sgpr_private_segment_size 0
		.amdhsa_wavefront_size32 1
		.amdhsa_uses_dynamic_stack 0
		.amdhsa_system_sgpr_private_segment_wavefront_offset 0
		.amdhsa_system_sgpr_workgroup_id_x 1
		.amdhsa_system_sgpr_workgroup_id_y 0
		.amdhsa_system_sgpr_workgroup_id_z 0
		.amdhsa_system_sgpr_workgroup_info 0
		.amdhsa_system_vgpr_workitem_id 0
		.amdhsa_next_free_vgpr 1
		.amdhsa_next_free_sgpr 1
		.amdhsa_reserve_vcc 0
		.amdhsa_reserve_flat_scratch 0
		.amdhsa_float_round_mode_32 0
		.amdhsa_float_round_mode_16_64 0
		.amdhsa_float_denorm_mode_32 3
		.amdhsa_float_denorm_mode_16_64 3
		.amdhsa_dx10_clamp 1
		.amdhsa_ieee_mode 1
		.amdhsa_fp16_overflow 0
		.amdhsa_workgroup_processor_mode 1
		.amdhsa_memory_ordered 1
		.amdhsa_forward_progress 1
		.amdhsa_shared_vgpr_count 0
		.amdhsa_exception_fp_ieee_invalid_op 0
		.amdhsa_exception_fp_denorm_src 0
		.amdhsa_exception_fp_ieee_div_zero 0
		.amdhsa_exception_fp_ieee_overflow 0
		.amdhsa_exception_fp_ieee_underflow 0
		.amdhsa_exception_fp_ieee_inexact 0
		.amdhsa_exception_int_div_zero 0
	.end_amdhsa_kernel
	.section	.text._ZN7rocprim17ROCPRIM_400000_NS6detail17trampoline_kernelINS0_14default_configENS1_27scan_by_key_config_selectorIifEEZZNS1_16scan_by_key_implILNS1_25lookback_scan_determinismE0ELb1ES3_N6thrust23THRUST_200600_302600_NS6detail15normal_iteratorINS9_10device_ptrIiEEEENSB_INSC_IjEEEESE_fNS9_4plusIvEENS9_8equal_toIvEEfEE10hipError_tPvRmT2_T3_T4_T5_mT6_T7_P12ihipStream_tbENKUlT_T0_E_clISt17integral_constantIbLb0EES11_EEDaSW_SX_EUlSW_E_NS1_11comp_targetILNS1_3genE3ELNS1_11target_archE908ELNS1_3gpuE7ELNS1_3repE0EEENS1_30default_config_static_selectorELNS0_4arch9wavefront6targetE0EEEvT1_,"axG",@progbits,_ZN7rocprim17ROCPRIM_400000_NS6detail17trampoline_kernelINS0_14default_configENS1_27scan_by_key_config_selectorIifEEZZNS1_16scan_by_key_implILNS1_25lookback_scan_determinismE0ELb1ES3_N6thrust23THRUST_200600_302600_NS6detail15normal_iteratorINS9_10device_ptrIiEEEENSB_INSC_IjEEEESE_fNS9_4plusIvEENS9_8equal_toIvEEfEE10hipError_tPvRmT2_T3_T4_T5_mT6_T7_P12ihipStream_tbENKUlT_T0_E_clISt17integral_constantIbLb0EES11_EEDaSW_SX_EUlSW_E_NS1_11comp_targetILNS1_3genE3ELNS1_11target_archE908ELNS1_3gpuE7ELNS1_3repE0EEENS1_30default_config_static_selectorELNS0_4arch9wavefront6targetE0EEEvT1_,comdat
.Lfunc_end1792:
	.size	_ZN7rocprim17ROCPRIM_400000_NS6detail17trampoline_kernelINS0_14default_configENS1_27scan_by_key_config_selectorIifEEZZNS1_16scan_by_key_implILNS1_25lookback_scan_determinismE0ELb1ES3_N6thrust23THRUST_200600_302600_NS6detail15normal_iteratorINS9_10device_ptrIiEEEENSB_INSC_IjEEEESE_fNS9_4plusIvEENS9_8equal_toIvEEfEE10hipError_tPvRmT2_T3_T4_T5_mT6_T7_P12ihipStream_tbENKUlT_T0_E_clISt17integral_constantIbLb0EES11_EEDaSW_SX_EUlSW_E_NS1_11comp_targetILNS1_3genE3ELNS1_11target_archE908ELNS1_3gpuE7ELNS1_3repE0EEENS1_30default_config_static_selectorELNS0_4arch9wavefront6targetE0EEEvT1_, .Lfunc_end1792-_ZN7rocprim17ROCPRIM_400000_NS6detail17trampoline_kernelINS0_14default_configENS1_27scan_by_key_config_selectorIifEEZZNS1_16scan_by_key_implILNS1_25lookback_scan_determinismE0ELb1ES3_N6thrust23THRUST_200600_302600_NS6detail15normal_iteratorINS9_10device_ptrIiEEEENSB_INSC_IjEEEESE_fNS9_4plusIvEENS9_8equal_toIvEEfEE10hipError_tPvRmT2_T3_T4_T5_mT6_T7_P12ihipStream_tbENKUlT_T0_E_clISt17integral_constantIbLb0EES11_EEDaSW_SX_EUlSW_E_NS1_11comp_targetILNS1_3genE3ELNS1_11target_archE908ELNS1_3gpuE7ELNS1_3repE0EEENS1_30default_config_static_selectorELNS0_4arch9wavefront6targetE0EEEvT1_
                                        ; -- End function
	.set _ZN7rocprim17ROCPRIM_400000_NS6detail17trampoline_kernelINS0_14default_configENS1_27scan_by_key_config_selectorIifEEZZNS1_16scan_by_key_implILNS1_25lookback_scan_determinismE0ELb1ES3_N6thrust23THRUST_200600_302600_NS6detail15normal_iteratorINS9_10device_ptrIiEEEENSB_INSC_IjEEEESE_fNS9_4plusIvEENS9_8equal_toIvEEfEE10hipError_tPvRmT2_T3_T4_T5_mT6_T7_P12ihipStream_tbENKUlT_T0_E_clISt17integral_constantIbLb0EES11_EEDaSW_SX_EUlSW_E_NS1_11comp_targetILNS1_3genE3ELNS1_11target_archE908ELNS1_3gpuE7ELNS1_3repE0EEENS1_30default_config_static_selectorELNS0_4arch9wavefront6targetE0EEEvT1_.num_vgpr, 0
	.set _ZN7rocprim17ROCPRIM_400000_NS6detail17trampoline_kernelINS0_14default_configENS1_27scan_by_key_config_selectorIifEEZZNS1_16scan_by_key_implILNS1_25lookback_scan_determinismE0ELb1ES3_N6thrust23THRUST_200600_302600_NS6detail15normal_iteratorINS9_10device_ptrIiEEEENSB_INSC_IjEEEESE_fNS9_4plusIvEENS9_8equal_toIvEEfEE10hipError_tPvRmT2_T3_T4_T5_mT6_T7_P12ihipStream_tbENKUlT_T0_E_clISt17integral_constantIbLb0EES11_EEDaSW_SX_EUlSW_E_NS1_11comp_targetILNS1_3genE3ELNS1_11target_archE908ELNS1_3gpuE7ELNS1_3repE0EEENS1_30default_config_static_selectorELNS0_4arch9wavefront6targetE0EEEvT1_.num_agpr, 0
	.set _ZN7rocprim17ROCPRIM_400000_NS6detail17trampoline_kernelINS0_14default_configENS1_27scan_by_key_config_selectorIifEEZZNS1_16scan_by_key_implILNS1_25lookback_scan_determinismE0ELb1ES3_N6thrust23THRUST_200600_302600_NS6detail15normal_iteratorINS9_10device_ptrIiEEEENSB_INSC_IjEEEESE_fNS9_4plusIvEENS9_8equal_toIvEEfEE10hipError_tPvRmT2_T3_T4_T5_mT6_T7_P12ihipStream_tbENKUlT_T0_E_clISt17integral_constantIbLb0EES11_EEDaSW_SX_EUlSW_E_NS1_11comp_targetILNS1_3genE3ELNS1_11target_archE908ELNS1_3gpuE7ELNS1_3repE0EEENS1_30default_config_static_selectorELNS0_4arch9wavefront6targetE0EEEvT1_.numbered_sgpr, 0
	.set _ZN7rocprim17ROCPRIM_400000_NS6detail17trampoline_kernelINS0_14default_configENS1_27scan_by_key_config_selectorIifEEZZNS1_16scan_by_key_implILNS1_25lookback_scan_determinismE0ELb1ES3_N6thrust23THRUST_200600_302600_NS6detail15normal_iteratorINS9_10device_ptrIiEEEENSB_INSC_IjEEEESE_fNS9_4plusIvEENS9_8equal_toIvEEfEE10hipError_tPvRmT2_T3_T4_T5_mT6_T7_P12ihipStream_tbENKUlT_T0_E_clISt17integral_constantIbLb0EES11_EEDaSW_SX_EUlSW_E_NS1_11comp_targetILNS1_3genE3ELNS1_11target_archE908ELNS1_3gpuE7ELNS1_3repE0EEENS1_30default_config_static_selectorELNS0_4arch9wavefront6targetE0EEEvT1_.num_named_barrier, 0
	.set _ZN7rocprim17ROCPRIM_400000_NS6detail17trampoline_kernelINS0_14default_configENS1_27scan_by_key_config_selectorIifEEZZNS1_16scan_by_key_implILNS1_25lookback_scan_determinismE0ELb1ES3_N6thrust23THRUST_200600_302600_NS6detail15normal_iteratorINS9_10device_ptrIiEEEENSB_INSC_IjEEEESE_fNS9_4plusIvEENS9_8equal_toIvEEfEE10hipError_tPvRmT2_T3_T4_T5_mT6_T7_P12ihipStream_tbENKUlT_T0_E_clISt17integral_constantIbLb0EES11_EEDaSW_SX_EUlSW_E_NS1_11comp_targetILNS1_3genE3ELNS1_11target_archE908ELNS1_3gpuE7ELNS1_3repE0EEENS1_30default_config_static_selectorELNS0_4arch9wavefront6targetE0EEEvT1_.private_seg_size, 0
	.set _ZN7rocprim17ROCPRIM_400000_NS6detail17trampoline_kernelINS0_14default_configENS1_27scan_by_key_config_selectorIifEEZZNS1_16scan_by_key_implILNS1_25lookback_scan_determinismE0ELb1ES3_N6thrust23THRUST_200600_302600_NS6detail15normal_iteratorINS9_10device_ptrIiEEEENSB_INSC_IjEEEESE_fNS9_4plusIvEENS9_8equal_toIvEEfEE10hipError_tPvRmT2_T3_T4_T5_mT6_T7_P12ihipStream_tbENKUlT_T0_E_clISt17integral_constantIbLb0EES11_EEDaSW_SX_EUlSW_E_NS1_11comp_targetILNS1_3genE3ELNS1_11target_archE908ELNS1_3gpuE7ELNS1_3repE0EEENS1_30default_config_static_selectorELNS0_4arch9wavefront6targetE0EEEvT1_.uses_vcc, 0
	.set _ZN7rocprim17ROCPRIM_400000_NS6detail17trampoline_kernelINS0_14default_configENS1_27scan_by_key_config_selectorIifEEZZNS1_16scan_by_key_implILNS1_25lookback_scan_determinismE0ELb1ES3_N6thrust23THRUST_200600_302600_NS6detail15normal_iteratorINS9_10device_ptrIiEEEENSB_INSC_IjEEEESE_fNS9_4plusIvEENS9_8equal_toIvEEfEE10hipError_tPvRmT2_T3_T4_T5_mT6_T7_P12ihipStream_tbENKUlT_T0_E_clISt17integral_constantIbLb0EES11_EEDaSW_SX_EUlSW_E_NS1_11comp_targetILNS1_3genE3ELNS1_11target_archE908ELNS1_3gpuE7ELNS1_3repE0EEENS1_30default_config_static_selectorELNS0_4arch9wavefront6targetE0EEEvT1_.uses_flat_scratch, 0
	.set _ZN7rocprim17ROCPRIM_400000_NS6detail17trampoline_kernelINS0_14default_configENS1_27scan_by_key_config_selectorIifEEZZNS1_16scan_by_key_implILNS1_25lookback_scan_determinismE0ELb1ES3_N6thrust23THRUST_200600_302600_NS6detail15normal_iteratorINS9_10device_ptrIiEEEENSB_INSC_IjEEEESE_fNS9_4plusIvEENS9_8equal_toIvEEfEE10hipError_tPvRmT2_T3_T4_T5_mT6_T7_P12ihipStream_tbENKUlT_T0_E_clISt17integral_constantIbLb0EES11_EEDaSW_SX_EUlSW_E_NS1_11comp_targetILNS1_3genE3ELNS1_11target_archE908ELNS1_3gpuE7ELNS1_3repE0EEENS1_30default_config_static_selectorELNS0_4arch9wavefront6targetE0EEEvT1_.has_dyn_sized_stack, 0
	.set _ZN7rocprim17ROCPRIM_400000_NS6detail17trampoline_kernelINS0_14default_configENS1_27scan_by_key_config_selectorIifEEZZNS1_16scan_by_key_implILNS1_25lookback_scan_determinismE0ELb1ES3_N6thrust23THRUST_200600_302600_NS6detail15normal_iteratorINS9_10device_ptrIiEEEENSB_INSC_IjEEEESE_fNS9_4plusIvEENS9_8equal_toIvEEfEE10hipError_tPvRmT2_T3_T4_T5_mT6_T7_P12ihipStream_tbENKUlT_T0_E_clISt17integral_constantIbLb0EES11_EEDaSW_SX_EUlSW_E_NS1_11comp_targetILNS1_3genE3ELNS1_11target_archE908ELNS1_3gpuE7ELNS1_3repE0EEENS1_30default_config_static_selectorELNS0_4arch9wavefront6targetE0EEEvT1_.has_recursion, 0
	.set _ZN7rocprim17ROCPRIM_400000_NS6detail17trampoline_kernelINS0_14default_configENS1_27scan_by_key_config_selectorIifEEZZNS1_16scan_by_key_implILNS1_25lookback_scan_determinismE0ELb1ES3_N6thrust23THRUST_200600_302600_NS6detail15normal_iteratorINS9_10device_ptrIiEEEENSB_INSC_IjEEEESE_fNS9_4plusIvEENS9_8equal_toIvEEfEE10hipError_tPvRmT2_T3_T4_T5_mT6_T7_P12ihipStream_tbENKUlT_T0_E_clISt17integral_constantIbLb0EES11_EEDaSW_SX_EUlSW_E_NS1_11comp_targetILNS1_3genE3ELNS1_11target_archE908ELNS1_3gpuE7ELNS1_3repE0EEENS1_30default_config_static_selectorELNS0_4arch9wavefront6targetE0EEEvT1_.has_indirect_call, 0
	.section	.AMDGPU.csdata,"",@progbits
; Kernel info:
; codeLenInByte = 0
; TotalNumSgprs: 0
; NumVgprs: 0
; ScratchSize: 0
; MemoryBound: 0
; FloatMode: 240
; IeeeMode: 1
; LDSByteSize: 0 bytes/workgroup (compile time only)
; SGPRBlocks: 0
; VGPRBlocks: 0
; NumSGPRsForWavesPerEU: 1
; NumVGPRsForWavesPerEU: 1
; Occupancy: 16
; WaveLimiterHint : 0
; COMPUTE_PGM_RSRC2:SCRATCH_EN: 0
; COMPUTE_PGM_RSRC2:USER_SGPR: 6
; COMPUTE_PGM_RSRC2:TRAP_HANDLER: 0
; COMPUTE_PGM_RSRC2:TGID_X_EN: 1
; COMPUTE_PGM_RSRC2:TGID_Y_EN: 0
; COMPUTE_PGM_RSRC2:TGID_Z_EN: 0
; COMPUTE_PGM_RSRC2:TIDIG_COMP_CNT: 0
	.section	.text._ZN7rocprim17ROCPRIM_400000_NS6detail17trampoline_kernelINS0_14default_configENS1_27scan_by_key_config_selectorIifEEZZNS1_16scan_by_key_implILNS1_25lookback_scan_determinismE0ELb1ES3_N6thrust23THRUST_200600_302600_NS6detail15normal_iteratorINS9_10device_ptrIiEEEENSB_INSC_IjEEEESE_fNS9_4plusIvEENS9_8equal_toIvEEfEE10hipError_tPvRmT2_T3_T4_T5_mT6_T7_P12ihipStream_tbENKUlT_T0_E_clISt17integral_constantIbLb0EES11_EEDaSW_SX_EUlSW_E_NS1_11comp_targetILNS1_3genE2ELNS1_11target_archE906ELNS1_3gpuE6ELNS1_3repE0EEENS1_30default_config_static_selectorELNS0_4arch9wavefront6targetE0EEEvT1_,"axG",@progbits,_ZN7rocprim17ROCPRIM_400000_NS6detail17trampoline_kernelINS0_14default_configENS1_27scan_by_key_config_selectorIifEEZZNS1_16scan_by_key_implILNS1_25lookback_scan_determinismE0ELb1ES3_N6thrust23THRUST_200600_302600_NS6detail15normal_iteratorINS9_10device_ptrIiEEEENSB_INSC_IjEEEESE_fNS9_4plusIvEENS9_8equal_toIvEEfEE10hipError_tPvRmT2_T3_T4_T5_mT6_T7_P12ihipStream_tbENKUlT_T0_E_clISt17integral_constantIbLb0EES11_EEDaSW_SX_EUlSW_E_NS1_11comp_targetILNS1_3genE2ELNS1_11target_archE906ELNS1_3gpuE6ELNS1_3repE0EEENS1_30default_config_static_selectorELNS0_4arch9wavefront6targetE0EEEvT1_,comdat
	.protected	_ZN7rocprim17ROCPRIM_400000_NS6detail17trampoline_kernelINS0_14default_configENS1_27scan_by_key_config_selectorIifEEZZNS1_16scan_by_key_implILNS1_25lookback_scan_determinismE0ELb1ES3_N6thrust23THRUST_200600_302600_NS6detail15normal_iteratorINS9_10device_ptrIiEEEENSB_INSC_IjEEEESE_fNS9_4plusIvEENS9_8equal_toIvEEfEE10hipError_tPvRmT2_T3_T4_T5_mT6_T7_P12ihipStream_tbENKUlT_T0_E_clISt17integral_constantIbLb0EES11_EEDaSW_SX_EUlSW_E_NS1_11comp_targetILNS1_3genE2ELNS1_11target_archE906ELNS1_3gpuE6ELNS1_3repE0EEENS1_30default_config_static_selectorELNS0_4arch9wavefront6targetE0EEEvT1_ ; -- Begin function _ZN7rocprim17ROCPRIM_400000_NS6detail17trampoline_kernelINS0_14default_configENS1_27scan_by_key_config_selectorIifEEZZNS1_16scan_by_key_implILNS1_25lookback_scan_determinismE0ELb1ES3_N6thrust23THRUST_200600_302600_NS6detail15normal_iteratorINS9_10device_ptrIiEEEENSB_INSC_IjEEEESE_fNS9_4plusIvEENS9_8equal_toIvEEfEE10hipError_tPvRmT2_T3_T4_T5_mT6_T7_P12ihipStream_tbENKUlT_T0_E_clISt17integral_constantIbLb0EES11_EEDaSW_SX_EUlSW_E_NS1_11comp_targetILNS1_3genE2ELNS1_11target_archE906ELNS1_3gpuE6ELNS1_3repE0EEENS1_30default_config_static_selectorELNS0_4arch9wavefront6targetE0EEEvT1_
	.globl	_ZN7rocprim17ROCPRIM_400000_NS6detail17trampoline_kernelINS0_14default_configENS1_27scan_by_key_config_selectorIifEEZZNS1_16scan_by_key_implILNS1_25lookback_scan_determinismE0ELb1ES3_N6thrust23THRUST_200600_302600_NS6detail15normal_iteratorINS9_10device_ptrIiEEEENSB_INSC_IjEEEESE_fNS9_4plusIvEENS9_8equal_toIvEEfEE10hipError_tPvRmT2_T3_T4_T5_mT6_T7_P12ihipStream_tbENKUlT_T0_E_clISt17integral_constantIbLb0EES11_EEDaSW_SX_EUlSW_E_NS1_11comp_targetILNS1_3genE2ELNS1_11target_archE906ELNS1_3gpuE6ELNS1_3repE0EEENS1_30default_config_static_selectorELNS0_4arch9wavefront6targetE0EEEvT1_
	.p2align	8
	.type	_ZN7rocprim17ROCPRIM_400000_NS6detail17trampoline_kernelINS0_14default_configENS1_27scan_by_key_config_selectorIifEEZZNS1_16scan_by_key_implILNS1_25lookback_scan_determinismE0ELb1ES3_N6thrust23THRUST_200600_302600_NS6detail15normal_iteratorINS9_10device_ptrIiEEEENSB_INSC_IjEEEESE_fNS9_4plusIvEENS9_8equal_toIvEEfEE10hipError_tPvRmT2_T3_T4_T5_mT6_T7_P12ihipStream_tbENKUlT_T0_E_clISt17integral_constantIbLb0EES11_EEDaSW_SX_EUlSW_E_NS1_11comp_targetILNS1_3genE2ELNS1_11target_archE906ELNS1_3gpuE6ELNS1_3repE0EEENS1_30default_config_static_selectorELNS0_4arch9wavefront6targetE0EEEvT1_,@function
_ZN7rocprim17ROCPRIM_400000_NS6detail17trampoline_kernelINS0_14default_configENS1_27scan_by_key_config_selectorIifEEZZNS1_16scan_by_key_implILNS1_25lookback_scan_determinismE0ELb1ES3_N6thrust23THRUST_200600_302600_NS6detail15normal_iteratorINS9_10device_ptrIiEEEENSB_INSC_IjEEEESE_fNS9_4plusIvEENS9_8equal_toIvEEfEE10hipError_tPvRmT2_T3_T4_T5_mT6_T7_P12ihipStream_tbENKUlT_T0_E_clISt17integral_constantIbLb0EES11_EEDaSW_SX_EUlSW_E_NS1_11comp_targetILNS1_3genE2ELNS1_11target_archE906ELNS1_3gpuE6ELNS1_3repE0EEENS1_30default_config_static_selectorELNS0_4arch9wavefront6targetE0EEEvT1_: ; @_ZN7rocprim17ROCPRIM_400000_NS6detail17trampoline_kernelINS0_14default_configENS1_27scan_by_key_config_selectorIifEEZZNS1_16scan_by_key_implILNS1_25lookback_scan_determinismE0ELb1ES3_N6thrust23THRUST_200600_302600_NS6detail15normal_iteratorINS9_10device_ptrIiEEEENSB_INSC_IjEEEESE_fNS9_4plusIvEENS9_8equal_toIvEEfEE10hipError_tPvRmT2_T3_T4_T5_mT6_T7_P12ihipStream_tbENKUlT_T0_E_clISt17integral_constantIbLb0EES11_EEDaSW_SX_EUlSW_E_NS1_11comp_targetILNS1_3genE2ELNS1_11target_archE906ELNS1_3gpuE6ELNS1_3repE0EEENS1_30default_config_static_selectorELNS0_4arch9wavefront6targetE0EEEvT1_
; %bb.0:
	.section	.rodata,"a",@progbits
	.p2align	6, 0x0
	.amdhsa_kernel _ZN7rocprim17ROCPRIM_400000_NS6detail17trampoline_kernelINS0_14default_configENS1_27scan_by_key_config_selectorIifEEZZNS1_16scan_by_key_implILNS1_25lookback_scan_determinismE0ELb1ES3_N6thrust23THRUST_200600_302600_NS6detail15normal_iteratorINS9_10device_ptrIiEEEENSB_INSC_IjEEEESE_fNS9_4plusIvEENS9_8equal_toIvEEfEE10hipError_tPvRmT2_T3_T4_T5_mT6_T7_P12ihipStream_tbENKUlT_T0_E_clISt17integral_constantIbLb0EES11_EEDaSW_SX_EUlSW_E_NS1_11comp_targetILNS1_3genE2ELNS1_11target_archE906ELNS1_3gpuE6ELNS1_3repE0EEENS1_30default_config_static_selectorELNS0_4arch9wavefront6targetE0EEEvT1_
		.amdhsa_group_segment_fixed_size 0
		.amdhsa_private_segment_fixed_size 0
		.amdhsa_kernarg_size 112
		.amdhsa_user_sgpr_count 6
		.amdhsa_user_sgpr_private_segment_buffer 1
		.amdhsa_user_sgpr_dispatch_ptr 0
		.amdhsa_user_sgpr_queue_ptr 0
		.amdhsa_user_sgpr_kernarg_segment_ptr 1
		.amdhsa_user_sgpr_dispatch_id 0
		.amdhsa_user_sgpr_flat_scratch_init 0
		.amdhsa_user_sgpr_private_segment_size 0
		.amdhsa_wavefront_size32 1
		.amdhsa_uses_dynamic_stack 0
		.amdhsa_system_sgpr_private_segment_wavefront_offset 0
		.amdhsa_system_sgpr_workgroup_id_x 1
		.amdhsa_system_sgpr_workgroup_id_y 0
		.amdhsa_system_sgpr_workgroup_id_z 0
		.amdhsa_system_sgpr_workgroup_info 0
		.amdhsa_system_vgpr_workitem_id 0
		.amdhsa_next_free_vgpr 1
		.amdhsa_next_free_sgpr 1
		.amdhsa_reserve_vcc 0
		.amdhsa_reserve_flat_scratch 0
		.amdhsa_float_round_mode_32 0
		.amdhsa_float_round_mode_16_64 0
		.amdhsa_float_denorm_mode_32 3
		.amdhsa_float_denorm_mode_16_64 3
		.amdhsa_dx10_clamp 1
		.amdhsa_ieee_mode 1
		.amdhsa_fp16_overflow 0
		.amdhsa_workgroup_processor_mode 1
		.amdhsa_memory_ordered 1
		.amdhsa_forward_progress 1
		.amdhsa_shared_vgpr_count 0
		.amdhsa_exception_fp_ieee_invalid_op 0
		.amdhsa_exception_fp_denorm_src 0
		.amdhsa_exception_fp_ieee_div_zero 0
		.amdhsa_exception_fp_ieee_overflow 0
		.amdhsa_exception_fp_ieee_underflow 0
		.amdhsa_exception_fp_ieee_inexact 0
		.amdhsa_exception_int_div_zero 0
	.end_amdhsa_kernel
	.section	.text._ZN7rocprim17ROCPRIM_400000_NS6detail17trampoline_kernelINS0_14default_configENS1_27scan_by_key_config_selectorIifEEZZNS1_16scan_by_key_implILNS1_25lookback_scan_determinismE0ELb1ES3_N6thrust23THRUST_200600_302600_NS6detail15normal_iteratorINS9_10device_ptrIiEEEENSB_INSC_IjEEEESE_fNS9_4plusIvEENS9_8equal_toIvEEfEE10hipError_tPvRmT2_T3_T4_T5_mT6_T7_P12ihipStream_tbENKUlT_T0_E_clISt17integral_constantIbLb0EES11_EEDaSW_SX_EUlSW_E_NS1_11comp_targetILNS1_3genE2ELNS1_11target_archE906ELNS1_3gpuE6ELNS1_3repE0EEENS1_30default_config_static_selectorELNS0_4arch9wavefront6targetE0EEEvT1_,"axG",@progbits,_ZN7rocprim17ROCPRIM_400000_NS6detail17trampoline_kernelINS0_14default_configENS1_27scan_by_key_config_selectorIifEEZZNS1_16scan_by_key_implILNS1_25lookback_scan_determinismE0ELb1ES3_N6thrust23THRUST_200600_302600_NS6detail15normal_iteratorINS9_10device_ptrIiEEEENSB_INSC_IjEEEESE_fNS9_4plusIvEENS9_8equal_toIvEEfEE10hipError_tPvRmT2_T3_T4_T5_mT6_T7_P12ihipStream_tbENKUlT_T0_E_clISt17integral_constantIbLb0EES11_EEDaSW_SX_EUlSW_E_NS1_11comp_targetILNS1_3genE2ELNS1_11target_archE906ELNS1_3gpuE6ELNS1_3repE0EEENS1_30default_config_static_selectorELNS0_4arch9wavefront6targetE0EEEvT1_,comdat
.Lfunc_end1793:
	.size	_ZN7rocprim17ROCPRIM_400000_NS6detail17trampoline_kernelINS0_14default_configENS1_27scan_by_key_config_selectorIifEEZZNS1_16scan_by_key_implILNS1_25lookback_scan_determinismE0ELb1ES3_N6thrust23THRUST_200600_302600_NS6detail15normal_iteratorINS9_10device_ptrIiEEEENSB_INSC_IjEEEESE_fNS9_4plusIvEENS9_8equal_toIvEEfEE10hipError_tPvRmT2_T3_T4_T5_mT6_T7_P12ihipStream_tbENKUlT_T0_E_clISt17integral_constantIbLb0EES11_EEDaSW_SX_EUlSW_E_NS1_11comp_targetILNS1_3genE2ELNS1_11target_archE906ELNS1_3gpuE6ELNS1_3repE0EEENS1_30default_config_static_selectorELNS0_4arch9wavefront6targetE0EEEvT1_, .Lfunc_end1793-_ZN7rocprim17ROCPRIM_400000_NS6detail17trampoline_kernelINS0_14default_configENS1_27scan_by_key_config_selectorIifEEZZNS1_16scan_by_key_implILNS1_25lookback_scan_determinismE0ELb1ES3_N6thrust23THRUST_200600_302600_NS6detail15normal_iteratorINS9_10device_ptrIiEEEENSB_INSC_IjEEEESE_fNS9_4plusIvEENS9_8equal_toIvEEfEE10hipError_tPvRmT2_T3_T4_T5_mT6_T7_P12ihipStream_tbENKUlT_T0_E_clISt17integral_constantIbLb0EES11_EEDaSW_SX_EUlSW_E_NS1_11comp_targetILNS1_3genE2ELNS1_11target_archE906ELNS1_3gpuE6ELNS1_3repE0EEENS1_30default_config_static_selectorELNS0_4arch9wavefront6targetE0EEEvT1_
                                        ; -- End function
	.set _ZN7rocprim17ROCPRIM_400000_NS6detail17trampoline_kernelINS0_14default_configENS1_27scan_by_key_config_selectorIifEEZZNS1_16scan_by_key_implILNS1_25lookback_scan_determinismE0ELb1ES3_N6thrust23THRUST_200600_302600_NS6detail15normal_iteratorINS9_10device_ptrIiEEEENSB_INSC_IjEEEESE_fNS9_4plusIvEENS9_8equal_toIvEEfEE10hipError_tPvRmT2_T3_T4_T5_mT6_T7_P12ihipStream_tbENKUlT_T0_E_clISt17integral_constantIbLb0EES11_EEDaSW_SX_EUlSW_E_NS1_11comp_targetILNS1_3genE2ELNS1_11target_archE906ELNS1_3gpuE6ELNS1_3repE0EEENS1_30default_config_static_selectorELNS0_4arch9wavefront6targetE0EEEvT1_.num_vgpr, 0
	.set _ZN7rocprim17ROCPRIM_400000_NS6detail17trampoline_kernelINS0_14default_configENS1_27scan_by_key_config_selectorIifEEZZNS1_16scan_by_key_implILNS1_25lookback_scan_determinismE0ELb1ES3_N6thrust23THRUST_200600_302600_NS6detail15normal_iteratorINS9_10device_ptrIiEEEENSB_INSC_IjEEEESE_fNS9_4plusIvEENS9_8equal_toIvEEfEE10hipError_tPvRmT2_T3_T4_T5_mT6_T7_P12ihipStream_tbENKUlT_T0_E_clISt17integral_constantIbLb0EES11_EEDaSW_SX_EUlSW_E_NS1_11comp_targetILNS1_3genE2ELNS1_11target_archE906ELNS1_3gpuE6ELNS1_3repE0EEENS1_30default_config_static_selectorELNS0_4arch9wavefront6targetE0EEEvT1_.num_agpr, 0
	.set _ZN7rocprim17ROCPRIM_400000_NS6detail17trampoline_kernelINS0_14default_configENS1_27scan_by_key_config_selectorIifEEZZNS1_16scan_by_key_implILNS1_25lookback_scan_determinismE0ELb1ES3_N6thrust23THRUST_200600_302600_NS6detail15normal_iteratorINS9_10device_ptrIiEEEENSB_INSC_IjEEEESE_fNS9_4plusIvEENS9_8equal_toIvEEfEE10hipError_tPvRmT2_T3_T4_T5_mT6_T7_P12ihipStream_tbENKUlT_T0_E_clISt17integral_constantIbLb0EES11_EEDaSW_SX_EUlSW_E_NS1_11comp_targetILNS1_3genE2ELNS1_11target_archE906ELNS1_3gpuE6ELNS1_3repE0EEENS1_30default_config_static_selectorELNS0_4arch9wavefront6targetE0EEEvT1_.numbered_sgpr, 0
	.set _ZN7rocprim17ROCPRIM_400000_NS6detail17trampoline_kernelINS0_14default_configENS1_27scan_by_key_config_selectorIifEEZZNS1_16scan_by_key_implILNS1_25lookback_scan_determinismE0ELb1ES3_N6thrust23THRUST_200600_302600_NS6detail15normal_iteratorINS9_10device_ptrIiEEEENSB_INSC_IjEEEESE_fNS9_4plusIvEENS9_8equal_toIvEEfEE10hipError_tPvRmT2_T3_T4_T5_mT6_T7_P12ihipStream_tbENKUlT_T0_E_clISt17integral_constantIbLb0EES11_EEDaSW_SX_EUlSW_E_NS1_11comp_targetILNS1_3genE2ELNS1_11target_archE906ELNS1_3gpuE6ELNS1_3repE0EEENS1_30default_config_static_selectorELNS0_4arch9wavefront6targetE0EEEvT1_.num_named_barrier, 0
	.set _ZN7rocprim17ROCPRIM_400000_NS6detail17trampoline_kernelINS0_14default_configENS1_27scan_by_key_config_selectorIifEEZZNS1_16scan_by_key_implILNS1_25lookback_scan_determinismE0ELb1ES3_N6thrust23THRUST_200600_302600_NS6detail15normal_iteratorINS9_10device_ptrIiEEEENSB_INSC_IjEEEESE_fNS9_4plusIvEENS9_8equal_toIvEEfEE10hipError_tPvRmT2_T3_T4_T5_mT6_T7_P12ihipStream_tbENKUlT_T0_E_clISt17integral_constantIbLb0EES11_EEDaSW_SX_EUlSW_E_NS1_11comp_targetILNS1_3genE2ELNS1_11target_archE906ELNS1_3gpuE6ELNS1_3repE0EEENS1_30default_config_static_selectorELNS0_4arch9wavefront6targetE0EEEvT1_.private_seg_size, 0
	.set _ZN7rocprim17ROCPRIM_400000_NS6detail17trampoline_kernelINS0_14default_configENS1_27scan_by_key_config_selectorIifEEZZNS1_16scan_by_key_implILNS1_25lookback_scan_determinismE0ELb1ES3_N6thrust23THRUST_200600_302600_NS6detail15normal_iteratorINS9_10device_ptrIiEEEENSB_INSC_IjEEEESE_fNS9_4plusIvEENS9_8equal_toIvEEfEE10hipError_tPvRmT2_T3_T4_T5_mT6_T7_P12ihipStream_tbENKUlT_T0_E_clISt17integral_constantIbLb0EES11_EEDaSW_SX_EUlSW_E_NS1_11comp_targetILNS1_3genE2ELNS1_11target_archE906ELNS1_3gpuE6ELNS1_3repE0EEENS1_30default_config_static_selectorELNS0_4arch9wavefront6targetE0EEEvT1_.uses_vcc, 0
	.set _ZN7rocprim17ROCPRIM_400000_NS6detail17trampoline_kernelINS0_14default_configENS1_27scan_by_key_config_selectorIifEEZZNS1_16scan_by_key_implILNS1_25lookback_scan_determinismE0ELb1ES3_N6thrust23THRUST_200600_302600_NS6detail15normal_iteratorINS9_10device_ptrIiEEEENSB_INSC_IjEEEESE_fNS9_4plusIvEENS9_8equal_toIvEEfEE10hipError_tPvRmT2_T3_T4_T5_mT6_T7_P12ihipStream_tbENKUlT_T0_E_clISt17integral_constantIbLb0EES11_EEDaSW_SX_EUlSW_E_NS1_11comp_targetILNS1_3genE2ELNS1_11target_archE906ELNS1_3gpuE6ELNS1_3repE0EEENS1_30default_config_static_selectorELNS0_4arch9wavefront6targetE0EEEvT1_.uses_flat_scratch, 0
	.set _ZN7rocprim17ROCPRIM_400000_NS6detail17trampoline_kernelINS0_14default_configENS1_27scan_by_key_config_selectorIifEEZZNS1_16scan_by_key_implILNS1_25lookback_scan_determinismE0ELb1ES3_N6thrust23THRUST_200600_302600_NS6detail15normal_iteratorINS9_10device_ptrIiEEEENSB_INSC_IjEEEESE_fNS9_4plusIvEENS9_8equal_toIvEEfEE10hipError_tPvRmT2_T3_T4_T5_mT6_T7_P12ihipStream_tbENKUlT_T0_E_clISt17integral_constantIbLb0EES11_EEDaSW_SX_EUlSW_E_NS1_11comp_targetILNS1_3genE2ELNS1_11target_archE906ELNS1_3gpuE6ELNS1_3repE0EEENS1_30default_config_static_selectorELNS0_4arch9wavefront6targetE0EEEvT1_.has_dyn_sized_stack, 0
	.set _ZN7rocprim17ROCPRIM_400000_NS6detail17trampoline_kernelINS0_14default_configENS1_27scan_by_key_config_selectorIifEEZZNS1_16scan_by_key_implILNS1_25lookback_scan_determinismE0ELb1ES3_N6thrust23THRUST_200600_302600_NS6detail15normal_iteratorINS9_10device_ptrIiEEEENSB_INSC_IjEEEESE_fNS9_4plusIvEENS9_8equal_toIvEEfEE10hipError_tPvRmT2_T3_T4_T5_mT6_T7_P12ihipStream_tbENKUlT_T0_E_clISt17integral_constantIbLb0EES11_EEDaSW_SX_EUlSW_E_NS1_11comp_targetILNS1_3genE2ELNS1_11target_archE906ELNS1_3gpuE6ELNS1_3repE0EEENS1_30default_config_static_selectorELNS0_4arch9wavefront6targetE0EEEvT1_.has_recursion, 0
	.set _ZN7rocprim17ROCPRIM_400000_NS6detail17trampoline_kernelINS0_14default_configENS1_27scan_by_key_config_selectorIifEEZZNS1_16scan_by_key_implILNS1_25lookback_scan_determinismE0ELb1ES3_N6thrust23THRUST_200600_302600_NS6detail15normal_iteratorINS9_10device_ptrIiEEEENSB_INSC_IjEEEESE_fNS9_4plusIvEENS9_8equal_toIvEEfEE10hipError_tPvRmT2_T3_T4_T5_mT6_T7_P12ihipStream_tbENKUlT_T0_E_clISt17integral_constantIbLb0EES11_EEDaSW_SX_EUlSW_E_NS1_11comp_targetILNS1_3genE2ELNS1_11target_archE906ELNS1_3gpuE6ELNS1_3repE0EEENS1_30default_config_static_selectorELNS0_4arch9wavefront6targetE0EEEvT1_.has_indirect_call, 0
	.section	.AMDGPU.csdata,"",@progbits
; Kernel info:
; codeLenInByte = 0
; TotalNumSgprs: 0
; NumVgprs: 0
; ScratchSize: 0
; MemoryBound: 0
; FloatMode: 240
; IeeeMode: 1
; LDSByteSize: 0 bytes/workgroup (compile time only)
; SGPRBlocks: 0
; VGPRBlocks: 0
; NumSGPRsForWavesPerEU: 1
; NumVGPRsForWavesPerEU: 1
; Occupancy: 16
; WaveLimiterHint : 0
; COMPUTE_PGM_RSRC2:SCRATCH_EN: 0
; COMPUTE_PGM_RSRC2:USER_SGPR: 6
; COMPUTE_PGM_RSRC2:TRAP_HANDLER: 0
; COMPUTE_PGM_RSRC2:TGID_X_EN: 1
; COMPUTE_PGM_RSRC2:TGID_Y_EN: 0
; COMPUTE_PGM_RSRC2:TGID_Z_EN: 0
; COMPUTE_PGM_RSRC2:TIDIG_COMP_CNT: 0
	.section	.text._ZN7rocprim17ROCPRIM_400000_NS6detail17trampoline_kernelINS0_14default_configENS1_27scan_by_key_config_selectorIifEEZZNS1_16scan_by_key_implILNS1_25lookback_scan_determinismE0ELb1ES3_N6thrust23THRUST_200600_302600_NS6detail15normal_iteratorINS9_10device_ptrIiEEEENSB_INSC_IjEEEESE_fNS9_4plusIvEENS9_8equal_toIvEEfEE10hipError_tPvRmT2_T3_T4_T5_mT6_T7_P12ihipStream_tbENKUlT_T0_E_clISt17integral_constantIbLb0EES11_EEDaSW_SX_EUlSW_E_NS1_11comp_targetILNS1_3genE10ELNS1_11target_archE1200ELNS1_3gpuE4ELNS1_3repE0EEENS1_30default_config_static_selectorELNS0_4arch9wavefront6targetE0EEEvT1_,"axG",@progbits,_ZN7rocprim17ROCPRIM_400000_NS6detail17trampoline_kernelINS0_14default_configENS1_27scan_by_key_config_selectorIifEEZZNS1_16scan_by_key_implILNS1_25lookback_scan_determinismE0ELb1ES3_N6thrust23THRUST_200600_302600_NS6detail15normal_iteratorINS9_10device_ptrIiEEEENSB_INSC_IjEEEESE_fNS9_4plusIvEENS9_8equal_toIvEEfEE10hipError_tPvRmT2_T3_T4_T5_mT6_T7_P12ihipStream_tbENKUlT_T0_E_clISt17integral_constantIbLb0EES11_EEDaSW_SX_EUlSW_E_NS1_11comp_targetILNS1_3genE10ELNS1_11target_archE1200ELNS1_3gpuE4ELNS1_3repE0EEENS1_30default_config_static_selectorELNS0_4arch9wavefront6targetE0EEEvT1_,comdat
	.protected	_ZN7rocprim17ROCPRIM_400000_NS6detail17trampoline_kernelINS0_14default_configENS1_27scan_by_key_config_selectorIifEEZZNS1_16scan_by_key_implILNS1_25lookback_scan_determinismE0ELb1ES3_N6thrust23THRUST_200600_302600_NS6detail15normal_iteratorINS9_10device_ptrIiEEEENSB_INSC_IjEEEESE_fNS9_4plusIvEENS9_8equal_toIvEEfEE10hipError_tPvRmT2_T3_T4_T5_mT6_T7_P12ihipStream_tbENKUlT_T0_E_clISt17integral_constantIbLb0EES11_EEDaSW_SX_EUlSW_E_NS1_11comp_targetILNS1_3genE10ELNS1_11target_archE1200ELNS1_3gpuE4ELNS1_3repE0EEENS1_30default_config_static_selectorELNS0_4arch9wavefront6targetE0EEEvT1_ ; -- Begin function _ZN7rocprim17ROCPRIM_400000_NS6detail17trampoline_kernelINS0_14default_configENS1_27scan_by_key_config_selectorIifEEZZNS1_16scan_by_key_implILNS1_25lookback_scan_determinismE0ELb1ES3_N6thrust23THRUST_200600_302600_NS6detail15normal_iteratorINS9_10device_ptrIiEEEENSB_INSC_IjEEEESE_fNS9_4plusIvEENS9_8equal_toIvEEfEE10hipError_tPvRmT2_T3_T4_T5_mT6_T7_P12ihipStream_tbENKUlT_T0_E_clISt17integral_constantIbLb0EES11_EEDaSW_SX_EUlSW_E_NS1_11comp_targetILNS1_3genE10ELNS1_11target_archE1200ELNS1_3gpuE4ELNS1_3repE0EEENS1_30default_config_static_selectorELNS0_4arch9wavefront6targetE0EEEvT1_
	.globl	_ZN7rocprim17ROCPRIM_400000_NS6detail17trampoline_kernelINS0_14default_configENS1_27scan_by_key_config_selectorIifEEZZNS1_16scan_by_key_implILNS1_25lookback_scan_determinismE0ELb1ES3_N6thrust23THRUST_200600_302600_NS6detail15normal_iteratorINS9_10device_ptrIiEEEENSB_INSC_IjEEEESE_fNS9_4plusIvEENS9_8equal_toIvEEfEE10hipError_tPvRmT2_T3_T4_T5_mT6_T7_P12ihipStream_tbENKUlT_T0_E_clISt17integral_constantIbLb0EES11_EEDaSW_SX_EUlSW_E_NS1_11comp_targetILNS1_3genE10ELNS1_11target_archE1200ELNS1_3gpuE4ELNS1_3repE0EEENS1_30default_config_static_selectorELNS0_4arch9wavefront6targetE0EEEvT1_
	.p2align	8
	.type	_ZN7rocprim17ROCPRIM_400000_NS6detail17trampoline_kernelINS0_14default_configENS1_27scan_by_key_config_selectorIifEEZZNS1_16scan_by_key_implILNS1_25lookback_scan_determinismE0ELb1ES3_N6thrust23THRUST_200600_302600_NS6detail15normal_iteratorINS9_10device_ptrIiEEEENSB_INSC_IjEEEESE_fNS9_4plusIvEENS9_8equal_toIvEEfEE10hipError_tPvRmT2_T3_T4_T5_mT6_T7_P12ihipStream_tbENKUlT_T0_E_clISt17integral_constantIbLb0EES11_EEDaSW_SX_EUlSW_E_NS1_11comp_targetILNS1_3genE10ELNS1_11target_archE1200ELNS1_3gpuE4ELNS1_3repE0EEENS1_30default_config_static_selectorELNS0_4arch9wavefront6targetE0EEEvT1_,@function
_ZN7rocprim17ROCPRIM_400000_NS6detail17trampoline_kernelINS0_14default_configENS1_27scan_by_key_config_selectorIifEEZZNS1_16scan_by_key_implILNS1_25lookback_scan_determinismE0ELb1ES3_N6thrust23THRUST_200600_302600_NS6detail15normal_iteratorINS9_10device_ptrIiEEEENSB_INSC_IjEEEESE_fNS9_4plusIvEENS9_8equal_toIvEEfEE10hipError_tPvRmT2_T3_T4_T5_mT6_T7_P12ihipStream_tbENKUlT_T0_E_clISt17integral_constantIbLb0EES11_EEDaSW_SX_EUlSW_E_NS1_11comp_targetILNS1_3genE10ELNS1_11target_archE1200ELNS1_3gpuE4ELNS1_3repE0EEENS1_30default_config_static_selectorELNS0_4arch9wavefront6targetE0EEEvT1_: ; @_ZN7rocprim17ROCPRIM_400000_NS6detail17trampoline_kernelINS0_14default_configENS1_27scan_by_key_config_selectorIifEEZZNS1_16scan_by_key_implILNS1_25lookback_scan_determinismE0ELb1ES3_N6thrust23THRUST_200600_302600_NS6detail15normal_iteratorINS9_10device_ptrIiEEEENSB_INSC_IjEEEESE_fNS9_4plusIvEENS9_8equal_toIvEEfEE10hipError_tPvRmT2_T3_T4_T5_mT6_T7_P12ihipStream_tbENKUlT_T0_E_clISt17integral_constantIbLb0EES11_EEDaSW_SX_EUlSW_E_NS1_11comp_targetILNS1_3genE10ELNS1_11target_archE1200ELNS1_3gpuE4ELNS1_3repE0EEENS1_30default_config_static_selectorELNS0_4arch9wavefront6targetE0EEEvT1_
; %bb.0:
	.section	.rodata,"a",@progbits
	.p2align	6, 0x0
	.amdhsa_kernel _ZN7rocprim17ROCPRIM_400000_NS6detail17trampoline_kernelINS0_14default_configENS1_27scan_by_key_config_selectorIifEEZZNS1_16scan_by_key_implILNS1_25lookback_scan_determinismE0ELb1ES3_N6thrust23THRUST_200600_302600_NS6detail15normal_iteratorINS9_10device_ptrIiEEEENSB_INSC_IjEEEESE_fNS9_4plusIvEENS9_8equal_toIvEEfEE10hipError_tPvRmT2_T3_T4_T5_mT6_T7_P12ihipStream_tbENKUlT_T0_E_clISt17integral_constantIbLb0EES11_EEDaSW_SX_EUlSW_E_NS1_11comp_targetILNS1_3genE10ELNS1_11target_archE1200ELNS1_3gpuE4ELNS1_3repE0EEENS1_30default_config_static_selectorELNS0_4arch9wavefront6targetE0EEEvT1_
		.amdhsa_group_segment_fixed_size 0
		.amdhsa_private_segment_fixed_size 0
		.amdhsa_kernarg_size 112
		.amdhsa_user_sgpr_count 6
		.amdhsa_user_sgpr_private_segment_buffer 1
		.amdhsa_user_sgpr_dispatch_ptr 0
		.amdhsa_user_sgpr_queue_ptr 0
		.amdhsa_user_sgpr_kernarg_segment_ptr 1
		.amdhsa_user_sgpr_dispatch_id 0
		.amdhsa_user_sgpr_flat_scratch_init 0
		.amdhsa_user_sgpr_private_segment_size 0
		.amdhsa_wavefront_size32 1
		.amdhsa_uses_dynamic_stack 0
		.amdhsa_system_sgpr_private_segment_wavefront_offset 0
		.amdhsa_system_sgpr_workgroup_id_x 1
		.amdhsa_system_sgpr_workgroup_id_y 0
		.amdhsa_system_sgpr_workgroup_id_z 0
		.amdhsa_system_sgpr_workgroup_info 0
		.amdhsa_system_vgpr_workitem_id 0
		.amdhsa_next_free_vgpr 1
		.amdhsa_next_free_sgpr 1
		.amdhsa_reserve_vcc 0
		.amdhsa_reserve_flat_scratch 0
		.amdhsa_float_round_mode_32 0
		.amdhsa_float_round_mode_16_64 0
		.amdhsa_float_denorm_mode_32 3
		.amdhsa_float_denorm_mode_16_64 3
		.amdhsa_dx10_clamp 1
		.amdhsa_ieee_mode 1
		.amdhsa_fp16_overflow 0
		.amdhsa_workgroup_processor_mode 1
		.amdhsa_memory_ordered 1
		.amdhsa_forward_progress 1
		.amdhsa_shared_vgpr_count 0
		.amdhsa_exception_fp_ieee_invalid_op 0
		.amdhsa_exception_fp_denorm_src 0
		.amdhsa_exception_fp_ieee_div_zero 0
		.amdhsa_exception_fp_ieee_overflow 0
		.amdhsa_exception_fp_ieee_underflow 0
		.amdhsa_exception_fp_ieee_inexact 0
		.amdhsa_exception_int_div_zero 0
	.end_amdhsa_kernel
	.section	.text._ZN7rocprim17ROCPRIM_400000_NS6detail17trampoline_kernelINS0_14default_configENS1_27scan_by_key_config_selectorIifEEZZNS1_16scan_by_key_implILNS1_25lookback_scan_determinismE0ELb1ES3_N6thrust23THRUST_200600_302600_NS6detail15normal_iteratorINS9_10device_ptrIiEEEENSB_INSC_IjEEEESE_fNS9_4plusIvEENS9_8equal_toIvEEfEE10hipError_tPvRmT2_T3_T4_T5_mT6_T7_P12ihipStream_tbENKUlT_T0_E_clISt17integral_constantIbLb0EES11_EEDaSW_SX_EUlSW_E_NS1_11comp_targetILNS1_3genE10ELNS1_11target_archE1200ELNS1_3gpuE4ELNS1_3repE0EEENS1_30default_config_static_selectorELNS0_4arch9wavefront6targetE0EEEvT1_,"axG",@progbits,_ZN7rocprim17ROCPRIM_400000_NS6detail17trampoline_kernelINS0_14default_configENS1_27scan_by_key_config_selectorIifEEZZNS1_16scan_by_key_implILNS1_25lookback_scan_determinismE0ELb1ES3_N6thrust23THRUST_200600_302600_NS6detail15normal_iteratorINS9_10device_ptrIiEEEENSB_INSC_IjEEEESE_fNS9_4plusIvEENS9_8equal_toIvEEfEE10hipError_tPvRmT2_T3_T4_T5_mT6_T7_P12ihipStream_tbENKUlT_T0_E_clISt17integral_constantIbLb0EES11_EEDaSW_SX_EUlSW_E_NS1_11comp_targetILNS1_3genE10ELNS1_11target_archE1200ELNS1_3gpuE4ELNS1_3repE0EEENS1_30default_config_static_selectorELNS0_4arch9wavefront6targetE0EEEvT1_,comdat
.Lfunc_end1794:
	.size	_ZN7rocprim17ROCPRIM_400000_NS6detail17trampoline_kernelINS0_14default_configENS1_27scan_by_key_config_selectorIifEEZZNS1_16scan_by_key_implILNS1_25lookback_scan_determinismE0ELb1ES3_N6thrust23THRUST_200600_302600_NS6detail15normal_iteratorINS9_10device_ptrIiEEEENSB_INSC_IjEEEESE_fNS9_4plusIvEENS9_8equal_toIvEEfEE10hipError_tPvRmT2_T3_T4_T5_mT6_T7_P12ihipStream_tbENKUlT_T0_E_clISt17integral_constantIbLb0EES11_EEDaSW_SX_EUlSW_E_NS1_11comp_targetILNS1_3genE10ELNS1_11target_archE1200ELNS1_3gpuE4ELNS1_3repE0EEENS1_30default_config_static_selectorELNS0_4arch9wavefront6targetE0EEEvT1_, .Lfunc_end1794-_ZN7rocprim17ROCPRIM_400000_NS6detail17trampoline_kernelINS0_14default_configENS1_27scan_by_key_config_selectorIifEEZZNS1_16scan_by_key_implILNS1_25lookback_scan_determinismE0ELb1ES3_N6thrust23THRUST_200600_302600_NS6detail15normal_iteratorINS9_10device_ptrIiEEEENSB_INSC_IjEEEESE_fNS9_4plusIvEENS9_8equal_toIvEEfEE10hipError_tPvRmT2_T3_T4_T5_mT6_T7_P12ihipStream_tbENKUlT_T0_E_clISt17integral_constantIbLb0EES11_EEDaSW_SX_EUlSW_E_NS1_11comp_targetILNS1_3genE10ELNS1_11target_archE1200ELNS1_3gpuE4ELNS1_3repE0EEENS1_30default_config_static_selectorELNS0_4arch9wavefront6targetE0EEEvT1_
                                        ; -- End function
	.set _ZN7rocprim17ROCPRIM_400000_NS6detail17trampoline_kernelINS0_14default_configENS1_27scan_by_key_config_selectorIifEEZZNS1_16scan_by_key_implILNS1_25lookback_scan_determinismE0ELb1ES3_N6thrust23THRUST_200600_302600_NS6detail15normal_iteratorINS9_10device_ptrIiEEEENSB_INSC_IjEEEESE_fNS9_4plusIvEENS9_8equal_toIvEEfEE10hipError_tPvRmT2_T3_T4_T5_mT6_T7_P12ihipStream_tbENKUlT_T0_E_clISt17integral_constantIbLb0EES11_EEDaSW_SX_EUlSW_E_NS1_11comp_targetILNS1_3genE10ELNS1_11target_archE1200ELNS1_3gpuE4ELNS1_3repE0EEENS1_30default_config_static_selectorELNS0_4arch9wavefront6targetE0EEEvT1_.num_vgpr, 0
	.set _ZN7rocprim17ROCPRIM_400000_NS6detail17trampoline_kernelINS0_14default_configENS1_27scan_by_key_config_selectorIifEEZZNS1_16scan_by_key_implILNS1_25lookback_scan_determinismE0ELb1ES3_N6thrust23THRUST_200600_302600_NS6detail15normal_iteratorINS9_10device_ptrIiEEEENSB_INSC_IjEEEESE_fNS9_4plusIvEENS9_8equal_toIvEEfEE10hipError_tPvRmT2_T3_T4_T5_mT6_T7_P12ihipStream_tbENKUlT_T0_E_clISt17integral_constantIbLb0EES11_EEDaSW_SX_EUlSW_E_NS1_11comp_targetILNS1_3genE10ELNS1_11target_archE1200ELNS1_3gpuE4ELNS1_3repE0EEENS1_30default_config_static_selectorELNS0_4arch9wavefront6targetE0EEEvT1_.num_agpr, 0
	.set _ZN7rocprim17ROCPRIM_400000_NS6detail17trampoline_kernelINS0_14default_configENS1_27scan_by_key_config_selectorIifEEZZNS1_16scan_by_key_implILNS1_25lookback_scan_determinismE0ELb1ES3_N6thrust23THRUST_200600_302600_NS6detail15normal_iteratorINS9_10device_ptrIiEEEENSB_INSC_IjEEEESE_fNS9_4plusIvEENS9_8equal_toIvEEfEE10hipError_tPvRmT2_T3_T4_T5_mT6_T7_P12ihipStream_tbENKUlT_T0_E_clISt17integral_constantIbLb0EES11_EEDaSW_SX_EUlSW_E_NS1_11comp_targetILNS1_3genE10ELNS1_11target_archE1200ELNS1_3gpuE4ELNS1_3repE0EEENS1_30default_config_static_selectorELNS0_4arch9wavefront6targetE0EEEvT1_.numbered_sgpr, 0
	.set _ZN7rocprim17ROCPRIM_400000_NS6detail17trampoline_kernelINS0_14default_configENS1_27scan_by_key_config_selectorIifEEZZNS1_16scan_by_key_implILNS1_25lookback_scan_determinismE0ELb1ES3_N6thrust23THRUST_200600_302600_NS6detail15normal_iteratorINS9_10device_ptrIiEEEENSB_INSC_IjEEEESE_fNS9_4plusIvEENS9_8equal_toIvEEfEE10hipError_tPvRmT2_T3_T4_T5_mT6_T7_P12ihipStream_tbENKUlT_T0_E_clISt17integral_constantIbLb0EES11_EEDaSW_SX_EUlSW_E_NS1_11comp_targetILNS1_3genE10ELNS1_11target_archE1200ELNS1_3gpuE4ELNS1_3repE0EEENS1_30default_config_static_selectorELNS0_4arch9wavefront6targetE0EEEvT1_.num_named_barrier, 0
	.set _ZN7rocprim17ROCPRIM_400000_NS6detail17trampoline_kernelINS0_14default_configENS1_27scan_by_key_config_selectorIifEEZZNS1_16scan_by_key_implILNS1_25lookback_scan_determinismE0ELb1ES3_N6thrust23THRUST_200600_302600_NS6detail15normal_iteratorINS9_10device_ptrIiEEEENSB_INSC_IjEEEESE_fNS9_4plusIvEENS9_8equal_toIvEEfEE10hipError_tPvRmT2_T3_T4_T5_mT6_T7_P12ihipStream_tbENKUlT_T0_E_clISt17integral_constantIbLb0EES11_EEDaSW_SX_EUlSW_E_NS1_11comp_targetILNS1_3genE10ELNS1_11target_archE1200ELNS1_3gpuE4ELNS1_3repE0EEENS1_30default_config_static_selectorELNS0_4arch9wavefront6targetE0EEEvT1_.private_seg_size, 0
	.set _ZN7rocprim17ROCPRIM_400000_NS6detail17trampoline_kernelINS0_14default_configENS1_27scan_by_key_config_selectorIifEEZZNS1_16scan_by_key_implILNS1_25lookback_scan_determinismE0ELb1ES3_N6thrust23THRUST_200600_302600_NS6detail15normal_iteratorINS9_10device_ptrIiEEEENSB_INSC_IjEEEESE_fNS9_4plusIvEENS9_8equal_toIvEEfEE10hipError_tPvRmT2_T3_T4_T5_mT6_T7_P12ihipStream_tbENKUlT_T0_E_clISt17integral_constantIbLb0EES11_EEDaSW_SX_EUlSW_E_NS1_11comp_targetILNS1_3genE10ELNS1_11target_archE1200ELNS1_3gpuE4ELNS1_3repE0EEENS1_30default_config_static_selectorELNS0_4arch9wavefront6targetE0EEEvT1_.uses_vcc, 0
	.set _ZN7rocprim17ROCPRIM_400000_NS6detail17trampoline_kernelINS0_14default_configENS1_27scan_by_key_config_selectorIifEEZZNS1_16scan_by_key_implILNS1_25lookback_scan_determinismE0ELb1ES3_N6thrust23THRUST_200600_302600_NS6detail15normal_iteratorINS9_10device_ptrIiEEEENSB_INSC_IjEEEESE_fNS9_4plusIvEENS9_8equal_toIvEEfEE10hipError_tPvRmT2_T3_T4_T5_mT6_T7_P12ihipStream_tbENKUlT_T0_E_clISt17integral_constantIbLb0EES11_EEDaSW_SX_EUlSW_E_NS1_11comp_targetILNS1_3genE10ELNS1_11target_archE1200ELNS1_3gpuE4ELNS1_3repE0EEENS1_30default_config_static_selectorELNS0_4arch9wavefront6targetE0EEEvT1_.uses_flat_scratch, 0
	.set _ZN7rocprim17ROCPRIM_400000_NS6detail17trampoline_kernelINS0_14default_configENS1_27scan_by_key_config_selectorIifEEZZNS1_16scan_by_key_implILNS1_25lookback_scan_determinismE0ELb1ES3_N6thrust23THRUST_200600_302600_NS6detail15normal_iteratorINS9_10device_ptrIiEEEENSB_INSC_IjEEEESE_fNS9_4plusIvEENS9_8equal_toIvEEfEE10hipError_tPvRmT2_T3_T4_T5_mT6_T7_P12ihipStream_tbENKUlT_T0_E_clISt17integral_constantIbLb0EES11_EEDaSW_SX_EUlSW_E_NS1_11comp_targetILNS1_3genE10ELNS1_11target_archE1200ELNS1_3gpuE4ELNS1_3repE0EEENS1_30default_config_static_selectorELNS0_4arch9wavefront6targetE0EEEvT1_.has_dyn_sized_stack, 0
	.set _ZN7rocprim17ROCPRIM_400000_NS6detail17trampoline_kernelINS0_14default_configENS1_27scan_by_key_config_selectorIifEEZZNS1_16scan_by_key_implILNS1_25lookback_scan_determinismE0ELb1ES3_N6thrust23THRUST_200600_302600_NS6detail15normal_iteratorINS9_10device_ptrIiEEEENSB_INSC_IjEEEESE_fNS9_4plusIvEENS9_8equal_toIvEEfEE10hipError_tPvRmT2_T3_T4_T5_mT6_T7_P12ihipStream_tbENKUlT_T0_E_clISt17integral_constantIbLb0EES11_EEDaSW_SX_EUlSW_E_NS1_11comp_targetILNS1_3genE10ELNS1_11target_archE1200ELNS1_3gpuE4ELNS1_3repE0EEENS1_30default_config_static_selectorELNS0_4arch9wavefront6targetE0EEEvT1_.has_recursion, 0
	.set _ZN7rocprim17ROCPRIM_400000_NS6detail17trampoline_kernelINS0_14default_configENS1_27scan_by_key_config_selectorIifEEZZNS1_16scan_by_key_implILNS1_25lookback_scan_determinismE0ELb1ES3_N6thrust23THRUST_200600_302600_NS6detail15normal_iteratorINS9_10device_ptrIiEEEENSB_INSC_IjEEEESE_fNS9_4plusIvEENS9_8equal_toIvEEfEE10hipError_tPvRmT2_T3_T4_T5_mT6_T7_P12ihipStream_tbENKUlT_T0_E_clISt17integral_constantIbLb0EES11_EEDaSW_SX_EUlSW_E_NS1_11comp_targetILNS1_3genE10ELNS1_11target_archE1200ELNS1_3gpuE4ELNS1_3repE0EEENS1_30default_config_static_selectorELNS0_4arch9wavefront6targetE0EEEvT1_.has_indirect_call, 0
	.section	.AMDGPU.csdata,"",@progbits
; Kernel info:
; codeLenInByte = 0
; TotalNumSgprs: 0
; NumVgprs: 0
; ScratchSize: 0
; MemoryBound: 0
; FloatMode: 240
; IeeeMode: 1
; LDSByteSize: 0 bytes/workgroup (compile time only)
; SGPRBlocks: 0
; VGPRBlocks: 0
; NumSGPRsForWavesPerEU: 1
; NumVGPRsForWavesPerEU: 1
; Occupancy: 16
; WaveLimiterHint : 0
; COMPUTE_PGM_RSRC2:SCRATCH_EN: 0
; COMPUTE_PGM_RSRC2:USER_SGPR: 6
; COMPUTE_PGM_RSRC2:TRAP_HANDLER: 0
; COMPUTE_PGM_RSRC2:TGID_X_EN: 1
; COMPUTE_PGM_RSRC2:TGID_Y_EN: 0
; COMPUTE_PGM_RSRC2:TGID_Z_EN: 0
; COMPUTE_PGM_RSRC2:TIDIG_COMP_CNT: 0
	.section	.text._ZN7rocprim17ROCPRIM_400000_NS6detail17trampoline_kernelINS0_14default_configENS1_27scan_by_key_config_selectorIifEEZZNS1_16scan_by_key_implILNS1_25lookback_scan_determinismE0ELb1ES3_N6thrust23THRUST_200600_302600_NS6detail15normal_iteratorINS9_10device_ptrIiEEEENSB_INSC_IjEEEESE_fNS9_4plusIvEENS9_8equal_toIvEEfEE10hipError_tPvRmT2_T3_T4_T5_mT6_T7_P12ihipStream_tbENKUlT_T0_E_clISt17integral_constantIbLb0EES11_EEDaSW_SX_EUlSW_E_NS1_11comp_targetILNS1_3genE9ELNS1_11target_archE1100ELNS1_3gpuE3ELNS1_3repE0EEENS1_30default_config_static_selectorELNS0_4arch9wavefront6targetE0EEEvT1_,"axG",@progbits,_ZN7rocprim17ROCPRIM_400000_NS6detail17trampoline_kernelINS0_14default_configENS1_27scan_by_key_config_selectorIifEEZZNS1_16scan_by_key_implILNS1_25lookback_scan_determinismE0ELb1ES3_N6thrust23THRUST_200600_302600_NS6detail15normal_iteratorINS9_10device_ptrIiEEEENSB_INSC_IjEEEESE_fNS9_4plusIvEENS9_8equal_toIvEEfEE10hipError_tPvRmT2_T3_T4_T5_mT6_T7_P12ihipStream_tbENKUlT_T0_E_clISt17integral_constantIbLb0EES11_EEDaSW_SX_EUlSW_E_NS1_11comp_targetILNS1_3genE9ELNS1_11target_archE1100ELNS1_3gpuE3ELNS1_3repE0EEENS1_30default_config_static_selectorELNS0_4arch9wavefront6targetE0EEEvT1_,comdat
	.protected	_ZN7rocprim17ROCPRIM_400000_NS6detail17trampoline_kernelINS0_14default_configENS1_27scan_by_key_config_selectorIifEEZZNS1_16scan_by_key_implILNS1_25lookback_scan_determinismE0ELb1ES3_N6thrust23THRUST_200600_302600_NS6detail15normal_iteratorINS9_10device_ptrIiEEEENSB_INSC_IjEEEESE_fNS9_4plusIvEENS9_8equal_toIvEEfEE10hipError_tPvRmT2_T3_T4_T5_mT6_T7_P12ihipStream_tbENKUlT_T0_E_clISt17integral_constantIbLb0EES11_EEDaSW_SX_EUlSW_E_NS1_11comp_targetILNS1_3genE9ELNS1_11target_archE1100ELNS1_3gpuE3ELNS1_3repE0EEENS1_30default_config_static_selectorELNS0_4arch9wavefront6targetE0EEEvT1_ ; -- Begin function _ZN7rocprim17ROCPRIM_400000_NS6detail17trampoline_kernelINS0_14default_configENS1_27scan_by_key_config_selectorIifEEZZNS1_16scan_by_key_implILNS1_25lookback_scan_determinismE0ELb1ES3_N6thrust23THRUST_200600_302600_NS6detail15normal_iteratorINS9_10device_ptrIiEEEENSB_INSC_IjEEEESE_fNS9_4plusIvEENS9_8equal_toIvEEfEE10hipError_tPvRmT2_T3_T4_T5_mT6_T7_P12ihipStream_tbENKUlT_T0_E_clISt17integral_constantIbLb0EES11_EEDaSW_SX_EUlSW_E_NS1_11comp_targetILNS1_3genE9ELNS1_11target_archE1100ELNS1_3gpuE3ELNS1_3repE0EEENS1_30default_config_static_selectorELNS0_4arch9wavefront6targetE0EEEvT1_
	.globl	_ZN7rocprim17ROCPRIM_400000_NS6detail17trampoline_kernelINS0_14default_configENS1_27scan_by_key_config_selectorIifEEZZNS1_16scan_by_key_implILNS1_25lookback_scan_determinismE0ELb1ES3_N6thrust23THRUST_200600_302600_NS6detail15normal_iteratorINS9_10device_ptrIiEEEENSB_INSC_IjEEEESE_fNS9_4plusIvEENS9_8equal_toIvEEfEE10hipError_tPvRmT2_T3_T4_T5_mT6_T7_P12ihipStream_tbENKUlT_T0_E_clISt17integral_constantIbLb0EES11_EEDaSW_SX_EUlSW_E_NS1_11comp_targetILNS1_3genE9ELNS1_11target_archE1100ELNS1_3gpuE3ELNS1_3repE0EEENS1_30default_config_static_selectorELNS0_4arch9wavefront6targetE0EEEvT1_
	.p2align	8
	.type	_ZN7rocprim17ROCPRIM_400000_NS6detail17trampoline_kernelINS0_14default_configENS1_27scan_by_key_config_selectorIifEEZZNS1_16scan_by_key_implILNS1_25lookback_scan_determinismE0ELb1ES3_N6thrust23THRUST_200600_302600_NS6detail15normal_iteratorINS9_10device_ptrIiEEEENSB_INSC_IjEEEESE_fNS9_4plusIvEENS9_8equal_toIvEEfEE10hipError_tPvRmT2_T3_T4_T5_mT6_T7_P12ihipStream_tbENKUlT_T0_E_clISt17integral_constantIbLb0EES11_EEDaSW_SX_EUlSW_E_NS1_11comp_targetILNS1_3genE9ELNS1_11target_archE1100ELNS1_3gpuE3ELNS1_3repE0EEENS1_30default_config_static_selectorELNS0_4arch9wavefront6targetE0EEEvT1_,@function
_ZN7rocprim17ROCPRIM_400000_NS6detail17trampoline_kernelINS0_14default_configENS1_27scan_by_key_config_selectorIifEEZZNS1_16scan_by_key_implILNS1_25lookback_scan_determinismE0ELb1ES3_N6thrust23THRUST_200600_302600_NS6detail15normal_iteratorINS9_10device_ptrIiEEEENSB_INSC_IjEEEESE_fNS9_4plusIvEENS9_8equal_toIvEEfEE10hipError_tPvRmT2_T3_T4_T5_mT6_T7_P12ihipStream_tbENKUlT_T0_E_clISt17integral_constantIbLb0EES11_EEDaSW_SX_EUlSW_E_NS1_11comp_targetILNS1_3genE9ELNS1_11target_archE1100ELNS1_3gpuE3ELNS1_3repE0EEENS1_30default_config_static_selectorELNS0_4arch9wavefront6targetE0EEEvT1_: ; @_ZN7rocprim17ROCPRIM_400000_NS6detail17trampoline_kernelINS0_14default_configENS1_27scan_by_key_config_selectorIifEEZZNS1_16scan_by_key_implILNS1_25lookback_scan_determinismE0ELb1ES3_N6thrust23THRUST_200600_302600_NS6detail15normal_iteratorINS9_10device_ptrIiEEEENSB_INSC_IjEEEESE_fNS9_4plusIvEENS9_8equal_toIvEEfEE10hipError_tPvRmT2_T3_T4_T5_mT6_T7_P12ihipStream_tbENKUlT_T0_E_clISt17integral_constantIbLb0EES11_EEDaSW_SX_EUlSW_E_NS1_11comp_targetILNS1_3genE9ELNS1_11target_archE1100ELNS1_3gpuE3ELNS1_3repE0EEENS1_30default_config_static_selectorELNS0_4arch9wavefront6targetE0EEEvT1_
; %bb.0:
	.section	.rodata,"a",@progbits
	.p2align	6, 0x0
	.amdhsa_kernel _ZN7rocprim17ROCPRIM_400000_NS6detail17trampoline_kernelINS0_14default_configENS1_27scan_by_key_config_selectorIifEEZZNS1_16scan_by_key_implILNS1_25lookback_scan_determinismE0ELb1ES3_N6thrust23THRUST_200600_302600_NS6detail15normal_iteratorINS9_10device_ptrIiEEEENSB_INSC_IjEEEESE_fNS9_4plusIvEENS9_8equal_toIvEEfEE10hipError_tPvRmT2_T3_T4_T5_mT6_T7_P12ihipStream_tbENKUlT_T0_E_clISt17integral_constantIbLb0EES11_EEDaSW_SX_EUlSW_E_NS1_11comp_targetILNS1_3genE9ELNS1_11target_archE1100ELNS1_3gpuE3ELNS1_3repE0EEENS1_30default_config_static_selectorELNS0_4arch9wavefront6targetE0EEEvT1_
		.amdhsa_group_segment_fixed_size 0
		.amdhsa_private_segment_fixed_size 0
		.amdhsa_kernarg_size 112
		.amdhsa_user_sgpr_count 6
		.amdhsa_user_sgpr_private_segment_buffer 1
		.amdhsa_user_sgpr_dispatch_ptr 0
		.amdhsa_user_sgpr_queue_ptr 0
		.amdhsa_user_sgpr_kernarg_segment_ptr 1
		.amdhsa_user_sgpr_dispatch_id 0
		.amdhsa_user_sgpr_flat_scratch_init 0
		.amdhsa_user_sgpr_private_segment_size 0
		.amdhsa_wavefront_size32 1
		.amdhsa_uses_dynamic_stack 0
		.amdhsa_system_sgpr_private_segment_wavefront_offset 0
		.amdhsa_system_sgpr_workgroup_id_x 1
		.amdhsa_system_sgpr_workgroup_id_y 0
		.amdhsa_system_sgpr_workgroup_id_z 0
		.amdhsa_system_sgpr_workgroup_info 0
		.amdhsa_system_vgpr_workitem_id 0
		.amdhsa_next_free_vgpr 1
		.amdhsa_next_free_sgpr 1
		.amdhsa_reserve_vcc 0
		.amdhsa_reserve_flat_scratch 0
		.amdhsa_float_round_mode_32 0
		.amdhsa_float_round_mode_16_64 0
		.amdhsa_float_denorm_mode_32 3
		.amdhsa_float_denorm_mode_16_64 3
		.amdhsa_dx10_clamp 1
		.amdhsa_ieee_mode 1
		.amdhsa_fp16_overflow 0
		.amdhsa_workgroup_processor_mode 1
		.amdhsa_memory_ordered 1
		.amdhsa_forward_progress 1
		.amdhsa_shared_vgpr_count 0
		.amdhsa_exception_fp_ieee_invalid_op 0
		.amdhsa_exception_fp_denorm_src 0
		.amdhsa_exception_fp_ieee_div_zero 0
		.amdhsa_exception_fp_ieee_overflow 0
		.amdhsa_exception_fp_ieee_underflow 0
		.amdhsa_exception_fp_ieee_inexact 0
		.amdhsa_exception_int_div_zero 0
	.end_amdhsa_kernel
	.section	.text._ZN7rocprim17ROCPRIM_400000_NS6detail17trampoline_kernelINS0_14default_configENS1_27scan_by_key_config_selectorIifEEZZNS1_16scan_by_key_implILNS1_25lookback_scan_determinismE0ELb1ES3_N6thrust23THRUST_200600_302600_NS6detail15normal_iteratorINS9_10device_ptrIiEEEENSB_INSC_IjEEEESE_fNS9_4plusIvEENS9_8equal_toIvEEfEE10hipError_tPvRmT2_T3_T4_T5_mT6_T7_P12ihipStream_tbENKUlT_T0_E_clISt17integral_constantIbLb0EES11_EEDaSW_SX_EUlSW_E_NS1_11comp_targetILNS1_3genE9ELNS1_11target_archE1100ELNS1_3gpuE3ELNS1_3repE0EEENS1_30default_config_static_selectorELNS0_4arch9wavefront6targetE0EEEvT1_,"axG",@progbits,_ZN7rocprim17ROCPRIM_400000_NS6detail17trampoline_kernelINS0_14default_configENS1_27scan_by_key_config_selectorIifEEZZNS1_16scan_by_key_implILNS1_25lookback_scan_determinismE0ELb1ES3_N6thrust23THRUST_200600_302600_NS6detail15normal_iteratorINS9_10device_ptrIiEEEENSB_INSC_IjEEEESE_fNS9_4plusIvEENS9_8equal_toIvEEfEE10hipError_tPvRmT2_T3_T4_T5_mT6_T7_P12ihipStream_tbENKUlT_T0_E_clISt17integral_constantIbLb0EES11_EEDaSW_SX_EUlSW_E_NS1_11comp_targetILNS1_3genE9ELNS1_11target_archE1100ELNS1_3gpuE3ELNS1_3repE0EEENS1_30default_config_static_selectorELNS0_4arch9wavefront6targetE0EEEvT1_,comdat
.Lfunc_end1795:
	.size	_ZN7rocprim17ROCPRIM_400000_NS6detail17trampoline_kernelINS0_14default_configENS1_27scan_by_key_config_selectorIifEEZZNS1_16scan_by_key_implILNS1_25lookback_scan_determinismE0ELb1ES3_N6thrust23THRUST_200600_302600_NS6detail15normal_iteratorINS9_10device_ptrIiEEEENSB_INSC_IjEEEESE_fNS9_4plusIvEENS9_8equal_toIvEEfEE10hipError_tPvRmT2_T3_T4_T5_mT6_T7_P12ihipStream_tbENKUlT_T0_E_clISt17integral_constantIbLb0EES11_EEDaSW_SX_EUlSW_E_NS1_11comp_targetILNS1_3genE9ELNS1_11target_archE1100ELNS1_3gpuE3ELNS1_3repE0EEENS1_30default_config_static_selectorELNS0_4arch9wavefront6targetE0EEEvT1_, .Lfunc_end1795-_ZN7rocprim17ROCPRIM_400000_NS6detail17trampoline_kernelINS0_14default_configENS1_27scan_by_key_config_selectorIifEEZZNS1_16scan_by_key_implILNS1_25lookback_scan_determinismE0ELb1ES3_N6thrust23THRUST_200600_302600_NS6detail15normal_iteratorINS9_10device_ptrIiEEEENSB_INSC_IjEEEESE_fNS9_4plusIvEENS9_8equal_toIvEEfEE10hipError_tPvRmT2_T3_T4_T5_mT6_T7_P12ihipStream_tbENKUlT_T0_E_clISt17integral_constantIbLb0EES11_EEDaSW_SX_EUlSW_E_NS1_11comp_targetILNS1_3genE9ELNS1_11target_archE1100ELNS1_3gpuE3ELNS1_3repE0EEENS1_30default_config_static_selectorELNS0_4arch9wavefront6targetE0EEEvT1_
                                        ; -- End function
	.set _ZN7rocprim17ROCPRIM_400000_NS6detail17trampoline_kernelINS0_14default_configENS1_27scan_by_key_config_selectorIifEEZZNS1_16scan_by_key_implILNS1_25lookback_scan_determinismE0ELb1ES3_N6thrust23THRUST_200600_302600_NS6detail15normal_iteratorINS9_10device_ptrIiEEEENSB_INSC_IjEEEESE_fNS9_4plusIvEENS9_8equal_toIvEEfEE10hipError_tPvRmT2_T3_T4_T5_mT6_T7_P12ihipStream_tbENKUlT_T0_E_clISt17integral_constantIbLb0EES11_EEDaSW_SX_EUlSW_E_NS1_11comp_targetILNS1_3genE9ELNS1_11target_archE1100ELNS1_3gpuE3ELNS1_3repE0EEENS1_30default_config_static_selectorELNS0_4arch9wavefront6targetE0EEEvT1_.num_vgpr, 0
	.set _ZN7rocprim17ROCPRIM_400000_NS6detail17trampoline_kernelINS0_14default_configENS1_27scan_by_key_config_selectorIifEEZZNS1_16scan_by_key_implILNS1_25lookback_scan_determinismE0ELb1ES3_N6thrust23THRUST_200600_302600_NS6detail15normal_iteratorINS9_10device_ptrIiEEEENSB_INSC_IjEEEESE_fNS9_4plusIvEENS9_8equal_toIvEEfEE10hipError_tPvRmT2_T3_T4_T5_mT6_T7_P12ihipStream_tbENKUlT_T0_E_clISt17integral_constantIbLb0EES11_EEDaSW_SX_EUlSW_E_NS1_11comp_targetILNS1_3genE9ELNS1_11target_archE1100ELNS1_3gpuE3ELNS1_3repE0EEENS1_30default_config_static_selectorELNS0_4arch9wavefront6targetE0EEEvT1_.num_agpr, 0
	.set _ZN7rocprim17ROCPRIM_400000_NS6detail17trampoline_kernelINS0_14default_configENS1_27scan_by_key_config_selectorIifEEZZNS1_16scan_by_key_implILNS1_25lookback_scan_determinismE0ELb1ES3_N6thrust23THRUST_200600_302600_NS6detail15normal_iteratorINS9_10device_ptrIiEEEENSB_INSC_IjEEEESE_fNS9_4plusIvEENS9_8equal_toIvEEfEE10hipError_tPvRmT2_T3_T4_T5_mT6_T7_P12ihipStream_tbENKUlT_T0_E_clISt17integral_constantIbLb0EES11_EEDaSW_SX_EUlSW_E_NS1_11comp_targetILNS1_3genE9ELNS1_11target_archE1100ELNS1_3gpuE3ELNS1_3repE0EEENS1_30default_config_static_selectorELNS0_4arch9wavefront6targetE0EEEvT1_.numbered_sgpr, 0
	.set _ZN7rocprim17ROCPRIM_400000_NS6detail17trampoline_kernelINS0_14default_configENS1_27scan_by_key_config_selectorIifEEZZNS1_16scan_by_key_implILNS1_25lookback_scan_determinismE0ELb1ES3_N6thrust23THRUST_200600_302600_NS6detail15normal_iteratorINS9_10device_ptrIiEEEENSB_INSC_IjEEEESE_fNS9_4plusIvEENS9_8equal_toIvEEfEE10hipError_tPvRmT2_T3_T4_T5_mT6_T7_P12ihipStream_tbENKUlT_T0_E_clISt17integral_constantIbLb0EES11_EEDaSW_SX_EUlSW_E_NS1_11comp_targetILNS1_3genE9ELNS1_11target_archE1100ELNS1_3gpuE3ELNS1_3repE0EEENS1_30default_config_static_selectorELNS0_4arch9wavefront6targetE0EEEvT1_.num_named_barrier, 0
	.set _ZN7rocprim17ROCPRIM_400000_NS6detail17trampoline_kernelINS0_14default_configENS1_27scan_by_key_config_selectorIifEEZZNS1_16scan_by_key_implILNS1_25lookback_scan_determinismE0ELb1ES3_N6thrust23THRUST_200600_302600_NS6detail15normal_iteratorINS9_10device_ptrIiEEEENSB_INSC_IjEEEESE_fNS9_4plusIvEENS9_8equal_toIvEEfEE10hipError_tPvRmT2_T3_T4_T5_mT6_T7_P12ihipStream_tbENKUlT_T0_E_clISt17integral_constantIbLb0EES11_EEDaSW_SX_EUlSW_E_NS1_11comp_targetILNS1_3genE9ELNS1_11target_archE1100ELNS1_3gpuE3ELNS1_3repE0EEENS1_30default_config_static_selectorELNS0_4arch9wavefront6targetE0EEEvT1_.private_seg_size, 0
	.set _ZN7rocprim17ROCPRIM_400000_NS6detail17trampoline_kernelINS0_14default_configENS1_27scan_by_key_config_selectorIifEEZZNS1_16scan_by_key_implILNS1_25lookback_scan_determinismE0ELb1ES3_N6thrust23THRUST_200600_302600_NS6detail15normal_iteratorINS9_10device_ptrIiEEEENSB_INSC_IjEEEESE_fNS9_4plusIvEENS9_8equal_toIvEEfEE10hipError_tPvRmT2_T3_T4_T5_mT6_T7_P12ihipStream_tbENKUlT_T0_E_clISt17integral_constantIbLb0EES11_EEDaSW_SX_EUlSW_E_NS1_11comp_targetILNS1_3genE9ELNS1_11target_archE1100ELNS1_3gpuE3ELNS1_3repE0EEENS1_30default_config_static_selectorELNS0_4arch9wavefront6targetE0EEEvT1_.uses_vcc, 0
	.set _ZN7rocprim17ROCPRIM_400000_NS6detail17trampoline_kernelINS0_14default_configENS1_27scan_by_key_config_selectorIifEEZZNS1_16scan_by_key_implILNS1_25lookback_scan_determinismE0ELb1ES3_N6thrust23THRUST_200600_302600_NS6detail15normal_iteratorINS9_10device_ptrIiEEEENSB_INSC_IjEEEESE_fNS9_4plusIvEENS9_8equal_toIvEEfEE10hipError_tPvRmT2_T3_T4_T5_mT6_T7_P12ihipStream_tbENKUlT_T0_E_clISt17integral_constantIbLb0EES11_EEDaSW_SX_EUlSW_E_NS1_11comp_targetILNS1_3genE9ELNS1_11target_archE1100ELNS1_3gpuE3ELNS1_3repE0EEENS1_30default_config_static_selectorELNS0_4arch9wavefront6targetE0EEEvT1_.uses_flat_scratch, 0
	.set _ZN7rocprim17ROCPRIM_400000_NS6detail17trampoline_kernelINS0_14default_configENS1_27scan_by_key_config_selectorIifEEZZNS1_16scan_by_key_implILNS1_25lookback_scan_determinismE0ELb1ES3_N6thrust23THRUST_200600_302600_NS6detail15normal_iteratorINS9_10device_ptrIiEEEENSB_INSC_IjEEEESE_fNS9_4plusIvEENS9_8equal_toIvEEfEE10hipError_tPvRmT2_T3_T4_T5_mT6_T7_P12ihipStream_tbENKUlT_T0_E_clISt17integral_constantIbLb0EES11_EEDaSW_SX_EUlSW_E_NS1_11comp_targetILNS1_3genE9ELNS1_11target_archE1100ELNS1_3gpuE3ELNS1_3repE0EEENS1_30default_config_static_selectorELNS0_4arch9wavefront6targetE0EEEvT1_.has_dyn_sized_stack, 0
	.set _ZN7rocprim17ROCPRIM_400000_NS6detail17trampoline_kernelINS0_14default_configENS1_27scan_by_key_config_selectorIifEEZZNS1_16scan_by_key_implILNS1_25lookback_scan_determinismE0ELb1ES3_N6thrust23THRUST_200600_302600_NS6detail15normal_iteratorINS9_10device_ptrIiEEEENSB_INSC_IjEEEESE_fNS9_4plusIvEENS9_8equal_toIvEEfEE10hipError_tPvRmT2_T3_T4_T5_mT6_T7_P12ihipStream_tbENKUlT_T0_E_clISt17integral_constantIbLb0EES11_EEDaSW_SX_EUlSW_E_NS1_11comp_targetILNS1_3genE9ELNS1_11target_archE1100ELNS1_3gpuE3ELNS1_3repE0EEENS1_30default_config_static_selectorELNS0_4arch9wavefront6targetE0EEEvT1_.has_recursion, 0
	.set _ZN7rocprim17ROCPRIM_400000_NS6detail17trampoline_kernelINS0_14default_configENS1_27scan_by_key_config_selectorIifEEZZNS1_16scan_by_key_implILNS1_25lookback_scan_determinismE0ELb1ES3_N6thrust23THRUST_200600_302600_NS6detail15normal_iteratorINS9_10device_ptrIiEEEENSB_INSC_IjEEEESE_fNS9_4plusIvEENS9_8equal_toIvEEfEE10hipError_tPvRmT2_T3_T4_T5_mT6_T7_P12ihipStream_tbENKUlT_T0_E_clISt17integral_constantIbLb0EES11_EEDaSW_SX_EUlSW_E_NS1_11comp_targetILNS1_3genE9ELNS1_11target_archE1100ELNS1_3gpuE3ELNS1_3repE0EEENS1_30default_config_static_selectorELNS0_4arch9wavefront6targetE0EEEvT1_.has_indirect_call, 0
	.section	.AMDGPU.csdata,"",@progbits
; Kernel info:
; codeLenInByte = 0
; TotalNumSgprs: 0
; NumVgprs: 0
; ScratchSize: 0
; MemoryBound: 0
; FloatMode: 240
; IeeeMode: 1
; LDSByteSize: 0 bytes/workgroup (compile time only)
; SGPRBlocks: 0
; VGPRBlocks: 0
; NumSGPRsForWavesPerEU: 1
; NumVGPRsForWavesPerEU: 1
; Occupancy: 16
; WaveLimiterHint : 0
; COMPUTE_PGM_RSRC2:SCRATCH_EN: 0
; COMPUTE_PGM_RSRC2:USER_SGPR: 6
; COMPUTE_PGM_RSRC2:TRAP_HANDLER: 0
; COMPUTE_PGM_RSRC2:TGID_X_EN: 1
; COMPUTE_PGM_RSRC2:TGID_Y_EN: 0
; COMPUTE_PGM_RSRC2:TGID_Z_EN: 0
; COMPUTE_PGM_RSRC2:TIDIG_COMP_CNT: 0
	.section	.text._ZN7rocprim17ROCPRIM_400000_NS6detail17trampoline_kernelINS0_14default_configENS1_27scan_by_key_config_selectorIifEEZZNS1_16scan_by_key_implILNS1_25lookback_scan_determinismE0ELb1ES3_N6thrust23THRUST_200600_302600_NS6detail15normal_iteratorINS9_10device_ptrIiEEEENSB_INSC_IjEEEESE_fNS9_4plusIvEENS9_8equal_toIvEEfEE10hipError_tPvRmT2_T3_T4_T5_mT6_T7_P12ihipStream_tbENKUlT_T0_E_clISt17integral_constantIbLb0EES11_EEDaSW_SX_EUlSW_E_NS1_11comp_targetILNS1_3genE8ELNS1_11target_archE1030ELNS1_3gpuE2ELNS1_3repE0EEENS1_30default_config_static_selectorELNS0_4arch9wavefront6targetE0EEEvT1_,"axG",@progbits,_ZN7rocprim17ROCPRIM_400000_NS6detail17trampoline_kernelINS0_14default_configENS1_27scan_by_key_config_selectorIifEEZZNS1_16scan_by_key_implILNS1_25lookback_scan_determinismE0ELb1ES3_N6thrust23THRUST_200600_302600_NS6detail15normal_iteratorINS9_10device_ptrIiEEEENSB_INSC_IjEEEESE_fNS9_4plusIvEENS9_8equal_toIvEEfEE10hipError_tPvRmT2_T3_T4_T5_mT6_T7_P12ihipStream_tbENKUlT_T0_E_clISt17integral_constantIbLb0EES11_EEDaSW_SX_EUlSW_E_NS1_11comp_targetILNS1_3genE8ELNS1_11target_archE1030ELNS1_3gpuE2ELNS1_3repE0EEENS1_30default_config_static_selectorELNS0_4arch9wavefront6targetE0EEEvT1_,comdat
	.protected	_ZN7rocprim17ROCPRIM_400000_NS6detail17trampoline_kernelINS0_14default_configENS1_27scan_by_key_config_selectorIifEEZZNS1_16scan_by_key_implILNS1_25lookback_scan_determinismE0ELb1ES3_N6thrust23THRUST_200600_302600_NS6detail15normal_iteratorINS9_10device_ptrIiEEEENSB_INSC_IjEEEESE_fNS9_4plusIvEENS9_8equal_toIvEEfEE10hipError_tPvRmT2_T3_T4_T5_mT6_T7_P12ihipStream_tbENKUlT_T0_E_clISt17integral_constantIbLb0EES11_EEDaSW_SX_EUlSW_E_NS1_11comp_targetILNS1_3genE8ELNS1_11target_archE1030ELNS1_3gpuE2ELNS1_3repE0EEENS1_30default_config_static_selectorELNS0_4arch9wavefront6targetE0EEEvT1_ ; -- Begin function _ZN7rocprim17ROCPRIM_400000_NS6detail17trampoline_kernelINS0_14default_configENS1_27scan_by_key_config_selectorIifEEZZNS1_16scan_by_key_implILNS1_25lookback_scan_determinismE0ELb1ES3_N6thrust23THRUST_200600_302600_NS6detail15normal_iteratorINS9_10device_ptrIiEEEENSB_INSC_IjEEEESE_fNS9_4plusIvEENS9_8equal_toIvEEfEE10hipError_tPvRmT2_T3_T4_T5_mT6_T7_P12ihipStream_tbENKUlT_T0_E_clISt17integral_constantIbLb0EES11_EEDaSW_SX_EUlSW_E_NS1_11comp_targetILNS1_3genE8ELNS1_11target_archE1030ELNS1_3gpuE2ELNS1_3repE0EEENS1_30default_config_static_selectorELNS0_4arch9wavefront6targetE0EEEvT1_
	.globl	_ZN7rocprim17ROCPRIM_400000_NS6detail17trampoline_kernelINS0_14default_configENS1_27scan_by_key_config_selectorIifEEZZNS1_16scan_by_key_implILNS1_25lookback_scan_determinismE0ELb1ES3_N6thrust23THRUST_200600_302600_NS6detail15normal_iteratorINS9_10device_ptrIiEEEENSB_INSC_IjEEEESE_fNS9_4plusIvEENS9_8equal_toIvEEfEE10hipError_tPvRmT2_T3_T4_T5_mT6_T7_P12ihipStream_tbENKUlT_T0_E_clISt17integral_constantIbLb0EES11_EEDaSW_SX_EUlSW_E_NS1_11comp_targetILNS1_3genE8ELNS1_11target_archE1030ELNS1_3gpuE2ELNS1_3repE0EEENS1_30default_config_static_selectorELNS0_4arch9wavefront6targetE0EEEvT1_
	.p2align	8
	.type	_ZN7rocprim17ROCPRIM_400000_NS6detail17trampoline_kernelINS0_14default_configENS1_27scan_by_key_config_selectorIifEEZZNS1_16scan_by_key_implILNS1_25lookback_scan_determinismE0ELb1ES3_N6thrust23THRUST_200600_302600_NS6detail15normal_iteratorINS9_10device_ptrIiEEEENSB_INSC_IjEEEESE_fNS9_4plusIvEENS9_8equal_toIvEEfEE10hipError_tPvRmT2_T3_T4_T5_mT6_T7_P12ihipStream_tbENKUlT_T0_E_clISt17integral_constantIbLb0EES11_EEDaSW_SX_EUlSW_E_NS1_11comp_targetILNS1_3genE8ELNS1_11target_archE1030ELNS1_3gpuE2ELNS1_3repE0EEENS1_30default_config_static_selectorELNS0_4arch9wavefront6targetE0EEEvT1_,@function
_ZN7rocprim17ROCPRIM_400000_NS6detail17trampoline_kernelINS0_14default_configENS1_27scan_by_key_config_selectorIifEEZZNS1_16scan_by_key_implILNS1_25lookback_scan_determinismE0ELb1ES3_N6thrust23THRUST_200600_302600_NS6detail15normal_iteratorINS9_10device_ptrIiEEEENSB_INSC_IjEEEESE_fNS9_4plusIvEENS9_8equal_toIvEEfEE10hipError_tPvRmT2_T3_T4_T5_mT6_T7_P12ihipStream_tbENKUlT_T0_E_clISt17integral_constantIbLb0EES11_EEDaSW_SX_EUlSW_E_NS1_11comp_targetILNS1_3genE8ELNS1_11target_archE1030ELNS1_3gpuE2ELNS1_3repE0EEENS1_30default_config_static_selectorELNS0_4arch9wavefront6targetE0EEEvT1_: ; @_ZN7rocprim17ROCPRIM_400000_NS6detail17trampoline_kernelINS0_14default_configENS1_27scan_by_key_config_selectorIifEEZZNS1_16scan_by_key_implILNS1_25lookback_scan_determinismE0ELb1ES3_N6thrust23THRUST_200600_302600_NS6detail15normal_iteratorINS9_10device_ptrIiEEEENSB_INSC_IjEEEESE_fNS9_4plusIvEENS9_8equal_toIvEEfEE10hipError_tPvRmT2_T3_T4_T5_mT6_T7_P12ihipStream_tbENKUlT_T0_E_clISt17integral_constantIbLb0EES11_EEDaSW_SX_EUlSW_E_NS1_11comp_targetILNS1_3genE8ELNS1_11target_archE1030ELNS1_3gpuE2ELNS1_3repE0EEENS1_30default_config_static_selectorELNS0_4arch9wavefront6targetE0EEEvT1_
; %bb.0:
	s_clause 0x5
	s_load_dwordx8 s[8:15], s[4:5], 0x0
	s_load_dwordx2 s[24:25], s[4:5], 0x38
	s_load_dword s2, s[4:5], 0x40
	s_load_dwordx4 s[20:23], s[4:5], 0x48
	s_load_dword s26, s[4:5], 0x20
	s_load_dwordx4 s[16:19], s[4:5], 0x28
	s_mov_b32 s1, 0
	s_mul_i32 s0, s6, 0x300
	s_waitcnt lgkmcnt(0)
	s_barrier
	buffer_gl0_inv
	s_lshl_b64 s[4:5], s[10:11], 2
	s_add_u32 s10, s8, s4
	s_addc_u32 s11, s9, s5
	s_mul_i32 s3, s25, s2
	s_mul_hi_u32 s7, s24, s2
	s_add_u32 s12, s12, s4
	s_addc_u32 s13, s13, s5
	s_lshl_b64 s[8:9], s[0:1], 2
	s_add_i32 s7, s7, s3
	s_add_u32 s10, s10, s8
	s_addc_u32 s11, s11, s9
	s_mul_i32 s0, s24, s2
	s_add_u32 s12, s12, s8
	s_addc_u32 s13, s13, s9
	s_add_u32 s2, s0, s6
	s_addc_u32 s3, s7, 0
	s_add_u32 s20, s20, -1
	s_addc_u32 s21, s21, -1
	s_mul_i32 s7, s20, 0xfffffd00
	v_cmp_ge_u64_e64 s3, s[2:3], s[20:21]
	s_and_b32 vcc_lo, exec_lo, s3
	s_cbranch_vccz .LBB1796_20
; %bb.1:
	v_mov_b32_e32 v1, s10
	v_mov_b32_e32 v2, s11
	s_add_i32 s19, s7, s18
	v_cmp_gt_u32_e64 s1, s19, v0
	flat_load_dword v1, v[1:2]
	s_waitcnt vmcnt(0) lgkmcnt(0)
	v_mov_b32_e32 v2, v1
	s_and_saveexec_b32 s0, s1
	s_cbranch_execz .LBB1796_3
; %bb.2:
	v_lshlrev_b32_e32 v2, 2, v0
	v_add_co_u32 v2, s2, s10, v2
	v_add_co_ci_u32_e64 v3, null, s11, 0, s2
	flat_load_dword v2, v[2:3]
.LBB1796_3:
	s_or_b32 exec_lo, exec_lo, s0
	v_or_b32_e32 v3, 0x100, v0
	v_cmp_gt_u32_e64 s0, s19, v3
	v_mov_b32_e32 v3, v1
	s_and_saveexec_b32 s2, s0
	s_cbranch_execz .LBB1796_5
; %bb.4:
	v_lshlrev_b32_e32 v3, 2, v0
	v_add_co_u32 v3, s20, s10, v3
	v_add_co_ci_u32_e64 v4, null, s11, 0, s20
	flat_load_dword v3, v[3:4] offset:1024
.LBB1796_5:
	s_or_b32 exec_lo, exec_lo, s2
	v_or_b32_e32 v4, 0x200, v0
	v_cmp_gt_u32_e32 vcc_lo, s19, v4
	v_lshlrev_b32_e32 v8, 2, v4
	s_and_saveexec_b32 s2, vcc_lo
	s_cbranch_execz .LBB1796_7
; %bb.6:
	v_add_co_u32 v4, s20, s10, v8
	v_add_co_ci_u32_e64 v5, null, s11, 0, s20
	flat_load_dword v1, v[4:5]
.LBB1796_7:
	s_or_b32 exec_lo, exec_lo, s2
	v_mov_b32_e32 v4, s10
	v_lshlrev_b32_e32 v10, 2, v0
	v_mov_b32_e32 v5, s11
	s_mov_b32 s20, exec_lo
	s_waitcnt vmcnt(0) lgkmcnt(0)
	ds_write2st64_b32 v10, v2, v3 offset1:4
	ds_write_b32 v10, v1 offset:2048
	s_waitcnt lgkmcnt(0)
	s_barrier
	buffer_gl0_inv
	flat_load_dword v6, v[4:5]
	v_lshlrev_b32_e32 v1, 3, v0
	v_add_nc_u32_e32 v7, v10, v1
	ds_read_b32 v9, v7
	ds_read2_b32 v[4:5], v7 offset0:1 offset1:2
	s_waitcnt lgkmcnt(1)
	ds_write_b32 v10, v9 offset:4096
	s_waitcnt vmcnt(0) lgkmcnt(0)
	s_barrier
	buffer_gl0_inv
	v_cmpx_ne_u32_e32 0xff, v0
; %bb.8:
	v_sub_nc_u32_e32 v1, 0, v1
	v_add_nc_u32_e32 v1, v7, v1
	ds_read_b32 v6, v1 offset:4100
; %bb.9:
	s_or_b32 exec_lo, exec_lo, s20
	v_mov_b32_e32 v1, 0
	s_waitcnt lgkmcnt(0)
	s_barrier
	buffer_gl0_inv
	v_mov_b32_e32 v2, v1
	v_mov_b32_e32 v3, v1
	s_and_saveexec_b32 s2, s1
	s_cbranch_execnz .LBB1796_128
; %bb.10:
	s_or_b32 exec_lo, exec_lo, s2
	s_and_saveexec_b32 s1, s0
	s_cbranch_execnz .LBB1796_129
.LBB1796_11:
	s_or_b32 exec_lo, exec_lo, s1
	v_mul_u32_u24_e32 v11, 3, v0
	s_and_saveexec_b32 s0, vcc_lo
	s_cbranch_execz .LBB1796_13
.LBB1796_12:
	v_add_co_u32 v12, s1, s12, v8
	v_add_co_ci_u32_e64 v13, null, s13, 0, s1
	flat_load_dword v3, v[12:13]
	s_waitcnt vmcnt(0) lgkmcnt(0)
	v_cvt_f32_u32_e32 v3, v3
.LBB1796_13:
	s_or_b32 exec_lo, exec_lo, s0
	ds_write2st64_b32 v10, v1, v2 offset1:4
	ds_write_b32 v10, v3 offset:2048
	v_mov_b32_e32 v1, 0
	v_mov_b32_e32 v14, 0
	;; [unrolled: 1-line block ×8, first 2 shown]
	s_mov_b32 s20, 0
	s_mov_b32 s1, 0
	s_mov_b32 s21, exec_lo
	s_waitcnt lgkmcnt(0)
	s_barrier
	buffer_gl0_inv
                                        ; implicit-def: $sgpr2
	v_cmpx_gt_u32_e64 s19, v11
	s_cbranch_execz .LBB1796_19
; %bb.14:
	ds_read_b32 v8, v7
	v_add_nc_u32_e32 v1, 1, v11
	v_mov_b32_e32 v3, 0
	v_mov_b32_e32 v18, 0
	v_cmp_ne_u32_e32 vcc_lo, v9, v4
                                        ; implicit-def: $sgpr2
	v_cmp_gt_u32_e64 s0, s19, v1
	v_mov_b32_e32 v1, 0
	s_and_saveexec_b32 s27, s0
	s_cbranch_execz .LBB1796_18
; %bb.15:
	ds_read2_b32 v[1:2], v7 offset0:1 offset1:2
	v_add_nc_u32_e32 v3, 2, v11
	v_cmp_ne_u32_e64 s0, v4, v5
	v_mov_b32_e32 v18, 0
                                        ; implicit-def: $sgpr2
	v_cmp_gt_u32_e64 s1, s19, v3
	s_mov_b32 s19, 0
	s_and_saveexec_b32 s28, s1
	s_xor_b32 s1, exec_lo, s28
	s_cbranch_execz .LBB1796_17
; %bb.16:
	v_cmp_ne_u32_e64 s2, v5, v6
	s_mov_b32 s19, exec_lo
	s_waitcnt lgkmcnt(0)
	v_cndmask_b32_e64 v18, v2, s26, s2
.LBB1796_17:
	s_or_b32 exec_lo, exec_lo, s1
	v_cndmask_b32_e64 v3, 0, 1, s0
	s_waitcnt lgkmcnt(0)
	v_cndmask_b32_e64 v1, v1, s26, s0
	s_and_b32 s1, s19, exec_lo
.LBB1796_18:
	s_or_b32 exec_lo, exec_lo, s27
	s_waitcnt lgkmcnt(0)
	v_cndmask_b32_e64 v8, v8, s26, vcc_lo
	v_cndmask_b32_e64 v14, 0, 1, vcc_lo
	v_mov_b32_e32 v15, v1
	v_mov_b32_e32 v19, v3
	s_and_b32 s1, s1, exec_lo
	v_mov_b32_e32 v16, v8
.LBB1796_19:
	s_or_b32 exec_lo, exec_lo, s21
	v_lshlrev_b32_e32 v12, 2, v0
	v_lshlrev_b32_e32 v13, 3, v0
	s_and_b32 vcc_lo, exec_lo, s20
	s_cbranch_vccnz .LBB1796_21
	s_branch .LBB1796_24
.LBB1796_20:
                                        ; implicit-def: $sgpr2
                                        ; implicit-def: $vgpr14
                                        ; implicit-def: $vgpr1
                                        ; implicit-def: $vgpr3
                                        ; implicit-def: $vgpr8
                                        ; implicit-def: $vgpr18
                                        ; implicit-def: $vgpr15
                                        ; implicit-def: $vgpr19
                                        ; implicit-def: $vgpr16
	v_lshlrev_b32_e32 v12, 2, v0
	v_lshlrev_b32_e32 v13, 3, v0
	s_cbranch_execz .LBB1796_24
.LBB1796_21:
	v_add_co_u32 v1, s0, s10, v12
	v_add_co_ci_u32_e64 v2, null, s11, 0, s0
	v_add_co_u32 v3, vcc_lo, 0x800, v1
	v_add_co_ci_u32_e64 v4, null, 0, v2, vcc_lo
	s_clause 0x2
	flat_load_dword v5, v[1:2]
	flat_load_dword v6, v[1:2] offset:1024
	flat_load_dword v3, v[3:4]
	v_add_co_u32 v1, s0, 0x800, s10
	v_add_co_ci_u32_e64 v2, null, 0, s11, s0
	s_mov_b32 s0, exec_lo
	s_waitcnt vmcnt(1) lgkmcnt(1)
	ds_write2st64_b32 v12, v5, v6 offset1:4
	s_waitcnt vmcnt(0) lgkmcnt(1)
	ds_write_b32 v12, v3 offset:2048
	s_waitcnt lgkmcnt(0)
	s_barrier
	buffer_gl0_inv
	flat_load_dword v4, v[1:2] offset:1024
	v_add_nc_u32_e32 v5, v12, v13
	ds_read_b32 v3, v5
	ds_read2_b32 v[1:2], v5 offset0:1 offset1:2
	s_waitcnt lgkmcnt(1)
	ds_write_b32 v12, v3 offset:4096
	s_waitcnt vmcnt(0) lgkmcnt(0)
	s_barrier
	buffer_gl0_inv
	v_cmpx_ne_u32_e32 0xff, v0
; %bb.22:
	v_sub_nc_u32_e32 v4, 0, v13
	v_add_nc_u32_e32 v4, v5, v4
	ds_read_b32 v4, v4 offset:4100
; %bb.23:
	s_or_b32 exec_lo, exec_lo, s0
	v_add_co_u32 v6, s0, s12, v12
	v_add_co_ci_u32_e64 v7, null, s13, 0, s0
	s_waitcnt lgkmcnt(0)
	v_add_co_u32 v8, vcc_lo, 0x800, v6
	v_add_co_ci_u32_e64 v9, null, 0, v7, vcc_lo
	s_barrier
	buffer_gl0_inv
	s_clause 0x2
	flat_load_dword v10, v[6:7]
	flat_load_dword v6, v[6:7] offset:1024
	flat_load_dword v7, v[8:9]
	v_cmp_ne_u32_e32 vcc_lo, v1, v2
	v_cmp_ne_u32_e64 s0, v3, v1
	v_cmp_ne_u32_e64 s2, v2, v4
	s_mov_b32 s1, -1
	v_cndmask_b32_e64 v3, 0, 1, vcc_lo
	v_cndmask_b32_e64 v14, 0, 1, s0
	v_mov_b32_e32 v19, v3
	s_waitcnt vmcnt(2) lgkmcnt(2)
	v_cvt_f32_u32_e32 v8, v10
	s_waitcnt vmcnt(1) lgkmcnt(1)
	v_cvt_f32_u32_e32 v6, v6
	;; [unrolled: 2-line block ×3, first 2 shown]
	ds_write2st64_b32 v12, v8, v6 offset1:4
	ds_write_b32 v12, v7 offset:2048
	s_waitcnt lgkmcnt(0)
	s_barrier
	buffer_gl0_inv
	ds_read2_b32 v[6:7], v5 offset1:1
	ds_read_b32 v5, v5 offset:8
	s_waitcnt lgkmcnt(1)
	v_cndmask_b32_e64 v1, v7, s26, vcc_lo
	v_cndmask_b32_e64 v8, v6, s26, s0
	s_waitcnt lgkmcnt(0)
	v_cndmask_b32_e64 v18, v5, s26, s2
	v_mov_b32_e32 v15, v1
	v_mov_b32_e32 v16, v8
.LBB1796_24:
	v_mov_b32_e32 v20, 0
	s_and_saveexec_b32 s0, s1
; %bb.25:
	v_cndmask_b32_e64 v20, 0, 1, s2
	v_mov_b32_e32 v16, v8
	v_mov_b32_e32 v19, v3
	;; [unrolled: 1-line block ×3, first 2 shown]
; %bb.26:
	s_or_b32 exec_lo, exec_lo, s0
	v_add_f32_e32 v22, v16, v15
	v_or_b32_e32 v21, v20, v19
	v_mbcnt_lo_u32_b32 v17, -1, 0
	s_cmp_lg_u32 s6, 0
	v_cmp_eq_u16_e32 vcc_lo, 0, v20
	s_barrier
	buffer_gl0_inv
	s_cbranch_scc0 .LBB1796_80
; %bb.27:
	v_mov_b32_e32 v2, 0
	v_cmp_eq_u16_sdwa s0, v19, v2 src0_sel:BYTE_0 src1_sel:DWORD
	v_cmp_eq_u16_sdwa s1, v21, v2 src0_sel:BYTE_0 src1_sel:DWORD
	v_cndmask_b32_e64 v1, v15, v22, s0
	v_cndmask_b32_e64 v5, 1, v14, s1
	s_mov_b32 s1, exec_lo
	v_add_f32_e32 v1, v1, v18
	v_and_b32_e32 v4, 0xff, v5
	v_cndmask_b32_e32 v3, v18, v1, vcc_lo
	v_and_b32_e32 v1, 15, v17
	v_mov_b32_dpp v6, v4 row_shr:1 row_mask:0xf bank_mask:0xf
	v_mov_b32_dpp v7, v3 row_shr:1 row_mask:0xf bank_mask:0xf
	v_cmpx_ne_u32_e32 0, v1
	s_cbranch_execz .LBB1796_29
; %bb.28:
	v_add_f32_e32 v4, v3, v7
	v_and_b32_e32 v7, 1, v5
	v_cmp_eq_u16_sdwa vcc_lo, v5, v2 src0_sel:BYTE_0 src1_sel:DWORD
	v_and_b32_e32 v6, 1, v6
	v_cndmask_b32_e32 v3, v3, v4, vcc_lo
	v_cmp_eq_u32_e32 vcc_lo, 1, v7
	v_cndmask_b32_e64 v4, v6, 1, vcc_lo
.LBB1796_29:
	s_or_b32 exec_lo, exec_lo, s1
	v_mov_b32_dpp v5, v3 row_shr:2 row_mask:0xf bank_mask:0xf
	v_mov_b32_dpp v2, v4 row_shr:2 row_mask:0xf bank_mask:0xf
	s_mov_b32 s1, exec_lo
	v_cmpx_lt_u32_e32 1, v1
	s_cbranch_execz .LBB1796_31
; %bb.30:
	v_add_f32_e32 v5, v3, v5
	v_and_b32_e32 v6, 1, v4
	v_cmp_eq_u32_e32 vcc_lo, 0, v4
	v_and_b32_e32 v2, 1, v2
	v_cndmask_b32_e32 v3, v3, v5, vcc_lo
	v_cmp_eq_u32_e32 vcc_lo, 1, v6
	v_cndmask_b32_e64 v4, v2, 1, vcc_lo
.LBB1796_31:
	s_or_b32 exec_lo, exec_lo, s1
	v_mov_b32_dpp v5, v3 row_shr:4 row_mask:0xf bank_mask:0xf
	v_mov_b32_dpp v2, v4 row_shr:4 row_mask:0xf bank_mask:0xf
	s_mov_b32 s1, exec_lo
	v_cmpx_lt_u32_e32 3, v1
	s_cbranch_execz .LBB1796_33
; %bb.32:
	v_add_f32_e32 v5, v3, v5
	v_and_b32_e32 v6, 1, v4
	v_cmp_eq_u32_e32 vcc_lo, 0, v4
	v_and_b32_e32 v2, 1, v2
	v_cndmask_b32_e32 v3, v3, v5, vcc_lo
	v_cmp_eq_u32_e32 vcc_lo, 1, v6
	v_cndmask_b32_e64 v4, v2, 1, vcc_lo
.LBB1796_33:
	;; [unrolled: 15-line block ×3, first 2 shown]
	s_or_b32 exec_lo, exec_lo, s1
	ds_swizzle_b32 v2, v3 offset:swizzle(BROADCAST,32,15)
	ds_swizzle_b32 v1, v4 offset:swizzle(BROADCAST,32,15)
	v_and_b32_e32 v5, 16, v17
	s_mov_b32 s1, exec_lo
	v_cmpx_ne_u32_e32 0, v5
	s_cbranch_execz .LBB1796_37
; %bb.36:
	s_waitcnt lgkmcnt(1)
	v_add_f32_e32 v2, v3, v2
	v_and_b32_e32 v5, 1, v4
	v_cmp_eq_u32_e32 vcc_lo, 0, v4
	s_waitcnt lgkmcnt(0)
	v_and_b32_e32 v1, 1, v1
	v_cndmask_b32_e32 v3, v3, v2, vcc_lo
	v_cmp_eq_u32_e32 vcc_lo, 1, v5
	v_cndmask_b32_e64 v4, v1, 1, vcc_lo
.LBB1796_37:
	s_or_b32 exec_lo, exec_lo, s1
	s_waitcnt lgkmcnt(1)
	v_lshrrev_b32_e32 v2, 5, v0
	s_waitcnt lgkmcnt(0)
	v_or_b32_e32 v1, 31, v0
	s_mov_b32 s1, exec_lo
	v_lshlrev_b32_e32 v5, 3, v2
	v_cmpx_eq_u32_e64 v0, v1
	s_cbranch_execz .LBB1796_39
; %bb.38:
	ds_write_b32 v5, v3
	ds_write_b8 v5, v4 offset:4
.LBB1796_39:
	s_or_b32 exec_lo, exec_lo, s1
	s_mov_b32 s2, exec_lo
	s_waitcnt lgkmcnt(0)
	s_barrier
	buffer_gl0_inv
	v_cmpx_gt_u32_e32 8, v0
	s_cbranch_execz .LBB1796_45
; %bb.40:
	ds_read_b64 v[1:2], v13
	v_and_b32_e32 v6, 7, v17
	s_mov_b32 s1, exec_lo
	s_waitcnt lgkmcnt(0)
	v_mov_b32_dpp v8, v1 row_shr:1 row_mask:0xf bank_mask:0xf
	v_mov_b32_dpp v9, v2 row_shr:1 row_mask:0xf bank_mask:0xf
	v_mov_b32_e32 v7, v2
	v_cmpx_ne_u32_e32 0, v6
	s_cbranch_execz .LBB1796_42
; %bb.41:
	v_and_b32_e32 v7, 1, v2
	v_and_b32_e32 v9, 1, v9
	v_mov_b32_e32 v10, 0
	v_add_f32_e32 v8, v1, v8
	v_cmp_eq_u32_e32 vcc_lo, 1, v7
	v_cndmask_b32_e64 v7, v9, 1, vcc_lo
	v_cmp_eq_u16_sdwa vcc_lo, v2, v10 src0_sel:BYTE_0 src1_sel:DWORD
	v_and_or_b32 v2, 0xffffff00, v2, v7
	v_cndmask_b32_e32 v1, v1, v8, vcc_lo
.LBB1796_42:
	s_or_b32 exec_lo, exec_lo, s1
	v_mov_b32_dpp v8, v1 row_shr:2 row_mask:0xf bank_mask:0xf
	v_mov_b32_dpp v9, v2 row_shr:2 row_mask:0xf bank_mask:0xf
	s_mov_b32 s10, exec_lo
	v_cmpx_lt_u32_e32 1, v6
	s_cbranch_execz .LBB1796_44
; %bb.43:
	v_and_b32_e32 v11, 1, v7
	v_mov_b32_e32 v10, 0
	v_and_b32_e32 v9, 1, v9
	v_add_f32_e32 v8, v1, v8
	v_cmp_eq_u32_e64 s1, 1, v11
	v_cmp_eq_u16_sdwa vcc_lo, v7, v10 src0_sel:BYTE_0 src1_sel:DWORD
	v_cndmask_b32_e64 v7, v9, 1, s1
	v_cndmask_b32_e32 v1, v1, v8, vcc_lo
	v_and_or_b32 v2, 0xffffff00, v2, v7
.LBB1796_44:
	s_or_b32 exec_lo, exec_lo, s10
	v_mov_b32_dpp v8, v2 row_shr:4 row_mask:0xf bank_mask:0xf
	v_and_b32_e32 v10, 1, v7
	v_mov_b32_e32 v9, 0
	v_mov_b32_dpp v11, v1 row_shr:4 row_mask:0xf bank_mask:0xf
	v_and_b32_e32 v8, 1, v8
	v_cmp_eq_u32_e32 vcc_lo, 1, v10
	v_cmp_eq_u16_sdwa s1, v7, v9 src0_sel:BYTE_0 src1_sel:DWORD
	v_cndmask_b32_e64 v7, v8, 1, vcc_lo
	v_cmp_lt_u32_e32 vcc_lo, 3, v6
	v_add_f32_e32 v6, v1, v11
	v_cndmask_b32_e32 v2, v2, v7, vcc_lo
	s_and_b32 vcc_lo, vcc_lo, s1
	v_cndmask_b32_e32 v1, v1, v6, vcc_lo
	ds_write_b32 v13, v1
	ds_write_b8 v13, v2 offset:4
.LBB1796_45:
	s_or_b32 exec_lo, exec_lo, s2
	v_mov_b32_e32 v24, 0
	v_mov_b32_e32 v23, 0
	s_mov_b32 s2, exec_lo
	v_cmp_gt_u32_e32 vcc_lo, 32, v0
	s_waitcnt lgkmcnt(0)
	s_barrier
	buffer_gl0_inv
	v_cmpx_lt_u32_e32 31, v0
	s_cbranch_execz .LBB1796_47
; %bb.46:
	v_add_nc_u32_e32 v1, -8, v5
	v_and_b32_e32 v2, 1, v4
	v_cmp_eq_u32_e64 s1, 0, v4
	ds_read_b32 v23, v1
	v_add_nc_u32_e32 v1, -4, v5
	ds_read_u8 v24, v1
	s_waitcnt lgkmcnt(1)
	v_add_f32_e32 v1, v3, v23
	v_cndmask_b32_e64 v3, v3, v1, s1
	v_cmp_eq_u32_e64 s1, 1, v2
	s_waitcnt lgkmcnt(0)
	v_cndmask_b32_e64 v4, v24, 1, s1
.LBB1796_47:
	s_or_b32 exec_lo, exec_lo, s2
	v_sub_co_u32 v1, s1, v17, 1
	v_cmp_gt_i32_e64 s2, 0, v1
	v_cndmask_b32_e64 v1, v1, v17, s2
	v_lshlrev_b32_e32 v1, 2, v1
	ds_bpermute_b32 v25, v1, v3
	ds_bpermute_b32 v26, v1, v4
	s_and_saveexec_b32 s10, vcc_lo
	s_cbranch_execz .LBB1796_85
; %bb.48:
	v_mov_b32_e32 v4, 0
	ds_read_b64 v[1:2], v4 offset:56
	s_and_saveexec_b32 s2, s1
	s_cbranch_execz .LBB1796_50
; %bb.49:
	s_add_i32 s12, s6, 32
	s_mov_b32 s13, 0
	v_mov_b32_e32 v3, 1
	s_lshl_b64 s[12:13], s[12:13], 4
	s_add_u32 s12, s16, s12
	s_addc_u32 s13, s17, s13
	v_mov_b32_e32 v5, s12
	v_mov_b32_e32 v6, s13
	s_waitcnt lgkmcnt(0)
	;;#ASMSTART
	global_store_dwordx4 v[5:6], v[1:4] off	
s_waitcnt vmcnt(0)
	;;#ASMEND
.LBB1796_50:
	s_or_b32 exec_lo, exec_lo, s2
	v_xad_u32 v9, v17, -1, s6
	s_mov_b32 s11, 0
	v_add_nc_u32_e32 v3, 32, v9
	v_lshlrev_b64 v[5:6], 4, v[3:4]
	v_add_co_u32 v10, vcc_lo, s16, v5
	v_add_co_ci_u32_e64 v11, null, s17, v6, vcc_lo
	;;#ASMSTART
	global_load_dwordx4 v[5:8], v[10:11] off glc dlc	
s_waitcnt vmcnt(0)
	;;#ASMEND
	v_cmp_eq_u16_sdwa s12, v7, v4 src0_sel:BYTE_0 src1_sel:DWORD
	s_and_saveexec_b32 s2, s12
	s_cbranch_execz .LBB1796_54
; %bb.51:
	v_mov_b32_e32 v3, 0
.LBB1796_52:                            ; =>This Inner Loop Header: Depth=1
	;;#ASMSTART
	global_load_dwordx4 v[5:8], v[10:11] off glc dlc	
s_waitcnt vmcnt(0)
	;;#ASMEND
	v_cmp_ne_u16_sdwa s12, v7, v3 src0_sel:BYTE_0 src1_sel:DWORD
	s_or_b32 s11, s12, s11
	s_andn2_b32 exec_lo, exec_lo, s11
	s_cbranch_execnz .LBB1796_52
; %bb.53:
	s_or_b32 exec_lo, exec_lo, s11
.LBB1796_54:
	s_or_b32 exec_lo, exec_lo, s2
	v_cmp_ne_u32_e32 vcc_lo, 31, v17
	v_mov_b32_e32 v8, 2
	v_and_b32_e32 v4, 0xff, v6
	v_lshlrev_b32_e64 v27, v17, -1
	s_mov_b32 s11, exec_lo
	v_add_co_ci_u32_e64 v3, null, 0, v17, vcc_lo
	v_cmp_eq_u16_sdwa s2, v7, v8 src0_sel:BYTE_0 src1_sel:DWORD
	v_lshlrev_b32_e32 v11, 2, v3
	v_and_or_b32 v3, s2, v27, 0x80000000
	ds_bpermute_b32 v8, v11, v5
	ds_bpermute_b32 v10, v11, v4
	v_ffbl_b32_e32 v3, v3
	v_cmpx_lt_u32_e64 v17, v3
	s_cbranch_execz .LBB1796_56
; %bb.55:
	v_and_b32_e32 v28, 1, v6
	v_mov_b32_e32 v4, 0
	s_waitcnt lgkmcnt(0)
	v_and_b32_e32 v10, 1, v10
	v_add_f32_e32 v8, v5, v8
	v_cmp_eq_u32_e64 s2, 1, v28
	v_cmp_eq_u16_sdwa vcc_lo, v6, v4 src0_sel:BYTE_0 src1_sel:DWORD
	v_cndmask_b32_e64 v6, v10, 1, s2
	v_cndmask_b32_e32 v5, v5, v8, vcc_lo
	v_and_b32_e32 v4, 0xffff, v6
.LBB1796_56:
	s_or_b32 exec_lo, exec_lo, s11
	v_cmp_gt_u32_e32 vcc_lo, 30, v17
	v_add_nc_u32_e32 v29, 2, v17
	s_mov_b32 s11, exec_lo
	s_waitcnt lgkmcnt(1)
	v_cndmask_b32_e64 v8, 0, 2, vcc_lo
	v_add_lshl_u32 v28, v8, v17, 2
	ds_bpermute_b32 v8, v28, v5
	s_waitcnt lgkmcnt(1)
	ds_bpermute_b32 v10, v28, v4
	v_cmpx_le_u32_e64 v29, v3
	s_cbranch_execz .LBB1796_58
; %bb.57:
	v_and_b32_e32 v30, 1, v6
	v_mov_b32_e32 v4, 0
	s_waitcnt lgkmcnt(0)
	v_and_b32_e32 v10, 1, v10
	v_add_f32_e32 v8, v5, v8
	v_cmp_eq_u32_e64 s2, 1, v30
	v_cmp_eq_u16_sdwa vcc_lo, v6, v4 src0_sel:BYTE_0 src1_sel:DWORD
	v_cndmask_b32_e64 v6, v10, 1, s2
	v_cndmask_b32_e32 v5, v5, v8, vcc_lo
	v_and_b32_e32 v4, 0xffff, v6
.LBB1796_58:
	s_or_b32 exec_lo, exec_lo, s11
	v_cmp_gt_u32_e32 vcc_lo, 28, v17
	v_add_nc_u32_e32 v31, 4, v17
	s_mov_b32 s11, exec_lo
	s_waitcnt lgkmcnt(1)
	v_cndmask_b32_e64 v8, 0, 4, vcc_lo
	v_add_lshl_u32 v30, v8, v17, 2
	ds_bpermute_b32 v8, v30, v5
	s_waitcnt lgkmcnt(1)
	ds_bpermute_b32 v10, v30, v4
	v_cmpx_le_u32_e64 v31, v3
	;; [unrolled: 24-line block ×3, first 2 shown]
	s_cbranch_execz .LBB1796_62
; %bb.61:
	v_and_b32_e32 v34, 1, v6
	v_mov_b32_e32 v4, 0
	s_waitcnt lgkmcnt(0)
	v_and_b32_e32 v10, 1, v10
	v_add_f32_e32 v8, v5, v8
	v_cmp_eq_u32_e64 s2, 1, v34
	v_cmp_eq_u16_sdwa vcc_lo, v6, v4 src0_sel:BYTE_0 src1_sel:DWORD
	v_cndmask_b32_e64 v6, v10, 1, s2
	v_cndmask_b32_e32 v5, v5, v8, vcc_lo
	v_and_b32_e32 v4, 0xffff, v6
.LBB1796_62:
	s_or_b32 exec_lo, exec_lo, s11
	v_lshl_or_b32 v36, v17, 2, 64
	v_add_nc_u32_e32 v37, 16, v17
	s_mov_b32 s2, exec_lo
	s_waitcnt lgkmcnt(1)
	ds_bpermute_b32 v8, v36, v5
	ds_bpermute_b32 v4, v36, v4
	v_cmpx_le_u32_e64 v37, v3
	s_cbranch_execz .LBB1796_64
; %bb.63:
	v_mov_b32_e32 v3, 0
	s_waitcnt lgkmcnt(1)
	v_add_f32_e32 v8, v5, v8
	v_and_b32_e32 v10, 1, v6
	s_waitcnt lgkmcnt(0)
	v_and_b32_e32 v4, 1, v4
	v_cmp_eq_u16_sdwa vcc_lo, v6, v3 src0_sel:BYTE_0 src1_sel:DWORD
	v_cndmask_b32_e32 v5, v5, v8, vcc_lo
	v_cmp_eq_u32_e32 vcc_lo, 1, v10
	v_cndmask_b32_e64 v6, v4, 1, vcc_lo
.LBB1796_64:
	s_or_b32 exec_lo, exec_lo, s2
	s_waitcnt lgkmcnt(2)
	v_mov_b32_e32 v10, 0
	v_mov_b32_e32 v38, 2
	s_branch .LBB1796_67
.LBB1796_65:                            ;   in Loop: Header=BB1796_67 Depth=1
	s_or_b32 exec_lo, exec_lo, s11
	s_waitcnt lgkmcnt(1)
	ds_bpermute_b32 v8, v36, v5
	ds_bpermute_b32 v4, v36, v4
	s_waitcnt lgkmcnt(2)
	v_and_b32_e32 v39, 1, v6
	v_subrev_nc_u32_e32 v9, 32, v9
	s_mov_b32 s2, 0
	v_cmp_eq_u32_e32 vcc_lo, 1, v39
	s_waitcnt lgkmcnt(1)
	v_add_f32_e32 v8, v5, v8
	s_waitcnt lgkmcnt(0)
	v_cndmask_b32_e64 v4, v4, 1, vcc_lo
	v_cmp_eq_u16_sdwa vcc_lo, v6, v10 src0_sel:BYTE_0 src1_sel:DWORD
	v_cndmask_b32_e32 v8, v5, v8, vcc_lo
	v_cmp_gt_u32_e32 vcc_lo, v37, v3
	v_cndmask_b32_e32 v3, v4, v6, vcc_lo
	v_cndmask_b32_e32 v4, v8, v5, vcc_lo
	v_and_b32_e32 v6, 1, v34
	v_cmp_eq_u16_sdwa vcc_lo, v34, v10 src0_sel:BYTE_0 src1_sel:DWORD
	v_and_b32_e32 v3, 1, v3
	v_add_f32_e32 v4, v35, v4
	v_cndmask_b32_e32 v5, v35, v4, vcc_lo
	v_cmp_eq_u32_e32 vcc_lo, 1, v6
	v_cndmask_b32_e64 v6, v3, 1, vcc_lo
.LBB1796_66:                            ;   in Loop: Header=BB1796_67 Depth=1
	s_and_b32 vcc_lo, exec_lo, s2
	s_cbranch_vccnz .LBB1796_81
.LBB1796_67:                            ; =>This Loop Header: Depth=1
                                        ;     Child Loop BB1796_70 Depth 2
	v_cmp_ne_u16_sdwa s2, v7, v38 src0_sel:BYTE_0 src1_sel:DWORD
	v_mov_b32_e32 v34, v6
	v_mov_b32_e32 v35, v5
                                        ; implicit-def: $vgpr6
	s_cmp_lg_u32 s2, exec_lo
	s_mov_b32 s2, -1
	s_cbranch_scc1 .LBB1796_66
; %bb.68:                               ;   in Loop: Header=BB1796_67 Depth=1
	s_waitcnt lgkmcnt(0)
	v_lshlrev_b64 v[3:4], 4, v[9:10]
	v_add_co_u32 v3, vcc_lo, s16, v3
	v_add_co_ci_u32_e64 v4, null, s17, v4, vcc_lo
	;;#ASMSTART
	global_load_dwordx4 v[5:8], v[3:4] off glc dlc	
s_waitcnt vmcnt(0)
	;;#ASMEND
	v_cmp_eq_u16_sdwa s11, v7, v10 src0_sel:BYTE_0 src1_sel:DWORD
	s_and_saveexec_b32 s2, s11
	s_cbranch_execz .LBB1796_72
; %bb.69:                               ;   in Loop: Header=BB1796_67 Depth=1
	s_mov_b32 s11, 0
.LBB1796_70:                            ;   Parent Loop BB1796_67 Depth=1
                                        ; =>  This Inner Loop Header: Depth=2
	;;#ASMSTART
	global_load_dwordx4 v[5:8], v[3:4] off glc dlc	
s_waitcnt vmcnt(0)
	;;#ASMEND
	v_cmp_ne_u16_sdwa s12, v7, v10 src0_sel:BYTE_0 src1_sel:DWORD
	s_or_b32 s11, s12, s11
	s_andn2_b32 exec_lo, exec_lo, s11
	s_cbranch_execnz .LBB1796_70
; %bb.71:                               ;   in Loop: Header=BB1796_67 Depth=1
	s_or_b32 exec_lo, exec_lo, s11
.LBB1796_72:                            ;   in Loop: Header=BB1796_67 Depth=1
	s_or_b32 exec_lo, exec_lo, s2
	v_and_b32_e32 v4, 0xff, v6
	ds_bpermute_b32 v8, v11, v5
	v_cmp_eq_u16_sdwa s2, v7, v38 src0_sel:BYTE_0 src1_sel:DWORD
	s_mov_b32 s11, exec_lo
	ds_bpermute_b32 v39, v11, v4
	v_and_or_b32 v3, s2, v27, 0x80000000
	v_ffbl_b32_e32 v3, v3
	v_cmpx_lt_u32_e64 v17, v3
	s_cbranch_execz .LBB1796_74
; %bb.73:                               ;   in Loop: Header=BB1796_67 Depth=1
	v_and_b32_e32 v4, 1, v6
	s_waitcnt lgkmcnt(0)
	v_and_b32_e32 v39, 1, v39
	v_add_f32_e32 v8, v5, v8
	v_cmp_eq_u16_sdwa vcc_lo, v6, v10 src0_sel:BYTE_0 src1_sel:DWORD
	v_cmp_eq_u32_e64 s2, 1, v4
	v_cndmask_b32_e32 v5, v5, v8, vcc_lo
	v_cndmask_b32_e64 v6, v39, 1, s2
	v_and_b32_e32 v4, 0xffff, v6
.LBB1796_74:                            ;   in Loop: Header=BB1796_67 Depth=1
	s_or_b32 exec_lo, exec_lo, s11
	s_waitcnt lgkmcnt(1)
	ds_bpermute_b32 v8, v28, v5
	s_waitcnt lgkmcnt(1)
	ds_bpermute_b32 v39, v28, v4
	s_mov_b32 s11, exec_lo
	v_cmpx_le_u32_e64 v29, v3
	s_cbranch_execz .LBB1796_76
; %bb.75:                               ;   in Loop: Header=BB1796_67 Depth=1
	v_and_b32_e32 v4, 1, v6
	s_waitcnt lgkmcnt(0)
	v_and_b32_e32 v39, 1, v39
	v_add_f32_e32 v8, v5, v8
	v_cmp_eq_u16_sdwa vcc_lo, v6, v10 src0_sel:BYTE_0 src1_sel:DWORD
	v_cmp_eq_u32_e64 s2, 1, v4
	v_cndmask_b32_e32 v5, v5, v8, vcc_lo
	v_cndmask_b32_e64 v6, v39, 1, s2
	v_and_b32_e32 v4, 0xffff, v6
.LBB1796_76:                            ;   in Loop: Header=BB1796_67 Depth=1
	s_or_b32 exec_lo, exec_lo, s11
	s_waitcnt lgkmcnt(1)
	ds_bpermute_b32 v8, v30, v5
	s_waitcnt lgkmcnt(1)
	ds_bpermute_b32 v39, v30, v4
	s_mov_b32 s11, exec_lo
	v_cmpx_le_u32_e64 v31, v3
	;; [unrolled: 19-line block ×3, first 2 shown]
	s_cbranch_execz .LBB1796_65
; %bb.79:                               ;   in Loop: Header=BB1796_67 Depth=1
	v_and_b32_e32 v4, 1, v6
	s_waitcnt lgkmcnt(0)
	v_and_b32_e32 v39, 1, v39
	v_add_f32_e32 v8, v5, v8
	v_cmp_eq_u16_sdwa vcc_lo, v6, v10 src0_sel:BYTE_0 src1_sel:DWORD
	v_cmp_eq_u32_e64 s2, 1, v4
	v_cndmask_b32_e32 v5, v5, v8, vcc_lo
	v_cndmask_b32_e64 v6, v39, 1, s2
	v_and_b32_e32 v4, 0xffff, v6
	s_branch .LBB1796_65
.LBB1796_80:
                                        ; implicit-def: $vgpr7
                                        ; implicit-def: $vgpr5
                                        ; implicit-def: $vgpr6
	s_cbranch_execnz .LBB1796_86
	s_branch .LBB1796_111
.LBB1796_81:
	s_and_saveexec_b32 s2, s1
	s_cbranch_execz .LBB1796_83
; %bb.82:
	s_waitcnt lgkmcnt(0)
	v_mov_b32_e32 v4, 0
	v_add_f32_e32 v3, v35, v1
	v_and_b32_e32 v5, 1, v2
	s_mov_b32 s13, 0
	s_add_i32 s12, s6, 32
	v_cmp_eq_u32_sdwa vcc_lo, v2, v4 src0_sel:BYTE_0 src1_sel:DWORD
	v_and_b32_e32 v6, 1, v34
	s_lshl_b64 s[12:13], s[12:13], 4
	s_add_u32 s12, s16, s12
	v_cndmask_b32_e32 v1, v1, v3, vcc_lo
	v_cmp_eq_u32_e32 vcc_lo, 1, v5
	s_addc_u32 s13, s17, s13
	v_mov_b32_e32 v3, 2
	v_cndmask_b32_e64 v2, v6, 1, vcc_lo
	v_mov_b32_e32 v5, s12
	v_mov_b32_e32 v6, s13
	;;#ASMSTART
	global_store_dwordx4 v[5:6], v[1:4] off	
s_waitcnt vmcnt(0)
	;;#ASMEND
.LBB1796_83:
	s_or_b32 exec_lo, exec_lo, s2
	v_cmp_eq_u32_e32 vcc_lo, 0, v0
	s_and_b32 exec_lo, exec_lo, vcc_lo
	s_cbranch_execz .LBB1796_85
; %bb.84:
	v_mov_b32_e32 v1, 0
	ds_write_b32 v1, v35 offset:56
	ds_write_b8 v1, v34 offset:60
.LBB1796_85:
	s_or_b32 exec_lo, exec_lo, s10
	v_mov_b32_e32 v1, 0
	s_waitcnt lgkmcnt(0)
	s_barrier
	buffer_gl0_inv
	v_cndmask_b32_e64 v3, v25, v23, s1
	ds_read_b32 v2, v1 offset:56
	v_cndmask_b32_e64 v4, v26, v24, s1
	v_cmp_eq_u32_sdwa vcc_lo, v4, v1 src0_sel:BYTE_0 src1_sel:DWORD
	s_waitcnt lgkmcnt(0)
	v_add_f32_e32 v5, v3, v2
	v_cndmask_b32_e32 v3, v3, v5, vcc_lo
	v_cmp_eq_u32_e32 vcc_lo, 0, v0
	v_cndmask_b32_e32 v6, v3, v2, vcc_lo
	v_cmp_eq_u16_sdwa vcc_lo, v14, v1 src0_sel:BYTE_0 src1_sel:DWORD
	v_add_f32_e32 v2, v16, v6
	v_cndmask_b32_e32 v5, v16, v2, vcc_lo
	v_add_f32_e32 v1, v15, v5
	v_cndmask_b32_e64 v7, v15, v1, s0
	s_branch .LBB1796_111
.LBB1796_86:
	s_cmp_eq_u64 s[24:25], 0
	v_mov_b32_e32 v3, s26
	s_cselect_b32 s0, -1, 0
	s_cmp_eq_u64 s[22:23], 0
	s_cselect_b32 s1, -1, 0
	s_or_b32 s0, s0, s1
	s_and_b32 vcc_lo, exec_lo, s0
	s_cbranch_vccnz .LBB1796_88
; %bb.87:
	v_mov_b32_e32 v1, 0
	global_load_dword v3, v1, s[22:23]
.LBB1796_88:
	v_mov_b32_e32 v2, 0
	s_mov_b32 s1, exec_lo
	v_cmp_eq_u16_sdwa vcc_lo, v19, v2 src0_sel:BYTE_0 src1_sel:DWORD
	v_cmp_eq_u16_sdwa s0, v21, v2 src0_sel:BYTE_0 src1_sel:DWORD
	v_cndmask_b32_e32 v1, v15, v22, vcc_lo
	v_cndmask_b32_e64 v6, 1, v14, s0
	v_cmp_eq_u16_e64 s0, 0, v20
	v_add_f32_e32 v1, v1, v18
	v_and_b32_e32 v5, 0xff, v6
	v_cndmask_b32_e64 v4, v18, v1, s0
	v_and_b32_e32 v1, 15, v17
	v_mov_b32_dpp v7, v5 row_shr:1 row_mask:0xf bank_mask:0xf
	v_mov_b32_dpp v8, v4 row_shr:1 row_mask:0xf bank_mask:0xf
	v_cmpx_ne_u32_e32 0, v1
	s_cbranch_execz .LBB1796_90
; %bb.89:
	v_add_f32_e32 v5, v4, v8
	v_and_b32_e32 v8, 1, v6
	v_cmp_eq_u16_sdwa s0, v6, v2 src0_sel:BYTE_0 src1_sel:DWORD
	v_and_b32_e32 v7, 1, v7
	v_cndmask_b32_e64 v4, v4, v5, s0
	v_cmp_eq_u32_e64 s0, 1, v8
	v_cndmask_b32_e64 v5, v7, 1, s0
.LBB1796_90:
	s_or_b32 exec_lo, exec_lo, s1
	v_mov_b32_dpp v6, v4 row_shr:2 row_mask:0xf bank_mask:0xf
	v_mov_b32_dpp v2, v5 row_shr:2 row_mask:0xf bank_mask:0xf
	s_mov_b32 s1, exec_lo
	v_cmpx_lt_u32_e32 1, v1
	s_cbranch_execz .LBB1796_92
; %bb.91:
	v_add_f32_e32 v6, v4, v6
	v_and_b32_e32 v7, 1, v5
	v_cmp_eq_u32_e64 s0, 0, v5
	v_and_b32_e32 v2, 1, v2
	v_cndmask_b32_e64 v4, v4, v6, s0
	v_cmp_eq_u32_e64 s0, 1, v7
	v_cndmask_b32_e64 v5, v2, 1, s0
.LBB1796_92:
	s_or_b32 exec_lo, exec_lo, s1
	v_mov_b32_dpp v6, v4 row_shr:4 row_mask:0xf bank_mask:0xf
	v_mov_b32_dpp v2, v5 row_shr:4 row_mask:0xf bank_mask:0xf
	s_mov_b32 s1, exec_lo
	v_cmpx_lt_u32_e32 3, v1
	s_cbranch_execz .LBB1796_94
; %bb.93:
	v_add_f32_e32 v6, v4, v6
	v_and_b32_e32 v7, 1, v5
	v_cmp_eq_u32_e64 s0, 0, v5
	v_and_b32_e32 v2, 1, v2
	v_cndmask_b32_e64 v4, v4, v6, s0
	v_cmp_eq_u32_e64 s0, 1, v7
	v_cndmask_b32_e64 v5, v2, 1, s0
.LBB1796_94:
	;; [unrolled: 15-line block ×3, first 2 shown]
	s_or_b32 exec_lo, exec_lo, s1
	ds_swizzle_b32 v2, v4 offset:swizzle(BROADCAST,32,15)
	ds_swizzle_b32 v1, v5 offset:swizzle(BROADCAST,32,15)
	v_and_b32_e32 v6, 16, v17
	s_mov_b32 s1, exec_lo
	v_cmpx_ne_u32_e32 0, v6
	s_cbranch_execz .LBB1796_98
; %bb.97:
	s_waitcnt lgkmcnt(1)
	v_add_f32_e32 v2, v4, v2
	v_and_b32_e32 v6, 1, v5
	v_cmp_eq_u32_e64 s0, 0, v5
	s_waitcnt lgkmcnt(0)
	v_and_b32_e32 v1, 1, v1
	v_cndmask_b32_e64 v4, v4, v2, s0
	v_cmp_eq_u32_e64 s0, 1, v6
	v_cndmask_b32_e64 v5, v1, 1, s0
.LBB1796_98:
	s_or_b32 exec_lo, exec_lo, s1
	s_waitcnt lgkmcnt(1)
	v_lshrrev_b32_e32 v2, 5, v0
	s_waitcnt lgkmcnt(0)
	v_or_b32_e32 v1, 31, v0
	s_mov_b32 s1, exec_lo
	v_lshlrev_b32_e32 v6, 3, v2
	v_cmpx_eq_u32_e64 v0, v1
	s_cbranch_execz .LBB1796_100
; %bb.99:
	ds_write_b32 v6, v4
	ds_write_b8 v6, v5 offset:4
.LBB1796_100:
	s_or_b32 exec_lo, exec_lo, s1
	s_mov_b32 s2, exec_lo
	s_waitcnt vmcnt(0) lgkmcnt(0)
	s_barrier
	buffer_gl0_inv
	v_cmpx_gt_u32_e32 8, v0
	s_cbranch_execz .LBB1796_106
; %bb.101:
	ds_read_b64 v[1:2], v13
	v_and_b32_e32 v7, 7, v17
	s_mov_b32 s1, exec_lo
	s_waitcnt lgkmcnt(0)
	v_mov_b32_dpp v9, v1 row_shr:1 row_mask:0xf bank_mask:0xf
	v_mov_b32_dpp v10, v2 row_shr:1 row_mask:0xf bank_mask:0xf
	v_mov_b32_e32 v8, v2
	v_cmpx_ne_u32_e32 0, v7
	s_cbranch_execz .LBB1796_103
; %bb.102:
	v_and_b32_e32 v8, 1, v2
	v_and_b32_e32 v10, 1, v10
	v_mov_b32_e32 v11, 0
	v_add_f32_e32 v9, v1, v9
	v_cmp_eq_u32_e64 s0, 1, v8
	v_cndmask_b32_e64 v8, v10, 1, s0
	v_cmp_eq_u16_sdwa s0, v2, v11 src0_sel:BYTE_0 src1_sel:DWORD
	v_and_or_b32 v2, 0xffffff00, v2, v8
	v_cndmask_b32_e64 v1, v1, v9, s0
.LBB1796_103:
	s_or_b32 exec_lo, exec_lo, s1
	v_mov_b32_dpp v9, v1 row_shr:2 row_mask:0xf bank_mask:0xf
	v_mov_b32_dpp v10, v2 row_shr:2 row_mask:0xf bank_mask:0xf
	s_mov_b32 s6, exec_lo
	v_cmpx_lt_u32_e32 1, v7
	s_cbranch_execz .LBB1796_105
; %bb.104:
	v_and_b32_e32 v18, 1, v8
	v_mov_b32_e32 v11, 0
	v_and_b32_e32 v10, 1, v10
	v_add_f32_e32 v9, v1, v9
	v_cmp_eq_u32_e64 s1, 1, v18
	v_cmp_eq_u16_sdwa s0, v8, v11 src0_sel:BYTE_0 src1_sel:DWORD
	v_cndmask_b32_e64 v8, v10, 1, s1
	v_cndmask_b32_e64 v1, v1, v9, s0
	v_and_or_b32 v2, 0xffffff00, v2, v8
.LBB1796_105:
	s_or_b32 exec_lo, exec_lo, s6
	v_mov_b32_dpp v9, v2 row_shr:4 row_mask:0xf bank_mask:0xf
	v_and_b32_e32 v11, 1, v8
	v_mov_b32_e32 v10, 0
	v_mov_b32_dpp v18, v1 row_shr:4 row_mask:0xf bank_mask:0xf
	v_and_b32_e32 v9, 1, v9
	v_cmp_eq_u32_e64 s0, 1, v11
	v_cmp_eq_u16_sdwa s1, v8, v10 src0_sel:BYTE_0 src1_sel:DWORD
	v_cndmask_b32_e64 v8, v9, 1, s0
	v_cmp_lt_u32_e64 s0, 3, v7
	v_add_f32_e32 v7, v1, v18
	v_cndmask_b32_e64 v2, v2, v8, s0
	s_and_b32 s0, s0, s1
	v_cndmask_b32_e64 v1, v1, v7, s0
	ds_write_b32 v13, v1
	ds_write_b8 v13, v2 offset:4
.LBB1796_106:
	s_or_b32 exec_lo, exec_lo, s2
	v_mov_b32_e32 v1, v3
	s_mov_b32 s1, exec_lo
	s_waitcnt lgkmcnt(0)
	s_barrier
	buffer_gl0_inv
	v_cmpx_lt_u32_e32 31, v0
	s_cbranch_execz .LBB1796_108
; %bb.107:
	v_add_nc_u32_e32 v1, -8, v6
	v_add_nc_u32_e32 v2, -4, v6
	ds_read_b32 v1, v1
	ds_read_u8 v2, v2
	s_waitcnt lgkmcnt(1)
	v_add_f32_e32 v6, v3, v1
	s_waitcnt lgkmcnt(0)
	v_cmp_eq_u16_e64 s0, 0, v2
	v_cndmask_b32_e64 v1, v1, v6, s0
.LBB1796_108:
	s_or_b32 exec_lo, exec_lo, s1
	v_sub_co_u32 v2, s0, v17, 1
	v_add_f32_e32 v6, v4, v1
	v_cmp_gt_i32_e64 s1, 0, v2
	v_cndmask_b32_e64 v2, v2, v17, s1
	v_cmp_eq_u32_e64 s1, 0, v5
	v_lshlrev_b32_e32 v2, 2, v2
	v_cndmask_b32_e64 v4, v4, v6, s1
	ds_bpermute_b32 v2, v2, v4
	s_waitcnt lgkmcnt(0)
	v_cndmask_b32_e64 v6, v2, v1, s0
	v_cmp_eq_u32_e64 s0, 0, v0
	v_mov_b32_e32 v2, 0
	v_cndmask_b32_e64 v1, v6, v3, s0
	v_cmp_eq_u16_sdwa s1, v14, v2 src0_sel:BYTE_0 src1_sel:DWORD
	v_add_f32_e32 v1, v16, v1
	v_cndmask_b32_e64 v5, v16, v1, s1
	v_add_f32_e32 v4, v15, v5
	s_and_saveexec_b32 s1, s0
	s_cbranch_execz .LBB1796_110
; %bb.109:
	ds_read_u8 v1, v2 offset:60
	ds_read_b32 v6, v2 offset:56
	s_add_u32 s10, s16, 0x200
	s_addc_u32 s11, s17, 0
	v_mov_b32_e32 v10, v2
	v_mov_b32_e32 v9, 2
	s_waitcnt lgkmcnt(1)
	v_and_b32_e32 v1, 0xffff, v1
	s_waitcnt lgkmcnt(0)
	v_add_f32_e32 v7, v3, v6
	v_cmp_eq_u64_e64 s0, 0, v[1:2]
	v_mov_b32_e32 v8, v1
	v_mov_b32_e32 v1, s10
	;; [unrolled: 1-line block ×3, first 2 shown]
	v_cndmask_b32_e64 v7, v6, v7, s0
	v_mov_b32_e32 v6, v3
	;;#ASMSTART
	global_store_dwordx4 v[1:2], v[7:10] off	
s_waitcnt vmcnt(0)
	;;#ASMEND
.LBB1796_110:
	s_or_b32 exec_lo, exec_lo, s1
	v_cndmask_b32_e32 v7, v15, v4, vcc_lo
.LBB1796_111:
	s_add_u32 s0, s14, s4
	v_mov_b32_e32 v3, 0
	s_addc_u32 s1, s15, s5
	s_add_u32 s0, s0, s8
	s_addc_u32 s1, s1, s9
	s_and_b32 vcc_lo, exec_lo, s3
	s_cbranch_vccz .LBB1796_123
; %bb.112:
	v_mul_u32_u24_e32 v1, 3, v0
	v_mov_b32_e32 v4, 0
	v_mov_b32_e32 v2, 0
	s_add_i32 s7, s7, s18
	s_mov_b32 s2, exec_lo
	v_cmpx_gt_u32_e64 s7, v1
	s_cbranch_execz .LBB1796_118
; %bb.113:
	v_add_nc_u32_e32 v3, 1, v1
	v_mov_b32_e32 v2, 0
	v_mov_b32_e32 v4, 0
	s_mov_b32 s3, exec_lo
	v_cmpx_gt_u32_e64 s7, v3
	s_cbranch_execz .LBB1796_117
; %bb.114:
	v_add_nc_u32_e32 v2, 2, v1
	v_cmp_gt_u32_e32 vcc_lo, s7, v2
	v_mov_b32_e32 v2, 0
	s_and_saveexec_b32 s4, vcc_lo
; %bb.115:
	v_mov_b32_e32 v2, v7
; %bb.116:
	s_or_b32 exec_lo, exec_lo, s4
	v_mov_b32_e32 v4, v5
.LBB1796_117:
	s_or_b32 exec_lo, exec_lo, s3
	v_mov_b32_e32 v3, v6
.LBB1796_118:
	s_or_b32 exec_lo, exec_lo, s2
	v_lshlrev_b32_e32 v8, 2, v1
	s_barrier
	buffer_gl0_inv
	v_sub_nc_u32_e32 v1, v8, v13
	ds_write2_b32 v8, v3, v4 offset1:1
	ds_write_b32 v8, v2 offset:8
	s_waitcnt lgkmcnt(0)
	s_barrier
	buffer_gl0_inv
	ds_read2st64_b32 v[1:2], v1 offset0:4 offset1:8
	v_add_co_u32 v3, s2, s0, v12
	v_add_co_ci_u32_e64 v4, null, s1, 0, s2
	s_mov_b32 s2, exec_lo
	v_cmpx_gt_u32_e64 s7, v0
	s_cbranch_execz .LBB1796_120
; %bb.119:
	v_sub_nc_u32_e32 v9, 0, v13
	v_add_nc_u32_e32 v8, v8, v9
	ds_read_b32 v8, v8
	s_waitcnt lgkmcnt(0)
	v_cvt_i32_f32_e32 v8, v8
	flat_store_dword v[3:4], v8
.LBB1796_120:
	s_or_b32 exec_lo, exec_lo, s2
	v_or_b32_e32 v8, 0x100, v0
	s_mov_b32 s2, exec_lo
	v_cmpx_gt_u32_e64 s7, v8
	s_cbranch_execz .LBB1796_122
; %bb.121:
	s_waitcnt lgkmcnt(0)
	v_cvt_i32_f32_e32 v1, v1
	flat_store_dword v[3:4], v1 offset:1024
.LBB1796_122:
	s_or_b32 exec_lo, exec_lo, s2
	s_waitcnt lgkmcnt(0)
	v_or_b32_e32 v1, 0x200, v0
	v_cmp_gt_u32_e64 s2, s7, v1
	s_branch .LBB1796_125
.LBB1796_123:
	s_mov_b32 s2, 0
                                        ; implicit-def: $vgpr2
	s_cbranch_execz .LBB1796_125
; %bb.124:
	v_mul_u32_u24_e32 v1, 12, v0
	s_waitcnt_vscnt null, 0x0
	s_barrier
	buffer_gl0_inv
	s_or_b32 s2, s2, exec_lo
	v_sub_nc_u32_e32 v2, v1, v13
	ds_write2_b32 v1, v6, v5 offset1:1
	ds_write_b32 v1, v7 offset:8
	s_waitcnt lgkmcnt(0)
	s_barrier
	buffer_gl0_inv
	ds_read2st64_b32 v[3:4], v2 offset1:4
	ds_read_b32 v2, v2 offset:2048
	v_add_co_u32 v5, s3, s0, v12
	v_add_co_ci_u32_e64 v6, null, s1, 0, s3
	s_waitcnt lgkmcnt(1)
	v_cvt_i32_f32_e32 v1, v3
	v_cvt_i32_f32_e32 v3, v4
	flat_store_dword v[5:6], v1
	flat_store_dword v[5:6], v3 offset:1024
.LBB1796_125:
	s_and_saveexec_b32 s3, s2
	s_cbranch_execnz .LBB1796_127
; %bb.126:
	s_endpgm
.LBB1796_127:
	v_lshlrev_b32_e32 v0, 2, v0
	s_waitcnt lgkmcnt(2)
	v_cvt_i32_f32_e32 v2, v2
	v_add_co_u32 v0, s0, s0, v0
	v_add_co_ci_u32_e64 v1, null, s1, 0, s0
	v_add_co_u32 v0, vcc_lo, 0x800, v0
	v_add_co_ci_u32_e64 v1, null, 0, v1, vcc_lo
	flat_store_dword v[0:1], v2
	s_endpgm
.LBB1796_128:
	v_add_co_u32 v2, s1, s12, v10
	v_add_co_ci_u32_e64 v3, null, s13, 0, s1
	v_mov_b32_e32 v12, v1
	v_mov_b32_e32 v13, v1
	flat_load_dword v2, v[2:3]
	s_waitcnt vmcnt(0) lgkmcnt(0)
	v_cvt_f32_u32_e32 v11, v2
	v_mov_b32_e32 v1, v11
	v_mov_b32_e32 v2, v12
	v_mov_b32_e32 v3, v13
	s_or_b32 exec_lo, exec_lo, s2
	s_and_saveexec_b32 s1, s0
	s_cbranch_execz .LBB1796_11
.LBB1796_129:
	v_add_co_u32 v11, s0, s12, v10
	v_add_co_ci_u32_e64 v12, null, s13, 0, s0
	flat_load_dword v2, v[11:12] offset:1024
	s_waitcnt vmcnt(0) lgkmcnt(0)
	v_cvt_f32_u32_e32 v2, v2
	s_or_b32 exec_lo, exec_lo, s1
	v_mul_u32_u24_e32 v11, 3, v0
	s_and_saveexec_b32 s0, vcc_lo
	s_cbranch_execnz .LBB1796_12
	s_branch .LBB1796_13
	.section	.rodata,"a",@progbits
	.p2align	6, 0x0
	.amdhsa_kernel _ZN7rocprim17ROCPRIM_400000_NS6detail17trampoline_kernelINS0_14default_configENS1_27scan_by_key_config_selectorIifEEZZNS1_16scan_by_key_implILNS1_25lookback_scan_determinismE0ELb1ES3_N6thrust23THRUST_200600_302600_NS6detail15normal_iteratorINS9_10device_ptrIiEEEENSB_INSC_IjEEEESE_fNS9_4plusIvEENS9_8equal_toIvEEfEE10hipError_tPvRmT2_T3_T4_T5_mT6_T7_P12ihipStream_tbENKUlT_T0_E_clISt17integral_constantIbLb0EES11_EEDaSW_SX_EUlSW_E_NS1_11comp_targetILNS1_3genE8ELNS1_11target_archE1030ELNS1_3gpuE2ELNS1_3repE0EEENS1_30default_config_static_selectorELNS0_4arch9wavefront6targetE0EEEvT1_
		.amdhsa_group_segment_fixed_size 5120
		.amdhsa_private_segment_fixed_size 0
		.amdhsa_kernarg_size 112
		.amdhsa_user_sgpr_count 6
		.amdhsa_user_sgpr_private_segment_buffer 1
		.amdhsa_user_sgpr_dispatch_ptr 0
		.amdhsa_user_sgpr_queue_ptr 0
		.amdhsa_user_sgpr_kernarg_segment_ptr 1
		.amdhsa_user_sgpr_dispatch_id 0
		.amdhsa_user_sgpr_flat_scratch_init 0
		.amdhsa_user_sgpr_private_segment_size 0
		.amdhsa_wavefront_size32 1
		.amdhsa_uses_dynamic_stack 0
		.amdhsa_system_sgpr_private_segment_wavefront_offset 0
		.amdhsa_system_sgpr_workgroup_id_x 1
		.amdhsa_system_sgpr_workgroup_id_y 0
		.amdhsa_system_sgpr_workgroup_id_z 0
		.amdhsa_system_sgpr_workgroup_info 0
		.amdhsa_system_vgpr_workitem_id 0
		.amdhsa_next_free_vgpr 40
		.amdhsa_next_free_sgpr 29
		.amdhsa_reserve_vcc 1
		.amdhsa_reserve_flat_scratch 1
		.amdhsa_float_round_mode_32 0
		.amdhsa_float_round_mode_16_64 0
		.amdhsa_float_denorm_mode_32 3
		.amdhsa_float_denorm_mode_16_64 3
		.amdhsa_dx10_clamp 1
		.amdhsa_ieee_mode 1
		.amdhsa_fp16_overflow 0
		.amdhsa_workgroup_processor_mode 1
		.amdhsa_memory_ordered 1
		.amdhsa_forward_progress 1
		.amdhsa_shared_vgpr_count 0
		.amdhsa_exception_fp_ieee_invalid_op 0
		.amdhsa_exception_fp_denorm_src 0
		.amdhsa_exception_fp_ieee_div_zero 0
		.amdhsa_exception_fp_ieee_overflow 0
		.amdhsa_exception_fp_ieee_underflow 0
		.amdhsa_exception_fp_ieee_inexact 0
		.amdhsa_exception_int_div_zero 0
	.end_amdhsa_kernel
	.section	.text._ZN7rocprim17ROCPRIM_400000_NS6detail17trampoline_kernelINS0_14default_configENS1_27scan_by_key_config_selectorIifEEZZNS1_16scan_by_key_implILNS1_25lookback_scan_determinismE0ELb1ES3_N6thrust23THRUST_200600_302600_NS6detail15normal_iteratorINS9_10device_ptrIiEEEENSB_INSC_IjEEEESE_fNS9_4plusIvEENS9_8equal_toIvEEfEE10hipError_tPvRmT2_T3_T4_T5_mT6_T7_P12ihipStream_tbENKUlT_T0_E_clISt17integral_constantIbLb0EES11_EEDaSW_SX_EUlSW_E_NS1_11comp_targetILNS1_3genE8ELNS1_11target_archE1030ELNS1_3gpuE2ELNS1_3repE0EEENS1_30default_config_static_selectorELNS0_4arch9wavefront6targetE0EEEvT1_,"axG",@progbits,_ZN7rocprim17ROCPRIM_400000_NS6detail17trampoline_kernelINS0_14default_configENS1_27scan_by_key_config_selectorIifEEZZNS1_16scan_by_key_implILNS1_25lookback_scan_determinismE0ELb1ES3_N6thrust23THRUST_200600_302600_NS6detail15normal_iteratorINS9_10device_ptrIiEEEENSB_INSC_IjEEEESE_fNS9_4plusIvEENS9_8equal_toIvEEfEE10hipError_tPvRmT2_T3_T4_T5_mT6_T7_P12ihipStream_tbENKUlT_T0_E_clISt17integral_constantIbLb0EES11_EEDaSW_SX_EUlSW_E_NS1_11comp_targetILNS1_3genE8ELNS1_11target_archE1030ELNS1_3gpuE2ELNS1_3repE0EEENS1_30default_config_static_selectorELNS0_4arch9wavefront6targetE0EEEvT1_,comdat
.Lfunc_end1796:
	.size	_ZN7rocprim17ROCPRIM_400000_NS6detail17trampoline_kernelINS0_14default_configENS1_27scan_by_key_config_selectorIifEEZZNS1_16scan_by_key_implILNS1_25lookback_scan_determinismE0ELb1ES3_N6thrust23THRUST_200600_302600_NS6detail15normal_iteratorINS9_10device_ptrIiEEEENSB_INSC_IjEEEESE_fNS9_4plusIvEENS9_8equal_toIvEEfEE10hipError_tPvRmT2_T3_T4_T5_mT6_T7_P12ihipStream_tbENKUlT_T0_E_clISt17integral_constantIbLb0EES11_EEDaSW_SX_EUlSW_E_NS1_11comp_targetILNS1_3genE8ELNS1_11target_archE1030ELNS1_3gpuE2ELNS1_3repE0EEENS1_30default_config_static_selectorELNS0_4arch9wavefront6targetE0EEEvT1_, .Lfunc_end1796-_ZN7rocprim17ROCPRIM_400000_NS6detail17trampoline_kernelINS0_14default_configENS1_27scan_by_key_config_selectorIifEEZZNS1_16scan_by_key_implILNS1_25lookback_scan_determinismE0ELb1ES3_N6thrust23THRUST_200600_302600_NS6detail15normal_iteratorINS9_10device_ptrIiEEEENSB_INSC_IjEEEESE_fNS9_4plusIvEENS9_8equal_toIvEEfEE10hipError_tPvRmT2_T3_T4_T5_mT6_T7_P12ihipStream_tbENKUlT_T0_E_clISt17integral_constantIbLb0EES11_EEDaSW_SX_EUlSW_E_NS1_11comp_targetILNS1_3genE8ELNS1_11target_archE1030ELNS1_3gpuE2ELNS1_3repE0EEENS1_30default_config_static_selectorELNS0_4arch9wavefront6targetE0EEEvT1_
                                        ; -- End function
	.set _ZN7rocprim17ROCPRIM_400000_NS6detail17trampoline_kernelINS0_14default_configENS1_27scan_by_key_config_selectorIifEEZZNS1_16scan_by_key_implILNS1_25lookback_scan_determinismE0ELb1ES3_N6thrust23THRUST_200600_302600_NS6detail15normal_iteratorINS9_10device_ptrIiEEEENSB_INSC_IjEEEESE_fNS9_4plusIvEENS9_8equal_toIvEEfEE10hipError_tPvRmT2_T3_T4_T5_mT6_T7_P12ihipStream_tbENKUlT_T0_E_clISt17integral_constantIbLb0EES11_EEDaSW_SX_EUlSW_E_NS1_11comp_targetILNS1_3genE8ELNS1_11target_archE1030ELNS1_3gpuE2ELNS1_3repE0EEENS1_30default_config_static_selectorELNS0_4arch9wavefront6targetE0EEEvT1_.num_vgpr, 40
	.set _ZN7rocprim17ROCPRIM_400000_NS6detail17trampoline_kernelINS0_14default_configENS1_27scan_by_key_config_selectorIifEEZZNS1_16scan_by_key_implILNS1_25lookback_scan_determinismE0ELb1ES3_N6thrust23THRUST_200600_302600_NS6detail15normal_iteratorINS9_10device_ptrIiEEEENSB_INSC_IjEEEESE_fNS9_4plusIvEENS9_8equal_toIvEEfEE10hipError_tPvRmT2_T3_T4_T5_mT6_T7_P12ihipStream_tbENKUlT_T0_E_clISt17integral_constantIbLb0EES11_EEDaSW_SX_EUlSW_E_NS1_11comp_targetILNS1_3genE8ELNS1_11target_archE1030ELNS1_3gpuE2ELNS1_3repE0EEENS1_30default_config_static_selectorELNS0_4arch9wavefront6targetE0EEEvT1_.num_agpr, 0
	.set _ZN7rocprim17ROCPRIM_400000_NS6detail17trampoline_kernelINS0_14default_configENS1_27scan_by_key_config_selectorIifEEZZNS1_16scan_by_key_implILNS1_25lookback_scan_determinismE0ELb1ES3_N6thrust23THRUST_200600_302600_NS6detail15normal_iteratorINS9_10device_ptrIiEEEENSB_INSC_IjEEEESE_fNS9_4plusIvEENS9_8equal_toIvEEfEE10hipError_tPvRmT2_T3_T4_T5_mT6_T7_P12ihipStream_tbENKUlT_T0_E_clISt17integral_constantIbLb0EES11_EEDaSW_SX_EUlSW_E_NS1_11comp_targetILNS1_3genE8ELNS1_11target_archE1030ELNS1_3gpuE2ELNS1_3repE0EEENS1_30default_config_static_selectorELNS0_4arch9wavefront6targetE0EEEvT1_.numbered_sgpr, 29
	.set _ZN7rocprim17ROCPRIM_400000_NS6detail17trampoline_kernelINS0_14default_configENS1_27scan_by_key_config_selectorIifEEZZNS1_16scan_by_key_implILNS1_25lookback_scan_determinismE0ELb1ES3_N6thrust23THRUST_200600_302600_NS6detail15normal_iteratorINS9_10device_ptrIiEEEENSB_INSC_IjEEEESE_fNS9_4plusIvEENS9_8equal_toIvEEfEE10hipError_tPvRmT2_T3_T4_T5_mT6_T7_P12ihipStream_tbENKUlT_T0_E_clISt17integral_constantIbLb0EES11_EEDaSW_SX_EUlSW_E_NS1_11comp_targetILNS1_3genE8ELNS1_11target_archE1030ELNS1_3gpuE2ELNS1_3repE0EEENS1_30default_config_static_selectorELNS0_4arch9wavefront6targetE0EEEvT1_.num_named_barrier, 0
	.set _ZN7rocprim17ROCPRIM_400000_NS6detail17trampoline_kernelINS0_14default_configENS1_27scan_by_key_config_selectorIifEEZZNS1_16scan_by_key_implILNS1_25lookback_scan_determinismE0ELb1ES3_N6thrust23THRUST_200600_302600_NS6detail15normal_iteratorINS9_10device_ptrIiEEEENSB_INSC_IjEEEESE_fNS9_4plusIvEENS9_8equal_toIvEEfEE10hipError_tPvRmT2_T3_T4_T5_mT6_T7_P12ihipStream_tbENKUlT_T0_E_clISt17integral_constantIbLb0EES11_EEDaSW_SX_EUlSW_E_NS1_11comp_targetILNS1_3genE8ELNS1_11target_archE1030ELNS1_3gpuE2ELNS1_3repE0EEENS1_30default_config_static_selectorELNS0_4arch9wavefront6targetE0EEEvT1_.private_seg_size, 0
	.set _ZN7rocprim17ROCPRIM_400000_NS6detail17trampoline_kernelINS0_14default_configENS1_27scan_by_key_config_selectorIifEEZZNS1_16scan_by_key_implILNS1_25lookback_scan_determinismE0ELb1ES3_N6thrust23THRUST_200600_302600_NS6detail15normal_iteratorINS9_10device_ptrIiEEEENSB_INSC_IjEEEESE_fNS9_4plusIvEENS9_8equal_toIvEEfEE10hipError_tPvRmT2_T3_T4_T5_mT6_T7_P12ihipStream_tbENKUlT_T0_E_clISt17integral_constantIbLb0EES11_EEDaSW_SX_EUlSW_E_NS1_11comp_targetILNS1_3genE8ELNS1_11target_archE1030ELNS1_3gpuE2ELNS1_3repE0EEENS1_30default_config_static_selectorELNS0_4arch9wavefront6targetE0EEEvT1_.uses_vcc, 1
	.set _ZN7rocprim17ROCPRIM_400000_NS6detail17trampoline_kernelINS0_14default_configENS1_27scan_by_key_config_selectorIifEEZZNS1_16scan_by_key_implILNS1_25lookback_scan_determinismE0ELb1ES3_N6thrust23THRUST_200600_302600_NS6detail15normal_iteratorINS9_10device_ptrIiEEEENSB_INSC_IjEEEESE_fNS9_4plusIvEENS9_8equal_toIvEEfEE10hipError_tPvRmT2_T3_T4_T5_mT6_T7_P12ihipStream_tbENKUlT_T0_E_clISt17integral_constantIbLb0EES11_EEDaSW_SX_EUlSW_E_NS1_11comp_targetILNS1_3genE8ELNS1_11target_archE1030ELNS1_3gpuE2ELNS1_3repE0EEENS1_30default_config_static_selectorELNS0_4arch9wavefront6targetE0EEEvT1_.uses_flat_scratch, 1
	.set _ZN7rocprim17ROCPRIM_400000_NS6detail17trampoline_kernelINS0_14default_configENS1_27scan_by_key_config_selectorIifEEZZNS1_16scan_by_key_implILNS1_25lookback_scan_determinismE0ELb1ES3_N6thrust23THRUST_200600_302600_NS6detail15normal_iteratorINS9_10device_ptrIiEEEENSB_INSC_IjEEEESE_fNS9_4plusIvEENS9_8equal_toIvEEfEE10hipError_tPvRmT2_T3_T4_T5_mT6_T7_P12ihipStream_tbENKUlT_T0_E_clISt17integral_constantIbLb0EES11_EEDaSW_SX_EUlSW_E_NS1_11comp_targetILNS1_3genE8ELNS1_11target_archE1030ELNS1_3gpuE2ELNS1_3repE0EEENS1_30default_config_static_selectorELNS0_4arch9wavefront6targetE0EEEvT1_.has_dyn_sized_stack, 0
	.set _ZN7rocprim17ROCPRIM_400000_NS6detail17trampoline_kernelINS0_14default_configENS1_27scan_by_key_config_selectorIifEEZZNS1_16scan_by_key_implILNS1_25lookback_scan_determinismE0ELb1ES3_N6thrust23THRUST_200600_302600_NS6detail15normal_iteratorINS9_10device_ptrIiEEEENSB_INSC_IjEEEESE_fNS9_4plusIvEENS9_8equal_toIvEEfEE10hipError_tPvRmT2_T3_T4_T5_mT6_T7_P12ihipStream_tbENKUlT_T0_E_clISt17integral_constantIbLb0EES11_EEDaSW_SX_EUlSW_E_NS1_11comp_targetILNS1_3genE8ELNS1_11target_archE1030ELNS1_3gpuE2ELNS1_3repE0EEENS1_30default_config_static_selectorELNS0_4arch9wavefront6targetE0EEEvT1_.has_recursion, 0
	.set _ZN7rocprim17ROCPRIM_400000_NS6detail17trampoline_kernelINS0_14default_configENS1_27scan_by_key_config_selectorIifEEZZNS1_16scan_by_key_implILNS1_25lookback_scan_determinismE0ELb1ES3_N6thrust23THRUST_200600_302600_NS6detail15normal_iteratorINS9_10device_ptrIiEEEENSB_INSC_IjEEEESE_fNS9_4plusIvEENS9_8equal_toIvEEfEE10hipError_tPvRmT2_T3_T4_T5_mT6_T7_P12ihipStream_tbENKUlT_T0_E_clISt17integral_constantIbLb0EES11_EEDaSW_SX_EUlSW_E_NS1_11comp_targetILNS1_3genE8ELNS1_11target_archE1030ELNS1_3gpuE2ELNS1_3repE0EEENS1_30default_config_static_selectorELNS0_4arch9wavefront6targetE0EEEvT1_.has_indirect_call, 0
	.section	.AMDGPU.csdata,"",@progbits
; Kernel info:
; codeLenInByte = 6140
; TotalNumSgprs: 31
; NumVgprs: 40
; ScratchSize: 0
; MemoryBound: 0
; FloatMode: 240
; IeeeMode: 1
; LDSByteSize: 5120 bytes/workgroup (compile time only)
; SGPRBlocks: 0
; VGPRBlocks: 4
; NumSGPRsForWavesPerEU: 31
; NumVGPRsForWavesPerEU: 40
; Occupancy: 16
; WaveLimiterHint : 1
; COMPUTE_PGM_RSRC2:SCRATCH_EN: 0
; COMPUTE_PGM_RSRC2:USER_SGPR: 6
; COMPUTE_PGM_RSRC2:TRAP_HANDLER: 0
; COMPUTE_PGM_RSRC2:TGID_X_EN: 1
; COMPUTE_PGM_RSRC2:TGID_Y_EN: 0
; COMPUTE_PGM_RSRC2:TGID_Z_EN: 0
; COMPUTE_PGM_RSRC2:TIDIG_COMP_CNT: 0
	.section	.text._ZN7rocprim17ROCPRIM_400000_NS6detail17trampoline_kernelINS0_14default_configENS1_27scan_by_key_config_selectorIifEEZZNS1_16scan_by_key_implILNS1_25lookback_scan_determinismE0ELb1ES3_N6thrust23THRUST_200600_302600_NS6detail15normal_iteratorINS9_10device_ptrIiEEEENSB_INSC_IjEEEESE_fNS9_4plusIvEENS9_8equal_toIvEEfEE10hipError_tPvRmT2_T3_T4_T5_mT6_T7_P12ihipStream_tbENKUlT_T0_E_clISt17integral_constantIbLb1EES11_EEDaSW_SX_EUlSW_E_NS1_11comp_targetILNS1_3genE0ELNS1_11target_archE4294967295ELNS1_3gpuE0ELNS1_3repE0EEENS1_30default_config_static_selectorELNS0_4arch9wavefront6targetE0EEEvT1_,"axG",@progbits,_ZN7rocprim17ROCPRIM_400000_NS6detail17trampoline_kernelINS0_14default_configENS1_27scan_by_key_config_selectorIifEEZZNS1_16scan_by_key_implILNS1_25lookback_scan_determinismE0ELb1ES3_N6thrust23THRUST_200600_302600_NS6detail15normal_iteratorINS9_10device_ptrIiEEEENSB_INSC_IjEEEESE_fNS9_4plusIvEENS9_8equal_toIvEEfEE10hipError_tPvRmT2_T3_T4_T5_mT6_T7_P12ihipStream_tbENKUlT_T0_E_clISt17integral_constantIbLb1EES11_EEDaSW_SX_EUlSW_E_NS1_11comp_targetILNS1_3genE0ELNS1_11target_archE4294967295ELNS1_3gpuE0ELNS1_3repE0EEENS1_30default_config_static_selectorELNS0_4arch9wavefront6targetE0EEEvT1_,comdat
	.protected	_ZN7rocprim17ROCPRIM_400000_NS6detail17trampoline_kernelINS0_14default_configENS1_27scan_by_key_config_selectorIifEEZZNS1_16scan_by_key_implILNS1_25lookback_scan_determinismE0ELb1ES3_N6thrust23THRUST_200600_302600_NS6detail15normal_iteratorINS9_10device_ptrIiEEEENSB_INSC_IjEEEESE_fNS9_4plusIvEENS9_8equal_toIvEEfEE10hipError_tPvRmT2_T3_T4_T5_mT6_T7_P12ihipStream_tbENKUlT_T0_E_clISt17integral_constantIbLb1EES11_EEDaSW_SX_EUlSW_E_NS1_11comp_targetILNS1_3genE0ELNS1_11target_archE4294967295ELNS1_3gpuE0ELNS1_3repE0EEENS1_30default_config_static_selectorELNS0_4arch9wavefront6targetE0EEEvT1_ ; -- Begin function _ZN7rocprim17ROCPRIM_400000_NS6detail17trampoline_kernelINS0_14default_configENS1_27scan_by_key_config_selectorIifEEZZNS1_16scan_by_key_implILNS1_25lookback_scan_determinismE0ELb1ES3_N6thrust23THRUST_200600_302600_NS6detail15normal_iteratorINS9_10device_ptrIiEEEENSB_INSC_IjEEEESE_fNS9_4plusIvEENS9_8equal_toIvEEfEE10hipError_tPvRmT2_T3_T4_T5_mT6_T7_P12ihipStream_tbENKUlT_T0_E_clISt17integral_constantIbLb1EES11_EEDaSW_SX_EUlSW_E_NS1_11comp_targetILNS1_3genE0ELNS1_11target_archE4294967295ELNS1_3gpuE0ELNS1_3repE0EEENS1_30default_config_static_selectorELNS0_4arch9wavefront6targetE0EEEvT1_
	.globl	_ZN7rocprim17ROCPRIM_400000_NS6detail17trampoline_kernelINS0_14default_configENS1_27scan_by_key_config_selectorIifEEZZNS1_16scan_by_key_implILNS1_25lookback_scan_determinismE0ELb1ES3_N6thrust23THRUST_200600_302600_NS6detail15normal_iteratorINS9_10device_ptrIiEEEENSB_INSC_IjEEEESE_fNS9_4plusIvEENS9_8equal_toIvEEfEE10hipError_tPvRmT2_T3_T4_T5_mT6_T7_P12ihipStream_tbENKUlT_T0_E_clISt17integral_constantIbLb1EES11_EEDaSW_SX_EUlSW_E_NS1_11comp_targetILNS1_3genE0ELNS1_11target_archE4294967295ELNS1_3gpuE0ELNS1_3repE0EEENS1_30default_config_static_selectorELNS0_4arch9wavefront6targetE0EEEvT1_
	.p2align	8
	.type	_ZN7rocprim17ROCPRIM_400000_NS6detail17trampoline_kernelINS0_14default_configENS1_27scan_by_key_config_selectorIifEEZZNS1_16scan_by_key_implILNS1_25lookback_scan_determinismE0ELb1ES3_N6thrust23THRUST_200600_302600_NS6detail15normal_iteratorINS9_10device_ptrIiEEEENSB_INSC_IjEEEESE_fNS9_4plusIvEENS9_8equal_toIvEEfEE10hipError_tPvRmT2_T3_T4_T5_mT6_T7_P12ihipStream_tbENKUlT_T0_E_clISt17integral_constantIbLb1EES11_EEDaSW_SX_EUlSW_E_NS1_11comp_targetILNS1_3genE0ELNS1_11target_archE4294967295ELNS1_3gpuE0ELNS1_3repE0EEENS1_30default_config_static_selectorELNS0_4arch9wavefront6targetE0EEEvT1_,@function
_ZN7rocprim17ROCPRIM_400000_NS6detail17trampoline_kernelINS0_14default_configENS1_27scan_by_key_config_selectorIifEEZZNS1_16scan_by_key_implILNS1_25lookback_scan_determinismE0ELb1ES3_N6thrust23THRUST_200600_302600_NS6detail15normal_iteratorINS9_10device_ptrIiEEEENSB_INSC_IjEEEESE_fNS9_4plusIvEENS9_8equal_toIvEEfEE10hipError_tPvRmT2_T3_T4_T5_mT6_T7_P12ihipStream_tbENKUlT_T0_E_clISt17integral_constantIbLb1EES11_EEDaSW_SX_EUlSW_E_NS1_11comp_targetILNS1_3genE0ELNS1_11target_archE4294967295ELNS1_3gpuE0ELNS1_3repE0EEENS1_30default_config_static_selectorELNS0_4arch9wavefront6targetE0EEEvT1_: ; @_ZN7rocprim17ROCPRIM_400000_NS6detail17trampoline_kernelINS0_14default_configENS1_27scan_by_key_config_selectorIifEEZZNS1_16scan_by_key_implILNS1_25lookback_scan_determinismE0ELb1ES3_N6thrust23THRUST_200600_302600_NS6detail15normal_iteratorINS9_10device_ptrIiEEEENSB_INSC_IjEEEESE_fNS9_4plusIvEENS9_8equal_toIvEEfEE10hipError_tPvRmT2_T3_T4_T5_mT6_T7_P12ihipStream_tbENKUlT_T0_E_clISt17integral_constantIbLb1EES11_EEDaSW_SX_EUlSW_E_NS1_11comp_targetILNS1_3genE0ELNS1_11target_archE4294967295ELNS1_3gpuE0ELNS1_3repE0EEENS1_30default_config_static_selectorELNS0_4arch9wavefront6targetE0EEEvT1_
; %bb.0:
	.section	.rodata,"a",@progbits
	.p2align	6, 0x0
	.amdhsa_kernel _ZN7rocprim17ROCPRIM_400000_NS6detail17trampoline_kernelINS0_14default_configENS1_27scan_by_key_config_selectorIifEEZZNS1_16scan_by_key_implILNS1_25lookback_scan_determinismE0ELb1ES3_N6thrust23THRUST_200600_302600_NS6detail15normal_iteratorINS9_10device_ptrIiEEEENSB_INSC_IjEEEESE_fNS9_4plusIvEENS9_8equal_toIvEEfEE10hipError_tPvRmT2_T3_T4_T5_mT6_T7_P12ihipStream_tbENKUlT_T0_E_clISt17integral_constantIbLb1EES11_EEDaSW_SX_EUlSW_E_NS1_11comp_targetILNS1_3genE0ELNS1_11target_archE4294967295ELNS1_3gpuE0ELNS1_3repE0EEENS1_30default_config_static_selectorELNS0_4arch9wavefront6targetE0EEEvT1_
		.amdhsa_group_segment_fixed_size 0
		.amdhsa_private_segment_fixed_size 0
		.amdhsa_kernarg_size 112
		.amdhsa_user_sgpr_count 6
		.amdhsa_user_sgpr_private_segment_buffer 1
		.amdhsa_user_sgpr_dispatch_ptr 0
		.amdhsa_user_sgpr_queue_ptr 0
		.amdhsa_user_sgpr_kernarg_segment_ptr 1
		.amdhsa_user_sgpr_dispatch_id 0
		.amdhsa_user_sgpr_flat_scratch_init 0
		.amdhsa_user_sgpr_private_segment_size 0
		.amdhsa_wavefront_size32 1
		.amdhsa_uses_dynamic_stack 0
		.amdhsa_system_sgpr_private_segment_wavefront_offset 0
		.amdhsa_system_sgpr_workgroup_id_x 1
		.amdhsa_system_sgpr_workgroup_id_y 0
		.amdhsa_system_sgpr_workgroup_id_z 0
		.amdhsa_system_sgpr_workgroup_info 0
		.amdhsa_system_vgpr_workitem_id 0
		.amdhsa_next_free_vgpr 1
		.amdhsa_next_free_sgpr 1
		.amdhsa_reserve_vcc 0
		.amdhsa_reserve_flat_scratch 0
		.amdhsa_float_round_mode_32 0
		.amdhsa_float_round_mode_16_64 0
		.amdhsa_float_denorm_mode_32 3
		.amdhsa_float_denorm_mode_16_64 3
		.amdhsa_dx10_clamp 1
		.amdhsa_ieee_mode 1
		.amdhsa_fp16_overflow 0
		.amdhsa_workgroup_processor_mode 1
		.amdhsa_memory_ordered 1
		.amdhsa_forward_progress 1
		.amdhsa_shared_vgpr_count 0
		.amdhsa_exception_fp_ieee_invalid_op 0
		.amdhsa_exception_fp_denorm_src 0
		.amdhsa_exception_fp_ieee_div_zero 0
		.amdhsa_exception_fp_ieee_overflow 0
		.amdhsa_exception_fp_ieee_underflow 0
		.amdhsa_exception_fp_ieee_inexact 0
		.amdhsa_exception_int_div_zero 0
	.end_amdhsa_kernel
	.section	.text._ZN7rocprim17ROCPRIM_400000_NS6detail17trampoline_kernelINS0_14default_configENS1_27scan_by_key_config_selectorIifEEZZNS1_16scan_by_key_implILNS1_25lookback_scan_determinismE0ELb1ES3_N6thrust23THRUST_200600_302600_NS6detail15normal_iteratorINS9_10device_ptrIiEEEENSB_INSC_IjEEEESE_fNS9_4plusIvEENS9_8equal_toIvEEfEE10hipError_tPvRmT2_T3_T4_T5_mT6_T7_P12ihipStream_tbENKUlT_T0_E_clISt17integral_constantIbLb1EES11_EEDaSW_SX_EUlSW_E_NS1_11comp_targetILNS1_3genE0ELNS1_11target_archE4294967295ELNS1_3gpuE0ELNS1_3repE0EEENS1_30default_config_static_selectorELNS0_4arch9wavefront6targetE0EEEvT1_,"axG",@progbits,_ZN7rocprim17ROCPRIM_400000_NS6detail17trampoline_kernelINS0_14default_configENS1_27scan_by_key_config_selectorIifEEZZNS1_16scan_by_key_implILNS1_25lookback_scan_determinismE0ELb1ES3_N6thrust23THRUST_200600_302600_NS6detail15normal_iteratorINS9_10device_ptrIiEEEENSB_INSC_IjEEEESE_fNS9_4plusIvEENS9_8equal_toIvEEfEE10hipError_tPvRmT2_T3_T4_T5_mT6_T7_P12ihipStream_tbENKUlT_T0_E_clISt17integral_constantIbLb1EES11_EEDaSW_SX_EUlSW_E_NS1_11comp_targetILNS1_3genE0ELNS1_11target_archE4294967295ELNS1_3gpuE0ELNS1_3repE0EEENS1_30default_config_static_selectorELNS0_4arch9wavefront6targetE0EEEvT1_,comdat
.Lfunc_end1797:
	.size	_ZN7rocprim17ROCPRIM_400000_NS6detail17trampoline_kernelINS0_14default_configENS1_27scan_by_key_config_selectorIifEEZZNS1_16scan_by_key_implILNS1_25lookback_scan_determinismE0ELb1ES3_N6thrust23THRUST_200600_302600_NS6detail15normal_iteratorINS9_10device_ptrIiEEEENSB_INSC_IjEEEESE_fNS9_4plusIvEENS9_8equal_toIvEEfEE10hipError_tPvRmT2_T3_T4_T5_mT6_T7_P12ihipStream_tbENKUlT_T0_E_clISt17integral_constantIbLb1EES11_EEDaSW_SX_EUlSW_E_NS1_11comp_targetILNS1_3genE0ELNS1_11target_archE4294967295ELNS1_3gpuE0ELNS1_3repE0EEENS1_30default_config_static_selectorELNS0_4arch9wavefront6targetE0EEEvT1_, .Lfunc_end1797-_ZN7rocprim17ROCPRIM_400000_NS6detail17trampoline_kernelINS0_14default_configENS1_27scan_by_key_config_selectorIifEEZZNS1_16scan_by_key_implILNS1_25lookback_scan_determinismE0ELb1ES3_N6thrust23THRUST_200600_302600_NS6detail15normal_iteratorINS9_10device_ptrIiEEEENSB_INSC_IjEEEESE_fNS9_4plusIvEENS9_8equal_toIvEEfEE10hipError_tPvRmT2_T3_T4_T5_mT6_T7_P12ihipStream_tbENKUlT_T0_E_clISt17integral_constantIbLb1EES11_EEDaSW_SX_EUlSW_E_NS1_11comp_targetILNS1_3genE0ELNS1_11target_archE4294967295ELNS1_3gpuE0ELNS1_3repE0EEENS1_30default_config_static_selectorELNS0_4arch9wavefront6targetE0EEEvT1_
                                        ; -- End function
	.set _ZN7rocprim17ROCPRIM_400000_NS6detail17trampoline_kernelINS0_14default_configENS1_27scan_by_key_config_selectorIifEEZZNS1_16scan_by_key_implILNS1_25lookback_scan_determinismE0ELb1ES3_N6thrust23THRUST_200600_302600_NS6detail15normal_iteratorINS9_10device_ptrIiEEEENSB_INSC_IjEEEESE_fNS9_4plusIvEENS9_8equal_toIvEEfEE10hipError_tPvRmT2_T3_T4_T5_mT6_T7_P12ihipStream_tbENKUlT_T0_E_clISt17integral_constantIbLb1EES11_EEDaSW_SX_EUlSW_E_NS1_11comp_targetILNS1_3genE0ELNS1_11target_archE4294967295ELNS1_3gpuE0ELNS1_3repE0EEENS1_30default_config_static_selectorELNS0_4arch9wavefront6targetE0EEEvT1_.num_vgpr, 0
	.set _ZN7rocprim17ROCPRIM_400000_NS6detail17trampoline_kernelINS0_14default_configENS1_27scan_by_key_config_selectorIifEEZZNS1_16scan_by_key_implILNS1_25lookback_scan_determinismE0ELb1ES3_N6thrust23THRUST_200600_302600_NS6detail15normal_iteratorINS9_10device_ptrIiEEEENSB_INSC_IjEEEESE_fNS9_4plusIvEENS9_8equal_toIvEEfEE10hipError_tPvRmT2_T3_T4_T5_mT6_T7_P12ihipStream_tbENKUlT_T0_E_clISt17integral_constantIbLb1EES11_EEDaSW_SX_EUlSW_E_NS1_11comp_targetILNS1_3genE0ELNS1_11target_archE4294967295ELNS1_3gpuE0ELNS1_3repE0EEENS1_30default_config_static_selectorELNS0_4arch9wavefront6targetE0EEEvT1_.num_agpr, 0
	.set _ZN7rocprim17ROCPRIM_400000_NS6detail17trampoline_kernelINS0_14default_configENS1_27scan_by_key_config_selectorIifEEZZNS1_16scan_by_key_implILNS1_25lookback_scan_determinismE0ELb1ES3_N6thrust23THRUST_200600_302600_NS6detail15normal_iteratorINS9_10device_ptrIiEEEENSB_INSC_IjEEEESE_fNS9_4plusIvEENS9_8equal_toIvEEfEE10hipError_tPvRmT2_T3_T4_T5_mT6_T7_P12ihipStream_tbENKUlT_T0_E_clISt17integral_constantIbLb1EES11_EEDaSW_SX_EUlSW_E_NS1_11comp_targetILNS1_3genE0ELNS1_11target_archE4294967295ELNS1_3gpuE0ELNS1_3repE0EEENS1_30default_config_static_selectorELNS0_4arch9wavefront6targetE0EEEvT1_.numbered_sgpr, 0
	.set _ZN7rocprim17ROCPRIM_400000_NS6detail17trampoline_kernelINS0_14default_configENS1_27scan_by_key_config_selectorIifEEZZNS1_16scan_by_key_implILNS1_25lookback_scan_determinismE0ELb1ES3_N6thrust23THRUST_200600_302600_NS6detail15normal_iteratorINS9_10device_ptrIiEEEENSB_INSC_IjEEEESE_fNS9_4plusIvEENS9_8equal_toIvEEfEE10hipError_tPvRmT2_T3_T4_T5_mT6_T7_P12ihipStream_tbENKUlT_T0_E_clISt17integral_constantIbLb1EES11_EEDaSW_SX_EUlSW_E_NS1_11comp_targetILNS1_3genE0ELNS1_11target_archE4294967295ELNS1_3gpuE0ELNS1_3repE0EEENS1_30default_config_static_selectorELNS0_4arch9wavefront6targetE0EEEvT1_.num_named_barrier, 0
	.set _ZN7rocprim17ROCPRIM_400000_NS6detail17trampoline_kernelINS0_14default_configENS1_27scan_by_key_config_selectorIifEEZZNS1_16scan_by_key_implILNS1_25lookback_scan_determinismE0ELb1ES3_N6thrust23THRUST_200600_302600_NS6detail15normal_iteratorINS9_10device_ptrIiEEEENSB_INSC_IjEEEESE_fNS9_4plusIvEENS9_8equal_toIvEEfEE10hipError_tPvRmT2_T3_T4_T5_mT6_T7_P12ihipStream_tbENKUlT_T0_E_clISt17integral_constantIbLb1EES11_EEDaSW_SX_EUlSW_E_NS1_11comp_targetILNS1_3genE0ELNS1_11target_archE4294967295ELNS1_3gpuE0ELNS1_3repE0EEENS1_30default_config_static_selectorELNS0_4arch9wavefront6targetE0EEEvT1_.private_seg_size, 0
	.set _ZN7rocprim17ROCPRIM_400000_NS6detail17trampoline_kernelINS0_14default_configENS1_27scan_by_key_config_selectorIifEEZZNS1_16scan_by_key_implILNS1_25lookback_scan_determinismE0ELb1ES3_N6thrust23THRUST_200600_302600_NS6detail15normal_iteratorINS9_10device_ptrIiEEEENSB_INSC_IjEEEESE_fNS9_4plusIvEENS9_8equal_toIvEEfEE10hipError_tPvRmT2_T3_T4_T5_mT6_T7_P12ihipStream_tbENKUlT_T0_E_clISt17integral_constantIbLb1EES11_EEDaSW_SX_EUlSW_E_NS1_11comp_targetILNS1_3genE0ELNS1_11target_archE4294967295ELNS1_3gpuE0ELNS1_3repE0EEENS1_30default_config_static_selectorELNS0_4arch9wavefront6targetE0EEEvT1_.uses_vcc, 0
	.set _ZN7rocprim17ROCPRIM_400000_NS6detail17trampoline_kernelINS0_14default_configENS1_27scan_by_key_config_selectorIifEEZZNS1_16scan_by_key_implILNS1_25lookback_scan_determinismE0ELb1ES3_N6thrust23THRUST_200600_302600_NS6detail15normal_iteratorINS9_10device_ptrIiEEEENSB_INSC_IjEEEESE_fNS9_4plusIvEENS9_8equal_toIvEEfEE10hipError_tPvRmT2_T3_T4_T5_mT6_T7_P12ihipStream_tbENKUlT_T0_E_clISt17integral_constantIbLb1EES11_EEDaSW_SX_EUlSW_E_NS1_11comp_targetILNS1_3genE0ELNS1_11target_archE4294967295ELNS1_3gpuE0ELNS1_3repE0EEENS1_30default_config_static_selectorELNS0_4arch9wavefront6targetE0EEEvT1_.uses_flat_scratch, 0
	.set _ZN7rocprim17ROCPRIM_400000_NS6detail17trampoline_kernelINS0_14default_configENS1_27scan_by_key_config_selectorIifEEZZNS1_16scan_by_key_implILNS1_25lookback_scan_determinismE0ELb1ES3_N6thrust23THRUST_200600_302600_NS6detail15normal_iteratorINS9_10device_ptrIiEEEENSB_INSC_IjEEEESE_fNS9_4plusIvEENS9_8equal_toIvEEfEE10hipError_tPvRmT2_T3_T4_T5_mT6_T7_P12ihipStream_tbENKUlT_T0_E_clISt17integral_constantIbLb1EES11_EEDaSW_SX_EUlSW_E_NS1_11comp_targetILNS1_3genE0ELNS1_11target_archE4294967295ELNS1_3gpuE0ELNS1_3repE0EEENS1_30default_config_static_selectorELNS0_4arch9wavefront6targetE0EEEvT1_.has_dyn_sized_stack, 0
	.set _ZN7rocprim17ROCPRIM_400000_NS6detail17trampoline_kernelINS0_14default_configENS1_27scan_by_key_config_selectorIifEEZZNS1_16scan_by_key_implILNS1_25lookback_scan_determinismE0ELb1ES3_N6thrust23THRUST_200600_302600_NS6detail15normal_iteratorINS9_10device_ptrIiEEEENSB_INSC_IjEEEESE_fNS9_4plusIvEENS9_8equal_toIvEEfEE10hipError_tPvRmT2_T3_T4_T5_mT6_T7_P12ihipStream_tbENKUlT_T0_E_clISt17integral_constantIbLb1EES11_EEDaSW_SX_EUlSW_E_NS1_11comp_targetILNS1_3genE0ELNS1_11target_archE4294967295ELNS1_3gpuE0ELNS1_3repE0EEENS1_30default_config_static_selectorELNS0_4arch9wavefront6targetE0EEEvT1_.has_recursion, 0
	.set _ZN7rocprim17ROCPRIM_400000_NS6detail17trampoline_kernelINS0_14default_configENS1_27scan_by_key_config_selectorIifEEZZNS1_16scan_by_key_implILNS1_25lookback_scan_determinismE0ELb1ES3_N6thrust23THRUST_200600_302600_NS6detail15normal_iteratorINS9_10device_ptrIiEEEENSB_INSC_IjEEEESE_fNS9_4plusIvEENS9_8equal_toIvEEfEE10hipError_tPvRmT2_T3_T4_T5_mT6_T7_P12ihipStream_tbENKUlT_T0_E_clISt17integral_constantIbLb1EES11_EEDaSW_SX_EUlSW_E_NS1_11comp_targetILNS1_3genE0ELNS1_11target_archE4294967295ELNS1_3gpuE0ELNS1_3repE0EEENS1_30default_config_static_selectorELNS0_4arch9wavefront6targetE0EEEvT1_.has_indirect_call, 0
	.section	.AMDGPU.csdata,"",@progbits
; Kernel info:
; codeLenInByte = 0
; TotalNumSgprs: 0
; NumVgprs: 0
; ScratchSize: 0
; MemoryBound: 0
; FloatMode: 240
; IeeeMode: 1
; LDSByteSize: 0 bytes/workgroup (compile time only)
; SGPRBlocks: 0
; VGPRBlocks: 0
; NumSGPRsForWavesPerEU: 1
; NumVGPRsForWavesPerEU: 1
; Occupancy: 16
; WaveLimiterHint : 0
; COMPUTE_PGM_RSRC2:SCRATCH_EN: 0
; COMPUTE_PGM_RSRC2:USER_SGPR: 6
; COMPUTE_PGM_RSRC2:TRAP_HANDLER: 0
; COMPUTE_PGM_RSRC2:TGID_X_EN: 1
; COMPUTE_PGM_RSRC2:TGID_Y_EN: 0
; COMPUTE_PGM_RSRC2:TGID_Z_EN: 0
; COMPUTE_PGM_RSRC2:TIDIG_COMP_CNT: 0
	.section	.text._ZN7rocprim17ROCPRIM_400000_NS6detail17trampoline_kernelINS0_14default_configENS1_27scan_by_key_config_selectorIifEEZZNS1_16scan_by_key_implILNS1_25lookback_scan_determinismE0ELb1ES3_N6thrust23THRUST_200600_302600_NS6detail15normal_iteratorINS9_10device_ptrIiEEEENSB_INSC_IjEEEESE_fNS9_4plusIvEENS9_8equal_toIvEEfEE10hipError_tPvRmT2_T3_T4_T5_mT6_T7_P12ihipStream_tbENKUlT_T0_E_clISt17integral_constantIbLb1EES11_EEDaSW_SX_EUlSW_E_NS1_11comp_targetILNS1_3genE10ELNS1_11target_archE1201ELNS1_3gpuE5ELNS1_3repE0EEENS1_30default_config_static_selectorELNS0_4arch9wavefront6targetE0EEEvT1_,"axG",@progbits,_ZN7rocprim17ROCPRIM_400000_NS6detail17trampoline_kernelINS0_14default_configENS1_27scan_by_key_config_selectorIifEEZZNS1_16scan_by_key_implILNS1_25lookback_scan_determinismE0ELb1ES3_N6thrust23THRUST_200600_302600_NS6detail15normal_iteratorINS9_10device_ptrIiEEEENSB_INSC_IjEEEESE_fNS9_4plusIvEENS9_8equal_toIvEEfEE10hipError_tPvRmT2_T3_T4_T5_mT6_T7_P12ihipStream_tbENKUlT_T0_E_clISt17integral_constantIbLb1EES11_EEDaSW_SX_EUlSW_E_NS1_11comp_targetILNS1_3genE10ELNS1_11target_archE1201ELNS1_3gpuE5ELNS1_3repE0EEENS1_30default_config_static_selectorELNS0_4arch9wavefront6targetE0EEEvT1_,comdat
	.protected	_ZN7rocprim17ROCPRIM_400000_NS6detail17trampoline_kernelINS0_14default_configENS1_27scan_by_key_config_selectorIifEEZZNS1_16scan_by_key_implILNS1_25lookback_scan_determinismE0ELb1ES3_N6thrust23THRUST_200600_302600_NS6detail15normal_iteratorINS9_10device_ptrIiEEEENSB_INSC_IjEEEESE_fNS9_4plusIvEENS9_8equal_toIvEEfEE10hipError_tPvRmT2_T3_T4_T5_mT6_T7_P12ihipStream_tbENKUlT_T0_E_clISt17integral_constantIbLb1EES11_EEDaSW_SX_EUlSW_E_NS1_11comp_targetILNS1_3genE10ELNS1_11target_archE1201ELNS1_3gpuE5ELNS1_3repE0EEENS1_30default_config_static_selectorELNS0_4arch9wavefront6targetE0EEEvT1_ ; -- Begin function _ZN7rocprim17ROCPRIM_400000_NS6detail17trampoline_kernelINS0_14default_configENS1_27scan_by_key_config_selectorIifEEZZNS1_16scan_by_key_implILNS1_25lookback_scan_determinismE0ELb1ES3_N6thrust23THRUST_200600_302600_NS6detail15normal_iteratorINS9_10device_ptrIiEEEENSB_INSC_IjEEEESE_fNS9_4plusIvEENS9_8equal_toIvEEfEE10hipError_tPvRmT2_T3_T4_T5_mT6_T7_P12ihipStream_tbENKUlT_T0_E_clISt17integral_constantIbLb1EES11_EEDaSW_SX_EUlSW_E_NS1_11comp_targetILNS1_3genE10ELNS1_11target_archE1201ELNS1_3gpuE5ELNS1_3repE0EEENS1_30default_config_static_selectorELNS0_4arch9wavefront6targetE0EEEvT1_
	.globl	_ZN7rocprim17ROCPRIM_400000_NS6detail17trampoline_kernelINS0_14default_configENS1_27scan_by_key_config_selectorIifEEZZNS1_16scan_by_key_implILNS1_25lookback_scan_determinismE0ELb1ES3_N6thrust23THRUST_200600_302600_NS6detail15normal_iteratorINS9_10device_ptrIiEEEENSB_INSC_IjEEEESE_fNS9_4plusIvEENS9_8equal_toIvEEfEE10hipError_tPvRmT2_T3_T4_T5_mT6_T7_P12ihipStream_tbENKUlT_T0_E_clISt17integral_constantIbLb1EES11_EEDaSW_SX_EUlSW_E_NS1_11comp_targetILNS1_3genE10ELNS1_11target_archE1201ELNS1_3gpuE5ELNS1_3repE0EEENS1_30default_config_static_selectorELNS0_4arch9wavefront6targetE0EEEvT1_
	.p2align	8
	.type	_ZN7rocprim17ROCPRIM_400000_NS6detail17trampoline_kernelINS0_14default_configENS1_27scan_by_key_config_selectorIifEEZZNS1_16scan_by_key_implILNS1_25lookback_scan_determinismE0ELb1ES3_N6thrust23THRUST_200600_302600_NS6detail15normal_iteratorINS9_10device_ptrIiEEEENSB_INSC_IjEEEESE_fNS9_4plusIvEENS9_8equal_toIvEEfEE10hipError_tPvRmT2_T3_T4_T5_mT6_T7_P12ihipStream_tbENKUlT_T0_E_clISt17integral_constantIbLb1EES11_EEDaSW_SX_EUlSW_E_NS1_11comp_targetILNS1_3genE10ELNS1_11target_archE1201ELNS1_3gpuE5ELNS1_3repE0EEENS1_30default_config_static_selectorELNS0_4arch9wavefront6targetE0EEEvT1_,@function
_ZN7rocprim17ROCPRIM_400000_NS6detail17trampoline_kernelINS0_14default_configENS1_27scan_by_key_config_selectorIifEEZZNS1_16scan_by_key_implILNS1_25lookback_scan_determinismE0ELb1ES3_N6thrust23THRUST_200600_302600_NS6detail15normal_iteratorINS9_10device_ptrIiEEEENSB_INSC_IjEEEESE_fNS9_4plusIvEENS9_8equal_toIvEEfEE10hipError_tPvRmT2_T3_T4_T5_mT6_T7_P12ihipStream_tbENKUlT_T0_E_clISt17integral_constantIbLb1EES11_EEDaSW_SX_EUlSW_E_NS1_11comp_targetILNS1_3genE10ELNS1_11target_archE1201ELNS1_3gpuE5ELNS1_3repE0EEENS1_30default_config_static_selectorELNS0_4arch9wavefront6targetE0EEEvT1_: ; @_ZN7rocprim17ROCPRIM_400000_NS6detail17trampoline_kernelINS0_14default_configENS1_27scan_by_key_config_selectorIifEEZZNS1_16scan_by_key_implILNS1_25lookback_scan_determinismE0ELb1ES3_N6thrust23THRUST_200600_302600_NS6detail15normal_iteratorINS9_10device_ptrIiEEEENSB_INSC_IjEEEESE_fNS9_4plusIvEENS9_8equal_toIvEEfEE10hipError_tPvRmT2_T3_T4_T5_mT6_T7_P12ihipStream_tbENKUlT_T0_E_clISt17integral_constantIbLb1EES11_EEDaSW_SX_EUlSW_E_NS1_11comp_targetILNS1_3genE10ELNS1_11target_archE1201ELNS1_3gpuE5ELNS1_3repE0EEENS1_30default_config_static_selectorELNS0_4arch9wavefront6targetE0EEEvT1_
; %bb.0:
	.section	.rodata,"a",@progbits
	.p2align	6, 0x0
	.amdhsa_kernel _ZN7rocprim17ROCPRIM_400000_NS6detail17trampoline_kernelINS0_14default_configENS1_27scan_by_key_config_selectorIifEEZZNS1_16scan_by_key_implILNS1_25lookback_scan_determinismE0ELb1ES3_N6thrust23THRUST_200600_302600_NS6detail15normal_iteratorINS9_10device_ptrIiEEEENSB_INSC_IjEEEESE_fNS9_4plusIvEENS9_8equal_toIvEEfEE10hipError_tPvRmT2_T3_T4_T5_mT6_T7_P12ihipStream_tbENKUlT_T0_E_clISt17integral_constantIbLb1EES11_EEDaSW_SX_EUlSW_E_NS1_11comp_targetILNS1_3genE10ELNS1_11target_archE1201ELNS1_3gpuE5ELNS1_3repE0EEENS1_30default_config_static_selectorELNS0_4arch9wavefront6targetE0EEEvT1_
		.amdhsa_group_segment_fixed_size 0
		.amdhsa_private_segment_fixed_size 0
		.amdhsa_kernarg_size 112
		.amdhsa_user_sgpr_count 6
		.amdhsa_user_sgpr_private_segment_buffer 1
		.amdhsa_user_sgpr_dispatch_ptr 0
		.amdhsa_user_sgpr_queue_ptr 0
		.amdhsa_user_sgpr_kernarg_segment_ptr 1
		.amdhsa_user_sgpr_dispatch_id 0
		.amdhsa_user_sgpr_flat_scratch_init 0
		.amdhsa_user_sgpr_private_segment_size 0
		.amdhsa_wavefront_size32 1
		.amdhsa_uses_dynamic_stack 0
		.amdhsa_system_sgpr_private_segment_wavefront_offset 0
		.amdhsa_system_sgpr_workgroup_id_x 1
		.amdhsa_system_sgpr_workgroup_id_y 0
		.amdhsa_system_sgpr_workgroup_id_z 0
		.amdhsa_system_sgpr_workgroup_info 0
		.amdhsa_system_vgpr_workitem_id 0
		.amdhsa_next_free_vgpr 1
		.amdhsa_next_free_sgpr 1
		.amdhsa_reserve_vcc 0
		.amdhsa_reserve_flat_scratch 0
		.amdhsa_float_round_mode_32 0
		.amdhsa_float_round_mode_16_64 0
		.amdhsa_float_denorm_mode_32 3
		.amdhsa_float_denorm_mode_16_64 3
		.amdhsa_dx10_clamp 1
		.amdhsa_ieee_mode 1
		.amdhsa_fp16_overflow 0
		.amdhsa_workgroup_processor_mode 1
		.amdhsa_memory_ordered 1
		.amdhsa_forward_progress 1
		.amdhsa_shared_vgpr_count 0
		.amdhsa_exception_fp_ieee_invalid_op 0
		.amdhsa_exception_fp_denorm_src 0
		.amdhsa_exception_fp_ieee_div_zero 0
		.amdhsa_exception_fp_ieee_overflow 0
		.amdhsa_exception_fp_ieee_underflow 0
		.amdhsa_exception_fp_ieee_inexact 0
		.amdhsa_exception_int_div_zero 0
	.end_amdhsa_kernel
	.section	.text._ZN7rocprim17ROCPRIM_400000_NS6detail17trampoline_kernelINS0_14default_configENS1_27scan_by_key_config_selectorIifEEZZNS1_16scan_by_key_implILNS1_25lookback_scan_determinismE0ELb1ES3_N6thrust23THRUST_200600_302600_NS6detail15normal_iteratorINS9_10device_ptrIiEEEENSB_INSC_IjEEEESE_fNS9_4plusIvEENS9_8equal_toIvEEfEE10hipError_tPvRmT2_T3_T4_T5_mT6_T7_P12ihipStream_tbENKUlT_T0_E_clISt17integral_constantIbLb1EES11_EEDaSW_SX_EUlSW_E_NS1_11comp_targetILNS1_3genE10ELNS1_11target_archE1201ELNS1_3gpuE5ELNS1_3repE0EEENS1_30default_config_static_selectorELNS0_4arch9wavefront6targetE0EEEvT1_,"axG",@progbits,_ZN7rocprim17ROCPRIM_400000_NS6detail17trampoline_kernelINS0_14default_configENS1_27scan_by_key_config_selectorIifEEZZNS1_16scan_by_key_implILNS1_25lookback_scan_determinismE0ELb1ES3_N6thrust23THRUST_200600_302600_NS6detail15normal_iteratorINS9_10device_ptrIiEEEENSB_INSC_IjEEEESE_fNS9_4plusIvEENS9_8equal_toIvEEfEE10hipError_tPvRmT2_T3_T4_T5_mT6_T7_P12ihipStream_tbENKUlT_T0_E_clISt17integral_constantIbLb1EES11_EEDaSW_SX_EUlSW_E_NS1_11comp_targetILNS1_3genE10ELNS1_11target_archE1201ELNS1_3gpuE5ELNS1_3repE0EEENS1_30default_config_static_selectorELNS0_4arch9wavefront6targetE0EEEvT1_,comdat
.Lfunc_end1798:
	.size	_ZN7rocprim17ROCPRIM_400000_NS6detail17trampoline_kernelINS0_14default_configENS1_27scan_by_key_config_selectorIifEEZZNS1_16scan_by_key_implILNS1_25lookback_scan_determinismE0ELb1ES3_N6thrust23THRUST_200600_302600_NS6detail15normal_iteratorINS9_10device_ptrIiEEEENSB_INSC_IjEEEESE_fNS9_4plusIvEENS9_8equal_toIvEEfEE10hipError_tPvRmT2_T3_T4_T5_mT6_T7_P12ihipStream_tbENKUlT_T0_E_clISt17integral_constantIbLb1EES11_EEDaSW_SX_EUlSW_E_NS1_11comp_targetILNS1_3genE10ELNS1_11target_archE1201ELNS1_3gpuE5ELNS1_3repE0EEENS1_30default_config_static_selectorELNS0_4arch9wavefront6targetE0EEEvT1_, .Lfunc_end1798-_ZN7rocprim17ROCPRIM_400000_NS6detail17trampoline_kernelINS0_14default_configENS1_27scan_by_key_config_selectorIifEEZZNS1_16scan_by_key_implILNS1_25lookback_scan_determinismE0ELb1ES3_N6thrust23THRUST_200600_302600_NS6detail15normal_iteratorINS9_10device_ptrIiEEEENSB_INSC_IjEEEESE_fNS9_4plusIvEENS9_8equal_toIvEEfEE10hipError_tPvRmT2_T3_T4_T5_mT6_T7_P12ihipStream_tbENKUlT_T0_E_clISt17integral_constantIbLb1EES11_EEDaSW_SX_EUlSW_E_NS1_11comp_targetILNS1_3genE10ELNS1_11target_archE1201ELNS1_3gpuE5ELNS1_3repE0EEENS1_30default_config_static_selectorELNS0_4arch9wavefront6targetE0EEEvT1_
                                        ; -- End function
	.set _ZN7rocprim17ROCPRIM_400000_NS6detail17trampoline_kernelINS0_14default_configENS1_27scan_by_key_config_selectorIifEEZZNS1_16scan_by_key_implILNS1_25lookback_scan_determinismE0ELb1ES3_N6thrust23THRUST_200600_302600_NS6detail15normal_iteratorINS9_10device_ptrIiEEEENSB_INSC_IjEEEESE_fNS9_4plusIvEENS9_8equal_toIvEEfEE10hipError_tPvRmT2_T3_T4_T5_mT6_T7_P12ihipStream_tbENKUlT_T0_E_clISt17integral_constantIbLb1EES11_EEDaSW_SX_EUlSW_E_NS1_11comp_targetILNS1_3genE10ELNS1_11target_archE1201ELNS1_3gpuE5ELNS1_3repE0EEENS1_30default_config_static_selectorELNS0_4arch9wavefront6targetE0EEEvT1_.num_vgpr, 0
	.set _ZN7rocprim17ROCPRIM_400000_NS6detail17trampoline_kernelINS0_14default_configENS1_27scan_by_key_config_selectorIifEEZZNS1_16scan_by_key_implILNS1_25lookback_scan_determinismE0ELb1ES3_N6thrust23THRUST_200600_302600_NS6detail15normal_iteratorINS9_10device_ptrIiEEEENSB_INSC_IjEEEESE_fNS9_4plusIvEENS9_8equal_toIvEEfEE10hipError_tPvRmT2_T3_T4_T5_mT6_T7_P12ihipStream_tbENKUlT_T0_E_clISt17integral_constantIbLb1EES11_EEDaSW_SX_EUlSW_E_NS1_11comp_targetILNS1_3genE10ELNS1_11target_archE1201ELNS1_3gpuE5ELNS1_3repE0EEENS1_30default_config_static_selectorELNS0_4arch9wavefront6targetE0EEEvT1_.num_agpr, 0
	.set _ZN7rocprim17ROCPRIM_400000_NS6detail17trampoline_kernelINS0_14default_configENS1_27scan_by_key_config_selectorIifEEZZNS1_16scan_by_key_implILNS1_25lookback_scan_determinismE0ELb1ES3_N6thrust23THRUST_200600_302600_NS6detail15normal_iteratorINS9_10device_ptrIiEEEENSB_INSC_IjEEEESE_fNS9_4plusIvEENS9_8equal_toIvEEfEE10hipError_tPvRmT2_T3_T4_T5_mT6_T7_P12ihipStream_tbENKUlT_T0_E_clISt17integral_constantIbLb1EES11_EEDaSW_SX_EUlSW_E_NS1_11comp_targetILNS1_3genE10ELNS1_11target_archE1201ELNS1_3gpuE5ELNS1_3repE0EEENS1_30default_config_static_selectorELNS0_4arch9wavefront6targetE0EEEvT1_.numbered_sgpr, 0
	.set _ZN7rocprim17ROCPRIM_400000_NS6detail17trampoline_kernelINS0_14default_configENS1_27scan_by_key_config_selectorIifEEZZNS1_16scan_by_key_implILNS1_25lookback_scan_determinismE0ELb1ES3_N6thrust23THRUST_200600_302600_NS6detail15normal_iteratorINS9_10device_ptrIiEEEENSB_INSC_IjEEEESE_fNS9_4plusIvEENS9_8equal_toIvEEfEE10hipError_tPvRmT2_T3_T4_T5_mT6_T7_P12ihipStream_tbENKUlT_T0_E_clISt17integral_constantIbLb1EES11_EEDaSW_SX_EUlSW_E_NS1_11comp_targetILNS1_3genE10ELNS1_11target_archE1201ELNS1_3gpuE5ELNS1_3repE0EEENS1_30default_config_static_selectorELNS0_4arch9wavefront6targetE0EEEvT1_.num_named_barrier, 0
	.set _ZN7rocprim17ROCPRIM_400000_NS6detail17trampoline_kernelINS0_14default_configENS1_27scan_by_key_config_selectorIifEEZZNS1_16scan_by_key_implILNS1_25lookback_scan_determinismE0ELb1ES3_N6thrust23THRUST_200600_302600_NS6detail15normal_iteratorINS9_10device_ptrIiEEEENSB_INSC_IjEEEESE_fNS9_4plusIvEENS9_8equal_toIvEEfEE10hipError_tPvRmT2_T3_T4_T5_mT6_T7_P12ihipStream_tbENKUlT_T0_E_clISt17integral_constantIbLb1EES11_EEDaSW_SX_EUlSW_E_NS1_11comp_targetILNS1_3genE10ELNS1_11target_archE1201ELNS1_3gpuE5ELNS1_3repE0EEENS1_30default_config_static_selectorELNS0_4arch9wavefront6targetE0EEEvT1_.private_seg_size, 0
	.set _ZN7rocprim17ROCPRIM_400000_NS6detail17trampoline_kernelINS0_14default_configENS1_27scan_by_key_config_selectorIifEEZZNS1_16scan_by_key_implILNS1_25lookback_scan_determinismE0ELb1ES3_N6thrust23THRUST_200600_302600_NS6detail15normal_iteratorINS9_10device_ptrIiEEEENSB_INSC_IjEEEESE_fNS9_4plusIvEENS9_8equal_toIvEEfEE10hipError_tPvRmT2_T3_T4_T5_mT6_T7_P12ihipStream_tbENKUlT_T0_E_clISt17integral_constantIbLb1EES11_EEDaSW_SX_EUlSW_E_NS1_11comp_targetILNS1_3genE10ELNS1_11target_archE1201ELNS1_3gpuE5ELNS1_3repE0EEENS1_30default_config_static_selectorELNS0_4arch9wavefront6targetE0EEEvT1_.uses_vcc, 0
	.set _ZN7rocprim17ROCPRIM_400000_NS6detail17trampoline_kernelINS0_14default_configENS1_27scan_by_key_config_selectorIifEEZZNS1_16scan_by_key_implILNS1_25lookback_scan_determinismE0ELb1ES3_N6thrust23THRUST_200600_302600_NS6detail15normal_iteratorINS9_10device_ptrIiEEEENSB_INSC_IjEEEESE_fNS9_4plusIvEENS9_8equal_toIvEEfEE10hipError_tPvRmT2_T3_T4_T5_mT6_T7_P12ihipStream_tbENKUlT_T0_E_clISt17integral_constantIbLb1EES11_EEDaSW_SX_EUlSW_E_NS1_11comp_targetILNS1_3genE10ELNS1_11target_archE1201ELNS1_3gpuE5ELNS1_3repE0EEENS1_30default_config_static_selectorELNS0_4arch9wavefront6targetE0EEEvT1_.uses_flat_scratch, 0
	.set _ZN7rocprim17ROCPRIM_400000_NS6detail17trampoline_kernelINS0_14default_configENS1_27scan_by_key_config_selectorIifEEZZNS1_16scan_by_key_implILNS1_25lookback_scan_determinismE0ELb1ES3_N6thrust23THRUST_200600_302600_NS6detail15normal_iteratorINS9_10device_ptrIiEEEENSB_INSC_IjEEEESE_fNS9_4plusIvEENS9_8equal_toIvEEfEE10hipError_tPvRmT2_T3_T4_T5_mT6_T7_P12ihipStream_tbENKUlT_T0_E_clISt17integral_constantIbLb1EES11_EEDaSW_SX_EUlSW_E_NS1_11comp_targetILNS1_3genE10ELNS1_11target_archE1201ELNS1_3gpuE5ELNS1_3repE0EEENS1_30default_config_static_selectorELNS0_4arch9wavefront6targetE0EEEvT1_.has_dyn_sized_stack, 0
	.set _ZN7rocprim17ROCPRIM_400000_NS6detail17trampoline_kernelINS0_14default_configENS1_27scan_by_key_config_selectorIifEEZZNS1_16scan_by_key_implILNS1_25lookback_scan_determinismE0ELb1ES3_N6thrust23THRUST_200600_302600_NS6detail15normal_iteratorINS9_10device_ptrIiEEEENSB_INSC_IjEEEESE_fNS9_4plusIvEENS9_8equal_toIvEEfEE10hipError_tPvRmT2_T3_T4_T5_mT6_T7_P12ihipStream_tbENKUlT_T0_E_clISt17integral_constantIbLb1EES11_EEDaSW_SX_EUlSW_E_NS1_11comp_targetILNS1_3genE10ELNS1_11target_archE1201ELNS1_3gpuE5ELNS1_3repE0EEENS1_30default_config_static_selectorELNS0_4arch9wavefront6targetE0EEEvT1_.has_recursion, 0
	.set _ZN7rocprim17ROCPRIM_400000_NS6detail17trampoline_kernelINS0_14default_configENS1_27scan_by_key_config_selectorIifEEZZNS1_16scan_by_key_implILNS1_25lookback_scan_determinismE0ELb1ES3_N6thrust23THRUST_200600_302600_NS6detail15normal_iteratorINS9_10device_ptrIiEEEENSB_INSC_IjEEEESE_fNS9_4plusIvEENS9_8equal_toIvEEfEE10hipError_tPvRmT2_T3_T4_T5_mT6_T7_P12ihipStream_tbENKUlT_T0_E_clISt17integral_constantIbLb1EES11_EEDaSW_SX_EUlSW_E_NS1_11comp_targetILNS1_3genE10ELNS1_11target_archE1201ELNS1_3gpuE5ELNS1_3repE0EEENS1_30default_config_static_selectorELNS0_4arch9wavefront6targetE0EEEvT1_.has_indirect_call, 0
	.section	.AMDGPU.csdata,"",@progbits
; Kernel info:
; codeLenInByte = 0
; TotalNumSgprs: 0
; NumVgprs: 0
; ScratchSize: 0
; MemoryBound: 0
; FloatMode: 240
; IeeeMode: 1
; LDSByteSize: 0 bytes/workgroup (compile time only)
; SGPRBlocks: 0
; VGPRBlocks: 0
; NumSGPRsForWavesPerEU: 1
; NumVGPRsForWavesPerEU: 1
; Occupancy: 16
; WaveLimiterHint : 0
; COMPUTE_PGM_RSRC2:SCRATCH_EN: 0
; COMPUTE_PGM_RSRC2:USER_SGPR: 6
; COMPUTE_PGM_RSRC2:TRAP_HANDLER: 0
; COMPUTE_PGM_RSRC2:TGID_X_EN: 1
; COMPUTE_PGM_RSRC2:TGID_Y_EN: 0
; COMPUTE_PGM_RSRC2:TGID_Z_EN: 0
; COMPUTE_PGM_RSRC2:TIDIG_COMP_CNT: 0
	.section	.text._ZN7rocprim17ROCPRIM_400000_NS6detail17trampoline_kernelINS0_14default_configENS1_27scan_by_key_config_selectorIifEEZZNS1_16scan_by_key_implILNS1_25lookback_scan_determinismE0ELb1ES3_N6thrust23THRUST_200600_302600_NS6detail15normal_iteratorINS9_10device_ptrIiEEEENSB_INSC_IjEEEESE_fNS9_4plusIvEENS9_8equal_toIvEEfEE10hipError_tPvRmT2_T3_T4_T5_mT6_T7_P12ihipStream_tbENKUlT_T0_E_clISt17integral_constantIbLb1EES11_EEDaSW_SX_EUlSW_E_NS1_11comp_targetILNS1_3genE5ELNS1_11target_archE942ELNS1_3gpuE9ELNS1_3repE0EEENS1_30default_config_static_selectorELNS0_4arch9wavefront6targetE0EEEvT1_,"axG",@progbits,_ZN7rocprim17ROCPRIM_400000_NS6detail17trampoline_kernelINS0_14default_configENS1_27scan_by_key_config_selectorIifEEZZNS1_16scan_by_key_implILNS1_25lookback_scan_determinismE0ELb1ES3_N6thrust23THRUST_200600_302600_NS6detail15normal_iteratorINS9_10device_ptrIiEEEENSB_INSC_IjEEEESE_fNS9_4plusIvEENS9_8equal_toIvEEfEE10hipError_tPvRmT2_T3_T4_T5_mT6_T7_P12ihipStream_tbENKUlT_T0_E_clISt17integral_constantIbLb1EES11_EEDaSW_SX_EUlSW_E_NS1_11comp_targetILNS1_3genE5ELNS1_11target_archE942ELNS1_3gpuE9ELNS1_3repE0EEENS1_30default_config_static_selectorELNS0_4arch9wavefront6targetE0EEEvT1_,comdat
	.protected	_ZN7rocprim17ROCPRIM_400000_NS6detail17trampoline_kernelINS0_14default_configENS1_27scan_by_key_config_selectorIifEEZZNS1_16scan_by_key_implILNS1_25lookback_scan_determinismE0ELb1ES3_N6thrust23THRUST_200600_302600_NS6detail15normal_iteratorINS9_10device_ptrIiEEEENSB_INSC_IjEEEESE_fNS9_4plusIvEENS9_8equal_toIvEEfEE10hipError_tPvRmT2_T3_T4_T5_mT6_T7_P12ihipStream_tbENKUlT_T0_E_clISt17integral_constantIbLb1EES11_EEDaSW_SX_EUlSW_E_NS1_11comp_targetILNS1_3genE5ELNS1_11target_archE942ELNS1_3gpuE9ELNS1_3repE0EEENS1_30default_config_static_selectorELNS0_4arch9wavefront6targetE0EEEvT1_ ; -- Begin function _ZN7rocprim17ROCPRIM_400000_NS6detail17trampoline_kernelINS0_14default_configENS1_27scan_by_key_config_selectorIifEEZZNS1_16scan_by_key_implILNS1_25lookback_scan_determinismE0ELb1ES3_N6thrust23THRUST_200600_302600_NS6detail15normal_iteratorINS9_10device_ptrIiEEEENSB_INSC_IjEEEESE_fNS9_4plusIvEENS9_8equal_toIvEEfEE10hipError_tPvRmT2_T3_T4_T5_mT6_T7_P12ihipStream_tbENKUlT_T0_E_clISt17integral_constantIbLb1EES11_EEDaSW_SX_EUlSW_E_NS1_11comp_targetILNS1_3genE5ELNS1_11target_archE942ELNS1_3gpuE9ELNS1_3repE0EEENS1_30default_config_static_selectorELNS0_4arch9wavefront6targetE0EEEvT1_
	.globl	_ZN7rocprim17ROCPRIM_400000_NS6detail17trampoline_kernelINS0_14default_configENS1_27scan_by_key_config_selectorIifEEZZNS1_16scan_by_key_implILNS1_25lookback_scan_determinismE0ELb1ES3_N6thrust23THRUST_200600_302600_NS6detail15normal_iteratorINS9_10device_ptrIiEEEENSB_INSC_IjEEEESE_fNS9_4plusIvEENS9_8equal_toIvEEfEE10hipError_tPvRmT2_T3_T4_T5_mT6_T7_P12ihipStream_tbENKUlT_T0_E_clISt17integral_constantIbLb1EES11_EEDaSW_SX_EUlSW_E_NS1_11comp_targetILNS1_3genE5ELNS1_11target_archE942ELNS1_3gpuE9ELNS1_3repE0EEENS1_30default_config_static_selectorELNS0_4arch9wavefront6targetE0EEEvT1_
	.p2align	8
	.type	_ZN7rocprim17ROCPRIM_400000_NS6detail17trampoline_kernelINS0_14default_configENS1_27scan_by_key_config_selectorIifEEZZNS1_16scan_by_key_implILNS1_25lookback_scan_determinismE0ELb1ES3_N6thrust23THRUST_200600_302600_NS6detail15normal_iteratorINS9_10device_ptrIiEEEENSB_INSC_IjEEEESE_fNS9_4plusIvEENS9_8equal_toIvEEfEE10hipError_tPvRmT2_T3_T4_T5_mT6_T7_P12ihipStream_tbENKUlT_T0_E_clISt17integral_constantIbLb1EES11_EEDaSW_SX_EUlSW_E_NS1_11comp_targetILNS1_3genE5ELNS1_11target_archE942ELNS1_3gpuE9ELNS1_3repE0EEENS1_30default_config_static_selectorELNS0_4arch9wavefront6targetE0EEEvT1_,@function
_ZN7rocprim17ROCPRIM_400000_NS6detail17trampoline_kernelINS0_14default_configENS1_27scan_by_key_config_selectorIifEEZZNS1_16scan_by_key_implILNS1_25lookback_scan_determinismE0ELb1ES3_N6thrust23THRUST_200600_302600_NS6detail15normal_iteratorINS9_10device_ptrIiEEEENSB_INSC_IjEEEESE_fNS9_4plusIvEENS9_8equal_toIvEEfEE10hipError_tPvRmT2_T3_T4_T5_mT6_T7_P12ihipStream_tbENKUlT_T0_E_clISt17integral_constantIbLb1EES11_EEDaSW_SX_EUlSW_E_NS1_11comp_targetILNS1_3genE5ELNS1_11target_archE942ELNS1_3gpuE9ELNS1_3repE0EEENS1_30default_config_static_selectorELNS0_4arch9wavefront6targetE0EEEvT1_: ; @_ZN7rocprim17ROCPRIM_400000_NS6detail17trampoline_kernelINS0_14default_configENS1_27scan_by_key_config_selectorIifEEZZNS1_16scan_by_key_implILNS1_25lookback_scan_determinismE0ELb1ES3_N6thrust23THRUST_200600_302600_NS6detail15normal_iteratorINS9_10device_ptrIiEEEENSB_INSC_IjEEEESE_fNS9_4plusIvEENS9_8equal_toIvEEfEE10hipError_tPvRmT2_T3_T4_T5_mT6_T7_P12ihipStream_tbENKUlT_T0_E_clISt17integral_constantIbLb1EES11_EEDaSW_SX_EUlSW_E_NS1_11comp_targetILNS1_3genE5ELNS1_11target_archE942ELNS1_3gpuE9ELNS1_3repE0EEENS1_30default_config_static_selectorELNS0_4arch9wavefront6targetE0EEEvT1_
; %bb.0:
	.section	.rodata,"a",@progbits
	.p2align	6, 0x0
	.amdhsa_kernel _ZN7rocprim17ROCPRIM_400000_NS6detail17trampoline_kernelINS0_14default_configENS1_27scan_by_key_config_selectorIifEEZZNS1_16scan_by_key_implILNS1_25lookback_scan_determinismE0ELb1ES3_N6thrust23THRUST_200600_302600_NS6detail15normal_iteratorINS9_10device_ptrIiEEEENSB_INSC_IjEEEESE_fNS9_4plusIvEENS9_8equal_toIvEEfEE10hipError_tPvRmT2_T3_T4_T5_mT6_T7_P12ihipStream_tbENKUlT_T0_E_clISt17integral_constantIbLb1EES11_EEDaSW_SX_EUlSW_E_NS1_11comp_targetILNS1_3genE5ELNS1_11target_archE942ELNS1_3gpuE9ELNS1_3repE0EEENS1_30default_config_static_selectorELNS0_4arch9wavefront6targetE0EEEvT1_
		.amdhsa_group_segment_fixed_size 0
		.amdhsa_private_segment_fixed_size 0
		.amdhsa_kernarg_size 112
		.amdhsa_user_sgpr_count 6
		.amdhsa_user_sgpr_private_segment_buffer 1
		.amdhsa_user_sgpr_dispatch_ptr 0
		.amdhsa_user_sgpr_queue_ptr 0
		.amdhsa_user_sgpr_kernarg_segment_ptr 1
		.amdhsa_user_sgpr_dispatch_id 0
		.amdhsa_user_sgpr_flat_scratch_init 0
		.amdhsa_user_sgpr_private_segment_size 0
		.amdhsa_wavefront_size32 1
		.amdhsa_uses_dynamic_stack 0
		.amdhsa_system_sgpr_private_segment_wavefront_offset 0
		.amdhsa_system_sgpr_workgroup_id_x 1
		.amdhsa_system_sgpr_workgroup_id_y 0
		.amdhsa_system_sgpr_workgroup_id_z 0
		.amdhsa_system_sgpr_workgroup_info 0
		.amdhsa_system_vgpr_workitem_id 0
		.amdhsa_next_free_vgpr 1
		.amdhsa_next_free_sgpr 1
		.amdhsa_reserve_vcc 0
		.amdhsa_reserve_flat_scratch 0
		.amdhsa_float_round_mode_32 0
		.amdhsa_float_round_mode_16_64 0
		.amdhsa_float_denorm_mode_32 3
		.amdhsa_float_denorm_mode_16_64 3
		.amdhsa_dx10_clamp 1
		.amdhsa_ieee_mode 1
		.amdhsa_fp16_overflow 0
		.amdhsa_workgroup_processor_mode 1
		.amdhsa_memory_ordered 1
		.amdhsa_forward_progress 1
		.amdhsa_shared_vgpr_count 0
		.amdhsa_exception_fp_ieee_invalid_op 0
		.amdhsa_exception_fp_denorm_src 0
		.amdhsa_exception_fp_ieee_div_zero 0
		.amdhsa_exception_fp_ieee_overflow 0
		.amdhsa_exception_fp_ieee_underflow 0
		.amdhsa_exception_fp_ieee_inexact 0
		.amdhsa_exception_int_div_zero 0
	.end_amdhsa_kernel
	.section	.text._ZN7rocprim17ROCPRIM_400000_NS6detail17trampoline_kernelINS0_14default_configENS1_27scan_by_key_config_selectorIifEEZZNS1_16scan_by_key_implILNS1_25lookback_scan_determinismE0ELb1ES3_N6thrust23THRUST_200600_302600_NS6detail15normal_iteratorINS9_10device_ptrIiEEEENSB_INSC_IjEEEESE_fNS9_4plusIvEENS9_8equal_toIvEEfEE10hipError_tPvRmT2_T3_T4_T5_mT6_T7_P12ihipStream_tbENKUlT_T0_E_clISt17integral_constantIbLb1EES11_EEDaSW_SX_EUlSW_E_NS1_11comp_targetILNS1_3genE5ELNS1_11target_archE942ELNS1_3gpuE9ELNS1_3repE0EEENS1_30default_config_static_selectorELNS0_4arch9wavefront6targetE0EEEvT1_,"axG",@progbits,_ZN7rocprim17ROCPRIM_400000_NS6detail17trampoline_kernelINS0_14default_configENS1_27scan_by_key_config_selectorIifEEZZNS1_16scan_by_key_implILNS1_25lookback_scan_determinismE0ELb1ES3_N6thrust23THRUST_200600_302600_NS6detail15normal_iteratorINS9_10device_ptrIiEEEENSB_INSC_IjEEEESE_fNS9_4plusIvEENS9_8equal_toIvEEfEE10hipError_tPvRmT2_T3_T4_T5_mT6_T7_P12ihipStream_tbENKUlT_T0_E_clISt17integral_constantIbLb1EES11_EEDaSW_SX_EUlSW_E_NS1_11comp_targetILNS1_3genE5ELNS1_11target_archE942ELNS1_3gpuE9ELNS1_3repE0EEENS1_30default_config_static_selectorELNS0_4arch9wavefront6targetE0EEEvT1_,comdat
.Lfunc_end1799:
	.size	_ZN7rocprim17ROCPRIM_400000_NS6detail17trampoline_kernelINS0_14default_configENS1_27scan_by_key_config_selectorIifEEZZNS1_16scan_by_key_implILNS1_25lookback_scan_determinismE0ELb1ES3_N6thrust23THRUST_200600_302600_NS6detail15normal_iteratorINS9_10device_ptrIiEEEENSB_INSC_IjEEEESE_fNS9_4plusIvEENS9_8equal_toIvEEfEE10hipError_tPvRmT2_T3_T4_T5_mT6_T7_P12ihipStream_tbENKUlT_T0_E_clISt17integral_constantIbLb1EES11_EEDaSW_SX_EUlSW_E_NS1_11comp_targetILNS1_3genE5ELNS1_11target_archE942ELNS1_3gpuE9ELNS1_3repE0EEENS1_30default_config_static_selectorELNS0_4arch9wavefront6targetE0EEEvT1_, .Lfunc_end1799-_ZN7rocprim17ROCPRIM_400000_NS6detail17trampoline_kernelINS0_14default_configENS1_27scan_by_key_config_selectorIifEEZZNS1_16scan_by_key_implILNS1_25lookback_scan_determinismE0ELb1ES3_N6thrust23THRUST_200600_302600_NS6detail15normal_iteratorINS9_10device_ptrIiEEEENSB_INSC_IjEEEESE_fNS9_4plusIvEENS9_8equal_toIvEEfEE10hipError_tPvRmT2_T3_T4_T5_mT6_T7_P12ihipStream_tbENKUlT_T0_E_clISt17integral_constantIbLb1EES11_EEDaSW_SX_EUlSW_E_NS1_11comp_targetILNS1_3genE5ELNS1_11target_archE942ELNS1_3gpuE9ELNS1_3repE0EEENS1_30default_config_static_selectorELNS0_4arch9wavefront6targetE0EEEvT1_
                                        ; -- End function
	.set _ZN7rocprim17ROCPRIM_400000_NS6detail17trampoline_kernelINS0_14default_configENS1_27scan_by_key_config_selectorIifEEZZNS1_16scan_by_key_implILNS1_25lookback_scan_determinismE0ELb1ES3_N6thrust23THRUST_200600_302600_NS6detail15normal_iteratorINS9_10device_ptrIiEEEENSB_INSC_IjEEEESE_fNS9_4plusIvEENS9_8equal_toIvEEfEE10hipError_tPvRmT2_T3_T4_T5_mT6_T7_P12ihipStream_tbENKUlT_T0_E_clISt17integral_constantIbLb1EES11_EEDaSW_SX_EUlSW_E_NS1_11comp_targetILNS1_3genE5ELNS1_11target_archE942ELNS1_3gpuE9ELNS1_3repE0EEENS1_30default_config_static_selectorELNS0_4arch9wavefront6targetE0EEEvT1_.num_vgpr, 0
	.set _ZN7rocprim17ROCPRIM_400000_NS6detail17trampoline_kernelINS0_14default_configENS1_27scan_by_key_config_selectorIifEEZZNS1_16scan_by_key_implILNS1_25lookback_scan_determinismE0ELb1ES3_N6thrust23THRUST_200600_302600_NS6detail15normal_iteratorINS9_10device_ptrIiEEEENSB_INSC_IjEEEESE_fNS9_4plusIvEENS9_8equal_toIvEEfEE10hipError_tPvRmT2_T3_T4_T5_mT6_T7_P12ihipStream_tbENKUlT_T0_E_clISt17integral_constantIbLb1EES11_EEDaSW_SX_EUlSW_E_NS1_11comp_targetILNS1_3genE5ELNS1_11target_archE942ELNS1_3gpuE9ELNS1_3repE0EEENS1_30default_config_static_selectorELNS0_4arch9wavefront6targetE0EEEvT1_.num_agpr, 0
	.set _ZN7rocprim17ROCPRIM_400000_NS6detail17trampoline_kernelINS0_14default_configENS1_27scan_by_key_config_selectorIifEEZZNS1_16scan_by_key_implILNS1_25lookback_scan_determinismE0ELb1ES3_N6thrust23THRUST_200600_302600_NS6detail15normal_iteratorINS9_10device_ptrIiEEEENSB_INSC_IjEEEESE_fNS9_4plusIvEENS9_8equal_toIvEEfEE10hipError_tPvRmT2_T3_T4_T5_mT6_T7_P12ihipStream_tbENKUlT_T0_E_clISt17integral_constantIbLb1EES11_EEDaSW_SX_EUlSW_E_NS1_11comp_targetILNS1_3genE5ELNS1_11target_archE942ELNS1_3gpuE9ELNS1_3repE0EEENS1_30default_config_static_selectorELNS0_4arch9wavefront6targetE0EEEvT1_.numbered_sgpr, 0
	.set _ZN7rocprim17ROCPRIM_400000_NS6detail17trampoline_kernelINS0_14default_configENS1_27scan_by_key_config_selectorIifEEZZNS1_16scan_by_key_implILNS1_25lookback_scan_determinismE0ELb1ES3_N6thrust23THRUST_200600_302600_NS6detail15normal_iteratorINS9_10device_ptrIiEEEENSB_INSC_IjEEEESE_fNS9_4plusIvEENS9_8equal_toIvEEfEE10hipError_tPvRmT2_T3_T4_T5_mT6_T7_P12ihipStream_tbENKUlT_T0_E_clISt17integral_constantIbLb1EES11_EEDaSW_SX_EUlSW_E_NS1_11comp_targetILNS1_3genE5ELNS1_11target_archE942ELNS1_3gpuE9ELNS1_3repE0EEENS1_30default_config_static_selectorELNS0_4arch9wavefront6targetE0EEEvT1_.num_named_barrier, 0
	.set _ZN7rocprim17ROCPRIM_400000_NS6detail17trampoline_kernelINS0_14default_configENS1_27scan_by_key_config_selectorIifEEZZNS1_16scan_by_key_implILNS1_25lookback_scan_determinismE0ELb1ES3_N6thrust23THRUST_200600_302600_NS6detail15normal_iteratorINS9_10device_ptrIiEEEENSB_INSC_IjEEEESE_fNS9_4plusIvEENS9_8equal_toIvEEfEE10hipError_tPvRmT2_T3_T4_T5_mT6_T7_P12ihipStream_tbENKUlT_T0_E_clISt17integral_constantIbLb1EES11_EEDaSW_SX_EUlSW_E_NS1_11comp_targetILNS1_3genE5ELNS1_11target_archE942ELNS1_3gpuE9ELNS1_3repE0EEENS1_30default_config_static_selectorELNS0_4arch9wavefront6targetE0EEEvT1_.private_seg_size, 0
	.set _ZN7rocprim17ROCPRIM_400000_NS6detail17trampoline_kernelINS0_14default_configENS1_27scan_by_key_config_selectorIifEEZZNS1_16scan_by_key_implILNS1_25lookback_scan_determinismE0ELb1ES3_N6thrust23THRUST_200600_302600_NS6detail15normal_iteratorINS9_10device_ptrIiEEEENSB_INSC_IjEEEESE_fNS9_4plusIvEENS9_8equal_toIvEEfEE10hipError_tPvRmT2_T3_T4_T5_mT6_T7_P12ihipStream_tbENKUlT_T0_E_clISt17integral_constantIbLb1EES11_EEDaSW_SX_EUlSW_E_NS1_11comp_targetILNS1_3genE5ELNS1_11target_archE942ELNS1_3gpuE9ELNS1_3repE0EEENS1_30default_config_static_selectorELNS0_4arch9wavefront6targetE0EEEvT1_.uses_vcc, 0
	.set _ZN7rocprim17ROCPRIM_400000_NS6detail17trampoline_kernelINS0_14default_configENS1_27scan_by_key_config_selectorIifEEZZNS1_16scan_by_key_implILNS1_25lookback_scan_determinismE0ELb1ES3_N6thrust23THRUST_200600_302600_NS6detail15normal_iteratorINS9_10device_ptrIiEEEENSB_INSC_IjEEEESE_fNS9_4plusIvEENS9_8equal_toIvEEfEE10hipError_tPvRmT2_T3_T4_T5_mT6_T7_P12ihipStream_tbENKUlT_T0_E_clISt17integral_constantIbLb1EES11_EEDaSW_SX_EUlSW_E_NS1_11comp_targetILNS1_3genE5ELNS1_11target_archE942ELNS1_3gpuE9ELNS1_3repE0EEENS1_30default_config_static_selectorELNS0_4arch9wavefront6targetE0EEEvT1_.uses_flat_scratch, 0
	.set _ZN7rocprim17ROCPRIM_400000_NS6detail17trampoline_kernelINS0_14default_configENS1_27scan_by_key_config_selectorIifEEZZNS1_16scan_by_key_implILNS1_25lookback_scan_determinismE0ELb1ES3_N6thrust23THRUST_200600_302600_NS6detail15normal_iteratorINS9_10device_ptrIiEEEENSB_INSC_IjEEEESE_fNS9_4plusIvEENS9_8equal_toIvEEfEE10hipError_tPvRmT2_T3_T4_T5_mT6_T7_P12ihipStream_tbENKUlT_T0_E_clISt17integral_constantIbLb1EES11_EEDaSW_SX_EUlSW_E_NS1_11comp_targetILNS1_3genE5ELNS1_11target_archE942ELNS1_3gpuE9ELNS1_3repE0EEENS1_30default_config_static_selectorELNS0_4arch9wavefront6targetE0EEEvT1_.has_dyn_sized_stack, 0
	.set _ZN7rocprim17ROCPRIM_400000_NS6detail17trampoline_kernelINS0_14default_configENS1_27scan_by_key_config_selectorIifEEZZNS1_16scan_by_key_implILNS1_25lookback_scan_determinismE0ELb1ES3_N6thrust23THRUST_200600_302600_NS6detail15normal_iteratorINS9_10device_ptrIiEEEENSB_INSC_IjEEEESE_fNS9_4plusIvEENS9_8equal_toIvEEfEE10hipError_tPvRmT2_T3_T4_T5_mT6_T7_P12ihipStream_tbENKUlT_T0_E_clISt17integral_constantIbLb1EES11_EEDaSW_SX_EUlSW_E_NS1_11comp_targetILNS1_3genE5ELNS1_11target_archE942ELNS1_3gpuE9ELNS1_3repE0EEENS1_30default_config_static_selectorELNS0_4arch9wavefront6targetE0EEEvT1_.has_recursion, 0
	.set _ZN7rocprim17ROCPRIM_400000_NS6detail17trampoline_kernelINS0_14default_configENS1_27scan_by_key_config_selectorIifEEZZNS1_16scan_by_key_implILNS1_25lookback_scan_determinismE0ELb1ES3_N6thrust23THRUST_200600_302600_NS6detail15normal_iteratorINS9_10device_ptrIiEEEENSB_INSC_IjEEEESE_fNS9_4plusIvEENS9_8equal_toIvEEfEE10hipError_tPvRmT2_T3_T4_T5_mT6_T7_P12ihipStream_tbENKUlT_T0_E_clISt17integral_constantIbLb1EES11_EEDaSW_SX_EUlSW_E_NS1_11comp_targetILNS1_3genE5ELNS1_11target_archE942ELNS1_3gpuE9ELNS1_3repE0EEENS1_30default_config_static_selectorELNS0_4arch9wavefront6targetE0EEEvT1_.has_indirect_call, 0
	.section	.AMDGPU.csdata,"",@progbits
; Kernel info:
; codeLenInByte = 0
; TotalNumSgprs: 0
; NumVgprs: 0
; ScratchSize: 0
; MemoryBound: 0
; FloatMode: 240
; IeeeMode: 1
; LDSByteSize: 0 bytes/workgroup (compile time only)
; SGPRBlocks: 0
; VGPRBlocks: 0
; NumSGPRsForWavesPerEU: 1
; NumVGPRsForWavesPerEU: 1
; Occupancy: 16
; WaveLimiterHint : 0
; COMPUTE_PGM_RSRC2:SCRATCH_EN: 0
; COMPUTE_PGM_RSRC2:USER_SGPR: 6
; COMPUTE_PGM_RSRC2:TRAP_HANDLER: 0
; COMPUTE_PGM_RSRC2:TGID_X_EN: 1
; COMPUTE_PGM_RSRC2:TGID_Y_EN: 0
; COMPUTE_PGM_RSRC2:TGID_Z_EN: 0
; COMPUTE_PGM_RSRC2:TIDIG_COMP_CNT: 0
	.section	.text._ZN7rocprim17ROCPRIM_400000_NS6detail17trampoline_kernelINS0_14default_configENS1_27scan_by_key_config_selectorIifEEZZNS1_16scan_by_key_implILNS1_25lookback_scan_determinismE0ELb1ES3_N6thrust23THRUST_200600_302600_NS6detail15normal_iteratorINS9_10device_ptrIiEEEENSB_INSC_IjEEEESE_fNS9_4plusIvEENS9_8equal_toIvEEfEE10hipError_tPvRmT2_T3_T4_T5_mT6_T7_P12ihipStream_tbENKUlT_T0_E_clISt17integral_constantIbLb1EES11_EEDaSW_SX_EUlSW_E_NS1_11comp_targetILNS1_3genE4ELNS1_11target_archE910ELNS1_3gpuE8ELNS1_3repE0EEENS1_30default_config_static_selectorELNS0_4arch9wavefront6targetE0EEEvT1_,"axG",@progbits,_ZN7rocprim17ROCPRIM_400000_NS6detail17trampoline_kernelINS0_14default_configENS1_27scan_by_key_config_selectorIifEEZZNS1_16scan_by_key_implILNS1_25lookback_scan_determinismE0ELb1ES3_N6thrust23THRUST_200600_302600_NS6detail15normal_iteratorINS9_10device_ptrIiEEEENSB_INSC_IjEEEESE_fNS9_4plusIvEENS9_8equal_toIvEEfEE10hipError_tPvRmT2_T3_T4_T5_mT6_T7_P12ihipStream_tbENKUlT_T0_E_clISt17integral_constantIbLb1EES11_EEDaSW_SX_EUlSW_E_NS1_11comp_targetILNS1_3genE4ELNS1_11target_archE910ELNS1_3gpuE8ELNS1_3repE0EEENS1_30default_config_static_selectorELNS0_4arch9wavefront6targetE0EEEvT1_,comdat
	.protected	_ZN7rocprim17ROCPRIM_400000_NS6detail17trampoline_kernelINS0_14default_configENS1_27scan_by_key_config_selectorIifEEZZNS1_16scan_by_key_implILNS1_25lookback_scan_determinismE0ELb1ES3_N6thrust23THRUST_200600_302600_NS6detail15normal_iteratorINS9_10device_ptrIiEEEENSB_INSC_IjEEEESE_fNS9_4plusIvEENS9_8equal_toIvEEfEE10hipError_tPvRmT2_T3_T4_T5_mT6_T7_P12ihipStream_tbENKUlT_T0_E_clISt17integral_constantIbLb1EES11_EEDaSW_SX_EUlSW_E_NS1_11comp_targetILNS1_3genE4ELNS1_11target_archE910ELNS1_3gpuE8ELNS1_3repE0EEENS1_30default_config_static_selectorELNS0_4arch9wavefront6targetE0EEEvT1_ ; -- Begin function _ZN7rocprim17ROCPRIM_400000_NS6detail17trampoline_kernelINS0_14default_configENS1_27scan_by_key_config_selectorIifEEZZNS1_16scan_by_key_implILNS1_25lookback_scan_determinismE0ELb1ES3_N6thrust23THRUST_200600_302600_NS6detail15normal_iteratorINS9_10device_ptrIiEEEENSB_INSC_IjEEEESE_fNS9_4plusIvEENS9_8equal_toIvEEfEE10hipError_tPvRmT2_T3_T4_T5_mT6_T7_P12ihipStream_tbENKUlT_T0_E_clISt17integral_constantIbLb1EES11_EEDaSW_SX_EUlSW_E_NS1_11comp_targetILNS1_3genE4ELNS1_11target_archE910ELNS1_3gpuE8ELNS1_3repE0EEENS1_30default_config_static_selectorELNS0_4arch9wavefront6targetE0EEEvT1_
	.globl	_ZN7rocprim17ROCPRIM_400000_NS6detail17trampoline_kernelINS0_14default_configENS1_27scan_by_key_config_selectorIifEEZZNS1_16scan_by_key_implILNS1_25lookback_scan_determinismE0ELb1ES3_N6thrust23THRUST_200600_302600_NS6detail15normal_iteratorINS9_10device_ptrIiEEEENSB_INSC_IjEEEESE_fNS9_4plusIvEENS9_8equal_toIvEEfEE10hipError_tPvRmT2_T3_T4_T5_mT6_T7_P12ihipStream_tbENKUlT_T0_E_clISt17integral_constantIbLb1EES11_EEDaSW_SX_EUlSW_E_NS1_11comp_targetILNS1_3genE4ELNS1_11target_archE910ELNS1_3gpuE8ELNS1_3repE0EEENS1_30default_config_static_selectorELNS0_4arch9wavefront6targetE0EEEvT1_
	.p2align	8
	.type	_ZN7rocprim17ROCPRIM_400000_NS6detail17trampoline_kernelINS0_14default_configENS1_27scan_by_key_config_selectorIifEEZZNS1_16scan_by_key_implILNS1_25lookback_scan_determinismE0ELb1ES3_N6thrust23THRUST_200600_302600_NS6detail15normal_iteratorINS9_10device_ptrIiEEEENSB_INSC_IjEEEESE_fNS9_4plusIvEENS9_8equal_toIvEEfEE10hipError_tPvRmT2_T3_T4_T5_mT6_T7_P12ihipStream_tbENKUlT_T0_E_clISt17integral_constantIbLb1EES11_EEDaSW_SX_EUlSW_E_NS1_11comp_targetILNS1_3genE4ELNS1_11target_archE910ELNS1_3gpuE8ELNS1_3repE0EEENS1_30default_config_static_selectorELNS0_4arch9wavefront6targetE0EEEvT1_,@function
_ZN7rocprim17ROCPRIM_400000_NS6detail17trampoline_kernelINS0_14default_configENS1_27scan_by_key_config_selectorIifEEZZNS1_16scan_by_key_implILNS1_25lookback_scan_determinismE0ELb1ES3_N6thrust23THRUST_200600_302600_NS6detail15normal_iteratorINS9_10device_ptrIiEEEENSB_INSC_IjEEEESE_fNS9_4plusIvEENS9_8equal_toIvEEfEE10hipError_tPvRmT2_T3_T4_T5_mT6_T7_P12ihipStream_tbENKUlT_T0_E_clISt17integral_constantIbLb1EES11_EEDaSW_SX_EUlSW_E_NS1_11comp_targetILNS1_3genE4ELNS1_11target_archE910ELNS1_3gpuE8ELNS1_3repE0EEENS1_30default_config_static_selectorELNS0_4arch9wavefront6targetE0EEEvT1_: ; @_ZN7rocprim17ROCPRIM_400000_NS6detail17trampoline_kernelINS0_14default_configENS1_27scan_by_key_config_selectorIifEEZZNS1_16scan_by_key_implILNS1_25lookback_scan_determinismE0ELb1ES3_N6thrust23THRUST_200600_302600_NS6detail15normal_iteratorINS9_10device_ptrIiEEEENSB_INSC_IjEEEESE_fNS9_4plusIvEENS9_8equal_toIvEEfEE10hipError_tPvRmT2_T3_T4_T5_mT6_T7_P12ihipStream_tbENKUlT_T0_E_clISt17integral_constantIbLb1EES11_EEDaSW_SX_EUlSW_E_NS1_11comp_targetILNS1_3genE4ELNS1_11target_archE910ELNS1_3gpuE8ELNS1_3repE0EEENS1_30default_config_static_selectorELNS0_4arch9wavefront6targetE0EEEvT1_
; %bb.0:
	.section	.rodata,"a",@progbits
	.p2align	6, 0x0
	.amdhsa_kernel _ZN7rocprim17ROCPRIM_400000_NS6detail17trampoline_kernelINS0_14default_configENS1_27scan_by_key_config_selectorIifEEZZNS1_16scan_by_key_implILNS1_25lookback_scan_determinismE0ELb1ES3_N6thrust23THRUST_200600_302600_NS6detail15normal_iteratorINS9_10device_ptrIiEEEENSB_INSC_IjEEEESE_fNS9_4plusIvEENS9_8equal_toIvEEfEE10hipError_tPvRmT2_T3_T4_T5_mT6_T7_P12ihipStream_tbENKUlT_T0_E_clISt17integral_constantIbLb1EES11_EEDaSW_SX_EUlSW_E_NS1_11comp_targetILNS1_3genE4ELNS1_11target_archE910ELNS1_3gpuE8ELNS1_3repE0EEENS1_30default_config_static_selectorELNS0_4arch9wavefront6targetE0EEEvT1_
		.amdhsa_group_segment_fixed_size 0
		.amdhsa_private_segment_fixed_size 0
		.amdhsa_kernarg_size 112
		.amdhsa_user_sgpr_count 6
		.amdhsa_user_sgpr_private_segment_buffer 1
		.amdhsa_user_sgpr_dispatch_ptr 0
		.amdhsa_user_sgpr_queue_ptr 0
		.amdhsa_user_sgpr_kernarg_segment_ptr 1
		.amdhsa_user_sgpr_dispatch_id 0
		.amdhsa_user_sgpr_flat_scratch_init 0
		.amdhsa_user_sgpr_private_segment_size 0
		.amdhsa_wavefront_size32 1
		.amdhsa_uses_dynamic_stack 0
		.amdhsa_system_sgpr_private_segment_wavefront_offset 0
		.amdhsa_system_sgpr_workgroup_id_x 1
		.amdhsa_system_sgpr_workgroup_id_y 0
		.amdhsa_system_sgpr_workgroup_id_z 0
		.amdhsa_system_sgpr_workgroup_info 0
		.amdhsa_system_vgpr_workitem_id 0
		.amdhsa_next_free_vgpr 1
		.amdhsa_next_free_sgpr 1
		.amdhsa_reserve_vcc 0
		.amdhsa_reserve_flat_scratch 0
		.amdhsa_float_round_mode_32 0
		.amdhsa_float_round_mode_16_64 0
		.amdhsa_float_denorm_mode_32 3
		.amdhsa_float_denorm_mode_16_64 3
		.amdhsa_dx10_clamp 1
		.amdhsa_ieee_mode 1
		.amdhsa_fp16_overflow 0
		.amdhsa_workgroup_processor_mode 1
		.amdhsa_memory_ordered 1
		.amdhsa_forward_progress 1
		.amdhsa_shared_vgpr_count 0
		.amdhsa_exception_fp_ieee_invalid_op 0
		.amdhsa_exception_fp_denorm_src 0
		.amdhsa_exception_fp_ieee_div_zero 0
		.amdhsa_exception_fp_ieee_overflow 0
		.amdhsa_exception_fp_ieee_underflow 0
		.amdhsa_exception_fp_ieee_inexact 0
		.amdhsa_exception_int_div_zero 0
	.end_amdhsa_kernel
	.section	.text._ZN7rocprim17ROCPRIM_400000_NS6detail17trampoline_kernelINS0_14default_configENS1_27scan_by_key_config_selectorIifEEZZNS1_16scan_by_key_implILNS1_25lookback_scan_determinismE0ELb1ES3_N6thrust23THRUST_200600_302600_NS6detail15normal_iteratorINS9_10device_ptrIiEEEENSB_INSC_IjEEEESE_fNS9_4plusIvEENS9_8equal_toIvEEfEE10hipError_tPvRmT2_T3_T4_T5_mT6_T7_P12ihipStream_tbENKUlT_T0_E_clISt17integral_constantIbLb1EES11_EEDaSW_SX_EUlSW_E_NS1_11comp_targetILNS1_3genE4ELNS1_11target_archE910ELNS1_3gpuE8ELNS1_3repE0EEENS1_30default_config_static_selectorELNS0_4arch9wavefront6targetE0EEEvT1_,"axG",@progbits,_ZN7rocprim17ROCPRIM_400000_NS6detail17trampoline_kernelINS0_14default_configENS1_27scan_by_key_config_selectorIifEEZZNS1_16scan_by_key_implILNS1_25lookback_scan_determinismE0ELb1ES3_N6thrust23THRUST_200600_302600_NS6detail15normal_iteratorINS9_10device_ptrIiEEEENSB_INSC_IjEEEESE_fNS9_4plusIvEENS9_8equal_toIvEEfEE10hipError_tPvRmT2_T3_T4_T5_mT6_T7_P12ihipStream_tbENKUlT_T0_E_clISt17integral_constantIbLb1EES11_EEDaSW_SX_EUlSW_E_NS1_11comp_targetILNS1_3genE4ELNS1_11target_archE910ELNS1_3gpuE8ELNS1_3repE0EEENS1_30default_config_static_selectorELNS0_4arch9wavefront6targetE0EEEvT1_,comdat
.Lfunc_end1800:
	.size	_ZN7rocprim17ROCPRIM_400000_NS6detail17trampoline_kernelINS0_14default_configENS1_27scan_by_key_config_selectorIifEEZZNS1_16scan_by_key_implILNS1_25lookback_scan_determinismE0ELb1ES3_N6thrust23THRUST_200600_302600_NS6detail15normal_iteratorINS9_10device_ptrIiEEEENSB_INSC_IjEEEESE_fNS9_4plusIvEENS9_8equal_toIvEEfEE10hipError_tPvRmT2_T3_T4_T5_mT6_T7_P12ihipStream_tbENKUlT_T0_E_clISt17integral_constantIbLb1EES11_EEDaSW_SX_EUlSW_E_NS1_11comp_targetILNS1_3genE4ELNS1_11target_archE910ELNS1_3gpuE8ELNS1_3repE0EEENS1_30default_config_static_selectorELNS0_4arch9wavefront6targetE0EEEvT1_, .Lfunc_end1800-_ZN7rocprim17ROCPRIM_400000_NS6detail17trampoline_kernelINS0_14default_configENS1_27scan_by_key_config_selectorIifEEZZNS1_16scan_by_key_implILNS1_25lookback_scan_determinismE0ELb1ES3_N6thrust23THRUST_200600_302600_NS6detail15normal_iteratorINS9_10device_ptrIiEEEENSB_INSC_IjEEEESE_fNS9_4plusIvEENS9_8equal_toIvEEfEE10hipError_tPvRmT2_T3_T4_T5_mT6_T7_P12ihipStream_tbENKUlT_T0_E_clISt17integral_constantIbLb1EES11_EEDaSW_SX_EUlSW_E_NS1_11comp_targetILNS1_3genE4ELNS1_11target_archE910ELNS1_3gpuE8ELNS1_3repE0EEENS1_30default_config_static_selectorELNS0_4arch9wavefront6targetE0EEEvT1_
                                        ; -- End function
	.set _ZN7rocprim17ROCPRIM_400000_NS6detail17trampoline_kernelINS0_14default_configENS1_27scan_by_key_config_selectorIifEEZZNS1_16scan_by_key_implILNS1_25lookback_scan_determinismE0ELb1ES3_N6thrust23THRUST_200600_302600_NS6detail15normal_iteratorINS9_10device_ptrIiEEEENSB_INSC_IjEEEESE_fNS9_4plusIvEENS9_8equal_toIvEEfEE10hipError_tPvRmT2_T3_T4_T5_mT6_T7_P12ihipStream_tbENKUlT_T0_E_clISt17integral_constantIbLb1EES11_EEDaSW_SX_EUlSW_E_NS1_11comp_targetILNS1_3genE4ELNS1_11target_archE910ELNS1_3gpuE8ELNS1_3repE0EEENS1_30default_config_static_selectorELNS0_4arch9wavefront6targetE0EEEvT1_.num_vgpr, 0
	.set _ZN7rocprim17ROCPRIM_400000_NS6detail17trampoline_kernelINS0_14default_configENS1_27scan_by_key_config_selectorIifEEZZNS1_16scan_by_key_implILNS1_25lookback_scan_determinismE0ELb1ES3_N6thrust23THRUST_200600_302600_NS6detail15normal_iteratorINS9_10device_ptrIiEEEENSB_INSC_IjEEEESE_fNS9_4plusIvEENS9_8equal_toIvEEfEE10hipError_tPvRmT2_T3_T4_T5_mT6_T7_P12ihipStream_tbENKUlT_T0_E_clISt17integral_constantIbLb1EES11_EEDaSW_SX_EUlSW_E_NS1_11comp_targetILNS1_3genE4ELNS1_11target_archE910ELNS1_3gpuE8ELNS1_3repE0EEENS1_30default_config_static_selectorELNS0_4arch9wavefront6targetE0EEEvT1_.num_agpr, 0
	.set _ZN7rocprim17ROCPRIM_400000_NS6detail17trampoline_kernelINS0_14default_configENS1_27scan_by_key_config_selectorIifEEZZNS1_16scan_by_key_implILNS1_25lookback_scan_determinismE0ELb1ES3_N6thrust23THRUST_200600_302600_NS6detail15normal_iteratorINS9_10device_ptrIiEEEENSB_INSC_IjEEEESE_fNS9_4plusIvEENS9_8equal_toIvEEfEE10hipError_tPvRmT2_T3_T4_T5_mT6_T7_P12ihipStream_tbENKUlT_T0_E_clISt17integral_constantIbLb1EES11_EEDaSW_SX_EUlSW_E_NS1_11comp_targetILNS1_3genE4ELNS1_11target_archE910ELNS1_3gpuE8ELNS1_3repE0EEENS1_30default_config_static_selectorELNS0_4arch9wavefront6targetE0EEEvT1_.numbered_sgpr, 0
	.set _ZN7rocprim17ROCPRIM_400000_NS6detail17trampoline_kernelINS0_14default_configENS1_27scan_by_key_config_selectorIifEEZZNS1_16scan_by_key_implILNS1_25lookback_scan_determinismE0ELb1ES3_N6thrust23THRUST_200600_302600_NS6detail15normal_iteratorINS9_10device_ptrIiEEEENSB_INSC_IjEEEESE_fNS9_4plusIvEENS9_8equal_toIvEEfEE10hipError_tPvRmT2_T3_T4_T5_mT6_T7_P12ihipStream_tbENKUlT_T0_E_clISt17integral_constantIbLb1EES11_EEDaSW_SX_EUlSW_E_NS1_11comp_targetILNS1_3genE4ELNS1_11target_archE910ELNS1_3gpuE8ELNS1_3repE0EEENS1_30default_config_static_selectorELNS0_4arch9wavefront6targetE0EEEvT1_.num_named_barrier, 0
	.set _ZN7rocprim17ROCPRIM_400000_NS6detail17trampoline_kernelINS0_14default_configENS1_27scan_by_key_config_selectorIifEEZZNS1_16scan_by_key_implILNS1_25lookback_scan_determinismE0ELb1ES3_N6thrust23THRUST_200600_302600_NS6detail15normal_iteratorINS9_10device_ptrIiEEEENSB_INSC_IjEEEESE_fNS9_4plusIvEENS9_8equal_toIvEEfEE10hipError_tPvRmT2_T3_T4_T5_mT6_T7_P12ihipStream_tbENKUlT_T0_E_clISt17integral_constantIbLb1EES11_EEDaSW_SX_EUlSW_E_NS1_11comp_targetILNS1_3genE4ELNS1_11target_archE910ELNS1_3gpuE8ELNS1_3repE0EEENS1_30default_config_static_selectorELNS0_4arch9wavefront6targetE0EEEvT1_.private_seg_size, 0
	.set _ZN7rocprim17ROCPRIM_400000_NS6detail17trampoline_kernelINS0_14default_configENS1_27scan_by_key_config_selectorIifEEZZNS1_16scan_by_key_implILNS1_25lookback_scan_determinismE0ELb1ES3_N6thrust23THRUST_200600_302600_NS6detail15normal_iteratorINS9_10device_ptrIiEEEENSB_INSC_IjEEEESE_fNS9_4plusIvEENS9_8equal_toIvEEfEE10hipError_tPvRmT2_T3_T4_T5_mT6_T7_P12ihipStream_tbENKUlT_T0_E_clISt17integral_constantIbLb1EES11_EEDaSW_SX_EUlSW_E_NS1_11comp_targetILNS1_3genE4ELNS1_11target_archE910ELNS1_3gpuE8ELNS1_3repE0EEENS1_30default_config_static_selectorELNS0_4arch9wavefront6targetE0EEEvT1_.uses_vcc, 0
	.set _ZN7rocprim17ROCPRIM_400000_NS6detail17trampoline_kernelINS0_14default_configENS1_27scan_by_key_config_selectorIifEEZZNS1_16scan_by_key_implILNS1_25lookback_scan_determinismE0ELb1ES3_N6thrust23THRUST_200600_302600_NS6detail15normal_iteratorINS9_10device_ptrIiEEEENSB_INSC_IjEEEESE_fNS9_4plusIvEENS9_8equal_toIvEEfEE10hipError_tPvRmT2_T3_T4_T5_mT6_T7_P12ihipStream_tbENKUlT_T0_E_clISt17integral_constantIbLb1EES11_EEDaSW_SX_EUlSW_E_NS1_11comp_targetILNS1_3genE4ELNS1_11target_archE910ELNS1_3gpuE8ELNS1_3repE0EEENS1_30default_config_static_selectorELNS0_4arch9wavefront6targetE0EEEvT1_.uses_flat_scratch, 0
	.set _ZN7rocprim17ROCPRIM_400000_NS6detail17trampoline_kernelINS0_14default_configENS1_27scan_by_key_config_selectorIifEEZZNS1_16scan_by_key_implILNS1_25lookback_scan_determinismE0ELb1ES3_N6thrust23THRUST_200600_302600_NS6detail15normal_iteratorINS9_10device_ptrIiEEEENSB_INSC_IjEEEESE_fNS9_4plusIvEENS9_8equal_toIvEEfEE10hipError_tPvRmT2_T3_T4_T5_mT6_T7_P12ihipStream_tbENKUlT_T0_E_clISt17integral_constantIbLb1EES11_EEDaSW_SX_EUlSW_E_NS1_11comp_targetILNS1_3genE4ELNS1_11target_archE910ELNS1_3gpuE8ELNS1_3repE0EEENS1_30default_config_static_selectorELNS0_4arch9wavefront6targetE0EEEvT1_.has_dyn_sized_stack, 0
	.set _ZN7rocprim17ROCPRIM_400000_NS6detail17trampoline_kernelINS0_14default_configENS1_27scan_by_key_config_selectorIifEEZZNS1_16scan_by_key_implILNS1_25lookback_scan_determinismE0ELb1ES3_N6thrust23THRUST_200600_302600_NS6detail15normal_iteratorINS9_10device_ptrIiEEEENSB_INSC_IjEEEESE_fNS9_4plusIvEENS9_8equal_toIvEEfEE10hipError_tPvRmT2_T3_T4_T5_mT6_T7_P12ihipStream_tbENKUlT_T0_E_clISt17integral_constantIbLb1EES11_EEDaSW_SX_EUlSW_E_NS1_11comp_targetILNS1_3genE4ELNS1_11target_archE910ELNS1_3gpuE8ELNS1_3repE0EEENS1_30default_config_static_selectorELNS0_4arch9wavefront6targetE0EEEvT1_.has_recursion, 0
	.set _ZN7rocprim17ROCPRIM_400000_NS6detail17trampoline_kernelINS0_14default_configENS1_27scan_by_key_config_selectorIifEEZZNS1_16scan_by_key_implILNS1_25lookback_scan_determinismE0ELb1ES3_N6thrust23THRUST_200600_302600_NS6detail15normal_iteratorINS9_10device_ptrIiEEEENSB_INSC_IjEEEESE_fNS9_4plusIvEENS9_8equal_toIvEEfEE10hipError_tPvRmT2_T3_T4_T5_mT6_T7_P12ihipStream_tbENKUlT_T0_E_clISt17integral_constantIbLb1EES11_EEDaSW_SX_EUlSW_E_NS1_11comp_targetILNS1_3genE4ELNS1_11target_archE910ELNS1_3gpuE8ELNS1_3repE0EEENS1_30default_config_static_selectorELNS0_4arch9wavefront6targetE0EEEvT1_.has_indirect_call, 0
	.section	.AMDGPU.csdata,"",@progbits
; Kernel info:
; codeLenInByte = 0
; TotalNumSgprs: 0
; NumVgprs: 0
; ScratchSize: 0
; MemoryBound: 0
; FloatMode: 240
; IeeeMode: 1
; LDSByteSize: 0 bytes/workgroup (compile time only)
; SGPRBlocks: 0
; VGPRBlocks: 0
; NumSGPRsForWavesPerEU: 1
; NumVGPRsForWavesPerEU: 1
; Occupancy: 16
; WaveLimiterHint : 0
; COMPUTE_PGM_RSRC2:SCRATCH_EN: 0
; COMPUTE_PGM_RSRC2:USER_SGPR: 6
; COMPUTE_PGM_RSRC2:TRAP_HANDLER: 0
; COMPUTE_PGM_RSRC2:TGID_X_EN: 1
; COMPUTE_PGM_RSRC2:TGID_Y_EN: 0
; COMPUTE_PGM_RSRC2:TGID_Z_EN: 0
; COMPUTE_PGM_RSRC2:TIDIG_COMP_CNT: 0
	.section	.text._ZN7rocprim17ROCPRIM_400000_NS6detail17trampoline_kernelINS0_14default_configENS1_27scan_by_key_config_selectorIifEEZZNS1_16scan_by_key_implILNS1_25lookback_scan_determinismE0ELb1ES3_N6thrust23THRUST_200600_302600_NS6detail15normal_iteratorINS9_10device_ptrIiEEEENSB_INSC_IjEEEESE_fNS9_4plusIvEENS9_8equal_toIvEEfEE10hipError_tPvRmT2_T3_T4_T5_mT6_T7_P12ihipStream_tbENKUlT_T0_E_clISt17integral_constantIbLb1EES11_EEDaSW_SX_EUlSW_E_NS1_11comp_targetILNS1_3genE3ELNS1_11target_archE908ELNS1_3gpuE7ELNS1_3repE0EEENS1_30default_config_static_selectorELNS0_4arch9wavefront6targetE0EEEvT1_,"axG",@progbits,_ZN7rocprim17ROCPRIM_400000_NS6detail17trampoline_kernelINS0_14default_configENS1_27scan_by_key_config_selectorIifEEZZNS1_16scan_by_key_implILNS1_25lookback_scan_determinismE0ELb1ES3_N6thrust23THRUST_200600_302600_NS6detail15normal_iteratorINS9_10device_ptrIiEEEENSB_INSC_IjEEEESE_fNS9_4plusIvEENS9_8equal_toIvEEfEE10hipError_tPvRmT2_T3_T4_T5_mT6_T7_P12ihipStream_tbENKUlT_T0_E_clISt17integral_constantIbLb1EES11_EEDaSW_SX_EUlSW_E_NS1_11comp_targetILNS1_3genE3ELNS1_11target_archE908ELNS1_3gpuE7ELNS1_3repE0EEENS1_30default_config_static_selectorELNS0_4arch9wavefront6targetE0EEEvT1_,comdat
	.protected	_ZN7rocprim17ROCPRIM_400000_NS6detail17trampoline_kernelINS0_14default_configENS1_27scan_by_key_config_selectorIifEEZZNS1_16scan_by_key_implILNS1_25lookback_scan_determinismE0ELb1ES3_N6thrust23THRUST_200600_302600_NS6detail15normal_iteratorINS9_10device_ptrIiEEEENSB_INSC_IjEEEESE_fNS9_4plusIvEENS9_8equal_toIvEEfEE10hipError_tPvRmT2_T3_T4_T5_mT6_T7_P12ihipStream_tbENKUlT_T0_E_clISt17integral_constantIbLb1EES11_EEDaSW_SX_EUlSW_E_NS1_11comp_targetILNS1_3genE3ELNS1_11target_archE908ELNS1_3gpuE7ELNS1_3repE0EEENS1_30default_config_static_selectorELNS0_4arch9wavefront6targetE0EEEvT1_ ; -- Begin function _ZN7rocprim17ROCPRIM_400000_NS6detail17trampoline_kernelINS0_14default_configENS1_27scan_by_key_config_selectorIifEEZZNS1_16scan_by_key_implILNS1_25lookback_scan_determinismE0ELb1ES3_N6thrust23THRUST_200600_302600_NS6detail15normal_iteratorINS9_10device_ptrIiEEEENSB_INSC_IjEEEESE_fNS9_4plusIvEENS9_8equal_toIvEEfEE10hipError_tPvRmT2_T3_T4_T5_mT6_T7_P12ihipStream_tbENKUlT_T0_E_clISt17integral_constantIbLb1EES11_EEDaSW_SX_EUlSW_E_NS1_11comp_targetILNS1_3genE3ELNS1_11target_archE908ELNS1_3gpuE7ELNS1_3repE0EEENS1_30default_config_static_selectorELNS0_4arch9wavefront6targetE0EEEvT1_
	.globl	_ZN7rocprim17ROCPRIM_400000_NS6detail17trampoline_kernelINS0_14default_configENS1_27scan_by_key_config_selectorIifEEZZNS1_16scan_by_key_implILNS1_25lookback_scan_determinismE0ELb1ES3_N6thrust23THRUST_200600_302600_NS6detail15normal_iteratorINS9_10device_ptrIiEEEENSB_INSC_IjEEEESE_fNS9_4plusIvEENS9_8equal_toIvEEfEE10hipError_tPvRmT2_T3_T4_T5_mT6_T7_P12ihipStream_tbENKUlT_T0_E_clISt17integral_constantIbLb1EES11_EEDaSW_SX_EUlSW_E_NS1_11comp_targetILNS1_3genE3ELNS1_11target_archE908ELNS1_3gpuE7ELNS1_3repE0EEENS1_30default_config_static_selectorELNS0_4arch9wavefront6targetE0EEEvT1_
	.p2align	8
	.type	_ZN7rocprim17ROCPRIM_400000_NS6detail17trampoline_kernelINS0_14default_configENS1_27scan_by_key_config_selectorIifEEZZNS1_16scan_by_key_implILNS1_25lookback_scan_determinismE0ELb1ES3_N6thrust23THRUST_200600_302600_NS6detail15normal_iteratorINS9_10device_ptrIiEEEENSB_INSC_IjEEEESE_fNS9_4plusIvEENS9_8equal_toIvEEfEE10hipError_tPvRmT2_T3_T4_T5_mT6_T7_P12ihipStream_tbENKUlT_T0_E_clISt17integral_constantIbLb1EES11_EEDaSW_SX_EUlSW_E_NS1_11comp_targetILNS1_3genE3ELNS1_11target_archE908ELNS1_3gpuE7ELNS1_3repE0EEENS1_30default_config_static_selectorELNS0_4arch9wavefront6targetE0EEEvT1_,@function
_ZN7rocprim17ROCPRIM_400000_NS6detail17trampoline_kernelINS0_14default_configENS1_27scan_by_key_config_selectorIifEEZZNS1_16scan_by_key_implILNS1_25lookback_scan_determinismE0ELb1ES3_N6thrust23THRUST_200600_302600_NS6detail15normal_iteratorINS9_10device_ptrIiEEEENSB_INSC_IjEEEESE_fNS9_4plusIvEENS9_8equal_toIvEEfEE10hipError_tPvRmT2_T3_T4_T5_mT6_T7_P12ihipStream_tbENKUlT_T0_E_clISt17integral_constantIbLb1EES11_EEDaSW_SX_EUlSW_E_NS1_11comp_targetILNS1_3genE3ELNS1_11target_archE908ELNS1_3gpuE7ELNS1_3repE0EEENS1_30default_config_static_selectorELNS0_4arch9wavefront6targetE0EEEvT1_: ; @_ZN7rocprim17ROCPRIM_400000_NS6detail17trampoline_kernelINS0_14default_configENS1_27scan_by_key_config_selectorIifEEZZNS1_16scan_by_key_implILNS1_25lookback_scan_determinismE0ELb1ES3_N6thrust23THRUST_200600_302600_NS6detail15normal_iteratorINS9_10device_ptrIiEEEENSB_INSC_IjEEEESE_fNS9_4plusIvEENS9_8equal_toIvEEfEE10hipError_tPvRmT2_T3_T4_T5_mT6_T7_P12ihipStream_tbENKUlT_T0_E_clISt17integral_constantIbLb1EES11_EEDaSW_SX_EUlSW_E_NS1_11comp_targetILNS1_3genE3ELNS1_11target_archE908ELNS1_3gpuE7ELNS1_3repE0EEENS1_30default_config_static_selectorELNS0_4arch9wavefront6targetE0EEEvT1_
; %bb.0:
	.section	.rodata,"a",@progbits
	.p2align	6, 0x0
	.amdhsa_kernel _ZN7rocprim17ROCPRIM_400000_NS6detail17trampoline_kernelINS0_14default_configENS1_27scan_by_key_config_selectorIifEEZZNS1_16scan_by_key_implILNS1_25lookback_scan_determinismE0ELb1ES3_N6thrust23THRUST_200600_302600_NS6detail15normal_iteratorINS9_10device_ptrIiEEEENSB_INSC_IjEEEESE_fNS9_4plusIvEENS9_8equal_toIvEEfEE10hipError_tPvRmT2_T3_T4_T5_mT6_T7_P12ihipStream_tbENKUlT_T0_E_clISt17integral_constantIbLb1EES11_EEDaSW_SX_EUlSW_E_NS1_11comp_targetILNS1_3genE3ELNS1_11target_archE908ELNS1_3gpuE7ELNS1_3repE0EEENS1_30default_config_static_selectorELNS0_4arch9wavefront6targetE0EEEvT1_
		.amdhsa_group_segment_fixed_size 0
		.amdhsa_private_segment_fixed_size 0
		.amdhsa_kernarg_size 112
		.amdhsa_user_sgpr_count 6
		.amdhsa_user_sgpr_private_segment_buffer 1
		.amdhsa_user_sgpr_dispatch_ptr 0
		.amdhsa_user_sgpr_queue_ptr 0
		.amdhsa_user_sgpr_kernarg_segment_ptr 1
		.amdhsa_user_sgpr_dispatch_id 0
		.amdhsa_user_sgpr_flat_scratch_init 0
		.amdhsa_user_sgpr_private_segment_size 0
		.amdhsa_wavefront_size32 1
		.amdhsa_uses_dynamic_stack 0
		.amdhsa_system_sgpr_private_segment_wavefront_offset 0
		.amdhsa_system_sgpr_workgroup_id_x 1
		.amdhsa_system_sgpr_workgroup_id_y 0
		.amdhsa_system_sgpr_workgroup_id_z 0
		.amdhsa_system_sgpr_workgroup_info 0
		.amdhsa_system_vgpr_workitem_id 0
		.amdhsa_next_free_vgpr 1
		.amdhsa_next_free_sgpr 1
		.amdhsa_reserve_vcc 0
		.amdhsa_reserve_flat_scratch 0
		.amdhsa_float_round_mode_32 0
		.amdhsa_float_round_mode_16_64 0
		.amdhsa_float_denorm_mode_32 3
		.amdhsa_float_denorm_mode_16_64 3
		.amdhsa_dx10_clamp 1
		.amdhsa_ieee_mode 1
		.amdhsa_fp16_overflow 0
		.amdhsa_workgroup_processor_mode 1
		.amdhsa_memory_ordered 1
		.amdhsa_forward_progress 1
		.amdhsa_shared_vgpr_count 0
		.amdhsa_exception_fp_ieee_invalid_op 0
		.amdhsa_exception_fp_denorm_src 0
		.amdhsa_exception_fp_ieee_div_zero 0
		.amdhsa_exception_fp_ieee_overflow 0
		.amdhsa_exception_fp_ieee_underflow 0
		.amdhsa_exception_fp_ieee_inexact 0
		.amdhsa_exception_int_div_zero 0
	.end_amdhsa_kernel
	.section	.text._ZN7rocprim17ROCPRIM_400000_NS6detail17trampoline_kernelINS0_14default_configENS1_27scan_by_key_config_selectorIifEEZZNS1_16scan_by_key_implILNS1_25lookback_scan_determinismE0ELb1ES3_N6thrust23THRUST_200600_302600_NS6detail15normal_iteratorINS9_10device_ptrIiEEEENSB_INSC_IjEEEESE_fNS9_4plusIvEENS9_8equal_toIvEEfEE10hipError_tPvRmT2_T3_T4_T5_mT6_T7_P12ihipStream_tbENKUlT_T0_E_clISt17integral_constantIbLb1EES11_EEDaSW_SX_EUlSW_E_NS1_11comp_targetILNS1_3genE3ELNS1_11target_archE908ELNS1_3gpuE7ELNS1_3repE0EEENS1_30default_config_static_selectorELNS0_4arch9wavefront6targetE0EEEvT1_,"axG",@progbits,_ZN7rocprim17ROCPRIM_400000_NS6detail17trampoline_kernelINS0_14default_configENS1_27scan_by_key_config_selectorIifEEZZNS1_16scan_by_key_implILNS1_25lookback_scan_determinismE0ELb1ES3_N6thrust23THRUST_200600_302600_NS6detail15normal_iteratorINS9_10device_ptrIiEEEENSB_INSC_IjEEEESE_fNS9_4plusIvEENS9_8equal_toIvEEfEE10hipError_tPvRmT2_T3_T4_T5_mT6_T7_P12ihipStream_tbENKUlT_T0_E_clISt17integral_constantIbLb1EES11_EEDaSW_SX_EUlSW_E_NS1_11comp_targetILNS1_3genE3ELNS1_11target_archE908ELNS1_3gpuE7ELNS1_3repE0EEENS1_30default_config_static_selectorELNS0_4arch9wavefront6targetE0EEEvT1_,comdat
.Lfunc_end1801:
	.size	_ZN7rocprim17ROCPRIM_400000_NS6detail17trampoline_kernelINS0_14default_configENS1_27scan_by_key_config_selectorIifEEZZNS1_16scan_by_key_implILNS1_25lookback_scan_determinismE0ELb1ES3_N6thrust23THRUST_200600_302600_NS6detail15normal_iteratorINS9_10device_ptrIiEEEENSB_INSC_IjEEEESE_fNS9_4plusIvEENS9_8equal_toIvEEfEE10hipError_tPvRmT2_T3_T4_T5_mT6_T7_P12ihipStream_tbENKUlT_T0_E_clISt17integral_constantIbLb1EES11_EEDaSW_SX_EUlSW_E_NS1_11comp_targetILNS1_3genE3ELNS1_11target_archE908ELNS1_3gpuE7ELNS1_3repE0EEENS1_30default_config_static_selectorELNS0_4arch9wavefront6targetE0EEEvT1_, .Lfunc_end1801-_ZN7rocprim17ROCPRIM_400000_NS6detail17trampoline_kernelINS0_14default_configENS1_27scan_by_key_config_selectorIifEEZZNS1_16scan_by_key_implILNS1_25lookback_scan_determinismE0ELb1ES3_N6thrust23THRUST_200600_302600_NS6detail15normal_iteratorINS9_10device_ptrIiEEEENSB_INSC_IjEEEESE_fNS9_4plusIvEENS9_8equal_toIvEEfEE10hipError_tPvRmT2_T3_T4_T5_mT6_T7_P12ihipStream_tbENKUlT_T0_E_clISt17integral_constantIbLb1EES11_EEDaSW_SX_EUlSW_E_NS1_11comp_targetILNS1_3genE3ELNS1_11target_archE908ELNS1_3gpuE7ELNS1_3repE0EEENS1_30default_config_static_selectorELNS0_4arch9wavefront6targetE0EEEvT1_
                                        ; -- End function
	.set _ZN7rocprim17ROCPRIM_400000_NS6detail17trampoline_kernelINS0_14default_configENS1_27scan_by_key_config_selectorIifEEZZNS1_16scan_by_key_implILNS1_25lookback_scan_determinismE0ELb1ES3_N6thrust23THRUST_200600_302600_NS6detail15normal_iteratorINS9_10device_ptrIiEEEENSB_INSC_IjEEEESE_fNS9_4plusIvEENS9_8equal_toIvEEfEE10hipError_tPvRmT2_T3_T4_T5_mT6_T7_P12ihipStream_tbENKUlT_T0_E_clISt17integral_constantIbLb1EES11_EEDaSW_SX_EUlSW_E_NS1_11comp_targetILNS1_3genE3ELNS1_11target_archE908ELNS1_3gpuE7ELNS1_3repE0EEENS1_30default_config_static_selectorELNS0_4arch9wavefront6targetE0EEEvT1_.num_vgpr, 0
	.set _ZN7rocprim17ROCPRIM_400000_NS6detail17trampoline_kernelINS0_14default_configENS1_27scan_by_key_config_selectorIifEEZZNS1_16scan_by_key_implILNS1_25lookback_scan_determinismE0ELb1ES3_N6thrust23THRUST_200600_302600_NS6detail15normal_iteratorINS9_10device_ptrIiEEEENSB_INSC_IjEEEESE_fNS9_4plusIvEENS9_8equal_toIvEEfEE10hipError_tPvRmT2_T3_T4_T5_mT6_T7_P12ihipStream_tbENKUlT_T0_E_clISt17integral_constantIbLb1EES11_EEDaSW_SX_EUlSW_E_NS1_11comp_targetILNS1_3genE3ELNS1_11target_archE908ELNS1_3gpuE7ELNS1_3repE0EEENS1_30default_config_static_selectorELNS0_4arch9wavefront6targetE0EEEvT1_.num_agpr, 0
	.set _ZN7rocprim17ROCPRIM_400000_NS6detail17trampoline_kernelINS0_14default_configENS1_27scan_by_key_config_selectorIifEEZZNS1_16scan_by_key_implILNS1_25lookback_scan_determinismE0ELb1ES3_N6thrust23THRUST_200600_302600_NS6detail15normal_iteratorINS9_10device_ptrIiEEEENSB_INSC_IjEEEESE_fNS9_4plusIvEENS9_8equal_toIvEEfEE10hipError_tPvRmT2_T3_T4_T5_mT6_T7_P12ihipStream_tbENKUlT_T0_E_clISt17integral_constantIbLb1EES11_EEDaSW_SX_EUlSW_E_NS1_11comp_targetILNS1_3genE3ELNS1_11target_archE908ELNS1_3gpuE7ELNS1_3repE0EEENS1_30default_config_static_selectorELNS0_4arch9wavefront6targetE0EEEvT1_.numbered_sgpr, 0
	.set _ZN7rocprim17ROCPRIM_400000_NS6detail17trampoline_kernelINS0_14default_configENS1_27scan_by_key_config_selectorIifEEZZNS1_16scan_by_key_implILNS1_25lookback_scan_determinismE0ELb1ES3_N6thrust23THRUST_200600_302600_NS6detail15normal_iteratorINS9_10device_ptrIiEEEENSB_INSC_IjEEEESE_fNS9_4plusIvEENS9_8equal_toIvEEfEE10hipError_tPvRmT2_T3_T4_T5_mT6_T7_P12ihipStream_tbENKUlT_T0_E_clISt17integral_constantIbLb1EES11_EEDaSW_SX_EUlSW_E_NS1_11comp_targetILNS1_3genE3ELNS1_11target_archE908ELNS1_3gpuE7ELNS1_3repE0EEENS1_30default_config_static_selectorELNS0_4arch9wavefront6targetE0EEEvT1_.num_named_barrier, 0
	.set _ZN7rocprim17ROCPRIM_400000_NS6detail17trampoline_kernelINS0_14default_configENS1_27scan_by_key_config_selectorIifEEZZNS1_16scan_by_key_implILNS1_25lookback_scan_determinismE0ELb1ES3_N6thrust23THRUST_200600_302600_NS6detail15normal_iteratorINS9_10device_ptrIiEEEENSB_INSC_IjEEEESE_fNS9_4plusIvEENS9_8equal_toIvEEfEE10hipError_tPvRmT2_T3_T4_T5_mT6_T7_P12ihipStream_tbENKUlT_T0_E_clISt17integral_constantIbLb1EES11_EEDaSW_SX_EUlSW_E_NS1_11comp_targetILNS1_3genE3ELNS1_11target_archE908ELNS1_3gpuE7ELNS1_3repE0EEENS1_30default_config_static_selectorELNS0_4arch9wavefront6targetE0EEEvT1_.private_seg_size, 0
	.set _ZN7rocprim17ROCPRIM_400000_NS6detail17trampoline_kernelINS0_14default_configENS1_27scan_by_key_config_selectorIifEEZZNS1_16scan_by_key_implILNS1_25lookback_scan_determinismE0ELb1ES3_N6thrust23THRUST_200600_302600_NS6detail15normal_iteratorINS9_10device_ptrIiEEEENSB_INSC_IjEEEESE_fNS9_4plusIvEENS9_8equal_toIvEEfEE10hipError_tPvRmT2_T3_T4_T5_mT6_T7_P12ihipStream_tbENKUlT_T0_E_clISt17integral_constantIbLb1EES11_EEDaSW_SX_EUlSW_E_NS1_11comp_targetILNS1_3genE3ELNS1_11target_archE908ELNS1_3gpuE7ELNS1_3repE0EEENS1_30default_config_static_selectorELNS0_4arch9wavefront6targetE0EEEvT1_.uses_vcc, 0
	.set _ZN7rocprim17ROCPRIM_400000_NS6detail17trampoline_kernelINS0_14default_configENS1_27scan_by_key_config_selectorIifEEZZNS1_16scan_by_key_implILNS1_25lookback_scan_determinismE0ELb1ES3_N6thrust23THRUST_200600_302600_NS6detail15normal_iteratorINS9_10device_ptrIiEEEENSB_INSC_IjEEEESE_fNS9_4plusIvEENS9_8equal_toIvEEfEE10hipError_tPvRmT2_T3_T4_T5_mT6_T7_P12ihipStream_tbENKUlT_T0_E_clISt17integral_constantIbLb1EES11_EEDaSW_SX_EUlSW_E_NS1_11comp_targetILNS1_3genE3ELNS1_11target_archE908ELNS1_3gpuE7ELNS1_3repE0EEENS1_30default_config_static_selectorELNS0_4arch9wavefront6targetE0EEEvT1_.uses_flat_scratch, 0
	.set _ZN7rocprim17ROCPRIM_400000_NS6detail17trampoline_kernelINS0_14default_configENS1_27scan_by_key_config_selectorIifEEZZNS1_16scan_by_key_implILNS1_25lookback_scan_determinismE0ELb1ES3_N6thrust23THRUST_200600_302600_NS6detail15normal_iteratorINS9_10device_ptrIiEEEENSB_INSC_IjEEEESE_fNS9_4plusIvEENS9_8equal_toIvEEfEE10hipError_tPvRmT2_T3_T4_T5_mT6_T7_P12ihipStream_tbENKUlT_T0_E_clISt17integral_constantIbLb1EES11_EEDaSW_SX_EUlSW_E_NS1_11comp_targetILNS1_3genE3ELNS1_11target_archE908ELNS1_3gpuE7ELNS1_3repE0EEENS1_30default_config_static_selectorELNS0_4arch9wavefront6targetE0EEEvT1_.has_dyn_sized_stack, 0
	.set _ZN7rocprim17ROCPRIM_400000_NS6detail17trampoline_kernelINS0_14default_configENS1_27scan_by_key_config_selectorIifEEZZNS1_16scan_by_key_implILNS1_25lookback_scan_determinismE0ELb1ES3_N6thrust23THRUST_200600_302600_NS6detail15normal_iteratorINS9_10device_ptrIiEEEENSB_INSC_IjEEEESE_fNS9_4plusIvEENS9_8equal_toIvEEfEE10hipError_tPvRmT2_T3_T4_T5_mT6_T7_P12ihipStream_tbENKUlT_T0_E_clISt17integral_constantIbLb1EES11_EEDaSW_SX_EUlSW_E_NS1_11comp_targetILNS1_3genE3ELNS1_11target_archE908ELNS1_3gpuE7ELNS1_3repE0EEENS1_30default_config_static_selectorELNS0_4arch9wavefront6targetE0EEEvT1_.has_recursion, 0
	.set _ZN7rocprim17ROCPRIM_400000_NS6detail17trampoline_kernelINS0_14default_configENS1_27scan_by_key_config_selectorIifEEZZNS1_16scan_by_key_implILNS1_25lookback_scan_determinismE0ELb1ES3_N6thrust23THRUST_200600_302600_NS6detail15normal_iteratorINS9_10device_ptrIiEEEENSB_INSC_IjEEEESE_fNS9_4plusIvEENS9_8equal_toIvEEfEE10hipError_tPvRmT2_T3_T4_T5_mT6_T7_P12ihipStream_tbENKUlT_T0_E_clISt17integral_constantIbLb1EES11_EEDaSW_SX_EUlSW_E_NS1_11comp_targetILNS1_3genE3ELNS1_11target_archE908ELNS1_3gpuE7ELNS1_3repE0EEENS1_30default_config_static_selectorELNS0_4arch9wavefront6targetE0EEEvT1_.has_indirect_call, 0
	.section	.AMDGPU.csdata,"",@progbits
; Kernel info:
; codeLenInByte = 0
; TotalNumSgprs: 0
; NumVgprs: 0
; ScratchSize: 0
; MemoryBound: 0
; FloatMode: 240
; IeeeMode: 1
; LDSByteSize: 0 bytes/workgroup (compile time only)
; SGPRBlocks: 0
; VGPRBlocks: 0
; NumSGPRsForWavesPerEU: 1
; NumVGPRsForWavesPerEU: 1
; Occupancy: 16
; WaveLimiterHint : 0
; COMPUTE_PGM_RSRC2:SCRATCH_EN: 0
; COMPUTE_PGM_RSRC2:USER_SGPR: 6
; COMPUTE_PGM_RSRC2:TRAP_HANDLER: 0
; COMPUTE_PGM_RSRC2:TGID_X_EN: 1
; COMPUTE_PGM_RSRC2:TGID_Y_EN: 0
; COMPUTE_PGM_RSRC2:TGID_Z_EN: 0
; COMPUTE_PGM_RSRC2:TIDIG_COMP_CNT: 0
	.section	.text._ZN7rocprim17ROCPRIM_400000_NS6detail17trampoline_kernelINS0_14default_configENS1_27scan_by_key_config_selectorIifEEZZNS1_16scan_by_key_implILNS1_25lookback_scan_determinismE0ELb1ES3_N6thrust23THRUST_200600_302600_NS6detail15normal_iteratorINS9_10device_ptrIiEEEENSB_INSC_IjEEEESE_fNS9_4plusIvEENS9_8equal_toIvEEfEE10hipError_tPvRmT2_T3_T4_T5_mT6_T7_P12ihipStream_tbENKUlT_T0_E_clISt17integral_constantIbLb1EES11_EEDaSW_SX_EUlSW_E_NS1_11comp_targetILNS1_3genE2ELNS1_11target_archE906ELNS1_3gpuE6ELNS1_3repE0EEENS1_30default_config_static_selectorELNS0_4arch9wavefront6targetE0EEEvT1_,"axG",@progbits,_ZN7rocprim17ROCPRIM_400000_NS6detail17trampoline_kernelINS0_14default_configENS1_27scan_by_key_config_selectorIifEEZZNS1_16scan_by_key_implILNS1_25lookback_scan_determinismE0ELb1ES3_N6thrust23THRUST_200600_302600_NS6detail15normal_iteratorINS9_10device_ptrIiEEEENSB_INSC_IjEEEESE_fNS9_4plusIvEENS9_8equal_toIvEEfEE10hipError_tPvRmT2_T3_T4_T5_mT6_T7_P12ihipStream_tbENKUlT_T0_E_clISt17integral_constantIbLb1EES11_EEDaSW_SX_EUlSW_E_NS1_11comp_targetILNS1_3genE2ELNS1_11target_archE906ELNS1_3gpuE6ELNS1_3repE0EEENS1_30default_config_static_selectorELNS0_4arch9wavefront6targetE0EEEvT1_,comdat
	.protected	_ZN7rocprim17ROCPRIM_400000_NS6detail17trampoline_kernelINS0_14default_configENS1_27scan_by_key_config_selectorIifEEZZNS1_16scan_by_key_implILNS1_25lookback_scan_determinismE0ELb1ES3_N6thrust23THRUST_200600_302600_NS6detail15normal_iteratorINS9_10device_ptrIiEEEENSB_INSC_IjEEEESE_fNS9_4plusIvEENS9_8equal_toIvEEfEE10hipError_tPvRmT2_T3_T4_T5_mT6_T7_P12ihipStream_tbENKUlT_T0_E_clISt17integral_constantIbLb1EES11_EEDaSW_SX_EUlSW_E_NS1_11comp_targetILNS1_3genE2ELNS1_11target_archE906ELNS1_3gpuE6ELNS1_3repE0EEENS1_30default_config_static_selectorELNS0_4arch9wavefront6targetE0EEEvT1_ ; -- Begin function _ZN7rocprim17ROCPRIM_400000_NS6detail17trampoline_kernelINS0_14default_configENS1_27scan_by_key_config_selectorIifEEZZNS1_16scan_by_key_implILNS1_25lookback_scan_determinismE0ELb1ES3_N6thrust23THRUST_200600_302600_NS6detail15normal_iteratorINS9_10device_ptrIiEEEENSB_INSC_IjEEEESE_fNS9_4plusIvEENS9_8equal_toIvEEfEE10hipError_tPvRmT2_T3_T4_T5_mT6_T7_P12ihipStream_tbENKUlT_T0_E_clISt17integral_constantIbLb1EES11_EEDaSW_SX_EUlSW_E_NS1_11comp_targetILNS1_3genE2ELNS1_11target_archE906ELNS1_3gpuE6ELNS1_3repE0EEENS1_30default_config_static_selectorELNS0_4arch9wavefront6targetE0EEEvT1_
	.globl	_ZN7rocprim17ROCPRIM_400000_NS6detail17trampoline_kernelINS0_14default_configENS1_27scan_by_key_config_selectorIifEEZZNS1_16scan_by_key_implILNS1_25lookback_scan_determinismE0ELb1ES3_N6thrust23THRUST_200600_302600_NS6detail15normal_iteratorINS9_10device_ptrIiEEEENSB_INSC_IjEEEESE_fNS9_4plusIvEENS9_8equal_toIvEEfEE10hipError_tPvRmT2_T3_T4_T5_mT6_T7_P12ihipStream_tbENKUlT_T0_E_clISt17integral_constantIbLb1EES11_EEDaSW_SX_EUlSW_E_NS1_11comp_targetILNS1_3genE2ELNS1_11target_archE906ELNS1_3gpuE6ELNS1_3repE0EEENS1_30default_config_static_selectorELNS0_4arch9wavefront6targetE0EEEvT1_
	.p2align	8
	.type	_ZN7rocprim17ROCPRIM_400000_NS6detail17trampoline_kernelINS0_14default_configENS1_27scan_by_key_config_selectorIifEEZZNS1_16scan_by_key_implILNS1_25lookback_scan_determinismE0ELb1ES3_N6thrust23THRUST_200600_302600_NS6detail15normal_iteratorINS9_10device_ptrIiEEEENSB_INSC_IjEEEESE_fNS9_4plusIvEENS9_8equal_toIvEEfEE10hipError_tPvRmT2_T3_T4_T5_mT6_T7_P12ihipStream_tbENKUlT_T0_E_clISt17integral_constantIbLb1EES11_EEDaSW_SX_EUlSW_E_NS1_11comp_targetILNS1_3genE2ELNS1_11target_archE906ELNS1_3gpuE6ELNS1_3repE0EEENS1_30default_config_static_selectorELNS0_4arch9wavefront6targetE0EEEvT1_,@function
_ZN7rocprim17ROCPRIM_400000_NS6detail17trampoline_kernelINS0_14default_configENS1_27scan_by_key_config_selectorIifEEZZNS1_16scan_by_key_implILNS1_25lookback_scan_determinismE0ELb1ES3_N6thrust23THRUST_200600_302600_NS6detail15normal_iteratorINS9_10device_ptrIiEEEENSB_INSC_IjEEEESE_fNS9_4plusIvEENS9_8equal_toIvEEfEE10hipError_tPvRmT2_T3_T4_T5_mT6_T7_P12ihipStream_tbENKUlT_T0_E_clISt17integral_constantIbLb1EES11_EEDaSW_SX_EUlSW_E_NS1_11comp_targetILNS1_3genE2ELNS1_11target_archE906ELNS1_3gpuE6ELNS1_3repE0EEENS1_30default_config_static_selectorELNS0_4arch9wavefront6targetE0EEEvT1_: ; @_ZN7rocprim17ROCPRIM_400000_NS6detail17trampoline_kernelINS0_14default_configENS1_27scan_by_key_config_selectorIifEEZZNS1_16scan_by_key_implILNS1_25lookback_scan_determinismE0ELb1ES3_N6thrust23THRUST_200600_302600_NS6detail15normal_iteratorINS9_10device_ptrIiEEEENSB_INSC_IjEEEESE_fNS9_4plusIvEENS9_8equal_toIvEEfEE10hipError_tPvRmT2_T3_T4_T5_mT6_T7_P12ihipStream_tbENKUlT_T0_E_clISt17integral_constantIbLb1EES11_EEDaSW_SX_EUlSW_E_NS1_11comp_targetILNS1_3genE2ELNS1_11target_archE906ELNS1_3gpuE6ELNS1_3repE0EEENS1_30default_config_static_selectorELNS0_4arch9wavefront6targetE0EEEvT1_
; %bb.0:
	.section	.rodata,"a",@progbits
	.p2align	6, 0x0
	.amdhsa_kernel _ZN7rocprim17ROCPRIM_400000_NS6detail17trampoline_kernelINS0_14default_configENS1_27scan_by_key_config_selectorIifEEZZNS1_16scan_by_key_implILNS1_25lookback_scan_determinismE0ELb1ES3_N6thrust23THRUST_200600_302600_NS6detail15normal_iteratorINS9_10device_ptrIiEEEENSB_INSC_IjEEEESE_fNS9_4plusIvEENS9_8equal_toIvEEfEE10hipError_tPvRmT2_T3_T4_T5_mT6_T7_P12ihipStream_tbENKUlT_T0_E_clISt17integral_constantIbLb1EES11_EEDaSW_SX_EUlSW_E_NS1_11comp_targetILNS1_3genE2ELNS1_11target_archE906ELNS1_3gpuE6ELNS1_3repE0EEENS1_30default_config_static_selectorELNS0_4arch9wavefront6targetE0EEEvT1_
		.amdhsa_group_segment_fixed_size 0
		.amdhsa_private_segment_fixed_size 0
		.amdhsa_kernarg_size 112
		.amdhsa_user_sgpr_count 6
		.amdhsa_user_sgpr_private_segment_buffer 1
		.amdhsa_user_sgpr_dispatch_ptr 0
		.amdhsa_user_sgpr_queue_ptr 0
		.amdhsa_user_sgpr_kernarg_segment_ptr 1
		.amdhsa_user_sgpr_dispatch_id 0
		.amdhsa_user_sgpr_flat_scratch_init 0
		.amdhsa_user_sgpr_private_segment_size 0
		.amdhsa_wavefront_size32 1
		.amdhsa_uses_dynamic_stack 0
		.amdhsa_system_sgpr_private_segment_wavefront_offset 0
		.amdhsa_system_sgpr_workgroup_id_x 1
		.amdhsa_system_sgpr_workgroup_id_y 0
		.amdhsa_system_sgpr_workgroup_id_z 0
		.amdhsa_system_sgpr_workgroup_info 0
		.amdhsa_system_vgpr_workitem_id 0
		.amdhsa_next_free_vgpr 1
		.amdhsa_next_free_sgpr 1
		.amdhsa_reserve_vcc 0
		.amdhsa_reserve_flat_scratch 0
		.amdhsa_float_round_mode_32 0
		.amdhsa_float_round_mode_16_64 0
		.amdhsa_float_denorm_mode_32 3
		.amdhsa_float_denorm_mode_16_64 3
		.amdhsa_dx10_clamp 1
		.amdhsa_ieee_mode 1
		.amdhsa_fp16_overflow 0
		.amdhsa_workgroup_processor_mode 1
		.amdhsa_memory_ordered 1
		.amdhsa_forward_progress 1
		.amdhsa_shared_vgpr_count 0
		.amdhsa_exception_fp_ieee_invalid_op 0
		.amdhsa_exception_fp_denorm_src 0
		.amdhsa_exception_fp_ieee_div_zero 0
		.amdhsa_exception_fp_ieee_overflow 0
		.amdhsa_exception_fp_ieee_underflow 0
		.amdhsa_exception_fp_ieee_inexact 0
		.amdhsa_exception_int_div_zero 0
	.end_amdhsa_kernel
	.section	.text._ZN7rocprim17ROCPRIM_400000_NS6detail17trampoline_kernelINS0_14default_configENS1_27scan_by_key_config_selectorIifEEZZNS1_16scan_by_key_implILNS1_25lookback_scan_determinismE0ELb1ES3_N6thrust23THRUST_200600_302600_NS6detail15normal_iteratorINS9_10device_ptrIiEEEENSB_INSC_IjEEEESE_fNS9_4plusIvEENS9_8equal_toIvEEfEE10hipError_tPvRmT2_T3_T4_T5_mT6_T7_P12ihipStream_tbENKUlT_T0_E_clISt17integral_constantIbLb1EES11_EEDaSW_SX_EUlSW_E_NS1_11comp_targetILNS1_3genE2ELNS1_11target_archE906ELNS1_3gpuE6ELNS1_3repE0EEENS1_30default_config_static_selectorELNS0_4arch9wavefront6targetE0EEEvT1_,"axG",@progbits,_ZN7rocprim17ROCPRIM_400000_NS6detail17trampoline_kernelINS0_14default_configENS1_27scan_by_key_config_selectorIifEEZZNS1_16scan_by_key_implILNS1_25lookback_scan_determinismE0ELb1ES3_N6thrust23THRUST_200600_302600_NS6detail15normal_iteratorINS9_10device_ptrIiEEEENSB_INSC_IjEEEESE_fNS9_4plusIvEENS9_8equal_toIvEEfEE10hipError_tPvRmT2_T3_T4_T5_mT6_T7_P12ihipStream_tbENKUlT_T0_E_clISt17integral_constantIbLb1EES11_EEDaSW_SX_EUlSW_E_NS1_11comp_targetILNS1_3genE2ELNS1_11target_archE906ELNS1_3gpuE6ELNS1_3repE0EEENS1_30default_config_static_selectorELNS0_4arch9wavefront6targetE0EEEvT1_,comdat
.Lfunc_end1802:
	.size	_ZN7rocprim17ROCPRIM_400000_NS6detail17trampoline_kernelINS0_14default_configENS1_27scan_by_key_config_selectorIifEEZZNS1_16scan_by_key_implILNS1_25lookback_scan_determinismE0ELb1ES3_N6thrust23THRUST_200600_302600_NS6detail15normal_iteratorINS9_10device_ptrIiEEEENSB_INSC_IjEEEESE_fNS9_4plusIvEENS9_8equal_toIvEEfEE10hipError_tPvRmT2_T3_T4_T5_mT6_T7_P12ihipStream_tbENKUlT_T0_E_clISt17integral_constantIbLb1EES11_EEDaSW_SX_EUlSW_E_NS1_11comp_targetILNS1_3genE2ELNS1_11target_archE906ELNS1_3gpuE6ELNS1_3repE0EEENS1_30default_config_static_selectorELNS0_4arch9wavefront6targetE0EEEvT1_, .Lfunc_end1802-_ZN7rocprim17ROCPRIM_400000_NS6detail17trampoline_kernelINS0_14default_configENS1_27scan_by_key_config_selectorIifEEZZNS1_16scan_by_key_implILNS1_25lookback_scan_determinismE0ELb1ES3_N6thrust23THRUST_200600_302600_NS6detail15normal_iteratorINS9_10device_ptrIiEEEENSB_INSC_IjEEEESE_fNS9_4plusIvEENS9_8equal_toIvEEfEE10hipError_tPvRmT2_T3_T4_T5_mT6_T7_P12ihipStream_tbENKUlT_T0_E_clISt17integral_constantIbLb1EES11_EEDaSW_SX_EUlSW_E_NS1_11comp_targetILNS1_3genE2ELNS1_11target_archE906ELNS1_3gpuE6ELNS1_3repE0EEENS1_30default_config_static_selectorELNS0_4arch9wavefront6targetE0EEEvT1_
                                        ; -- End function
	.set _ZN7rocprim17ROCPRIM_400000_NS6detail17trampoline_kernelINS0_14default_configENS1_27scan_by_key_config_selectorIifEEZZNS1_16scan_by_key_implILNS1_25lookback_scan_determinismE0ELb1ES3_N6thrust23THRUST_200600_302600_NS6detail15normal_iteratorINS9_10device_ptrIiEEEENSB_INSC_IjEEEESE_fNS9_4plusIvEENS9_8equal_toIvEEfEE10hipError_tPvRmT2_T3_T4_T5_mT6_T7_P12ihipStream_tbENKUlT_T0_E_clISt17integral_constantIbLb1EES11_EEDaSW_SX_EUlSW_E_NS1_11comp_targetILNS1_3genE2ELNS1_11target_archE906ELNS1_3gpuE6ELNS1_3repE0EEENS1_30default_config_static_selectorELNS0_4arch9wavefront6targetE0EEEvT1_.num_vgpr, 0
	.set _ZN7rocprim17ROCPRIM_400000_NS6detail17trampoline_kernelINS0_14default_configENS1_27scan_by_key_config_selectorIifEEZZNS1_16scan_by_key_implILNS1_25lookback_scan_determinismE0ELb1ES3_N6thrust23THRUST_200600_302600_NS6detail15normal_iteratorINS9_10device_ptrIiEEEENSB_INSC_IjEEEESE_fNS9_4plusIvEENS9_8equal_toIvEEfEE10hipError_tPvRmT2_T3_T4_T5_mT6_T7_P12ihipStream_tbENKUlT_T0_E_clISt17integral_constantIbLb1EES11_EEDaSW_SX_EUlSW_E_NS1_11comp_targetILNS1_3genE2ELNS1_11target_archE906ELNS1_3gpuE6ELNS1_3repE0EEENS1_30default_config_static_selectorELNS0_4arch9wavefront6targetE0EEEvT1_.num_agpr, 0
	.set _ZN7rocprim17ROCPRIM_400000_NS6detail17trampoline_kernelINS0_14default_configENS1_27scan_by_key_config_selectorIifEEZZNS1_16scan_by_key_implILNS1_25lookback_scan_determinismE0ELb1ES3_N6thrust23THRUST_200600_302600_NS6detail15normal_iteratorINS9_10device_ptrIiEEEENSB_INSC_IjEEEESE_fNS9_4plusIvEENS9_8equal_toIvEEfEE10hipError_tPvRmT2_T3_T4_T5_mT6_T7_P12ihipStream_tbENKUlT_T0_E_clISt17integral_constantIbLb1EES11_EEDaSW_SX_EUlSW_E_NS1_11comp_targetILNS1_3genE2ELNS1_11target_archE906ELNS1_3gpuE6ELNS1_3repE0EEENS1_30default_config_static_selectorELNS0_4arch9wavefront6targetE0EEEvT1_.numbered_sgpr, 0
	.set _ZN7rocprim17ROCPRIM_400000_NS6detail17trampoline_kernelINS0_14default_configENS1_27scan_by_key_config_selectorIifEEZZNS1_16scan_by_key_implILNS1_25lookback_scan_determinismE0ELb1ES3_N6thrust23THRUST_200600_302600_NS6detail15normal_iteratorINS9_10device_ptrIiEEEENSB_INSC_IjEEEESE_fNS9_4plusIvEENS9_8equal_toIvEEfEE10hipError_tPvRmT2_T3_T4_T5_mT6_T7_P12ihipStream_tbENKUlT_T0_E_clISt17integral_constantIbLb1EES11_EEDaSW_SX_EUlSW_E_NS1_11comp_targetILNS1_3genE2ELNS1_11target_archE906ELNS1_3gpuE6ELNS1_3repE0EEENS1_30default_config_static_selectorELNS0_4arch9wavefront6targetE0EEEvT1_.num_named_barrier, 0
	.set _ZN7rocprim17ROCPRIM_400000_NS6detail17trampoline_kernelINS0_14default_configENS1_27scan_by_key_config_selectorIifEEZZNS1_16scan_by_key_implILNS1_25lookback_scan_determinismE0ELb1ES3_N6thrust23THRUST_200600_302600_NS6detail15normal_iteratorINS9_10device_ptrIiEEEENSB_INSC_IjEEEESE_fNS9_4plusIvEENS9_8equal_toIvEEfEE10hipError_tPvRmT2_T3_T4_T5_mT6_T7_P12ihipStream_tbENKUlT_T0_E_clISt17integral_constantIbLb1EES11_EEDaSW_SX_EUlSW_E_NS1_11comp_targetILNS1_3genE2ELNS1_11target_archE906ELNS1_3gpuE6ELNS1_3repE0EEENS1_30default_config_static_selectorELNS0_4arch9wavefront6targetE0EEEvT1_.private_seg_size, 0
	.set _ZN7rocprim17ROCPRIM_400000_NS6detail17trampoline_kernelINS0_14default_configENS1_27scan_by_key_config_selectorIifEEZZNS1_16scan_by_key_implILNS1_25lookback_scan_determinismE0ELb1ES3_N6thrust23THRUST_200600_302600_NS6detail15normal_iteratorINS9_10device_ptrIiEEEENSB_INSC_IjEEEESE_fNS9_4plusIvEENS9_8equal_toIvEEfEE10hipError_tPvRmT2_T3_T4_T5_mT6_T7_P12ihipStream_tbENKUlT_T0_E_clISt17integral_constantIbLb1EES11_EEDaSW_SX_EUlSW_E_NS1_11comp_targetILNS1_3genE2ELNS1_11target_archE906ELNS1_3gpuE6ELNS1_3repE0EEENS1_30default_config_static_selectorELNS0_4arch9wavefront6targetE0EEEvT1_.uses_vcc, 0
	.set _ZN7rocprim17ROCPRIM_400000_NS6detail17trampoline_kernelINS0_14default_configENS1_27scan_by_key_config_selectorIifEEZZNS1_16scan_by_key_implILNS1_25lookback_scan_determinismE0ELb1ES3_N6thrust23THRUST_200600_302600_NS6detail15normal_iteratorINS9_10device_ptrIiEEEENSB_INSC_IjEEEESE_fNS9_4plusIvEENS9_8equal_toIvEEfEE10hipError_tPvRmT2_T3_T4_T5_mT6_T7_P12ihipStream_tbENKUlT_T0_E_clISt17integral_constantIbLb1EES11_EEDaSW_SX_EUlSW_E_NS1_11comp_targetILNS1_3genE2ELNS1_11target_archE906ELNS1_3gpuE6ELNS1_3repE0EEENS1_30default_config_static_selectorELNS0_4arch9wavefront6targetE0EEEvT1_.uses_flat_scratch, 0
	.set _ZN7rocprim17ROCPRIM_400000_NS6detail17trampoline_kernelINS0_14default_configENS1_27scan_by_key_config_selectorIifEEZZNS1_16scan_by_key_implILNS1_25lookback_scan_determinismE0ELb1ES3_N6thrust23THRUST_200600_302600_NS6detail15normal_iteratorINS9_10device_ptrIiEEEENSB_INSC_IjEEEESE_fNS9_4plusIvEENS9_8equal_toIvEEfEE10hipError_tPvRmT2_T3_T4_T5_mT6_T7_P12ihipStream_tbENKUlT_T0_E_clISt17integral_constantIbLb1EES11_EEDaSW_SX_EUlSW_E_NS1_11comp_targetILNS1_3genE2ELNS1_11target_archE906ELNS1_3gpuE6ELNS1_3repE0EEENS1_30default_config_static_selectorELNS0_4arch9wavefront6targetE0EEEvT1_.has_dyn_sized_stack, 0
	.set _ZN7rocprim17ROCPRIM_400000_NS6detail17trampoline_kernelINS0_14default_configENS1_27scan_by_key_config_selectorIifEEZZNS1_16scan_by_key_implILNS1_25lookback_scan_determinismE0ELb1ES3_N6thrust23THRUST_200600_302600_NS6detail15normal_iteratorINS9_10device_ptrIiEEEENSB_INSC_IjEEEESE_fNS9_4plusIvEENS9_8equal_toIvEEfEE10hipError_tPvRmT2_T3_T4_T5_mT6_T7_P12ihipStream_tbENKUlT_T0_E_clISt17integral_constantIbLb1EES11_EEDaSW_SX_EUlSW_E_NS1_11comp_targetILNS1_3genE2ELNS1_11target_archE906ELNS1_3gpuE6ELNS1_3repE0EEENS1_30default_config_static_selectorELNS0_4arch9wavefront6targetE0EEEvT1_.has_recursion, 0
	.set _ZN7rocprim17ROCPRIM_400000_NS6detail17trampoline_kernelINS0_14default_configENS1_27scan_by_key_config_selectorIifEEZZNS1_16scan_by_key_implILNS1_25lookback_scan_determinismE0ELb1ES3_N6thrust23THRUST_200600_302600_NS6detail15normal_iteratorINS9_10device_ptrIiEEEENSB_INSC_IjEEEESE_fNS9_4plusIvEENS9_8equal_toIvEEfEE10hipError_tPvRmT2_T3_T4_T5_mT6_T7_P12ihipStream_tbENKUlT_T0_E_clISt17integral_constantIbLb1EES11_EEDaSW_SX_EUlSW_E_NS1_11comp_targetILNS1_3genE2ELNS1_11target_archE906ELNS1_3gpuE6ELNS1_3repE0EEENS1_30default_config_static_selectorELNS0_4arch9wavefront6targetE0EEEvT1_.has_indirect_call, 0
	.section	.AMDGPU.csdata,"",@progbits
; Kernel info:
; codeLenInByte = 0
; TotalNumSgprs: 0
; NumVgprs: 0
; ScratchSize: 0
; MemoryBound: 0
; FloatMode: 240
; IeeeMode: 1
; LDSByteSize: 0 bytes/workgroup (compile time only)
; SGPRBlocks: 0
; VGPRBlocks: 0
; NumSGPRsForWavesPerEU: 1
; NumVGPRsForWavesPerEU: 1
; Occupancy: 16
; WaveLimiterHint : 0
; COMPUTE_PGM_RSRC2:SCRATCH_EN: 0
; COMPUTE_PGM_RSRC2:USER_SGPR: 6
; COMPUTE_PGM_RSRC2:TRAP_HANDLER: 0
; COMPUTE_PGM_RSRC2:TGID_X_EN: 1
; COMPUTE_PGM_RSRC2:TGID_Y_EN: 0
; COMPUTE_PGM_RSRC2:TGID_Z_EN: 0
; COMPUTE_PGM_RSRC2:TIDIG_COMP_CNT: 0
	.section	.text._ZN7rocprim17ROCPRIM_400000_NS6detail17trampoline_kernelINS0_14default_configENS1_27scan_by_key_config_selectorIifEEZZNS1_16scan_by_key_implILNS1_25lookback_scan_determinismE0ELb1ES3_N6thrust23THRUST_200600_302600_NS6detail15normal_iteratorINS9_10device_ptrIiEEEENSB_INSC_IjEEEESE_fNS9_4plusIvEENS9_8equal_toIvEEfEE10hipError_tPvRmT2_T3_T4_T5_mT6_T7_P12ihipStream_tbENKUlT_T0_E_clISt17integral_constantIbLb1EES11_EEDaSW_SX_EUlSW_E_NS1_11comp_targetILNS1_3genE10ELNS1_11target_archE1200ELNS1_3gpuE4ELNS1_3repE0EEENS1_30default_config_static_selectorELNS0_4arch9wavefront6targetE0EEEvT1_,"axG",@progbits,_ZN7rocprim17ROCPRIM_400000_NS6detail17trampoline_kernelINS0_14default_configENS1_27scan_by_key_config_selectorIifEEZZNS1_16scan_by_key_implILNS1_25lookback_scan_determinismE0ELb1ES3_N6thrust23THRUST_200600_302600_NS6detail15normal_iteratorINS9_10device_ptrIiEEEENSB_INSC_IjEEEESE_fNS9_4plusIvEENS9_8equal_toIvEEfEE10hipError_tPvRmT2_T3_T4_T5_mT6_T7_P12ihipStream_tbENKUlT_T0_E_clISt17integral_constantIbLb1EES11_EEDaSW_SX_EUlSW_E_NS1_11comp_targetILNS1_3genE10ELNS1_11target_archE1200ELNS1_3gpuE4ELNS1_3repE0EEENS1_30default_config_static_selectorELNS0_4arch9wavefront6targetE0EEEvT1_,comdat
	.protected	_ZN7rocprim17ROCPRIM_400000_NS6detail17trampoline_kernelINS0_14default_configENS1_27scan_by_key_config_selectorIifEEZZNS1_16scan_by_key_implILNS1_25lookback_scan_determinismE0ELb1ES3_N6thrust23THRUST_200600_302600_NS6detail15normal_iteratorINS9_10device_ptrIiEEEENSB_INSC_IjEEEESE_fNS9_4plusIvEENS9_8equal_toIvEEfEE10hipError_tPvRmT2_T3_T4_T5_mT6_T7_P12ihipStream_tbENKUlT_T0_E_clISt17integral_constantIbLb1EES11_EEDaSW_SX_EUlSW_E_NS1_11comp_targetILNS1_3genE10ELNS1_11target_archE1200ELNS1_3gpuE4ELNS1_3repE0EEENS1_30default_config_static_selectorELNS0_4arch9wavefront6targetE0EEEvT1_ ; -- Begin function _ZN7rocprim17ROCPRIM_400000_NS6detail17trampoline_kernelINS0_14default_configENS1_27scan_by_key_config_selectorIifEEZZNS1_16scan_by_key_implILNS1_25lookback_scan_determinismE0ELb1ES3_N6thrust23THRUST_200600_302600_NS6detail15normal_iteratorINS9_10device_ptrIiEEEENSB_INSC_IjEEEESE_fNS9_4plusIvEENS9_8equal_toIvEEfEE10hipError_tPvRmT2_T3_T4_T5_mT6_T7_P12ihipStream_tbENKUlT_T0_E_clISt17integral_constantIbLb1EES11_EEDaSW_SX_EUlSW_E_NS1_11comp_targetILNS1_3genE10ELNS1_11target_archE1200ELNS1_3gpuE4ELNS1_3repE0EEENS1_30default_config_static_selectorELNS0_4arch9wavefront6targetE0EEEvT1_
	.globl	_ZN7rocprim17ROCPRIM_400000_NS6detail17trampoline_kernelINS0_14default_configENS1_27scan_by_key_config_selectorIifEEZZNS1_16scan_by_key_implILNS1_25lookback_scan_determinismE0ELb1ES3_N6thrust23THRUST_200600_302600_NS6detail15normal_iteratorINS9_10device_ptrIiEEEENSB_INSC_IjEEEESE_fNS9_4plusIvEENS9_8equal_toIvEEfEE10hipError_tPvRmT2_T3_T4_T5_mT6_T7_P12ihipStream_tbENKUlT_T0_E_clISt17integral_constantIbLb1EES11_EEDaSW_SX_EUlSW_E_NS1_11comp_targetILNS1_3genE10ELNS1_11target_archE1200ELNS1_3gpuE4ELNS1_3repE0EEENS1_30default_config_static_selectorELNS0_4arch9wavefront6targetE0EEEvT1_
	.p2align	8
	.type	_ZN7rocprim17ROCPRIM_400000_NS6detail17trampoline_kernelINS0_14default_configENS1_27scan_by_key_config_selectorIifEEZZNS1_16scan_by_key_implILNS1_25lookback_scan_determinismE0ELb1ES3_N6thrust23THRUST_200600_302600_NS6detail15normal_iteratorINS9_10device_ptrIiEEEENSB_INSC_IjEEEESE_fNS9_4plusIvEENS9_8equal_toIvEEfEE10hipError_tPvRmT2_T3_T4_T5_mT6_T7_P12ihipStream_tbENKUlT_T0_E_clISt17integral_constantIbLb1EES11_EEDaSW_SX_EUlSW_E_NS1_11comp_targetILNS1_3genE10ELNS1_11target_archE1200ELNS1_3gpuE4ELNS1_3repE0EEENS1_30default_config_static_selectorELNS0_4arch9wavefront6targetE0EEEvT1_,@function
_ZN7rocprim17ROCPRIM_400000_NS6detail17trampoline_kernelINS0_14default_configENS1_27scan_by_key_config_selectorIifEEZZNS1_16scan_by_key_implILNS1_25lookback_scan_determinismE0ELb1ES3_N6thrust23THRUST_200600_302600_NS6detail15normal_iteratorINS9_10device_ptrIiEEEENSB_INSC_IjEEEESE_fNS9_4plusIvEENS9_8equal_toIvEEfEE10hipError_tPvRmT2_T3_T4_T5_mT6_T7_P12ihipStream_tbENKUlT_T0_E_clISt17integral_constantIbLb1EES11_EEDaSW_SX_EUlSW_E_NS1_11comp_targetILNS1_3genE10ELNS1_11target_archE1200ELNS1_3gpuE4ELNS1_3repE0EEENS1_30default_config_static_selectorELNS0_4arch9wavefront6targetE0EEEvT1_: ; @_ZN7rocprim17ROCPRIM_400000_NS6detail17trampoline_kernelINS0_14default_configENS1_27scan_by_key_config_selectorIifEEZZNS1_16scan_by_key_implILNS1_25lookback_scan_determinismE0ELb1ES3_N6thrust23THRUST_200600_302600_NS6detail15normal_iteratorINS9_10device_ptrIiEEEENSB_INSC_IjEEEESE_fNS9_4plusIvEENS9_8equal_toIvEEfEE10hipError_tPvRmT2_T3_T4_T5_mT6_T7_P12ihipStream_tbENKUlT_T0_E_clISt17integral_constantIbLb1EES11_EEDaSW_SX_EUlSW_E_NS1_11comp_targetILNS1_3genE10ELNS1_11target_archE1200ELNS1_3gpuE4ELNS1_3repE0EEENS1_30default_config_static_selectorELNS0_4arch9wavefront6targetE0EEEvT1_
; %bb.0:
	.section	.rodata,"a",@progbits
	.p2align	6, 0x0
	.amdhsa_kernel _ZN7rocprim17ROCPRIM_400000_NS6detail17trampoline_kernelINS0_14default_configENS1_27scan_by_key_config_selectorIifEEZZNS1_16scan_by_key_implILNS1_25lookback_scan_determinismE0ELb1ES3_N6thrust23THRUST_200600_302600_NS6detail15normal_iteratorINS9_10device_ptrIiEEEENSB_INSC_IjEEEESE_fNS9_4plusIvEENS9_8equal_toIvEEfEE10hipError_tPvRmT2_T3_T4_T5_mT6_T7_P12ihipStream_tbENKUlT_T0_E_clISt17integral_constantIbLb1EES11_EEDaSW_SX_EUlSW_E_NS1_11comp_targetILNS1_3genE10ELNS1_11target_archE1200ELNS1_3gpuE4ELNS1_3repE0EEENS1_30default_config_static_selectorELNS0_4arch9wavefront6targetE0EEEvT1_
		.amdhsa_group_segment_fixed_size 0
		.amdhsa_private_segment_fixed_size 0
		.amdhsa_kernarg_size 112
		.amdhsa_user_sgpr_count 6
		.amdhsa_user_sgpr_private_segment_buffer 1
		.amdhsa_user_sgpr_dispatch_ptr 0
		.amdhsa_user_sgpr_queue_ptr 0
		.amdhsa_user_sgpr_kernarg_segment_ptr 1
		.amdhsa_user_sgpr_dispatch_id 0
		.amdhsa_user_sgpr_flat_scratch_init 0
		.amdhsa_user_sgpr_private_segment_size 0
		.amdhsa_wavefront_size32 1
		.amdhsa_uses_dynamic_stack 0
		.amdhsa_system_sgpr_private_segment_wavefront_offset 0
		.amdhsa_system_sgpr_workgroup_id_x 1
		.amdhsa_system_sgpr_workgroup_id_y 0
		.amdhsa_system_sgpr_workgroup_id_z 0
		.amdhsa_system_sgpr_workgroup_info 0
		.amdhsa_system_vgpr_workitem_id 0
		.amdhsa_next_free_vgpr 1
		.amdhsa_next_free_sgpr 1
		.amdhsa_reserve_vcc 0
		.amdhsa_reserve_flat_scratch 0
		.amdhsa_float_round_mode_32 0
		.amdhsa_float_round_mode_16_64 0
		.amdhsa_float_denorm_mode_32 3
		.amdhsa_float_denorm_mode_16_64 3
		.amdhsa_dx10_clamp 1
		.amdhsa_ieee_mode 1
		.amdhsa_fp16_overflow 0
		.amdhsa_workgroup_processor_mode 1
		.amdhsa_memory_ordered 1
		.amdhsa_forward_progress 1
		.amdhsa_shared_vgpr_count 0
		.amdhsa_exception_fp_ieee_invalid_op 0
		.amdhsa_exception_fp_denorm_src 0
		.amdhsa_exception_fp_ieee_div_zero 0
		.amdhsa_exception_fp_ieee_overflow 0
		.amdhsa_exception_fp_ieee_underflow 0
		.amdhsa_exception_fp_ieee_inexact 0
		.amdhsa_exception_int_div_zero 0
	.end_amdhsa_kernel
	.section	.text._ZN7rocprim17ROCPRIM_400000_NS6detail17trampoline_kernelINS0_14default_configENS1_27scan_by_key_config_selectorIifEEZZNS1_16scan_by_key_implILNS1_25lookback_scan_determinismE0ELb1ES3_N6thrust23THRUST_200600_302600_NS6detail15normal_iteratorINS9_10device_ptrIiEEEENSB_INSC_IjEEEESE_fNS9_4plusIvEENS9_8equal_toIvEEfEE10hipError_tPvRmT2_T3_T4_T5_mT6_T7_P12ihipStream_tbENKUlT_T0_E_clISt17integral_constantIbLb1EES11_EEDaSW_SX_EUlSW_E_NS1_11comp_targetILNS1_3genE10ELNS1_11target_archE1200ELNS1_3gpuE4ELNS1_3repE0EEENS1_30default_config_static_selectorELNS0_4arch9wavefront6targetE0EEEvT1_,"axG",@progbits,_ZN7rocprim17ROCPRIM_400000_NS6detail17trampoline_kernelINS0_14default_configENS1_27scan_by_key_config_selectorIifEEZZNS1_16scan_by_key_implILNS1_25lookback_scan_determinismE0ELb1ES3_N6thrust23THRUST_200600_302600_NS6detail15normal_iteratorINS9_10device_ptrIiEEEENSB_INSC_IjEEEESE_fNS9_4plusIvEENS9_8equal_toIvEEfEE10hipError_tPvRmT2_T3_T4_T5_mT6_T7_P12ihipStream_tbENKUlT_T0_E_clISt17integral_constantIbLb1EES11_EEDaSW_SX_EUlSW_E_NS1_11comp_targetILNS1_3genE10ELNS1_11target_archE1200ELNS1_3gpuE4ELNS1_3repE0EEENS1_30default_config_static_selectorELNS0_4arch9wavefront6targetE0EEEvT1_,comdat
.Lfunc_end1803:
	.size	_ZN7rocprim17ROCPRIM_400000_NS6detail17trampoline_kernelINS0_14default_configENS1_27scan_by_key_config_selectorIifEEZZNS1_16scan_by_key_implILNS1_25lookback_scan_determinismE0ELb1ES3_N6thrust23THRUST_200600_302600_NS6detail15normal_iteratorINS9_10device_ptrIiEEEENSB_INSC_IjEEEESE_fNS9_4plusIvEENS9_8equal_toIvEEfEE10hipError_tPvRmT2_T3_T4_T5_mT6_T7_P12ihipStream_tbENKUlT_T0_E_clISt17integral_constantIbLb1EES11_EEDaSW_SX_EUlSW_E_NS1_11comp_targetILNS1_3genE10ELNS1_11target_archE1200ELNS1_3gpuE4ELNS1_3repE0EEENS1_30default_config_static_selectorELNS0_4arch9wavefront6targetE0EEEvT1_, .Lfunc_end1803-_ZN7rocprim17ROCPRIM_400000_NS6detail17trampoline_kernelINS0_14default_configENS1_27scan_by_key_config_selectorIifEEZZNS1_16scan_by_key_implILNS1_25lookback_scan_determinismE0ELb1ES3_N6thrust23THRUST_200600_302600_NS6detail15normal_iteratorINS9_10device_ptrIiEEEENSB_INSC_IjEEEESE_fNS9_4plusIvEENS9_8equal_toIvEEfEE10hipError_tPvRmT2_T3_T4_T5_mT6_T7_P12ihipStream_tbENKUlT_T0_E_clISt17integral_constantIbLb1EES11_EEDaSW_SX_EUlSW_E_NS1_11comp_targetILNS1_3genE10ELNS1_11target_archE1200ELNS1_3gpuE4ELNS1_3repE0EEENS1_30default_config_static_selectorELNS0_4arch9wavefront6targetE0EEEvT1_
                                        ; -- End function
	.set _ZN7rocprim17ROCPRIM_400000_NS6detail17trampoline_kernelINS0_14default_configENS1_27scan_by_key_config_selectorIifEEZZNS1_16scan_by_key_implILNS1_25lookback_scan_determinismE0ELb1ES3_N6thrust23THRUST_200600_302600_NS6detail15normal_iteratorINS9_10device_ptrIiEEEENSB_INSC_IjEEEESE_fNS9_4plusIvEENS9_8equal_toIvEEfEE10hipError_tPvRmT2_T3_T4_T5_mT6_T7_P12ihipStream_tbENKUlT_T0_E_clISt17integral_constantIbLb1EES11_EEDaSW_SX_EUlSW_E_NS1_11comp_targetILNS1_3genE10ELNS1_11target_archE1200ELNS1_3gpuE4ELNS1_3repE0EEENS1_30default_config_static_selectorELNS0_4arch9wavefront6targetE0EEEvT1_.num_vgpr, 0
	.set _ZN7rocprim17ROCPRIM_400000_NS6detail17trampoline_kernelINS0_14default_configENS1_27scan_by_key_config_selectorIifEEZZNS1_16scan_by_key_implILNS1_25lookback_scan_determinismE0ELb1ES3_N6thrust23THRUST_200600_302600_NS6detail15normal_iteratorINS9_10device_ptrIiEEEENSB_INSC_IjEEEESE_fNS9_4plusIvEENS9_8equal_toIvEEfEE10hipError_tPvRmT2_T3_T4_T5_mT6_T7_P12ihipStream_tbENKUlT_T0_E_clISt17integral_constantIbLb1EES11_EEDaSW_SX_EUlSW_E_NS1_11comp_targetILNS1_3genE10ELNS1_11target_archE1200ELNS1_3gpuE4ELNS1_3repE0EEENS1_30default_config_static_selectorELNS0_4arch9wavefront6targetE0EEEvT1_.num_agpr, 0
	.set _ZN7rocprim17ROCPRIM_400000_NS6detail17trampoline_kernelINS0_14default_configENS1_27scan_by_key_config_selectorIifEEZZNS1_16scan_by_key_implILNS1_25lookback_scan_determinismE0ELb1ES3_N6thrust23THRUST_200600_302600_NS6detail15normal_iteratorINS9_10device_ptrIiEEEENSB_INSC_IjEEEESE_fNS9_4plusIvEENS9_8equal_toIvEEfEE10hipError_tPvRmT2_T3_T4_T5_mT6_T7_P12ihipStream_tbENKUlT_T0_E_clISt17integral_constantIbLb1EES11_EEDaSW_SX_EUlSW_E_NS1_11comp_targetILNS1_3genE10ELNS1_11target_archE1200ELNS1_3gpuE4ELNS1_3repE0EEENS1_30default_config_static_selectorELNS0_4arch9wavefront6targetE0EEEvT1_.numbered_sgpr, 0
	.set _ZN7rocprim17ROCPRIM_400000_NS6detail17trampoline_kernelINS0_14default_configENS1_27scan_by_key_config_selectorIifEEZZNS1_16scan_by_key_implILNS1_25lookback_scan_determinismE0ELb1ES3_N6thrust23THRUST_200600_302600_NS6detail15normal_iteratorINS9_10device_ptrIiEEEENSB_INSC_IjEEEESE_fNS9_4plusIvEENS9_8equal_toIvEEfEE10hipError_tPvRmT2_T3_T4_T5_mT6_T7_P12ihipStream_tbENKUlT_T0_E_clISt17integral_constantIbLb1EES11_EEDaSW_SX_EUlSW_E_NS1_11comp_targetILNS1_3genE10ELNS1_11target_archE1200ELNS1_3gpuE4ELNS1_3repE0EEENS1_30default_config_static_selectorELNS0_4arch9wavefront6targetE0EEEvT1_.num_named_barrier, 0
	.set _ZN7rocprim17ROCPRIM_400000_NS6detail17trampoline_kernelINS0_14default_configENS1_27scan_by_key_config_selectorIifEEZZNS1_16scan_by_key_implILNS1_25lookback_scan_determinismE0ELb1ES3_N6thrust23THRUST_200600_302600_NS6detail15normal_iteratorINS9_10device_ptrIiEEEENSB_INSC_IjEEEESE_fNS9_4plusIvEENS9_8equal_toIvEEfEE10hipError_tPvRmT2_T3_T4_T5_mT6_T7_P12ihipStream_tbENKUlT_T0_E_clISt17integral_constantIbLb1EES11_EEDaSW_SX_EUlSW_E_NS1_11comp_targetILNS1_3genE10ELNS1_11target_archE1200ELNS1_3gpuE4ELNS1_3repE0EEENS1_30default_config_static_selectorELNS0_4arch9wavefront6targetE0EEEvT1_.private_seg_size, 0
	.set _ZN7rocprim17ROCPRIM_400000_NS6detail17trampoline_kernelINS0_14default_configENS1_27scan_by_key_config_selectorIifEEZZNS1_16scan_by_key_implILNS1_25lookback_scan_determinismE0ELb1ES3_N6thrust23THRUST_200600_302600_NS6detail15normal_iteratorINS9_10device_ptrIiEEEENSB_INSC_IjEEEESE_fNS9_4plusIvEENS9_8equal_toIvEEfEE10hipError_tPvRmT2_T3_T4_T5_mT6_T7_P12ihipStream_tbENKUlT_T0_E_clISt17integral_constantIbLb1EES11_EEDaSW_SX_EUlSW_E_NS1_11comp_targetILNS1_3genE10ELNS1_11target_archE1200ELNS1_3gpuE4ELNS1_3repE0EEENS1_30default_config_static_selectorELNS0_4arch9wavefront6targetE0EEEvT1_.uses_vcc, 0
	.set _ZN7rocprim17ROCPRIM_400000_NS6detail17trampoline_kernelINS0_14default_configENS1_27scan_by_key_config_selectorIifEEZZNS1_16scan_by_key_implILNS1_25lookback_scan_determinismE0ELb1ES3_N6thrust23THRUST_200600_302600_NS6detail15normal_iteratorINS9_10device_ptrIiEEEENSB_INSC_IjEEEESE_fNS9_4plusIvEENS9_8equal_toIvEEfEE10hipError_tPvRmT2_T3_T4_T5_mT6_T7_P12ihipStream_tbENKUlT_T0_E_clISt17integral_constantIbLb1EES11_EEDaSW_SX_EUlSW_E_NS1_11comp_targetILNS1_3genE10ELNS1_11target_archE1200ELNS1_3gpuE4ELNS1_3repE0EEENS1_30default_config_static_selectorELNS0_4arch9wavefront6targetE0EEEvT1_.uses_flat_scratch, 0
	.set _ZN7rocprim17ROCPRIM_400000_NS6detail17trampoline_kernelINS0_14default_configENS1_27scan_by_key_config_selectorIifEEZZNS1_16scan_by_key_implILNS1_25lookback_scan_determinismE0ELb1ES3_N6thrust23THRUST_200600_302600_NS6detail15normal_iteratorINS9_10device_ptrIiEEEENSB_INSC_IjEEEESE_fNS9_4plusIvEENS9_8equal_toIvEEfEE10hipError_tPvRmT2_T3_T4_T5_mT6_T7_P12ihipStream_tbENKUlT_T0_E_clISt17integral_constantIbLb1EES11_EEDaSW_SX_EUlSW_E_NS1_11comp_targetILNS1_3genE10ELNS1_11target_archE1200ELNS1_3gpuE4ELNS1_3repE0EEENS1_30default_config_static_selectorELNS0_4arch9wavefront6targetE0EEEvT1_.has_dyn_sized_stack, 0
	.set _ZN7rocprim17ROCPRIM_400000_NS6detail17trampoline_kernelINS0_14default_configENS1_27scan_by_key_config_selectorIifEEZZNS1_16scan_by_key_implILNS1_25lookback_scan_determinismE0ELb1ES3_N6thrust23THRUST_200600_302600_NS6detail15normal_iteratorINS9_10device_ptrIiEEEENSB_INSC_IjEEEESE_fNS9_4plusIvEENS9_8equal_toIvEEfEE10hipError_tPvRmT2_T3_T4_T5_mT6_T7_P12ihipStream_tbENKUlT_T0_E_clISt17integral_constantIbLb1EES11_EEDaSW_SX_EUlSW_E_NS1_11comp_targetILNS1_3genE10ELNS1_11target_archE1200ELNS1_3gpuE4ELNS1_3repE0EEENS1_30default_config_static_selectorELNS0_4arch9wavefront6targetE0EEEvT1_.has_recursion, 0
	.set _ZN7rocprim17ROCPRIM_400000_NS6detail17trampoline_kernelINS0_14default_configENS1_27scan_by_key_config_selectorIifEEZZNS1_16scan_by_key_implILNS1_25lookback_scan_determinismE0ELb1ES3_N6thrust23THRUST_200600_302600_NS6detail15normal_iteratorINS9_10device_ptrIiEEEENSB_INSC_IjEEEESE_fNS9_4plusIvEENS9_8equal_toIvEEfEE10hipError_tPvRmT2_T3_T4_T5_mT6_T7_P12ihipStream_tbENKUlT_T0_E_clISt17integral_constantIbLb1EES11_EEDaSW_SX_EUlSW_E_NS1_11comp_targetILNS1_3genE10ELNS1_11target_archE1200ELNS1_3gpuE4ELNS1_3repE0EEENS1_30default_config_static_selectorELNS0_4arch9wavefront6targetE0EEEvT1_.has_indirect_call, 0
	.section	.AMDGPU.csdata,"",@progbits
; Kernel info:
; codeLenInByte = 0
; TotalNumSgprs: 0
; NumVgprs: 0
; ScratchSize: 0
; MemoryBound: 0
; FloatMode: 240
; IeeeMode: 1
; LDSByteSize: 0 bytes/workgroup (compile time only)
; SGPRBlocks: 0
; VGPRBlocks: 0
; NumSGPRsForWavesPerEU: 1
; NumVGPRsForWavesPerEU: 1
; Occupancy: 16
; WaveLimiterHint : 0
; COMPUTE_PGM_RSRC2:SCRATCH_EN: 0
; COMPUTE_PGM_RSRC2:USER_SGPR: 6
; COMPUTE_PGM_RSRC2:TRAP_HANDLER: 0
; COMPUTE_PGM_RSRC2:TGID_X_EN: 1
; COMPUTE_PGM_RSRC2:TGID_Y_EN: 0
; COMPUTE_PGM_RSRC2:TGID_Z_EN: 0
; COMPUTE_PGM_RSRC2:TIDIG_COMP_CNT: 0
	.section	.text._ZN7rocprim17ROCPRIM_400000_NS6detail17trampoline_kernelINS0_14default_configENS1_27scan_by_key_config_selectorIifEEZZNS1_16scan_by_key_implILNS1_25lookback_scan_determinismE0ELb1ES3_N6thrust23THRUST_200600_302600_NS6detail15normal_iteratorINS9_10device_ptrIiEEEENSB_INSC_IjEEEESE_fNS9_4plusIvEENS9_8equal_toIvEEfEE10hipError_tPvRmT2_T3_T4_T5_mT6_T7_P12ihipStream_tbENKUlT_T0_E_clISt17integral_constantIbLb1EES11_EEDaSW_SX_EUlSW_E_NS1_11comp_targetILNS1_3genE9ELNS1_11target_archE1100ELNS1_3gpuE3ELNS1_3repE0EEENS1_30default_config_static_selectorELNS0_4arch9wavefront6targetE0EEEvT1_,"axG",@progbits,_ZN7rocprim17ROCPRIM_400000_NS6detail17trampoline_kernelINS0_14default_configENS1_27scan_by_key_config_selectorIifEEZZNS1_16scan_by_key_implILNS1_25lookback_scan_determinismE0ELb1ES3_N6thrust23THRUST_200600_302600_NS6detail15normal_iteratorINS9_10device_ptrIiEEEENSB_INSC_IjEEEESE_fNS9_4plusIvEENS9_8equal_toIvEEfEE10hipError_tPvRmT2_T3_T4_T5_mT6_T7_P12ihipStream_tbENKUlT_T0_E_clISt17integral_constantIbLb1EES11_EEDaSW_SX_EUlSW_E_NS1_11comp_targetILNS1_3genE9ELNS1_11target_archE1100ELNS1_3gpuE3ELNS1_3repE0EEENS1_30default_config_static_selectorELNS0_4arch9wavefront6targetE0EEEvT1_,comdat
	.protected	_ZN7rocprim17ROCPRIM_400000_NS6detail17trampoline_kernelINS0_14default_configENS1_27scan_by_key_config_selectorIifEEZZNS1_16scan_by_key_implILNS1_25lookback_scan_determinismE0ELb1ES3_N6thrust23THRUST_200600_302600_NS6detail15normal_iteratorINS9_10device_ptrIiEEEENSB_INSC_IjEEEESE_fNS9_4plusIvEENS9_8equal_toIvEEfEE10hipError_tPvRmT2_T3_T4_T5_mT6_T7_P12ihipStream_tbENKUlT_T0_E_clISt17integral_constantIbLb1EES11_EEDaSW_SX_EUlSW_E_NS1_11comp_targetILNS1_3genE9ELNS1_11target_archE1100ELNS1_3gpuE3ELNS1_3repE0EEENS1_30default_config_static_selectorELNS0_4arch9wavefront6targetE0EEEvT1_ ; -- Begin function _ZN7rocprim17ROCPRIM_400000_NS6detail17trampoline_kernelINS0_14default_configENS1_27scan_by_key_config_selectorIifEEZZNS1_16scan_by_key_implILNS1_25lookback_scan_determinismE0ELb1ES3_N6thrust23THRUST_200600_302600_NS6detail15normal_iteratorINS9_10device_ptrIiEEEENSB_INSC_IjEEEESE_fNS9_4plusIvEENS9_8equal_toIvEEfEE10hipError_tPvRmT2_T3_T4_T5_mT6_T7_P12ihipStream_tbENKUlT_T0_E_clISt17integral_constantIbLb1EES11_EEDaSW_SX_EUlSW_E_NS1_11comp_targetILNS1_3genE9ELNS1_11target_archE1100ELNS1_3gpuE3ELNS1_3repE0EEENS1_30default_config_static_selectorELNS0_4arch9wavefront6targetE0EEEvT1_
	.globl	_ZN7rocprim17ROCPRIM_400000_NS6detail17trampoline_kernelINS0_14default_configENS1_27scan_by_key_config_selectorIifEEZZNS1_16scan_by_key_implILNS1_25lookback_scan_determinismE0ELb1ES3_N6thrust23THRUST_200600_302600_NS6detail15normal_iteratorINS9_10device_ptrIiEEEENSB_INSC_IjEEEESE_fNS9_4plusIvEENS9_8equal_toIvEEfEE10hipError_tPvRmT2_T3_T4_T5_mT6_T7_P12ihipStream_tbENKUlT_T0_E_clISt17integral_constantIbLb1EES11_EEDaSW_SX_EUlSW_E_NS1_11comp_targetILNS1_3genE9ELNS1_11target_archE1100ELNS1_3gpuE3ELNS1_3repE0EEENS1_30default_config_static_selectorELNS0_4arch9wavefront6targetE0EEEvT1_
	.p2align	8
	.type	_ZN7rocprim17ROCPRIM_400000_NS6detail17trampoline_kernelINS0_14default_configENS1_27scan_by_key_config_selectorIifEEZZNS1_16scan_by_key_implILNS1_25lookback_scan_determinismE0ELb1ES3_N6thrust23THRUST_200600_302600_NS6detail15normal_iteratorINS9_10device_ptrIiEEEENSB_INSC_IjEEEESE_fNS9_4plusIvEENS9_8equal_toIvEEfEE10hipError_tPvRmT2_T3_T4_T5_mT6_T7_P12ihipStream_tbENKUlT_T0_E_clISt17integral_constantIbLb1EES11_EEDaSW_SX_EUlSW_E_NS1_11comp_targetILNS1_3genE9ELNS1_11target_archE1100ELNS1_3gpuE3ELNS1_3repE0EEENS1_30default_config_static_selectorELNS0_4arch9wavefront6targetE0EEEvT1_,@function
_ZN7rocprim17ROCPRIM_400000_NS6detail17trampoline_kernelINS0_14default_configENS1_27scan_by_key_config_selectorIifEEZZNS1_16scan_by_key_implILNS1_25lookback_scan_determinismE0ELb1ES3_N6thrust23THRUST_200600_302600_NS6detail15normal_iteratorINS9_10device_ptrIiEEEENSB_INSC_IjEEEESE_fNS9_4plusIvEENS9_8equal_toIvEEfEE10hipError_tPvRmT2_T3_T4_T5_mT6_T7_P12ihipStream_tbENKUlT_T0_E_clISt17integral_constantIbLb1EES11_EEDaSW_SX_EUlSW_E_NS1_11comp_targetILNS1_3genE9ELNS1_11target_archE1100ELNS1_3gpuE3ELNS1_3repE0EEENS1_30default_config_static_selectorELNS0_4arch9wavefront6targetE0EEEvT1_: ; @_ZN7rocprim17ROCPRIM_400000_NS6detail17trampoline_kernelINS0_14default_configENS1_27scan_by_key_config_selectorIifEEZZNS1_16scan_by_key_implILNS1_25lookback_scan_determinismE0ELb1ES3_N6thrust23THRUST_200600_302600_NS6detail15normal_iteratorINS9_10device_ptrIiEEEENSB_INSC_IjEEEESE_fNS9_4plusIvEENS9_8equal_toIvEEfEE10hipError_tPvRmT2_T3_T4_T5_mT6_T7_P12ihipStream_tbENKUlT_T0_E_clISt17integral_constantIbLb1EES11_EEDaSW_SX_EUlSW_E_NS1_11comp_targetILNS1_3genE9ELNS1_11target_archE1100ELNS1_3gpuE3ELNS1_3repE0EEENS1_30default_config_static_selectorELNS0_4arch9wavefront6targetE0EEEvT1_
; %bb.0:
	.section	.rodata,"a",@progbits
	.p2align	6, 0x0
	.amdhsa_kernel _ZN7rocprim17ROCPRIM_400000_NS6detail17trampoline_kernelINS0_14default_configENS1_27scan_by_key_config_selectorIifEEZZNS1_16scan_by_key_implILNS1_25lookback_scan_determinismE0ELb1ES3_N6thrust23THRUST_200600_302600_NS6detail15normal_iteratorINS9_10device_ptrIiEEEENSB_INSC_IjEEEESE_fNS9_4plusIvEENS9_8equal_toIvEEfEE10hipError_tPvRmT2_T3_T4_T5_mT6_T7_P12ihipStream_tbENKUlT_T0_E_clISt17integral_constantIbLb1EES11_EEDaSW_SX_EUlSW_E_NS1_11comp_targetILNS1_3genE9ELNS1_11target_archE1100ELNS1_3gpuE3ELNS1_3repE0EEENS1_30default_config_static_selectorELNS0_4arch9wavefront6targetE0EEEvT1_
		.amdhsa_group_segment_fixed_size 0
		.amdhsa_private_segment_fixed_size 0
		.amdhsa_kernarg_size 112
		.amdhsa_user_sgpr_count 6
		.amdhsa_user_sgpr_private_segment_buffer 1
		.amdhsa_user_sgpr_dispatch_ptr 0
		.amdhsa_user_sgpr_queue_ptr 0
		.amdhsa_user_sgpr_kernarg_segment_ptr 1
		.amdhsa_user_sgpr_dispatch_id 0
		.amdhsa_user_sgpr_flat_scratch_init 0
		.amdhsa_user_sgpr_private_segment_size 0
		.amdhsa_wavefront_size32 1
		.amdhsa_uses_dynamic_stack 0
		.amdhsa_system_sgpr_private_segment_wavefront_offset 0
		.amdhsa_system_sgpr_workgroup_id_x 1
		.amdhsa_system_sgpr_workgroup_id_y 0
		.amdhsa_system_sgpr_workgroup_id_z 0
		.amdhsa_system_sgpr_workgroup_info 0
		.amdhsa_system_vgpr_workitem_id 0
		.amdhsa_next_free_vgpr 1
		.amdhsa_next_free_sgpr 1
		.amdhsa_reserve_vcc 0
		.amdhsa_reserve_flat_scratch 0
		.amdhsa_float_round_mode_32 0
		.amdhsa_float_round_mode_16_64 0
		.amdhsa_float_denorm_mode_32 3
		.amdhsa_float_denorm_mode_16_64 3
		.amdhsa_dx10_clamp 1
		.amdhsa_ieee_mode 1
		.amdhsa_fp16_overflow 0
		.amdhsa_workgroup_processor_mode 1
		.amdhsa_memory_ordered 1
		.amdhsa_forward_progress 1
		.amdhsa_shared_vgpr_count 0
		.amdhsa_exception_fp_ieee_invalid_op 0
		.amdhsa_exception_fp_denorm_src 0
		.amdhsa_exception_fp_ieee_div_zero 0
		.amdhsa_exception_fp_ieee_overflow 0
		.amdhsa_exception_fp_ieee_underflow 0
		.amdhsa_exception_fp_ieee_inexact 0
		.amdhsa_exception_int_div_zero 0
	.end_amdhsa_kernel
	.section	.text._ZN7rocprim17ROCPRIM_400000_NS6detail17trampoline_kernelINS0_14default_configENS1_27scan_by_key_config_selectorIifEEZZNS1_16scan_by_key_implILNS1_25lookback_scan_determinismE0ELb1ES3_N6thrust23THRUST_200600_302600_NS6detail15normal_iteratorINS9_10device_ptrIiEEEENSB_INSC_IjEEEESE_fNS9_4plusIvEENS9_8equal_toIvEEfEE10hipError_tPvRmT2_T3_T4_T5_mT6_T7_P12ihipStream_tbENKUlT_T0_E_clISt17integral_constantIbLb1EES11_EEDaSW_SX_EUlSW_E_NS1_11comp_targetILNS1_3genE9ELNS1_11target_archE1100ELNS1_3gpuE3ELNS1_3repE0EEENS1_30default_config_static_selectorELNS0_4arch9wavefront6targetE0EEEvT1_,"axG",@progbits,_ZN7rocprim17ROCPRIM_400000_NS6detail17trampoline_kernelINS0_14default_configENS1_27scan_by_key_config_selectorIifEEZZNS1_16scan_by_key_implILNS1_25lookback_scan_determinismE0ELb1ES3_N6thrust23THRUST_200600_302600_NS6detail15normal_iteratorINS9_10device_ptrIiEEEENSB_INSC_IjEEEESE_fNS9_4plusIvEENS9_8equal_toIvEEfEE10hipError_tPvRmT2_T3_T4_T5_mT6_T7_P12ihipStream_tbENKUlT_T0_E_clISt17integral_constantIbLb1EES11_EEDaSW_SX_EUlSW_E_NS1_11comp_targetILNS1_3genE9ELNS1_11target_archE1100ELNS1_3gpuE3ELNS1_3repE0EEENS1_30default_config_static_selectorELNS0_4arch9wavefront6targetE0EEEvT1_,comdat
.Lfunc_end1804:
	.size	_ZN7rocprim17ROCPRIM_400000_NS6detail17trampoline_kernelINS0_14default_configENS1_27scan_by_key_config_selectorIifEEZZNS1_16scan_by_key_implILNS1_25lookback_scan_determinismE0ELb1ES3_N6thrust23THRUST_200600_302600_NS6detail15normal_iteratorINS9_10device_ptrIiEEEENSB_INSC_IjEEEESE_fNS9_4plusIvEENS9_8equal_toIvEEfEE10hipError_tPvRmT2_T3_T4_T5_mT6_T7_P12ihipStream_tbENKUlT_T0_E_clISt17integral_constantIbLb1EES11_EEDaSW_SX_EUlSW_E_NS1_11comp_targetILNS1_3genE9ELNS1_11target_archE1100ELNS1_3gpuE3ELNS1_3repE0EEENS1_30default_config_static_selectorELNS0_4arch9wavefront6targetE0EEEvT1_, .Lfunc_end1804-_ZN7rocprim17ROCPRIM_400000_NS6detail17trampoline_kernelINS0_14default_configENS1_27scan_by_key_config_selectorIifEEZZNS1_16scan_by_key_implILNS1_25lookback_scan_determinismE0ELb1ES3_N6thrust23THRUST_200600_302600_NS6detail15normal_iteratorINS9_10device_ptrIiEEEENSB_INSC_IjEEEESE_fNS9_4plusIvEENS9_8equal_toIvEEfEE10hipError_tPvRmT2_T3_T4_T5_mT6_T7_P12ihipStream_tbENKUlT_T0_E_clISt17integral_constantIbLb1EES11_EEDaSW_SX_EUlSW_E_NS1_11comp_targetILNS1_3genE9ELNS1_11target_archE1100ELNS1_3gpuE3ELNS1_3repE0EEENS1_30default_config_static_selectorELNS0_4arch9wavefront6targetE0EEEvT1_
                                        ; -- End function
	.set _ZN7rocprim17ROCPRIM_400000_NS6detail17trampoline_kernelINS0_14default_configENS1_27scan_by_key_config_selectorIifEEZZNS1_16scan_by_key_implILNS1_25lookback_scan_determinismE0ELb1ES3_N6thrust23THRUST_200600_302600_NS6detail15normal_iteratorINS9_10device_ptrIiEEEENSB_INSC_IjEEEESE_fNS9_4plusIvEENS9_8equal_toIvEEfEE10hipError_tPvRmT2_T3_T4_T5_mT6_T7_P12ihipStream_tbENKUlT_T0_E_clISt17integral_constantIbLb1EES11_EEDaSW_SX_EUlSW_E_NS1_11comp_targetILNS1_3genE9ELNS1_11target_archE1100ELNS1_3gpuE3ELNS1_3repE0EEENS1_30default_config_static_selectorELNS0_4arch9wavefront6targetE0EEEvT1_.num_vgpr, 0
	.set _ZN7rocprim17ROCPRIM_400000_NS6detail17trampoline_kernelINS0_14default_configENS1_27scan_by_key_config_selectorIifEEZZNS1_16scan_by_key_implILNS1_25lookback_scan_determinismE0ELb1ES3_N6thrust23THRUST_200600_302600_NS6detail15normal_iteratorINS9_10device_ptrIiEEEENSB_INSC_IjEEEESE_fNS9_4plusIvEENS9_8equal_toIvEEfEE10hipError_tPvRmT2_T3_T4_T5_mT6_T7_P12ihipStream_tbENKUlT_T0_E_clISt17integral_constantIbLb1EES11_EEDaSW_SX_EUlSW_E_NS1_11comp_targetILNS1_3genE9ELNS1_11target_archE1100ELNS1_3gpuE3ELNS1_3repE0EEENS1_30default_config_static_selectorELNS0_4arch9wavefront6targetE0EEEvT1_.num_agpr, 0
	.set _ZN7rocprim17ROCPRIM_400000_NS6detail17trampoline_kernelINS0_14default_configENS1_27scan_by_key_config_selectorIifEEZZNS1_16scan_by_key_implILNS1_25lookback_scan_determinismE0ELb1ES3_N6thrust23THRUST_200600_302600_NS6detail15normal_iteratorINS9_10device_ptrIiEEEENSB_INSC_IjEEEESE_fNS9_4plusIvEENS9_8equal_toIvEEfEE10hipError_tPvRmT2_T3_T4_T5_mT6_T7_P12ihipStream_tbENKUlT_T0_E_clISt17integral_constantIbLb1EES11_EEDaSW_SX_EUlSW_E_NS1_11comp_targetILNS1_3genE9ELNS1_11target_archE1100ELNS1_3gpuE3ELNS1_3repE0EEENS1_30default_config_static_selectorELNS0_4arch9wavefront6targetE0EEEvT1_.numbered_sgpr, 0
	.set _ZN7rocprim17ROCPRIM_400000_NS6detail17trampoline_kernelINS0_14default_configENS1_27scan_by_key_config_selectorIifEEZZNS1_16scan_by_key_implILNS1_25lookback_scan_determinismE0ELb1ES3_N6thrust23THRUST_200600_302600_NS6detail15normal_iteratorINS9_10device_ptrIiEEEENSB_INSC_IjEEEESE_fNS9_4plusIvEENS9_8equal_toIvEEfEE10hipError_tPvRmT2_T3_T4_T5_mT6_T7_P12ihipStream_tbENKUlT_T0_E_clISt17integral_constantIbLb1EES11_EEDaSW_SX_EUlSW_E_NS1_11comp_targetILNS1_3genE9ELNS1_11target_archE1100ELNS1_3gpuE3ELNS1_3repE0EEENS1_30default_config_static_selectorELNS0_4arch9wavefront6targetE0EEEvT1_.num_named_barrier, 0
	.set _ZN7rocprim17ROCPRIM_400000_NS6detail17trampoline_kernelINS0_14default_configENS1_27scan_by_key_config_selectorIifEEZZNS1_16scan_by_key_implILNS1_25lookback_scan_determinismE0ELb1ES3_N6thrust23THRUST_200600_302600_NS6detail15normal_iteratorINS9_10device_ptrIiEEEENSB_INSC_IjEEEESE_fNS9_4plusIvEENS9_8equal_toIvEEfEE10hipError_tPvRmT2_T3_T4_T5_mT6_T7_P12ihipStream_tbENKUlT_T0_E_clISt17integral_constantIbLb1EES11_EEDaSW_SX_EUlSW_E_NS1_11comp_targetILNS1_3genE9ELNS1_11target_archE1100ELNS1_3gpuE3ELNS1_3repE0EEENS1_30default_config_static_selectorELNS0_4arch9wavefront6targetE0EEEvT1_.private_seg_size, 0
	.set _ZN7rocprim17ROCPRIM_400000_NS6detail17trampoline_kernelINS0_14default_configENS1_27scan_by_key_config_selectorIifEEZZNS1_16scan_by_key_implILNS1_25lookback_scan_determinismE0ELb1ES3_N6thrust23THRUST_200600_302600_NS6detail15normal_iteratorINS9_10device_ptrIiEEEENSB_INSC_IjEEEESE_fNS9_4plusIvEENS9_8equal_toIvEEfEE10hipError_tPvRmT2_T3_T4_T5_mT6_T7_P12ihipStream_tbENKUlT_T0_E_clISt17integral_constantIbLb1EES11_EEDaSW_SX_EUlSW_E_NS1_11comp_targetILNS1_3genE9ELNS1_11target_archE1100ELNS1_3gpuE3ELNS1_3repE0EEENS1_30default_config_static_selectorELNS0_4arch9wavefront6targetE0EEEvT1_.uses_vcc, 0
	.set _ZN7rocprim17ROCPRIM_400000_NS6detail17trampoline_kernelINS0_14default_configENS1_27scan_by_key_config_selectorIifEEZZNS1_16scan_by_key_implILNS1_25lookback_scan_determinismE0ELb1ES3_N6thrust23THRUST_200600_302600_NS6detail15normal_iteratorINS9_10device_ptrIiEEEENSB_INSC_IjEEEESE_fNS9_4plusIvEENS9_8equal_toIvEEfEE10hipError_tPvRmT2_T3_T4_T5_mT6_T7_P12ihipStream_tbENKUlT_T0_E_clISt17integral_constantIbLb1EES11_EEDaSW_SX_EUlSW_E_NS1_11comp_targetILNS1_3genE9ELNS1_11target_archE1100ELNS1_3gpuE3ELNS1_3repE0EEENS1_30default_config_static_selectorELNS0_4arch9wavefront6targetE0EEEvT1_.uses_flat_scratch, 0
	.set _ZN7rocprim17ROCPRIM_400000_NS6detail17trampoline_kernelINS0_14default_configENS1_27scan_by_key_config_selectorIifEEZZNS1_16scan_by_key_implILNS1_25lookback_scan_determinismE0ELb1ES3_N6thrust23THRUST_200600_302600_NS6detail15normal_iteratorINS9_10device_ptrIiEEEENSB_INSC_IjEEEESE_fNS9_4plusIvEENS9_8equal_toIvEEfEE10hipError_tPvRmT2_T3_T4_T5_mT6_T7_P12ihipStream_tbENKUlT_T0_E_clISt17integral_constantIbLb1EES11_EEDaSW_SX_EUlSW_E_NS1_11comp_targetILNS1_3genE9ELNS1_11target_archE1100ELNS1_3gpuE3ELNS1_3repE0EEENS1_30default_config_static_selectorELNS0_4arch9wavefront6targetE0EEEvT1_.has_dyn_sized_stack, 0
	.set _ZN7rocprim17ROCPRIM_400000_NS6detail17trampoline_kernelINS0_14default_configENS1_27scan_by_key_config_selectorIifEEZZNS1_16scan_by_key_implILNS1_25lookback_scan_determinismE0ELb1ES3_N6thrust23THRUST_200600_302600_NS6detail15normal_iteratorINS9_10device_ptrIiEEEENSB_INSC_IjEEEESE_fNS9_4plusIvEENS9_8equal_toIvEEfEE10hipError_tPvRmT2_T3_T4_T5_mT6_T7_P12ihipStream_tbENKUlT_T0_E_clISt17integral_constantIbLb1EES11_EEDaSW_SX_EUlSW_E_NS1_11comp_targetILNS1_3genE9ELNS1_11target_archE1100ELNS1_3gpuE3ELNS1_3repE0EEENS1_30default_config_static_selectorELNS0_4arch9wavefront6targetE0EEEvT1_.has_recursion, 0
	.set _ZN7rocprim17ROCPRIM_400000_NS6detail17trampoline_kernelINS0_14default_configENS1_27scan_by_key_config_selectorIifEEZZNS1_16scan_by_key_implILNS1_25lookback_scan_determinismE0ELb1ES3_N6thrust23THRUST_200600_302600_NS6detail15normal_iteratorINS9_10device_ptrIiEEEENSB_INSC_IjEEEESE_fNS9_4plusIvEENS9_8equal_toIvEEfEE10hipError_tPvRmT2_T3_T4_T5_mT6_T7_P12ihipStream_tbENKUlT_T0_E_clISt17integral_constantIbLb1EES11_EEDaSW_SX_EUlSW_E_NS1_11comp_targetILNS1_3genE9ELNS1_11target_archE1100ELNS1_3gpuE3ELNS1_3repE0EEENS1_30default_config_static_selectorELNS0_4arch9wavefront6targetE0EEEvT1_.has_indirect_call, 0
	.section	.AMDGPU.csdata,"",@progbits
; Kernel info:
; codeLenInByte = 0
; TotalNumSgprs: 0
; NumVgprs: 0
; ScratchSize: 0
; MemoryBound: 0
; FloatMode: 240
; IeeeMode: 1
; LDSByteSize: 0 bytes/workgroup (compile time only)
; SGPRBlocks: 0
; VGPRBlocks: 0
; NumSGPRsForWavesPerEU: 1
; NumVGPRsForWavesPerEU: 1
; Occupancy: 16
; WaveLimiterHint : 0
; COMPUTE_PGM_RSRC2:SCRATCH_EN: 0
; COMPUTE_PGM_RSRC2:USER_SGPR: 6
; COMPUTE_PGM_RSRC2:TRAP_HANDLER: 0
; COMPUTE_PGM_RSRC2:TGID_X_EN: 1
; COMPUTE_PGM_RSRC2:TGID_Y_EN: 0
; COMPUTE_PGM_RSRC2:TGID_Z_EN: 0
; COMPUTE_PGM_RSRC2:TIDIG_COMP_CNT: 0
	.section	.text._ZN7rocprim17ROCPRIM_400000_NS6detail17trampoline_kernelINS0_14default_configENS1_27scan_by_key_config_selectorIifEEZZNS1_16scan_by_key_implILNS1_25lookback_scan_determinismE0ELb1ES3_N6thrust23THRUST_200600_302600_NS6detail15normal_iteratorINS9_10device_ptrIiEEEENSB_INSC_IjEEEESE_fNS9_4plusIvEENS9_8equal_toIvEEfEE10hipError_tPvRmT2_T3_T4_T5_mT6_T7_P12ihipStream_tbENKUlT_T0_E_clISt17integral_constantIbLb1EES11_EEDaSW_SX_EUlSW_E_NS1_11comp_targetILNS1_3genE8ELNS1_11target_archE1030ELNS1_3gpuE2ELNS1_3repE0EEENS1_30default_config_static_selectorELNS0_4arch9wavefront6targetE0EEEvT1_,"axG",@progbits,_ZN7rocprim17ROCPRIM_400000_NS6detail17trampoline_kernelINS0_14default_configENS1_27scan_by_key_config_selectorIifEEZZNS1_16scan_by_key_implILNS1_25lookback_scan_determinismE0ELb1ES3_N6thrust23THRUST_200600_302600_NS6detail15normal_iteratorINS9_10device_ptrIiEEEENSB_INSC_IjEEEESE_fNS9_4plusIvEENS9_8equal_toIvEEfEE10hipError_tPvRmT2_T3_T4_T5_mT6_T7_P12ihipStream_tbENKUlT_T0_E_clISt17integral_constantIbLb1EES11_EEDaSW_SX_EUlSW_E_NS1_11comp_targetILNS1_3genE8ELNS1_11target_archE1030ELNS1_3gpuE2ELNS1_3repE0EEENS1_30default_config_static_selectorELNS0_4arch9wavefront6targetE0EEEvT1_,comdat
	.protected	_ZN7rocprim17ROCPRIM_400000_NS6detail17trampoline_kernelINS0_14default_configENS1_27scan_by_key_config_selectorIifEEZZNS1_16scan_by_key_implILNS1_25lookback_scan_determinismE0ELb1ES3_N6thrust23THRUST_200600_302600_NS6detail15normal_iteratorINS9_10device_ptrIiEEEENSB_INSC_IjEEEESE_fNS9_4plusIvEENS9_8equal_toIvEEfEE10hipError_tPvRmT2_T3_T4_T5_mT6_T7_P12ihipStream_tbENKUlT_T0_E_clISt17integral_constantIbLb1EES11_EEDaSW_SX_EUlSW_E_NS1_11comp_targetILNS1_3genE8ELNS1_11target_archE1030ELNS1_3gpuE2ELNS1_3repE0EEENS1_30default_config_static_selectorELNS0_4arch9wavefront6targetE0EEEvT1_ ; -- Begin function _ZN7rocprim17ROCPRIM_400000_NS6detail17trampoline_kernelINS0_14default_configENS1_27scan_by_key_config_selectorIifEEZZNS1_16scan_by_key_implILNS1_25lookback_scan_determinismE0ELb1ES3_N6thrust23THRUST_200600_302600_NS6detail15normal_iteratorINS9_10device_ptrIiEEEENSB_INSC_IjEEEESE_fNS9_4plusIvEENS9_8equal_toIvEEfEE10hipError_tPvRmT2_T3_T4_T5_mT6_T7_P12ihipStream_tbENKUlT_T0_E_clISt17integral_constantIbLb1EES11_EEDaSW_SX_EUlSW_E_NS1_11comp_targetILNS1_3genE8ELNS1_11target_archE1030ELNS1_3gpuE2ELNS1_3repE0EEENS1_30default_config_static_selectorELNS0_4arch9wavefront6targetE0EEEvT1_
	.globl	_ZN7rocprim17ROCPRIM_400000_NS6detail17trampoline_kernelINS0_14default_configENS1_27scan_by_key_config_selectorIifEEZZNS1_16scan_by_key_implILNS1_25lookback_scan_determinismE0ELb1ES3_N6thrust23THRUST_200600_302600_NS6detail15normal_iteratorINS9_10device_ptrIiEEEENSB_INSC_IjEEEESE_fNS9_4plusIvEENS9_8equal_toIvEEfEE10hipError_tPvRmT2_T3_T4_T5_mT6_T7_P12ihipStream_tbENKUlT_T0_E_clISt17integral_constantIbLb1EES11_EEDaSW_SX_EUlSW_E_NS1_11comp_targetILNS1_3genE8ELNS1_11target_archE1030ELNS1_3gpuE2ELNS1_3repE0EEENS1_30default_config_static_selectorELNS0_4arch9wavefront6targetE0EEEvT1_
	.p2align	8
	.type	_ZN7rocprim17ROCPRIM_400000_NS6detail17trampoline_kernelINS0_14default_configENS1_27scan_by_key_config_selectorIifEEZZNS1_16scan_by_key_implILNS1_25lookback_scan_determinismE0ELb1ES3_N6thrust23THRUST_200600_302600_NS6detail15normal_iteratorINS9_10device_ptrIiEEEENSB_INSC_IjEEEESE_fNS9_4plusIvEENS9_8equal_toIvEEfEE10hipError_tPvRmT2_T3_T4_T5_mT6_T7_P12ihipStream_tbENKUlT_T0_E_clISt17integral_constantIbLb1EES11_EEDaSW_SX_EUlSW_E_NS1_11comp_targetILNS1_3genE8ELNS1_11target_archE1030ELNS1_3gpuE2ELNS1_3repE0EEENS1_30default_config_static_selectorELNS0_4arch9wavefront6targetE0EEEvT1_,@function
_ZN7rocprim17ROCPRIM_400000_NS6detail17trampoline_kernelINS0_14default_configENS1_27scan_by_key_config_selectorIifEEZZNS1_16scan_by_key_implILNS1_25lookback_scan_determinismE0ELb1ES3_N6thrust23THRUST_200600_302600_NS6detail15normal_iteratorINS9_10device_ptrIiEEEENSB_INSC_IjEEEESE_fNS9_4plusIvEENS9_8equal_toIvEEfEE10hipError_tPvRmT2_T3_T4_T5_mT6_T7_P12ihipStream_tbENKUlT_T0_E_clISt17integral_constantIbLb1EES11_EEDaSW_SX_EUlSW_E_NS1_11comp_targetILNS1_3genE8ELNS1_11target_archE1030ELNS1_3gpuE2ELNS1_3repE0EEENS1_30default_config_static_selectorELNS0_4arch9wavefront6targetE0EEEvT1_: ; @_ZN7rocprim17ROCPRIM_400000_NS6detail17trampoline_kernelINS0_14default_configENS1_27scan_by_key_config_selectorIifEEZZNS1_16scan_by_key_implILNS1_25lookback_scan_determinismE0ELb1ES3_N6thrust23THRUST_200600_302600_NS6detail15normal_iteratorINS9_10device_ptrIiEEEENSB_INSC_IjEEEESE_fNS9_4plusIvEENS9_8equal_toIvEEfEE10hipError_tPvRmT2_T3_T4_T5_mT6_T7_P12ihipStream_tbENKUlT_T0_E_clISt17integral_constantIbLb1EES11_EEDaSW_SX_EUlSW_E_NS1_11comp_targetILNS1_3genE8ELNS1_11target_archE1030ELNS1_3gpuE2ELNS1_3repE0EEENS1_30default_config_static_selectorELNS0_4arch9wavefront6targetE0EEEvT1_
; %bb.0:
	s_endpgm
	.section	.rodata,"a",@progbits
	.p2align	6, 0x0
	.amdhsa_kernel _ZN7rocprim17ROCPRIM_400000_NS6detail17trampoline_kernelINS0_14default_configENS1_27scan_by_key_config_selectorIifEEZZNS1_16scan_by_key_implILNS1_25lookback_scan_determinismE0ELb1ES3_N6thrust23THRUST_200600_302600_NS6detail15normal_iteratorINS9_10device_ptrIiEEEENSB_INSC_IjEEEESE_fNS9_4plusIvEENS9_8equal_toIvEEfEE10hipError_tPvRmT2_T3_T4_T5_mT6_T7_P12ihipStream_tbENKUlT_T0_E_clISt17integral_constantIbLb1EES11_EEDaSW_SX_EUlSW_E_NS1_11comp_targetILNS1_3genE8ELNS1_11target_archE1030ELNS1_3gpuE2ELNS1_3repE0EEENS1_30default_config_static_selectorELNS0_4arch9wavefront6targetE0EEEvT1_
		.amdhsa_group_segment_fixed_size 0
		.amdhsa_private_segment_fixed_size 0
		.amdhsa_kernarg_size 112
		.amdhsa_user_sgpr_count 6
		.amdhsa_user_sgpr_private_segment_buffer 1
		.amdhsa_user_sgpr_dispatch_ptr 0
		.amdhsa_user_sgpr_queue_ptr 0
		.amdhsa_user_sgpr_kernarg_segment_ptr 1
		.amdhsa_user_sgpr_dispatch_id 0
		.amdhsa_user_sgpr_flat_scratch_init 0
		.amdhsa_user_sgpr_private_segment_size 0
		.amdhsa_wavefront_size32 1
		.amdhsa_uses_dynamic_stack 0
		.amdhsa_system_sgpr_private_segment_wavefront_offset 0
		.amdhsa_system_sgpr_workgroup_id_x 1
		.amdhsa_system_sgpr_workgroup_id_y 0
		.amdhsa_system_sgpr_workgroup_id_z 0
		.amdhsa_system_sgpr_workgroup_info 0
		.amdhsa_system_vgpr_workitem_id 0
		.amdhsa_next_free_vgpr 1
		.amdhsa_next_free_sgpr 1
		.amdhsa_reserve_vcc 0
		.amdhsa_reserve_flat_scratch 0
		.amdhsa_float_round_mode_32 0
		.amdhsa_float_round_mode_16_64 0
		.amdhsa_float_denorm_mode_32 3
		.amdhsa_float_denorm_mode_16_64 3
		.amdhsa_dx10_clamp 1
		.amdhsa_ieee_mode 1
		.amdhsa_fp16_overflow 0
		.amdhsa_workgroup_processor_mode 1
		.amdhsa_memory_ordered 1
		.amdhsa_forward_progress 1
		.amdhsa_shared_vgpr_count 0
		.amdhsa_exception_fp_ieee_invalid_op 0
		.amdhsa_exception_fp_denorm_src 0
		.amdhsa_exception_fp_ieee_div_zero 0
		.amdhsa_exception_fp_ieee_overflow 0
		.amdhsa_exception_fp_ieee_underflow 0
		.amdhsa_exception_fp_ieee_inexact 0
		.amdhsa_exception_int_div_zero 0
	.end_amdhsa_kernel
	.section	.text._ZN7rocprim17ROCPRIM_400000_NS6detail17trampoline_kernelINS0_14default_configENS1_27scan_by_key_config_selectorIifEEZZNS1_16scan_by_key_implILNS1_25lookback_scan_determinismE0ELb1ES3_N6thrust23THRUST_200600_302600_NS6detail15normal_iteratorINS9_10device_ptrIiEEEENSB_INSC_IjEEEESE_fNS9_4plusIvEENS9_8equal_toIvEEfEE10hipError_tPvRmT2_T3_T4_T5_mT6_T7_P12ihipStream_tbENKUlT_T0_E_clISt17integral_constantIbLb1EES11_EEDaSW_SX_EUlSW_E_NS1_11comp_targetILNS1_3genE8ELNS1_11target_archE1030ELNS1_3gpuE2ELNS1_3repE0EEENS1_30default_config_static_selectorELNS0_4arch9wavefront6targetE0EEEvT1_,"axG",@progbits,_ZN7rocprim17ROCPRIM_400000_NS6detail17trampoline_kernelINS0_14default_configENS1_27scan_by_key_config_selectorIifEEZZNS1_16scan_by_key_implILNS1_25lookback_scan_determinismE0ELb1ES3_N6thrust23THRUST_200600_302600_NS6detail15normal_iteratorINS9_10device_ptrIiEEEENSB_INSC_IjEEEESE_fNS9_4plusIvEENS9_8equal_toIvEEfEE10hipError_tPvRmT2_T3_T4_T5_mT6_T7_P12ihipStream_tbENKUlT_T0_E_clISt17integral_constantIbLb1EES11_EEDaSW_SX_EUlSW_E_NS1_11comp_targetILNS1_3genE8ELNS1_11target_archE1030ELNS1_3gpuE2ELNS1_3repE0EEENS1_30default_config_static_selectorELNS0_4arch9wavefront6targetE0EEEvT1_,comdat
.Lfunc_end1805:
	.size	_ZN7rocprim17ROCPRIM_400000_NS6detail17trampoline_kernelINS0_14default_configENS1_27scan_by_key_config_selectorIifEEZZNS1_16scan_by_key_implILNS1_25lookback_scan_determinismE0ELb1ES3_N6thrust23THRUST_200600_302600_NS6detail15normal_iteratorINS9_10device_ptrIiEEEENSB_INSC_IjEEEESE_fNS9_4plusIvEENS9_8equal_toIvEEfEE10hipError_tPvRmT2_T3_T4_T5_mT6_T7_P12ihipStream_tbENKUlT_T0_E_clISt17integral_constantIbLb1EES11_EEDaSW_SX_EUlSW_E_NS1_11comp_targetILNS1_3genE8ELNS1_11target_archE1030ELNS1_3gpuE2ELNS1_3repE0EEENS1_30default_config_static_selectorELNS0_4arch9wavefront6targetE0EEEvT1_, .Lfunc_end1805-_ZN7rocprim17ROCPRIM_400000_NS6detail17trampoline_kernelINS0_14default_configENS1_27scan_by_key_config_selectorIifEEZZNS1_16scan_by_key_implILNS1_25lookback_scan_determinismE0ELb1ES3_N6thrust23THRUST_200600_302600_NS6detail15normal_iteratorINS9_10device_ptrIiEEEENSB_INSC_IjEEEESE_fNS9_4plusIvEENS9_8equal_toIvEEfEE10hipError_tPvRmT2_T3_T4_T5_mT6_T7_P12ihipStream_tbENKUlT_T0_E_clISt17integral_constantIbLb1EES11_EEDaSW_SX_EUlSW_E_NS1_11comp_targetILNS1_3genE8ELNS1_11target_archE1030ELNS1_3gpuE2ELNS1_3repE0EEENS1_30default_config_static_selectorELNS0_4arch9wavefront6targetE0EEEvT1_
                                        ; -- End function
	.set _ZN7rocprim17ROCPRIM_400000_NS6detail17trampoline_kernelINS0_14default_configENS1_27scan_by_key_config_selectorIifEEZZNS1_16scan_by_key_implILNS1_25lookback_scan_determinismE0ELb1ES3_N6thrust23THRUST_200600_302600_NS6detail15normal_iteratorINS9_10device_ptrIiEEEENSB_INSC_IjEEEESE_fNS9_4plusIvEENS9_8equal_toIvEEfEE10hipError_tPvRmT2_T3_T4_T5_mT6_T7_P12ihipStream_tbENKUlT_T0_E_clISt17integral_constantIbLb1EES11_EEDaSW_SX_EUlSW_E_NS1_11comp_targetILNS1_3genE8ELNS1_11target_archE1030ELNS1_3gpuE2ELNS1_3repE0EEENS1_30default_config_static_selectorELNS0_4arch9wavefront6targetE0EEEvT1_.num_vgpr, 0
	.set _ZN7rocprim17ROCPRIM_400000_NS6detail17trampoline_kernelINS0_14default_configENS1_27scan_by_key_config_selectorIifEEZZNS1_16scan_by_key_implILNS1_25lookback_scan_determinismE0ELb1ES3_N6thrust23THRUST_200600_302600_NS6detail15normal_iteratorINS9_10device_ptrIiEEEENSB_INSC_IjEEEESE_fNS9_4plusIvEENS9_8equal_toIvEEfEE10hipError_tPvRmT2_T3_T4_T5_mT6_T7_P12ihipStream_tbENKUlT_T0_E_clISt17integral_constantIbLb1EES11_EEDaSW_SX_EUlSW_E_NS1_11comp_targetILNS1_3genE8ELNS1_11target_archE1030ELNS1_3gpuE2ELNS1_3repE0EEENS1_30default_config_static_selectorELNS0_4arch9wavefront6targetE0EEEvT1_.num_agpr, 0
	.set _ZN7rocprim17ROCPRIM_400000_NS6detail17trampoline_kernelINS0_14default_configENS1_27scan_by_key_config_selectorIifEEZZNS1_16scan_by_key_implILNS1_25lookback_scan_determinismE0ELb1ES3_N6thrust23THRUST_200600_302600_NS6detail15normal_iteratorINS9_10device_ptrIiEEEENSB_INSC_IjEEEESE_fNS9_4plusIvEENS9_8equal_toIvEEfEE10hipError_tPvRmT2_T3_T4_T5_mT6_T7_P12ihipStream_tbENKUlT_T0_E_clISt17integral_constantIbLb1EES11_EEDaSW_SX_EUlSW_E_NS1_11comp_targetILNS1_3genE8ELNS1_11target_archE1030ELNS1_3gpuE2ELNS1_3repE0EEENS1_30default_config_static_selectorELNS0_4arch9wavefront6targetE0EEEvT1_.numbered_sgpr, 0
	.set _ZN7rocprim17ROCPRIM_400000_NS6detail17trampoline_kernelINS0_14default_configENS1_27scan_by_key_config_selectorIifEEZZNS1_16scan_by_key_implILNS1_25lookback_scan_determinismE0ELb1ES3_N6thrust23THRUST_200600_302600_NS6detail15normal_iteratorINS9_10device_ptrIiEEEENSB_INSC_IjEEEESE_fNS9_4plusIvEENS9_8equal_toIvEEfEE10hipError_tPvRmT2_T3_T4_T5_mT6_T7_P12ihipStream_tbENKUlT_T0_E_clISt17integral_constantIbLb1EES11_EEDaSW_SX_EUlSW_E_NS1_11comp_targetILNS1_3genE8ELNS1_11target_archE1030ELNS1_3gpuE2ELNS1_3repE0EEENS1_30default_config_static_selectorELNS0_4arch9wavefront6targetE0EEEvT1_.num_named_barrier, 0
	.set _ZN7rocprim17ROCPRIM_400000_NS6detail17trampoline_kernelINS0_14default_configENS1_27scan_by_key_config_selectorIifEEZZNS1_16scan_by_key_implILNS1_25lookback_scan_determinismE0ELb1ES3_N6thrust23THRUST_200600_302600_NS6detail15normal_iteratorINS9_10device_ptrIiEEEENSB_INSC_IjEEEESE_fNS9_4plusIvEENS9_8equal_toIvEEfEE10hipError_tPvRmT2_T3_T4_T5_mT6_T7_P12ihipStream_tbENKUlT_T0_E_clISt17integral_constantIbLb1EES11_EEDaSW_SX_EUlSW_E_NS1_11comp_targetILNS1_3genE8ELNS1_11target_archE1030ELNS1_3gpuE2ELNS1_3repE0EEENS1_30default_config_static_selectorELNS0_4arch9wavefront6targetE0EEEvT1_.private_seg_size, 0
	.set _ZN7rocprim17ROCPRIM_400000_NS6detail17trampoline_kernelINS0_14default_configENS1_27scan_by_key_config_selectorIifEEZZNS1_16scan_by_key_implILNS1_25lookback_scan_determinismE0ELb1ES3_N6thrust23THRUST_200600_302600_NS6detail15normal_iteratorINS9_10device_ptrIiEEEENSB_INSC_IjEEEESE_fNS9_4plusIvEENS9_8equal_toIvEEfEE10hipError_tPvRmT2_T3_T4_T5_mT6_T7_P12ihipStream_tbENKUlT_T0_E_clISt17integral_constantIbLb1EES11_EEDaSW_SX_EUlSW_E_NS1_11comp_targetILNS1_3genE8ELNS1_11target_archE1030ELNS1_3gpuE2ELNS1_3repE0EEENS1_30default_config_static_selectorELNS0_4arch9wavefront6targetE0EEEvT1_.uses_vcc, 0
	.set _ZN7rocprim17ROCPRIM_400000_NS6detail17trampoline_kernelINS0_14default_configENS1_27scan_by_key_config_selectorIifEEZZNS1_16scan_by_key_implILNS1_25lookback_scan_determinismE0ELb1ES3_N6thrust23THRUST_200600_302600_NS6detail15normal_iteratorINS9_10device_ptrIiEEEENSB_INSC_IjEEEESE_fNS9_4plusIvEENS9_8equal_toIvEEfEE10hipError_tPvRmT2_T3_T4_T5_mT6_T7_P12ihipStream_tbENKUlT_T0_E_clISt17integral_constantIbLb1EES11_EEDaSW_SX_EUlSW_E_NS1_11comp_targetILNS1_3genE8ELNS1_11target_archE1030ELNS1_3gpuE2ELNS1_3repE0EEENS1_30default_config_static_selectorELNS0_4arch9wavefront6targetE0EEEvT1_.uses_flat_scratch, 0
	.set _ZN7rocprim17ROCPRIM_400000_NS6detail17trampoline_kernelINS0_14default_configENS1_27scan_by_key_config_selectorIifEEZZNS1_16scan_by_key_implILNS1_25lookback_scan_determinismE0ELb1ES3_N6thrust23THRUST_200600_302600_NS6detail15normal_iteratorINS9_10device_ptrIiEEEENSB_INSC_IjEEEESE_fNS9_4plusIvEENS9_8equal_toIvEEfEE10hipError_tPvRmT2_T3_T4_T5_mT6_T7_P12ihipStream_tbENKUlT_T0_E_clISt17integral_constantIbLb1EES11_EEDaSW_SX_EUlSW_E_NS1_11comp_targetILNS1_3genE8ELNS1_11target_archE1030ELNS1_3gpuE2ELNS1_3repE0EEENS1_30default_config_static_selectorELNS0_4arch9wavefront6targetE0EEEvT1_.has_dyn_sized_stack, 0
	.set _ZN7rocprim17ROCPRIM_400000_NS6detail17trampoline_kernelINS0_14default_configENS1_27scan_by_key_config_selectorIifEEZZNS1_16scan_by_key_implILNS1_25lookback_scan_determinismE0ELb1ES3_N6thrust23THRUST_200600_302600_NS6detail15normal_iteratorINS9_10device_ptrIiEEEENSB_INSC_IjEEEESE_fNS9_4plusIvEENS9_8equal_toIvEEfEE10hipError_tPvRmT2_T3_T4_T5_mT6_T7_P12ihipStream_tbENKUlT_T0_E_clISt17integral_constantIbLb1EES11_EEDaSW_SX_EUlSW_E_NS1_11comp_targetILNS1_3genE8ELNS1_11target_archE1030ELNS1_3gpuE2ELNS1_3repE0EEENS1_30default_config_static_selectorELNS0_4arch9wavefront6targetE0EEEvT1_.has_recursion, 0
	.set _ZN7rocprim17ROCPRIM_400000_NS6detail17trampoline_kernelINS0_14default_configENS1_27scan_by_key_config_selectorIifEEZZNS1_16scan_by_key_implILNS1_25lookback_scan_determinismE0ELb1ES3_N6thrust23THRUST_200600_302600_NS6detail15normal_iteratorINS9_10device_ptrIiEEEENSB_INSC_IjEEEESE_fNS9_4plusIvEENS9_8equal_toIvEEfEE10hipError_tPvRmT2_T3_T4_T5_mT6_T7_P12ihipStream_tbENKUlT_T0_E_clISt17integral_constantIbLb1EES11_EEDaSW_SX_EUlSW_E_NS1_11comp_targetILNS1_3genE8ELNS1_11target_archE1030ELNS1_3gpuE2ELNS1_3repE0EEENS1_30default_config_static_selectorELNS0_4arch9wavefront6targetE0EEEvT1_.has_indirect_call, 0
	.section	.AMDGPU.csdata,"",@progbits
; Kernel info:
; codeLenInByte = 4
; TotalNumSgprs: 0
; NumVgprs: 0
; ScratchSize: 0
; MemoryBound: 0
; FloatMode: 240
; IeeeMode: 1
; LDSByteSize: 0 bytes/workgroup (compile time only)
; SGPRBlocks: 0
; VGPRBlocks: 0
; NumSGPRsForWavesPerEU: 1
; NumVGPRsForWavesPerEU: 1
; Occupancy: 16
; WaveLimiterHint : 0
; COMPUTE_PGM_RSRC2:SCRATCH_EN: 0
; COMPUTE_PGM_RSRC2:USER_SGPR: 6
; COMPUTE_PGM_RSRC2:TRAP_HANDLER: 0
; COMPUTE_PGM_RSRC2:TGID_X_EN: 1
; COMPUTE_PGM_RSRC2:TGID_Y_EN: 0
; COMPUTE_PGM_RSRC2:TGID_Z_EN: 0
; COMPUTE_PGM_RSRC2:TIDIG_COMP_CNT: 0
	.section	.text._ZN7rocprim17ROCPRIM_400000_NS6detail17trampoline_kernelINS0_14default_configENS1_27scan_by_key_config_selectorIifEEZZNS1_16scan_by_key_implILNS1_25lookback_scan_determinismE0ELb1ES3_N6thrust23THRUST_200600_302600_NS6detail15normal_iteratorINS9_10device_ptrIiEEEENSB_INSC_IjEEEESE_fNS9_4plusIvEENS9_8equal_toIvEEfEE10hipError_tPvRmT2_T3_T4_T5_mT6_T7_P12ihipStream_tbENKUlT_T0_E_clISt17integral_constantIbLb1EES10_IbLb0EEEEDaSW_SX_EUlSW_E_NS1_11comp_targetILNS1_3genE0ELNS1_11target_archE4294967295ELNS1_3gpuE0ELNS1_3repE0EEENS1_30default_config_static_selectorELNS0_4arch9wavefront6targetE0EEEvT1_,"axG",@progbits,_ZN7rocprim17ROCPRIM_400000_NS6detail17trampoline_kernelINS0_14default_configENS1_27scan_by_key_config_selectorIifEEZZNS1_16scan_by_key_implILNS1_25lookback_scan_determinismE0ELb1ES3_N6thrust23THRUST_200600_302600_NS6detail15normal_iteratorINS9_10device_ptrIiEEEENSB_INSC_IjEEEESE_fNS9_4plusIvEENS9_8equal_toIvEEfEE10hipError_tPvRmT2_T3_T4_T5_mT6_T7_P12ihipStream_tbENKUlT_T0_E_clISt17integral_constantIbLb1EES10_IbLb0EEEEDaSW_SX_EUlSW_E_NS1_11comp_targetILNS1_3genE0ELNS1_11target_archE4294967295ELNS1_3gpuE0ELNS1_3repE0EEENS1_30default_config_static_selectorELNS0_4arch9wavefront6targetE0EEEvT1_,comdat
	.protected	_ZN7rocprim17ROCPRIM_400000_NS6detail17trampoline_kernelINS0_14default_configENS1_27scan_by_key_config_selectorIifEEZZNS1_16scan_by_key_implILNS1_25lookback_scan_determinismE0ELb1ES3_N6thrust23THRUST_200600_302600_NS6detail15normal_iteratorINS9_10device_ptrIiEEEENSB_INSC_IjEEEESE_fNS9_4plusIvEENS9_8equal_toIvEEfEE10hipError_tPvRmT2_T3_T4_T5_mT6_T7_P12ihipStream_tbENKUlT_T0_E_clISt17integral_constantIbLb1EES10_IbLb0EEEEDaSW_SX_EUlSW_E_NS1_11comp_targetILNS1_3genE0ELNS1_11target_archE4294967295ELNS1_3gpuE0ELNS1_3repE0EEENS1_30default_config_static_selectorELNS0_4arch9wavefront6targetE0EEEvT1_ ; -- Begin function _ZN7rocprim17ROCPRIM_400000_NS6detail17trampoline_kernelINS0_14default_configENS1_27scan_by_key_config_selectorIifEEZZNS1_16scan_by_key_implILNS1_25lookback_scan_determinismE0ELb1ES3_N6thrust23THRUST_200600_302600_NS6detail15normal_iteratorINS9_10device_ptrIiEEEENSB_INSC_IjEEEESE_fNS9_4plusIvEENS9_8equal_toIvEEfEE10hipError_tPvRmT2_T3_T4_T5_mT6_T7_P12ihipStream_tbENKUlT_T0_E_clISt17integral_constantIbLb1EES10_IbLb0EEEEDaSW_SX_EUlSW_E_NS1_11comp_targetILNS1_3genE0ELNS1_11target_archE4294967295ELNS1_3gpuE0ELNS1_3repE0EEENS1_30default_config_static_selectorELNS0_4arch9wavefront6targetE0EEEvT1_
	.globl	_ZN7rocprim17ROCPRIM_400000_NS6detail17trampoline_kernelINS0_14default_configENS1_27scan_by_key_config_selectorIifEEZZNS1_16scan_by_key_implILNS1_25lookback_scan_determinismE0ELb1ES3_N6thrust23THRUST_200600_302600_NS6detail15normal_iteratorINS9_10device_ptrIiEEEENSB_INSC_IjEEEESE_fNS9_4plusIvEENS9_8equal_toIvEEfEE10hipError_tPvRmT2_T3_T4_T5_mT6_T7_P12ihipStream_tbENKUlT_T0_E_clISt17integral_constantIbLb1EES10_IbLb0EEEEDaSW_SX_EUlSW_E_NS1_11comp_targetILNS1_3genE0ELNS1_11target_archE4294967295ELNS1_3gpuE0ELNS1_3repE0EEENS1_30default_config_static_selectorELNS0_4arch9wavefront6targetE0EEEvT1_
	.p2align	8
	.type	_ZN7rocprim17ROCPRIM_400000_NS6detail17trampoline_kernelINS0_14default_configENS1_27scan_by_key_config_selectorIifEEZZNS1_16scan_by_key_implILNS1_25lookback_scan_determinismE0ELb1ES3_N6thrust23THRUST_200600_302600_NS6detail15normal_iteratorINS9_10device_ptrIiEEEENSB_INSC_IjEEEESE_fNS9_4plusIvEENS9_8equal_toIvEEfEE10hipError_tPvRmT2_T3_T4_T5_mT6_T7_P12ihipStream_tbENKUlT_T0_E_clISt17integral_constantIbLb1EES10_IbLb0EEEEDaSW_SX_EUlSW_E_NS1_11comp_targetILNS1_3genE0ELNS1_11target_archE4294967295ELNS1_3gpuE0ELNS1_3repE0EEENS1_30default_config_static_selectorELNS0_4arch9wavefront6targetE0EEEvT1_,@function
_ZN7rocprim17ROCPRIM_400000_NS6detail17trampoline_kernelINS0_14default_configENS1_27scan_by_key_config_selectorIifEEZZNS1_16scan_by_key_implILNS1_25lookback_scan_determinismE0ELb1ES3_N6thrust23THRUST_200600_302600_NS6detail15normal_iteratorINS9_10device_ptrIiEEEENSB_INSC_IjEEEESE_fNS9_4plusIvEENS9_8equal_toIvEEfEE10hipError_tPvRmT2_T3_T4_T5_mT6_T7_P12ihipStream_tbENKUlT_T0_E_clISt17integral_constantIbLb1EES10_IbLb0EEEEDaSW_SX_EUlSW_E_NS1_11comp_targetILNS1_3genE0ELNS1_11target_archE4294967295ELNS1_3gpuE0ELNS1_3repE0EEENS1_30default_config_static_selectorELNS0_4arch9wavefront6targetE0EEEvT1_: ; @_ZN7rocprim17ROCPRIM_400000_NS6detail17trampoline_kernelINS0_14default_configENS1_27scan_by_key_config_selectorIifEEZZNS1_16scan_by_key_implILNS1_25lookback_scan_determinismE0ELb1ES3_N6thrust23THRUST_200600_302600_NS6detail15normal_iteratorINS9_10device_ptrIiEEEENSB_INSC_IjEEEESE_fNS9_4plusIvEENS9_8equal_toIvEEfEE10hipError_tPvRmT2_T3_T4_T5_mT6_T7_P12ihipStream_tbENKUlT_T0_E_clISt17integral_constantIbLb1EES10_IbLb0EEEEDaSW_SX_EUlSW_E_NS1_11comp_targetILNS1_3genE0ELNS1_11target_archE4294967295ELNS1_3gpuE0ELNS1_3repE0EEENS1_30default_config_static_selectorELNS0_4arch9wavefront6targetE0EEEvT1_
; %bb.0:
	.section	.rodata,"a",@progbits
	.p2align	6, 0x0
	.amdhsa_kernel _ZN7rocprim17ROCPRIM_400000_NS6detail17trampoline_kernelINS0_14default_configENS1_27scan_by_key_config_selectorIifEEZZNS1_16scan_by_key_implILNS1_25lookback_scan_determinismE0ELb1ES3_N6thrust23THRUST_200600_302600_NS6detail15normal_iteratorINS9_10device_ptrIiEEEENSB_INSC_IjEEEESE_fNS9_4plusIvEENS9_8equal_toIvEEfEE10hipError_tPvRmT2_T3_T4_T5_mT6_T7_P12ihipStream_tbENKUlT_T0_E_clISt17integral_constantIbLb1EES10_IbLb0EEEEDaSW_SX_EUlSW_E_NS1_11comp_targetILNS1_3genE0ELNS1_11target_archE4294967295ELNS1_3gpuE0ELNS1_3repE0EEENS1_30default_config_static_selectorELNS0_4arch9wavefront6targetE0EEEvT1_
		.amdhsa_group_segment_fixed_size 0
		.amdhsa_private_segment_fixed_size 0
		.amdhsa_kernarg_size 112
		.amdhsa_user_sgpr_count 6
		.amdhsa_user_sgpr_private_segment_buffer 1
		.amdhsa_user_sgpr_dispatch_ptr 0
		.amdhsa_user_sgpr_queue_ptr 0
		.amdhsa_user_sgpr_kernarg_segment_ptr 1
		.amdhsa_user_sgpr_dispatch_id 0
		.amdhsa_user_sgpr_flat_scratch_init 0
		.amdhsa_user_sgpr_private_segment_size 0
		.amdhsa_wavefront_size32 1
		.amdhsa_uses_dynamic_stack 0
		.amdhsa_system_sgpr_private_segment_wavefront_offset 0
		.amdhsa_system_sgpr_workgroup_id_x 1
		.amdhsa_system_sgpr_workgroup_id_y 0
		.amdhsa_system_sgpr_workgroup_id_z 0
		.amdhsa_system_sgpr_workgroup_info 0
		.amdhsa_system_vgpr_workitem_id 0
		.amdhsa_next_free_vgpr 1
		.amdhsa_next_free_sgpr 1
		.amdhsa_reserve_vcc 0
		.amdhsa_reserve_flat_scratch 0
		.amdhsa_float_round_mode_32 0
		.amdhsa_float_round_mode_16_64 0
		.amdhsa_float_denorm_mode_32 3
		.amdhsa_float_denorm_mode_16_64 3
		.amdhsa_dx10_clamp 1
		.amdhsa_ieee_mode 1
		.amdhsa_fp16_overflow 0
		.amdhsa_workgroup_processor_mode 1
		.amdhsa_memory_ordered 1
		.amdhsa_forward_progress 1
		.amdhsa_shared_vgpr_count 0
		.amdhsa_exception_fp_ieee_invalid_op 0
		.amdhsa_exception_fp_denorm_src 0
		.amdhsa_exception_fp_ieee_div_zero 0
		.amdhsa_exception_fp_ieee_overflow 0
		.amdhsa_exception_fp_ieee_underflow 0
		.amdhsa_exception_fp_ieee_inexact 0
		.amdhsa_exception_int_div_zero 0
	.end_amdhsa_kernel
	.section	.text._ZN7rocprim17ROCPRIM_400000_NS6detail17trampoline_kernelINS0_14default_configENS1_27scan_by_key_config_selectorIifEEZZNS1_16scan_by_key_implILNS1_25lookback_scan_determinismE0ELb1ES3_N6thrust23THRUST_200600_302600_NS6detail15normal_iteratorINS9_10device_ptrIiEEEENSB_INSC_IjEEEESE_fNS9_4plusIvEENS9_8equal_toIvEEfEE10hipError_tPvRmT2_T3_T4_T5_mT6_T7_P12ihipStream_tbENKUlT_T0_E_clISt17integral_constantIbLb1EES10_IbLb0EEEEDaSW_SX_EUlSW_E_NS1_11comp_targetILNS1_3genE0ELNS1_11target_archE4294967295ELNS1_3gpuE0ELNS1_3repE0EEENS1_30default_config_static_selectorELNS0_4arch9wavefront6targetE0EEEvT1_,"axG",@progbits,_ZN7rocprim17ROCPRIM_400000_NS6detail17trampoline_kernelINS0_14default_configENS1_27scan_by_key_config_selectorIifEEZZNS1_16scan_by_key_implILNS1_25lookback_scan_determinismE0ELb1ES3_N6thrust23THRUST_200600_302600_NS6detail15normal_iteratorINS9_10device_ptrIiEEEENSB_INSC_IjEEEESE_fNS9_4plusIvEENS9_8equal_toIvEEfEE10hipError_tPvRmT2_T3_T4_T5_mT6_T7_P12ihipStream_tbENKUlT_T0_E_clISt17integral_constantIbLb1EES10_IbLb0EEEEDaSW_SX_EUlSW_E_NS1_11comp_targetILNS1_3genE0ELNS1_11target_archE4294967295ELNS1_3gpuE0ELNS1_3repE0EEENS1_30default_config_static_selectorELNS0_4arch9wavefront6targetE0EEEvT1_,comdat
.Lfunc_end1806:
	.size	_ZN7rocprim17ROCPRIM_400000_NS6detail17trampoline_kernelINS0_14default_configENS1_27scan_by_key_config_selectorIifEEZZNS1_16scan_by_key_implILNS1_25lookback_scan_determinismE0ELb1ES3_N6thrust23THRUST_200600_302600_NS6detail15normal_iteratorINS9_10device_ptrIiEEEENSB_INSC_IjEEEESE_fNS9_4plusIvEENS9_8equal_toIvEEfEE10hipError_tPvRmT2_T3_T4_T5_mT6_T7_P12ihipStream_tbENKUlT_T0_E_clISt17integral_constantIbLb1EES10_IbLb0EEEEDaSW_SX_EUlSW_E_NS1_11comp_targetILNS1_3genE0ELNS1_11target_archE4294967295ELNS1_3gpuE0ELNS1_3repE0EEENS1_30default_config_static_selectorELNS0_4arch9wavefront6targetE0EEEvT1_, .Lfunc_end1806-_ZN7rocprim17ROCPRIM_400000_NS6detail17trampoline_kernelINS0_14default_configENS1_27scan_by_key_config_selectorIifEEZZNS1_16scan_by_key_implILNS1_25lookback_scan_determinismE0ELb1ES3_N6thrust23THRUST_200600_302600_NS6detail15normal_iteratorINS9_10device_ptrIiEEEENSB_INSC_IjEEEESE_fNS9_4plusIvEENS9_8equal_toIvEEfEE10hipError_tPvRmT2_T3_T4_T5_mT6_T7_P12ihipStream_tbENKUlT_T0_E_clISt17integral_constantIbLb1EES10_IbLb0EEEEDaSW_SX_EUlSW_E_NS1_11comp_targetILNS1_3genE0ELNS1_11target_archE4294967295ELNS1_3gpuE0ELNS1_3repE0EEENS1_30default_config_static_selectorELNS0_4arch9wavefront6targetE0EEEvT1_
                                        ; -- End function
	.set _ZN7rocprim17ROCPRIM_400000_NS6detail17trampoline_kernelINS0_14default_configENS1_27scan_by_key_config_selectorIifEEZZNS1_16scan_by_key_implILNS1_25lookback_scan_determinismE0ELb1ES3_N6thrust23THRUST_200600_302600_NS6detail15normal_iteratorINS9_10device_ptrIiEEEENSB_INSC_IjEEEESE_fNS9_4plusIvEENS9_8equal_toIvEEfEE10hipError_tPvRmT2_T3_T4_T5_mT6_T7_P12ihipStream_tbENKUlT_T0_E_clISt17integral_constantIbLb1EES10_IbLb0EEEEDaSW_SX_EUlSW_E_NS1_11comp_targetILNS1_3genE0ELNS1_11target_archE4294967295ELNS1_3gpuE0ELNS1_3repE0EEENS1_30default_config_static_selectorELNS0_4arch9wavefront6targetE0EEEvT1_.num_vgpr, 0
	.set _ZN7rocprim17ROCPRIM_400000_NS6detail17trampoline_kernelINS0_14default_configENS1_27scan_by_key_config_selectorIifEEZZNS1_16scan_by_key_implILNS1_25lookback_scan_determinismE0ELb1ES3_N6thrust23THRUST_200600_302600_NS6detail15normal_iteratorINS9_10device_ptrIiEEEENSB_INSC_IjEEEESE_fNS9_4plusIvEENS9_8equal_toIvEEfEE10hipError_tPvRmT2_T3_T4_T5_mT6_T7_P12ihipStream_tbENKUlT_T0_E_clISt17integral_constantIbLb1EES10_IbLb0EEEEDaSW_SX_EUlSW_E_NS1_11comp_targetILNS1_3genE0ELNS1_11target_archE4294967295ELNS1_3gpuE0ELNS1_3repE0EEENS1_30default_config_static_selectorELNS0_4arch9wavefront6targetE0EEEvT1_.num_agpr, 0
	.set _ZN7rocprim17ROCPRIM_400000_NS6detail17trampoline_kernelINS0_14default_configENS1_27scan_by_key_config_selectorIifEEZZNS1_16scan_by_key_implILNS1_25lookback_scan_determinismE0ELb1ES3_N6thrust23THRUST_200600_302600_NS6detail15normal_iteratorINS9_10device_ptrIiEEEENSB_INSC_IjEEEESE_fNS9_4plusIvEENS9_8equal_toIvEEfEE10hipError_tPvRmT2_T3_T4_T5_mT6_T7_P12ihipStream_tbENKUlT_T0_E_clISt17integral_constantIbLb1EES10_IbLb0EEEEDaSW_SX_EUlSW_E_NS1_11comp_targetILNS1_3genE0ELNS1_11target_archE4294967295ELNS1_3gpuE0ELNS1_3repE0EEENS1_30default_config_static_selectorELNS0_4arch9wavefront6targetE0EEEvT1_.numbered_sgpr, 0
	.set _ZN7rocprim17ROCPRIM_400000_NS6detail17trampoline_kernelINS0_14default_configENS1_27scan_by_key_config_selectorIifEEZZNS1_16scan_by_key_implILNS1_25lookback_scan_determinismE0ELb1ES3_N6thrust23THRUST_200600_302600_NS6detail15normal_iteratorINS9_10device_ptrIiEEEENSB_INSC_IjEEEESE_fNS9_4plusIvEENS9_8equal_toIvEEfEE10hipError_tPvRmT2_T3_T4_T5_mT6_T7_P12ihipStream_tbENKUlT_T0_E_clISt17integral_constantIbLb1EES10_IbLb0EEEEDaSW_SX_EUlSW_E_NS1_11comp_targetILNS1_3genE0ELNS1_11target_archE4294967295ELNS1_3gpuE0ELNS1_3repE0EEENS1_30default_config_static_selectorELNS0_4arch9wavefront6targetE0EEEvT1_.num_named_barrier, 0
	.set _ZN7rocprim17ROCPRIM_400000_NS6detail17trampoline_kernelINS0_14default_configENS1_27scan_by_key_config_selectorIifEEZZNS1_16scan_by_key_implILNS1_25lookback_scan_determinismE0ELb1ES3_N6thrust23THRUST_200600_302600_NS6detail15normal_iteratorINS9_10device_ptrIiEEEENSB_INSC_IjEEEESE_fNS9_4plusIvEENS9_8equal_toIvEEfEE10hipError_tPvRmT2_T3_T4_T5_mT6_T7_P12ihipStream_tbENKUlT_T0_E_clISt17integral_constantIbLb1EES10_IbLb0EEEEDaSW_SX_EUlSW_E_NS1_11comp_targetILNS1_3genE0ELNS1_11target_archE4294967295ELNS1_3gpuE0ELNS1_3repE0EEENS1_30default_config_static_selectorELNS0_4arch9wavefront6targetE0EEEvT1_.private_seg_size, 0
	.set _ZN7rocprim17ROCPRIM_400000_NS6detail17trampoline_kernelINS0_14default_configENS1_27scan_by_key_config_selectorIifEEZZNS1_16scan_by_key_implILNS1_25lookback_scan_determinismE0ELb1ES3_N6thrust23THRUST_200600_302600_NS6detail15normal_iteratorINS9_10device_ptrIiEEEENSB_INSC_IjEEEESE_fNS9_4plusIvEENS9_8equal_toIvEEfEE10hipError_tPvRmT2_T3_T4_T5_mT6_T7_P12ihipStream_tbENKUlT_T0_E_clISt17integral_constantIbLb1EES10_IbLb0EEEEDaSW_SX_EUlSW_E_NS1_11comp_targetILNS1_3genE0ELNS1_11target_archE4294967295ELNS1_3gpuE0ELNS1_3repE0EEENS1_30default_config_static_selectorELNS0_4arch9wavefront6targetE0EEEvT1_.uses_vcc, 0
	.set _ZN7rocprim17ROCPRIM_400000_NS6detail17trampoline_kernelINS0_14default_configENS1_27scan_by_key_config_selectorIifEEZZNS1_16scan_by_key_implILNS1_25lookback_scan_determinismE0ELb1ES3_N6thrust23THRUST_200600_302600_NS6detail15normal_iteratorINS9_10device_ptrIiEEEENSB_INSC_IjEEEESE_fNS9_4plusIvEENS9_8equal_toIvEEfEE10hipError_tPvRmT2_T3_T4_T5_mT6_T7_P12ihipStream_tbENKUlT_T0_E_clISt17integral_constantIbLb1EES10_IbLb0EEEEDaSW_SX_EUlSW_E_NS1_11comp_targetILNS1_3genE0ELNS1_11target_archE4294967295ELNS1_3gpuE0ELNS1_3repE0EEENS1_30default_config_static_selectorELNS0_4arch9wavefront6targetE0EEEvT1_.uses_flat_scratch, 0
	.set _ZN7rocprim17ROCPRIM_400000_NS6detail17trampoline_kernelINS0_14default_configENS1_27scan_by_key_config_selectorIifEEZZNS1_16scan_by_key_implILNS1_25lookback_scan_determinismE0ELb1ES3_N6thrust23THRUST_200600_302600_NS6detail15normal_iteratorINS9_10device_ptrIiEEEENSB_INSC_IjEEEESE_fNS9_4plusIvEENS9_8equal_toIvEEfEE10hipError_tPvRmT2_T3_T4_T5_mT6_T7_P12ihipStream_tbENKUlT_T0_E_clISt17integral_constantIbLb1EES10_IbLb0EEEEDaSW_SX_EUlSW_E_NS1_11comp_targetILNS1_3genE0ELNS1_11target_archE4294967295ELNS1_3gpuE0ELNS1_3repE0EEENS1_30default_config_static_selectorELNS0_4arch9wavefront6targetE0EEEvT1_.has_dyn_sized_stack, 0
	.set _ZN7rocprim17ROCPRIM_400000_NS6detail17trampoline_kernelINS0_14default_configENS1_27scan_by_key_config_selectorIifEEZZNS1_16scan_by_key_implILNS1_25lookback_scan_determinismE0ELb1ES3_N6thrust23THRUST_200600_302600_NS6detail15normal_iteratorINS9_10device_ptrIiEEEENSB_INSC_IjEEEESE_fNS9_4plusIvEENS9_8equal_toIvEEfEE10hipError_tPvRmT2_T3_T4_T5_mT6_T7_P12ihipStream_tbENKUlT_T0_E_clISt17integral_constantIbLb1EES10_IbLb0EEEEDaSW_SX_EUlSW_E_NS1_11comp_targetILNS1_3genE0ELNS1_11target_archE4294967295ELNS1_3gpuE0ELNS1_3repE0EEENS1_30default_config_static_selectorELNS0_4arch9wavefront6targetE0EEEvT1_.has_recursion, 0
	.set _ZN7rocprim17ROCPRIM_400000_NS6detail17trampoline_kernelINS0_14default_configENS1_27scan_by_key_config_selectorIifEEZZNS1_16scan_by_key_implILNS1_25lookback_scan_determinismE0ELb1ES3_N6thrust23THRUST_200600_302600_NS6detail15normal_iteratorINS9_10device_ptrIiEEEENSB_INSC_IjEEEESE_fNS9_4plusIvEENS9_8equal_toIvEEfEE10hipError_tPvRmT2_T3_T4_T5_mT6_T7_P12ihipStream_tbENKUlT_T0_E_clISt17integral_constantIbLb1EES10_IbLb0EEEEDaSW_SX_EUlSW_E_NS1_11comp_targetILNS1_3genE0ELNS1_11target_archE4294967295ELNS1_3gpuE0ELNS1_3repE0EEENS1_30default_config_static_selectorELNS0_4arch9wavefront6targetE0EEEvT1_.has_indirect_call, 0
	.section	.AMDGPU.csdata,"",@progbits
; Kernel info:
; codeLenInByte = 0
; TotalNumSgprs: 0
; NumVgprs: 0
; ScratchSize: 0
; MemoryBound: 0
; FloatMode: 240
; IeeeMode: 1
; LDSByteSize: 0 bytes/workgroup (compile time only)
; SGPRBlocks: 0
; VGPRBlocks: 0
; NumSGPRsForWavesPerEU: 1
; NumVGPRsForWavesPerEU: 1
; Occupancy: 16
; WaveLimiterHint : 0
; COMPUTE_PGM_RSRC2:SCRATCH_EN: 0
; COMPUTE_PGM_RSRC2:USER_SGPR: 6
; COMPUTE_PGM_RSRC2:TRAP_HANDLER: 0
; COMPUTE_PGM_RSRC2:TGID_X_EN: 1
; COMPUTE_PGM_RSRC2:TGID_Y_EN: 0
; COMPUTE_PGM_RSRC2:TGID_Z_EN: 0
; COMPUTE_PGM_RSRC2:TIDIG_COMP_CNT: 0
	.section	.text._ZN7rocprim17ROCPRIM_400000_NS6detail17trampoline_kernelINS0_14default_configENS1_27scan_by_key_config_selectorIifEEZZNS1_16scan_by_key_implILNS1_25lookback_scan_determinismE0ELb1ES3_N6thrust23THRUST_200600_302600_NS6detail15normal_iteratorINS9_10device_ptrIiEEEENSB_INSC_IjEEEESE_fNS9_4plusIvEENS9_8equal_toIvEEfEE10hipError_tPvRmT2_T3_T4_T5_mT6_T7_P12ihipStream_tbENKUlT_T0_E_clISt17integral_constantIbLb1EES10_IbLb0EEEEDaSW_SX_EUlSW_E_NS1_11comp_targetILNS1_3genE10ELNS1_11target_archE1201ELNS1_3gpuE5ELNS1_3repE0EEENS1_30default_config_static_selectorELNS0_4arch9wavefront6targetE0EEEvT1_,"axG",@progbits,_ZN7rocprim17ROCPRIM_400000_NS6detail17trampoline_kernelINS0_14default_configENS1_27scan_by_key_config_selectorIifEEZZNS1_16scan_by_key_implILNS1_25lookback_scan_determinismE0ELb1ES3_N6thrust23THRUST_200600_302600_NS6detail15normal_iteratorINS9_10device_ptrIiEEEENSB_INSC_IjEEEESE_fNS9_4plusIvEENS9_8equal_toIvEEfEE10hipError_tPvRmT2_T3_T4_T5_mT6_T7_P12ihipStream_tbENKUlT_T0_E_clISt17integral_constantIbLb1EES10_IbLb0EEEEDaSW_SX_EUlSW_E_NS1_11comp_targetILNS1_3genE10ELNS1_11target_archE1201ELNS1_3gpuE5ELNS1_3repE0EEENS1_30default_config_static_selectorELNS0_4arch9wavefront6targetE0EEEvT1_,comdat
	.protected	_ZN7rocprim17ROCPRIM_400000_NS6detail17trampoline_kernelINS0_14default_configENS1_27scan_by_key_config_selectorIifEEZZNS1_16scan_by_key_implILNS1_25lookback_scan_determinismE0ELb1ES3_N6thrust23THRUST_200600_302600_NS6detail15normal_iteratorINS9_10device_ptrIiEEEENSB_INSC_IjEEEESE_fNS9_4plusIvEENS9_8equal_toIvEEfEE10hipError_tPvRmT2_T3_T4_T5_mT6_T7_P12ihipStream_tbENKUlT_T0_E_clISt17integral_constantIbLb1EES10_IbLb0EEEEDaSW_SX_EUlSW_E_NS1_11comp_targetILNS1_3genE10ELNS1_11target_archE1201ELNS1_3gpuE5ELNS1_3repE0EEENS1_30default_config_static_selectorELNS0_4arch9wavefront6targetE0EEEvT1_ ; -- Begin function _ZN7rocprim17ROCPRIM_400000_NS6detail17trampoline_kernelINS0_14default_configENS1_27scan_by_key_config_selectorIifEEZZNS1_16scan_by_key_implILNS1_25lookback_scan_determinismE0ELb1ES3_N6thrust23THRUST_200600_302600_NS6detail15normal_iteratorINS9_10device_ptrIiEEEENSB_INSC_IjEEEESE_fNS9_4plusIvEENS9_8equal_toIvEEfEE10hipError_tPvRmT2_T3_T4_T5_mT6_T7_P12ihipStream_tbENKUlT_T0_E_clISt17integral_constantIbLb1EES10_IbLb0EEEEDaSW_SX_EUlSW_E_NS1_11comp_targetILNS1_3genE10ELNS1_11target_archE1201ELNS1_3gpuE5ELNS1_3repE0EEENS1_30default_config_static_selectorELNS0_4arch9wavefront6targetE0EEEvT1_
	.globl	_ZN7rocprim17ROCPRIM_400000_NS6detail17trampoline_kernelINS0_14default_configENS1_27scan_by_key_config_selectorIifEEZZNS1_16scan_by_key_implILNS1_25lookback_scan_determinismE0ELb1ES3_N6thrust23THRUST_200600_302600_NS6detail15normal_iteratorINS9_10device_ptrIiEEEENSB_INSC_IjEEEESE_fNS9_4plusIvEENS9_8equal_toIvEEfEE10hipError_tPvRmT2_T3_T4_T5_mT6_T7_P12ihipStream_tbENKUlT_T0_E_clISt17integral_constantIbLb1EES10_IbLb0EEEEDaSW_SX_EUlSW_E_NS1_11comp_targetILNS1_3genE10ELNS1_11target_archE1201ELNS1_3gpuE5ELNS1_3repE0EEENS1_30default_config_static_selectorELNS0_4arch9wavefront6targetE0EEEvT1_
	.p2align	8
	.type	_ZN7rocprim17ROCPRIM_400000_NS6detail17trampoline_kernelINS0_14default_configENS1_27scan_by_key_config_selectorIifEEZZNS1_16scan_by_key_implILNS1_25lookback_scan_determinismE0ELb1ES3_N6thrust23THRUST_200600_302600_NS6detail15normal_iteratorINS9_10device_ptrIiEEEENSB_INSC_IjEEEESE_fNS9_4plusIvEENS9_8equal_toIvEEfEE10hipError_tPvRmT2_T3_T4_T5_mT6_T7_P12ihipStream_tbENKUlT_T0_E_clISt17integral_constantIbLb1EES10_IbLb0EEEEDaSW_SX_EUlSW_E_NS1_11comp_targetILNS1_3genE10ELNS1_11target_archE1201ELNS1_3gpuE5ELNS1_3repE0EEENS1_30default_config_static_selectorELNS0_4arch9wavefront6targetE0EEEvT1_,@function
_ZN7rocprim17ROCPRIM_400000_NS6detail17trampoline_kernelINS0_14default_configENS1_27scan_by_key_config_selectorIifEEZZNS1_16scan_by_key_implILNS1_25lookback_scan_determinismE0ELb1ES3_N6thrust23THRUST_200600_302600_NS6detail15normal_iteratorINS9_10device_ptrIiEEEENSB_INSC_IjEEEESE_fNS9_4plusIvEENS9_8equal_toIvEEfEE10hipError_tPvRmT2_T3_T4_T5_mT6_T7_P12ihipStream_tbENKUlT_T0_E_clISt17integral_constantIbLb1EES10_IbLb0EEEEDaSW_SX_EUlSW_E_NS1_11comp_targetILNS1_3genE10ELNS1_11target_archE1201ELNS1_3gpuE5ELNS1_3repE0EEENS1_30default_config_static_selectorELNS0_4arch9wavefront6targetE0EEEvT1_: ; @_ZN7rocprim17ROCPRIM_400000_NS6detail17trampoline_kernelINS0_14default_configENS1_27scan_by_key_config_selectorIifEEZZNS1_16scan_by_key_implILNS1_25lookback_scan_determinismE0ELb1ES3_N6thrust23THRUST_200600_302600_NS6detail15normal_iteratorINS9_10device_ptrIiEEEENSB_INSC_IjEEEESE_fNS9_4plusIvEENS9_8equal_toIvEEfEE10hipError_tPvRmT2_T3_T4_T5_mT6_T7_P12ihipStream_tbENKUlT_T0_E_clISt17integral_constantIbLb1EES10_IbLb0EEEEDaSW_SX_EUlSW_E_NS1_11comp_targetILNS1_3genE10ELNS1_11target_archE1201ELNS1_3gpuE5ELNS1_3repE0EEENS1_30default_config_static_selectorELNS0_4arch9wavefront6targetE0EEEvT1_
; %bb.0:
	.section	.rodata,"a",@progbits
	.p2align	6, 0x0
	.amdhsa_kernel _ZN7rocprim17ROCPRIM_400000_NS6detail17trampoline_kernelINS0_14default_configENS1_27scan_by_key_config_selectorIifEEZZNS1_16scan_by_key_implILNS1_25lookback_scan_determinismE0ELb1ES3_N6thrust23THRUST_200600_302600_NS6detail15normal_iteratorINS9_10device_ptrIiEEEENSB_INSC_IjEEEESE_fNS9_4plusIvEENS9_8equal_toIvEEfEE10hipError_tPvRmT2_T3_T4_T5_mT6_T7_P12ihipStream_tbENKUlT_T0_E_clISt17integral_constantIbLb1EES10_IbLb0EEEEDaSW_SX_EUlSW_E_NS1_11comp_targetILNS1_3genE10ELNS1_11target_archE1201ELNS1_3gpuE5ELNS1_3repE0EEENS1_30default_config_static_selectorELNS0_4arch9wavefront6targetE0EEEvT1_
		.amdhsa_group_segment_fixed_size 0
		.amdhsa_private_segment_fixed_size 0
		.amdhsa_kernarg_size 112
		.amdhsa_user_sgpr_count 6
		.amdhsa_user_sgpr_private_segment_buffer 1
		.amdhsa_user_sgpr_dispatch_ptr 0
		.amdhsa_user_sgpr_queue_ptr 0
		.amdhsa_user_sgpr_kernarg_segment_ptr 1
		.amdhsa_user_sgpr_dispatch_id 0
		.amdhsa_user_sgpr_flat_scratch_init 0
		.amdhsa_user_sgpr_private_segment_size 0
		.amdhsa_wavefront_size32 1
		.amdhsa_uses_dynamic_stack 0
		.amdhsa_system_sgpr_private_segment_wavefront_offset 0
		.amdhsa_system_sgpr_workgroup_id_x 1
		.amdhsa_system_sgpr_workgroup_id_y 0
		.amdhsa_system_sgpr_workgroup_id_z 0
		.amdhsa_system_sgpr_workgroup_info 0
		.amdhsa_system_vgpr_workitem_id 0
		.amdhsa_next_free_vgpr 1
		.amdhsa_next_free_sgpr 1
		.amdhsa_reserve_vcc 0
		.amdhsa_reserve_flat_scratch 0
		.amdhsa_float_round_mode_32 0
		.amdhsa_float_round_mode_16_64 0
		.amdhsa_float_denorm_mode_32 3
		.amdhsa_float_denorm_mode_16_64 3
		.amdhsa_dx10_clamp 1
		.amdhsa_ieee_mode 1
		.amdhsa_fp16_overflow 0
		.amdhsa_workgroup_processor_mode 1
		.amdhsa_memory_ordered 1
		.amdhsa_forward_progress 1
		.amdhsa_shared_vgpr_count 0
		.amdhsa_exception_fp_ieee_invalid_op 0
		.amdhsa_exception_fp_denorm_src 0
		.amdhsa_exception_fp_ieee_div_zero 0
		.amdhsa_exception_fp_ieee_overflow 0
		.amdhsa_exception_fp_ieee_underflow 0
		.amdhsa_exception_fp_ieee_inexact 0
		.amdhsa_exception_int_div_zero 0
	.end_amdhsa_kernel
	.section	.text._ZN7rocprim17ROCPRIM_400000_NS6detail17trampoline_kernelINS0_14default_configENS1_27scan_by_key_config_selectorIifEEZZNS1_16scan_by_key_implILNS1_25lookback_scan_determinismE0ELb1ES3_N6thrust23THRUST_200600_302600_NS6detail15normal_iteratorINS9_10device_ptrIiEEEENSB_INSC_IjEEEESE_fNS9_4plusIvEENS9_8equal_toIvEEfEE10hipError_tPvRmT2_T3_T4_T5_mT6_T7_P12ihipStream_tbENKUlT_T0_E_clISt17integral_constantIbLb1EES10_IbLb0EEEEDaSW_SX_EUlSW_E_NS1_11comp_targetILNS1_3genE10ELNS1_11target_archE1201ELNS1_3gpuE5ELNS1_3repE0EEENS1_30default_config_static_selectorELNS0_4arch9wavefront6targetE0EEEvT1_,"axG",@progbits,_ZN7rocprim17ROCPRIM_400000_NS6detail17trampoline_kernelINS0_14default_configENS1_27scan_by_key_config_selectorIifEEZZNS1_16scan_by_key_implILNS1_25lookback_scan_determinismE0ELb1ES3_N6thrust23THRUST_200600_302600_NS6detail15normal_iteratorINS9_10device_ptrIiEEEENSB_INSC_IjEEEESE_fNS9_4plusIvEENS9_8equal_toIvEEfEE10hipError_tPvRmT2_T3_T4_T5_mT6_T7_P12ihipStream_tbENKUlT_T0_E_clISt17integral_constantIbLb1EES10_IbLb0EEEEDaSW_SX_EUlSW_E_NS1_11comp_targetILNS1_3genE10ELNS1_11target_archE1201ELNS1_3gpuE5ELNS1_3repE0EEENS1_30default_config_static_selectorELNS0_4arch9wavefront6targetE0EEEvT1_,comdat
.Lfunc_end1807:
	.size	_ZN7rocprim17ROCPRIM_400000_NS6detail17trampoline_kernelINS0_14default_configENS1_27scan_by_key_config_selectorIifEEZZNS1_16scan_by_key_implILNS1_25lookback_scan_determinismE0ELb1ES3_N6thrust23THRUST_200600_302600_NS6detail15normal_iteratorINS9_10device_ptrIiEEEENSB_INSC_IjEEEESE_fNS9_4plusIvEENS9_8equal_toIvEEfEE10hipError_tPvRmT2_T3_T4_T5_mT6_T7_P12ihipStream_tbENKUlT_T0_E_clISt17integral_constantIbLb1EES10_IbLb0EEEEDaSW_SX_EUlSW_E_NS1_11comp_targetILNS1_3genE10ELNS1_11target_archE1201ELNS1_3gpuE5ELNS1_3repE0EEENS1_30default_config_static_selectorELNS0_4arch9wavefront6targetE0EEEvT1_, .Lfunc_end1807-_ZN7rocprim17ROCPRIM_400000_NS6detail17trampoline_kernelINS0_14default_configENS1_27scan_by_key_config_selectorIifEEZZNS1_16scan_by_key_implILNS1_25lookback_scan_determinismE0ELb1ES3_N6thrust23THRUST_200600_302600_NS6detail15normal_iteratorINS9_10device_ptrIiEEEENSB_INSC_IjEEEESE_fNS9_4plusIvEENS9_8equal_toIvEEfEE10hipError_tPvRmT2_T3_T4_T5_mT6_T7_P12ihipStream_tbENKUlT_T0_E_clISt17integral_constantIbLb1EES10_IbLb0EEEEDaSW_SX_EUlSW_E_NS1_11comp_targetILNS1_3genE10ELNS1_11target_archE1201ELNS1_3gpuE5ELNS1_3repE0EEENS1_30default_config_static_selectorELNS0_4arch9wavefront6targetE0EEEvT1_
                                        ; -- End function
	.set _ZN7rocprim17ROCPRIM_400000_NS6detail17trampoline_kernelINS0_14default_configENS1_27scan_by_key_config_selectorIifEEZZNS1_16scan_by_key_implILNS1_25lookback_scan_determinismE0ELb1ES3_N6thrust23THRUST_200600_302600_NS6detail15normal_iteratorINS9_10device_ptrIiEEEENSB_INSC_IjEEEESE_fNS9_4plusIvEENS9_8equal_toIvEEfEE10hipError_tPvRmT2_T3_T4_T5_mT6_T7_P12ihipStream_tbENKUlT_T0_E_clISt17integral_constantIbLb1EES10_IbLb0EEEEDaSW_SX_EUlSW_E_NS1_11comp_targetILNS1_3genE10ELNS1_11target_archE1201ELNS1_3gpuE5ELNS1_3repE0EEENS1_30default_config_static_selectorELNS0_4arch9wavefront6targetE0EEEvT1_.num_vgpr, 0
	.set _ZN7rocprim17ROCPRIM_400000_NS6detail17trampoline_kernelINS0_14default_configENS1_27scan_by_key_config_selectorIifEEZZNS1_16scan_by_key_implILNS1_25lookback_scan_determinismE0ELb1ES3_N6thrust23THRUST_200600_302600_NS6detail15normal_iteratorINS9_10device_ptrIiEEEENSB_INSC_IjEEEESE_fNS9_4plusIvEENS9_8equal_toIvEEfEE10hipError_tPvRmT2_T3_T4_T5_mT6_T7_P12ihipStream_tbENKUlT_T0_E_clISt17integral_constantIbLb1EES10_IbLb0EEEEDaSW_SX_EUlSW_E_NS1_11comp_targetILNS1_3genE10ELNS1_11target_archE1201ELNS1_3gpuE5ELNS1_3repE0EEENS1_30default_config_static_selectorELNS0_4arch9wavefront6targetE0EEEvT1_.num_agpr, 0
	.set _ZN7rocprim17ROCPRIM_400000_NS6detail17trampoline_kernelINS0_14default_configENS1_27scan_by_key_config_selectorIifEEZZNS1_16scan_by_key_implILNS1_25lookback_scan_determinismE0ELb1ES3_N6thrust23THRUST_200600_302600_NS6detail15normal_iteratorINS9_10device_ptrIiEEEENSB_INSC_IjEEEESE_fNS9_4plusIvEENS9_8equal_toIvEEfEE10hipError_tPvRmT2_T3_T4_T5_mT6_T7_P12ihipStream_tbENKUlT_T0_E_clISt17integral_constantIbLb1EES10_IbLb0EEEEDaSW_SX_EUlSW_E_NS1_11comp_targetILNS1_3genE10ELNS1_11target_archE1201ELNS1_3gpuE5ELNS1_3repE0EEENS1_30default_config_static_selectorELNS0_4arch9wavefront6targetE0EEEvT1_.numbered_sgpr, 0
	.set _ZN7rocprim17ROCPRIM_400000_NS6detail17trampoline_kernelINS0_14default_configENS1_27scan_by_key_config_selectorIifEEZZNS1_16scan_by_key_implILNS1_25lookback_scan_determinismE0ELb1ES3_N6thrust23THRUST_200600_302600_NS6detail15normal_iteratorINS9_10device_ptrIiEEEENSB_INSC_IjEEEESE_fNS9_4plusIvEENS9_8equal_toIvEEfEE10hipError_tPvRmT2_T3_T4_T5_mT6_T7_P12ihipStream_tbENKUlT_T0_E_clISt17integral_constantIbLb1EES10_IbLb0EEEEDaSW_SX_EUlSW_E_NS1_11comp_targetILNS1_3genE10ELNS1_11target_archE1201ELNS1_3gpuE5ELNS1_3repE0EEENS1_30default_config_static_selectorELNS0_4arch9wavefront6targetE0EEEvT1_.num_named_barrier, 0
	.set _ZN7rocprim17ROCPRIM_400000_NS6detail17trampoline_kernelINS0_14default_configENS1_27scan_by_key_config_selectorIifEEZZNS1_16scan_by_key_implILNS1_25lookback_scan_determinismE0ELb1ES3_N6thrust23THRUST_200600_302600_NS6detail15normal_iteratorINS9_10device_ptrIiEEEENSB_INSC_IjEEEESE_fNS9_4plusIvEENS9_8equal_toIvEEfEE10hipError_tPvRmT2_T3_T4_T5_mT6_T7_P12ihipStream_tbENKUlT_T0_E_clISt17integral_constantIbLb1EES10_IbLb0EEEEDaSW_SX_EUlSW_E_NS1_11comp_targetILNS1_3genE10ELNS1_11target_archE1201ELNS1_3gpuE5ELNS1_3repE0EEENS1_30default_config_static_selectorELNS0_4arch9wavefront6targetE0EEEvT1_.private_seg_size, 0
	.set _ZN7rocprim17ROCPRIM_400000_NS6detail17trampoline_kernelINS0_14default_configENS1_27scan_by_key_config_selectorIifEEZZNS1_16scan_by_key_implILNS1_25lookback_scan_determinismE0ELb1ES3_N6thrust23THRUST_200600_302600_NS6detail15normal_iteratorINS9_10device_ptrIiEEEENSB_INSC_IjEEEESE_fNS9_4plusIvEENS9_8equal_toIvEEfEE10hipError_tPvRmT2_T3_T4_T5_mT6_T7_P12ihipStream_tbENKUlT_T0_E_clISt17integral_constantIbLb1EES10_IbLb0EEEEDaSW_SX_EUlSW_E_NS1_11comp_targetILNS1_3genE10ELNS1_11target_archE1201ELNS1_3gpuE5ELNS1_3repE0EEENS1_30default_config_static_selectorELNS0_4arch9wavefront6targetE0EEEvT1_.uses_vcc, 0
	.set _ZN7rocprim17ROCPRIM_400000_NS6detail17trampoline_kernelINS0_14default_configENS1_27scan_by_key_config_selectorIifEEZZNS1_16scan_by_key_implILNS1_25lookback_scan_determinismE0ELb1ES3_N6thrust23THRUST_200600_302600_NS6detail15normal_iteratorINS9_10device_ptrIiEEEENSB_INSC_IjEEEESE_fNS9_4plusIvEENS9_8equal_toIvEEfEE10hipError_tPvRmT2_T3_T4_T5_mT6_T7_P12ihipStream_tbENKUlT_T0_E_clISt17integral_constantIbLb1EES10_IbLb0EEEEDaSW_SX_EUlSW_E_NS1_11comp_targetILNS1_3genE10ELNS1_11target_archE1201ELNS1_3gpuE5ELNS1_3repE0EEENS1_30default_config_static_selectorELNS0_4arch9wavefront6targetE0EEEvT1_.uses_flat_scratch, 0
	.set _ZN7rocprim17ROCPRIM_400000_NS6detail17trampoline_kernelINS0_14default_configENS1_27scan_by_key_config_selectorIifEEZZNS1_16scan_by_key_implILNS1_25lookback_scan_determinismE0ELb1ES3_N6thrust23THRUST_200600_302600_NS6detail15normal_iteratorINS9_10device_ptrIiEEEENSB_INSC_IjEEEESE_fNS9_4plusIvEENS9_8equal_toIvEEfEE10hipError_tPvRmT2_T3_T4_T5_mT6_T7_P12ihipStream_tbENKUlT_T0_E_clISt17integral_constantIbLb1EES10_IbLb0EEEEDaSW_SX_EUlSW_E_NS1_11comp_targetILNS1_3genE10ELNS1_11target_archE1201ELNS1_3gpuE5ELNS1_3repE0EEENS1_30default_config_static_selectorELNS0_4arch9wavefront6targetE0EEEvT1_.has_dyn_sized_stack, 0
	.set _ZN7rocprim17ROCPRIM_400000_NS6detail17trampoline_kernelINS0_14default_configENS1_27scan_by_key_config_selectorIifEEZZNS1_16scan_by_key_implILNS1_25lookback_scan_determinismE0ELb1ES3_N6thrust23THRUST_200600_302600_NS6detail15normal_iteratorINS9_10device_ptrIiEEEENSB_INSC_IjEEEESE_fNS9_4plusIvEENS9_8equal_toIvEEfEE10hipError_tPvRmT2_T3_T4_T5_mT6_T7_P12ihipStream_tbENKUlT_T0_E_clISt17integral_constantIbLb1EES10_IbLb0EEEEDaSW_SX_EUlSW_E_NS1_11comp_targetILNS1_3genE10ELNS1_11target_archE1201ELNS1_3gpuE5ELNS1_3repE0EEENS1_30default_config_static_selectorELNS0_4arch9wavefront6targetE0EEEvT1_.has_recursion, 0
	.set _ZN7rocprim17ROCPRIM_400000_NS6detail17trampoline_kernelINS0_14default_configENS1_27scan_by_key_config_selectorIifEEZZNS1_16scan_by_key_implILNS1_25lookback_scan_determinismE0ELb1ES3_N6thrust23THRUST_200600_302600_NS6detail15normal_iteratorINS9_10device_ptrIiEEEENSB_INSC_IjEEEESE_fNS9_4plusIvEENS9_8equal_toIvEEfEE10hipError_tPvRmT2_T3_T4_T5_mT6_T7_P12ihipStream_tbENKUlT_T0_E_clISt17integral_constantIbLb1EES10_IbLb0EEEEDaSW_SX_EUlSW_E_NS1_11comp_targetILNS1_3genE10ELNS1_11target_archE1201ELNS1_3gpuE5ELNS1_3repE0EEENS1_30default_config_static_selectorELNS0_4arch9wavefront6targetE0EEEvT1_.has_indirect_call, 0
	.section	.AMDGPU.csdata,"",@progbits
; Kernel info:
; codeLenInByte = 0
; TotalNumSgprs: 0
; NumVgprs: 0
; ScratchSize: 0
; MemoryBound: 0
; FloatMode: 240
; IeeeMode: 1
; LDSByteSize: 0 bytes/workgroup (compile time only)
; SGPRBlocks: 0
; VGPRBlocks: 0
; NumSGPRsForWavesPerEU: 1
; NumVGPRsForWavesPerEU: 1
; Occupancy: 16
; WaveLimiterHint : 0
; COMPUTE_PGM_RSRC2:SCRATCH_EN: 0
; COMPUTE_PGM_RSRC2:USER_SGPR: 6
; COMPUTE_PGM_RSRC2:TRAP_HANDLER: 0
; COMPUTE_PGM_RSRC2:TGID_X_EN: 1
; COMPUTE_PGM_RSRC2:TGID_Y_EN: 0
; COMPUTE_PGM_RSRC2:TGID_Z_EN: 0
; COMPUTE_PGM_RSRC2:TIDIG_COMP_CNT: 0
	.section	.text._ZN7rocprim17ROCPRIM_400000_NS6detail17trampoline_kernelINS0_14default_configENS1_27scan_by_key_config_selectorIifEEZZNS1_16scan_by_key_implILNS1_25lookback_scan_determinismE0ELb1ES3_N6thrust23THRUST_200600_302600_NS6detail15normal_iteratorINS9_10device_ptrIiEEEENSB_INSC_IjEEEESE_fNS9_4plusIvEENS9_8equal_toIvEEfEE10hipError_tPvRmT2_T3_T4_T5_mT6_T7_P12ihipStream_tbENKUlT_T0_E_clISt17integral_constantIbLb1EES10_IbLb0EEEEDaSW_SX_EUlSW_E_NS1_11comp_targetILNS1_3genE5ELNS1_11target_archE942ELNS1_3gpuE9ELNS1_3repE0EEENS1_30default_config_static_selectorELNS0_4arch9wavefront6targetE0EEEvT1_,"axG",@progbits,_ZN7rocprim17ROCPRIM_400000_NS6detail17trampoline_kernelINS0_14default_configENS1_27scan_by_key_config_selectorIifEEZZNS1_16scan_by_key_implILNS1_25lookback_scan_determinismE0ELb1ES3_N6thrust23THRUST_200600_302600_NS6detail15normal_iteratorINS9_10device_ptrIiEEEENSB_INSC_IjEEEESE_fNS9_4plusIvEENS9_8equal_toIvEEfEE10hipError_tPvRmT2_T3_T4_T5_mT6_T7_P12ihipStream_tbENKUlT_T0_E_clISt17integral_constantIbLb1EES10_IbLb0EEEEDaSW_SX_EUlSW_E_NS1_11comp_targetILNS1_3genE5ELNS1_11target_archE942ELNS1_3gpuE9ELNS1_3repE0EEENS1_30default_config_static_selectorELNS0_4arch9wavefront6targetE0EEEvT1_,comdat
	.protected	_ZN7rocprim17ROCPRIM_400000_NS6detail17trampoline_kernelINS0_14default_configENS1_27scan_by_key_config_selectorIifEEZZNS1_16scan_by_key_implILNS1_25lookback_scan_determinismE0ELb1ES3_N6thrust23THRUST_200600_302600_NS6detail15normal_iteratorINS9_10device_ptrIiEEEENSB_INSC_IjEEEESE_fNS9_4plusIvEENS9_8equal_toIvEEfEE10hipError_tPvRmT2_T3_T4_T5_mT6_T7_P12ihipStream_tbENKUlT_T0_E_clISt17integral_constantIbLb1EES10_IbLb0EEEEDaSW_SX_EUlSW_E_NS1_11comp_targetILNS1_3genE5ELNS1_11target_archE942ELNS1_3gpuE9ELNS1_3repE0EEENS1_30default_config_static_selectorELNS0_4arch9wavefront6targetE0EEEvT1_ ; -- Begin function _ZN7rocprim17ROCPRIM_400000_NS6detail17trampoline_kernelINS0_14default_configENS1_27scan_by_key_config_selectorIifEEZZNS1_16scan_by_key_implILNS1_25lookback_scan_determinismE0ELb1ES3_N6thrust23THRUST_200600_302600_NS6detail15normal_iteratorINS9_10device_ptrIiEEEENSB_INSC_IjEEEESE_fNS9_4plusIvEENS9_8equal_toIvEEfEE10hipError_tPvRmT2_T3_T4_T5_mT6_T7_P12ihipStream_tbENKUlT_T0_E_clISt17integral_constantIbLb1EES10_IbLb0EEEEDaSW_SX_EUlSW_E_NS1_11comp_targetILNS1_3genE5ELNS1_11target_archE942ELNS1_3gpuE9ELNS1_3repE0EEENS1_30default_config_static_selectorELNS0_4arch9wavefront6targetE0EEEvT1_
	.globl	_ZN7rocprim17ROCPRIM_400000_NS6detail17trampoline_kernelINS0_14default_configENS1_27scan_by_key_config_selectorIifEEZZNS1_16scan_by_key_implILNS1_25lookback_scan_determinismE0ELb1ES3_N6thrust23THRUST_200600_302600_NS6detail15normal_iteratorINS9_10device_ptrIiEEEENSB_INSC_IjEEEESE_fNS9_4plusIvEENS9_8equal_toIvEEfEE10hipError_tPvRmT2_T3_T4_T5_mT6_T7_P12ihipStream_tbENKUlT_T0_E_clISt17integral_constantIbLb1EES10_IbLb0EEEEDaSW_SX_EUlSW_E_NS1_11comp_targetILNS1_3genE5ELNS1_11target_archE942ELNS1_3gpuE9ELNS1_3repE0EEENS1_30default_config_static_selectorELNS0_4arch9wavefront6targetE0EEEvT1_
	.p2align	8
	.type	_ZN7rocprim17ROCPRIM_400000_NS6detail17trampoline_kernelINS0_14default_configENS1_27scan_by_key_config_selectorIifEEZZNS1_16scan_by_key_implILNS1_25lookback_scan_determinismE0ELb1ES3_N6thrust23THRUST_200600_302600_NS6detail15normal_iteratorINS9_10device_ptrIiEEEENSB_INSC_IjEEEESE_fNS9_4plusIvEENS9_8equal_toIvEEfEE10hipError_tPvRmT2_T3_T4_T5_mT6_T7_P12ihipStream_tbENKUlT_T0_E_clISt17integral_constantIbLb1EES10_IbLb0EEEEDaSW_SX_EUlSW_E_NS1_11comp_targetILNS1_3genE5ELNS1_11target_archE942ELNS1_3gpuE9ELNS1_3repE0EEENS1_30default_config_static_selectorELNS0_4arch9wavefront6targetE0EEEvT1_,@function
_ZN7rocprim17ROCPRIM_400000_NS6detail17trampoline_kernelINS0_14default_configENS1_27scan_by_key_config_selectorIifEEZZNS1_16scan_by_key_implILNS1_25lookback_scan_determinismE0ELb1ES3_N6thrust23THRUST_200600_302600_NS6detail15normal_iteratorINS9_10device_ptrIiEEEENSB_INSC_IjEEEESE_fNS9_4plusIvEENS9_8equal_toIvEEfEE10hipError_tPvRmT2_T3_T4_T5_mT6_T7_P12ihipStream_tbENKUlT_T0_E_clISt17integral_constantIbLb1EES10_IbLb0EEEEDaSW_SX_EUlSW_E_NS1_11comp_targetILNS1_3genE5ELNS1_11target_archE942ELNS1_3gpuE9ELNS1_3repE0EEENS1_30default_config_static_selectorELNS0_4arch9wavefront6targetE0EEEvT1_: ; @_ZN7rocprim17ROCPRIM_400000_NS6detail17trampoline_kernelINS0_14default_configENS1_27scan_by_key_config_selectorIifEEZZNS1_16scan_by_key_implILNS1_25lookback_scan_determinismE0ELb1ES3_N6thrust23THRUST_200600_302600_NS6detail15normal_iteratorINS9_10device_ptrIiEEEENSB_INSC_IjEEEESE_fNS9_4plusIvEENS9_8equal_toIvEEfEE10hipError_tPvRmT2_T3_T4_T5_mT6_T7_P12ihipStream_tbENKUlT_T0_E_clISt17integral_constantIbLb1EES10_IbLb0EEEEDaSW_SX_EUlSW_E_NS1_11comp_targetILNS1_3genE5ELNS1_11target_archE942ELNS1_3gpuE9ELNS1_3repE0EEENS1_30default_config_static_selectorELNS0_4arch9wavefront6targetE0EEEvT1_
; %bb.0:
	.section	.rodata,"a",@progbits
	.p2align	6, 0x0
	.amdhsa_kernel _ZN7rocprim17ROCPRIM_400000_NS6detail17trampoline_kernelINS0_14default_configENS1_27scan_by_key_config_selectorIifEEZZNS1_16scan_by_key_implILNS1_25lookback_scan_determinismE0ELb1ES3_N6thrust23THRUST_200600_302600_NS6detail15normal_iteratorINS9_10device_ptrIiEEEENSB_INSC_IjEEEESE_fNS9_4plusIvEENS9_8equal_toIvEEfEE10hipError_tPvRmT2_T3_T4_T5_mT6_T7_P12ihipStream_tbENKUlT_T0_E_clISt17integral_constantIbLb1EES10_IbLb0EEEEDaSW_SX_EUlSW_E_NS1_11comp_targetILNS1_3genE5ELNS1_11target_archE942ELNS1_3gpuE9ELNS1_3repE0EEENS1_30default_config_static_selectorELNS0_4arch9wavefront6targetE0EEEvT1_
		.amdhsa_group_segment_fixed_size 0
		.amdhsa_private_segment_fixed_size 0
		.amdhsa_kernarg_size 112
		.amdhsa_user_sgpr_count 6
		.amdhsa_user_sgpr_private_segment_buffer 1
		.amdhsa_user_sgpr_dispatch_ptr 0
		.amdhsa_user_sgpr_queue_ptr 0
		.amdhsa_user_sgpr_kernarg_segment_ptr 1
		.amdhsa_user_sgpr_dispatch_id 0
		.amdhsa_user_sgpr_flat_scratch_init 0
		.amdhsa_user_sgpr_private_segment_size 0
		.amdhsa_wavefront_size32 1
		.amdhsa_uses_dynamic_stack 0
		.amdhsa_system_sgpr_private_segment_wavefront_offset 0
		.amdhsa_system_sgpr_workgroup_id_x 1
		.amdhsa_system_sgpr_workgroup_id_y 0
		.amdhsa_system_sgpr_workgroup_id_z 0
		.amdhsa_system_sgpr_workgroup_info 0
		.amdhsa_system_vgpr_workitem_id 0
		.amdhsa_next_free_vgpr 1
		.amdhsa_next_free_sgpr 1
		.amdhsa_reserve_vcc 0
		.amdhsa_reserve_flat_scratch 0
		.amdhsa_float_round_mode_32 0
		.amdhsa_float_round_mode_16_64 0
		.amdhsa_float_denorm_mode_32 3
		.amdhsa_float_denorm_mode_16_64 3
		.amdhsa_dx10_clamp 1
		.amdhsa_ieee_mode 1
		.amdhsa_fp16_overflow 0
		.amdhsa_workgroup_processor_mode 1
		.amdhsa_memory_ordered 1
		.amdhsa_forward_progress 1
		.amdhsa_shared_vgpr_count 0
		.amdhsa_exception_fp_ieee_invalid_op 0
		.amdhsa_exception_fp_denorm_src 0
		.amdhsa_exception_fp_ieee_div_zero 0
		.amdhsa_exception_fp_ieee_overflow 0
		.amdhsa_exception_fp_ieee_underflow 0
		.amdhsa_exception_fp_ieee_inexact 0
		.amdhsa_exception_int_div_zero 0
	.end_amdhsa_kernel
	.section	.text._ZN7rocprim17ROCPRIM_400000_NS6detail17trampoline_kernelINS0_14default_configENS1_27scan_by_key_config_selectorIifEEZZNS1_16scan_by_key_implILNS1_25lookback_scan_determinismE0ELb1ES3_N6thrust23THRUST_200600_302600_NS6detail15normal_iteratorINS9_10device_ptrIiEEEENSB_INSC_IjEEEESE_fNS9_4plusIvEENS9_8equal_toIvEEfEE10hipError_tPvRmT2_T3_T4_T5_mT6_T7_P12ihipStream_tbENKUlT_T0_E_clISt17integral_constantIbLb1EES10_IbLb0EEEEDaSW_SX_EUlSW_E_NS1_11comp_targetILNS1_3genE5ELNS1_11target_archE942ELNS1_3gpuE9ELNS1_3repE0EEENS1_30default_config_static_selectorELNS0_4arch9wavefront6targetE0EEEvT1_,"axG",@progbits,_ZN7rocprim17ROCPRIM_400000_NS6detail17trampoline_kernelINS0_14default_configENS1_27scan_by_key_config_selectorIifEEZZNS1_16scan_by_key_implILNS1_25lookback_scan_determinismE0ELb1ES3_N6thrust23THRUST_200600_302600_NS6detail15normal_iteratorINS9_10device_ptrIiEEEENSB_INSC_IjEEEESE_fNS9_4plusIvEENS9_8equal_toIvEEfEE10hipError_tPvRmT2_T3_T4_T5_mT6_T7_P12ihipStream_tbENKUlT_T0_E_clISt17integral_constantIbLb1EES10_IbLb0EEEEDaSW_SX_EUlSW_E_NS1_11comp_targetILNS1_3genE5ELNS1_11target_archE942ELNS1_3gpuE9ELNS1_3repE0EEENS1_30default_config_static_selectorELNS0_4arch9wavefront6targetE0EEEvT1_,comdat
.Lfunc_end1808:
	.size	_ZN7rocprim17ROCPRIM_400000_NS6detail17trampoline_kernelINS0_14default_configENS1_27scan_by_key_config_selectorIifEEZZNS1_16scan_by_key_implILNS1_25lookback_scan_determinismE0ELb1ES3_N6thrust23THRUST_200600_302600_NS6detail15normal_iteratorINS9_10device_ptrIiEEEENSB_INSC_IjEEEESE_fNS9_4plusIvEENS9_8equal_toIvEEfEE10hipError_tPvRmT2_T3_T4_T5_mT6_T7_P12ihipStream_tbENKUlT_T0_E_clISt17integral_constantIbLb1EES10_IbLb0EEEEDaSW_SX_EUlSW_E_NS1_11comp_targetILNS1_3genE5ELNS1_11target_archE942ELNS1_3gpuE9ELNS1_3repE0EEENS1_30default_config_static_selectorELNS0_4arch9wavefront6targetE0EEEvT1_, .Lfunc_end1808-_ZN7rocprim17ROCPRIM_400000_NS6detail17trampoline_kernelINS0_14default_configENS1_27scan_by_key_config_selectorIifEEZZNS1_16scan_by_key_implILNS1_25lookback_scan_determinismE0ELb1ES3_N6thrust23THRUST_200600_302600_NS6detail15normal_iteratorINS9_10device_ptrIiEEEENSB_INSC_IjEEEESE_fNS9_4plusIvEENS9_8equal_toIvEEfEE10hipError_tPvRmT2_T3_T4_T5_mT6_T7_P12ihipStream_tbENKUlT_T0_E_clISt17integral_constantIbLb1EES10_IbLb0EEEEDaSW_SX_EUlSW_E_NS1_11comp_targetILNS1_3genE5ELNS1_11target_archE942ELNS1_3gpuE9ELNS1_3repE0EEENS1_30default_config_static_selectorELNS0_4arch9wavefront6targetE0EEEvT1_
                                        ; -- End function
	.set _ZN7rocprim17ROCPRIM_400000_NS6detail17trampoline_kernelINS0_14default_configENS1_27scan_by_key_config_selectorIifEEZZNS1_16scan_by_key_implILNS1_25lookback_scan_determinismE0ELb1ES3_N6thrust23THRUST_200600_302600_NS6detail15normal_iteratorINS9_10device_ptrIiEEEENSB_INSC_IjEEEESE_fNS9_4plusIvEENS9_8equal_toIvEEfEE10hipError_tPvRmT2_T3_T4_T5_mT6_T7_P12ihipStream_tbENKUlT_T0_E_clISt17integral_constantIbLb1EES10_IbLb0EEEEDaSW_SX_EUlSW_E_NS1_11comp_targetILNS1_3genE5ELNS1_11target_archE942ELNS1_3gpuE9ELNS1_3repE0EEENS1_30default_config_static_selectorELNS0_4arch9wavefront6targetE0EEEvT1_.num_vgpr, 0
	.set _ZN7rocprim17ROCPRIM_400000_NS6detail17trampoline_kernelINS0_14default_configENS1_27scan_by_key_config_selectorIifEEZZNS1_16scan_by_key_implILNS1_25lookback_scan_determinismE0ELb1ES3_N6thrust23THRUST_200600_302600_NS6detail15normal_iteratorINS9_10device_ptrIiEEEENSB_INSC_IjEEEESE_fNS9_4plusIvEENS9_8equal_toIvEEfEE10hipError_tPvRmT2_T3_T4_T5_mT6_T7_P12ihipStream_tbENKUlT_T0_E_clISt17integral_constantIbLb1EES10_IbLb0EEEEDaSW_SX_EUlSW_E_NS1_11comp_targetILNS1_3genE5ELNS1_11target_archE942ELNS1_3gpuE9ELNS1_3repE0EEENS1_30default_config_static_selectorELNS0_4arch9wavefront6targetE0EEEvT1_.num_agpr, 0
	.set _ZN7rocprim17ROCPRIM_400000_NS6detail17trampoline_kernelINS0_14default_configENS1_27scan_by_key_config_selectorIifEEZZNS1_16scan_by_key_implILNS1_25lookback_scan_determinismE0ELb1ES3_N6thrust23THRUST_200600_302600_NS6detail15normal_iteratorINS9_10device_ptrIiEEEENSB_INSC_IjEEEESE_fNS9_4plusIvEENS9_8equal_toIvEEfEE10hipError_tPvRmT2_T3_T4_T5_mT6_T7_P12ihipStream_tbENKUlT_T0_E_clISt17integral_constantIbLb1EES10_IbLb0EEEEDaSW_SX_EUlSW_E_NS1_11comp_targetILNS1_3genE5ELNS1_11target_archE942ELNS1_3gpuE9ELNS1_3repE0EEENS1_30default_config_static_selectorELNS0_4arch9wavefront6targetE0EEEvT1_.numbered_sgpr, 0
	.set _ZN7rocprim17ROCPRIM_400000_NS6detail17trampoline_kernelINS0_14default_configENS1_27scan_by_key_config_selectorIifEEZZNS1_16scan_by_key_implILNS1_25lookback_scan_determinismE0ELb1ES3_N6thrust23THRUST_200600_302600_NS6detail15normal_iteratorINS9_10device_ptrIiEEEENSB_INSC_IjEEEESE_fNS9_4plusIvEENS9_8equal_toIvEEfEE10hipError_tPvRmT2_T3_T4_T5_mT6_T7_P12ihipStream_tbENKUlT_T0_E_clISt17integral_constantIbLb1EES10_IbLb0EEEEDaSW_SX_EUlSW_E_NS1_11comp_targetILNS1_3genE5ELNS1_11target_archE942ELNS1_3gpuE9ELNS1_3repE0EEENS1_30default_config_static_selectorELNS0_4arch9wavefront6targetE0EEEvT1_.num_named_barrier, 0
	.set _ZN7rocprim17ROCPRIM_400000_NS6detail17trampoline_kernelINS0_14default_configENS1_27scan_by_key_config_selectorIifEEZZNS1_16scan_by_key_implILNS1_25lookback_scan_determinismE0ELb1ES3_N6thrust23THRUST_200600_302600_NS6detail15normal_iteratorINS9_10device_ptrIiEEEENSB_INSC_IjEEEESE_fNS9_4plusIvEENS9_8equal_toIvEEfEE10hipError_tPvRmT2_T3_T4_T5_mT6_T7_P12ihipStream_tbENKUlT_T0_E_clISt17integral_constantIbLb1EES10_IbLb0EEEEDaSW_SX_EUlSW_E_NS1_11comp_targetILNS1_3genE5ELNS1_11target_archE942ELNS1_3gpuE9ELNS1_3repE0EEENS1_30default_config_static_selectorELNS0_4arch9wavefront6targetE0EEEvT1_.private_seg_size, 0
	.set _ZN7rocprim17ROCPRIM_400000_NS6detail17trampoline_kernelINS0_14default_configENS1_27scan_by_key_config_selectorIifEEZZNS1_16scan_by_key_implILNS1_25lookback_scan_determinismE0ELb1ES3_N6thrust23THRUST_200600_302600_NS6detail15normal_iteratorINS9_10device_ptrIiEEEENSB_INSC_IjEEEESE_fNS9_4plusIvEENS9_8equal_toIvEEfEE10hipError_tPvRmT2_T3_T4_T5_mT6_T7_P12ihipStream_tbENKUlT_T0_E_clISt17integral_constantIbLb1EES10_IbLb0EEEEDaSW_SX_EUlSW_E_NS1_11comp_targetILNS1_3genE5ELNS1_11target_archE942ELNS1_3gpuE9ELNS1_3repE0EEENS1_30default_config_static_selectorELNS0_4arch9wavefront6targetE0EEEvT1_.uses_vcc, 0
	.set _ZN7rocprim17ROCPRIM_400000_NS6detail17trampoline_kernelINS0_14default_configENS1_27scan_by_key_config_selectorIifEEZZNS1_16scan_by_key_implILNS1_25lookback_scan_determinismE0ELb1ES3_N6thrust23THRUST_200600_302600_NS6detail15normal_iteratorINS9_10device_ptrIiEEEENSB_INSC_IjEEEESE_fNS9_4plusIvEENS9_8equal_toIvEEfEE10hipError_tPvRmT2_T3_T4_T5_mT6_T7_P12ihipStream_tbENKUlT_T0_E_clISt17integral_constantIbLb1EES10_IbLb0EEEEDaSW_SX_EUlSW_E_NS1_11comp_targetILNS1_3genE5ELNS1_11target_archE942ELNS1_3gpuE9ELNS1_3repE0EEENS1_30default_config_static_selectorELNS0_4arch9wavefront6targetE0EEEvT1_.uses_flat_scratch, 0
	.set _ZN7rocprim17ROCPRIM_400000_NS6detail17trampoline_kernelINS0_14default_configENS1_27scan_by_key_config_selectorIifEEZZNS1_16scan_by_key_implILNS1_25lookback_scan_determinismE0ELb1ES3_N6thrust23THRUST_200600_302600_NS6detail15normal_iteratorINS9_10device_ptrIiEEEENSB_INSC_IjEEEESE_fNS9_4plusIvEENS9_8equal_toIvEEfEE10hipError_tPvRmT2_T3_T4_T5_mT6_T7_P12ihipStream_tbENKUlT_T0_E_clISt17integral_constantIbLb1EES10_IbLb0EEEEDaSW_SX_EUlSW_E_NS1_11comp_targetILNS1_3genE5ELNS1_11target_archE942ELNS1_3gpuE9ELNS1_3repE0EEENS1_30default_config_static_selectorELNS0_4arch9wavefront6targetE0EEEvT1_.has_dyn_sized_stack, 0
	.set _ZN7rocprim17ROCPRIM_400000_NS6detail17trampoline_kernelINS0_14default_configENS1_27scan_by_key_config_selectorIifEEZZNS1_16scan_by_key_implILNS1_25lookback_scan_determinismE0ELb1ES3_N6thrust23THRUST_200600_302600_NS6detail15normal_iteratorINS9_10device_ptrIiEEEENSB_INSC_IjEEEESE_fNS9_4plusIvEENS9_8equal_toIvEEfEE10hipError_tPvRmT2_T3_T4_T5_mT6_T7_P12ihipStream_tbENKUlT_T0_E_clISt17integral_constantIbLb1EES10_IbLb0EEEEDaSW_SX_EUlSW_E_NS1_11comp_targetILNS1_3genE5ELNS1_11target_archE942ELNS1_3gpuE9ELNS1_3repE0EEENS1_30default_config_static_selectorELNS0_4arch9wavefront6targetE0EEEvT1_.has_recursion, 0
	.set _ZN7rocprim17ROCPRIM_400000_NS6detail17trampoline_kernelINS0_14default_configENS1_27scan_by_key_config_selectorIifEEZZNS1_16scan_by_key_implILNS1_25lookback_scan_determinismE0ELb1ES3_N6thrust23THRUST_200600_302600_NS6detail15normal_iteratorINS9_10device_ptrIiEEEENSB_INSC_IjEEEESE_fNS9_4plusIvEENS9_8equal_toIvEEfEE10hipError_tPvRmT2_T3_T4_T5_mT6_T7_P12ihipStream_tbENKUlT_T0_E_clISt17integral_constantIbLb1EES10_IbLb0EEEEDaSW_SX_EUlSW_E_NS1_11comp_targetILNS1_3genE5ELNS1_11target_archE942ELNS1_3gpuE9ELNS1_3repE0EEENS1_30default_config_static_selectorELNS0_4arch9wavefront6targetE0EEEvT1_.has_indirect_call, 0
	.section	.AMDGPU.csdata,"",@progbits
; Kernel info:
; codeLenInByte = 0
; TotalNumSgprs: 0
; NumVgprs: 0
; ScratchSize: 0
; MemoryBound: 0
; FloatMode: 240
; IeeeMode: 1
; LDSByteSize: 0 bytes/workgroup (compile time only)
; SGPRBlocks: 0
; VGPRBlocks: 0
; NumSGPRsForWavesPerEU: 1
; NumVGPRsForWavesPerEU: 1
; Occupancy: 16
; WaveLimiterHint : 0
; COMPUTE_PGM_RSRC2:SCRATCH_EN: 0
; COMPUTE_PGM_RSRC2:USER_SGPR: 6
; COMPUTE_PGM_RSRC2:TRAP_HANDLER: 0
; COMPUTE_PGM_RSRC2:TGID_X_EN: 1
; COMPUTE_PGM_RSRC2:TGID_Y_EN: 0
; COMPUTE_PGM_RSRC2:TGID_Z_EN: 0
; COMPUTE_PGM_RSRC2:TIDIG_COMP_CNT: 0
	.section	.text._ZN7rocprim17ROCPRIM_400000_NS6detail17trampoline_kernelINS0_14default_configENS1_27scan_by_key_config_selectorIifEEZZNS1_16scan_by_key_implILNS1_25lookback_scan_determinismE0ELb1ES3_N6thrust23THRUST_200600_302600_NS6detail15normal_iteratorINS9_10device_ptrIiEEEENSB_INSC_IjEEEESE_fNS9_4plusIvEENS9_8equal_toIvEEfEE10hipError_tPvRmT2_T3_T4_T5_mT6_T7_P12ihipStream_tbENKUlT_T0_E_clISt17integral_constantIbLb1EES10_IbLb0EEEEDaSW_SX_EUlSW_E_NS1_11comp_targetILNS1_3genE4ELNS1_11target_archE910ELNS1_3gpuE8ELNS1_3repE0EEENS1_30default_config_static_selectorELNS0_4arch9wavefront6targetE0EEEvT1_,"axG",@progbits,_ZN7rocprim17ROCPRIM_400000_NS6detail17trampoline_kernelINS0_14default_configENS1_27scan_by_key_config_selectorIifEEZZNS1_16scan_by_key_implILNS1_25lookback_scan_determinismE0ELb1ES3_N6thrust23THRUST_200600_302600_NS6detail15normal_iteratorINS9_10device_ptrIiEEEENSB_INSC_IjEEEESE_fNS9_4plusIvEENS9_8equal_toIvEEfEE10hipError_tPvRmT2_T3_T4_T5_mT6_T7_P12ihipStream_tbENKUlT_T0_E_clISt17integral_constantIbLb1EES10_IbLb0EEEEDaSW_SX_EUlSW_E_NS1_11comp_targetILNS1_3genE4ELNS1_11target_archE910ELNS1_3gpuE8ELNS1_3repE0EEENS1_30default_config_static_selectorELNS0_4arch9wavefront6targetE0EEEvT1_,comdat
	.protected	_ZN7rocprim17ROCPRIM_400000_NS6detail17trampoline_kernelINS0_14default_configENS1_27scan_by_key_config_selectorIifEEZZNS1_16scan_by_key_implILNS1_25lookback_scan_determinismE0ELb1ES3_N6thrust23THRUST_200600_302600_NS6detail15normal_iteratorINS9_10device_ptrIiEEEENSB_INSC_IjEEEESE_fNS9_4plusIvEENS9_8equal_toIvEEfEE10hipError_tPvRmT2_T3_T4_T5_mT6_T7_P12ihipStream_tbENKUlT_T0_E_clISt17integral_constantIbLb1EES10_IbLb0EEEEDaSW_SX_EUlSW_E_NS1_11comp_targetILNS1_3genE4ELNS1_11target_archE910ELNS1_3gpuE8ELNS1_3repE0EEENS1_30default_config_static_selectorELNS0_4arch9wavefront6targetE0EEEvT1_ ; -- Begin function _ZN7rocprim17ROCPRIM_400000_NS6detail17trampoline_kernelINS0_14default_configENS1_27scan_by_key_config_selectorIifEEZZNS1_16scan_by_key_implILNS1_25lookback_scan_determinismE0ELb1ES3_N6thrust23THRUST_200600_302600_NS6detail15normal_iteratorINS9_10device_ptrIiEEEENSB_INSC_IjEEEESE_fNS9_4plusIvEENS9_8equal_toIvEEfEE10hipError_tPvRmT2_T3_T4_T5_mT6_T7_P12ihipStream_tbENKUlT_T0_E_clISt17integral_constantIbLb1EES10_IbLb0EEEEDaSW_SX_EUlSW_E_NS1_11comp_targetILNS1_3genE4ELNS1_11target_archE910ELNS1_3gpuE8ELNS1_3repE0EEENS1_30default_config_static_selectorELNS0_4arch9wavefront6targetE0EEEvT1_
	.globl	_ZN7rocprim17ROCPRIM_400000_NS6detail17trampoline_kernelINS0_14default_configENS1_27scan_by_key_config_selectorIifEEZZNS1_16scan_by_key_implILNS1_25lookback_scan_determinismE0ELb1ES3_N6thrust23THRUST_200600_302600_NS6detail15normal_iteratorINS9_10device_ptrIiEEEENSB_INSC_IjEEEESE_fNS9_4plusIvEENS9_8equal_toIvEEfEE10hipError_tPvRmT2_T3_T4_T5_mT6_T7_P12ihipStream_tbENKUlT_T0_E_clISt17integral_constantIbLb1EES10_IbLb0EEEEDaSW_SX_EUlSW_E_NS1_11comp_targetILNS1_3genE4ELNS1_11target_archE910ELNS1_3gpuE8ELNS1_3repE0EEENS1_30default_config_static_selectorELNS0_4arch9wavefront6targetE0EEEvT1_
	.p2align	8
	.type	_ZN7rocprim17ROCPRIM_400000_NS6detail17trampoline_kernelINS0_14default_configENS1_27scan_by_key_config_selectorIifEEZZNS1_16scan_by_key_implILNS1_25lookback_scan_determinismE0ELb1ES3_N6thrust23THRUST_200600_302600_NS6detail15normal_iteratorINS9_10device_ptrIiEEEENSB_INSC_IjEEEESE_fNS9_4plusIvEENS9_8equal_toIvEEfEE10hipError_tPvRmT2_T3_T4_T5_mT6_T7_P12ihipStream_tbENKUlT_T0_E_clISt17integral_constantIbLb1EES10_IbLb0EEEEDaSW_SX_EUlSW_E_NS1_11comp_targetILNS1_3genE4ELNS1_11target_archE910ELNS1_3gpuE8ELNS1_3repE0EEENS1_30default_config_static_selectorELNS0_4arch9wavefront6targetE0EEEvT1_,@function
_ZN7rocprim17ROCPRIM_400000_NS6detail17trampoline_kernelINS0_14default_configENS1_27scan_by_key_config_selectorIifEEZZNS1_16scan_by_key_implILNS1_25lookback_scan_determinismE0ELb1ES3_N6thrust23THRUST_200600_302600_NS6detail15normal_iteratorINS9_10device_ptrIiEEEENSB_INSC_IjEEEESE_fNS9_4plusIvEENS9_8equal_toIvEEfEE10hipError_tPvRmT2_T3_T4_T5_mT6_T7_P12ihipStream_tbENKUlT_T0_E_clISt17integral_constantIbLb1EES10_IbLb0EEEEDaSW_SX_EUlSW_E_NS1_11comp_targetILNS1_3genE4ELNS1_11target_archE910ELNS1_3gpuE8ELNS1_3repE0EEENS1_30default_config_static_selectorELNS0_4arch9wavefront6targetE0EEEvT1_: ; @_ZN7rocprim17ROCPRIM_400000_NS6detail17trampoline_kernelINS0_14default_configENS1_27scan_by_key_config_selectorIifEEZZNS1_16scan_by_key_implILNS1_25lookback_scan_determinismE0ELb1ES3_N6thrust23THRUST_200600_302600_NS6detail15normal_iteratorINS9_10device_ptrIiEEEENSB_INSC_IjEEEESE_fNS9_4plusIvEENS9_8equal_toIvEEfEE10hipError_tPvRmT2_T3_T4_T5_mT6_T7_P12ihipStream_tbENKUlT_T0_E_clISt17integral_constantIbLb1EES10_IbLb0EEEEDaSW_SX_EUlSW_E_NS1_11comp_targetILNS1_3genE4ELNS1_11target_archE910ELNS1_3gpuE8ELNS1_3repE0EEENS1_30default_config_static_selectorELNS0_4arch9wavefront6targetE0EEEvT1_
; %bb.0:
	.section	.rodata,"a",@progbits
	.p2align	6, 0x0
	.amdhsa_kernel _ZN7rocprim17ROCPRIM_400000_NS6detail17trampoline_kernelINS0_14default_configENS1_27scan_by_key_config_selectorIifEEZZNS1_16scan_by_key_implILNS1_25lookback_scan_determinismE0ELb1ES3_N6thrust23THRUST_200600_302600_NS6detail15normal_iteratorINS9_10device_ptrIiEEEENSB_INSC_IjEEEESE_fNS9_4plusIvEENS9_8equal_toIvEEfEE10hipError_tPvRmT2_T3_T4_T5_mT6_T7_P12ihipStream_tbENKUlT_T0_E_clISt17integral_constantIbLb1EES10_IbLb0EEEEDaSW_SX_EUlSW_E_NS1_11comp_targetILNS1_3genE4ELNS1_11target_archE910ELNS1_3gpuE8ELNS1_3repE0EEENS1_30default_config_static_selectorELNS0_4arch9wavefront6targetE0EEEvT1_
		.amdhsa_group_segment_fixed_size 0
		.amdhsa_private_segment_fixed_size 0
		.amdhsa_kernarg_size 112
		.amdhsa_user_sgpr_count 6
		.amdhsa_user_sgpr_private_segment_buffer 1
		.amdhsa_user_sgpr_dispatch_ptr 0
		.amdhsa_user_sgpr_queue_ptr 0
		.amdhsa_user_sgpr_kernarg_segment_ptr 1
		.amdhsa_user_sgpr_dispatch_id 0
		.amdhsa_user_sgpr_flat_scratch_init 0
		.amdhsa_user_sgpr_private_segment_size 0
		.amdhsa_wavefront_size32 1
		.amdhsa_uses_dynamic_stack 0
		.amdhsa_system_sgpr_private_segment_wavefront_offset 0
		.amdhsa_system_sgpr_workgroup_id_x 1
		.amdhsa_system_sgpr_workgroup_id_y 0
		.amdhsa_system_sgpr_workgroup_id_z 0
		.amdhsa_system_sgpr_workgroup_info 0
		.amdhsa_system_vgpr_workitem_id 0
		.amdhsa_next_free_vgpr 1
		.amdhsa_next_free_sgpr 1
		.amdhsa_reserve_vcc 0
		.amdhsa_reserve_flat_scratch 0
		.amdhsa_float_round_mode_32 0
		.amdhsa_float_round_mode_16_64 0
		.amdhsa_float_denorm_mode_32 3
		.amdhsa_float_denorm_mode_16_64 3
		.amdhsa_dx10_clamp 1
		.amdhsa_ieee_mode 1
		.amdhsa_fp16_overflow 0
		.amdhsa_workgroup_processor_mode 1
		.amdhsa_memory_ordered 1
		.amdhsa_forward_progress 1
		.amdhsa_shared_vgpr_count 0
		.amdhsa_exception_fp_ieee_invalid_op 0
		.amdhsa_exception_fp_denorm_src 0
		.amdhsa_exception_fp_ieee_div_zero 0
		.amdhsa_exception_fp_ieee_overflow 0
		.amdhsa_exception_fp_ieee_underflow 0
		.amdhsa_exception_fp_ieee_inexact 0
		.amdhsa_exception_int_div_zero 0
	.end_amdhsa_kernel
	.section	.text._ZN7rocprim17ROCPRIM_400000_NS6detail17trampoline_kernelINS0_14default_configENS1_27scan_by_key_config_selectorIifEEZZNS1_16scan_by_key_implILNS1_25lookback_scan_determinismE0ELb1ES3_N6thrust23THRUST_200600_302600_NS6detail15normal_iteratorINS9_10device_ptrIiEEEENSB_INSC_IjEEEESE_fNS9_4plusIvEENS9_8equal_toIvEEfEE10hipError_tPvRmT2_T3_T4_T5_mT6_T7_P12ihipStream_tbENKUlT_T0_E_clISt17integral_constantIbLb1EES10_IbLb0EEEEDaSW_SX_EUlSW_E_NS1_11comp_targetILNS1_3genE4ELNS1_11target_archE910ELNS1_3gpuE8ELNS1_3repE0EEENS1_30default_config_static_selectorELNS0_4arch9wavefront6targetE0EEEvT1_,"axG",@progbits,_ZN7rocprim17ROCPRIM_400000_NS6detail17trampoline_kernelINS0_14default_configENS1_27scan_by_key_config_selectorIifEEZZNS1_16scan_by_key_implILNS1_25lookback_scan_determinismE0ELb1ES3_N6thrust23THRUST_200600_302600_NS6detail15normal_iteratorINS9_10device_ptrIiEEEENSB_INSC_IjEEEESE_fNS9_4plusIvEENS9_8equal_toIvEEfEE10hipError_tPvRmT2_T3_T4_T5_mT6_T7_P12ihipStream_tbENKUlT_T0_E_clISt17integral_constantIbLb1EES10_IbLb0EEEEDaSW_SX_EUlSW_E_NS1_11comp_targetILNS1_3genE4ELNS1_11target_archE910ELNS1_3gpuE8ELNS1_3repE0EEENS1_30default_config_static_selectorELNS0_4arch9wavefront6targetE0EEEvT1_,comdat
.Lfunc_end1809:
	.size	_ZN7rocprim17ROCPRIM_400000_NS6detail17trampoline_kernelINS0_14default_configENS1_27scan_by_key_config_selectorIifEEZZNS1_16scan_by_key_implILNS1_25lookback_scan_determinismE0ELb1ES3_N6thrust23THRUST_200600_302600_NS6detail15normal_iteratorINS9_10device_ptrIiEEEENSB_INSC_IjEEEESE_fNS9_4plusIvEENS9_8equal_toIvEEfEE10hipError_tPvRmT2_T3_T4_T5_mT6_T7_P12ihipStream_tbENKUlT_T0_E_clISt17integral_constantIbLb1EES10_IbLb0EEEEDaSW_SX_EUlSW_E_NS1_11comp_targetILNS1_3genE4ELNS1_11target_archE910ELNS1_3gpuE8ELNS1_3repE0EEENS1_30default_config_static_selectorELNS0_4arch9wavefront6targetE0EEEvT1_, .Lfunc_end1809-_ZN7rocprim17ROCPRIM_400000_NS6detail17trampoline_kernelINS0_14default_configENS1_27scan_by_key_config_selectorIifEEZZNS1_16scan_by_key_implILNS1_25lookback_scan_determinismE0ELb1ES3_N6thrust23THRUST_200600_302600_NS6detail15normal_iteratorINS9_10device_ptrIiEEEENSB_INSC_IjEEEESE_fNS9_4plusIvEENS9_8equal_toIvEEfEE10hipError_tPvRmT2_T3_T4_T5_mT6_T7_P12ihipStream_tbENKUlT_T0_E_clISt17integral_constantIbLb1EES10_IbLb0EEEEDaSW_SX_EUlSW_E_NS1_11comp_targetILNS1_3genE4ELNS1_11target_archE910ELNS1_3gpuE8ELNS1_3repE0EEENS1_30default_config_static_selectorELNS0_4arch9wavefront6targetE0EEEvT1_
                                        ; -- End function
	.set _ZN7rocprim17ROCPRIM_400000_NS6detail17trampoline_kernelINS0_14default_configENS1_27scan_by_key_config_selectorIifEEZZNS1_16scan_by_key_implILNS1_25lookback_scan_determinismE0ELb1ES3_N6thrust23THRUST_200600_302600_NS6detail15normal_iteratorINS9_10device_ptrIiEEEENSB_INSC_IjEEEESE_fNS9_4plusIvEENS9_8equal_toIvEEfEE10hipError_tPvRmT2_T3_T4_T5_mT6_T7_P12ihipStream_tbENKUlT_T0_E_clISt17integral_constantIbLb1EES10_IbLb0EEEEDaSW_SX_EUlSW_E_NS1_11comp_targetILNS1_3genE4ELNS1_11target_archE910ELNS1_3gpuE8ELNS1_3repE0EEENS1_30default_config_static_selectorELNS0_4arch9wavefront6targetE0EEEvT1_.num_vgpr, 0
	.set _ZN7rocprim17ROCPRIM_400000_NS6detail17trampoline_kernelINS0_14default_configENS1_27scan_by_key_config_selectorIifEEZZNS1_16scan_by_key_implILNS1_25lookback_scan_determinismE0ELb1ES3_N6thrust23THRUST_200600_302600_NS6detail15normal_iteratorINS9_10device_ptrIiEEEENSB_INSC_IjEEEESE_fNS9_4plusIvEENS9_8equal_toIvEEfEE10hipError_tPvRmT2_T3_T4_T5_mT6_T7_P12ihipStream_tbENKUlT_T0_E_clISt17integral_constantIbLb1EES10_IbLb0EEEEDaSW_SX_EUlSW_E_NS1_11comp_targetILNS1_3genE4ELNS1_11target_archE910ELNS1_3gpuE8ELNS1_3repE0EEENS1_30default_config_static_selectorELNS0_4arch9wavefront6targetE0EEEvT1_.num_agpr, 0
	.set _ZN7rocprim17ROCPRIM_400000_NS6detail17trampoline_kernelINS0_14default_configENS1_27scan_by_key_config_selectorIifEEZZNS1_16scan_by_key_implILNS1_25lookback_scan_determinismE0ELb1ES3_N6thrust23THRUST_200600_302600_NS6detail15normal_iteratorINS9_10device_ptrIiEEEENSB_INSC_IjEEEESE_fNS9_4plusIvEENS9_8equal_toIvEEfEE10hipError_tPvRmT2_T3_T4_T5_mT6_T7_P12ihipStream_tbENKUlT_T0_E_clISt17integral_constantIbLb1EES10_IbLb0EEEEDaSW_SX_EUlSW_E_NS1_11comp_targetILNS1_3genE4ELNS1_11target_archE910ELNS1_3gpuE8ELNS1_3repE0EEENS1_30default_config_static_selectorELNS0_4arch9wavefront6targetE0EEEvT1_.numbered_sgpr, 0
	.set _ZN7rocprim17ROCPRIM_400000_NS6detail17trampoline_kernelINS0_14default_configENS1_27scan_by_key_config_selectorIifEEZZNS1_16scan_by_key_implILNS1_25lookback_scan_determinismE0ELb1ES3_N6thrust23THRUST_200600_302600_NS6detail15normal_iteratorINS9_10device_ptrIiEEEENSB_INSC_IjEEEESE_fNS9_4plusIvEENS9_8equal_toIvEEfEE10hipError_tPvRmT2_T3_T4_T5_mT6_T7_P12ihipStream_tbENKUlT_T0_E_clISt17integral_constantIbLb1EES10_IbLb0EEEEDaSW_SX_EUlSW_E_NS1_11comp_targetILNS1_3genE4ELNS1_11target_archE910ELNS1_3gpuE8ELNS1_3repE0EEENS1_30default_config_static_selectorELNS0_4arch9wavefront6targetE0EEEvT1_.num_named_barrier, 0
	.set _ZN7rocprim17ROCPRIM_400000_NS6detail17trampoline_kernelINS0_14default_configENS1_27scan_by_key_config_selectorIifEEZZNS1_16scan_by_key_implILNS1_25lookback_scan_determinismE0ELb1ES3_N6thrust23THRUST_200600_302600_NS6detail15normal_iteratorINS9_10device_ptrIiEEEENSB_INSC_IjEEEESE_fNS9_4plusIvEENS9_8equal_toIvEEfEE10hipError_tPvRmT2_T3_T4_T5_mT6_T7_P12ihipStream_tbENKUlT_T0_E_clISt17integral_constantIbLb1EES10_IbLb0EEEEDaSW_SX_EUlSW_E_NS1_11comp_targetILNS1_3genE4ELNS1_11target_archE910ELNS1_3gpuE8ELNS1_3repE0EEENS1_30default_config_static_selectorELNS0_4arch9wavefront6targetE0EEEvT1_.private_seg_size, 0
	.set _ZN7rocprim17ROCPRIM_400000_NS6detail17trampoline_kernelINS0_14default_configENS1_27scan_by_key_config_selectorIifEEZZNS1_16scan_by_key_implILNS1_25lookback_scan_determinismE0ELb1ES3_N6thrust23THRUST_200600_302600_NS6detail15normal_iteratorINS9_10device_ptrIiEEEENSB_INSC_IjEEEESE_fNS9_4plusIvEENS9_8equal_toIvEEfEE10hipError_tPvRmT2_T3_T4_T5_mT6_T7_P12ihipStream_tbENKUlT_T0_E_clISt17integral_constantIbLb1EES10_IbLb0EEEEDaSW_SX_EUlSW_E_NS1_11comp_targetILNS1_3genE4ELNS1_11target_archE910ELNS1_3gpuE8ELNS1_3repE0EEENS1_30default_config_static_selectorELNS0_4arch9wavefront6targetE0EEEvT1_.uses_vcc, 0
	.set _ZN7rocprim17ROCPRIM_400000_NS6detail17trampoline_kernelINS0_14default_configENS1_27scan_by_key_config_selectorIifEEZZNS1_16scan_by_key_implILNS1_25lookback_scan_determinismE0ELb1ES3_N6thrust23THRUST_200600_302600_NS6detail15normal_iteratorINS9_10device_ptrIiEEEENSB_INSC_IjEEEESE_fNS9_4plusIvEENS9_8equal_toIvEEfEE10hipError_tPvRmT2_T3_T4_T5_mT6_T7_P12ihipStream_tbENKUlT_T0_E_clISt17integral_constantIbLb1EES10_IbLb0EEEEDaSW_SX_EUlSW_E_NS1_11comp_targetILNS1_3genE4ELNS1_11target_archE910ELNS1_3gpuE8ELNS1_3repE0EEENS1_30default_config_static_selectorELNS0_4arch9wavefront6targetE0EEEvT1_.uses_flat_scratch, 0
	.set _ZN7rocprim17ROCPRIM_400000_NS6detail17trampoline_kernelINS0_14default_configENS1_27scan_by_key_config_selectorIifEEZZNS1_16scan_by_key_implILNS1_25lookback_scan_determinismE0ELb1ES3_N6thrust23THRUST_200600_302600_NS6detail15normal_iteratorINS9_10device_ptrIiEEEENSB_INSC_IjEEEESE_fNS9_4plusIvEENS9_8equal_toIvEEfEE10hipError_tPvRmT2_T3_T4_T5_mT6_T7_P12ihipStream_tbENKUlT_T0_E_clISt17integral_constantIbLb1EES10_IbLb0EEEEDaSW_SX_EUlSW_E_NS1_11comp_targetILNS1_3genE4ELNS1_11target_archE910ELNS1_3gpuE8ELNS1_3repE0EEENS1_30default_config_static_selectorELNS0_4arch9wavefront6targetE0EEEvT1_.has_dyn_sized_stack, 0
	.set _ZN7rocprim17ROCPRIM_400000_NS6detail17trampoline_kernelINS0_14default_configENS1_27scan_by_key_config_selectorIifEEZZNS1_16scan_by_key_implILNS1_25lookback_scan_determinismE0ELb1ES3_N6thrust23THRUST_200600_302600_NS6detail15normal_iteratorINS9_10device_ptrIiEEEENSB_INSC_IjEEEESE_fNS9_4plusIvEENS9_8equal_toIvEEfEE10hipError_tPvRmT2_T3_T4_T5_mT6_T7_P12ihipStream_tbENKUlT_T0_E_clISt17integral_constantIbLb1EES10_IbLb0EEEEDaSW_SX_EUlSW_E_NS1_11comp_targetILNS1_3genE4ELNS1_11target_archE910ELNS1_3gpuE8ELNS1_3repE0EEENS1_30default_config_static_selectorELNS0_4arch9wavefront6targetE0EEEvT1_.has_recursion, 0
	.set _ZN7rocprim17ROCPRIM_400000_NS6detail17trampoline_kernelINS0_14default_configENS1_27scan_by_key_config_selectorIifEEZZNS1_16scan_by_key_implILNS1_25lookback_scan_determinismE0ELb1ES3_N6thrust23THRUST_200600_302600_NS6detail15normal_iteratorINS9_10device_ptrIiEEEENSB_INSC_IjEEEESE_fNS9_4plusIvEENS9_8equal_toIvEEfEE10hipError_tPvRmT2_T3_T4_T5_mT6_T7_P12ihipStream_tbENKUlT_T0_E_clISt17integral_constantIbLb1EES10_IbLb0EEEEDaSW_SX_EUlSW_E_NS1_11comp_targetILNS1_3genE4ELNS1_11target_archE910ELNS1_3gpuE8ELNS1_3repE0EEENS1_30default_config_static_selectorELNS0_4arch9wavefront6targetE0EEEvT1_.has_indirect_call, 0
	.section	.AMDGPU.csdata,"",@progbits
; Kernel info:
; codeLenInByte = 0
; TotalNumSgprs: 0
; NumVgprs: 0
; ScratchSize: 0
; MemoryBound: 0
; FloatMode: 240
; IeeeMode: 1
; LDSByteSize: 0 bytes/workgroup (compile time only)
; SGPRBlocks: 0
; VGPRBlocks: 0
; NumSGPRsForWavesPerEU: 1
; NumVGPRsForWavesPerEU: 1
; Occupancy: 16
; WaveLimiterHint : 0
; COMPUTE_PGM_RSRC2:SCRATCH_EN: 0
; COMPUTE_PGM_RSRC2:USER_SGPR: 6
; COMPUTE_PGM_RSRC2:TRAP_HANDLER: 0
; COMPUTE_PGM_RSRC2:TGID_X_EN: 1
; COMPUTE_PGM_RSRC2:TGID_Y_EN: 0
; COMPUTE_PGM_RSRC2:TGID_Z_EN: 0
; COMPUTE_PGM_RSRC2:TIDIG_COMP_CNT: 0
	.section	.text._ZN7rocprim17ROCPRIM_400000_NS6detail17trampoline_kernelINS0_14default_configENS1_27scan_by_key_config_selectorIifEEZZNS1_16scan_by_key_implILNS1_25lookback_scan_determinismE0ELb1ES3_N6thrust23THRUST_200600_302600_NS6detail15normal_iteratorINS9_10device_ptrIiEEEENSB_INSC_IjEEEESE_fNS9_4plusIvEENS9_8equal_toIvEEfEE10hipError_tPvRmT2_T3_T4_T5_mT6_T7_P12ihipStream_tbENKUlT_T0_E_clISt17integral_constantIbLb1EES10_IbLb0EEEEDaSW_SX_EUlSW_E_NS1_11comp_targetILNS1_3genE3ELNS1_11target_archE908ELNS1_3gpuE7ELNS1_3repE0EEENS1_30default_config_static_selectorELNS0_4arch9wavefront6targetE0EEEvT1_,"axG",@progbits,_ZN7rocprim17ROCPRIM_400000_NS6detail17trampoline_kernelINS0_14default_configENS1_27scan_by_key_config_selectorIifEEZZNS1_16scan_by_key_implILNS1_25lookback_scan_determinismE0ELb1ES3_N6thrust23THRUST_200600_302600_NS6detail15normal_iteratorINS9_10device_ptrIiEEEENSB_INSC_IjEEEESE_fNS9_4plusIvEENS9_8equal_toIvEEfEE10hipError_tPvRmT2_T3_T4_T5_mT6_T7_P12ihipStream_tbENKUlT_T0_E_clISt17integral_constantIbLb1EES10_IbLb0EEEEDaSW_SX_EUlSW_E_NS1_11comp_targetILNS1_3genE3ELNS1_11target_archE908ELNS1_3gpuE7ELNS1_3repE0EEENS1_30default_config_static_selectorELNS0_4arch9wavefront6targetE0EEEvT1_,comdat
	.protected	_ZN7rocprim17ROCPRIM_400000_NS6detail17trampoline_kernelINS0_14default_configENS1_27scan_by_key_config_selectorIifEEZZNS1_16scan_by_key_implILNS1_25lookback_scan_determinismE0ELb1ES3_N6thrust23THRUST_200600_302600_NS6detail15normal_iteratorINS9_10device_ptrIiEEEENSB_INSC_IjEEEESE_fNS9_4plusIvEENS9_8equal_toIvEEfEE10hipError_tPvRmT2_T3_T4_T5_mT6_T7_P12ihipStream_tbENKUlT_T0_E_clISt17integral_constantIbLb1EES10_IbLb0EEEEDaSW_SX_EUlSW_E_NS1_11comp_targetILNS1_3genE3ELNS1_11target_archE908ELNS1_3gpuE7ELNS1_3repE0EEENS1_30default_config_static_selectorELNS0_4arch9wavefront6targetE0EEEvT1_ ; -- Begin function _ZN7rocprim17ROCPRIM_400000_NS6detail17trampoline_kernelINS0_14default_configENS1_27scan_by_key_config_selectorIifEEZZNS1_16scan_by_key_implILNS1_25lookback_scan_determinismE0ELb1ES3_N6thrust23THRUST_200600_302600_NS6detail15normal_iteratorINS9_10device_ptrIiEEEENSB_INSC_IjEEEESE_fNS9_4plusIvEENS9_8equal_toIvEEfEE10hipError_tPvRmT2_T3_T4_T5_mT6_T7_P12ihipStream_tbENKUlT_T0_E_clISt17integral_constantIbLb1EES10_IbLb0EEEEDaSW_SX_EUlSW_E_NS1_11comp_targetILNS1_3genE3ELNS1_11target_archE908ELNS1_3gpuE7ELNS1_3repE0EEENS1_30default_config_static_selectorELNS0_4arch9wavefront6targetE0EEEvT1_
	.globl	_ZN7rocprim17ROCPRIM_400000_NS6detail17trampoline_kernelINS0_14default_configENS1_27scan_by_key_config_selectorIifEEZZNS1_16scan_by_key_implILNS1_25lookback_scan_determinismE0ELb1ES3_N6thrust23THRUST_200600_302600_NS6detail15normal_iteratorINS9_10device_ptrIiEEEENSB_INSC_IjEEEESE_fNS9_4plusIvEENS9_8equal_toIvEEfEE10hipError_tPvRmT2_T3_T4_T5_mT6_T7_P12ihipStream_tbENKUlT_T0_E_clISt17integral_constantIbLb1EES10_IbLb0EEEEDaSW_SX_EUlSW_E_NS1_11comp_targetILNS1_3genE3ELNS1_11target_archE908ELNS1_3gpuE7ELNS1_3repE0EEENS1_30default_config_static_selectorELNS0_4arch9wavefront6targetE0EEEvT1_
	.p2align	8
	.type	_ZN7rocprim17ROCPRIM_400000_NS6detail17trampoline_kernelINS0_14default_configENS1_27scan_by_key_config_selectorIifEEZZNS1_16scan_by_key_implILNS1_25lookback_scan_determinismE0ELb1ES3_N6thrust23THRUST_200600_302600_NS6detail15normal_iteratorINS9_10device_ptrIiEEEENSB_INSC_IjEEEESE_fNS9_4plusIvEENS9_8equal_toIvEEfEE10hipError_tPvRmT2_T3_T4_T5_mT6_T7_P12ihipStream_tbENKUlT_T0_E_clISt17integral_constantIbLb1EES10_IbLb0EEEEDaSW_SX_EUlSW_E_NS1_11comp_targetILNS1_3genE3ELNS1_11target_archE908ELNS1_3gpuE7ELNS1_3repE0EEENS1_30default_config_static_selectorELNS0_4arch9wavefront6targetE0EEEvT1_,@function
_ZN7rocprim17ROCPRIM_400000_NS6detail17trampoline_kernelINS0_14default_configENS1_27scan_by_key_config_selectorIifEEZZNS1_16scan_by_key_implILNS1_25lookback_scan_determinismE0ELb1ES3_N6thrust23THRUST_200600_302600_NS6detail15normal_iteratorINS9_10device_ptrIiEEEENSB_INSC_IjEEEESE_fNS9_4plusIvEENS9_8equal_toIvEEfEE10hipError_tPvRmT2_T3_T4_T5_mT6_T7_P12ihipStream_tbENKUlT_T0_E_clISt17integral_constantIbLb1EES10_IbLb0EEEEDaSW_SX_EUlSW_E_NS1_11comp_targetILNS1_3genE3ELNS1_11target_archE908ELNS1_3gpuE7ELNS1_3repE0EEENS1_30default_config_static_selectorELNS0_4arch9wavefront6targetE0EEEvT1_: ; @_ZN7rocprim17ROCPRIM_400000_NS6detail17trampoline_kernelINS0_14default_configENS1_27scan_by_key_config_selectorIifEEZZNS1_16scan_by_key_implILNS1_25lookback_scan_determinismE0ELb1ES3_N6thrust23THRUST_200600_302600_NS6detail15normal_iteratorINS9_10device_ptrIiEEEENSB_INSC_IjEEEESE_fNS9_4plusIvEENS9_8equal_toIvEEfEE10hipError_tPvRmT2_T3_T4_T5_mT6_T7_P12ihipStream_tbENKUlT_T0_E_clISt17integral_constantIbLb1EES10_IbLb0EEEEDaSW_SX_EUlSW_E_NS1_11comp_targetILNS1_3genE3ELNS1_11target_archE908ELNS1_3gpuE7ELNS1_3repE0EEENS1_30default_config_static_selectorELNS0_4arch9wavefront6targetE0EEEvT1_
; %bb.0:
	.section	.rodata,"a",@progbits
	.p2align	6, 0x0
	.amdhsa_kernel _ZN7rocprim17ROCPRIM_400000_NS6detail17trampoline_kernelINS0_14default_configENS1_27scan_by_key_config_selectorIifEEZZNS1_16scan_by_key_implILNS1_25lookback_scan_determinismE0ELb1ES3_N6thrust23THRUST_200600_302600_NS6detail15normal_iteratorINS9_10device_ptrIiEEEENSB_INSC_IjEEEESE_fNS9_4plusIvEENS9_8equal_toIvEEfEE10hipError_tPvRmT2_T3_T4_T5_mT6_T7_P12ihipStream_tbENKUlT_T0_E_clISt17integral_constantIbLb1EES10_IbLb0EEEEDaSW_SX_EUlSW_E_NS1_11comp_targetILNS1_3genE3ELNS1_11target_archE908ELNS1_3gpuE7ELNS1_3repE0EEENS1_30default_config_static_selectorELNS0_4arch9wavefront6targetE0EEEvT1_
		.amdhsa_group_segment_fixed_size 0
		.amdhsa_private_segment_fixed_size 0
		.amdhsa_kernarg_size 112
		.amdhsa_user_sgpr_count 6
		.amdhsa_user_sgpr_private_segment_buffer 1
		.amdhsa_user_sgpr_dispatch_ptr 0
		.amdhsa_user_sgpr_queue_ptr 0
		.amdhsa_user_sgpr_kernarg_segment_ptr 1
		.amdhsa_user_sgpr_dispatch_id 0
		.amdhsa_user_sgpr_flat_scratch_init 0
		.amdhsa_user_sgpr_private_segment_size 0
		.amdhsa_wavefront_size32 1
		.amdhsa_uses_dynamic_stack 0
		.amdhsa_system_sgpr_private_segment_wavefront_offset 0
		.amdhsa_system_sgpr_workgroup_id_x 1
		.amdhsa_system_sgpr_workgroup_id_y 0
		.amdhsa_system_sgpr_workgroup_id_z 0
		.amdhsa_system_sgpr_workgroup_info 0
		.amdhsa_system_vgpr_workitem_id 0
		.amdhsa_next_free_vgpr 1
		.amdhsa_next_free_sgpr 1
		.amdhsa_reserve_vcc 0
		.amdhsa_reserve_flat_scratch 0
		.amdhsa_float_round_mode_32 0
		.amdhsa_float_round_mode_16_64 0
		.amdhsa_float_denorm_mode_32 3
		.amdhsa_float_denorm_mode_16_64 3
		.amdhsa_dx10_clamp 1
		.amdhsa_ieee_mode 1
		.amdhsa_fp16_overflow 0
		.amdhsa_workgroup_processor_mode 1
		.amdhsa_memory_ordered 1
		.amdhsa_forward_progress 1
		.amdhsa_shared_vgpr_count 0
		.amdhsa_exception_fp_ieee_invalid_op 0
		.amdhsa_exception_fp_denorm_src 0
		.amdhsa_exception_fp_ieee_div_zero 0
		.amdhsa_exception_fp_ieee_overflow 0
		.amdhsa_exception_fp_ieee_underflow 0
		.amdhsa_exception_fp_ieee_inexact 0
		.amdhsa_exception_int_div_zero 0
	.end_amdhsa_kernel
	.section	.text._ZN7rocprim17ROCPRIM_400000_NS6detail17trampoline_kernelINS0_14default_configENS1_27scan_by_key_config_selectorIifEEZZNS1_16scan_by_key_implILNS1_25lookback_scan_determinismE0ELb1ES3_N6thrust23THRUST_200600_302600_NS6detail15normal_iteratorINS9_10device_ptrIiEEEENSB_INSC_IjEEEESE_fNS9_4plusIvEENS9_8equal_toIvEEfEE10hipError_tPvRmT2_T3_T4_T5_mT6_T7_P12ihipStream_tbENKUlT_T0_E_clISt17integral_constantIbLb1EES10_IbLb0EEEEDaSW_SX_EUlSW_E_NS1_11comp_targetILNS1_3genE3ELNS1_11target_archE908ELNS1_3gpuE7ELNS1_3repE0EEENS1_30default_config_static_selectorELNS0_4arch9wavefront6targetE0EEEvT1_,"axG",@progbits,_ZN7rocprim17ROCPRIM_400000_NS6detail17trampoline_kernelINS0_14default_configENS1_27scan_by_key_config_selectorIifEEZZNS1_16scan_by_key_implILNS1_25lookback_scan_determinismE0ELb1ES3_N6thrust23THRUST_200600_302600_NS6detail15normal_iteratorINS9_10device_ptrIiEEEENSB_INSC_IjEEEESE_fNS9_4plusIvEENS9_8equal_toIvEEfEE10hipError_tPvRmT2_T3_T4_T5_mT6_T7_P12ihipStream_tbENKUlT_T0_E_clISt17integral_constantIbLb1EES10_IbLb0EEEEDaSW_SX_EUlSW_E_NS1_11comp_targetILNS1_3genE3ELNS1_11target_archE908ELNS1_3gpuE7ELNS1_3repE0EEENS1_30default_config_static_selectorELNS0_4arch9wavefront6targetE0EEEvT1_,comdat
.Lfunc_end1810:
	.size	_ZN7rocprim17ROCPRIM_400000_NS6detail17trampoline_kernelINS0_14default_configENS1_27scan_by_key_config_selectorIifEEZZNS1_16scan_by_key_implILNS1_25lookback_scan_determinismE0ELb1ES3_N6thrust23THRUST_200600_302600_NS6detail15normal_iteratorINS9_10device_ptrIiEEEENSB_INSC_IjEEEESE_fNS9_4plusIvEENS9_8equal_toIvEEfEE10hipError_tPvRmT2_T3_T4_T5_mT6_T7_P12ihipStream_tbENKUlT_T0_E_clISt17integral_constantIbLb1EES10_IbLb0EEEEDaSW_SX_EUlSW_E_NS1_11comp_targetILNS1_3genE3ELNS1_11target_archE908ELNS1_3gpuE7ELNS1_3repE0EEENS1_30default_config_static_selectorELNS0_4arch9wavefront6targetE0EEEvT1_, .Lfunc_end1810-_ZN7rocprim17ROCPRIM_400000_NS6detail17trampoline_kernelINS0_14default_configENS1_27scan_by_key_config_selectorIifEEZZNS1_16scan_by_key_implILNS1_25lookback_scan_determinismE0ELb1ES3_N6thrust23THRUST_200600_302600_NS6detail15normal_iteratorINS9_10device_ptrIiEEEENSB_INSC_IjEEEESE_fNS9_4plusIvEENS9_8equal_toIvEEfEE10hipError_tPvRmT2_T3_T4_T5_mT6_T7_P12ihipStream_tbENKUlT_T0_E_clISt17integral_constantIbLb1EES10_IbLb0EEEEDaSW_SX_EUlSW_E_NS1_11comp_targetILNS1_3genE3ELNS1_11target_archE908ELNS1_3gpuE7ELNS1_3repE0EEENS1_30default_config_static_selectorELNS0_4arch9wavefront6targetE0EEEvT1_
                                        ; -- End function
	.set _ZN7rocprim17ROCPRIM_400000_NS6detail17trampoline_kernelINS0_14default_configENS1_27scan_by_key_config_selectorIifEEZZNS1_16scan_by_key_implILNS1_25lookback_scan_determinismE0ELb1ES3_N6thrust23THRUST_200600_302600_NS6detail15normal_iteratorINS9_10device_ptrIiEEEENSB_INSC_IjEEEESE_fNS9_4plusIvEENS9_8equal_toIvEEfEE10hipError_tPvRmT2_T3_T4_T5_mT6_T7_P12ihipStream_tbENKUlT_T0_E_clISt17integral_constantIbLb1EES10_IbLb0EEEEDaSW_SX_EUlSW_E_NS1_11comp_targetILNS1_3genE3ELNS1_11target_archE908ELNS1_3gpuE7ELNS1_3repE0EEENS1_30default_config_static_selectorELNS0_4arch9wavefront6targetE0EEEvT1_.num_vgpr, 0
	.set _ZN7rocprim17ROCPRIM_400000_NS6detail17trampoline_kernelINS0_14default_configENS1_27scan_by_key_config_selectorIifEEZZNS1_16scan_by_key_implILNS1_25lookback_scan_determinismE0ELb1ES3_N6thrust23THRUST_200600_302600_NS6detail15normal_iteratorINS9_10device_ptrIiEEEENSB_INSC_IjEEEESE_fNS9_4plusIvEENS9_8equal_toIvEEfEE10hipError_tPvRmT2_T3_T4_T5_mT6_T7_P12ihipStream_tbENKUlT_T0_E_clISt17integral_constantIbLb1EES10_IbLb0EEEEDaSW_SX_EUlSW_E_NS1_11comp_targetILNS1_3genE3ELNS1_11target_archE908ELNS1_3gpuE7ELNS1_3repE0EEENS1_30default_config_static_selectorELNS0_4arch9wavefront6targetE0EEEvT1_.num_agpr, 0
	.set _ZN7rocprim17ROCPRIM_400000_NS6detail17trampoline_kernelINS0_14default_configENS1_27scan_by_key_config_selectorIifEEZZNS1_16scan_by_key_implILNS1_25lookback_scan_determinismE0ELb1ES3_N6thrust23THRUST_200600_302600_NS6detail15normal_iteratorINS9_10device_ptrIiEEEENSB_INSC_IjEEEESE_fNS9_4plusIvEENS9_8equal_toIvEEfEE10hipError_tPvRmT2_T3_T4_T5_mT6_T7_P12ihipStream_tbENKUlT_T0_E_clISt17integral_constantIbLb1EES10_IbLb0EEEEDaSW_SX_EUlSW_E_NS1_11comp_targetILNS1_3genE3ELNS1_11target_archE908ELNS1_3gpuE7ELNS1_3repE0EEENS1_30default_config_static_selectorELNS0_4arch9wavefront6targetE0EEEvT1_.numbered_sgpr, 0
	.set _ZN7rocprim17ROCPRIM_400000_NS6detail17trampoline_kernelINS0_14default_configENS1_27scan_by_key_config_selectorIifEEZZNS1_16scan_by_key_implILNS1_25lookback_scan_determinismE0ELb1ES3_N6thrust23THRUST_200600_302600_NS6detail15normal_iteratorINS9_10device_ptrIiEEEENSB_INSC_IjEEEESE_fNS9_4plusIvEENS9_8equal_toIvEEfEE10hipError_tPvRmT2_T3_T4_T5_mT6_T7_P12ihipStream_tbENKUlT_T0_E_clISt17integral_constantIbLb1EES10_IbLb0EEEEDaSW_SX_EUlSW_E_NS1_11comp_targetILNS1_3genE3ELNS1_11target_archE908ELNS1_3gpuE7ELNS1_3repE0EEENS1_30default_config_static_selectorELNS0_4arch9wavefront6targetE0EEEvT1_.num_named_barrier, 0
	.set _ZN7rocprim17ROCPRIM_400000_NS6detail17trampoline_kernelINS0_14default_configENS1_27scan_by_key_config_selectorIifEEZZNS1_16scan_by_key_implILNS1_25lookback_scan_determinismE0ELb1ES3_N6thrust23THRUST_200600_302600_NS6detail15normal_iteratorINS9_10device_ptrIiEEEENSB_INSC_IjEEEESE_fNS9_4plusIvEENS9_8equal_toIvEEfEE10hipError_tPvRmT2_T3_T4_T5_mT6_T7_P12ihipStream_tbENKUlT_T0_E_clISt17integral_constantIbLb1EES10_IbLb0EEEEDaSW_SX_EUlSW_E_NS1_11comp_targetILNS1_3genE3ELNS1_11target_archE908ELNS1_3gpuE7ELNS1_3repE0EEENS1_30default_config_static_selectorELNS0_4arch9wavefront6targetE0EEEvT1_.private_seg_size, 0
	.set _ZN7rocprim17ROCPRIM_400000_NS6detail17trampoline_kernelINS0_14default_configENS1_27scan_by_key_config_selectorIifEEZZNS1_16scan_by_key_implILNS1_25lookback_scan_determinismE0ELb1ES3_N6thrust23THRUST_200600_302600_NS6detail15normal_iteratorINS9_10device_ptrIiEEEENSB_INSC_IjEEEESE_fNS9_4plusIvEENS9_8equal_toIvEEfEE10hipError_tPvRmT2_T3_T4_T5_mT6_T7_P12ihipStream_tbENKUlT_T0_E_clISt17integral_constantIbLb1EES10_IbLb0EEEEDaSW_SX_EUlSW_E_NS1_11comp_targetILNS1_3genE3ELNS1_11target_archE908ELNS1_3gpuE7ELNS1_3repE0EEENS1_30default_config_static_selectorELNS0_4arch9wavefront6targetE0EEEvT1_.uses_vcc, 0
	.set _ZN7rocprim17ROCPRIM_400000_NS6detail17trampoline_kernelINS0_14default_configENS1_27scan_by_key_config_selectorIifEEZZNS1_16scan_by_key_implILNS1_25lookback_scan_determinismE0ELb1ES3_N6thrust23THRUST_200600_302600_NS6detail15normal_iteratorINS9_10device_ptrIiEEEENSB_INSC_IjEEEESE_fNS9_4plusIvEENS9_8equal_toIvEEfEE10hipError_tPvRmT2_T3_T4_T5_mT6_T7_P12ihipStream_tbENKUlT_T0_E_clISt17integral_constantIbLb1EES10_IbLb0EEEEDaSW_SX_EUlSW_E_NS1_11comp_targetILNS1_3genE3ELNS1_11target_archE908ELNS1_3gpuE7ELNS1_3repE0EEENS1_30default_config_static_selectorELNS0_4arch9wavefront6targetE0EEEvT1_.uses_flat_scratch, 0
	.set _ZN7rocprim17ROCPRIM_400000_NS6detail17trampoline_kernelINS0_14default_configENS1_27scan_by_key_config_selectorIifEEZZNS1_16scan_by_key_implILNS1_25lookback_scan_determinismE0ELb1ES3_N6thrust23THRUST_200600_302600_NS6detail15normal_iteratorINS9_10device_ptrIiEEEENSB_INSC_IjEEEESE_fNS9_4plusIvEENS9_8equal_toIvEEfEE10hipError_tPvRmT2_T3_T4_T5_mT6_T7_P12ihipStream_tbENKUlT_T0_E_clISt17integral_constantIbLb1EES10_IbLb0EEEEDaSW_SX_EUlSW_E_NS1_11comp_targetILNS1_3genE3ELNS1_11target_archE908ELNS1_3gpuE7ELNS1_3repE0EEENS1_30default_config_static_selectorELNS0_4arch9wavefront6targetE0EEEvT1_.has_dyn_sized_stack, 0
	.set _ZN7rocprim17ROCPRIM_400000_NS6detail17trampoline_kernelINS0_14default_configENS1_27scan_by_key_config_selectorIifEEZZNS1_16scan_by_key_implILNS1_25lookback_scan_determinismE0ELb1ES3_N6thrust23THRUST_200600_302600_NS6detail15normal_iteratorINS9_10device_ptrIiEEEENSB_INSC_IjEEEESE_fNS9_4plusIvEENS9_8equal_toIvEEfEE10hipError_tPvRmT2_T3_T4_T5_mT6_T7_P12ihipStream_tbENKUlT_T0_E_clISt17integral_constantIbLb1EES10_IbLb0EEEEDaSW_SX_EUlSW_E_NS1_11comp_targetILNS1_3genE3ELNS1_11target_archE908ELNS1_3gpuE7ELNS1_3repE0EEENS1_30default_config_static_selectorELNS0_4arch9wavefront6targetE0EEEvT1_.has_recursion, 0
	.set _ZN7rocprim17ROCPRIM_400000_NS6detail17trampoline_kernelINS0_14default_configENS1_27scan_by_key_config_selectorIifEEZZNS1_16scan_by_key_implILNS1_25lookback_scan_determinismE0ELb1ES3_N6thrust23THRUST_200600_302600_NS6detail15normal_iteratorINS9_10device_ptrIiEEEENSB_INSC_IjEEEESE_fNS9_4plusIvEENS9_8equal_toIvEEfEE10hipError_tPvRmT2_T3_T4_T5_mT6_T7_P12ihipStream_tbENKUlT_T0_E_clISt17integral_constantIbLb1EES10_IbLb0EEEEDaSW_SX_EUlSW_E_NS1_11comp_targetILNS1_3genE3ELNS1_11target_archE908ELNS1_3gpuE7ELNS1_3repE0EEENS1_30default_config_static_selectorELNS0_4arch9wavefront6targetE0EEEvT1_.has_indirect_call, 0
	.section	.AMDGPU.csdata,"",@progbits
; Kernel info:
; codeLenInByte = 0
; TotalNumSgprs: 0
; NumVgprs: 0
; ScratchSize: 0
; MemoryBound: 0
; FloatMode: 240
; IeeeMode: 1
; LDSByteSize: 0 bytes/workgroup (compile time only)
; SGPRBlocks: 0
; VGPRBlocks: 0
; NumSGPRsForWavesPerEU: 1
; NumVGPRsForWavesPerEU: 1
; Occupancy: 16
; WaveLimiterHint : 0
; COMPUTE_PGM_RSRC2:SCRATCH_EN: 0
; COMPUTE_PGM_RSRC2:USER_SGPR: 6
; COMPUTE_PGM_RSRC2:TRAP_HANDLER: 0
; COMPUTE_PGM_RSRC2:TGID_X_EN: 1
; COMPUTE_PGM_RSRC2:TGID_Y_EN: 0
; COMPUTE_PGM_RSRC2:TGID_Z_EN: 0
; COMPUTE_PGM_RSRC2:TIDIG_COMP_CNT: 0
	.section	.text._ZN7rocprim17ROCPRIM_400000_NS6detail17trampoline_kernelINS0_14default_configENS1_27scan_by_key_config_selectorIifEEZZNS1_16scan_by_key_implILNS1_25lookback_scan_determinismE0ELb1ES3_N6thrust23THRUST_200600_302600_NS6detail15normal_iteratorINS9_10device_ptrIiEEEENSB_INSC_IjEEEESE_fNS9_4plusIvEENS9_8equal_toIvEEfEE10hipError_tPvRmT2_T3_T4_T5_mT6_T7_P12ihipStream_tbENKUlT_T0_E_clISt17integral_constantIbLb1EES10_IbLb0EEEEDaSW_SX_EUlSW_E_NS1_11comp_targetILNS1_3genE2ELNS1_11target_archE906ELNS1_3gpuE6ELNS1_3repE0EEENS1_30default_config_static_selectorELNS0_4arch9wavefront6targetE0EEEvT1_,"axG",@progbits,_ZN7rocprim17ROCPRIM_400000_NS6detail17trampoline_kernelINS0_14default_configENS1_27scan_by_key_config_selectorIifEEZZNS1_16scan_by_key_implILNS1_25lookback_scan_determinismE0ELb1ES3_N6thrust23THRUST_200600_302600_NS6detail15normal_iteratorINS9_10device_ptrIiEEEENSB_INSC_IjEEEESE_fNS9_4plusIvEENS9_8equal_toIvEEfEE10hipError_tPvRmT2_T3_T4_T5_mT6_T7_P12ihipStream_tbENKUlT_T0_E_clISt17integral_constantIbLb1EES10_IbLb0EEEEDaSW_SX_EUlSW_E_NS1_11comp_targetILNS1_3genE2ELNS1_11target_archE906ELNS1_3gpuE6ELNS1_3repE0EEENS1_30default_config_static_selectorELNS0_4arch9wavefront6targetE0EEEvT1_,comdat
	.protected	_ZN7rocprim17ROCPRIM_400000_NS6detail17trampoline_kernelINS0_14default_configENS1_27scan_by_key_config_selectorIifEEZZNS1_16scan_by_key_implILNS1_25lookback_scan_determinismE0ELb1ES3_N6thrust23THRUST_200600_302600_NS6detail15normal_iteratorINS9_10device_ptrIiEEEENSB_INSC_IjEEEESE_fNS9_4plusIvEENS9_8equal_toIvEEfEE10hipError_tPvRmT2_T3_T4_T5_mT6_T7_P12ihipStream_tbENKUlT_T0_E_clISt17integral_constantIbLb1EES10_IbLb0EEEEDaSW_SX_EUlSW_E_NS1_11comp_targetILNS1_3genE2ELNS1_11target_archE906ELNS1_3gpuE6ELNS1_3repE0EEENS1_30default_config_static_selectorELNS0_4arch9wavefront6targetE0EEEvT1_ ; -- Begin function _ZN7rocprim17ROCPRIM_400000_NS6detail17trampoline_kernelINS0_14default_configENS1_27scan_by_key_config_selectorIifEEZZNS1_16scan_by_key_implILNS1_25lookback_scan_determinismE0ELb1ES3_N6thrust23THRUST_200600_302600_NS6detail15normal_iteratorINS9_10device_ptrIiEEEENSB_INSC_IjEEEESE_fNS9_4plusIvEENS9_8equal_toIvEEfEE10hipError_tPvRmT2_T3_T4_T5_mT6_T7_P12ihipStream_tbENKUlT_T0_E_clISt17integral_constantIbLb1EES10_IbLb0EEEEDaSW_SX_EUlSW_E_NS1_11comp_targetILNS1_3genE2ELNS1_11target_archE906ELNS1_3gpuE6ELNS1_3repE0EEENS1_30default_config_static_selectorELNS0_4arch9wavefront6targetE0EEEvT1_
	.globl	_ZN7rocprim17ROCPRIM_400000_NS6detail17trampoline_kernelINS0_14default_configENS1_27scan_by_key_config_selectorIifEEZZNS1_16scan_by_key_implILNS1_25lookback_scan_determinismE0ELb1ES3_N6thrust23THRUST_200600_302600_NS6detail15normal_iteratorINS9_10device_ptrIiEEEENSB_INSC_IjEEEESE_fNS9_4plusIvEENS9_8equal_toIvEEfEE10hipError_tPvRmT2_T3_T4_T5_mT6_T7_P12ihipStream_tbENKUlT_T0_E_clISt17integral_constantIbLb1EES10_IbLb0EEEEDaSW_SX_EUlSW_E_NS1_11comp_targetILNS1_3genE2ELNS1_11target_archE906ELNS1_3gpuE6ELNS1_3repE0EEENS1_30default_config_static_selectorELNS0_4arch9wavefront6targetE0EEEvT1_
	.p2align	8
	.type	_ZN7rocprim17ROCPRIM_400000_NS6detail17trampoline_kernelINS0_14default_configENS1_27scan_by_key_config_selectorIifEEZZNS1_16scan_by_key_implILNS1_25lookback_scan_determinismE0ELb1ES3_N6thrust23THRUST_200600_302600_NS6detail15normal_iteratorINS9_10device_ptrIiEEEENSB_INSC_IjEEEESE_fNS9_4plusIvEENS9_8equal_toIvEEfEE10hipError_tPvRmT2_T3_T4_T5_mT6_T7_P12ihipStream_tbENKUlT_T0_E_clISt17integral_constantIbLb1EES10_IbLb0EEEEDaSW_SX_EUlSW_E_NS1_11comp_targetILNS1_3genE2ELNS1_11target_archE906ELNS1_3gpuE6ELNS1_3repE0EEENS1_30default_config_static_selectorELNS0_4arch9wavefront6targetE0EEEvT1_,@function
_ZN7rocprim17ROCPRIM_400000_NS6detail17trampoline_kernelINS0_14default_configENS1_27scan_by_key_config_selectorIifEEZZNS1_16scan_by_key_implILNS1_25lookback_scan_determinismE0ELb1ES3_N6thrust23THRUST_200600_302600_NS6detail15normal_iteratorINS9_10device_ptrIiEEEENSB_INSC_IjEEEESE_fNS9_4plusIvEENS9_8equal_toIvEEfEE10hipError_tPvRmT2_T3_T4_T5_mT6_T7_P12ihipStream_tbENKUlT_T0_E_clISt17integral_constantIbLb1EES10_IbLb0EEEEDaSW_SX_EUlSW_E_NS1_11comp_targetILNS1_3genE2ELNS1_11target_archE906ELNS1_3gpuE6ELNS1_3repE0EEENS1_30default_config_static_selectorELNS0_4arch9wavefront6targetE0EEEvT1_: ; @_ZN7rocprim17ROCPRIM_400000_NS6detail17trampoline_kernelINS0_14default_configENS1_27scan_by_key_config_selectorIifEEZZNS1_16scan_by_key_implILNS1_25lookback_scan_determinismE0ELb1ES3_N6thrust23THRUST_200600_302600_NS6detail15normal_iteratorINS9_10device_ptrIiEEEENSB_INSC_IjEEEESE_fNS9_4plusIvEENS9_8equal_toIvEEfEE10hipError_tPvRmT2_T3_T4_T5_mT6_T7_P12ihipStream_tbENKUlT_T0_E_clISt17integral_constantIbLb1EES10_IbLb0EEEEDaSW_SX_EUlSW_E_NS1_11comp_targetILNS1_3genE2ELNS1_11target_archE906ELNS1_3gpuE6ELNS1_3repE0EEENS1_30default_config_static_selectorELNS0_4arch9wavefront6targetE0EEEvT1_
; %bb.0:
	.section	.rodata,"a",@progbits
	.p2align	6, 0x0
	.amdhsa_kernel _ZN7rocprim17ROCPRIM_400000_NS6detail17trampoline_kernelINS0_14default_configENS1_27scan_by_key_config_selectorIifEEZZNS1_16scan_by_key_implILNS1_25lookback_scan_determinismE0ELb1ES3_N6thrust23THRUST_200600_302600_NS6detail15normal_iteratorINS9_10device_ptrIiEEEENSB_INSC_IjEEEESE_fNS9_4plusIvEENS9_8equal_toIvEEfEE10hipError_tPvRmT2_T3_T4_T5_mT6_T7_P12ihipStream_tbENKUlT_T0_E_clISt17integral_constantIbLb1EES10_IbLb0EEEEDaSW_SX_EUlSW_E_NS1_11comp_targetILNS1_3genE2ELNS1_11target_archE906ELNS1_3gpuE6ELNS1_3repE0EEENS1_30default_config_static_selectorELNS0_4arch9wavefront6targetE0EEEvT1_
		.amdhsa_group_segment_fixed_size 0
		.amdhsa_private_segment_fixed_size 0
		.amdhsa_kernarg_size 112
		.amdhsa_user_sgpr_count 6
		.amdhsa_user_sgpr_private_segment_buffer 1
		.amdhsa_user_sgpr_dispatch_ptr 0
		.amdhsa_user_sgpr_queue_ptr 0
		.amdhsa_user_sgpr_kernarg_segment_ptr 1
		.amdhsa_user_sgpr_dispatch_id 0
		.amdhsa_user_sgpr_flat_scratch_init 0
		.amdhsa_user_sgpr_private_segment_size 0
		.amdhsa_wavefront_size32 1
		.amdhsa_uses_dynamic_stack 0
		.amdhsa_system_sgpr_private_segment_wavefront_offset 0
		.amdhsa_system_sgpr_workgroup_id_x 1
		.amdhsa_system_sgpr_workgroup_id_y 0
		.amdhsa_system_sgpr_workgroup_id_z 0
		.amdhsa_system_sgpr_workgroup_info 0
		.amdhsa_system_vgpr_workitem_id 0
		.amdhsa_next_free_vgpr 1
		.amdhsa_next_free_sgpr 1
		.amdhsa_reserve_vcc 0
		.amdhsa_reserve_flat_scratch 0
		.amdhsa_float_round_mode_32 0
		.amdhsa_float_round_mode_16_64 0
		.amdhsa_float_denorm_mode_32 3
		.amdhsa_float_denorm_mode_16_64 3
		.amdhsa_dx10_clamp 1
		.amdhsa_ieee_mode 1
		.amdhsa_fp16_overflow 0
		.amdhsa_workgroup_processor_mode 1
		.amdhsa_memory_ordered 1
		.amdhsa_forward_progress 1
		.amdhsa_shared_vgpr_count 0
		.amdhsa_exception_fp_ieee_invalid_op 0
		.amdhsa_exception_fp_denorm_src 0
		.amdhsa_exception_fp_ieee_div_zero 0
		.amdhsa_exception_fp_ieee_overflow 0
		.amdhsa_exception_fp_ieee_underflow 0
		.amdhsa_exception_fp_ieee_inexact 0
		.amdhsa_exception_int_div_zero 0
	.end_amdhsa_kernel
	.section	.text._ZN7rocprim17ROCPRIM_400000_NS6detail17trampoline_kernelINS0_14default_configENS1_27scan_by_key_config_selectorIifEEZZNS1_16scan_by_key_implILNS1_25lookback_scan_determinismE0ELb1ES3_N6thrust23THRUST_200600_302600_NS6detail15normal_iteratorINS9_10device_ptrIiEEEENSB_INSC_IjEEEESE_fNS9_4plusIvEENS9_8equal_toIvEEfEE10hipError_tPvRmT2_T3_T4_T5_mT6_T7_P12ihipStream_tbENKUlT_T0_E_clISt17integral_constantIbLb1EES10_IbLb0EEEEDaSW_SX_EUlSW_E_NS1_11comp_targetILNS1_3genE2ELNS1_11target_archE906ELNS1_3gpuE6ELNS1_3repE0EEENS1_30default_config_static_selectorELNS0_4arch9wavefront6targetE0EEEvT1_,"axG",@progbits,_ZN7rocprim17ROCPRIM_400000_NS6detail17trampoline_kernelINS0_14default_configENS1_27scan_by_key_config_selectorIifEEZZNS1_16scan_by_key_implILNS1_25lookback_scan_determinismE0ELb1ES3_N6thrust23THRUST_200600_302600_NS6detail15normal_iteratorINS9_10device_ptrIiEEEENSB_INSC_IjEEEESE_fNS9_4plusIvEENS9_8equal_toIvEEfEE10hipError_tPvRmT2_T3_T4_T5_mT6_T7_P12ihipStream_tbENKUlT_T0_E_clISt17integral_constantIbLb1EES10_IbLb0EEEEDaSW_SX_EUlSW_E_NS1_11comp_targetILNS1_3genE2ELNS1_11target_archE906ELNS1_3gpuE6ELNS1_3repE0EEENS1_30default_config_static_selectorELNS0_4arch9wavefront6targetE0EEEvT1_,comdat
.Lfunc_end1811:
	.size	_ZN7rocprim17ROCPRIM_400000_NS6detail17trampoline_kernelINS0_14default_configENS1_27scan_by_key_config_selectorIifEEZZNS1_16scan_by_key_implILNS1_25lookback_scan_determinismE0ELb1ES3_N6thrust23THRUST_200600_302600_NS6detail15normal_iteratorINS9_10device_ptrIiEEEENSB_INSC_IjEEEESE_fNS9_4plusIvEENS9_8equal_toIvEEfEE10hipError_tPvRmT2_T3_T4_T5_mT6_T7_P12ihipStream_tbENKUlT_T0_E_clISt17integral_constantIbLb1EES10_IbLb0EEEEDaSW_SX_EUlSW_E_NS1_11comp_targetILNS1_3genE2ELNS1_11target_archE906ELNS1_3gpuE6ELNS1_3repE0EEENS1_30default_config_static_selectorELNS0_4arch9wavefront6targetE0EEEvT1_, .Lfunc_end1811-_ZN7rocprim17ROCPRIM_400000_NS6detail17trampoline_kernelINS0_14default_configENS1_27scan_by_key_config_selectorIifEEZZNS1_16scan_by_key_implILNS1_25lookback_scan_determinismE0ELb1ES3_N6thrust23THRUST_200600_302600_NS6detail15normal_iteratorINS9_10device_ptrIiEEEENSB_INSC_IjEEEESE_fNS9_4plusIvEENS9_8equal_toIvEEfEE10hipError_tPvRmT2_T3_T4_T5_mT6_T7_P12ihipStream_tbENKUlT_T0_E_clISt17integral_constantIbLb1EES10_IbLb0EEEEDaSW_SX_EUlSW_E_NS1_11comp_targetILNS1_3genE2ELNS1_11target_archE906ELNS1_3gpuE6ELNS1_3repE0EEENS1_30default_config_static_selectorELNS0_4arch9wavefront6targetE0EEEvT1_
                                        ; -- End function
	.set _ZN7rocprim17ROCPRIM_400000_NS6detail17trampoline_kernelINS0_14default_configENS1_27scan_by_key_config_selectorIifEEZZNS1_16scan_by_key_implILNS1_25lookback_scan_determinismE0ELb1ES3_N6thrust23THRUST_200600_302600_NS6detail15normal_iteratorINS9_10device_ptrIiEEEENSB_INSC_IjEEEESE_fNS9_4plusIvEENS9_8equal_toIvEEfEE10hipError_tPvRmT2_T3_T4_T5_mT6_T7_P12ihipStream_tbENKUlT_T0_E_clISt17integral_constantIbLb1EES10_IbLb0EEEEDaSW_SX_EUlSW_E_NS1_11comp_targetILNS1_3genE2ELNS1_11target_archE906ELNS1_3gpuE6ELNS1_3repE0EEENS1_30default_config_static_selectorELNS0_4arch9wavefront6targetE0EEEvT1_.num_vgpr, 0
	.set _ZN7rocprim17ROCPRIM_400000_NS6detail17trampoline_kernelINS0_14default_configENS1_27scan_by_key_config_selectorIifEEZZNS1_16scan_by_key_implILNS1_25lookback_scan_determinismE0ELb1ES3_N6thrust23THRUST_200600_302600_NS6detail15normal_iteratorINS9_10device_ptrIiEEEENSB_INSC_IjEEEESE_fNS9_4plusIvEENS9_8equal_toIvEEfEE10hipError_tPvRmT2_T3_T4_T5_mT6_T7_P12ihipStream_tbENKUlT_T0_E_clISt17integral_constantIbLb1EES10_IbLb0EEEEDaSW_SX_EUlSW_E_NS1_11comp_targetILNS1_3genE2ELNS1_11target_archE906ELNS1_3gpuE6ELNS1_3repE0EEENS1_30default_config_static_selectorELNS0_4arch9wavefront6targetE0EEEvT1_.num_agpr, 0
	.set _ZN7rocprim17ROCPRIM_400000_NS6detail17trampoline_kernelINS0_14default_configENS1_27scan_by_key_config_selectorIifEEZZNS1_16scan_by_key_implILNS1_25lookback_scan_determinismE0ELb1ES3_N6thrust23THRUST_200600_302600_NS6detail15normal_iteratorINS9_10device_ptrIiEEEENSB_INSC_IjEEEESE_fNS9_4plusIvEENS9_8equal_toIvEEfEE10hipError_tPvRmT2_T3_T4_T5_mT6_T7_P12ihipStream_tbENKUlT_T0_E_clISt17integral_constantIbLb1EES10_IbLb0EEEEDaSW_SX_EUlSW_E_NS1_11comp_targetILNS1_3genE2ELNS1_11target_archE906ELNS1_3gpuE6ELNS1_3repE0EEENS1_30default_config_static_selectorELNS0_4arch9wavefront6targetE0EEEvT1_.numbered_sgpr, 0
	.set _ZN7rocprim17ROCPRIM_400000_NS6detail17trampoline_kernelINS0_14default_configENS1_27scan_by_key_config_selectorIifEEZZNS1_16scan_by_key_implILNS1_25lookback_scan_determinismE0ELb1ES3_N6thrust23THRUST_200600_302600_NS6detail15normal_iteratorINS9_10device_ptrIiEEEENSB_INSC_IjEEEESE_fNS9_4plusIvEENS9_8equal_toIvEEfEE10hipError_tPvRmT2_T3_T4_T5_mT6_T7_P12ihipStream_tbENKUlT_T0_E_clISt17integral_constantIbLb1EES10_IbLb0EEEEDaSW_SX_EUlSW_E_NS1_11comp_targetILNS1_3genE2ELNS1_11target_archE906ELNS1_3gpuE6ELNS1_3repE0EEENS1_30default_config_static_selectorELNS0_4arch9wavefront6targetE0EEEvT1_.num_named_barrier, 0
	.set _ZN7rocprim17ROCPRIM_400000_NS6detail17trampoline_kernelINS0_14default_configENS1_27scan_by_key_config_selectorIifEEZZNS1_16scan_by_key_implILNS1_25lookback_scan_determinismE0ELb1ES3_N6thrust23THRUST_200600_302600_NS6detail15normal_iteratorINS9_10device_ptrIiEEEENSB_INSC_IjEEEESE_fNS9_4plusIvEENS9_8equal_toIvEEfEE10hipError_tPvRmT2_T3_T4_T5_mT6_T7_P12ihipStream_tbENKUlT_T0_E_clISt17integral_constantIbLb1EES10_IbLb0EEEEDaSW_SX_EUlSW_E_NS1_11comp_targetILNS1_3genE2ELNS1_11target_archE906ELNS1_3gpuE6ELNS1_3repE0EEENS1_30default_config_static_selectorELNS0_4arch9wavefront6targetE0EEEvT1_.private_seg_size, 0
	.set _ZN7rocprim17ROCPRIM_400000_NS6detail17trampoline_kernelINS0_14default_configENS1_27scan_by_key_config_selectorIifEEZZNS1_16scan_by_key_implILNS1_25lookback_scan_determinismE0ELb1ES3_N6thrust23THRUST_200600_302600_NS6detail15normal_iteratorINS9_10device_ptrIiEEEENSB_INSC_IjEEEESE_fNS9_4plusIvEENS9_8equal_toIvEEfEE10hipError_tPvRmT2_T3_T4_T5_mT6_T7_P12ihipStream_tbENKUlT_T0_E_clISt17integral_constantIbLb1EES10_IbLb0EEEEDaSW_SX_EUlSW_E_NS1_11comp_targetILNS1_3genE2ELNS1_11target_archE906ELNS1_3gpuE6ELNS1_3repE0EEENS1_30default_config_static_selectorELNS0_4arch9wavefront6targetE0EEEvT1_.uses_vcc, 0
	.set _ZN7rocprim17ROCPRIM_400000_NS6detail17trampoline_kernelINS0_14default_configENS1_27scan_by_key_config_selectorIifEEZZNS1_16scan_by_key_implILNS1_25lookback_scan_determinismE0ELb1ES3_N6thrust23THRUST_200600_302600_NS6detail15normal_iteratorINS9_10device_ptrIiEEEENSB_INSC_IjEEEESE_fNS9_4plusIvEENS9_8equal_toIvEEfEE10hipError_tPvRmT2_T3_T4_T5_mT6_T7_P12ihipStream_tbENKUlT_T0_E_clISt17integral_constantIbLb1EES10_IbLb0EEEEDaSW_SX_EUlSW_E_NS1_11comp_targetILNS1_3genE2ELNS1_11target_archE906ELNS1_3gpuE6ELNS1_3repE0EEENS1_30default_config_static_selectorELNS0_4arch9wavefront6targetE0EEEvT1_.uses_flat_scratch, 0
	.set _ZN7rocprim17ROCPRIM_400000_NS6detail17trampoline_kernelINS0_14default_configENS1_27scan_by_key_config_selectorIifEEZZNS1_16scan_by_key_implILNS1_25lookback_scan_determinismE0ELb1ES3_N6thrust23THRUST_200600_302600_NS6detail15normal_iteratorINS9_10device_ptrIiEEEENSB_INSC_IjEEEESE_fNS9_4plusIvEENS9_8equal_toIvEEfEE10hipError_tPvRmT2_T3_T4_T5_mT6_T7_P12ihipStream_tbENKUlT_T0_E_clISt17integral_constantIbLb1EES10_IbLb0EEEEDaSW_SX_EUlSW_E_NS1_11comp_targetILNS1_3genE2ELNS1_11target_archE906ELNS1_3gpuE6ELNS1_3repE0EEENS1_30default_config_static_selectorELNS0_4arch9wavefront6targetE0EEEvT1_.has_dyn_sized_stack, 0
	.set _ZN7rocprim17ROCPRIM_400000_NS6detail17trampoline_kernelINS0_14default_configENS1_27scan_by_key_config_selectorIifEEZZNS1_16scan_by_key_implILNS1_25lookback_scan_determinismE0ELb1ES3_N6thrust23THRUST_200600_302600_NS6detail15normal_iteratorINS9_10device_ptrIiEEEENSB_INSC_IjEEEESE_fNS9_4plusIvEENS9_8equal_toIvEEfEE10hipError_tPvRmT2_T3_T4_T5_mT6_T7_P12ihipStream_tbENKUlT_T0_E_clISt17integral_constantIbLb1EES10_IbLb0EEEEDaSW_SX_EUlSW_E_NS1_11comp_targetILNS1_3genE2ELNS1_11target_archE906ELNS1_3gpuE6ELNS1_3repE0EEENS1_30default_config_static_selectorELNS0_4arch9wavefront6targetE0EEEvT1_.has_recursion, 0
	.set _ZN7rocprim17ROCPRIM_400000_NS6detail17trampoline_kernelINS0_14default_configENS1_27scan_by_key_config_selectorIifEEZZNS1_16scan_by_key_implILNS1_25lookback_scan_determinismE0ELb1ES3_N6thrust23THRUST_200600_302600_NS6detail15normal_iteratorINS9_10device_ptrIiEEEENSB_INSC_IjEEEESE_fNS9_4plusIvEENS9_8equal_toIvEEfEE10hipError_tPvRmT2_T3_T4_T5_mT6_T7_P12ihipStream_tbENKUlT_T0_E_clISt17integral_constantIbLb1EES10_IbLb0EEEEDaSW_SX_EUlSW_E_NS1_11comp_targetILNS1_3genE2ELNS1_11target_archE906ELNS1_3gpuE6ELNS1_3repE0EEENS1_30default_config_static_selectorELNS0_4arch9wavefront6targetE0EEEvT1_.has_indirect_call, 0
	.section	.AMDGPU.csdata,"",@progbits
; Kernel info:
; codeLenInByte = 0
; TotalNumSgprs: 0
; NumVgprs: 0
; ScratchSize: 0
; MemoryBound: 0
; FloatMode: 240
; IeeeMode: 1
; LDSByteSize: 0 bytes/workgroup (compile time only)
; SGPRBlocks: 0
; VGPRBlocks: 0
; NumSGPRsForWavesPerEU: 1
; NumVGPRsForWavesPerEU: 1
; Occupancy: 16
; WaveLimiterHint : 0
; COMPUTE_PGM_RSRC2:SCRATCH_EN: 0
; COMPUTE_PGM_RSRC2:USER_SGPR: 6
; COMPUTE_PGM_RSRC2:TRAP_HANDLER: 0
; COMPUTE_PGM_RSRC2:TGID_X_EN: 1
; COMPUTE_PGM_RSRC2:TGID_Y_EN: 0
; COMPUTE_PGM_RSRC2:TGID_Z_EN: 0
; COMPUTE_PGM_RSRC2:TIDIG_COMP_CNT: 0
	.section	.text._ZN7rocprim17ROCPRIM_400000_NS6detail17trampoline_kernelINS0_14default_configENS1_27scan_by_key_config_selectorIifEEZZNS1_16scan_by_key_implILNS1_25lookback_scan_determinismE0ELb1ES3_N6thrust23THRUST_200600_302600_NS6detail15normal_iteratorINS9_10device_ptrIiEEEENSB_INSC_IjEEEESE_fNS9_4plusIvEENS9_8equal_toIvEEfEE10hipError_tPvRmT2_T3_T4_T5_mT6_T7_P12ihipStream_tbENKUlT_T0_E_clISt17integral_constantIbLb1EES10_IbLb0EEEEDaSW_SX_EUlSW_E_NS1_11comp_targetILNS1_3genE10ELNS1_11target_archE1200ELNS1_3gpuE4ELNS1_3repE0EEENS1_30default_config_static_selectorELNS0_4arch9wavefront6targetE0EEEvT1_,"axG",@progbits,_ZN7rocprim17ROCPRIM_400000_NS6detail17trampoline_kernelINS0_14default_configENS1_27scan_by_key_config_selectorIifEEZZNS1_16scan_by_key_implILNS1_25lookback_scan_determinismE0ELb1ES3_N6thrust23THRUST_200600_302600_NS6detail15normal_iteratorINS9_10device_ptrIiEEEENSB_INSC_IjEEEESE_fNS9_4plusIvEENS9_8equal_toIvEEfEE10hipError_tPvRmT2_T3_T4_T5_mT6_T7_P12ihipStream_tbENKUlT_T0_E_clISt17integral_constantIbLb1EES10_IbLb0EEEEDaSW_SX_EUlSW_E_NS1_11comp_targetILNS1_3genE10ELNS1_11target_archE1200ELNS1_3gpuE4ELNS1_3repE0EEENS1_30default_config_static_selectorELNS0_4arch9wavefront6targetE0EEEvT1_,comdat
	.protected	_ZN7rocprim17ROCPRIM_400000_NS6detail17trampoline_kernelINS0_14default_configENS1_27scan_by_key_config_selectorIifEEZZNS1_16scan_by_key_implILNS1_25lookback_scan_determinismE0ELb1ES3_N6thrust23THRUST_200600_302600_NS6detail15normal_iteratorINS9_10device_ptrIiEEEENSB_INSC_IjEEEESE_fNS9_4plusIvEENS9_8equal_toIvEEfEE10hipError_tPvRmT2_T3_T4_T5_mT6_T7_P12ihipStream_tbENKUlT_T0_E_clISt17integral_constantIbLb1EES10_IbLb0EEEEDaSW_SX_EUlSW_E_NS1_11comp_targetILNS1_3genE10ELNS1_11target_archE1200ELNS1_3gpuE4ELNS1_3repE0EEENS1_30default_config_static_selectorELNS0_4arch9wavefront6targetE0EEEvT1_ ; -- Begin function _ZN7rocprim17ROCPRIM_400000_NS6detail17trampoline_kernelINS0_14default_configENS1_27scan_by_key_config_selectorIifEEZZNS1_16scan_by_key_implILNS1_25lookback_scan_determinismE0ELb1ES3_N6thrust23THRUST_200600_302600_NS6detail15normal_iteratorINS9_10device_ptrIiEEEENSB_INSC_IjEEEESE_fNS9_4plusIvEENS9_8equal_toIvEEfEE10hipError_tPvRmT2_T3_T4_T5_mT6_T7_P12ihipStream_tbENKUlT_T0_E_clISt17integral_constantIbLb1EES10_IbLb0EEEEDaSW_SX_EUlSW_E_NS1_11comp_targetILNS1_3genE10ELNS1_11target_archE1200ELNS1_3gpuE4ELNS1_3repE0EEENS1_30default_config_static_selectorELNS0_4arch9wavefront6targetE0EEEvT1_
	.globl	_ZN7rocprim17ROCPRIM_400000_NS6detail17trampoline_kernelINS0_14default_configENS1_27scan_by_key_config_selectorIifEEZZNS1_16scan_by_key_implILNS1_25lookback_scan_determinismE0ELb1ES3_N6thrust23THRUST_200600_302600_NS6detail15normal_iteratorINS9_10device_ptrIiEEEENSB_INSC_IjEEEESE_fNS9_4plusIvEENS9_8equal_toIvEEfEE10hipError_tPvRmT2_T3_T4_T5_mT6_T7_P12ihipStream_tbENKUlT_T0_E_clISt17integral_constantIbLb1EES10_IbLb0EEEEDaSW_SX_EUlSW_E_NS1_11comp_targetILNS1_3genE10ELNS1_11target_archE1200ELNS1_3gpuE4ELNS1_3repE0EEENS1_30default_config_static_selectorELNS0_4arch9wavefront6targetE0EEEvT1_
	.p2align	8
	.type	_ZN7rocprim17ROCPRIM_400000_NS6detail17trampoline_kernelINS0_14default_configENS1_27scan_by_key_config_selectorIifEEZZNS1_16scan_by_key_implILNS1_25lookback_scan_determinismE0ELb1ES3_N6thrust23THRUST_200600_302600_NS6detail15normal_iteratorINS9_10device_ptrIiEEEENSB_INSC_IjEEEESE_fNS9_4plusIvEENS9_8equal_toIvEEfEE10hipError_tPvRmT2_T3_T4_T5_mT6_T7_P12ihipStream_tbENKUlT_T0_E_clISt17integral_constantIbLb1EES10_IbLb0EEEEDaSW_SX_EUlSW_E_NS1_11comp_targetILNS1_3genE10ELNS1_11target_archE1200ELNS1_3gpuE4ELNS1_3repE0EEENS1_30default_config_static_selectorELNS0_4arch9wavefront6targetE0EEEvT1_,@function
_ZN7rocprim17ROCPRIM_400000_NS6detail17trampoline_kernelINS0_14default_configENS1_27scan_by_key_config_selectorIifEEZZNS1_16scan_by_key_implILNS1_25lookback_scan_determinismE0ELb1ES3_N6thrust23THRUST_200600_302600_NS6detail15normal_iteratorINS9_10device_ptrIiEEEENSB_INSC_IjEEEESE_fNS9_4plusIvEENS9_8equal_toIvEEfEE10hipError_tPvRmT2_T3_T4_T5_mT6_T7_P12ihipStream_tbENKUlT_T0_E_clISt17integral_constantIbLb1EES10_IbLb0EEEEDaSW_SX_EUlSW_E_NS1_11comp_targetILNS1_3genE10ELNS1_11target_archE1200ELNS1_3gpuE4ELNS1_3repE0EEENS1_30default_config_static_selectorELNS0_4arch9wavefront6targetE0EEEvT1_: ; @_ZN7rocprim17ROCPRIM_400000_NS6detail17trampoline_kernelINS0_14default_configENS1_27scan_by_key_config_selectorIifEEZZNS1_16scan_by_key_implILNS1_25lookback_scan_determinismE0ELb1ES3_N6thrust23THRUST_200600_302600_NS6detail15normal_iteratorINS9_10device_ptrIiEEEENSB_INSC_IjEEEESE_fNS9_4plusIvEENS9_8equal_toIvEEfEE10hipError_tPvRmT2_T3_T4_T5_mT6_T7_P12ihipStream_tbENKUlT_T0_E_clISt17integral_constantIbLb1EES10_IbLb0EEEEDaSW_SX_EUlSW_E_NS1_11comp_targetILNS1_3genE10ELNS1_11target_archE1200ELNS1_3gpuE4ELNS1_3repE0EEENS1_30default_config_static_selectorELNS0_4arch9wavefront6targetE0EEEvT1_
; %bb.0:
	.section	.rodata,"a",@progbits
	.p2align	6, 0x0
	.amdhsa_kernel _ZN7rocprim17ROCPRIM_400000_NS6detail17trampoline_kernelINS0_14default_configENS1_27scan_by_key_config_selectorIifEEZZNS1_16scan_by_key_implILNS1_25lookback_scan_determinismE0ELb1ES3_N6thrust23THRUST_200600_302600_NS6detail15normal_iteratorINS9_10device_ptrIiEEEENSB_INSC_IjEEEESE_fNS9_4plusIvEENS9_8equal_toIvEEfEE10hipError_tPvRmT2_T3_T4_T5_mT6_T7_P12ihipStream_tbENKUlT_T0_E_clISt17integral_constantIbLb1EES10_IbLb0EEEEDaSW_SX_EUlSW_E_NS1_11comp_targetILNS1_3genE10ELNS1_11target_archE1200ELNS1_3gpuE4ELNS1_3repE0EEENS1_30default_config_static_selectorELNS0_4arch9wavefront6targetE0EEEvT1_
		.amdhsa_group_segment_fixed_size 0
		.amdhsa_private_segment_fixed_size 0
		.amdhsa_kernarg_size 112
		.amdhsa_user_sgpr_count 6
		.amdhsa_user_sgpr_private_segment_buffer 1
		.amdhsa_user_sgpr_dispatch_ptr 0
		.amdhsa_user_sgpr_queue_ptr 0
		.amdhsa_user_sgpr_kernarg_segment_ptr 1
		.amdhsa_user_sgpr_dispatch_id 0
		.amdhsa_user_sgpr_flat_scratch_init 0
		.amdhsa_user_sgpr_private_segment_size 0
		.amdhsa_wavefront_size32 1
		.amdhsa_uses_dynamic_stack 0
		.amdhsa_system_sgpr_private_segment_wavefront_offset 0
		.amdhsa_system_sgpr_workgroup_id_x 1
		.amdhsa_system_sgpr_workgroup_id_y 0
		.amdhsa_system_sgpr_workgroup_id_z 0
		.amdhsa_system_sgpr_workgroup_info 0
		.amdhsa_system_vgpr_workitem_id 0
		.amdhsa_next_free_vgpr 1
		.amdhsa_next_free_sgpr 1
		.amdhsa_reserve_vcc 0
		.amdhsa_reserve_flat_scratch 0
		.amdhsa_float_round_mode_32 0
		.amdhsa_float_round_mode_16_64 0
		.amdhsa_float_denorm_mode_32 3
		.amdhsa_float_denorm_mode_16_64 3
		.amdhsa_dx10_clamp 1
		.amdhsa_ieee_mode 1
		.amdhsa_fp16_overflow 0
		.amdhsa_workgroup_processor_mode 1
		.amdhsa_memory_ordered 1
		.amdhsa_forward_progress 1
		.amdhsa_shared_vgpr_count 0
		.amdhsa_exception_fp_ieee_invalid_op 0
		.amdhsa_exception_fp_denorm_src 0
		.amdhsa_exception_fp_ieee_div_zero 0
		.amdhsa_exception_fp_ieee_overflow 0
		.amdhsa_exception_fp_ieee_underflow 0
		.amdhsa_exception_fp_ieee_inexact 0
		.amdhsa_exception_int_div_zero 0
	.end_amdhsa_kernel
	.section	.text._ZN7rocprim17ROCPRIM_400000_NS6detail17trampoline_kernelINS0_14default_configENS1_27scan_by_key_config_selectorIifEEZZNS1_16scan_by_key_implILNS1_25lookback_scan_determinismE0ELb1ES3_N6thrust23THRUST_200600_302600_NS6detail15normal_iteratorINS9_10device_ptrIiEEEENSB_INSC_IjEEEESE_fNS9_4plusIvEENS9_8equal_toIvEEfEE10hipError_tPvRmT2_T3_T4_T5_mT6_T7_P12ihipStream_tbENKUlT_T0_E_clISt17integral_constantIbLb1EES10_IbLb0EEEEDaSW_SX_EUlSW_E_NS1_11comp_targetILNS1_3genE10ELNS1_11target_archE1200ELNS1_3gpuE4ELNS1_3repE0EEENS1_30default_config_static_selectorELNS0_4arch9wavefront6targetE0EEEvT1_,"axG",@progbits,_ZN7rocprim17ROCPRIM_400000_NS6detail17trampoline_kernelINS0_14default_configENS1_27scan_by_key_config_selectorIifEEZZNS1_16scan_by_key_implILNS1_25lookback_scan_determinismE0ELb1ES3_N6thrust23THRUST_200600_302600_NS6detail15normal_iteratorINS9_10device_ptrIiEEEENSB_INSC_IjEEEESE_fNS9_4plusIvEENS9_8equal_toIvEEfEE10hipError_tPvRmT2_T3_T4_T5_mT6_T7_P12ihipStream_tbENKUlT_T0_E_clISt17integral_constantIbLb1EES10_IbLb0EEEEDaSW_SX_EUlSW_E_NS1_11comp_targetILNS1_3genE10ELNS1_11target_archE1200ELNS1_3gpuE4ELNS1_3repE0EEENS1_30default_config_static_selectorELNS0_4arch9wavefront6targetE0EEEvT1_,comdat
.Lfunc_end1812:
	.size	_ZN7rocprim17ROCPRIM_400000_NS6detail17trampoline_kernelINS0_14default_configENS1_27scan_by_key_config_selectorIifEEZZNS1_16scan_by_key_implILNS1_25lookback_scan_determinismE0ELb1ES3_N6thrust23THRUST_200600_302600_NS6detail15normal_iteratorINS9_10device_ptrIiEEEENSB_INSC_IjEEEESE_fNS9_4plusIvEENS9_8equal_toIvEEfEE10hipError_tPvRmT2_T3_T4_T5_mT6_T7_P12ihipStream_tbENKUlT_T0_E_clISt17integral_constantIbLb1EES10_IbLb0EEEEDaSW_SX_EUlSW_E_NS1_11comp_targetILNS1_3genE10ELNS1_11target_archE1200ELNS1_3gpuE4ELNS1_3repE0EEENS1_30default_config_static_selectorELNS0_4arch9wavefront6targetE0EEEvT1_, .Lfunc_end1812-_ZN7rocprim17ROCPRIM_400000_NS6detail17trampoline_kernelINS0_14default_configENS1_27scan_by_key_config_selectorIifEEZZNS1_16scan_by_key_implILNS1_25lookback_scan_determinismE0ELb1ES3_N6thrust23THRUST_200600_302600_NS6detail15normal_iteratorINS9_10device_ptrIiEEEENSB_INSC_IjEEEESE_fNS9_4plusIvEENS9_8equal_toIvEEfEE10hipError_tPvRmT2_T3_T4_T5_mT6_T7_P12ihipStream_tbENKUlT_T0_E_clISt17integral_constantIbLb1EES10_IbLb0EEEEDaSW_SX_EUlSW_E_NS1_11comp_targetILNS1_3genE10ELNS1_11target_archE1200ELNS1_3gpuE4ELNS1_3repE0EEENS1_30default_config_static_selectorELNS0_4arch9wavefront6targetE0EEEvT1_
                                        ; -- End function
	.set _ZN7rocprim17ROCPRIM_400000_NS6detail17trampoline_kernelINS0_14default_configENS1_27scan_by_key_config_selectorIifEEZZNS1_16scan_by_key_implILNS1_25lookback_scan_determinismE0ELb1ES3_N6thrust23THRUST_200600_302600_NS6detail15normal_iteratorINS9_10device_ptrIiEEEENSB_INSC_IjEEEESE_fNS9_4plusIvEENS9_8equal_toIvEEfEE10hipError_tPvRmT2_T3_T4_T5_mT6_T7_P12ihipStream_tbENKUlT_T0_E_clISt17integral_constantIbLb1EES10_IbLb0EEEEDaSW_SX_EUlSW_E_NS1_11comp_targetILNS1_3genE10ELNS1_11target_archE1200ELNS1_3gpuE4ELNS1_3repE0EEENS1_30default_config_static_selectorELNS0_4arch9wavefront6targetE0EEEvT1_.num_vgpr, 0
	.set _ZN7rocprim17ROCPRIM_400000_NS6detail17trampoline_kernelINS0_14default_configENS1_27scan_by_key_config_selectorIifEEZZNS1_16scan_by_key_implILNS1_25lookback_scan_determinismE0ELb1ES3_N6thrust23THRUST_200600_302600_NS6detail15normal_iteratorINS9_10device_ptrIiEEEENSB_INSC_IjEEEESE_fNS9_4plusIvEENS9_8equal_toIvEEfEE10hipError_tPvRmT2_T3_T4_T5_mT6_T7_P12ihipStream_tbENKUlT_T0_E_clISt17integral_constantIbLb1EES10_IbLb0EEEEDaSW_SX_EUlSW_E_NS1_11comp_targetILNS1_3genE10ELNS1_11target_archE1200ELNS1_3gpuE4ELNS1_3repE0EEENS1_30default_config_static_selectorELNS0_4arch9wavefront6targetE0EEEvT1_.num_agpr, 0
	.set _ZN7rocprim17ROCPRIM_400000_NS6detail17trampoline_kernelINS0_14default_configENS1_27scan_by_key_config_selectorIifEEZZNS1_16scan_by_key_implILNS1_25lookback_scan_determinismE0ELb1ES3_N6thrust23THRUST_200600_302600_NS6detail15normal_iteratorINS9_10device_ptrIiEEEENSB_INSC_IjEEEESE_fNS9_4plusIvEENS9_8equal_toIvEEfEE10hipError_tPvRmT2_T3_T4_T5_mT6_T7_P12ihipStream_tbENKUlT_T0_E_clISt17integral_constantIbLb1EES10_IbLb0EEEEDaSW_SX_EUlSW_E_NS1_11comp_targetILNS1_3genE10ELNS1_11target_archE1200ELNS1_3gpuE4ELNS1_3repE0EEENS1_30default_config_static_selectorELNS0_4arch9wavefront6targetE0EEEvT1_.numbered_sgpr, 0
	.set _ZN7rocprim17ROCPRIM_400000_NS6detail17trampoline_kernelINS0_14default_configENS1_27scan_by_key_config_selectorIifEEZZNS1_16scan_by_key_implILNS1_25lookback_scan_determinismE0ELb1ES3_N6thrust23THRUST_200600_302600_NS6detail15normal_iteratorINS9_10device_ptrIiEEEENSB_INSC_IjEEEESE_fNS9_4plusIvEENS9_8equal_toIvEEfEE10hipError_tPvRmT2_T3_T4_T5_mT6_T7_P12ihipStream_tbENKUlT_T0_E_clISt17integral_constantIbLb1EES10_IbLb0EEEEDaSW_SX_EUlSW_E_NS1_11comp_targetILNS1_3genE10ELNS1_11target_archE1200ELNS1_3gpuE4ELNS1_3repE0EEENS1_30default_config_static_selectorELNS0_4arch9wavefront6targetE0EEEvT1_.num_named_barrier, 0
	.set _ZN7rocprim17ROCPRIM_400000_NS6detail17trampoline_kernelINS0_14default_configENS1_27scan_by_key_config_selectorIifEEZZNS1_16scan_by_key_implILNS1_25lookback_scan_determinismE0ELb1ES3_N6thrust23THRUST_200600_302600_NS6detail15normal_iteratorINS9_10device_ptrIiEEEENSB_INSC_IjEEEESE_fNS9_4plusIvEENS9_8equal_toIvEEfEE10hipError_tPvRmT2_T3_T4_T5_mT6_T7_P12ihipStream_tbENKUlT_T0_E_clISt17integral_constantIbLb1EES10_IbLb0EEEEDaSW_SX_EUlSW_E_NS1_11comp_targetILNS1_3genE10ELNS1_11target_archE1200ELNS1_3gpuE4ELNS1_3repE0EEENS1_30default_config_static_selectorELNS0_4arch9wavefront6targetE0EEEvT1_.private_seg_size, 0
	.set _ZN7rocprim17ROCPRIM_400000_NS6detail17trampoline_kernelINS0_14default_configENS1_27scan_by_key_config_selectorIifEEZZNS1_16scan_by_key_implILNS1_25lookback_scan_determinismE0ELb1ES3_N6thrust23THRUST_200600_302600_NS6detail15normal_iteratorINS9_10device_ptrIiEEEENSB_INSC_IjEEEESE_fNS9_4plusIvEENS9_8equal_toIvEEfEE10hipError_tPvRmT2_T3_T4_T5_mT6_T7_P12ihipStream_tbENKUlT_T0_E_clISt17integral_constantIbLb1EES10_IbLb0EEEEDaSW_SX_EUlSW_E_NS1_11comp_targetILNS1_3genE10ELNS1_11target_archE1200ELNS1_3gpuE4ELNS1_3repE0EEENS1_30default_config_static_selectorELNS0_4arch9wavefront6targetE0EEEvT1_.uses_vcc, 0
	.set _ZN7rocprim17ROCPRIM_400000_NS6detail17trampoline_kernelINS0_14default_configENS1_27scan_by_key_config_selectorIifEEZZNS1_16scan_by_key_implILNS1_25lookback_scan_determinismE0ELb1ES3_N6thrust23THRUST_200600_302600_NS6detail15normal_iteratorINS9_10device_ptrIiEEEENSB_INSC_IjEEEESE_fNS9_4plusIvEENS9_8equal_toIvEEfEE10hipError_tPvRmT2_T3_T4_T5_mT6_T7_P12ihipStream_tbENKUlT_T0_E_clISt17integral_constantIbLb1EES10_IbLb0EEEEDaSW_SX_EUlSW_E_NS1_11comp_targetILNS1_3genE10ELNS1_11target_archE1200ELNS1_3gpuE4ELNS1_3repE0EEENS1_30default_config_static_selectorELNS0_4arch9wavefront6targetE0EEEvT1_.uses_flat_scratch, 0
	.set _ZN7rocprim17ROCPRIM_400000_NS6detail17trampoline_kernelINS0_14default_configENS1_27scan_by_key_config_selectorIifEEZZNS1_16scan_by_key_implILNS1_25lookback_scan_determinismE0ELb1ES3_N6thrust23THRUST_200600_302600_NS6detail15normal_iteratorINS9_10device_ptrIiEEEENSB_INSC_IjEEEESE_fNS9_4plusIvEENS9_8equal_toIvEEfEE10hipError_tPvRmT2_T3_T4_T5_mT6_T7_P12ihipStream_tbENKUlT_T0_E_clISt17integral_constantIbLb1EES10_IbLb0EEEEDaSW_SX_EUlSW_E_NS1_11comp_targetILNS1_3genE10ELNS1_11target_archE1200ELNS1_3gpuE4ELNS1_3repE0EEENS1_30default_config_static_selectorELNS0_4arch9wavefront6targetE0EEEvT1_.has_dyn_sized_stack, 0
	.set _ZN7rocprim17ROCPRIM_400000_NS6detail17trampoline_kernelINS0_14default_configENS1_27scan_by_key_config_selectorIifEEZZNS1_16scan_by_key_implILNS1_25lookback_scan_determinismE0ELb1ES3_N6thrust23THRUST_200600_302600_NS6detail15normal_iteratorINS9_10device_ptrIiEEEENSB_INSC_IjEEEESE_fNS9_4plusIvEENS9_8equal_toIvEEfEE10hipError_tPvRmT2_T3_T4_T5_mT6_T7_P12ihipStream_tbENKUlT_T0_E_clISt17integral_constantIbLb1EES10_IbLb0EEEEDaSW_SX_EUlSW_E_NS1_11comp_targetILNS1_3genE10ELNS1_11target_archE1200ELNS1_3gpuE4ELNS1_3repE0EEENS1_30default_config_static_selectorELNS0_4arch9wavefront6targetE0EEEvT1_.has_recursion, 0
	.set _ZN7rocprim17ROCPRIM_400000_NS6detail17trampoline_kernelINS0_14default_configENS1_27scan_by_key_config_selectorIifEEZZNS1_16scan_by_key_implILNS1_25lookback_scan_determinismE0ELb1ES3_N6thrust23THRUST_200600_302600_NS6detail15normal_iteratorINS9_10device_ptrIiEEEENSB_INSC_IjEEEESE_fNS9_4plusIvEENS9_8equal_toIvEEfEE10hipError_tPvRmT2_T3_T4_T5_mT6_T7_P12ihipStream_tbENKUlT_T0_E_clISt17integral_constantIbLb1EES10_IbLb0EEEEDaSW_SX_EUlSW_E_NS1_11comp_targetILNS1_3genE10ELNS1_11target_archE1200ELNS1_3gpuE4ELNS1_3repE0EEENS1_30default_config_static_selectorELNS0_4arch9wavefront6targetE0EEEvT1_.has_indirect_call, 0
	.section	.AMDGPU.csdata,"",@progbits
; Kernel info:
; codeLenInByte = 0
; TotalNumSgprs: 0
; NumVgprs: 0
; ScratchSize: 0
; MemoryBound: 0
; FloatMode: 240
; IeeeMode: 1
; LDSByteSize: 0 bytes/workgroup (compile time only)
; SGPRBlocks: 0
; VGPRBlocks: 0
; NumSGPRsForWavesPerEU: 1
; NumVGPRsForWavesPerEU: 1
; Occupancy: 16
; WaveLimiterHint : 0
; COMPUTE_PGM_RSRC2:SCRATCH_EN: 0
; COMPUTE_PGM_RSRC2:USER_SGPR: 6
; COMPUTE_PGM_RSRC2:TRAP_HANDLER: 0
; COMPUTE_PGM_RSRC2:TGID_X_EN: 1
; COMPUTE_PGM_RSRC2:TGID_Y_EN: 0
; COMPUTE_PGM_RSRC2:TGID_Z_EN: 0
; COMPUTE_PGM_RSRC2:TIDIG_COMP_CNT: 0
	.section	.text._ZN7rocprim17ROCPRIM_400000_NS6detail17trampoline_kernelINS0_14default_configENS1_27scan_by_key_config_selectorIifEEZZNS1_16scan_by_key_implILNS1_25lookback_scan_determinismE0ELb1ES3_N6thrust23THRUST_200600_302600_NS6detail15normal_iteratorINS9_10device_ptrIiEEEENSB_INSC_IjEEEESE_fNS9_4plusIvEENS9_8equal_toIvEEfEE10hipError_tPvRmT2_T3_T4_T5_mT6_T7_P12ihipStream_tbENKUlT_T0_E_clISt17integral_constantIbLb1EES10_IbLb0EEEEDaSW_SX_EUlSW_E_NS1_11comp_targetILNS1_3genE9ELNS1_11target_archE1100ELNS1_3gpuE3ELNS1_3repE0EEENS1_30default_config_static_selectorELNS0_4arch9wavefront6targetE0EEEvT1_,"axG",@progbits,_ZN7rocprim17ROCPRIM_400000_NS6detail17trampoline_kernelINS0_14default_configENS1_27scan_by_key_config_selectorIifEEZZNS1_16scan_by_key_implILNS1_25lookback_scan_determinismE0ELb1ES3_N6thrust23THRUST_200600_302600_NS6detail15normal_iteratorINS9_10device_ptrIiEEEENSB_INSC_IjEEEESE_fNS9_4plusIvEENS9_8equal_toIvEEfEE10hipError_tPvRmT2_T3_T4_T5_mT6_T7_P12ihipStream_tbENKUlT_T0_E_clISt17integral_constantIbLb1EES10_IbLb0EEEEDaSW_SX_EUlSW_E_NS1_11comp_targetILNS1_3genE9ELNS1_11target_archE1100ELNS1_3gpuE3ELNS1_3repE0EEENS1_30default_config_static_selectorELNS0_4arch9wavefront6targetE0EEEvT1_,comdat
	.protected	_ZN7rocprim17ROCPRIM_400000_NS6detail17trampoline_kernelINS0_14default_configENS1_27scan_by_key_config_selectorIifEEZZNS1_16scan_by_key_implILNS1_25lookback_scan_determinismE0ELb1ES3_N6thrust23THRUST_200600_302600_NS6detail15normal_iteratorINS9_10device_ptrIiEEEENSB_INSC_IjEEEESE_fNS9_4plusIvEENS9_8equal_toIvEEfEE10hipError_tPvRmT2_T3_T4_T5_mT6_T7_P12ihipStream_tbENKUlT_T0_E_clISt17integral_constantIbLb1EES10_IbLb0EEEEDaSW_SX_EUlSW_E_NS1_11comp_targetILNS1_3genE9ELNS1_11target_archE1100ELNS1_3gpuE3ELNS1_3repE0EEENS1_30default_config_static_selectorELNS0_4arch9wavefront6targetE0EEEvT1_ ; -- Begin function _ZN7rocprim17ROCPRIM_400000_NS6detail17trampoline_kernelINS0_14default_configENS1_27scan_by_key_config_selectorIifEEZZNS1_16scan_by_key_implILNS1_25lookback_scan_determinismE0ELb1ES3_N6thrust23THRUST_200600_302600_NS6detail15normal_iteratorINS9_10device_ptrIiEEEENSB_INSC_IjEEEESE_fNS9_4plusIvEENS9_8equal_toIvEEfEE10hipError_tPvRmT2_T3_T4_T5_mT6_T7_P12ihipStream_tbENKUlT_T0_E_clISt17integral_constantIbLb1EES10_IbLb0EEEEDaSW_SX_EUlSW_E_NS1_11comp_targetILNS1_3genE9ELNS1_11target_archE1100ELNS1_3gpuE3ELNS1_3repE0EEENS1_30default_config_static_selectorELNS0_4arch9wavefront6targetE0EEEvT1_
	.globl	_ZN7rocprim17ROCPRIM_400000_NS6detail17trampoline_kernelINS0_14default_configENS1_27scan_by_key_config_selectorIifEEZZNS1_16scan_by_key_implILNS1_25lookback_scan_determinismE0ELb1ES3_N6thrust23THRUST_200600_302600_NS6detail15normal_iteratorINS9_10device_ptrIiEEEENSB_INSC_IjEEEESE_fNS9_4plusIvEENS9_8equal_toIvEEfEE10hipError_tPvRmT2_T3_T4_T5_mT6_T7_P12ihipStream_tbENKUlT_T0_E_clISt17integral_constantIbLb1EES10_IbLb0EEEEDaSW_SX_EUlSW_E_NS1_11comp_targetILNS1_3genE9ELNS1_11target_archE1100ELNS1_3gpuE3ELNS1_3repE0EEENS1_30default_config_static_selectorELNS0_4arch9wavefront6targetE0EEEvT1_
	.p2align	8
	.type	_ZN7rocprim17ROCPRIM_400000_NS6detail17trampoline_kernelINS0_14default_configENS1_27scan_by_key_config_selectorIifEEZZNS1_16scan_by_key_implILNS1_25lookback_scan_determinismE0ELb1ES3_N6thrust23THRUST_200600_302600_NS6detail15normal_iteratorINS9_10device_ptrIiEEEENSB_INSC_IjEEEESE_fNS9_4plusIvEENS9_8equal_toIvEEfEE10hipError_tPvRmT2_T3_T4_T5_mT6_T7_P12ihipStream_tbENKUlT_T0_E_clISt17integral_constantIbLb1EES10_IbLb0EEEEDaSW_SX_EUlSW_E_NS1_11comp_targetILNS1_3genE9ELNS1_11target_archE1100ELNS1_3gpuE3ELNS1_3repE0EEENS1_30default_config_static_selectorELNS0_4arch9wavefront6targetE0EEEvT1_,@function
_ZN7rocprim17ROCPRIM_400000_NS6detail17trampoline_kernelINS0_14default_configENS1_27scan_by_key_config_selectorIifEEZZNS1_16scan_by_key_implILNS1_25lookback_scan_determinismE0ELb1ES3_N6thrust23THRUST_200600_302600_NS6detail15normal_iteratorINS9_10device_ptrIiEEEENSB_INSC_IjEEEESE_fNS9_4plusIvEENS9_8equal_toIvEEfEE10hipError_tPvRmT2_T3_T4_T5_mT6_T7_P12ihipStream_tbENKUlT_T0_E_clISt17integral_constantIbLb1EES10_IbLb0EEEEDaSW_SX_EUlSW_E_NS1_11comp_targetILNS1_3genE9ELNS1_11target_archE1100ELNS1_3gpuE3ELNS1_3repE0EEENS1_30default_config_static_selectorELNS0_4arch9wavefront6targetE0EEEvT1_: ; @_ZN7rocprim17ROCPRIM_400000_NS6detail17trampoline_kernelINS0_14default_configENS1_27scan_by_key_config_selectorIifEEZZNS1_16scan_by_key_implILNS1_25lookback_scan_determinismE0ELb1ES3_N6thrust23THRUST_200600_302600_NS6detail15normal_iteratorINS9_10device_ptrIiEEEENSB_INSC_IjEEEESE_fNS9_4plusIvEENS9_8equal_toIvEEfEE10hipError_tPvRmT2_T3_T4_T5_mT6_T7_P12ihipStream_tbENKUlT_T0_E_clISt17integral_constantIbLb1EES10_IbLb0EEEEDaSW_SX_EUlSW_E_NS1_11comp_targetILNS1_3genE9ELNS1_11target_archE1100ELNS1_3gpuE3ELNS1_3repE0EEENS1_30default_config_static_selectorELNS0_4arch9wavefront6targetE0EEEvT1_
; %bb.0:
	.section	.rodata,"a",@progbits
	.p2align	6, 0x0
	.amdhsa_kernel _ZN7rocprim17ROCPRIM_400000_NS6detail17trampoline_kernelINS0_14default_configENS1_27scan_by_key_config_selectorIifEEZZNS1_16scan_by_key_implILNS1_25lookback_scan_determinismE0ELb1ES3_N6thrust23THRUST_200600_302600_NS6detail15normal_iteratorINS9_10device_ptrIiEEEENSB_INSC_IjEEEESE_fNS9_4plusIvEENS9_8equal_toIvEEfEE10hipError_tPvRmT2_T3_T4_T5_mT6_T7_P12ihipStream_tbENKUlT_T0_E_clISt17integral_constantIbLb1EES10_IbLb0EEEEDaSW_SX_EUlSW_E_NS1_11comp_targetILNS1_3genE9ELNS1_11target_archE1100ELNS1_3gpuE3ELNS1_3repE0EEENS1_30default_config_static_selectorELNS0_4arch9wavefront6targetE0EEEvT1_
		.amdhsa_group_segment_fixed_size 0
		.amdhsa_private_segment_fixed_size 0
		.amdhsa_kernarg_size 112
		.amdhsa_user_sgpr_count 6
		.amdhsa_user_sgpr_private_segment_buffer 1
		.amdhsa_user_sgpr_dispatch_ptr 0
		.amdhsa_user_sgpr_queue_ptr 0
		.amdhsa_user_sgpr_kernarg_segment_ptr 1
		.amdhsa_user_sgpr_dispatch_id 0
		.amdhsa_user_sgpr_flat_scratch_init 0
		.amdhsa_user_sgpr_private_segment_size 0
		.amdhsa_wavefront_size32 1
		.amdhsa_uses_dynamic_stack 0
		.amdhsa_system_sgpr_private_segment_wavefront_offset 0
		.amdhsa_system_sgpr_workgroup_id_x 1
		.amdhsa_system_sgpr_workgroup_id_y 0
		.amdhsa_system_sgpr_workgroup_id_z 0
		.amdhsa_system_sgpr_workgroup_info 0
		.amdhsa_system_vgpr_workitem_id 0
		.amdhsa_next_free_vgpr 1
		.amdhsa_next_free_sgpr 1
		.amdhsa_reserve_vcc 0
		.amdhsa_reserve_flat_scratch 0
		.amdhsa_float_round_mode_32 0
		.amdhsa_float_round_mode_16_64 0
		.amdhsa_float_denorm_mode_32 3
		.amdhsa_float_denorm_mode_16_64 3
		.amdhsa_dx10_clamp 1
		.amdhsa_ieee_mode 1
		.amdhsa_fp16_overflow 0
		.amdhsa_workgroup_processor_mode 1
		.amdhsa_memory_ordered 1
		.amdhsa_forward_progress 1
		.amdhsa_shared_vgpr_count 0
		.amdhsa_exception_fp_ieee_invalid_op 0
		.amdhsa_exception_fp_denorm_src 0
		.amdhsa_exception_fp_ieee_div_zero 0
		.amdhsa_exception_fp_ieee_overflow 0
		.amdhsa_exception_fp_ieee_underflow 0
		.amdhsa_exception_fp_ieee_inexact 0
		.amdhsa_exception_int_div_zero 0
	.end_amdhsa_kernel
	.section	.text._ZN7rocprim17ROCPRIM_400000_NS6detail17trampoline_kernelINS0_14default_configENS1_27scan_by_key_config_selectorIifEEZZNS1_16scan_by_key_implILNS1_25lookback_scan_determinismE0ELb1ES3_N6thrust23THRUST_200600_302600_NS6detail15normal_iteratorINS9_10device_ptrIiEEEENSB_INSC_IjEEEESE_fNS9_4plusIvEENS9_8equal_toIvEEfEE10hipError_tPvRmT2_T3_T4_T5_mT6_T7_P12ihipStream_tbENKUlT_T0_E_clISt17integral_constantIbLb1EES10_IbLb0EEEEDaSW_SX_EUlSW_E_NS1_11comp_targetILNS1_3genE9ELNS1_11target_archE1100ELNS1_3gpuE3ELNS1_3repE0EEENS1_30default_config_static_selectorELNS0_4arch9wavefront6targetE0EEEvT1_,"axG",@progbits,_ZN7rocprim17ROCPRIM_400000_NS6detail17trampoline_kernelINS0_14default_configENS1_27scan_by_key_config_selectorIifEEZZNS1_16scan_by_key_implILNS1_25lookback_scan_determinismE0ELb1ES3_N6thrust23THRUST_200600_302600_NS6detail15normal_iteratorINS9_10device_ptrIiEEEENSB_INSC_IjEEEESE_fNS9_4plusIvEENS9_8equal_toIvEEfEE10hipError_tPvRmT2_T3_T4_T5_mT6_T7_P12ihipStream_tbENKUlT_T0_E_clISt17integral_constantIbLb1EES10_IbLb0EEEEDaSW_SX_EUlSW_E_NS1_11comp_targetILNS1_3genE9ELNS1_11target_archE1100ELNS1_3gpuE3ELNS1_3repE0EEENS1_30default_config_static_selectorELNS0_4arch9wavefront6targetE0EEEvT1_,comdat
.Lfunc_end1813:
	.size	_ZN7rocprim17ROCPRIM_400000_NS6detail17trampoline_kernelINS0_14default_configENS1_27scan_by_key_config_selectorIifEEZZNS1_16scan_by_key_implILNS1_25lookback_scan_determinismE0ELb1ES3_N6thrust23THRUST_200600_302600_NS6detail15normal_iteratorINS9_10device_ptrIiEEEENSB_INSC_IjEEEESE_fNS9_4plusIvEENS9_8equal_toIvEEfEE10hipError_tPvRmT2_T3_T4_T5_mT6_T7_P12ihipStream_tbENKUlT_T0_E_clISt17integral_constantIbLb1EES10_IbLb0EEEEDaSW_SX_EUlSW_E_NS1_11comp_targetILNS1_3genE9ELNS1_11target_archE1100ELNS1_3gpuE3ELNS1_3repE0EEENS1_30default_config_static_selectorELNS0_4arch9wavefront6targetE0EEEvT1_, .Lfunc_end1813-_ZN7rocprim17ROCPRIM_400000_NS6detail17trampoline_kernelINS0_14default_configENS1_27scan_by_key_config_selectorIifEEZZNS1_16scan_by_key_implILNS1_25lookback_scan_determinismE0ELb1ES3_N6thrust23THRUST_200600_302600_NS6detail15normal_iteratorINS9_10device_ptrIiEEEENSB_INSC_IjEEEESE_fNS9_4plusIvEENS9_8equal_toIvEEfEE10hipError_tPvRmT2_T3_T4_T5_mT6_T7_P12ihipStream_tbENKUlT_T0_E_clISt17integral_constantIbLb1EES10_IbLb0EEEEDaSW_SX_EUlSW_E_NS1_11comp_targetILNS1_3genE9ELNS1_11target_archE1100ELNS1_3gpuE3ELNS1_3repE0EEENS1_30default_config_static_selectorELNS0_4arch9wavefront6targetE0EEEvT1_
                                        ; -- End function
	.set _ZN7rocprim17ROCPRIM_400000_NS6detail17trampoline_kernelINS0_14default_configENS1_27scan_by_key_config_selectorIifEEZZNS1_16scan_by_key_implILNS1_25lookback_scan_determinismE0ELb1ES3_N6thrust23THRUST_200600_302600_NS6detail15normal_iteratorINS9_10device_ptrIiEEEENSB_INSC_IjEEEESE_fNS9_4plusIvEENS9_8equal_toIvEEfEE10hipError_tPvRmT2_T3_T4_T5_mT6_T7_P12ihipStream_tbENKUlT_T0_E_clISt17integral_constantIbLb1EES10_IbLb0EEEEDaSW_SX_EUlSW_E_NS1_11comp_targetILNS1_3genE9ELNS1_11target_archE1100ELNS1_3gpuE3ELNS1_3repE0EEENS1_30default_config_static_selectorELNS0_4arch9wavefront6targetE0EEEvT1_.num_vgpr, 0
	.set _ZN7rocprim17ROCPRIM_400000_NS6detail17trampoline_kernelINS0_14default_configENS1_27scan_by_key_config_selectorIifEEZZNS1_16scan_by_key_implILNS1_25lookback_scan_determinismE0ELb1ES3_N6thrust23THRUST_200600_302600_NS6detail15normal_iteratorINS9_10device_ptrIiEEEENSB_INSC_IjEEEESE_fNS9_4plusIvEENS9_8equal_toIvEEfEE10hipError_tPvRmT2_T3_T4_T5_mT6_T7_P12ihipStream_tbENKUlT_T0_E_clISt17integral_constantIbLb1EES10_IbLb0EEEEDaSW_SX_EUlSW_E_NS1_11comp_targetILNS1_3genE9ELNS1_11target_archE1100ELNS1_3gpuE3ELNS1_3repE0EEENS1_30default_config_static_selectorELNS0_4arch9wavefront6targetE0EEEvT1_.num_agpr, 0
	.set _ZN7rocprim17ROCPRIM_400000_NS6detail17trampoline_kernelINS0_14default_configENS1_27scan_by_key_config_selectorIifEEZZNS1_16scan_by_key_implILNS1_25lookback_scan_determinismE0ELb1ES3_N6thrust23THRUST_200600_302600_NS6detail15normal_iteratorINS9_10device_ptrIiEEEENSB_INSC_IjEEEESE_fNS9_4plusIvEENS9_8equal_toIvEEfEE10hipError_tPvRmT2_T3_T4_T5_mT6_T7_P12ihipStream_tbENKUlT_T0_E_clISt17integral_constantIbLb1EES10_IbLb0EEEEDaSW_SX_EUlSW_E_NS1_11comp_targetILNS1_3genE9ELNS1_11target_archE1100ELNS1_3gpuE3ELNS1_3repE0EEENS1_30default_config_static_selectorELNS0_4arch9wavefront6targetE0EEEvT1_.numbered_sgpr, 0
	.set _ZN7rocprim17ROCPRIM_400000_NS6detail17trampoline_kernelINS0_14default_configENS1_27scan_by_key_config_selectorIifEEZZNS1_16scan_by_key_implILNS1_25lookback_scan_determinismE0ELb1ES3_N6thrust23THRUST_200600_302600_NS6detail15normal_iteratorINS9_10device_ptrIiEEEENSB_INSC_IjEEEESE_fNS9_4plusIvEENS9_8equal_toIvEEfEE10hipError_tPvRmT2_T3_T4_T5_mT6_T7_P12ihipStream_tbENKUlT_T0_E_clISt17integral_constantIbLb1EES10_IbLb0EEEEDaSW_SX_EUlSW_E_NS1_11comp_targetILNS1_3genE9ELNS1_11target_archE1100ELNS1_3gpuE3ELNS1_3repE0EEENS1_30default_config_static_selectorELNS0_4arch9wavefront6targetE0EEEvT1_.num_named_barrier, 0
	.set _ZN7rocprim17ROCPRIM_400000_NS6detail17trampoline_kernelINS0_14default_configENS1_27scan_by_key_config_selectorIifEEZZNS1_16scan_by_key_implILNS1_25lookback_scan_determinismE0ELb1ES3_N6thrust23THRUST_200600_302600_NS6detail15normal_iteratorINS9_10device_ptrIiEEEENSB_INSC_IjEEEESE_fNS9_4plusIvEENS9_8equal_toIvEEfEE10hipError_tPvRmT2_T3_T4_T5_mT6_T7_P12ihipStream_tbENKUlT_T0_E_clISt17integral_constantIbLb1EES10_IbLb0EEEEDaSW_SX_EUlSW_E_NS1_11comp_targetILNS1_3genE9ELNS1_11target_archE1100ELNS1_3gpuE3ELNS1_3repE0EEENS1_30default_config_static_selectorELNS0_4arch9wavefront6targetE0EEEvT1_.private_seg_size, 0
	.set _ZN7rocprim17ROCPRIM_400000_NS6detail17trampoline_kernelINS0_14default_configENS1_27scan_by_key_config_selectorIifEEZZNS1_16scan_by_key_implILNS1_25lookback_scan_determinismE0ELb1ES3_N6thrust23THRUST_200600_302600_NS6detail15normal_iteratorINS9_10device_ptrIiEEEENSB_INSC_IjEEEESE_fNS9_4plusIvEENS9_8equal_toIvEEfEE10hipError_tPvRmT2_T3_T4_T5_mT6_T7_P12ihipStream_tbENKUlT_T0_E_clISt17integral_constantIbLb1EES10_IbLb0EEEEDaSW_SX_EUlSW_E_NS1_11comp_targetILNS1_3genE9ELNS1_11target_archE1100ELNS1_3gpuE3ELNS1_3repE0EEENS1_30default_config_static_selectorELNS0_4arch9wavefront6targetE0EEEvT1_.uses_vcc, 0
	.set _ZN7rocprim17ROCPRIM_400000_NS6detail17trampoline_kernelINS0_14default_configENS1_27scan_by_key_config_selectorIifEEZZNS1_16scan_by_key_implILNS1_25lookback_scan_determinismE0ELb1ES3_N6thrust23THRUST_200600_302600_NS6detail15normal_iteratorINS9_10device_ptrIiEEEENSB_INSC_IjEEEESE_fNS9_4plusIvEENS9_8equal_toIvEEfEE10hipError_tPvRmT2_T3_T4_T5_mT6_T7_P12ihipStream_tbENKUlT_T0_E_clISt17integral_constantIbLb1EES10_IbLb0EEEEDaSW_SX_EUlSW_E_NS1_11comp_targetILNS1_3genE9ELNS1_11target_archE1100ELNS1_3gpuE3ELNS1_3repE0EEENS1_30default_config_static_selectorELNS0_4arch9wavefront6targetE0EEEvT1_.uses_flat_scratch, 0
	.set _ZN7rocprim17ROCPRIM_400000_NS6detail17trampoline_kernelINS0_14default_configENS1_27scan_by_key_config_selectorIifEEZZNS1_16scan_by_key_implILNS1_25lookback_scan_determinismE0ELb1ES3_N6thrust23THRUST_200600_302600_NS6detail15normal_iteratorINS9_10device_ptrIiEEEENSB_INSC_IjEEEESE_fNS9_4plusIvEENS9_8equal_toIvEEfEE10hipError_tPvRmT2_T3_T4_T5_mT6_T7_P12ihipStream_tbENKUlT_T0_E_clISt17integral_constantIbLb1EES10_IbLb0EEEEDaSW_SX_EUlSW_E_NS1_11comp_targetILNS1_3genE9ELNS1_11target_archE1100ELNS1_3gpuE3ELNS1_3repE0EEENS1_30default_config_static_selectorELNS0_4arch9wavefront6targetE0EEEvT1_.has_dyn_sized_stack, 0
	.set _ZN7rocprim17ROCPRIM_400000_NS6detail17trampoline_kernelINS0_14default_configENS1_27scan_by_key_config_selectorIifEEZZNS1_16scan_by_key_implILNS1_25lookback_scan_determinismE0ELb1ES3_N6thrust23THRUST_200600_302600_NS6detail15normal_iteratorINS9_10device_ptrIiEEEENSB_INSC_IjEEEESE_fNS9_4plusIvEENS9_8equal_toIvEEfEE10hipError_tPvRmT2_T3_T4_T5_mT6_T7_P12ihipStream_tbENKUlT_T0_E_clISt17integral_constantIbLb1EES10_IbLb0EEEEDaSW_SX_EUlSW_E_NS1_11comp_targetILNS1_3genE9ELNS1_11target_archE1100ELNS1_3gpuE3ELNS1_3repE0EEENS1_30default_config_static_selectorELNS0_4arch9wavefront6targetE0EEEvT1_.has_recursion, 0
	.set _ZN7rocprim17ROCPRIM_400000_NS6detail17trampoline_kernelINS0_14default_configENS1_27scan_by_key_config_selectorIifEEZZNS1_16scan_by_key_implILNS1_25lookback_scan_determinismE0ELb1ES3_N6thrust23THRUST_200600_302600_NS6detail15normal_iteratorINS9_10device_ptrIiEEEENSB_INSC_IjEEEESE_fNS9_4plusIvEENS9_8equal_toIvEEfEE10hipError_tPvRmT2_T3_T4_T5_mT6_T7_P12ihipStream_tbENKUlT_T0_E_clISt17integral_constantIbLb1EES10_IbLb0EEEEDaSW_SX_EUlSW_E_NS1_11comp_targetILNS1_3genE9ELNS1_11target_archE1100ELNS1_3gpuE3ELNS1_3repE0EEENS1_30default_config_static_selectorELNS0_4arch9wavefront6targetE0EEEvT1_.has_indirect_call, 0
	.section	.AMDGPU.csdata,"",@progbits
; Kernel info:
; codeLenInByte = 0
; TotalNumSgprs: 0
; NumVgprs: 0
; ScratchSize: 0
; MemoryBound: 0
; FloatMode: 240
; IeeeMode: 1
; LDSByteSize: 0 bytes/workgroup (compile time only)
; SGPRBlocks: 0
; VGPRBlocks: 0
; NumSGPRsForWavesPerEU: 1
; NumVGPRsForWavesPerEU: 1
; Occupancy: 16
; WaveLimiterHint : 0
; COMPUTE_PGM_RSRC2:SCRATCH_EN: 0
; COMPUTE_PGM_RSRC2:USER_SGPR: 6
; COMPUTE_PGM_RSRC2:TRAP_HANDLER: 0
; COMPUTE_PGM_RSRC2:TGID_X_EN: 1
; COMPUTE_PGM_RSRC2:TGID_Y_EN: 0
; COMPUTE_PGM_RSRC2:TGID_Z_EN: 0
; COMPUTE_PGM_RSRC2:TIDIG_COMP_CNT: 0
	.section	.text._ZN7rocprim17ROCPRIM_400000_NS6detail17trampoline_kernelINS0_14default_configENS1_27scan_by_key_config_selectorIifEEZZNS1_16scan_by_key_implILNS1_25lookback_scan_determinismE0ELb1ES3_N6thrust23THRUST_200600_302600_NS6detail15normal_iteratorINS9_10device_ptrIiEEEENSB_INSC_IjEEEESE_fNS9_4plusIvEENS9_8equal_toIvEEfEE10hipError_tPvRmT2_T3_T4_T5_mT6_T7_P12ihipStream_tbENKUlT_T0_E_clISt17integral_constantIbLb1EES10_IbLb0EEEEDaSW_SX_EUlSW_E_NS1_11comp_targetILNS1_3genE8ELNS1_11target_archE1030ELNS1_3gpuE2ELNS1_3repE0EEENS1_30default_config_static_selectorELNS0_4arch9wavefront6targetE0EEEvT1_,"axG",@progbits,_ZN7rocprim17ROCPRIM_400000_NS6detail17trampoline_kernelINS0_14default_configENS1_27scan_by_key_config_selectorIifEEZZNS1_16scan_by_key_implILNS1_25lookback_scan_determinismE0ELb1ES3_N6thrust23THRUST_200600_302600_NS6detail15normal_iteratorINS9_10device_ptrIiEEEENSB_INSC_IjEEEESE_fNS9_4plusIvEENS9_8equal_toIvEEfEE10hipError_tPvRmT2_T3_T4_T5_mT6_T7_P12ihipStream_tbENKUlT_T0_E_clISt17integral_constantIbLb1EES10_IbLb0EEEEDaSW_SX_EUlSW_E_NS1_11comp_targetILNS1_3genE8ELNS1_11target_archE1030ELNS1_3gpuE2ELNS1_3repE0EEENS1_30default_config_static_selectorELNS0_4arch9wavefront6targetE0EEEvT1_,comdat
	.protected	_ZN7rocprim17ROCPRIM_400000_NS6detail17trampoline_kernelINS0_14default_configENS1_27scan_by_key_config_selectorIifEEZZNS1_16scan_by_key_implILNS1_25lookback_scan_determinismE0ELb1ES3_N6thrust23THRUST_200600_302600_NS6detail15normal_iteratorINS9_10device_ptrIiEEEENSB_INSC_IjEEEESE_fNS9_4plusIvEENS9_8equal_toIvEEfEE10hipError_tPvRmT2_T3_T4_T5_mT6_T7_P12ihipStream_tbENKUlT_T0_E_clISt17integral_constantIbLb1EES10_IbLb0EEEEDaSW_SX_EUlSW_E_NS1_11comp_targetILNS1_3genE8ELNS1_11target_archE1030ELNS1_3gpuE2ELNS1_3repE0EEENS1_30default_config_static_selectorELNS0_4arch9wavefront6targetE0EEEvT1_ ; -- Begin function _ZN7rocprim17ROCPRIM_400000_NS6detail17trampoline_kernelINS0_14default_configENS1_27scan_by_key_config_selectorIifEEZZNS1_16scan_by_key_implILNS1_25lookback_scan_determinismE0ELb1ES3_N6thrust23THRUST_200600_302600_NS6detail15normal_iteratorINS9_10device_ptrIiEEEENSB_INSC_IjEEEESE_fNS9_4plusIvEENS9_8equal_toIvEEfEE10hipError_tPvRmT2_T3_T4_T5_mT6_T7_P12ihipStream_tbENKUlT_T0_E_clISt17integral_constantIbLb1EES10_IbLb0EEEEDaSW_SX_EUlSW_E_NS1_11comp_targetILNS1_3genE8ELNS1_11target_archE1030ELNS1_3gpuE2ELNS1_3repE0EEENS1_30default_config_static_selectorELNS0_4arch9wavefront6targetE0EEEvT1_
	.globl	_ZN7rocprim17ROCPRIM_400000_NS6detail17trampoline_kernelINS0_14default_configENS1_27scan_by_key_config_selectorIifEEZZNS1_16scan_by_key_implILNS1_25lookback_scan_determinismE0ELb1ES3_N6thrust23THRUST_200600_302600_NS6detail15normal_iteratorINS9_10device_ptrIiEEEENSB_INSC_IjEEEESE_fNS9_4plusIvEENS9_8equal_toIvEEfEE10hipError_tPvRmT2_T3_T4_T5_mT6_T7_P12ihipStream_tbENKUlT_T0_E_clISt17integral_constantIbLb1EES10_IbLb0EEEEDaSW_SX_EUlSW_E_NS1_11comp_targetILNS1_3genE8ELNS1_11target_archE1030ELNS1_3gpuE2ELNS1_3repE0EEENS1_30default_config_static_selectorELNS0_4arch9wavefront6targetE0EEEvT1_
	.p2align	8
	.type	_ZN7rocprim17ROCPRIM_400000_NS6detail17trampoline_kernelINS0_14default_configENS1_27scan_by_key_config_selectorIifEEZZNS1_16scan_by_key_implILNS1_25lookback_scan_determinismE0ELb1ES3_N6thrust23THRUST_200600_302600_NS6detail15normal_iteratorINS9_10device_ptrIiEEEENSB_INSC_IjEEEESE_fNS9_4plusIvEENS9_8equal_toIvEEfEE10hipError_tPvRmT2_T3_T4_T5_mT6_T7_P12ihipStream_tbENKUlT_T0_E_clISt17integral_constantIbLb1EES10_IbLb0EEEEDaSW_SX_EUlSW_E_NS1_11comp_targetILNS1_3genE8ELNS1_11target_archE1030ELNS1_3gpuE2ELNS1_3repE0EEENS1_30default_config_static_selectorELNS0_4arch9wavefront6targetE0EEEvT1_,@function
_ZN7rocprim17ROCPRIM_400000_NS6detail17trampoline_kernelINS0_14default_configENS1_27scan_by_key_config_selectorIifEEZZNS1_16scan_by_key_implILNS1_25lookback_scan_determinismE0ELb1ES3_N6thrust23THRUST_200600_302600_NS6detail15normal_iteratorINS9_10device_ptrIiEEEENSB_INSC_IjEEEESE_fNS9_4plusIvEENS9_8equal_toIvEEfEE10hipError_tPvRmT2_T3_T4_T5_mT6_T7_P12ihipStream_tbENKUlT_T0_E_clISt17integral_constantIbLb1EES10_IbLb0EEEEDaSW_SX_EUlSW_E_NS1_11comp_targetILNS1_3genE8ELNS1_11target_archE1030ELNS1_3gpuE2ELNS1_3repE0EEENS1_30default_config_static_selectorELNS0_4arch9wavefront6targetE0EEEvT1_: ; @_ZN7rocprim17ROCPRIM_400000_NS6detail17trampoline_kernelINS0_14default_configENS1_27scan_by_key_config_selectorIifEEZZNS1_16scan_by_key_implILNS1_25lookback_scan_determinismE0ELb1ES3_N6thrust23THRUST_200600_302600_NS6detail15normal_iteratorINS9_10device_ptrIiEEEENSB_INSC_IjEEEESE_fNS9_4plusIvEENS9_8equal_toIvEEfEE10hipError_tPvRmT2_T3_T4_T5_mT6_T7_P12ihipStream_tbENKUlT_T0_E_clISt17integral_constantIbLb1EES10_IbLb0EEEEDaSW_SX_EUlSW_E_NS1_11comp_targetILNS1_3genE8ELNS1_11target_archE1030ELNS1_3gpuE2ELNS1_3repE0EEENS1_30default_config_static_selectorELNS0_4arch9wavefront6targetE0EEEvT1_
; %bb.0:
	s_endpgm
	.section	.rodata,"a",@progbits
	.p2align	6, 0x0
	.amdhsa_kernel _ZN7rocprim17ROCPRIM_400000_NS6detail17trampoline_kernelINS0_14default_configENS1_27scan_by_key_config_selectorIifEEZZNS1_16scan_by_key_implILNS1_25lookback_scan_determinismE0ELb1ES3_N6thrust23THRUST_200600_302600_NS6detail15normal_iteratorINS9_10device_ptrIiEEEENSB_INSC_IjEEEESE_fNS9_4plusIvEENS9_8equal_toIvEEfEE10hipError_tPvRmT2_T3_T4_T5_mT6_T7_P12ihipStream_tbENKUlT_T0_E_clISt17integral_constantIbLb1EES10_IbLb0EEEEDaSW_SX_EUlSW_E_NS1_11comp_targetILNS1_3genE8ELNS1_11target_archE1030ELNS1_3gpuE2ELNS1_3repE0EEENS1_30default_config_static_selectorELNS0_4arch9wavefront6targetE0EEEvT1_
		.amdhsa_group_segment_fixed_size 0
		.amdhsa_private_segment_fixed_size 0
		.amdhsa_kernarg_size 112
		.amdhsa_user_sgpr_count 6
		.amdhsa_user_sgpr_private_segment_buffer 1
		.amdhsa_user_sgpr_dispatch_ptr 0
		.amdhsa_user_sgpr_queue_ptr 0
		.amdhsa_user_sgpr_kernarg_segment_ptr 1
		.amdhsa_user_sgpr_dispatch_id 0
		.amdhsa_user_sgpr_flat_scratch_init 0
		.amdhsa_user_sgpr_private_segment_size 0
		.amdhsa_wavefront_size32 1
		.amdhsa_uses_dynamic_stack 0
		.amdhsa_system_sgpr_private_segment_wavefront_offset 0
		.amdhsa_system_sgpr_workgroup_id_x 1
		.amdhsa_system_sgpr_workgroup_id_y 0
		.amdhsa_system_sgpr_workgroup_id_z 0
		.amdhsa_system_sgpr_workgroup_info 0
		.amdhsa_system_vgpr_workitem_id 0
		.amdhsa_next_free_vgpr 1
		.amdhsa_next_free_sgpr 1
		.amdhsa_reserve_vcc 0
		.amdhsa_reserve_flat_scratch 0
		.amdhsa_float_round_mode_32 0
		.amdhsa_float_round_mode_16_64 0
		.amdhsa_float_denorm_mode_32 3
		.amdhsa_float_denorm_mode_16_64 3
		.amdhsa_dx10_clamp 1
		.amdhsa_ieee_mode 1
		.amdhsa_fp16_overflow 0
		.amdhsa_workgroup_processor_mode 1
		.amdhsa_memory_ordered 1
		.amdhsa_forward_progress 1
		.amdhsa_shared_vgpr_count 0
		.amdhsa_exception_fp_ieee_invalid_op 0
		.amdhsa_exception_fp_denorm_src 0
		.amdhsa_exception_fp_ieee_div_zero 0
		.amdhsa_exception_fp_ieee_overflow 0
		.amdhsa_exception_fp_ieee_underflow 0
		.amdhsa_exception_fp_ieee_inexact 0
		.amdhsa_exception_int_div_zero 0
	.end_amdhsa_kernel
	.section	.text._ZN7rocprim17ROCPRIM_400000_NS6detail17trampoline_kernelINS0_14default_configENS1_27scan_by_key_config_selectorIifEEZZNS1_16scan_by_key_implILNS1_25lookback_scan_determinismE0ELb1ES3_N6thrust23THRUST_200600_302600_NS6detail15normal_iteratorINS9_10device_ptrIiEEEENSB_INSC_IjEEEESE_fNS9_4plusIvEENS9_8equal_toIvEEfEE10hipError_tPvRmT2_T3_T4_T5_mT6_T7_P12ihipStream_tbENKUlT_T0_E_clISt17integral_constantIbLb1EES10_IbLb0EEEEDaSW_SX_EUlSW_E_NS1_11comp_targetILNS1_3genE8ELNS1_11target_archE1030ELNS1_3gpuE2ELNS1_3repE0EEENS1_30default_config_static_selectorELNS0_4arch9wavefront6targetE0EEEvT1_,"axG",@progbits,_ZN7rocprim17ROCPRIM_400000_NS6detail17trampoline_kernelINS0_14default_configENS1_27scan_by_key_config_selectorIifEEZZNS1_16scan_by_key_implILNS1_25lookback_scan_determinismE0ELb1ES3_N6thrust23THRUST_200600_302600_NS6detail15normal_iteratorINS9_10device_ptrIiEEEENSB_INSC_IjEEEESE_fNS9_4plusIvEENS9_8equal_toIvEEfEE10hipError_tPvRmT2_T3_T4_T5_mT6_T7_P12ihipStream_tbENKUlT_T0_E_clISt17integral_constantIbLb1EES10_IbLb0EEEEDaSW_SX_EUlSW_E_NS1_11comp_targetILNS1_3genE8ELNS1_11target_archE1030ELNS1_3gpuE2ELNS1_3repE0EEENS1_30default_config_static_selectorELNS0_4arch9wavefront6targetE0EEEvT1_,comdat
.Lfunc_end1814:
	.size	_ZN7rocprim17ROCPRIM_400000_NS6detail17trampoline_kernelINS0_14default_configENS1_27scan_by_key_config_selectorIifEEZZNS1_16scan_by_key_implILNS1_25lookback_scan_determinismE0ELb1ES3_N6thrust23THRUST_200600_302600_NS6detail15normal_iteratorINS9_10device_ptrIiEEEENSB_INSC_IjEEEESE_fNS9_4plusIvEENS9_8equal_toIvEEfEE10hipError_tPvRmT2_T3_T4_T5_mT6_T7_P12ihipStream_tbENKUlT_T0_E_clISt17integral_constantIbLb1EES10_IbLb0EEEEDaSW_SX_EUlSW_E_NS1_11comp_targetILNS1_3genE8ELNS1_11target_archE1030ELNS1_3gpuE2ELNS1_3repE0EEENS1_30default_config_static_selectorELNS0_4arch9wavefront6targetE0EEEvT1_, .Lfunc_end1814-_ZN7rocprim17ROCPRIM_400000_NS6detail17trampoline_kernelINS0_14default_configENS1_27scan_by_key_config_selectorIifEEZZNS1_16scan_by_key_implILNS1_25lookback_scan_determinismE0ELb1ES3_N6thrust23THRUST_200600_302600_NS6detail15normal_iteratorINS9_10device_ptrIiEEEENSB_INSC_IjEEEESE_fNS9_4plusIvEENS9_8equal_toIvEEfEE10hipError_tPvRmT2_T3_T4_T5_mT6_T7_P12ihipStream_tbENKUlT_T0_E_clISt17integral_constantIbLb1EES10_IbLb0EEEEDaSW_SX_EUlSW_E_NS1_11comp_targetILNS1_3genE8ELNS1_11target_archE1030ELNS1_3gpuE2ELNS1_3repE0EEENS1_30default_config_static_selectorELNS0_4arch9wavefront6targetE0EEEvT1_
                                        ; -- End function
	.set _ZN7rocprim17ROCPRIM_400000_NS6detail17trampoline_kernelINS0_14default_configENS1_27scan_by_key_config_selectorIifEEZZNS1_16scan_by_key_implILNS1_25lookback_scan_determinismE0ELb1ES3_N6thrust23THRUST_200600_302600_NS6detail15normal_iteratorINS9_10device_ptrIiEEEENSB_INSC_IjEEEESE_fNS9_4plusIvEENS9_8equal_toIvEEfEE10hipError_tPvRmT2_T3_T4_T5_mT6_T7_P12ihipStream_tbENKUlT_T0_E_clISt17integral_constantIbLb1EES10_IbLb0EEEEDaSW_SX_EUlSW_E_NS1_11comp_targetILNS1_3genE8ELNS1_11target_archE1030ELNS1_3gpuE2ELNS1_3repE0EEENS1_30default_config_static_selectorELNS0_4arch9wavefront6targetE0EEEvT1_.num_vgpr, 0
	.set _ZN7rocprim17ROCPRIM_400000_NS6detail17trampoline_kernelINS0_14default_configENS1_27scan_by_key_config_selectorIifEEZZNS1_16scan_by_key_implILNS1_25lookback_scan_determinismE0ELb1ES3_N6thrust23THRUST_200600_302600_NS6detail15normal_iteratorINS9_10device_ptrIiEEEENSB_INSC_IjEEEESE_fNS9_4plusIvEENS9_8equal_toIvEEfEE10hipError_tPvRmT2_T3_T4_T5_mT6_T7_P12ihipStream_tbENKUlT_T0_E_clISt17integral_constantIbLb1EES10_IbLb0EEEEDaSW_SX_EUlSW_E_NS1_11comp_targetILNS1_3genE8ELNS1_11target_archE1030ELNS1_3gpuE2ELNS1_3repE0EEENS1_30default_config_static_selectorELNS0_4arch9wavefront6targetE0EEEvT1_.num_agpr, 0
	.set _ZN7rocprim17ROCPRIM_400000_NS6detail17trampoline_kernelINS0_14default_configENS1_27scan_by_key_config_selectorIifEEZZNS1_16scan_by_key_implILNS1_25lookback_scan_determinismE0ELb1ES3_N6thrust23THRUST_200600_302600_NS6detail15normal_iteratorINS9_10device_ptrIiEEEENSB_INSC_IjEEEESE_fNS9_4plusIvEENS9_8equal_toIvEEfEE10hipError_tPvRmT2_T3_T4_T5_mT6_T7_P12ihipStream_tbENKUlT_T0_E_clISt17integral_constantIbLb1EES10_IbLb0EEEEDaSW_SX_EUlSW_E_NS1_11comp_targetILNS1_3genE8ELNS1_11target_archE1030ELNS1_3gpuE2ELNS1_3repE0EEENS1_30default_config_static_selectorELNS0_4arch9wavefront6targetE0EEEvT1_.numbered_sgpr, 0
	.set _ZN7rocprim17ROCPRIM_400000_NS6detail17trampoline_kernelINS0_14default_configENS1_27scan_by_key_config_selectorIifEEZZNS1_16scan_by_key_implILNS1_25lookback_scan_determinismE0ELb1ES3_N6thrust23THRUST_200600_302600_NS6detail15normal_iteratorINS9_10device_ptrIiEEEENSB_INSC_IjEEEESE_fNS9_4plusIvEENS9_8equal_toIvEEfEE10hipError_tPvRmT2_T3_T4_T5_mT6_T7_P12ihipStream_tbENKUlT_T0_E_clISt17integral_constantIbLb1EES10_IbLb0EEEEDaSW_SX_EUlSW_E_NS1_11comp_targetILNS1_3genE8ELNS1_11target_archE1030ELNS1_3gpuE2ELNS1_3repE0EEENS1_30default_config_static_selectorELNS0_4arch9wavefront6targetE0EEEvT1_.num_named_barrier, 0
	.set _ZN7rocprim17ROCPRIM_400000_NS6detail17trampoline_kernelINS0_14default_configENS1_27scan_by_key_config_selectorIifEEZZNS1_16scan_by_key_implILNS1_25lookback_scan_determinismE0ELb1ES3_N6thrust23THRUST_200600_302600_NS6detail15normal_iteratorINS9_10device_ptrIiEEEENSB_INSC_IjEEEESE_fNS9_4plusIvEENS9_8equal_toIvEEfEE10hipError_tPvRmT2_T3_T4_T5_mT6_T7_P12ihipStream_tbENKUlT_T0_E_clISt17integral_constantIbLb1EES10_IbLb0EEEEDaSW_SX_EUlSW_E_NS1_11comp_targetILNS1_3genE8ELNS1_11target_archE1030ELNS1_3gpuE2ELNS1_3repE0EEENS1_30default_config_static_selectorELNS0_4arch9wavefront6targetE0EEEvT1_.private_seg_size, 0
	.set _ZN7rocprim17ROCPRIM_400000_NS6detail17trampoline_kernelINS0_14default_configENS1_27scan_by_key_config_selectorIifEEZZNS1_16scan_by_key_implILNS1_25lookback_scan_determinismE0ELb1ES3_N6thrust23THRUST_200600_302600_NS6detail15normal_iteratorINS9_10device_ptrIiEEEENSB_INSC_IjEEEESE_fNS9_4plusIvEENS9_8equal_toIvEEfEE10hipError_tPvRmT2_T3_T4_T5_mT6_T7_P12ihipStream_tbENKUlT_T0_E_clISt17integral_constantIbLb1EES10_IbLb0EEEEDaSW_SX_EUlSW_E_NS1_11comp_targetILNS1_3genE8ELNS1_11target_archE1030ELNS1_3gpuE2ELNS1_3repE0EEENS1_30default_config_static_selectorELNS0_4arch9wavefront6targetE0EEEvT1_.uses_vcc, 0
	.set _ZN7rocprim17ROCPRIM_400000_NS6detail17trampoline_kernelINS0_14default_configENS1_27scan_by_key_config_selectorIifEEZZNS1_16scan_by_key_implILNS1_25lookback_scan_determinismE0ELb1ES3_N6thrust23THRUST_200600_302600_NS6detail15normal_iteratorINS9_10device_ptrIiEEEENSB_INSC_IjEEEESE_fNS9_4plusIvEENS9_8equal_toIvEEfEE10hipError_tPvRmT2_T3_T4_T5_mT6_T7_P12ihipStream_tbENKUlT_T0_E_clISt17integral_constantIbLb1EES10_IbLb0EEEEDaSW_SX_EUlSW_E_NS1_11comp_targetILNS1_3genE8ELNS1_11target_archE1030ELNS1_3gpuE2ELNS1_3repE0EEENS1_30default_config_static_selectorELNS0_4arch9wavefront6targetE0EEEvT1_.uses_flat_scratch, 0
	.set _ZN7rocprim17ROCPRIM_400000_NS6detail17trampoline_kernelINS0_14default_configENS1_27scan_by_key_config_selectorIifEEZZNS1_16scan_by_key_implILNS1_25lookback_scan_determinismE0ELb1ES3_N6thrust23THRUST_200600_302600_NS6detail15normal_iteratorINS9_10device_ptrIiEEEENSB_INSC_IjEEEESE_fNS9_4plusIvEENS9_8equal_toIvEEfEE10hipError_tPvRmT2_T3_T4_T5_mT6_T7_P12ihipStream_tbENKUlT_T0_E_clISt17integral_constantIbLb1EES10_IbLb0EEEEDaSW_SX_EUlSW_E_NS1_11comp_targetILNS1_3genE8ELNS1_11target_archE1030ELNS1_3gpuE2ELNS1_3repE0EEENS1_30default_config_static_selectorELNS0_4arch9wavefront6targetE0EEEvT1_.has_dyn_sized_stack, 0
	.set _ZN7rocprim17ROCPRIM_400000_NS6detail17trampoline_kernelINS0_14default_configENS1_27scan_by_key_config_selectorIifEEZZNS1_16scan_by_key_implILNS1_25lookback_scan_determinismE0ELb1ES3_N6thrust23THRUST_200600_302600_NS6detail15normal_iteratorINS9_10device_ptrIiEEEENSB_INSC_IjEEEESE_fNS9_4plusIvEENS9_8equal_toIvEEfEE10hipError_tPvRmT2_T3_T4_T5_mT6_T7_P12ihipStream_tbENKUlT_T0_E_clISt17integral_constantIbLb1EES10_IbLb0EEEEDaSW_SX_EUlSW_E_NS1_11comp_targetILNS1_3genE8ELNS1_11target_archE1030ELNS1_3gpuE2ELNS1_3repE0EEENS1_30default_config_static_selectorELNS0_4arch9wavefront6targetE0EEEvT1_.has_recursion, 0
	.set _ZN7rocprim17ROCPRIM_400000_NS6detail17trampoline_kernelINS0_14default_configENS1_27scan_by_key_config_selectorIifEEZZNS1_16scan_by_key_implILNS1_25lookback_scan_determinismE0ELb1ES3_N6thrust23THRUST_200600_302600_NS6detail15normal_iteratorINS9_10device_ptrIiEEEENSB_INSC_IjEEEESE_fNS9_4plusIvEENS9_8equal_toIvEEfEE10hipError_tPvRmT2_T3_T4_T5_mT6_T7_P12ihipStream_tbENKUlT_T0_E_clISt17integral_constantIbLb1EES10_IbLb0EEEEDaSW_SX_EUlSW_E_NS1_11comp_targetILNS1_3genE8ELNS1_11target_archE1030ELNS1_3gpuE2ELNS1_3repE0EEENS1_30default_config_static_selectorELNS0_4arch9wavefront6targetE0EEEvT1_.has_indirect_call, 0
	.section	.AMDGPU.csdata,"",@progbits
; Kernel info:
; codeLenInByte = 4
; TotalNumSgprs: 0
; NumVgprs: 0
; ScratchSize: 0
; MemoryBound: 0
; FloatMode: 240
; IeeeMode: 1
; LDSByteSize: 0 bytes/workgroup (compile time only)
; SGPRBlocks: 0
; VGPRBlocks: 0
; NumSGPRsForWavesPerEU: 1
; NumVGPRsForWavesPerEU: 1
; Occupancy: 16
; WaveLimiterHint : 0
; COMPUTE_PGM_RSRC2:SCRATCH_EN: 0
; COMPUTE_PGM_RSRC2:USER_SGPR: 6
; COMPUTE_PGM_RSRC2:TRAP_HANDLER: 0
; COMPUTE_PGM_RSRC2:TGID_X_EN: 1
; COMPUTE_PGM_RSRC2:TGID_Y_EN: 0
; COMPUTE_PGM_RSRC2:TGID_Z_EN: 0
; COMPUTE_PGM_RSRC2:TIDIG_COMP_CNT: 0
	.section	.text._ZN7rocprim17ROCPRIM_400000_NS6detail17trampoline_kernelINS0_14default_configENS1_27scan_by_key_config_selectorIifEEZZNS1_16scan_by_key_implILNS1_25lookback_scan_determinismE0ELb1ES3_N6thrust23THRUST_200600_302600_NS6detail15normal_iteratorINS9_10device_ptrIiEEEENSB_INSC_IjEEEESE_fNS9_4plusIvEENS9_8equal_toIvEEfEE10hipError_tPvRmT2_T3_T4_T5_mT6_T7_P12ihipStream_tbENKUlT_T0_E_clISt17integral_constantIbLb0EES10_IbLb1EEEEDaSW_SX_EUlSW_E_NS1_11comp_targetILNS1_3genE0ELNS1_11target_archE4294967295ELNS1_3gpuE0ELNS1_3repE0EEENS1_30default_config_static_selectorELNS0_4arch9wavefront6targetE0EEEvT1_,"axG",@progbits,_ZN7rocprim17ROCPRIM_400000_NS6detail17trampoline_kernelINS0_14default_configENS1_27scan_by_key_config_selectorIifEEZZNS1_16scan_by_key_implILNS1_25lookback_scan_determinismE0ELb1ES3_N6thrust23THRUST_200600_302600_NS6detail15normal_iteratorINS9_10device_ptrIiEEEENSB_INSC_IjEEEESE_fNS9_4plusIvEENS9_8equal_toIvEEfEE10hipError_tPvRmT2_T3_T4_T5_mT6_T7_P12ihipStream_tbENKUlT_T0_E_clISt17integral_constantIbLb0EES10_IbLb1EEEEDaSW_SX_EUlSW_E_NS1_11comp_targetILNS1_3genE0ELNS1_11target_archE4294967295ELNS1_3gpuE0ELNS1_3repE0EEENS1_30default_config_static_selectorELNS0_4arch9wavefront6targetE0EEEvT1_,comdat
	.protected	_ZN7rocprim17ROCPRIM_400000_NS6detail17trampoline_kernelINS0_14default_configENS1_27scan_by_key_config_selectorIifEEZZNS1_16scan_by_key_implILNS1_25lookback_scan_determinismE0ELb1ES3_N6thrust23THRUST_200600_302600_NS6detail15normal_iteratorINS9_10device_ptrIiEEEENSB_INSC_IjEEEESE_fNS9_4plusIvEENS9_8equal_toIvEEfEE10hipError_tPvRmT2_T3_T4_T5_mT6_T7_P12ihipStream_tbENKUlT_T0_E_clISt17integral_constantIbLb0EES10_IbLb1EEEEDaSW_SX_EUlSW_E_NS1_11comp_targetILNS1_3genE0ELNS1_11target_archE4294967295ELNS1_3gpuE0ELNS1_3repE0EEENS1_30default_config_static_selectorELNS0_4arch9wavefront6targetE0EEEvT1_ ; -- Begin function _ZN7rocprim17ROCPRIM_400000_NS6detail17trampoline_kernelINS0_14default_configENS1_27scan_by_key_config_selectorIifEEZZNS1_16scan_by_key_implILNS1_25lookback_scan_determinismE0ELb1ES3_N6thrust23THRUST_200600_302600_NS6detail15normal_iteratorINS9_10device_ptrIiEEEENSB_INSC_IjEEEESE_fNS9_4plusIvEENS9_8equal_toIvEEfEE10hipError_tPvRmT2_T3_T4_T5_mT6_T7_P12ihipStream_tbENKUlT_T0_E_clISt17integral_constantIbLb0EES10_IbLb1EEEEDaSW_SX_EUlSW_E_NS1_11comp_targetILNS1_3genE0ELNS1_11target_archE4294967295ELNS1_3gpuE0ELNS1_3repE0EEENS1_30default_config_static_selectorELNS0_4arch9wavefront6targetE0EEEvT1_
	.globl	_ZN7rocprim17ROCPRIM_400000_NS6detail17trampoline_kernelINS0_14default_configENS1_27scan_by_key_config_selectorIifEEZZNS1_16scan_by_key_implILNS1_25lookback_scan_determinismE0ELb1ES3_N6thrust23THRUST_200600_302600_NS6detail15normal_iteratorINS9_10device_ptrIiEEEENSB_INSC_IjEEEESE_fNS9_4plusIvEENS9_8equal_toIvEEfEE10hipError_tPvRmT2_T3_T4_T5_mT6_T7_P12ihipStream_tbENKUlT_T0_E_clISt17integral_constantIbLb0EES10_IbLb1EEEEDaSW_SX_EUlSW_E_NS1_11comp_targetILNS1_3genE0ELNS1_11target_archE4294967295ELNS1_3gpuE0ELNS1_3repE0EEENS1_30default_config_static_selectorELNS0_4arch9wavefront6targetE0EEEvT1_
	.p2align	8
	.type	_ZN7rocprim17ROCPRIM_400000_NS6detail17trampoline_kernelINS0_14default_configENS1_27scan_by_key_config_selectorIifEEZZNS1_16scan_by_key_implILNS1_25lookback_scan_determinismE0ELb1ES3_N6thrust23THRUST_200600_302600_NS6detail15normal_iteratorINS9_10device_ptrIiEEEENSB_INSC_IjEEEESE_fNS9_4plusIvEENS9_8equal_toIvEEfEE10hipError_tPvRmT2_T3_T4_T5_mT6_T7_P12ihipStream_tbENKUlT_T0_E_clISt17integral_constantIbLb0EES10_IbLb1EEEEDaSW_SX_EUlSW_E_NS1_11comp_targetILNS1_3genE0ELNS1_11target_archE4294967295ELNS1_3gpuE0ELNS1_3repE0EEENS1_30default_config_static_selectorELNS0_4arch9wavefront6targetE0EEEvT1_,@function
_ZN7rocprim17ROCPRIM_400000_NS6detail17trampoline_kernelINS0_14default_configENS1_27scan_by_key_config_selectorIifEEZZNS1_16scan_by_key_implILNS1_25lookback_scan_determinismE0ELb1ES3_N6thrust23THRUST_200600_302600_NS6detail15normal_iteratorINS9_10device_ptrIiEEEENSB_INSC_IjEEEESE_fNS9_4plusIvEENS9_8equal_toIvEEfEE10hipError_tPvRmT2_T3_T4_T5_mT6_T7_P12ihipStream_tbENKUlT_T0_E_clISt17integral_constantIbLb0EES10_IbLb1EEEEDaSW_SX_EUlSW_E_NS1_11comp_targetILNS1_3genE0ELNS1_11target_archE4294967295ELNS1_3gpuE0ELNS1_3repE0EEENS1_30default_config_static_selectorELNS0_4arch9wavefront6targetE0EEEvT1_: ; @_ZN7rocprim17ROCPRIM_400000_NS6detail17trampoline_kernelINS0_14default_configENS1_27scan_by_key_config_selectorIifEEZZNS1_16scan_by_key_implILNS1_25lookback_scan_determinismE0ELb1ES3_N6thrust23THRUST_200600_302600_NS6detail15normal_iteratorINS9_10device_ptrIiEEEENSB_INSC_IjEEEESE_fNS9_4plusIvEENS9_8equal_toIvEEfEE10hipError_tPvRmT2_T3_T4_T5_mT6_T7_P12ihipStream_tbENKUlT_T0_E_clISt17integral_constantIbLb0EES10_IbLb1EEEEDaSW_SX_EUlSW_E_NS1_11comp_targetILNS1_3genE0ELNS1_11target_archE4294967295ELNS1_3gpuE0ELNS1_3repE0EEENS1_30default_config_static_selectorELNS0_4arch9wavefront6targetE0EEEvT1_
; %bb.0:
	.section	.rodata,"a",@progbits
	.p2align	6, 0x0
	.amdhsa_kernel _ZN7rocprim17ROCPRIM_400000_NS6detail17trampoline_kernelINS0_14default_configENS1_27scan_by_key_config_selectorIifEEZZNS1_16scan_by_key_implILNS1_25lookback_scan_determinismE0ELb1ES3_N6thrust23THRUST_200600_302600_NS6detail15normal_iteratorINS9_10device_ptrIiEEEENSB_INSC_IjEEEESE_fNS9_4plusIvEENS9_8equal_toIvEEfEE10hipError_tPvRmT2_T3_T4_T5_mT6_T7_P12ihipStream_tbENKUlT_T0_E_clISt17integral_constantIbLb0EES10_IbLb1EEEEDaSW_SX_EUlSW_E_NS1_11comp_targetILNS1_3genE0ELNS1_11target_archE4294967295ELNS1_3gpuE0ELNS1_3repE0EEENS1_30default_config_static_selectorELNS0_4arch9wavefront6targetE0EEEvT1_
		.amdhsa_group_segment_fixed_size 0
		.amdhsa_private_segment_fixed_size 0
		.amdhsa_kernarg_size 112
		.amdhsa_user_sgpr_count 6
		.amdhsa_user_sgpr_private_segment_buffer 1
		.amdhsa_user_sgpr_dispatch_ptr 0
		.amdhsa_user_sgpr_queue_ptr 0
		.amdhsa_user_sgpr_kernarg_segment_ptr 1
		.amdhsa_user_sgpr_dispatch_id 0
		.amdhsa_user_sgpr_flat_scratch_init 0
		.amdhsa_user_sgpr_private_segment_size 0
		.amdhsa_wavefront_size32 1
		.amdhsa_uses_dynamic_stack 0
		.amdhsa_system_sgpr_private_segment_wavefront_offset 0
		.amdhsa_system_sgpr_workgroup_id_x 1
		.amdhsa_system_sgpr_workgroup_id_y 0
		.amdhsa_system_sgpr_workgroup_id_z 0
		.amdhsa_system_sgpr_workgroup_info 0
		.amdhsa_system_vgpr_workitem_id 0
		.amdhsa_next_free_vgpr 1
		.amdhsa_next_free_sgpr 1
		.amdhsa_reserve_vcc 0
		.amdhsa_reserve_flat_scratch 0
		.amdhsa_float_round_mode_32 0
		.amdhsa_float_round_mode_16_64 0
		.amdhsa_float_denorm_mode_32 3
		.amdhsa_float_denorm_mode_16_64 3
		.amdhsa_dx10_clamp 1
		.amdhsa_ieee_mode 1
		.amdhsa_fp16_overflow 0
		.amdhsa_workgroup_processor_mode 1
		.amdhsa_memory_ordered 1
		.amdhsa_forward_progress 1
		.amdhsa_shared_vgpr_count 0
		.amdhsa_exception_fp_ieee_invalid_op 0
		.amdhsa_exception_fp_denorm_src 0
		.amdhsa_exception_fp_ieee_div_zero 0
		.amdhsa_exception_fp_ieee_overflow 0
		.amdhsa_exception_fp_ieee_underflow 0
		.amdhsa_exception_fp_ieee_inexact 0
		.amdhsa_exception_int_div_zero 0
	.end_amdhsa_kernel
	.section	.text._ZN7rocprim17ROCPRIM_400000_NS6detail17trampoline_kernelINS0_14default_configENS1_27scan_by_key_config_selectorIifEEZZNS1_16scan_by_key_implILNS1_25lookback_scan_determinismE0ELb1ES3_N6thrust23THRUST_200600_302600_NS6detail15normal_iteratorINS9_10device_ptrIiEEEENSB_INSC_IjEEEESE_fNS9_4plusIvEENS9_8equal_toIvEEfEE10hipError_tPvRmT2_T3_T4_T5_mT6_T7_P12ihipStream_tbENKUlT_T0_E_clISt17integral_constantIbLb0EES10_IbLb1EEEEDaSW_SX_EUlSW_E_NS1_11comp_targetILNS1_3genE0ELNS1_11target_archE4294967295ELNS1_3gpuE0ELNS1_3repE0EEENS1_30default_config_static_selectorELNS0_4arch9wavefront6targetE0EEEvT1_,"axG",@progbits,_ZN7rocprim17ROCPRIM_400000_NS6detail17trampoline_kernelINS0_14default_configENS1_27scan_by_key_config_selectorIifEEZZNS1_16scan_by_key_implILNS1_25lookback_scan_determinismE0ELb1ES3_N6thrust23THRUST_200600_302600_NS6detail15normal_iteratorINS9_10device_ptrIiEEEENSB_INSC_IjEEEESE_fNS9_4plusIvEENS9_8equal_toIvEEfEE10hipError_tPvRmT2_T3_T4_T5_mT6_T7_P12ihipStream_tbENKUlT_T0_E_clISt17integral_constantIbLb0EES10_IbLb1EEEEDaSW_SX_EUlSW_E_NS1_11comp_targetILNS1_3genE0ELNS1_11target_archE4294967295ELNS1_3gpuE0ELNS1_3repE0EEENS1_30default_config_static_selectorELNS0_4arch9wavefront6targetE0EEEvT1_,comdat
.Lfunc_end1815:
	.size	_ZN7rocprim17ROCPRIM_400000_NS6detail17trampoline_kernelINS0_14default_configENS1_27scan_by_key_config_selectorIifEEZZNS1_16scan_by_key_implILNS1_25lookback_scan_determinismE0ELb1ES3_N6thrust23THRUST_200600_302600_NS6detail15normal_iteratorINS9_10device_ptrIiEEEENSB_INSC_IjEEEESE_fNS9_4plusIvEENS9_8equal_toIvEEfEE10hipError_tPvRmT2_T3_T4_T5_mT6_T7_P12ihipStream_tbENKUlT_T0_E_clISt17integral_constantIbLb0EES10_IbLb1EEEEDaSW_SX_EUlSW_E_NS1_11comp_targetILNS1_3genE0ELNS1_11target_archE4294967295ELNS1_3gpuE0ELNS1_3repE0EEENS1_30default_config_static_selectorELNS0_4arch9wavefront6targetE0EEEvT1_, .Lfunc_end1815-_ZN7rocprim17ROCPRIM_400000_NS6detail17trampoline_kernelINS0_14default_configENS1_27scan_by_key_config_selectorIifEEZZNS1_16scan_by_key_implILNS1_25lookback_scan_determinismE0ELb1ES3_N6thrust23THRUST_200600_302600_NS6detail15normal_iteratorINS9_10device_ptrIiEEEENSB_INSC_IjEEEESE_fNS9_4plusIvEENS9_8equal_toIvEEfEE10hipError_tPvRmT2_T3_T4_T5_mT6_T7_P12ihipStream_tbENKUlT_T0_E_clISt17integral_constantIbLb0EES10_IbLb1EEEEDaSW_SX_EUlSW_E_NS1_11comp_targetILNS1_3genE0ELNS1_11target_archE4294967295ELNS1_3gpuE0ELNS1_3repE0EEENS1_30default_config_static_selectorELNS0_4arch9wavefront6targetE0EEEvT1_
                                        ; -- End function
	.set _ZN7rocprim17ROCPRIM_400000_NS6detail17trampoline_kernelINS0_14default_configENS1_27scan_by_key_config_selectorIifEEZZNS1_16scan_by_key_implILNS1_25lookback_scan_determinismE0ELb1ES3_N6thrust23THRUST_200600_302600_NS6detail15normal_iteratorINS9_10device_ptrIiEEEENSB_INSC_IjEEEESE_fNS9_4plusIvEENS9_8equal_toIvEEfEE10hipError_tPvRmT2_T3_T4_T5_mT6_T7_P12ihipStream_tbENKUlT_T0_E_clISt17integral_constantIbLb0EES10_IbLb1EEEEDaSW_SX_EUlSW_E_NS1_11comp_targetILNS1_3genE0ELNS1_11target_archE4294967295ELNS1_3gpuE0ELNS1_3repE0EEENS1_30default_config_static_selectorELNS0_4arch9wavefront6targetE0EEEvT1_.num_vgpr, 0
	.set _ZN7rocprim17ROCPRIM_400000_NS6detail17trampoline_kernelINS0_14default_configENS1_27scan_by_key_config_selectorIifEEZZNS1_16scan_by_key_implILNS1_25lookback_scan_determinismE0ELb1ES3_N6thrust23THRUST_200600_302600_NS6detail15normal_iteratorINS9_10device_ptrIiEEEENSB_INSC_IjEEEESE_fNS9_4plusIvEENS9_8equal_toIvEEfEE10hipError_tPvRmT2_T3_T4_T5_mT6_T7_P12ihipStream_tbENKUlT_T0_E_clISt17integral_constantIbLb0EES10_IbLb1EEEEDaSW_SX_EUlSW_E_NS1_11comp_targetILNS1_3genE0ELNS1_11target_archE4294967295ELNS1_3gpuE0ELNS1_3repE0EEENS1_30default_config_static_selectorELNS0_4arch9wavefront6targetE0EEEvT1_.num_agpr, 0
	.set _ZN7rocprim17ROCPRIM_400000_NS6detail17trampoline_kernelINS0_14default_configENS1_27scan_by_key_config_selectorIifEEZZNS1_16scan_by_key_implILNS1_25lookback_scan_determinismE0ELb1ES3_N6thrust23THRUST_200600_302600_NS6detail15normal_iteratorINS9_10device_ptrIiEEEENSB_INSC_IjEEEESE_fNS9_4plusIvEENS9_8equal_toIvEEfEE10hipError_tPvRmT2_T3_T4_T5_mT6_T7_P12ihipStream_tbENKUlT_T0_E_clISt17integral_constantIbLb0EES10_IbLb1EEEEDaSW_SX_EUlSW_E_NS1_11comp_targetILNS1_3genE0ELNS1_11target_archE4294967295ELNS1_3gpuE0ELNS1_3repE0EEENS1_30default_config_static_selectorELNS0_4arch9wavefront6targetE0EEEvT1_.numbered_sgpr, 0
	.set _ZN7rocprim17ROCPRIM_400000_NS6detail17trampoline_kernelINS0_14default_configENS1_27scan_by_key_config_selectorIifEEZZNS1_16scan_by_key_implILNS1_25lookback_scan_determinismE0ELb1ES3_N6thrust23THRUST_200600_302600_NS6detail15normal_iteratorINS9_10device_ptrIiEEEENSB_INSC_IjEEEESE_fNS9_4plusIvEENS9_8equal_toIvEEfEE10hipError_tPvRmT2_T3_T4_T5_mT6_T7_P12ihipStream_tbENKUlT_T0_E_clISt17integral_constantIbLb0EES10_IbLb1EEEEDaSW_SX_EUlSW_E_NS1_11comp_targetILNS1_3genE0ELNS1_11target_archE4294967295ELNS1_3gpuE0ELNS1_3repE0EEENS1_30default_config_static_selectorELNS0_4arch9wavefront6targetE0EEEvT1_.num_named_barrier, 0
	.set _ZN7rocprim17ROCPRIM_400000_NS6detail17trampoline_kernelINS0_14default_configENS1_27scan_by_key_config_selectorIifEEZZNS1_16scan_by_key_implILNS1_25lookback_scan_determinismE0ELb1ES3_N6thrust23THRUST_200600_302600_NS6detail15normal_iteratorINS9_10device_ptrIiEEEENSB_INSC_IjEEEESE_fNS9_4plusIvEENS9_8equal_toIvEEfEE10hipError_tPvRmT2_T3_T4_T5_mT6_T7_P12ihipStream_tbENKUlT_T0_E_clISt17integral_constantIbLb0EES10_IbLb1EEEEDaSW_SX_EUlSW_E_NS1_11comp_targetILNS1_3genE0ELNS1_11target_archE4294967295ELNS1_3gpuE0ELNS1_3repE0EEENS1_30default_config_static_selectorELNS0_4arch9wavefront6targetE0EEEvT1_.private_seg_size, 0
	.set _ZN7rocprim17ROCPRIM_400000_NS6detail17trampoline_kernelINS0_14default_configENS1_27scan_by_key_config_selectorIifEEZZNS1_16scan_by_key_implILNS1_25lookback_scan_determinismE0ELb1ES3_N6thrust23THRUST_200600_302600_NS6detail15normal_iteratorINS9_10device_ptrIiEEEENSB_INSC_IjEEEESE_fNS9_4plusIvEENS9_8equal_toIvEEfEE10hipError_tPvRmT2_T3_T4_T5_mT6_T7_P12ihipStream_tbENKUlT_T0_E_clISt17integral_constantIbLb0EES10_IbLb1EEEEDaSW_SX_EUlSW_E_NS1_11comp_targetILNS1_3genE0ELNS1_11target_archE4294967295ELNS1_3gpuE0ELNS1_3repE0EEENS1_30default_config_static_selectorELNS0_4arch9wavefront6targetE0EEEvT1_.uses_vcc, 0
	.set _ZN7rocprim17ROCPRIM_400000_NS6detail17trampoline_kernelINS0_14default_configENS1_27scan_by_key_config_selectorIifEEZZNS1_16scan_by_key_implILNS1_25lookback_scan_determinismE0ELb1ES3_N6thrust23THRUST_200600_302600_NS6detail15normal_iteratorINS9_10device_ptrIiEEEENSB_INSC_IjEEEESE_fNS9_4plusIvEENS9_8equal_toIvEEfEE10hipError_tPvRmT2_T3_T4_T5_mT6_T7_P12ihipStream_tbENKUlT_T0_E_clISt17integral_constantIbLb0EES10_IbLb1EEEEDaSW_SX_EUlSW_E_NS1_11comp_targetILNS1_3genE0ELNS1_11target_archE4294967295ELNS1_3gpuE0ELNS1_3repE0EEENS1_30default_config_static_selectorELNS0_4arch9wavefront6targetE0EEEvT1_.uses_flat_scratch, 0
	.set _ZN7rocprim17ROCPRIM_400000_NS6detail17trampoline_kernelINS0_14default_configENS1_27scan_by_key_config_selectorIifEEZZNS1_16scan_by_key_implILNS1_25lookback_scan_determinismE0ELb1ES3_N6thrust23THRUST_200600_302600_NS6detail15normal_iteratorINS9_10device_ptrIiEEEENSB_INSC_IjEEEESE_fNS9_4plusIvEENS9_8equal_toIvEEfEE10hipError_tPvRmT2_T3_T4_T5_mT6_T7_P12ihipStream_tbENKUlT_T0_E_clISt17integral_constantIbLb0EES10_IbLb1EEEEDaSW_SX_EUlSW_E_NS1_11comp_targetILNS1_3genE0ELNS1_11target_archE4294967295ELNS1_3gpuE0ELNS1_3repE0EEENS1_30default_config_static_selectorELNS0_4arch9wavefront6targetE0EEEvT1_.has_dyn_sized_stack, 0
	.set _ZN7rocprim17ROCPRIM_400000_NS6detail17trampoline_kernelINS0_14default_configENS1_27scan_by_key_config_selectorIifEEZZNS1_16scan_by_key_implILNS1_25lookback_scan_determinismE0ELb1ES3_N6thrust23THRUST_200600_302600_NS6detail15normal_iteratorINS9_10device_ptrIiEEEENSB_INSC_IjEEEESE_fNS9_4plusIvEENS9_8equal_toIvEEfEE10hipError_tPvRmT2_T3_T4_T5_mT6_T7_P12ihipStream_tbENKUlT_T0_E_clISt17integral_constantIbLb0EES10_IbLb1EEEEDaSW_SX_EUlSW_E_NS1_11comp_targetILNS1_3genE0ELNS1_11target_archE4294967295ELNS1_3gpuE0ELNS1_3repE0EEENS1_30default_config_static_selectorELNS0_4arch9wavefront6targetE0EEEvT1_.has_recursion, 0
	.set _ZN7rocprim17ROCPRIM_400000_NS6detail17trampoline_kernelINS0_14default_configENS1_27scan_by_key_config_selectorIifEEZZNS1_16scan_by_key_implILNS1_25lookback_scan_determinismE0ELb1ES3_N6thrust23THRUST_200600_302600_NS6detail15normal_iteratorINS9_10device_ptrIiEEEENSB_INSC_IjEEEESE_fNS9_4plusIvEENS9_8equal_toIvEEfEE10hipError_tPvRmT2_T3_T4_T5_mT6_T7_P12ihipStream_tbENKUlT_T0_E_clISt17integral_constantIbLb0EES10_IbLb1EEEEDaSW_SX_EUlSW_E_NS1_11comp_targetILNS1_3genE0ELNS1_11target_archE4294967295ELNS1_3gpuE0ELNS1_3repE0EEENS1_30default_config_static_selectorELNS0_4arch9wavefront6targetE0EEEvT1_.has_indirect_call, 0
	.section	.AMDGPU.csdata,"",@progbits
; Kernel info:
; codeLenInByte = 0
; TotalNumSgprs: 0
; NumVgprs: 0
; ScratchSize: 0
; MemoryBound: 0
; FloatMode: 240
; IeeeMode: 1
; LDSByteSize: 0 bytes/workgroup (compile time only)
; SGPRBlocks: 0
; VGPRBlocks: 0
; NumSGPRsForWavesPerEU: 1
; NumVGPRsForWavesPerEU: 1
; Occupancy: 16
; WaveLimiterHint : 0
; COMPUTE_PGM_RSRC2:SCRATCH_EN: 0
; COMPUTE_PGM_RSRC2:USER_SGPR: 6
; COMPUTE_PGM_RSRC2:TRAP_HANDLER: 0
; COMPUTE_PGM_RSRC2:TGID_X_EN: 1
; COMPUTE_PGM_RSRC2:TGID_Y_EN: 0
; COMPUTE_PGM_RSRC2:TGID_Z_EN: 0
; COMPUTE_PGM_RSRC2:TIDIG_COMP_CNT: 0
	.section	.text._ZN7rocprim17ROCPRIM_400000_NS6detail17trampoline_kernelINS0_14default_configENS1_27scan_by_key_config_selectorIifEEZZNS1_16scan_by_key_implILNS1_25lookback_scan_determinismE0ELb1ES3_N6thrust23THRUST_200600_302600_NS6detail15normal_iteratorINS9_10device_ptrIiEEEENSB_INSC_IjEEEESE_fNS9_4plusIvEENS9_8equal_toIvEEfEE10hipError_tPvRmT2_T3_T4_T5_mT6_T7_P12ihipStream_tbENKUlT_T0_E_clISt17integral_constantIbLb0EES10_IbLb1EEEEDaSW_SX_EUlSW_E_NS1_11comp_targetILNS1_3genE10ELNS1_11target_archE1201ELNS1_3gpuE5ELNS1_3repE0EEENS1_30default_config_static_selectorELNS0_4arch9wavefront6targetE0EEEvT1_,"axG",@progbits,_ZN7rocprim17ROCPRIM_400000_NS6detail17trampoline_kernelINS0_14default_configENS1_27scan_by_key_config_selectorIifEEZZNS1_16scan_by_key_implILNS1_25lookback_scan_determinismE0ELb1ES3_N6thrust23THRUST_200600_302600_NS6detail15normal_iteratorINS9_10device_ptrIiEEEENSB_INSC_IjEEEESE_fNS9_4plusIvEENS9_8equal_toIvEEfEE10hipError_tPvRmT2_T3_T4_T5_mT6_T7_P12ihipStream_tbENKUlT_T0_E_clISt17integral_constantIbLb0EES10_IbLb1EEEEDaSW_SX_EUlSW_E_NS1_11comp_targetILNS1_3genE10ELNS1_11target_archE1201ELNS1_3gpuE5ELNS1_3repE0EEENS1_30default_config_static_selectorELNS0_4arch9wavefront6targetE0EEEvT1_,comdat
	.protected	_ZN7rocprim17ROCPRIM_400000_NS6detail17trampoline_kernelINS0_14default_configENS1_27scan_by_key_config_selectorIifEEZZNS1_16scan_by_key_implILNS1_25lookback_scan_determinismE0ELb1ES3_N6thrust23THRUST_200600_302600_NS6detail15normal_iteratorINS9_10device_ptrIiEEEENSB_INSC_IjEEEESE_fNS9_4plusIvEENS9_8equal_toIvEEfEE10hipError_tPvRmT2_T3_T4_T5_mT6_T7_P12ihipStream_tbENKUlT_T0_E_clISt17integral_constantIbLb0EES10_IbLb1EEEEDaSW_SX_EUlSW_E_NS1_11comp_targetILNS1_3genE10ELNS1_11target_archE1201ELNS1_3gpuE5ELNS1_3repE0EEENS1_30default_config_static_selectorELNS0_4arch9wavefront6targetE0EEEvT1_ ; -- Begin function _ZN7rocprim17ROCPRIM_400000_NS6detail17trampoline_kernelINS0_14default_configENS1_27scan_by_key_config_selectorIifEEZZNS1_16scan_by_key_implILNS1_25lookback_scan_determinismE0ELb1ES3_N6thrust23THRUST_200600_302600_NS6detail15normal_iteratorINS9_10device_ptrIiEEEENSB_INSC_IjEEEESE_fNS9_4plusIvEENS9_8equal_toIvEEfEE10hipError_tPvRmT2_T3_T4_T5_mT6_T7_P12ihipStream_tbENKUlT_T0_E_clISt17integral_constantIbLb0EES10_IbLb1EEEEDaSW_SX_EUlSW_E_NS1_11comp_targetILNS1_3genE10ELNS1_11target_archE1201ELNS1_3gpuE5ELNS1_3repE0EEENS1_30default_config_static_selectorELNS0_4arch9wavefront6targetE0EEEvT1_
	.globl	_ZN7rocprim17ROCPRIM_400000_NS6detail17trampoline_kernelINS0_14default_configENS1_27scan_by_key_config_selectorIifEEZZNS1_16scan_by_key_implILNS1_25lookback_scan_determinismE0ELb1ES3_N6thrust23THRUST_200600_302600_NS6detail15normal_iteratorINS9_10device_ptrIiEEEENSB_INSC_IjEEEESE_fNS9_4plusIvEENS9_8equal_toIvEEfEE10hipError_tPvRmT2_T3_T4_T5_mT6_T7_P12ihipStream_tbENKUlT_T0_E_clISt17integral_constantIbLb0EES10_IbLb1EEEEDaSW_SX_EUlSW_E_NS1_11comp_targetILNS1_3genE10ELNS1_11target_archE1201ELNS1_3gpuE5ELNS1_3repE0EEENS1_30default_config_static_selectorELNS0_4arch9wavefront6targetE0EEEvT1_
	.p2align	8
	.type	_ZN7rocprim17ROCPRIM_400000_NS6detail17trampoline_kernelINS0_14default_configENS1_27scan_by_key_config_selectorIifEEZZNS1_16scan_by_key_implILNS1_25lookback_scan_determinismE0ELb1ES3_N6thrust23THRUST_200600_302600_NS6detail15normal_iteratorINS9_10device_ptrIiEEEENSB_INSC_IjEEEESE_fNS9_4plusIvEENS9_8equal_toIvEEfEE10hipError_tPvRmT2_T3_T4_T5_mT6_T7_P12ihipStream_tbENKUlT_T0_E_clISt17integral_constantIbLb0EES10_IbLb1EEEEDaSW_SX_EUlSW_E_NS1_11comp_targetILNS1_3genE10ELNS1_11target_archE1201ELNS1_3gpuE5ELNS1_3repE0EEENS1_30default_config_static_selectorELNS0_4arch9wavefront6targetE0EEEvT1_,@function
_ZN7rocprim17ROCPRIM_400000_NS6detail17trampoline_kernelINS0_14default_configENS1_27scan_by_key_config_selectorIifEEZZNS1_16scan_by_key_implILNS1_25lookback_scan_determinismE0ELb1ES3_N6thrust23THRUST_200600_302600_NS6detail15normal_iteratorINS9_10device_ptrIiEEEENSB_INSC_IjEEEESE_fNS9_4plusIvEENS9_8equal_toIvEEfEE10hipError_tPvRmT2_T3_T4_T5_mT6_T7_P12ihipStream_tbENKUlT_T0_E_clISt17integral_constantIbLb0EES10_IbLb1EEEEDaSW_SX_EUlSW_E_NS1_11comp_targetILNS1_3genE10ELNS1_11target_archE1201ELNS1_3gpuE5ELNS1_3repE0EEENS1_30default_config_static_selectorELNS0_4arch9wavefront6targetE0EEEvT1_: ; @_ZN7rocprim17ROCPRIM_400000_NS6detail17trampoline_kernelINS0_14default_configENS1_27scan_by_key_config_selectorIifEEZZNS1_16scan_by_key_implILNS1_25lookback_scan_determinismE0ELb1ES3_N6thrust23THRUST_200600_302600_NS6detail15normal_iteratorINS9_10device_ptrIiEEEENSB_INSC_IjEEEESE_fNS9_4plusIvEENS9_8equal_toIvEEfEE10hipError_tPvRmT2_T3_T4_T5_mT6_T7_P12ihipStream_tbENKUlT_T0_E_clISt17integral_constantIbLb0EES10_IbLb1EEEEDaSW_SX_EUlSW_E_NS1_11comp_targetILNS1_3genE10ELNS1_11target_archE1201ELNS1_3gpuE5ELNS1_3repE0EEENS1_30default_config_static_selectorELNS0_4arch9wavefront6targetE0EEEvT1_
; %bb.0:
	.section	.rodata,"a",@progbits
	.p2align	6, 0x0
	.amdhsa_kernel _ZN7rocprim17ROCPRIM_400000_NS6detail17trampoline_kernelINS0_14default_configENS1_27scan_by_key_config_selectorIifEEZZNS1_16scan_by_key_implILNS1_25lookback_scan_determinismE0ELb1ES3_N6thrust23THRUST_200600_302600_NS6detail15normal_iteratorINS9_10device_ptrIiEEEENSB_INSC_IjEEEESE_fNS9_4plusIvEENS9_8equal_toIvEEfEE10hipError_tPvRmT2_T3_T4_T5_mT6_T7_P12ihipStream_tbENKUlT_T0_E_clISt17integral_constantIbLb0EES10_IbLb1EEEEDaSW_SX_EUlSW_E_NS1_11comp_targetILNS1_3genE10ELNS1_11target_archE1201ELNS1_3gpuE5ELNS1_3repE0EEENS1_30default_config_static_selectorELNS0_4arch9wavefront6targetE0EEEvT1_
		.amdhsa_group_segment_fixed_size 0
		.amdhsa_private_segment_fixed_size 0
		.amdhsa_kernarg_size 112
		.amdhsa_user_sgpr_count 6
		.amdhsa_user_sgpr_private_segment_buffer 1
		.amdhsa_user_sgpr_dispatch_ptr 0
		.amdhsa_user_sgpr_queue_ptr 0
		.amdhsa_user_sgpr_kernarg_segment_ptr 1
		.amdhsa_user_sgpr_dispatch_id 0
		.amdhsa_user_sgpr_flat_scratch_init 0
		.amdhsa_user_sgpr_private_segment_size 0
		.amdhsa_wavefront_size32 1
		.amdhsa_uses_dynamic_stack 0
		.amdhsa_system_sgpr_private_segment_wavefront_offset 0
		.amdhsa_system_sgpr_workgroup_id_x 1
		.amdhsa_system_sgpr_workgroup_id_y 0
		.amdhsa_system_sgpr_workgroup_id_z 0
		.amdhsa_system_sgpr_workgroup_info 0
		.amdhsa_system_vgpr_workitem_id 0
		.amdhsa_next_free_vgpr 1
		.amdhsa_next_free_sgpr 1
		.amdhsa_reserve_vcc 0
		.amdhsa_reserve_flat_scratch 0
		.amdhsa_float_round_mode_32 0
		.amdhsa_float_round_mode_16_64 0
		.amdhsa_float_denorm_mode_32 3
		.amdhsa_float_denorm_mode_16_64 3
		.amdhsa_dx10_clamp 1
		.amdhsa_ieee_mode 1
		.amdhsa_fp16_overflow 0
		.amdhsa_workgroup_processor_mode 1
		.amdhsa_memory_ordered 1
		.amdhsa_forward_progress 1
		.amdhsa_shared_vgpr_count 0
		.amdhsa_exception_fp_ieee_invalid_op 0
		.amdhsa_exception_fp_denorm_src 0
		.amdhsa_exception_fp_ieee_div_zero 0
		.amdhsa_exception_fp_ieee_overflow 0
		.amdhsa_exception_fp_ieee_underflow 0
		.amdhsa_exception_fp_ieee_inexact 0
		.amdhsa_exception_int_div_zero 0
	.end_amdhsa_kernel
	.section	.text._ZN7rocprim17ROCPRIM_400000_NS6detail17trampoline_kernelINS0_14default_configENS1_27scan_by_key_config_selectorIifEEZZNS1_16scan_by_key_implILNS1_25lookback_scan_determinismE0ELb1ES3_N6thrust23THRUST_200600_302600_NS6detail15normal_iteratorINS9_10device_ptrIiEEEENSB_INSC_IjEEEESE_fNS9_4plusIvEENS9_8equal_toIvEEfEE10hipError_tPvRmT2_T3_T4_T5_mT6_T7_P12ihipStream_tbENKUlT_T0_E_clISt17integral_constantIbLb0EES10_IbLb1EEEEDaSW_SX_EUlSW_E_NS1_11comp_targetILNS1_3genE10ELNS1_11target_archE1201ELNS1_3gpuE5ELNS1_3repE0EEENS1_30default_config_static_selectorELNS0_4arch9wavefront6targetE0EEEvT1_,"axG",@progbits,_ZN7rocprim17ROCPRIM_400000_NS6detail17trampoline_kernelINS0_14default_configENS1_27scan_by_key_config_selectorIifEEZZNS1_16scan_by_key_implILNS1_25lookback_scan_determinismE0ELb1ES3_N6thrust23THRUST_200600_302600_NS6detail15normal_iteratorINS9_10device_ptrIiEEEENSB_INSC_IjEEEESE_fNS9_4plusIvEENS9_8equal_toIvEEfEE10hipError_tPvRmT2_T3_T4_T5_mT6_T7_P12ihipStream_tbENKUlT_T0_E_clISt17integral_constantIbLb0EES10_IbLb1EEEEDaSW_SX_EUlSW_E_NS1_11comp_targetILNS1_3genE10ELNS1_11target_archE1201ELNS1_3gpuE5ELNS1_3repE0EEENS1_30default_config_static_selectorELNS0_4arch9wavefront6targetE0EEEvT1_,comdat
.Lfunc_end1816:
	.size	_ZN7rocprim17ROCPRIM_400000_NS6detail17trampoline_kernelINS0_14default_configENS1_27scan_by_key_config_selectorIifEEZZNS1_16scan_by_key_implILNS1_25lookback_scan_determinismE0ELb1ES3_N6thrust23THRUST_200600_302600_NS6detail15normal_iteratorINS9_10device_ptrIiEEEENSB_INSC_IjEEEESE_fNS9_4plusIvEENS9_8equal_toIvEEfEE10hipError_tPvRmT2_T3_T4_T5_mT6_T7_P12ihipStream_tbENKUlT_T0_E_clISt17integral_constantIbLb0EES10_IbLb1EEEEDaSW_SX_EUlSW_E_NS1_11comp_targetILNS1_3genE10ELNS1_11target_archE1201ELNS1_3gpuE5ELNS1_3repE0EEENS1_30default_config_static_selectorELNS0_4arch9wavefront6targetE0EEEvT1_, .Lfunc_end1816-_ZN7rocprim17ROCPRIM_400000_NS6detail17trampoline_kernelINS0_14default_configENS1_27scan_by_key_config_selectorIifEEZZNS1_16scan_by_key_implILNS1_25lookback_scan_determinismE0ELb1ES3_N6thrust23THRUST_200600_302600_NS6detail15normal_iteratorINS9_10device_ptrIiEEEENSB_INSC_IjEEEESE_fNS9_4plusIvEENS9_8equal_toIvEEfEE10hipError_tPvRmT2_T3_T4_T5_mT6_T7_P12ihipStream_tbENKUlT_T0_E_clISt17integral_constantIbLb0EES10_IbLb1EEEEDaSW_SX_EUlSW_E_NS1_11comp_targetILNS1_3genE10ELNS1_11target_archE1201ELNS1_3gpuE5ELNS1_3repE0EEENS1_30default_config_static_selectorELNS0_4arch9wavefront6targetE0EEEvT1_
                                        ; -- End function
	.set _ZN7rocprim17ROCPRIM_400000_NS6detail17trampoline_kernelINS0_14default_configENS1_27scan_by_key_config_selectorIifEEZZNS1_16scan_by_key_implILNS1_25lookback_scan_determinismE0ELb1ES3_N6thrust23THRUST_200600_302600_NS6detail15normal_iteratorINS9_10device_ptrIiEEEENSB_INSC_IjEEEESE_fNS9_4plusIvEENS9_8equal_toIvEEfEE10hipError_tPvRmT2_T3_T4_T5_mT6_T7_P12ihipStream_tbENKUlT_T0_E_clISt17integral_constantIbLb0EES10_IbLb1EEEEDaSW_SX_EUlSW_E_NS1_11comp_targetILNS1_3genE10ELNS1_11target_archE1201ELNS1_3gpuE5ELNS1_3repE0EEENS1_30default_config_static_selectorELNS0_4arch9wavefront6targetE0EEEvT1_.num_vgpr, 0
	.set _ZN7rocprim17ROCPRIM_400000_NS6detail17trampoline_kernelINS0_14default_configENS1_27scan_by_key_config_selectorIifEEZZNS1_16scan_by_key_implILNS1_25lookback_scan_determinismE0ELb1ES3_N6thrust23THRUST_200600_302600_NS6detail15normal_iteratorINS9_10device_ptrIiEEEENSB_INSC_IjEEEESE_fNS9_4plusIvEENS9_8equal_toIvEEfEE10hipError_tPvRmT2_T3_T4_T5_mT6_T7_P12ihipStream_tbENKUlT_T0_E_clISt17integral_constantIbLb0EES10_IbLb1EEEEDaSW_SX_EUlSW_E_NS1_11comp_targetILNS1_3genE10ELNS1_11target_archE1201ELNS1_3gpuE5ELNS1_3repE0EEENS1_30default_config_static_selectorELNS0_4arch9wavefront6targetE0EEEvT1_.num_agpr, 0
	.set _ZN7rocprim17ROCPRIM_400000_NS6detail17trampoline_kernelINS0_14default_configENS1_27scan_by_key_config_selectorIifEEZZNS1_16scan_by_key_implILNS1_25lookback_scan_determinismE0ELb1ES3_N6thrust23THRUST_200600_302600_NS6detail15normal_iteratorINS9_10device_ptrIiEEEENSB_INSC_IjEEEESE_fNS9_4plusIvEENS9_8equal_toIvEEfEE10hipError_tPvRmT2_T3_T4_T5_mT6_T7_P12ihipStream_tbENKUlT_T0_E_clISt17integral_constantIbLb0EES10_IbLb1EEEEDaSW_SX_EUlSW_E_NS1_11comp_targetILNS1_3genE10ELNS1_11target_archE1201ELNS1_3gpuE5ELNS1_3repE0EEENS1_30default_config_static_selectorELNS0_4arch9wavefront6targetE0EEEvT1_.numbered_sgpr, 0
	.set _ZN7rocprim17ROCPRIM_400000_NS6detail17trampoline_kernelINS0_14default_configENS1_27scan_by_key_config_selectorIifEEZZNS1_16scan_by_key_implILNS1_25lookback_scan_determinismE0ELb1ES3_N6thrust23THRUST_200600_302600_NS6detail15normal_iteratorINS9_10device_ptrIiEEEENSB_INSC_IjEEEESE_fNS9_4plusIvEENS9_8equal_toIvEEfEE10hipError_tPvRmT2_T3_T4_T5_mT6_T7_P12ihipStream_tbENKUlT_T0_E_clISt17integral_constantIbLb0EES10_IbLb1EEEEDaSW_SX_EUlSW_E_NS1_11comp_targetILNS1_3genE10ELNS1_11target_archE1201ELNS1_3gpuE5ELNS1_3repE0EEENS1_30default_config_static_selectorELNS0_4arch9wavefront6targetE0EEEvT1_.num_named_barrier, 0
	.set _ZN7rocprim17ROCPRIM_400000_NS6detail17trampoline_kernelINS0_14default_configENS1_27scan_by_key_config_selectorIifEEZZNS1_16scan_by_key_implILNS1_25lookback_scan_determinismE0ELb1ES3_N6thrust23THRUST_200600_302600_NS6detail15normal_iteratorINS9_10device_ptrIiEEEENSB_INSC_IjEEEESE_fNS9_4plusIvEENS9_8equal_toIvEEfEE10hipError_tPvRmT2_T3_T4_T5_mT6_T7_P12ihipStream_tbENKUlT_T0_E_clISt17integral_constantIbLb0EES10_IbLb1EEEEDaSW_SX_EUlSW_E_NS1_11comp_targetILNS1_3genE10ELNS1_11target_archE1201ELNS1_3gpuE5ELNS1_3repE0EEENS1_30default_config_static_selectorELNS0_4arch9wavefront6targetE0EEEvT1_.private_seg_size, 0
	.set _ZN7rocprim17ROCPRIM_400000_NS6detail17trampoline_kernelINS0_14default_configENS1_27scan_by_key_config_selectorIifEEZZNS1_16scan_by_key_implILNS1_25lookback_scan_determinismE0ELb1ES3_N6thrust23THRUST_200600_302600_NS6detail15normal_iteratorINS9_10device_ptrIiEEEENSB_INSC_IjEEEESE_fNS9_4plusIvEENS9_8equal_toIvEEfEE10hipError_tPvRmT2_T3_T4_T5_mT6_T7_P12ihipStream_tbENKUlT_T0_E_clISt17integral_constantIbLb0EES10_IbLb1EEEEDaSW_SX_EUlSW_E_NS1_11comp_targetILNS1_3genE10ELNS1_11target_archE1201ELNS1_3gpuE5ELNS1_3repE0EEENS1_30default_config_static_selectorELNS0_4arch9wavefront6targetE0EEEvT1_.uses_vcc, 0
	.set _ZN7rocprim17ROCPRIM_400000_NS6detail17trampoline_kernelINS0_14default_configENS1_27scan_by_key_config_selectorIifEEZZNS1_16scan_by_key_implILNS1_25lookback_scan_determinismE0ELb1ES3_N6thrust23THRUST_200600_302600_NS6detail15normal_iteratorINS9_10device_ptrIiEEEENSB_INSC_IjEEEESE_fNS9_4plusIvEENS9_8equal_toIvEEfEE10hipError_tPvRmT2_T3_T4_T5_mT6_T7_P12ihipStream_tbENKUlT_T0_E_clISt17integral_constantIbLb0EES10_IbLb1EEEEDaSW_SX_EUlSW_E_NS1_11comp_targetILNS1_3genE10ELNS1_11target_archE1201ELNS1_3gpuE5ELNS1_3repE0EEENS1_30default_config_static_selectorELNS0_4arch9wavefront6targetE0EEEvT1_.uses_flat_scratch, 0
	.set _ZN7rocprim17ROCPRIM_400000_NS6detail17trampoline_kernelINS0_14default_configENS1_27scan_by_key_config_selectorIifEEZZNS1_16scan_by_key_implILNS1_25lookback_scan_determinismE0ELb1ES3_N6thrust23THRUST_200600_302600_NS6detail15normal_iteratorINS9_10device_ptrIiEEEENSB_INSC_IjEEEESE_fNS9_4plusIvEENS9_8equal_toIvEEfEE10hipError_tPvRmT2_T3_T4_T5_mT6_T7_P12ihipStream_tbENKUlT_T0_E_clISt17integral_constantIbLb0EES10_IbLb1EEEEDaSW_SX_EUlSW_E_NS1_11comp_targetILNS1_3genE10ELNS1_11target_archE1201ELNS1_3gpuE5ELNS1_3repE0EEENS1_30default_config_static_selectorELNS0_4arch9wavefront6targetE0EEEvT1_.has_dyn_sized_stack, 0
	.set _ZN7rocprim17ROCPRIM_400000_NS6detail17trampoline_kernelINS0_14default_configENS1_27scan_by_key_config_selectorIifEEZZNS1_16scan_by_key_implILNS1_25lookback_scan_determinismE0ELb1ES3_N6thrust23THRUST_200600_302600_NS6detail15normal_iteratorINS9_10device_ptrIiEEEENSB_INSC_IjEEEESE_fNS9_4plusIvEENS9_8equal_toIvEEfEE10hipError_tPvRmT2_T3_T4_T5_mT6_T7_P12ihipStream_tbENKUlT_T0_E_clISt17integral_constantIbLb0EES10_IbLb1EEEEDaSW_SX_EUlSW_E_NS1_11comp_targetILNS1_3genE10ELNS1_11target_archE1201ELNS1_3gpuE5ELNS1_3repE0EEENS1_30default_config_static_selectorELNS0_4arch9wavefront6targetE0EEEvT1_.has_recursion, 0
	.set _ZN7rocprim17ROCPRIM_400000_NS6detail17trampoline_kernelINS0_14default_configENS1_27scan_by_key_config_selectorIifEEZZNS1_16scan_by_key_implILNS1_25lookback_scan_determinismE0ELb1ES3_N6thrust23THRUST_200600_302600_NS6detail15normal_iteratorINS9_10device_ptrIiEEEENSB_INSC_IjEEEESE_fNS9_4plusIvEENS9_8equal_toIvEEfEE10hipError_tPvRmT2_T3_T4_T5_mT6_T7_P12ihipStream_tbENKUlT_T0_E_clISt17integral_constantIbLb0EES10_IbLb1EEEEDaSW_SX_EUlSW_E_NS1_11comp_targetILNS1_3genE10ELNS1_11target_archE1201ELNS1_3gpuE5ELNS1_3repE0EEENS1_30default_config_static_selectorELNS0_4arch9wavefront6targetE0EEEvT1_.has_indirect_call, 0
	.section	.AMDGPU.csdata,"",@progbits
; Kernel info:
; codeLenInByte = 0
; TotalNumSgprs: 0
; NumVgprs: 0
; ScratchSize: 0
; MemoryBound: 0
; FloatMode: 240
; IeeeMode: 1
; LDSByteSize: 0 bytes/workgroup (compile time only)
; SGPRBlocks: 0
; VGPRBlocks: 0
; NumSGPRsForWavesPerEU: 1
; NumVGPRsForWavesPerEU: 1
; Occupancy: 16
; WaveLimiterHint : 0
; COMPUTE_PGM_RSRC2:SCRATCH_EN: 0
; COMPUTE_PGM_RSRC2:USER_SGPR: 6
; COMPUTE_PGM_RSRC2:TRAP_HANDLER: 0
; COMPUTE_PGM_RSRC2:TGID_X_EN: 1
; COMPUTE_PGM_RSRC2:TGID_Y_EN: 0
; COMPUTE_PGM_RSRC2:TGID_Z_EN: 0
; COMPUTE_PGM_RSRC2:TIDIG_COMP_CNT: 0
	.section	.text._ZN7rocprim17ROCPRIM_400000_NS6detail17trampoline_kernelINS0_14default_configENS1_27scan_by_key_config_selectorIifEEZZNS1_16scan_by_key_implILNS1_25lookback_scan_determinismE0ELb1ES3_N6thrust23THRUST_200600_302600_NS6detail15normal_iteratorINS9_10device_ptrIiEEEENSB_INSC_IjEEEESE_fNS9_4plusIvEENS9_8equal_toIvEEfEE10hipError_tPvRmT2_T3_T4_T5_mT6_T7_P12ihipStream_tbENKUlT_T0_E_clISt17integral_constantIbLb0EES10_IbLb1EEEEDaSW_SX_EUlSW_E_NS1_11comp_targetILNS1_3genE5ELNS1_11target_archE942ELNS1_3gpuE9ELNS1_3repE0EEENS1_30default_config_static_selectorELNS0_4arch9wavefront6targetE0EEEvT1_,"axG",@progbits,_ZN7rocprim17ROCPRIM_400000_NS6detail17trampoline_kernelINS0_14default_configENS1_27scan_by_key_config_selectorIifEEZZNS1_16scan_by_key_implILNS1_25lookback_scan_determinismE0ELb1ES3_N6thrust23THRUST_200600_302600_NS6detail15normal_iteratorINS9_10device_ptrIiEEEENSB_INSC_IjEEEESE_fNS9_4plusIvEENS9_8equal_toIvEEfEE10hipError_tPvRmT2_T3_T4_T5_mT6_T7_P12ihipStream_tbENKUlT_T0_E_clISt17integral_constantIbLb0EES10_IbLb1EEEEDaSW_SX_EUlSW_E_NS1_11comp_targetILNS1_3genE5ELNS1_11target_archE942ELNS1_3gpuE9ELNS1_3repE0EEENS1_30default_config_static_selectorELNS0_4arch9wavefront6targetE0EEEvT1_,comdat
	.protected	_ZN7rocprim17ROCPRIM_400000_NS6detail17trampoline_kernelINS0_14default_configENS1_27scan_by_key_config_selectorIifEEZZNS1_16scan_by_key_implILNS1_25lookback_scan_determinismE0ELb1ES3_N6thrust23THRUST_200600_302600_NS6detail15normal_iteratorINS9_10device_ptrIiEEEENSB_INSC_IjEEEESE_fNS9_4plusIvEENS9_8equal_toIvEEfEE10hipError_tPvRmT2_T3_T4_T5_mT6_T7_P12ihipStream_tbENKUlT_T0_E_clISt17integral_constantIbLb0EES10_IbLb1EEEEDaSW_SX_EUlSW_E_NS1_11comp_targetILNS1_3genE5ELNS1_11target_archE942ELNS1_3gpuE9ELNS1_3repE0EEENS1_30default_config_static_selectorELNS0_4arch9wavefront6targetE0EEEvT1_ ; -- Begin function _ZN7rocprim17ROCPRIM_400000_NS6detail17trampoline_kernelINS0_14default_configENS1_27scan_by_key_config_selectorIifEEZZNS1_16scan_by_key_implILNS1_25lookback_scan_determinismE0ELb1ES3_N6thrust23THRUST_200600_302600_NS6detail15normal_iteratorINS9_10device_ptrIiEEEENSB_INSC_IjEEEESE_fNS9_4plusIvEENS9_8equal_toIvEEfEE10hipError_tPvRmT2_T3_T4_T5_mT6_T7_P12ihipStream_tbENKUlT_T0_E_clISt17integral_constantIbLb0EES10_IbLb1EEEEDaSW_SX_EUlSW_E_NS1_11comp_targetILNS1_3genE5ELNS1_11target_archE942ELNS1_3gpuE9ELNS1_3repE0EEENS1_30default_config_static_selectorELNS0_4arch9wavefront6targetE0EEEvT1_
	.globl	_ZN7rocprim17ROCPRIM_400000_NS6detail17trampoline_kernelINS0_14default_configENS1_27scan_by_key_config_selectorIifEEZZNS1_16scan_by_key_implILNS1_25lookback_scan_determinismE0ELb1ES3_N6thrust23THRUST_200600_302600_NS6detail15normal_iteratorINS9_10device_ptrIiEEEENSB_INSC_IjEEEESE_fNS9_4plusIvEENS9_8equal_toIvEEfEE10hipError_tPvRmT2_T3_T4_T5_mT6_T7_P12ihipStream_tbENKUlT_T0_E_clISt17integral_constantIbLb0EES10_IbLb1EEEEDaSW_SX_EUlSW_E_NS1_11comp_targetILNS1_3genE5ELNS1_11target_archE942ELNS1_3gpuE9ELNS1_3repE0EEENS1_30default_config_static_selectorELNS0_4arch9wavefront6targetE0EEEvT1_
	.p2align	8
	.type	_ZN7rocprim17ROCPRIM_400000_NS6detail17trampoline_kernelINS0_14default_configENS1_27scan_by_key_config_selectorIifEEZZNS1_16scan_by_key_implILNS1_25lookback_scan_determinismE0ELb1ES3_N6thrust23THRUST_200600_302600_NS6detail15normal_iteratorINS9_10device_ptrIiEEEENSB_INSC_IjEEEESE_fNS9_4plusIvEENS9_8equal_toIvEEfEE10hipError_tPvRmT2_T3_T4_T5_mT6_T7_P12ihipStream_tbENKUlT_T0_E_clISt17integral_constantIbLb0EES10_IbLb1EEEEDaSW_SX_EUlSW_E_NS1_11comp_targetILNS1_3genE5ELNS1_11target_archE942ELNS1_3gpuE9ELNS1_3repE0EEENS1_30default_config_static_selectorELNS0_4arch9wavefront6targetE0EEEvT1_,@function
_ZN7rocprim17ROCPRIM_400000_NS6detail17trampoline_kernelINS0_14default_configENS1_27scan_by_key_config_selectorIifEEZZNS1_16scan_by_key_implILNS1_25lookback_scan_determinismE0ELb1ES3_N6thrust23THRUST_200600_302600_NS6detail15normal_iteratorINS9_10device_ptrIiEEEENSB_INSC_IjEEEESE_fNS9_4plusIvEENS9_8equal_toIvEEfEE10hipError_tPvRmT2_T3_T4_T5_mT6_T7_P12ihipStream_tbENKUlT_T0_E_clISt17integral_constantIbLb0EES10_IbLb1EEEEDaSW_SX_EUlSW_E_NS1_11comp_targetILNS1_3genE5ELNS1_11target_archE942ELNS1_3gpuE9ELNS1_3repE0EEENS1_30default_config_static_selectorELNS0_4arch9wavefront6targetE0EEEvT1_: ; @_ZN7rocprim17ROCPRIM_400000_NS6detail17trampoline_kernelINS0_14default_configENS1_27scan_by_key_config_selectorIifEEZZNS1_16scan_by_key_implILNS1_25lookback_scan_determinismE0ELb1ES3_N6thrust23THRUST_200600_302600_NS6detail15normal_iteratorINS9_10device_ptrIiEEEENSB_INSC_IjEEEESE_fNS9_4plusIvEENS9_8equal_toIvEEfEE10hipError_tPvRmT2_T3_T4_T5_mT6_T7_P12ihipStream_tbENKUlT_T0_E_clISt17integral_constantIbLb0EES10_IbLb1EEEEDaSW_SX_EUlSW_E_NS1_11comp_targetILNS1_3genE5ELNS1_11target_archE942ELNS1_3gpuE9ELNS1_3repE0EEENS1_30default_config_static_selectorELNS0_4arch9wavefront6targetE0EEEvT1_
; %bb.0:
	.section	.rodata,"a",@progbits
	.p2align	6, 0x0
	.amdhsa_kernel _ZN7rocprim17ROCPRIM_400000_NS6detail17trampoline_kernelINS0_14default_configENS1_27scan_by_key_config_selectorIifEEZZNS1_16scan_by_key_implILNS1_25lookback_scan_determinismE0ELb1ES3_N6thrust23THRUST_200600_302600_NS6detail15normal_iteratorINS9_10device_ptrIiEEEENSB_INSC_IjEEEESE_fNS9_4plusIvEENS9_8equal_toIvEEfEE10hipError_tPvRmT2_T3_T4_T5_mT6_T7_P12ihipStream_tbENKUlT_T0_E_clISt17integral_constantIbLb0EES10_IbLb1EEEEDaSW_SX_EUlSW_E_NS1_11comp_targetILNS1_3genE5ELNS1_11target_archE942ELNS1_3gpuE9ELNS1_3repE0EEENS1_30default_config_static_selectorELNS0_4arch9wavefront6targetE0EEEvT1_
		.amdhsa_group_segment_fixed_size 0
		.amdhsa_private_segment_fixed_size 0
		.amdhsa_kernarg_size 112
		.amdhsa_user_sgpr_count 6
		.amdhsa_user_sgpr_private_segment_buffer 1
		.amdhsa_user_sgpr_dispatch_ptr 0
		.amdhsa_user_sgpr_queue_ptr 0
		.amdhsa_user_sgpr_kernarg_segment_ptr 1
		.amdhsa_user_sgpr_dispatch_id 0
		.amdhsa_user_sgpr_flat_scratch_init 0
		.amdhsa_user_sgpr_private_segment_size 0
		.amdhsa_wavefront_size32 1
		.amdhsa_uses_dynamic_stack 0
		.amdhsa_system_sgpr_private_segment_wavefront_offset 0
		.amdhsa_system_sgpr_workgroup_id_x 1
		.amdhsa_system_sgpr_workgroup_id_y 0
		.amdhsa_system_sgpr_workgroup_id_z 0
		.amdhsa_system_sgpr_workgroup_info 0
		.amdhsa_system_vgpr_workitem_id 0
		.amdhsa_next_free_vgpr 1
		.amdhsa_next_free_sgpr 1
		.amdhsa_reserve_vcc 0
		.amdhsa_reserve_flat_scratch 0
		.amdhsa_float_round_mode_32 0
		.amdhsa_float_round_mode_16_64 0
		.amdhsa_float_denorm_mode_32 3
		.amdhsa_float_denorm_mode_16_64 3
		.amdhsa_dx10_clamp 1
		.amdhsa_ieee_mode 1
		.amdhsa_fp16_overflow 0
		.amdhsa_workgroup_processor_mode 1
		.amdhsa_memory_ordered 1
		.amdhsa_forward_progress 1
		.amdhsa_shared_vgpr_count 0
		.amdhsa_exception_fp_ieee_invalid_op 0
		.amdhsa_exception_fp_denorm_src 0
		.amdhsa_exception_fp_ieee_div_zero 0
		.amdhsa_exception_fp_ieee_overflow 0
		.amdhsa_exception_fp_ieee_underflow 0
		.amdhsa_exception_fp_ieee_inexact 0
		.amdhsa_exception_int_div_zero 0
	.end_amdhsa_kernel
	.section	.text._ZN7rocprim17ROCPRIM_400000_NS6detail17trampoline_kernelINS0_14default_configENS1_27scan_by_key_config_selectorIifEEZZNS1_16scan_by_key_implILNS1_25lookback_scan_determinismE0ELb1ES3_N6thrust23THRUST_200600_302600_NS6detail15normal_iteratorINS9_10device_ptrIiEEEENSB_INSC_IjEEEESE_fNS9_4plusIvEENS9_8equal_toIvEEfEE10hipError_tPvRmT2_T3_T4_T5_mT6_T7_P12ihipStream_tbENKUlT_T0_E_clISt17integral_constantIbLb0EES10_IbLb1EEEEDaSW_SX_EUlSW_E_NS1_11comp_targetILNS1_3genE5ELNS1_11target_archE942ELNS1_3gpuE9ELNS1_3repE0EEENS1_30default_config_static_selectorELNS0_4arch9wavefront6targetE0EEEvT1_,"axG",@progbits,_ZN7rocprim17ROCPRIM_400000_NS6detail17trampoline_kernelINS0_14default_configENS1_27scan_by_key_config_selectorIifEEZZNS1_16scan_by_key_implILNS1_25lookback_scan_determinismE0ELb1ES3_N6thrust23THRUST_200600_302600_NS6detail15normal_iteratorINS9_10device_ptrIiEEEENSB_INSC_IjEEEESE_fNS9_4plusIvEENS9_8equal_toIvEEfEE10hipError_tPvRmT2_T3_T4_T5_mT6_T7_P12ihipStream_tbENKUlT_T0_E_clISt17integral_constantIbLb0EES10_IbLb1EEEEDaSW_SX_EUlSW_E_NS1_11comp_targetILNS1_3genE5ELNS1_11target_archE942ELNS1_3gpuE9ELNS1_3repE0EEENS1_30default_config_static_selectorELNS0_4arch9wavefront6targetE0EEEvT1_,comdat
.Lfunc_end1817:
	.size	_ZN7rocprim17ROCPRIM_400000_NS6detail17trampoline_kernelINS0_14default_configENS1_27scan_by_key_config_selectorIifEEZZNS1_16scan_by_key_implILNS1_25lookback_scan_determinismE0ELb1ES3_N6thrust23THRUST_200600_302600_NS6detail15normal_iteratorINS9_10device_ptrIiEEEENSB_INSC_IjEEEESE_fNS9_4plusIvEENS9_8equal_toIvEEfEE10hipError_tPvRmT2_T3_T4_T5_mT6_T7_P12ihipStream_tbENKUlT_T0_E_clISt17integral_constantIbLb0EES10_IbLb1EEEEDaSW_SX_EUlSW_E_NS1_11comp_targetILNS1_3genE5ELNS1_11target_archE942ELNS1_3gpuE9ELNS1_3repE0EEENS1_30default_config_static_selectorELNS0_4arch9wavefront6targetE0EEEvT1_, .Lfunc_end1817-_ZN7rocprim17ROCPRIM_400000_NS6detail17trampoline_kernelINS0_14default_configENS1_27scan_by_key_config_selectorIifEEZZNS1_16scan_by_key_implILNS1_25lookback_scan_determinismE0ELb1ES3_N6thrust23THRUST_200600_302600_NS6detail15normal_iteratorINS9_10device_ptrIiEEEENSB_INSC_IjEEEESE_fNS9_4plusIvEENS9_8equal_toIvEEfEE10hipError_tPvRmT2_T3_T4_T5_mT6_T7_P12ihipStream_tbENKUlT_T0_E_clISt17integral_constantIbLb0EES10_IbLb1EEEEDaSW_SX_EUlSW_E_NS1_11comp_targetILNS1_3genE5ELNS1_11target_archE942ELNS1_3gpuE9ELNS1_3repE0EEENS1_30default_config_static_selectorELNS0_4arch9wavefront6targetE0EEEvT1_
                                        ; -- End function
	.set _ZN7rocprim17ROCPRIM_400000_NS6detail17trampoline_kernelINS0_14default_configENS1_27scan_by_key_config_selectorIifEEZZNS1_16scan_by_key_implILNS1_25lookback_scan_determinismE0ELb1ES3_N6thrust23THRUST_200600_302600_NS6detail15normal_iteratorINS9_10device_ptrIiEEEENSB_INSC_IjEEEESE_fNS9_4plusIvEENS9_8equal_toIvEEfEE10hipError_tPvRmT2_T3_T4_T5_mT6_T7_P12ihipStream_tbENKUlT_T0_E_clISt17integral_constantIbLb0EES10_IbLb1EEEEDaSW_SX_EUlSW_E_NS1_11comp_targetILNS1_3genE5ELNS1_11target_archE942ELNS1_3gpuE9ELNS1_3repE0EEENS1_30default_config_static_selectorELNS0_4arch9wavefront6targetE0EEEvT1_.num_vgpr, 0
	.set _ZN7rocprim17ROCPRIM_400000_NS6detail17trampoline_kernelINS0_14default_configENS1_27scan_by_key_config_selectorIifEEZZNS1_16scan_by_key_implILNS1_25lookback_scan_determinismE0ELb1ES3_N6thrust23THRUST_200600_302600_NS6detail15normal_iteratorINS9_10device_ptrIiEEEENSB_INSC_IjEEEESE_fNS9_4plusIvEENS9_8equal_toIvEEfEE10hipError_tPvRmT2_T3_T4_T5_mT6_T7_P12ihipStream_tbENKUlT_T0_E_clISt17integral_constantIbLb0EES10_IbLb1EEEEDaSW_SX_EUlSW_E_NS1_11comp_targetILNS1_3genE5ELNS1_11target_archE942ELNS1_3gpuE9ELNS1_3repE0EEENS1_30default_config_static_selectorELNS0_4arch9wavefront6targetE0EEEvT1_.num_agpr, 0
	.set _ZN7rocprim17ROCPRIM_400000_NS6detail17trampoline_kernelINS0_14default_configENS1_27scan_by_key_config_selectorIifEEZZNS1_16scan_by_key_implILNS1_25lookback_scan_determinismE0ELb1ES3_N6thrust23THRUST_200600_302600_NS6detail15normal_iteratorINS9_10device_ptrIiEEEENSB_INSC_IjEEEESE_fNS9_4plusIvEENS9_8equal_toIvEEfEE10hipError_tPvRmT2_T3_T4_T5_mT6_T7_P12ihipStream_tbENKUlT_T0_E_clISt17integral_constantIbLb0EES10_IbLb1EEEEDaSW_SX_EUlSW_E_NS1_11comp_targetILNS1_3genE5ELNS1_11target_archE942ELNS1_3gpuE9ELNS1_3repE0EEENS1_30default_config_static_selectorELNS0_4arch9wavefront6targetE0EEEvT1_.numbered_sgpr, 0
	.set _ZN7rocprim17ROCPRIM_400000_NS6detail17trampoline_kernelINS0_14default_configENS1_27scan_by_key_config_selectorIifEEZZNS1_16scan_by_key_implILNS1_25lookback_scan_determinismE0ELb1ES3_N6thrust23THRUST_200600_302600_NS6detail15normal_iteratorINS9_10device_ptrIiEEEENSB_INSC_IjEEEESE_fNS9_4plusIvEENS9_8equal_toIvEEfEE10hipError_tPvRmT2_T3_T4_T5_mT6_T7_P12ihipStream_tbENKUlT_T0_E_clISt17integral_constantIbLb0EES10_IbLb1EEEEDaSW_SX_EUlSW_E_NS1_11comp_targetILNS1_3genE5ELNS1_11target_archE942ELNS1_3gpuE9ELNS1_3repE0EEENS1_30default_config_static_selectorELNS0_4arch9wavefront6targetE0EEEvT1_.num_named_barrier, 0
	.set _ZN7rocprim17ROCPRIM_400000_NS6detail17trampoline_kernelINS0_14default_configENS1_27scan_by_key_config_selectorIifEEZZNS1_16scan_by_key_implILNS1_25lookback_scan_determinismE0ELb1ES3_N6thrust23THRUST_200600_302600_NS6detail15normal_iteratorINS9_10device_ptrIiEEEENSB_INSC_IjEEEESE_fNS9_4plusIvEENS9_8equal_toIvEEfEE10hipError_tPvRmT2_T3_T4_T5_mT6_T7_P12ihipStream_tbENKUlT_T0_E_clISt17integral_constantIbLb0EES10_IbLb1EEEEDaSW_SX_EUlSW_E_NS1_11comp_targetILNS1_3genE5ELNS1_11target_archE942ELNS1_3gpuE9ELNS1_3repE0EEENS1_30default_config_static_selectorELNS0_4arch9wavefront6targetE0EEEvT1_.private_seg_size, 0
	.set _ZN7rocprim17ROCPRIM_400000_NS6detail17trampoline_kernelINS0_14default_configENS1_27scan_by_key_config_selectorIifEEZZNS1_16scan_by_key_implILNS1_25lookback_scan_determinismE0ELb1ES3_N6thrust23THRUST_200600_302600_NS6detail15normal_iteratorINS9_10device_ptrIiEEEENSB_INSC_IjEEEESE_fNS9_4plusIvEENS9_8equal_toIvEEfEE10hipError_tPvRmT2_T3_T4_T5_mT6_T7_P12ihipStream_tbENKUlT_T0_E_clISt17integral_constantIbLb0EES10_IbLb1EEEEDaSW_SX_EUlSW_E_NS1_11comp_targetILNS1_3genE5ELNS1_11target_archE942ELNS1_3gpuE9ELNS1_3repE0EEENS1_30default_config_static_selectorELNS0_4arch9wavefront6targetE0EEEvT1_.uses_vcc, 0
	.set _ZN7rocprim17ROCPRIM_400000_NS6detail17trampoline_kernelINS0_14default_configENS1_27scan_by_key_config_selectorIifEEZZNS1_16scan_by_key_implILNS1_25lookback_scan_determinismE0ELb1ES3_N6thrust23THRUST_200600_302600_NS6detail15normal_iteratorINS9_10device_ptrIiEEEENSB_INSC_IjEEEESE_fNS9_4plusIvEENS9_8equal_toIvEEfEE10hipError_tPvRmT2_T3_T4_T5_mT6_T7_P12ihipStream_tbENKUlT_T0_E_clISt17integral_constantIbLb0EES10_IbLb1EEEEDaSW_SX_EUlSW_E_NS1_11comp_targetILNS1_3genE5ELNS1_11target_archE942ELNS1_3gpuE9ELNS1_3repE0EEENS1_30default_config_static_selectorELNS0_4arch9wavefront6targetE0EEEvT1_.uses_flat_scratch, 0
	.set _ZN7rocprim17ROCPRIM_400000_NS6detail17trampoline_kernelINS0_14default_configENS1_27scan_by_key_config_selectorIifEEZZNS1_16scan_by_key_implILNS1_25lookback_scan_determinismE0ELb1ES3_N6thrust23THRUST_200600_302600_NS6detail15normal_iteratorINS9_10device_ptrIiEEEENSB_INSC_IjEEEESE_fNS9_4plusIvEENS9_8equal_toIvEEfEE10hipError_tPvRmT2_T3_T4_T5_mT6_T7_P12ihipStream_tbENKUlT_T0_E_clISt17integral_constantIbLb0EES10_IbLb1EEEEDaSW_SX_EUlSW_E_NS1_11comp_targetILNS1_3genE5ELNS1_11target_archE942ELNS1_3gpuE9ELNS1_3repE0EEENS1_30default_config_static_selectorELNS0_4arch9wavefront6targetE0EEEvT1_.has_dyn_sized_stack, 0
	.set _ZN7rocprim17ROCPRIM_400000_NS6detail17trampoline_kernelINS0_14default_configENS1_27scan_by_key_config_selectorIifEEZZNS1_16scan_by_key_implILNS1_25lookback_scan_determinismE0ELb1ES3_N6thrust23THRUST_200600_302600_NS6detail15normal_iteratorINS9_10device_ptrIiEEEENSB_INSC_IjEEEESE_fNS9_4plusIvEENS9_8equal_toIvEEfEE10hipError_tPvRmT2_T3_T4_T5_mT6_T7_P12ihipStream_tbENKUlT_T0_E_clISt17integral_constantIbLb0EES10_IbLb1EEEEDaSW_SX_EUlSW_E_NS1_11comp_targetILNS1_3genE5ELNS1_11target_archE942ELNS1_3gpuE9ELNS1_3repE0EEENS1_30default_config_static_selectorELNS0_4arch9wavefront6targetE0EEEvT1_.has_recursion, 0
	.set _ZN7rocprim17ROCPRIM_400000_NS6detail17trampoline_kernelINS0_14default_configENS1_27scan_by_key_config_selectorIifEEZZNS1_16scan_by_key_implILNS1_25lookback_scan_determinismE0ELb1ES3_N6thrust23THRUST_200600_302600_NS6detail15normal_iteratorINS9_10device_ptrIiEEEENSB_INSC_IjEEEESE_fNS9_4plusIvEENS9_8equal_toIvEEfEE10hipError_tPvRmT2_T3_T4_T5_mT6_T7_P12ihipStream_tbENKUlT_T0_E_clISt17integral_constantIbLb0EES10_IbLb1EEEEDaSW_SX_EUlSW_E_NS1_11comp_targetILNS1_3genE5ELNS1_11target_archE942ELNS1_3gpuE9ELNS1_3repE0EEENS1_30default_config_static_selectorELNS0_4arch9wavefront6targetE0EEEvT1_.has_indirect_call, 0
	.section	.AMDGPU.csdata,"",@progbits
; Kernel info:
; codeLenInByte = 0
; TotalNumSgprs: 0
; NumVgprs: 0
; ScratchSize: 0
; MemoryBound: 0
; FloatMode: 240
; IeeeMode: 1
; LDSByteSize: 0 bytes/workgroup (compile time only)
; SGPRBlocks: 0
; VGPRBlocks: 0
; NumSGPRsForWavesPerEU: 1
; NumVGPRsForWavesPerEU: 1
; Occupancy: 16
; WaveLimiterHint : 0
; COMPUTE_PGM_RSRC2:SCRATCH_EN: 0
; COMPUTE_PGM_RSRC2:USER_SGPR: 6
; COMPUTE_PGM_RSRC2:TRAP_HANDLER: 0
; COMPUTE_PGM_RSRC2:TGID_X_EN: 1
; COMPUTE_PGM_RSRC2:TGID_Y_EN: 0
; COMPUTE_PGM_RSRC2:TGID_Z_EN: 0
; COMPUTE_PGM_RSRC2:TIDIG_COMP_CNT: 0
	.section	.text._ZN7rocprim17ROCPRIM_400000_NS6detail17trampoline_kernelINS0_14default_configENS1_27scan_by_key_config_selectorIifEEZZNS1_16scan_by_key_implILNS1_25lookback_scan_determinismE0ELb1ES3_N6thrust23THRUST_200600_302600_NS6detail15normal_iteratorINS9_10device_ptrIiEEEENSB_INSC_IjEEEESE_fNS9_4plusIvEENS9_8equal_toIvEEfEE10hipError_tPvRmT2_T3_T4_T5_mT6_T7_P12ihipStream_tbENKUlT_T0_E_clISt17integral_constantIbLb0EES10_IbLb1EEEEDaSW_SX_EUlSW_E_NS1_11comp_targetILNS1_3genE4ELNS1_11target_archE910ELNS1_3gpuE8ELNS1_3repE0EEENS1_30default_config_static_selectorELNS0_4arch9wavefront6targetE0EEEvT1_,"axG",@progbits,_ZN7rocprim17ROCPRIM_400000_NS6detail17trampoline_kernelINS0_14default_configENS1_27scan_by_key_config_selectorIifEEZZNS1_16scan_by_key_implILNS1_25lookback_scan_determinismE0ELb1ES3_N6thrust23THRUST_200600_302600_NS6detail15normal_iteratorINS9_10device_ptrIiEEEENSB_INSC_IjEEEESE_fNS9_4plusIvEENS9_8equal_toIvEEfEE10hipError_tPvRmT2_T3_T4_T5_mT6_T7_P12ihipStream_tbENKUlT_T0_E_clISt17integral_constantIbLb0EES10_IbLb1EEEEDaSW_SX_EUlSW_E_NS1_11comp_targetILNS1_3genE4ELNS1_11target_archE910ELNS1_3gpuE8ELNS1_3repE0EEENS1_30default_config_static_selectorELNS0_4arch9wavefront6targetE0EEEvT1_,comdat
	.protected	_ZN7rocprim17ROCPRIM_400000_NS6detail17trampoline_kernelINS0_14default_configENS1_27scan_by_key_config_selectorIifEEZZNS1_16scan_by_key_implILNS1_25lookback_scan_determinismE0ELb1ES3_N6thrust23THRUST_200600_302600_NS6detail15normal_iteratorINS9_10device_ptrIiEEEENSB_INSC_IjEEEESE_fNS9_4plusIvEENS9_8equal_toIvEEfEE10hipError_tPvRmT2_T3_T4_T5_mT6_T7_P12ihipStream_tbENKUlT_T0_E_clISt17integral_constantIbLb0EES10_IbLb1EEEEDaSW_SX_EUlSW_E_NS1_11comp_targetILNS1_3genE4ELNS1_11target_archE910ELNS1_3gpuE8ELNS1_3repE0EEENS1_30default_config_static_selectorELNS0_4arch9wavefront6targetE0EEEvT1_ ; -- Begin function _ZN7rocprim17ROCPRIM_400000_NS6detail17trampoline_kernelINS0_14default_configENS1_27scan_by_key_config_selectorIifEEZZNS1_16scan_by_key_implILNS1_25lookback_scan_determinismE0ELb1ES3_N6thrust23THRUST_200600_302600_NS6detail15normal_iteratorINS9_10device_ptrIiEEEENSB_INSC_IjEEEESE_fNS9_4plusIvEENS9_8equal_toIvEEfEE10hipError_tPvRmT2_T3_T4_T5_mT6_T7_P12ihipStream_tbENKUlT_T0_E_clISt17integral_constantIbLb0EES10_IbLb1EEEEDaSW_SX_EUlSW_E_NS1_11comp_targetILNS1_3genE4ELNS1_11target_archE910ELNS1_3gpuE8ELNS1_3repE0EEENS1_30default_config_static_selectorELNS0_4arch9wavefront6targetE0EEEvT1_
	.globl	_ZN7rocprim17ROCPRIM_400000_NS6detail17trampoline_kernelINS0_14default_configENS1_27scan_by_key_config_selectorIifEEZZNS1_16scan_by_key_implILNS1_25lookback_scan_determinismE0ELb1ES3_N6thrust23THRUST_200600_302600_NS6detail15normal_iteratorINS9_10device_ptrIiEEEENSB_INSC_IjEEEESE_fNS9_4plusIvEENS9_8equal_toIvEEfEE10hipError_tPvRmT2_T3_T4_T5_mT6_T7_P12ihipStream_tbENKUlT_T0_E_clISt17integral_constantIbLb0EES10_IbLb1EEEEDaSW_SX_EUlSW_E_NS1_11comp_targetILNS1_3genE4ELNS1_11target_archE910ELNS1_3gpuE8ELNS1_3repE0EEENS1_30default_config_static_selectorELNS0_4arch9wavefront6targetE0EEEvT1_
	.p2align	8
	.type	_ZN7rocprim17ROCPRIM_400000_NS6detail17trampoline_kernelINS0_14default_configENS1_27scan_by_key_config_selectorIifEEZZNS1_16scan_by_key_implILNS1_25lookback_scan_determinismE0ELb1ES3_N6thrust23THRUST_200600_302600_NS6detail15normal_iteratorINS9_10device_ptrIiEEEENSB_INSC_IjEEEESE_fNS9_4plusIvEENS9_8equal_toIvEEfEE10hipError_tPvRmT2_T3_T4_T5_mT6_T7_P12ihipStream_tbENKUlT_T0_E_clISt17integral_constantIbLb0EES10_IbLb1EEEEDaSW_SX_EUlSW_E_NS1_11comp_targetILNS1_3genE4ELNS1_11target_archE910ELNS1_3gpuE8ELNS1_3repE0EEENS1_30default_config_static_selectorELNS0_4arch9wavefront6targetE0EEEvT1_,@function
_ZN7rocprim17ROCPRIM_400000_NS6detail17trampoline_kernelINS0_14default_configENS1_27scan_by_key_config_selectorIifEEZZNS1_16scan_by_key_implILNS1_25lookback_scan_determinismE0ELb1ES3_N6thrust23THRUST_200600_302600_NS6detail15normal_iteratorINS9_10device_ptrIiEEEENSB_INSC_IjEEEESE_fNS9_4plusIvEENS9_8equal_toIvEEfEE10hipError_tPvRmT2_T3_T4_T5_mT6_T7_P12ihipStream_tbENKUlT_T0_E_clISt17integral_constantIbLb0EES10_IbLb1EEEEDaSW_SX_EUlSW_E_NS1_11comp_targetILNS1_3genE4ELNS1_11target_archE910ELNS1_3gpuE8ELNS1_3repE0EEENS1_30default_config_static_selectorELNS0_4arch9wavefront6targetE0EEEvT1_: ; @_ZN7rocprim17ROCPRIM_400000_NS6detail17trampoline_kernelINS0_14default_configENS1_27scan_by_key_config_selectorIifEEZZNS1_16scan_by_key_implILNS1_25lookback_scan_determinismE0ELb1ES3_N6thrust23THRUST_200600_302600_NS6detail15normal_iteratorINS9_10device_ptrIiEEEENSB_INSC_IjEEEESE_fNS9_4plusIvEENS9_8equal_toIvEEfEE10hipError_tPvRmT2_T3_T4_T5_mT6_T7_P12ihipStream_tbENKUlT_T0_E_clISt17integral_constantIbLb0EES10_IbLb1EEEEDaSW_SX_EUlSW_E_NS1_11comp_targetILNS1_3genE4ELNS1_11target_archE910ELNS1_3gpuE8ELNS1_3repE0EEENS1_30default_config_static_selectorELNS0_4arch9wavefront6targetE0EEEvT1_
; %bb.0:
	.section	.rodata,"a",@progbits
	.p2align	6, 0x0
	.amdhsa_kernel _ZN7rocprim17ROCPRIM_400000_NS6detail17trampoline_kernelINS0_14default_configENS1_27scan_by_key_config_selectorIifEEZZNS1_16scan_by_key_implILNS1_25lookback_scan_determinismE0ELb1ES3_N6thrust23THRUST_200600_302600_NS6detail15normal_iteratorINS9_10device_ptrIiEEEENSB_INSC_IjEEEESE_fNS9_4plusIvEENS9_8equal_toIvEEfEE10hipError_tPvRmT2_T3_T4_T5_mT6_T7_P12ihipStream_tbENKUlT_T0_E_clISt17integral_constantIbLb0EES10_IbLb1EEEEDaSW_SX_EUlSW_E_NS1_11comp_targetILNS1_3genE4ELNS1_11target_archE910ELNS1_3gpuE8ELNS1_3repE0EEENS1_30default_config_static_selectorELNS0_4arch9wavefront6targetE0EEEvT1_
		.amdhsa_group_segment_fixed_size 0
		.amdhsa_private_segment_fixed_size 0
		.amdhsa_kernarg_size 112
		.amdhsa_user_sgpr_count 6
		.amdhsa_user_sgpr_private_segment_buffer 1
		.amdhsa_user_sgpr_dispatch_ptr 0
		.amdhsa_user_sgpr_queue_ptr 0
		.amdhsa_user_sgpr_kernarg_segment_ptr 1
		.amdhsa_user_sgpr_dispatch_id 0
		.amdhsa_user_sgpr_flat_scratch_init 0
		.amdhsa_user_sgpr_private_segment_size 0
		.amdhsa_wavefront_size32 1
		.amdhsa_uses_dynamic_stack 0
		.amdhsa_system_sgpr_private_segment_wavefront_offset 0
		.amdhsa_system_sgpr_workgroup_id_x 1
		.amdhsa_system_sgpr_workgroup_id_y 0
		.amdhsa_system_sgpr_workgroup_id_z 0
		.amdhsa_system_sgpr_workgroup_info 0
		.amdhsa_system_vgpr_workitem_id 0
		.amdhsa_next_free_vgpr 1
		.amdhsa_next_free_sgpr 1
		.amdhsa_reserve_vcc 0
		.amdhsa_reserve_flat_scratch 0
		.amdhsa_float_round_mode_32 0
		.amdhsa_float_round_mode_16_64 0
		.amdhsa_float_denorm_mode_32 3
		.amdhsa_float_denorm_mode_16_64 3
		.amdhsa_dx10_clamp 1
		.amdhsa_ieee_mode 1
		.amdhsa_fp16_overflow 0
		.amdhsa_workgroup_processor_mode 1
		.amdhsa_memory_ordered 1
		.amdhsa_forward_progress 1
		.amdhsa_shared_vgpr_count 0
		.amdhsa_exception_fp_ieee_invalid_op 0
		.amdhsa_exception_fp_denorm_src 0
		.amdhsa_exception_fp_ieee_div_zero 0
		.amdhsa_exception_fp_ieee_overflow 0
		.amdhsa_exception_fp_ieee_underflow 0
		.amdhsa_exception_fp_ieee_inexact 0
		.amdhsa_exception_int_div_zero 0
	.end_amdhsa_kernel
	.section	.text._ZN7rocprim17ROCPRIM_400000_NS6detail17trampoline_kernelINS0_14default_configENS1_27scan_by_key_config_selectorIifEEZZNS1_16scan_by_key_implILNS1_25lookback_scan_determinismE0ELb1ES3_N6thrust23THRUST_200600_302600_NS6detail15normal_iteratorINS9_10device_ptrIiEEEENSB_INSC_IjEEEESE_fNS9_4plusIvEENS9_8equal_toIvEEfEE10hipError_tPvRmT2_T3_T4_T5_mT6_T7_P12ihipStream_tbENKUlT_T0_E_clISt17integral_constantIbLb0EES10_IbLb1EEEEDaSW_SX_EUlSW_E_NS1_11comp_targetILNS1_3genE4ELNS1_11target_archE910ELNS1_3gpuE8ELNS1_3repE0EEENS1_30default_config_static_selectorELNS0_4arch9wavefront6targetE0EEEvT1_,"axG",@progbits,_ZN7rocprim17ROCPRIM_400000_NS6detail17trampoline_kernelINS0_14default_configENS1_27scan_by_key_config_selectorIifEEZZNS1_16scan_by_key_implILNS1_25lookback_scan_determinismE0ELb1ES3_N6thrust23THRUST_200600_302600_NS6detail15normal_iteratorINS9_10device_ptrIiEEEENSB_INSC_IjEEEESE_fNS9_4plusIvEENS9_8equal_toIvEEfEE10hipError_tPvRmT2_T3_T4_T5_mT6_T7_P12ihipStream_tbENKUlT_T0_E_clISt17integral_constantIbLb0EES10_IbLb1EEEEDaSW_SX_EUlSW_E_NS1_11comp_targetILNS1_3genE4ELNS1_11target_archE910ELNS1_3gpuE8ELNS1_3repE0EEENS1_30default_config_static_selectorELNS0_4arch9wavefront6targetE0EEEvT1_,comdat
.Lfunc_end1818:
	.size	_ZN7rocprim17ROCPRIM_400000_NS6detail17trampoline_kernelINS0_14default_configENS1_27scan_by_key_config_selectorIifEEZZNS1_16scan_by_key_implILNS1_25lookback_scan_determinismE0ELb1ES3_N6thrust23THRUST_200600_302600_NS6detail15normal_iteratorINS9_10device_ptrIiEEEENSB_INSC_IjEEEESE_fNS9_4plusIvEENS9_8equal_toIvEEfEE10hipError_tPvRmT2_T3_T4_T5_mT6_T7_P12ihipStream_tbENKUlT_T0_E_clISt17integral_constantIbLb0EES10_IbLb1EEEEDaSW_SX_EUlSW_E_NS1_11comp_targetILNS1_3genE4ELNS1_11target_archE910ELNS1_3gpuE8ELNS1_3repE0EEENS1_30default_config_static_selectorELNS0_4arch9wavefront6targetE0EEEvT1_, .Lfunc_end1818-_ZN7rocprim17ROCPRIM_400000_NS6detail17trampoline_kernelINS0_14default_configENS1_27scan_by_key_config_selectorIifEEZZNS1_16scan_by_key_implILNS1_25lookback_scan_determinismE0ELb1ES3_N6thrust23THRUST_200600_302600_NS6detail15normal_iteratorINS9_10device_ptrIiEEEENSB_INSC_IjEEEESE_fNS9_4plusIvEENS9_8equal_toIvEEfEE10hipError_tPvRmT2_T3_T4_T5_mT6_T7_P12ihipStream_tbENKUlT_T0_E_clISt17integral_constantIbLb0EES10_IbLb1EEEEDaSW_SX_EUlSW_E_NS1_11comp_targetILNS1_3genE4ELNS1_11target_archE910ELNS1_3gpuE8ELNS1_3repE0EEENS1_30default_config_static_selectorELNS0_4arch9wavefront6targetE0EEEvT1_
                                        ; -- End function
	.set _ZN7rocprim17ROCPRIM_400000_NS6detail17trampoline_kernelINS0_14default_configENS1_27scan_by_key_config_selectorIifEEZZNS1_16scan_by_key_implILNS1_25lookback_scan_determinismE0ELb1ES3_N6thrust23THRUST_200600_302600_NS6detail15normal_iteratorINS9_10device_ptrIiEEEENSB_INSC_IjEEEESE_fNS9_4plusIvEENS9_8equal_toIvEEfEE10hipError_tPvRmT2_T3_T4_T5_mT6_T7_P12ihipStream_tbENKUlT_T0_E_clISt17integral_constantIbLb0EES10_IbLb1EEEEDaSW_SX_EUlSW_E_NS1_11comp_targetILNS1_3genE4ELNS1_11target_archE910ELNS1_3gpuE8ELNS1_3repE0EEENS1_30default_config_static_selectorELNS0_4arch9wavefront6targetE0EEEvT1_.num_vgpr, 0
	.set _ZN7rocprim17ROCPRIM_400000_NS6detail17trampoline_kernelINS0_14default_configENS1_27scan_by_key_config_selectorIifEEZZNS1_16scan_by_key_implILNS1_25lookback_scan_determinismE0ELb1ES3_N6thrust23THRUST_200600_302600_NS6detail15normal_iteratorINS9_10device_ptrIiEEEENSB_INSC_IjEEEESE_fNS9_4plusIvEENS9_8equal_toIvEEfEE10hipError_tPvRmT2_T3_T4_T5_mT6_T7_P12ihipStream_tbENKUlT_T0_E_clISt17integral_constantIbLb0EES10_IbLb1EEEEDaSW_SX_EUlSW_E_NS1_11comp_targetILNS1_3genE4ELNS1_11target_archE910ELNS1_3gpuE8ELNS1_3repE0EEENS1_30default_config_static_selectorELNS0_4arch9wavefront6targetE0EEEvT1_.num_agpr, 0
	.set _ZN7rocprim17ROCPRIM_400000_NS6detail17trampoline_kernelINS0_14default_configENS1_27scan_by_key_config_selectorIifEEZZNS1_16scan_by_key_implILNS1_25lookback_scan_determinismE0ELb1ES3_N6thrust23THRUST_200600_302600_NS6detail15normal_iteratorINS9_10device_ptrIiEEEENSB_INSC_IjEEEESE_fNS9_4plusIvEENS9_8equal_toIvEEfEE10hipError_tPvRmT2_T3_T4_T5_mT6_T7_P12ihipStream_tbENKUlT_T0_E_clISt17integral_constantIbLb0EES10_IbLb1EEEEDaSW_SX_EUlSW_E_NS1_11comp_targetILNS1_3genE4ELNS1_11target_archE910ELNS1_3gpuE8ELNS1_3repE0EEENS1_30default_config_static_selectorELNS0_4arch9wavefront6targetE0EEEvT1_.numbered_sgpr, 0
	.set _ZN7rocprim17ROCPRIM_400000_NS6detail17trampoline_kernelINS0_14default_configENS1_27scan_by_key_config_selectorIifEEZZNS1_16scan_by_key_implILNS1_25lookback_scan_determinismE0ELb1ES3_N6thrust23THRUST_200600_302600_NS6detail15normal_iteratorINS9_10device_ptrIiEEEENSB_INSC_IjEEEESE_fNS9_4plusIvEENS9_8equal_toIvEEfEE10hipError_tPvRmT2_T3_T4_T5_mT6_T7_P12ihipStream_tbENKUlT_T0_E_clISt17integral_constantIbLb0EES10_IbLb1EEEEDaSW_SX_EUlSW_E_NS1_11comp_targetILNS1_3genE4ELNS1_11target_archE910ELNS1_3gpuE8ELNS1_3repE0EEENS1_30default_config_static_selectorELNS0_4arch9wavefront6targetE0EEEvT1_.num_named_barrier, 0
	.set _ZN7rocprim17ROCPRIM_400000_NS6detail17trampoline_kernelINS0_14default_configENS1_27scan_by_key_config_selectorIifEEZZNS1_16scan_by_key_implILNS1_25lookback_scan_determinismE0ELb1ES3_N6thrust23THRUST_200600_302600_NS6detail15normal_iteratorINS9_10device_ptrIiEEEENSB_INSC_IjEEEESE_fNS9_4plusIvEENS9_8equal_toIvEEfEE10hipError_tPvRmT2_T3_T4_T5_mT6_T7_P12ihipStream_tbENKUlT_T0_E_clISt17integral_constantIbLb0EES10_IbLb1EEEEDaSW_SX_EUlSW_E_NS1_11comp_targetILNS1_3genE4ELNS1_11target_archE910ELNS1_3gpuE8ELNS1_3repE0EEENS1_30default_config_static_selectorELNS0_4arch9wavefront6targetE0EEEvT1_.private_seg_size, 0
	.set _ZN7rocprim17ROCPRIM_400000_NS6detail17trampoline_kernelINS0_14default_configENS1_27scan_by_key_config_selectorIifEEZZNS1_16scan_by_key_implILNS1_25lookback_scan_determinismE0ELb1ES3_N6thrust23THRUST_200600_302600_NS6detail15normal_iteratorINS9_10device_ptrIiEEEENSB_INSC_IjEEEESE_fNS9_4plusIvEENS9_8equal_toIvEEfEE10hipError_tPvRmT2_T3_T4_T5_mT6_T7_P12ihipStream_tbENKUlT_T0_E_clISt17integral_constantIbLb0EES10_IbLb1EEEEDaSW_SX_EUlSW_E_NS1_11comp_targetILNS1_3genE4ELNS1_11target_archE910ELNS1_3gpuE8ELNS1_3repE0EEENS1_30default_config_static_selectorELNS0_4arch9wavefront6targetE0EEEvT1_.uses_vcc, 0
	.set _ZN7rocprim17ROCPRIM_400000_NS6detail17trampoline_kernelINS0_14default_configENS1_27scan_by_key_config_selectorIifEEZZNS1_16scan_by_key_implILNS1_25lookback_scan_determinismE0ELb1ES3_N6thrust23THRUST_200600_302600_NS6detail15normal_iteratorINS9_10device_ptrIiEEEENSB_INSC_IjEEEESE_fNS9_4plusIvEENS9_8equal_toIvEEfEE10hipError_tPvRmT2_T3_T4_T5_mT6_T7_P12ihipStream_tbENKUlT_T0_E_clISt17integral_constantIbLb0EES10_IbLb1EEEEDaSW_SX_EUlSW_E_NS1_11comp_targetILNS1_3genE4ELNS1_11target_archE910ELNS1_3gpuE8ELNS1_3repE0EEENS1_30default_config_static_selectorELNS0_4arch9wavefront6targetE0EEEvT1_.uses_flat_scratch, 0
	.set _ZN7rocprim17ROCPRIM_400000_NS6detail17trampoline_kernelINS0_14default_configENS1_27scan_by_key_config_selectorIifEEZZNS1_16scan_by_key_implILNS1_25lookback_scan_determinismE0ELb1ES3_N6thrust23THRUST_200600_302600_NS6detail15normal_iteratorINS9_10device_ptrIiEEEENSB_INSC_IjEEEESE_fNS9_4plusIvEENS9_8equal_toIvEEfEE10hipError_tPvRmT2_T3_T4_T5_mT6_T7_P12ihipStream_tbENKUlT_T0_E_clISt17integral_constantIbLb0EES10_IbLb1EEEEDaSW_SX_EUlSW_E_NS1_11comp_targetILNS1_3genE4ELNS1_11target_archE910ELNS1_3gpuE8ELNS1_3repE0EEENS1_30default_config_static_selectorELNS0_4arch9wavefront6targetE0EEEvT1_.has_dyn_sized_stack, 0
	.set _ZN7rocprim17ROCPRIM_400000_NS6detail17trampoline_kernelINS0_14default_configENS1_27scan_by_key_config_selectorIifEEZZNS1_16scan_by_key_implILNS1_25lookback_scan_determinismE0ELb1ES3_N6thrust23THRUST_200600_302600_NS6detail15normal_iteratorINS9_10device_ptrIiEEEENSB_INSC_IjEEEESE_fNS9_4plusIvEENS9_8equal_toIvEEfEE10hipError_tPvRmT2_T3_T4_T5_mT6_T7_P12ihipStream_tbENKUlT_T0_E_clISt17integral_constantIbLb0EES10_IbLb1EEEEDaSW_SX_EUlSW_E_NS1_11comp_targetILNS1_3genE4ELNS1_11target_archE910ELNS1_3gpuE8ELNS1_3repE0EEENS1_30default_config_static_selectorELNS0_4arch9wavefront6targetE0EEEvT1_.has_recursion, 0
	.set _ZN7rocprim17ROCPRIM_400000_NS6detail17trampoline_kernelINS0_14default_configENS1_27scan_by_key_config_selectorIifEEZZNS1_16scan_by_key_implILNS1_25lookback_scan_determinismE0ELb1ES3_N6thrust23THRUST_200600_302600_NS6detail15normal_iteratorINS9_10device_ptrIiEEEENSB_INSC_IjEEEESE_fNS9_4plusIvEENS9_8equal_toIvEEfEE10hipError_tPvRmT2_T3_T4_T5_mT6_T7_P12ihipStream_tbENKUlT_T0_E_clISt17integral_constantIbLb0EES10_IbLb1EEEEDaSW_SX_EUlSW_E_NS1_11comp_targetILNS1_3genE4ELNS1_11target_archE910ELNS1_3gpuE8ELNS1_3repE0EEENS1_30default_config_static_selectorELNS0_4arch9wavefront6targetE0EEEvT1_.has_indirect_call, 0
	.section	.AMDGPU.csdata,"",@progbits
; Kernel info:
; codeLenInByte = 0
; TotalNumSgprs: 0
; NumVgprs: 0
; ScratchSize: 0
; MemoryBound: 0
; FloatMode: 240
; IeeeMode: 1
; LDSByteSize: 0 bytes/workgroup (compile time only)
; SGPRBlocks: 0
; VGPRBlocks: 0
; NumSGPRsForWavesPerEU: 1
; NumVGPRsForWavesPerEU: 1
; Occupancy: 16
; WaveLimiterHint : 0
; COMPUTE_PGM_RSRC2:SCRATCH_EN: 0
; COMPUTE_PGM_RSRC2:USER_SGPR: 6
; COMPUTE_PGM_RSRC2:TRAP_HANDLER: 0
; COMPUTE_PGM_RSRC2:TGID_X_EN: 1
; COMPUTE_PGM_RSRC2:TGID_Y_EN: 0
; COMPUTE_PGM_RSRC2:TGID_Z_EN: 0
; COMPUTE_PGM_RSRC2:TIDIG_COMP_CNT: 0
	.section	.text._ZN7rocprim17ROCPRIM_400000_NS6detail17trampoline_kernelINS0_14default_configENS1_27scan_by_key_config_selectorIifEEZZNS1_16scan_by_key_implILNS1_25lookback_scan_determinismE0ELb1ES3_N6thrust23THRUST_200600_302600_NS6detail15normal_iteratorINS9_10device_ptrIiEEEENSB_INSC_IjEEEESE_fNS9_4plusIvEENS9_8equal_toIvEEfEE10hipError_tPvRmT2_T3_T4_T5_mT6_T7_P12ihipStream_tbENKUlT_T0_E_clISt17integral_constantIbLb0EES10_IbLb1EEEEDaSW_SX_EUlSW_E_NS1_11comp_targetILNS1_3genE3ELNS1_11target_archE908ELNS1_3gpuE7ELNS1_3repE0EEENS1_30default_config_static_selectorELNS0_4arch9wavefront6targetE0EEEvT1_,"axG",@progbits,_ZN7rocprim17ROCPRIM_400000_NS6detail17trampoline_kernelINS0_14default_configENS1_27scan_by_key_config_selectorIifEEZZNS1_16scan_by_key_implILNS1_25lookback_scan_determinismE0ELb1ES3_N6thrust23THRUST_200600_302600_NS6detail15normal_iteratorINS9_10device_ptrIiEEEENSB_INSC_IjEEEESE_fNS9_4plusIvEENS9_8equal_toIvEEfEE10hipError_tPvRmT2_T3_T4_T5_mT6_T7_P12ihipStream_tbENKUlT_T0_E_clISt17integral_constantIbLb0EES10_IbLb1EEEEDaSW_SX_EUlSW_E_NS1_11comp_targetILNS1_3genE3ELNS1_11target_archE908ELNS1_3gpuE7ELNS1_3repE0EEENS1_30default_config_static_selectorELNS0_4arch9wavefront6targetE0EEEvT1_,comdat
	.protected	_ZN7rocprim17ROCPRIM_400000_NS6detail17trampoline_kernelINS0_14default_configENS1_27scan_by_key_config_selectorIifEEZZNS1_16scan_by_key_implILNS1_25lookback_scan_determinismE0ELb1ES3_N6thrust23THRUST_200600_302600_NS6detail15normal_iteratorINS9_10device_ptrIiEEEENSB_INSC_IjEEEESE_fNS9_4plusIvEENS9_8equal_toIvEEfEE10hipError_tPvRmT2_T3_T4_T5_mT6_T7_P12ihipStream_tbENKUlT_T0_E_clISt17integral_constantIbLb0EES10_IbLb1EEEEDaSW_SX_EUlSW_E_NS1_11comp_targetILNS1_3genE3ELNS1_11target_archE908ELNS1_3gpuE7ELNS1_3repE0EEENS1_30default_config_static_selectorELNS0_4arch9wavefront6targetE0EEEvT1_ ; -- Begin function _ZN7rocprim17ROCPRIM_400000_NS6detail17trampoline_kernelINS0_14default_configENS1_27scan_by_key_config_selectorIifEEZZNS1_16scan_by_key_implILNS1_25lookback_scan_determinismE0ELb1ES3_N6thrust23THRUST_200600_302600_NS6detail15normal_iteratorINS9_10device_ptrIiEEEENSB_INSC_IjEEEESE_fNS9_4plusIvEENS9_8equal_toIvEEfEE10hipError_tPvRmT2_T3_T4_T5_mT6_T7_P12ihipStream_tbENKUlT_T0_E_clISt17integral_constantIbLb0EES10_IbLb1EEEEDaSW_SX_EUlSW_E_NS1_11comp_targetILNS1_3genE3ELNS1_11target_archE908ELNS1_3gpuE7ELNS1_3repE0EEENS1_30default_config_static_selectorELNS0_4arch9wavefront6targetE0EEEvT1_
	.globl	_ZN7rocprim17ROCPRIM_400000_NS6detail17trampoline_kernelINS0_14default_configENS1_27scan_by_key_config_selectorIifEEZZNS1_16scan_by_key_implILNS1_25lookback_scan_determinismE0ELb1ES3_N6thrust23THRUST_200600_302600_NS6detail15normal_iteratorINS9_10device_ptrIiEEEENSB_INSC_IjEEEESE_fNS9_4plusIvEENS9_8equal_toIvEEfEE10hipError_tPvRmT2_T3_T4_T5_mT6_T7_P12ihipStream_tbENKUlT_T0_E_clISt17integral_constantIbLb0EES10_IbLb1EEEEDaSW_SX_EUlSW_E_NS1_11comp_targetILNS1_3genE3ELNS1_11target_archE908ELNS1_3gpuE7ELNS1_3repE0EEENS1_30default_config_static_selectorELNS0_4arch9wavefront6targetE0EEEvT1_
	.p2align	8
	.type	_ZN7rocprim17ROCPRIM_400000_NS6detail17trampoline_kernelINS0_14default_configENS1_27scan_by_key_config_selectorIifEEZZNS1_16scan_by_key_implILNS1_25lookback_scan_determinismE0ELb1ES3_N6thrust23THRUST_200600_302600_NS6detail15normal_iteratorINS9_10device_ptrIiEEEENSB_INSC_IjEEEESE_fNS9_4plusIvEENS9_8equal_toIvEEfEE10hipError_tPvRmT2_T3_T4_T5_mT6_T7_P12ihipStream_tbENKUlT_T0_E_clISt17integral_constantIbLb0EES10_IbLb1EEEEDaSW_SX_EUlSW_E_NS1_11comp_targetILNS1_3genE3ELNS1_11target_archE908ELNS1_3gpuE7ELNS1_3repE0EEENS1_30default_config_static_selectorELNS0_4arch9wavefront6targetE0EEEvT1_,@function
_ZN7rocprim17ROCPRIM_400000_NS6detail17trampoline_kernelINS0_14default_configENS1_27scan_by_key_config_selectorIifEEZZNS1_16scan_by_key_implILNS1_25lookback_scan_determinismE0ELb1ES3_N6thrust23THRUST_200600_302600_NS6detail15normal_iteratorINS9_10device_ptrIiEEEENSB_INSC_IjEEEESE_fNS9_4plusIvEENS9_8equal_toIvEEfEE10hipError_tPvRmT2_T3_T4_T5_mT6_T7_P12ihipStream_tbENKUlT_T0_E_clISt17integral_constantIbLb0EES10_IbLb1EEEEDaSW_SX_EUlSW_E_NS1_11comp_targetILNS1_3genE3ELNS1_11target_archE908ELNS1_3gpuE7ELNS1_3repE0EEENS1_30default_config_static_selectorELNS0_4arch9wavefront6targetE0EEEvT1_: ; @_ZN7rocprim17ROCPRIM_400000_NS6detail17trampoline_kernelINS0_14default_configENS1_27scan_by_key_config_selectorIifEEZZNS1_16scan_by_key_implILNS1_25lookback_scan_determinismE0ELb1ES3_N6thrust23THRUST_200600_302600_NS6detail15normal_iteratorINS9_10device_ptrIiEEEENSB_INSC_IjEEEESE_fNS9_4plusIvEENS9_8equal_toIvEEfEE10hipError_tPvRmT2_T3_T4_T5_mT6_T7_P12ihipStream_tbENKUlT_T0_E_clISt17integral_constantIbLb0EES10_IbLb1EEEEDaSW_SX_EUlSW_E_NS1_11comp_targetILNS1_3genE3ELNS1_11target_archE908ELNS1_3gpuE7ELNS1_3repE0EEENS1_30default_config_static_selectorELNS0_4arch9wavefront6targetE0EEEvT1_
; %bb.0:
	.section	.rodata,"a",@progbits
	.p2align	6, 0x0
	.amdhsa_kernel _ZN7rocprim17ROCPRIM_400000_NS6detail17trampoline_kernelINS0_14default_configENS1_27scan_by_key_config_selectorIifEEZZNS1_16scan_by_key_implILNS1_25lookback_scan_determinismE0ELb1ES3_N6thrust23THRUST_200600_302600_NS6detail15normal_iteratorINS9_10device_ptrIiEEEENSB_INSC_IjEEEESE_fNS9_4plusIvEENS9_8equal_toIvEEfEE10hipError_tPvRmT2_T3_T4_T5_mT6_T7_P12ihipStream_tbENKUlT_T0_E_clISt17integral_constantIbLb0EES10_IbLb1EEEEDaSW_SX_EUlSW_E_NS1_11comp_targetILNS1_3genE3ELNS1_11target_archE908ELNS1_3gpuE7ELNS1_3repE0EEENS1_30default_config_static_selectorELNS0_4arch9wavefront6targetE0EEEvT1_
		.amdhsa_group_segment_fixed_size 0
		.amdhsa_private_segment_fixed_size 0
		.amdhsa_kernarg_size 112
		.amdhsa_user_sgpr_count 6
		.amdhsa_user_sgpr_private_segment_buffer 1
		.amdhsa_user_sgpr_dispatch_ptr 0
		.amdhsa_user_sgpr_queue_ptr 0
		.amdhsa_user_sgpr_kernarg_segment_ptr 1
		.amdhsa_user_sgpr_dispatch_id 0
		.amdhsa_user_sgpr_flat_scratch_init 0
		.amdhsa_user_sgpr_private_segment_size 0
		.amdhsa_wavefront_size32 1
		.amdhsa_uses_dynamic_stack 0
		.amdhsa_system_sgpr_private_segment_wavefront_offset 0
		.amdhsa_system_sgpr_workgroup_id_x 1
		.amdhsa_system_sgpr_workgroup_id_y 0
		.amdhsa_system_sgpr_workgroup_id_z 0
		.amdhsa_system_sgpr_workgroup_info 0
		.amdhsa_system_vgpr_workitem_id 0
		.amdhsa_next_free_vgpr 1
		.amdhsa_next_free_sgpr 1
		.amdhsa_reserve_vcc 0
		.amdhsa_reserve_flat_scratch 0
		.amdhsa_float_round_mode_32 0
		.amdhsa_float_round_mode_16_64 0
		.amdhsa_float_denorm_mode_32 3
		.amdhsa_float_denorm_mode_16_64 3
		.amdhsa_dx10_clamp 1
		.amdhsa_ieee_mode 1
		.amdhsa_fp16_overflow 0
		.amdhsa_workgroup_processor_mode 1
		.amdhsa_memory_ordered 1
		.amdhsa_forward_progress 1
		.amdhsa_shared_vgpr_count 0
		.amdhsa_exception_fp_ieee_invalid_op 0
		.amdhsa_exception_fp_denorm_src 0
		.amdhsa_exception_fp_ieee_div_zero 0
		.amdhsa_exception_fp_ieee_overflow 0
		.amdhsa_exception_fp_ieee_underflow 0
		.amdhsa_exception_fp_ieee_inexact 0
		.amdhsa_exception_int_div_zero 0
	.end_amdhsa_kernel
	.section	.text._ZN7rocprim17ROCPRIM_400000_NS6detail17trampoline_kernelINS0_14default_configENS1_27scan_by_key_config_selectorIifEEZZNS1_16scan_by_key_implILNS1_25lookback_scan_determinismE0ELb1ES3_N6thrust23THRUST_200600_302600_NS6detail15normal_iteratorINS9_10device_ptrIiEEEENSB_INSC_IjEEEESE_fNS9_4plusIvEENS9_8equal_toIvEEfEE10hipError_tPvRmT2_T3_T4_T5_mT6_T7_P12ihipStream_tbENKUlT_T0_E_clISt17integral_constantIbLb0EES10_IbLb1EEEEDaSW_SX_EUlSW_E_NS1_11comp_targetILNS1_3genE3ELNS1_11target_archE908ELNS1_3gpuE7ELNS1_3repE0EEENS1_30default_config_static_selectorELNS0_4arch9wavefront6targetE0EEEvT1_,"axG",@progbits,_ZN7rocprim17ROCPRIM_400000_NS6detail17trampoline_kernelINS0_14default_configENS1_27scan_by_key_config_selectorIifEEZZNS1_16scan_by_key_implILNS1_25lookback_scan_determinismE0ELb1ES3_N6thrust23THRUST_200600_302600_NS6detail15normal_iteratorINS9_10device_ptrIiEEEENSB_INSC_IjEEEESE_fNS9_4plusIvEENS9_8equal_toIvEEfEE10hipError_tPvRmT2_T3_T4_T5_mT6_T7_P12ihipStream_tbENKUlT_T0_E_clISt17integral_constantIbLb0EES10_IbLb1EEEEDaSW_SX_EUlSW_E_NS1_11comp_targetILNS1_3genE3ELNS1_11target_archE908ELNS1_3gpuE7ELNS1_3repE0EEENS1_30default_config_static_selectorELNS0_4arch9wavefront6targetE0EEEvT1_,comdat
.Lfunc_end1819:
	.size	_ZN7rocprim17ROCPRIM_400000_NS6detail17trampoline_kernelINS0_14default_configENS1_27scan_by_key_config_selectorIifEEZZNS1_16scan_by_key_implILNS1_25lookback_scan_determinismE0ELb1ES3_N6thrust23THRUST_200600_302600_NS6detail15normal_iteratorINS9_10device_ptrIiEEEENSB_INSC_IjEEEESE_fNS9_4plusIvEENS9_8equal_toIvEEfEE10hipError_tPvRmT2_T3_T4_T5_mT6_T7_P12ihipStream_tbENKUlT_T0_E_clISt17integral_constantIbLb0EES10_IbLb1EEEEDaSW_SX_EUlSW_E_NS1_11comp_targetILNS1_3genE3ELNS1_11target_archE908ELNS1_3gpuE7ELNS1_3repE0EEENS1_30default_config_static_selectorELNS0_4arch9wavefront6targetE0EEEvT1_, .Lfunc_end1819-_ZN7rocprim17ROCPRIM_400000_NS6detail17trampoline_kernelINS0_14default_configENS1_27scan_by_key_config_selectorIifEEZZNS1_16scan_by_key_implILNS1_25lookback_scan_determinismE0ELb1ES3_N6thrust23THRUST_200600_302600_NS6detail15normal_iteratorINS9_10device_ptrIiEEEENSB_INSC_IjEEEESE_fNS9_4plusIvEENS9_8equal_toIvEEfEE10hipError_tPvRmT2_T3_T4_T5_mT6_T7_P12ihipStream_tbENKUlT_T0_E_clISt17integral_constantIbLb0EES10_IbLb1EEEEDaSW_SX_EUlSW_E_NS1_11comp_targetILNS1_3genE3ELNS1_11target_archE908ELNS1_3gpuE7ELNS1_3repE0EEENS1_30default_config_static_selectorELNS0_4arch9wavefront6targetE0EEEvT1_
                                        ; -- End function
	.set _ZN7rocprim17ROCPRIM_400000_NS6detail17trampoline_kernelINS0_14default_configENS1_27scan_by_key_config_selectorIifEEZZNS1_16scan_by_key_implILNS1_25lookback_scan_determinismE0ELb1ES3_N6thrust23THRUST_200600_302600_NS6detail15normal_iteratorINS9_10device_ptrIiEEEENSB_INSC_IjEEEESE_fNS9_4plusIvEENS9_8equal_toIvEEfEE10hipError_tPvRmT2_T3_T4_T5_mT6_T7_P12ihipStream_tbENKUlT_T0_E_clISt17integral_constantIbLb0EES10_IbLb1EEEEDaSW_SX_EUlSW_E_NS1_11comp_targetILNS1_3genE3ELNS1_11target_archE908ELNS1_3gpuE7ELNS1_3repE0EEENS1_30default_config_static_selectorELNS0_4arch9wavefront6targetE0EEEvT1_.num_vgpr, 0
	.set _ZN7rocprim17ROCPRIM_400000_NS6detail17trampoline_kernelINS0_14default_configENS1_27scan_by_key_config_selectorIifEEZZNS1_16scan_by_key_implILNS1_25lookback_scan_determinismE0ELb1ES3_N6thrust23THRUST_200600_302600_NS6detail15normal_iteratorINS9_10device_ptrIiEEEENSB_INSC_IjEEEESE_fNS9_4plusIvEENS9_8equal_toIvEEfEE10hipError_tPvRmT2_T3_T4_T5_mT6_T7_P12ihipStream_tbENKUlT_T0_E_clISt17integral_constantIbLb0EES10_IbLb1EEEEDaSW_SX_EUlSW_E_NS1_11comp_targetILNS1_3genE3ELNS1_11target_archE908ELNS1_3gpuE7ELNS1_3repE0EEENS1_30default_config_static_selectorELNS0_4arch9wavefront6targetE0EEEvT1_.num_agpr, 0
	.set _ZN7rocprim17ROCPRIM_400000_NS6detail17trampoline_kernelINS0_14default_configENS1_27scan_by_key_config_selectorIifEEZZNS1_16scan_by_key_implILNS1_25lookback_scan_determinismE0ELb1ES3_N6thrust23THRUST_200600_302600_NS6detail15normal_iteratorINS9_10device_ptrIiEEEENSB_INSC_IjEEEESE_fNS9_4plusIvEENS9_8equal_toIvEEfEE10hipError_tPvRmT2_T3_T4_T5_mT6_T7_P12ihipStream_tbENKUlT_T0_E_clISt17integral_constantIbLb0EES10_IbLb1EEEEDaSW_SX_EUlSW_E_NS1_11comp_targetILNS1_3genE3ELNS1_11target_archE908ELNS1_3gpuE7ELNS1_3repE0EEENS1_30default_config_static_selectorELNS0_4arch9wavefront6targetE0EEEvT1_.numbered_sgpr, 0
	.set _ZN7rocprim17ROCPRIM_400000_NS6detail17trampoline_kernelINS0_14default_configENS1_27scan_by_key_config_selectorIifEEZZNS1_16scan_by_key_implILNS1_25lookback_scan_determinismE0ELb1ES3_N6thrust23THRUST_200600_302600_NS6detail15normal_iteratorINS9_10device_ptrIiEEEENSB_INSC_IjEEEESE_fNS9_4plusIvEENS9_8equal_toIvEEfEE10hipError_tPvRmT2_T3_T4_T5_mT6_T7_P12ihipStream_tbENKUlT_T0_E_clISt17integral_constantIbLb0EES10_IbLb1EEEEDaSW_SX_EUlSW_E_NS1_11comp_targetILNS1_3genE3ELNS1_11target_archE908ELNS1_3gpuE7ELNS1_3repE0EEENS1_30default_config_static_selectorELNS0_4arch9wavefront6targetE0EEEvT1_.num_named_barrier, 0
	.set _ZN7rocprim17ROCPRIM_400000_NS6detail17trampoline_kernelINS0_14default_configENS1_27scan_by_key_config_selectorIifEEZZNS1_16scan_by_key_implILNS1_25lookback_scan_determinismE0ELb1ES3_N6thrust23THRUST_200600_302600_NS6detail15normal_iteratorINS9_10device_ptrIiEEEENSB_INSC_IjEEEESE_fNS9_4plusIvEENS9_8equal_toIvEEfEE10hipError_tPvRmT2_T3_T4_T5_mT6_T7_P12ihipStream_tbENKUlT_T0_E_clISt17integral_constantIbLb0EES10_IbLb1EEEEDaSW_SX_EUlSW_E_NS1_11comp_targetILNS1_3genE3ELNS1_11target_archE908ELNS1_3gpuE7ELNS1_3repE0EEENS1_30default_config_static_selectorELNS0_4arch9wavefront6targetE0EEEvT1_.private_seg_size, 0
	.set _ZN7rocprim17ROCPRIM_400000_NS6detail17trampoline_kernelINS0_14default_configENS1_27scan_by_key_config_selectorIifEEZZNS1_16scan_by_key_implILNS1_25lookback_scan_determinismE0ELb1ES3_N6thrust23THRUST_200600_302600_NS6detail15normal_iteratorINS9_10device_ptrIiEEEENSB_INSC_IjEEEESE_fNS9_4plusIvEENS9_8equal_toIvEEfEE10hipError_tPvRmT2_T3_T4_T5_mT6_T7_P12ihipStream_tbENKUlT_T0_E_clISt17integral_constantIbLb0EES10_IbLb1EEEEDaSW_SX_EUlSW_E_NS1_11comp_targetILNS1_3genE3ELNS1_11target_archE908ELNS1_3gpuE7ELNS1_3repE0EEENS1_30default_config_static_selectorELNS0_4arch9wavefront6targetE0EEEvT1_.uses_vcc, 0
	.set _ZN7rocprim17ROCPRIM_400000_NS6detail17trampoline_kernelINS0_14default_configENS1_27scan_by_key_config_selectorIifEEZZNS1_16scan_by_key_implILNS1_25lookback_scan_determinismE0ELb1ES3_N6thrust23THRUST_200600_302600_NS6detail15normal_iteratorINS9_10device_ptrIiEEEENSB_INSC_IjEEEESE_fNS9_4plusIvEENS9_8equal_toIvEEfEE10hipError_tPvRmT2_T3_T4_T5_mT6_T7_P12ihipStream_tbENKUlT_T0_E_clISt17integral_constantIbLb0EES10_IbLb1EEEEDaSW_SX_EUlSW_E_NS1_11comp_targetILNS1_3genE3ELNS1_11target_archE908ELNS1_3gpuE7ELNS1_3repE0EEENS1_30default_config_static_selectorELNS0_4arch9wavefront6targetE0EEEvT1_.uses_flat_scratch, 0
	.set _ZN7rocprim17ROCPRIM_400000_NS6detail17trampoline_kernelINS0_14default_configENS1_27scan_by_key_config_selectorIifEEZZNS1_16scan_by_key_implILNS1_25lookback_scan_determinismE0ELb1ES3_N6thrust23THRUST_200600_302600_NS6detail15normal_iteratorINS9_10device_ptrIiEEEENSB_INSC_IjEEEESE_fNS9_4plusIvEENS9_8equal_toIvEEfEE10hipError_tPvRmT2_T3_T4_T5_mT6_T7_P12ihipStream_tbENKUlT_T0_E_clISt17integral_constantIbLb0EES10_IbLb1EEEEDaSW_SX_EUlSW_E_NS1_11comp_targetILNS1_3genE3ELNS1_11target_archE908ELNS1_3gpuE7ELNS1_3repE0EEENS1_30default_config_static_selectorELNS0_4arch9wavefront6targetE0EEEvT1_.has_dyn_sized_stack, 0
	.set _ZN7rocprim17ROCPRIM_400000_NS6detail17trampoline_kernelINS0_14default_configENS1_27scan_by_key_config_selectorIifEEZZNS1_16scan_by_key_implILNS1_25lookback_scan_determinismE0ELb1ES3_N6thrust23THRUST_200600_302600_NS6detail15normal_iteratorINS9_10device_ptrIiEEEENSB_INSC_IjEEEESE_fNS9_4plusIvEENS9_8equal_toIvEEfEE10hipError_tPvRmT2_T3_T4_T5_mT6_T7_P12ihipStream_tbENKUlT_T0_E_clISt17integral_constantIbLb0EES10_IbLb1EEEEDaSW_SX_EUlSW_E_NS1_11comp_targetILNS1_3genE3ELNS1_11target_archE908ELNS1_3gpuE7ELNS1_3repE0EEENS1_30default_config_static_selectorELNS0_4arch9wavefront6targetE0EEEvT1_.has_recursion, 0
	.set _ZN7rocprim17ROCPRIM_400000_NS6detail17trampoline_kernelINS0_14default_configENS1_27scan_by_key_config_selectorIifEEZZNS1_16scan_by_key_implILNS1_25lookback_scan_determinismE0ELb1ES3_N6thrust23THRUST_200600_302600_NS6detail15normal_iteratorINS9_10device_ptrIiEEEENSB_INSC_IjEEEESE_fNS9_4plusIvEENS9_8equal_toIvEEfEE10hipError_tPvRmT2_T3_T4_T5_mT6_T7_P12ihipStream_tbENKUlT_T0_E_clISt17integral_constantIbLb0EES10_IbLb1EEEEDaSW_SX_EUlSW_E_NS1_11comp_targetILNS1_3genE3ELNS1_11target_archE908ELNS1_3gpuE7ELNS1_3repE0EEENS1_30default_config_static_selectorELNS0_4arch9wavefront6targetE0EEEvT1_.has_indirect_call, 0
	.section	.AMDGPU.csdata,"",@progbits
; Kernel info:
; codeLenInByte = 0
; TotalNumSgprs: 0
; NumVgprs: 0
; ScratchSize: 0
; MemoryBound: 0
; FloatMode: 240
; IeeeMode: 1
; LDSByteSize: 0 bytes/workgroup (compile time only)
; SGPRBlocks: 0
; VGPRBlocks: 0
; NumSGPRsForWavesPerEU: 1
; NumVGPRsForWavesPerEU: 1
; Occupancy: 16
; WaveLimiterHint : 0
; COMPUTE_PGM_RSRC2:SCRATCH_EN: 0
; COMPUTE_PGM_RSRC2:USER_SGPR: 6
; COMPUTE_PGM_RSRC2:TRAP_HANDLER: 0
; COMPUTE_PGM_RSRC2:TGID_X_EN: 1
; COMPUTE_PGM_RSRC2:TGID_Y_EN: 0
; COMPUTE_PGM_RSRC2:TGID_Z_EN: 0
; COMPUTE_PGM_RSRC2:TIDIG_COMP_CNT: 0
	.section	.text._ZN7rocprim17ROCPRIM_400000_NS6detail17trampoline_kernelINS0_14default_configENS1_27scan_by_key_config_selectorIifEEZZNS1_16scan_by_key_implILNS1_25lookback_scan_determinismE0ELb1ES3_N6thrust23THRUST_200600_302600_NS6detail15normal_iteratorINS9_10device_ptrIiEEEENSB_INSC_IjEEEESE_fNS9_4plusIvEENS9_8equal_toIvEEfEE10hipError_tPvRmT2_T3_T4_T5_mT6_T7_P12ihipStream_tbENKUlT_T0_E_clISt17integral_constantIbLb0EES10_IbLb1EEEEDaSW_SX_EUlSW_E_NS1_11comp_targetILNS1_3genE2ELNS1_11target_archE906ELNS1_3gpuE6ELNS1_3repE0EEENS1_30default_config_static_selectorELNS0_4arch9wavefront6targetE0EEEvT1_,"axG",@progbits,_ZN7rocprim17ROCPRIM_400000_NS6detail17trampoline_kernelINS0_14default_configENS1_27scan_by_key_config_selectorIifEEZZNS1_16scan_by_key_implILNS1_25lookback_scan_determinismE0ELb1ES3_N6thrust23THRUST_200600_302600_NS6detail15normal_iteratorINS9_10device_ptrIiEEEENSB_INSC_IjEEEESE_fNS9_4plusIvEENS9_8equal_toIvEEfEE10hipError_tPvRmT2_T3_T4_T5_mT6_T7_P12ihipStream_tbENKUlT_T0_E_clISt17integral_constantIbLb0EES10_IbLb1EEEEDaSW_SX_EUlSW_E_NS1_11comp_targetILNS1_3genE2ELNS1_11target_archE906ELNS1_3gpuE6ELNS1_3repE0EEENS1_30default_config_static_selectorELNS0_4arch9wavefront6targetE0EEEvT1_,comdat
	.protected	_ZN7rocprim17ROCPRIM_400000_NS6detail17trampoline_kernelINS0_14default_configENS1_27scan_by_key_config_selectorIifEEZZNS1_16scan_by_key_implILNS1_25lookback_scan_determinismE0ELb1ES3_N6thrust23THRUST_200600_302600_NS6detail15normal_iteratorINS9_10device_ptrIiEEEENSB_INSC_IjEEEESE_fNS9_4plusIvEENS9_8equal_toIvEEfEE10hipError_tPvRmT2_T3_T4_T5_mT6_T7_P12ihipStream_tbENKUlT_T0_E_clISt17integral_constantIbLb0EES10_IbLb1EEEEDaSW_SX_EUlSW_E_NS1_11comp_targetILNS1_3genE2ELNS1_11target_archE906ELNS1_3gpuE6ELNS1_3repE0EEENS1_30default_config_static_selectorELNS0_4arch9wavefront6targetE0EEEvT1_ ; -- Begin function _ZN7rocprim17ROCPRIM_400000_NS6detail17trampoline_kernelINS0_14default_configENS1_27scan_by_key_config_selectorIifEEZZNS1_16scan_by_key_implILNS1_25lookback_scan_determinismE0ELb1ES3_N6thrust23THRUST_200600_302600_NS6detail15normal_iteratorINS9_10device_ptrIiEEEENSB_INSC_IjEEEESE_fNS9_4plusIvEENS9_8equal_toIvEEfEE10hipError_tPvRmT2_T3_T4_T5_mT6_T7_P12ihipStream_tbENKUlT_T0_E_clISt17integral_constantIbLb0EES10_IbLb1EEEEDaSW_SX_EUlSW_E_NS1_11comp_targetILNS1_3genE2ELNS1_11target_archE906ELNS1_3gpuE6ELNS1_3repE0EEENS1_30default_config_static_selectorELNS0_4arch9wavefront6targetE0EEEvT1_
	.globl	_ZN7rocprim17ROCPRIM_400000_NS6detail17trampoline_kernelINS0_14default_configENS1_27scan_by_key_config_selectorIifEEZZNS1_16scan_by_key_implILNS1_25lookback_scan_determinismE0ELb1ES3_N6thrust23THRUST_200600_302600_NS6detail15normal_iteratorINS9_10device_ptrIiEEEENSB_INSC_IjEEEESE_fNS9_4plusIvEENS9_8equal_toIvEEfEE10hipError_tPvRmT2_T3_T4_T5_mT6_T7_P12ihipStream_tbENKUlT_T0_E_clISt17integral_constantIbLb0EES10_IbLb1EEEEDaSW_SX_EUlSW_E_NS1_11comp_targetILNS1_3genE2ELNS1_11target_archE906ELNS1_3gpuE6ELNS1_3repE0EEENS1_30default_config_static_selectorELNS0_4arch9wavefront6targetE0EEEvT1_
	.p2align	8
	.type	_ZN7rocprim17ROCPRIM_400000_NS6detail17trampoline_kernelINS0_14default_configENS1_27scan_by_key_config_selectorIifEEZZNS1_16scan_by_key_implILNS1_25lookback_scan_determinismE0ELb1ES3_N6thrust23THRUST_200600_302600_NS6detail15normal_iteratorINS9_10device_ptrIiEEEENSB_INSC_IjEEEESE_fNS9_4plusIvEENS9_8equal_toIvEEfEE10hipError_tPvRmT2_T3_T4_T5_mT6_T7_P12ihipStream_tbENKUlT_T0_E_clISt17integral_constantIbLb0EES10_IbLb1EEEEDaSW_SX_EUlSW_E_NS1_11comp_targetILNS1_3genE2ELNS1_11target_archE906ELNS1_3gpuE6ELNS1_3repE0EEENS1_30default_config_static_selectorELNS0_4arch9wavefront6targetE0EEEvT1_,@function
_ZN7rocprim17ROCPRIM_400000_NS6detail17trampoline_kernelINS0_14default_configENS1_27scan_by_key_config_selectorIifEEZZNS1_16scan_by_key_implILNS1_25lookback_scan_determinismE0ELb1ES3_N6thrust23THRUST_200600_302600_NS6detail15normal_iteratorINS9_10device_ptrIiEEEENSB_INSC_IjEEEESE_fNS9_4plusIvEENS9_8equal_toIvEEfEE10hipError_tPvRmT2_T3_T4_T5_mT6_T7_P12ihipStream_tbENKUlT_T0_E_clISt17integral_constantIbLb0EES10_IbLb1EEEEDaSW_SX_EUlSW_E_NS1_11comp_targetILNS1_3genE2ELNS1_11target_archE906ELNS1_3gpuE6ELNS1_3repE0EEENS1_30default_config_static_selectorELNS0_4arch9wavefront6targetE0EEEvT1_: ; @_ZN7rocprim17ROCPRIM_400000_NS6detail17trampoline_kernelINS0_14default_configENS1_27scan_by_key_config_selectorIifEEZZNS1_16scan_by_key_implILNS1_25lookback_scan_determinismE0ELb1ES3_N6thrust23THRUST_200600_302600_NS6detail15normal_iteratorINS9_10device_ptrIiEEEENSB_INSC_IjEEEESE_fNS9_4plusIvEENS9_8equal_toIvEEfEE10hipError_tPvRmT2_T3_T4_T5_mT6_T7_P12ihipStream_tbENKUlT_T0_E_clISt17integral_constantIbLb0EES10_IbLb1EEEEDaSW_SX_EUlSW_E_NS1_11comp_targetILNS1_3genE2ELNS1_11target_archE906ELNS1_3gpuE6ELNS1_3repE0EEENS1_30default_config_static_selectorELNS0_4arch9wavefront6targetE0EEEvT1_
; %bb.0:
	.section	.rodata,"a",@progbits
	.p2align	6, 0x0
	.amdhsa_kernel _ZN7rocprim17ROCPRIM_400000_NS6detail17trampoline_kernelINS0_14default_configENS1_27scan_by_key_config_selectorIifEEZZNS1_16scan_by_key_implILNS1_25lookback_scan_determinismE0ELb1ES3_N6thrust23THRUST_200600_302600_NS6detail15normal_iteratorINS9_10device_ptrIiEEEENSB_INSC_IjEEEESE_fNS9_4plusIvEENS9_8equal_toIvEEfEE10hipError_tPvRmT2_T3_T4_T5_mT6_T7_P12ihipStream_tbENKUlT_T0_E_clISt17integral_constantIbLb0EES10_IbLb1EEEEDaSW_SX_EUlSW_E_NS1_11comp_targetILNS1_3genE2ELNS1_11target_archE906ELNS1_3gpuE6ELNS1_3repE0EEENS1_30default_config_static_selectorELNS0_4arch9wavefront6targetE0EEEvT1_
		.amdhsa_group_segment_fixed_size 0
		.amdhsa_private_segment_fixed_size 0
		.amdhsa_kernarg_size 112
		.amdhsa_user_sgpr_count 6
		.amdhsa_user_sgpr_private_segment_buffer 1
		.amdhsa_user_sgpr_dispatch_ptr 0
		.amdhsa_user_sgpr_queue_ptr 0
		.amdhsa_user_sgpr_kernarg_segment_ptr 1
		.amdhsa_user_sgpr_dispatch_id 0
		.amdhsa_user_sgpr_flat_scratch_init 0
		.amdhsa_user_sgpr_private_segment_size 0
		.amdhsa_wavefront_size32 1
		.amdhsa_uses_dynamic_stack 0
		.amdhsa_system_sgpr_private_segment_wavefront_offset 0
		.amdhsa_system_sgpr_workgroup_id_x 1
		.amdhsa_system_sgpr_workgroup_id_y 0
		.amdhsa_system_sgpr_workgroup_id_z 0
		.amdhsa_system_sgpr_workgroup_info 0
		.amdhsa_system_vgpr_workitem_id 0
		.amdhsa_next_free_vgpr 1
		.amdhsa_next_free_sgpr 1
		.amdhsa_reserve_vcc 0
		.amdhsa_reserve_flat_scratch 0
		.amdhsa_float_round_mode_32 0
		.amdhsa_float_round_mode_16_64 0
		.amdhsa_float_denorm_mode_32 3
		.amdhsa_float_denorm_mode_16_64 3
		.amdhsa_dx10_clamp 1
		.amdhsa_ieee_mode 1
		.amdhsa_fp16_overflow 0
		.amdhsa_workgroup_processor_mode 1
		.amdhsa_memory_ordered 1
		.amdhsa_forward_progress 1
		.amdhsa_shared_vgpr_count 0
		.amdhsa_exception_fp_ieee_invalid_op 0
		.amdhsa_exception_fp_denorm_src 0
		.amdhsa_exception_fp_ieee_div_zero 0
		.amdhsa_exception_fp_ieee_overflow 0
		.amdhsa_exception_fp_ieee_underflow 0
		.amdhsa_exception_fp_ieee_inexact 0
		.amdhsa_exception_int_div_zero 0
	.end_amdhsa_kernel
	.section	.text._ZN7rocprim17ROCPRIM_400000_NS6detail17trampoline_kernelINS0_14default_configENS1_27scan_by_key_config_selectorIifEEZZNS1_16scan_by_key_implILNS1_25lookback_scan_determinismE0ELb1ES3_N6thrust23THRUST_200600_302600_NS6detail15normal_iteratorINS9_10device_ptrIiEEEENSB_INSC_IjEEEESE_fNS9_4plusIvEENS9_8equal_toIvEEfEE10hipError_tPvRmT2_T3_T4_T5_mT6_T7_P12ihipStream_tbENKUlT_T0_E_clISt17integral_constantIbLb0EES10_IbLb1EEEEDaSW_SX_EUlSW_E_NS1_11comp_targetILNS1_3genE2ELNS1_11target_archE906ELNS1_3gpuE6ELNS1_3repE0EEENS1_30default_config_static_selectorELNS0_4arch9wavefront6targetE0EEEvT1_,"axG",@progbits,_ZN7rocprim17ROCPRIM_400000_NS6detail17trampoline_kernelINS0_14default_configENS1_27scan_by_key_config_selectorIifEEZZNS1_16scan_by_key_implILNS1_25lookback_scan_determinismE0ELb1ES3_N6thrust23THRUST_200600_302600_NS6detail15normal_iteratorINS9_10device_ptrIiEEEENSB_INSC_IjEEEESE_fNS9_4plusIvEENS9_8equal_toIvEEfEE10hipError_tPvRmT2_T3_T4_T5_mT6_T7_P12ihipStream_tbENKUlT_T0_E_clISt17integral_constantIbLb0EES10_IbLb1EEEEDaSW_SX_EUlSW_E_NS1_11comp_targetILNS1_3genE2ELNS1_11target_archE906ELNS1_3gpuE6ELNS1_3repE0EEENS1_30default_config_static_selectorELNS0_4arch9wavefront6targetE0EEEvT1_,comdat
.Lfunc_end1820:
	.size	_ZN7rocprim17ROCPRIM_400000_NS6detail17trampoline_kernelINS0_14default_configENS1_27scan_by_key_config_selectorIifEEZZNS1_16scan_by_key_implILNS1_25lookback_scan_determinismE0ELb1ES3_N6thrust23THRUST_200600_302600_NS6detail15normal_iteratorINS9_10device_ptrIiEEEENSB_INSC_IjEEEESE_fNS9_4plusIvEENS9_8equal_toIvEEfEE10hipError_tPvRmT2_T3_T4_T5_mT6_T7_P12ihipStream_tbENKUlT_T0_E_clISt17integral_constantIbLb0EES10_IbLb1EEEEDaSW_SX_EUlSW_E_NS1_11comp_targetILNS1_3genE2ELNS1_11target_archE906ELNS1_3gpuE6ELNS1_3repE0EEENS1_30default_config_static_selectorELNS0_4arch9wavefront6targetE0EEEvT1_, .Lfunc_end1820-_ZN7rocprim17ROCPRIM_400000_NS6detail17trampoline_kernelINS0_14default_configENS1_27scan_by_key_config_selectorIifEEZZNS1_16scan_by_key_implILNS1_25lookback_scan_determinismE0ELb1ES3_N6thrust23THRUST_200600_302600_NS6detail15normal_iteratorINS9_10device_ptrIiEEEENSB_INSC_IjEEEESE_fNS9_4plusIvEENS9_8equal_toIvEEfEE10hipError_tPvRmT2_T3_T4_T5_mT6_T7_P12ihipStream_tbENKUlT_T0_E_clISt17integral_constantIbLb0EES10_IbLb1EEEEDaSW_SX_EUlSW_E_NS1_11comp_targetILNS1_3genE2ELNS1_11target_archE906ELNS1_3gpuE6ELNS1_3repE0EEENS1_30default_config_static_selectorELNS0_4arch9wavefront6targetE0EEEvT1_
                                        ; -- End function
	.set _ZN7rocprim17ROCPRIM_400000_NS6detail17trampoline_kernelINS0_14default_configENS1_27scan_by_key_config_selectorIifEEZZNS1_16scan_by_key_implILNS1_25lookback_scan_determinismE0ELb1ES3_N6thrust23THRUST_200600_302600_NS6detail15normal_iteratorINS9_10device_ptrIiEEEENSB_INSC_IjEEEESE_fNS9_4plusIvEENS9_8equal_toIvEEfEE10hipError_tPvRmT2_T3_T4_T5_mT6_T7_P12ihipStream_tbENKUlT_T0_E_clISt17integral_constantIbLb0EES10_IbLb1EEEEDaSW_SX_EUlSW_E_NS1_11comp_targetILNS1_3genE2ELNS1_11target_archE906ELNS1_3gpuE6ELNS1_3repE0EEENS1_30default_config_static_selectorELNS0_4arch9wavefront6targetE0EEEvT1_.num_vgpr, 0
	.set _ZN7rocprim17ROCPRIM_400000_NS6detail17trampoline_kernelINS0_14default_configENS1_27scan_by_key_config_selectorIifEEZZNS1_16scan_by_key_implILNS1_25lookback_scan_determinismE0ELb1ES3_N6thrust23THRUST_200600_302600_NS6detail15normal_iteratorINS9_10device_ptrIiEEEENSB_INSC_IjEEEESE_fNS9_4plusIvEENS9_8equal_toIvEEfEE10hipError_tPvRmT2_T3_T4_T5_mT6_T7_P12ihipStream_tbENKUlT_T0_E_clISt17integral_constantIbLb0EES10_IbLb1EEEEDaSW_SX_EUlSW_E_NS1_11comp_targetILNS1_3genE2ELNS1_11target_archE906ELNS1_3gpuE6ELNS1_3repE0EEENS1_30default_config_static_selectorELNS0_4arch9wavefront6targetE0EEEvT1_.num_agpr, 0
	.set _ZN7rocprim17ROCPRIM_400000_NS6detail17trampoline_kernelINS0_14default_configENS1_27scan_by_key_config_selectorIifEEZZNS1_16scan_by_key_implILNS1_25lookback_scan_determinismE0ELb1ES3_N6thrust23THRUST_200600_302600_NS6detail15normal_iteratorINS9_10device_ptrIiEEEENSB_INSC_IjEEEESE_fNS9_4plusIvEENS9_8equal_toIvEEfEE10hipError_tPvRmT2_T3_T4_T5_mT6_T7_P12ihipStream_tbENKUlT_T0_E_clISt17integral_constantIbLb0EES10_IbLb1EEEEDaSW_SX_EUlSW_E_NS1_11comp_targetILNS1_3genE2ELNS1_11target_archE906ELNS1_3gpuE6ELNS1_3repE0EEENS1_30default_config_static_selectorELNS0_4arch9wavefront6targetE0EEEvT1_.numbered_sgpr, 0
	.set _ZN7rocprim17ROCPRIM_400000_NS6detail17trampoline_kernelINS0_14default_configENS1_27scan_by_key_config_selectorIifEEZZNS1_16scan_by_key_implILNS1_25lookback_scan_determinismE0ELb1ES3_N6thrust23THRUST_200600_302600_NS6detail15normal_iteratorINS9_10device_ptrIiEEEENSB_INSC_IjEEEESE_fNS9_4plusIvEENS9_8equal_toIvEEfEE10hipError_tPvRmT2_T3_T4_T5_mT6_T7_P12ihipStream_tbENKUlT_T0_E_clISt17integral_constantIbLb0EES10_IbLb1EEEEDaSW_SX_EUlSW_E_NS1_11comp_targetILNS1_3genE2ELNS1_11target_archE906ELNS1_3gpuE6ELNS1_3repE0EEENS1_30default_config_static_selectorELNS0_4arch9wavefront6targetE0EEEvT1_.num_named_barrier, 0
	.set _ZN7rocprim17ROCPRIM_400000_NS6detail17trampoline_kernelINS0_14default_configENS1_27scan_by_key_config_selectorIifEEZZNS1_16scan_by_key_implILNS1_25lookback_scan_determinismE0ELb1ES3_N6thrust23THRUST_200600_302600_NS6detail15normal_iteratorINS9_10device_ptrIiEEEENSB_INSC_IjEEEESE_fNS9_4plusIvEENS9_8equal_toIvEEfEE10hipError_tPvRmT2_T3_T4_T5_mT6_T7_P12ihipStream_tbENKUlT_T0_E_clISt17integral_constantIbLb0EES10_IbLb1EEEEDaSW_SX_EUlSW_E_NS1_11comp_targetILNS1_3genE2ELNS1_11target_archE906ELNS1_3gpuE6ELNS1_3repE0EEENS1_30default_config_static_selectorELNS0_4arch9wavefront6targetE0EEEvT1_.private_seg_size, 0
	.set _ZN7rocprim17ROCPRIM_400000_NS6detail17trampoline_kernelINS0_14default_configENS1_27scan_by_key_config_selectorIifEEZZNS1_16scan_by_key_implILNS1_25lookback_scan_determinismE0ELb1ES3_N6thrust23THRUST_200600_302600_NS6detail15normal_iteratorINS9_10device_ptrIiEEEENSB_INSC_IjEEEESE_fNS9_4plusIvEENS9_8equal_toIvEEfEE10hipError_tPvRmT2_T3_T4_T5_mT6_T7_P12ihipStream_tbENKUlT_T0_E_clISt17integral_constantIbLb0EES10_IbLb1EEEEDaSW_SX_EUlSW_E_NS1_11comp_targetILNS1_3genE2ELNS1_11target_archE906ELNS1_3gpuE6ELNS1_3repE0EEENS1_30default_config_static_selectorELNS0_4arch9wavefront6targetE0EEEvT1_.uses_vcc, 0
	.set _ZN7rocprim17ROCPRIM_400000_NS6detail17trampoline_kernelINS0_14default_configENS1_27scan_by_key_config_selectorIifEEZZNS1_16scan_by_key_implILNS1_25lookback_scan_determinismE0ELb1ES3_N6thrust23THRUST_200600_302600_NS6detail15normal_iteratorINS9_10device_ptrIiEEEENSB_INSC_IjEEEESE_fNS9_4plusIvEENS9_8equal_toIvEEfEE10hipError_tPvRmT2_T3_T4_T5_mT6_T7_P12ihipStream_tbENKUlT_T0_E_clISt17integral_constantIbLb0EES10_IbLb1EEEEDaSW_SX_EUlSW_E_NS1_11comp_targetILNS1_3genE2ELNS1_11target_archE906ELNS1_3gpuE6ELNS1_3repE0EEENS1_30default_config_static_selectorELNS0_4arch9wavefront6targetE0EEEvT1_.uses_flat_scratch, 0
	.set _ZN7rocprim17ROCPRIM_400000_NS6detail17trampoline_kernelINS0_14default_configENS1_27scan_by_key_config_selectorIifEEZZNS1_16scan_by_key_implILNS1_25lookback_scan_determinismE0ELb1ES3_N6thrust23THRUST_200600_302600_NS6detail15normal_iteratorINS9_10device_ptrIiEEEENSB_INSC_IjEEEESE_fNS9_4plusIvEENS9_8equal_toIvEEfEE10hipError_tPvRmT2_T3_T4_T5_mT6_T7_P12ihipStream_tbENKUlT_T0_E_clISt17integral_constantIbLb0EES10_IbLb1EEEEDaSW_SX_EUlSW_E_NS1_11comp_targetILNS1_3genE2ELNS1_11target_archE906ELNS1_3gpuE6ELNS1_3repE0EEENS1_30default_config_static_selectorELNS0_4arch9wavefront6targetE0EEEvT1_.has_dyn_sized_stack, 0
	.set _ZN7rocprim17ROCPRIM_400000_NS6detail17trampoline_kernelINS0_14default_configENS1_27scan_by_key_config_selectorIifEEZZNS1_16scan_by_key_implILNS1_25lookback_scan_determinismE0ELb1ES3_N6thrust23THRUST_200600_302600_NS6detail15normal_iteratorINS9_10device_ptrIiEEEENSB_INSC_IjEEEESE_fNS9_4plusIvEENS9_8equal_toIvEEfEE10hipError_tPvRmT2_T3_T4_T5_mT6_T7_P12ihipStream_tbENKUlT_T0_E_clISt17integral_constantIbLb0EES10_IbLb1EEEEDaSW_SX_EUlSW_E_NS1_11comp_targetILNS1_3genE2ELNS1_11target_archE906ELNS1_3gpuE6ELNS1_3repE0EEENS1_30default_config_static_selectorELNS0_4arch9wavefront6targetE0EEEvT1_.has_recursion, 0
	.set _ZN7rocprim17ROCPRIM_400000_NS6detail17trampoline_kernelINS0_14default_configENS1_27scan_by_key_config_selectorIifEEZZNS1_16scan_by_key_implILNS1_25lookback_scan_determinismE0ELb1ES3_N6thrust23THRUST_200600_302600_NS6detail15normal_iteratorINS9_10device_ptrIiEEEENSB_INSC_IjEEEESE_fNS9_4plusIvEENS9_8equal_toIvEEfEE10hipError_tPvRmT2_T3_T4_T5_mT6_T7_P12ihipStream_tbENKUlT_T0_E_clISt17integral_constantIbLb0EES10_IbLb1EEEEDaSW_SX_EUlSW_E_NS1_11comp_targetILNS1_3genE2ELNS1_11target_archE906ELNS1_3gpuE6ELNS1_3repE0EEENS1_30default_config_static_selectorELNS0_4arch9wavefront6targetE0EEEvT1_.has_indirect_call, 0
	.section	.AMDGPU.csdata,"",@progbits
; Kernel info:
; codeLenInByte = 0
; TotalNumSgprs: 0
; NumVgprs: 0
; ScratchSize: 0
; MemoryBound: 0
; FloatMode: 240
; IeeeMode: 1
; LDSByteSize: 0 bytes/workgroup (compile time only)
; SGPRBlocks: 0
; VGPRBlocks: 0
; NumSGPRsForWavesPerEU: 1
; NumVGPRsForWavesPerEU: 1
; Occupancy: 16
; WaveLimiterHint : 0
; COMPUTE_PGM_RSRC2:SCRATCH_EN: 0
; COMPUTE_PGM_RSRC2:USER_SGPR: 6
; COMPUTE_PGM_RSRC2:TRAP_HANDLER: 0
; COMPUTE_PGM_RSRC2:TGID_X_EN: 1
; COMPUTE_PGM_RSRC2:TGID_Y_EN: 0
; COMPUTE_PGM_RSRC2:TGID_Z_EN: 0
; COMPUTE_PGM_RSRC2:TIDIG_COMP_CNT: 0
	.section	.text._ZN7rocprim17ROCPRIM_400000_NS6detail17trampoline_kernelINS0_14default_configENS1_27scan_by_key_config_selectorIifEEZZNS1_16scan_by_key_implILNS1_25lookback_scan_determinismE0ELb1ES3_N6thrust23THRUST_200600_302600_NS6detail15normal_iteratorINS9_10device_ptrIiEEEENSB_INSC_IjEEEESE_fNS9_4plusIvEENS9_8equal_toIvEEfEE10hipError_tPvRmT2_T3_T4_T5_mT6_T7_P12ihipStream_tbENKUlT_T0_E_clISt17integral_constantIbLb0EES10_IbLb1EEEEDaSW_SX_EUlSW_E_NS1_11comp_targetILNS1_3genE10ELNS1_11target_archE1200ELNS1_3gpuE4ELNS1_3repE0EEENS1_30default_config_static_selectorELNS0_4arch9wavefront6targetE0EEEvT1_,"axG",@progbits,_ZN7rocprim17ROCPRIM_400000_NS6detail17trampoline_kernelINS0_14default_configENS1_27scan_by_key_config_selectorIifEEZZNS1_16scan_by_key_implILNS1_25lookback_scan_determinismE0ELb1ES3_N6thrust23THRUST_200600_302600_NS6detail15normal_iteratorINS9_10device_ptrIiEEEENSB_INSC_IjEEEESE_fNS9_4plusIvEENS9_8equal_toIvEEfEE10hipError_tPvRmT2_T3_T4_T5_mT6_T7_P12ihipStream_tbENKUlT_T0_E_clISt17integral_constantIbLb0EES10_IbLb1EEEEDaSW_SX_EUlSW_E_NS1_11comp_targetILNS1_3genE10ELNS1_11target_archE1200ELNS1_3gpuE4ELNS1_3repE0EEENS1_30default_config_static_selectorELNS0_4arch9wavefront6targetE0EEEvT1_,comdat
	.protected	_ZN7rocprim17ROCPRIM_400000_NS6detail17trampoline_kernelINS0_14default_configENS1_27scan_by_key_config_selectorIifEEZZNS1_16scan_by_key_implILNS1_25lookback_scan_determinismE0ELb1ES3_N6thrust23THRUST_200600_302600_NS6detail15normal_iteratorINS9_10device_ptrIiEEEENSB_INSC_IjEEEESE_fNS9_4plusIvEENS9_8equal_toIvEEfEE10hipError_tPvRmT2_T3_T4_T5_mT6_T7_P12ihipStream_tbENKUlT_T0_E_clISt17integral_constantIbLb0EES10_IbLb1EEEEDaSW_SX_EUlSW_E_NS1_11comp_targetILNS1_3genE10ELNS1_11target_archE1200ELNS1_3gpuE4ELNS1_3repE0EEENS1_30default_config_static_selectorELNS0_4arch9wavefront6targetE0EEEvT1_ ; -- Begin function _ZN7rocprim17ROCPRIM_400000_NS6detail17trampoline_kernelINS0_14default_configENS1_27scan_by_key_config_selectorIifEEZZNS1_16scan_by_key_implILNS1_25lookback_scan_determinismE0ELb1ES3_N6thrust23THRUST_200600_302600_NS6detail15normal_iteratorINS9_10device_ptrIiEEEENSB_INSC_IjEEEESE_fNS9_4plusIvEENS9_8equal_toIvEEfEE10hipError_tPvRmT2_T3_T4_T5_mT6_T7_P12ihipStream_tbENKUlT_T0_E_clISt17integral_constantIbLb0EES10_IbLb1EEEEDaSW_SX_EUlSW_E_NS1_11comp_targetILNS1_3genE10ELNS1_11target_archE1200ELNS1_3gpuE4ELNS1_3repE0EEENS1_30default_config_static_selectorELNS0_4arch9wavefront6targetE0EEEvT1_
	.globl	_ZN7rocprim17ROCPRIM_400000_NS6detail17trampoline_kernelINS0_14default_configENS1_27scan_by_key_config_selectorIifEEZZNS1_16scan_by_key_implILNS1_25lookback_scan_determinismE0ELb1ES3_N6thrust23THRUST_200600_302600_NS6detail15normal_iteratorINS9_10device_ptrIiEEEENSB_INSC_IjEEEESE_fNS9_4plusIvEENS9_8equal_toIvEEfEE10hipError_tPvRmT2_T3_T4_T5_mT6_T7_P12ihipStream_tbENKUlT_T0_E_clISt17integral_constantIbLb0EES10_IbLb1EEEEDaSW_SX_EUlSW_E_NS1_11comp_targetILNS1_3genE10ELNS1_11target_archE1200ELNS1_3gpuE4ELNS1_3repE0EEENS1_30default_config_static_selectorELNS0_4arch9wavefront6targetE0EEEvT1_
	.p2align	8
	.type	_ZN7rocprim17ROCPRIM_400000_NS6detail17trampoline_kernelINS0_14default_configENS1_27scan_by_key_config_selectorIifEEZZNS1_16scan_by_key_implILNS1_25lookback_scan_determinismE0ELb1ES3_N6thrust23THRUST_200600_302600_NS6detail15normal_iteratorINS9_10device_ptrIiEEEENSB_INSC_IjEEEESE_fNS9_4plusIvEENS9_8equal_toIvEEfEE10hipError_tPvRmT2_T3_T4_T5_mT6_T7_P12ihipStream_tbENKUlT_T0_E_clISt17integral_constantIbLb0EES10_IbLb1EEEEDaSW_SX_EUlSW_E_NS1_11comp_targetILNS1_3genE10ELNS1_11target_archE1200ELNS1_3gpuE4ELNS1_3repE0EEENS1_30default_config_static_selectorELNS0_4arch9wavefront6targetE0EEEvT1_,@function
_ZN7rocprim17ROCPRIM_400000_NS6detail17trampoline_kernelINS0_14default_configENS1_27scan_by_key_config_selectorIifEEZZNS1_16scan_by_key_implILNS1_25lookback_scan_determinismE0ELb1ES3_N6thrust23THRUST_200600_302600_NS6detail15normal_iteratorINS9_10device_ptrIiEEEENSB_INSC_IjEEEESE_fNS9_4plusIvEENS9_8equal_toIvEEfEE10hipError_tPvRmT2_T3_T4_T5_mT6_T7_P12ihipStream_tbENKUlT_T0_E_clISt17integral_constantIbLb0EES10_IbLb1EEEEDaSW_SX_EUlSW_E_NS1_11comp_targetILNS1_3genE10ELNS1_11target_archE1200ELNS1_3gpuE4ELNS1_3repE0EEENS1_30default_config_static_selectorELNS0_4arch9wavefront6targetE0EEEvT1_: ; @_ZN7rocprim17ROCPRIM_400000_NS6detail17trampoline_kernelINS0_14default_configENS1_27scan_by_key_config_selectorIifEEZZNS1_16scan_by_key_implILNS1_25lookback_scan_determinismE0ELb1ES3_N6thrust23THRUST_200600_302600_NS6detail15normal_iteratorINS9_10device_ptrIiEEEENSB_INSC_IjEEEESE_fNS9_4plusIvEENS9_8equal_toIvEEfEE10hipError_tPvRmT2_T3_T4_T5_mT6_T7_P12ihipStream_tbENKUlT_T0_E_clISt17integral_constantIbLb0EES10_IbLb1EEEEDaSW_SX_EUlSW_E_NS1_11comp_targetILNS1_3genE10ELNS1_11target_archE1200ELNS1_3gpuE4ELNS1_3repE0EEENS1_30default_config_static_selectorELNS0_4arch9wavefront6targetE0EEEvT1_
; %bb.0:
	.section	.rodata,"a",@progbits
	.p2align	6, 0x0
	.amdhsa_kernel _ZN7rocprim17ROCPRIM_400000_NS6detail17trampoline_kernelINS0_14default_configENS1_27scan_by_key_config_selectorIifEEZZNS1_16scan_by_key_implILNS1_25lookback_scan_determinismE0ELb1ES3_N6thrust23THRUST_200600_302600_NS6detail15normal_iteratorINS9_10device_ptrIiEEEENSB_INSC_IjEEEESE_fNS9_4plusIvEENS9_8equal_toIvEEfEE10hipError_tPvRmT2_T3_T4_T5_mT6_T7_P12ihipStream_tbENKUlT_T0_E_clISt17integral_constantIbLb0EES10_IbLb1EEEEDaSW_SX_EUlSW_E_NS1_11comp_targetILNS1_3genE10ELNS1_11target_archE1200ELNS1_3gpuE4ELNS1_3repE0EEENS1_30default_config_static_selectorELNS0_4arch9wavefront6targetE0EEEvT1_
		.amdhsa_group_segment_fixed_size 0
		.amdhsa_private_segment_fixed_size 0
		.amdhsa_kernarg_size 112
		.amdhsa_user_sgpr_count 6
		.amdhsa_user_sgpr_private_segment_buffer 1
		.amdhsa_user_sgpr_dispatch_ptr 0
		.amdhsa_user_sgpr_queue_ptr 0
		.amdhsa_user_sgpr_kernarg_segment_ptr 1
		.amdhsa_user_sgpr_dispatch_id 0
		.amdhsa_user_sgpr_flat_scratch_init 0
		.amdhsa_user_sgpr_private_segment_size 0
		.amdhsa_wavefront_size32 1
		.amdhsa_uses_dynamic_stack 0
		.amdhsa_system_sgpr_private_segment_wavefront_offset 0
		.amdhsa_system_sgpr_workgroup_id_x 1
		.amdhsa_system_sgpr_workgroup_id_y 0
		.amdhsa_system_sgpr_workgroup_id_z 0
		.amdhsa_system_sgpr_workgroup_info 0
		.amdhsa_system_vgpr_workitem_id 0
		.amdhsa_next_free_vgpr 1
		.amdhsa_next_free_sgpr 1
		.amdhsa_reserve_vcc 0
		.amdhsa_reserve_flat_scratch 0
		.amdhsa_float_round_mode_32 0
		.amdhsa_float_round_mode_16_64 0
		.amdhsa_float_denorm_mode_32 3
		.amdhsa_float_denorm_mode_16_64 3
		.amdhsa_dx10_clamp 1
		.amdhsa_ieee_mode 1
		.amdhsa_fp16_overflow 0
		.amdhsa_workgroup_processor_mode 1
		.amdhsa_memory_ordered 1
		.amdhsa_forward_progress 1
		.amdhsa_shared_vgpr_count 0
		.amdhsa_exception_fp_ieee_invalid_op 0
		.amdhsa_exception_fp_denorm_src 0
		.amdhsa_exception_fp_ieee_div_zero 0
		.amdhsa_exception_fp_ieee_overflow 0
		.amdhsa_exception_fp_ieee_underflow 0
		.amdhsa_exception_fp_ieee_inexact 0
		.amdhsa_exception_int_div_zero 0
	.end_amdhsa_kernel
	.section	.text._ZN7rocprim17ROCPRIM_400000_NS6detail17trampoline_kernelINS0_14default_configENS1_27scan_by_key_config_selectorIifEEZZNS1_16scan_by_key_implILNS1_25lookback_scan_determinismE0ELb1ES3_N6thrust23THRUST_200600_302600_NS6detail15normal_iteratorINS9_10device_ptrIiEEEENSB_INSC_IjEEEESE_fNS9_4plusIvEENS9_8equal_toIvEEfEE10hipError_tPvRmT2_T3_T4_T5_mT6_T7_P12ihipStream_tbENKUlT_T0_E_clISt17integral_constantIbLb0EES10_IbLb1EEEEDaSW_SX_EUlSW_E_NS1_11comp_targetILNS1_3genE10ELNS1_11target_archE1200ELNS1_3gpuE4ELNS1_3repE0EEENS1_30default_config_static_selectorELNS0_4arch9wavefront6targetE0EEEvT1_,"axG",@progbits,_ZN7rocprim17ROCPRIM_400000_NS6detail17trampoline_kernelINS0_14default_configENS1_27scan_by_key_config_selectorIifEEZZNS1_16scan_by_key_implILNS1_25lookback_scan_determinismE0ELb1ES3_N6thrust23THRUST_200600_302600_NS6detail15normal_iteratorINS9_10device_ptrIiEEEENSB_INSC_IjEEEESE_fNS9_4plusIvEENS9_8equal_toIvEEfEE10hipError_tPvRmT2_T3_T4_T5_mT6_T7_P12ihipStream_tbENKUlT_T0_E_clISt17integral_constantIbLb0EES10_IbLb1EEEEDaSW_SX_EUlSW_E_NS1_11comp_targetILNS1_3genE10ELNS1_11target_archE1200ELNS1_3gpuE4ELNS1_3repE0EEENS1_30default_config_static_selectorELNS0_4arch9wavefront6targetE0EEEvT1_,comdat
.Lfunc_end1821:
	.size	_ZN7rocprim17ROCPRIM_400000_NS6detail17trampoline_kernelINS0_14default_configENS1_27scan_by_key_config_selectorIifEEZZNS1_16scan_by_key_implILNS1_25lookback_scan_determinismE0ELb1ES3_N6thrust23THRUST_200600_302600_NS6detail15normal_iteratorINS9_10device_ptrIiEEEENSB_INSC_IjEEEESE_fNS9_4plusIvEENS9_8equal_toIvEEfEE10hipError_tPvRmT2_T3_T4_T5_mT6_T7_P12ihipStream_tbENKUlT_T0_E_clISt17integral_constantIbLb0EES10_IbLb1EEEEDaSW_SX_EUlSW_E_NS1_11comp_targetILNS1_3genE10ELNS1_11target_archE1200ELNS1_3gpuE4ELNS1_3repE0EEENS1_30default_config_static_selectorELNS0_4arch9wavefront6targetE0EEEvT1_, .Lfunc_end1821-_ZN7rocprim17ROCPRIM_400000_NS6detail17trampoline_kernelINS0_14default_configENS1_27scan_by_key_config_selectorIifEEZZNS1_16scan_by_key_implILNS1_25lookback_scan_determinismE0ELb1ES3_N6thrust23THRUST_200600_302600_NS6detail15normal_iteratorINS9_10device_ptrIiEEEENSB_INSC_IjEEEESE_fNS9_4plusIvEENS9_8equal_toIvEEfEE10hipError_tPvRmT2_T3_T4_T5_mT6_T7_P12ihipStream_tbENKUlT_T0_E_clISt17integral_constantIbLb0EES10_IbLb1EEEEDaSW_SX_EUlSW_E_NS1_11comp_targetILNS1_3genE10ELNS1_11target_archE1200ELNS1_3gpuE4ELNS1_3repE0EEENS1_30default_config_static_selectorELNS0_4arch9wavefront6targetE0EEEvT1_
                                        ; -- End function
	.set _ZN7rocprim17ROCPRIM_400000_NS6detail17trampoline_kernelINS0_14default_configENS1_27scan_by_key_config_selectorIifEEZZNS1_16scan_by_key_implILNS1_25lookback_scan_determinismE0ELb1ES3_N6thrust23THRUST_200600_302600_NS6detail15normal_iteratorINS9_10device_ptrIiEEEENSB_INSC_IjEEEESE_fNS9_4plusIvEENS9_8equal_toIvEEfEE10hipError_tPvRmT2_T3_T4_T5_mT6_T7_P12ihipStream_tbENKUlT_T0_E_clISt17integral_constantIbLb0EES10_IbLb1EEEEDaSW_SX_EUlSW_E_NS1_11comp_targetILNS1_3genE10ELNS1_11target_archE1200ELNS1_3gpuE4ELNS1_3repE0EEENS1_30default_config_static_selectorELNS0_4arch9wavefront6targetE0EEEvT1_.num_vgpr, 0
	.set _ZN7rocprim17ROCPRIM_400000_NS6detail17trampoline_kernelINS0_14default_configENS1_27scan_by_key_config_selectorIifEEZZNS1_16scan_by_key_implILNS1_25lookback_scan_determinismE0ELb1ES3_N6thrust23THRUST_200600_302600_NS6detail15normal_iteratorINS9_10device_ptrIiEEEENSB_INSC_IjEEEESE_fNS9_4plusIvEENS9_8equal_toIvEEfEE10hipError_tPvRmT2_T3_T4_T5_mT6_T7_P12ihipStream_tbENKUlT_T0_E_clISt17integral_constantIbLb0EES10_IbLb1EEEEDaSW_SX_EUlSW_E_NS1_11comp_targetILNS1_3genE10ELNS1_11target_archE1200ELNS1_3gpuE4ELNS1_3repE0EEENS1_30default_config_static_selectorELNS0_4arch9wavefront6targetE0EEEvT1_.num_agpr, 0
	.set _ZN7rocprim17ROCPRIM_400000_NS6detail17trampoline_kernelINS0_14default_configENS1_27scan_by_key_config_selectorIifEEZZNS1_16scan_by_key_implILNS1_25lookback_scan_determinismE0ELb1ES3_N6thrust23THRUST_200600_302600_NS6detail15normal_iteratorINS9_10device_ptrIiEEEENSB_INSC_IjEEEESE_fNS9_4plusIvEENS9_8equal_toIvEEfEE10hipError_tPvRmT2_T3_T4_T5_mT6_T7_P12ihipStream_tbENKUlT_T0_E_clISt17integral_constantIbLb0EES10_IbLb1EEEEDaSW_SX_EUlSW_E_NS1_11comp_targetILNS1_3genE10ELNS1_11target_archE1200ELNS1_3gpuE4ELNS1_3repE0EEENS1_30default_config_static_selectorELNS0_4arch9wavefront6targetE0EEEvT1_.numbered_sgpr, 0
	.set _ZN7rocprim17ROCPRIM_400000_NS6detail17trampoline_kernelINS0_14default_configENS1_27scan_by_key_config_selectorIifEEZZNS1_16scan_by_key_implILNS1_25lookback_scan_determinismE0ELb1ES3_N6thrust23THRUST_200600_302600_NS6detail15normal_iteratorINS9_10device_ptrIiEEEENSB_INSC_IjEEEESE_fNS9_4plusIvEENS9_8equal_toIvEEfEE10hipError_tPvRmT2_T3_T4_T5_mT6_T7_P12ihipStream_tbENKUlT_T0_E_clISt17integral_constantIbLb0EES10_IbLb1EEEEDaSW_SX_EUlSW_E_NS1_11comp_targetILNS1_3genE10ELNS1_11target_archE1200ELNS1_3gpuE4ELNS1_3repE0EEENS1_30default_config_static_selectorELNS0_4arch9wavefront6targetE0EEEvT1_.num_named_barrier, 0
	.set _ZN7rocprim17ROCPRIM_400000_NS6detail17trampoline_kernelINS0_14default_configENS1_27scan_by_key_config_selectorIifEEZZNS1_16scan_by_key_implILNS1_25lookback_scan_determinismE0ELb1ES3_N6thrust23THRUST_200600_302600_NS6detail15normal_iteratorINS9_10device_ptrIiEEEENSB_INSC_IjEEEESE_fNS9_4plusIvEENS9_8equal_toIvEEfEE10hipError_tPvRmT2_T3_T4_T5_mT6_T7_P12ihipStream_tbENKUlT_T0_E_clISt17integral_constantIbLb0EES10_IbLb1EEEEDaSW_SX_EUlSW_E_NS1_11comp_targetILNS1_3genE10ELNS1_11target_archE1200ELNS1_3gpuE4ELNS1_3repE0EEENS1_30default_config_static_selectorELNS0_4arch9wavefront6targetE0EEEvT1_.private_seg_size, 0
	.set _ZN7rocprim17ROCPRIM_400000_NS6detail17trampoline_kernelINS0_14default_configENS1_27scan_by_key_config_selectorIifEEZZNS1_16scan_by_key_implILNS1_25lookback_scan_determinismE0ELb1ES3_N6thrust23THRUST_200600_302600_NS6detail15normal_iteratorINS9_10device_ptrIiEEEENSB_INSC_IjEEEESE_fNS9_4plusIvEENS9_8equal_toIvEEfEE10hipError_tPvRmT2_T3_T4_T5_mT6_T7_P12ihipStream_tbENKUlT_T0_E_clISt17integral_constantIbLb0EES10_IbLb1EEEEDaSW_SX_EUlSW_E_NS1_11comp_targetILNS1_3genE10ELNS1_11target_archE1200ELNS1_3gpuE4ELNS1_3repE0EEENS1_30default_config_static_selectorELNS0_4arch9wavefront6targetE0EEEvT1_.uses_vcc, 0
	.set _ZN7rocprim17ROCPRIM_400000_NS6detail17trampoline_kernelINS0_14default_configENS1_27scan_by_key_config_selectorIifEEZZNS1_16scan_by_key_implILNS1_25lookback_scan_determinismE0ELb1ES3_N6thrust23THRUST_200600_302600_NS6detail15normal_iteratorINS9_10device_ptrIiEEEENSB_INSC_IjEEEESE_fNS9_4plusIvEENS9_8equal_toIvEEfEE10hipError_tPvRmT2_T3_T4_T5_mT6_T7_P12ihipStream_tbENKUlT_T0_E_clISt17integral_constantIbLb0EES10_IbLb1EEEEDaSW_SX_EUlSW_E_NS1_11comp_targetILNS1_3genE10ELNS1_11target_archE1200ELNS1_3gpuE4ELNS1_3repE0EEENS1_30default_config_static_selectorELNS0_4arch9wavefront6targetE0EEEvT1_.uses_flat_scratch, 0
	.set _ZN7rocprim17ROCPRIM_400000_NS6detail17trampoline_kernelINS0_14default_configENS1_27scan_by_key_config_selectorIifEEZZNS1_16scan_by_key_implILNS1_25lookback_scan_determinismE0ELb1ES3_N6thrust23THRUST_200600_302600_NS6detail15normal_iteratorINS9_10device_ptrIiEEEENSB_INSC_IjEEEESE_fNS9_4plusIvEENS9_8equal_toIvEEfEE10hipError_tPvRmT2_T3_T4_T5_mT6_T7_P12ihipStream_tbENKUlT_T0_E_clISt17integral_constantIbLb0EES10_IbLb1EEEEDaSW_SX_EUlSW_E_NS1_11comp_targetILNS1_3genE10ELNS1_11target_archE1200ELNS1_3gpuE4ELNS1_3repE0EEENS1_30default_config_static_selectorELNS0_4arch9wavefront6targetE0EEEvT1_.has_dyn_sized_stack, 0
	.set _ZN7rocprim17ROCPRIM_400000_NS6detail17trampoline_kernelINS0_14default_configENS1_27scan_by_key_config_selectorIifEEZZNS1_16scan_by_key_implILNS1_25lookback_scan_determinismE0ELb1ES3_N6thrust23THRUST_200600_302600_NS6detail15normal_iteratorINS9_10device_ptrIiEEEENSB_INSC_IjEEEESE_fNS9_4plusIvEENS9_8equal_toIvEEfEE10hipError_tPvRmT2_T3_T4_T5_mT6_T7_P12ihipStream_tbENKUlT_T0_E_clISt17integral_constantIbLb0EES10_IbLb1EEEEDaSW_SX_EUlSW_E_NS1_11comp_targetILNS1_3genE10ELNS1_11target_archE1200ELNS1_3gpuE4ELNS1_3repE0EEENS1_30default_config_static_selectorELNS0_4arch9wavefront6targetE0EEEvT1_.has_recursion, 0
	.set _ZN7rocprim17ROCPRIM_400000_NS6detail17trampoline_kernelINS0_14default_configENS1_27scan_by_key_config_selectorIifEEZZNS1_16scan_by_key_implILNS1_25lookback_scan_determinismE0ELb1ES3_N6thrust23THRUST_200600_302600_NS6detail15normal_iteratorINS9_10device_ptrIiEEEENSB_INSC_IjEEEESE_fNS9_4plusIvEENS9_8equal_toIvEEfEE10hipError_tPvRmT2_T3_T4_T5_mT6_T7_P12ihipStream_tbENKUlT_T0_E_clISt17integral_constantIbLb0EES10_IbLb1EEEEDaSW_SX_EUlSW_E_NS1_11comp_targetILNS1_3genE10ELNS1_11target_archE1200ELNS1_3gpuE4ELNS1_3repE0EEENS1_30default_config_static_selectorELNS0_4arch9wavefront6targetE0EEEvT1_.has_indirect_call, 0
	.section	.AMDGPU.csdata,"",@progbits
; Kernel info:
; codeLenInByte = 0
; TotalNumSgprs: 0
; NumVgprs: 0
; ScratchSize: 0
; MemoryBound: 0
; FloatMode: 240
; IeeeMode: 1
; LDSByteSize: 0 bytes/workgroup (compile time only)
; SGPRBlocks: 0
; VGPRBlocks: 0
; NumSGPRsForWavesPerEU: 1
; NumVGPRsForWavesPerEU: 1
; Occupancy: 16
; WaveLimiterHint : 0
; COMPUTE_PGM_RSRC2:SCRATCH_EN: 0
; COMPUTE_PGM_RSRC2:USER_SGPR: 6
; COMPUTE_PGM_RSRC2:TRAP_HANDLER: 0
; COMPUTE_PGM_RSRC2:TGID_X_EN: 1
; COMPUTE_PGM_RSRC2:TGID_Y_EN: 0
; COMPUTE_PGM_RSRC2:TGID_Z_EN: 0
; COMPUTE_PGM_RSRC2:TIDIG_COMP_CNT: 0
	.section	.text._ZN7rocprim17ROCPRIM_400000_NS6detail17trampoline_kernelINS0_14default_configENS1_27scan_by_key_config_selectorIifEEZZNS1_16scan_by_key_implILNS1_25lookback_scan_determinismE0ELb1ES3_N6thrust23THRUST_200600_302600_NS6detail15normal_iteratorINS9_10device_ptrIiEEEENSB_INSC_IjEEEESE_fNS9_4plusIvEENS9_8equal_toIvEEfEE10hipError_tPvRmT2_T3_T4_T5_mT6_T7_P12ihipStream_tbENKUlT_T0_E_clISt17integral_constantIbLb0EES10_IbLb1EEEEDaSW_SX_EUlSW_E_NS1_11comp_targetILNS1_3genE9ELNS1_11target_archE1100ELNS1_3gpuE3ELNS1_3repE0EEENS1_30default_config_static_selectorELNS0_4arch9wavefront6targetE0EEEvT1_,"axG",@progbits,_ZN7rocprim17ROCPRIM_400000_NS6detail17trampoline_kernelINS0_14default_configENS1_27scan_by_key_config_selectorIifEEZZNS1_16scan_by_key_implILNS1_25lookback_scan_determinismE0ELb1ES3_N6thrust23THRUST_200600_302600_NS6detail15normal_iteratorINS9_10device_ptrIiEEEENSB_INSC_IjEEEESE_fNS9_4plusIvEENS9_8equal_toIvEEfEE10hipError_tPvRmT2_T3_T4_T5_mT6_T7_P12ihipStream_tbENKUlT_T0_E_clISt17integral_constantIbLb0EES10_IbLb1EEEEDaSW_SX_EUlSW_E_NS1_11comp_targetILNS1_3genE9ELNS1_11target_archE1100ELNS1_3gpuE3ELNS1_3repE0EEENS1_30default_config_static_selectorELNS0_4arch9wavefront6targetE0EEEvT1_,comdat
	.protected	_ZN7rocprim17ROCPRIM_400000_NS6detail17trampoline_kernelINS0_14default_configENS1_27scan_by_key_config_selectorIifEEZZNS1_16scan_by_key_implILNS1_25lookback_scan_determinismE0ELb1ES3_N6thrust23THRUST_200600_302600_NS6detail15normal_iteratorINS9_10device_ptrIiEEEENSB_INSC_IjEEEESE_fNS9_4plusIvEENS9_8equal_toIvEEfEE10hipError_tPvRmT2_T3_T4_T5_mT6_T7_P12ihipStream_tbENKUlT_T0_E_clISt17integral_constantIbLb0EES10_IbLb1EEEEDaSW_SX_EUlSW_E_NS1_11comp_targetILNS1_3genE9ELNS1_11target_archE1100ELNS1_3gpuE3ELNS1_3repE0EEENS1_30default_config_static_selectorELNS0_4arch9wavefront6targetE0EEEvT1_ ; -- Begin function _ZN7rocprim17ROCPRIM_400000_NS6detail17trampoline_kernelINS0_14default_configENS1_27scan_by_key_config_selectorIifEEZZNS1_16scan_by_key_implILNS1_25lookback_scan_determinismE0ELb1ES3_N6thrust23THRUST_200600_302600_NS6detail15normal_iteratorINS9_10device_ptrIiEEEENSB_INSC_IjEEEESE_fNS9_4plusIvEENS9_8equal_toIvEEfEE10hipError_tPvRmT2_T3_T4_T5_mT6_T7_P12ihipStream_tbENKUlT_T0_E_clISt17integral_constantIbLb0EES10_IbLb1EEEEDaSW_SX_EUlSW_E_NS1_11comp_targetILNS1_3genE9ELNS1_11target_archE1100ELNS1_3gpuE3ELNS1_3repE0EEENS1_30default_config_static_selectorELNS0_4arch9wavefront6targetE0EEEvT1_
	.globl	_ZN7rocprim17ROCPRIM_400000_NS6detail17trampoline_kernelINS0_14default_configENS1_27scan_by_key_config_selectorIifEEZZNS1_16scan_by_key_implILNS1_25lookback_scan_determinismE0ELb1ES3_N6thrust23THRUST_200600_302600_NS6detail15normal_iteratorINS9_10device_ptrIiEEEENSB_INSC_IjEEEESE_fNS9_4plusIvEENS9_8equal_toIvEEfEE10hipError_tPvRmT2_T3_T4_T5_mT6_T7_P12ihipStream_tbENKUlT_T0_E_clISt17integral_constantIbLb0EES10_IbLb1EEEEDaSW_SX_EUlSW_E_NS1_11comp_targetILNS1_3genE9ELNS1_11target_archE1100ELNS1_3gpuE3ELNS1_3repE0EEENS1_30default_config_static_selectorELNS0_4arch9wavefront6targetE0EEEvT1_
	.p2align	8
	.type	_ZN7rocprim17ROCPRIM_400000_NS6detail17trampoline_kernelINS0_14default_configENS1_27scan_by_key_config_selectorIifEEZZNS1_16scan_by_key_implILNS1_25lookback_scan_determinismE0ELb1ES3_N6thrust23THRUST_200600_302600_NS6detail15normal_iteratorINS9_10device_ptrIiEEEENSB_INSC_IjEEEESE_fNS9_4plusIvEENS9_8equal_toIvEEfEE10hipError_tPvRmT2_T3_T4_T5_mT6_T7_P12ihipStream_tbENKUlT_T0_E_clISt17integral_constantIbLb0EES10_IbLb1EEEEDaSW_SX_EUlSW_E_NS1_11comp_targetILNS1_3genE9ELNS1_11target_archE1100ELNS1_3gpuE3ELNS1_3repE0EEENS1_30default_config_static_selectorELNS0_4arch9wavefront6targetE0EEEvT1_,@function
_ZN7rocprim17ROCPRIM_400000_NS6detail17trampoline_kernelINS0_14default_configENS1_27scan_by_key_config_selectorIifEEZZNS1_16scan_by_key_implILNS1_25lookback_scan_determinismE0ELb1ES3_N6thrust23THRUST_200600_302600_NS6detail15normal_iteratorINS9_10device_ptrIiEEEENSB_INSC_IjEEEESE_fNS9_4plusIvEENS9_8equal_toIvEEfEE10hipError_tPvRmT2_T3_T4_T5_mT6_T7_P12ihipStream_tbENKUlT_T0_E_clISt17integral_constantIbLb0EES10_IbLb1EEEEDaSW_SX_EUlSW_E_NS1_11comp_targetILNS1_3genE9ELNS1_11target_archE1100ELNS1_3gpuE3ELNS1_3repE0EEENS1_30default_config_static_selectorELNS0_4arch9wavefront6targetE0EEEvT1_: ; @_ZN7rocprim17ROCPRIM_400000_NS6detail17trampoline_kernelINS0_14default_configENS1_27scan_by_key_config_selectorIifEEZZNS1_16scan_by_key_implILNS1_25lookback_scan_determinismE0ELb1ES3_N6thrust23THRUST_200600_302600_NS6detail15normal_iteratorINS9_10device_ptrIiEEEENSB_INSC_IjEEEESE_fNS9_4plusIvEENS9_8equal_toIvEEfEE10hipError_tPvRmT2_T3_T4_T5_mT6_T7_P12ihipStream_tbENKUlT_T0_E_clISt17integral_constantIbLb0EES10_IbLb1EEEEDaSW_SX_EUlSW_E_NS1_11comp_targetILNS1_3genE9ELNS1_11target_archE1100ELNS1_3gpuE3ELNS1_3repE0EEENS1_30default_config_static_selectorELNS0_4arch9wavefront6targetE0EEEvT1_
; %bb.0:
	.section	.rodata,"a",@progbits
	.p2align	6, 0x0
	.amdhsa_kernel _ZN7rocprim17ROCPRIM_400000_NS6detail17trampoline_kernelINS0_14default_configENS1_27scan_by_key_config_selectorIifEEZZNS1_16scan_by_key_implILNS1_25lookback_scan_determinismE0ELb1ES3_N6thrust23THRUST_200600_302600_NS6detail15normal_iteratorINS9_10device_ptrIiEEEENSB_INSC_IjEEEESE_fNS9_4plusIvEENS9_8equal_toIvEEfEE10hipError_tPvRmT2_T3_T4_T5_mT6_T7_P12ihipStream_tbENKUlT_T0_E_clISt17integral_constantIbLb0EES10_IbLb1EEEEDaSW_SX_EUlSW_E_NS1_11comp_targetILNS1_3genE9ELNS1_11target_archE1100ELNS1_3gpuE3ELNS1_3repE0EEENS1_30default_config_static_selectorELNS0_4arch9wavefront6targetE0EEEvT1_
		.amdhsa_group_segment_fixed_size 0
		.amdhsa_private_segment_fixed_size 0
		.amdhsa_kernarg_size 112
		.amdhsa_user_sgpr_count 6
		.amdhsa_user_sgpr_private_segment_buffer 1
		.amdhsa_user_sgpr_dispatch_ptr 0
		.amdhsa_user_sgpr_queue_ptr 0
		.amdhsa_user_sgpr_kernarg_segment_ptr 1
		.amdhsa_user_sgpr_dispatch_id 0
		.amdhsa_user_sgpr_flat_scratch_init 0
		.amdhsa_user_sgpr_private_segment_size 0
		.amdhsa_wavefront_size32 1
		.amdhsa_uses_dynamic_stack 0
		.amdhsa_system_sgpr_private_segment_wavefront_offset 0
		.amdhsa_system_sgpr_workgroup_id_x 1
		.amdhsa_system_sgpr_workgroup_id_y 0
		.amdhsa_system_sgpr_workgroup_id_z 0
		.amdhsa_system_sgpr_workgroup_info 0
		.amdhsa_system_vgpr_workitem_id 0
		.amdhsa_next_free_vgpr 1
		.amdhsa_next_free_sgpr 1
		.amdhsa_reserve_vcc 0
		.amdhsa_reserve_flat_scratch 0
		.amdhsa_float_round_mode_32 0
		.amdhsa_float_round_mode_16_64 0
		.amdhsa_float_denorm_mode_32 3
		.amdhsa_float_denorm_mode_16_64 3
		.amdhsa_dx10_clamp 1
		.amdhsa_ieee_mode 1
		.amdhsa_fp16_overflow 0
		.amdhsa_workgroup_processor_mode 1
		.amdhsa_memory_ordered 1
		.amdhsa_forward_progress 1
		.amdhsa_shared_vgpr_count 0
		.amdhsa_exception_fp_ieee_invalid_op 0
		.amdhsa_exception_fp_denorm_src 0
		.amdhsa_exception_fp_ieee_div_zero 0
		.amdhsa_exception_fp_ieee_overflow 0
		.amdhsa_exception_fp_ieee_underflow 0
		.amdhsa_exception_fp_ieee_inexact 0
		.amdhsa_exception_int_div_zero 0
	.end_amdhsa_kernel
	.section	.text._ZN7rocprim17ROCPRIM_400000_NS6detail17trampoline_kernelINS0_14default_configENS1_27scan_by_key_config_selectorIifEEZZNS1_16scan_by_key_implILNS1_25lookback_scan_determinismE0ELb1ES3_N6thrust23THRUST_200600_302600_NS6detail15normal_iteratorINS9_10device_ptrIiEEEENSB_INSC_IjEEEESE_fNS9_4plusIvEENS9_8equal_toIvEEfEE10hipError_tPvRmT2_T3_T4_T5_mT6_T7_P12ihipStream_tbENKUlT_T0_E_clISt17integral_constantIbLb0EES10_IbLb1EEEEDaSW_SX_EUlSW_E_NS1_11comp_targetILNS1_3genE9ELNS1_11target_archE1100ELNS1_3gpuE3ELNS1_3repE0EEENS1_30default_config_static_selectorELNS0_4arch9wavefront6targetE0EEEvT1_,"axG",@progbits,_ZN7rocprim17ROCPRIM_400000_NS6detail17trampoline_kernelINS0_14default_configENS1_27scan_by_key_config_selectorIifEEZZNS1_16scan_by_key_implILNS1_25lookback_scan_determinismE0ELb1ES3_N6thrust23THRUST_200600_302600_NS6detail15normal_iteratorINS9_10device_ptrIiEEEENSB_INSC_IjEEEESE_fNS9_4plusIvEENS9_8equal_toIvEEfEE10hipError_tPvRmT2_T3_T4_T5_mT6_T7_P12ihipStream_tbENKUlT_T0_E_clISt17integral_constantIbLb0EES10_IbLb1EEEEDaSW_SX_EUlSW_E_NS1_11comp_targetILNS1_3genE9ELNS1_11target_archE1100ELNS1_3gpuE3ELNS1_3repE0EEENS1_30default_config_static_selectorELNS0_4arch9wavefront6targetE0EEEvT1_,comdat
.Lfunc_end1822:
	.size	_ZN7rocprim17ROCPRIM_400000_NS6detail17trampoline_kernelINS0_14default_configENS1_27scan_by_key_config_selectorIifEEZZNS1_16scan_by_key_implILNS1_25lookback_scan_determinismE0ELb1ES3_N6thrust23THRUST_200600_302600_NS6detail15normal_iteratorINS9_10device_ptrIiEEEENSB_INSC_IjEEEESE_fNS9_4plusIvEENS9_8equal_toIvEEfEE10hipError_tPvRmT2_T3_T4_T5_mT6_T7_P12ihipStream_tbENKUlT_T0_E_clISt17integral_constantIbLb0EES10_IbLb1EEEEDaSW_SX_EUlSW_E_NS1_11comp_targetILNS1_3genE9ELNS1_11target_archE1100ELNS1_3gpuE3ELNS1_3repE0EEENS1_30default_config_static_selectorELNS0_4arch9wavefront6targetE0EEEvT1_, .Lfunc_end1822-_ZN7rocprim17ROCPRIM_400000_NS6detail17trampoline_kernelINS0_14default_configENS1_27scan_by_key_config_selectorIifEEZZNS1_16scan_by_key_implILNS1_25lookback_scan_determinismE0ELb1ES3_N6thrust23THRUST_200600_302600_NS6detail15normal_iteratorINS9_10device_ptrIiEEEENSB_INSC_IjEEEESE_fNS9_4plusIvEENS9_8equal_toIvEEfEE10hipError_tPvRmT2_T3_T4_T5_mT6_T7_P12ihipStream_tbENKUlT_T0_E_clISt17integral_constantIbLb0EES10_IbLb1EEEEDaSW_SX_EUlSW_E_NS1_11comp_targetILNS1_3genE9ELNS1_11target_archE1100ELNS1_3gpuE3ELNS1_3repE0EEENS1_30default_config_static_selectorELNS0_4arch9wavefront6targetE0EEEvT1_
                                        ; -- End function
	.set _ZN7rocprim17ROCPRIM_400000_NS6detail17trampoline_kernelINS0_14default_configENS1_27scan_by_key_config_selectorIifEEZZNS1_16scan_by_key_implILNS1_25lookback_scan_determinismE0ELb1ES3_N6thrust23THRUST_200600_302600_NS6detail15normal_iteratorINS9_10device_ptrIiEEEENSB_INSC_IjEEEESE_fNS9_4plusIvEENS9_8equal_toIvEEfEE10hipError_tPvRmT2_T3_T4_T5_mT6_T7_P12ihipStream_tbENKUlT_T0_E_clISt17integral_constantIbLb0EES10_IbLb1EEEEDaSW_SX_EUlSW_E_NS1_11comp_targetILNS1_3genE9ELNS1_11target_archE1100ELNS1_3gpuE3ELNS1_3repE0EEENS1_30default_config_static_selectorELNS0_4arch9wavefront6targetE0EEEvT1_.num_vgpr, 0
	.set _ZN7rocprim17ROCPRIM_400000_NS6detail17trampoline_kernelINS0_14default_configENS1_27scan_by_key_config_selectorIifEEZZNS1_16scan_by_key_implILNS1_25lookback_scan_determinismE0ELb1ES3_N6thrust23THRUST_200600_302600_NS6detail15normal_iteratorINS9_10device_ptrIiEEEENSB_INSC_IjEEEESE_fNS9_4plusIvEENS9_8equal_toIvEEfEE10hipError_tPvRmT2_T3_T4_T5_mT6_T7_P12ihipStream_tbENKUlT_T0_E_clISt17integral_constantIbLb0EES10_IbLb1EEEEDaSW_SX_EUlSW_E_NS1_11comp_targetILNS1_3genE9ELNS1_11target_archE1100ELNS1_3gpuE3ELNS1_3repE0EEENS1_30default_config_static_selectorELNS0_4arch9wavefront6targetE0EEEvT1_.num_agpr, 0
	.set _ZN7rocprim17ROCPRIM_400000_NS6detail17trampoline_kernelINS0_14default_configENS1_27scan_by_key_config_selectorIifEEZZNS1_16scan_by_key_implILNS1_25lookback_scan_determinismE0ELb1ES3_N6thrust23THRUST_200600_302600_NS6detail15normal_iteratorINS9_10device_ptrIiEEEENSB_INSC_IjEEEESE_fNS9_4plusIvEENS9_8equal_toIvEEfEE10hipError_tPvRmT2_T3_T4_T5_mT6_T7_P12ihipStream_tbENKUlT_T0_E_clISt17integral_constantIbLb0EES10_IbLb1EEEEDaSW_SX_EUlSW_E_NS1_11comp_targetILNS1_3genE9ELNS1_11target_archE1100ELNS1_3gpuE3ELNS1_3repE0EEENS1_30default_config_static_selectorELNS0_4arch9wavefront6targetE0EEEvT1_.numbered_sgpr, 0
	.set _ZN7rocprim17ROCPRIM_400000_NS6detail17trampoline_kernelINS0_14default_configENS1_27scan_by_key_config_selectorIifEEZZNS1_16scan_by_key_implILNS1_25lookback_scan_determinismE0ELb1ES3_N6thrust23THRUST_200600_302600_NS6detail15normal_iteratorINS9_10device_ptrIiEEEENSB_INSC_IjEEEESE_fNS9_4plusIvEENS9_8equal_toIvEEfEE10hipError_tPvRmT2_T3_T4_T5_mT6_T7_P12ihipStream_tbENKUlT_T0_E_clISt17integral_constantIbLb0EES10_IbLb1EEEEDaSW_SX_EUlSW_E_NS1_11comp_targetILNS1_3genE9ELNS1_11target_archE1100ELNS1_3gpuE3ELNS1_3repE0EEENS1_30default_config_static_selectorELNS0_4arch9wavefront6targetE0EEEvT1_.num_named_barrier, 0
	.set _ZN7rocprim17ROCPRIM_400000_NS6detail17trampoline_kernelINS0_14default_configENS1_27scan_by_key_config_selectorIifEEZZNS1_16scan_by_key_implILNS1_25lookback_scan_determinismE0ELb1ES3_N6thrust23THRUST_200600_302600_NS6detail15normal_iteratorINS9_10device_ptrIiEEEENSB_INSC_IjEEEESE_fNS9_4plusIvEENS9_8equal_toIvEEfEE10hipError_tPvRmT2_T3_T4_T5_mT6_T7_P12ihipStream_tbENKUlT_T0_E_clISt17integral_constantIbLb0EES10_IbLb1EEEEDaSW_SX_EUlSW_E_NS1_11comp_targetILNS1_3genE9ELNS1_11target_archE1100ELNS1_3gpuE3ELNS1_3repE0EEENS1_30default_config_static_selectorELNS0_4arch9wavefront6targetE0EEEvT1_.private_seg_size, 0
	.set _ZN7rocprim17ROCPRIM_400000_NS6detail17trampoline_kernelINS0_14default_configENS1_27scan_by_key_config_selectorIifEEZZNS1_16scan_by_key_implILNS1_25lookback_scan_determinismE0ELb1ES3_N6thrust23THRUST_200600_302600_NS6detail15normal_iteratorINS9_10device_ptrIiEEEENSB_INSC_IjEEEESE_fNS9_4plusIvEENS9_8equal_toIvEEfEE10hipError_tPvRmT2_T3_T4_T5_mT6_T7_P12ihipStream_tbENKUlT_T0_E_clISt17integral_constantIbLb0EES10_IbLb1EEEEDaSW_SX_EUlSW_E_NS1_11comp_targetILNS1_3genE9ELNS1_11target_archE1100ELNS1_3gpuE3ELNS1_3repE0EEENS1_30default_config_static_selectorELNS0_4arch9wavefront6targetE0EEEvT1_.uses_vcc, 0
	.set _ZN7rocprim17ROCPRIM_400000_NS6detail17trampoline_kernelINS0_14default_configENS1_27scan_by_key_config_selectorIifEEZZNS1_16scan_by_key_implILNS1_25lookback_scan_determinismE0ELb1ES3_N6thrust23THRUST_200600_302600_NS6detail15normal_iteratorINS9_10device_ptrIiEEEENSB_INSC_IjEEEESE_fNS9_4plusIvEENS9_8equal_toIvEEfEE10hipError_tPvRmT2_T3_T4_T5_mT6_T7_P12ihipStream_tbENKUlT_T0_E_clISt17integral_constantIbLb0EES10_IbLb1EEEEDaSW_SX_EUlSW_E_NS1_11comp_targetILNS1_3genE9ELNS1_11target_archE1100ELNS1_3gpuE3ELNS1_3repE0EEENS1_30default_config_static_selectorELNS0_4arch9wavefront6targetE0EEEvT1_.uses_flat_scratch, 0
	.set _ZN7rocprim17ROCPRIM_400000_NS6detail17trampoline_kernelINS0_14default_configENS1_27scan_by_key_config_selectorIifEEZZNS1_16scan_by_key_implILNS1_25lookback_scan_determinismE0ELb1ES3_N6thrust23THRUST_200600_302600_NS6detail15normal_iteratorINS9_10device_ptrIiEEEENSB_INSC_IjEEEESE_fNS9_4plusIvEENS9_8equal_toIvEEfEE10hipError_tPvRmT2_T3_T4_T5_mT6_T7_P12ihipStream_tbENKUlT_T0_E_clISt17integral_constantIbLb0EES10_IbLb1EEEEDaSW_SX_EUlSW_E_NS1_11comp_targetILNS1_3genE9ELNS1_11target_archE1100ELNS1_3gpuE3ELNS1_3repE0EEENS1_30default_config_static_selectorELNS0_4arch9wavefront6targetE0EEEvT1_.has_dyn_sized_stack, 0
	.set _ZN7rocprim17ROCPRIM_400000_NS6detail17trampoline_kernelINS0_14default_configENS1_27scan_by_key_config_selectorIifEEZZNS1_16scan_by_key_implILNS1_25lookback_scan_determinismE0ELb1ES3_N6thrust23THRUST_200600_302600_NS6detail15normal_iteratorINS9_10device_ptrIiEEEENSB_INSC_IjEEEESE_fNS9_4plusIvEENS9_8equal_toIvEEfEE10hipError_tPvRmT2_T3_T4_T5_mT6_T7_P12ihipStream_tbENKUlT_T0_E_clISt17integral_constantIbLb0EES10_IbLb1EEEEDaSW_SX_EUlSW_E_NS1_11comp_targetILNS1_3genE9ELNS1_11target_archE1100ELNS1_3gpuE3ELNS1_3repE0EEENS1_30default_config_static_selectorELNS0_4arch9wavefront6targetE0EEEvT1_.has_recursion, 0
	.set _ZN7rocprim17ROCPRIM_400000_NS6detail17trampoline_kernelINS0_14default_configENS1_27scan_by_key_config_selectorIifEEZZNS1_16scan_by_key_implILNS1_25lookback_scan_determinismE0ELb1ES3_N6thrust23THRUST_200600_302600_NS6detail15normal_iteratorINS9_10device_ptrIiEEEENSB_INSC_IjEEEESE_fNS9_4plusIvEENS9_8equal_toIvEEfEE10hipError_tPvRmT2_T3_T4_T5_mT6_T7_P12ihipStream_tbENKUlT_T0_E_clISt17integral_constantIbLb0EES10_IbLb1EEEEDaSW_SX_EUlSW_E_NS1_11comp_targetILNS1_3genE9ELNS1_11target_archE1100ELNS1_3gpuE3ELNS1_3repE0EEENS1_30default_config_static_selectorELNS0_4arch9wavefront6targetE0EEEvT1_.has_indirect_call, 0
	.section	.AMDGPU.csdata,"",@progbits
; Kernel info:
; codeLenInByte = 0
; TotalNumSgprs: 0
; NumVgprs: 0
; ScratchSize: 0
; MemoryBound: 0
; FloatMode: 240
; IeeeMode: 1
; LDSByteSize: 0 bytes/workgroup (compile time only)
; SGPRBlocks: 0
; VGPRBlocks: 0
; NumSGPRsForWavesPerEU: 1
; NumVGPRsForWavesPerEU: 1
; Occupancy: 16
; WaveLimiterHint : 0
; COMPUTE_PGM_RSRC2:SCRATCH_EN: 0
; COMPUTE_PGM_RSRC2:USER_SGPR: 6
; COMPUTE_PGM_RSRC2:TRAP_HANDLER: 0
; COMPUTE_PGM_RSRC2:TGID_X_EN: 1
; COMPUTE_PGM_RSRC2:TGID_Y_EN: 0
; COMPUTE_PGM_RSRC2:TGID_Z_EN: 0
; COMPUTE_PGM_RSRC2:TIDIG_COMP_CNT: 0
	.section	.text._ZN7rocprim17ROCPRIM_400000_NS6detail17trampoline_kernelINS0_14default_configENS1_27scan_by_key_config_selectorIifEEZZNS1_16scan_by_key_implILNS1_25lookback_scan_determinismE0ELb1ES3_N6thrust23THRUST_200600_302600_NS6detail15normal_iteratorINS9_10device_ptrIiEEEENSB_INSC_IjEEEESE_fNS9_4plusIvEENS9_8equal_toIvEEfEE10hipError_tPvRmT2_T3_T4_T5_mT6_T7_P12ihipStream_tbENKUlT_T0_E_clISt17integral_constantIbLb0EES10_IbLb1EEEEDaSW_SX_EUlSW_E_NS1_11comp_targetILNS1_3genE8ELNS1_11target_archE1030ELNS1_3gpuE2ELNS1_3repE0EEENS1_30default_config_static_selectorELNS0_4arch9wavefront6targetE0EEEvT1_,"axG",@progbits,_ZN7rocprim17ROCPRIM_400000_NS6detail17trampoline_kernelINS0_14default_configENS1_27scan_by_key_config_selectorIifEEZZNS1_16scan_by_key_implILNS1_25lookback_scan_determinismE0ELb1ES3_N6thrust23THRUST_200600_302600_NS6detail15normal_iteratorINS9_10device_ptrIiEEEENSB_INSC_IjEEEESE_fNS9_4plusIvEENS9_8equal_toIvEEfEE10hipError_tPvRmT2_T3_T4_T5_mT6_T7_P12ihipStream_tbENKUlT_T0_E_clISt17integral_constantIbLb0EES10_IbLb1EEEEDaSW_SX_EUlSW_E_NS1_11comp_targetILNS1_3genE8ELNS1_11target_archE1030ELNS1_3gpuE2ELNS1_3repE0EEENS1_30default_config_static_selectorELNS0_4arch9wavefront6targetE0EEEvT1_,comdat
	.protected	_ZN7rocprim17ROCPRIM_400000_NS6detail17trampoline_kernelINS0_14default_configENS1_27scan_by_key_config_selectorIifEEZZNS1_16scan_by_key_implILNS1_25lookback_scan_determinismE0ELb1ES3_N6thrust23THRUST_200600_302600_NS6detail15normal_iteratorINS9_10device_ptrIiEEEENSB_INSC_IjEEEESE_fNS9_4plusIvEENS9_8equal_toIvEEfEE10hipError_tPvRmT2_T3_T4_T5_mT6_T7_P12ihipStream_tbENKUlT_T0_E_clISt17integral_constantIbLb0EES10_IbLb1EEEEDaSW_SX_EUlSW_E_NS1_11comp_targetILNS1_3genE8ELNS1_11target_archE1030ELNS1_3gpuE2ELNS1_3repE0EEENS1_30default_config_static_selectorELNS0_4arch9wavefront6targetE0EEEvT1_ ; -- Begin function _ZN7rocprim17ROCPRIM_400000_NS6detail17trampoline_kernelINS0_14default_configENS1_27scan_by_key_config_selectorIifEEZZNS1_16scan_by_key_implILNS1_25lookback_scan_determinismE0ELb1ES3_N6thrust23THRUST_200600_302600_NS6detail15normal_iteratorINS9_10device_ptrIiEEEENSB_INSC_IjEEEESE_fNS9_4plusIvEENS9_8equal_toIvEEfEE10hipError_tPvRmT2_T3_T4_T5_mT6_T7_P12ihipStream_tbENKUlT_T0_E_clISt17integral_constantIbLb0EES10_IbLb1EEEEDaSW_SX_EUlSW_E_NS1_11comp_targetILNS1_3genE8ELNS1_11target_archE1030ELNS1_3gpuE2ELNS1_3repE0EEENS1_30default_config_static_selectorELNS0_4arch9wavefront6targetE0EEEvT1_
	.globl	_ZN7rocprim17ROCPRIM_400000_NS6detail17trampoline_kernelINS0_14default_configENS1_27scan_by_key_config_selectorIifEEZZNS1_16scan_by_key_implILNS1_25lookback_scan_determinismE0ELb1ES3_N6thrust23THRUST_200600_302600_NS6detail15normal_iteratorINS9_10device_ptrIiEEEENSB_INSC_IjEEEESE_fNS9_4plusIvEENS9_8equal_toIvEEfEE10hipError_tPvRmT2_T3_T4_T5_mT6_T7_P12ihipStream_tbENKUlT_T0_E_clISt17integral_constantIbLb0EES10_IbLb1EEEEDaSW_SX_EUlSW_E_NS1_11comp_targetILNS1_3genE8ELNS1_11target_archE1030ELNS1_3gpuE2ELNS1_3repE0EEENS1_30default_config_static_selectorELNS0_4arch9wavefront6targetE0EEEvT1_
	.p2align	8
	.type	_ZN7rocprim17ROCPRIM_400000_NS6detail17trampoline_kernelINS0_14default_configENS1_27scan_by_key_config_selectorIifEEZZNS1_16scan_by_key_implILNS1_25lookback_scan_determinismE0ELb1ES3_N6thrust23THRUST_200600_302600_NS6detail15normal_iteratorINS9_10device_ptrIiEEEENSB_INSC_IjEEEESE_fNS9_4plusIvEENS9_8equal_toIvEEfEE10hipError_tPvRmT2_T3_T4_T5_mT6_T7_P12ihipStream_tbENKUlT_T0_E_clISt17integral_constantIbLb0EES10_IbLb1EEEEDaSW_SX_EUlSW_E_NS1_11comp_targetILNS1_3genE8ELNS1_11target_archE1030ELNS1_3gpuE2ELNS1_3repE0EEENS1_30default_config_static_selectorELNS0_4arch9wavefront6targetE0EEEvT1_,@function
_ZN7rocprim17ROCPRIM_400000_NS6detail17trampoline_kernelINS0_14default_configENS1_27scan_by_key_config_selectorIifEEZZNS1_16scan_by_key_implILNS1_25lookback_scan_determinismE0ELb1ES3_N6thrust23THRUST_200600_302600_NS6detail15normal_iteratorINS9_10device_ptrIiEEEENSB_INSC_IjEEEESE_fNS9_4plusIvEENS9_8equal_toIvEEfEE10hipError_tPvRmT2_T3_T4_T5_mT6_T7_P12ihipStream_tbENKUlT_T0_E_clISt17integral_constantIbLb0EES10_IbLb1EEEEDaSW_SX_EUlSW_E_NS1_11comp_targetILNS1_3genE8ELNS1_11target_archE1030ELNS1_3gpuE2ELNS1_3repE0EEENS1_30default_config_static_selectorELNS0_4arch9wavefront6targetE0EEEvT1_: ; @_ZN7rocprim17ROCPRIM_400000_NS6detail17trampoline_kernelINS0_14default_configENS1_27scan_by_key_config_selectorIifEEZZNS1_16scan_by_key_implILNS1_25lookback_scan_determinismE0ELb1ES3_N6thrust23THRUST_200600_302600_NS6detail15normal_iteratorINS9_10device_ptrIiEEEENSB_INSC_IjEEEESE_fNS9_4plusIvEENS9_8equal_toIvEEfEE10hipError_tPvRmT2_T3_T4_T5_mT6_T7_P12ihipStream_tbENKUlT_T0_E_clISt17integral_constantIbLb0EES10_IbLb1EEEEDaSW_SX_EUlSW_E_NS1_11comp_targetILNS1_3genE8ELNS1_11target_archE1030ELNS1_3gpuE2ELNS1_3repE0EEENS1_30default_config_static_selectorELNS0_4arch9wavefront6targetE0EEEvT1_
; %bb.0:
	s_clause 0x2
	s_load_dword s22, s[4:5], 0x20
	s_load_dwordx4 s[16:19], s[4:5], 0x28
	s_load_dwordx2 s[20:21], s[4:5], 0x38
	v_cmp_eq_u32_e64 s0, 0, v0
	s_and_saveexec_b32 s1, s0
	s_cbranch_execz .LBB1823_4
; %bb.1:
	s_mov_b32 s3, exec_lo
	s_mov_b32 s2, exec_lo
	v_mbcnt_lo_u32_b32 v1, s3, 0
                                        ; implicit-def: $vgpr2
	v_cmpx_eq_u32_e32 0, v1
	s_cbranch_execz .LBB1823_3
; %bb.2:
	s_load_dwordx2 s[6:7], s[4:5], 0x68
	s_bcnt1_i32_b32 s3, s3
	v_mov_b32_e32 v2, 0
	v_mov_b32_e32 v3, s3
	s_waitcnt lgkmcnt(0)
	global_atomic_add v2, v2, v3, s[6:7] glc
.LBB1823_3:
	s_or_b32 exec_lo, exec_lo, s2
	s_waitcnt vmcnt(0)
	v_readfirstlane_b32 s2, v2
	v_mov_b32_e32 v2, 0
	v_add_nc_u32_e32 v1, s2, v1
	ds_write_b32 v2, v1
.LBB1823_4:
	s_or_b32 exec_lo, exec_lo, s1
	v_mov_b32_e32 v2, 0
	s_clause 0x2
	s_load_dwordx8 s[8:15], s[4:5], 0x0
	s_load_dword s1, s[4:5], 0x40
	s_load_dwordx4 s[4:7], s[4:5], 0x48
	s_waitcnt lgkmcnt(0)
	s_barrier
	buffer_gl0_inv
	ds_read_b32 v5, v2
	s_waitcnt lgkmcnt(0)
	s_barrier
	buffer_gl0_inv
	s_barrier
	buffer_gl0_inv
	s_lshl_b64 s[10:11], s[10:11], 2
	s_mul_i32 s2, s21, s1
	s_add_u32 s19, s8, s10
	s_mul_hi_u32 s3, s20, s1
	s_mul_i32 s1, s20, s1
	s_addc_u32 s9, s9, s11
	v_mul_lo_u32 v1, 0x300, v5
	s_add_u32 s12, s12, s10
	s_addc_u32 s13, s13, s11
	s_add_i32 s3, s3, s2
	v_add_co_u32 v3, s1, s1, v5
	v_add_co_ci_u32_e64 v4, null, s3, 0, s1
	v_lshlrev_b64 v[9:10], 2, v[1:2]
	s_add_u32 s2, s4, -1
	s_addc_u32 s3, s5, -1
	v_readfirstlane_b32 s8, v5
	v_cmp_le_u64_e64 s1, s[2:3], v[3:4]
	s_mul_i32 s5, s2, 0xfffffd00
	v_add_co_u32 v4, vcc_lo, s19, v9
	v_add_co_ci_u32_e64 v5, null, s9, v10, vcc_lo
	v_add_co_u32 v8, vcc_lo, s12, v9
	v_add_co_ci_u32_e64 v11, null, s13, v10, vcc_lo
	s_and_b32 vcc_lo, exec_lo, s1
	s_cbranch_vccz .LBB1823_24
; %bb.5:
	flat_load_dword v1, v[4:5]
	s_add_i32 s9, s5, s18
	v_cmp_gt_u32_e64 s3, s9, v0
	s_waitcnt vmcnt(0) lgkmcnt(0)
	v_mov_b32_e32 v2, v1
	s_and_saveexec_b32 s2, s3
	s_cbranch_execz .LBB1823_7
; %bb.6:
	v_lshlrev_b32_e32 v2, 2, v0
	v_add_co_u32 v2, vcc_lo, v4, v2
	v_add_co_ci_u32_e64 v3, null, 0, v5, vcc_lo
	flat_load_dword v2, v[2:3]
.LBB1823_7:
	s_or_b32 exec_lo, exec_lo, s2
	v_or_b32_e32 v3, 0x100, v0
	v_cmp_gt_u32_e64 s2, s9, v3
	v_mov_b32_e32 v3, v1
	s_and_saveexec_b32 s4, s2
	s_cbranch_execz .LBB1823_9
; %bb.8:
	v_lshlrev_b32_e32 v3, 2, v0
	v_add_co_u32 v6, vcc_lo, v4, v3
	v_add_co_ci_u32_e64 v7, null, 0, v5, vcc_lo
	flat_load_dword v3, v[6:7] offset:1024
.LBB1823_9:
	s_or_b32 exec_lo, exec_lo, s4
	v_or_b32_e32 v6, 0x200, v0
	v_cmp_gt_u32_e32 vcc_lo, s9, v6
	v_lshlrev_b32_e32 v15, 2, v6
	s_and_saveexec_b32 s12, vcc_lo
	s_cbranch_execz .LBB1823_11
; %bb.10:
	v_add_co_u32 v6, s4, v4, v15
	v_add_co_ci_u32_e64 v7, null, 0, v5, s4
	flat_load_dword v1, v[6:7]
.LBB1823_11:
	s_or_b32 exec_lo, exec_lo, s12
	v_lshlrev_b32_e32 v16, 2, v0
	s_mov_b32 s12, exec_lo
	s_waitcnt vmcnt(0) lgkmcnt(0)
	ds_write2st64_b32 v16, v2, v3 offset1:4
	ds_write_b32 v16, v1 offset:2048
	s_waitcnt lgkmcnt(0)
	s_barrier
	buffer_gl0_inv
	flat_load_dword v12, v[4:5]
	v_lshlrev_b32_e32 v1, 3, v0
	v_add_nc_u32_e32 v13, v16, v1
	ds_read_b32 v14, v13
	ds_read2_b32 v[6:7], v13 offset0:1 offset1:2
	s_waitcnt lgkmcnt(1)
	ds_write_b32 v16, v14 offset:4096
	s_waitcnt vmcnt(0) lgkmcnt(0)
	s_barrier
	buffer_gl0_inv
	v_cmpx_ne_u32_e32 0xff, v0
; %bb.12:
	v_sub_nc_u32_e32 v1, 0, v1
	v_add_nc_u32_e32 v1, v13, v1
	ds_read_b32 v12, v1 offset:4100
; %bb.13:
	s_or_b32 exec_lo, exec_lo, s12
	v_mov_b32_e32 v1, 0
	s_waitcnt lgkmcnt(0)
	s_barrier
	buffer_gl0_inv
	v_mov_b32_e32 v2, v1
	v_mov_b32_e32 v3, v1
	s_and_saveexec_b32 s4, s3
	s_cbranch_execnz .LBB1823_132
; %bb.14:
	s_or_b32 exec_lo, exec_lo, s4
	s_and_saveexec_b32 s3, s2
	s_cbranch_execnz .LBB1823_133
.LBB1823_15:
	s_or_b32 exec_lo, exec_lo, s3
	v_mul_u32_u24_e32 v22, 3, v0
	s_and_saveexec_b32 s2, vcc_lo
	s_cbranch_execz .LBB1823_17
.LBB1823_16:
	v_add_co_u32 v17, vcc_lo, v8, v15
	v_add_co_ci_u32_e64 v18, null, 0, v11, vcc_lo
	flat_load_dword v3, v[17:18]
	s_waitcnt vmcnt(0) lgkmcnt(0)
	v_cvt_f32_u32_e32 v3, v3
.LBB1823_17:
	s_or_b32 exec_lo, exec_lo, s2
	ds_write2st64_b32 v16, v1, v2 offset1:4
	ds_write_b32 v16, v3 offset:2048
	v_mov_b32_e32 v1, 0
	v_mov_b32_e32 v16, 0
	;; [unrolled: 1-line block ×8, first 2 shown]
	s_mov_b32 s12, 0
	s_mov_b32 s2, 0
	s_mov_b32 s13, exec_lo
	s_waitcnt lgkmcnt(0)
	s_barrier
	buffer_gl0_inv
                                        ; implicit-def: $sgpr4
	v_cmpx_gt_u32_e64 s9, v22
	s_cbranch_execz .LBB1823_23
; %bb.18:
	ds_read_b32 v15, v13
	v_add_nc_u32_e32 v1, 1, v22
	v_mov_b32_e32 v3, 0
	v_mov_b32_e32 v20, 0
	s_mov_b32 s3, 0
	v_cmp_ne_u32_e32 vcc_lo, v14, v6
	v_cmp_gt_u32_e64 s2, s9, v1
	v_mov_b32_e32 v1, 0
                                        ; implicit-def: $sgpr4
	s_and_saveexec_b32 s19, s2
	s_cbranch_execz .LBB1823_22
; %bb.19:
	ds_read2_b32 v[1:2], v13 offset0:1 offset1:2
	v_add_nc_u32_e32 v3, 2, v22
	v_cmp_ne_u32_e64 s2, v6, v7
	v_mov_b32_e32 v20, 0
                                        ; implicit-def: $sgpr4
	v_cmp_gt_u32_e64 s3, s9, v3
	s_mov_b32 s9, 0
	s_and_saveexec_b32 s23, s3
	s_xor_b32 s3, exec_lo, s23
	s_cbranch_execz .LBB1823_21
; %bb.20:
	v_cmp_ne_u32_e64 s4, v7, v12
	s_mov_b32 s9, exec_lo
	s_waitcnt lgkmcnt(0)
	v_cndmask_b32_e64 v20, v2, s22, s4
.LBB1823_21:
	s_or_b32 exec_lo, exec_lo, s3
	v_cndmask_b32_e64 v3, 0, 1, s2
	s_waitcnt lgkmcnt(0)
	v_cndmask_b32_e64 v1, v1, s22, s2
	s_and_b32 s3, s9, exec_lo
.LBB1823_22:
	s_or_b32 exec_lo, exec_lo, s19
	s_waitcnt lgkmcnt(0)
	v_cndmask_b32_e64 v19, v15, s22, vcc_lo
	v_cndmask_b32_e64 v16, 0, 1, vcc_lo
	v_mov_b32_e32 v17, v1
	v_mov_b32_e32 v21, v3
	s_and_b32 s2, s3, exec_lo
	v_mov_b32_e32 v18, v19
.LBB1823_23:
	s_or_b32 exec_lo, exec_lo, s13
	v_lshlrev_b32_e32 v14, 2, v0
	v_lshlrev_b32_e32 v15, 3, v0
	s_and_b32 vcc_lo, exec_lo, s12
	s_cbranch_vccnz .LBB1823_25
	s_branch .LBB1823_28
.LBB1823_24:
	s_mov_b32 s2, 0
                                        ; implicit-def: $sgpr4
                                        ; implicit-def: $vgpr16
                                        ; implicit-def: $vgpr1
                                        ; implicit-def: $vgpr3
                                        ; implicit-def: $vgpr19
                                        ; implicit-def: $vgpr20
                                        ; implicit-def: $vgpr17
                                        ; implicit-def: $vgpr21
                                        ; implicit-def: $vgpr18
	v_lshlrev_b32_e32 v14, 2, v0
	v_lshlrev_b32_e32 v15, 3, v0
	s_cbranch_execz .LBB1823_28
.LBB1823_25:
	v_add_co_u32 v1, vcc_lo, v4, v14
	v_add_co_ci_u32_e64 v2, null, 0, v5, vcc_lo
	s_mov_b32 s2, exec_lo
	v_add_co_u32 v6, vcc_lo, 0x800, v1
	v_add_co_ci_u32_e64 v7, null, 0, v2, vcc_lo
	s_clause 0x2
	flat_load_dword v3, v[1:2]
	flat_load_dword v12, v[1:2] offset:1024
	flat_load_dword v6, v[6:7]
	v_add_co_u32 v1, vcc_lo, 0x800, v4
	v_add_co_ci_u32_e64 v2, null, 0, v5, vcc_lo
	v_add_nc_u32_e32 v5, v14, v15
	s_waitcnt vmcnt(1) lgkmcnt(1)
	ds_write2st64_b32 v14, v3, v12 offset1:4
	s_waitcnt vmcnt(0) lgkmcnt(1)
	ds_write_b32 v14, v6 offset:2048
	s_waitcnt lgkmcnt(0)
	s_barrier
	buffer_gl0_inv
	flat_load_dword v4, v[1:2] offset:1024
	ds_read_b32 v3, v5
	ds_read2_b32 v[1:2], v5 offset0:1 offset1:2
	s_waitcnt lgkmcnt(1)
	ds_write_b32 v14, v3 offset:4096
	s_waitcnt vmcnt(0) lgkmcnt(0)
	s_barrier
	buffer_gl0_inv
	v_cmpx_ne_u32_e32 0xff, v0
; %bb.26:
	v_sub_nc_u32_e32 v4, 0, v15
	v_add_nc_u32_e32 v4, v5, v4
	ds_read_b32 v4, v4 offset:4100
; %bb.27:
	s_or_b32 exec_lo, exec_lo, s2
	v_add_co_u32 v6, vcc_lo, v8, v14
	v_add_co_ci_u32_e64 v7, null, 0, v11, vcc_lo
	s_waitcnt lgkmcnt(0)
	v_add_co_u32 v11, vcc_lo, 0x800, v6
	v_add_co_ci_u32_e64 v12, null, 0, v7, vcc_lo
	s_barrier
	buffer_gl0_inv
	s_clause 0x2
	flat_load_dword v8, v[6:7]
	flat_load_dword v6, v[6:7] offset:1024
	flat_load_dword v7, v[11:12]
	v_cmp_ne_u32_e32 vcc_lo, v1, v2
	v_cmp_ne_u32_e64 s2, v3, v1
	v_cmp_ne_u32_e64 s4, v2, v4
	v_cndmask_b32_e64 v3, 0, 1, vcc_lo
	v_cndmask_b32_e64 v16, 0, 1, s2
	v_mov_b32_e32 v21, v3
	s_waitcnt vmcnt(2) lgkmcnt(2)
	v_cvt_f32_u32_e32 v8, v8
	s_waitcnt vmcnt(1) lgkmcnt(1)
	v_cvt_f32_u32_e32 v6, v6
	;; [unrolled: 2-line block ×3, first 2 shown]
	ds_write2st64_b32 v14, v8, v6 offset1:4
	ds_write_b32 v14, v7 offset:2048
	s_waitcnt lgkmcnt(0)
	s_barrier
	buffer_gl0_inv
	ds_read2_b32 v[6:7], v5 offset1:1
	ds_read_b32 v5, v5 offset:8
	s_waitcnt lgkmcnt(1)
	v_cndmask_b32_e64 v1, v7, s22, vcc_lo
	v_cndmask_b32_e64 v19, v6, s22, s2
	s_waitcnt lgkmcnt(0)
	v_cndmask_b32_e64 v20, v5, s22, s4
	s_mov_b32 s2, -1
	v_mov_b32_e32 v17, v1
	v_mov_b32_e32 v18, v19
.LBB1823_28:
	v_mov_b32_e32 v22, 0
	s_and_saveexec_b32 s3, s2
; %bb.29:
	v_cndmask_b32_e64 v22, 0, 1, s4
	v_mov_b32_e32 v18, v19
	v_mov_b32_e32 v21, v3
	;; [unrolled: 1-line block ×3, first 2 shown]
; %bb.30:
	s_or_b32 exec_lo, exec_lo, s3
	v_add_f32_e32 v24, v18, v17
	v_or_b32_e32 v23, v22, v21
	v_mbcnt_lo_u32_b32 v19, -1, 0
	s_cmp_lg_u32 s8, 0
	v_cmp_eq_u16_e32 vcc_lo, 0, v22
	s_barrier
	buffer_gl0_inv
	s_cbranch_scc0 .LBB1823_84
; %bb.31:
	v_mov_b32_e32 v2, 0
	v_cmp_eq_u16_sdwa s2, v21, v2 src0_sel:BYTE_0 src1_sel:DWORD
	v_cmp_eq_u16_sdwa s3, v23, v2 src0_sel:BYTE_0 src1_sel:DWORD
	v_cndmask_b32_e64 v1, v17, v24, s2
	v_cndmask_b32_e64 v5, 1, v16, s3
	s_mov_b32 s3, exec_lo
	v_add_f32_e32 v1, v1, v20
	v_and_b32_e32 v4, 0xff, v5
	v_cndmask_b32_e32 v3, v20, v1, vcc_lo
	v_and_b32_e32 v1, 15, v19
	v_mov_b32_dpp v6, v4 row_shr:1 row_mask:0xf bank_mask:0xf
	v_mov_b32_dpp v7, v3 row_shr:1 row_mask:0xf bank_mask:0xf
	v_cmpx_ne_u32_e32 0, v1
	s_cbranch_execz .LBB1823_33
; %bb.32:
	v_add_f32_e32 v4, v3, v7
	v_and_b32_e32 v7, 1, v5
	v_cmp_eq_u16_sdwa vcc_lo, v5, v2 src0_sel:BYTE_0 src1_sel:DWORD
	v_and_b32_e32 v6, 1, v6
	v_cndmask_b32_e32 v3, v3, v4, vcc_lo
	v_cmp_eq_u32_e32 vcc_lo, 1, v7
	v_cndmask_b32_e64 v4, v6, 1, vcc_lo
.LBB1823_33:
	s_or_b32 exec_lo, exec_lo, s3
	v_mov_b32_dpp v5, v3 row_shr:2 row_mask:0xf bank_mask:0xf
	v_mov_b32_dpp v2, v4 row_shr:2 row_mask:0xf bank_mask:0xf
	s_mov_b32 s3, exec_lo
	v_cmpx_lt_u32_e32 1, v1
	s_cbranch_execz .LBB1823_35
; %bb.34:
	v_add_f32_e32 v5, v3, v5
	v_and_b32_e32 v6, 1, v4
	v_cmp_eq_u32_e32 vcc_lo, 0, v4
	v_and_b32_e32 v2, 1, v2
	v_cndmask_b32_e32 v3, v3, v5, vcc_lo
	v_cmp_eq_u32_e32 vcc_lo, 1, v6
	v_cndmask_b32_e64 v4, v2, 1, vcc_lo
.LBB1823_35:
	s_or_b32 exec_lo, exec_lo, s3
	v_mov_b32_dpp v5, v3 row_shr:4 row_mask:0xf bank_mask:0xf
	v_mov_b32_dpp v2, v4 row_shr:4 row_mask:0xf bank_mask:0xf
	s_mov_b32 s3, exec_lo
	v_cmpx_lt_u32_e32 3, v1
	s_cbranch_execz .LBB1823_37
; %bb.36:
	v_add_f32_e32 v5, v3, v5
	v_and_b32_e32 v6, 1, v4
	v_cmp_eq_u32_e32 vcc_lo, 0, v4
	v_and_b32_e32 v2, 1, v2
	v_cndmask_b32_e32 v3, v3, v5, vcc_lo
	v_cmp_eq_u32_e32 vcc_lo, 1, v6
	v_cndmask_b32_e64 v4, v2, 1, vcc_lo
.LBB1823_37:
	;; [unrolled: 15-line block ×3, first 2 shown]
	s_or_b32 exec_lo, exec_lo, s3
	ds_swizzle_b32 v2, v3 offset:swizzle(BROADCAST,32,15)
	ds_swizzle_b32 v1, v4 offset:swizzle(BROADCAST,32,15)
	v_and_b32_e32 v5, 16, v19
	s_mov_b32 s3, exec_lo
	v_cmpx_ne_u32_e32 0, v5
	s_cbranch_execz .LBB1823_41
; %bb.40:
	s_waitcnt lgkmcnt(1)
	v_add_f32_e32 v2, v3, v2
	v_and_b32_e32 v5, 1, v4
	v_cmp_eq_u32_e32 vcc_lo, 0, v4
	s_waitcnt lgkmcnt(0)
	v_and_b32_e32 v1, 1, v1
	v_cndmask_b32_e32 v3, v3, v2, vcc_lo
	v_cmp_eq_u32_e32 vcc_lo, 1, v5
	v_cndmask_b32_e64 v4, v1, 1, vcc_lo
.LBB1823_41:
	s_or_b32 exec_lo, exec_lo, s3
	s_waitcnt lgkmcnt(1)
	v_lshrrev_b32_e32 v2, 5, v0
	s_waitcnt lgkmcnt(0)
	v_or_b32_e32 v1, 31, v0
	s_mov_b32 s3, exec_lo
	v_lshlrev_b32_e32 v5, 3, v2
	v_cmpx_eq_u32_e64 v0, v1
	s_cbranch_execz .LBB1823_43
; %bb.42:
	ds_write_b32 v5, v3
	ds_write_b8 v5, v4 offset:4
.LBB1823_43:
	s_or_b32 exec_lo, exec_lo, s3
	s_mov_b32 s4, exec_lo
	s_waitcnt lgkmcnt(0)
	s_barrier
	buffer_gl0_inv
	v_cmpx_gt_u32_e32 8, v0
	s_cbranch_execz .LBB1823_49
; %bb.44:
	ds_read_b64 v[1:2], v15
	v_and_b32_e32 v6, 7, v19
	s_mov_b32 s3, exec_lo
	s_waitcnt lgkmcnt(0)
	v_mov_b32_dpp v8, v1 row_shr:1 row_mask:0xf bank_mask:0xf
	v_mov_b32_dpp v11, v2 row_shr:1 row_mask:0xf bank_mask:0xf
	v_mov_b32_e32 v7, v2
	v_cmpx_ne_u32_e32 0, v6
	s_cbranch_execz .LBB1823_46
; %bb.45:
	v_and_b32_e32 v7, 1, v2
	v_and_b32_e32 v11, 1, v11
	v_mov_b32_e32 v12, 0
	v_add_f32_e32 v8, v1, v8
	v_cmp_eq_u32_e32 vcc_lo, 1, v7
	v_cndmask_b32_e64 v7, v11, 1, vcc_lo
	v_cmp_eq_u16_sdwa vcc_lo, v2, v12 src0_sel:BYTE_0 src1_sel:DWORD
	v_and_or_b32 v2, 0xffffff00, v2, v7
	v_cndmask_b32_e32 v1, v1, v8, vcc_lo
.LBB1823_46:
	s_or_b32 exec_lo, exec_lo, s3
	v_mov_b32_dpp v8, v1 row_shr:2 row_mask:0xf bank_mask:0xf
	v_mov_b32_dpp v11, v2 row_shr:2 row_mask:0xf bank_mask:0xf
	s_mov_b32 s9, exec_lo
	v_cmpx_lt_u32_e32 1, v6
	s_cbranch_execz .LBB1823_48
; %bb.47:
	v_and_b32_e32 v13, 1, v7
	v_mov_b32_e32 v12, 0
	v_and_b32_e32 v11, 1, v11
	v_add_f32_e32 v8, v1, v8
	v_cmp_eq_u32_e64 s3, 1, v13
	v_cmp_eq_u16_sdwa vcc_lo, v7, v12 src0_sel:BYTE_0 src1_sel:DWORD
	v_cndmask_b32_e64 v7, v11, 1, s3
	v_cndmask_b32_e32 v1, v1, v8, vcc_lo
	v_and_or_b32 v2, 0xffffff00, v2, v7
.LBB1823_48:
	s_or_b32 exec_lo, exec_lo, s9
	v_mov_b32_dpp v8, v2 row_shr:4 row_mask:0xf bank_mask:0xf
	v_and_b32_e32 v12, 1, v7
	v_mov_b32_e32 v11, 0
	v_mov_b32_dpp v13, v1 row_shr:4 row_mask:0xf bank_mask:0xf
	v_and_b32_e32 v8, 1, v8
	v_cmp_eq_u32_e32 vcc_lo, 1, v12
	v_cmp_eq_u16_sdwa s3, v7, v11 src0_sel:BYTE_0 src1_sel:DWORD
	v_cndmask_b32_e64 v7, v8, 1, vcc_lo
	v_cmp_lt_u32_e32 vcc_lo, 3, v6
	v_add_f32_e32 v6, v1, v13
	v_cndmask_b32_e32 v2, v2, v7, vcc_lo
	s_and_b32 vcc_lo, vcc_lo, s3
	v_cndmask_b32_e32 v1, v1, v6, vcc_lo
	ds_write_b32 v15, v1
	ds_write_b8 v15, v2 offset:4
.LBB1823_49:
	s_or_b32 exec_lo, exec_lo, s4
	v_mov_b32_e32 v26, 0
	v_mov_b32_e32 v25, 0
	s_mov_b32 s4, exec_lo
	v_cmp_gt_u32_e32 vcc_lo, 32, v0
	s_waitcnt lgkmcnt(0)
	s_barrier
	buffer_gl0_inv
	v_cmpx_lt_u32_e32 31, v0
	s_cbranch_execz .LBB1823_51
; %bb.50:
	v_add_nc_u32_e32 v1, -8, v5
	v_and_b32_e32 v2, 1, v4
	v_cmp_eq_u32_e64 s3, 0, v4
	ds_read_b32 v25, v1
	v_add_nc_u32_e32 v1, -4, v5
	ds_read_u8 v26, v1
	s_waitcnt lgkmcnt(1)
	v_add_f32_e32 v1, v3, v25
	v_cndmask_b32_e64 v3, v3, v1, s3
	v_cmp_eq_u32_e64 s3, 1, v2
	s_waitcnt lgkmcnt(0)
	v_cndmask_b32_e64 v4, v26, 1, s3
.LBB1823_51:
	s_or_b32 exec_lo, exec_lo, s4
	v_sub_co_u32 v1, s3, v19, 1
	v_cmp_gt_i32_e64 s4, 0, v1
	v_cndmask_b32_e64 v1, v1, v19, s4
	v_lshlrev_b32_e32 v1, 2, v1
	ds_bpermute_b32 v27, v1, v3
	ds_bpermute_b32 v28, v1, v4
	s_and_saveexec_b32 s9, vcc_lo
	s_cbranch_execz .LBB1823_89
; %bb.52:
	v_mov_b32_e32 v4, 0
	ds_read_b64 v[1:2], v4 offset:56
	s_and_saveexec_b32 s4, s3
	s_cbranch_execz .LBB1823_54
; %bb.53:
	s_add_i32 s12, s8, 32
	s_mov_b32 s13, 0
	v_mov_b32_e32 v3, 1
	s_lshl_b64 s[12:13], s[12:13], 4
	s_add_u32 s12, s16, s12
	s_addc_u32 s13, s17, s13
	v_mov_b32_e32 v5, s12
	v_mov_b32_e32 v6, s13
	s_waitcnt lgkmcnt(0)
	;;#ASMSTART
	global_store_dwordx4 v[5:6], v[1:4] off	
s_waitcnt vmcnt(0)
	;;#ASMEND
.LBB1823_54:
	s_or_b32 exec_lo, exec_lo, s4
	v_xad_u32 v11, v19, -1, s8
	s_mov_b32 s12, 0
	v_add_nc_u32_e32 v3, 32, v11
	v_lshlrev_b64 v[5:6], 4, v[3:4]
	v_add_co_u32 v12, vcc_lo, s16, v5
	v_add_co_ci_u32_e64 v13, null, s17, v6, vcc_lo
	;;#ASMSTART
	global_load_dwordx4 v[5:8], v[12:13] off glc dlc	
s_waitcnt vmcnt(0)
	;;#ASMEND
	v_cmp_eq_u16_sdwa s13, v7, v4 src0_sel:BYTE_0 src1_sel:DWORD
	s_and_saveexec_b32 s4, s13
	s_cbranch_execz .LBB1823_58
; %bb.55:
	v_mov_b32_e32 v3, 0
.LBB1823_56:                            ; =>This Inner Loop Header: Depth=1
	;;#ASMSTART
	global_load_dwordx4 v[5:8], v[12:13] off glc dlc	
s_waitcnt vmcnt(0)
	;;#ASMEND
	v_cmp_ne_u16_sdwa s13, v7, v3 src0_sel:BYTE_0 src1_sel:DWORD
	s_or_b32 s12, s13, s12
	s_andn2_b32 exec_lo, exec_lo, s12
	s_cbranch_execnz .LBB1823_56
; %bb.57:
	s_or_b32 exec_lo, exec_lo, s12
.LBB1823_58:
	s_or_b32 exec_lo, exec_lo, s4
	v_cmp_ne_u32_e32 vcc_lo, 31, v19
	v_mov_b32_e32 v8, 2
	v_and_b32_e32 v4, 0xff, v6
	v_lshlrev_b32_e64 v29, v19, -1
	s_mov_b32 s12, exec_lo
	v_add_co_ci_u32_e64 v3, null, 0, v19, vcc_lo
	v_cmp_eq_u16_sdwa s4, v7, v8 src0_sel:BYTE_0 src1_sel:DWORD
	v_lshlrev_b32_e32 v13, 2, v3
	v_and_or_b32 v3, s4, v29, 0x80000000
	ds_bpermute_b32 v8, v13, v5
	ds_bpermute_b32 v12, v13, v4
	v_ffbl_b32_e32 v3, v3
	v_cmpx_lt_u32_e64 v19, v3
	s_cbranch_execz .LBB1823_60
; %bb.59:
	v_and_b32_e32 v30, 1, v6
	v_mov_b32_e32 v4, 0
	s_waitcnt lgkmcnt(0)
	v_and_b32_e32 v12, 1, v12
	v_add_f32_e32 v8, v5, v8
	v_cmp_eq_u32_e64 s4, 1, v30
	v_cmp_eq_u16_sdwa vcc_lo, v6, v4 src0_sel:BYTE_0 src1_sel:DWORD
	v_cndmask_b32_e64 v6, v12, 1, s4
	v_cndmask_b32_e32 v5, v5, v8, vcc_lo
	v_and_b32_e32 v4, 0xffff, v6
.LBB1823_60:
	s_or_b32 exec_lo, exec_lo, s12
	v_cmp_gt_u32_e32 vcc_lo, 30, v19
	v_add_nc_u32_e32 v31, 2, v19
	s_mov_b32 s12, exec_lo
	s_waitcnt lgkmcnt(1)
	v_cndmask_b32_e64 v8, 0, 2, vcc_lo
	v_add_lshl_u32 v30, v8, v19, 2
	ds_bpermute_b32 v8, v30, v5
	s_waitcnt lgkmcnt(1)
	ds_bpermute_b32 v12, v30, v4
	v_cmpx_le_u32_e64 v31, v3
	s_cbranch_execz .LBB1823_62
; %bb.61:
	v_and_b32_e32 v32, 1, v6
	v_mov_b32_e32 v4, 0
	s_waitcnt lgkmcnt(0)
	v_and_b32_e32 v12, 1, v12
	v_add_f32_e32 v8, v5, v8
	v_cmp_eq_u32_e64 s4, 1, v32
	v_cmp_eq_u16_sdwa vcc_lo, v6, v4 src0_sel:BYTE_0 src1_sel:DWORD
	v_cndmask_b32_e64 v6, v12, 1, s4
	v_cndmask_b32_e32 v5, v5, v8, vcc_lo
	v_and_b32_e32 v4, 0xffff, v6
.LBB1823_62:
	s_or_b32 exec_lo, exec_lo, s12
	v_cmp_gt_u32_e32 vcc_lo, 28, v19
	v_add_nc_u32_e32 v33, 4, v19
	s_mov_b32 s12, exec_lo
	s_waitcnt lgkmcnt(1)
	v_cndmask_b32_e64 v8, 0, 4, vcc_lo
	v_add_lshl_u32 v32, v8, v19, 2
	ds_bpermute_b32 v8, v32, v5
	s_waitcnt lgkmcnt(1)
	ds_bpermute_b32 v12, v32, v4
	v_cmpx_le_u32_e64 v33, v3
	;; [unrolled: 24-line block ×3, first 2 shown]
	s_cbranch_execz .LBB1823_66
; %bb.65:
	v_and_b32_e32 v36, 1, v6
	v_mov_b32_e32 v4, 0
	s_waitcnt lgkmcnt(0)
	v_and_b32_e32 v12, 1, v12
	v_add_f32_e32 v8, v5, v8
	v_cmp_eq_u32_e64 s4, 1, v36
	v_cmp_eq_u16_sdwa vcc_lo, v6, v4 src0_sel:BYTE_0 src1_sel:DWORD
	v_cndmask_b32_e64 v6, v12, 1, s4
	v_cndmask_b32_e32 v5, v5, v8, vcc_lo
	v_and_b32_e32 v4, 0xffff, v6
.LBB1823_66:
	s_or_b32 exec_lo, exec_lo, s12
	v_lshl_or_b32 v38, v19, 2, 64
	v_add_nc_u32_e32 v39, 16, v19
	s_mov_b32 s4, exec_lo
	s_waitcnt lgkmcnt(1)
	ds_bpermute_b32 v8, v38, v5
	ds_bpermute_b32 v4, v38, v4
	v_cmpx_le_u32_e64 v39, v3
	s_cbranch_execz .LBB1823_68
; %bb.67:
	v_mov_b32_e32 v3, 0
	s_waitcnt lgkmcnt(1)
	v_add_f32_e32 v8, v5, v8
	v_and_b32_e32 v12, 1, v6
	s_waitcnt lgkmcnt(0)
	v_and_b32_e32 v4, 1, v4
	v_cmp_eq_u16_sdwa vcc_lo, v6, v3 src0_sel:BYTE_0 src1_sel:DWORD
	v_cndmask_b32_e32 v5, v5, v8, vcc_lo
	v_cmp_eq_u32_e32 vcc_lo, 1, v12
	v_cndmask_b32_e64 v6, v4, 1, vcc_lo
.LBB1823_68:
	s_or_b32 exec_lo, exec_lo, s4
	s_waitcnt lgkmcnt(2)
	v_mov_b32_e32 v12, 0
	v_mov_b32_e32 v40, 2
	s_branch .LBB1823_71
.LBB1823_69:                            ;   in Loop: Header=BB1823_71 Depth=1
	s_or_b32 exec_lo, exec_lo, s12
	s_waitcnt lgkmcnt(1)
	ds_bpermute_b32 v8, v38, v5
	ds_bpermute_b32 v4, v38, v4
	s_waitcnt lgkmcnt(2)
	v_and_b32_e32 v41, 1, v6
	v_subrev_nc_u32_e32 v11, 32, v11
	s_mov_b32 s4, 0
	v_cmp_eq_u32_e32 vcc_lo, 1, v41
	s_waitcnt lgkmcnt(1)
	v_add_f32_e32 v8, v5, v8
	s_waitcnt lgkmcnt(0)
	v_cndmask_b32_e64 v4, v4, 1, vcc_lo
	v_cmp_eq_u16_sdwa vcc_lo, v6, v12 src0_sel:BYTE_0 src1_sel:DWORD
	v_cndmask_b32_e32 v8, v5, v8, vcc_lo
	v_cmp_gt_u32_e32 vcc_lo, v39, v3
	v_cndmask_b32_e32 v3, v4, v6, vcc_lo
	v_cndmask_b32_e32 v4, v8, v5, vcc_lo
	v_and_b32_e32 v6, 1, v36
	v_cmp_eq_u16_sdwa vcc_lo, v36, v12 src0_sel:BYTE_0 src1_sel:DWORD
	v_and_b32_e32 v3, 1, v3
	v_add_f32_e32 v4, v37, v4
	v_cndmask_b32_e32 v5, v37, v4, vcc_lo
	v_cmp_eq_u32_e32 vcc_lo, 1, v6
	v_cndmask_b32_e64 v6, v3, 1, vcc_lo
.LBB1823_70:                            ;   in Loop: Header=BB1823_71 Depth=1
	s_and_b32 vcc_lo, exec_lo, s4
	s_cbranch_vccnz .LBB1823_85
.LBB1823_71:                            ; =>This Loop Header: Depth=1
                                        ;     Child Loop BB1823_74 Depth 2
	v_cmp_ne_u16_sdwa s4, v7, v40 src0_sel:BYTE_0 src1_sel:DWORD
	v_mov_b32_e32 v36, v6
	v_mov_b32_e32 v37, v5
                                        ; implicit-def: $vgpr6
	s_cmp_lg_u32 s4, exec_lo
	s_mov_b32 s4, -1
	s_cbranch_scc1 .LBB1823_70
; %bb.72:                               ;   in Loop: Header=BB1823_71 Depth=1
	s_waitcnt lgkmcnt(0)
	v_lshlrev_b64 v[3:4], 4, v[11:12]
	v_add_co_u32 v3, vcc_lo, s16, v3
	v_add_co_ci_u32_e64 v4, null, s17, v4, vcc_lo
	;;#ASMSTART
	global_load_dwordx4 v[5:8], v[3:4] off glc dlc	
s_waitcnt vmcnt(0)
	;;#ASMEND
	v_cmp_eq_u16_sdwa s12, v7, v12 src0_sel:BYTE_0 src1_sel:DWORD
	s_and_saveexec_b32 s4, s12
	s_cbranch_execz .LBB1823_76
; %bb.73:                               ;   in Loop: Header=BB1823_71 Depth=1
	s_mov_b32 s12, 0
.LBB1823_74:                            ;   Parent Loop BB1823_71 Depth=1
                                        ; =>  This Inner Loop Header: Depth=2
	;;#ASMSTART
	global_load_dwordx4 v[5:8], v[3:4] off glc dlc	
s_waitcnt vmcnt(0)
	;;#ASMEND
	v_cmp_ne_u16_sdwa s13, v7, v12 src0_sel:BYTE_0 src1_sel:DWORD
	s_or_b32 s12, s13, s12
	s_andn2_b32 exec_lo, exec_lo, s12
	s_cbranch_execnz .LBB1823_74
; %bb.75:                               ;   in Loop: Header=BB1823_71 Depth=1
	s_or_b32 exec_lo, exec_lo, s12
.LBB1823_76:                            ;   in Loop: Header=BB1823_71 Depth=1
	s_or_b32 exec_lo, exec_lo, s4
	v_and_b32_e32 v4, 0xff, v6
	ds_bpermute_b32 v8, v13, v5
	v_cmp_eq_u16_sdwa s4, v7, v40 src0_sel:BYTE_0 src1_sel:DWORD
	s_mov_b32 s12, exec_lo
	ds_bpermute_b32 v41, v13, v4
	v_and_or_b32 v3, s4, v29, 0x80000000
	v_ffbl_b32_e32 v3, v3
	v_cmpx_lt_u32_e64 v19, v3
	s_cbranch_execz .LBB1823_78
; %bb.77:                               ;   in Loop: Header=BB1823_71 Depth=1
	v_and_b32_e32 v4, 1, v6
	s_waitcnt lgkmcnt(0)
	v_and_b32_e32 v41, 1, v41
	v_add_f32_e32 v8, v5, v8
	v_cmp_eq_u16_sdwa vcc_lo, v6, v12 src0_sel:BYTE_0 src1_sel:DWORD
	v_cmp_eq_u32_e64 s4, 1, v4
	v_cndmask_b32_e32 v5, v5, v8, vcc_lo
	v_cndmask_b32_e64 v6, v41, 1, s4
	v_and_b32_e32 v4, 0xffff, v6
.LBB1823_78:                            ;   in Loop: Header=BB1823_71 Depth=1
	s_or_b32 exec_lo, exec_lo, s12
	s_waitcnt lgkmcnt(1)
	ds_bpermute_b32 v8, v30, v5
	s_waitcnt lgkmcnt(1)
	ds_bpermute_b32 v41, v30, v4
	s_mov_b32 s12, exec_lo
	v_cmpx_le_u32_e64 v31, v3
	s_cbranch_execz .LBB1823_80
; %bb.79:                               ;   in Loop: Header=BB1823_71 Depth=1
	v_and_b32_e32 v4, 1, v6
	s_waitcnt lgkmcnt(0)
	v_and_b32_e32 v41, 1, v41
	v_add_f32_e32 v8, v5, v8
	v_cmp_eq_u16_sdwa vcc_lo, v6, v12 src0_sel:BYTE_0 src1_sel:DWORD
	v_cmp_eq_u32_e64 s4, 1, v4
	v_cndmask_b32_e32 v5, v5, v8, vcc_lo
	v_cndmask_b32_e64 v6, v41, 1, s4
	v_and_b32_e32 v4, 0xffff, v6
.LBB1823_80:                            ;   in Loop: Header=BB1823_71 Depth=1
	s_or_b32 exec_lo, exec_lo, s12
	s_waitcnt lgkmcnt(1)
	ds_bpermute_b32 v8, v32, v5
	s_waitcnt lgkmcnt(1)
	ds_bpermute_b32 v41, v32, v4
	s_mov_b32 s12, exec_lo
	v_cmpx_le_u32_e64 v33, v3
	;; [unrolled: 19-line block ×3, first 2 shown]
	s_cbranch_execz .LBB1823_69
; %bb.83:                               ;   in Loop: Header=BB1823_71 Depth=1
	v_and_b32_e32 v4, 1, v6
	s_waitcnt lgkmcnt(0)
	v_and_b32_e32 v41, 1, v41
	v_add_f32_e32 v8, v5, v8
	v_cmp_eq_u16_sdwa vcc_lo, v6, v12 src0_sel:BYTE_0 src1_sel:DWORD
	v_cmp_eq_u32_e64 s4, 1, v4
	v_cndmask_b32_e32 v5, v5, v8, vcc_lo
	v_cndmask_b32_e64 v6, v41, 1, s4
	v_and_b32_e32 v4, 0xffff, v6
	s_branch .LBB1823_69
.LBB1823_84:
                                        ; implicit-def: $vgpr7
                                        ; implicit-def: $vgpr5
                                        ; implicit-def: $vgpr6
	s_cbranch_execnz .LBB1823_90
	s_branch .LBB1823_115
.LBB1823_85:
	s_and_saveexec_b32 s4, s3
	s_cbranch_execz .LBB1823_87
; %bb.86:
	s_waitcnt lgkmcnt(0)
	v_mov_b32_e32 v4, 0
	v_add_f32_e32 v3, v37, v1
	v_and_b32_e32 v5, 1, v2
	s_mov_b32 s13, 0
	s_add_i32 s12, s8, 32
	v_cmp_eq_u32_sdwa vcc_lo, v2, v4 src0_sel:BYTE_0 src1_sel:DWORD
	v_and_b32_e32 v6, 1, v36
	s_lshl_b64 s[12:13], s[12:13], 4
	s_add_u32 s12, s16, s12
	v_cndmask_b32_e32 v1, v1, v3, vcc_lo
	v_cmp_eq_u32_e32 vcc_lo, 1, v5
	s_addc_u32 s13, s17, s13
	v_mov_b32_e32 v3, 2
	v_cndmask_b32_e64 v2, v6, 1, vcc_lo
	v_mov_b32_e32 v5, s12
	v_mov_b32_e32 v6, s13
	;;#ASMSTART
	global_store_dwordx4 v[5:6], v[1:4] off	
s_waitcnt vmcnt(0)
	;;#ASMEND
.LBB1823_87:
	s_or_b32 exec_lo, exec_lo, s4
	s_and_b32 exec_lo, exec_lo, s0
	s_cbranch_execz .LBB1823_89
; %bb.88:
	v_mov_b32_e32 v1, 0
	ds_write_b32 v1, v37 offset:56
	ds_write_b8 v1, v36 offset:60
.LBB1823_89:
	s_or_b32 exec_lo, exec_lo, s9
	v_mov_b32_e32 v1, 0
	s_waitcnt lgkmcnt(0)
	s_barrier
	buffer_gl0_inv
	v_cndmask_b32_e64 v3, v27, v25, s3
	ds_read_b32 v2, v1 offset:56
	v_cndmask_b32_e64 v4, v28, v26, s3
	v_cmp_eq_u32_sdwa vcc_lo, v4, v1 src0_sel:BYTE_0 src1_sel:DWORD
	s_waitcnt lgkmcnt(0)
	v_add_f32_e32 v5, v3, v2
	v_cndmask_b32_e32 v3, v3, v5, vcc_lo
	v_cmp_eq_u16_sdwa vcc_lo, v16, v1 src0_sel:BYTE_0 src1_sel:DWORD
	v_cndmask_b32_e64 v6, v3, v2, s0
	v_add_f32_e32 v2, v18, v6
	v_cndmask_b32_e32 v5, v18, v2, vcc_lo
	v_add_f32_e32 v1, v17, v5
	v_cndmask_b32_e64 v7, v17, v1, s2
	s_branch .LBB1823_115
.LBB1823_90:
	s_cmp_eq_u64 s[20:21], 0
	v_mov_b32_e32 v3, s22
	s_cselect_b32 s2, -1, 0
	s_cmp_eq_u64 s[6:7], 0
	s_cselect_b32 s3, -1, 0
	s_or_b32 s2, s2, s3
	s_and_b32 vcc_lo, exec_lo, s2
	s_cbranch_vccnz .LBB1823_92
; %bb.91:
	v_mov_b32_e32 v1, 0
	global_load_dword v3, v1, s[6:7]
.LBB1823_92:
	v_mov_b32_e32 v2, 0
	s_mov_b32 s3, exec_lo
	v_cmp_eq_u16_sdwa vcc_lo, v21, v2 src0_sel:BYTE_0 src1_sel:DWORD
	v_cmp_eq_u16_sdwa s2, v23, v2 src0_sel:BYTE_0 src1_sel:DWORD
	v_cndmask_b32_e32 v1, v17, v24, vcc_lo
	v_cndmask_b32_e64 v6, 1, v16, s2
	v_cmp_eq_u16_e64 s2, 0, v22
	v_add_f32_e32 v1, v1, v20
	v_and_b32_e32 v5, 0xff, v6
	v_cndmask_b32_e64 v4, v20, v1, s2
	v_and_b32_e32 v1, 15, v19
	v_mov_b32_dpp v7, v5 row_shr:1 row_mask:0xf bank_mask:0xf
	v_mov_b32_dpp v8, v4 row_shr:1 row_mask:0xf bank_mask:0xf
	v_cmpx_ne_u32_e32 0, v1
	s_cbranch_execz .LBB1823_94
; %bb.93:
	v_add_f32_e32 v5, v4, v8
	v_and_b32_e32 v8, 1, v6
	v_cmp_eq_u16_sdwa s2, v6, v2 src0_sel:BYTE_0 src1_sel:DWORD
	v_and_b32_e32 v7, 1, v7
	v_cndmask_b32_e64 v4, v4, v5, s2
	v_cmp_eq_u32_e64 s2, 1, v8
	v_cndmask_b32_e64 v5, v7, 1, s2
.LBB1823_94:
	s_or_b32 exec_lo, exec_lo, s3
	v_mov_b32_dpp v6, v4 row_shr:2 row_mask:0xf bank_mask:0xf
	v_mov_b32_dpp v2, v5 row_shr:2 row_mask:0xf bank_mask:0xf
	s_mov_b32 s3, exec_lo
	v_cmpx_lt_u32_e32 1, v1
	s_cbranch_execz .LBB1823_96
; %bb.95:
	v_add_f32_e32 v6, v4, v6
	v_and_b32_e32 v7, 1, v5
	v_cmp_eq_u32_e64 s2, 0, v5
	v_and_b32_e32 v2, 1, v2
	v_cndmask_b32_e64 v4, v4, v6, s2
	v_cmp_eq_u32_e64 s2, 1, v7
	v_cndmask_b32_e64 v5, v2, 1, s2
.LBB1823_96:
	s_or_b32 exec_lo, exec_lo, s3
	v_mov_b32_dpp v6, v4 row_shr:4 row_mask:0xf bank_mask:0xf
	v_mov_b32_dpp v2, v5 row_shr:4 row_mask:0xf bank_mask:0xf
	s_mov_b32 s3, exec_lo
	v_cmpx_lt_u32_e32 3, v1
	s_cbranch_execz .LBB1823_98
; %bb.97:
	v_add_f32_e32 v6, v4, v6
	v_and_b32_e32 v7, 1, v5
	v_cmp_eq_u32_e64 s2, 0, v5
	v_and_b32_e32 v2, 1, v2
	v_cndmask_b32_e64 v4, v4, v6, s2
	v_cmp_eq_u32_e64 s2, 1, v7
	v_cndmask_b32_e64 v5, v2, 1, s2
.LBB1823_98:
	;; [unrolled: 15-line block ×3, first 2 shown]
	s_or_b32 exec_lo, exec_lo, s3
	ds_swizzle_b32 v2, v4 offset:swizzle(BROADCAST,32,15)
	ds_swizzle_b32 v1, v5 offset:swizzle(BROADCAST,32,15)
	v_and_b32_e32 v6, 16, v19
	s_mov_b32 s3, exec_lo
	v_cmpx_ne_u32_e32 0, v6
	s_cbranch_execz .LBB1823_102
; %bb.101:
	s_waitcnt lgkmcnt(1)
	v_add_f32_e32 v2, v4, v2
	v_and_b32_e32 v6, 1, v5
	v_cmp_eq_u32_e64 s2, 0, v5
	s_waitcnt lgkmcnt(0)
	v_and_b32_e32 v1, 1, v1
	v_cndmask_b32_e64 v4, v4, v2, s2
	v_cmp_eq_u32_e64 s2, 1, v6
	v_cndmask_b32_e64 v5, v1, 1, s2
.LBB1823_102:
	s_or_b32 exec_lo, exec_lo, s3
	s_waitcnt lgkmcnt(1)
	v_lshrrev_b32_e32 v2, 5, v0
	s_waitcnt lgkmcnt(0)
	v_or_b32_e32 v1, 31, v0
	s_mov_b32 s3, exec_lo
	v_lshlrev_b32_e32 v6, 3, v2
	v_cmpx_eq_u32_e64 v0, v1
	s_cbranch_execz .LBB1823_104
; %bb.103:
	ds_write_b32 v6, v4
	ds_write_b8 v6, v5 offset:4
.LBB1823_104:
	s_or_b32 exec_lo, exec_lo, s3
	s_mov_b32 s4, exec_lo
	s_waitcnt vmcnt(0) lgkmcnt(0)
	s_barrier
	buffer_gl0_inv
	v_cmpx_gt_u32_e32 8, v0
	s_cbranch_execz .LBB1823_110
; %bb.105:
	ds_read_b64 v[1:2], v15
	v_and_b32_e32 v7, 7, v19
	s_mov_b32 s3, exec_lo
	s_waitcnt lgkmcnt(0)
	v_mov_b32_dpp v11, v1 row_shr:1 row_mask:0xf bank_mask:0xf
	v_mov_b32_dpp v12, v2 row_shr:1 row_mask:0xf bank_mask:0xf
	v_mov_b32_e32 v8, v2
	v_cmpx_ne_u32_e32 0, v7
	s_cbranch_execz .LBB1823_107
; %bb.106:
	v_and_b32_e32 v8, 1, v2
	v_and_b32_e32 v12, 1, v12
	v_mov_b32_e32 v13, 0
	v_add_f32_e32 v11, v1, v11
	v_cmp_eq_u32_e64 s2, 1, v8
	v_cndmask_b32_e64 v8, v12, 1, s2
	v_cmp_eq_u16_sdwa s2, v2, v13 src0_sel:BYTE_0 src1_sel:DWORD
	v_and_or_b32 v2, 0xffffff00, v2, v8
	v_cndmask_b32_e64 v1, v1, v11, s2
.LBB1823_107:
	s_or_b32 exec_lo, exec_lo, s3
	v_mov_b32_dpp v11, v1 row_shr:2 row_mask:0xf bank_mask:0xf
	v_mov_b32_dpp v12, v2 row_shr:2 row_mask:0xf bank_mask:0xf
	s_mov_b32 s6, exec_lo
	v_cmpx_lt_u32_e32 1, v7
	s_cbranch_execz .LBB1823_109
; %bb.108:
	v_and_b32_e32 v20, 1, v8
	v_mov_b32_e32 v13, 0
	v_and_b32_e32 v12, 1, v12
	v_add_f32_e32 v11, v1, v11
	v_cmp_eq_u32_e64 s3, 1, v20
	v_cmp_eq_u16_sdwa s2, v8, v13 src0_sel:BYTE_0 src1_sel:DWORD
	v_cndmask_b32_e64 v8, v12, 1, s3
	v_cndmask_b32_e64 v1, v1, v11, s2
	v_and_or_b32 v2, 0xffffff00, v2, v8
.LBB1823_109:
	s_or_b32 exec_lo, exec_lo, s6
	v_mov_b32_dpp v11, v2 row_shr:4 row_mask:0xf bank_mask:0xf
	v_and_b32_e32 v13, 1, v8
	v_mov_b32_e32 v12, 0
	v_mov_b32_dpp v20, v1 row_shr:4 row_mask:0xf bank_mask:0xf
	v_and_b32_e32 v11, 1, v11
	v_cmp_eq_u32_e64 s2, 1, v13
	v_cmp_eq_u16_sdwa s3, v8, v12 src0_sel:BYTE_0 src1_sel:DWORD
	v_cndmask_b32_e64 v8, v11, 1, s2
	v_cmp_lt_u32_e64 s2, 3, v7
	v_add_f32_e32 v7, v1, v20
	v_cndmask_b32_e64 v2, v2, v8, s2
	s_and_b32 s2, s2, s3
	v_cndmask_b32_e64 v1, v1, v7, s2
	ds_write_b32 v15, v1
	ds_write_b8 v15, v2 offset:4
.LBB1823_110:
	s_or_b32 exec_lo, exec_lo, s4
	v_mov_b32_e32 v1, v3
	s_mov_b32 s3, exec_lo
	s_waitcnt lgkmcnt(0)
	s_barrier
	buffer_gl0_inv
	v_cmpx_lt_u32_e32 31, v0
	s_cbranch_execz .LBB1823_112
; %bb.111:
	v_add_nc_u32_e32 v1, -8, v6
	v_add_nc_u32_e32 v2, -4, v6
	ds_read_b32 v1, v1
	ds_read_u8 v2, v2
	s_waitcnt lgkmcnt(1)
	v_add_f32_e32 v6, v3, v1
	s_waitcnt lgkmcnt(0)
	v_cmp_eq_u16_e64 s2, 0, v2
	v_cndmask_b32_e64 v1, v1, v6, s2
.LBB1823_112:
	s_or_b32 exec_lo, exec_lo, s3
	v_sub_co_u32 v2, s2, v19, 1
	v_add_f32_e32 v6, v4, v1
	v_cmp_gt_i32_e64 s3, 0, v2
	v_cndmask_b32_e64 v2, v2, v19, s3
	v_cmp_eq_u32_e64 s3, 0, v5
	v_lshlrev_b32_e32 v2, 2, v2
	v_cndmask_b32_e64 v4, v4, v6, s3
	ds_bpermute_b32 v2, v2, v4
	s_waitcnt lgkmcnt(0)
	v_cndmask_b32_e64 v6, v2, v1, s2
	v_mov_b32_e32 v2, 0
	v_cndmask_b32_e64 v1, v6, v3, s0
	v_cmp_eq_u16_sdwa s2, v16, v2 src0_sel:BYTE_0 src1_sel:DWORD
	v_add_f32_e32 v1, v18, v1
	v_cndmask_b32_e64 v5, v18, v1, s2
	v_add_f32_e32 v4, v17, v5
	s_and_saveexec_b32 s2, s0
	s_cbranch_execz .LBB1823_114
; %bb.113:
	ds_read_u8 v1, v2 offset:60
	ds_read_b32 v6, v2 offset:56
	s_add_u32 s6, s16, 0x200
	s_addc_u32 s7, s17, 0
	v_mov_b32_e32 v21, v2
	v_mov_b32_e32 v20, 2
	s_waitcnt lgkmcnt(1)
	v_and_b32_e32 v1, 0xffff, v1
	s_waitcnt lgkmcnt(0)
	v_add_f32_e32 v7, v3, v6
	v_cmp_eq_u64_e64 s0, 0, v[1:2]
	v_mov_b32_e32 v19, v1
	v_mov_b32_e32 v1, s6
	;; [unrolled: 1-line block ×3, first 2 shown]
	v_cndmask_b32_e64 v18, v6, v7, s0
	v_mov_b32_e32 v6, v3
	;;#ASMSTART
	global_store_dwordx4 v[1:2], v[18:21] off	
s_waitcnt vmcnt(0)
	;;#ASMEND
.LBB1823_114:
	s_or_b32 exec_lo, exec_lo, s2
	v_cndmask_b32_e32 v7, v17, v4, vcc_lo
.LBB1823_115:
	s_add_u32 s0, s14, s10
	s_addc_u32 s2, s15, s11
	v_add_co_u32 v8, vcc_lo, s0, v9
	v_add_co_ci_u32_e64 v9, null, s2, v10, vcc_lo
	v_mov_b32_e32 v3, 0
	s_and_b32 vcc_lo, exec_lo, s1
	s_cbranch_vccz .LBB1823_127
; %bb.116:
	v_mul_u32_u24_e32 v1, 3, v0
	v_mov_b32_e32 v4, 0
	v_mov_b32_e32 v2, 0
	s_add_i32 s5, s5, s18
	s_mov_b32 s0, exec_lo
	v_cmpx_gt_u32_e64 s5, v1
	s_cbranch_execz .LBB1823_122
; %bb.117:
	v_add_nc_u32_e32 v3, 1, v1
	v_mov_b32_e32 v2, 0
	v_mov_b32_e32 v4, 0
	s_mov_b32 s1, exec_lo
	v_cmpx_gt_u32_e64 s5, v3
	s_cbranch_execz .LBB1823_121
; %bb.118:
	v_add_nc_u32_e32 v2, 2, v1
	v_cmp_gt_u32_e32 vcc_lo, s5, v2
	v_mov_b32_e32 v2, 0
	s_and_saveexec_b32 s2, vcc_lo
; %bb.119:
	v_mov_b32_e32 v2, v7
; %bb.120:
	s_or_b32 exec_lo, exec_lo, s2
	v_mov_b32_e32 v4, v5
.LBB1823_121:
	s_or_b32 exec_lo, exec_lo, s1
	v_mov_b32_e32 v3, v6
.LBB1823_122:
	s_or_b32 exec_lo, exec_lo, s0
	v_lshlrev_b32_e32 v10, 2, v1
	s_barrier
	buffer_gl0_inv
	s_mov_b32 s0, exec_lo
	v_sub_nc_u32_e32 v1, v10, v15
	ds_write2_b32 v10, v3, v4 offset1:1
	ds_write_b32 v10, v2 offset:8
	s_waitcnt lgkmcnt(0)
	s_barrier
	buffer_gl0_inv
	ds_read2st64_b32 v[1:2], v1 offset0:4 offset1:8
	v_add_co_u32 v3, vcc_lo, v8, v14
	v_add_co_ci_u32_e64 v4, null, 0, v9, vcc_lo
	v_cmpx_gt_u32_e64 s5, v0
	s_cbranch_execz .LBB1823_124
; %bb.123:
	v_sub_nc_u32_e32 v11, 0, v15
	v_add_nc_u32_e32 v10, v10, v11
	ds_read_b32 v10, v10
	s_waitcnt lgkmcnt(0)
	v_cvt_i32_f32_e32 v10, v10
	flat_store_dword v[3:4], v10
.LBB1823_124:
	s_or_b32 exec_lo, exec_lo, s0
	v_or_b32_e32 v10, 0x100, v0
	s_mov_b32 s0, exec_lo
	v_cmpx_gt_u32_e64 s5, v10
	s_cbranch_execz .LBB1823_126
; %bb.125:
	s_waitcnt lgkmcnt(0)
	v_cvt_i32_f32_e32 v1, v1
	flat_store_dword v[3:4], v1 offset:1024
.LBB1823_126:
	s_or_b32 exec_lo, exec_lo, s0
	s_waitcnt lgkmcnt(0)
	v_or_b32_e32 v1, 0x200, v0
	v_cmp_gt_u32_e64 s0, s5, v1
	s_branch .LBB1823_129
.LBB1823_127:
	s_mov_b32 s0, 0
                                        ; implicit-def: $vgpr2
	s_cbranch_execz .LBB1823_129
; %bb.128:
	v_mul_u32_u24_e32 v1, 12, v0
	s_waitcnt_vscnt null, 0x0
	s_barrier
	buffer_gl0_inv
	s_or_b32 s0, s0, exec_lo
	v_sub_nc_u32_e32 v2, v1, v15
	ds_write2_b32 v1, v6, v5 offset1:1
	ds_write_b32 v1, v7 offset:8
	s_waitcnt lgkmcnt(0)
	s_barrier
	buffer_gl0_inv
	ds_read2st64_b32 v[3:4], v2 offset1:4
	ds_read_b32 v2, v2 offset:2048
	v_add_co_u32 v5, vcc_lo, v8, v14
	v_add_co_ci_u32_e64 v6, null, 0, v9, vcc_lo
	s_waitcnt lgkmcnt(1)
	v_cvt_i32_f32_e32 v1, v3
	v_cvt_i32_f32_e32 v3, v4
	flat_store_dword v[5:6], v1
	flat_store_dword v[5:6], v3 offset:1024
.LBB1823_129:
	s_and_saveexec_b32 s1, s0
	s_cbranch_execnz .LBB1823_131
; %bb.130:
	s_endpgm
.LBB1823_131:
	v_lshlrev_b32_e32 v0, 2, v0
	s_waitcnt lgkmcnt(2)
	v_cvt_i32_f32_e32 v2, v2
	v_add_co_u32 v0, vcc_lo, v8, v0
	v_add_co_ci_u32_e64 v1, null, 0, v9, vcc_lo
	v_add_co_u32 v0, vcc_lo, 0x800, v0
	v_add_co_ci_u32_e64 v1, null, 0, v1, vcc_lo
	flat_store_dword v[0:1], v2
	s_endpgm
.LBB1823_132:
	v_add_co_u32 v2, s3, v8, v16
	v_add_co_ci_u32_e64 v3, null, 0, v11, s3
	v_mov_b32_e32 v18, v1
	v_mov_b32_e32 v19, v1
	flat_load_dword v2, v[2:3]
	s_waitcnt vmcnt(0) lgkmcnt(0)
	v_cvt_f32_u32_e32 v17, v2
	v_mov_b32_e32 v1, v17
	v_mov_b32_e32 v2, v18
	;; [unrolled: 1-line block ×3, first 2 shown]
	s_or_b32 exec_lo, exec_lo, s4
	s_and_saveexec_b32 s3, s2
	s_cbranch_execz .LBB1823_15
.LBB1823_133:
	v_add_co_u32 v17, s2, v8, v16
	v_add_co_ci_u32_e64 v18, null, 0, v11, s2
	flat_load_dword v2, v[17:18] offset:1024
	s_waitcnt vmcnt(0) lgkmcnt(0)
	v_cvt_f32_u32_e32 v2, v2
	s_or_b32 exec_lo, exec_lo, s3
	v_mul_u32_u24_e32 v22, 3, v0
	s_and_saveexec_b32 s2, vcc_lo
	s_cbranch_execnz .LBB1823_16
	s_branch .LBB1823_17
	.section	.rodata,"a",@progbits
	.p2align	6, 0x0
	.amdhsa_kernel _ZN7rocprim17ROCPRIM_400000_NS6detail17trampoline_kernelINS0_14default_configENS1_27scan_by_key_config_selectorIifEEZZNS1_16scan_by_key_implILNS1_25lookback_scan_determinismE0ELb1ES3_N6thrust23THRUST_200600_302600_NS6detail15normal_iteratorINS9_10device_ptrIiEEEENSB_INSC_IjEEEESE_fNS9_4plusIvEENS9_8equal_toIvEEfEE10hipError_tPvRmT2_T3_T4_T5_mT6_T7_P12ihipStream_tbENKUlT_T0_E_clISt17integral_constantIbLb0EES10_IbLb1EEEEDaSW_SX_EUlSW_E_NS1_11comp_targetILNS1_3genE8ELNS1_11target_archE1030ELNS1_3gpuE2ELNS1_3repE0EEENS1_30default_config_static_selectorELNS0_4arch9wavefront6targetE0EEEvT1_
		.amdhsa_group_segment_fixed_size 5120
		.amdhsa_private_segment_fixed_size 0
		.amdhsa_kernarg_size 112
		.amdhsa_user_sgpr_count 6
		.amdhsa_user_sgpr_private_segment_buffer 1
		.amdhsa_user_sgpr_dispatch_ptr 0
		.amdhsa_user_sgpr_queue_ptr 0
		.amdhsa_user_sgpr_kernarg_segment_ptr 1
		.amdhsa_user_sgpr_dispatch_id 0
		.amdhsa_user_sgpr_flat_scratch_init 0
		.amdhsa_user_sgpr_private_segment_size 0
		.amdhsa_wavefront_size32 1
		.amdhsa_uses_dynamic_stack 0
		.amdhsa_system_sgpr_private_segment_wavefront_offset 0
		.amdhsa_system_sgpr_workgroup_id_x 1
		.amdhsa_system_sgpr_workgroup_id_y 0
		.amdhsa_system_sgpr_workgroup_id_z 0
		.amdhsa_system_sgpr_workgroup_info 0
		.amdhsa_system_vgpr_workitem_id 0
		.amdhsa_next_free_vgpr 42
		.amdhsa_next_free_sgpr 24
		.amdhsa_reserve_vcc 1
		.amdhsa_reserve_flat_scratch 1
		.amdhsa_float_round_mode_32 0
		.amdhsa_float_round_mode_16_64 0
		.amdhsa_float_denorm_mode_32 3
		.amdhsa_float_denorm_mode_16_64 3
		.amdhsa_dx10_clamp 1
		.amdhsa_ieee_mode 1
		.amdhsa_fp16_overflow 0
		.amdhsa_workgroup_processor_mode 1
		.amdhsa_memory_ordered 1
		.amdhsa_forward_progress 1
		.amdhsa_shared_vgpr_count 0
		.amdhsa_exception_fp_ieee_invalid_op 0
		.amdhsa_exception_fp_denorm_src 0
		.amdhsa_exception_fp_ieee_div_zero 0
		.amdhsa_exception_fp_ieee_overflow 0
		.amdhsa_exception_fp_ieee_underflow 0
		.amdhsa_exception_fp_ieee_inexact 0
		.amdhsa_exception_int_div_zero 0
	.end_amdhsa_kernel
	.section	.text._ZN7rocprim17ROCPRIM_400000_NS6detail17trampoline_kernelINS0_14default_configENS1_27scan_by_key_config_selectorIifEEZZNS1_16scan_by_key_implILNS1_25lookback_scan_determinismE0ELb1ES3_N6thrust23THRUST_200600_302600_NS6detail15normal_iteratorINS9_10device_ptrIiEEEENSB_INSC_IjEEEESE_fNS9_4plusIvEENS9_8equal_toIvEEfEE10hipError_tPvRmT2_T3_T4_T5_mT6_T7_P12ihipStream_tbENKUlT_T0_E_clISt17integral_constantIbLb0EES10_IbLb1EEEEDaSW_SX_EUlSW_E_NS1_11comp_targetILNS1_3genE8ELNS1_11target_archE1030ELNS1_3gpuE2ELNS1_3repE0EEENS1_30default_config_static_selectorELNS0_4arch9wavefront6targetE0EEEvT1_,"axG",@progbits,_ZN7rocprim17ROCPRIM_400000_NS6detail17trampoline_kernelINS0_14default_configENS1_27scan_by_key_config_selectorIifEEZZNS1_16scan_by_key_implILNS1_25lookback_scan_determinismE0ELb1ES3_N6thrust23THRUST_200600_302600_NS6detail15normal_iteratorINS9_10device_ptrIiEEEENSB_INSC_IjEEEESE_fNS9_4plusIvEENS9_8equal_toIvEEfEE10hipError_tPvRmT2_T3_T4_T5_mT6_T7_P12ihipStream_tbENKUlT_T0_E_clISt17integral_constantIbLb0EES10_IbLb1EEEEDaSW_SX_EUlSW_E_NS1_11comp_targetILNS1_3genE8ELNS1_11target_archE1030ELNS1_3gpuE2ELNS1_3repE0EEENS1_30default_config_static_selectorELNS0_4arch9wavefront6targetE0EEEvT1_,comdat
.Lfunc_end1823:
	.size	_ZN7rocprim17ROCPRIM_400000_NS6detail17trampoline_kernelINS0_14default_configENS1_27scan_by_key_config_selectorIifEEZZNS1_16scan_by_key_implILNS1_25lookback_scan_determinismE0ELb1ES3_N6thrust23THRUST_200600_302600_NS6detail15normal_iteratorINS9_10device_ptrIiEEEENSB_INSC_IjEEEESE_fNS9_4plusIvEENS9_8equal_toIvEEfEE10hipError_tPvRmT2_T3_T4_T5_mT6_T7_P12ihipStream_tbENKUlT_T0_E_clISt17integral_constantIbLb0EES10_IbLb1EEEEDaSW_SX_EUlSW_E_NS1_11comp_targetILNS1_3genE8ELNS1_11target_archE1030ELNS1_3gpuE2ELNS1_3repE0EEENS1_30default_config_static_selectorELNS0_4arch9wavefront6targetE0EEEvT1_, .Lfunc_end1823-_ZN7rocprim17ROCPRIM_400000_NS6detail17trampoline_kernelINS0_14default_configENS1_27scan_by_key_config_selectorIifEEZZNS1_16scan_by_key_implILNS1_25lookback_scan_determinismE0ELb1ES3_N6thrust23THRUST_200600_302600_NS6detail15normal_iteratorINS9_10device_ptrIiEEEENSB_INSC_IjEEEESE_fNS9_4plusIvEENS9_8equal_toIvEEfEE10hipError_tPvRmT2_T3_T4_T5_mT6_T7_P12ihipStream_tbENKUlT_T0_E_clISt17integral_constantIbLb0EES10_IbLb1EEEEDaSW_SX_EUlSW_E_NS1_11comp_targetILNS1_3genE8ELNS1_11target_archE1030ELNS1_3gpuE2ELNS1_3repE0EEENS1_30default_config_static_selectorELNS0_4arch9wavefront6targetE0EEEvT1_
                                        ; -- End function
	.set _ZN7rocprim17ROCPRIM_400000_NS6detail17trampoline_kernelINS0_14default_configENS1_27scan_by_key_config_selectorIifEEZZNS1_16scan_by_key_implILNS1_25lookback_scan_determinismE0ELb1ES3_N6thrust23THRUST_200600_302600_NS6detail15normal_iteratorINS9_10device_ptrIiEEEENSB_INSC_IjEEEESE_fNS9_4plusIvEENS9_8equal_toIvEEfEE10hipError_tPvRmT2_T3_T4_T5_mT6_T7_P12ihipStream_tbENKUlT_T0_E_clISt17integral_constantIbLb0EES10_IbLb1EEEEDaSW_SX_EUlSW_E_NS1_11comp_targetILNS1_3genE8ELNS1_11target_archE1030ELNS1_3gpuE2ELNS1_3repE0EEENS1_30default_config_static_selectorELNS0_4arch9wavefront6targetE0EEEvT1_.num_vgpr, 42
	.set _ZN7rocprim17ROCPRIM_400000_NS6detail17trampoline_kernelINS0_14default_configENS1_27scan_by_key_config_selectorIifEEZZNS1_16scan_by_key_implILNS1_25lookback_scan_determinismE0ELb1ES3_N6thrust23THRUST_200600_302600_NS6detail15normal_iteratorINS9_10device_ptrIiEEEENSB_INSC_IjEEEESE_fNS9_4plusIvEENS9_8equal_toIvEEfEE10hipError_tPvRmT2_T3_T4_T5_mT6_T7_P12ihipStream_tbENKUlT_T0_E_clISt17integral_constantIbLb0EES10_IbLb1EEEEDaSW_SX_EUlSW_E_NS1_11comp_targetILNS1_3genE8ELNS1_11target_archE1030ELNS1_3gpuE2ELNS1_3repE0EEENS1_30default_config_static_selectorELNS0_4arch9wavefront6targetE0EEEvT1_.num_agpr, 0
	.set _ZN7rocprim17ROCPRIM_400000_NS6detail17trampoline_kernelINS0_14default_configENS1_27scan_by_key_config_selectorIifEEZZNS1_16scan_by_key_implILNS1_25lookback_scan_determinismE0ELb1ES3_N6thrust23THRUST_200600_302600_NS6detail15normal_iteratorINS9_10device_ptrIiEEEENSB_INSC_IjEEEESE_fNS9_4plusIvEENS9_8equal_toIvEEfEE10hipError_tPvRmT2_T3_T4_T5_mT6_T7_P12ihipStream_tbENKUlT_T0_E_clISt17integral_constantIbLb0EES10_IbLb1EEEEDaSW_SX_EUlSW_E_NS1_11comp_targetILNS1_3genE8ELNS1_11target_archE1030ELNS1_3gpuE2ELNS1_3repE0EEENS1_30default_config_static_selectorELNS0_4arch9wavefront6targetE0EEEvT1_.numbered_sgpr, 24
	.set _ZN7rocprim17ROCPRIM_400000_NS6detail17trampoline_kernelINS0_14default_configENS1_27scan_by_key_config_selectorIifEEZZNS1_16scan_by_key_implILNS1_25lookback_scan_determinismE0ELb1ES3_N6thrust23THRUST_200600_302600_NS6detail15normal_iteratorINS9_10device_ptrIiEEEENSB_INSC_IjEEEESE_fNS9_4plusIvEENS9_8equal_toIvEEfEE10hipError_tPvRmT2_T3_T4_T5_mT6_T7_P12ihipStream_tbENKUlT_T0_E_clISt17integral_constantIbLb0EES10_IbLb1EEEEDaSW_SX_EUlSW_E_NS1_11comp_targetILNS1_3genE8ELNS1_11target_archE1030ELNS1_3gpuE2ELNS1_3repE0EEENS1_30default_config_static_selectorELNS0_4arch9wavefront6targetE0EEEvT1_.num_named_barrier, 0
	.set _ZN7rocprim17ROCPRIM_400000_NS6detail17trampoline_kernelINS0_14default_configENS1_27scan_by_key_config_selectorIifEEZZNS1_16scan_by_key_implILNS1_25lookback_scan_determinismE0ELb1ES3_N6thrust23THRUST_200600_302600_NS6detail15normal_iteratorINS9_10device_ptrIiEEEENSB_INSC_IjEEEESE_fNS9_4plusIvEENS9_8equal_toIvEEfEE10hipError_tPvRmT2_T3_T4_T5_mT6_T7_P12ihipStream_tbENKUlT_T0_E_clISt17integral_constantIbLb0EES10_IbLb1EEEEDaSW_SX_EUlSW_E_NS1_11comp_targetILNS1_3genE8ELNS1_11target_archE1030ELNS1_3gpuE2ELNS1_3repE0EEENS1_30default_config_static_selectorELNS0_4arch9wavefront6targetE0EEEvT1_.private_seg_size, 0
	.set _ZN7rocprim17ROCPRIM_400000_NS6detail17trampoline_kernelINS0_14default_configENS1_27scan_by_key_config_selectorIifEEZZNS1_16scan_by_key_implILNS1_25lookback_scan_determinismE0ELb1ES3_N6thrust23THRUST_200600_302600_NS6detail15normal_iteratorINS9_10device_ptrIiEEEENSB_INSC_IjEEEESE_fNS9_4plusIvEENS9_8equal_toIvEEfEE10hipError_tPvRmT2_T3_T4_T5_mT6_T7_P12ihipStream_tbENKUlT_T0_E_clISt17integral_constantIbLb0EES10_IbLb1EEEEDaSW_SX_EUlSW_E_NS1_11comp_targetILNS1_3genE8ELNS1_11target_archE1030ELNS1_3gpuE2ELNS1_3repE0EEENS1_30default_config_static_selectorELNS0_4arch9wavefront6targetE0EEEvT1_.uses_vcc, 1
	.set _ZN7rocprim17ROCPRIM_400000_NS6detail17trampoline_kernelINS0_14default_configENS1_27scan_by_key_config_selectorIifEEZZNS1_16scan_by_key_implILNS1_25lookback_scan_determinismE0ELb1ES3_N6thrust23THRUST_200600_302600_NS6detail15normal_iteratorINS9_10device_ptrIiEEEENSB_INSC_IjEEEESE_fNS9_4plusIvEENS9_8equal_toIvEEfEE10hipError_tPvRmT2_T3_T4_T5_mT6_T7_P12ihipStream_tbENKUlT_T0_E_clISt17integral_constantIbLb0EES10_IbLb1EEEEDaSW_SX_EUlSW_E_NS1_11comp_targetILNS1_3genE8ELNS1_11target_archE1030ELNS1_3gpuE2ELNS1_3repE0EEENS1_30default_config_static_selectorELNS0_4arch9wavefront6targetE0EEEvT1_.uses_flat_scratch, 1
	.set _ZN7rocprim17ROCPRIM_400000_NS6detail17trampoline_kernelINS0_14default_configENS1_27scan_by_key_config_selectorIifEEZZNS1_16scan_by_key_implILNS1_25lookback_scan_determinismE0ELb1ES3_N6thrust23THRUST_200600_302600_NS6detail15normal_iteratorINS9_10device_ptrIiEEEENSB_INSC_IjEEEESE_fNS9_4plusIvEENS9_8equal_toIvEEfEE10hipError_tPvRmT2_T3_T4_T5_mT6_T7_P12ihipStream_tbENKUlT_T0_E_clISt17integral_constantIbLb0EES10_IbLb1EEEEDaSW_SX_EUlSW_E_NS1_11comp_targetILNS1_3genE8ELNS1_11target_archE1030ELNS1_3gpuE2ELNS1_3repE0EEENS1_30default_config_static_selectorELNS0_4arch9wavefront6targetE0EEEvT1_.has_dyn_sized_stack, 0
	.set _ZN7rocprim17ROCPRIM_400000_NS6detail17trampoline_kernelINS0_14default_configENS1_27scan_by_key_config_selectorIifEEZZNS1_16scan_by_key_implILNS1_25lookback_scan_determinismE0ELb1ES3_N6thrust23THRUST_200600_302600_NS6detail15normal_iteratorINS9_10device_ptrIiEEEENSB_INSC_IjEEEESE_fNS9_4plusIvEENS9_8equal_toIvEEfEE10hipError_tPvRmT2_T3_T4_T5_mT6_T7_P12ihipStream_tbENKUlT_T0_E_clISt17integral_constantIbLb0EES10_IbLb1EEEEDaSW_SX_EUlSW_E_NS1_11comp_targetILNS1_3genE8ELNS1_11target_archE1030ELNS1_3gpuE2ELNS1_3repE0EEENS1_30default_config_static_selectorELNS0_4arch9wavefront6targetE0EEEvT1_.has_recursion, 0
	.set _ZN7rocprim17ROCPRIM_400000_NS6detail17trampoline_kernelINS0_14default_configENS1_27scan_by_key_config_selectorIifEEZZNS1_16scan_by_key_implILNS1_25lookback_scan_determinismE0ELb1ES3_N6thrust23THRUST_200600_302600_NS6detail15normal_iteratorINS9_10device_ptrIiEEEENSB_INSC_IjEEEESE_fNS9_4plusIvEENS9_8equal_toIvEEfEE10hipError_tPvRmT2_T3_T4_T5_mT6_T7_P12ihipStream_tbENKUlT_T0_E_clISt17integral_constantIbLb0EES10_IbLb1EEEEDaSW_SX_EUlSW_E_NS1_11comp_targetILNS1_3genE8ELNS1_11target_archE1030ELNS1_3gpuE2ELNS1_3repE0EEENS1_30default_config_static_selectorELNS0_4arch9wavefront6targetE0EEEvT1_.has_indirect_call, 0
	.section	.AMDGPU.csdata,"",@progbits
; Kernel info:
; codeLenInByte = 6308
; TotalNumSgprs: 26
; NumVgprs: 42
; ScratchSize: 0
; MemoryBound: 0
; FloatMode: 240
; IeeeMode: 1
; LDSByteSize: 5120 bytes/workgroup (compile time only)
; SGPRBlocks: 0
; VGPRBlocks: 5
; NumSGPRsForWavesPerEU: 26
; NumVGPRsForWavesPerEU: 42
; Occupancy: 16
; WaveLimiterHint : 1
; COMPUTE_PGM_RSRC2:SCRATCH_EN: 0
; COMPUTE_PGM_RSRC2:USER_SGPR: 6
; COMPUTE_PGM_RSRC2:TRAP_HANDLER: 0
; COMPUTE_PGM_RSRC2:TGID_X_EN: 1
; COMPUTE_PGM_RSRC2:TGID_Y_EN: 0
; COMPUTE_PGM_RSRC2:TGID_Z_EN: 0
; COMPUTE_PGM_RSRC2:TIDIG_COMP_CNT: 0
	.section	.text._ZN6thrust23THRUST_200600_302600_NS11hip_rocprim14__parallel_for6kernelILj256ENS1_11__transform17unary_transform_fINS0_7pointerIiNS1_3tagENS0_11use_defaultES8_EENS0_10device_ptrIjEENS4_14no_stencil_tagENS0_8identityIiEENS4_21always_true_predicateEEElLj1EEEvT0_T1_SI_,"axG",@progbits,_ZN6thrust23THRUST_200600_302600_NS11hip_rocprim14__parallel_for6kernelILj256ENS1_11__transform17unary_transform_fINS0_7pointerIiNS1_3tagENS0_11use_defaultES8_EENS0_10device_ptrIjEENS4_14no_stencil_tagENS0_8identityIiEENS4_21always_true_predicateEEElLj1EEEvT0_T1_SI_,comdat
	.protected	_ZN6thrust23THRUST_200600_302600_NS11hip_rocprim14__parallel_for6kernelILj256ENS1_11__transform17unary_transform_fINS0_7pointerIiNS1_3tagENS0_11use_defaultES8_EENS0_10device_ptrIjEENS4_14no_stencil_tagENS0_8identityIiEENS4_21always_true_predicateEEElLj1EEEvT0_T1_SI_ ; -- Begin function _ZN6thrust23THRUST_200600_302600_NS11hip_rocprim14__parallel_for6kernelILj256ENS1_11__transform17unary_transform_fINS0_7pointerIiNS1_3tagENS0_11use_defaultES8_EENS0_10device_ptrIjEENS4_14no_stencil_tagENS0_8identityIiEENS4_21always_true_predicateEEElLj1EEEvT0_T1_SI_
	.globl	_ZN6thrust23THRUST_200600_302600_NS11hip_rocprim14__parallel_for6kernelILj256ENS1_11__transform17unary_transform_fINS0_7pointerIiNS1_3tagENS0_11use_defaultES8_EENS0_10device_ptrIjEENS4_14no_stencil_tagENS0_8identityIiEENS4_21always_true_predicateEEElLj1EEEvT0_T1_SI_
	.p2align	8
	.type	_ZN6thrust23THRUST_200600_302600_NS11hip_rocprim14__parallel_for6kernelILj256ENS1_11__transform17unary_transform_fINS0_7pointerIiNS1_3tagENS0_11use_defaultES8_EENS0_10device_ptrIjEENS4_14no_stencil_tagENS0_8identityIiEENS4_21always_true_predicateEEElLj1EEEvT0_T1_SI_,@function
_ZN6thrust23THRUST_200600_302600_NS11hip_rocprim14__parallel_for6kernelILj256ENS1_11__transform17unary_transform_fINS0_7pointerIiNS1_3tagENS0_11use_defaultES8_EENS0_10device_ptrIjEENS4_14no_stencil_tagENS0_8identityIiEENS4_21always_true_predicateEEElLj1EEEvT0_T1_SI_: ; @_ZN6thrust23THRUST_200600_302600_NS11hip_rocprim14__parallel_for6kernelILj256ENS1_11__transform17unary_transform_fINS0_7pointerIiNS1_3tagENS0_11use_defaultES8_EENS0_10device_ptrIjEENS4_14no_stencil_tagENS0_8identityIiEENS4_21always_true_predicateEEElLj1EEEvT0_T1_SI_
; %bb.0:
	s_clause 0x1
	s_load_dwordx4 s[8:11], s[4:5], 0x18
	s_load_dwordx4 s[0:3], s[4:5], 0x0
	s_lshl_b32 s4, s6, 8
	s_waitcnt lgkmcnt(0)
	s_add_u32 s4, s10, s4
	s_addc_u32 s5, s11, 0
	s_sub_u32 s6, s8, s4
	s_subb_u32 s7, s9, s5
	v_cmp_gt_i64_e64 s7, 0x100, s[6:7]
	s_and_b32 s7, s7, exec_lo
	s_cselect_b32 s7, s6, 0x100
	s_mov_b32 s6, -1
	s_cmpk_eq_i32 s7, 0x100
	s_cbranch_scc0 .LBB1824_3
; %bb.1:
	s_andn2_b32 vcc_lo, exec_lo, s6
	s_cbranch_vccz .LBB1824_6
.LBB1824_2:
	s_endpgm
.LBB1824_3:
	s_mov_b32 s6, exec_lo
	v_cmpx_gt_u32_e64 s7, v0
	s_cbranch_execz .LBB1824_5
; %bb.4:
	v_add_co_u32 v1, s7, s4, v0
	v_add_co_ci_u32_e64 v2, null, s5, 0, s7
	v_lshlrev_b64 v[1:2], 2, v[1:2]
	v_add_co_u32 v3, vcc_lo, s0, v1
	v_add_co_ci_u32_e64 v4, null, s1, v2, vcc_lo
	v_add_co_u32 v1, vcc_lo, s2, v1
	v_add_co_ci_u32_e64 v2, null, s3, v2, vcc_lo
	flat_load_dword v3, v[3:4]
	s_waitcnt vmcnt(0) lgkmcnt(0)
	flat_store_dword v[1:2], v3
.LBB1824_5:
	s_or_b32 exec_lo, exec_lo, s6
	s_cbranch_execnz .LBB1824_2
.LBB1824_6:
	v_add_co_u32 v0, s4, s4, v0
	v_add_co_ci_u32_e64 v1, null, s5, 0, s4
	v_lshlrev_b64 v[0:1], 2, v[0:1]
	v_add_co_u32 v2, vcc_lo, s0, v0
	v_add_co_ci_u32_e64 v3, null, s1, v1, vcc_lo
	v_add_co_u32 v0, vcc_lo, s2, v0
	v_add_co_ci_u32_e64 v1, null, s3, v1, vcc_lo
	flat_load_dword v2, v[2:3]
	s_waitcnt vmcnt(0) lgkmcnt(0)
	flat_store_dword v[0:1], v2
	s_endpgm
	.section	.rodata,"a",@progbits
	.p2align	6, 0x0
	.amdhsa_kernel _ZN6thrust23THRUST_200600_302600_NS11hip_rocprim14__parallel_for6kernelILj256ENS1_11__transform17unary_transform_fINS0_7pointerIiNS1_3tagENS0_11use_defaultES8_EENS0_10device_ptrIjEENS4_14no_stencil_tagENS0_8identityIiEENS4_21always_true_predicateEEElLj1EEEvT0_T1_SI_
		.amdhsa_group_segment_fixed_size 0
		.amdhsa_private_segment_fixed_size 0
		.amdhsa_kernarg_size 40
		.amdhsa_user_sgpr_count 6
		.amdhsa_user_sgpr_private_segment_buffer 1
		.amdhsa_user_sgpr_dispatch_ptr 0
		.amdhsa_user_sgpr_queue_ptr 0
		.amdhsa_user_sgpr_kernarg_segment_ptr 1
		.amdhsa_user_sgpr_dispatch_id 0
		.amdhsa_user_sgpr_flat_scratch_init 0
		.amdhsa_user_sgpr_private_segment_size 0
		.amdhsa_wavefront_size32 1
		.amdhsa_uses_dynamic_stack 0
		.amdhsa_system_sgpr_private_segment_wavefront_offset 0
		.amdhsa_system_sgpr_workgroup_id_x 1
		.amdhsa_system_sgpr_workgroup_id_y 0
		.amdhsa_system_sgpr_workgroup_id_z 0
		.amdhsa_system_sgpr_workgroup_info 0
		.amdhsa_system_vgpr_workitem_id 0
		.amdhsa_next_free_vgpr 5
		.amdhsa_next_free_sgpr 12
		.amdhsa_reserve_vcc 1
		.amdhsa_reserve_flat_scratch 0
		.amdhsa_float_round_mode_32 0
		.amdhsa_float_round_mode_16_64 0
		.amdhsa_float_denorm_mode_32 3
		.amdhsa_float_denorm_mode_16_64 3
		.amdhsa_dx10_clamp 1
		.amdhsa_ieee_mode 1
		.amdhsa_fp16_overflow 0
		.amdhsa_workgroup_processor_mode 1
		.amdhsa_memory_ordered 1
		.amdhsa_forward_progress 1
		.amdhsa_shared_vgpr_count 0
		.amdhsa_exception_fp_ieee_invalid_op 0
		.amdhsa_exception_fp_denorm_src 0
		.amdhsa_exception_fp_ieee_div_zero 0
		.amdhsa_exception_fp_ieee_overflow 0
		.amdhsa_exception_fp_ieee_underflow 0
		.amdhsa_exception_fp_ieee_inexact 0
		.amdhsa_exception_int_div_zero 0
	.end_amdhsa_kernel
	.section	.text._ZN6thrust23THRUST_200600_302600_NS11hip_rocprim14__parallel_for6kernelILj256ENS1_11__transform17unary_transform_fINS0_7pointerIiNS1_3tagENS0_11use_defaultES8_EENS0_10device_ptrIjEENS4_14no_stencil_tagENS0_8identityIiEENS4_21always_true_predicateEEElLj1EEEvT0_T1_SI_,"axG",@progbits,_ZN6thrust23THRUST_200600_302600_NS11hip_rocprim14__parallel_for6kernelILj256ENS1_11__transform17unary_transform_fINS0_7pointerIiNS1_3tagENS0_11use_defaultES8_EENS0_10device_ptrIjEENS4_14no_stencil_tagENS0_8identityIiEENS4_21always_true_predicateEEElLj1EEEvT0_T1_SI_,comdat
.Lfunc_end1824:
	.size	_ZN6thrust23THRUST_200600_302600_NS11hip_rocprim14__parallel_for6kernelILj256ENS1_11__transform17unary_transform_fINS0_7pointerIiNS1_3tagENS0_11use_defaultES8_EENS0_10device_ptrIjEENS4_14no_stencil_tagENS0_8identityIiEENS4_21always_true_predicateEEElLj1EEEvT0_T1_SI_, .Lfunc_end1824-_ZN6thrust23THRUST_200600_302600_NS11hip_rocprim14__parallel_for6kernelILj256ENS1_11__transform17unary_transform_fINS0_7pointerIiNS1_3tagENS0_11use_defaultES8_EENS0_10device_ptrIjEENS4_14no_stencil_tagENS0_8identityIiEENS4_21always_true_predicateEEElLj1EEEvT0_T1_SI_
                                        ; -- End function
	.set _ZN6thrust23THRUST_200600_302600_NS11hip_rocprim14__parallel_for6kernelILj256ENS1_11__transform17unary_transform_fINS0_7pointerIiNS1_3tagENS0_11use_defaultES8_EENS0_10device_ptrIjEENS4_14no_stencil_tagENS0_8identityIiEENS4_21always_true_predicateEEElLj1EEEvT0_T1_SI_.num_vgpr, 5
	.set _ZN6thrust23THRUST_200600_302600_NS11hip_rocprim14__parallel_for6kernelILj256ENS1_11__transform17unary_transform_fINS0_7pointerIiNS1_3tagENS0_11use_defaultES8_EENS0_10device_ptrIjEENS4_14no_stencil_tagENS0_8identityIiEENS4_21always_true_predicateEEElLj1EEEvT0_T1_SI_.num_agpr, 0
	.set _ZN6thrust23THRUST_200600_302600_NS11hip_rocprim14__parallel_for6kernelILj256ENS1_11__transform17unary_transform_fINS0_7pointerIiNS1_3tagENS0_11use_defaultES8_EENS0_10device_ptrIjEENS4_14no_stencil_tagENS0_8identityIiEENS4_21always_true_predicateEEElLj1EEEvT0_T1_SI_.numbered_sgpr, 12
	.set _ZN6thrust23THRUST_200600_302600_NS11hip_rocprim14__parallel_for6kernelILj256ENS1_11__transform17unary_transform_fINS0_7pointerIiNS1_3tagENS0_11use_defaultES8_EENS0_10device_ptrIjEENS4_14no_stencil_tagENS0_8identityIiEENS4_21always_true_predicateEEElLj1EEEvT0_T1_SI_.num_named_barrier, 0
	.set _ZN6thrust23THRUST_200600_302600_NS11hip_rocprim14__parallel_for6kernelILj256ENS1_11__transform17unary_transform_fINS0_7pointerIiNS1_3tagENS0_11use_defaultES8_EENS0_10device_ptrIjEENS4_14no_stencil_tagENS0_8identityIiEENS4_21always_true_predicateEEElLj1EEEvT0_T1_SI_.private_seg_size, 0
	.set _ZN6thrust23THRUST_200600_302600_NS11hip_rocprim14__parallel_for6kernelILj256ENS1_11__transform17unary_transform_fINS0_7pointerIiNS1_3tagENS0_11use_defaultES8_EENS0_10device_ptrIjEENS4_14no_stencil_tagENS0_8identityIiEENS4_21always_true_predicateEEElLj1EEEvT0_T1_SI_.uses_vcc, 1
	.set _ZN6thrust23THRUST_200600_302600_NS11hip_rocprim14__parallel_for6kernelILj256ENS1_11__transform17unary_transform_fINS0_7pointerIiNS1_3tagENS0_11use_defaultES8_EENS0_10device_ptrIjEENS4_14no_stencil_tagENS0_8identityIiEENS4_21always_true_predicateEEElLj1EEEvT0_T1_SI_.uses_flat_scratch, 0
	.set _ZN6thrust23THRUST_200600_302600_NS11hip_rocprim14__parallel_for6kernelILj256ENS1_11__transform17unary_transform_fINS0_7pointerIiNS1_3tagENS0_11use_defaultES8_EENS0_10device_ptrIjEENS4_14no_stencil_tagENS0_8identityIiEENS4_21always_true_predicateEEElLj1EEEvT0_T1_SI_.has_dyn_sized_stack, 0
	.set _ZN6thrust23THRUST_200600_302600_NS11hip_rocprim14__parallel_for6kernelILj256ENS1_11__transform17unary_transform_fINS0_7pointerIiNS1_3tagENS0_11use_defaultES8_EENS0_10device_ptrIjEENS4_14no_stencil_tagENS0_8identityIiEENS4_21always_true_predicateEEElLj1EEEvT0_T1_SI_.has_recursion, 0
	.set _ZN6thrust23THRUST_200600_302600_NS11hip_rocprim14__parallel_for6kernelILj256ENS1_11__transform17unary_transform_fINS0_7pointerIiNS1_3tagENS0_11use_defaultES8_EENS0_10device_ptrIjEENS4_14no_stencil_tagENS0_8identityIiEENS4_21always_true_predicateEEElLj1EEEvT0_T1_SI_.has_indirect_call, 0
	.section	.AMDGPU.csdata,"",@progbits
; Kernel info:
; codeLenInByte = 272
; TotalNumSgprs: 14
; NumVgprs: 5
; ScratchSize: 0
; MemoryBound: 0
; FloatMode: 240
; IeeeMode: 1
; LDSByteSize: 0 bytes/workgroup (compile time only)
; SGPRBlocks: 0
; VGPRBlocks: 0
; NumSGPRsForWavesPerEU: 14
; NumVGPRsForWavesPerEU: 5
; Occupancy: 16
; WaveLimiterHint : 0
; COMPUTE_PGM_RSRC2:SCRATCH_EN: 0
; COMPUTE_PGM_RSRC2:USER_SGPR: 6
; COMPUTE_PGM_RSRC2:TRAP_HANDLER: 0
; COMPUTE_PGM_RSRC2:TGID_X_EN: 1
; COMPUTE_PGM_RSRC2:TGID_Y_EN: 0
; COMPUTE_PGM_RSRC2:TGID_Z_EN: 0
; COMPUTE_PGM_RSRC2:TIDIG_COMP_CNT: 0
	.section	.text._ZN7rocprim17ROCPRIM_400000_NS6detail30init_device_scan_by_key_kernelINS1_19lookback_scan_stateINS0_5tupleIJjbEEELb0ELb1EEEN6thrust23THRUST_200600_302600_NS6detail15normal_iteratorINS8_10device_ptrIjEEEEjNS1_16block_id_wrapperIjLb0EEEEEvT_jjPNSG_10value_typeET0_PNSt15iterator_traitsISJ_E10value_typeEmT1_T2_,"axG",@progbits,_ZN7rocprim17ROCPRIM_400000_NS6detail30init_device_scan_by_key_kernelINS1_19lookback_scan_stateINS0_5tupleIJjbEEELb0ELb1EEEN6thrust23THRUST_200600_302600_NS6detail15normal_iteratorINS8_10device_ptrIjEEEEjNS1_16block_id_wrapperIjLb0EEEEEvT_jjPNSG_10value_typeET0_PNSt15iterator_traitsISJ_E10value_typeEmT1_T2_,comdat
	.protected	_ZN7rocprim17ROCPRIM_400000_NS6detail30init_device_scan_by_key_kernelINS1_19lookback_scan_stateINS0_5tupleIJjbEEELb0ELb1EEEN6thrust23THRUST_200600_302600_NS6detail15normal_iteratorINS8_10device_ptrIjEEEEjNS1_16block_id_wrapperIjLb0EEEEEvT_jjPNSG_10value_typeET0_PNSt15iterator_traitsISJ_E10value_typeEmT1_T2_ ; -- Begin function _ZN7rocprim17ROCPRIM_400000_NS6detail30init_device_scan_by_key_kernelINS1_19lookback_scan_stateINS0_5tupleIJjbEEELb0ELb1EEEN6thrust23THRUST_200600_302600_NS6detail15normal_iteratorINS8_10device_ptrIjEEEEjNS1_16block_id_wrapperIjLb0EEEEEvT_jjPNSG_10value_typeET0_PNSt15iterator_traitsISJ_E10value_typeEmT1_T2_
	.globl	_ZN7rocprim17ROCPRIM_400000_NS6detail30init_device_scan_by_key_kernelINS1_19lookback_scan_stateINS0_5tupleIJjbEEELb0ELb1EEEN6thrust23THRUST_200600_302600_NS6detail15normal_iteratorINS8_10device_ptrIjEEEEjNS1_16block_id_wrapperIjLb0EEEEEvT_jjPNSG_10value_typeET0_PNSt15iterator_traitsISJ_E10value_typeEmT1_T2_
	.p2align	8
	.type	_ZN7rocprim17ROCPRIM_400000_NS6detail30init_device_scan_by_key_kernelINS1_19lookback_scan_stateINS0_5tupleIJjbEEELb0ELb1EEEN6thrust23THRUST_200600_302600_NS6detail15normal_iteratorINS8_10device_ptrIjEEEEjNS1_16block_id_wrapperIjLb0EEEEEvT_jjPNSG_10value_typeET0_PNSt15iterator_traitsISJ_E10value_typeEmT1_T2_,@function
_ZN7rocprim17ROCPRIM_400000_NS6detail30init_device_scan_by_key_kernelINS1_19lookback_scan_stateINS0_5tupleIJjbEEELb0ELb1EEEN6thrust23THRUST_200600_302600_NS6detail15normal_iteratorINS8_10device_ptrIjEEEEjNS1_16block_id_wrapperIjLb0EEEEEvT_jjPNSG_10value_typeET0_PNSt15iterator_traitsISJ_E10value_typeEmT1_T2_: ; @_ZN7rocprim17ROCPRIM_400000_NS6detail30init_device_scan_by_key_kernelINS1_19lookback_scan_stateINS0_5tupleIJjbEEELb0ELb1EEEN6thrust23THRUST_200600_302600_NS6detail15normal_iteratorINS8_10device_ptrIjEEEEjNS1_16block_id_wrapperIjLb0EEEEEvT_jjPNSG_10value_typeET0_PNSt15iterator_traitsISJ_E10value_typeEmT1_T2_
; %bb.0:
	s_clause 0x2
	s_load_dword s0, s[4:5], 0x44
	s_load_dwordx8 s[8:15], s[4:5], 0x0
	s_load_dword s7, s[4:5], 0x38
	s_waitcnt lgkmcnt(0)
	s_and_b32 s16, s0, 0xffff
	s_cmp_eq_u64 s[12:13], 0
	v_mad_u64_u32 v[4:5], null, s6, s16, v[0:1]
	s_cbranch_scc1 .LBB1825_8
; %bb.1:
	s_cmp_lt_u32 s11, s10
	s_mov_b32 s1, 0
	s_cselect_b32 s0, s11, 0
	s_mov_b32 s2, exec_lo
	v_cmpx_eq_u32_e64 s0, v4
	s_cbranch_execz .LBB1825_7
; %bb.2:
	s_add_i32 s0, s11, 32
	v_mov_b32_e32 v6, 0
	s_lshl_b64 s[0:1], s[0:1], 4
	s_mov_b32 s3, exec_lo
	s_add_u32 s0, s8, s0
	s_addc_u32 s1, s9, s1
	v_mov_b32_e32 v0, s0
	v_mov_b32_e32 v1, s1
	;;#ASMSTART
	global_load_dwordx4 v[0:3], v[0:1] off glc dlc	
s_waitcnt vmcnt(0)
	;;#ASMEND
	v_and_b32_e32 v5, 0xff, v2
	v_cmpx_eq_u64_e32 0, v[5:6]
	s_cbranch_execz .LBB1825_6
; %bb.3:
	v_mov_b32_e32 v8, s1
	v_mov_b32_e32 v7, s0
	s_mov_b32 s0, 0
.LBB1825_4:                             ; =>This Inner Loop Header: Depth=1
	;;#ASMSTART
	global_load_dwordx4 v[0:3], v[7:8] off glc dlc	
s_waitcnt vmcnt(0)
	;;#ASMEND
	v_and_b32_e32 v5, 0xff, v2
	v_cmp_ne_u64_e32 vcc_lo, 0, v[5:6]
	s_or_b32 s0, vcc_lo, s0
	s_andn2_b32 exec_lo, exec_lo, s0
	s_cbranch_execnz .LBB1825_4
; %bb.5:
	s_or_b32 exec_lo, exec_lo, s0
.LBB1825_6:
	s_or_b32 exec_lo, exec_lo, s3
	v_mov_b32_e32 v2, 0
	global_store_dword v2, v0, s[12:13]
	global_store_byte v2, v1, s[12:13] offset:4
.LBB1825_7:
	s_or_b32 exec_lo, exec_lo, s2
.LBB1825_8:
	s_mov_b32 s0, exec_lo
	v_cmpx_gt_u32_e64 s10, v4
	s_cbranch_execz .LBB1825_10
; %bb.9:
	v_add_nc_u32_e32 v0, 32, v4
	v_mov_b32_e32 v1, 0
	v_lshlrev_b64 v[5:6], 4, v[0:1]
	v_mov_b32_e32 v0, v1
	v_mov_b32_e32 v2, v1
	;; [unrolled: 1-line block ×3, first 2 shown]
	v_add_co_u32 v5, vcc_lo, s8, v5
	v_add_co_ci_u32_e64 v6, null, s9, v6, vcc_lo
	global_store_dwordx4 v[5:6], v[0:3], off
.LBB1825_10:
	s_or_b32 exec_lo, exec_lo, s0
	v_mov_b32_e32 v5, 0
	s_mov_b32 s0, exec_lo
	v_cmpx_gt_u32_e32 32, v4
	s_cbranch_execz .LBB1825_12
; %bb.11:
	v_lshlrev_b64 v[6:7], 4, v[4:5]
	v_mov_b32_e32 v2, 0xff
	v_mov_b32_e32 v0, v5
	;; [unrolled: 1-line block ×4, first 2 shown]
	v_add_co_u32 v6, vcc_lo, s8, v6
	v_add_co_ci_u32_e64 v7, null, s9, v7, vcc_lo
	global_store_dwordx4 v[6:7], v[0:3], off
.LBB1825_12:
	s_or_b32 exec_lo, exec_lo, s0
	s_load_dwordx2 s[2:3], s[4:5], 0x28
	s_mov_b32 s0, exec_lo
	s_waitcnt lgkmcnt(0)
	v_cmpx_gt_u64_e64 s[2:3], v[4:5]
	s_cbranch_execz .LBB1825_15
; %bb.13:
	s_clause 0x1
	s_load_dword s6, s[4:5], 0x30
	s_load_dwordx2 s[8:9], s[4:5], 0x20
	s_mov_b32 s1, 0
	v_lshlrev_b64 v[2:3], 2, v[4:5]
	s_mul_i32 s4, s7, s16
	s_waitcnt lgkmcnt(0)
	v_mad_u64_u32 v[0:1], null, s6, v4, 0
	s_add_i32 s0, s6, -1
	s_mul_hi_u32 s7, s6, s4
	s_lshl_b64 s[10:11], s[0:1], 2
	s_mul_i32 s6, s6, s4
	s_add_u32 s0, s14, s10
	s_addc_u32 s5, s15, s11
	v_lshlrev_b64 v[0:1], 2, v[0:1]
	s_lshl_b64 s[6:7], s[6:7], 2
	v_add_co_u32 v0, vcc_lo, s0, v0
	v_add_co_ci_u32_e64 v1, null, s5, v1, vcc_lo
	v_add_co_u32 v2, vcc_lo, s8, v2
	v_add_co_ci_u32_e64 v3, null, s9, v3, vcc_lo
	s_mov_b32 s5, s1
	s_lshl_b64 s[8:9], s[4:5], 2
	.p2align	6
.LBB1825_14:                            ; =>This Inner Loop Header: Depth=1
	global_load_dword v6, v[0:1], off
	v_add_co_u32 v4, vcc_lo, v4, s4
	v_add_co_ci_u32_e64 v5, null, 0, v5, vcc_lo
	v_add_co_u32 v0, vcc_lo, v0, s6
	v_add_co_ci_u32_e64 v1, null, s7, v1, vcc_lo
	v_cmp_le_u64_e32 vcc_lo, s[2:3], v[4:5]
	s_or_b32 s1, vcc_lo, s1
	s_waitcnt vmcnt(0)
	global_store_dword v[2:3], v6, off
	v_add_co_u32 v2, s0, v2, s8
	v_add_co_ci_u32_e64 v3, null, s9, v3, s0
	s_andn2_b32 exec_lo, exec_lo, s1
	s_cbranch_execnz .LBB1825_14
.LBB1825_15:
	s_endpgm
	.section	.rodata,"a",@progbits
	.p2align	6, 0x0
	.amdhsa_kernel _ZN7rocprim17ROCPRIM_400000_NS6detail30init_device_scan_by_key_kernelINS1_19lookback_scan_stateINS0_5tupleIJjbEEELb0ELb1EEEN6thrust23THRUST_200600_302600_NS6detail15normal_iteratorINS8_10device_ptrIjEEEEjNS1_16block_id_wrapperIjLb0EEEEEvT_jjPNSG_10value_typeET0_PNSt15iterator_traitsISJ_E10value_typeEmT1_T2_
		.amdhsa_group_segment_fixed_size 0
		.amdhsa_private_segment_fixed_size 0
		.amdhsa_kernarg_size 312
		.amdhsa_user_sgpr_count 6
		.amdhsa_user_sgpr_private_segment_buffer 1
		.amdhsa_user_sgpr_dispatch_ptr 0
		.amdhsa_user_sgpr_queue_ptr 0
		.amdhsa_user_sgpr_kernarg_segment_ptr 1
		.amdhsa_user_sgpr_dispatch_id 0
		.amdhsa_user_sgpr_flat_scratch_init 0
		.amdhsa_user_sgpr_private_segment_size 0
		.amdhsa_wavefront_size32 1
		.amdhsa_uses_dynamic_stack 0
		.amdhsa_system_sgpr_private_segment_wavefront_offset 0
		.amdhsa_system_sgpr_workgroup_id_x 1
		.amdhsa_system_sgpr_workgroup_id_y 0
		.amdhsa_system_sgpr_workgroup_id_z 0
		.amdhsa_system_sgpr_workgroup_info 0
		.amdhsa_system_vgpr_workitem_id 0
		.amdhsa_next_free_vgpr 9
		.amdhsa_next_free_sgpr 17
		.amdhsa_reserve_vcc 1
		.amdhsa_reserve_flat_scratch 0
		.amdhsa_float_round_mode_32 0
		.amdhsa_float_round_mode_16_64 0
		.amdhsa_float_denorm_mode_32 3
		.amdhsa_float_denorm_mode_16_64 3
		.amdhsa_dx10_clamp 1
		.amdhsa_ieee_mode 1
		.amdhsa_fp16_overflow 0
		.amdhsa_workgroup_processor_mode 1
		.amdhsa_memory_ordered 1
		.amdhsa_forward_progress 1
		.amdhsa_shared_vgpr_count 0
		.amdhsa_exception_fp_ieee_invalid_op 0
		.amdhsa_exception_fp_denorm_src 0
		.amdhsa_exception_fp_ieee_div_zero 0
		.amdhsa_exception_fp_ieee_overflow 0
		.amdhsa_exception_fp_ieee_underflow 0
		.amdhsa_exception_fp_ieee_inexact 0
		.amdhsa_exception_int_div_zero 0
	.end_amdhsa_kernel
	.section	.text._ZN7rocprim17ROCPRIM_400000_NS6detail30init_device_scan_by_key_kernelINS1_19lookback_scan_stateINS0_5tupleIJjbEEELb0ELb1EEEN6thrust23THRUST_200600_302600_NS6detail15normal_iteratorINS8_10device_ptrIjEEEEjNS1_16block_id_wrapperIjLb0EEEEEvT_jjPNSG_10value_typeET0_PNSt15iterator_traitsISJ_E10value_typeEmT1_T2_,"axG",@progbits,_ZN7rocprim17ROCPRIM_400000_NS6detail30init_device_scan_by_key_kernelINS1_19lookback_scan_stateINS0_5tupleIJjbEEELb0ELb1EEEN6thrust23THRUST_200600_302600_NS6detail15normal_iteratorINS8_10device_ptrIjEEEEjNS1_16block_id_wrapperIjLb0EEEEEvT_jjPNSG_10value_typeET0_PNSt15iterator_traitsISJ_E10value_typeEmT1_T2_,comdat
.Lfunc_end1825:
	.size	_ZN7rocprim17ROCPRIM_400000_NS6detail30init_device_scan_by_key_kernelINS1_19lookback_scan_stateINS0_5tupleIJjbEEELb0ELb1EEEN6thrust23THRUST_200600_302600_NS6detail15normal_iteratorINS8_10device_ptrIjEEEEjNS1_16block_id_wrapperIjLb0EEEEEvT_jjPNSG_10value_typeET0_PNSt15iterator_traitsISJ_E10value_typeEmT1_T2_, .Lfunc_end1825-_ZN7rocprim17ROCPRIM_400000_NS6detail30init_device_scan_by_key_kernelINS1_19lookback_scan_stateINS0_5tupleIJjbEEELb0ELb1EEEN6thrust23THRUST_200600_302600_NS6detail15normal_iteratorINS8_10device_ptrIjEEEEjNS1_16block_id_wrapperIjLb0EEEEEvT_jjPNSG_10value_typeET0_PNSt15iterator_traitsISJ_E10value_typeEmT1_T2_
                                        ; -- End function
	.set _ZN7rocprim17ROCPRIM_400000_NS6detail30init_device_scan_by_key_kernelINS1_19lookback_scan_stateINS0_5tupleIJjbEEELb0ELb1EEEN6thrust23THRUST_200600_302600_NS6detail15normal_iteratorINS8_10device_ptrIjEEEEjNS1_16block_id_wrapperIjLb0EEEEEvT_jjPNSG_10value_typeET0_PNSt15iterator_traitsISJ_E10value_typeEmT1_T2_.num_vgpr, 9
	.set _ZN7rocprim17ROCPRIM_400000_NS6detail30init_device_scan_by_key_kernelINS1_19lookback_scan_stateINS0_5tupleIJjbEEELb0ELb1EEEN6thrust23THRUST_200600_302600_NS6detail15normal_iteratorINS8_10device_ptrIjEEEEjNS1_16block_id_wrapperIjLb0EEEEEvT_jjPNSG_10value_typeET0_PNSt15iterator_traitsISJ_E10value_typeEmT1_T2_.num_agpr, 0
	.set _ZN7rocprim17ROCPRIM_400000_NS6detail30init_device_scan_by_key_kernelINS1_19lookback_scan_stateINS0_5tupleIJjbEEELb0ELb1EEEN6thrust23THRUST_200600_302600_NS6detail15normal_iteratorINS8_10device_ptrIjEEEEjNS1_16block_id_wrapperIjLb0EEEEEvT_jjPNSG_10value_typeET0_PNSt15iterator_traitsISJ_E10value_typeEmT1_T2_.numbered_sgpr, 17
	.set _ZN7rocprim17ROCPRIM_400000_NS6detail30init_device_scan_by_key_kernelINS1_19lookback_scan_stateINS0_5tupleIJjbEEELb0ELb1EEEN6thrust23THRUST_200600_302600_NS6detail15normal_iteratorINS8_10device_ptrIjEEEEjNS1_16block_id_wrapperIjLb0EEEEEvT_jjPNSG_10value_typeET0_PNSt15iterator_traitsISJ_E10value_typeEmT1_T2_.num_named_barrier, 0
	.set _ZN7rocprim17ROCPRIM_400000_NS6detail30init_device_scan_by_key_kernelINS1_19lookback_scan_stateINS0_5tupleIJjbEEELb0ELb1EEEN6thrust23THRUST_200600_302600_NS6detail15normal_iteratorINS8_10device_ptrIjEEEEjNS1_16block_id_wrapperIjLb0EEEEEvT_jjPNSG_10value_typeET0_PNSt15iterator_traitsISJ_E10value_typeEmT1_T2_.private_seg_size, 0
	.set _ZN7rocprim17ROCPRIM_400000_NS6detail30init_device_scan_by_key_kernelINS1_19lookback_scan_stateINS0_5tupleIJjbEEELb0ELb1EEEN6thrust23THRUST_200600_302600_NS6detail15normal_iteratorINS8_10device_ptrIjEEEEjNS1_16block_id_wrapperIjLb0EEEEEvT_jjPNSG_10value_typeET0_PNSt15iterator_traitsISJ_E10value_typeEmT1_T2_.uses_vcc, 1
	.set _ZN7rocprim17ROCPRIM_400000_NS6detail30init_device_scan_by_key_kernelINS1_19lookback_scan_stateINS0_5tupleIJjbEEELb0ELb1EEEN6thrust23THRUST_200600_302600_NS6detail15normal_iteratorINS8_10device_ptrIjEEEEjNS1_16block_id_wrapperIjLb0EEEEEvT_jjPNSG_10value_typeET0_PNSt15iterator_traitsISJ_E10value_typeEmT1_T2_.uses_flat_scratch, 0
	.set _ZN7rocprim17ROCPRIM_400000_NS6detail30init_device_scan_by_key_kernelINS1_19lookback_scan_stateINS0_5tupleIJjbEEELb0ELb1EEEN6thrust23THRUST_200600_302600_NS6detail15normal_iteratorINS8_10device_ptrIjEEEEjNS1_16block_id_wrapperIjLb0EEEEEvT_jjPNSG_10value_typeET0_PNSt15iterator_traitsISJ_E10value_typeEmT1_T2_.has_dyn_sized_stack, 0
	.set _ZN7rocprim17ROCPRIM_400000_NS6detail30init_device_scan_by_key_kernelINS1_19lookback_scan_stateINS0_5tupleIJjbEEELb0ELb1EEEN6thrust23THRUST_200600_302600_NS6detail15normal_iteratorINS8_10device_ptrIjEEEEjNS1_16block_id_wrapperIjLb0EEEEEvT_jjPNSG_10value_typeET0_PNSt15iterator_traitsISJ_E10value_typeEmT1_T2_.has_recursion, 0
	.set _ZN7rocprim17ROCPRIM_400000_NS6detail30init_device_scan_by_key_kernelINS1_19lookback_scan_stateINS0_5tupleIJjbEEELb0ELb1EEEN6thrust23THRUST_200600_302600_NS6detail15normal_iteratorINS8_10device_ptrIjEEEEjNS1_16block_id_wrapperIjLb0EEEEEvT_jjPNSG_10value_typeET0_PNSt15iterator_traitsISJ_E10value_typeEmT1_T2_.has_indirect_call, 0
	.section	.AMDGPU.csdata,"",@progbits
; Kernel info:
; codeLenInByte = 664
; TotalNumSgprs: 19
; NumVgprs: 9
; ScratchSize: 0
; MemoryBound: 0
; FloatMode: 240
; IeeeMode: 1
; LDSByteSize: 0 bytes/workgroup (compile time only)
; SGPRBlocks: 0
; VGPRBlocks: 1
; NumSGPRsForWavesPerEU: 19
; NumVGPRsForWavesPerEU: 9
; Occupancy: 16
; WaveLimiterHint : 0
; COMPUTE_PGM_RSRC2:SCRATCH_EN: 0
; COMPUTE_PGM_RSRC2:USER_SGPR: 6
; COMPUTE_PGM_RSRC2:TRAP_HANDLER: 0
; COMPUTE_PGM_RSRC2:TGID_X_EN: 1
; COMPUTE_PGM_RSRC2:TGID_Y_EN: 0
; COMPUTE_PGM_RSRC2:TGID_Z_EN: 0
; COMPUTE_PGM_RSRC2:TIDIG_COMP_CNT: 0
	.section	.text._ZN7rocprim17ROCPRIM_400000_NS6detail17trampoline_kernelINS0_14default_configENS1_27scan_by_key_config_selectorIjjEEZZNS1_16scan_by_key_implILNS1_25lookback_scan_determinismE0ELb0ES3_N6thrust23THRUST_200600_302600_NS6detail15normal_iteratorINS9_10device_ptrIjEEEESE_SE_jNS9_4plusIvEENS9_8equal_toIvEEjEE10hipError_tPvRmT2_T3_T4_T5_mT6_T7_P12ihipStream_tbENKUlT_T0_E_clISt17integral_constantIbLb0EESZ_EEDaSU_SV_EUlSU_E_NS1_11comp_targetILNS1_3genE0ELNS1_11target_archE4294967295ELNS1_3gpuE0ELNS1_3repE0EEENS1_30default_config_static_selectorELNS0_4arch9wavefront6targetE0EEEvT1_,"axG",@progbits,_ZN7rocprim17ROCPRIM_400000_NS6detail17trampoline_kernelINS0_14default_configENS1_27scan_by_key_config_selectorIjjEEZZNS1_16scan_by_key_implILNS1_25lookback_scan_determinismE0ELb0ES3_N6thrust23THRUST_200600_302600_NS6detail15normal_iteratorINS9_10device_ptrIjEEEESE_SE_jNS9_4plusIvEENS9_8equal_toIvEEjEE10hipError_tPvRmT2_T3_T4_T5_mT6_T7_P12ihipStream_tbENKUlT_T0_E_clISt17integral_constantIbLb0EESZ_EEDaSU_SV_EUlSU_E_NS1_11comp_targetILNS1_3genE0ELNS1_11target_archE4294967295ELNS1_3gpuE0ELNS1_3repE0EEENS1_30default_config_static_selectorELNS0_4arch9wavefront6targetE0EEEvT1_,comdat
	.protected	_ZN7rocprim17ROCPRIM_400000_NS6detail17trampoline_kernelINS0_14default_configENS1_27scan_by_key_config_selectorIjjEEZZNS1_16scan_by_key_implILNS1_25lookback_scan_determinismE0ELb0ES3_N6thrust23THRUST_200600_302600_NS6detail15normal_iteratorINS9_10device_ptrIjEEEESE_SE_jNS9_4plusIvEENS9_8equal_toIvEEjEE10hipError_tPvRmT2_T3_T4_T5_mT6_T7_P12ihipStream_tbENKUlT_T0_E_clISt17integral_constantIbLb0EESZ_EEDaSU_SV_EUlSU_E_NS1_11comp_targetILNS1_3genE0ELNS1_11target_archE4294967295ELNS1_3gpuE0ELNS1_3repE0EEENS1_30default_config_static_selectorELNS0_4arch9wavefront6targetE0EEEvT1_ ; -- Begin function _ZN7rocprim17ROCPRIM_400000_NS6detail17trampoline_kernelINS0_14default_configENS1_27scan_by_key_config_selectorIjjEEZZNS1_16scan_by_key_implILNS1_25lookback_scan_determinismE0ELb0ES3_N6thrust23THRUST_200600_302600_NS6detail15normal_iteratorINS9_10device_ptrIjEEEESE_SE_jNS9_4plusIvEENS9_8equal_toIvEEjEE10hipError_tPvRmT2_T3_T4_T5_mT6_T7_P12ihipStream_tbENKUlT_T0_E_clISt17integral_constantIbLb0EESZ_EEDaSU_SV_EUlSU_E_NS1_11comp_targetILNS1_3genE0ELNS1_11target_archE4294967295ELNS1_3gpuE0ELNS1_3repE0EEENS1_30default_config_static_selectorELNS0_4arch9wavefront6targetE0EEEvT1_
	.globl	_ZN7rocprim17ROCPRIM_400000_NS6detail17trampoline_kernelINS0_14default_configENS1_27scan_by_key_config_selectorIjjEEZZNS1_16scan_by_key_implILNS1_25lookback_scan_determinismE0ELb0ES3_N6thrust23THRUST_200600_302600_NS6detail15normal_iteratorINS9_10device_ptrIjEEEESE_SE_jNS9_4plusIvEENS9_8equal_toIvEEjEE10hipError_tPvRmT2_T3_T4_T5_mT6_T7_P12ihipStream_tbENKUlT_T0_E_clISt17integral_constantIbLb0EESZ_EEDaSU_SV_EUlSU_E_NS1_11comp_targetILNS1_3genE0ELNS1_11target_archE4294967295ELNS1_3gpuE0ELNS1_3repE0EEENS1_30default_config_static_selectorELNS0_4arch9wavefront6targetE0EEEvT1_
	.p2align	8
	.type	_ZN7rocprim17ROCPRIM_400000_NS6detail17trampoline_kernelINS0_14default_configENS1_27scan_by_key_config_selectorIjjEEZZNS1_16scan_by_key_implILNS1_25lookback_scan_determinismE0ELb0ES3_N6thrust23THRUST_200600_302600_NS6detail15normal_iteratorINS9_10device_ptrIjEEEESE_SE_jNS9_4plusIvEENS9_8equal_toIvEEjEE10hipError_tPvRmT2_T3_T4_T5_mT6_T7_P12ihipStream_tbENKUlT_T0_E_clISt17integral_constantIbLb0EESZ_EEDaSU_SV_EUlSU_E_NS1_11comp_targetILNS1_3genE0ELNS1_11target_archE4294967295ELNS1_3gpuE0ELNS1_3repE0EEENS1_30default_config_static_selectorELNS0_4arch9wavefront6targetE0EEEvT1_,@function
_ZN7rocprim17ROCPRIM_400000_NS6detail17trampoline_kernelINS0_14default_configENS1_27scan_by_key_config_selectorIjjEEZZNS1_16scan_by_key_implILNS1_25lookback_scan_determinismE0ELb0ES3_N6thrust23THRUST_200600_302600_NS6detail15normal_iteratorINS9_10device_ptrIjEEEESE_SE_jNS9_4plusIvEENS9_8equal_toIvEEjEE10hipError_tPvRmT2_T3_T4_T5_mT6_T7_P12ihipStream_tbENKUlT_T0_E_clISt17integral_constantIbLb0EESZ_EEDaSU_SV_EUlSU_E_NS1_11comp_targetILNS1_3genE0ELNS1_11target_archE4294967295ELNS1_3gpuE0ELNS1_3repE0EEENS1_30default_config_static_selectorELNS0_4arch9wavefront6targetE0EEEvT1_: ; @_ZN7rocprim17ROCPRIM_400000_NS6detail17trampoline_kernelINS0_14default_configENS1_27scan_by_key_config_selectorIjjEEZZNS1_16scan_by_key_implILNS1_25lookback_scan_determinismE0ELb0ES3_N6thrust23THRUST_200600_302600_NS6detail15normal_iteratorINS9_10device_ptrIjEEEESE_SE_jNS9_4plusIvEENS9_8equal_toIvEEjEE10hipError_tPvRmT2_T3_T4_T5_mT6_T7_P12ihipStream_tbENKUlT_T0_E_clISt17integral_constantIbLb0EESZ_EEDaSU_SV_EUlSU_E_NS1_11comp_targetILNS1_3genE0ELNS1_11target_archE4294967295ELNS1_3gpuE0ELNS1_3repE0EEENS1_30default_config_static_selectorELNS0_4arch9wavefront6targetE0EEEvT1_
; %bb.0:
	.section	.rodata,"a",@progbits
	.p2align	6, 0x0
	.amdhsa_kernel _ZN7rocprim17ROCPRIM_400000_NS6detail17trampoline_kernelINS0_14default_configENS1_27scan_by_key_config_selectorIjjEEZZNS1_16scan_by_key_implILNS1_25lookback_scan_determinismE0ELb0ES3_N6thrust23THRUST_200600_302600_NS6detail15normal_iteratorINS9_10device_ptrIjEEEESE_SE_jNS9_4plusIvEENS9_8equal_toIvEEjEE10hipError_tPvRmT2_T3_T4_T5_mT6_T7_P12ihipStream_tbENKUlT_T0_E_clISt17integral_constantIbLb0EESZ_EEDaSU_SV_EUlSU_E_NS1_11comp_targetILNS1_3genE0ELNS1_11target_archE4294967295ELNS1_3gpuE0ELNS1_3repE0EEENS1_30default_config_static_selectorELNS0_4arch9wavefront6targetE0EEEvT1_
		.amdhsa_group_segment_fixed_size 0
		.amdhsa_private_segment_fixed_size 0
		.amdhsa_kernarg_size 112
		.amdhsa_user_sgpr_count 6
		.amdhsa_user_sgpr_private_segment_buffer 1
		.amdhsa_user_sgpr_dispatch_ptr 0
		.amdhsa_user_sgpr_queue_ptr 0
		.amdhsa_user_sgpr_kernarg_segment_ptr 1
		.amdhsa_user_sgpr_dispatch_id 0
		.amdhsa_user_sgpr_flat_scratch_init 0
		.amdhsa_user_sgpr_private_segment_size 0
		.amdhsa_wavefront_size32 1
		.amdhsa_uses_dynamic_stack 0
		.amdhsa_system_sgpr_private_segment_wavefront_offset 0
		.amdhsa_system_sgpr_workgroup_id_x 1
		.amdhsa_system_sgpr_workgroup_id_y 0
		.amdhsa_system_sgpr_workgroup_id_z 0
		.amdhsa_system_sgpr_workgroup_info 0
		.amdhsa_system_vgpr_workitem_id 0
		.amdhsa_next_free_vgpr 1
		.amdhsa_next_free_sgpr 1
		.amdhsa_reserve_vcc 0
		.amdhsa_reserve_flat_scratch 0
		.amdhsa_float_round_mode_32 0
		.amdhsa_float_round_mode_16_64 0
		.amdhsa_float_denorm_mode_32 3
		.amdhsa_float_denorm_mode_16_64 3
		.amdhsa_dx10_clamp 1
		.amdhsa_ieee_mode 1
		.amdhsa_fp16_overflow 0
		.amdhsa_workgroup_processor_mode 1
		.amdhsa_memory_ordered 1
		.amdhsa_forward_progress 1
		.amdhsa_shared_vgpr_count 0
		.amdhsa_exception_fp_ieee_invalid_op 0
		.amdhsa_exception_fp_denorm_src 0
		.amdhsa_exception_fp_ieee_div_zero 0
		.amdhsa_exception_fp_ieee_overflow 0
		.amdhsa_exception_fp_ieee_underflow 0
		.amdhsa_exception_fp_ieee_inexact 0
		.amdhsa_exception_int_div_zero 0
	.end_amdhsa_kernel
	.section	.text._ZN7rocprim17ROCPRIM_400000_NS6detail17trampoline_kernelINS0_14default_configENS1_27scan_by_key_config_selectorIjjEEZZNS1_16scan_by_key_implILNS1_25lookback_scan_determinismE0ELb0ES3_N6thrust23THRUST_200600_302600_NS6detail15normal_iteratorINS9_10device_ptrIjEEEESE_SE_jNS9_4plusIvEENS9_8equal_toIvEEjEE10hipError_tPvRmT2_T3_T4_T5_mT6_T7_P12ihipStream_tbENKUlT_T0_E_clISt17integral_constantIbLb0EESZ_EEDaSU_SV_EUlSU_E_NS1_11comp_targetILNS1_3genE0ELNS1_11target_archE4294967295ELNS1_3gpuE0ELNS1_3repE0EEENS1_30default_config_static_selectorELNS0_4arch9wavefront6targetE0EEEvT1_,"axG",@progbits,_ZN7rocprim17ROCPRIM_400000_NS6detail17trampoline_kernelINS0_14default_configENS1_27scan_by_key_config_selectorIjjEEZZNS1_16scan_by_key_implILNS1_25lookback_scan_determinismE0ELb0ES3_N6thrust23THRUST_200600_302600_NS6detail15normal_iteratorINS9_10device_ptrIjEEEESE_SE_jNS9_4plusIvEENS9_8equal_toIvEEjEE10hipError_tPvRmT2_T3_T4_T5_mT6_T7_P12ihipStream_tbENKUlT_T0_E_clISt17integral_constantIbLb0EESZ_EEDaSU_SV_EUlSU_E_NS1_11comp_targetILNS1_3genE0ELNS1_11target_archE4294967295ELNS1_3gpuE0ELNS1_3repE0EEENS1_30default_config_static_selectorELNS0_4arch9wavefront6targetE0EEEvT1_,comdat
.Lfunc_end1826:
	.size	_ZN7rocprim17ROCPRIM_400000_NS6detail17trampoline_kernelINS0_14default_configENS1_27scan_by_key_config_selectorIjjEEZZNS1_16scan_by_key_implILNS1_25lookback_scan_determinismE0ELb0ES3_N6thrust23THRUST_200600_302600_NS6detail15normal_iteratorINS9_10device_ptrIjEEEESE_SE_jNS9_4plusIvEENS9_8equal_toIvEEjEE10hipError_tPvRmT2_T3_T4_T5_mT6_T7_P12ihipStream_tbENKUlT_T0_E_clISt17integral_constantIbLb0EESZ_EEDaSU_SV_EUlSU_E_NS1_11comp_targetILNS1_3genE0ELNS1_11target_archE4294967295ELNS1_3gpuE0ELNS1_3repE0EEENS1_30default_config_static_selectorELNS0_4arch9wavefront6targetE0EEEvT1_, .Lfunc_end1826-_ZN7rocprim17ROCPRIM_400000_NS6detail17trampoline_kernelINS0_14default_configENS1_27scan_by_key_config_selectorIjjEEZZNS1_16scan_by_key_implILNS1_25lookback_scan_determinismE0ELb0ES3_N6thrust23THRUST_200600_302600_NS6detail15normal_iteratorINS9_10device_ptrIjEEEESE_SE_jNS9_4plusIvEENS9_8equal_toIvEEjEE10hipError_tPvRmT2_T3_T4_T5_mT6_T7_P12ihipStream_tbENKUlT_T0_E_clISt17integral_constantIbLb0EESZ_EEDaSU_SV_EUlSU_E_NS1_11comp_targetILNS1_3genE0ELNS1_11target_archE4294967295ELNS1_3gpuE0ELNS1_3repE0EEENS1_30default_config_static_selectorELNS0_4arch9wavefront6targetE0EEEvT1_
                                        ; -- End function
	.set _ZN7rocprim17ROCPRIM_400000_NS6detail17trampoline_kernelINS0_14default_configENS1_27scan_by_key_config_selectorIjjEEZZNS1_16scan_by_key_implILNS1_25lookback_scan_determinismE0ELb0ES3_N6thrust23THRUST_200600_302600_NS6detail15normal_iteratorINS9_10device_ptrIjEEEESE_SE_jNS9_4plusIvEENS9_8equal_toIvEEjEE10hipError_tPvRmT2_T3_T4_T5_mT6_T7_P12ihipStream_tbENKUlT_T0_E_clISt17integral_constantIbLb0EESZ_EEDaSU_SV_EUlSU_E_NS1_11comp_targetILNS1_3genE0ELNS1_11target_archE4294967295ELNS1_3gpuE0ELNS1_3repE0EEENS1_30default_config_static_selectorELNS0_4arch9wavefront6targetE0EEEvT1_.num_vgpr, 0
	.set _ZN7rocprim17ROCPRIM_400000_NS6detail17trampoline_kernelINS0_14default_configENS1_27scan_by_key_config_selectorIjjEEZZNS1_16scan_by_key_implILNS1_25lookback_scan_determinismE0ELb0ES3_N6thrust23THRUST_200600_302600_NS6detail15normal_iteratorINS9_10device_ptrIjEEEESE_SE_jNS9_4plusIvEENS9_8equal_toIvEEjEE10hipError_tPvRmT2_T3_T4_T5_mT6_T7_P12ihipStream_tbENKUlT_T0_E_clISt17integral_constantIbLb0EESZ_EEDaSU_SV_EUlSU_E_NS1_11comp_targetILNS1_3genE0ELNS1_11target_archE4294967295ELNS1_3gpuE0ELNS1_3repE0EEENS1_30default_config_static_selectorELNS0_4arch9wavefront6targetE0EEEvT1_.num_agpr, 0
	.set _ZN7rocprim17ROCPRIM_400000_NS6detail17trampoline_kernelINS0_14default_configENS1_27scan_by_key_config_selectorIjjEEZZNS1_16scan_by_key_implILNS1_25lookback_scan_determinismE0ELb0ES3_N6thrust23THRUST_200600_302600_NS6detail15normal_iteratorINS9_10device_ptrIjEEEESE_SE_jNS9_4plusIvEENS9_8equal_toIvEEjEE10hipError_tPvRmT2_T3_T4_T5_mT6_T7_P12ihipStream_tbENKUlT_T0_E_clISt17integral_constantIbLb0EESZ_EEDaSU_SV_EUlSU_E_NS1_11comp_targetILNS1_3genE0ELNS1_11target_archE4294967295ELNS1_3gpuE0ELNS1_3repE0EEENS1_30default_config_static_selectorELNS0_4arch9wavefront6targetE0EEEvT1_.numbered_sgpr, 0
	.set _ZN7rocprim17ROCPRIM_400000_NS6detail17trampoline_kernelINS0_14default_configENS1_27scan_by_key_config_selectorIjjEEZZNS1_16scan_by_key_implILNS1_25lookback_scan_determinismE0ELb0ES3_N6thrust23THRUST_200600_302600_NS6detail15normal_iteratorINS9_10device_ptrIjEEEESE_SE_jNS9_4plusIvEENS9_8equal_toIvEEjEE10hipError_tPvRmT2_T3_T4_T5_mT6_T7_P12ihipStream_tbENKUlT_T0_E_clISt17integral_constantIbLb0EESZ_EEDaSU_SV_EUlSU_E_NS1_11comp_targetILNS1_3genE0ELNS1_11target_archE4294967295ELNS1_3gpuE0ELNS1_3repE0EEENS1_30default_config_static_selectorELNS0_4arch9wavefront6targetE0EEEvT1_.num_named_barrier, 0
	.set _ZN7rocprim17ROCPRIM_400000_NS6detail17trampoline_kernelINS0_14default_configENS1_27scan_by_key_config_selectorIjjEEZZNS1_16scan_by_key_implILNS1_25lookback_scan_determinismE0ELb0ES3_N6thrust23THRUST_200600_302600_NS6detail15normal_iteratorINS9_10device_ptrIjEEEESE_SE_jNS9_4plusIvEENS9_8equal_toIvEEjEE10hipError_tPvRmT2_T3_T4_T5_mT6_T7_P12ihipStream_tbENKUlT_T0_E_clISt17integral_constantIbLb0EESZ_EEDaSU_SV_EUlSU_E_NS1_11comp_targetILNS1_3genE0ELNS1_11target_archE4294967295ELNS1_3gpuE0ELNS1_3repE0EEENS1_30default_config_static_selectorELNS0_4arch9wavefront6targetE0EEEvT1_.private_seg_size, 0
	.set _ZN7rocprim17ROCPRIM_400000_NS6detail17trampoline_kernelINS0_14default_configENS1_27scan_by_key_config_selectorIjjEEZZNS1_16scan_by_key_implILNS1_25lookback_scan_determinismE0ELb0ES3_N6thrust23THRUST_200600_302600_NS6detail15normal_iteratorINS9_10device_ptrIjEEEESE_SE_jNS9_4plusIvEENS9_8equal_toIvEEjEE10hipError_tPvRmT2_T3_T4_T5_mT6_T7_P12ihipStream_tbENKUlT_T0_E_clISt17integral_constantIbLb0EESZ_EEDaSU_SV_EUlSU_E_NS1_11comp_targetILNS1_3genE0ELNS1_11target_archE4294967295ELNS1_3gpuE0ELNS1_3repE0EEENS1_30default_config_static_selectorELNS0_4arch9wavefront6targetE0EEEvT1_.uses_vcc, 0
	.set _ZN7rocprim17ROCPRIM_400000_NS6detail17trampoline_kernelINS0_14default_configENS1_27scan_by_key_config_selectorIjjEEZZNS1_16scan_by_key_implILNS1_25lookback_scan_determinismE0ELb0ES3_N6thrust23THRUST_200600_302600_NS6detail15normal_iteratorINS9_10device_ptrIjEEEESE_SE_jNS9_4plusIvEENS9_8equal_toIvEEjEE10hipError_tPvRmT2_T3_T4_T5_mT6_T7_P12ihipStream_tbENKUlT_T0_E_clISt17integral_constantIbLb0EESZ_EEDaSU_SV_EUlSU_E_NS1_11comp_targetILNS1_3genE0ELNS1_11target_archE4294967295ELNS1_3gpuE0ELNS1_3repE0EEENS1_30default_config_static_selectorELNS0_4arch9wavefront6targetE0EEEvT1_.uses_flat_scratch, 0
	.set _ZN7rocprim17ROCPRIM_400000_NS6detail17trampoline_kernelINS0_14default_configENS1_27scan_by_key_config_selectorIjjEEZZNS1_16scan_by_key_implILNS1_25lookback_scan_determinismE0ELb0ES3_N6thrust23THRUST_200600_302600_NS6detail15normal_iteratorINS9_10device_ptrIjEEEESE_SE_jNS9_4plusIvEENS9_8equal_toIvEEjEE10hipError_tPvRmT2_T3_T4_T5_mT6_T7_P12ihipStream_tbENKUlT_T0_E_clISt17integral_constantIbLb0EESZ_EEDaSU_SV_EUlSU_E_NS1_11comp_targetILNS1_3genE0ELNS1_11target_archE4294967295ELNS1_3gpuE0ELNS1_3repE0EEENS1_30default_config_static_selectorELNS0_4arch9wavefront6targetE0EEEvT1_.has_dyn_sized_stack, 0
	.set _ZN7rocprim17ROCPRIM_400000_NS6detail17trampoline_kernelINS0_14default_configENS1_27scan_by_key_config_selectorIjjEEZZNS1_16scan_by_key_implILNS1_25lookback_scan_determinismE0ELb0ES3_N6thrust23THRUST_200600_302600_NS6detail15normal_iteratorINS9_10device_ptrIjEEEESE_SE_jNS9_4plusIvEENS9_8equal_toIvEEjEE10hipError_tPvRmT2_T3_T4_T5_mT6_T7_P12ihipStream_tbENKUlT_T0_E_clISt17integral_constantIbLb0EESZ_EEDaSU_SV_EUlSU_E_NS1_11comp_targetILNS1_3genE0ELNS1_11target_archE4294967295ELNS1_3gpuE0ELNS1_3repE0EEENS1_30default_config_static_selectorELNS0_4arch9wavefront6targetE0EEEvT1_.has_recursion, 0
	.set _ZN7rocprim17ROCPRIM_400000_NS6detail17trampoline_kernelINS0_14default_configENS1_27scan_by_key_config_selectorIjjEEZZNS1_16scan_by_key_implILNS1_25lookback_scan_determinismE0ELb0ES3_N6thrust23THRUST_200600_302600_NS6detail15normal_iteratorINS9_10device_ptrIjEEEESE_SE_jNS9_4plusIvEENS9_8equal_toIvEEjEE10hipError_tPvRmT2_T3_T4_T5_mT6_T7_P12ihipStream_tbENKUlT_T0_E_clISt17integral_constantIbLb0EESZ_EEDaSU_SV_EUlSU_E_NS1_11comp_targetILNS1_3genE0ELNS1_11target_archE4294967295ELNS1_3gpuE0ELNS1_3repE0EEENS1_30default_config_static_selectorELNS0_4arch9wavefront6targetE0EEEvT1_.has_indirect_call, 0
	.section	.AMDGPU.csdata,"",@progbits
; Kernel info:
; codeLenInByte = 0
; TotalNumSgprs: 0
; NumVgprs: 0
; ScratchSize: 0
; MemoryBound: 0
; FloatMode: 240
; IeeeMode: 1
; LDSByteSize: 0 bytes/workgroup (compile time only)
; SGPRBlocks: 0
; VGPRBlocks: 0
; NumSGPRsForWavesPerEU: 1
; NumVGPRsForWavesPerEU: 1
; Occupancy: 16
; WaveLimiterHint : 0
; COMPUTE_PGM_RSRC2:SCRATCH_EN: 0
; COMPUTE_PGM_RSRC2:USER_SGPR: 6
; COMPUTE_PGM_RSRC2:TRAP_HANDLER: 0
; COMPUTE_PGM_RSRC2:TGID_X_EN: 1
; COMPUTE_PGM_RSRC2:TGID_Y_EN: 0
; COMPUTE_PGM_RSRC2:TGID_Z_EN: 0
; COMPUTE_PGM_RSRC2:TIDIG_COMP_CNT: 0
	.section	.text._ZN7rocprim17ROCPRIM_400000_NS6detail17trampoline_kernelINS0_14default_configENS1_27scan_by_key_config_selectorIjjEEZZNS1_16scan_by_key_implILNS1_25lookback_scan_determinismE0ELb0ES3_N6thrust23THRUST_200600_302600_NS6detail15normal_iteratorINS9_10device_ptrIjEEEESE_SE_jNS9_4plusIvEENS9_8equal_toIvEEjEE10hipError_tPvRmT2_T3_T4_T5_mT6_T7_P12ihipStream_tbENKUlT_T0_E_clISt17integral_constantIbLb0EESZ_EEDaSU_SV_EUlSU_E_NS1_11comp_targetILNS1_3genE10ELNS1_11target_archE1201ELNS1_3gpuE5ELNS1_3repE0EEENS1_30default_config_static_selectorELNS0_4arch9wavefront6targetE0EEEvT1_,"axG",@progbits,_ZN7rocprim17ROCPRIM_400000_NS6detail17trampoline_kernelINS0_14default_configENS1_27scan_by_key_config_selectorIjjEEZZNS1_16scan_by_key_implILNS1_25lookback_scan_determinismE0ELb0ES3_N6thrust23THRUST_200600_302600_NS6detail15normal_iteratorINS9_10device_ptrIjEEEESE_SE_jNS9_4plusIvEENS9_8equal_toIvEEjEE10hipError_tPvRmT2_T3_T4_T5_mT6_T7_P12ihipStream_tbENKUlT_T0_E_clISt17integral_constantIbLb0EESZ_EEDaSU_SV_EUlSU_E_NS1_11comp_targetILNS1_3genE10ELNS1_11target_archE1201ELNS1_3gpuE5ELNS1_3repE0EEENS1_30default_config_static_selectorELNS0_4arch9wavefront6targetE0EEEvT1_,comdat
	.protected	_ZN7rocprim17ROCPRIM_400000_NS6detail17trampoline_kernelINS0_14default_configENS1_27scan_by_key_config_selectorIjjEEZZNS1_16scan_by_key_implILNS1_25lookback_scan_determinismE0ELb0ES3_N6thrust23THRUST_200600_302600_NS6detail15normal_iteratorINS9_10device_ptrIjEEEESE_SE_jNS9_4plusIvEENS9_8equal_toIvEEjEE10hipError_tPvRmT2_T3_T4_T5_mT6_T7_P12ihipStream_tbENKUlT_T0_E_clISt17integral_constantIbLb0EESZ_EEDaSU_SV_EUlSU_E_NS1_11comp_targetILNS1_3genE10ELNS1_11target_archE1201ELNS1_3gpuE5ELNS1_3repE0EEENS1_30default_config_static_selectorELNS0_4arch9wavefront6targetE0EEEvT1_ ; -- Begin function _ZN7rocprim17ROCPRIM_400000_NS6detail17trampoline_kernelINS0_14default_configENS1_27scan_by_key_config_selectorIjjEEZZNS1_16scan_by_key_implILNS1_25lookback_scan_determinismE0ELb0ES3_N6thrust23THRUST_200600_302600_NS6detail15normal_iteratorINS9_10device_ptrIjEEEESE_SE_jNS9_4plusIvEENS9_8equal_toIvEEjEE10hipError_tPvRmT2_T3_T4_T5_mT6_T7_P12ihipStream_tbENKUlT_T0_E_clISt17integral_constantIbLb0EESZ_EEDaSU_SV_EUlSU_E_NS1_11comp_targetILNS1_3genE10ELNS1_11target_archE1201ELNS1_3gpuE5ELNS1_3repE0EEENS1_30default_config_static_selectorELNS0_4arch9wavefront6targetE0EEEvT1_
	.globl	_ZN7rocprim17ROCPRIM_400000_NS6detail17trampoline_kernelINS0_14default_configENS1_27scan_by_key_config_selectorIjjEEZZNS1_16scan_by_key_implILNS1_25lookback_scan_determinismE0ELb0ES3_N6thrust23THRUST_200600_302600_NS6detail15normal_iteratorINS9_10device_ptrIjEEEESE_SE_jNS9_4plusIvEENS9_8equal_toIvEEjEE10hipError_tPvRmT2_T3_T4_T5_mT6_T7_P12ihipStream_tbENKUlT_T0_E_clISt17integral_constantIbLb0EESZ_EEDaSU_SV_EUlSU_E_NS1_11comp_targetILNS1_3genE10ELNS1_11target_archE1201ELNS1_3gpuE5ELNS1_3repE0EEENS1_30default_config_static_selectorELNS0_4arch9wavefront6targetE0EEEvT1_
	.p2align	8
	.type	_ZN7rocprim17ROCPRIM_400000_NS6detail17trampoline_kernelINS0_14default_configENS1_27scan_by_key_config_selectorIjjEEZZNS1_16scan_by_key_implILNS1_25lookback_scan_determinismE0ELb0ES3_N6thrust23THRUST_200600_302600_NS6detail15normal_iteratorINS9_10device_ptrIjEEEESE_SE_jNS9_4plusIvEENS9_8equal_toIvEEjEE10hipError_tPvRmT2_T3_T4_T5_mT6_T7_P12ihipStream_tbENKUlT_T0_E_clISt17integral_constantIbLb0EESZ_EEDaSU_SV_EUlSU_E_NS1_11comp_targetILNS1_3genE10ELNS1_11target_archE1201ELNS1_3gpuE5ELNS1_3repE0EEENS1_30default_config_static_selectorELNS0_4arch9wavefront6targetE0EEEvT1_,@function
_ZN7rocprim17ROCPRIM_400000_NS6detail17trampoline_kernelINS0_14default_configENS1_27scan_by_key_config_selectorIjjEEZZNS1_16scan_by_key_implILNS1_25lookback_scan_determinismE0ELb0ES3_N6thrust23THRUST_200600_302600_NS6detail15normal_iteratorINS9_10device_ptrIjEEEESE_SE_jNS9_4plusIvEENS9_8equal_toIvEEjEE10hipError_tPvRmT2_T3_T4_T5_mT6_T7_P12ihipStream_tbENKUlT_T0_E_clISt17integral_constantIbLb0EESZ_EEDaSU_SV_EUlSU_E_NS1_11comp_targetILNS1_3genE10ELNS1_11target_archE1201ELNS1_3gpuE5ELNS1_3repE0EEENS1_30default_config_static_selectorELNS0_4arch9wavefront6targetE0EEEvT1_: ; @_ZN7rocprim17ROCPRIM_400000_NS6detail17trampoline_kernelINS0_14default_configENS1_27scan_by_key_config_selectorIjjEEZZNS1_16scan_by_key_implILNS1_25lookback_scan_determinismE0ELb0ES3_N6thrust23THRUST_200600_302600_NS6detail15normal_iteratorINS9_10device_ptrIjEEEESE_SE_jNS9_4plusIvEENS9_8equal_toIvEEjEE10hipError_tPvRmT2_T3_T4_T5_mT6_T7_P12ihipStream_tbENKUlT_T0_E_clISt17integral_constantIbLb0EESZ_EEDaSU_SV_EUlSU_E_NS1_11comp_targetILNS1_3genE10ELNS1_11target_archE1201ELNS1_3gpuE5ELNS1_3repE0EEENS1_30default_config_static_selectorELNS0_4arch9wavefront6targetE0EEEvT1_
; %bb.0:
	.section	.rodata,"a",@progbits
	.p2align	6, 0x0
	.amdhsa_kernel _ZN7rocprim17ROCPRIM_400000_NS6detail17trampoline_kernelINS0_14default_configENS1_27scan_by_key_config_selectorIjjEEZZNS1_16scan_by_key_implILNS1_25lookback_scan_determinismE0ELb0ES3_N6thrust23THRUST_200600_302600_NS6detail15normal_iteratorINS9_10device_ptrIjEEEESE_SE_jNS9_4plusIvEENS9_8equal_toIvEEjEE10hipError_tPvRmT2_T3_T4_T5_mT6_T7_P12ihipStream_tbENKUlT_T0_E_clISt17integral_constantIbLb0EESZ_EEDaSU_SV_EUlSU_E_NS1_11comp_targetILNS1_3genE10ELNS1_11target_archE1201ELNS1_3gpuE5ELNS1_3repE0EEENS1_30default_config_static_selectorELNS0_4arch9wavefront6targetE0EEEvT1_
		.amdhsa_group_segment_fixed_size 0
		.amdhsa_private_segment_fixed_size 0
		.amdhsa_kernarg_size 112
		.amdhsa_user_sgpr_count 6
		.amdhsa_user_sgpr_private_segment_buffer 1
		.amdhsa_user_sgpr_dispatch_ptr 0
		.amdhsa_user_sgpr_queue_ptr 0
		.amdhsa_user_sgpr_kernarg_segment_ptr 1
		.amdhsa_user_sgpr_dispatch_id 0
		.amdhsa_user_sgpr_flat_scratch_init 0
		.amdhsa_user_sgpr_private_segment_size 0
		.amdhsa_wavefront_size32 1
		.amdhsa_uses_dynamic_stack 0
		.amdhsa_system_sgpr_private_segment_wavefront_offset 0
		.amdhsa_system_sgpr_workgroup_id_x 1
		.amdhsa_system_sgpr_workgroup_id_y 0
		.amdhsa_system_sgpr_workgroup_id_z 0
		.amdhsa_system_sgpr_workgroup_info 0
		.amdhsa_system_vgpr_workitem_id 0
		.amdhsa_next_free_vgpr 1
		.amdhsa_next_free_sgpr 1
		.amdhsa_reserve_vcc 0
		.amdhsa_reserve_flat_scratch 0
		.amdhsa_float_round_mode_32 0
		.amdhsa_float_round_mode_16_64 0
		.amdhsa_float_denorm_mode_32 3
		.amdhsa_float_denorm_mode_16_64 3
		.amdhsa_dx10_clamp 1
		.amdhsa_ieee_mode 1
		.amdhsa_fp16_overflow 0
		.amdhsa_workgroup_processor_mode 1
		.amdhsa_memory_ordered 1
		.amdhsa_forward_progress 1
		.amdhsa_shared_vgpr_count 0
		.amdhsa_exception_fp_ieee_invalid_op 0
		.amdhsa_exception_fp_denorm_src 0
		.amdhsa_exception_fp_ieee_div_zero 0
		.amdhsa_exception_fp_ieee_overflow 0
		.amdhsa_exception_fp_ieee_underflow 0
		.amdhsa_exception_fp_ieee_inexact 0
		.amdhsa_exception_int_div_zero 0
	.end_amdhsa_kernel
	.section	.text._ZN7rocprim17ROCPRIM_400000_NS6detail17trampoline_kernelINS0_14default_configENS1_27scan_by_key_config_selectorIjjEEZZNS1_16scan_by_key_implILNS1_25lookback_scan_determinismE0ELb0ES3_N6thrust23THRUST_200600_302600_NS6detail15normal_iteratorINS9_10device_ptrIjEEEESE_SE_jNS9_4plusIvEENS9_8equal_toIvEEjEE10hipError_tPvRmT2_T3_T4_T5_mT6_T7_P12ihipStream_tbENKUlT_T0_E_clISt17integral_constantIbLb0EESZ_EEDaSU_SV_EUlSU_E_NS1_11comp_targetILNS1_3genE10ELNS1_11target_archE1201ELNS1_3gpuE5ELNS1_3repE0EEENS1_30default_config_static_selectorELNS0_4arch9wavefront6targetE0EEEvT1_,"axG",@progbits,_ZN7rocprim17ROCPRIM_400000_NS6detail17trampoline_kernelINS0_14default_configENS1_27scan_by_key_config_selectorIjjEEZZNS1_16scan_by_key_implILNS1_25lookback_scan_determinismE0ELb0ES3_N6thrust23THRUST_200600_302600_NS6detail15normal_iteratorINS9_10device_ptrIjEEEESE_SE_jNS9_4plusIvEENS9_8equal_toIvEEjEE10hipError_tPvRmT2_T3_T4_T5_mT6_T7_P12ihipStream_tbENKUlT_T0_E_clISt17integral_constantIbLb0EESZ_EEDaSU_SV_EUlSU_E_NS1_11comp_targetILNS1_3genE10ELNS1_11target_archE1201ELNS1_3gpuE5ELNS1_3repE0EEENS1_30default_config_static_selectorELNS0_4arch9wavefront6targetE0EEEvT1_,comdat
.Lfunc_end1827:
	.size	_ZN7rocprim17ROCPRIM_400000_NS6detail17trampoline_kernelINS0_14default_configENS1_27scan_by_key_config_selectorIjjEEZZNS1_16scan_by_key_implILNS1_25lookback_scan_determinismE0ELb0ES3_N6thrust23THRUST_200600_302600_NS6detail15normal_iteratorINS9_10device_ptrIjEEEESE_SE_jNS9_4plusIvEENS9_8equal_toIvEEjEE10hipError_tPvRmT2_T3_T4_T5_mT6_T7_P12ihipStream_tbENKUlT_T0_E_clISt17integral_constantIbLb0EESZ_EEDaSU_SV_EUlSU_E_NS1_11comp_targetILNS1_3genE10ELNS1_11target_archE1201ELNS1_3gpuE5ELNS1_3repE0EEENS1_30default_config_static_selectorELNS0_4arch9wavefront6targetE0EEEvT1_, .Lfunc_end1827-_ZN7rocprim17ROCPRIM_400000_NS6detail17trampoline_kernelINS0_14default_configENS1_27scan_by_key_config_selectorIjjEEZZNS1_16scan_by_key_implILNS1_25lookback_scan_determinismE0ELb0ES3_N6thrust23THRUST_200600_302600_NS6detail15normal_iteratorINS9_10device_ptrIjEEEESE_SE_jNS9_4plusIvEENS9_8equal_toIvEEjEE10hipError_tPvRmT2_T3_T4_T5_mT6_T7_P12ihipStream_tbENKUlT_T0_E_clISt17integral_constantIbLb0EESZ_EEDaSU_SV_EUlSU_E_NS1_11comp_targetILNS1_3genE10ELNS1_11target_archE1201ELNS1_3gpuE5ELNS1_3repE0EEENS1_30default_config_static_selectorELNS0_4arch9wavefront6targetE0EEEvT1_
                                        ; -- End function
	.set _ZN7rocprim17ROCPRIM_400000_NS6detail17trampoline_kernelINS0_14default_configENS1_27scan_by_key_config_selectorIjjEEZZNS1_16scan_by_key_implILNS1_25lookback_scan_determinismE0ELb0ES3_N6thrust23THRUST_200600_302600_NS6detail15normal_iteratorINS9_10device_ptrIjEEEESE_SE_jNS9_4plusIvEENS9_8equal_toIvEEjEE10hipError_tPvRmT2_T3_T4_T5_mT6_T7_P12ihipStream_tbENKUlT_T0_E_clISt17integral_constantIbLb0EESZ_EEDaSU_SV_EUlSU_E_NS1_11comp_targetILNS1_3genE10ELNS1_11target_archE1201ELNS1_3gpuE5ELNS1_3repE0EEENS1_30default_config_static_selectorELNS0_4arch9wavefront6targetE0EEEvT1_.num_vgpr, 0
	.set _ZN7rocprim17ROCPRIM_400000_NS6detail17trampoline_kernelINS0_14default_configENS1_27scan_by_key_config_selectorIjjEEZZNS1_16scan_by_key_implILNS1_25lookback_scan_determinismE0ELb0ES3_N6thrust23THRUST_200600_302600_NS6detail15normal_iteratorINS9_10device_ptrIjEEEESE_SE_jNS9_4plusIvEENS9_8equal_toIvEEjEE10hipError_tPvRmT2_T3_T4_T5_mT6_T7_P12ihipStream_tbENKUlT_T0_E_clISt17integral_constantIbLb0EESZ_EEDaSU_SV_EUlSU_E_NS1_11comp_targetILNS1_3genE10ELNS1_11target_archE1201ELNS1_3gpuE5ELNS1_3repE0EEENS1_30default_config_static_selectorELNS0_4arch9wavefront6targetE0EEEvT1_.num_agpr, 0
	.set _ZN7rocprim17ROCPRIM_400000_NS6detail17trampoline_kernelINS0_14default_configENS1_27scan_by_key_config_selectorIjjEEZZNS1_16scan_by_key_implILNS1_25lookback_scan_determinismE0ELb0ES3_N6thrust23THRUST_200600_302600_NS6detail15normal_iteratorINS9_10device_ptrIjEEEESE_SE_jNS9_4plusIvEENS9_8equal_toIvEEjEE10hipError_tPvRmT2_T3_T4_T5_mT6_T7_P12ihipStream_tbENKUlT_T0_E_clISt17integral_constantIbLb0EESZ_EEDaSU_SV_EUlSU_E_NS1_11comp_targetILNS1_3genE10ELNS1_11target_archE1201ELNS1_3gpuE5ELNS1_3repE0EEENS1_30default_config_static_selectorELNS0_4arch9wavefront6targetE0EEEvT1_.numbered_sgpr, 0
	.set _ZN7rocprim17ROCPRIM_400000_NS6detail17trampoline_kernelINS0_14default_configENS1_27scan_by_key_config_selectorIjjEEZZNS1_16scan_by_key_implILNS1_25lookback_scan_determinismE0ELb0ES3_N6thrust23THRUST_200600_302600_NS6detail15normal_iteratorINS9_10device_ptrIjEEEESE_SE_jNS9_4plusIvEENS9_8equal_toIvEEjEE10hipError_tPvRmT2_T3_T4_T5_mT6_T7_P12ihipStream_tbENKUlT_T0_E_clISt17integral_constantIbLb0EESZ_EEDaSU_SV_EUlSU_E_NS1_11comp_targetILNS1_3genE10ELNS1_11target_archE1201ELNS1_3gpuE5ELNS1_3repE0EEENS1_30default_config_static_selectorELNS0_4arch9wavefront6targetE0EEEvT1_.num_named_barrier, 0
	.set _ZN7rocprim17ROCPRIM_400000_NS6detail17trampoline_kernelINS0_14default_configENS1_27scan_by_key_config_selectorIjjEEZZNS1_16scan_by_key_implILNS1_25lookback_scan_determinismE0ELb0ES3_N6thrust23THRUST_200600_302600_NS6detail15normal_iteratorINS9_10device_ptrIjEEEESE_SE_jNS9_4plusIvEENS9_8equal_toIvEEjEE10hipError_tPvRmT2_T3_T4_T5_mT6_T7_P12ihipStream_tbENKUlT_T0_E_clISt17integral_constantIbLb0EESZ_EEDaSU_SV_EUlSU_E_NS1_11comp_targetILNS1_3genE10ELNS1_11target_archE1201ELNS1_3gpuE5ELNS1_3repE0EEENS1_30default_config_static_selectorELNS0_4arch9wavefront6targetE0EEEvT1_.private_seg_size, 0
	.set _ZN7rocprim17ROCPRIM_400000_NS6detail17trampoline_kernelINS0_14default_configENS1_27scan_by_key_config_selectorIjjEEZZNS1_16scan_by_key_implILNS1_25lookback_scan_determinismE0ELb0ES3_N6thrust23THRUST_200600_302600_NS6detail15normal_iteratorINS9_10device_ptrIjEEEESE_SE_jNS9_4plusIvEENS9_8equal_toIvEEjEE10hipError_tPvRmT2_T3_T4_T5_mT6_T7_P12ihipStream_tbENKUlT_T0_E_clISt17integral_constantIbLb0EESZ_EEDaSU_SV_EUlSU_E_NS1_11comp_targetILNS1_3genE10ELNS1_11target_archE1201ELNS1_3gpuE5ELNS1_3repE0EEENS1_30default_config_static_selectorELNS0_4arch9wavefront6targetE0EEEvT1_.uses_vcc, 0
	.set _ZN7rocprim17ROCPRIM_400000_NS6detail17trampoline_kernelINS0_14default_configENS1_27scan_by_key_config_selectorIjjEEZZNS1_16scan_by_key_implILNS1_25lookback_scan_determinismE0ELb0ES3_N6thrust23THRUST_200600_302600_NS6detail15normal_iteratorINS9_10device_ptrIjEEEESE_SE_jNS9_4plusIvEENS9_8equal_toIvEEjEE10hipError_tPvRmT2_T3_T4_T5_mT6_T7_P12ihipStream_tbENKUlT_T0_E_clISt17integral_constantIbLb0EESZ_EEDaSU_SV_EUlSU_E_NS1_11comp_targetILNS1_3genE10ELNS1_11target_archE1201ELNS1_3gpuE5ELNS1_3repE0EEENS1_30default_config_static_selectorELNS0_4arch9wavefront6targetE0EEEvT1_.uses_flat_scratch, 0
	.set _ZN7rocprim17ROCPRIM_400000_NS6detail17trampoline_kernelINS0_14default_configENS1_27scan_by_key_config_selectorIjjEEZZNS1_16scan_by_key_implILNS1_25lookback_scan_determinismE0ELb0ES3_N6thrust23THRUST_200600_302600_NS6detail15normal_iteratorINS9_10device_ptrIjEEEESE_SE_jNS9_4plusIvEENS9_8equal_toIvEEjEE10hipError_tPvRmT2_T3_T4_T5_mT6_T7_P12ihipStream_tbENKUlT_T0_E_clISt17integral_constantIbLb0EESZ_EEDaSU_SV_EUlSU_E_NS1_11comp_targetILNS1_3genE10ELNS1_11target_archE1201ELNS1_3gpuE5ELNS1_3repE0EEENS1_30default_config_static_selectorELNS0_4arch9wavefront6targetE0EEEvT1_.has_dyn_sized_stack, 0
	.set _ZN7rocprim17ROCPRIM_400000_NS6detail17trampoline_kernelINS0_14default_configENS1_27scan_by_key_config_selectorIjjEEZZNS1_16scan_by_key_implILNS1_25lookback_scan_determinismE0ELb0ES3_N6thrust23THRUST_200600_302600_NS6detail15normal_iteratorINS9_10device_ptrIjEEEESE_SE_jNS9_4plusIvEENS9_8equal_toIvEEjEE10hipError_tPvRmT2_T3_T4_T5_mT6_T7_P12ihipStream_tbENKUlT_T0_E_clISt17integral_constantIbLb0EESZ_EEDaSU_SV_EUlSU_E_NS1_11comp_targetILNS1_3genE10ELNS1_11target_archE1201ELNS1_3gpuE5ELNS1_3repE0EEENS1_30default_config_static_selectorELNS0_4arch9wavefront6targetE0EEEvT1_.has_recursion, 0
	.set _ZN7rocprim17ROCPRIM_400000_NS6detail17trampoline_kernelINS0_14default_configENS1_27scan_by_key_config_selectorIjjEEZZNS1_16scan_by_key_implILNS1_25lookback_scan_determinismE0ELb0ES3_N6thrust23THRUST_200600_302600_NS6detail15normal_iteratorINS9_10device_ptrIjEEEESE_SE_jNS9_4plusIvEENS9_8equal_toIvEEjEE10hipError_tPvRmT2_T3_T4_T5_mT6_T7_P12ihipStream_tbENKUlT_T0_E_clISt17integral_constantIbLb0EESZ_EEDaSU_SV_EUlSU_E_NS1_11comp_targetILNS1_3genE10ELNS1_11target_archE1201ELNS1_3gpuE5ELNS1_3repE0EEENS1_30default_config_static_selectorELNS0_4arch9wavefront6targetE0EEEvT1_.has_indirect_call, 0
	.section	.AMDGPU.csdata,"",@progbits
; Kernel info:
; codeLenInByte = 0
; TotalNumSgprs: 0
; NumVgprs: 0
; ScratchSize: 0
; MemoryBound: 0
; FloatMode: 240
; IeeeMode: 1
; LDSByteSize: 0 bytes/workgroup (compile time only)
; SGPRBlocks: 0
; VGPRBlocks: 0
; NumSGPRsForWavesPerEU: 1
; NumVGPRsForWavesPerEU: 1
; Occupancy: 16
; WaveLimiterHint : 0
; COMPUTE_PGM_RSRC2:SCRATCH_EN: 0
; COMPUTE_PGM_RSRC2:USER_SGPR: 6
; COMPUTE_PGM_RSRC2:TRAP_HANDLER: 0
; COMPUTE_PGM_RSRC2:TGID_X_EN: 1
; COMPUTE_PGM_RSRC2:TGID_Y_EN: 0
; COMPUTE_PGM_RSRC2:TGID_Z_EN: 0
; COMPUTE_PGM_RSRC2:TIDIG_COMP_CNT: 0
	.section	.text._ZN7rocprim17ROCPRIM_400000_NS6detail17trampoline_kernelINS0_14default_configENS1_27scan_by_key_config_selectorIjjEEZZNS1_16scan_by_key_implILNS1_25lookback_scan_determinismE0ELb0ES3_N6thrust23THRUST_200600_302600_NS6detail15normal_iteratorINS9_10device_ptrIjEEEESE_SE_jNS9_4plusIvEENS9_8equal_toIvEEjEE10hipError_tPvRmT2_T3_T4_T5_mT6_T7_P12ihipStream_tbENKUlT_T0_E_clISt17integral_constantIbLb0EESZ_EEDaSU_SV_EUlSU_E_NS1_11comp_targetILNS1_3genE5ELNS1_11target_archE942ELNS1_3gpuE9ELNS1_3repE0EEENS1_30default_config_static_selectorELNS0_4arch9wavefront6targetE0EEEvT1_,"axG",@progbits,_ZN7rocprim17ROCPRIM_400000_NS6detail17trampoline_kernelINS0_14default_configENS1_27scan_by_key_config_selectorIjjEEZZNS1_16scan_by_key_implILNS1_25lookback_scan_determinismE0ELb0ES3_N6thrust23THRUST_200600_302600_NS6detail15normal_iteratorINS9_10device_ptrIjEEEESE_SE_jNS9_4plusIvEENS9_8equal_toIvEEjEE10hipError_tPvRmT2_T3_T4_T5_mT6_T7_P12ihipStream_tbENKUlT_T0_E_clISt17integral_constantIbLb0EESZ_EEDaSU_SV_EUlSU_E_NS1_11comp_targetILNS1_3genE5ELNS1_11target_archE942ELNS1_3gpuE9ELNS1_3repE0EEENS1_30default_config_static_selectorELNS0_4arch9wavefront6targetE0EEEvT1_,comdat
	.protected	_ZN7rocprim17ROCPRIM_400000_NS6detail17trampoline_kernelINS0_14default_configENS1_27scan_by_key_config_selectorIjjEEZZNS1_16scan_by_key_implILNS1_25lookback_scan_determinismE0ELb0ES3_N6thrust23THRUST_200600_302600_NS6detail15normal_iteratorINS9_10device_ptrIjEEEESE_SE_jNS9_4plusIvEENS9_8equal_toIvEEjEE10hipError_tPvRmT2_T3_T4_T5_mT6_T7_P12ihipStream_tbENKUlT_T0_E_clISt17integral_constantIbLb0EESZ_EEDaSU_SV_EUlSU_E_NS1_11comp_targetILNS1_3genE5ELNS1_11target_archE942ELNS1_3gpuE9ELNS1_3repE0EEENS1_30default_config_static_selectorELNS0_4arch9wavefront6targetE0EEEvT1_ ; -- Begin function _ZN7rocprim17ROCPRIM_400000_NS6detail17trampoline_kernelINS0_14default_configENS1_27scan_by_key_config_selectorIjjEEZZNS1_16scan_by_key_implILNS1_25lookback_scan_determinismE0ELb0ES3_N6thrust23THRUST_200600_302600_NS6detail15normal_iteratorINS9_10device_ptrIjEEEESE_SE_jNS9_4plusIvEENS9_8equal_toIvEEjEE10hipError_tPvRmT2_T3_T4_T5_mT6_T7_P12ihipStream_tbENKUlT_T0_E_clISt17integral_constantIbLb0EESZ_EEDaSU_SV_EUlSU_E_NS1_11comp_targetILNS1_3genE5ELNS1_11target_archE942ELNS1_3gpuE9ELNS1_3repE0EEENS1_30default_config_static_selectorELNS0_4arch9wavefront6targetE0EEEvT1_
	.globl	_ZN7rocprim17ROCPRIM_400000_NS6detail17trampoline_kernelINS0_14default_configENS1_27scan_by_key_config_selectorIjjEEZZNS1_16scan_by_key_implILNS1_25lookback_scan_determinismE0ELb0ES3_N6thrust23THRUST_200600_302600_NS6detail15normal_iteratorINS9_10device_ptrIjEEEESE_SE_jNS9_4plusIvEENS9_8equal_toIvEEjEE10hipError_tPvRmT2_T3_T4_T5_mT6_T7_P12ihipStream_tbENKUlT_T0_E_clISt17integral_constantIbLb0EESZ_EEDaSU_SV_EUlSU_E_NS1_11comp_targetILNS1_3genE5ELNS1_11target_archE942ELNS1_3gpuE9ELNS1_3repE0EEENS1_30default_config_static_selectorELNS0_4arch9wavefront6targetE0EEEvT1_
	.p2align	8
	.type	_ZN7rocprim17ROCPRIM_400000_NS6detail17trampoline_kernelINS0_14default_configENS1_27scan_by_key_config_selectorIjjEEZZNS1_16scan_by_key_implILNS1_25lookback_scan_determinismE0ELb0ES3_N6thrust23THRUST_200600_302600_NS6detail15normal_iteratorINS9_10device_ptrIjEEEESE_SE_jNS9_4plusIvEENS9_8equal_toIvEEjEE10hipError_tPvRmT2_T3_T4_T5_mT6_T7_P12ihipStream_tbENKUlT_T0_E_clISt17integral_constantIbLb0EESZ_EEDaSU_SV_EUlSU_E_NS1_11comp_targetILNS1_3genE5ELNS1_11target_archE942ELNS1_3gpuE9ELNS1_3repE0EEENS1_30default_config_static_selectorELNS0_4arch9wavefront6targetE0EEEvT1_,@function
_ZN7rocprim17ROCPRIM_400000_NS6detail17trampoline_kernelINS0_14default_configENS1_27scan_by_key_config_selectorIjjEEZZNS1_16scan_by_key_implILNS1_25lookback_scan_determinismE0ELb0ES3_N6thrust23THRUST_200600_302600_NS6detail15normal_iteratorINS9_10device_ptrIjEEEESE_SE_jNS9_4plusIvEENS9_8equal_toIvEEjEE10hipError_tPvRmT2_T3_T4_T5_mT6_T7_P12ihipStream_tbENKUlT_T0_E_clISt17integral_constantIbLb0EESZ_EEDaSU_SV_EUlSU_E_NS1_11comp_targetILNS1_3genE5ELNS1_11target_archE942ELNS1_3gpuE9ELNS1_3repE0EEENS1_30default_config_static_selectorELNS0_4arch9wavefront6targetE0EEEvT1_: ; @_ZN7rocprim17ROCPRIM_400000_NS6detail17trampoline_kernelINS0_14default_configENS1_27scan_by_key_config_selectorIjjEEZZNS1_16scan_by_key_implILNS1_25lookback_scan_determinismE0ELb0ES3_N6thrust23THRUST_200600_302600_NS6detail15normal_iteratorINS9_10device_ptrIjEEEESE_SE_jNS9_4plusIvEENS9_8equal_toIvEEjEE10hipError_tPvRmT2_T3_T4_T5_mT6_T7_P12ihipStream_tbENKUlT_T0_E_clISt17integral_constantIbLb0EESZ_EEDaSU_SV_EUlSU_E_NS1_11comp_targetILNS1_3genE5ELNS1_11target_archE942ELNS1_3gpuE9ELNS1_3repE0EEENS1_30default_config_static_selectorELNS0_4arch9wavefront6targetE0EEEvT1_
; %bb.0:
	.section	.rodata,"a",@progbits
	.p2align	6, 0x0
	.amdhsa_kernel _ZN7rocprim17ROCPRIM_400000_NS6detail17trampoline_kernelINS0_14default_configENS1_27scan_by_key_config_selectorIjjEEZZNS1_16scan_by_key_implILNS1_25lookback_scan_determinismE0ELb0ES3_N6thrust23THRUST_200600_302600_NS6detail15normal_iteratorINS9_10device_ptrIjEEEESE_SE_jNS9_4plusIvEENS9_8equal_toIvEEjEE10hipError_tPvRmT2_T3_T4_T5_mT6_T7_P12ihipStream_tbENKUlT_T0_E_clISt17integral_constantIbLb0EESZ_EEDaSU_SV_EUlSU_E_NS1_11comp_targetILNS1_3genE5ELNS1_11target_archE942ELNS1_3gpuE9ELNS1_3repE0EEENS1_30default_config_static_selectorELNS0_4arch9wavefront6targetE0EEEvT1_
		.amdhsa_group_segment_fixed_size 0
		.amdhsa_private_segment_fixed_size 0
		.amdhsa_kernarg_size 112
		.amdhsa_user_sgpr_count 6
		.amdhsa_user_sgpr_private_segment_buffer 1
		.amdhsa_user_sgpr_dispatch_ptr 0
		.amdhsa_user_sgpr_queue_ptr 0
		.amdhsa_user_sgpr_kernarg_segment_ptr 1
		.amdhsa_user_sgpr_dispatch_id 0
		.amdhsa_user_sgpr_flat_scratch_init 0
		.amdhsa_user_sgpr_private_segment_size 0
		.amdhsa_wavefront_size32 1
		.amdhsa_uses_dynamic_stack 0
		.amdhsa_system_sgpr_private_segment_wavefront_offset 0
		.amdhsa_system_sgpr_workgroup_id_x 1
		.amdhsa_system_sgpr_workgroup_id_y 0
		.amdhsa_system_sgpr_workgroup_id_z 0
		.amdhsa_system_sgpr_workgroup_info 0
		.amdhsa_system_vgpr_workitem_id 0
		.amdhsa_next_free_vgpr 1
		.amdhsa_next_free_sgpr 1
		.amdhsa_reserve_vcc 0
		.amdhsa_reserve_flat_scratch 0
		.amdhsa_float_round_mode_32 0
		.amdhsa_float_round_mode_16_64 0
		.amdhsa_float_denorm_mode_32 3
		.amdhsa_float_denorm_mode_16_64 3
		.amdhsa_dx10_clamp 1
		.amdhsa_ieee_mode 1
		.amdhsa_fp16_overflow 0
		.amdhsa_workgroup_processor_mode 1
		.amdhsa_memory_ordered 1
		.amdhsa_forward_progress 1
		.amdhsa_shared_vgpr_count 0
		.amdhsa_exception_fp_ieee_invalid_op 0
		.amdhsa_exception_fp_denorm_src 0
		.amdhsa_exception_fp_ieee_div_zero 0
		.amdhsa_exception_fp_ieee_overflow 0
		.amdhsa_exception_fp_ieee_underflow 0
		.amdhsa_exception_fp_ieee_inexact 0
		.amdhsa_exception_int_div_zero 0
	.end_amdhsa_kernel
	.section	.text._ZN7rocprim17ROCPRIM_400000_NS6detail17trampoline_kernelINS0_14default_configENS1_27scan_by_key_config_selectorIjjEEZZNS1_16scan_by_key_implILNS1_25lookback_scan_determinismE0ELb0ES3_N6thrust23THRUST_200600_302600_NS6detail15normal_iteratorINS9_10device_ptrIjEEEESE_SE_jNS9_4plusIvEENS9_8equal_toIvEEjEE10hipError_tPvRmT2_T3_T4_T5_mT6_T7_P12ihipStream_tbENKUlT_T0_E_clISt17integral_constantIbLb0EESZ_EEDaSU_SV_EUlSU_E_NS1_11comp_targetILNS1_3genE5ELNS1_11target_archE942ELNS1_3gpuE9ELNS1_3repE0EEENS1_30default_config_static_selectorELNS0_4arch9wavefront6targetE0EEEvT1_,"axG",@progbits,_ZN7rocprim17ROCPRIM_400000_NS6detail17trampoline_kernelINS0_14default_configENS1_27scan_by_key_config_selectorIjjEEZZNS1_16scan_by_key_implILNS1_25lookback_scan_determinismE0ELb0ES3_N6thrust23THRUST_200600_302600_NS6detail15normal_iteratorINS9_10device_ptrIjEEEESE_SE_jNS9_4plusIvEENS9_8equal_toIvEEjEE10hipError_tPvRmT2_T3_T4_T5_mT6_T7_P12ihipStream_tbENKUlT_T0_E_clISt17integral_constantIbLb0EESZ_EEDaSU_SV_EUlSU_E_NS1_11comp_targetILNS1_3genE5ELNS1_11target_archE942ELNS1_3gpuE9ELNS1_3repE0EEENS1_30default_config_static_selectorELNS0_4arch9wavefront6targetE0EEEvT1_,comdat
.Lfunc_end1828:
	.size	_ZN7rocprim17ROCPRIM_400000_NS6detail17trampoline_kernelINS0_14default_configENS1_27scan_by_key_config_selectorIjjEEZZNS1_16scan_by_key_implILNS1_25lookback_scan_determinismE0ELb0ES3_N6thrust23THRUST_200600_302600_NS6detail15normal_iteratorINS9_10device_ptrIjEEEESE_SE_jNS9_4plusIvEENS9_8equal_toIvEEjEE10hipError_tPvRmT2_T3_T4_T5_mT6_T7_P12ihipStream_tbENKUlT_T0_E_clISt17integral_constantIbLb0EESZ_EEDaSU_SV_EUlSU_E_NS1_11comp_targetILNS1_3genE5ELNS1_11target_archE942ELNS1_3gpuE9ELNS1_3repE0EEENS1_30default_config_static_selectorELNS0_4arch9wavefront6targetE0EEEvT1_, .Lfunc_end1828-_ZN7rocprim17ROCPRIM_400000_NS6detail17trampoline_kernelINS0_14default_configENS1_27scan_by_key_config_selectorIjjEEZZNS1_16scan_by_key_implILNS1_25lookback_scan_determinismE0ELb0ES3_N6thrust23THRUST_200600_302600_NS6detail15normal_iteratorINS9_10device_ptrIjEEEESE_SE_jNS9_4plusIvEENS9_8equal_toIvEEjEE10hipError_tPvRmT2_T3_T4_T5_mT6_T7_P12ihipStream_tbENKUlT_T0_E_clISt17integral_constantIbLb0EESZ_EEDaSU_SV_EUlSU_E_NS1_11comp_targetILNS1_3genE5ELNS1_11target_archE942ELNS1_3gpuE9ELNS1_3repE0EEENS1_30default_config_static_selectorELNS0_4arch9wavefront6targetE0EEEvT1_
                                        ; -- End function
	.set _ZN7rocprim17ROCPRIM_400000_NS6detail17trampoline_kernelINS0_14default_configENS1_27scan_by_key_config_selectorIjjEEZZNS1_16scan_by_key_implILNS1_25lookback_scan_determinismE0ELb0ES3_N6thrust23THRUST_200600_302600_NS6detail15normal_iteratorINS9_10device_ptrIjEEEESE_SE_jNS9_4plusIvEENS9_8equal_toIvEEjEE10hipError_tPvRmT2_T3_T4_T5_mT6_T7_P12ihipStream_tbENKUlT_T0_E_clISt17integral_constantIbLb0EESZ_EEDaSU_SV_EUlSU_E_NS1_11comp_targetILNS1_3genE5ELNS1_11target_archE942ELNS1_3gpuE9ELNS1_3repE0EEENS1_30default_config_static_selectorELNS0_4arch9wavefront6targetE0EEEvT1_.num_vgpr, 0
	.set _ZN7rocprim17ROCPRIM_400000_NS6detail17trampoline_kernelINS0_14default_configENS1_27scan_by_key_config_selectorIjjEEZZNS1_16scan_by_key_implILNS1_25lookback_scan_determinismE0ELb0ES3_N6thrust23THRUST_200600_302600_NS6detail15normal_iteratorINS9_10device_ptrIjEEEESE_SE_jNS9_4plusIvEENS9_8equal_toIvEEjEE10hipError_tPvRmT2_T3_T4_T5_mT6_T7_P12ihipStream_tbENKUlT_T0_E_clISt17integral_constantIbLb0EESZ_EEDaSU_SV_EUlSU_E_NS1_11comp_targetILNS1_3genE5ELNS1_11target_archE942ELNS1_3gpuE9ELNS1_3repE0EEENS1_30default_config_static_selectorELNS0_4arch9wavefront6targetE0EEEvT1_.num_agpr, 0
	.set _ZN7rocprim17ROCPRIM_400000_NS6detail17trampoline_kernelINS0_14default_configENS1_27scan_by_key_config_selectorIjjEEZZNS1_16scan_by_key_implILNS1_25lookback_scan_determinismE0ELb0ES3_N6thrust23THRUST_200600_302600_NS6detail15normal_iteratorINS9_10device_ptrIjEEEESE_SE_jNS9_4plusIvEENS9_8equal_toIvEEjEE10hipError_tPvRmT2_T3_T4_T5_mT6_T7_P12ihipStream_tbENKUlT_T0_E_clISt17integral_constantIbLb0EESZ_EEDaSU_SV_EUlSU_E_NS1_11comp_targetILNS1_3genE5ELNS1_11target_archE942ELNS1_3gpuE9ELNS1_3repE0EEENS1_30default_config_static_selectorELNS0_4arch9wavefront6targetE0EEEvT1_.numbered_sgpr, 0
	.set _ZN7rocprim17ROCPRIM_400000_NS6detail17trampoline_kernelINS0_14default_configENS1_27scan_by_key_config_selectorIjjEEZZNS1_16scan_by_key_implILNS1_25lookback_scan_determinismE0ELb0ES3_N6thrust23THRUST_200600_302600_NS6detail15normal_iteratorINS9_10device_ptrIjEEEESE_SE_jNS9_4plusIvEENS9_8equal_toIvEEjEE10hipError_tPvRmT2_T3_T4_T5_mT6_T7_P12ihipStream_tbENKUlT_T0_E_clISt17integral_constantIbLb0EESZ_EEDaSU_SV_EUlSU_E_NS1_11comp_targetILNS1_3genE5ELNS1_11target_archE942ELNS1_3gpuE9ELNS1_3repE0EEENS1_30default_config_static_selectorELNS0_4arch9wavefront6targetE0EEEvT1_.num_named_barrier, 0
	.set _ZN7rocprim17ROCPRIM_400000_NS6detail17trampoline_kernelINS0_14default_configENS1_27scan_by_key_config_selectorIjjEEZZNS1_16scan_by_key_implILNS1_25lookback_scan_determinismE0ELb0ES3_N6thrust23THRUST_200600_302600_NS6detail15normal_iteratorINS9_10device_ptrIjEEEESE_SE_jNS9_4plusIvEENS9_8equal_toIvEEjEE10hipError_tPvRmT2_T3_T4_T5_mT6_T7_P12ihipStream_tbENKUlT_T0_E_clISt17integral_constantIbLb0EESZ_EEDaSU_SV_EUlSU_E_NS1_11comp_targetILNS1_3genE5ELNS1_11target_archE942ELNS1_3gpuE9ELNS1_3repE0EEENS1_30default_config_static_selectorELNS0_4arch9wavefront6targetE0EEEvT1_.private_seg_size, 0
	.set _ZN7rocprim17ROCPRIM_400000_NS6detail17trampoline_kernelINS0_14default_configENS1_27scan_by_key_config_selectorIjjEEZZNS1_16scan_by_key_implILNS1_25lookback_scan_determinismE0ELb0ES3_N6thrust23THRUST_200600_302600_NS6detail15normal_iteratorINS9_10device_ptrIjEEEESE_SE_jNS9_4plusIvEENS9_8equal_toIvEEjEE10hipError_tPvRmT2_T3_T4_T5_mT6_T7_P12ihipStream_tbENKUlT_T0_E_clISt17integral_constantIbLb0EESZ_EEDaSU_SV_EUlSU_E_NS1_11comp_targetILNS1_3genE5ELNS1_11target_archE942ELNS1_3gpuE9ELNS1_3repE0EEENS1_30default_config_static_selectorELNS0_4arch9wavefront6targetE0EEEvT1_.uses_vcc, 0
	.set _ZN7rocprim17ROCPRIM_400000_NS6detail17trampoline_kernelINS0_14default_configENS1_27scan_by_key_config_selectorIjjEEZZNS1_16scan_by_key_implILNS1_25lookback_scan_determinismE0ELb0ES3_N6thrust23THRUST_200600_302600_NS6detail15normal_iteratorINS9_10device_ptrIjEEEESE_SE_jNS9_4plusIvEENS9_8equal_toIvEEjEE10hipError_tPvRmT2_T3_T4_T5_mT6_T7_P12ihipStream_tbENKUlT_T0_E_clISt17integral_constantIbLb0EESZ_EEDaSU_SV_EUlSU_E_NS1_11comp_targetILNS1_3genE5ELNS1_11target_archE942ELNS1_3gpuE9ELNS1_3repE0EEENS1_30default_config_static_selectorELNS0_4arch9wavefront6targetE0EEEvT1_.uses_flat_scratch, 0
	.set _ZN7rocprim17ROCPRIM_400000_NS6detail17trampoline_kernelINS0_14default_configENS1_27scan_by_key_config_selectorIjjEEZZNS1_16scan_by_key_implILNS1_25lookback_scan_determinismE0ELb0ES3_N6thrust23THRUST_200600_302600_NS6detail15normal_iteratorINS9_10device_ptrIjEEEESE_SE_jNS9_4plusIvEENS9_8equal_toIvEEjEE10hipError_tPvRmT2_T3_T4_T5_mT6_T7_P12ihipStream_tbENKUlT_T0_E_clISt17integral_constantIbLb0EESZ_EEDaSU_SV_EUlSU_E_NS1_11comp_targetILNS1_3genE5ELNS1_11target_archE942ELNS1_3gpuE9ELNS1_3repE0EEENS1_30default_config_static_selectorELNS0_4arch9wavefront6targetE0EEEvT1_.has_dyn_sized_stack, 0
	.set _ZN7rocprim17ROCPRIM_400000_NS6detail17trampoline_kernelINS0_14default_configENS1_27scan_by_key_config_selectorIjjEEZZNS1_16scan_by_key_implILNS1_25lookback_scan_determinismE0ELb0ES3_N6thrust23THRUST_200600_302600_NS6detail15normal_iteratorINS9_10device_ptrIjEEEESE_SE_jNS9_4plusIvEENS9_8equal_toIvEEjEE10hipError_tPvRmT2_T3_T4_T5_mT6_T7_P12ihipStream_tbENKUlT_T0_E_clISt17integral_constantIbLb0EESZ_EEDaSU_SV_EUlSU_E_NS1_11comp_targetILNS1_3genE5ELNS1_11target_archE942ELNS1_3gpuE9ELNS1_3repE0EEENS1_30default_config_static_selectorELNS0_4arch9wavefront6targetE0EEEvT1_.has_recursion, 0
	.set _ZN7rocprim17ROCPRIM_400000_NS6detail17trampoline_kernelINS0_14default_configENS1_27scan_by_key_config_selectorIjjEEZZNS1_16scan_by_key_implILNS1_25lookback_scan_determinismE0ELb0ES3_N6thrust23THRUST_200600_302600_NS6detail15normal_iteratorINS9_10device_ptrIjEEEESE_SE_jNS9_4plusIvEENS9_8equal_toIvEEjEE10hipError_tPvRmT2_T3_T4_T5_mT6_T7_P12ihipStream_tbENKUlT_T0_E_clISt17integral_constantIbLb0EESZ_EEDaSU_SV_EUlSU_E_NS1_11comp_targetILNS1_3genE5ELNS1_11target_archE942ELNS1_3gpuE9ELNS1_3repE0EEENS1_30default_config_static_selectorELNS0_4arch9wavefront6targetE0EEEvT1_.has_indirect_call, 0
	.section	.AMDGPU.csdata,"",@progbits
; Kernel info:
; codeLenInByte = 0
; TotalNumSgprs: 0
; NumVgprs: 0
; ScratchSize: 0
; MemoryBound: 0
; FloatMode: 240
; IeeeMode: 1
; LDSByteSize: 0 bytes/workgroup (compile time only)
; SGPRBlocks: 0
; VGPRBlocks: 0
; NumSGPRsForWavesPerEU: 1
; NumVGPRsForWavesPerEU: 1
; Occupancy: 16
; WaveLimiterHint : 0
; COMPUTE_PGM_RSRC2:SCRATCH_EN: 0
; COMPUTE_PGM_RSRC2:USER_SGPR: 6
; COMPUTE_PGM_RSRC2:TRAP_HANDLER: 0
; COMPUTE_PGM_RSRC2:TGID_X_EN: 1
; COMPUTE_PGM_RSRC2:TGID_Y_EN: 0
; COMPUTE_PGM_RSRC2:TGID_Z_EN: 0
; COMPUTE_PGM_RSRC2:TIDIG_COMP_CNT: 0
	.section	.text._ZN7rocprim17ROCPRIM_400000_NS6detail17trampoline_kernelINS0_14default_configENS1_27scan_by_key_config_selectorIjjEEZZNS1_16scan_by_key_implILNS1_25lookback_scan_determinismE0ELb0ES3_N6thrust23THRUST_200600_302600_NS6detail15normal_iteratorINS9_10device_ptrIjEEEESE_SE_jNS9_4plusIvEENS9_8equal_toIvEEjEE10hipError_tPvRmT2_T3_T4_T5_mT6_T7_P12ihipStream_tbENKUlT_T0_E_clISt17integral_constantIbLb0EESZ_EEDaSU_SV_EUlSU_E_NS1_11comp_targetILNS1_3genE4ELNS1_11target_archE910ELNS1_3gpuE8ELNS1_3repE0EEENS1_30default_config_static_selectorELNS0_4arch9wavefront6targetE0EEEvT1_,"axG",@progbits,_ZN7rocprim17ROCPRIM_400000_NS6detail17trampoline_kernelINS0_14default_configENS1_27scan_by_key_config_selectorIjjEEZZNS1_16scan_by_key_implILNS1_25lookback_scan_determinismE0ELb0ES3_N6thrust23THRUST_200600_302600_NS6detail15normal_iteratorINS9_10device_ptrIjEEEESE_SE_jNS9_4plusIvEENS9_8equal_toIvEEjEE10hipError_tPvRmT2_T3_T4_T5_mT6_T7_P12ihipStream_tbENKUlT_T0_E_clISt17integral_constantIbLb0EESZ_EEDaSU_SV_EUlSU_E_NS1_11comp_targetILNS1_3genE4ELNS1_11target_archE910ELNS1_3gpuE8ELNS1_3repE0EEENS1_30default_config_static_selectorELNS0_4arch9wavefront6targetE0EEEvT1_,comdat
	.protected	_ZN7rocprim17ROCPRIM_400000_NS6detail17trampoline_kernelINS0_14default_configENS1_27scan_by_key_config_selectorIjjEEZZNS1_16scan_by_key_implILNS1_25lookback_scan_determinismE0ELb0ES3_N6thrust23THRUST_200600_302600_NS6detail15normal_iteratorINS9_10device_ptrIjEEEESE_SE_jNS9_4plusIvEENS9_8equal_toIvEEjEE10hipError_tPvRmT2_T3_T4_T5_mT6_T7_P12ihipStream_tbENKUlT_T0_E_clISt17integral_constantIbLb0EESZ_EEDaSU_SV_EUlSU_E_NS1_11comp_targetILNS1_3genE4ELNS1_11target_archE910ELNS1_3gpuE8ELNS1_3repE0EEENS1_30default_config_static_selectorELNS0_4arch9wavefront6targetE0EEEvT1_ ; -- Begin function _ZN7rocprim17ROCPRIM_400000_NS6detail17trampoline_kernelINS0_14default_configENS1_27scan_by_key_config_selectorIjjEEZZNS1_16scan_by_key_implILNS1_25lookback_scan_determinismE0ELb0ES3_N6thrust23THRUST_200600_302600_NS6detail15normal_iteratorINS9_10device_ptrIjEEEESE_SE_jNS9_4plusIvEENS9_8equal_toIvEEjEE10hipError_tPvRmT2_T3_T4_T5_mT6_T7_P12ihipStream_tbENKUlT_T0_E_clISt17integral_constantIbLb0EESZ_EEDaSU_SV_EUlSU_E_NS1_11comp_targetILNS1_3genE4ELNS1_11target_archE910ELNS1_3gpuE8ELNS1_3repE0EEENS1_30default_config_static_selectorELNS0_4arch9wavefront6targetE0EEEvT1_
	.globl	_ZN7rocprim17ROCPRIM_400000_NS6detail17trampoline_kernelINS0_14default_configENS1_27scan_by_key_config_selectorIjjEEZZNS1_16scan_by_key_implILNS1_25lookback_scan_determinismE0ELb0ES3_N6thrust23THRUST_200600_302600_NS6detail15normal_iteratorINS9_10device_ptrIjEEEESE_SE_jNS9_4plusIvEENS9_8equal_toIvEEjEE10hipError_tPvRmT2_T3_T4_T5_mT6_T7_P12ihipStream_tbENKUlT_T0_E_clISt17integral_constantIbLb0EESZ_EEDaSU_SV_EUlSU_E_NS1_11comp_targetILNS1_3genE4ELNS1_11target_archE910ELNS1_3gpuE8ELNS1_3repE0EEENS1_30default_config_static_selectorELNS0_4arch9wavefront6targetE0EEEvT1_
	.p2align	8
	.type	_ZN7rocprim17ROCPRIM_400000_NS6detail17trampoline_kernelINS0_14default_configENS1_27scan_by_key_config_selectorIjjEEZZNS1_16scan_by_key_implILNS1_25lookback_scan_determinismE0ELb0ES3_N6thrust23THRUST_200600_302600_NS6detail15normal_iteratorINS9_10device_ptrIjEEEESE_SE_jNS9_4plusIvEENS9_8equal_toIvEEjEE10hipError_tPvRmT2_T3_T4_T5_mT6_T7_P12ihipStream_tbENKUlT_T0_E_clISt17integral_constantIbLb0EESZ_EEDaSU_SV_EUlSU_E_NS1_11comp_targetILNS1_3genE4ELNS1_11target_archE910ELNS1_3gpuE8ELNS1_3repE0EEENS1_30default_config_static_selectorELNS0_4arch9wavefront6targetE0EEEvT1_,@function
_ZN7rocprim17ROCPRIM_400000_NS6detail17trampoline_kernelINS0_14default_configENS1_27scan_by_key_config_selectorIjjEEZZNS1_16scan_by_key_implILNS1_25lookback_scan_determinismE0ELb0ES3_N6thrust23THRUST_200600_302600_NS6detail15normal_iteratorINS9_10device_ptrIjEEEESE_SE_jNS9_4plusIvEENS9_8equal_toIvEEjEE10hipError_tPvRmT2_T3_T4_T5_mT6_T7_P12ihipStream_tbENKUlT_T0_E_clISt17integral_constantIbLb0EESZ_EEDaSU_SV_EUlSU_E_NS1_11comp_targetILNS1_3genE4ELNS1_11target_archE910ELNS1_3gpuE8ELNS1_3repE0EEENS1_30default_config_static_selectorELNS0_4arch9wavefront6targetE0EEEvT1_: ; @_ZN7rocprim17ROCPRIM_400000_NS6detail17trampoline_kernelINS0_14default_configENS1_27scan_by_key_config_selectorIjjEEZZNS1_16scan_by_key_implILNS1_25lookback_scan_determinismE0ELb0ES3_N6thrust23THRUST_200600_302600_NS6detail15normal_iteratorINS9_10device_ptrIjEEEESE_SE_jNS9_4plusIvEENS9_8equal_toIvEEjEE10hipError_tPvRmT2_T3_T4_T5_mT6_T7_P12ihipStream_tbENKUlT_T0_E_clISt17integral_constantIbLb0EESZ_EEDaSU_SV_EUlSU_E_NS1_11comp_targetILNS1_3genE4ELNS1_11target_archE910ELNS1_3gpuE8ELNS1_3repE0EEENS1_30default_config_static_selectorELNS0_4arch9wavefront6targetE0EEEvT1_
; %bb.0:
	.section	.rodata,"a",@progbits
	.p2align	6, 0x0
	.amdhsa_kernel _ZN7rocprim17ROCPRIM_400000_NS6detail17trampoline_kernelINS0_14default_configENS1_27scan_by_key_config_selectorIjjEEZZNS1_16scan_by_key_implILNS1_25lookback_scan_determinismE0ELb0ES3_N6thrust23THRUST_200600_302600_NS6detail15normal_iteratorINS9_10device_ptrIjEEEESE_SE_jNS9_4plusIvEENS9_8equal_toIvEEjEE10hipError_tPvRmT2_T3_T4_T5_mT6_T7_P12ihipStream_tbENKUlT_T0_E_clISt17integral_constantIbLb0EESZ_EEDaSU_SV_EUlSU_E_NS1_11comp_targetILNS1_3genE4ELNS1_11target_archE910ELNS1_3gpuE8ELNS1_3repE0EEENS1_30default_config_static_selectorELNS0_4arch9wavefront6targetE0EEEvT1_
		.amdhsa_group_segment_fixed_size 0
		.amdhsa_private_segment_fixed_size 0
		.amdhsa_kernarg_size 112
		.amdhsa_user_sgpr_count 6
		.amdhsa_user_sgpr_private_segment_buffer 1
		.amdhsa_user_sgpr_dispatch_ptr 0
		.amdhsa_user_sgpr_queue_ptr 0
		.amdhsa_user_sgpr_kernarg_segment_ptr 1
		.amdhsa_user_sgpr_dispatch_id 0
		.amdhsa_user_sgpr_flat_scratch_init 0
		.amdhsa_user_sgpr_private_segment_size 0
		.amdhsa_wavefront_size32 1
		.amdhsa_uses_dynamic_stack 0
		.amdhsa_system_sgpr_private_segment_wavefront_offset 0
		.amdhsa_system_sgpr_workgroup_id_x 1
		.amdhsa_system_sgpr_workgroup_id_y 0
		.amdhsa_system_sgpr_workgroup_id_z 0
		.amdhsa_system_sgpr_workgroup_info 0
		.amdhsa_system_vgpr_workitem_id 0
		.amdhsa_next_free_vgpr 1
		.amdhsa_next_free_sgpr 1
		.amdhsa_reserve_vcc 0
		.amdhsa_reserve_flat_scratch 0
		.amdhsa_float_round_mode_32 0
		.amdhsa_float_round_mode_16_64 0
		.amdhsa_float_denorm_mode_32 3
		.amdhsa_float_denorm_mode_16_64 3
		.amdhsa_dx10_clamp 1
		.amdhsa_ieee_mode 1
		.amdhsa_fp16_overflow 0
		.amdhsa_workgroup_processor_mode 1
		.amdhsa_memory_ordered 1
		.amdhsa_forward_progress 1
		.amdhsa_shared_vgpr_count 0
		.amdhsa_exception_fp_ieee_invalid_op 0
		.amdhsa_exception_fp_denorm_src 0
		.amdhsa_exception_fp_ieee_div_zero 0
		.amdhsa_exception_fp_ieee_overflow 0
		.amdhsa_exception_fp_ieee_underflow 0
		.amdhsa_exception_fp_ieee_inexact 0
		.amdhsa_exception_int_div_zero 0
	.end_amdhsa_kernel
	.section	.text._ZN7rocprim17ROCPRIM_400000_NS6detail17trampoline_kernelINS0_14default_configENS1_27scan_by_key_config_selectorIjjEEZZNS1_16scan_by_key_implILNS1_25lookback_scan_determinismE0ELb0ES3_N6thrust23THRUST_200600_302600_NS6detail15normal_iteratorINS9_10device_ptrIjEEEESE_SE_jNS9_4plusIvEENS9_8equal_toIvEEjEE10hipError_tPvRmT2_T3_T4_T5_mT6_T7_P12ihipStream_tbENKUlT_T0_E_clISt17integral_constantIbLb0EESZ_EEDaSU_SV_EUlSU_E_NS1_11comp_targetILNS1_3genE4ELNS1_11target_archE910ELNS1_3gpuE8ELNS1_3repE0EEENS1_30default_config_static_selectorELNS0_4arch9wavefront6targetE0EEEvT1_,"axG",@progbits,_ZN7rocprim17ROCPRIM_400000_NS6detail17trampoline_kernelINS0_14default_configENS1_27scan_by_key_config_selectorIjjEEZZNS1_16scan_by_key_implILNS1_25lookback_scan_determinismE0ELb0ES3_N6thrust23THRUST_200600_302600_NS6detail15normal_iteratorINS9_10device_ptrIjEEEESE_SE_jNS9_4plusIvEENS9_8equal_toIvEEjEE10hipError_tPvRmT2_T3_T4_T5_mT6_T7_P12ihipStream_tbENKUlT_T0_E_clISt17integral_constantIbLb0EESZ_EEDaSU_SV_EUlSU_E_NS1_11comp_targetILNS1_3genE4ELNS1_11target_archE910ELNS1_3gpuE8ELNS1_3repE0EEENS1_30default_config_static_selectorELNS0_4arch9wavefront6targetE0EEEvT1_,comdat
.Lfunc_end1829:
	.size	_ZN7rocprim17ROCPRIM_400000_NS6detail17trampoline_kernelINS0_14default_configENS1_27scan_by_key_config_selectorIjjEEZZNS1_16scan_by_key_implILNS1_25lookback_scan_determinismE0ELb0ES3_N6thrust23THRUST_200600_302600_NS6detail15normal_iteratorINS9_10device_ptrIjEEEESE_SE_jNS9_4plusIvEENS9_8equal_toIvEEjEE10hipError_tPvRmT2_T3_T4_T5_mT6_T7_P12ihipStream_tbENKUlT_T0_E_clISt17integral_constantIbLb0EESZ_EEDaSU_SV_EUlSU_E_NS1_11comp_targetILNS1_3genE4ELNS1_11target_archE910ELNS1_3gpuE8ELNS1_3repE0EEENS1_30default_config_static_selectorELNS0_4arch9wavefront6targetE0EEEvT1_, .Lfunc_end1829-_ZN7rocprim17ROCPRIM_400000_NS6detail17trampoline_kernelINS0_14default_configENS1_27scan_by_key_config_selectorIjjEEZZNS1_16scan_by_key_implILNS1_25lookback_scan_determinismE0ELb0ES3_N6thrust23THRUST_200600_302600_NS6detail15normal_iteratorINS9_10device_ptrIjEEEESE_SE_jNS9_4plusIvEENS9_8equal_toIvEEjEE10hipError_tPvRmT2_T3_T4_T5_mT6_T7_P12ihipStream_tbENKUlT_T0_E_clISt17integral_constantIbLb0EESZ_EEDaSU_SV_EUlSU_E_NS1_11comp_targetILNS1_3genE4ELNS1_11target_archE910ELNS1_3gpuE8ELNS1_3repE0EEENS1_30default_config_static_selectorELNS0_4arch9wavefront6targetE0EEEvT1_
                                        ; -- End function
	.set _ZN7rocprim17ROCPRIM_400000_NS6detail17trampoline_kernelINS0_14default_configENS1_27scan_by_key_config_selectorIjjEEZZNS1_16scan_by_key_implILNS1_25lookback_scan_determinismE0ELb0ES3_N6thrust23THRUST_200600_302600_NS6detail15normal_iteratorINS9_10device_ptrIjEEEESE_SE_jNS9_4plusIvEENS9_8equal_toIvEEjEE10hipError_tPvRmT2_T3_T4_T5_mT6_T7_P12ihipStream_tbENKUlT_T0_E_clISt17integral_constantIbLb0EESZ_EEDaSU_SV_EUlSU_E_NS1_11comp_targetILNS1_3genE4ELNS1_11target_archE910ELNS1_3gpuE8ELNS1_3repE0EEENS1_30default_config_static_selectorELNS0_4arch9wavefront6targetE0EEEvT1_.num_vgpr, 0
	.set _ZN7rocprim17ROCPRIM_400000_NS6detail17trampoline_kernelINS0_14default_configENS1_27scan_by_key_config_selectorIjjEEZZNS1_16scan_by_key_implILNS1_25lookback_scan_determinismE0ELb0ES3_N6thrust23THRUST_200600_302600_NS6detail15normal_iteratorINS9_10device_ptrIjEEEESE_SE_jNS9_4plusIvEENS9_8equal_toIvEEjEE10hipError_tPvRmT2_T3_T4_T5_mT6_T7_P12ihipStream_tbENKUlT_T0_E_clISt17integral_constantIbLb0EESZ_EEDaSU_SV_EUlSU_E_NS1_11comp_targetILNS1_3genE4ELNS1_11target_archE910ELNS1_3gpuE8ELNS1_3repE0EEENS1_30default_config_static_selectorELNS0_4arch9wavefront6targetE0EEEvT1_.num_agpr, 0
	.set _ZN7rocprim17ROCPRIM_400000_NS6detail17trampoline_kernelINS0_14default_configENS1_27scan_by_key_config_selectorIjjEEZZNS1_16scan_by_key_implILNS1_25lookback_scan_determinismE0ELb0ES3_N6thrust23THRUST_200600_302600_NS6detail15normal_iteratorINS9_10device_ptrIjEEEESE_SE_jNS9_4plusIvEENS9_8equal_toIvEEjEE10hipError_tPvRmT2_T3_T4_T5_mT6_T7_P12ihipStream_tbENKUlT_T0_E_clISt17integral_constantIbLb0EESZ_EEDaSU_SV_EUlSU_E_NS1_11comp_targetILNS1_3genE4ELNS1_11target_archE910ELNS1_3gpuE8ELNS1_3repE0EEENS1_30default_config_static_selectorELNS0_4arch9wavefront6targetE0EEEvT1_.numbered_sgpr, 0
	.set _ZN7rocprim17ROCPRIM_400000_NS6detail17trampoline_kernelINS0_14default_configENS1_27scan_by_key_config_selectorIjjEEZZNS1_16scan_by_key_implILNS1_25lookback_scan_determinismE0ELb0ES3_N6thrust23THRUST_200600_302600_NS6detail15normal_iteratorINS9_10device_ptrIjEEEESE_SE_jNS9_4plusIvEENS9_8equal_toIvEEjEE10hipError_tPvRmT2_T3_T4_T5_mT6_T7_P12ihipStream_tbENKUlT_T0_E_clISt17integral_constantIbLb0EESZ_EEDaSU_SV_EUlSU_E_NS1_11comp_targetILNS1_3genE4ELNS1_11target_archE910ELNS1_3gpuE8ELNS1_3repE0EEENS1_30default_config_static_selectorELNS0_4arch9wavefront6targetE0EEEvT1_.num_named_barrier, 0
	.set _ZN7rocprim17ROCPRIM_400000_NS6detail17trampoline_kernelINS0_14default_configENS1_27scan_by_key_config_selectorIjjEEZZNS1_16scan_by_key_implILNS1_25lookback_scan_determinismE0ELb0ES3_N6thrust23THRUST_200600_302600_NS6detail15normal_iteratorINS9_10device_ptrIjEEEESE_SE_jNS9_4plusIvEENS9_8equal_toIvEEjEE10hipError_tPvRmT2_T3_T4_T5_mT6_T7_P12ihipStream_tbENKUlT_T0_E_clISt17integral_constantIbLb0EESZ_EEDaSU_SV_EUlSU_E_NS1_11comp_targetILNS1_3genE4ELNS1_11target_archE910ELNS1_3gpuE8ELNS1_3repE0EEENS1_30default_config_static_selectorELNS0_4arch9wavefront6targetE0EEEvT1_.private_seg_size, 0
	.set _ZN7rocprim17ROCPRIM_400000_NS6detail17trampoline_kernelINS0_14default_configENS1_27scan_by_key_config_selectorIjjEEZZNS1_16scan_by_key_implILNS1_25lookback_scan_determinismE0ELb0ES3_N6thrust23THRUST_200600_302600_NS6detail15normal_iteratorINS9_10device_ptrIjEEEESE_SE_jNS9_4plusIvEENS9_8equal_toIvEEjEE10hipError_tPvRmT2_T3_T4_T5_mT6_T7_P12ihipStream_tbENKUlT_T0_E_clISt17integral_constantIbLb0EESZ_EEDaSU_SV_EUlSU_E_NS1_11comp_targetILNS1_3genE4ELNS1_11target_archE910ELNS1_3gpuE8ELNS1_3repE0EEENS1_30default_config_static_selectorELNS0_4arch9wavefront6targetE0EEEvT1_.uses_vcc, 0
	.set _ZN7rocprim17ROCPRIM_400000_NS6detail17trampoline_kernelINS0_14default_configENS1_27scan_by_key_config_selectorIjjEEZZNS1_16scan_by_key_implILNS1_25lookback_scan_determinismE0ELb0ES3_N6thrust23THRUST_200600_302600_NS6detail15normal_iteratorINS9_10device_ptrIjEEEESE_SE_jNS9_4plusIvEENS9_8equal_toIvEEjEE10hipError_tPvRmT2_T3_T4_T5_mT6_T7_P12ihipStream_tbENKUlT_T0_E_clISt17integral_constantIbLb0EESZ_EEDaSU_SV_EUlSU_E_NS1_11comp_targetILNS1_3genE4ELNS1_11target_archE910ELNS1_3gpuE8ELNS1_3repE0EEENS1_30default_config_static_selectorELNS0_4arch9wavefront6targetE0EEEvT1_.uses_flat_scratch, 0
	.set _ZN7rocprim17ROCPRIM_400000_NS6detail17trampoline_kernelINS0_14default_configENS1_27scan_by_key_config_selectorIjjEEZZNS1_16scan_by_key_implILNS1_25lookback_scan_determinismE0ELb0ES3_N6thrust23THRUST_200600_302600_NS6detail15normal_iteratorINS9_10device_ptrIjEEEESE_SE_jNS9_4plusIvEENS9_8equal_toIvEEjEE10hipError_tPvRmT2_T3_T4_T5_mT6_T7_P12ihipStream_tbENKUlT_T0_E_clISt17integral_constantIbLb0EESZ_EEDaSU_SV_EUlSU_E_NS1_11comp_targetILNS1_3genE4ELNS1_11target_archE910ELNS1_3gpuE8ELNS1_3repE0EEENS1_30default_config_static_selectorELNS0_4arch9wavefront6targetE0EEEvT1_.has_dyn_sized_stack, 0
	.set _ZN7rocprim17ROCPRIM_400000_NS6detail17trampoline_kernelINS0_14default_configENS1_27scan_by_key_config_selectorIjjEEZZNS1_16scan_by_key_implILNS1_25lookback_scan_determinismE0ELb0ES3_N6thrust23THRUST_200600_302600_NS6detail15normal_iteratorINS9_10device_ptrIjEEEESE_SE_jNS9_4plusIvEENS9_8equal_toIvEEjEE10hipError_tPvRmT2_T3_T4_T5_mT6_T7_P12ihipStream_tbENKUlT_T0_E_clISt17integral_constantIbLb0EESZ_EEDaSU_SV_EUlSU_E_NS1_11comp_targetILNS1_3genE4ELNS1_11target_archE910ELNS1_3gpuE8ELNS1_3repE0EEENS1_30default_config_static_selectorELNS0_4arch9wavefront6targetE0EEEvT1_.has_recursion, 0
	.set _ZN7rocprim17ROCPRIM_400000_NS6detail17trampoline_kernelINS0_14default_configENS1_27scan_by_key_config_selectorIjjEEZZNS1_16scan_by_key_implILNS1_25lookback_scan_determinismE0ELb0ES3_N6thrust23THRUST_200600_302600_NS6detail15normal_iteratorINS9_10device_ptrIjEEEESE_SE_jNS9_4plusIvEENS9_8equal_toIvEEjEE10hipError_tPvRmT2_T3_T4_T5_mT6_T7_P12ihipStream_tbENKUlT_T0_E_clISt17integral_constantIbLb0EESZ_EEDaSU_SV_EUlSU_E_NS1_11comp_targetILNS1_3genE4ELNS1_11target_archE910ELNS1_3gpuE8ELNS1_3repE0EEENS1_30default_config_static_selectorELNS0_4arch9wavefront6targetE0EEEvT1_.has_indirect_call, 0
	.section	.AMDGPU.csdata,"",@progbits
; Kernel info:
; codeLenInByte = 0
; TotalNumSgprs: 0
; NumVgprs: 0
; ScratchSize: 0
; MemoryBound: 0
; FloatMode: 240
; IeeeMode: 1
; LDSByteSize: 0 bytes/workgroup (compile time only)
; SGPRBlocks: 0
; VGPRBlocks: 0
; NumSGPRsForWavesPerEU: 1
; NumVGPRsForWavesPerEU: 1
; Occupancy: 16
; WaveLimiterHint : 0
; COMPUTE_PGM_RSRC2:SCRATCH_EN: 0
; COMPUTE_PGM_RSRC2:USER_SGPR: 6
; COMPUTE_PGM_RSRC2:TRAP_HANDLER: 0
; COMPUTE_PGM_RSRC2:TGID_X_EN: 1
; COMPUTE_PGM_RSRC2:TGID_Y_EN: 0
; COMPUTE_PGM_RSRC2:TGID_Z_EN: 0
; COMPUTE_PGM_RSRC2:TIDIG_COMP_CNT: 0
	.section	.text._ZN7rocprim17ROCPRIM_400000_NS6detail17trampoline_kernelINS0_14default_configENS1_27scan_by_key_config_selectorIjjEEZZNS1_16scan_by_key_implILNS1_25lookback_scan_determinismE0ELb0ES3_N6thrust23THRUST_200600_302600_NS6detail15normal_iteratorINS9_10device_ptrIjEEEESE_SE_jNS9_4plusIvEENS9_8equal_toIvEEjEE10hipError_tPvRmT2_T3_T4_T5_mT6_T7_P12ihipStream_tbENKUlT_T0_E_clISt17integral_constantIbLb0EESZ_EEDaSU_SV_EUlSU_E_NS1_11comp_targetILNS1_3genE3ELNS1_11target_archE908ELNS1_3gpuE7ELNS1_3repE0EEENS1_30default_config_static_selectorELNS0_4arch9wavefront6targetE0EEEvT1_,"axG",@progbits,_ZN7rocprim17ROCPRIM_400000_NS6detail17trampoline_kernelINS0_14default_configENS1_27scan_by_key_config_selectorIjjEEZZNS1_16scan_by_key_implILNS1_25lookback_scan_determinismE0ELb0ES3_N6thrust23THRUST_200600_302600_NS6detail15normal_iteratorINS9_10device_ptrIjEEEESE_SE_jNS9_4plusIvEENS9_8equal_toIvEEjEE10hipError_tPvRmT2_T3_T4_T5_mT6_T7_P12ihipStream_tbENKUlT_T0_E_clISt17integral_constantIbLb0EESZ_EEDaSU_SV_EUlSU_E_NS1_11comp_targetILNS1_3genE3ELNS1_11target_archE908ELNS1_3gpuE7ELNS1_3repE0EEENS1_30default_config_static_selectorELNS0_4arch9wavefront6targetE0EEEvT1_,comdat
	.protected	_ZN7rocprim17ROCPRIM_400000_NS6detail17trampoline_kernelINS0_14default_configENS1_27scan_by_key_config_selectorIjjEEZZNS1_16scan_by_key_implILNS1_25lookback_scan_determinismE0ELb0ES3_N6thrust23THRUST_200600_302600_NS6detail15normal_iteratorINS9_10device_ptrIjEEEESE_SE_jNS9_4plusIvEENS9_8equal_toIvEEjEE10hipError_tPvRmT2_T3_T4_T5_mT6_T7_P12ihipStream_tbENKUlT_T0_E_clISt17integral_constantIbLb0EESZ_EEDaSU_SV_EUlSU_E_NS1_11comp_targetILNS1_3genE3ELNS1_11target_archE908ELNS1_3gpuE7ELNS1_3repE0EEENS1_30default_config_static_selectorELNS0_4arch9wavefront6targetE0EEEvT1_ ; -- Begin function _ZN7rocprim17ROCPRIM_400000_NS6detail17trampoline_kernelINS0_14default_configENS1_27scan_by_key_config_selectorIjjEEZZNS1_16scan_by_key_implILNS1_25lookback_scan_determinismE0ELb0ES3_N6thrust23THRUST_200600_302600_NS6detail15normal_iteratorINS9_10device_ptrIjEEEESE_SE_jNS9_4plusIvEENS9_8equal_toIvEEjEE10hipError_tPvRmT2_T3_T4_T5_mT6_T7_P12ihipStream_tbENKUlT_T0_E_clISt17integral_constantIbLb0EESZ_EEDaSU_SV_EUlSU_E_NS1_11comp_targetILNS1_3genE3ELNS1_11target_archE908ELNS1_3gpuE7ELNS1_3repE0EEENS1_30default_config_static_selectorELNS0_4arch9wavefront6targetE0EEEvT1_
	.globl	_ZN7rocprim17ROCPRIM_400000_NS6detail17trampoline_kernelINS0_14default_configENS1_27scan_by_key_config_selectorIjjEEZZNS1_16scan_by_key_implILNS1_25lookback_scan_determinismE0ELb0ES3_N6thrust23THRUST_200600_302600_NS6detail15normal_iteratorINS9_10device_ptrIjEEEESE_SE_jNS9_4plusIvEENS9_8equal_toIvEEjEE10hipError_tPvRmT2_T3_T4_T5_mT6_T7_P12ihipStream_tbENKUlT_T0_E_clISt17integral_constantIbLb0EESZ_EEDaSU_SV_EUlSU_E_NS1_11comp_targetILNS1_3genE3ELNS1_11target_archE908ELNS1_3gpuE7ELNS1_3repE0EEENS1_30default_config_static_selectorELNS0_4arch9wavefront6targetE0EEEvT1_
	.p2align	8
	.type	_ZN7rocprim17ROCPRIM_400000_NS6detail17trampoline_kernelINS0_14default_configENS1_27scan_by_key_config_selectorIjjEEZZNS1_16scan_by_key_implILNS1_25lookback_scan_determinismE0ELb0ES3_N6thrust23THRUST_200600_302600_NS6detail15normal_iteratorINS9_10device_ptrIjEEEESE_SE_jNS9_4plusIvEENS9_8equal_toIvEEjEE10hipError_tPvRmT2_T3_T4_T5_mT6_T7_P12ihipStream_tbENKUlT_T0_E_clISt17integral_constantIbLb0EESZ_EEDaSU_SV_EUlSU_E_NS1_11comp_targetILNS1_3genE3ELNS1_11target_archE908ELNS1_3gpuE7ELNS1_3repE0EEENS1_30default_config_static_selectorELNS0_4arch9wavefront6targetE0EEEvT1_,@function
_ZN7rocprim17ROCPRIM_400000_NS6detail17trampoline_kernelINS0_14default_configENS1_27scan_by_key_config_selectorIjjEEZZNS1_16scan_by_key_implILNS1_25lookback_scan_determinismE0ELb0ES3_N6thrust23THRUST_200600_302600_NS6detail15normal_iteratorINS9_10device_ptrIjEEEESE_SE_jNS9_4plusIvEENS9_8equal_toIvEEjEE10hipError_tPvRmT2_T3_T4_T5_mT6_T7_P12ihipStream_tbENKUlT_T0_E_clISt17integral_constantIbLb0EESZ_EEDaSU_SV_EUlSU_E_NS1_11comp_targetILNS1_3genE3ELNS1_11target_archE908ELNS1_3gpuE7ELNS1_3repE0EEENS1_30default_config_static_selectorELNS0_4arch9wavefront6targetE0EEEvT1_: ; @_ZN7rocprim17ROCPRIM_400000_NS6detail17trampoline_kernelINS0_14default_configENS1_27scan_by_key_config_selectorIjjEEZZNS1_16scan_by_key_implILNS1_25lookback_scan_determinismE0ELb0ES3_N6thrust23THRUST_200600_302600_NS6detail15normal_iteratorINS9_10device_ptrIjEEEESE_SE_jNS9_4plusIvEENS9_8equal_toIvEEjEE10hipError_tPvRmT2_T3_T4_T5_mT6_T7_P12ihipStream_tbENKUlT_T0_E_clISt17integral_constantIbLb0EESZ_EEDaSU_SV_EUlSU_E_NS1_11comp_targetILNS1_3genE3ELNS1_11target_archE908ELNS1_3gpuE7ELNS1_3repE0EEENS1_30default_config_static_selectorELNS0_4arch9wavefront6targetE0EEEvT1_
; %bb.0:
	.section	.rodata,"a",@progbits
	.p2align	6, 0x0
	.amdhsa_kernel _ZN7rocprim17ROCPRIM_400000_NS6detail17trampoline_kernelINS0_14default_configENS1_27scan_by_key_config_selectorIjjEEZZNS1_16scan_by_key_implILNS1_25lookback_scan_determinismE0ELb0ES3_N6thrust23THRUST_200600_302600_NS6detail15normal_iteratorINS9_10device_ptrIjEEEESE_SE_jNS9_4plusIvEENS9_8equal_toIvEEjEE10hipError_tPvRmT2_T3_T4_T5_mT6_T7_P12ihipStream_tbENKUlT_T0_E_clISt17integral_constantIbLb0EESZ_EEDaSU_SV_EUlSU_E_NS1_11comp_targetILNS1_3genE3ELNS1_11target_archE908ELNS1_3gpuE7ELNS1_3repE0EEENS1_30default_config_static_selectorELNS0_4arch9wavefront6targetE0EEEvT1_
		.amdhsa_group_segment_fixed_size 0
		.amdhsa_private_segment_fixed_size 0
		.amdhsa_kernarg_size 112
		.amdhsa_user_sgpr_count 6
		.amdhsa_user_sgpr_private_segment_buffer 1
		.amdhsa_user_sgpr_dispatch_ptr 0
		.amdhsa_user_sgpr_queue_ptr 0
		.amdhsa_user_sgpr_kernarg_segment_ptr 1
		.amdhsa_user_sgpr_dispatch_id 0
		.amdhsa_user_sgpr_flat_scratch_init 0
		.amdhsa_user_sgpr_private_segment_size 0
		.amdhsa_wavefront_size32 1
		.amdhsa_uses_dynamic_stack 0
		.amdhsa_system_sgpr_private_segment_wavefront_offset 0
		.amdhsa_system_sgpr_workgroup_id_x 1
		.amdhsa_system_sgpr_workgroup_id_y 0
		.amdhsa_system_sgpr_workgroup_id_z 0
		.amdhsa_system_sgpr_workgroup_info 0
		.amdhsa_system_vgpr_workitem_id 0
		.amdhsa_next_free_vgpr 1
		.amdhsa_next_free_sgpr 1
		.amdhsa_reserve_vcc 0
		.amdhsa_reserve_flat_scratch 0
		.amdhsa_float_round_mode_32 0
		.amdhsa_float_round_mode_16_64 0
		.amdhsa_float_denorm_mode_32 3
		.amdhsa_float_denorm_mode_16_64 3
		.amdhsa_dx10_clamp 1
		.amdhsa_ieee_mode 1
		.amdhsa_fp16_overflow 0
		.amdhsa_workgroup_processor_mode 1
		.amdhsa_memory_ordered 1
		.amdhsa_forward_progress 1
		.amdhsa_shared_vgpr_count 0
		.amdhsa_exception_fp_ieee_invalid_op 0
		.amdhsa_exception_fp_denorm_src 0
		.amdhsa_exception_fp_ieee_div_zero 0
		.amdhsa_exception_fp_ieee_overflow 0
		.amdhsa_exception_fp_ieee_underflow 0
		.amdhsa_exception_fp_ieee_inexact 0
		.amdhsa_exception_int_div_zero 0
	.end_amdhsa_kernel
	.section	.text._ZN7rocprim17ROCPRIM_400000_NS6detail17trampoline_kernelINS0_14default_configENS1_27scan_by_key_config_selectorIjjEEZZNS1_16scan_by_key_implILNS1_25lookback_scan_determinismE0ELb0ES3_N6thrust23THRUST_200600_302600_NS6detail15normal_iteratorINS9_10device_ptrIjEEEESE_SE_jNS9_4plusIvEENS9_8equal_toIvEEjEE10hipError_tPvRmT2_T3_T4_T5_mT6_T7_P12ihipStream_tbENKUlT_T0_E_clISt17integral_constantIbLb0EESZ_EEDaSU_SV_EUlSU_E_NS1_11comp_targetILNS1_3genE3ELNS1_11target_archE908ELNS1_3gpuE7ELNS1_3repE0EEENS1_30default_config_static_selectorELNS0_4arch9wavefront6targetE0EEEvT1_,"axG",@progbits,_ZN7rocprim17ROCPRIM_400000_NS6detail17trampoline_kernelINS0_14default_configENS1_27scan_by_key_config_selectorIjjEEZZNS1_16scan_by_key_implILNS1_25lookback_scan_determinismE0ELb0ES3_N6thrust23THRUST_200600_302600_NS6detail15normal_iteratorINS9_10device_ptrIjEEEESE_SE_jNS9_4plusIvEENS9_8equal_toIvEEjEE10hipError_tPvRmT2_T3_T4_T5_mT6_T7_P12ihipStream_tbENKUlT_T0_E_clISt17integral_constantIbLb0EESZ_EEDaSU_SV_EUlSU_E_NS1_11comp_targetILNS1_3genE3ELNS1_11target_archE908ELNS1_3gpuE7ELNS1_3repE0EEENS1_30default_config_static_selectorELNS0_4arch9wavefront6targetE0EEEvT1_,comdat
.Lfunc_end1830:
	.size	_ZN7rocprim17ROCPRIM_400000_NS6detail17trampoline_kernelINS0_14default_configENS1_27scan_by_key_config_selectorIjjEEZZNS1_16scan_by_key_implILNS1_25lookback_scan_determinismE0ELb0ES3_N6thrust23THRUST_200600_302600_NS6detail15normal_iteratorINS9_10device_ptrIjEEEESE_SE_jNS9_4plusIvEENS9_8equal_toIvEEjEE10hipError_tPvRmT2_T3_T4_T5_mT6_T7_P12ihipStream_tbENKUlT_T0_E_clISt17integral_constantIbLb0EESZ_EEDaSU_SV_EUlSU_E_NS1_11comp_targetILNS1_3genE3ELNS1_11target_archE908ELNS1_3gpuE7ELNS1_3repE0EEENS1_30default_config_static_selectorELNS0_4arch9wavefront6targetE0EEEvT1_, .Lfunc_end1830-_ZN7rocprim17ROCPRIM_400000_NS6detail17trampoline_kernelINS0_14default_configENS1_27scan_by_key_config_selectorIjjEEZZNS1_16scan_by_key_implILNS1_25lookback_scan_determinismE0ELb0ES3_N6thrust23THRUST_200600_302600_NS6detail15normal_iteratorINS9_10device_ptrIjEEEESE_SE_jNS9_4plusIvEENS9_8equal_toIvEEjEE10hipError_tPvRmT2_T3_T4_T5_mT6_T7_P12ihipStream_tbENKUlT_T0_E_clISt17integral_constantIbLb0EESZ_EEDaSU_SV_EUlSU_E_NS1_11comp_targetILNS1_3genE3ELNS1_11target_archE908ELNS1_3gpuE7ELNS1_3repE0EEENS1_30default_config_static_selectorELNS0_4arch9wavefront6targetE0EEEvT1_
                                        ; -- End function
	.set _ZN7rocprim17ROCPRIM_400000_NS6detail17trampoline_kernelINS0_14default_configENS1_27scan_by_key_config_selectorIjjEEZZNS1_16scan_by_key_implILNS1_25lookback_scan_determinismE0ELb0ES3_N6thrust23THRUST_200600_302600_NS6detail15normal_iteratorINS9_10device_ptrIjEEEESE_SE_jNS9_4plusIvEENS9_8equal_toIvEEjEE10hipError_tPvRmT2_T3_T4_T5_mT6_T7_P12ihipStream_tbENKUlT_T0_E_clISt17integral_constantIbLb0EESZ_EEDaSU_SV_EUlSU_E_NS1_11comp_targetILNS1_3genE3ELNS1_11target_archE908ELNS1_3gpuE7ELNS1_3repE0EEENS1_30default_config_static_selectorELNS0_4arch9wavefront6targetE0EEEvT1_.num_vgpr, 0
	.set _ZN7rocprim17ROCPRIM_400000_NS6detail17trampoline_kernelINS0_14default_configENS1_27scan_by_key_config_selectorIjjEEZZNS1_16scan_by_key_implILNS1_25lookback_scan_determinismE0ELb0ES3_N6thrust23THRUST_200600_302600_NS6detail15normal_iteratorINS9_10device_ptrIjEEEESE_SE_jNS9_4plusIvEENS9_8equal_toIvEEjEE10hipError_tPvRmT2_T3_T4_T5_mT6_T7_P12ihipStream_tbENKUlT_T0_E_clISt17integral_constantIbLb0EESZ_EEDaSU_SV_EUlSU_E_NS1_11comp_targetILNS1_3genE3ELNS1_11target_archE908ELNS1_3gpuE7ELNS1_3repE0EEENS1_30default_config_static_selectorELNS0_4arch9wavefront6targetE0EEEvT1_.num_agpr, 0
	.set _ZN7rocprim17ROCPRIM_400000_NS6detail17trampoline_kernelINS0_14default_configENS1_27scan_by_key_config_selectorIjjEEZZNS1_16scan_by_key_implILNS1_25lookback_scan_determinismE0ELb0ES3_N6thrust23THRUST_200600_302600_NS6detail15normal_iteratorINS9_10device_ptrIjEEEESE_SE_jNS9_4plusIvEENS9_8equal_toIvEEjEE10hipError_tPvRmT2_T3_T4_T5_mT6_T7_P12ihipStream_tbENKUlT_T0_E_clISt17integral_constantIbLb0EESZ_EEDaSU_SV_EUlSU_E_NS1_11comp_targetILNS1_3genE3ELNS1_11target_archE908ELNS1_3gpuE7ELNS1_3repE0EEENS1_30default_config_static_selectorELNS0_4arch9wavefront6targetE0EEEvT1_.numbered_sgpr, 0
	.set _ZN7rocprim17ROCPRIM_400000_NS6detail17trampoline_kernelINS0_14default_configENS1_27scan_by_key_config_selectorIjjEEZZNS1_16scan_by_key_implILNS1_25lookback_scan_determinismE0ELb0ES3_N6thrust23THRUST_200600_302600_NS6detail15normal_iteratorINS9_10device_ptrIjEEEESE_SE_jNS9_4plusIvEENS9_8equal_toIvEEjEE10hipError_tPvRmT2_T3_T4_T5_mT6_T7_P12ihipStream_tbENKUlT_T0_E_clISt17integral_constantIbLb0EESZ_EEDaSU_SV_EUlSU_E_NS1_11comp_targetILNS1_3genE3ELNS1_11target_archE908ELNS1_3gpuE7ELNS1_3repE0EEENS1_30default_config_static_selectorELNS0_4arch9wavefront6targetE0EEEvT1_.num_named_barrier, 0
	.set _ZN7rocprim17ROCPRIM_400000_NS6detail17trampoline_kernelINS0_14default_configENS1_27scan_by_key_config_selectorIjjEEZZNS1_16scan_by_key_implILNS1_25lookback_scan_determinismE0ELb0ES3_N6thrust23THRUST_200600_302600_NS6detail15normal_iteratorINS9_10device_ptrIjEEEESE_SE_jNS9_4plusIvEENS9_8equal_toIvEEjEE10hipError_tPvRmT2_T3_T4_T5_mT6_T7_P12ihipStream_tbENKUlT_T0_E_clISt17integral_constantIbLb0EESZ_EEDaSU_SV_EUlSU_E_NS1_11comp_targetILNS1_3genE3ELNS1_11target_archE908ELNS1_3gpuE7ELNS1_3repE0EEENS1_30default_config_static_selectorELNS0_4arch9wavefront6targetE0EEEvT1_.private_seg_size, 0
	.set _ZN7rocprim17ROCPRIM_400000_NS6detail17trampoline_kernelINS0_14default_configENS1_27scan_by_key_config_selectorIjjEEZZNS1_16scan_by_key_implILNS1_25lookback_scan_determinismE0ELb0ES3_N6thrust23THRUST_200600_302600_NS6detail15normal_iteratorINS9_10device_ptrIjEEEESE_SE_jNS9_4plusIvEENS9_8equal_toIvEEjEE10hipError_tPvRmT2_T3_T4_T5_mT6_T7_P12ihipStream_tbENKUlT_T0_E_clISt17integral_constantIbLb0EESZ_EEDaSU_SV_EUlSU_E_NS1_11comp_targetILNS1_3genE3ELNS1_11target_archE908ELNS1_3gpuE7ELNS1_3repE0EEENS1_30default_config_static_selectorELNS0_4arch9wavefront6targetE0EEEvT1_.uses_vcc, 0
	.set _ZN7rocprim17ROCPRIM_400000_NS6detail17trampoline_kernelINS0_14default_configENS1_27scan_by_key_config_selectorIjjEEZZNS1_16scan_by_key_implILNS1_25lookback_scan_determinismE0ELb0ES3_N6thrust23THRUST_200600_302600_NS6detail15normal_iteratorINS9_10device_ptrIjEEEESE_SE_jNS9_4plusIvEENS9_8equal_toIvEEjEE10hipError_tPvRmT2_T3_T4_T5_mT6_T7_P12ihipStream_tbENKUlT_T0_E_clISt17integral_constantIbLb0EESZ_EEDaSU_SV_EUlSU_E_NS1_11comp_targetILNS1_3genE3ELNS1_11target_archE908ELNS1_3gpuE7ELNS1_3repE0EEENS1_30default_config_static_selectorELNS0_4arch9wavefront6targetE0EEEvT1_.uses_flat_scratch, 0
	.set _ZN7rocprim17ROCPRIM_400000_NS6detail17trampoline_kernelINS0_14default_configENS1_27scan_by_key_config_selectorIjjEEZZNS1_16scan_by_key_implILNS1_25lookback_scan_determinismE0ELb0ES3_N6thrust23THRUST_200600_302600_NS6detail15normal_iteratorINS9_10device_ptrIjEEEESE_SE_jNS9_4plusIvEENS9_8equal_toIvEEjEE10hipError_tPvRmT2_T3_T4_T5_mT6_T7_P12ihipStream_tbENKUlT_T0_E_clISt17integral_constantIbLb0EESZ_EEDaSU_SV_EUlSU_E_NS1_11comp_targetILNS1_3genE3ELNS1_11target_archE908ELNS1_3gpuE7ELNS1_3repE0EEENS1_30default_config_static_selectorELNS0_4arch9wavefront6targetE0EEEvT1_.has_dyn_sized_stack, 0
	.set _ZN7rocprim17ROCPRIM_400000_NS6detail17trampoline_kernelINS0_14default_configENS1_27scan_by_key_config_selectorIjjEEZZNS1_16scan_by_key_implILNS1_25lookback_scan_determinismE0ELb0ES3_N6thrust23THRUST_200600_302600_NS6detail15normal_iteratorINS9_10device_ptrIjEEEESE_SE_jNS9_4plusIvEENS9_8equal_toIvEEjEE10hipError_tPvRmT2_T3_T4_T5_mT6_T7_P12ihipStream_tbENKUlT_T0_E_clISt17integral_constantIbLb0EESZ_EEDaSU_SV_EUlSU_E_NS1_11comp_targetILNS1_3genE3ELNS1_11target_archE908ELNS1_3gpuE7ELNS1_3repE0EEENS1_30default_config_static_selectorELNS0_4arch9wavefront6targetE0EEEvT1_.has_recursion, 0
	.set _ZN7rocprim17ROCPRIM_400000_NS6detail17trampoline_kernelINS0_14default_configENS1_27scan_by_key_config_selectorIjjEEZZNS1_16scan_by_key_implILNS1_25lookback_scan_determinismE0ELb0ES3_N6thrust23THRUST_200600_302600_NS6detail15normal_iteratorINS9_10device_ptrIjEEEESE_SE_jNS9_4plusIvEENS9_8equal_toIvEEjEE10hipError_tPvRmT2_T3_T4_T5_mT6_T7_P12ihipStream_tbENKUlT_T0_E_clISt17integral_constantIbLb0EESZ_EEDaSU_SV_EUlSU_E_NS1_11comp_targetILNS1_3genE3ELNS1_11target_archE908ELNS1_3gpuE7ELNS1_3repE0EEENS1_30default_config_static_selectorELNS0_4arch9wavefront6targetE0EEEvT1_.has_indirect_call, 0
	.section	.AMDGPU.csdata,"",@progbits
; Kernel info:
; codeLenInByte = 0
; TotalNumSgprs: 0
; NumVgprs: 0
; ScratchSize: 0
; MemoryBound: 0
; FloatMode: 240
; IeeeMode: 1
; LDSByteSize: 0 bytes/workgroup (compile time only)
; SGPRBlocks: 0
; VGPRBlocks: 0
; NumSGPRsForWavesPerEU: 1
; NumVGPRsForWavesPerEU: 1
; Occupancy: 16
; WaveLimiterHint : 0
; COMPUTE_PGM_RSRC2:SCRATCH_EN: 0
; COMPUTE_PGM_RSRC2:USER_SGPR: 6
; COMPUTE_PGM_RSRC2:TRAP_HANDLER: 0
; COMPUTE_PGM_RSRC2:TGID_X_EN: 1
; COMPUTE_PGM_RSRC2:TGID_Y_EN: 0
; COMPUTE_PGM_RSRC2:TGID_Z_EN: 0
; COMPUTE_PGM_RSRC2:TIDIG_COMP_CNT: 0
	.section	.text._ZN7rocprim17ROCPRIM_400000_NS6detail17trampoline_kernelINS0_14default_configENS1_27scan_by_key_config_selectorIjjEEZZNS1_16scan_by_key_implILNS1_25lookback_scan_determinismE0ELb0ES3_N6thrust23THRUST_200600_302600_NS6detail15normal_iteratorINS9_10device_ptrIjEEEESE_SE_jNS9_4plusIvEENS9_8equal_toIvEEjEE10hipError_tPvRmT2_T3_T4_T5_mT6_T7_P12ihipStream_tbENKUlT_T0_E_clISt17integral_constantIbLb0EESZ_EEDaSU_SV_EUlSU_E_NS1_11comp_targetILNS1_3genE2ELNS1_11target_archE906ELNS1_3gpuE6ELNS1_3repE0EEENS1_30default_config_static_selectorELNS0_4arch9wavefront6targetE0EEEvT1_,"axG",@progbits,_ZN7rocprim17ROCPRIM_400000_NS6detail17trampoline_kernelINS0_14default_configENS1_27scan_by_key_config_selectorIjjEEZZNS1_16scan_by_key_implILNS1_25lookback_scan_determinismE0ELb0ES3_N6thrust23THRUST_200600_302600_NS6detail15normal_iteratorINS9_10device_ptrIjEEEESE_SE_jNS9_4plusIvEENS9_8equal_toIvEEjEE10hipError_tPvRmT2_T3_T4_T5_mT6_T7_P12ihipStream_tbENKUlT_T0_E_clISt17integral_constantIbLb0EESZ_EEDaSU_SV_EUlSU_E_NS1_11comp_targetILNS1_3genE2ELNS1_11target_archE906ELNS1_3gpuE6ELNS1_3repE0EEENS1_30default_config_static_selectorELNS0_4arch9wavefront6targetE0EEEvT1_,comdat
	.protected	_ZN7rocprim17ROCPRIM_400000_NS6detail17trampoline_kernelINS0_14default_configENS1_27scan_by_key_config_selectorIjjEEZZNS1_16scan_by_key_implILNS1_25lookback_scan_determinismE0ELb0ES3_N6thrust23THRUST_200600_302600_NS6detail15normal_iteratorINS9_10device_ptrIjEEEESE_SE_jNS9_4plusIvEENS9_8equal_toIvEEjEE10hipError_tPvRmT2_T3_T4_T5_mT6_T7_P12ihipStream_tbENKUlT_T0_E_clISt17integral_constantIbLb0EESZ_EEDaSU_SV_EUlSU_E_NS1_11comp_targetILNS1_3genE2ELNS1_11target_archE906ELNS1_3gpuE6ELNS1_3repE0EEENS1_30default_config_static_selectorELNS0_4arch9wavefront6targetE0EEEvT1_ ; -- Begin function _ZN7rocprim17ROCPRIM_400000_NS6detail17trampoline_kernelINS0_14default_configENS1_27scan_by_key_config_selectorIjjEEZZNS1_16scan_by_key_implILNS1_25lookback_scan_determinismE0ELb0ES3_N6thrust23THRUST_200600_302600_NS6detail15normal_iteratorINS9_10device_ptrIjEEEESE_SE_jNS9_4plusIvEENS9_8equal_toIvEEjEE10hipError_tPvRmT2_T3_T4_T5_mT6_T7_P12ihipStream_tbENKUlT_T0_E_clISt17integral_constantIbLb0EESZ_EEDaSU_SV_EUlSU_E_NS1_11comp_targetILNS1_3genE2ELNS1_11target_archE906ELNS1_3gpuE6ELNS1_3repE0EEENS1_30default_config_static_selectorELNS0_4arch9wavefront6targetE0EEEvT1_
	.globl	_ZN7rocprim17ROCPRIM_400000_NS6detail17trampoline_kernelINS0_14default_configENS1_27scan_by_key_config_selectorIjjEEZZNS1_16scan_by_key_implILNS1_25lookback_scan_determinismE0ELb0ES3_N6thrust23THRUST_200600_302600_NS6detail15normal_iteratorINS9_10device_ptrIjEEEESE_SE_jNS9_4plusIvEENS9_8equal_toIvEEjEE10hipError_tPvRmT2_T3_T4_T5_mT6_T7_P12ihipStream_tbENKUlT_T0_E_clISt17integral_constantIbLb0EESZ_EEDaSU_SV_EUlSU_E_NS1_11comp_targetILNS1_3genE2ELNS1_11target_archE906ELNS1_3gpuE6ELNS1_3repE0EEENS1_30default_config_static_selectorELNS0_4arch9wavefront6targetE0EEEvT1_
	.p2align	8
	.type	_ZN7rocprim17ROCPRIM_400000_NS6detail17trampoline_kernelINS0_14default_configENS1_27scan_by_key_config_selectorIjjEEZZNS1_16scan_by_key_implILNS1_25lookback_scan_determinismE0ELb0ES3_N6thrust23THRUST_200600_302600_NS6detail15normal_iteratorINS9_10device_ptrIjEEEESE_SE_jNS9_4plusIvEENS9_8equal_toIvEEjEE10hipError_tPvRmT2_T3_T4_T5_mT6_T7_P12ihipStream_tbENKUlT_T0_E_clISt17integral_constantIbLb0EESZ_EEDaSU_SV_EUlSU_E_NS1_11comp_targetILNS1_3genE2ELNS1_11target_archE906ELNS1_3gpuE6ELNS1_3repE0EEENS1_30default_config_static_selectorELNS0_4arch9wavefront6targetE0EEEvT1_,@function
_ZN7rocprim17ROCPRIM_400000_NS6detail17trampoline_kernelINS0_14default_configENS1_27scan_by_key_config_selectorIjjEEZZNS1_16scan_by_key_implILNS1_25lookback_scan_determinismE0ELb0ES3_N6thrust23THRUST_200600_302600_NS6detail15normal_iteratorINS9_10device_ptrIjEEEESE_SE_jNS9_4plusIvEENS9_8equal_toIvEEjEE10hipError_tPvRmT2_T3_T4_T5_mT6_T7_P12ihipStream_tbENKUlT_T0_E_clISt17integral_constantIbLb0EESZ_EEDaSU_SV_EUlSU_E_NS1_11comp_targetILNS1_3genE2ELNS1_11target_archE906ELNS1_3gpuE6ELNS1_3repE0EEENS1_30default_config_static_selectorELNS0_4arch9wavefront6targetE0EEEvT1_: ; @_ZN7rocprim17ROCPRIM_400000_NS6detail17trampoline_kernelINS0_14default_configENS1_27scan_by_key_config_selectorIjjEEZZNS1_16scan_by_key_implILNS1_25lookback_scan_determinismE0ELb0ES3_N6thrust23THRUST_200600_302600_NS6detail15normal_iteratorINS9_10device_ptrIjEEEESE_SE_jNS9_4plusIvEENS9_8equal_toIvEEjEE10hipError_tPvRmT2_T3_T4_T5_mT6_T7_P12ihipStream_tbENKUlT_T0_E_clISt17integral_constantIbLb0EESZ_EEDaSU_SV_EUlSU_E_NS1_11comp_targetILNS1_3genE2ELNS1_11target_archE906ELNS1_3gpuE6ELNS1_3repE0EEENS1_30default_config_static_selectorELNS0_4arch9wavefront6targetE0EEEvT1_
; %bb.0:
	.section	.rodata,"a",@progbits
	.p2align	6, 0x0
	.amdhsa_kernel _ZN7rocprim17ROCPRIM_400000_NS6detail17trampoline_kernelINS0_14default_configENS1_27scan_by_key_config_selectorIjjEEZZNS1_16scan_by_key_implILNS1_25lookback_scan_determinismE0ELb0ES3_N6thrust23THRUST_200600_302600_NS6detail15normal_iteratorINS9_10device_ptrIjEEEESE_SE_jNS9_4plusIvEENS9_8equal_toIvEEjEE10hipError_tPvRmT2_T3_T4_T5_mT6_T7_P12ihipStream_tbENKUlT_T0_E_clISt17integral_constantIbLb0EESZ_EEDaSU_SV_EUlSU_E_NS1_11comp_targetILNS1_3genE2ELNS1_11target_archE906ELNS1_3gpuE6ELNS1_3repE0EEENS1_30default_config_static_selectorELNS0_4arch9wavefront6targetE0EEEvT1_
		.amdhsa_group_segment_fixed_size 0
		.amdhsa_private_segment_fixed_size 0
		.amdhsa_kernarg_size 112
		.amdhsa_user_sgpr_count 6
		.amdhsa_user_sgpr_private_segment_buffer 1
		.amdhsa_user_sgpr_dispatch_ptr 0
		.amdhsa_user_sgpr_queue_ptr 0
		.amdhsa_user_sgpr_kernarg_segment_ptr 1
		.amdhsa_user_sgpr_dispatch_id 0
		.amdhsa_user_sgpr_flat_scratch_init 0
		.amdhsa_user_sgpr_private_segment_size 0
		.amdhsa_wavefront_size32 1
		.amdhsa_uses_dynamic_stack 0
		.amdhsa_system_sgpr_private_segment_wavefront_offset 0
		.amdhsa_system_sgpr_workgroup_id_x 1
		.amdhsa_system_sgpr_workgroup_id_y 0
		.amdhsa_system_sgpr_workgroup_id_z 0
		.amdhsa_system_sgpr_workgroup_info 0
		.amdhsa_system_vgpr_workitem_id 0
		.amdhsa_next_free_vgpr 1
		.amdhsa_next_free_sgpr 1
		.amdhsa_reserve_vcc 0
		.amdhsa_reserve_flat_scratch 0
		.amdhsa_float_round_mode_32 0
		.amdhsa_float_round_mode_16_64 0
		.amdhsa_float_denorm_mode_32 3
		.amdhsa_float_denorm_mode_16_64 3
		.amdhsa_dx10_clamp 1
		.amdhsa_ieee_mode 1
		.amdhsa_fp16_overflow 0
		.amdhsa_workgroup_processor_mode 1
		.amdhsa_memory_ordered 1
		.amdhsa_forward_progress 1
		.amdhsa_shared_vgpr_count 0
		.amdhsa_exception_fp_ieee_invalid_op 0
		.amdhsa_exception_fp_denorm_src 0
		.amdhsa_exception_fp_ieee_div_zero 0
		.amdhsa_exception_fp_ieee_overflow 0
		.amdhsa_exception_fp_ieee_underflow 0
		.amdhsa_exception_fp_ieee_inexact 0
		.amdhsa_exception_int_div_zero 0
	.end_amdhsa_kernel
	.section	.text._ZN7rocprim17ROCPRIM_400000_NS6detail17trampoline_kernelINS0_14default_configENS1_27scan_by_key_config_selectorIjjEEZZNS1_16scan_by_key_implILNS1_25lookback_scan_determinismE0ELb0ES3_N6thrust23THRUST_200600_302600_NS6detail15normal_iteratorINS9_10device_ptrIjEEEESE_SE_jNS9_4plusIvEENS9_8equal_toIvEEjEE10hipError_tPvRmT2_T3_T4_T5_mT6_T7_P12ihipStream_tbENKUlT_T0_E_clISt17integral_constantIbLb0EESZ_EEDaSU_SV_EUlSU_E_NS1_11comp_targetILNS1_3genE2ELNS1_11target_archE906ELNS1_3gpuE6ELNS1_3repE0EEENS1_30default_config_static_selectorELNS0_4arch9wavefront6targetE0EEEvT1_,"axG",@progbits,_ZN7rocprim17ROCPRIM_400000_NS6detail17trampoline_kernelINS0_14default_configENS1_27scan_by_key_config_selectorIjjEEZZNS1_16scan_by_key_implILNS1_25lookback_scan_determinismE0ELb0ES3_N6thrust23THRUST_200600_302600_NS6detail15normal_iteratorINS9_10device_ptrIjEEEESE_SE_jNS9_4plusIvEENS9_8equal_toIvEEjEE10hipError_tPvRmT2_T3_T4_T5_mT6_T7_P12ihipStream_tbENKUlT_T0_E_clISt17integral_constantIbLb0EESZ_EEDaSU_SV_EUlSU_E_NS1_11comp_targetILNS1_3genE2ELNS1_11target_archE906ELNS1_3gpuE6ELNS1_3repE0EEENS1_30default_config_static_selectorELNS0_4arch9wavefront6targetE0EEEvT1_,comdat
.Lfunc_end1831:
	.size	_ZN7rocprim17ROCPRIM_400000_NS6detail17trampoline_kernelINS0_14default_configENS1_27scan_by_key_config_selectorIjjEEZZNS1_16scan_by_key_implILNS1_25lookback_scan_determinismE0ELb0ES3_N6thrust23THRUST_200600_302600_NS6detail15normal_iteratorINS9_10device_ptrIjEEEESE_SE_jNS9_4plusIvEENS9_8equal_toIvEEjEE10hipError_tPvRmT2_T3_T4_T5_mT6_T7_P12ihipStream_tbENKUlT_T0_E_clISt17integral_constantIbLb0EESZ_EEDaSU_SV_EUlSU_E_NS1_11comp_targetILNS1_3genE2ELNS1_11target_archE906ELNS1_3gpuE6ELNS1_3repE0EEENS1_30default_config_static_selectorELNS0_4arch9wavefront6targetE0EEEvT1_, .Lfunc_end1831-_ZN7rocprim17ROCPRIM_400000_NS6detail17trampoline_kernelINS0_14default_configENS1_27scan_by_key_config_selectorIjjEEZZNS1_16scan_by_key_implILNS1_25lookback_scan_determinismE0ELb0ES3_N6thrust23THRUST_200600_302600_NS6detail15normal_iteratorINS9_10device_ptrIjEEEESE_SE_jNS9_4plusIvEENS9_8equal_toIvEEjEE10hipError_tPvRmT2_T3_T4_T5_mT6_T7_P12ihipStream_tbENKUlT_T0_E_clISt17integral_constantIbLb0EESZ_EEDaSU_SV_EUlSU_E_NS1_11comp_targetILNS1_3genE2ELNS1_11target_archE906ELNS1_3gpuE6ELNS1_3repE0EEENS1_30default_config_static_selectorELNS0_4arch9wavefront6targetE0EEEvT1_
                                        ; -- End function
	.set _ZN7rocprim17ROCPRIM_400000_NS6detail17trampoline_kernelINS0_14default_configENS1_27scan_by_key_config_selectorIjjEEZZNS1_16scan_by_key_implILNS1_25lookback_scan_determinismE0ELb0ES3_N6thrust23THRUST_200600_302600_NS6detail15normal_iteratorINS9_10device_ptrIjEEEESE_SE_jNS9_4plusIvEENS9_8equal_toIvEEjEE10hipError_tPvRmT2_T3_T4_T5_mT6_T7_P12ihipStream_tbENKUlT_T0_E_clISt17integral_constantIbLb0EESZ_EEDaSU_SV_EUlSU_E_NS1_11comp_targetILNS1_3genE2ELNS1_11target_archE906ELNS1_3gpuE6ELNS1_3repE0EEENS1_30default_config_static_selectorELNS0_4arch9wavefront6targetE0EEEvT1_.num_vgpr, 0
	.set _ZN7rocprim17ROCPRIM_400000_NS6detail17trampoline_kernelINS0_14default_configENS1_27scan_by_key_config_selectorIjjEEZZNS1_16scan_by_key_implILNS1_25lookback_scan_determinismE0ELb0ES3_N6thrust23THRUST_200600_302600_NS6detail15normal_iteratorINS9_10device_ptrIjEEEESE_SE_jNS9_4plusIvEENS9_8equal_toIvEEjEE10hipError_tPvRmT2_T3_T4_T5_mT6_T7_P12ihipStream_tbENKUlT_T0_E_clISt17integral_constantIbLb0EESZ_EEDaSU_SV_EUlSU_E_NS1_11comp_targetILNS1_3genE2ELNS1_11target_archE906ELNS1_3gpuE6ELNS1_3repE0EEENS1_30default_config_static_selectorELNS0_4arch9wavefront6targetE0EEEvT1_.num_agpr, 0
	.set _ZN7rocprim17ROCPRIM_400000_NS6detail17trampoline_kernelINS0_14default_configENS1_27scan_by_key_config_selectorIjjEEZZNS1_16scan_by_key_implILNS1_25lookback_scan_determinismE0ELb0ES3_N6thrust23THRUST_200600_302600_NS6detail15normal_iteratorINS9_10device_ptrIjEEEESE_SE_jNS9_4plusIvEENS9_8equal_toIvEEjEE10hipError_tPvRmT2_T3_T4_T5_mT6_T7_P12ihipStream_tbENKUlT_T0_E_clISt17integral_constantIbLb0EESZ_EEDaSU_SV_EUlSU_E_NS1_11comp_targetILNS1_3genE2ELNS1_11target_archE906ELNS1_3gpuE6ELNS1_3repE0EEENS1_30default_config_static_selectorELNS0_4arch9wavefront6targetE0EEEvT1_.numbered_sgpr, 0
	.set _ZN7rocprim17ROCPRIM_400000_NS6detail17trampoline_kernelINS0_14default_configENS1_27scan_by_key_config_selectorIjjEEZZNS1_16scan_by_key_implILNS1_25lookback_scan_determinismE0ELb0ES3_N6thrust23THRUST_200600_302600_NS6detail15normal_iteratorINS9_10device_ptrIjEEEESE_SE_jNS9_4plusIvEENS9_8equal_toIvEEjEE10hipError_tPvRmT2_T3_T4_T5_mT6_T7_P12ihipStream_tbENKUlT_T0_E_clISt17integral_constantIbLb0EESZ_EEDaSU_SV_EUlSU_E_NS1_11comp_targetILNS1_3genE2ELNS1_11target_archE906ELNS1_3gpuE6ELNS1_3repE0EEENS1_30default_config_static_selectorELNS0_4arch9wavefront6targetE0EEEvT1_.num_named_barrier, 0
	.set _ZN7rocprim17ROCPRIM_400000_NS6detail17trampoline_kernelINS0_14default_configENS1_27scan_by_key_config_selectorIjjEEZZNS1_16scan_by_key_implILNS1_25lookback_scan_determinismE0ELb0ES3_N6thrust23THRUST_200600_302600_NS6detail15normal_iteratorINS9_10device_ptrIjEEEESE_SE_jNS9_4plusIvEENS9_8equal_toIvEEjEE10hipError_tPvRmT2_T3_T4_T5_mT6_T7_P12ihipStream_tbENKUlT_T0_E_clISt17integral_constantIbLb0EESZ_EEDaSU_SV_EUlSU_E_NS1_11comp_targetILNS1_3genE2ELNS1_11target_archE906ELNS1_3gpuE6ELNS1_3repE0EEENS1_30default_config_static_selectorELNS0_4arch9wavefront6targetE0EEEvT1_.private_seg_size, 0
	.set _ZN7rocprim17ROCPRIM_400000_NS6detail17trampoline_kernelINS0_14default_configENS1_27scan_by_key_config_selectorIjjEEZZNS1_16scan_by_key_implILNS1_25lookback_scan_determinismE0ELb0ES3_N6thrust23THRUST_200600_302600_NS6detail15normal_iteratorINS9_10device_ptrIjEEEESE_SE_jNS9_4plusIvEENS9_8equal_toIvEEjEE10hipError_tPvRmT2_T3_T4_T5_mT6_T7_P12ihipStream_tbENKUlT_T0_E_clISt17integral_constantIbLb0EESZ_EEDaSU_SV_EUlSU_E_NS1_11comp_targetILNS1_3genE2ELNS1_11target_archE906ELNS1_3gpuE6ELNS1_3repE0EEENS1_30default_config_static_selectorELNS0_4arch9wavefront6targetE0EEEvT1_.uses_vcc, 0
	.set _ZN7rocprim17ROCPRIM_400000_NS6detail17trampoline_kernelINS0_14default_configENS1_27scan_by_key_config_selectorIjjEEZZNS1_16scan_by_key_implILNS1_25lookback_scan_determinismE0ELb0ES3_N6thrust23THRUST_200600_302600_NS6detail15normal_iteratorINS9_10device_ptrIjEEEESE_SE_jNS9_4plusIvEENS9_8equal_toIvEEjEE10hipError_tPvRmT2_T3_T4_T5_mT6_T7_P12ihipStream_tbENKUlT_T0_E_clISt17integral_constantIbLb0EESZ_EEDaSU_SV_EUlSU_E_NS1_11comp_targetILNS1_3genE2ELNS1_11target_archE906ELNS1_3gpuE6ELNS1_3repE0EEENS1_30default_config_static_selectorELNS0_4arch9wavefront6targetE0EEEvT1_.uses_flat_scratch, 0
	.set _ZN7rocprim17ROCPRIM_400000_NS6detail17trampoline_kernelINS0_14default_configENS1_27scan_by_key_config_selectorIjjEEZZNS1_16scan_by_key_implILNS1_25lookback_scan_determinismE0ELb0ES3_N6thrust23THRUST_200600_302600_NS6detail15normal_iteratorINS9_10device_ptrIjEEEESE_SE_jNS9_4plusIvEENS9_8equal_toIvEEjEE10hipError_tPvRmT2_T3_T4_T5_mT6_T7_P12ihipStream_tbENKUlT_T0_E_clISt17integral_constantIbLb0EESZ_EEDaSU_SV_EUlSU_E_NS1_11comp_targetILNS1_3genE2ELNS1_11target_archE906ELNS1_3gpuE6ELNS1_3repE0EEENS1_30default_config_static_selectorELNS0_4arch9wavefront6targetE0EEEvT1_.has_dyn_sized_stack, 0
	.set _ZN7rocprim17ROCPRIM_400000_NS6detail17trampoline_kernelINS0_14default_configENS1_27scan_by_key_config_selectorIjjEEZZNS1_16scan_by_key_implILNS1_25lookback_scan_determinismE0ELb0ES3_N6thrust23THRUST_200600_302600_NS6detail15normal_iteratorINS9_10device_ptrIjEEEESE_SE_jNS9_4plusIvEENS9_8equal_toIvEEjEE10hipError_tPvRmT2_T3_T4_T5_mT6_T7_P12ihipStream_tbENKUlT_T0_E_clISt17integral_constantIbLb0EESZ_EEDaSU_SV_EUlSU_E_NS1_11comp_targetILNS1_3genE2ELNS1_11target_archE906ELNS1_3gpuE6ELNS1_3repE0EEENS1_30default_config_static_selectorELNS0_4arch9wavefront6targetE0EEEvT1_.has_recursion, 0
	.set _ZN7rocprim17ROCPRIM_400000_NS6detail17trampoline_kernelINS0_14default_configENS1_27scan_by_key_config_selectorIjjEEZZNS1_16scan_by_key_implILNS1_25lookback_scan_determinismE0ELb0ES3_N6thrust23THRUST_200600_302600_NS6detail15normal_iteratorINS9_10device_ptrIjEEEESE_SE_jNS9_4plusIvEENS9_8equal_toIvEEjEE10hipError_tPvRmT2_T3_T4_T5_mT6_T7_P12ihipStream_tbENKUlT_T0_E_clISt17integral_constantIbLb0EESZ_EEDaSU_SV_EUlSU_E_NS1_11comp_targetILNS1_3genE2ELNS1_11target_archE906ELNS1_3gpuE6ELNS1_3repE0EEENS1_30default_config_static_selectorELNS0_4arch9wavefront6targetE0EEEvT1_.has_indirect_call, 0
	.section	.AMDGPU.csdata,"",@progbits
; Kernel info:
; codeLenInByte = 0
; TotalNumSgprs: 0
; NumVgprs: 0
; ScratchSize: 0
; MemoryBound: 0
; FloatMode: 240
; IeeeMode: 1
; LDSByteSize: 0 bytes/workgroup (compile time only)
; SGPRBlocks: 0
; VGPRBlocks: 0
; NumSGPRsForWavesPerEU: 1
; NumVGPRsForWavesPerEU: 1
; Occupancy: 16
; WaveLimiterHint : 0
; COMPUTE_PGM_RSRC2:SCRATCH_EN: 0
; COMPUTE_PGM_RSRC2:USER_SGPR: 6
; COMPUTE_PGM_RSRC2:TRAP_HANDLER: 0
; COMPUTE_PGM_RSRC2:TGID_X_EN: 1
; COMPUTE_PGM_RSRC2:TGID_Y_EN: 0
; COMPUTE_PGM_RSRC2:TGID_Z_EN: 0
; COMPUTE_PGM_RSRC2:TIDIG_COMP_CNT: 0
	.section	.text._ZN7rocprim17ROCPRIM_400000_NS6detail17trampoline_kernelINS0_14default_configENS1_27scan_by_key_config_selectorIjjEEZZNS1_16scan_by_key_implILNS1_25lookback_scan_determinismE0ELb0ES3_N6thrust23THRUST_200600_302600_NS6detail15normal_iteratorINS9_10device_ptrIjEEEESE_SE_jNS9_4plusIvEENS9_8equal_toIvEEjEE10hipError_tPvRmT2_T3_T4_T5_mT6_T7_P12ihipStream_tbENKUlT_T0_E_clISt17integral_constantIbLb0EESZ_EEDaSU_SV_EUlSU_E_NS1_11comp_targetILNS1_3genE10ELNS1_11target_archE1200ELNS1_3gpuE4ELNS1_3repE0EEENS1_30default_config_static_selectorELNS0_4arch9wavefront6targetE0EEEvT1_,"axG",@progbits,_ZN7rocprim17ROCPRIM_400000_NS6detail17trampoline_kernelINS0_14default_configENS1_27scan_by_key_config_selectorIjjEEZZNS1_16scan_by_key_implILNS1_25lookback_scan_determinismE0ELb0ES3_N6thrust23THRUST_200600_302600_NS6detail15normal_iteratorINS9_10device_ptrIjEEEESE_SE_jNS9_4plusIvEENS9_8equal_toIvEEjEE10hipError_tPvRmT2_T3_T4_T5_mT6_T7_P12ihipStream_tbENKUlT_T0_E_clISt17integral_constantIbLb0EESZ_EEDaSU_SV_EUlSU_E_NS1_11comp_targetILNS1_3genE10ELNS1_11target_archE1200ELNS1_3gpuE4ELNS1_3repE0EEENS1_30default_config_static_selectorELNS0_4arch9wavefront6targetE0EEEvT1_,comdat
	.protected	_ZN7rocprim17ROCPRIM_400000_NS6detail17trampoline_kernelINS0_14default_configENS1_27scan_by_key_config_selectorIjjEEZZNS1_16scan_by_key_implILNS1_25lookback_scan_determinismE0ELb0ES3_N6thrust23THRUST_200600_302600_NS6detail15normal_iteratorINS9_10device_ptrIjEEEESE_SE_jNS9_4plusIvEENS9_8equal_toIvEEjEE10hipError_tPvRmT2_T3_T4_T5_mT6_T7_P12ihipStream_tbENKUlT_T0_E_clISt17integral_constantIbLb0EESZ_EEDaSU_SV_EUlSU_E_NS1_11comp_targetILNS1_3genE10ELNS1_11target_archE1200ELNS1_3gpuE4ELNS1_3repE0EEENS1_30default_config_static_selectorELNS0_4arch9wavefront6targetE0EEEvT1_ ; -- Begin function _ZN7rocprim17ROCPRIM_400000_NS6detail17trampoline_kernelINS0_14default_configENS1_27scan_by_key_config_selectorIjjEEZZNS1_16scan_by_key_implILNS1_25lookback_scan_determinismE0ELb0ES3_N6thrust23THRUST_200600_302600_NS6detail15normal_iteratorINS9_10device_ptrIjEEEESE_SE_jNS9_4plusIvEENS9_8equal_toIvEEjEE10hipError_tPvRmT2_T3_T4_T5_mT6_T7_P12ihipStream_tbENKUlT_T0_E_clISt17integral_constantIbLb0EESZ_EEDaSU_SV_EUlSU_E_NS1_11comp_targetILNS1_3genE10ELNS1_11target_archE1200ELNS1_3gpuE4ELNS1_3repE0EEENS1_30default_config_static_selectorELNS0_4arch9wavefront6targetE0EEEvT1_
	.globl	_ZN7rocprim17ROCPRIM_400000_NS6detail17trampoline_kernelINS0_14default_configENS1_27scan_by_key_config_selectorIjjEEZZNS1_16scan_by_key_implILNS1_25lookback_scan_determinismE0ELb0ES3_N6thrust23THRUST_200600_302600_NS6detail15normal_iteratorINS9_10device_ptrIjEEEESE_SE_jNS9_4plusIvEENS9_8equal_toIvEEjEE10hipError_tPvRmT2_T3_T4_T5_mT6_T7_P12ihipStream_tbENKUlT_T0_E_clISt17integral_constantIbLb0EESZ_EEDaSU_SV_EUlSU_E_NS1_11comp_targetILNS1_3genE10ELNS1_11target_archE1200ELNS1_3gpuE4ELNS1_3repE0EEENS1_30default_config_static_selectorELNS0_4arch9wavefront6targetE0EEEvT1_
	.p2align	8
	.type	_ZN7rocprim17ROCPRIM_400000_NS6detail17trampoline_kernelINS0_14default_configENS1_27scan_by_key_config_selectorIjjEEZZNS1_16scan_by_key_implILNS1_25lookback_scan_determinismE0ELb0ES3_N6thrust23THRUST_200600_302600_NS6detail15normal_iteratorINS9_10device_ptrIjEEEESE_SE_jNS9_4plusIvEENS9_8equal_toIvEEjEE10hipError_tPvRmT2_T3_T4_T5_mT6_T7_P12ihipStream_tbENKUlT_T0_E_clISt17integral_constantIbLb0EESZ_EEDaSU_SV_EUlSU_E_NS1_11comp_targetILNS1_3genE10ELNS1_11target_archE1200ELNS1_3gpuE4ELNS1_3repE0EEENS1_30default_config_static_selectorELNS0_4arch9wavefront6targetE0EEEvT1_,@function
_ZN7rocprim17ROCPRIM_400000_NS6detail17trampoline_kernelINS0_14default_configENS1_27scan_by_key_config_selectorIjjEEZZNS1_16scan_by_key_implILNS1_25lookback_scan_determinismE0ELb0ES3_N6thrust23THRUST_200600_302600_NS6detail15normal_iteratorINS9_10device_ptrIjEEEESE_SE_jNS9_4plusIvEENS9_8equal_toIvEEjEE10hipError_tPvRmT2_T3_T4_T5_mT6_T7_P12ihipStream_tbENKUlT_T0_E_clISt17integral_constantIbLb0EESZ_EEDaSU_SV_EUlSU_E_NS1_11comp_targetILNS1_3genE10ELNS1_11target_archE1200ELNS1_3gpuE4ELNS1_3repE0EEENS1_30default_config_static_selectorELNS0_4arch9wavefront6targetE0EEEvT1_: ; @_ZN7rocprim17ROCPRIM_400000_NS6detail17trampoline_kernelINS0_14default_configENS1_27scan_by_key_config_selectorIjjEEZZNS1_16scan_by_key_implILNS1_25lookback_scan_determinismE0ELb0ES3_N6thrust23THRUST_200600_302600_NS6detail15normal_iteratorINS9_10device_ptrIjEEEESE_SE_jNS9_4plusIvEENS9_8equal_toIvEEjEE10hipError_tPvRmT2_T3_T4_T5_mT6_T7_P12ihipStream_tbENKUlT_T0_E_clISt17integral_constantIbLb0EESZ_EEDaSU_SV_EUlSU_E_NS1_11comp_targetILNS1_3genE10ELNS1_11target_archE1200ELNS1_3gpuE4ELNS1_3repE0EEENS1_30default_config_static_selectorELNS0_4arch9wavefront6targetE0EEEvT1_
; %bb.0:
	.section	.rodata,"a",@progbits
	.p2align	6, 0x0
	.amdhsa_kernel _ZN7rocprim17ROCPRIM_400000_NS6detail17trampoline_kernelINS0_14default_configENS1_27scan_by_key_config_selectorIjjEEZZNS1_16scan_by_key_implILNS1_25lookback_scan_determinismE0ELb0ES3_N6thrust23THRUST_200600_302600_NS6detail15normal_iteratorINS9_10device_ptrIjEEEESE_SE_jNS9_4plusIvEENS9_8equal_toIvEEjEE10hipError_tPvRmT2_T3_T4_T5_mT6_T7_P12ihipStream_tbENKUlT_T0_E_clISt17integral_constantIbLb0EESZ_EEDaSU_SV_EUlSU_E_NS1_11comp_targetILNS1_3genE10ELNS1_11target_archE1200ELNS1_3gpuE4ELNS1_3repE0EEENS1_30default_config_static_selectorELNS0_4arch9wavefront6targetE0EEEvT1_
		.amdhsa_group_segment_fixed_size 0
		.amdhsa_private_segment_fixed_size 0
		.amdhsa_kernarg_size 112
		.amdhsa_user_sgpr_count 6
		.amdhsa_user_sgpr_private_segment_buffer 1
		.amdhsa_user_sgpr_dispatch_ptr 0
		.amdhsa_user_sgpr_queue_ptr 0
		.amdhsa_user_sgpr_kernarg_segment_ptr 1
		.amdhsa_user_sgpr_dispatch_id 0
		.amdhsa_user_sgpr_flat_scratch_init 0
		.amdhsa_user_sgpr_private_segment_size 0
		.amdhsa_wavefront_size32 1
		.amdhsa_uses_dynamic_stack 0
		.amdhsa_system_sgpr_private_segment_wavefront_offset 0
		.amdhsa_system_sgpr_workgroup_id_x 1
		.amdhsa_system_sgpr_workgroup_id_y 0
		.amdhsa_system_sgpr_workgroup_id_z 0
		.amdhsa_system_sgpr_workgroup_info 0
		.amdhsa_system_vgpr_workitem_id 0
		.amdhsa_next_free_vgpr 1
		.amdhsa_next_free_sgpr 1
		.amdhsa_reserve_vcc 0
		.amdhsa_reserve_flat_scratch 0
		.amdhsa_float_round_mode_32 0
		.amdhsa_float_round_mode_16_64 0
		.amdhsa_float_denorm_mode_32 3
		.amdhsa_float_denorm_mode_16_64 3
		.amdhsa_dx10_clamp 1
		.amdhsa_ieee_mode 1
		.amdhsa_fp16_overflow 0
		.amdhsa_workgroup_processor_mode 1
		.amdhsa_memory_ordered 1
		.amdhsa_forward_progress 1
		.amdhsa_shared_vgpr_count 0
		.amdhsa_exception_fp_ieee_invalid_op 0
		.amdhsa_exception_fp_denorm_src 0
		.amdhsa_exception_fp_ieee_div_zero 0
		.amdhsa_exception_fp_ieee_overflow 0
		.amdhsa_exception_fp_ieee_underflow 0
		.amdhsa_exception_fp_ieee_inexact 0
		.amdhsa_exception_int_div_zero 0
	.end_amdhsa_kernel
	.section	.text._ZN7rocprim17ROCPRIM_400000_NS6detail17trampoline_kernelINS0_14default_configENS1_27scan_by_key_config_selectorIjjEEZZNS1_16scan_by_key_implILNS1_25lookback_scan_determinismE0ELb0ES3_N6thrust23THRUST_200600_302600_NS6detail15normal_iteratorINS9_10device_ptrIjEEEESE_SE_jNS9_4plusIvEENS9_8equal_toIvEEjEE10hipError_tPvRmT2_T3_T4_T5_mT6_T7_P12ihipStream_tbENKUlT_T0_E_clISt17integral_constantIbLb0EESZ_EEDaSU_SV_EUlSU_E_NS1_11comp_targetILNS1_3genE10ELNS1_11target_archE1200ELNS1_3gpuE4ELNS1_3repE0EEENS1_30default_config_static_selectorELNS0_4arch9wavefront6targetE0EEEvT1_,"axG",@progbits,_ZN7rocprim17ROCPRIM_400000_NS6detail17trampoline_kernelINS0_14default_configENS1_27scan_by_key_config_selectorIjjEEZZNS1_16scan_by_key_implILNS1_25lookback_scan_determinismE0ELb0ES3_N6thrust23THRUST_200600_302600_NS6detail15normal_iteratorINS9_10device_ptrIjEEEESE_SE_jNS9_4plusIvEENS9_8equal_toIvEEjEE10hipError_tPvRmT2_T3_T4_T5_mT6_T7_P12ihipStream_tbENKUlT_T0_E_clISt17integral_constantIbLb0EESZ_EEDaSU_SV_EUlSU_E_NS1_11comp_targetILNS1_3genE10ELNS1_11target_archE1200ELNS1_3gpuE4ELNS1_3repE0EEENS1_30default_config_static_selectorELNS0_4arch9wavefront6targetE0EEEvT1_,comdat
.Lfunc_end1832:
	.size	_ZN7rocprim17ROCPRIM_400000_NS6detail17trampoline_kernelINS0_14default_configENS1_27scan_by_key_config_selectorIjjEEZZNS1_16scan_by_key_implILNS1_25lookback_scan_determinismE0ELb0ES3_N6thrust23THRUST_200600_302600_NS6detail15normal_iteratorINS9_10device_ptrIjEEEESE_SE_jNS9_4plusIvEENS9_8equal_toIvEEjEE10hipError_tPvRmT2_T3_T4_T5_mT6_T7_P12ihipStream_tbENKUlT_T0_E_clISt17integral_constantIbLb0EESZ_EEDaSU_SV_EUlSU_E_NS1_11comp_targetILNS1_3genE10ELNS1_11target_archE1200ELNS1_3gpuE4ELNS1_3repE0EEENS1_30default_config_static_selectorELNS0_4arch9wavefront6targetE0EEEvT1_, .Lfunc_end1832-_ZN7rocprim17ROCPRIM_400000_NS6detail17trampoline_kernelINS0_14default_configENS1_27scan_by_key_config_selectorIjjEEZZNS1_16scan_by_key_implILNS1_25lookback_scan_determinismE0ELb0ES3_N6thrust23THRUST_200600_302600_NS6detail15normal_iteratorINS9_10device_ptrIjEEEESE_SE_jNS9_4plusIvEENS9_8equal_toIvEEjEE10hipError_tPvRmT2_T3_T4_T5_mT6_T7_P12ihipStream_tbENKUlT_T0_E_clISt17integral_constantIbLb0EESZ_EEDaSU_SV_EUlSU_E_NS1_11comp_targetILNS1_3genE10ELNS1_11target_archE1200ELNS1_3gpuE4ELNS1_3repE0EEENS1_30default_config_static_selectorELNS0_4arch9wavefront6targetE0EEEvT1_
                                        ; -- End function
	.set _ZN7rocprim17ROCPRIM_400000_NS6detail17trampoline_kernelINS0_14default_configENS1_27scan_by_key_config_selectorIjjEEZZNS1_16scan_by_key_implILNS1_25lookback_scan_determinismE0ELb0ES3_N6thrust23THRUST_200600_302600_NS6detail15normal_iteratorINS9_10device_ptrIjEEEESE_SE_jNS9_4plusIvEENS9_8equal_toIvEEjEE10hipError_tPvRmT2_T3_T4_T5_mT6_T7_P12ihipStream_tbENKUlT_T0_E_clISt17integral_constantIbLb0EESZ_EEDaSU_SV_EUlSU_E_NS1_11comp_targetILNS1_3genE10ELNS1_11target_archE1200ELNS1_3gpuE4ELNS1_3repE0EEENS1_30default_config_static_selectorELNS0_4arch9wavefront6targetE0EEEvT1_.num_vgpr, 0
	.set _ZN7rocprim17ROCPRIM_400000_NS6detail17trampoline_kernelINS0_14default_configENS1_27scan_by_key_config_selectorIjjEEZZNS1_16scan_by_key_implILNS1_25lookback_scan_determinismE0ELb0ES3_N6thrust23THRUST_200600_302600_NS6detail15normal_iteratorINS9_10device_ptrIjEEEESE_SE_jNS9_4plusIvEENS9_8equal_toIvEEjEE10hipError_tPvRmT2_T3_T4_T5_mT6_T7_P12ihipStream_tbENKUlT_T0_E_clISt17integral_constantIbLb0EESZ_EEDaSU_SV_EUlSU_E_NS1_11comp_targetILNS1_3genE10ELNS1_11target_archE1200ELNS1_3gpuE4ELNS1_3repE0EEENS1_30default_config_static_selectorELNS0_4arch9wavefront6targetE0EEEvT1_.num_agpr, 0
	.set _ZN7rocprim17ROCPRIM_400000_NS6detail17trampoline_kernelINS0_14default_configENS1_27scan_by_key_config_selectorIjjEEZZNS1_16scan_by_key_implILNS1_25lookback_scan_determinismE0ELb0ES3_N6thrust23THRUST_200600_302600_NS6detail15normal_iteratorINS9_10device_ptrIjEEEESE_SE_jNS9_4plusIvEENS9_8equal_toIvEEjEE10hipError_tPvRmT2_T3_T4_T5_mT6_T7_P12ihipStream_tbENKUlT_T0_E_clISt17integral_constantIbLb0EESZ_EEDaSU_SV_EUlSU_E_NS1_11comp_targetILNS1_3genE10ELNS1_11target_archE1200ELNS1_3gpuE4ELNS1_3repE0EEENS1_30default_config_static_selectorELNS0_4arch9wavefront6targetE0EEEvT1_.numbered_sgpr, 0
	.set _ZN7rocprim17ROCPRIM_400000_NS6detail17trampoline_kernelINS0_14default_configENS1_27scan_by_key_config_selectorIjjEEZZNS1_16scan_by_key_implILNS1_25lookback_scan_determinismE0ELb0ES3_N6thrust23THRUST_200600_302600_NS6detail15normal_iteratorINS9_10device_ptrIjEEEESE_SE_jNS9_4plusIvEENS9_8equal_toIvEEjEE10hipError_tPvRmT2_T3_T4_T5_mT6_T7_P12ihipStream_tbENKUlT_T0_E_clISt17integral_constantIbLb0EESZ_EEDaSU_SV_EUlSU_E_NS1_11comp_targetILNS1_3genE10ELNS1_11target_archE1200ELNS1_3gpuE4ELNS1_3repE0EEENS1_30default_config_static_selectorELNS0_4arch9wavefront6targetE0EEEvT1_.num_named_barrier, 0
	.set _ZN7rocprim17ROCPRIM_400000_NS6detail17trampoline_kernelINS0_14default_configENS1_27scan_by_key_config_selectorIjjEEZZNS1_16scan_by_key_implILNS1_25lookback_scan_determinismE0ELb0ES3_N6thrust23THRUST_200600_302600_NS6detail15normal_iteratorINS9_10device_ptrIjEEEESE_SE_jNS9_4plusIvEENS9_8equal_toIvEEjEE10hipError_tPvRmT2_T3_T4_T5_mT6_T7_P12ihipStream_tbENKUlT_T0_E_clISt17integral_constantIbLb0EESZ_EEDaSU_SV_EUlSU_E_NS1_11comp_targetILNS1_3genE10ELNS1_11target_archE1200ELNS1_3gpuE4ELNS1_3repE0EEENS1_30default_config_static_selectorELNS0_4arch9wavefront6targetE0EEEvT1_.private_seg_size, 0
	.set _ZN7rocprim17ROCPRIM_400000_NS6detail17trampoline_kernelINS0_14default_configENS1_27scan_by_key_config_selectorIjjEEZZNS1_16scan_by_key_implILNS1_25lookback_scan_determinismE0ELb0ES3_N6thrust23THRUST_200600_302600_NS6detail15normal_iteratorINS9_10device_ptrIjEEEESE_SE_jNS9_4plusIvEENS9_8equal_toIvEEjEE10hipError_tPvRmT2_T3_T4_T5_mT6_T7_P12ihipStream_tbENKUlT_T0_E_clISt17integral_constantIbLb0EESZ_EEDaSU_SV_EUlSU_E_NS1_11comp_targetILNS1_3genE10ELNS1_11target_archE1200ELNS1_3gpuE4ELNS1_3repE0EEENS1_30default_config_static_selectorELNS0_4arch9wavefront6targetE0EEEvT1_.uses_vcc, 0
	.set _ZN7rocprim17ROCPRIM_400000_NS6detail17trampoline_kernelINS0_14default_configENS1_27scan_by_key_config_selectorIjjEEZZNS1_16scan_by_key_implILNS1_25lookback_scan_determinismE0ELb0ES3_N6thrust23THRUST_200600_302600_NS6detail15normal_iteratorINS9_10device_ptrIjEEEESE_SE_jNS9_4plusIvEENS9_8equal_toIvEEjEE10hipError_tPvRmT2_T3_T4_T5_mT6_T7_P12ihipStream_tbENKUlT_T0_E_clISt17integral_constantIbLb0EESZ_EEDaSU_SV_EUlSU_E_NS1_11comp_targetILNS1_3genE10ELNS1_11target_archE1200ELNS1_3gpuE4ELNS1_3repE0EEENS1_30default_config_static_selectorELNS0_4arch9wavefront6targetE0EEEvT1_.uses_flat_scratch, 0
	.set _ZN7rocprim17ROCPRIM_400000_NS6detail17trampoline_kernelINS0_14default_configENS1_27scan_by_key_config_selectorIjjEEZZNS1_16scan_by_key_implILNS1_25lookback_scan_determinismE0ELb0ES3_N6thrust23THRUST_200600_302600_NS6detail15normal_iteratorINS9_10device_ptrIjEEEESE_SE_jNS9_4plusIvEENS9_8equal_toIvEEjEE10hipError_tPvRmT2_T3_T4_T5_mT6_T7_P12ihipStream_tbENKUlT_T0_E_clISt17integral_constantIbLb0EESZ_EEDaSU_SV_EUlSU_E_NS1_11comp_targetILNS1_3genE10ELNS1_11target_archE1200ELNS1_3gpuE4ELNS1_3repE0EEENS1_30default_config_static_selectorELNS0_4arch9wavefront6targetE0EEEvT1_.has_dyn_sized_stack, 0
	.set _ZN7rocprim17ROCPRIM_400000_NS6detail17trampoline_kernelINS0_14default_configENS1_27scan_by_key_config_selectorIjjEEZZNS1_16scan_by_key_implILNS1_25lookback_scan_determinismE0ELb0ES3_N6thrust23THRUST_200600_302600_NS6detail15normal_iteratorINS9_10device_ptrIjEEEESE_SE_jNS9_4plusIvEENS9_8equal_toIvEEjEE10hipError_tPvRmT2_T3_T4_T5_mT6_T7_P12ihipStream_tbENKUlT_T0_E_clISt17integral_constantIbLb0EESZ_EEDaSU_SV_EUlSU_E_NS1_11comp_targetILNS1_3genE10ELNS1_11target_archE1200ELNS1_3gpuE4ELNS1_3repE0EEENS1_30default_config_static_selectorELNS0_4arch9wavefront6targetE0EEEvT1_.has_recursion, 0
	.set _ZN7rocprim17ROCPRIM_400000_NS6detail17trampoline_kernelINS0_14default_configENS1_27scan_by_key_config_selectorIjjEEZZNS1_16scan_by_key_implILNS1_25lookback_scan_determinismE0ELb0ES3_N6thrust23THRUST_200600_302600_NS6detail15normal_iteratorINS9_10device_ptrIjEEEESE_SE_jNS9_4plusIvEENS9_8equal_toIvEEjEE10hipError_tPvRmT2_T3_T4_T5_mT6_T7_P12ihipStream_tbENKUlT_T0_E_clISt17integral_constantIbLb0EESZ_EEDaSU_SV_EUlSU_E_NS1_11comp_targetILNS1_3genE10ELNS1_11target_archE1200ELNS1_3gpuE4ELNS1_3repE0EEENS1_30default_config_static_selectorELNS0_4arch9wavefront6targetE0EEEvT1_.has_indirect_call, 0
	.section	.AMDGPU.csdata,"",@progbits
; Kernel info:
; codeLenInByte = 0
; TotalNumSgprs: 0
; NumVgprs: 0
; ScratchSize: 0
; MemoryBound: 0
; FloatMode: 240
; IeeeMode: 1
; LDSByteSize: 0 bytes/workgroup (compile time only)
; SGPRBlocks: 0
; VGPRBlocks: 0
; NumSGPRsForWavesPerEU: 1
; NumVGPRsForWavesPerEU: 1
; Occupancy: 16
; WaveLimiterHint : 0
; COMPUTE_PGM_RSRC2:SCRATCH_EN: 0
; COMPUTE_PGM_RSRC2:USER_SGPR: 6
; COMPUTE_PGM_RSRC2:TRAP_HANDLER: 0
; COMPUTE_PGM_RSRC2:TGID_X_EN: 1
; COMPUTE_PGM_RSRC2:TGID_Y_EN: 0
; COMPUTE_PGM_RSRC2:TGID_Z_EN: 0
; COMPUTE_PGM_RSRC2:TIDIG_COMP_CNT: 0
	.section	.text._ZN7rocprim17ROCPRIM_400000_NS6detail17trampoline_kernelINS0_14default_configENS1_27scan_by_key_config_selectorIjjEEZZNS1_16scan_by_key_implILNS1_25lookback_scan_determinismE0ELb0ES3_N6thrust23THRUST_200600_302600_NS6detail15normal_iteratorINS9_10device_ptrIjEEEESE_SE_jNS9_4plusIvEENS9_8equal_toIvEEjEE10hipError_tPvRmT2_T3_T4_T5_mT6_T7_P12ihipStream_tbENKUlT_T0_E_clISt17integral_constantIbLb0EESZ_EEDaSU_SV_EUlSU_E_NS1_11comp_targetILNS1_3genE9ELNS1_11target_archE1100ELNS1_3gpuE3ELNS1_3repE0EEENS1_30default_config_static_selectorELNS0_4arch9wavefront6targetE0EEEvT1_,"axG",@progbits,_ZN7rocprim17ROCPRIM_400000_NS6detail17trampoline_kernelINS0_14default_configENS1_27scan_by_key_config_selectorIjjEEZZNS1_16scan_by_key_implILNS1_25lookback_scan_determinismE0ELb0ES3_N6thrust23THRUST_200600_302600_NS6detail15normal_iteratorINS9_10device_ptrIjEEEESE_SE_jNS9_4plusIvEENS9_8equal_toIvEEjEE10hipError_tPvRmT2_T3_T4_T5_mT6_T7_P12ihipStream_tbENKUlT_T0_E_clISt17integral_constantIbLb0EESZ_EEDaSU_SV_EUlSU_E_NS1_11comp_targetILNS1_3genE9ELNS1_11target_archE1100ELNS1_3gpuE3ELNS1_3repE0EEENS1_30default_config_static_selectorELNS0_4arch9wavefront6targetE0EEEvT1_,comdat
	.protected	_ZN7rocprim17ROCPRIM_400000_NS6detail17trampoline_kernelINS0_14default_configENS1_27scan_by_key_config_selectorIjjEEZZNS1_16scan_by_key_implILNS1_25lookback_scan_determinismE0ELb0ES3_N6thrust23THRUST_200600_302600_NS6detail15normal_iteratorINS9_10device_ptrIjEEEESE_SE_jNS9_4plusIvEENS9_8equal_toIvEEjEE10hipError_tPvRmT2_T3_T4_T5_mT6_T7_P12ihipStream_tbENKUlT_T0_E_clISt17integral_constantIbLb0EESZ_EEDaSU_SV_EUlSU_E_NS1_11comp_targetILNS1_3genE9ELNS1_11target_archE1100ELNS1_3gpuE3ELNS1_3repE0EEENS1_30default_config_static_selectorELNS0_4arch9wavefront6targetE0EEEvT1_ ; -- Begin function _ZN7rocprim17ROCPRIM_400000_NS6detail17trampoline_kernelINS0_14default_configENS1_27scan_by_key_config_selectorIjjEEZZNS1_16scan_by_key_implILNS1_25lookback_scan_determinismE0ELb0ES3_N6thrust23THRUST_200600_302600_NS6detail15normal_iteratorINS9_10device_ptrIjEEEESE_SE_jNS9_4plusIvEENS9_8equal_toIvEEjEE10hipError_tPvRmT2_T3_T4_T5_mT6_T7_P12ihipStream_tbENKUlT_T0_E_clISt17integral_constantIbLb0EESZ_EEDaSU_SV_EUlSU_E_NS1_11comp_targetILNS1_3genE9ELNS1_11target_archE1100ELNS1_3gpuE3ELNS1_3repE0EEENS1_30default_config_static_selectorELNS0_4arch9wavefront6targetE0EEEvT1_
	.globl	_ZN7rocprim17ROCPRIM_400000_NS6detail17trampoline_kernelINS0_14default_configENS1_27scan_by_key_config_selectorIjjEEZZNS1_16scan_by_key_implILNS1_25lookback_scan_determinismE0ELb0ES3_N6thrust23THRUST_200600_302600_NS6detail15normal_iteratorINS9_10device_ptrIjEEEESE_SE_jNS9_4plusIvEENS9_8equal_toIvEEjEE10hipError_tPvRmT2_T3_T4_T5_mT6_T7_P12ihipStream_tbENKUlT_T0_E_clISt17integral_constantIbLb0EESZ_EEDaSU_SV_EUlSU_E_NS1_11comp_targetILNS1_3genE9ELNS1_11target_archE1100ELNS1_3gpuE3ELNS1_3repE0EEENS1_30default_config_static_selectorELNS0_4arch9wavefront6targetE0EEEvT1_
	.p2align	8
	.type	_ZN7rocprim17ROCPRIM_400000_NS6detail17trampoline_kernelINS0_14default_configENS1_27scan_by_key_config_selectorIjjEEZZNS1_16scan_by_key_implILNS1_25lookback_scan_determinismE0ELb0ES3_N6thrust23THRUST_200600_302600_NS6detail15normal_iteratorINS9_10device_ptrIjEEEESE_SE_jNS9_4plusIvEENS9_8equal_toIvEEjEE10hipError_tPvRmT2_T3_T4_T5_mT6_T7_P12ihipStream_tbENKUlT_T0_E_clISt17integral_constantIbLb0EESZ_EEDaSU_SV_EUlSU_E_NS1_11comp_targetILNS1_3genE9ELNS1_11target_archE1100ELNS1_3gpuE3ELNS1_3repE0EEENS1_30default_config_static_selectorELNS0_4arch9wavefront6targetE0EEEvT1_,@function
_ZN7rocprim17ROCPRIM_400000_NS6detail17trampoline_kernelINS0_14default_configENS1_27scan_by_key_config_selectorIjjEEZZNS1_16scan_by_key_implILNS1_25lookback_scan_determinismE0ELb0ES3_N6thrust23THRUST_200600_302600_NS6detail15normal_iteratorINS9_10device_ptrIjEEEESE_SE_jNS9_4plusIvEENS9_8equal_toIvEEjEE10hipError_tPvRmT2_T3_T4_T5_mT6_T7_P12ihipStream_tbENKUlT_T0_E_clISt17integral_constantIbLb0EESZ_EEDaSU_SV_EUlSU_E_NS1_11comp_targetILNS1_3genE9ELNS1_11target_archE1100ELNS1_3gpuE3ELNS1_3repE0EEENS1_30default_config_static_selectorELNS0_4arch9wavefront6targetE0EEEvT1_: ; @_ZN7rocprim17ROCPRIM_400000_NS6detail17trampoline_kernelINS0_14default_configENS1_27scan_by_key_config_selectorIjjEEZZNS1_16scan_by_key_implILNS1_25lookback_scan_determinismE0ELb0ES3_N6thrust23THRUST_200600_302600_NS6detail15normal_iteratorINS9_10device_ptrIjEEEESE_SE_jNS9_4plusIvEENS9_8equal_toIvEEjEE10hipError_tPvRmT2_T3_T4_T5_mT6_T7_P12ihipStream_tbENKUlT_T0_E_clISt17integral_constantIbLb0EESZ_EEDaSU_SV_EUlSU_E_NS1_11comp_targetILNS1_3genE9ELNS1_11target_archE1100ELNS1_3gpuE3ELNS1_3repE0EEENS1_30default_config_static_selectorELNS0_4arch9wavefront6targetE0EEEvT1_
; %bb.0:
	.section	.rodata,"a",@progbits
	.p2align	6, 0x0
	.amdhsa_kernel _ZN7rocprim17ROCPRIM_400000_NS6detail17trampoline_kernelINS0_14default_configENS1_27scan_by_key_config_selectorIjjEEZZNS1_16scan_by_key_implILNS1_25lookback_scan_determinismE0ELb0ES3_N6thrust23THRUST_200600_302600_NS6detail15normal_iteratorINS9_10device_ptrIjEEEESE_SE_jNS9_4plusIvEENS9_8equal_toIvEEjEE10hipError_tPvRmT2_T3_T4_T5_mT6_T7_P12ihipStream_tbENKUlT_T0_E_clISt17integral_constantIbLb0EESZ_EEDaSU_SV_EUlSU_E_NS1_11comp_targetILNS1_3genE9ELNS1_11target_archE1100ELNS1_3gpuE3ELNS1_3repE0EEENS1_30default_config_static_selectorELNS0_4arch9wavefront6targetE0EEEvT1_
		.amdhsa_group_segment_fixed_size 0
		.amdhsa_private_segment_fixed_size 0
		.amdhsa_kernarg_size 112
		.amdhsa_user_sgpr_count 6
		.amdhsa_user_sgpr_private_segment_buffer 1
		.amdhsa_user_sgpr_dispatch_ptr 0
		.amdhsa_user_sgpr_queue_ptr 0
		.amdhsa_user_sgpr_kernarg_segment_ptr 1
		.amdhsa_user_sgpr_dispatch_id 0
		.amdhsa_user_sgpr_flat_scratch_init 0
		.amdhsa_user_sgpr_private_segment_size 0
		.amdhsa_wavefront_size32 1
		.amdhsa_uses_dynamic_stack 0
		.amdhsa_system_sgpr_private_segment_wavefront_offset 0
		.amdhsa_system_sgpr_workgroup_id_x 1
		.amdhsa_system_sgpr_workgroup_id_y 0
		.amdhsa_system_sgpr_workgroup_id_z 0
		.amdhsa_system_sgpr_workgroup_info 0
		.amdhsa_system_vgpr_workitem_id 0
		.amdhsa_next_free_vgpr 1
		.amdhsa_next_free_sgpr 1
		.amdhsa_reserve_vcc 0
		.amdhsa_reserve_flat_scratch 0
		.amdhsa_float_round_mode_32 0
		.amdhsa_float_round_mode_16_64 0
		.amdhsa_float_denorm_mode_32 3
		.amdhsa_float_denorm_mode_16_64 3
		.amdhsa_dx10_clamp 1
		.amdhsa_ieee_mode 1
		.amdhsa_fp16_overflow 0
		.amdhsa_workgroup_processor_mode 1
		.amdhsa_memory_ordered 1
		.amdhsa_forward_progress 1
		.amdhsa_shared_vgpr_count 0
		.amdhsa_exception_fp_ieee_invalid_op 0
		.amdhsa_exception_fp_denorm_src 0
		.amdhsa_exception_fp_ieee_div_zero 0
		.amdhsa_exception_fp_ieee_overflow 0
		.amdhsa_exception_fp_ieee_underflow 0
		.amdhsa_exception_fp_ieee_inexact 0
		.amdhsa_exception_int_div_zero 0
	.end_amdhsa_kernel
	.section	.text._ZN7rocprim17ROCPRIM_400000_NS6detail17trampoline_kernelINS0_14default_configENS1_27scan_by_key_config_selectorIjjEEZZNS1_16scan_by_key_implILNS1_25lookback_scan_determinismE0ELb0ES3_N6thrust23THRUST_200600_302600_NS6detail15normal_iteratorINS9_10device_ptrIjEEEESE_SE_jNS9_4plusIvEENS9_8equal_toIvEEjEE10hipError_tPvRmT2_T3_T4_T5_mT6_T7_P12ihipStream_tbENKUlT_T0_E_clISt17integral_constantIbLb0EESZ_EEDaSU_SV_EUlSU_E_NS1_11comp_targetILNS1_3genE9ELNS1_11target_archE1100ELNS1_3gpuE3ELNS1_3repE0EEENS1_30default_config_static_selectorELNS0_4arch9wavefront6targetE0EEEvT1_,"axG",@progbits,_ZN7rocprim17ROCPRIM_400000_NS6detail17trampoline_kernelINS0_14default_configENS1_27scan_by_key_config_selectorIjjEEZZNS1_16scan_by_key_implILNS1_25lookback_scan_determinismE0ELb0ES3_N6thrust23THRUST_200600_302600_NS6detail15normal_iteratorINS9_10device_ptrIjEEEESE_SE_jNS9_4plusIvEENS9_8equal_toIvEEjEE10hipError_tPvRmT2_T3_T4_T5_mT6_T7_P12ihipStream_tbENKUlT_T0_E_clISt17integral_constantIbLb0EESZ_EEDaSU_SV_EUlSU_E_NS1_11comp_targetILNS1_3genE9ELNS1_11target_archE1100ELNS1_3gpuE3ELNS1_3repE0EEENS1_30default_config_static_selectorELNS0_4arch9wavefront6targetE0EEEvT1_,comdat
.Lfunc_end1833:
	.size	_ZN7rocprim17ROCPRIM_400000_NS6detail17trampoline_kernelINS0_14default_configENS1_27scan_by_key_config_selectorIjjEEZZNS1_16scan_by_key_implILNS1_25lookback_scan_determinismE0ELb0ES3_N6thrust23THRUST_200600_302600_NS6detail15normal_iteratorINS9_10device_ptrIjEEEESE_SE_jNS9_4plusIvEENS9_8equal_toIvEEjEE10hipError_tPvRmT2_T3_T4_T5_mT6_T7_P12ihipStream_tbENKUlT_T0_E_clISt17integral_constantIbLb0EESZ_EEDaSU_SV_EUlSU_E_NS1_11comp_targetILNS1_3genE9ELNS1_11target_archE1100ELNS1_3gpuE3ELNS1_3repE0EEENS1_30default_config_static_selectorELNS0_4arch9wavefront6targetE0EEEvT1_, .Lfunc_end1833-_ZN7rocprim17ROCPRIM_400000_NS6detail17trampoline_kernelINS0_14default_configENS1_27scan_by_key_config_selectorIjjEEZZNS1_16scan_by_key_implILNS1_25lookback_scan_determinismE0ELb0ES3_N6thrust23THRUST_200600_302600_NS6detail15normal_iteratorINS9_10device_ptrIjEEEESE_SE_jNS9_4plusIvEENS9_8equal_toIvEEjEE10hipError_tPvRmT2_T3_T4_T5_mT6_T7_P12ihipStream_tbENKUlT_T0_E_clISt17integral_constantIbLb0EESZ_EEDaSU_SV_EUlSU_E_NS1_11comp_targetILNS1_3genE9ELNS1_11target_archE1100ELNS1_3gpuE3ELNS1_3repE0EEENS1_30default_config_static_selectorELNS0_4arch9wavefront6targetE0EEEvT1_
                                        ; -- End function
	.set _ZN7rocprim17ROCPRIM_400000_NS6detail17trampoline_kernelINS0_14default_configENS1_27scan_by_key_config_selectorIjjEEZZNS1_16scan_by_key_implILNS1_25lookback_scan_determinismE0ELb0ES3_N6thrust23THRUST_200600_302600_NS6detail15normal_iteratorINS9_10device_ptrIjEEEESE_SE_jNS9_4plusIvEENS9_8equal_toIvEEjEE10hipError_tPvRmT2_T3_T4_T5_mT6_T7_P12ihipStream_tbENKUlT_T0_E_clISt17integral_constantIbLb0EESZ_EEDaSU_SV_EUlSU_E_NS1_11comp_targetILNS1_3genE9ELNS1_11target_archE1100ELNS1_3gpuE3ELNS1_3repE0EEENS1_30default_config_static_selectorELNS0_4arch9wavefront6targetE0EEEvT1_.num_vgpr, 0
	.set _ZN7rocprim17ROCPRIM_400000_NS6detail17trampoline_kernelINS0_14default_configENS1_27scan_by_key_config_selectorIjjEEZZNS1_16scan_by_key_implILNS1_25lookback_scan_determinismE0ELb0ES3_N6thrust23THRUST_200600_302600_NS6detail15normal_iteratorINS9_10device_ptrIjEEEESE_SE_jNS9_4plusIvEENS9_8equal_toIvEEjEE10hipError_tPvRmT2_T3_T4_T5_mT6_T7_P12ihipStream_tbENKUlT_T0_E_clISt17integral_constantIbLb0EESZ_EEDaSU_SV_EUlSU_E_NS1_11comp_targetILNS1_3genE9ELNS1_11target_archE1100ELNS1_3gpuE3ELNS1_3repE0EEENS1_30default_config_static_selectorELNS0_4arch9wavefront6targetE0EEEvT1_.num_agpr, 0
	.set _ZN7rocprim17ROCPRIM_400000_NS6detail17trampoline_kernelINS0_14default_configENS1_27scan_by_key_config_selectorIjjEEZZNS1_16scan_by_key_implILNS1_25lookback_scan_determinismE0ELb0ES3_N6thrust23THRUST_200600_302600_NS6detail15normal_iteratorINS9_10device_ptrIjEEEESE_SE_jNS9_4plusIvEENS9_8equal_toIvEEjEE10hipError_tPvRmT2_T3_T4_T5_mT6_T7_P12ihipStream_tbENKUlT_T0_E_clISt17integral_constantIbLb0EESZ_EEDaSU_SV_EUlSU_E_NS1_11comp_targetILNS1_3genE9ELNS1_11target_archE1100ELNS1_3gpuE3ELNS1_3repE0EEENS1_30default_config_static_selectorELNS0_4arch9wavefront6targetE0EEEvT1_.numbered_sgpr, 0
	.set _ZN7rocprim17ROCPRIM_400000_NS6detail17trampoline_kernelINS0_14default_configENS1_27scan_by_key_config_selectorIjjEEZZNS1_16scan_by_key_implILNS1_25lookback_scan_determinismE0ELb0ES3_N6thrust23THRUST_200600_302600_NS6detail15normal_iteratorINS9_10device_ptrIjEEEESE_SE_jNS9_4plusIvEENS9_8equal_toIvEEjEE10hipError_tPvRmT2_T3_T4_T5_mT6_T7_P12ihipStream_tbENKUlT_T0_E_clISt17integral_constantIbLb0EESZ_EEDaSU_SV_EUlSU_E_NS1_11comp_targetILNS1_3genE9ELNS1_11target_archE1100ELNS1_3gpuE3ELNS1_3repE0EEENS1_30default_config_static_selectorELNS0_4arch9wavefront6targetE0EEEvT1_.num_named_barrier, 0
	.set _ZN7rocprim17ROCPRIM_400000_NS6detail17trampoline_kernelINS0_14default_configENS1_27scan_by_key_config_selectorIjjEEZZNS1_16scan_by_key_implILNS1_25lookback_scan_determinismE0ELb0ES3_N6thrust23THRUST_200600_302600_NS6detail15normal_iteratorINS9_10device_ptrIjEEEESE_SE_jNS9_4plusIvEENS9_8equal_toIvEEjEE10hipError_tPvRmT2_T3_T4_T5_mT6_T7_P12ihipStream_tbENKUlT_T0_E_clISt17integral_constantIbLb0EESZ_EEDaSU_SV_EUlSU_E_NS1_11comp_targetILNS1_3genE9ELNS1_11target_archE1100ELNS1_3gpuE3ELNS1_3repE0EEENS1_30default_config_static_selectorELNS0_4arch9wavefront6targetE0EEEvT1_.private_seg_size, 0
	.set _ZN7rocprim17ROCPRIM_400000_NS6detail17trampoline_kernelINS0_14default_configENS1_27scan_by_key_config_selectorIjjEEZZNS1_16scan_by_key_implILNS1_25lookback_scan_determinismE0ELb0ES3_N6thrust23THRUST_200600_302600_NS6detail15normal_iteratorINS9_10device_ptrIjEEEESE_SE_jNS9_4plusIvEENS9_8equal_toIvEEjEE10hipError_tPvRmT2_T3_T4_T5_mT6_T7_P12ihipStream_tbENKUlT_T0_E_clISt17integral_constantIbLb0EESZ_EEDaSU_SV_EUlSU_E_NS1_11comp_targetILNS1_3genE9ELNS1_11target_archE1100ELNS1_3gpuE3ELNS1_3repE0EEENS1_30default_config_static_selectorELNS0_4arch9wavefront6targetE0EEEvT1_.uses_vcc, 0
	.set _ZN7rocprim17ROCPRIM_400000_NS6detail17trampoline_kernelINS0_14default_configENS1_27scan_by_key_config_selectorIjjEEZZNS1_16scan_by_key_implILNS1_25lookback_scan_determinismE0ELb0ES3_N6thrust23THRUST_200600_302600_NS6detail15normal_iteratorINS9_10device_ptrIjEEEESE_SE_jNS9_4plusIvEENS9_8equal_toIvEEjEE10hipError_tPvRmT2_T3_T4_T5_mT6_T7_P12ihipStream_tbENKUlT_T0_E_clISt17integral_constantIbLb0EESZ_EEDaSU_SV_EUlSU_E_NS1_11comp_targetILNS1_3genE9ELNS1_11target_archE1100ELNS1_3gpuE3ELNS1_3repE0EEENS1_30default_config_static_selectorELNS0_4arch9wavefront6targetE0EEEvT1_.uses_flat_scratch, 0
	.set _ZN7rocprim17ROCPRIM_400000_NS6detail17trampoline_kernelINS0_14default_configENS1_27scan_by_key_config_selectorIjjEEZZNS1_16scan_by_key_implILNS1_25lookback_scan_determinismE0ELb0ES3_N6thrust23THRUST_200600_302600_NS6detail15normal_iteratorINS9_10device_ptrIjEEEESE_SE_jNS9_4plusIvEENS9_8equal_toIvEEjEE10hipError_tPvRmT2_T3_T4_T5_mT6_T7_P12ihipStream_tbENKUlT_T0_E_clISt17integral_constantIbLb0EESZ_EEDaSU_SV_EUlSU_E_NS1_11comp_targetILNS1_3genE9ELNS1_11target_archE1100ELNS1_3gpuE3ELNS1_3repE0EEENS1_30default_config_static_selectorELNS0_4arch9wavefront6targetE0EEEvT1_.has_dyn_sized_stack, 0
	.set _ZN7rocprim17ROCPRIM_400000_NS6detail17trampoline_kernelINS0_14default_configENS1_27scan_by_key_config_selectorIjjEEZZNS1_16scan_by_key_implILNS1_25lookback_scan_determinismE0ELb0ES3_N6thrust23THRUST_200600_302600_NS6detail15normal_iteratorINS9_10device_ptrIjEEEESE_SE_jNS9_4plusIvEENS9_8equal_toIvEEjEE10hipError_tPvRmT2_T3_T4_T5_mT6_T7_P12ihipStream_tbENKUlT_T0_E_clISt17integral_constantIbLb0EESZ_EEDaSU_SV_EUlSU_E_NS1_11comp_targetILNS1_3genE9ELNS1_11target_archE1100ELNS1_3gpuE3ELNS1_3repE0EEENS1_30default_config_static_selectorELNS0_4arch9wavefront6targetE0EEEvT1_.has_recursion, 0
	.set _ZN7rocprim17ROCPRIM_400000_NS6detail17trampoline_kernelINS0_14default_configENS1_27scan_by_key_config_selectorIjjEEZZNS1_16scan_by_key_implILNS1_25lookback_scan_determinismE0ELb0ES3_N6thrust23THRUST_200600_302600_NS6detail15normal_iteratorINS9_10device_ptrIjEEEESE_SE_jNS9_4plusIvEENS9_8equal_toIvEEjEE10hipError_tPvRmT2_T3_T4_T5_mT6_T7_P12ihipStream_tbENKUlT_T0_E_clISt17integral_constantIbLb0EESZ_EEDaSU_SV_EUlSU_E_NS1_11comp_targetILNS1_3genE9ELNS1_11target_archE1100ELNS1_3gpuE3ELNS1_3repE0EEENS1_30default_config_static_selectorELNS0_4arch9wavefront6targetE0EEEvT1_.has_indirect_call, 0
	.section	.AMDGPU.csdata,"",@progbits
; Kernel info:
; codeLenInByte = 0
; TotalNumSgprs: 0
; NumVgprs: 0
; ScratchSize: 0
; MemoryBound: 0
; FloatMode: 240
; IeeeMode: 1
; LDSByteSize: 0 bytes/workgroup (compile time only)
; SGPRBlocks: 0
; VGPRBlocks: 0
; NumSGPRsForWavesPerEU: 1
; NumVGPRsForWavesPerEU: 1
; Occupancy: 16
; WaveLimiterHint : 0
; COMPUTE_PGM_RSRC2:SCRATCH_EN: 0
; COMPUTE_PGM_RSRC2:USER_SGPR: 6
; COMPUTE_PGM_RSRC2:TRAP_HANDLER: 0
; COMPUTE_PGM_RSRC2:TGID_X_EN: 1
; COMPUTE_PGM_RSRC2:TGID_Y_EN: 0
; COMPUTE_PGM_RSRC2:TGID_Z_EN: 0
; COMPUTE_PGM_RSRC2:TIDIG_COMP_CNT: 0
	.section	.text._ZN7rocprim17ROCPRIM_400000_NS6detail17trampoline_kernelINS0_14default_configENS1_27scan_by_key_config_selectorIjjEEZZNS1_16scan_by_key_implILNS1_25lookback_scan_determinismE0ELb0ES3_N6thrust23THRUST_200600_302600_NS6detail15normal_iteratorINS9_10device_ptrIjEEEESE_SE_jNS9_4plusIvEENS9_8equal_toIvEEjEE10hipError_tPvRmT2_T3_T4_T5_mT6_T7_P12ihipStream_tbENKUlT_T0_E_clISt17integral_constantIbLb0EESZ_EEDaSU_SV_EUlSU_E_NS1_11comp_targetILNS1_3genE8ELNS1_11target_archE1030ELNS1_3gpuE2ELNS1_3repE0EEENS1_30default_config_static_selectorELNS0_4arch9wavefront6targetE0EEEvT1_,"axG",@progbits,_ZN7rocprim17ROCPRIM_400000_NS6detail17trampoline_kernelINS0_14default_configENS1_27scan_by_key_config_selectorIjjEEZZNS1_16scan_by_key_implILNS1_25lookback_scan_determinismE0ELb0ES3_N6thrust23THRUST_200600_302600_NS6detail15normal_iteratorINS9_10device_ptrIjEEEESE_SE_jNS9_4plusIvEENS9_8equal_toIvEEjEE10hipError_tPvRmT2_T3_T4_T5_mT6_T7_P12ihipStream_tbENKUlT_T0_E_clISt17integral_constantIbLb0EESZ_EEDaSU_SV_EUlSU_E_NS1_11comp_targetILNS1_3genE8ELNS1_11target_archE1030ELNS1_3gpuE2ELNS1_3repE0EEENS1_30default_config_static_selectorELNS0_4arch9wavefront6targetE0EEEvT1_,comdat
	.protected	_ZN7rocprim17ROCPRIM_400000_NS6detail17trampoline_kernelINS0_14default_configENS1_27scan_by_key_config_selectorIjjEEZZNS1_16scan_by_key_implILNS1_25lookback_scan_determinismE0ELb0ES3_N6thrust23THRUST_200600_302600_NS6detail15normal_iteratorINS9_10device_ptrIjEEEESE_SE_jNS9_4plusIvEENS9_8equal_toIvEEjEE10hipError_tPvRmT2_T3_T4_T5_mT6_T7_P12ihipStream_tbENKUlT_T0_E_clISt17integral_constantIbLb0EESZ_EEDaSU_SV_EUlSU_E_NS1_11comp_targetILNS1_3genE8ELNS1_11target_archE1030ELNS1_3gpuE2ELNS1_3repE0EEENS1_30default_config_static_selectorELNS0_4arch9wavefront6targetE0EEEvT1_ ; -- Begin function _ZN7rocprim17ROCPRIM_400000_NS6detail17trampoline_kernelINS0_14default_configENS1_27scan_by_key_config_selectorIjjEEZZNS1_16scan_by_key_implILNS1_25lookback_scan_determinismE0ELb0ES3_N6thrust23THRUST_200600_302600_NS6detail15normal_iteratorINS9_10device_ptrIjEEEESE_SE_jNS9_4plusIvEENS9_8equal_toIvEEjEE10hipError_tPvRmT2_T3_T4_T5_mT6_T7_P12ihipStream_tbENKUlT_T0_E_clISt17integral_constantIbLb0EESZ_EEDaSU_SV_EUlSU_E_NS1_11comp_targetILNS1_3genE8ELNS1_11target_archE1030ELNS1_3gpuE2ELNS1_3repE0EEENS1_30default_config_static_selectorELNS0_4arch9wavefront6targetE0EEEvT1_
	.globl	_ZN7rocprim17ROCPRIM_400000_NS6detail17trampoline_kernelINS0_14default_configENS1_27scan_by_key_config_selectorIjjEEZZNS1_16scan_by_key_implILNS1_25lookback_scan_determinismE0ELb0ES3_N6thrust23THRUST_200600_302600_NS6detail15normal_iteratorINS9_10device_ptrIjEEEESE_SE_jNS9_4plusIvEENS9_8equal_toIvEEjEE10hipError_tPvRmT2_T3_T4_T5_mT6_T7_P12ihipStream_tbENKUlT_T0_E_clISt17integral_constantIbLb0EESZ_EEDaSU_SV_EUlSU_E_NS1_11comp_targetILNS1_3genE8ELNS1_11target_archE1030ELNS1_3gpuE2ELNS1_3repE0EEENS1_30default_config_static_selectorELNS0_4arch9wavefront6targetE0EEEvT1_
	.p2align	8
	.type	_ZN7rocprim17ROCPRIM_400000_NS6detail17trampoline_kernelINS0_14default_configENS1_27scan_by_key_config_selectorIjjEEZZNS1_16scan_by_key_implILNS1_25lookback_scan_determinismE0ELb0ES3_N6thrust23THRUST_200600_302600_NS6detail15normal_iteratorINS9_10device_ptrIjEEEESE_SE_jNS9_4plusIvEENS9_8equal_toIvEEjEE10hipError_tPvRmT2_T3_T4_T5_mT6_T7_P12ihipStream_tbENKUlT_T0_E_clISt17integral_constantIbLb0EESZ_EEDaSU_SV_EUlSU_E_NS1_11comp_targetILNS1_3genE8ELNS1_11target_archE1030ELNS1_3gpuE2ELNS1_3repE0EEENS1_30default_config_static_selectorELNS0_4arch9wavefront6targetE0EEEvT1_,@function
_ZN7rocprim17ROCPRIM_400000_NS6detail17trampoline_kernelINS0_14default_configENS1_27scan_by_key_config_selectorIjjEEZZNS1_16scan_by_key_implILNS1_25lookback_scan_determinismE0ELb0ES3_N6thrust23THRUST_200600_302600_NS6detail15normal_iteratorINS9_10device_ptrIjEEEESE_SE_jNS9_4plusIvEENS9_8equal_toIvEEjEE10hipError_tPvRmT2_T3_T4_T5_mT6_T7_P12ihipStream_tbENKUlT_T0_E_clISt17integral_constantIbLb0EESZ_EEDaSU_SV_EUlSU_E_NS1_11comp_targetILNS1_3genE8ELNS1_11target_archE1030ELNS1_3gpuE2ELNS1_3repE0EEENS1_30default_config_static_selectorELNS0_4arch9wavefront6targetE0EEEvT1_: ; @_ZN7rocprim17ROCPRIM_400000_NS6detail17trampoline_kernelINS0_14default_configENS1_27scan_by_key_config_selectorIjjEEZZNS1_16scan_by_key_implILNS1_25lookback_scan_determinismE0ELb0ES3_N6thrust23THRUST_200600_302600_NS6detail15normal_iteratorINS9_10device_ptrIjEEEESE_SE_jNS9_4plusIvEENS9_8equal_toIvEEjEE10hipError_tPvRmT2_T3_T4_T5_mT6_T7_P12ihipStream_tbENKUlT_T0_E_clISt17integral_constantIbLb0EESZ_EEDaSU_SV_EUlSU_E_NS1_11comp_targetILNS1_3genE8ELNS1_11target_archE1030ELNS1_3gpuE2ELNS1_3repE0EEENS1_30default_config_static_selectorELNS0_4arch9wavefront6targetE0EEEvT1_
; %bb.0:
	s_clause 0x4
	s_load_dwordx8 s[8:15], s[4:5], 0x0
	s_load_dwordx2 s[28:29], s[4:5], 0x38
	s_load_dword s2, s[4:5], 0x40
	s_load_dwordx8 s[16:23], s[4:5], 0x48
	s_load_dwordx4 s[24:27], s[4:5], 0x28
	s_mov_b32 s1, 0
	s_waitcnt lgkmcnt(0)
	s_barrier
	buffer_gl0_inv
	s_lshl_b64 s[10:11], s[10:11], 2
	s_add_u32 s4, s8, s10
	s_mul_i32 s0, s29, s2
	s_mul_hi_u32 s3, s28, s2
	s_addc_u32 s5, s9, s11
	s_add_u32 s7, s12, s10
	s_addc_u32 s12, s13, s11
	s_add_i32 s13, s3, s0
	s_cmp_lg_u64 s[20:21], 0
	s_mul_i32 s0, s6, 0x300
	s_cselect_b32 s27, -1, 0
	s_lshl_b64 s[8:9], s[0:1], 2
	s_mul_i32 s0, s28, s2
	s_add_u32 s4, s4, s8
	s_addc_u32 s5, s5, s9
	s_add_u32 s3, s7, s8
	s_addc_u32 s21, s12, s9
	;; [unrolled: 2-line block ×3, first 2 shown]
	s_add_u32 s16, s16, -1
	s_addc_u32 s17, s17, -1
	s_mul_i32 s20, s16, 0xfffffd00
	v_cmp_ge_u64_e64 s7, s[12:13], s[16:17]
	s_and_b32 vcc_lo, exec_lo, s7
	s_cbranch_vccz .LBB1834_22
; %bb.1:
	v_mov_b32_e32 v1, s4
	v_mov_b32_e32 v2, s5
	s_add_i32 s30, s20, s26
	v_cmp_gt_u32_e64 s0, s30, v0
	flat_load_dword v2, v[1:2]
	s_waitcnt vmcnt(0) lgkmcnt(0)
	v_mov_b32_e32 v3, v2
	s_and_saveexec_b32 s1, s0
	s_cbranch_execz .LBB1834_3
; %bb.2:
	v_lshlrev_b32_e32 v1, 2, v0
	v_add_co_u32 v3, s2, s4, v1
	v_add_co_ci_u32_e64 v4, null, s5, 0, s2
	flat_load_dword v3, v[3:4]
.LBB1834_3:
	s_or_b32 exec_lo, exec_lo, s1
	v_or_b32_e32 v1, 0x100, v0
	v_mov_b32_e32 v4, v2
	v_cmp_gt_u32_e64 s1, s30, v1
	s_and_saveexec_b32 s2, s1
	s_cbranch_execz .LBB1834_5
; %bb.4:
	v_lshlrev_b32_e32 v1, 2, v0
	v_add_co_u32 v4, s16, s4, v1
	v_add_co_ci_u32_e64 v5, null, s5, 0, s16
	flat_load_dword v4, v[4:5] offset:1024
.LBB1834_5:
	s_or_b32 exec_lo, exec_lo, s2
	v_or_b32_e32 v1, 0x200, v0
	v_cmp_gt_u32_e64 s2, s30, v1
	v_lshlrev_b32_e32 v8, 2, v1
	s_and_saveexec_b32 s16, s2
	s_cbranch_execz .LBB1834_7
; %bb.6:
	v_add_co_u32 v1, s17, s4, v8
	v_add_co_ci_u32_e64 v2, null, s5, 0, s17
	flat_load_dword v2, v[1:2]
.LBB1834_7:
	s_or_b32 exec_lo, exec_lo, s16
	v_lshlrev_b32_e32 v9, 2, v0
	v_lshlrev_b32_e32 v1, 3, v0
	s_cmp_eq_u64 s[12:13], 0
	s_mov_b64 s[16:17], s[4:5]
	s_waitcnt vmcnt(0) lgkmcnt(0)
	ds_write2st64_b32 v9, v3, v4 offset1:4
	v_add_nc_u32_e32 v7, v9, v1
	ds_write_b32 v9, v2 offset:2048
	s_waitcnt lgkmcnt(0)
	s_barrier
	buffer_gl0_inv
	ds_read2_b32 v[4:5], v7 offset1:1
	ds_read_b32 v6, v7 offset:8
	s_cbranch_scc1 .LBB1834_11
; %bb.8:
	s_andn2_b32 vcc_lo, exec_lo, s27
	s_cbranch_vccnz .LBB1834_101
; %bb.9:
	s_lshl_b64 s[16:17], s[12:13], 2
	s_add_u32 s16, s22, s16
	s_addc_u32 s17, s23, s17
	s_add_u32 s16, s16, -4
	s_addc_u32 s17, s17, -1
	s_cbranch_execnz .LBB1834_11
.LBB1834_10:
	s_add_u32 s16, s4, -4
	s_addc_u32 s17, s5, -1
.LBB1834_11:
	v_mov_b32_e32 v2, s16
	v_mov_b32_e32 v3, s17
	s_mov_b32 s16, exec_lo
	flat_load_dword v13, v[2:3]
	v_sub_nc_u32_e32 v2, v7, v1
	s_waitcnt lgkmcnt(1)
	ds_write_b32 v2, v6 offset:3072
	s_waitcnt vmcnt(0) lgkmcnt(0)
	s_barrier
	buffer_gl0_inv
	v_cmpx_ne_u32_e32 0, v0
; %bb.12:
	v_sub_nc_u32_e32 v1, 0, v1
	v_add_nc_u32_e32 v1, v7, v1
	ds_read_b32 v13, v1 offset:3068
; %bb.13:
	s_or_b32 exec_lo, exec_lo, s16
	v_mov_b32_e32 v1, 0
	s_waitcnt lgkmcnt(0)
	s_barrier
	buffer_gl0_inv
	v_mov_b32_e32 v2, v1
	v_mov_b32_e32 v3, v1
	s_and_saveexec_b32 s16, s0
	s_cbranch_execnz .LBB1834_99
; %bb.14:
	s_or_b32 exec_lo, exec_lo, s16
	s_and_saveexec_b32 s0, s1
	s_cbranch_execnz .LBB1834_100
.LBB1834_15:
	s_or_b32 exec_lo, exec_lo, s0
	s_and_saveexec_b32 s0, s2
	s_cbranch_execz .LBB1834_17
.LBB1834_16:
	v_add_co_u32 v10, s1, s3, v8
	v_add_co_ci_u32_e64 v11, null, s21, 0, s1
	flat_load_dword v3, v[10:11]
.LBB1834_17:
	s_or_b32 exec_lo, exec_lo, s0
	s_waitcnt vmcnt(0) lgkmcnt(0)
	ds_write2st64_b32 v9, v1, v2 offset1:4
	ds_write_b32 v9, v3 offset:2048
	v_mov_b32_e32 v9, 0
	v_mov_b32_e32 v11, 0
	v_mul_u32_u24_e32 v8, 3, v0
	v_mov_b32_e32 v10, 0
	v_mov_b32_e32 v12, 0
	s_mov_b32 s16, 0
	s_mov_b32 s1, 0
	s_mov_b32 s17, exec_lo
	s_waitcnt lgkmcnt(0)
	s_barrier
	buffer_gl0_inv
                                        ; implicit-def: $sgpr2
                                        ; implicit-def: $vgpr2
	v_cmpx_gt_u32_e64 s30, v8
	s_cbranch_execz .LBB1834_21
; %bb.18:
	ds_read_b32 v9, v7
	v_cmp_ne_u32_e32 vcc_lo, v13, v4
	v_mov_b32_e32 v11, 0
	v_add_nc_u32_e32 v1, 1, v8
	v_mov_b32_e32 v12, 0
	s_mov_b32 s0, 0
	v_cndmask_b32_e64 v10, 0, 1, vcc_lo
	s_mov_b32 s1, exec_lo
                                        ; implicit-def: $sgpr2
                                        ; implicit-def: $vgpr2
	v_cmpx_gt_u32_e64 s30, v1
	s_xor_b32 s1, exec_lo, s1
	s_cbranch_execz .LBB1834_20
; %bb.19:
	ds_read2_b32 v[1:2], v7 offset0:1 offset1:2
	v_add_nc_u32_e32 v3, 2, v8
	v_cmp_ne_u32_e64 s0, v4, v5
	v_cmp_ne_u32_e64 s2, v5, v6
	v_cmp_gt_u32_e32 vcc_lo, s30, v3
	v_cndmask_b32_e64 v12, 0, 1, s0
	s_and_b32 s0, vcc_lo, exec_lo
	s_waitcnt lgkmcnt(0)
	v_mov_b32_e32 v11, v1
.LBB1834_20:
	s_or_b32 exec_lo, exec_lo, s1
	s_and_b32 s1, s0, exec_lo
.LBB1834_21:
	s_or_b32 exec_lo, exec_lo, s17
	v_lshlrev_b32_e32 v18, 2, v0
	v_lshlrev_b32_e32 v19, 3, v0
	s_and_b32 vcc_lo, exec_lo, s16
	s_cbranch_vccnz .LBB1834_23
	s_branch .LBB1834_31
.LBB1834_22:
                                        ; implicit-def: $sgpr2
                                        ; implicit-def: $vgpr2
                                        ; implicit-def: $vgpr9_vgpr10
                                        ; implicit-def: $vgpr11_vgpr12
	v_lshlrev_b32_e32 v18, 2, v0
	v_lshlrev_b32_e32 v19, 3, v0
	s_cbranch_execz .LBB1834_31
.LBB1834_23:
	v_add_co_u32 v1, s0, s4, v18
	v_add_co_ci_u32_e64 v2, null, s5, 0, s0
	s_cmp_eq_u64 s[12:13], 0
	v_add_co_u32 v3, vcc_lo, 0x800, v1
	v_add_co_ci_u32_e64 v4, null, 0, v2, vcc_lo
	s_clause 0x2
	flat_load_dword v5, v[1:2]
	flat_load_dword v2, v[1:2] offset:1024
	flat_load_dword v3, v[3:4]
	v_add_nc_u32_e32 v1, v18, v19
	s_waitcnt vmcnt(1) lgkmcnt(1)
	ds_write2st64_b32 v18, v5, v2 offset1:4
	s_waitcnt vmcnt(0) lgkmcnt(1)
	ds_write_b32 v18, v3 offset:2048
	s_waitcnt lgkmcnt(0)
	s_barrier
	buffer_gl0_inv
	ds_read2_b32 v[3:4], v1 offset1:1
	ds_read_b32 v5, v1 offset:8
	s_cbranch_scc1 .LBB1834_28
; %bb.24:
	s_andn2_b32 vcc_lo, exec_lo, s27
	s_cbranch_vccnz .LBB1834_102
; %bb.25:
	s_lshl_b64 s[0:1], s[12:13], 2
	s_add_u32 s0, s22, s0
	s_addc_u32 s1, s23, s1
	s_add_u32 s0, s0, -4
	s_addc_u32 s1, s1, -1
	s_cbranch_execnz .LBB1834_27
.LBB1834_26:
	s_add_u32 s0, s4, -4
	s_addc_u32 s1, s5, -1
.LBB1834_27:
	s_mov_b64 s[4:5], s[0:1]
.LBB1834_28:
	v_mov_b32_e32 v7, s5
	v_mov_b32_e32 v6, s4
	v_sub_nc_u32_e32 v2, v1, v19
	s_mov_b32 s0, exec_lo
	flat_load_dword v6, v[6:7]
	s_waitcnt lgkmcnt(1)
	ds_write_b32 v2, v5 offset:3072
	s_waitcnt vmcnt(0) lgkmcnt(0)
	s_barrier
	buffer_gl0_inv
	v_cmpx_ne_u32_e32 0, v0
; %bb.29:
	v_sub_nc_u32_e32 v2, 0, v19
	v_add_nc_u32_e32 v2, v1, v2
	ds_read_b32 v6, v2 offset:3068
; %bb.30:
	s_or_b32 exec_lo, exec_lo, s0
	v_add_co_u32 v7, s0, s3, v18
	v_add_co_ci_u32_e64 v8, null, s21, 0, s0
	s_waitcnt lgkmcnt(0)
	v_add_co_u32 v9, vcc_lo, 0x800, v7
	v_add_co_ci_u32_e64 v10, null, 0, v8, vcc_lo
	s_barrier
	buffer_gl0_inv
	s_clause 0x2
	flat_load_dword v2, v[7:8]
	flat_load_dword v7, v[7:8] offset:1024
	flat_load_dword v8, v[9:10]
	v_cmp_ne_u32_e32 vcc_lo, v6, v3
	v_cmp_ne_u32_e64 s2, v4, v5
	s_mov_b32 s1, -1
	s_waitcnt vmcnt(1) lgkmcnt(1)
	ds_write2st64_b32 v18, v2, v7 offset1:4
	s_waitcnt vmcnt(0) lgkmcnt(1)
	ds_write_b32 v18, v8 offset:2048
	s_waitcnt lgkmcnt(0)
	s_barrier
	buffer_gl0_inv
	ds_read2_b32 v[7:8], v1 offset1:1
	ds_read_b32 v2, v1 offset:8
	v_cndmask_b32_e64 v10, 0, 1, vcc_lo
	v_cmp_ne_u32_e32 vcc_lo, v3, v4
	v_cndmask_b32_e64 v12, 0, 1, vcc_lo
	s_waitcnt lgkmcnt(1)
	v_mov_b32_e32 v9, v7
	v_mov_b32_e32 v11, v8
.LBB1834_31:
	v_mov_b32_e32 v13, 0
	v_mov_b32_e32 v14, 0
	s_and_saveexec_b32 s0, s1
	s_cbranch_execz .LBB1834_33
; %bb.32:
	v_cndmask_b32_e64 v14, 0, 1, s2
	s_waitcnt lgkmcnt(0)
	v_mov_b32_e32 v13, v2
.LBB1834_33:
	s_or_b32 exec_lo, exec_lo, s0
	v_or_b32_e32 v23, v12, v14
	v_mbcnt_lo_u32_b32 v20, -1, 0
	v_lshrrev_b32_e32 v21, 5, v0
	v_or_b32_e32 v22, 31, v0
	s_cmp_lg_u32 s6, 0
	s_mov_b32 s2, 0
	s_waitcnt lgkmcnt(0)
	s_barrier
	buffer_gl0_inv
	s_cbranch_scc0 .LBB1834_59
; %bb.34:
	v_and_b32_e32 v2, 0xff, v23
	v_mov_b32_e32 v1, 0
	s_mov_b32 s3, 1
	v_and_b32_e32 v8, 15, v20
	v_cmp_gt_u64_e64 s0, s[2:3], v[11:12]
	v_cmp_gt_u64_e64 s1, s[2:3], v[13:14]
	v_cmp_eq_u64_e32 vcc_lo, 0, v[1:2]
	v_cndmask_b32_e64 v3, 0, v9, s0
	v_cndmask_b32_e32 v2, 1, v10, vcc_lo
	v_add_nc_u32_e32 v3, v3, v11
	v_and_b32_e32 v4, 0xff, v2
	v_and_b32_e32 v6, 1, v2
	v_cndmask_b32_e64 v3, 0, v3, s1
	v_mov_b32_dpp v5, v4 row_shr:1 row_mask:0xf bank_mask:0xf
	v_cmp_eq_u32_e32 vcc_lo, 1, v6
	v_add_nc_u32_e32 v3, v3, v13
	v_and_b32_e32 v5, 1, v5
	v_mov_b32_dpp v7, v3 row_shr:1 row_mask:0xf bank_mask:0xf
	v_cndmask_b32_e64 v5, v5, 1, vcc_lo
	v_cmp_eq_u16_e32 vcc_lo, 0, v4
	v_cndmask_b32_e32 v6, 0, v7, vcc_lo
	v_cmp_eq_u32_e32 vcc_lo, 0, v8
	v_cndmask_b32_e32 v4, v5, v4, vcc_lo
	v_cndmask_b32_e32 v2, v5, v2, vcc_lo
	v_cndmask_b32_e64 v6, v6, 0, vcc_lo
	v_mov_b32_dpp v5, v4 row_shr:2 row_mask:0xf bank_mask:0xf
	v_and_b32_e32 v7, 1, v2
	v_add_nc_u32_e32 v3, v6, v3
	v_cmp_eq_u16_sdwa s2, v2, v1 src0_sel:BYTE_0 src1_sel:DWORD
	v_and_b32_e32 v5, 1, v5
	v_cmp_eq_u32_e32 vcc_lo, 1, v7
	v_cndmask_b32_e64 v5, v5, 1, vcc_lo
	v_cmp_lt_u32_e32 vcc_lo, 1, v8
	v_cndmask_b32_e32 v7, v2, v5, vcc_lo
	v_cndmask_b32_e32 v4, v4, v5, vcc_lo
	v_mov_b32_dpp v2, v3 row_shr:2 row_mask:0xf bank_mask:0xf
	s_and_b32 vcc_lo, vcc_lo, s2
	v_and_b32_e32 v6, 1, v7
	v_mov_b32_dpp v5, v4 row_shr:4 row_mask:0xf bank_mask:0xf
	v_cndmask_b32_e32 v2, 0, v2, vcc_lo
	v_cmp_eq_u16_sdwa s2, v7, v1 src0_sel:BYTE_0 src1_sel:DWORD
	v_cmp_eq_u32_e32 vcc_lo, 1, v6
	v_and_b32_e32 v5, 1, v5
	v_add_nc_u32_e32 v2, v2, v3
	v_cndmask_b32_e64 v5, v5, 1, vcc_lo
	v_cmp_lt_u32_e32 vcc_lo, 3, v8
	v_cndmask_b32_e32 v3, v7, v5, vcc_lo
	v_cndmask_b32_e32 v4, v4, v5, vcc_lo
	v_mov_b32_dpp v5, v2 row_shr:4 row_mask:0xf bank_mask:0xf
	s_and_b32 vcc_lo, vcc_lo, s2
	v_and_b32_e32 v7, 1, v3
	v_mov_b32_dpp v6, v4 row_shr:8 row_mask:0xf bank_mask:0xf
	v_cndmask_b32_e32 v5, 0, v5, vcc_lo
	v_cmp_eq_u16_sdwa s2, v3, v1 src0_sel:BYTE_0 src1_sel:DWORD
	v_cmp_eq_u32_e32 vcc_lo, 1, v7
	v_and_b32_e32 v6, 1, v6
	v_add_nc_u32_e32 v2, v5, v2
	v_bfe_i32 v7, v20, 4, 1
	v_cndmask_b32_e64 v5, v6, 1, vcc_lo
	v_cmp_lt_u32_e32 vcc_lo, 7, v8
	v_mov_b32_dpp v6, v2 row_shr:8 row_mask:0xf bank_mask:0xf
	s_and_b32 s2, vcc_lo, s2
	v_cndmask_b32_e32 v4, v4, v5, vcc_lo
	v_cndmask_b32_e64 v6, 0, v6, s2
	v_cndmask_b32_e32 v3, v3, v5, vcc_lo
	ds_swizzle_b32 v5, v4 offset:swizzle(BROADCAST,32,15)
	v_add_nc_u32_e32 v2, v6, v2
	v_and_b32_e32 v8, 1, v3
	v_cmp_eq_u16_sdwa vcc_lo, v3, v1 src0_sel:BYTE_0 src1_sel:DWORD
	v_and_b32_e32 v3, 16, v20
	ds_swizzle_b32 v6, v2 offset:swizzle(BROADCAST,32,15)
	v_cmp_eq_u32_e64 s2, 0, v3
	s_waitcnt lgkmcnt(1)
	v_and_b32_e32 v5, 1, v5
	s_waitcnt lgkmcnt(0)
	v_cndmask_b32_e32 v1, 0, v6, vcc_lo
	v_cmp_eq_u32_e32 vcc_lo, 1, v8
	v_and_b32_e32 v1, v7, v1
	v_cndmask_b32_e64 v5, v5, 1, vcc_lo
	v_add_nc_u32_e32 v3, v1, v2
	v_cndmask_b32_e64 v4, v5, v4, s2
	v_lshlrev_b32_e32 v5, 3, v21
	s_mov_b32 s2, exec_lo
	v_cmpx_eq_u32_e64 v0, v22
	s_cbranch_execz .LBB1834_36
; %bb.35:
	ds_write_b32 v5, v3
	ds_write_b8 v5, v4 offset:4
.LBB1834_36:
	s_or_b32 exec_lo, exec_lo, s2
	s_mov_b32 s2, exec_lo
	s_waitcnt lgkmcnt(0)
	s_barrier
	buffer_gl0_inv
	v_cmpx_gt_u32_e32 8, v0
	s_cbranch_execz .LBB1834_42
; %bb.37:
	ds_read_b64 v[1:2], v19
	v_and_b32_e32 v6, 7, v20
	s_mov_b32 s3, exec_lo
	s_waitcnt lgkmcnt(0)
	v_and_b32_e32 v7, 0xffffff00, v2
	v_mov_b32_dpp v15, v1 row_shr:1 row_mask:0xf bank_mask:0xf
	v_mov_b32_dpp v16, v2 row_shr:1 row_mask:0xf bank_mask:0xf
	v_mov_b32_e32 v8, v2
	v_cmpx_ne_u32_e32 0, v6
	s_cbranch_execz .LBB1834_39
; %bb.38:
	v_mov_b32_e32 v8, 0
	v_and_b32_e32 v17, 1, v2
	v_and_b32_e32 v16, 1, v16
	v_cmp_eq_u16_sdwa vcc_lo, v2, v8 src0_sel:BYTE_0 src1_sel:DWORD
	v_cndmask_b32_e32 v2, 0, v15, vcc_lo
	v_cmp_eq_u32_e32 vcc_lo, 1, v17
	v_add_nc_u32_e32 v1, v2, v1
	v_cndmask_b32_e64 v15, v16, 1, vcc_lo
	v_or_b32_sdwa v8, v7, v15 dst_sel:DWORD dst_unused:UNUSED_PAD src0_sel:DWORD src1_sel:WORD_0
	v_mov_b32_e32 v2, v15
.LBB1834_39:
	s_or_b32 exec_lo, exec_lo, s3
	v_mov_b32_dpp v15, v1 row_shr:2 row_mask:0xf bank_mask:0xf
	v_mov_b32_dpp v16, v8 row_shr:2 row_mask:0xf bank_mask:0xf
	s_mov_b32 s3, exec_lo
	v_cmpx_lt_u32_e32 1, v6
	s_cbranch_execz .LBB1834_41
; %bb.40:
	v_mov_b32_e32 v8, 0
	v_and_b32_e32 v17, 1, v2
	v_and_b32_e32 v16, 1, v16
	v_cmp_eq_u16_sdwa vcc_lo, v2, v8 src0_sel:BYTE_0 src1_sel:DWORD
	v_cndmask_b32_e32 v2, 0, v15, vcc_lo
	v_cmp_eq_u32_e32 vcc_lo, 1, v17
	v_add_nc_u32_e32 v1, v2, v1
	v_cndmask_b32_e64 v15, v16, 1, vcc_lo
	v_or_b32_sdwa v8, v7, v15 dst_sel:DWORD dst_unused:UNUSED_PAD src0_sel:DWORD src1_sel:WORD_0
	v_mov_b32_e32 v2, v15
.LBB1834_41:
	s_or_b32 exec_lo, exec_lo, s3
	v_mov_b32_dpp v7, v8 row_shr:4 row_mask:0xf bank_mask:0xf
	v_and_b32_e32 v15, 1, v2
	v_mov_b32_e32 v8, 0
	v_and_b32_e32 v7, 1, v7
	v_cmp_eq_u32_e32 vcc_lo, 1, v15
	v_cmp_eq_u16_sdwa s3, v2, v8 src0_sel:BYTE_0 src1_sel:DWORD
	v_cndmask_b32_e64 v7, v7, 1, vcc_lo
	v_cmp_lt_u32_e32 vcc_lo, 3, v6
	v_mov_b32_dpp v6, v1 row_shr:4 row_mask:0xf bank_mask:0xf
	v_cndmask_b32_e32 v2, v2, v7, vcc_lo
	s_and_b32 vcc_lo, vcc_lo, s3
	v_cndmask_b32_e32 v6, 0, v6, vcc_lo
	v_add_nc_u32_e32 v1, v6, v1
	ds_write_b32 v19, v1
	ds_write_b8 v19, v2 offset:4
.LBB1834_42:
	s_or_b32 exec_lo, exec_lo, s2
	v_mov_b32_e32 v24, 0
	v_mov_b32_e32 v25, 0
	s_mov_b32 s3, exec_lo
	v_cmp_gt_u32_e32 vcc_lo, 32, v0
	s_waitcnt lgkmcnt(0)
	s_barrier
	buffer_gl0_inv
	v_cmpx_lt_u32_e32 31, v0
	s_cbranch_execz .LBB1834_44
; %bb.43:
	v_add_nc_u32_e32 v1, -8, v5
	v_cmp_eq_u32_e64 s2, 0, v4
	v_and_b32_e32 v2, 1, v4
	ds_read_b32 v24, v1
	v_add_nc_u32_e32 v1, -4, v5
	ds_read_u8 v25, v1
	s_waitcnt lgkmcnt(1)
	v_cndmask_b32_e64 v1, 0, v24, s2
	v_cmp_eq_u32_e64 s2, 1, v2
	v_add_nc_u32_e32 v3, v1, v3
	s_waitcnt lgkmcnt(0)
	v_cndmask_b32_e64 v4, v25, 1, s2
.LBB1834_44:
	s_or_b32 exec_lo, exec_lo, s3
	v_sub_co_u32 v1, s2, v20, 1
	v_cmp_gt_i32_e64 s3, 0, v1
	v_cndmask_b32_e64 v1, v1, v20, s3
	v_lshlrev_b32_e32 v1, 2, v1
	ds_bpermute_b32 v26, v1, v3
	ds_bpermute_b32 v27, v1, v4
	s_and_saveexec_b32 s12, vcc_lo
	s_cbranch_execz .LBB1834_64
; %bb.45:
	v_mov_b32_e32 v4, 0
	ds_read_b64 v[1:2], v4 offset:56
	s_and_saveexec_b32 s3, s2
	s_cbranch_execz .LBB1834_47
; %bb.46:
	s_add_i32 s4, s6, 32
	s_mov_b32 s5, 0
	v_mov_b32_e32 v3, 1
	s_lshl_b64 s[4:5], s[4:5], 4
	s_add_u32 s4, s24, s4
	s_addc_u32 s5, s25, s5
	v_mov_b32_e32 v6, s5
	v_mov_b32_e32 v5, s4
	s_waitcnt lgkmcnt(0)
	;;#ASMSTART
	global_store_dwordx4 v[5:6], v[1:4] off	
s_waitcnt vmcnt(0)
	;;#ASMEND
.LBB1834_47:
	s_or_b32 exec_lo, exec_lo, s3
	v_xad_u32 v15, v20, -1, s6
	s_mov_b32 s4, 0
	v_add_nc_u32_e32 v3, 32, v15
	v_lshlrev_b64 v[5:6], 4, v[3:4]
	v_add_co_u32 v16, vcc_lo, s24, v5
	v_add_co_ci_u32_e64 v17, null, s25, v6, vcc_lo
	;;#ASMSTART
	global_load_dwordx4 v[5:8], v[16:17] off glc dlc	
s_waitcnt vmcnt(0)
	;;#ASMEND
	v_and_b32_e32 v6, 0xff, v6
	v_cmp_eq_u16_sdwa s5, v7, v4 src0_sel:BYTE_0 src1_sel:DWORD
	s_and_saveexec_b32 s3, s5
	s_cbranch_execz .LBB1834_51
; %bb.48:
	v_mov_b32_e32 v3, 0
.LBB1834_49:                            ; =>This Inner Loop Header: Depth=1
	;;#ASMSTART
	global_load_dwordx4 v[5:8], v[16:17] off glc dlc	
s_waitcnt vmcnt(0)
	;;#ASMEND
	v_cmp_ne_u16_sdwa s5, v7, v3 src0_sel:BYTE_0 src1_sel:DWORD
	s_or_b32 s4, s5, s4
	s_andn2_b32 exec_lo, exec_lo, s4
	s_cbranch_execnz .LBB1834_49
; %bb.50:
	s_or_b32 exec_lo, exec_lo, s4
	v_and_b32_e32 v6, 0xff, v6
.LBB1834_51:
	s_or_b32 exec_lo, exec_lo, s3
	v_cmp_ne_u32_e32 vcc_lo, 31, v20
	v_mov_b32_e32 v28, 2
	v_lshlrev_b32_e64 v29, v20, -1
	v_and_b32_e32 v8, 1, v6
	s_mov_b32 s4, 0
	v_add_co_ci_u32_e64 v3, null, 0, v20, vcc_lo
	v_cmp_eq_u16_sdwa s3, v7, v28 src0_sel:BYTE_0 src1_sel:DWORD
	v_cmp_eq_u32_e32 vcc_lo, 1, v8
	s_mov_b32 s5, 1
	v_lshlrev_b32_e32 v17, 2, v3
	v_add_nc_u32_e32 v37, 8, v20
	v_and_or_b32 v4, s3, v29, 0x80000000
	v_cmp_gt_u64_e64 s3, s[4:5], v[5:6]
	v_lshl_or_b32 v38, v20, 2, 64
	ds_bpermute_b32 v3, v17, v6
	ds_bpermute_b32 v16, v17, v5
	v_ffbl_b32_e32 v4, v4
	v_add_nc_u32_e32 v39, 16, v20
	s_waitcnt lgkmcnt(1)
	v_and_b32_e32 v3, 1, v3
	v_cndmask_b32_e64 v3, v3, 1, vcc_lo
	v_cmp_gt_u32_e32 vcc_lo, 30, v20
	v_and_b32_e32 v31, 0xffff, v3
	v_cndmask_b32_e64 v8, 0, 2, vcc_lo
	v_cmp_lt_u32_e32 vcc_lo, v20, v4
	v_add_lshl_u32 v30, v8, v20, 2
	v_cndmask_b32_e32 v8, v6, v31, vcc_lo
	v_cndmask_b32_e32 v3, v6, v3, vcc_lo
	s_and_b32 vcc_lo, vcc_lo, s3
	s_waitcnt lgkmcnt(0)
	v_cndmask_b32_e32 v6, 0, v16, vcc_lo
	ds_bpermute_b32 v31, v30, v8
	v_and_b32_e32 v16, 1, v3
	v_add_nc_u32_e32 v5, v6, v5
	v_cmp_eq_u32_e32 vcc_lo, 1, v16
	v_mov_b32_e32 v16, 0
	ds_bpermute_b32 v6, v30, v5
	v_cmp_eq_u16_sdwa s3, v3, v16 src0_sel:BYTE_0 src1_sel:DWORD
	s_waitcnt lgkmcnt(1)
	v_and_b32_e32 v32, 1, v31
	v_add_nc_u32_e32 v31, 2, v20
	v_cndmask_b32_e64 v33, v32, 1, vcc_lo
	v_cmp_gt_u32_e32 vcc_lo, 28, v20
	v_and_b32_e32 v34, 0xffff, v33
	v_cndmask_b32_e64 v32, 0, 4, vcc_lo
	v_cmp_gt_u32_e32 vcc_lo, v31, v4
	v_add_lshl_u32 v32, v32, v20, 2
	v_cndmask_b32_e32 v8, v34, v8, vcc_lo
	v_cndmask_b32_e32 v35, v33, v3, vcc_lo
	s_waitcnt lgkmcnt(0)
	v_cndmask_b32_e64 v3, 0, v6, s3
	v_add_nc_u32_e32 v33, 4, v20
	ds_bpermute_b32 v6, v32, v8
	v_and_b32_e32 v34, 1, v35
	v_cndmask_b32_e64 v3, v3, 0, vcc_lo
	v_cmp_eq_u16_sdwa s3, v35, v16 src0_sel:BYTE_0 src1_sel:DWORD
	v_cmp_eq_u32_e32 vcc_lo, 1, v34
	v_add_nc_u32_e32 v3, v3, v5
	ds_bpermute_b32 v5, v32, v3
	s_waitcnt lgkmcnt(1)
	v_and_b32_e32 v6, 1, v6
	v_cndmask_b32_e64 v6, v6, 1, vcc_lo
	v_cmp_gt_u32_e32 vcc_lo, 24, v20
	v_and_b32_e32 v36, 0xffff, v6
	v_cndmask_b32_e64 v34, 0, 8, vcc_lo
	v_cmp_gt_u32_e32 vcc_lo, v33, v4
	s_waitcnt lgkmcnt(0)
	v_cndmask_b32_e64 v5, 0, v5, s3
	v_add_lshl_u32 v34, v34, v20, 2
	v_cndmask_b32_e32 v8, v36, v8, vcc_lo
	v_cndmask_b32_e32 v6, v6, v35, vcc_lo
	v_cndmask_b32_e64 v5, v5, 0, vcc_lo
	ds_bpermute_b32 v35, v34, v8
	v_and_b32_e32 v36, 1, v6
	v_add_nc_u32_e32 v3, v5, v3
	v_cmp_eq_u32_e32 vcc_lo, 1, v36
	ds_bpermute_b32 v5, v34, v3
	s_waitcnt lgkmcnt(1)
	v_and_b32_e32 v35, 1, v35
	v_cndmask_b32_e64 v35, v35, 1, vcc_lo
	v_cmp_eq_u16_sdwa vcc_lo, v6, v16 src0_sel:BYTE_0 src1_sel:DWORD
	v_and_b32_e32 v36, 0xffff, v35
	s_waitcnt lgkmcnt(0)
	v_cndmask_b32_e32 v5, 0, v5, vcc_lo
	v_cmp_gt_u32_e32 vcc_lo, v37, v4
	v_cndmask_b32_e64 v5, v5, 0, vcc_lo
	v_cndmask_b32_e32 v8, v36, v8, vcc_lo
	v_cndmask_b32_e32 v6, v35, v6, vcc_lo
	v_add_nc_u32_e32 v3, v5, v3
	ds_bpermute_b32 v5, v38, v8
	v_and_b32_e32 v35, 1, v6
	v_cmp_eq_u16_sdwa vcc_lo, v6, v16 src0_sel:BYTE_0 src1_sel:DWORD
	ds_bpermute_b32 v8, v38, v3
	s_waitcnt lgkmcnt(1)
	v_and_b32_e32 v5, 1, v5
	s_waitcnt lgkmcnt(0)
	v_cndmask_b32_e32 v8, 0, v8, vcc_lo
	v_cmp_eq_u32_e32 vcc_lo, 1, v35
	v_cndmask_b32_e64 v5, v5, 1, vcc_lo
	v_cmp_gt_u32_e32 vcc_lo, v39, v4
	v_cndmask_b32_e32 v4, v5, v6, vcc_lo
	v_cndmask_b32_e64 v5, v8, 0, vcc_lo
	v_add_nc_u32_e32 v3, v5, v3
	s_branch .LBB1834_55
.LBB1834_52:                            ;   in Loop: Header=BB1834_55 Depth=1
	s_or_b32 exec_lo, exec_lo, s13
	v_and_b32_e32 v6, 0xff, v6
.LBB1834_53:                            ;   in Loop: Header=BB1834_55 Depth=1
	s_or_b32 exec_lo, exec_lo, s3
	ds_bpermute_b32 v3, v17, v6
	v_cmp_eq_u16_sdwa s3, v7, v28 src0_sel:BYTE_0 src1_sel:DWORD
	v_and_b32_e32 v4, 1, v6
	v_subrev_nc_u32_e32 v15, 32, v15
	v_and_or_b32 v8, s3, v29, 0x80000000
	v_cmp_eq_u32_e32 vcc_lo, 1, v4
	v_cmp_gt_u64_e64 s3, s[4:5], v[5:6]
	v_ffbl_b32_e32 v4, v8
	ds_bpermute_b32 v8, v17, v5
	s_waitcnt lgkmcnt(1)
	v_and_b32_e32 v3, 1, v3
	v_cndmask_b32_e64 v3, v3, 1, vcc_lo
	v_cmp_lt_u32_e32 vcc_lo, v20, v4
	v_and_b32_e32 v40, 0xffff, v3
	v_cndmask_b32_e32 v3, v6, v3, vcc_lo
	v_cndmask_b32_e32 v40, v6, v40, vcc_lo
	s_and_b32 vcc_lo, vcc_lo, s3
	v_cmp_eq_u16_sdwa s3, v3, v16 src0_sel:BYTE_0 src1_sel:DWORD
	s_waitcnt lgkmcnt(0)
	v_cndmask_b32_e32 v6, 0, v8, vcc_lo
	v_and_b32_e32 v8, 1, v3
	ds_bpermute_b32 v41, v30, v40
	v_add_nc_u32_e32 v5, v6, v5
	v_cmp_eq_u32_e32 vcc_lo, 1, v8
	ds_bpermute_b32 v6, v30, v5
	s_waitcnt lgkmcnt(1)
	v_and_b32_e32 v41, 1, v41
	v_cndmask_b32_e64 v8, v41, 1, vcc_lo
	v_cmp_gt_u32_e32 vcc_lo, v31, v4
	v_and_b32_e32 v41, 0xffff, v8
	v_cndmask_b32_e32 v8, v8, v3, vcc_lo
	s_waitcnt lgkmcnt(0)
	v_cndmask_b32_e64 v3, 0, v6, s3
	v_cndmask_b32_e32 v40, v41, v40, vcc_lo
	v_and_b32_e32 v41, 1, v8
	v_cndmask_b32_e64 v3, v3, 0, vcc_lo
	v_cmp_eq_u16_sdwa s3, v8, v16 src0_sel:BYTE_0 src1_sel:DWORD
	ds_bpermute_b32 v6, v32, v40
	v_cmp_eq_u32_e32 vcc_lo, 1, v41
	v_add_nc_u32_e32 v3, v3, v5
	ds_bpermute_b32 v5, v32, v3
	s_waitcnt lgkmcnt(1)
	v_and_b32_e32 v6, 1, v6
	v_cndmask_b32_e64 v6, v6, 1, vcc_lo
	v_cmp_gt_u32_e32 vcc_lo, v33, v4
	s_waitcnt lgkmcnt(0)
	v_cndmask_b32_e64 v5, 0, v5, s3
	s_mov_b32 s3, 0
	v_and_b32_e32 v41, 0xffff, v6
	v_cndmask_b32_e32 v6, v6, v8, vcc_lo
	v_cndmask_b32_e64 v5, v5, 0, vcc_lo
	v_cndmask_b32_e32 v8, v41, v40, vcc_lo
	v_and_b32_e32 v41, 1, v6
	v_add_nc_u32_e32 v3, v5, v3
	ds_bpermute_b32 v40, v34, v8
	v_cmp_eq_u32_e32 vcc_lo, 1, v41
	ds_bpermute_b32 v5, v34, v3
	s_waitcnt lgkmcnt(1)
	v_and_b32_e32 v40, 1, v40
	v_cndmask_b32_e64 v40, v40, 1, vcc_lo
	v_cmp_eq_u16_sdwa vcc_lo, v6, v16 src0_sel:BYTE_0 src1_sel:DWORD
	v_and_b32_e32 v41, 0xffff, v40
	s_waitcnt lgkmcnt(0)
	v_cndmask_b32_e32 v5, 0, v5, vcc_lo
	v_cmp_gt_u32_e32 vcc_lo, v37, v4
	v_cndmask_b32_e64 v5, v5, 0, vcc_lo
	v_cndmask_b32_e32 v8, v41, v8, vcc_lo
	v_cndmask_b32_e32 v6, v40, v6, vcc_lo
	v_add_nc_u32_e32 v3, v5, v3
	ds_bpermute_b32 v5, v38, v8
	v_and_b32_e32 v40, 1, v6
	ds_bpermute_b32 v8, v38, v3
	v_cmp_eq_u32_e32 vcc_lo, 1, v40
	s_waitcnt lgkmcnt(1)
	v_cndmask_b32_e64 v5, v5, 1, vcc_lo
	v_cmp_eq_u16_sdwa vcc_lo, v6, v16 src0_sel:BYTE_0 src1_sel:DWORD
	s_waitcnt lgkmcnt(0)
	v_cndmask_b32_e32 v8, 0, v8, vcc_lo
	v_cmp_gt_u32_e32 vcc_lo, v39, v4
	v_cndmask_b32_e32 v4, v5, v6, vcc_lo
	v_cndmask_b32_e64 v5, v8, 0, vcc_lo
	v_cmp_eq_u16_sdwa vcc_lo, v35, v16 src0_sel:BYTE_0 src1_sel:DWORD
	v_and_b32_e32 v4, 1, v4
	v_add_nc_u32_e32 v3, v5, v3
	v_and_b32_e32 v5, 1, v35
	v_cndmask_b32_e32 v3, 0, v3, vcc_lo
	v_cmp_eq_u32_e32 vcc_lo, 1, v5
	v_add_nc_u32_e32 v3, v3, v36
	v_cndmask_b32_e64 v4, v4, 1, vcc_lo
.LBB1834_54:                            ;   in Loop: Header=BB1834_55 Depth=1
	s_and_b32 vcc_lo, exec_lo, s3
	s_cbranch_vccnz .LBB1834_60
.LBB1834_55:                            ; =>This Loop Header: Depth=1
                                        ;     Child Loop BB1834_58 Depth 2
	v_cmp_ne_u16_sdwa s3, v7, v28 src0_sel:BYTE_0 src1_sel:DWORD
	v_mov_b32_e32 v35, v4
	v_mov_b32_e32 v36, v3
                                        ; implicit-def: $vgpr4
                                        ; implicit-def: $vgpr3
                                        ; implicit-def: $vgpr7
	s_cmp_lg_u32 s3, exec_lo
	s_mov_b32 s3, -1
	s_cbranch_scc1 .LBB1834_54
; %bb.56:                               ;   in Loop: Header=BB1834_55 Depth=1
	v_lshlrev_b64 v[3:4], 4, v[15:16]
	v_add_co_u32 v3, vcc_lo, s24, v3
	v_add_co_ci_u32_e64 v4, null, s25, v4, vcc_lo
	;;#ASMSTART
	global_load_dwordx4 v[5:8], v[3:4] off glc dlc	
s_waitcnt vmcnt(0)
	;;#ASMEND
	v_and_b32_e32 v6, 0xff, v6
	v_cmp_eq_u16_sdwa s13, v7, v16 src0_sel:BYTE_0 src1_sel:DWORD
	s_and_saveexec_b32 s3, s13
	s_cbranch_execz .LBB1834_53
; %bb.57:                               ;   in Loop: Header=BB1834_55 Depth=1
	s_mov_b32 s13, 0
.LBB1834_58:                            ;   Parent Loop BB1834_55 Depth=1
                                        ; =>  This Inner Loop Header: Depth=2
	;;#ASMSTART
	global_load_dwordx4 v[5:8], v[3:4] off glc dlc	
s_waitcnt vmcnt(0)
	;;#ASMEND
	v_cmp_ne_u16_sdwa s16, v7, v16 src0_sel:BYTE_0 src1_sel:DWORD
	s_or_b32 s13, s16, s13
	s_andn2_b32 exec_lo, exec_lo, s13
	s_cbranch_execnz .LBB1834_58
	s_branch .LBB1834_52
.LBB1834_59:
                                        ; implicit-def: $vgpr7
                                        ; implicit-def: $vgpr5
                                        ; implicit-def: $vgpr6
	s_cbranch_execnz .LBB1834_65
	s_branch .LBB1834_82
.LBB1834_60:
	s_and_saveexec_b32 s3, s2
	s_cbranch_execz .LBB1834_62
; %bb.61:
	v_mov_b32_e32 v4, 0
	v_and_b32_e32 v3, 1, v2
	s_mov_b32 s5, 0
	s_add_i32 s4, s6, 32
	v_and_b32_e32 v5, 1, v35
	v_cmp_eq_u32_sdwa vcc_lo, v2, v4 src0_sel:BYTE_0 src1_sel:DWORD
	s_lshl_b64 s[4:5], s[4:5], 4
	s_add_u32 s4, s24, s4
	s_addc_u32 s5, s25, s5
	v_cndmask_b32_e32 v2, 0, v36, vcc_lo
	v_cmp_eq_u32_e32 vcc_lo, 1, v3
	v_mov_b32_e32 v3, 2
	v_add_nc_u32_e32 v1, v2, v1
	v_cndmask_b32_e64 v2, v5, 1, vcc_lo
	v_mov_b32_e32 v6, s5
	v_mov_b32_e32 v5, s4
	;;#ASMSTART
	global_store_dwordx4 v[5:6], v[1:4] off	
s_waitcnt vmcnt(0)
	;;#ASMEND
.LBB1834_62:
	s_or_b32 exec_lo, exec_lo, s3
	v_cmp_eq_u32_e32 vcc_lo, 0, v0
	s_and_b32 exec_lo, exec_lo, vcc_lo
	s_cbranch_execz .LBB1834_64
; %bb.63:
	v_mov_b32_e32 v1, 0
	ds_write_b32 v1, v36 offset:56
	ds_write_b8 v1, v35 offset:60
.LBB1834_64:
	s_or_b32 exec_lo, exec_lo, s12
	s_waitcnt lgkmcnt(0)
	v_cndmask_b32_e64 v2, v27, v25, s2
	v_and_b32_e32 v4, 1, v10
	v_mov_b32_e32 v1, 0
	v_cndmask_b32_e64 v5, v26, v24, s2
	s_mov_b32 s2, 0
	v_and_b32_e32 v2, 1, v2
	v_cmp_eq_u32_e32 vcc_lo, 1, v4
	s_mov_b32 s3, 1
	s_barrier
	buffer_gl0_inv
	v_cndmask_b32_e64 v2, v2, 1, vcc_lo
	v_cmp_gt_u64_e32 vcc_lo, s[2:3], v[9:10]
	ds_read_b32 v3, v1 offset:56
	v_cndmask_b32_e32 v4, 0, v5, vcc_lo
	v_cmp_eq_u32_e32 vcc_lo, 0, v0
	v_cndmask_b32_e32 v2, v2, v10, vcc_lo
	v_cndmask_b32_e64 v4, v4, 0, vcc_lo
	v_cmp_eq_u16_sdwa vcc_lo, v2, v1 src0_sel:BYTE_0 src1_sel:DWORD
	s_waitcnt lgkmcnt(0)
	v_cndmask_b32_e32 v1, 0, v3, vcc_lo
	v_add3_u32 v7, v4, v9, v1
	v_cndmask_b32_e64 v1, 0, v7, s0
	v_add_nc_u32_e32 v5, v1, v11
	v_cndmask_b32_e64 v1, 0, v5, s1
	v_add_nc_u32_e32 v6, v1, v13
	s_branch .LBB1834_82
.LBB1834_65:
	s_cmp_lg_u64 s[28:29], 0
	v_cmp_eq_u32_e32 vcc_lo, 0, v0
	s_cselect_b32 s1, -1, 0
	s_cmp_lg_u64 s[18:19], 0
	v_cmp_ne_u32_e64 s0, 0, v0
	s_cselect_b32 s2, -1, 0
	s_mov_b32 s4, 0
	s_and_b32 s1, s1, s2
	s_and_b32 s1, vcc_lo, s1
	s_and_saveexec_b32 s2, s1
	s_cbranch_execz .LBB1834_67
; %bb.66:
	v_mov_b32_e32 v1, 0
	s_mov_b32 s5, 1
	s_clause 0x1
	global_load_dword v2, v1, s[18:19]
	global_load_ubyte v3, v1, s[18:19] offset:4
	v_cmp_gt_u64_e64 s1, s[4:5], v[9:10]
	s_waitcnt vmcnt(1)
	v_cndmask_b32_e64 v4, 0, v2, s1
	v_and_b32_e32 v2, 1, v10
	s_waitcnt vmcnt(0)
	v_and_b32_e32 v3, 1, v3
	v_add_nc_u32_e32 v9, v4, v9
	v_cmp_eq_u64_e64 s1, 0, v[1:2]
	v_cndmask_b32_e64 v10, 1, v3, s1
.LBB1834_67:
	s_or_b32 exec_lo, exec_lo, s2
	v_and_b32_e32 v2, 0xff, v23
	v_mov_b32_e32 v1, 0
	s_mov_b32 s5, 1
	v_and_b32_e32 v7, 15, v20
	v_cmp_eq_u64_e64 s1, 0, v[1:2]
	v_cmp_eq_u32_e64 s3, 0, v7
	v_cndmask_b32_e64 v2, 1, v10, s1
	v_cmp_gt_u64_e64 s1, s[4:5], v[11:12]
	v_and_b32_e32 v3, 0xff, v2
	v_and_b32_e32 v6, 1, v2
	v_cndmask_b32_e64 v5, 0, v9, s1
	v_mov_b32_dpp v4, v3 row_shr:1 row_mask:0xf bank_mask:0xf
	v_cmp_eq_u32_e64 s2, 1, v6
	v_add_nc_u32_e32 v5, v5, v11
	v_and_b32_e32 v4, 1, v4
	v_cndmask_b32_e64 v4, v4, 1, s2
	v_cmp_gt_u64_e64 s2, s[4:5], v[13:14]
	v_cmp_eq_u16_e64 s4, 0, v3
	v_cndmask_b32_e64 v8, v4, v3, s3
	v_cndmask_b32_e64 v2, v4, v2, s3
	;; [unrolled: 1-line block ×3, first 2 shown]
	v_mov_b32_dpp v4, v8 row_shr:2 row_mask:0xf bank_mask:0xf
	v_and_b32_e32 v14, 1, v2
	v_add_nc_u32_e32 v6, v6, v13
	v_and_b32_e32 v4, 1, v4
	v_mov_b32_dpp v12, v6 row_shr:1 row_mask:0xf bank_mask:0xf
	v_cndmask_b32_e64 v3, 0, v12, s4
	v_cmp_eq_u32_e64 s4, 1, v14
	v_cndmask_b32_e64 v3, v3, 0, s3
	v_cndmask_b32_e64 v4, v4, 1, s4
	v_cmp_lt_u32_e64 s4, 1, v7
	v_cmp_eq_u16_sdwa s3, v2, v1 src0_sel:BYTE_0 src1_sel:DWORD
	v_add_nc_u32_e32 v3, v3, v6
	v_cndmask_b32_e64 v12, v2, v4, s4
	v_cndmask_b32_e64 v4, v8, v4, s4
	s_and_b32 s3, s4, s3
	v_mov_b32_dpp v2, v3 row_shr:2 row_mask:0xf bank_mask:0xf
	v_and_b32_e32 v14, 1, v12
	v_mov_b32_dpp v8, v4 row_shr:4 row_mask:0xf bank_mask:0xf
	v_cmp_eq_u16_sdwa s4, v12, v1 src0_sel:BYTE_0 src1_sel:DWORD
	v_cndmask_b32_e64 v2, 0, v2, s3
	v_cmp_eq_u32_e64 s3, 1, v14
	v_and_b32_e32 v8, 1, v8
	v_add_nc_u32_e32 v2, v2, v3
	v_cndmask_b32_e64 v8, v8, 1, s3
	v_cmp_lt_u32_e64 s3, 3, v7
	v_cndmask_b32_e64 v3, v12, v8, s3
	v_cndmask_b32_e64 v4, v4, v8, s3
	v_mov_b32_dpp v8, v2 row_shr:4 row_mask:0xf bank_mask:0xf
	s_and_b32 s3, s3, s4
	v_and_b32_e32 v14, 1, v3
	v_mov_b32_dpp v12, v4 row_shr:8 row_mask:0xf bank_mask:0xf
	v_cndmask_b32_e64 v8, 0, v8, s3
	v_cmp_eq_u16_sdwa s4, v3, v1 src0_sel:BYTE_0 src1_sel:DWORD
	v_cmp_eq_u32_e64 s3, 1, v14
	v_and_b32_e32 v12, 1, v12
	v_add_nc_u32_e32 v2, v8, v2
	v_cndmask_b32_e64 v8, v12, 1, s3
	v_cmp_lt_u32_e64 s3, 7, v7
	v_mov_b32_dpp v7, v2 row_shr:8 row_mask:0xf bank_mask:0xf
	v_bfe_i32 v12, v20, 4, 1
	s_and_b32 s4, s3, s4
	v_cndmask_b32_e64 v4, v4, v8, s3
	v_cndmask_b32_e64 v7, 0, v7, s4
	;; [unrolled: 1-line block ×3, first 2 shown]
	s_mov_b32 s4, exec_lo
	v_add_nc_u32_e32 v2, v7, v2
	ds_swizzle_b32 v7, v4 offset:swizzle(BROADCAST,32,15)
	v_and_b32_e32 v14, 1, v3
	v_cmp_eq_u16_sdwa s3, v3, v1 src0_sel:BYTE_0 src1_sel:DWORD
	v_and_b32_e32 v3, 16, v20
	ds_swizzle_b32 v8, v2 offset:swizzle(BROADCAST,32,15)
	s_waitcnt lgkmcnt(1)
	v_and_b32_e32 v7, 1, v7
	s_waitcnt lgkmcnt(0)
	v_cndmask_b32_e64 v1, 0, v8, s3
	v_cmp_eq_u32_e64 s3, 1, v14
	v_and_b32_e32 v1, v12, v1
	v_cndmask_b32_e64 v7, v7, 1, s3
	v_cmp_eq_u32_e64 s3, 0, v3
	v_add_nc_u32_e32 v3, v1, v2
	v_cndmask_b32_e64 v4, v7, v4, s3
	v_cmpx_eq_u32_e64 v0, v22
	s_cbranch_execz .LBB1834_69
; %bb.68:
	v_lshlrev_b32_e32 v1, 3, v21
	ds_write_b32 v1, v3
	ds_write_b8 v1, v4 offset:4
.LBB1834_69:
	s_or_b32 exec_lo, exec_lo, s4
	s_mov_b32 s4, exec_lo
	s_waitcnt lgkmcnt(0)
	s_barrier
	buffer_gl0_inv
	v_cmpx_gt_u32_e32 8, v0
	s_cbranch_execz .LBB1834_75
; %bb.70:
	ds_read_b64 v[1:2], v19
	v_and_b32_e32 v7, 7, v20
	s_mov_b32 s5, exec_lo
	s_waitcnt lgkmcnt(0)
	v_and_b32_e32 v8, 0xffffff00, v2
	v_mov_b32_dpp v14, v1 row_shr:1 row_mask:0xf bank_mask:0xf
	v_mov_b32_dpp v15, v2 row_shr:1 row_mask:0xf bank_mask:0xf
	v_mov_b32_e32 v12, v2
	v_cmpx_ne_u32_e32 0, v7
	s_cbranch_execz .LBB1834_72
; %bb.71:
	v_mov_b32_e32 v12, 0
	v_and_b32_e32 v16, 1, v2
	v_and_b32_e32 v15, 1, v15
	v_cmp_eq_u16_sdwa s3, v2, v12 src0_sel:BYTE_0 src1_sel:DWORD
	v_cndmask_b32_e64 v2, 0, v14, s3
	v_cmp_eq_u32_e64 s3, 1, v16
	v_add_nc_u32_e32 v1, v2, v1
	v_cndmask_b32_e64 v14, v15, 1, s3
	v_or_b32_sdwa v12, v8, v14 dst_sel:DWORD dst_unused:UNUSED_PAD src0_sel:DWORD src1_sel:WORD_0
	v_mov_b32_e32 v2, v14
.LBB1834_72:
	s_or_b32 exec_lo, exec_lo, s5
	v_mov_b32_dpp v14, v1 row_shr:2 row_mask:0xf bank_mask:0xf
	v_mov_b32_dpp v15, v12 row_shr:2 row_mask:0xf bank_mask:0xf
	s_mov_b32 s5, exec_lo
	v_cmpx_lt_u32_e32 1, v7
	s_cbranch_execz .LBB1834_74
; %bb.73:
	v_mov_b32_e32 v12, 0
	v_and_b32_e32 v16, 1, v2
	v_and_b32_e32 v15, 1, v15
	v_cmp_eq_u16_sdwa s3, v2, v12 src0_sel:BYTE_0 src1_sel:DWORD
	v_cndmask_b32_e64 v2, 0, v14, s3
	v_cmp_eq_u32_e64 s3, 1, v16
	v_add_nc_u32_e32 v1, v2, v1
	v_cndmask_b32_e64 v14, v15, 1, s3
	v_or_b32_sdwa v12, v8, v14 dst_sel:DWORD dst_unused:UNUSED_PAD src0_sel:DWORD src1_sel:WORD_0
	v_mov_b32_e32 v2, v14
.LBB1834_74:
	s_or_b32 exec_lo, exec_lo, s5
	v_mov_b32_dpp v8, v12 row_shr:4 row_mask:0xf bank_mask:0xf
	v_and_b32_e32 v14, 1, v2
	v_mov_b32_e32 v12, 0
	v_and_b32_e32 v8, 1, v8
	v_cmp_eq_u32_e64 s3, 1, v14
	v_cmp_eq_u16_sdwa s5, v2, v12 src0_sel:BYTE_0 src1_sel:DWORD
	v_cndmask_b32_e64 v8, v8, 1, s3
	v_cmp_lt_u32_e64 s3, 3, v7
	v_mov_b32_dpp v7, v1 row_shr:4 row_mask:0xf bank_mask:0xf
	v_cndmask_b32_e64 v2, v2, v8, s3
	s_and_b32 s3, s3, s5
	v_cndmask_b32_e64 v7, 0, v7, s3
	v_add_nc_u32_e32 v1, v7, v1
	ds_write_b32 v19, v1
	ds_write_b8 v19, v2 offset:4
.LBB1834_75:
	s_or_b32 exec_lo, exec_lo, s4
	v_mov_b32_e32 v1, 0
	s_mov_b32 s4, exec_lo
	s_waitcnt lgkmcnt(0)
	s_barrier
	buffer_gl0_inv
	v_cmpx_lt_u32_e32 31, v0
	s_cbranch_execz .LBB1834_77
; %bb.76:
	v_lshl_add_u32 v1, v21, 3, -8
	v_cmp_eq_u32_e64 s3, 0, v4
	ds_read_b32 v1, v1
	s_waitcnt lgkmcnt(0)
	v_cndmask_b32_e64 v2, 0, v1, s3
	v_add_nc_u32_e32 v3, v2, v3
.LBB1834_77:
	s_or_b32 exec_lo, exec_lo, s4
	v_add_nc_u32_e32 v2, -1, v20
	s_mov_b32 s4, 0
	v_cmp_gt_i32_e64 s3, 0, v2
	v_cndmask_b32_e64 v2, v2, v20, s3
	v_lshlrev_b32_e32 v2, 2, v2
	ds_bpermute_b32 v2, v2, v3
	s_and_saveexec_b32 s3, s0
	s_cbranch_execz .LBB1834_79
; %bb.78:
	v_cmp_eq_u32_e64 s0, 0, v20
	s_mov_b32 s5, 1
	;;#ASMSTART
	;;#ASMEND
	s_waitcnt lgkmcnt(0)
	v_cndmask_b32_e64 v1, v2, v1, s0
	v_cmp_gt_u64_e64 s0, s[4:5], v[9:10]
	v_cndmask_b32_e64 v1, 0, v1, s0
	v_add_nc_u32_e32 v9, v1, v9
	v_cndmask_b32_e64 v1, 0, v9, s1
	v_add_nc_u32_e32 v5, v1, v11
	;; [unrolled: 2-line block ×3, first 2 shown]
.LBB1834_79:
	s_or_b32 exec_lo, exec_lo, s3
	s_and_saveexec_b32 s0, vcc_lo
	s_cbranch_execz .LBB1834_81
; %bb.80:
	v_mov_b32_e32 v4, 0
	s_add_u32 s2, s24, 0x200
	s_addc_u32 s3, s25, 0
	v_mov_b32_e32 v3, 2
	v_mov_b32_e32 v8, s3
	ds_read_b32 v1, v4 offset:56
	s_waitcnt lgkmcnt(1)
	ds_read_u8 v2, v4 offset:60
	v_mov_b32_e32 v7, s2
	s_waitcnt lgkmcnt(0)
	;;#ASMSTART
	global_store_dwordx4 v[7:8], v[1:4] off	
s_waitcnt vmcnt(0)
	;;#ASMEND
.LBB1834_81:
	s_or_b32 exec_lo, exec_lo, s0
	v_mov_b32_e32 v7, v9
.LBB1834_82:
	s_add_u32 s0, s14, s10
	v_mov_b32_e32 v3, 0
	s_addc_u32 s1, s15, s11
	s_add_u32 s0, s0, s8
	s_addc_u32 s1, s1, s9
	s_and_b32 vcc_lo, exec_lo, s7
	s_cbranch_vccz .LBB1834_94
; %bb.83:
	v_mul_u32_u24_e32 v1, 3, v0
	v_mov_b32_e32 v4, 0
	s_waitcnt lgkmcnt(0)
	v_mov_b32_e32 v2, 0
	s_add_i32 s20, s20, s26
	s_mov_b32 s2, exec_lo
	v_cmpx_gt_u32_e64 s20, v1
	s_cbranch_execz .LBB1834_89
; %bb.84:
	v_add_nc_u32_e32 v3, 1, v1
	v_mov_b32_e32 v2, 0
	v_mov_b32_e32 v4, 0
	s_mov_b32 s3, exec_lo
	v_cmpx_gt_u32_e64 s20, v3
	s_cbranch_execz .LBB1834_88
; %bb.85:
	v_add_nc_u32_e32 v2, 2, v1
	v_cmp_gt_u32_e32 vcc_lo, s20, v2
	v_mov_b32_e32 v2, 0
	s_and_saveexec_b32 s4, vcc_lo
; %bb.86:
	v_mov_b32_e32 v2, v6
; %bb.87:
	s_or_b32 exec_lo, exec_lo, s4
	v_mov_b32_e32 v4, v5
.LBB1834_88:
	s_or_b32 exec_lo, exec_lo, s3
	v_mov_b32_e32 v3, v7
.LBB1834_89:
	s_or_b32 exec_lo, exec_lo, s2
	v_lshlrev_b32_e32 v8, 2, v1
	s_barrier
	buffer_gl0_inv
	v_sub_nc_u32_e32 v1, v8, v19
	ds_write2_b32 v8, v3, v4 offset1:1
	ds_write_b32 v8, v2 offset:8
	s_waitcnt lgkmcnt(0)
	s_barrier
	buffer_gl0_inv
	ds_read2st64_b32 v[1:2], v1 offset0:4 offset1:8
	v_add_co_u32 v3, s2, s0, v18
	v_add_co_ci_u32_e64 v4, null, s1, 0, s2
	s_mov_b32 s2, exec_lo
	v_cmpx_gt_u32_e64 s20, v0
	s_cbranch_execz .LBB1834_91
; %bb.90:
	v_sub_nc_u32_e32 v9, 0, v19
	v_add_nc_u32_e32 v8, v8, v9
	ds_read_b32 v8, v8
	s_waitcnt lgkmcnt(0)
	flat_store_dword v[3:4], v8
.LBB1834_91:
	s_or_b32 exec_lo, exec_lo, s2
	v_or_b32_e32 v8, 0x100, v0
	s_mov_b32 s2, exec_lo
	v_cmpx_gt_u32_e64 s20, v8
	s_cbranch_execz .LBB1834_93
; %bb.92:
	s_waitcnt lgkmcnt(0)
	flat_store_dword v[3:4], v1 offset:1024
.LBB1834_93:
	s_or_b32 exec_lo, exec_lo, s2
	s_waitcnt lgkmcnt(0)
	v_or_b32_e32 v1, 0x200, v0
	v_cmp_gt_u32_e64 s2, s20, v1
	s_branch .LBB1834_96
.LBB1834_94:
	s_mov_b32 s2, 0
                                        ; implicit-def: $vgpr2
	s_cbranch_execz .LBB1834_96
; %bb.95:
	v_mul_u32_u24_e32 v1, 12, v0
	s_waitcnt lgkmcnt(0)
	s_waitcnt_vscnt null, 0x0
	s_barrier
	buffer_gl0_inv
	s_or_b32 s2, s2, exec_lo
	v_sub_nc_u32_e32 v2, v1, v19
	ds_write2_b32 v1, v7, v5 offset1:1
	ds_write_b32 v1, v6 offset:8
	s_waitcnt lgkmcnt(0)
	s_barrier
	buffer_gl0_inv
	ds_read2st64_b32 v[3:4], v2 offset1:4
	ds_read_b32 v2, v2 offset:2048
	v_add_co_u32 v5, s3, s0, v18
	v_add_co_ci_u32_e64 v6, null, s1, 0, s3
	s_waitcnt lgkmcnt(1)
	flat_store_dword v[5:6], v3
	flat_store_dword v[5:6], v4 offset:1024
.LBB1834_96:
	s_and_saveexec_b32 s3, s2
	s_cbranch_execnz .LBB1834_98
; %bb.97:
	s_endpgm
.LBB1834_98:
	v_lshlrev_b32_e32 v0, 2, v0
	v_add_co_u32 v0, s0, s0, v0
	v_add_co_ci_u32_e64 v1, null, s1, 0, s0
	v_add_co_u32 v0, vcc_lo, 0x800, v0
	v_add_co_ci_u32_e64 v1, null, 0, v1, vcc_lo
	s_waitcnt lgkmcnt(0)
	flat_store_dword v[0:1], v2
	s_endpgm
.LBB1834_99:
	v_add_co_u32 v2, s0, s3, v9
	v_add_co_ci_u32_e64 v3, null, s21, 0, s0
	v_mov_b32_e32 v11, v1
	v_mov_b32_e32 v12, v1
	flat_load_dword v10, v[2:3]
	s_waitcnt vmcnt(0) lgkmcnt(0)
	v_mov_b32_e32 v1, v10
	v_mov_b32_e32 v2, v11
	v_mov_b32_e32 v3, v12
	s_or_b32 exec_lo, exec_lo, s16
	s_and_saveexec_b32 s0, s1
	s_cbranch_execz .LBB1834_15
.LBB1834_100:
	v_add_co_u32 v10, s1, s3, v9
	v_add_co_ci_u32_e64 v11, null, s21, 0, s1
	flat_load_dword v2, v[10:11] offset:1024
	s_or_b32 exec_lo, exec_lo, s0
	s_and_saveexec_b32 s0, s2
	s_cbranch_execnz .LBB1834_16
	s_branch .LBB1834_17
.LBB1834_101:
                                        ; implicit-def: $sgpr16_sgpr17
	s_branch .LBB1834_10
.LBB1834_102:
                                        ; implicit-def: $sgpr0_sgpr1
	s_branch .LBB1834_26
	.section	.rodata,"a",@progbits
	.p2align	6, 0x0
	.amdhsa_kernel _ZN7rocprim17ROCPRIM_400000_NS6detail17trampoline_kernelINS0_14default_configENS1_27scan_by_key_config_selectorIjjEEZZNS1_16scan_by_key_implILNS1_25lookback_scan_determinismE0ELb0ES3_N6thrust23THRUST_200600_302600_NS6detail15normal_iteratorINS9_10device_ptrIjEEEESE_SE_jNS9_4plusIvEENS9_8equal_toIvEEjEE10hipError_tPvRmT2_T3_T4_T5_mT6_T7_P12ihipStream_tbENKUlT_T0_E_clISt17integral_constantIbLb0EESZ_EEDaSU_SV_EUlSU_E_NS1_11comp_targetILNS1_3genE8ELNS1_11target_archE1030ELNS1_3gpuE2ELNS1_3repE0EEENS1_30default_config_static_selectorELNS0_4arch9wavefront6targetE0EEEvT1_
		.amdhsa_group_segment_fixed_size 5120
		.amdhsa_private_segment_fixed_size 0
		.amdhsa_kernarg_size 112
		.amdhsa_user_sgpr_count 6
		.amdhsa_user_sgpr_private_segment_buffer 1
		.amdhsa_user_sgpr_dispatch_ptr 0
		.amdhsa_user_sgpr_queue_ptr 0
		.amdhsa_user_sgpr_kernarg_segment_ptr 1
		.amdhsa_user_sgpr_dispatch_id 0
		.amdhsa_user_sgpr_flat_scratch_init 0
		.amdhsa_user_sgpr_private_segment_size 0
		.amdhsa_wavefront_size32 1
		.amdhsa_uses_dynamic_stack 0
		.amdhsa_system_sgpr_private_segment_wavefront_offset 0
		.amdhsa_system_sgpr_workgroup_id_x 1
		.amdhsa_system_sgpr_workgroup_id_y 0
		.amdhsa_system_sgpr_workgroup_id_z 0
		.amdhsa_system_sgpr_workgroup_info 0
		.amdhsa_system_vgpr_workitem_id 0
		.amdhsa_next_free_vgpr 42
		.amdhsa_next_free_sgpr 31
		.amdhsa_reserve_vcc 1
		.amdhsa_reserve_flat_scratch 1
		.amdhsa_float_round_mode_32 0
		.amdhsa_float_round_mode_16_64 0
		.amdhsa_float_denorm_mode_32 3
		.amdhsa_float_denorm_mode_16_64 3
		.amdhsa_dx10_clamp 1
		.amdhsa_ieee_mode 1
		.amdhsa_fp16_overflow 0
		.amdhsa_workgroup_processor_mode 1
		.amdhsa_memory_ordered 1
		.amdhsa_forward_progress 1
		.amdhsa_shared_vgpr_count 0
		.amdhsa_exception_fp_ieee_invalid_op 0
		.amdhsa_exception_fp_denorm_src 0
		.amdhsa_exception_fp_ieee_div_zero 0
		.amdhsa_exception_fp_ieee_overflow 0
		.amdhsa_exception_fp_ieee_underflow 0
		.amdhsa_exception_fp_ieee_inexact 0
		.amdhsa_exception_int_div_zero 0
	.end_amdhsa_kernel
	.section	.text._ZN7rocprim17ROCPRIM_400000_NS6detail17trampoline_kernelINS0_14default_configENS1_27scan_by_key_config_selectorIjjEEZZNS1_16scan_by_key_implILNS1_25lookback_scan_determinismE0ELb0ES3_N6thrust23THRUST_200600_302600_NS6detail15normal_iteratorINS9_10device_ptrIjEEEESE_SE_jNS9_4plusIvEENS9_8equal_toIvEEjEE10hipError_tPvRmT2_T3_T4_T5_mT6_T7_P12ihipStream_tbENKUlT_T0_E_clISt17integral_constantIbLb0EESZ_EEDaSU_SV_EUlSU_E_NS1_11comp_targetILNS1_3genE8ELNS1_11target_archE1030ELNS1_3gpuE2ELNS1_3repE0EEENS1_30default_config_static_selectorELNS0_4arch9wavefront6targetE0EEEvT1_,"axG",@progbits,_ZN7rocprim17ROCPRIM_400000_NS6detail17trampoline_kernelINS0_14default_configENS1_27scan_by_key_config_selectorIjjEEZZNS1_16scan_by_key_implILNS1_25lookback_scan_determinismE0ELb0ES3_N6thrust23THRUST_200600_302600_NS6detail15normal_iteratorINS9_10device_ptrIjEEEESE_SE_jNS9_4plusIvEENS9_8equal_toIvEEjEE10hipError_tPvRmT2_T3_T4_T5_mT6_T7_P12ihipStream_tbENKUlT_T0_E_clISt17integral_constantIbLb0EESZ_EEDaSU_SV_EUlSU_E_NS1_11comp_targetILNS1_3genE8ELNS1_11target_archE1030ELNS1_3gpuE2ELNS1_3repE0EEENS1_30default_config_static_selectorELNS0_4arch9wavefront6targetE0EEEvT1_,comdat
.Lfunc_end1834:
	.size	_ZN7rocprim17ROCPRIM_400000_NS6detail17trampoline_kernelINS0_14default_configENS1_27scan_by_key_config_selectorIjjEEZZNS1_16scan_by_key_implILNS1_25lookback_scan_determinismE0ELb0ES3_N6thrust23THRUST_200600_302600_NS6detail15normal_iteratorINS9_10device_ptrIjEEEESE_SE_jNS9_4plusIvEENS9_8equal_toIvEEjEE10hipError_tPvRmT2_T3_T4_T5_mT6_T7_P12ihipStream_tbENKUlT_T0_E_clISt17integral_constantIbLb0EESZ_EEDaSU_SV_EUlSU_E_NS1_11comp_targetILNS1_3genE8ELNS1_11target_archE1030ELNS1_3gpuE2ELNS1_3repE0EEENS1_30default_config_static_selectorELNS0_4arch9wavefront6targetE0EEEvT1_, .Lfunc_end1834-_ZN7rocprim17ROCPRIM_400000_NS6detail17trampoline_kernelINS0_14default_configENS1_27scan_by_key_config_selectorIjjEEZZNS1_16scan_by_key_implILNS1_25lookback_scan_determinismE0ELb0ES3_N6thrust23THRUST_200600_302600_NS6detail15normal_iteratorINS9_10device_ptrIjEEEESE_SE_jNS9_4plusIvEENS9_8equal_toIvEEjEE10hipError_tPvRmT2_T3_T4_T5_mT6_T7_P12ihipStream_tbENKUlT_T0_E_clISt17integral_constantIbLb0EESZ_EEDaSU_SV_EUlSU_E_NS1_11comp_targetILNS1_3genE8ELNS1_11target_archE1030ELNS1_3gpuE2ELNS1_3repE0EEENS1_30default_config_static_selectorELNS0_4arch9wavefront6targetE0EEEvT1_
                                        ; -- End function
	.set _ZN7rocprim17ROCPRIM_400000_NS6detail17trampoline_kernelINS0_14default_configENS1_27scan_by_key_config_selectorIjjEEZZNS1_16scan_by_key_implILNS1_25lookback_scan_determinismE0ELb0ES3_N6thrust23THRUST_200600_302600_NS6detail15normal_iteratorINS9_10device_ptrIjEEEESE_SE_jNS9_4plusIvEENS9_8equal_toIvEEjEE10hipError_tPvRmT2_T3_T4_T5_mT6_T7_P12ihipStream_tbENKUlT_T0_E_clISt17integral_constantIbLb0EESZ_EEDaSU_SV_EUlSU_E_NS1_11comp_targetILNS1_3genE8ELNS1_11target_archE1030ELNS1_3gpuE2ELNS1_3repE0EEENS1_30default_config_static_selectorELNS0_4arch9wavefront6targetE0EEEvT1_.num_vgpr, 42
	.set _ZN7rocprim17ROCPRIM_400000_NS6detail17trampoline_kernelINS0_14default_configENS1_27scan_by_key_config_selectorIjjEEZZNS1_16scan_by_key_implILNS1_25lookback_scan_determinismE0ELb0ES3_N6thrust23THRUST_200600_302600_NS6detail15normal_iteratorINS9_10device_ptrIjEEEESE_SE_jNS9_4plusIvEENS9_8equal_toIvEEjEE10hipError_tPvRmT2_T3_T4_T5_mT6_T7_P12ihipStream_tbENKUlT_T0_E_clISt17integral_constantIbLb0EESZ_EEDaSU_SV_EUlSU_E_NS1_11comp_targetILNS1_3genE8ELNS1_11target_archE1030ELNS1_3gpuE2ELNS1_3repE0EEENS1_30default_config_static_selectorELNS0_4arch9wavefront6targetE0EEEvT1_.num_agpr, 0
	.set _ZN7rocprim17ROCPRIM_400000_NS6detail17trampoline_kernelINS0_14default_configENS1_27scan_by_key_config_selectorIjjEEZZNS1_16scan_by_key_implILNS1_25lookback_scan_determinismE0ELb0ES3_N6thrust23THRUST_200600_302600_NS6detail15normal_iteratorINS9_10device_ptrIjEEEESE_SE_jNS9_4plusIvEENS9_8equal_toIvEEjEE10hipError_tPvRmT2_T3_T4_T5_mT6_T7_P12ihipStream_tbENKUlT_T0_E_clISt17integral_constantIbLb0EESZ_EEDaSU_SV_EUlSU_E_NS1_11comp_targetILNS1_3genE8ELNS1_11target_archE1030ELNS1_3gpuE2ELNS1_3repE0EEENS1_30default_config_static_selectorELNS0_4arch9wavefront6targetE0EEEvT1_.numbered_sgpr, 31
	.set _ZN7rocprim17ROCPRIM_400000_NS6detail17trampoline_kernelINS0_14default_configENS1_27scan_by_key_config_selectorIjjEEZZNS1_16scan_by_key_implILNS1_25lookback_scan_determinismE0ELb0ES3_N6thrust23THRUST_200600_302600_NS6detail15normal_iteratorINS9_10device_ptrIjEEEESE_SE_jNS9_4plusIvEENS9_8equal_toIvEEjEE10hipError_tPvRmT2_T3_T4_T5_mT6_T7_P12ihipStream_tbENKUlT_T0_E_clISt17integral_constantIbLb0EESZ_EEDaSU_SV_EUlSU_E_NS1_11comp_targetILNS1_3genE8ELNS1_11target_archE1030ELNS1_3gpuE2ELNS1_3repE0EEENS1_30default_config_static_selectorELNS0_4arch9wavefront6targetE0EEEvT1_.num_named_barrier, 0
	.set _ZN7rocprim17ROCPRIM_400000_NS6detail17trampoline_kernelINS0_14default_configENS1_27scan_by_key_config_selectorIjjEEZZNS1_16scan_by_key_implILNS1_25lookback_scan_determinismE0ELb0ES3_N6thrust23THRUST_200600_302600_NS6detail15normal_iteratorINS9_10device_ptrIjEEEESE_SE_jNS9_4plusIvEENS9_8equal_toIvEEjEE10hipError_tPvRmT2_T3_T4_T5_mT6_T7_P12ihipStream_tbENKUlT_T0_E_clISt17integral_constantIbLb0EESZ_EEDaSU_SV_EUlSU_E_NS1_11comp_targetILNS1_3genE8ELNS1_11target_archE1030ELNS1_3gpuE2ELNS1_3repE0EEENS1_30default_config_static_selectorELNS0_4arch9wavefront6targetE0EEEvT1_.private_seg_size, 0
	.set _ZN7rocprim17ROCPRIM_400000_NS6detail17trampoline_kernelINS0_14default_configENS1_27scan_by_key_config_selectorIjjEEZZNS1_16scan_by_key_implILNS1_25lookback_scan_determinismE0ELb0ES3_N6thrust23THRUST_200600_302600_NS6detail15normal_iteratorINS9_10device_ptrIjEEEESE_SE_jNS9_4plusIvEENS9_8equal_toIvEEjEE10hipError_tPvRmT2_T3_T4_T5_mT6_T7_P12ihipStream_tbENKUlT_T0_E_clISt17integral_constantIbLb0EESZ_EEDaSU_SV_EUlSU_E_NS1_11comp_targetILNS1_3genE8ELNS1_11target_archE1030ELNS1_3gpuE2ELNS1_3repE0EEENS1_30default_config_static_selectorELNS0_4arch9wavefront6targetE0EEEvT1_.uses_vcc, 1
	.set _ZN7rocprim17ROCPRIM_400000_NS6detail17trampoline_kernelINS0_14default_configENS1_27scan_by_key_config_selectorIjjEEZZNS1_16scan_by_key_implILNS1_25lookback_scan_determinismE0ELb0ES3_N6thrust23THRUST_200600_302600_NS6detail15normal_iteratorINS9_10device_ptrIjEEEESE_SE_jNS9_4plusIvEENS9_8equal_toIvEEjEE10hipError_tPvRmT2_T3_T4_T5_mT6_T7_P12ihipStream_tbENKUlT_T0_E_clISt17integral_constantIbLb0EESZ_EEDaSU_SV_EUlSU_E_NS1_11comp_targetILNS1_3genE8ELNS1_11target_archE1030ELNS1_3gpuE2ELNS1_3repE0EEENS1_30default_config_static_selectorELNS0_4arch9wavefront6targetE0EEEvT1_.uses_flat_scratch, 1
	.set _ZN7rocprim17ROCPRIM_400000_NS6detail17trampoline_kernelINS0_14default_configENS1_27scan_by_key_config_selectorIjjEEZZNS1_16scan_by_key_implILNS1_25lookback_scan_determinismE0ELb0ES3_N6thrust23THRUST_200600_302600_NS6detail15normal_iteratorINS9_10device_ptrIjEEEESE_SE_jNS9_4plusIvEENS9_8equal_toIvEEjEE10hipError_tPvRmT2_T3_T4_T5_mT6_T7_P12ihipStream_tbENKUlT_T0_E_clISt17integral_constantIbLb0EESZ_EEDaSU_SV_EUlSU_E_NS1_11comp_targetILNS1_3genE8ELNS1_11target_archE1030ELNS1_3gpuE2ELNS1_3repE0EEENS1_30default_config_static_selectorELNS0_4arch9wavefront6targetE0EEEvT1_.has_dyn_sized_stack, 0
	.set _ZN7rocprim17ROCPRIM_400000_NS6detail17trampoline_kernelINS0_14default_configENS1_27scan_by_key_config_selectorIjjEEZZNS1_16scan_by_key_implILNS1_25lookback_scan_determinismE0ELb0ES3_N6thrust23THRUST_200600_302600_NS6detail15normal_iteratorINS9_10device_ptrIjEEEESE_SE_jNS9_4plusIvEENS9_8equal_toIvEEjEE10hipError_tPvRmT2_T3_T4_T5_mT6_T7_P12ihipStream_tbENKUlT_T0_E_clISt17integral_constantIbLb0EESZ_EEDaSU_SV_EUlSU_E_NS1_11comp_targetILNS1_3genE8ELNS1_11target_archE1030ELNS1_3gpuE2ELNS1_3repE0EEENS1_30default_config_static_selectorELNS0_4arch9wavefront6targetE0EEEvT1_.has_recursion, 0
	.set _ZN7rocprim17ROCPRIM_400000_NS6detail17trampoline_kernelINS0_14default_configENS1_27scan_by_key_config_selectorIjjEEZZNS1_16scan_by_key_implILNS1_25lookback_scan_determinismE0ELb0ES3_N6thrust23THRUST_200600_302600_NS6detail15normal_iteratorINS9_10device_ptrIjEEEESE_SE_jNS9_4plusIvEENS9_8equal_toIvEEjEE10hipError_tPvRmT2_T3_T4_T5_mT6_T7_P12ihipStream_tbENKUlT_T0_E_clISt17integral_constantIbLb0EESZ_EEDaSU_SV_EUlSU_E_NS1_11comp_targetILNS1_3genE8ELNS1_11target_archE1030ELNS1_3gpuE2ELNS1_3repE0EEENS1_30default_config_static_selectorELNS0_4arch9wavefront6targetE0EEEvT1_.has_indirect_call, 0
	.section	.AMDGPU.csdata,"",@progbits
; Kernel info:
; codeLenInByte = 6228
; TotalNumSgprs: 33
; NumVgprs: 42
; ScratchSize: 0
; MemoryBound: 0
; FloatMode: 240
; IeeeMode: 1
; LDSByteSize: 5120 bytes/workgroup (compile time only)
; SGPRBlocks: 0
; VGPRBlocks: 5
; NumSGPRsForWavesPerEU: 33
; NumVGPRsForWavesPerEU: 42
; Occupancy: 16
; WaveLimiterHint : 1
; COMPUTE_PGM_RSRC2:SCRATCH_EN: 0
; COMPUTE_PGM_RSRC2:USER_SGPR: 6
; COMPUTE_PGM_RSRC2:TRAP_HANDLER: 0
; COMPUTE_PGM_RSRC2:TGID_X_EN: 1
; COMPUTE_PGM_RSRC2:TGID_Y_EN: 0
; COMPUTE_PGM_RSRC2:TGID_Z_EN: 0
; COMPUTE_PGM_RSRC2:TIDIG_COMP_CNT: 0
	.section	.text._ZN7rocprim17ROCPRIM_400000_NS6detail30init_device_scan_by_key_kernelINS1_19lookback_scan_stateINS0_5tupleIJjbEEELb1ELb1EEEN6thrust23THRUST_200600_302600_NS6detail15normal_iteratorINS8_10device_ptrIjEEEEjNS1_16block_id_wrapperIjLb1EEEEEvT_jjPNSG_10value_typeET0_PNSt15iterator_traitsISJ_E10value_typeEmT1_T2_,"axG",@progbits,_ZN7rocprim17ROCPRIM_400000_NS6detail30init_device_scan_by_key_kernelINS1_19lookback_scan_stateINS0_5tupleIJjbEEELb1ELb1EEEN6thrust23THRUST_200600_302600_NS6detail15normal_iteratorINS8_10device_ptrIjEEEEjNS1_16block_id_wrapperIjLb1EEEEEvT_jjPNSG_10value_typeET0_PNSt15iterator_traitsISJ_E10value_typeEmT1_T2_,comdat
	.protected	_ZN7rocprim17ROCPRIM_400000_NS6detail30init_device_scan_by_key_kernelINS1_19lookback_scan_stateINS0_5tupleIJjbEEELb1ELb1EEEN6thrust23THRUST_200600_302600_NS6detail15normal_iteratorINS8_10device_ptrIjEEEEjNS1_16block_id_wrapperIjLb1EEEEEvT_jjPNSG_10value_typeET0_PNSt15iterator_traitsISJ_E10value_typeEmT1_T2_ ; -- Begin function _ZN7rocprim17ROCPRIM_400000_NS6detail30init_device_scan_by_key_kernelINS1_19lookback_scan_stateINS0_5tupleIJjbEEELb1ELb1EEEN6thrust23THRUST_200600_302600_NS6detail15normal_iteratorINS8_10device_ptrIjEEEEjNS1_16block_id_wrapperIjLb1EEEEEvT_jjPNSG_10value_typeET0_PNSt15iterator_traitsISJ_E10value_typeEmT1_T2_
	.globl	_ZN7rocprim17ROCPRIM_400000_NS6detail30init_device_scan_by_key_kernelINS1_19lookback_scan_stateINS0_5tupleIJjbEEELb1ELb1EEEN6thrust23THRUST_200600_302600_NS6detail15normal_iteratorINS8_10device_ptrIjEEEEjNS1_16block_id_wrapperIjLb1EEEEEvT_jjPNSG_10value_typeET0_PNSt15iterator_traitsISJ_E10value_typeEmT1_T2_
	.p2align	8
	.type	_ZN7rocprim17ROCPRIM_400000_NS6detail30init_device_scan_by_key_kernelINS1_19lookback_scan_stateINS0_5tupleIJjbEEELb1ELb1EEEN6thrust23THRUST_200600_302600_NS6detail15normal_iteratorINS8_10device_ptrIjEEEEjNS1_16block_id_wrapperIjLb1EEEEEvT_jjPNSG_10value_typeET0_PNSt15iterator_traitsISJ_E10value_typeEmT1_T2_,@function
_ZN7rocprim17ROCPRIM_400000_NS6detail30init_device_scan_by_key_kernelINS1_19lookback_scan_stateINS0_5tupleIJjbEEELb1ELb1EEEN6thrust23THRUST_200600_302600_NS6detail15normal_iteratorINS8_10device_ptrIjEEEEjNS1_16block_id_wrapperIjLb1EEEEEvT_jjPNSG_10value_typeET0_PNSt15iterator_traitsISJ_E10value_typeEmT1_T2_: ; @_ZN7rocprim17ROCPRIM_400000_NS6detail30init_device_scan_by_key_kernelINS1_19lookback_scan_stateINS0_5tupleIJjbEEELb1ELb1EEEN6thrust23THRUST_200600_302600_NS6detail15normal_iteratorINS8_10device_ptrIjEEEEjNS1_16block_id_wrapperIjLb1EEEEEvT_jjPNSG_10value_typeET0_PNSt15iterator_traitsISJ_E10value_typeEmT1_T2_
; %bb.0:
	s_clause 0x2
	s_load_dword s0, s[4:5], 0x4c
	s_load_dwordx8 s[8:15], s[4:5], 0x0
	s_load_dword s7, s[4:5], 0x40
	s_waitcnt lgkmcnt(0)
	s_and_b32 s16, s0, 0xffff
	s_cmp_eq_u64 s[12:13], 0
	v_mad_u64_u32 v[4:5], null, s6, s16, v[0:1]
	s_cbranch_scc1 .LBB1835_10
; %bb.1:
	s_cmp_lt_u32 s11, s10
	s_mov_b32 s1, 0
	s_cselect_b32 s0, s11, 0
	s_mov_b32 s2, exec_lo
	v_cmpx_eq_u32_e64 s0, v4
	s_cbranch_execz .LBB1835_9
; %bb.2:
	s_add_i32 s0, s11, 32
	v_mov_b32_e32 v6, 0
	s_lshl_b64 s[0:1], s[0:1], 4
	s_mov_b32 s3, exec_lo
	s_add_u32 s0, s8, s0
	s_addc_u32 s1, s9, s1
	v_mov_b32_e32 v0, s0
	v_mov_b32_e32 v1, s1
	;;#ASMSTART
	global_load_dwordx4 v[0:3], v[0:1] off glc dlc	
s_waitcnt vmcnt(0)
	;;#ASMEND
	v_and_b32_e32 v5, 0xff, v2
	v_cmpx_eq_u64_e32 0, v[5:6]
	s_cbranch_execz .LBB1835_8
; %bb.3:
	v_mov_b32_e32 v8, s1
	v_mov_b32_e32 v7, s0
	s_mov_b32 s1, 1
	s_mov_b32 s0, 0
	.p2align	6
.LBB1835_4:                             ; =>This Loop Header: Depth=1
                                        ;     Child Loop BB1835_5 Depth 2
	s_mov_b32 s6, s1
.LBB1835_5:                             ;   Parent Loop BB1835_4 Depth=1
                                        ; =>  This Inner Loop Header: Depth=2
	s_add_i32 s6, s6, -1
	s_sleep 1
	s_cmp_eq_u32 s6, 0
	s_cbranch_scc0 .LBB1835_5
; %bb.6:                                ;   in Loop: Header=BB1835_4 Depth=1
	;;#ASMSTART
	global_load_dwordx4 v[0:3], v[7:8] off glc dlc	
s_waitcnt vmcnt(0)
	;;#ASMEND
	v_and_b32_e32 v5, 0xff, v2
	s_cmp_lt_u32 s1, 32
	s_cselect_b32 s6, -1, 0
	v_cmp_ne_u64_e32 vcc_lo, 0, v[5:6]
	s_cmp_lg_u32 s6, 0
	s_addc_u32 s1, s1, 0
	s_or_b32 s0, vcc_lo, s0
	s_andn2_b32 exec_lo, exec_lo, s0
	s_cbranch_execnz .LBB1835_4
; %bb.7:
	s_or_b32 exec_lo, exec_lo, s0
.LBB1835_8:
	s_or_b32 exec_lo, exec_lo, s3
	v_mov_b32_e32 v2, 0
	global_store_dword v2, v0, s[12:13]
	global_store_byte v2, v1, s[12:13] offset:4
.LBB1835_9:
	s_or_b32 exec_lo, exec_lo, s2
.LBB1835_10:
	s_mov_b32 s0, exec_lo
	v_cmpx_eq_u32_e32 0, v4
	s_cbranch_execz .LBB1835_12
; %bb.11:
	s_load_dwordx2 s[2:3], s[4:5], 0x38
	v_mov_b32_e32 v0, 0
	s_waitcnt lgkmcnt(0)
	global_store_dword v0, v0, s[2:3]
.LBB1835_12:
	s_or_b32 exec_lo, exec_lo, s0
	s_mov_b32 s0, exec_lo
	v_cmpx_gt_u32_e64 s10, v4
	s_cbranch_execz .LBB1835_14
; %bb.13:
	v_add_nc_u32_e32 v0, 32, v4
	v_mov_b32_e32 v1, 0
	v_lshlrev_b64 v[5:6], 4, v[0:1]
	v_mov_b32_e32 v0, v1
	v_mov_b32_e32 v2, v1
	;; [unrolled: 1-line block ×3, first 2 shown]
	v_add_co_u32 v5, vcc_lo, s8, v5
	v_add_co_ci_u32_e64 v6, null, s9, v6, vcc_lo
	global_store_dwordx4 v[5:6], v[0:3], off
.LBB1835_14:
	s_or_b32 exec_lo, exec_lo, s0
	v_mov_b32_e32 v5, 0
	s_mov_b32 s0, exec_lo
	v_cmpx_gt_u32_e32 32, v4
	s_cbranch_execz .LBB1835_16
; %bb.15:
	v_lshlrev_b64 v[6:7], 4, v[4:5]
	v_mov_b32_e32 v2, 0xff
	v_mov_b32_e32 v0, v5
	;; [unrolled: 1-line block ×4, first 2 shown]
	v_add_co_u32 v6, vcc_lo, s8, v6
	v_add_co_ci_u32_e64 v7, null, s9, v7, vcc_lo
	global_store_dwordx4 v[6:7], v[0:3], off
.LBB1835_16:
	s_or_b32 exec_lo, exec_lo, s0
	s_load_dwordx2 s[2:3], s[4:5], 0x28
	s_mov_b32 s0, exec_lo
	s_waitcnt lgkmcnt(0)
	v_cmpx_gt_u64_e64 s[2:3], v[4:5]
	s_cbranch_execz .LBB1835_19
; %bb.17:
	s_clause 0x1
	s_load_dword s6, s[4:5], 0x30
	s_load_dwordx2 s[8:9], s[4:5], 0x20
	s_mov_b32 s1, 0
	v_lshlrev_b64 v[2:3], 2, v[4:5]
	s_mul_i32 s4, s7, s16
	s_waitcnt lgkmcnt(0)
	v_mad_u64_u32 v[0:1], null, s6, v4, 0
	s_add_i32 s0, s6, -1
	s_mul_hi_u32 s7, s6, s4
	s_lshl_b64 s[10:11], s[0:1], 2
	s_mul_i32 s6, s6, s4
	s_add_u32 s0, s14, s10
	s_addc_u32 s5, s15, s11
	v_lshlrev_b64 v[0:1], 2, v[0:1]
	s_lshl_b64 s[6:7], s[6:7], 2
	v_add_co_u32 v0, vcc_lo, s0, v0
	v_add_co_ci_u32_e64 v1, null, s5, v1, vcc_lo
	v_add_co_u32 v2, vcc_lo, s8, v2
	v_add_co_ci_u32_e64 v3, null, s9, v3, vcc_lo
	s_mov_b32 s5, s1
	s_lshl_b64 s[8:9], s[4:5], 2
	.p2align	6
.LBB1835_18:                            ; =>This Inner Loop Header: Depth=1
	global_load_dword v6, v[0:1], off
	v_add_co_u32 v4, vcc_lo, v4, s4
	v_add_co_ci_u32_e64 v5, null, 0, v5, vcc_lo
	v_add_co_u32 v0, vcc_lo, v0, s6
	v_add_co_ci_u32_e64 v1, null, s7, v1, vcc_lo
	v_cmp_le_u64_e32 vcc_lo, s[2:3], v[4:5]
	s_or_b32 s1, vcc_lo, s1
	s_waitcnt vmcnt(0)
	global_store_dword v[2:3], v6, off
	v_add_co_u32 v2, s0, v2, s8
	v_add_co_ci_u32_e64 v3, null, s9, v3, s0
	s_andn2_b32 exec_lo, exec_lo, s1
	s_cbranch_execnz .LBB1835_18
.LBB1835_19:
	s_endpgm
	.section	.rodata,"a",@progbits
	.p2align	6, 0x0
	.amdhsa_kernel _ZN7rocprim17ROCPRIM_400000_NS6detail30init_device_scan_by_key_kernelINS1_19lookback_scan_stateINS0_5tupleIJjbEEELb1ELb1EEEN6thrust23THRUST_200600_302600_NS6detail15normal_iteratorINS8_10device_ptrIjEEEEjNS1_16block_id_wrapperIjLb1EEEEEvT_jjPNSG_10value_typeET0_PNSt15iterator_traitsISJ_E10value_typeEmT1_T2_
		.amdhsa_group_segment_fixed_size 0
		.amdhsa_private_segment_fixed_size 0
		.amdhsa_kernarg_size 320
		.amdhsa_user_sgpr_count 6
		.amdhsa_user_sgpr_private_segment_buffer 1
		.amdhsa_user_sgpr_dispatch_ptr 0
		.amdhsa_user_sgpr_queue_ptr 0
		.amdhsa_user_sgpr_kernarg_segment_ptr 1
		.amdhsa_user_sgpr_dispatch_id 0
		.amdhsa_user_sgpr_flat_scratch_init 0
		.amdhsa_user_sgpr_private_segment_size 0
		.amdhsa_wavefront_size32 1
		.amdhsa_uses_dynamic_stack 0
		.amdhsa_system_sgpr_private_segment_wavefront_offset 0
		.amdhsa_system_sgpr_workgroup_id_x 1
		.amdhsa_system_sgpr_workgroup_id_y 0
		.amdhsa_system_sgpr_workgroup_id_z 0
		.amdhsa_system_sgpr_workgroup_info 0
		.amdhsa_system_vgpr_workitem_id 0
		.amdhsa_next_free_vgpr 9
		.amdhsa_next_free_sgpr 17
		.amdhsa_reserve_vcc 1
		.amdhsa_reserve_flat_scratch 0
		.amdhsa_float_round_mode_32 0
		.amdhsa_float_round_mode_16_64 0
		.amdhsa_float_denorm_mode_32 3
		.amdhsa_float_denorm_mode_16_64 3
		.amdhsa_dx10_clamp 1
		.amdhsa_ieee_mode 1
		.amdhsa_fp16_overflow 0
		.amdhsa_workgroup_processor_mode 1
		.amdhsa_memory_ordered 1
		.amdhsa_forward_progress 1
		.amdhsa_shared_vgpr_count 0
		.amdhsa_exception_fp_ieee_invalid_op 0
		.amdhsa_exception_fp_denorm_src 0
		.amdhsa_exception_fp_ieee_div_zero 0
		.amdhsa_exception_fp_ieee_overflow 0
		.amdhsa_exception_fp_ieee_underflow 0
		.amdhsa_exception_fp_ieee_inexact 0
		.amdhsa_exception_int_div_zero 0
	.end_amdhsa_kernel
	.section	.text._ZN7rocprim17ROCPRIM_400000_NS6detail30init_device_scan_by_key_kernelINS1_19lookback_scan_stateINS0_5tupleIJjbEEELb1ELb1EEEN6thrust23THRUST_200600_302600_NS6detail15normal_iteratorINS8_10device_ptrIjEEEEjNS1_16block_id_wrapperIjLb1EEEEEvT_jjPNSG_10value_typeET0_PNSt15iterator_traitsISJ_E10value_typeEmT1_T2_,"axG",@progbits,_ZN7rocprim17ROCPRIM_400000_NS6detail30init_device_scan_by_key_kernelINS1_19lookback_scan_stateINS0_5tupleIJjbEEELb1ELb1EEEN6thrust23THRUST_200600_302600_NS6detail15normal_iteratorINS8_10device_ptrIjEEEEjNS1_16block_id_wrapperIjLb1EEEEEvT_jjPNSG_10value_typeET0_PNSt15iterator_traitsISJ_E10value_typeEmT1_T2_,comdat
.Lfunc_end1835:
	.size	_ZN7rocprim17ROCPRIM_400000_NS6detail30init_device_scan_by_key_kernelINS1_19lookback_scan_stateINS0_5tupleIJjbEEELb1ELb1EEEN6thrust23THRUST_200600_302600_NS6detail15normal_iteratorINS8_10device_ptrIjEEEEjNS1_16block_id_wrapperIjLb1EEEEEvT_jjPNSG_10value_typeET0_PNSt15iterator_traitsISJ_E10value_typeEmT1_T2_, .Lfunc_end1835-_ZN7rocprim17ROCPRIM_400000_NS6detail30init_device_scan_by_key_kernelINS1_19lookback_scan_stateINS0_5tupleIJjbEEELb1ELb1EEEN6thrust23THRUST_200600_302600_NS6detail15normal_iteratorINS8_10device_ptrIjEEEEjNS1_16block_id_wrapperIjLb1EEEEEvT_jjPNSG_10value_typeET0_PNSt15iterator_traitsISJ_E10value_typeEmT1_T2_
                                        ; -- End function
	.set _ZN7rocprim17ROCPRIM_400000_NS6detail30init_device_scan_by_key_kernelINS1_19lookback_scan_stateINS0_5tupleIJjbEEELb1ELb1EEEN6thrust23THRUST_200600_302600_NS6detail15normal_iteratorINS8_10device_ptrIjEEEEjNS1_16block_id_wrapperIjLb1EEEEEvT_jjPNSG_10value_typeET0_PNSt15iterator_traitsISJ_E10value_typeEmT1_T2_.num_vgpr, 9
	.set _ZN7rocprim17ROCPRIM_400000_NS6detail30init_device_scan_by_key_kernelINS1_19lookback_scan_stateINS0_5tupleIJjbEEELb1ELb1EEEN6thrust23THRUST_200600_302600_NS6detail15normal_iteratorINS8_10device_ptrIjEEEEjNS1_16block_id_wrapperIjLb1EEEEEvT_jjPNSG_10value_typeET0_PNSt15iterator_traitsISJ_E10value_typeEmT1_T2_.num_agpr, 0
	.set _ZN7rocprim17ROCPRIM_400000_NS6detail30init_device_scan_by_key_kernelINS1_19lookback_scan_stateINS0_5tupleIJjbEEELb1ELb1EEEN6thrust23THRUST_200600_302600_NS6detail15normal_iteratorINS8_10device_ptrIjEEEEjNS1_16block_id_wrapperIjLb1EEEEEvT_jjPNSG_10value_typeET0_PNSt15iterator_traitsISJ_E10value_typeEmT1_T2_.numbered_sgpr, 17
	.set _ZN7rocprim17ROCPRIM_400000_NS6detail30init_device_scan_by_key_kernelINS1_19lookback_scan_stateINS0_5tupleIJjbEEELb1ELb1EEEN6thrust23THRUST_200600_302600_NS6detail15normal_iteratorINS8_10device_ptrIjEEEEjNS1_16block_id_wrapperIjLb1EEEEEvT_jjPNSG_10value_typeET0_PNSt15iterator_traitsISJ_E10value_typeEmT1_T2_.num_named_barrier, 0
	.set _ZN7rocprim17ROCPRIM_400000_NS6detail30init_device_scan_by_key_kernelINS1_19lookback_scan_stateINS0_5tupleIJjbEEELb1ELb1EEEN6thrust23THRUST_200600_302600_NS6detail15normal_iteratorINS8_10device_ptrIjEEEEjNS1_16block_id_wrapperIjLb1EEEEEvT_jjPNSG_10value_typeET0_PNSt15iterator_traitsISJ_E10value_typeEmT1_T2_.private_seg_size, 0
	.set _ZN7rocprim17ROCPRIM_400000_NS6detail30init_device_scan_by_key_kernelINS1_19lookback_scan_stateINS0_5tupleIJjbEEELb1ELb1EEEN6thrust23THRUST_200600_302600_NS6detail15normal_iteratorINS8_10device_ptrIjEEEEjNS1_16block_id_wrapperIjLb1EEEEEvT_jjPNSG_10value_typeET0_PNSt15iterator_traitsISJ_E10value_typeEmT1_T2_.uses_vcc, 1
	.set _ZN7rocprim17ROCPRIM_400000_NS6detail30init_device_scan_by_key_kernelINS1_19lookback_scan_stateINS0_5tupleIJjbEEELb1ELb1EEEN6thrust23THRUST_200600_302600_NS6detail15normal_iteratorINS8_10device_ptrIjEEEEjNS1_16block_id_wrapperIjLb1EEEEEvT_jjPNSG_10value_typeET0_PNSt15iterator_traitsISJ_E10value_typeEmT1_T2_.uses_flat_scratch, 0
	.set _ZN7rocprim17ROCPRIM_400000_NS6detail30init_device_scan_by_key_kernelINS1_19lookback_scan_stateINS0_5tupleIJjbEEELb1ELb1EEEN6thrust23THRUST_200600_302600_NS6detail15normal_iteratorINS8_10device_ptrIjEEEEjNS1_16block_id_wrapperIjLb1EEEEEvT_jjPNSG_10value_typeET0_PNSt15iterator_traitsISJ_E10value_typeEmT1_T2_.has_dyn_sized_stack, 0
	.set _ZN7rocprim17ROCPRIM_400000_NS6detail30init_device_scan_by_key_kernelINS1_19lookback_scan_stateINS0_5tupleIJjbEEELb1ELb1EEEN6thrust23THRUST_200600_302600_NS6detail15normal_iteratorINS8_10device_ptrIjEEEEjNS1_16block_id_wrapperIjLb1EEEEEvT_jjPNSG_10value_typeET0_PNSt15iterator_traitsISJ_E10value_typeEmT1_T2_.has_recursion, 0
	.set _ZN7rocprim17ROCPRIM_400000_NS6detail30init_device_scan_by_key_kernelINS1_19lookback_scan_stateINS0_5tupleIJjbEEELb1ELb1EEEN6thrust23THRUST_200600_302600_NS6detail15normal_iteratorINS8_10device_ptrIjEEEEjNS1_16block_id_wrapperIjLb1EEEEEvT_jjPNSG_10value_typeET0_PNSt15iterator_traitsISJ_E10value_typeEmT1_T2_.has_indirect_call, 0
	.section	.AMDGPU.csdata,"",@progbits
; Kernel info:
; codeLenInByte = 792
; TotalNumSgprs: 19
; NumVgprs: 9
; ScratchSize: 0
; MemoryBound: 0
; FloatMode: 240
; IeeeMode: 1
; LDSByteSize: 0 bytes/workgroup (compile time only)
; SGPRBlocks: 0
; VGPRBlocks: 1
; NumSGPRsForWavesPerEU: 19
; NumVGPRsForWavesPerEU: 9
; Occupancy: 16
; WaveLimiterHint : 0
; COMPUTE_PGM_RSRC2:SCRATCH_EN: 0
; COMPUTE_PGM_RSRC2:USER_SGPR: 6
; COMPUTE_PGM_RSRC2:TRAP_HANDLER: 0
; COMPUTE_PGM_RSRC2:TGID_X_EN: 1
; COMPUTE_PGM_RSRC2:TGID_Y_EN: 0
; COMPUTE_PGM_RSRC2:TGID_Z_EN: 0
; COMPUTE_PGM_RSRC2:TIDIG_COMP_CNT: 0
	.section	.text._ZN7rocprim17ROCPRIM_400000_NS6detail17trampoline_kernelINS0_14default_configENS1_27scan_by_key_config_selectorIjjEEZZNS1_16scan_by_key_implILNS1_25lookback_scan_determinismE0ELb0ES3_N6thrust23THRUST_200600_302600_NS6detail15normal_iteratorINS9_10device_ptrIjEEEESE_SE_jNS9_4plusIvEENS9_8equal_toIvEEjEE10hipError_tPvRmT2_T3_T4_T5_mT6_T7_P12ihipStream_tbENKUlT_T0_E_clISt17integral_constantIbLb1EESZ_EEDaSU_SV_EUlSU_E_NS1_11comp_targetILNS1_3genE0ELNS1_11target_archE4294967295ELNS1_3gpuE0ELNS1_3repE0EEENS1_30default_config_static_selectorELNS0_4arch9wavefront6targetE0EEEvT1_,"axG",@progbits,_ZN7rocprim17ROCPRIM_400000_NS6detail17trampoline_kernelINS0_14default_configENS1_27scan_by_key_config_selectorIjjEEZZNS1_16scan_by_key_implILNS1_25lookback_scan_determinismE0ELb0ES3_N6thrust23THRUST_200600_302600_NS6detail15normal_iteratorINS9_10device_ptrIjEEEESE_SE_jNS9_4plusIvEENS9_8equal_toIvEEjEE10hipError_tPvRmT2_T3_T4_T5_mT6_T7_P12ihipStream_tbENKUlT_T0_E_clISt17integral_constantIbLb1EESZ_EEDaSU_SV_EUlSU_E_NS1_11comp_targetILNS1_3genE0ELNS1_11target_archE4294967295ELNS1_3gpuE0ELNS1_3repE0EEENS1_30default_config_static_selectorELNS0_4arch9wavefront6targetE0EEEvT1_,comdat
	.protected	_ZN7rocprim17ROCPRIM_400000_NS6detail17trampoline_kernelINS0_14default_configENS1_27scan_by_key_config_selectorIjjEEZZNS1_16scan_by_key_implILNS1_25lookback_scan_determinismE0ELb0ES3_N6thrust23THRUST_200600_302600_NS6detail15normal_iteratorINS9_10device_ptrIjEEEESE_SE_jNS9_4plusIvEENS9_8equal_toIvEEjEE10hipError_tPvRmT2_T3_T4_T5_mT6_T7_P12ihipStream_tbENKUlT_T0_E_clISt17integral_constantIbLb1EESZ_EEDaSU_SV_EUlSU_E_NS1_11comp_targetILNS1_3genE0ELNS1_11target_archE4294967295ELNS1_3gpuE0ELNS1_3repE0EEENS1_30default_config_static_selectorELNS0_4arch9wavefront6targetE0EEEvT1_ ; -- Begin function _ZN7rocprim17ROCPRIM_400000_NS6detail17trampoline_kernelINS0_14default_configENS1_27scan_by_key_config_selectorIjjEEZZNS1_16scan_by_key_implILNS1_25lookback_scan_determinismE0ELb0ES3_N6thrust23THRUST_200600_302600_NS6detail15normal_iteratorINS9_10device_ptrIjEEEESE_SE_jNS9_4plusIvEENS9_8equal_toIvEEjEE10hipError_tPvRmT2_T3_T4_T5_mT6_T7_P12ihipStream_tbENKUlT_T0_E_clISt17integral_constantIbLb1EESZ_EEDaSU_SV_EUlSU_E_NS1_11comp_targetILNS1_3genE0ELNS1_11target_archE4294967295ELNS1_3gpuE0ELNS1_3repE0EEENS1_30default_config_static_selectorELNS0_4arch9wavefront6targetE0EEEvT1_
	.globl	_ZN7rocprim17ROCPRIM_400000_NS6detail17trampoline_kernelINS0_14default_configENS1_27scan_by_key_config_selectorIjjEEZZNS1_16scan_by_key_implILNS1_25lookback_scan_determinismE0ELb0ES3_N6thrust23THRUST_200600_302600_NS6detail15normal_iteratorINS9_10device_ptrIjEEEESE_SE_jNS9_4plusIvEENS9_8equal_toIvEEjEE10hipError_tPvRmT2_T3_T4_T5_mT6_T7_P12ihipStream_tbENKUlT_T0_E_clISt17integral_constantIbLb1EESZ_EEDaSU_SV_EUlSU_E_NS1_11comp_targetILNS1_3genE0ELNS1_11target_archE4294967295ELNS1_3gpuE0ELNS1_3repE0EEENS1_30default_config_static_selectorELNS0_4arch9wavefront6targetE0EEEvT1_
	.p2align	8
	.type	_ZN7rocprim17ROCPRIM_400000_NS6detail17trampoline_kernelINS0_14default_configENS1_27scan_by_key_config_selectorIjjEEZZNS1_16scan_by_key_implILNS1_25lookback_scan_determinismE0ELb0ES3_N6thrust23THRUST_200600_302600_NS6detail15normal_iteratorINS9_10device_ptrIjEEEESE_SE_jNS9_4plusIvEENS9_8equal_toIvEEjEE10hipError_tPvRmT2_T3_T4_T5_mT6_T7_P12ihipStream_tbENKUlT_T0_E_clISt17integral_constantIbLb1EESZ_EEDaSU_SV_EUlSU_E_NS1_11comp_targetILNS1_3genE0ELNS1_11target_archE4294967295ELNS1_3gpuE0ELNS1_3repE0EEENS1_30default_config_static_selectorELNS0_4arch9wavefront6targetE0EEEvT1_,@function
_ZN7rocprim17ROCPRIM_400000_NS6detail17trampoline_kernelINS0_14default_configENS1_27scan_by_key_config_selectorIjjEEZZNS1_16scan_by_key_implILNS1_25lookback_scan_determinismE0ELb0ES3_N6thrust23THRUST_200600_302600_NS6detail15normal_iteratorINS9_10device_ptrIjEEEESE_SE_jNS9_4plusIvEENS9_8equal_toIvEEjEE10hipError_tPvRmT2_T3_T4_T5_mT6_T7_P12ihipStream_tbENKUlT_T0_E_clISt17integral_constantIbLb1EESZ_EEDaSU_SV_EUlSU_E_NS1_11comp_targetILNS1_3genE0ELNS1_11target_archE4294967295ELNS1_3gpuE0ELNS1_3repE0EEENS1_30default_config_static_selectorELNS0_4arch9wavefront6targetE0EEEvT1_: ; @_ZN7rocprim17ROCPRIM_400000_NS6detail17trampoline_kernelINS0_14default_configENS1_27scan_by_key_config_selectorIjjEEZZNS1_16scan_by_key_implILNS1_25lookback_scan_determinismE0ELb0ES3_N6thrust23THRUST_200600_302600_NS6detail15normal_iteratorINS9_10device_ptrIjEEEESE_SE_jNS9_4plusIvEENS9_8equal_toIvEEjEE10hipError_tPvRmT2_T3_T4_T5_mT6_T7_P12ihipStream_tbENKUlT_T0_E_clISt17integral_constantIbLb1EESZ_EEDaSU_SV_EUlSU_E_NS1_11comp_targetILNS1_3genE0ELNS1_11target_archE4294967295ELNS1_3gpuE0ELNS1_3repE0EEENS1_30default_config_static_selectorELNS0_4arch9wavefront6targetE0EEEvT1_
; %bb.0:
	.section	.rodata,"a",@progbits
	.p2align	6, 0x0
	.amdhsa_kernel _ZN7rocprim17ROCPRIM_400000_NS6detail17trampoline_kernelINS0_14default_configENS1_27scan_by_key_config_selectorIjjEEZZNS1_16scan_by_key_implILNS1_25lookback_scan_determinismE0ELb0ES3_N6thrust23THRUST_200600_302600_NS6detail15normal_iteratorINS9_10device_ptrIjEEEESE_SE_jNS9_4plusIvEENS9_8equal_toIvEEjEE10hipError_tPvRmT2_T3_T4_T5_mT6_T7_P12ihipStream_tbENKUlT_T0_E_clISt17integral_constantIbLb1EESZ_EEDaSU_SV_EUlSU_E_NS1_11comp_targetILNS1_3genE0ELNS1_11target_archE4294967295ELNS1_3gpuE0ELNS1_3repE0EEENS1_30default_config_static_selectorELNS0_4arch9wavefront6targetE0EEEvT1_
		.amdhsa_group_segment_fixed_size 0
		.amdhsa_private_segment_fixed_size 0
		.amdhsa_kernarg_size 112
		.amdhsa_user_sgpr_count 6
		.amdhsa_user_sgpr_private_segment_buffer 1
		.amdhsa_user_sgpr_dispatch_ptr 0
		.amdhsa_user_sgpr_queue_ptr 0
		.amdhsa_user_sgpr_kernarg_segment_ptr 1
		.amdhsa_user_sgpr_dispatch_id 0
		.amdhsa_user_sgpr_flat_scratch_init 0
		.amdhsa_user_sgpr_private_segment_size 0
		.amdhsa_wavefront_size32 1
		.amdhsa_uses_dynamic_stack 0
		.amdhsa_system_sgpr_private_segment_wavefront_offset 0
		.amdhsa_system_sgpr_workgroup_id_x 1
		.amdhsa_system_sgpr_workgroup_id_y 0
		.amdhsa_system_sgpr_workgroup_id_z 0
		.amdhsa_system_sgpr_workgroup_info 0
		.amdhsa_system_vgpr_workitem_id 0
		.amdhsa_next_free_vgpr 1
		.amdhsa_next_free_sgpr 1
		.amdhsa_reserve_vcc 0
		.amdhsa_reserve_flat_scratch 0
		.amdhsa_float_round_mode_32 0
		.amdhsa_float_round_mode_16_64 0
		.amdhsa_float_denorm_mode_32 3
		.amdhsa_float_denorm_mode_16_64 3
		.amdhsa_dx10_clamp 1
		.amdhsa_ieee_mode 1
		.amdhsa_fp16_overflow 0
		.amdhsa_workgroup_processor_mode 1
		.amdhsa_memory_ordered 1
		.amdhsa_forward_progress 1
		.amdhsa_shared_vgpr_count 0
		.amdhsa_exception_fp_ieee_invalid_op 0
		.amdhsa_exception_fp_denorm_src 0
		.amdhsa_exception_fp_ieee_div_zero 0
		.amdhsa_exception_fp_ieee_overflow 0
		.amdhsa_exception_fp_ieee_underflow 0
		.amdhsa_exception_fp_ieee_inexact 0
		.amdhsa_exception_int_div_zero 0
	.end_amdhsa_kernel
	.section	.text._ZN7rocprim17ROCPRIM_400000_NS6detail17trampoline_kernelINS0_14default_configENS1_27scan_by_key_config_selectorIjjEEZZNS1_16scan_by_key_implILNS1_25lookback_scan_determinismE0ELb0ES3_N6thrust23THRUST_200600_302600_NS6detail15normal_iteratorINS9_10device_ptrIjEEEESE_SE_jNS9_4plusIvEENS9_8equal_toIvEEjEE10hipError_tPvRmT2_T3_T4_T5_mT6_T7_P12ihipStream_tbENKUlT_T0_E_clISt17integral_constantIbLb1EESZ_EEDaSU_SV_EUlSU_E_NS1_11comp_targetILNS1_3genE0ELNS1_11target_archE4294967295ELNS1_3gpuE0ELNS1_3repE0EEENS1_30default_config_static_selectorELNS0_4arch9wavefront6targetE0EEEvT1_,"axG",@progbits,_ZN7rocprim17ROCPRIM_400000_NS6detail17trampoline_kernelINS0_14default_configENS1_27scan_by_key_config_selectorIjjEEZZNS1_16scan_by_key_implILNS1_25lookback_scan_determinismE0ELb0ES3_N6thrust23THRUST_200600_302600_NS6detail15normal_iteratorINS9_10device_ptrIjEEEESE_SE_jNS9_4plusIvEENS9_8equal_toIvEEjEE10hipError_tPvRmT2_T3_T4_T5_mT6_T7_P12ihipStream_tbENKUlT_T0_E_clISt17integral_constantIbLb1EESZ_EEDaSU_SV_EUlSU_E_NS1_11comp_targetILNS1_3genE0ELNS1_11target_archE4294967295ELNS1_3gpuE0ELNS1_3repE0EEENS1_30default_config_static_selectorELNS0_4arch9wavefront6targetE0EEEvT1_,comdat
.Lfunc_end1836:
	.size	_ZN7rocprim17ROCPRIM_400000_NS6detail17trampoline_kernelINS0_14default_configENS1_27scan_by_key_config_selectorIjjEEZZNS1_16scan_by_key_implILNS1_25lookback_scan_determinismE0ELb0ES3_N6thrust23THRUST_200600_302600_NS6detail15normal_iteratorINS9_10device_ptrIjEEEESE_SE_jNS9_4plusIvEENS9_8equal_toIvEEjEE10hipError_tPvRmT2_T3_T4_T5_mT6_T7_P12ihipStream_tbENKUlT_T0_E_clISt17integral_constantIbLb1EESZ_EEDaSU_SV_EUlSU_E_NS1_11comp_targetILNS1_3genE0ELNS1_11target_archE4294967295ELNS1_3gpuE0ELNS1_3repE0EEENS1_30default_config_static_selectorELNS0_4arch9wavefront6targetE0EEEvT1_, .Lfunc_end1836-_ZN7rocprim17ROCPRIM_400000_NS6detail17trampoline_kernelINS0_14default_configENS1_27scan_by_key_config_selectorIjjEEZZNS1_16scan_by_key_implILNS1_25lookback_scan_determinismE0ELb0ES3_N6thrust23THRUST_200600_302600_NS6detail15normal_iteratorINS9_10device_ptrIjEEEESE_SE_jNS9_4plusIvEENS9_8equal_toIvEEjEE10hipError_tPvRmT2_T3_T4_T5_mT6_T7_P12ihipStream_tbENKUlT_T0_E_clISt17integral_constantIbLb1EESZ_EEDaSU_SV_EUlSU_E_NS1_11comp_targetILNS1_3genE0ELNS1_11target_archE4294967295ELNS1_3gpuE0ELNS1_3repE0EEENS1_30default_config_static_selectorELNS0_4arch9wavefront6targetE0EEEvT1_
                                        ; -- End function
	.set _ZN7rocprim17ROCPRIM_400000_NS6detail17trampoline_kernelINS0_14default_configENS1_27scan_by_key_config_selectorIjjEEZZNS1_16scan_by_key_implILNS1_25lookback_scan_determinismE0ELb0ES3_N6thrust23THRUST_200600_302600_NS6detail15normal_iteratorINS9_10device_ptrIjEEEESE_SE_jNS9_4plusIvEENS9_8equal_toIvEEjEE10hipError_tPvRmT2_T3_T4_T5_mT6_T7_P12ihipStream_tbENKUlT_T0_E_clISt17integral_constantIbLb1EESZ_EEDaSU_SV_EUlSU_E_NS1_11comp_targetILNS1_3genE0ELNS1_11target_archE4294967295ELNS1_3gpuE0ELNS1_3repE0EEENS1_30default_config_static_selectorELNS0_4arch9wavefront6targetE0EEEvT1_.num_vgpr, 0
	.set _ZN7rocprim17ROCPRIM_400000_NS6detail17trampoline_kernelINS0_14default_configENS1_27scan_by_key_config_selectorIjjEEZZNS1_16scan_by_key_implILNS1_25lookback_scan_determinismE0ELb0ES3_N6thrust23THRUST_200600_302600_NS6detail15normal_iteratorINS9_10device_ptrIjEEEESE_SE_jNS9_4plusIvEENS9_8equal_toIvEEjEE10hipError_tPvRmT2_T3_T4_T5_mT6_T7_P12ihipStream_tbENKUlT_T0_E_clISt17integral_constantIbLb1EESZ_EEDaSU_SV_EUlSU_E_NS1_11comp_targetILNS1_3genE0ELNS1_11target_archE4294967295ELNS1_3gpuE0ELNS1_3repE0EEENS1_30default_config_static_selectorELNS0_4arch9wavefront6targetE0EEEvT1_.num_agpr, 0
	.set _ZN7rocprim17ROCPRIM_400000_NS6detail17trampoline_kernelINS0_14default_configENS1_27scan_by_key_config_selectorIjjEEZZNS1_16scan_by_key_implILNS1_25lookback_scan_determinismE0ELb0ES3_N6thrust23THRUST_200600_302600_NS6detail15normal_iteratorINS9_10device_ptrIjEEEESE_SE_jNS9_4plusIvEENS9_8equal_toIvEEjEE10hipError_tPvRmT2_T3_T4_T5_mT6_T7_P12ihipStream_tbENKUlT_T0_E_clISt17integral_constantIbLb1EESZ_EEDaSU_SV_EUlSU_E_NS1_11comp_targetILNS1_3genE0ELNS1_11target_archE4294967295ELNS1_3gpuE0ELNS1_3repE0EEENS1_30default_config_static_selectorELNS0_4arch9wavefront6targetE0EEEvT1_.numbered_sgpr, 0
	.set _ZN7rocprim17ROCPRIM_400000_NS6detail17trampoline_kernelINS0_14default_configENS1_27scan_by_key_config_selectorIjjEEZZNS1_16scan_by_key_implILNS1_25lookback_scan_determinismE0ELb0ES3_N6thrust23THRUST_200600_302600_NS6detail15normal_iteratorINS9_10device_ptrIjEEEESE_SE_jNS9_4plusIvEENS9_8equal_toIvEEjEE10hipError_tPvRmT2_T3_T4_T5_mT6_T7_P12ihipStream_tbENKUlT_T0_E_clISt17integral_constantIbLb1EESZ_EEDaSU_SV_EUlSU_E_NS1_11comp_targetILNS1_3genE0ELNS1_11target_archE4294967295ELNS1_3gpuE0ELNS1_3repE0EEENS1_30default_config_static_selectorELNS0_4arch9wavefront6targetE0EEEvT1_.num_named_barrier, 0
	.set _ZN7rocprim17ROCPRIM_400000_NS6detail17trampoline_kernelINS0_14default_configENS1_27scan_by_key_config_selectorIjjEEZZNS1_16scan_by_key_implILNS1_25lookback_scan_determinismE0ELb0ES3_N6thrust23THRUST_200600_302600_NS6detail15normal_iteratorINS9_10device_ptrIjEEEESE_SE_jNS9_4plusIvEENS9_8equal_toIvEEjEE10hipError_tPvRmT2_T3_T4_T5_mT6_T7_P12ihipStream_tbENKUlT_T0_E_clISt17integral_constantIbLb1EESZ_EEDaSU_SV_EUlSU_E_NS1_11comp_targetILNS1_3genE0ELNS1_11target_archE4294967295ELNS1_3gpuE0ELNS1_3repE0EEENS1_30default_config_static_selectorELNS0_4arch9wavefront6targetE0EEEvT1_.private_seg_size, 0
	.set _ZN7rocprim17ROCPRIM_400000_NS6detail17trampoline_kernelINS0_14default_configENS1_27scan_by_key_config_selectorIjjEEZZNS1_16scan_by_key_implILNS1_25lookback_scan_determinismE0ELb0ES3_N6thrust23THRUST_200600_302600_NS6detail15normal_iteratorINS9_10device_ptrIjEEEESE_SE_jNS9_4plusIvEENS9_8equal_toIvEEjEE10hipError_tPvRmT2_T3_T4_T5_mT6_T7_P12ihipStream_tbENKUlT_T0_E_clISt17integral_constantIbLb1EESZ_EEDaSU_SV_EUlSU_E_NS1_11comp_targetILNS1_3genE0ELNS1_11target_archE4294967295ELNS1_3gpuE0ELNS1_3repE0EEENS1_30default_config_static_selectorELNS0_4arch9wavefront6targetE0EEEvT1_.uses_vcc, 0
	.set _ZN7rocprim17ROCPRIM_400000_NS6detail17trampoline_kernelINS0_14default_configENS1_27scan_by_key_config_selectorIjjEEZZNS1_16scan_by_key_implILNS1_25lookback_scan_determinismE0ELb0ES3_N6thrust23THRUST_200600_302600_NS6detail15normal_iteratorINS9_10device_ptrIjEEEESE_SE_jNS9_4plusIvEENS9_8equal_toIvEEjEE10hipError_tPvRmT2_T3_T4_T5_mT6_T7_P12ihipStream_tbENKUlT_T0_E_clISt17integral_constantIbLb1EESZ_EEDaSU_SV_EUlSU_E_NS1_11comp_targetILNS1_3genE0ELNS1_11target_archE4294967295ELNS1_3gpuE0ELNS1_3repE0EEENS1_30default_config_static_selectorELNS0_4arch9wavefront6targetE0EEEvT1_.uses_flat_scratch, 0
	.set _ZN7rocprim17ROCPRIM_400000_NS6detail17trampoline_kernelINS0_14default_configENS1_27scan_by_key_config_selectorIjjEEZZNS1_16scan_by_key_implILNS1_25lookback_scan_determinismE0ELb0ES3_N6thrust23THRUST_200600_302600_NS6detail15normal_iteratorINS9_10device_ptrIjEEEESE_SE_jNS9_4plusIvEENS9_8equal_toIvEEjEE10hipError_tPvRmT2_T3_T4_T5_mT6_T7_P12ihipStream_tbENKUlT_T0_E_clISt17integral_constantIbLb1EESZ_EEDaSU_SV_EUlSU_E_NS1_11comp_targetILNS1_3genE0ELNS1_11target_archE4294967295ELNS1_3gpuE0ELNS1_3repE0EEENS1_30default_config_static_selectorELNS0_4arch9wavefront6targetE0EEEvT1_.has_dyn_sized_stack, 0
	.set _ZN7rocprim17ROCPRIM_400000_NS6detail17trampoline_kernelINS0_14default_configENS1_27scan_by_key_config_selectorIjjEEZZNS1_16scan_by_key_implILNS1_25lookback_scan_determinismE0ELb0ES3_N6thrust23THRUST_200600_302600_NS6detail15normal_iteratorINS9_10device_ptrIjEEEESE_SE_jNS9_4plusIvEENS9_8equal_toIvEEjEE10hipError_tPvRmT2_T3_T4_T5_mT6_T7_P12ihipStream_tbENKUlT_T0_E_clISt17integral_constantIbLb1EESZ_EEDaSU_SV_EUlSU_E_NS1_11comp_targetILNS1_3genE0ELNS1_11target_archE4294967295ELNS1_3gpuE0ELNS1_3repE0EEENS1_30default_config_static_selectorELNS0_4arch9wavefront6targetE0EEEvT1_.has_recursion, 0
	.set _ZN7rocprim17ROCPRIM_400000_NS6detail17trampoline_kernelINS0_14default_configENS1_27scan_by_key_config_selectorIjjEEZZNS1_16scan_by_key_implILNS1_25lookback_scan_determinismE0ELb0ES3_N6thrust23THRUST_200600_302600_NS6detail15normal_iteratorINS9_10device_ptrIjEEEESE_SE_jNS9_4plusIvEENS9_8equal_toIvEEjEE10hipError_tPvRmT2_T3_T4_T5_mT6_T7_P12ihipStream_tbENKUlT_T0_E_clISt17integral_constantIbLb1EESZ_EEDaSU_SV_EUlSU_E_NS1_11comp_targetILNS1_3genE0ELNS1_11target_archE4294967295ELNS1_3gpuE0ELNS1_3repE0EEENS1_30default_config_static_selectorELNS0_4arch9wavefront6targetE0EEEvT1_.has_indirect_call, 0
	.section	.AMDGPU.csdata,"",@progbits
; Kernel info:
; codeLenInByte = 0
; TotalNumSgprs: 0
; NumVgprs: 0
; ScratchSize: 0
; MemoryBound: 0
; FloatMode: 240
; IeeeMode: 1
; LDSByteSize: 0 bytes/workgroup (compile time only)
; SGPRBlocks: 0
; VGPRBlocks: 0
; NumSGPRsForWavesPerEU: 1
; NumVGPRsForWavesPerEU: 1
; Occupancy: 16
; WaveLimiterHint : 0
; COMPUTE_PGM_RSRC2:SCRATCH_EN: 0
; COMPUTE_PGM_RSRC2:USER_SGPR: 6
; COMPUTE_PGM_RSRC2:TRAP_HANDLER: 0
; COMPUTE_PGM_RSRC2:TGID_X_EN: 1
; COMPUTE_PGM_RSRC2:TGID_Y_EN: 0
; COMPUTE_PGM_RSRC2:TGID_Z_EN: 0
; COMPUTE_PGM_RSRC2:TIDIG_COMP_CNT: 0
	.section	.text._ZN7rocprim17ROCPRIM_400000_NS6detail17trampoline_kernelINS0_14default_configENS1_27scan_by_key_config_selectorIjjEEZZNS1_16scan_by_key_implILNS1_25lookback_scan_determinismE0ELb0ES3_N6thrust23THRUST_200600_302600_NS6detail15normal_iteratorINS9_10device_ptrIjEEEESE_SE_jNS9_4plusIvEENS9_8equal_toIvEEjEE10hipError_tPvRmT2_T3_T4_T5_mT6_T7_P12ihipStream_tbENKUlT_T0_E_clISt17integral_constantIbLb1EESZ_EEDaSU_SV_EUlSU_E_NS1_11comp_targetILNS1_3genE10ELNS1_11target_archE1201ELNS1_3gpuE5ELNS1_3repE0EEENS1_30default_config_static_selectorELNS0_4arch9wavefront6targetE0EEEvT1_,"axG",@progbits,_ZN7rocprim17ROCPRIM_400000_NS6detail17trampoline_kernelINS0_14default_configENS1_27scan_by_key_config_selectorIjjEEZZNS1_16scan_by_key_implILNS1_25lookback_scan_determinismE0ELb0ES3_N6thrust23THRUST_200600_302600_NS6detail15normal_iteratorINS9_10device_ptrIjEEEESE_SE_jNS9_4plusIvEENS9_8equal_toIvEEjEE10hipError_tPvRmT2_T3_T4_T5_mT6_T7_P12ihipStream_tbENKUlT_T0_E_clISt17integral_constantIbLb1EESZ_EEDaSU_SV_EUlSU_E_NS1_11comp_targetILNS1_3genE10ELNS1_11target_archE1201ELNS1_3gpuE5ELNS1_3repE0EEENS1_30default_config_static_selectorELNS0_4arch9wavefront6targetE0EEEvT1_,comdat
	.protected	_ZN7rocprim17ROCPRIM_400000_NS6detail17trampoline_kernelINS0_14default_configENS1_27scan_by_key_config_selectorIjjEEZZNS1_16scan_by_key_implILNS1_25lookback_scan_determinismE0ELb0ES3_N6thrust23THRUST_200600_302600_NS6detail15normal_iteratorINS9_10device_ptrIjEEEESE_SE_jNS9_4plusIvEENS9_8equal_toIvEEjEE10hipError_tPvRmT2_T3_T4_T5_mT6_T7_P12ihipStream_tbENKUlT_T0_E_clISt17integral_constantIbLb1EESZ_EEDaSU_SV_EUlSU_E_NS1_11comp_targetILNS1_3genE10ELNS1_11target_archE1201ELNS1_3gpuE5ELNS1_3repE0EEENS1_30default_config_static_selectorELNS0_4arch9wavefront6targetE0EEEvT1_ ; -- Begin function _ZN7rocprim17ROCPRIM_400000_NS6detail17trampoline_kernelINS0_14default_configENS1_27scan_by_key_config_selectorIjjEEZZNS1_16scan_by_key_implILNS1_25lookback_scan_determinismE0ELb0ES3_N6thrust23THRUST_200600_302600_NS6detail15normal_iteratorINS9_10device_ptrIjEEEESE_SE_jNS9_4plusIvEENS9_8equal_toIvEEjEE10hipError_tPvRmT2_T3_T4_T5_mT6_T7_P12ihipStream_tbENKUlT_T0_E_clISt17integral_constantIbLb1EESZ_EEDaSU_SV_EUlSU_E_NS1_11comp_targetILNS1_3genE10ELNS1_11target_archE1201ELNS1_3gpuE5ELNS1_3repE0EEENS1_30default_config_static_selectorELNS0_4arch9wavefront6targetE0EEEvT1_
	.globl	_ZN7rocprim17ROCPRIM_400000_NS6detail17trampoline_kernelINS0_14default_configENS1_27scan_by_key_config_selectorIjjEEZZNS1_16scan_by_key_implILNS1_25lookback_scan_determinismE0ELb0ES3_N6thrust23THRUST_200600_302600_NS6detail15normal_iteratorINS9_10device_ptrIjEEEESE_SE_jNS9_4plusIvEENS9_8equal_toIvEEjEE10hipError_tPvRmT2_T3_T4_T5_mT6_T7_P12ihipStream_tbENKUlT_T0_E_clISt17integral_constantIbLb1EESZ_EEDaSU_SV_EUlSU_E_NS1_11comp_targetILNS1_3genE10ELNS1_11target_archE1201ELNS1_3gpuE5ELNS1_3repE0EEENS1_30default_config_static_selectorELNS0_4arch9wavefront6targetE0EEEvT1_
	.p2align	8
	.type	_ZN7rocprim17ROCPRIM_400000_NS6detail17trampoline_kernelINS0_14default_configENS1_27scan_by_key_config_selectorIjjEEZZNS1_16scan_by_key_implILNS1_25lookback_scan_determinismE0ELb0ES3_N6thrust23THRUST_200600_302600_NS6detail15normal_iteratorINS9_10device_ptrIjEEEESE_SE_jNS9_4plusIvEENS9_8equal_toIvEEjEE10hipError_tPvRmT2_T3_T4_T5_mT6_T7_P12ihipStream_tbENKUlT_T0_E_clISt17integral_constantIbLb1EESZ_EEDaSU_SV_EUlSU_E_NS1_11comp_targetILNS1_3genE10ELNS1_11target_archE1201ELNS1_3gpuE5ELNS1_3repE0EEENS1_30default_config_static_selectorELNS0_4arch9wavefront6targetE0EEEvT1_,@function
_ZN7rocprim17ROCPRIM_400000_NS6detail17trampoline_kernelINS0_14default_configENS1_27scan_by_key_config_selectorIjjEEZZNS1_16scan_by_key_implILNS1_25lookback_scan_determinismE0ELb0ES3_N6thrust23THRUST_200600_302600_NS6detail15normal_iteratorINS9_10device_ptrIjEEEESE_SE_jNS9_4plusIvEENS9_8equal_toIvEEjEE10hipError_tPvRmT2_T3_T4_T5_mT6_T7_P12ihipStream_tbENKUlT_T0_E_clISt17integral_constantIbLb1EESZ_EEDaSU_SV_EUlSU_E_NS1_11comp_targetILNS1_3genE10ELNS1_11target_archE1201ELNS1_3gpuE5ELNS1_3repE0EEENS1_30default_config_static_selectorELNS0_4arch9wavefront6targetE0EEEvT1_: ; @_ZN7rocprim17ROCPRIM_400000_NS6detail17trampoline_kernelINS0_14default_configENS1_27scan_by_key_config_selectorIjjEEZZNS1_16scan_by_key_implILNS1_25lookback_scan_determinismE0ELb0ES3_N6thrust23THRUST_200600_302600_NS6detail15normal_iteratorINS9_10device_ptrIjEEEESE_SE_jNS9_4plusIvEENS9_8equal_toIvEEjEE10hipError_tPvRmT2_T3_T4_T5_mT6_T7_P12ihipStream_tbENKUlT_T0_E_clISt17integral_constantIbLb1EESZ_EEDaSU_SV_EUlSU_E_NS1_11comp_targetILNS1_3genE10ELNS1_11target_archE1201ELNS1_3gpuE5ELNS1_3repE0EEENS1_30default_config_static_selectorELNS0_4arch9wavefront6targetE0EEEvT1_
; %bb.0:
	.section	.rodata,"a",@progbits
	.p2align	6, 0x0
	.amdhsa_kernel _ZN7rocprim17ROCPRIM_400000_NS6detail17trampoline_kernelINS0_14default_configENS1_27scan_by_key_config_selectorIjjEEZZNS1_16scan_by_key_implILNS1_25lookback_scan_determinismE0ELb0ES3_N6thrust23THRUST_200600_302600_NS6detail15normal_iteratorINS9_10device_ptrIjEEEESE_SE_jNS9_4plusIvEENS9_8equal_toIvEEjEE10hipError_tPvRmT2_T3_T4_T5_mT6_T7_P12ihipStream_tbENKUlT_T0_E_clISt17integral_constantIbLb1EESZ_EEDaSU_SV_EUlSU_E_NS1_11comp_targetILNS1_3genE10ELNS1_11target_archE1201ELNS1_3gpuE5ELNS1_3repE0EEENS1_30default_config_static_selectorELNS0_4arch9wavefront6targetE0EEEvT1_
		.amdhsa_group_segment_fixed_size 0
		.amdhsa_private_segment_fixed_size 0
		.amdhsa_kernarg_size 112
		.amdhsa_user_sgpr_count 6
		.amdhsa_user_sgpr_private_segment_buffer 1
		.amdhsa_user_sgpr_dispatch_ptr 0
		.amdhsa_user_sgpr_queue_ptr 0
		.amdhsa_user_sgpr_kernarg_segment_ptr 1
		.amdhsa_user_sgpr_dispatch_id 0
		.amdhsa_user_sgpr_flat_scratch_init 0
		.amdhsa_user_sgpr_private_segment_size 0
		.amdhsa_wavefront_size32 1
		.amdhsa_uses_dynamic_stack 0
		.amdhsa_system_sgpr_private_segment_wavefront_offset 0
		.amdhsa_system_sgpr_workgroup_id_x 1
		.amdhsa_system_sgpr_workgroup_id_y 0
		.amdhsa_system_sgpr_workgroup_id_z 0
		.amdhsa_system_sgpr_workgroup_info 0
		.amdhsa_system_vgpr_workitem_id 0
		.amdhsa_next_free_vgpr 1
		.amdhsa_next_free_sgpr 1
		.amdhsa_reserve_vcc 0
		.amdhsa_reserve_flat_scratch 0
		.amdhsa_float_round_mode_32 0
		.amdhsa_float_round_mode_16_64 0
		.amdhsa_float_denorm_mode_32 3
		.amdhsa_float_denorm_mode_16_64 3
		.amdhsa_dx10_clamp 1
		.amdhsa_ieee_mode 1
		.amdhsa_fp16_overflow 0
		.amdhsa_workgroup_processor_mode 1
		.amdhsa_memory_ordered 1
		.amdhsa_forward_progress 1
		.amdhsa_shared_vgpr_count 0
		.amdhsa_exception_fp_ieee_invalid_op 0
		.amdhsa_exception_fp_denorm_src 0
		.amdhsa_exception_fp_ieee_div_zero 0
		.amdhsa_exception_fp_ieee_overflow 0
		.amdhsa_exception_fp_ieee_underflow 0
		.amdhsa_exception_fp_ieee_inexact 0
		.amdhsa_exception_int_div_zero 0
	.end_amdhsa_kernel
	.section	.text._ZN7rocprim17ROCPRIM_400000_NS6detail17trampoline_kernelINS0_14default_configENS1_27scan_by_key_config_selectorIjjEEZZNS1_16scan_by_key_implILNS1_25lookback_scan_determinismE0ELb0ES3_N6thrust23THRUST_200600_302600_NS6detail15normal_iteratorINS9_10device_ptrIjEEEESE_SE_jNS9_4plusIvEENS9_8equal_toIvEEjEE10hipError_tPvRmT2_T3_T4_T5_mT6_T7_P12ihipStream_tbENKUlT_T0_E_clISt17integral_constantIbLb1EESZ_EEDaSU_SV_EUlSU_E_NS1_11comp_targetILNS1_3genE10ELNS1_11target_archE1201ELNS1_3gpuE5ELNS1_3repE0EEENS1_30default_config_static_selectorELNS0_4arch9wavefront6targetE0EEEvT1_,"axG",@progbits,_ZN7rocprim17ROCPRIM_400000_NS6detail17trampoline_kernelINS0_14default_configENS1_27scan_by_key_config_selectorIjjEEZZNS1_16scan_by_key_implILNS1_25lookback_scan_determinismE0ELb0ES3_N6thrust23THRUST_200600_302600_NS6detail15normal_iteratorINS9_10device_ptrIjEEEESE_SE_jNS9_4plusIvEENS9_8equal_toIvEEjEE10hipError_tPvRmT2_T3_T4_T5_mT6_T7_P12ihipStream_tbENKUlT_T0_E_clISt17integral_constantIbLb1EESZ_EEDaSU_SV_EUlSU_E_NS1_11comp_targetILNS1_3genE10ELNS1_11target_archE1201ELNS1_3gpuE5ELNS1_3repE0EEENS1_30default_config_static_selectorELNS0_4arch9wavefront6targetE0EEEvT1_,comdat
.Lfunc_end1837:
	.size	_ZN7rocprim17ROCPRIM_400000_NS6detail17trampoline_kernelINS0_14default_configENS1_27scan_by_key_config_selectorIjjEEZZNS1_16scan_by_key_implILNS1_25lookback_scan_determinismE0ELb0ES3_N6thrust23THRUST_200600_302600_NS6detail15normal_iteratorINS9_10device_ptrIjEEEESE_SE_jNS9_4plusIvEENS9_8equal_toIvEEjEE10hipError_tPvRmT2_T3_T4_T5_mT6_T7_P12ihipStream_tbENKUlT_T0_E_clISt17integral_constantIbLb1EESZ_EEDaSU_SV_EUlSU_E_NS1_11comp_targetILNS1_3genE10ELNS1_11target_archE1201ELNS1_3gpuE5ELNS1_3repE0EEENS1_30default_config_static_selectorELNS0_4arch9wavefront6targetE0EEEvT1_, .Lfunc_end1837-_ZN7rocprim17ROCPRIM_400000_NS6detail17trampoline_kernelINS0_14default_configENS1_27scan_by_key_config_selectorIjjEEZZNS1_16scan_by_key_implILNS1_25lookback_scan_determinismE0ELb0ES3_N6thrust23THRUST_200600_302600_NS6detail15normal_iteratorINS9_10device_ptrIjEEEESE_SE_jNS9_4plusIvEENS9_8equal_toIvEEjEE10hipError_tPvRmT2_T3_T4_T5_mT6_T7_P12ihipStream_tbENKUlT_T0_E_clISt17integral_constantIbLb1EESZ_EEDaSU_SV_EUlSU_E_NS1_11comp_targetILNS1_3genE10ELNS1_11target_archE1201ELNS1_3gpuE5ELNS1_3repE0EEENS1_30default_config_static_selectorELNS0_4arch9wavefront6targetE0EEEvT1_
                                        ; -- End function
	.set _ZN7rocprim17ROCPRIM_400000_NS6detail17trampoline_kernelINS0_14default_configENS1_27scan_by_key_config_selectorIjjEEZZNS1_16scan_by_key_implILNS1_25lookback_scan_determinismE0ELb0ES3_N6thrust23THRUST_200600_302600_NS6detail15normal_iteratorINS9_10device_ptrIjEEEESE_SE_jNS9_4plusIvEENS9_8equal_toIvEEjEE10hipError_tPvRmT2_T3_T4_T5_mT6_T7_P12ihipStream_tbENKUlT_T0_E_clISt17integral_constantIbLb1EESZ_EEDaSU_SV_EUlSU_E_NS1_11comp_targetILNS1_3genE10ELNS1_11target_archE1201ELNS1_3gpuE5ELNS1_3repE0EEENS1_30default_config_static_selectorELNS0_4arch9wavefront6targetE0EEEvT1_.num_vgpr, 0
	.set _ZN7rocprim17ROCPRIM_400000_NS6detail17trampoline_kernelINS0_14default_configENS1_27scan_by_key_config_selectorIjjEEZZNS1_16scan_by_key_implILNS1_25lookback_scan_determinismE0ELb0ES3_N6thrust23THRUST_200600_302600_NS6detail15normal_iteratorINS9_10device_ptrIjEEEESE_SE_jNS9_4plusIvEENS9_8equal_toIvEEjEE10hipError_tPvRmT2_T3_T4_T5_mT6_T7_P12ihipStream_tbENKUlT_T0_E_clISt17integral_constantIbLb1EESZ_EEDaSU_SV_EUlSU_E_NS1_11comp_targetILNS1_3genE10ELNS1_11target_archE1201ELNS1_3gpuE5ELNS1_3repE0EEENS1_30default_config_static_selectorELNS0_4arch9wavefront6targetE0EEEvT1_.num_agpr, 0
	.set _ZN7rocprim17ROCPRIM_400000_NS6detail17trampoline_kernelINS0_14default_configENS1_27scan_by_key_config_selectorIjjEEZZNS1_16scan_by_key_implILNS1_25lookback_scan_determinismE0ELb0ES3_N6thrust23THRUST_200600_302600_NS6detail15normal_iteratorINS9_10device_ptrIjEEEESE_SE_jNS9_4plusIvEENS9_8equal_toIvEEjEE10hipError_tPvRmT2_T3_T4_T5_mT6_T7_P12ihipStream_tbENKUlT_T0_E_clISt17integral_constantIbLb1EESZ_EEDaSU_SV_EUlSU_E_NS1_11comp_targetILNS1_3genE10ELNS1_11target_archE1201ELNS1_3gpuE5ELNS1_3repE0EEENS1_30default_config_static_selectorELNS0_4arch9wavefront6targetE0EEEvT1_.numbered_sgpr, 0
	.set _ZN7rocprim17ROCPRIM_400000_NS6detail17trampoline_kernelINS0_14default_configENS1_27scan_by_key_config_selectorIjjEEZZNS1_16scan_by_key_implILNS1_25lookback_scan_determinismE0ELb0ES3_N6thrust23THRUST_200600_302600_NS6detail15normal_iteratorINS9_10device_ptrIjEEEESE_SE_jNS9_4plusIvEENS9_8equal_toIvEEjEE10hipError_tPvRmT2_T3_T4_T5_mT6_T7_P12ihipStream_tbENKUlT_T0_E_clISt17integral_constantIbLb1EESZ_EEDaSU_SV_EUlSU_E_NS1_11comp_targetILNS1_3genE10ELNS1_11target_archE1201ELNS1_3gpuE5ELNS1_3repE0EEENS1_30default_config_static_selectorELNS0_4arch9wavefront6targetE0EEEvT1_.num_named_barrier, 0
	.set _ZN7rocprim17ROCPRIM_400000_NS6detail17trampoline_kernelINS0_14default_configENS1_27scan_by_key_config_selectorIjjEEZZNS1_16scan_by_key_implILNS1_25lookback_scan_determinismE0ELb0ES3_N6thrust23THRUST_200600_302600_NS6detail15normal_iteratorINS9_10device_ptrIjEEEESE_SE_jNS9_4plusIvEENS9_8equal_toIvEEjEE10hipError_tPvRmT2_T3_T4_T5_mT6_T7_P12ihipStream_tbENKUlT_T0_E_clISt17integral_constantIbLb1EESZ_EEDaSU_SV_EUlSU_E_NS1_11comp_targetILNS1_3genE10ELNS1_11target_archE1201ELNS1_3gpuE5ELNS1_3repE0EEENS1_30default_config_static_selectorELNS0_4arch9wavefront6targetE0EEEvT1_.private_seg_size, 0
	.set _ZN7rocprim17ROCPRIM_400000_NS6detail17trampoline_kernelINS0_14default_configENS1_27scan_by_key_config_selectorIjjEEZZNS1_16scan_by_key_implILNS1_25lookback_scan_determinismE0ELb0ES3_N6thrust23THRUST_200600_302600_NS6detail15normal_iteratorINS9_10device_ptrIjEEEESE_SE_jNS9_4plusIvEENS9_8equal_toIvEEjEE10hipError_tPvRmT2_T3_T4_T5_mT6_T7_P12ihipStream_tbENKUlT_T0_E_clISt17integral_constantIbLb1EESZ_EEDaSU_SV_EUlSU_E_NS1_11comp_targetILNS1_3genE10ELNS1_11target_archE1201ELNS1_3gpuE5ELNS1_3repE0EEENS1_30default_config_static_selectorELNS0_4arch9wavefront6targetE0EEEvT1_.uses_vcc, 0
	.set _ZN7rocprim17ROCPRIM_400000_NS6detail17trampoline_kernelINS0_14default_configENS1_27scan_by_key_config_selectorIjjEEZZNS1_16scan_by_key_implILNS1_25lookback_scan_determinismE0ELb0ES3_N6thrust23THRUST_200600_302600_NS6detail15normal_iteratorINS9_10device_ptrIjEEEESE_SE_jNS9_4plusIvEENS9_8equal_toIvEEjEE10hipError_tPvRmT2_T3_T4_T5_mT6_T7_P12ihipStream_tbENKUlT_T0_E_clISt17integral_constantIbLb1EESZ_EEDaSU_SV_EUlSU_E_NS1_11comp_targetILNS1_3genE10ELNS1_11target_archE1201ELNS1_3gpuE5ELNS1_3repE0EEENS1_30default_config_static_selectorELNS0_4arch9wavefront6targetE0EEEvT1_.uses_flat_scratch, 0
	.set _ZN7rocprim17ROCPRIM_400000_NS6detail17trampoline_kernelINS0_14default_configENS1_27scan_by_key_config_selectorIjjEEZZNS1_16scan_by_key_implILNS1_25lookback_scan_determinismE0ELb0ES3_N6thrust23THRUST_200600_302600_NS6detail15normal_iteratorINS9_10device_ptrIjEEEESE_SE_jNS9_4plusIvEENS9_8equal_toIvEEjEE10hipError_tPvRmT2_T3_T4_T5_mT6_T7_P12ihipStream_tbENKUlT_T0_E_clISt17integral_constantIbLb1EESZ_EEDaSU_SV_EUlSU_E_NS1_11comp_targetILNS1_3genE10ELNS1_11target_archE1201ELNS1_3gpuE5ELNS1_3repE0EEENS1_30default_config_static_selectorELNS0_4arch9wavefront6targetE0EEEvT1_.has_dyn_sized_stack, 0
	.set _ZN7rocprim17ROCPRIM_400000_NS6detail17trampoline_kernelINS0_14default_configENS1_27scan_by_key_config_selectorIjjEEZZNS1_16scan_by_key_implILNS1_25lookback_scan_determinismE0ELb0ES3_N6thrust23THRUST_200600_302600_NS6detail15normal_iteratorINS9_10device_ptrIjEEEESE_SE_jNS9_4plusIvEENS9_8equal_toIvEEjEE10hipError_tPvRmT2_T3_T4_T5_mT6_T7_P12ihipStream_tbENKUlT_T0_E_clISt17integral_constantIbLb1EESZ_EEDaSU_SV_EUlSU_E_NS1_11comp_targetILNS1_3genE10ELNS1_11target_archE1201ELNS1_3gpuE5ELNS1_3repE0EEENS1_30default_config_static_selectorELNS0_4arch9wavefront6targetE0EEEvT1_.has_recursion, 0
	.set _ZN7rocprim17ROCPRIM_400000_NS6detail17trampoline_kernelINS0_14default_configENS1_27scan_by_key_config_selectorIjjEEZZNS1_16scan_by_key_implILNS1_25lookback_scan_determinismE0ELb0ES3_N6thrust23THRUST_200600_302600_NS6detail15normal_iteratorINS9_10device_ptrIjEEEESE_SE_jNS9_4plusIvEENS9_8equal_toIvEEjEE10hipError_tPvRmT2_T3_T4_T5_mT6_T7_P12ihipStream_tbENKUlT_T0_E_clISt17integral_constantIbLb1EESZ_EEDaSU_SV_EUlSU_E_NS1_11comp_targetILNS1_3genE10ELNS1_11target_archE1201ELNS1_3gpuE5ELNS1_3repE0EEENS1_30default_config_static_selectorELNS0_4arch9wavefront6targetE0EEEvT1_.has_indirect_call, 0
	.section	.AMDGPU.csdata,"",@progbits
; Kernel info:
; codeLenInByte = 0
; TotalNumSgprs: 0
; NumVgprs: 0
; ScratchSize: 0
; MemoryBound: 0
; FloatMode: 240
; IeeeMode: 1
; LDSByteSize: 0 bytes/workgroup (compile time only)
; SGPRBlocks: 0
; VGPRBlocks: 0
; NumSGPRsForWavesPerEU: 1
; NumVGPRsForWavesPerEU: 1
; Occupancy: 16
; WaveLimiterHint : 0
; COMPUTE_PGM_RSRC2:SCRATCH_EN: 0
; COMPUTE_PGM_RSRC2:USER_SGPR: 6
; COMPUTE_PGM_RSRC2:TRAP_HANDLER: 0
; COMPUTE_PGM_RSRC2:TGID_X_EN: 1
; COMPUTE_PGM_RSRC2:TGID_Y_EN: 0
; COMPUTE_PGM_RSRC2:TGID_Z_EN: 0
; COMPUTE_PGM_RSRC2:TIDIG_COMP_CNT: 0
	.section	.text._ZN7rocprim17ROCPRIM_400000_NS6detail17trampoline_kernelINS0_14default_configENS1_27scan_by_key_config_selectorIjjEEZZNS1_16scan_by_key_implILNS1_25lookback_scan_determinismE0ELb0ES3_N6thrust23THRUST_200600_302600_NS6detail15normal_iteratorINS9_10device_ptrIjEEEESE_SE_jNS9_4plusIvEENS9_8equal_toIvEEjEE10hipError_tPvRmT2_T3_T4_T5_mT6_T7_P12ihipStream_tbENKUlT_T0_E_clISt17integral_constantIbLb1EESZ_EEDaSU_SV_EUlSU_E_NS1_11comp_targetILNS1_3genE5ELNS1_11target_archE942ELNS1_3gpuE9ELNS1_3repE0EEENS1_30default_config_static_selectorELNS0_4arch9wavefront6targetE0EEEvT1_,"axG",@progbits,_ZN7rocprim17ROCPRIM_400000_NS6detail17trampoline_kernelINS0_14default_configENS1_27scan_by_key_config_selectorIjjEEZZNS1_16scan_by_key_implILNS1_25lookback_scan_determinismE0ELb0ES3_N6thrust23THRUST_200600_302600_NS6detail15normal_iteratorINS9_10device_ptrIjEEEESE_SE_jNS9_4plusIvEENS9_8equal_toIvEEjEE10hipError_tPvRmT2_T3_T4_T5_mT6_T7_P12ihipStream_tbENKUlT_T0_E_clISt17integral_constantIbLb1EESZ_EEDaSU_SV_EUlSU_E_NS1_11comp_targetILNS1_3genE5ELNS1_11target_archE942ELNS1_3gpuE9ELNS1_3repE0EEENS1_30default_config_static_selectorELNS0_4arch9wavefront6targetE0EEEvT1_,comdat
	.protected	_ZN7rocprim17ROCPRIM_400000_NS6detail17trampoline_kernelINS0_14default_configENS1_27scan_by_key_config_selectorIjjEEZZNS1_16scan_by_key_implILNS1_25lookback_scan_determinismE0ELb0ES3_N6thrust23THRUST_200600_302600_NS6detail15normal_iteratorINS9_10device_ptrIjEEEESE_SE_jNS9_4plusIvEENS9_8equal_toIvEEjEE10hipError_tPvRmT2_T3_T4_T5_mT6_T7_P12ihipStream_tbENKUlT_T0_E_clISt17integral_constantIbLb1EESZ_EEDaSU_SV_EUlSU_E_NS1_11comp_targetILNS1_3genE5ELNS1_11target_archE942ELNS1_3gpuE9ELNS1_3repE0EEENS1_30default_config_static_selectorELNS0_4arch9wavefront6targetE0EEEvT1_ ; -- Begin function _ZN7rocprim17ROCPRIM_400000_NS6detail17trampoline_kernelINS0_14default_configENS1_27scan_by_key_config_selectorIjjEEZZNS1_16scan_by_key_implILNS1_25lookback_scan_determinismE0ELb0ES3_N6thrust23THRUST_200600_302600_NS6detail15normal_iteratorINS9_10device_ptrIjEEEESE_SE_jNS9_4plusIvEENS9_8equal_toIvEEjEE10hipError_tPvRmT2_T3_T4_T5_mT6_T7_P12ihipStream_tbENKUlT_T0_E_clISt17integral_constantIbLb1EESZ_EEDaSU_SV_EUlSU_E_NS1_11comp_targetILNS1_3genE5ELNS1_11target_archE942ELNS1_3gpuE9ELNS1_3repE0EEENS1_30default_config_static_selectorELNS0_4arch9wavefront6targetE0EEEvT1_
	.globl	_ZN7rocprim17ROCPRIM_400000_NS6detail17trampoline_kernelINS0_14default_configENS1_27scan_by_key_config_selectorIjjEEZZNS1_16scan_by_key_implILNS1_25lookback_scan_determinismE0ELb0ES3_N6thrust23THRUST_200600_302600_NS6detail15normal_iteratorINS9_10device_ptrIjEEEESE_SE_jNS9_4plusIvEENS9_8equal_toIvEEjEE10hipError_tPvRmT2_T3_T4_T5_mT6_T7_P12ihipStream_tbENKUlT_T0_E_clISt17integral_constantIbLb1EESZ_EEDaSU_SV_EUlSU_E_NS1_11comp_targetILNS1_3genE5ELNS1_11target_archE942ELNS1_3gpuE9ELNS1_3repE0EEENS1_30default_config_static_selectorELNS0_4arch9wavefront6targetE0EEEvT1_
	.p2align	8
	.type	_ZN7rocprim17ROCPRIM_400000_NS6detail17trampoline_kernelINS0_14default_configENS1_27scan_by_key_config_selectorIjjEEZZNS1_16scan_by_key_implILNS1_25lookback_scan_determinismE0ELb0ES3_N6thrust23THRUST_200600_302600_NS6detail15normal_iteratorINS9_10device_ptrIjEEEESE_SE_jNS9_4plusIvEENS9_8equal_toIvEEjEE10hipError_tPvRmT2_T3_T4_T5_mT6_T7_P12ihipStream_tbENKUlT_T0_E_clISt17integral_constantIbLb1EESZ_EEDaSU_SV_EUlSU_E_NS1_11comp_targetILNS1_3genE5ELNS1_11target_archE942ELNS1_3gpuE9ELNS1_3repE0EEENS1_30default_config_static_selectorELNS0_4arch9wavefront6targetE0EEEvT1_,@function
_ZN7rocprim17ROCPRIM_400000_NS6detail17trampoline_kernelINS0_14default_configENS1_27scan_by_key_config_selectorIjjEEZZNS1_16scan_by_key_implILNS1_25lookback_scan_determinismE0ELb0ES3_N6thrust23THRUST_200600_302600_NS6detail15normal_iteratorINS9_10device_ptrIjEEEESE_SE_jNS9_4plusIvEENS9_8equal_toIvEEjEE10hipError_tPvRmT2_T3_T4_T5_mT6_T7_P12ihipStream_tbENKUlT_T0_E_clISt17integral_constantIbLb1EESZ_EEDaSU_SV_EUlSU_E_NS1_11comp_targetILNS1_3genE5ELNS1_11target_archE942ELNS1_3gpuE9ELNS1_3repE0EEENS1_30default_config_static_selectorELNS0_4arch9wavefront6targetE0EEEvT1_: ; @_ZN7rocprim17ROCPRIM_400000_NS6detail17trampoline_kernelINS0_14default_configENS1_27scan_by_key_config_selectorIjjEEZZNS1_16scan_by_key_implILNS1_25lookback_scan_determinismE0ELb0ES3_N6thrust23THRUST_200600_302600_NS6detail15normal_iteratorINS9_10device_ptrIjEEEESE_SE_jNS9_4plusIvEENS9_8equal_toIvEEjEE10hipError_tPvRmT2_T3_T4_T5_mT6_T7_P12ihipStream_tbENKUlT_T0_E_clISt17integral_constantIbLb1EESZ_EEDaSU_SV_EUlSU_E_NS1_11comp_targetILNS1_3genE5ELNS1_11target_archE942ELNS1_3gpuE9ELNS1_3repE0EEENS1_30default_config_static_selectorELNS0_4arch9wavefront6targetE0EEEvT1_
; %bb.0:
	.section	.rodata,"a",@progbits
	.p2align	6, 0x0
	.amdhsa_kernel _ZN7rocprim17ROCPRIM_400000_NS6detail17trampoline_kernelINS0_14default_configENS1_27scan_by_key_config_selectorIjjEEZZNS1_16scan_by_key_implILNS1_25lookback_scan_determinismE0ELb0ES3_N6thrust23THRUST_200600_302600_NS6detail15normal_iteratorINS9_10device_ptrIjEEEESE_SE_jNS9_4plusIvEENS9_8equal_toIvEEjEE10hipError_tPvRmT2_T3_T4_T5_mT6_T7_P12ihipStream_tbENKUlT_T0_E_clISt17integral_constantIbLb1EESZ_EEDaSU_SV_EUlSU_E_NS1_11comp_targetILNS1_3genE5ELNS1_11target_archE942ELNS1_3gpuE9ELNS1_3repE0EEENS1_30default_config_static_selectorELNS0_4arch9wavefront6targetE0EEEvT1_
		.amdhsa_group_segment_fixed_size 0
		.amdhsa_private_segment_fixed_size 0
		.amdhsa_kernarg_size 112
		.amdhsa_user_sgpr_count 6
		.amdhsa_user_sgpr_private_segment_buffer 1
		.amdhsa_user_sgpr_dispatch_ptr 0
		.amdhsa_user_sgpr_queue_ptr 0
		.amdhsa_user_sgpr_kernarg_segment_ptr 1
		.amdhsa_user_sgpr_dispatch_id 0
		.amdhsa_user_sgpr_flat_scratch_init 0
		.amdhsa_user_sgpr_private_segment_size 0
		.amdhsa_wavefront_size32 1
		.amdhsa_uses_dynamic_stack 0
		.amdhsa_system_sgpr_private_segment_wavefront_offset 0
		.amdhsa_system_sgpr_workgroup_id_x 1
		.amdhsa_system_sgpr_workgroup_id_y 0
		.amdhsa_system_sgpr_workgroup_id_z 0
		.amdhsa_system_sgpr_workgroup_info 0
		.amdhsa_system_vgpr_workitem_id 0
		.amdhsa_next_free_vgpr 1
		.amdhsa_next_free_sgpr 1
		.amdhsa_reserve_vcc 0
		.amdhsa_reserve_flat_scratch 0
		.amdhsa_float_round_mode_32 0
		.amdhsa_float_round_mode_16_64 0
		.amdhsa_float_denorm_mode_32 3
		.amdhsa_float_denorm_mode_16_64 3
		.amdhsa_dx10_clamp 1
		.amdhsa_ieee_mode 1
		.amdhsa_fp16_overflow 0
		.amdhsa_workgroup_processor_mode 1
		.amdhsa_memory_ordered 1
		.amdhsa_forward_progress 1
		.amdhsa_shared_vgpr_count 0
		.amdhsa_exception_fp_ieee_invalid_op 0
		.amdhsa_exception_fp_denorm_src 0
		.amdhsa_exception_fp_ieee_div_zero 0
		.amdhsa_exception_fp_ieee_overflow 0
		.amdhsa_exception_fp_ieee_underflow 0
		.amdhsa_exception_fp_ieee_inexact 0
		.amdhsa_exception_int_div_zero 0
	.end_amdhsa_kernel
	.section	.text._ZN7rocprim17ROCPRIM_400000_NS6detail17trampoline_kernelINS0_14default_configENS1_27scan_by_key_config_selectorIjjEEZZNS1_16scan_by_key_implILNS1_25lookback_scan_determinismE0ELb0ES3_N6thrust23THRUST_200600_302600_NS6detail15normal_iteratorINS9_10device_ptrIjEEEESE_SE_jNS9_4plusIvEENS9_8equal_toIvEEjEE10hipError_tPvRmT2_T3_T4_T5_mT6_T7_P12ihipStream_tbENKUlT_T0_E_clISt17integral_constantIbLb1EESZ_EEDaSU_SV_EUlSU_E_NS1_11comp_targetILNS1_3genE5ELNS1_11target_archE942ELNS1_3gpuE9ELNS1_3repE0EEENS1_30default_config_static_selectorELNS0_4arch9wavefront6targetE0EEEvT1_,"axG",@progbits,_ZN7rocprim17ROCPRIM_400000_NS6detail17trampoline_kernelINS0_14default_configENS1_27scan_by_key_config_selectorIjjEEZZNS1_16scan_by_key_implILNS1_25lookback_scan_determinismE0ELb0ES3_N6thrust23THRUST_200600_302600_NS6detail15normal_iteratorINS9_10device_ptrIjEEEESE_SE_jNS9_4plusIvEENS9_8equal_toIvEEjEE10hipError_tPvRmT2_T3_T4_T5_mT6_T7_P12ihipStream_tbENKUlT_T0_E_clISt17integral_constantIbLb1EESZ_EEDaSU_SV_EUlSU_E_NS1_11comp_targetILNS1_3genE5ELNS1_11target_archE942ELNS1_3gpuE9ELNS1_3repE0EEENS1_30default_config_static_selectorELNS0_4arch9wavefront6targetE0EEEvT1_,comdat
.Lfunc_end1838:
	.size	_ZN7rocprim17ROCPRIM_400000_NS6detail17trampoline_kernelINS0_14default_configENS1_27scan_by_key_config_selectorIjjEEZZNS1_16scan_by_key_implILNS1_25lookback_scan_determinismE0ELb0ES3_N6thrust23THRUST_200600_302600_NS6detail15normal_iteratorINS9_10device_ptrIjEEEESE_SE_jNS9_4plusIvEENS9_8equal_toIvEEjEE10hipError_tPvRmT2_T3_T4_T5_mT6_T7_P12ihipStream_tbENKUlT_T0_E_clISt17integral_constantIbLb1EESZ_EEDaSU_SV_EUlSU_E_NS1_11comp_targetILNS1_3genE5ELNS1_11target_archE942ELNS1_3gpuE9ELNS1_3repE0EEENS1_30default_config_static_selectorELNS0_4arch9wavefront6targetE0EEEvT1_, .Lfunc_end1838-_ZN7rocprim17ROCPRIM_400000_NS6detail17trampoline_kernelINS0_14default_configENS1_27scan_by_key_config_selectorIjjEEZZNS1_16scan_by_key_implILNS1_25lookback_scan_determinismE0ELb0ES3_N6thrust23THRUST_200600_302600_NS6detail15normal_iteratorINS9_10device_ptrIjEEEESE_SE_jNS9_4plusIvEENS9_8equal_toIvEEjEE10hipError_tPvRmT2_T3_T4_T5_mT6_T7_P12ihipStream_tbENKUlT_T0_E_clISt17integral_constantIbLb1EESZ_EEDaSU_SV_EUlSU_E_NS1_11comp_targetILNS1_3genE5ELNS1_11target_archE942ELNS1_3gpuE9ELNS1_3repE0EEENS1_30default_config_static_selectorELNS0_4arch9wavefront6targetE0EEEvT1_
                                        ; -- End function
	.set _ZN7rocprim17ROCPRIM_400000_NS6detail17trampoline_kernelINS0_14default_configENS1_27scan_by_key_config_selectorIjjEEZZNS1_16scan_by_key_implILNS1_25lookback_scan_determinismE0ELb0ES3_N6thrust23THRUST_200600_302600_NS6detail15normal_iteratorINS9_10device_ptrIjEEEESE_SE_jNS9_4plusIvEENS9_8equal_toIvEEjEE10hipError_tPvRmT2_T3_T4_T5_mT6_T7_P12ihipStream_tbENKUlT_T0_E_clISt17integral_constantIbLb1EESZ_EEDaSU_SV_EUlSU_E_NS1_11comp_targetILNS1_3genE5ELNS1_11target_archE942ELNS1_3gpuE9ELNS1_3repE0EEENS1_30default_config_static_selectorELNS0_4arch9wavefront6targetE0EEEvT1_.num_vgpr, 0
	.set _ZN7rocprim17ROCPRIM_400000_NS6detail17trampoline_kernelINS0_14default_configENS1_27scan_by_key_config_selectorIjjEEZZNS1_16scan_by_key_implILNS1_25lookback_scan_determinismE0ELb0ES3_N6thrust23THRUST_200600_302600_NS6detail15normal_iteratorINS9_10device_ptrIjEEEESE_SE_jNS9_4plusIvEENS9_8equal_toIvEEjEE10hipError_tPvRmT2_T3_T4_T5_mT6_T7_P12ihipStream_tbENKUlT_T0_E_clISt17integral_constantIbLb1EESZ_EEDaSU_SV_EUlSU_E_NS1_11comp_targetILNS1_3genE5ELNS1_11target_archE942ELNS1_3gpuE9ELNS1_3repE0EEENS1_30default_config_static_selectorELNS0_4arch9wavefront6targetE0EEEvT1_.num_agpr, 0
	.set _ZN7rocprim17ROCPRIM_400000_NS6detail17trampoline_kernelINS0_14default_configENS1_27scan_by_key_config_selectorIjjEEZZNS1_16scan_by_key_implILNS1_25lookback_scan_determinismE0ELb0ES3_N6thrust23THRUST_200600_302600_NS6detail15normal_iteratorINS9_10device_ptrIjEEEESE_SE_jNS9_4plusIvEENS9_8equal_toIvEEjEE10hipError_tPvRmT2_T3_T4_T5_mT6_T7_P12ihipStream_tbENKUlT_T0_E_clISt17integral_constantIbLb1EESZ_EEDaSU_SV_EUlSU_E_NS1_11comp_targetILNS1_3genE5ELNS1_11target_archE942ELNS1_3gpuE9ELNS1_3repE0EEENS1_30default_config_static_selectorELNS0_4arch9wavefront6targetE0EEEvT1_.numbered_sgpr, 0
	.set _ZN7rocprim17ROCPRIM_400000_NS6detail17trampoline_kernelINS0_14default_configENS1_27scan_by_key_config_selectorIjjEEZZNS1_16scan_by_key_implILNS1_25lookback_scan_determinismE0ELb0ES3_N6thrust23THRUST_200600_302600_NS6detail15normal_iteratorINS9_10device_ptrIjEEEESE_SE_jNS9_4plusIvEENS9_8equal_toIvEEjEE10hipError_tPvRmT2_T3_T4_T5_mT6_T7_P12ihipStream_tbENKUlT_T0_E_clISt17integral_constantIbLb1EESZ_EEDaSU_SV_EUlSU_E_NS1_11comp_targetILNS1_3genE5ELNS1_11target_archE942ELNS1_3gpuE9ELNS1_3repE0EEENS1_30default_config_static_selectorELNS0_4arch9wavefront6targetE0EEEvT1_.num_named_barrier, 0
	.set _ZN7rocprim17ROCPRIM_400000_NS6detail17trampoline_kernelINS0_14default_configENS1_27scan_by_key_config_selectorIjjEEZZNS1_16scan_by_key_implILNS1_25lookback_scan_determinismE0ELb0ES3_N6thrust23THRUST_200600_302600_NS6detail15normal_iteratorINS9_10device_ptrIjEEEESE_SE_jNS9_4plusIvEENS9_8equal_toIvEEjEE10hipError_tPvRmT2_T3_T4_T5_mT6_T7_P12ihipStream_tbENKUlT_T0_E_clISt17integral_constantIbLb1EESZ_EEDaSU_SV_EUlSU_E_NS1_11comp_targetILNS1_3genE5ELNS1_11target_archE942ELNS1_3gpuE9ELNS1_3repE0EEENS1_30default_config_static_selectorELNS0_4arch9wavefront6targetE0EEEvT1_.private_seg_size, 0
	.set _ZN7rocprim17ROCPRIM_400000_NS6detail17trampoline_kernelINS0_14default_configENS1_27scan_by_key_config_selectorIjjEEZZNS1_16scan_by_key_implILNS1_25lookback_scan_determinismE0ELb0ES3_N6thrust23THRUST_200600_302600_NS6detail15normal_iteratorINS9_10device_ptrIjEEEESE_SE_jNS9_4plusIvEENS9_8equal_toIvEEjEE10hipError_tPvRmT2_T3_T4_T5_mT6_T7_P12ihipStream_tbENKUlT_T0_E_clISt17integral_constantIbLb1EESZ_EEDaSU_SV_EUlSU_E_NS1_11comp_targetILNS1_3genE5ELNS1_11target_archE942ELNS1_3gpuE9ELNS1_3repE0EEENS1_30default_config_static_selectorELNS0_4arch9wavefront6targetE0EEEvT1_.uses_vcc, 0
	.set _ZN7rocprim17ROCPRIM_400000_NS6detail17trampoline_kernelINS0_14default_configENS1_27scan_by_key_config_selectorIjjEEZZNS1_16scan_by_key_implILNS1_25lookback_scan_determinismE0ELb0ES3_N6thrust23THRUST_200600_302600_NS6detail15normal_iteratorINS9_10device_ptrIjEEEESE_SE_jNS9_4plusIvEENS9_8equal_toIvEEjEE10hipError_tPvRmT2_T3_T4_T5_mT6_T7_P12ihipStream_tbENKUlT_T0_E_clISt17integral_constantIbLb1EESZ_EEDaSU_SV_EUlSU_E_NS1_11comp_targetILNS1_3genE5ELNS1_11target_archE942ELNS1_3gpuE9ELNS1_3repE0EEENS1_30default_config_static_selectorELNS0_4arch9wavefront6targetE0EEEvT1_.uses_flat_scratch, 0
	.set _ZN7rocprim17ROCPRIM_400000_NS6detail17trampoline_kernelINS0_14default_configENS1_27scan_by_key_config_selectorIjjEEZZNS1_16scan_by_key_implILNS1_25lookback_scan_determinismE0ELb0ES3_N6thrust23THRUST_200600_302600_NS6detail15normal_iteratorINS9_10device_ptrIjEEEESE_SE_jNS9_4plusIvEENS9_8equal_toIvEEjEE10hipError_tPvRmT2_T3_T4_T5_mT6_T7_P12ihipStream_tbENKUlT_T0_E_clISt17integral_constantIbLb1EESZ_EEDaSU_SV_EUlSU_E_NS1_11comp_targetILNS1_3genE5ELNS1_11target_archE942ELNS1_3gpuE9ELNS1_3repE0EEENS1_30default_config_static_selectorELNS0_4arch9wavefront6targetE0EEEvT1_.has_dyn_sized_stack, 0
	.set _ZN7rocprim17ROCPRIM_400000_NS6detail17trampoline_kernelINS0_14default_configENS1_27scan_by_key_config_selectorIjjEEZZNS1_16scan_by_key_implILNS1_25lookback_scan_determinismE0ELb0ES3_N6thrust23THRUST_200600_302600_NS6detail15normal_iteratorINS9_10device_ptrIjEEEESE_SE_jNS9_4plusIvEENS9_8equal_toIvEEjEE10hipError_tPvRmT2_T3_T4_T5_mT6_T7_P12ihipStream_tbENKUlT_T0_E_clISt17integral_constantIbLb1EESZ_EEDaSU_SV_EUlSU_E_NS1_11comp_targetILNS1_3genE5ELNS1_11target_archE942ELNS1_3gpuE9ELNS1_3repE0EEENS1_30default_config_static_selectorELNS0_4arch9wavefront6targetE0EEEvT1_.has_recursion, 0
	.set _ZN7rocprim17ROCPRIM_400000_NS6detail17trampoline_kernelINS0_14default_configENS1_27scan_by_key_config_selectorIjjEEZZNS1_16scan_by_key_implILNS1_25lookback_scan_determinismE0ELb0ES3_N6thrust23THRUST_200600_302600_NS6detail15normal_iteratorINS9_10device_ptrIjEEEESE_SE_jNS9_4plusIvEENS9_8equal_toIvEEjEE10hipError_tPvRmT2_T3_T4_T5_mT6_T7_P12ihipStream_tbENKUlT_T0_E_clISt17integral_constantIbLb1EESZ_EEDaSU_SV_EUlSU_E_NS1_11comp_targetILNS1_3genE5ELNS1_11target_archE942ELNS1_3gpuE9ELNS1_3repE0EEENS1_30default_config_static_selectorELNS0_4arch9wavefront6targetE0EEEvT1_.has_indirect_call, 0
	.section	.AMDGPU.csdata,"",@progbits
; Kernel info:
; codeLenInByte = 0
; TotalNumSgprs: 0
; NumVgprs: 0
; ScratchSize: 0
; MemoryBound: 0
; FloatMode: 240
; IeeeMode: 1
; LDSByteSize: 0 bytes/workgroup (compile time only)
; SGPRBlocks: 0
; VGPRBlocks: 0
; NumSGPRsForWavesPerEU: 1
; NumVGPRsForWavesPerEU: 1
; Occupancy: 16
; WaveLimiterHint : 0
; COMPUTE_PGM_RSRC2:SCRATCH_EN: 0
; COMPUTE_PGM_RSRC2:USER_SGPR: 6
; COMPUTE_PGM_RSRC2:TRAP_HANDLER: 0
; COMPUTE_PGM_RSRC2:TGID_X_EN: 1
; COMPUTE_PGM_RSRC2:TGID_Y_EN: 0
; COMPUTE_PGM_RSRC2:TGID_Z_EN: 0
; COMPUTE_PGM_RSRC2:TIDIG_COMP_CNT: 0
	.section	.text._ZN7rocprim17ROCPRIM_400000_NS6detail17trampoline_kernelINS0_14default_configENS1_27scan_by_key_config_selectorIjjEEZZNS1_16scan_by_key_implILNS1_25lookback_scan_determinismE0ELb0ES3_N6thrust23THRUST_200600_302600_NS6detail15normal_iteratorINS9_10device_ptrIjEEEESE_SE_jNS9_4plusIvEENS9_8equal_toIvEEjEE10hipError_tPvRmT2_T3_T4_T5_mT6_T7_P12ihipStream_tbENKUlT_T0_E_clISt17integral_constantIbLb1EESZ_EEDaSU_SV_EUlSU_E_NS1_11comp_targetILNS1_3genE4ELNS1_11target_archE910ELNS1_3gpuE8ELNS1_3repE0EEENS1_30default_config_static_selectorELNS0_4arch9wavefront6targetE0EEEvT1_,"axG",@progbits,_ZN7rocprim17ROCPRIM_400000_NS6detail17trampoline_kernelINS0_14default_configENS1_27scan_by_key_config_selectorIjjEEZZNS1_16scan_by_key_implILNS1_25lookback_scan_determinismE0ELb0ES3_N6thrust23THRUST_200600_302600_NS6detail15normal_iteratorINS9_10device_ptrIjEEEESE_SE_jNS9_4plusIvEENS9_8equal_toIvEEjEE10hipError_tPvRmT2_T3_T4_T5_mT6_T7_P12ihipStream_tbENKUlT_T0_E_clISt17integral_constantIbLb1EESZ_EEDaSU_SV_EUlSU_E_NS1_11comp_targetILNS1_3genE4ELNS1_11target_archE910ELNS1_3gpuE8ELNS1_3repE0EEENS1_30default_config_static_selectorELNS0_4arch9wavefront6targetE0EEEvT1_,comdat
	.protected	_ZN7rocprim17ROCPRIM_400000_NS6detail17trampoline_kernelINS0_14default_configENS1_27scan_by_key_config_selectorIjjEEZZNS1_16scan_by_key_implILNS1_25lookback_scan_determinismE0ELb0ES3_N6thrust23THRUST_200600_302600_NS6detail15normal_iteratorINS9_10device_ptrIjEEEESE_SE_jNS9_4plusIvEENS9_8equal_toIvEEjEE10hipError_tPvRmT2_T3_T4_T5_mT6_T7_P12ihipStream_tbENKUlT_T0_E_clISt17integral_constantIbLb1EESZ_EEDaSU_SV_EUlSU_E_NS1_11comp_targetILNS1_3genE4ELNS1_11target_archE910ELNS1_3gpuE8ELNS1_3repE0EEENS1_30default_config_static_selectorELNS0_4arch9wavefront6targetE0EEEvT1_ ; -- Begin function _ZN7rocprim17ROCPRIM_400000_NS6detail17trampoline_kernelINS0_14default_configENS1_27scan_by_key_config_selectorIjjEEZZNS1_16scan_by_key_implILNS1_25lookback_scan_determinismE0ELb0ES3_N6thrust23THRUST_200600_302600_NS6detail15normal_iteratorINS9_10device_ptrIjEEEESE_SE_jNS9_4plusIvEENS9_8equal_toIvEEjEE10hipError_tPvRmT2_T3_T4_T5_mT6_T7_P12ihipStream_tbENKUlT_T0_E_clISt17integral_constantIbLb1EESZ_EEDaSU_SV_EUlSU_E_NS1_11comp_targetILNS1_3genE4ELNS1_11target_archE910ELNS1_3gpuE8ELNS1_3repE0EEENS1_30default_config_static_selectorELNS0_4arch9wavefront6targetE0EEEvT1_
	.globl	_ZN7rocprim17ROCPRIM_400000_NS6detail17trampoline_kernelINS0_14default_configENS1_27scan_by_key_config_selectorIjjEEZZNS1_16scan_by_key_implILNS1_25lookback_scan_determinismE0ELb0ES3_N6thrust23THRUST_200600_302600_NS6detail15normal_iteratorINS9_10device_ptrIjEEEESE_SE_jNS9_4plusIvEENS9_8equal_toIvEEjEE10hipError_tPvRmT2_T3_T4_T5_mT6_T7_P12ihipStream_tbENKUlT_T0_E_clISt17integral_constantIbLb1EESZ_EEDaSU_SV_EUlSU_E_NS1_11comp_targetILNS1_3genE4ELNS1_11target_archE910ELNS1_3gpuE8ELNS1_3repE0EEENS1_30default_config_static_selectorELNS0_4arch9wavefront6targetE0EEEvT1_
	.p2align	8
	.type	_ZN7rocprim17ROCPRIM_400000_NS6detail17trampoline_kernelINS0_14default_configENS1_27scan_by_key_config_selectorIjjEEZZNS1_16scan_by_key_implILNS1_25lookback_scan_determinismE0ELb0ES3_N6thrust23THRUST_200600_302600_NS6detail15normal_iteratorINS9_10device_ptrIjEEEESE_SE_jNS9_4plusIvEENS9_8equal_toIvEEjEE10hipError_tPvRmT2_T3_T4_T5_mT6_T7_P12ihipStream_tbENKUlT_T0_E_clISt17integral_constantIbLb1EESZ_EEDaSU_SV_EUlSU_E_NS1_11comp_targetILNS1_3genE4ELNS1_11target_archE910ELNS1_3gpuE8ELNS1_3repE0EEENS1_30default_config_static_selectorELNS0_4arch9wavefront6targetE0EEEvT1_,@function
_ZN7rocprim17ROCPRIM_400000_NS6detail17trampoline_kernelINS0_14default_configENS1_27scan_by_key_config_selectorIjjEEZZNS1_16scan_by_key_implILNS1_25lookback_scan_determinismE0ELb0ES3_N6thrust23THRUST_200600_302600_NS6detail15normal_iteratorINS9_10device_ptrIjEEEESE_SE_jNS9_4plusIvEENS9_8equal_toIvEEjEE10hipError_tPvRmT2_T3_T4_T5_mT6_T7_P12ihipStream_tbENKUlT_T0_E_clISt17integral_constantIbLb1EESZ_EEDaSU_SV_EUlSU_E_NS1_11comp_targetILNS1_3genE4ELNS1_11target_archE910ELNS1_3gpuE8ELNS1_3repE0EEENS1_30default_config_static_selectorELNS0_4arch9wavefront6targetE0EEEvT1_: ; @_ZN7rocprim17ROCPRIM_400000_NS6detail17trampoline_kernelINS0_14default_configENS1_27scan_by_key_config_selectorIjjEEZZNS1_16scan_by_key_implILNS1_25lookback_scan_determinismE0ELb0ES3_N6thrust23THRUST_200600_302600_NS6detail15normal_iteratorINS9_10device_ptrIjEEEESE_SE_jNS9_4plusIvEENS9_8equal_toIvEEjEE10hipError_tPvRmT2_T3_T4_T5_mT6_T7_P12ihipStream_tbENKUlT_T0_E_clISt17integral_constantIbLb1EESZ_EEDaSU_SV_EUlSU_E_NS1_11comp_targetILNS1_3genE4ELNS1_11target_archE910ELNS1_3gpuE8ELNS1_3repE0EEENS1_30default_config_static_selectorELNS0_4arch9wavefront6targetE0EEEvT1_
; %bb.0:
	.section	.rodata,"a",@progbits
	.p2align	6, 0x0
	.amdhsa_kernel _ZN7rocprim17ROCPRIM_400000_NS6detail17trampoline_kernelINS0_14default_configENS1_27scan_by_key_config_selectorIjjEEZZNS1_16scan_by_key_implILNS1_25lookback_scan_determinismE0ELb0ES3_N6thrust23THRUST_200600_302600_NS6detail15normal_iteratorINS9_10device_ptrIjEEEESE_SE_jNS9_4plusIvEENS9_8equal_toIvEEjEE10hipError_tPvRmT2_T3_T4_T5_mT6_T7_P12ihipStream_tbENKUlT_T0_E_clISt17integral_constantIbLb1EESZ_EEDaSU_SV_EUlSU_E_NS1_11comp_targetILNS1_3genE4ELNS1_11target_archE910ELNS1_3gpuE8ELNS1_3repE0EEENS1_30default_config_static_selectorELNS0_4arch9wavefront6targetE0EEEvT1_
		.amdhsa_group_segment_fixed_size 0
		.amdhsa_private_segment_fixed_size 0
		.amdhsa_kernarg_size 112
		.amdhsa_user_sgpr_count 6
		.amdhsa_user_sgpr_private_segment_buffer 1
		.amdhsa_user_sgpr_dispatch_ptr 0
		.amdhsa_user_sgpr_queue_ptr 0
		.amdhsa_user_sgpr_kernarg_segment_ptr 1
		.amdhsa_user_sgpr_dispatch_id 0
		.amdhsa_user_sgpr_flat_scratch_init 0
		.amdhsa_user_sgpr_private_segment_size 0
		.amdhsa_wavefront_size32 1
		.amdhsa_uses_dynamic_stack 0
		.amdhsa_system_sgpr_private_segment_wavefront_offset 0
		.amdhsa_system_sgpr_workgroup_id_x 1
		.amdhsa_system_sgpr_workgroup_id_y 0
		.amdhsa_system_sgpr_workgroup_id_z 0
		.amdhsa_system_sgpr_workgroup_info 0
		.amdhsa_system_vgpr_workitem_id 0
		.amdhsa_next_free_vgpr 1
		.amdhsa_next_free_sgpr 1
		.amdhsa_reserve_vcc 0
		.amdhsa_reserve_flat_scratch 0
		.amdhsa_float_round_mode_32 0
		.amdhsa_float_round_mode_16_64 0
		.amdhsa_float_denorm_mode_32 3
		.amdhsa_float_denorm_mode_16_64 3
		.amdhsa_dx10_clamp 1
		.amdhsa_ieee_mode 1
		.amdhsa_fp16_overflow 0
		.amdhsa_workgroup_processor_mode 1
		.amdhsa_memory_ordered 1
		.amdhsa_forward_progress 1
		.amdhsa_shared_vgpr_count 0
		.amdhsa_exception_fp_ieee_invalid_op 0
		.amdhsa_exception_fp_denorm_src 0
		.amdhsa_exception_fp_ieee_div_zero 0
		.amdhsa_exception_fp_ieee_overflow 0
		.amdhsa_exception_fp_ieee_underflow 0
		.amdhsa_exception_fp_ieee_inexact 0
		.amdhsa_exception_int_div_zero 0
	.end_amdhsa_kernel
	.section	.text._ZN7rocprim17ROCPRIM_400000_NS6detail17trampoline_kernelINS0_14default_configENS1_27scan_by_key_config_selectorIjjEEZZNS1_16scan_by_key_implILNS1_25lookback_scan_determinismE0ELb0ES3_N6thrust23THRUST_200600_302600_NS6detail15normal_iteratorINS9_10device_ptrIjEEEESE_SE_jNS9_4plusIvEENS9_8equal_toIvEEjEE10hipError_tPvRmT2_T3_T4_T5_mT6_T7_P12ihipStream_tbENKUlT_T0_E_clISt17integral_constantIbLb1EESZ_EEDaSU_SV_EUlSU_E_NS1_11comp_targetILNS1_3genE4ELNS1_11target_archE910ELNS1_3gpuE8ELNS1_3repE0EEENS1_30default_config_static_selectorELNS0_4arch9wavefront6targetE0EEEvT1_,"axG",@progbits,_ZN7rocprim17ROCPRIM_400000_NS6detail17trampoline_kernelINS0_14default_configENS1_27scan_by_key_config_selectorIjjEEZZNS1_16scan_by_key_implILNS1_25lookback_scan_determinismE0ELb0ES3_N6thrust23THRUST_200600_302600_NS6detail15normal_iteratorINS9_10device_ptrIjEEEESE_SE_jNS9_4plusIvEENS9_8equal_toIvEEjEE10hipError_tPvRmT2_T3_T4_T5_mT6_T7_P12ihipStream_tbENKUlT_T0_E_clISt17integral_constantIbLb1EESZ_EEDaSU_SV_EUlSU_E_NS1_11comp_targetILNS1_3genE4ELNS1_11target_archE910ELNS1_3gpuE8ELNS1_3repE0EEENS1_30default_config_static_selectorELNS0_4arch9wavefront6targetE0EEEvT1_,comdat
.Lfunc_end1839:
	.size	_ZN7rocprim17ROCPRIM_400000_NS6detail17trampoline_kernelINS0_14default_configENS1_27scan_by_key_config_selectorIjjEEZZNS1_16scan_by_key_implILNS1_25lookback_scan_determinismE0ELb0ES3_N6thrust23THRUST_200600_302600_NS6detail15normal_iteratorINS9_10device_ptrIjEEEESE_SE_jNS9_4plusIvEENS9_8equal_toIvEEjEE10hipError_tPvRmT2_T3_T4_T5_mT6_T7_P12ihipStream_tbENKUlT_T0_E_clISt17integral_constantIbLb1EESZ_EEDaSU_SV_EUlSU_E_NS1_11comp_targetILNS1_3genE4ELNS1_11target_archE910ELNS1_3gpuE8ELNS1_3repE0EEENS1_30default_config_static_selectorELNS0_4arch9wavefront6targetE0EEEvT1_, .Lfunc_end1839-_ZN7rocprim17ROCPRIM_400000_NS6detail17trampoline_kernelINS0_14default_configENS1_27scan_by_key_config_selectorIjjEEZZNS1_16scan_by_key_implILNS1_25lookback_scan_determinismE0ELb0ES3_N6thrust23THRUST_200600_302600_NS6detail15normal_iteratorINS9_10device_ptrIjEEEESE_SE_jNS9_4plusIvEENS9_8equal_toIvEEjEE10hipError_tPvRmT2_T3_T4_T5_mT6_T7_P12ihipStream_tbENKUlT_T0_E_clISt17integral_constantIbLb1EESZ_EEDaSU_SV_EUlSU_E_NS1_11comp_targetILNS1_3genE4ELNS1_11target_archE910ELNS1_3gpuE8ELNS1_3repE0EEENS1_30default_config_static_selectorELNS0_4arch9wavefront6targetE0EEEvT1_
                                        ; -- End function
	.set _ZN7rocprim17ROCPRIM_400000_NS6detail17trampoline_kernelINS0_14default_configENS1_27scan_by_key_config_selectorIjjEEZZNS1_16scan_by_key_implILNS1_25lookback_scan_determinismE0ELb0ES3_N6thrust23THRUST_200600_302600_NS6detail15normal_iteratorINS9_10device_ptrIjEEEESE_SE_jNS9_4plusIvEENS9_8equal_toIvEEjEE10hipError_tPvRmT2_T3_T4_T5_mT6_T7_P12ihipStream_tbENKUlT_T0_E_clISt17integral_constantIbLb1EESZ_EEDaSU_SV_EUlSU_E_NS1_11comp_targetILNS1_3genE4ELNS1_11target_archE910ELNS1_3gpuE8ELNS1_3repE0EEENS1_30default_config_static_selectorELNS0_4arch9wavefront6targetE0EEEvT1_.num_vgpr, 0
	.set _ZN7rocprim17ROCPRIM_400000_NS6detail17trampoline_kernelINS0_14default_configENS1_27scan_by_key_config_selectorIjjEEZZNS1_16scan_by_key_implILNS1_25lookback_scan_determinismE0ELb0ES3_N6thrust23THRUST_200600_302600_NS6detail15normal_iteratorINS9_10device_ptrIjEEEESE_SE_jNS9_4plusIvEENS9_8equal_toIvEEjEE10hipError_tPvRmT2_T3_T4_T5_mT6_T7_P12ihipStream_tbENKUlT_T0_E_clISt17integral_constantIbLb1EESZ_EEDaSU_SV_EUlSU_E_NS1_11comp_targetILNS1_3genE4ELNS1_11target_archE910ELNS1_3gpuE8ELNS1_3repE0EEENS1_30default_config_static_selectorELNS0_4arch9wavefront6targetE0EEEvT1_.num_agpr, 0
	.set _ZN7rocprim17ROCPRIM_400000_NS6detail17trampoline_kernelINS0_14default_configENS1_27scan_by_key_config_selectorIjjEEZZNS1_16scan_by_key_implILNS1_25lookback_scan_determinismE0ELb0ES3_N6thrust23THRUST_200600_302600_NS6detail15normal_iteratorINS9_10device_ptrIjEEEESE_SE_jNS9_4plusIvEENS9_8equal_toIvEEjEE10hipError_tPvRmT2_T3_T4_T5_mT6_T7_P12ihipStream_tbENKUlT_T0_E_clISt17integral_constantIbLb1EESZ_EEDaSU_SV_EUlSU_E_NS1_11comp_targetILNS1_3genE4ELNS1_11target_archE910ELNS1_3gpuE8ELNS1_3repE0EEENS1_30default_config_static_selectorELNS0_4arch9wavefront6targetE0EEEvT1_.numbered_sgpr, 0
	.set _ZN7rocprim17ROCPRIM_400000_NS6detail17trampoline_kernelINS0_14default_configENS1_27scan_by_key_config_selectorIjjEEZZNS1_16scan_by_key_implILNS1_25lookback_scan_determinismE0ELb0ES3_N6thrust23THRUST_200600_302600_NS6detail15normal_iteratorINS9_10device_ptrIjEEEESE_SE_jNS9_4plusIvEENS9_8equal_toIvEEjEE10hipError_tPvRmT2_T3_T4_T5_mT6_T7_P12ihipStream_tbENKUlT_T0_E_clISt17integral_constantIbLb1EESZ_EEDaSU_SV_EUlSU_E_NS1_11comp_targetILNS1_3genE4ELNS1_11target_archE910ELNS1_3gpuE8ELNS1_3repE0EEENS1_30default_config_static_selectorELNS0_4arch9wavefront6targetE0EEEvT1_.num_named_barrier, 0
	.set _ZN7rocprim17ROCPRIM_400000_NS6detail17trampoline_kernelINS0_14default_configENS1_27scan_by_key_config_selectorIjjEEZZNS1_16scan_by_key_implILNS1_25lookback_scan_determinismE0ELb0ES3_N6thrust23THRUST_200600_302600_NS6detail15normal_iteratorINS9_10device_ptrIjEEEESE_SE_jNS9_4plusIvEENS9_8equal_toIvEEjEE10hipError_tPvRmT2_T3_T4_T5_mT6_T7_P12ihipStream_tbENKUlT_T0_E_clISt17integral_constantIbLb1EESZ_EEDaSU_SV_EUlSU_E_NS1_11comp_targetILNS1_3genE4ELNS1_11target_archE910ELNS1_3gpuE8ELNS1_3repE0EEENS1_30default_config_static_selectorELNS0_4arch9wavefront6targetE0EEEvT1_.private_seg_size, 0
	.set _ZN7rocprim17ROCPRIM_400000_NS6detail17trampoline_kernelINS0_14default_configENS1_27scan_by_key_config_selectorIjjEEZZNS1_16scan_by_key_implILNS1_25lookback_scan_determinismE0ELb0ES3_N6thrust23THRUST_200600_302600_NS6detail15normal_iteratorINS9_10device_ptrIjEEEESE_SE_jNS9_4plusIvEENS9_8equal_toIvEEjEE10hipError_tPvRmT2_T3_T4_T5_mT6_T7_P12ihipStream_tbENKUlT_T0_E_clISt17integral_constantIbLb1EESZ_EEDaSU_SV_EUlSU_E_NS1_11comp_targetILNS1_3genE4ELNS1_11target_archE910ELNS1_3gpuE8ELNS1_3repE0EEENS1_30default_config_static_selectorELNS0_4arch9wavefront6targetE0EEEvT1_.uses_vcc, 0
	.set _ZN7rocprim17ROCPRIM_400000_NS6detail17trampoline_kernelINS0_14default_configENS1_27scan_by_key_config_selectorIjjEEZZNS1_16scan_by_key_implILNS1_25lookback_scan_determinismE0ELb0ES3_N6thrust23THRUST_200600_302600_NS6detail15normal_iteratorINS9_10device_ptrIjEEEESE_SE_jNS9_4plusIvEENS9_8equal_toIvEEjEE10hipError_tPvRmT2_T3_T4_T5_mT6_T7_P12ihipStream_tbENKUlT_T0_E_clISt17integral_constantIbLb1EESZ_EEDaSU_SV_EUlSU_E_NS1_11comp_targetILNS1_3genE4ELNS1_11target_archE910ELNS1_3gpuE8ELNS1_3repE0EEENS1_30default_config_static_selectorELNS0_4arch9wavefront6targetE0EEEvT1_.uses_flat_scratch, 0
	.set _ZN7rocprim17ROCPRIM_400000_NS6detail17trampoline_kernelINS0_14default_configENS1_27scan_by_key_config_selectorIjjEEZZNS1_16scan_by_key_implILNS1_25lookback_scan_determinismE0ELb0ES3_N6thrust23THRUST_200600_302600_NS6detail15normal_iteratorINS9_10device_ptrIjEEEESE_SE_jNS9_4plusIvEENS9_8equal_toIvEEjEE10hipError_tPvRmT2_T3_T4_T5_mT6_T7_P12ihipStream_tbENKUlT_T0_E_clISt17integral_constantIbLb1EESZ_EEDaSU_SV_EUlSU_E_NS1_11comp_targetILNS1_3genE4ELNS1_11target_archE910ELNS1_3gpuE8ELNS1_3repE0EEENS1_30default_config_static_selectorELNS0_4arch9wavefront6targetE0EEEvT1_.has_dyn_sized_stack, 0
	.set _ZN7rocprim17ROCPRIM_400000_NS6detail17trampoline_kernelINS0_14default_configENS1_27scan_by_key_config_selectorIjjEEZZNS1_16scan_by_key_implILNS1_25lookback_scan_determinismE0ELb0ES3_N6thrust23THRUST_200600_302600_NS6detail15normal_iteratorINS9_10device_ptrIjEEEESE_SE_jNS9_4plusIvEENS9_8equal_toIvEEjEE10hipError_tPvRmT2_T3_T4_T5_mT6_T7_P12ihipStream_tbENKUlT_T0_E_clISt17integral_constantIbLb1EESZ_EEDaSU_SV_EUlSU_E_NS1_11comp_targetILNS1_3genE4ELNS1_11target_archE910ELNS1_3gpuE8ELNS1_3repE0EEENS1_30default_config_static_selectorELNS0_4arch9wavefront6targetE0EEEvT1_.has_recursion, 0
	.set _ZN7rocprim17ROCPRIM_400000_NS6detail17trampoline_kernelINS0_14default_configENS1_27scan_by_key_config_selectorIjjEEZZNS1_16scan_by_key_implILNS1_25lookback_scan_determinismE0ELb0ES3_N6thrust23THRUST_200600_302600_NS6detail15normal_iteratorINS9_10device_ptrIjEEEESE_SE_jNS9_4plusIvEENS9_8equal_toIvEEjEE10hipError_tPvRmT2_T3_T4_T5_mT6_T7_P12ihipStream_tbENKUlT_T0_E_clISt17integral_constantIbLb1EESZ_EEDaSU_SV_EUlSU_E_NS1_11comp_targetILNS1_3genE4ELNS1_11target_archE910ELNS1_3gpuE8ELNS1_3repE0EEENS1_30default_config_static_selectorELNS0_4arch9wavefront6targetE0EEEvT1_.has_indirect_call, 0
	.section	.AMDGPU.csdata,"",@progbits
; Kernel info:
; codeLenInByte = 0
; TotalNumSgprs: 0
; NumVgprs: 0
; ScratchSize: 0
; MemoryBound: 0
; FloatMode: 240
; IeeeMode: 1
; LDSByteSize: 0 bytes/workgroup (compile time only)
; SGPRBlocks: 0
; VGPRBlocks: 0
; NumSGPRsForWavesPerEU: 1
; NumVGPRsForWavesPerEU: 1
; Occupancy: 16
; WaveLimiterHint : 0
; COMPUTE_PGM_RSRC2:SCRATCH_EN: 0
; COMPUTE_PGM_RSRC2:USER_SGPR: 6
; COMPUTE_PGM_RSRC2:TRAP_HANDLER: 0
; COMPUTE_PGM_RSRC2:TGID_X_EN: 1
; COMPUTE_PGM_RSRC2:TGID_Y_EN: 0
; COMPUTE_PGM_RSRC2:TGID_Z_EN: 0
; COMPUTE_PGM_RSRC2:TIDIG_COMP_CNT: 0
	.section	.text._ZN7rocprim17ROCPRIM_400000_NS6detail17trampoline_kernelINS0_14default_configENS1_27scan_by_key_config_selectorIjjEEZZNS1_16scan_by_key_implILNS1_25lookback_scan_determinismE0ELb0ES3_N6thrust23THRUST_200600_302600_NS6detail15normal_iteratorINS9_10device_ptrIjEEEESE_SE_jNS9_4plusIvEENS9_8equal_toIvEEjEE10hipError_tPvRmT2_T3_T4_T5_mT6_T7_P12ihipStream_tbENKUlT_T0_E_clISt17integral_constantIbLb1EESZ_EEDaSU_SV_EUlSU_E_NS1_11comp_targetILNS1_3genE3ELNS1_11target_archE908ELNS1_3gpuE7ELNS1_3repE0EEENS1_30default_config_static_selectorELNS0_4arch9wavefront6targetE0EEEvT1_,"axG",@progbits,_ZN7rocprim17ROCPRIM_400000_NS6detail17trampoline_kernelINS0_14default_configENS1_27scan_by_key_config_selectorIjjEEZZNS1_16scan_by_key_implILNS1_25lookback_scan_determinismE0ELb0ES3_N6thrust23THRUST_200600_302600_NS6detail15normal_iteratorINS9_10device_ptrIjEEEESE_SE_jNS9_4plusIvEENS9_8equal_toIvEEjEE10hipError_tPvRmT2_T3_T4_T5_mT6_T7_P12ihipStream_tbENKUlT_T0_E_clISt17integral_constantIbLb1EESZ_EEDaSU_SV_EUlSU_E_NS1_11comp_targetILNS1_3genE3ELNS1_11target_archE908ELNS1_3gpuE7ELNS1_3repE0EEENS1_30default_config_static_selectorELNS0_4arch9wavefront6targetE0EEEvT1_,comdat
	.protected	_ZN7rocprim17ROCPRIM_400000_NS6detail17trampoline_kernelINS0_14default_configENS1_27scan_by_key_config_selectorIjjEEZZNS1_16scan_by_key_implILNS1_25lookback_scan_determinismE0ELb0ES3_N6thrust23THRUST_200600_302600_NS6detail15normal_iteratorINS9_10device_ptrIjEEEESE_SE_jNS9_4plusIvEENS9_8equal_toIvEEjEE10hipError_tPvRmT2_T3_T4_T5_mT6_T7_P12ihipStream_tbENKUlT_T0_E_clISt17integral_constantIbLb1EESZ_EEDaSU_SV_EUlSU_E_NS1_11comp_targetILNS1_3genE3ELNS1_11target_archE908ELNS1_3gpuE7ELNS1_3repE0EEENS1_30default_config_static_selectorELNS0_4arch9wavefront6targetE0EEEvT1_ ; -- Begin function _ZN7rocprim17ROCPRIM_400000_NS6detail17trampoline_kernelINS0_14default_configENS1_27scan_by_key_config_selectorIjjEEZZNS1_16scan_by_key_implILNS1_25lookback_scan_determinismE0ELb0ES3_N6thrust23THRUST_200600_302600_NS6detail15normal_iteratorINS9_10device_ptrIjEEEESE_SE_jNS9_4plusIvEENS9_8equal_toIvEEjEE10hipError_tPvRmT2_T3_T4_T5_mT6_T7_P12ihipStream_tbENKUlT_T0_E_clISt17integral_constantIbLb1EESZ_EEDaSU_SV_EUlSU_E_NS1_11comp_targetILNS1_3genE3ELNS1_11target_archE908ELNS1_3gpuE7ELNS1_3repE0EEENS1_30default_config_static_selectorELNS0_4arch9wavefront6targetE0EEEvT1_
	.globl	_ZN7rocprim17ROCPRIM_400000_NS6detail17trampoline_kernelINS0_14default_configENS1_27scan_by_key_config_selectorIjjEEZZNS1_16scan_by_key_implILNS1_25lookback_scan_determinismE0ELb0ES3_N6thrust23THRUST_200600_302600_NS6detail15normal_iteratorINS9_10device_ptrIjEEEESE_SE_jNS9_4plusIvEENS9_8equal_toIvEEjEE10hipError_tPvRmT2_T3_T4_T5_mT6_T7_P12ihipStream_tbENKUlT_T0_E_clISt17integral_constantIbLb1EESZ_EEDaSU_SV_EUlSU_E_NS1_11comp_targetILNS1_3genE3ELNS1_11target_archE908ELNS1_3gpuE7ELNS1_3repE0EEENS1_30default_config_static_selectorELNS0_4arch9wavefront6targetE0EEEvT1_
	.p2align	8
	.type	_ZN7rocprim17ROCPRIM_400000_NS6detail17trampoline_kernelINS0_14default_configENS1_27scan_by_key_config_selectorIjjEEZZNS1_16scan_by_key_implILNS1_25lookback_scan_determinismE0ELb0ES3_N6thrust23THRUST_200600_302600_NS6detail15normal_iteratorINS9_10device_ptrIjEEEESE_SE_jNS9_4plusIvEENS9_8equal_toIvEEjEE10hipError_tPvRmT2_T3_T4_T5_mT6_T7_P12ihipStream_tbENKUlT_T0_E_clISt17integral_constantIbLb1EESZ_EEDaSU_SV_EUlSU_E_NS1_11comp_targetILNS1_3genE3ELNS1_11target_archE908ELNS1_3gpuE7ELNS1_3repE0EEENS1_30default_config_static_selectorELNS0_4arch9wavefront6targetE0EEEvT1_,@function
_ZN7rocprim17ROCPRIM_400000_NS6detail17trampoline_kernelINS0_14default_configENS1_27scan_by_key_config_selectorIjjEEZZNS1_16scan_by_key_implILNS1_25lookback_scan_determinismE0ELb0ES3_N6thrust23THRUST_200600_302600_NS6detail15normal_iteratorINS9_10device_ptrIjEEEESE_SE_jNS9_4plusIvEENS9_8equal_toIvEEjEE10hipError_tPvRmT2_T3_T4_T5_mT6_T7_P12ihipStream_tbENKUlT_T0_E_clISt17integral_constantIbLb1EESZ_EEDaSU_SV_EUlSU_E_NS1_11comp_targetILNS1_3genE3ELNS1_11target_archE908ELNS1_3gpuE7ELNS1_3repE0EEENS1_30default_config_static_selectorELNS0_4arch9wavefront6targetE0EEEvT1_: ; @_ZN7rocprim17ROCPRIM_400000_NS6detail17trampoline_kernelINS0_14default_configENS1_27scan_by_key_config_selectorIjjEEZZNS1_16scan_by_key_implILNS1_25lookback_scan_determinismE0ELb0ES3_N6thrust23THRUST_200600_302600_NS6detail15normal_iteratorINS9_10device_ptrIjEEEESE_SE_jNS9_4plusIvEENS9_8equal_toIvEEjEE10hipError_tPvRmT2_T3_T4_T5_mT6_T7_P12ihipStream_tbENKUlT_T0_E_clISt17integral_constantIbLb1EESZ_EEDaSU_SV_EUlSU_E_NS1_11comp_targetILNS1_3genE3ELNS1_11target_archE908ELNS1_3gpuE7ELNS1_3repE0EEENS1_30default_config_static_selectorELNS0_4arch9wavefront6targetE0EEEvT1_
; %bb.0:
	.section	.rodata,"a",@progbits
	.p2align	6, 0x0
	.amdhsa_kernel _ZN7rocprim17ROCPRIM_400000_NS6detail17trampoline_kernelINS0_14default_configENS1_27scan_by_key_config_selectorIjjEEZZNS1_16scan_by_key_implILNS1_25lookback_scan_determinismE0ELb0ES3_N6thrust23THRUST_200600_302600_NS6detail15normal_iteratorINS9_10device_ptrIjEEEESE_SE_jNS9_4plusIvEENS9_8equal_toIvEEjEE10hipError_tPvRmT2_T3_T4_T5_mT6_T7_P12ihipStream_tbENKUlT_T0_E_clISt17integral_constantIbLb1EESZ_EEDaSU_SV_EUlSU_E_NS1_11comp_targetILNS1_3genE3ELNS1_11target_archE908ELNS1_3gpuE7ELNS1_3repE0EEENS1_30default_config_static_selectorELNS0_4arch9wavefront6targetE0EEEvT1_
		.amdhsa_group_segment_fixed_size 0
		.amdhsa_private_segment_fixed_size 0
		.amdhsa_kernarg_size 112
		.amdhsa_user_sgpr_count 6
		.amdhsa_user_sgpr_private_segment_buffer 1
		.amdhsa_user_sgpr_dispatch_ptr 0
		.amdhsa_user_sgpr_queue_ptr 0
		.amdhsa_user_sgpr_kernarg_segment_ptr 1
		.amdhsa_user_sgpr_dispatch_id 0
		.amdhsa_user_sgpr_flat_scratch_init 0
		.amdhsa_user_sgpr_private_segment_size 0
		.amdhsa_wavefront_size32 1
		.amdhsa_uses_dynamic_stack 0
		.amdhsa_system_sgpr_private_segment_wavefront_offset 0
		.amdhsa_system_sgpr_workgroup_id_x 1
		.amdhsa_system_sgpr_workgroup_id_y 0
		.amdhsa_system_sgpr_workgroup_id_z 0
		.amdhsa_system_sgpr_workgroup_info 0
		.amdhsa_system_vgpr_workitem_id 0
		.amdhsa_next_free_vgpr 1
		.amdhsa_next_free_sgpr 1
		.amdhsa_reserve_vcc 0
		.amdhsa_reserve_flat_scratch 0
		.amdhsa_float_round_mode_32 0
		.amdhsa_float_round_mode_16_64 0
		.amdhsa_float_denorm_mode_32 3
		.amdhsa_float_denorm_mode_16_64 3
		.amdhsa_dx10_clamp 1
		.amdhsa_ieee_mode 1
		.amdhsa_fp16_overflow 0
		.amdhsa_workgroup_processor_mode 1
		.amdhsa_memory_ordered 1
		.amdhsa_forward_progress 1
		.amdhsa_shared_vgpr_count 0
		.amdhsa_exception_fp_ieee_invalid_op 0
		.amdhsa_exception_fp_denorm_src 0
		.amdhsa_exception_fp_ieee_div_zero 0
		.amdhsa_exception_fp_ieee_overflow 0
		.amdhsa_exception_fp_ieee_underflow 0
		.amdhsa_exception_fp_ieee_inexact 0
		.amdhsa_exception_int_div_zero 0
	.end_amdhsa_kernel
	.section	.text._ZN7rocprim17ROCPRIM_400000_NS6detail17trampoline_kernelINS0_14default_configENS1_27scan_by_key_config_selectorIjjEEZZNS1_16scan_by_key_implILNS1_25lookback_scan_determinismE0ELb0ES3_N6thrust23THRUST_200600_302600_NS6detail15normal_iteratorINS9_10device_ptrIjEEEESE_SE_jNS9_4plusIvEENS9_8equal_toIvEEjEE10hipError_tPvRmT2_T3_T4_T5_mT6_T7_P12ihipStream_tbENKUlT_T0_E_clISt17integral_constantIbLb1EESZ_EEDaSU_SV_EUlSU_E_NS1_11comp_targetILNS1_3genE3ELNS1_11target_archE908ELNS1_3gpuE7ELNS1_3repE0EEENS1_30default_config_static_selectorELNS0_4arch9wavefront6targetE0EEEvT1_,"axG",@progbits,_ZN7rocprim17ROCPRIM_400000_NS6detail17trampoline_kernelINS0_14default_configENS1_27scan_by_key_config_selectorIjjEEZZNS1_16scan_by_key_implILNS1_25lookback_scan_determinismE0ELb0ES3_N6thrust23THRUST_200600_302600_NS6detail15normal_iteratorINS9_10device_ptrIjEEEESE_SE_jNS9_4plusIvEENS9_8equal_toIvEEjEE10hipError_tPvRmT2_T3_T4_T5_mT6_T7_P12ihipStream_tbENKUlT_T0_E_clISt17integral_constantIbLb1EESZ_EEDaSU_SV_EUlSU_E_NS1_11comp_targetILNS1_3genE3ELNS1_11target_archE908ELNS1_3gpuE7ELNS1_3repE0EEENS1_30default_config_static_selectorELNS0_4arch9wavefront6targetE0EEEvT1_,comdat
.Lfunc_end1840:
	.size	_ZN7rocprim17ROCPRIM_400000_NS6detail17trampoline_kernelINS0_14default_configENS1_27scan_by_key_config_selectorIjjEEZZNS1_16scan_by_key_implILNS1_25lookback_scan_determinismE0ELb0ES3_N6thrust23THRUST_200600_302600_NS6detail15normal_iteratorINS9_10device_ptrIjEEEESE_SE_jNS9_4plusIvEENS9_8equal_toIvEEjEE10hipError_tPvRmT2_T3_T4_T5_mT6_T7_P12ihipStream_tbENKUlT_T0_E_clISt17integral_constantIbLb1EESZ_EEDaSU_SV_EUlSU_E_NS1_11comp_targetILNS1_3genE3ELNS1_11target_archE908ELNS1_3gpuE7ELNS1_3repE0EEENS1_30default_config_static_selectorELNS0_4arch9wavefront6targetE0EEEvT1_, .Lfunc_end1840-_ZN7rocprim17ROCPRIM_400000_NS6detail17trampoline_kernelINS0_14default_configENS1_27scan_by_key_config_selectorIjjEEZZNS1_16scan_by_key_implILNS1_25lookback_scan_determinismE0ELb0ES3_N6thrust23THRUST_200600_302600_NS6detail15normal_iteratorINS9_10device_ptrIjEEEESE_SE_jNS9_4plusIvEENS9_8equal_toIvEEjEE10hipError_tPvRmT2_T3_T4_T5_mT6_T7_P12ihipStream_tbENKUlT_T0_E_clISt17integral_constantIbLb1EESZ_EEDaSU_SV_EUlSU_E_NS1_11comp_targetILNS1_3genE3ELNS1_11target_archE908ELNS1_3gpuE7ELNS1_3repE0EEENS1_30default_config_static_selectorELNS0_4arch9wavefront6targetE0EEEvT1_
                                        ; -- End function
	.set _ZN7rocprim17ROCPRIM_400000_NS6detail17trampoline_kernelINS0_14default_configENS1_27scan_by_key_config_selectorIjjEEZZNS1_16scan_by_key_implILNS1_25lookback_scan_determinismE0ELb0ES3_N6thrust23THRUST_200600_302600_NS6detail15normal_iteratorINS9_10device_ptrIjEEEESE_SE_jNS9_4plusIvEENS9_8equal_toIvEEjEE10hipError_tPvRmT2_T3_T4_T5_mT6_T7_P12ihipStream_tbENKUlT_T0_E_clISt17integral_constantIbLb1EESZ_EEDaSU_SV_EUlSU_E_NS1_11comp_targetILNS1_3genE3ELNS1_11target_archE908ELNS1_3gpuE7ELNS1_3repE0EEENS1_30default_config_static_selectorELNS0_4arch9wavefront6targetE0EEEvT1_.num_vgpr, 0
	.set _ZN7rocprim17ROCPRIM_400000_NS6detail17trampoline_kernelINS0_14default_configENS1_27scan_by_key_config_selectorIjjEEZZNS1_16scan_by_key_implILNS1_25lookback_scan_determinismE0ELb0ES3_N6thrust23THRUST_200600_302600_NS6detail15normal_iteratorINS9_10device_ptrIjEEEESE_SE_jNS9_4plusIvEENS9_8equal_toIvEEjEE10hipError_tPvRmT2_T3_T4_T5_mT6_T7_P12ihipStream_tbENKUlT_T0_E_clISt17integral_constantIbLb1EESZ_EEDaSU_SV_EUlSU_E_NS1_11comp_targetILNS1_3genE3ELNS1_11target_archE908ELNS1_3gpuE7ELNS1_3repE0EEENS1_30default_config_static_selectorELNS0_4arch9wavefront6targetE0EEEvT1_.num_agpr, 0
	.set _ZN7rocprim17ROCPRIM_400000_NS6detail17trampoline_kernelINS0_14default_configENS1_27scan_by_key_config_selectorIjjEEZZNS1_16scan_by_key_implILNS1_25lookback_scan_determinismE0ELb0ES3_N6thrust23THRUST_200600_302600_NS6detail15normal_iteratorINS9_10device_ptrIjEEEESE_SE_jNS9_4plusIvEENS9_8equal_toIvEEjEE10hipError_tPvRmT2_T3_T4_T5_mT6_T7_P12ihipStream_tbENKUlT_T0_E_clISt17integral_constantIbLb1EESZ_EEDaSU_SV_EUlSU_E_NS1_11comp_targetILNS1_3genE3ELNS1_11target_archE908ELNS1_3gpuE7ELNS1_3repE0EEENS1_30default_config_static_selectorELNS0_4arch9wavefront6targetE0EEEvT1_.numbered_sgpr, 0
	.set _ZN7rocprim17ROCPRIM_400000_NS6detail17trampoline_kernelINS0_14default_configENS1_27scan_by_key_config_selectorIjjEEZZNS1_16scan_by_key_implILNS1_25lookback_scan_determinismE0ELb0ES3_N6thrust23THRUST_200600_302600_NS6detail15normal_iteratorINS9_10device_ptrIjEEEESE_SE_jNS9_4plusIvEENS9_8equal_toIvEEjEE10hipError_tPvRmT2_T3_T4_T5_mT6_T7_P12ihipStream_tbENKUlT_T0_E_clISt17integral_constantIbLb1EESZ_EEDaSU_SV_EUlSU_E_NS1_11comp_targetILNS1_3genE3ELNS1_11target_archE908ELNS1_3gpuE7ELNS1_3repE0EEENS1_30default_config_static_selectorELNS0_4arch9wavefront6targetE0EEEvT1_.num_named_barrier, 0
	.set _ZN7rocprim17ROCPRIM_400000_NS6detail17trampoline_kernelINS0_14default_configENS1_27scan_by_key_config_selectorIjjEEZZNS1_16scan_by_key_implILNS1_25lookback_scan_determinismE0ELb0ES3_N6thrust23THRUST_200600_302600_NS6detail15normal_iteratorINS9_10device_ptrIjEEEESE_SE_jNS9_4plusIvEENS9_8equal_toIvEEjEE10hipError_tPvRmT2_T3_T4_T5_mT6_T7_P12ihipStream_tbENKUlT_T0_E_clISt17integral_constantIbLb1EESZ_EEDaSU_SV_EUlSU_E_NS1_11comp_targetILNS1_3genE3ELNS1_11target_archE908ELNS1_3gpuE7ELNS1_3repE0EEENS1_30default_config_static_selectorELNS0_4arch9wavefront6targetE0EEEvT1_.private_seg_size, 0
	.set _ZN7rocprim17ROCPRIM_400000_NS6detail17trampoline_kernelINS0_14default_configENS1_27scan_by_key_config_selectorIjjEEZZNS1_16scan_by_key_implILNS1_25lookback_scan_determinismE0ELb0ES3_N6thrust23THRUST_200600_302600_NS6detail15normal_iteratorINS9_10device_ptrIjEEEESE_SE_jNS9_4plusIvEENS9_8equal_toIvEEjEE10hipError_tPvRmT2_T3_T4_T5_mT6_T7_P12ihipStream_tbENKUlT_T0_E_clISt17integral_constantIbLb1EESZ_EEDaSU_SV_EUlSU_E_NS1_11comp_targetILNS1_3genE3ELNS1_11target_archE908ELNS1_3gpuE7ELNS1_3repE0EEENS1_30default_config_static_selectorELNS0_4arch9wavefront6targetE0EEEvT1_.uses_vcc, 0
	.set _ZN7rocprim17ROCPRIM_400000_NS6detail17trampoline_kernelINS0_14default_configENS1_27scan_by_key_config_selectorIjjEEZZNS1_16scan_by_key_implILNS1_25lookback_scan_determinismE0ELb0ES3_N6thrust23THRUST_200600_302600_NS6detail15normal_iteratorINS9_10device_ptrIjEEEESE_SE_jNS9_4plusIvEENS9_8equal_toIvEEjEE10hipError_tPvRmT2_T3_T4_T5_mT6_T7_P12ihipStream_tbENKUlT_T0_E_clISt17integral_constantIbLb1EESZ_EEDaSU_SV_EUlSU_E_NS1_11comp_targetILNS1_3genE3ELNS1_11target_archE908ELNS1_3gpuE7ELNS1_3repE0EEENS1_30default_config_static_selectorELNS0_4arch9wavefront6targetE0EEEvT1_.uses_flat_scratch, 0
	.set _ZN7rocprim17ROCPRIM_400000_NS6detail17trampoline_kernelINS0_14default_configENS1_27scan_by_key_config_selectorIjjEEZZNS1_16scan_by_key_implILNS1_25lookback_scan_determinismE0ELb0ES3_N6thrust23THRUST_200600_302600_NS6detail15normal_iteratorINS9_10device_ptrIjEEEESE_SE_jNS9_4plusIvEENS9_8equal_toIvEEjEE10hipError_tPvRmT2_T3_T4_T5_mT6_T7_P12ihipStream_tbENKUlT_T0_E_clISt17integral_constantIbLb1EESZ_EEDaSU_SV_EUlSU_E_NS1_11comp_targetILNS1_3genE3ELNS1_11target_archE908ELNS1_3gpuE7ELNS1_3repE0EEENS1_30default_config_static_selectorELNS0_4arch9wavefront6targetE0EEEvT1_.has_dyn_sized_stack, 0
	.set _ZN7rocprim17ROCPRIM_400000_NS6detail17trampoline_kernelINS0_14default_configENS1_27scan_by_key_config_selectorIjjEEZZNS1_16scan_by_key_implILNS1_25lookback_scan_determinismE0ELb0ES3_N6thrust23THRUST_200600_302600_NS6detail15normal_iteratorINS9_10device_ptrIjEEEESE_SE_jNS9_4plusIvEENS9_8equal_toIvEEjEE10hipError_tPvRmT2_T3_T4_T5_mT6_T7_P12ihipStream_tbENKUlT_T0_E_clISt17integral_constantIbLb1EESZ_EEDaSU_SV_EUlSU_E_NS1_11comp_targetILNS1_3genE3ELNS1_11target_archE908ELNS1_3gpuE7ELNS1_3repE0EEENS1_30default_config_static_selectorELNS0_4arch9wavefront6targetE0EEEvT1_.has_recursion, 0
	.set _ZN7rocprim17ROCPRIM_400000_NS6detail17trampoline_kernelINS0_14default_configENS1_27scan_by_key_config_selectorIjjEEZZNS1_16scan_by_key_implILNS1_25lookback_scan_determinismE0ELb0ES3_N6thrust23THRUST_200600_302600_NS6detail15normal_iteratorINS9_10device_ptrIjEEEESE_SE_jNS9_4plusIvEENS9_8equal_toIvEEjEE10hipError_tPvRmT2_T3_T4_T5_mT6_T7_P12ihipStream_tbENKUlT_T0_E_clISt17integral_constantIbLb1EESZ_EEDaSU_SV_EUlSU_E_NS1_11comp_targetILNS1_3genE3ELNS1_11target_archE908ELNS1_3gpuE7ELNS1_3repE0EEENS1_30default_config_static_selectorELNS0_4arch9wavefront6targetE0EEEvT1_.has_indirect_call, 0
	.section	.AMDGPU.csdata,"",@progbits
; Kernel info:
; codeLenInByte = 0
; TotalNumSgprs: 0
; NumVgprs: 0
; ScratchSize: 0
; MemoryBound: 0
; FloatMode: 240
; IeeeMode: 1
; LDSByteSize: 0 bytes/workgroup (compile time only)
; SGPRBlocks: 0
; VGPRBlocks: 0
; NumSGPRsForWavesPerEU: 1
; NumVGPRsForWavesPerEU: 1
; Occupancy: 16
; WaveLimiterHint : 0
; COMPUTE_PGM_RSRC2:SCRATCH_EN: 0
; COMPUTE_PGM_RSRC2:USER_SGPR: 6
; COMPUTE_PGM_RSRC2:TRAP_HANDLER: 0
; COMPUTE_PGM_RSRC2:TGID_X_EN: 1
; COMPUTE_PGM_RSRC2:TGID_Y_EN: 0
; COMPUTE_PGM_RSRC2:TGID_Z_EN: 0
; COMPUTE_PGM_RSRC2:TIDIG_COMP_CNT: 0
	.section	.text._ZN7rocprim17ROCPRIM_400000_NS6detail17trampoline_kernelINS0_14default_configENS1_27scan_by_key_config_selectorIjjEEZZNS1_16scan_by_key_implILNS1_25lookback_scan_determinismE0ELb0ES3_N6thrust23THRUST_200600_302600_NS6detail15normal_iteratorINS9_10device_ptrIjEEEESE_SE_jNS9_4plusIvEENS9_8equal_toIvEEjEE10hipError_tPvRmT2_T3_T4_T5_mT6_T7_P12ihipStream_tbENKUlT_T0_E_clISt17integral_constantIbLb1EESZ_EEDaSU_SV_EUlSU_E_NS1_11comp_targetILNS1_3genE2ELNS1_11target_archE906ELNS1_3gpuE6ELNS1_3repE0EEENS1_30default_config_static_selectorELNS0_4arch9wavefront6targetE0EEEvT1_,"axG",@progbits,_ZN7rocprim17ROCPRIM_400000_NS6detail17trampoline_kernelINS0_14default_configENS1_27scan_by_key_config_selectorIjjEEZZNS1_16scan_by_key_implILNS1_25lookback_scan_determinismE0ELb0ES3_N6thrust23THRUST_200600_302600_NS6detail15normal_iteratorINS9_10device_ptrIjEEEESE_SE_jNS9_4plusIvEENS9_8equal_toIvEEjEE10hipError_tPvRmT2_T3_T4_T5_mT6_T7_P12ihipStream_tbENKUlT_T0_E_clISt17integral_constantIbLb1EESZ_EEDaSU_SV_EUlSU_E_NS1_11comp_targetILNS1_3genE2ELNS1_11target_archE906ELNS1_3gpuE6ELNS1_3repE0EEENS1_30default_config_static_selectorELNS0_4arch9wavefront6targetE0EEEvT1_,comdat
	.protected	_ZN7rocprim17ROCPRIM_400000_NS6detail17trampoline_kernelINS0_14default_configENS1_27scan_by_key_config_selectorIjjEEZZNS1_16scan_by_key_implILNS1_25lookback_scan_determinismE0ELb0ES3_N6thrust23THRUST_200600_302600_NS6detail15normal_iteratorINS9_10device_ptrIjEEEESE_SE_jNS9_4plusIvEENS9_8equal_toIvEEjEE10hipError_tPvRmT2_T3_T4_T5_mT6_T7_P12ihipStream_tbENKUlT_T0_E_clISt17integral_constantIbLb1EESZ_EEDaSU_SV_EUlSU_E_NS1_11comp_targetILNS1_3genE2ELNS1_11target_archE906ELNS1_3gpuE6ELNS1_3repE0EEENS1_30default_config_static_selectorELNS0_4arch9wavefront6targetE0EEEvT1_ ; -- Begin function _ZN7rocprim17ROCPRIM_400000_NS6detail17trampoline_kernelINS0_14default_configENS1_27scan_by_key_config_selectorIjjEEZZNS1_16scan_by_key_implILNS1_25lookback_scan_determinismE0ELb0ES3_N6thrust23THRUST_200600_302600_NS6detail15normal_iteratorINS9_10device_ptrIjEEEESE_SE_jNS9_4plusIvEENS9_8equal_toIvEEjEE10hipError_tPvRmT2_T3_T4_T5_mT6_T7_P12ihipStream_tbENKUlT_T0_E_clISt17integral_constantIbLb1EESZ_EEDaSU_SV_EUlSU_E_NS1_11comp_targetILNS1_3genE2ELNS1_11target_archE906ELNS1_3gpuE6ELNS1_3repE0EEENS1_30default_config_static_selectorELNS0_4arch9wavefront6targetE0EEEvT1_
	.globl	_ZN7rocprim17ROCPRIM_400000_NS6detail17trampoline_kernelINS0_14default_configENS1_27scan_by_key_config_selectorIjjEEZZNS1_16scan_by_key_implILNS1_25lookback_scan_determinismE0ELb0ES3_N6thrust23THRUST_200600_302600_NS6detail15normal_iteratorINS9_10device_ptrIjEEEESE_SE_jNS9_4plusIvEENS9_8equal_toIvEEjEE10hipError_tPvRmT2_T3_T4_T5_mT6_T7_P12ihipStream_tbENKUlT_T0_E_clISt17integral_constantIbLb1EESZ_EEDaSU_SV_EUlSU_E_NS1_11comp_targetILNS1_3genE2ELNS1_11target_archE906ELNS1_3gpuE6ELNS1_3repE0EEENS1_30default_config_static_selectorELNS0_4arch9wavefront6targetE0EEEvT1_
	.p2align	8
	.type	_ZN7rocprim17ROCPRIM_400000_NS6detail17trampoline_kernelINS0_14default_configENS1_27scan_by_key_config_selectorIjjEEZZNS1_16scan_by_key_implILNS1_25lookback_scan_determinismE0ELb0ES3_N6thrust23THRUST_200600_302600_NS6detail15normal_iteratorINS9_10device_ptrIjEEEESE_SE_jNS9_4plusIvEENS9_8equal_toIvEEjEE10hipError_tPvRmT2_T3_T4_T5_mT6_T7_P12ihipStream_tbENKUlT_T0_E_clISt17integral_constantIbLb1EESZ_EEDaSU_SV_EUlSU_E_NS1_11comp_targetILNS1_3genE2ELNS1_11target_archE906ELNS1_3gpuE6ELNS1_3repE0EEENS1_30default_config_static_selectorELNS0_4arch9wavefront6targetE0EEEvT1_,@function
_ZN7rocprim17ROCPRIM_400000_NS6detail17trampoline_kernelINS0_14default_configENS1_27scan_by_key_config_selectorIjjEEZZNS1_16scan_by_key_implILNS1_25lookback_scan_determinismE0ELb0ES3_N6thrust23THRUST_200600_302600_NS6detail15normal_iteratorINS9_10device_ptrIjEEEESE_SE_jNS9_4plusIvEENS9_8equal_toIvEEjEE10hipError_tPvRmT2_T3_T4_T5_mT6_T7_P12ihipStream_tbENKUlT_T0_E_clISt17integral_constantIbLb1EESZ_EEDaSU_SV_EUlSU_E_NS1_11comp_targetILNS1_3genE2ELNS1_11target_archE906ELNS1_3gpuE6ELNS1_3repE0EEENS1_30default_config_static_selectorELNS0_4arch9wavefront6targetE0EEEvT1_: ; @_ZN7rocprim17ROCPRIM_400000_NS6detail17trampoline_kernelINS0_14default_configENS1_27scan_by_key_config_selectorIjjEEZZNS1_16scan_by_key_implILNS1_25lookback_scan_determinismE0ELb0ES3_N6thrust23THRUST_200600_302600_NS6detail15normal_iteratorINS9_10device_ptrIjEEEESE_SE_jNS9_4plusIvEENS9_8equal_toIvEEjEE10hipError_tPvRmT2_T3_T4_T5_mT6_T7_P12ihipStream_tbENKUlT_T0_E_clISt17integral_constantIbLb1EESZ_EEDaSU_SV_EUlSU_E_NS1_11comp_targetILNS1_3genE2ELNS1_11target_archE906ELNS1_3gpuE6ELNS1_3repE0EEENS1_30default_config_static_selectorELNS0_4arch9wavefront6targetE0EEEvT1_
; %bb.0:
	.section	.rodata,"a",@progbits
	.p2align	6, 0x0
	.amdhsa_kernel _ZN7rocprim17ROCPRIM_400000_NS6detail17trampoline_kernelINS0_14default_configENS1_27scan_by_key_config_selectorIjjEEZZNS1_16scan_by_key_implILNS1_25lookback_scan_determinismE0ELb0ES3_N6thrust23THRUST_200600_302600_NS6detail15normal_iteratorINS9_10device_ptrIjEEEESE_SE_jNS9_4plusIvEENS9_8equal_toIvEEjEE10hipError_tPvRmT2_T3_T4_T5_mT6_T7_P12ihipStream_tbENKUlT_T0_E_clISt17integral_constantIbLb1EESZ_EEDaSU_SV_EUlSU_E_NS1_11comp_targetILNS1_3genE2ELNS1_11target_archE906ELNS1_3gpuE6ELNS1_3repE0EEENS1_30default_config_static_selectorELNS0_4arch9wavefront6targetE0EEEvT1_
		.amdhsa_group_segment_fixed_size 0
		.amdhsa_private_segment_fixed_size 0
		.amdhsa_kernarg_size 112
		.amdhsa_user_sgpr_count 6
		.amdhsa_user_sgpr_private_segment_buffer 1
		.amdhsa_user_sgpr_dispatch_ptr 0
		.amdhsa_user_sgpr_queue_ptr 0
		.amdhsa_user_sgpr_kernarg_segment_ptr 1
		.amdhsa_user_sgpr_dispatch_id 0
		.amdhsa_user_sgpr_flat_scratch_init 0
		.amdhsa_user_sgpr_private_segment_size 0
		.amdhsa_wavefront_size32 1
		.amdhsa_uses_dynamic_stack 0
		.amdhsa_system_sgpr_private_segment_wavefront_offset 0
		.amdhsa_system_sgpr_workgroup_id_x 1
		.amdhsa_system_sgpr_workgroup_id_y 0
		.amdhsa_system_sgpr_workgroup_id_z 0
		.amdhsa_system_sgpr_workgroup_info 0
		.amdhsa_system_vgpr_workitem_id 0
		.amdhsa_next_free_vgpr 1
		.amdhsa_next_free_sgpr 1
		.amdhsa_reserve_vcc 0
		.amdhsa_reserve_flat_scratch 0
		.amdhsa_float_round_mode_32 0
		.amdhsa_float_round_mode_16_64 0
		.amdhsa_float_denorm_mode_32 3
		.amdhsa_float_denorm_mode_16_64 3
		.amdhsa_dx10_clamp 1
		.amdhsa_ieee_mode 1
		.amdhsa_fp16_overflow 0
		.amdhsa_workgroup_processor_mode 1
		.amdhsa_memory_ordered 1
		.amdhsa_forward_progress 1
		.amdhsa_shared_vgpr_count 0
		.amdhsa_exception_fp_ieee_invalid_op 0
		.amdhsa_exception_fp_denorm_src 0
		.amdhsa_exception_fp_ieee_div_zero 0
		.amdhsa_exception_fp_ieee_overflow 0
		.amdhsa_exception_fp_ieee_underflow 0
		.amdhsa_exception_fp_ieee_inexact 0
		.amdhsa_exception_int_div_zero 0
	.end_amdhsa_kernel
	.section	.text._ZN7rocprim17ROCPRIM_400000_NS6detail17trampoline_kernelINS0_14default_configENS1_27scan_by_key_config_selectorIjjEEZZNS1_16scan_by_key_implILNS1_25lookback_scan_determinismE0ELb0ES3_N6thrust23THRUST_200600_302600_NS6detail15normal_iteratorINS9_10device_ptrIjEEEESE_SE_jNS9_4plusIvEENS9_8equal_toIvEEjEE10hipError_tPvRmT2_T3_T4_T5_mT6_T7_P12ihipStream_tbENKUlT_T0_E_clISt17integral_constantIbLb1EESZ_EEDaSU_SV_EUlSU_E_NS1_11comp_targetILNS1_3genE2ELNS1_11target_archE906ELNS1_3gpuE6ELNS1_3repE0EEENS1_30default_config_static_selectorELNS0_4arch9wavefront6targetE0EEEvT1_,"axG",@progbits,_ZN7rocprim17ROCPRIM_400000_NS6detail17trampoline_kernelINS0_14default_configENS1_27scan_by_key_config_selectorIjjEEZZNS1_16scan_by_key_implILNS1_25lookback_scan_determinismE0ELb0ES3_N6thrust23THRUST_200600_302600_NS6detail15normal_iteratorINS9_10device_ptrIjEEEESE_SE_jNS9_4plusIvEENS9_8equal_toIvEEjEE10hipError_tPvRmT2_T3_T4_T5_mT6_T7_P12ihipStream_tbENKUlT_T0_E_clISt17integral_constantIbLb1EESZ_EEDaSU_SV_EUlSU_E_NS1_11comp_targetILNS1_3genE2ELNS1_11target_archE906ELNS1_3gpuE6ELNS1_3repE0EEENS1_30default_config_static_selectorELNS0_4arch9wavefront6targetE0EEEvT1_,comdat
.Lfunc_end1841:
	.size	_ZN7rocprim17ROCPRIM_400000_NS6detail17trampoline_kernelINS0_14default_configENS1_27scan_by_key_config_selectorIjjEEZZNS1_16scan_by_key_implILNS1_25lookback_scan_determinismE0ELb0ES3_N6thrust23THRUST_200600_302600_NS6detail15normal_iteratorINS9_10device_ptrIjEEEESE_SE_jNS9_4plusIvEENS9_8equal_toIvEEjEE10hipError_tPvRmT2_T3_T4_T5_mT6_T7_P12ihipStream_tbENKUlT_T0_E_clISt17integral_constantIbLb1EESZ_EEDaSU_SV_EUlSU_E_NS1_11comp_targetILNS1_3genE2ELNS1_11target_archE906ELNS1_3gpuE6ELNS1_3repE0EEENS1_30default_config_static_selectorELNS0_4arch9wavefront6targetE0EEEvT1_, .Lfunc_end1841-_ZN7rocprim17ROCPRIM_400000_NS6detail17trampoline_kernelINS0_14default_configENS1_27scan_by_key_config_selectorIjjEEZZNS1_16scan_by_key_implILNS1_25lookback_scan_determinismE0ELb0ES3_N6thrust23THRUST_200600_302600_NS6detail15normal_iteratorINS9_10device_ptrIjEEEESE_SE_jNS9_4plusIvEENS9_8equal_toIvEEjEE10hipError_tPvRmT2_T3_T4_T5_mT6_T7_P12ihipStream_tbENKUlT_T0_E_clISt17integral_constantIbLb1EESZ_EEDaSU_SV_EUlSU_E_NS1_11comp_targetILNS1_3genE2ELNS1_11target_archE906ELNS1_3gpuE6ELNS1_3repE0EEENS1_30default_config_static_selectorELNS0_4arch9wavefront6targetE0EEEvT1_
                                        ; -- End function
	.set _ZN7rocprim17ROCPRIM_400000_NS6detail17trampoline_kernelINS0_14default_configENS1_27scan_by_key_config_selectorIjjEEZZNS1_16scan_by_key_implILNS1_25lookback_scan_determinismE0ELb0ES3_N6thrust23THRUST_200600_302600_NS6detail15normal_iteratorINS9_10device_ptrIjEEEESE_SE_jNS9_4plusIvEENS9_8equal_toIvEEjEE10hipError_tPvRmT2_T3_T4_T5_mT6_T7_P12ihipStream_tbENKUlT_T0_E_clISt17integral_constantIbLb1EESZ_EEDaSU_SV_EUlSU_E_NS1_11comp_targetILNS1_3genE2ELNS1_11target_archE906ELNS1_3gpuE6ELNS1_3repE0EEENS1_30default_config_static_selectorELNS0_4arch9wavefront6targetE0EEEvT1_.num_vgpr, 0
	.set _ZN7rocprim17ROCPRIM_400000_NS6detail17trampoline_kernelINS0_14default_configENS1_27scan_by_key_config_selectorIjjEEZZNS1_16scan_by_key_implILNS1_25lookback_scan_determinismE0ELb0ES3_N6thrust23THRUST_200600_302600_NS6detail15normal_iteratorINS9_10device_ptrIjEEEESE_SE_jNS9_4plusIvEENS9_8equal_toIvEEjEE10hipError_tPvRmT2_T3_T4_T5_mT6_T7_P12ihipStream_tbENKUlT_T0_E_clISt17integral_constantIbLb1EESZ_EEDaSU_SV_EUlSU_E_NS1_11comp_targetILNS1_3genE2ELNS1_11target_archE906ELNS1_3gpuE6ELNS1_3repE0EEENS1_30default_config_static_selectorELNS0_4arch9wavefront6targetE0EEEvT1_.num_agpr, 0
	.set _ZN7rocprim17ROCPRIM_400000_NS6detail17trampoline_kernelINS0_14default_configENS1_27scan_by_key_config_selectorIjjEEZZNS1_16scan_by_key_implILNS1_25lookback_scan_determinismE0ELb0ES3_N6thrust23THRUST_200600_302600_NS6detail15normal_iteratorINS9_10device_ptrIjEEEESE_SE_jNS9_4plusIvEENS9_8equal_toIvEEjEE10hipError_tPvRmT2_T3_T4_T5_mT6_T7_P12ihipStream_tbENKUlT_T0_E_clISt17integral_constantIbLb1EESZ_EEDaSU_SV_EUlSU_E_NS1_11comp_targetILNS1_3genE2ELNS1_11target_archE906ELNS1_3gpuE6ELNS1_3repE0EEENS1_30default_config_static_selectorELNS0_4arch9wavefront6targetE0EEEvT1_.numbered_sgpr, 0
	.set _ZN7rocprim17ROCPRIM_400000_NS6detail17trampoline_kernelINS0_14default_configENS1_27scan_by_key_config_selectorIjjEEZZNS1_16scan_by_key_implILNS1_25lookback_scan_determinismE0ELb0ES3_N6thrust23THRUST_200600_302600_NS6detail15normal_iteratorINS9_10device_ptrIjEEEESE_SE_jNS9_4plusIvEENS9_8equal_toIvEEjEE10hipError_tPvRmT2_T3_T4_T5_mT6_T7_P12ihipStream_tbENKUlT_T0_E_clISt17integral_constantIbLb1EESZ_EEDaSU_SV_EUlSU_E_NS1_11comp_targetILNS1_3genE2ELNS1_11target_archE906ELNS1_3gpuE6ELNS1_3repE0EEENS1_30default_config_static_selectorELNS0_4arch9wavefront6targetE0EEEvT1_.num_named_barrier, 0
	.set _ZN7rocprim17ROCPRIM_400000_NS6detail17trampoline_kernelINS0_14default_configENS1_27scan_by_key_config_selectorIjjEEZZNS1_16scan_by_key_implILNS1_25lookback_scan_determinismE0ELb0ES3_N6thrust23THRUST_200600_302600_NS6detail15normal_iteratorINS9_10device_ptrIjEEEESE_SE_jNS9_4plusIvEENS9_8equal_toIvEEjEE10hipError_tPvRmT2_T3_T4_T5_mT6_T7_P12ihipStream_tbENKUlT_T0_E_clISt17integral_constantIbLb1EESZ_EEDaSU_SV_EUlSU_E_NS1_11comp_targetILNS1_3genE2ELNS1_11target_archE906ELNS1_3gpuE6ELNS1_3repE0EEENS1_30default_config_static_selectorELNS0_4arch9wavefront6targetE0EEEvT1_.private_seg_size, 0
	.set _ZN7rocprim17ROCPRIM_400000_NS6detail17trampoline_kernelINS0_14default_configENS1_27scan_by_key_config_selectorIjjEEZZNS1_16scan_by_key_implILNS1_25lookback_scan_determinismE0ELb0ES3_N6thrust23THRUST_200600_302600_NS6detail15normal_iteratorINS9_10device_ptrIjEEEESE_SE_jNS9_4plusIvEENS9_8equal_toIvEEjEE10hipError_tPvRmT2_T3_T4_T5_mT6_T7_P12ihipStream_tbENKUlT_T0_E_clISt17integral_constantIbLb1EESZ_EEDaSU_SV_EUlSU_E_NS1_11comp_targetILNS1_3genE2ELNS1_11target_archE906ELNS1_3gpuE6ELNS1_3repE0EEENS1_30default_config_static_selectorELNS0_4arch9wavefront6targetE0EEEvT1_.uses_vcc, 0
	.set _ZN7rocprim17ROCPRIM_400000_NS6detail17trampoline_kernelINS0_14default_configENS1_27scan_by_key_config_selectorIjjEEZZNS1_16scan_by_key_implILNS1_25lookback_scan_determinismE0ELb0ES3_N6thrust23THRUST_200600_302600_NS6detail15normal_iteratorINS9_10device_ptrIjEEEESE_SE_jNS9_4plusIvEENS9_8equal_toIvEEjEE10hipError_tPvRmT2_T3_T4_T5_mT6_T7_P12ihipStream_tbENKUlT_T0_E_clISt17integral_constantIbLb1EESZ_EEDaSU_SV_EUlSU_E_NS1_11comp_targetILNS1_3genE2ELNS1_11target_archE906ELNS1_3gpuE6ELNS1_3repE0EEENS1_30default_config_static_selectorELNS0_4arch9wavefront6targetE0EEEvT1_.uses_flat_scratch, 0
	.set _ZN7rocprim17ROCPRIM_400000_NS6detail17trampoline_kernelINS0_14default_configENS1_27scan_by_key_config_selectorIjjEEZZNS1_16scan_by_key_implILNS1_25lookback_scan_determinismE0ELb0ES3_N6thrust23THRUST_200600_302600_NS6detail15normal_iteratorINS9_10device_ptrIjEEEESE_SE_jNS9_4plusIvEENS9_8equal_toIvEEjEE10hipError_tPvRmT2_T3_T4_T5_mT6_T7_P12ihipStream_tbENKUlT_T0_E_clISt17integral_constantIbLb1EESZ_EEDaSU_SV_EUlSU_E_NS1_11comp_targetILNS1_3genE2ELNS1_11target_archE906ELNS1_3gpuE6ELNS1_3repE0EEENS1_30default_config_static_selectorELNS0_4arch9wavefront6targetE0EEEvT1_.has_dyn_sized_stack, 0
	.set _ZN7rocprim17ROCPRIM_400000_NS6detail17trampoline_kernelINS0_14default_configENS1_27scan_by_key_config_selectorIjjEEZZNS1_16scan_by_key_implILNS1_25lookback_scan_determinismE0ELb0ES3_N6thrust23THRUST_200600_302600_NS6detail15normal_iteratorINS9_10device_ptrIjEEEESE_SE_jNS9_4plusIvEENS9_8equal_toIvEEjEE10hipError_tPvRmT2_T3_T4_T5_mT6_T7_P12ihipStream_tbENKUlT_T0_E_clISt17integral_constantIbLb1EESZ_EEDaSU_SV_EUlSU_E_NS1_11comp_targetILNS1_3genE2ELNS1_11target_archE906ELNS1_3gpuE6ELNS1_3repE0EEENS1_30default_config_static_selectorELNS0_4arch9wavefront6targetE0EEEvT1_.has_recursion, 0
	.set _ZN7rocprim17ROCPRIM_400000_NS6detail17trampoline_kernelINS0_14default_configENS1_27scan_by_key_config_selectorIjjEEZZNS1_16scan_by_key_implILNS1_25lookback_scan_determinismE0ELb0ES3_N6thrust23THRUST_200600_302600_NS6detail15normal_iteratorINS9_10device_ptrIjEEEESE_SE_jNS9_4plusIvEENS9_8equal_toIvEEjEE10hipError_tPvRmT2_T3_T4_T5_mT6_T7_P12ihipStream_tbENKUlT_T0_E_clISt17integral_constantIbLb1EESZ_EEDaSU_SV_EUlSU_E_NS1_11comp_targetILNS1_3genE2ELNS1_11target_archE906ELNS1_3gpuE6ELNS1_3repE0EEENS1_30default_config_static_selectorELNS0_4arch9wavefront6targetE0EEEvT1_.has_indirect_call, 0
	.section	.AMDGPU.csdata,"",@progbits
; Kernel info:
; codeLenInByte = 0
; TotalNumSgprs: 0
; NumVgprs: 0
; ScratchSize: 0
; MemoryBound: 0
; FloatMode: 240
; IeeeMode: 1
; LDSByteSize: 0 bytes/workgroup (compile time only)
; SGPRBlocks: 0
; VGPRBlocks: 0
; NumSGPRsForWavesPerEU: 1
; NumVGPRsForWavesPerEU: 1
; Occupancy: 16
; WaveLimiterHint : 0
; COMPUTE_PGM_RSRC2:SCRATCH_EN: 0
; COMPUTE_PGM_RSRC2:USER_SGPR: 6
; COMPUTE_PGM_RSRC2:TRAP_HANDLER: 0
; COMPUTE_PGM_RSRC2:TGID_X_EN: 1
; COMPUTE_PGM_RSRC2:TGID_Y_EN: 0
; COMPUTE_PGM_RSRC2:TGID_Z_EN: 0
; COMPUTE_PGM_RSRC2:TIDIG_COMP_CNT: 0
	.section	.text._ZN7rocprim17ROCPRIM_400000_NS6detail17trampoline_kernelINS0_14default_configENS1_27scan_by_key_config_selectorIjjEEZZNS1_16scan_by_key_implILNS1_25lookback_scan_determinismE0ELb0ES3_N6thrust23THRUST_200600_302600_NS6detail15normal_iteratorINS9_10device_ptrIjEEEESE_SE_jNS9_4plusIvEENS9_8equal_toIvEEjEE10hipError_tPvRmT2_T3_T4_T5_mT6_T7_P12ihipStream_tbENKUlT_T0_E_clISt17integral_constantIbLb1EESZ_EEDaSU_SV_EUlSU_E_NS1_11comp_targetILNS1_3genE10ELNS1_11target_archE1200ELNS1_3gpuE4ELNS1_3repE0EEENS1_30default_config_static_selectorELNS0_4arch9wavefront6targetE0EEEvT1_,"axG",@progbits,_ZN7rocprim17ROCPRIM_400000_NS6detail17trampoline_kernelINS0_14default_configENS1_27scan_by_key_config_selectorIjjEEZZNS1_16scan_by_key_implILNS1_25lookback_scan_determinismE0ELb0ES3_N6thrust23THRUST_200600_302600_NS6detail15normal_iteratorINS9_10device_ptrIjEEEESE_SE_jNS9_4plusIvEENS9_8equal_toIvEEjEE10hipError_tPvRmT2_T3_T4_T5_mT6_T7_P12ihipStream_tbENKUlT_T0_E_clISt17integral_constantIbLb1EESZ_EEDaSU_SV_EUlSU_E_NS1_11comp_targetILNS1_3genE10ELNS1_11target_archE1200ELNS1_3gpuE4ELNS1_3repE0EEENS1_30default_config_static_selectorELNS0_4arch9wavefront6targetE0EEEvT1_,comdat
	.protected	_ZN7rocprim17ROCPRIM_400000_NS6detail17trampoline_kernelINS0_14default_configENS1_27scan_by_key_config_selectorIjjEEZZNS1_16scan_by_key_implILNS1_25lookback_scan_determinismE0ELb0ES3_N6thrust23THRUST_200600_302600_NS6detail15normal_iteratorINS9_10device_ptrIjEEEESE_SE_jNS9_4plusIvEENS9_8equal_toIvEEjEE10hipError_tPvRmT2_T3_T4_T5_mT6_T7_P12ihipStream_tbENKUlT_T0_E_clISt17integral_constantIbLb1EESZ_EEDaSU_SV_EUlSU_E_NS1_11comp_targetILNS1_3genE10ELNS1_11target_archE1200ELNS1_3gpuE4ELNS1_3repE0EEENS1_30default_config_static_selectorELNS0_4arch9wavefront6targetE0EEEvT1_ ; -- Begin function _ZN7rocprim17ROCPRIM_400000_NS6detail17trampoline_kernelINS0_14default_configENS1_27scan_by_key_config_selectorIjjEEZZNS1_16scan_by_key_implILNS1_25lookback_scan_determinismE0ELb0ES3_N6thrust23THRUST_200600_302600_NS6detail15normal_iteratorINS9_10device_ptrIjEEEESE_SE_jNS9_4plusIvEENS9_8equal_toIvEEjEE10hipError_tPvRmT2_T3_T4_T5_mT6_T7_P12ihipStream_tbENKUlT_T0_E_clISt17integral_constantIbLb1EESZ_EEDaSU_SV_EUlSU_E_NS1_11comp_targetILNS1_3genE10ELNS1_11target_archE1200ELNS1_3gpuE4ELNS1_3repE0EEENS1_30default_config_static_selectorELNS0_4arch9wavefront6targetE0EEEvT1_
	.globl	_ZN7rocprim17ROCPRIM_400000_NS6detail17trampoline_kernelINS0_14default_configENS1_27scan_by_key_config_selectorIjjEEZZNS1_16scan_by_key_implILNS1_25lookback_scan_determinismE0ELb0ES3_N6thrust23THRUST_200600_302600_NS6detail15normal_iteratorINS9_10device_ptrIjEEEESE_SE_jNS9_4plusIvEENS9_8equal_toIvEEjEE10hipError_tPvRmT2_T3_T4_T5_mT6_T7_P12ihipStream_tbENKUlT_T0_E_clISt17integral_constantIbLb1EESZ_EEDaSU_SV_EUlSU_E_NS1_11comp_targetILNS1_3genE10ELNS1_11target_archE1200ELNS1_3gpuE4ELNS1_3repE0EEENS1_30default_config_static_selectorELNS0_4arch9wavefront6targetE0EEEvT1_
	.p2align	8
	.type	_ZN7rocprim17ROCPRIM_400000_NS6detail17trampoline_kernelINS0_14default_configENS1_27scan_by_key_config_selectorIjjEEZZNS1_16scan_by_key_implILNS1_25lookback_scan_determinismE0ELb0ES3_N6thrust23THRUST_200600_302600_NS6detail15normal_iteratorINS9_10device_ptrIjEEEESE_SE_jNS9_4plusIvEENS9_8equal_toIvEEjEE10hipError_tPvRmT2_T3_T4_T5_mT6_T7_P12ihipStream_tbENKUlT_T0_E_clISt17integral_constantIbLb1EESZ_EEDaSU_SV_EUlSU_E_NS1_11comp_targetILNS1_3genE10ELNS1_11target_archE1200ELNS1_3gpuE4ELNS1_3repE0EEENS1_30default_config_static_selectorELNS0_4arch9wavefront6targetE0EEEvT1_,@function
_ZN7rocprim17ROCPRIM_400000_NS6detail17trampoline_kernelINS0_14default_configENS1_27scan_by_key_config_selectorIjjEEZZNS1_16scan_by_key_implILNS1_25lookback_scan_determinismE0ELb0ES3_N6thrust23THRUST_200600_302600_NS6detail15normal_iteratorINS9_10device_ptrIjEEEESE_SE_jNS9_4plusIvEENS9_8equal_toIvEEjEE10hipError_tPvRmT2_T3_T4_T5_mT6_T7_P12ihipStream_tbENKUlT_T0_E_clISt17integral_constantIbLb1EESZ_EEDaSU_SV_EUlSU_E_NS1_11comp_targetILNS1_3genE10ELNS1_11target_archE1200ELNS1_3gpuE4ELNS1_3repE0EEENS1_30default_config_static_selectorELNS0_4arch9wavefront6targetE0EEEvT1_: ; @_ZN7rocprim17ROCPRIM_400000_NS6detail17trampoline_kernelINS0_14default_configENS1_27scan_by_key_config_selectorIjjEEZZNS1_16scan_by_key_implILNS1_25lookback_scan_determinismE0ELb0ES3_N6thrust23THRUST_200600_302600_NS6detail15normal_iteratorINS9_10device_ptrIjEEEESE_SE_jNS9_4plusIvEENS9_8equal_toIvEEjEE10hipError_tPvRmT2_T3_T4_T5_mT6_T7_P12ihipStream_tbENKUlT_T0_E_clISt17integral_constantIbLb1EESZ_EEDaSU_SV_EUlSU_E_NS1_11comp_targetILNS1_3genE10ELNS1_11target_archE1200ELNS1_3gpuE4ELNS1_3repE0EEENS1_30default_config_static_selectorELNS0_4arch9wavefront6targetE0EEEvT1_
; %bb.0:
	.section	.rodata,"a",@progbits
	.p2align	6, 0x0
	.amdhsa_kernel _ZN7rocprim17ROCPRIM_400000_NS6detail17trampoline_kernelINS0_14default_configENS1_27scan_by_key_config_selectorIjjEEZZNS1_16scan_by_key_implILNS1_25lookback_scan_determinismE0ELb0ES3_N6thrust23THRUST_200600_302600_NS6detail15normal_iteratorINS9_10device_ptrIjEEEESE_SE_jNS9_4plusIvEENS9_8equal_toIvEEjEE10hipError_tPvRmT2_T3_T4_T5_mT6_T7_P12ihipStream_tbENKUlT_T0_E_clISt17integral_constantIbLb1EESZ_EEDaSU_SV_EUlSU_E_NS1_11comp_targetILNS1_3genE10ELNS1_11target_archE1200ELNS1_3gpuE4ELNS1_3repE0EEENS1_30default_config_static_selectorELNS0_4arch9wavefront6targetE0EEEvT1_
		.amdhsa_group_segment_fixed_size 0
		.amdhsa_private_segment_fixed_size 0
		.amdhsa_kernarg_size 112
		.amdhsa_user_sgpr_count 6
		.amdhsa_user_sgpr_private_segment_buffer 1
		.amdhsa_user_sgpr_dispatch_ptr 0
		.amdhsa_user_sgpr_queue_ptr 0
		.amdhsa_user_sgpr_kernarg_segment_ptr 1
		.amdhsa_user_sgpr_dispatch_id 0
		.amdhsa_user_sgpr_flat_scratch_init 0
		.amdhsa_user_sgpr_private_segment_size 0
		.amdhsa_wavefront_size32 1
		.amdhsa_uses_dynamic_stack 0
		.amdhsa_system_sgpr_private_segment_wavefront_offset 0
		.amdhsa_system_sgpr_workgroup_id_x 1
		.amdhsa_system_sgpr_workgroup_id_y 0
		.amdhsa_system_sgpr_workgroup_id_z 0
		.amdhsa_system_sgpr_workgroup_info 0
		.amdhsa_system_vgpr_workitem_id 0
		.amdhsa_next_free_vgpr 1
		.amdhsa_next_free_sgpr 1
		.amdhsa_reserve_vcc 0
		.amdhsa_reserve_flat_scratch 0
		.amdhsa_float_round_mode_32 0
		.amdhsa_float_round_mode_16_64 0
		.amdhsa_float_denorm_mode_32 3
		.amdhsa_float_denorm_mode_16_64 3
		.amdhsa_dx10_clamp 1
		.amdhsa_ieee_mode 1
		.amdhsa_fp16_overflow 0
		.amdhsa_workgroup_processor_mode 1
		.amdhsa_memory_ordered 1
		.amdhsa_forward_progress 1
		.amdhsa_shared_vgpr_count 0
		.amdhsa_exception_fp_ieee_invalid_op 0
		.amdhsa_exception_fp_denorm_src 0
		.amdhsa_exception_fp_ieee_div_zero 0
		.amdhsa_exception_fp_ieee_overflow 0
		.amdhsa_exception_fp_ieee_underflow 0
		.amdhsa_exception_fp_ieee_inexact 0
		.amdhsa_exception_int_div_zero 0
	.end_amdhsa_kernel
	.section	.text._ZN7rocprim17ROCPRIM_400000_NS6detail17trampoline_kernelINS0_14default_configENS1_27scan_by_key_config_selectorIjjEEZZNS1_16scan_by_key_implILNS1_25lookback_scan_determinismE0ELb0ES3_N6thrust23THRUST_200600_302600_NS6detail15normal_iteratorINS9_10device_ptrIjEEEESE_SE_jNS9_4plusIvEENS9_8equal_toIvEEjEE10hipError_tPvRmT2_T3_T4_T5_mT6_T7_P12ihipStream_tbENKUlT_T0_E_clISt17integral_constantIbLb1EESZ_EEDaSU_SV_EUlSU_E_NS1_11comp_targetILNS1_3genE10ELNS1_11target_archE1200ELNS1_3gpuE4ELNS1_3repE0EEENS1_30default_config_static_selectorELNS0_4arch9wavefront6targetE0EEEvT1_,"axG",@progbits,_ZN7rocprim17ROCPRIM_400000_NS6detail17trampoline_kernelINS0_14default_configENS1_27scan_by_key_config_selectorIjjEEZZNS1_16scan_by_key_implILNS1_25lookback_scan_determinismE0ELb0ES3_N6thrust23THRUST_200600_302600_NS6detail15normal_iteratorINS9_10device_ptrIjEEEESE_SE_jNS9_4plusIvEENS9_8equal_toIvEEjEE10hipError_tPvRmT2_T3_T4_T5_mT6_T7_P12ihipStream_tbENKUlT_T0_E_clISt17integral_constantIbLb1EESZ_EEDaSU_SV_EUlSU_E_NS1_11comp_targetILNS1_3genE10ELNS1_11target_archE1200ELNS1_3gpuE4ELNS1_3repE0EEENS1_30default_config_static_selectorELNS0_4arch9wavefront6targetE0EEEvT1_,comdat
.Lfunc_end1842:
	.size	_ZN7rocprim17ROCPRIM_400000_NS6detail17trampoline_kernelINS0_14default_configENS1_27scan_by_key_config_selectorIjjEEZZNS1_16scan_by_key_implILNS1_25lookback_scan_determinismE0ELb0ES3_N6thrust23THRUST_200600_302600_NS6detail15normal_iteratorINS9_10device_ptrIjEEEESE_SE_jNS9_4plusIvEENS9_8equal_toIvEEjEE10hipError_tPvRmT2_T3_T4_T5_mT6_T7_P12ihipStream_tbENKUlT_T0_E_clISt17integral_constantIbLb1EESZ_EEDaSU_SV_EUlSU_E_NS1_11comp_targetILNS1_3genE10ELNS1_11target_archE1200ELNS1_3gpuE4ELNS1_3repE0EEENS1_30default_config_static_selectorELNS0_4arch9wavefront6targetE0EEEvT1_, .Lfunc_end1842-_ZN7rocprim17ROCPRIM_400000_NS6detail17trampoline_kernelINS0_14default_configENS1_27scan_by_key_config_selectorIjjEEZZNS1_16scan_by_key_implILNS1_25lookback_scan_determinismE0ELb0ES3_N6thrust23THRUST_200600_302600_NS6detail15normal_iteratorINS9_10device_ptrIjEEEESE_SE_jNS9_4plusIvEENS9_8equal_toIvEEjEE10hipError_tPvRmT2_T3_T4_T5_mT6_T7_P12ihipStream_tbENKUlT_T0_E_clISt17integral_constantIbLb1EESZ_EEDaSU_SV_EUlSU_E_NS1_11comp_targetILNS1_3genE10ELNS1_11target_archE1200ELNS1_3gpuE4ELNS1_3repE0EEENS1_30default_config_static_selectorELNS0_4arch9wavefront6targetE0EEEvT1_
                                        ; -- End function
	.set _ZN7rocprim17ROCPRIM_400000_NS6detail17trampoline_kernelINS0_14default_configENS1_27scan_by_key_config_selectorIjjEEZZNS1_16scan_by_key_implILNS1_25lookback_scan_determinismE0ELb0ES3_N6thrust23THRUST_200600_302600_NS6detail15normal_iteratorINS9_10device_ptrIjEEEESE_SE_jNS9_4plusIvEENS9_8equal_toIvEEjEE10hipError_tPvRmT2_T3_T4_T5_mT6_T7_P12ihipStream_tbENKUlT_T0_E_clISt17integral_constantIbLb1EESZ_EEDaSU_SV_EUlSU_E_NS1_11comp_targetILNS1_3genE10ELNS1_11target_archE1200ELNS1_3gpuE4ELNS1_3repE0EEENS1_30default_config_static_selectorELNS0_4arch9wavefront6targetE0EEEvT1_.num_vgpr, 0
	.set _ZN7rocprim17ROCPRIM_400000_NS6detail17trampoline_kernelINS0_14default_configENS1_27scan_by_key_config_selectorIjjEEZZNS1_16scan_by_key_implILNS1_25lookback_scan_determinismE0ELb0ES3_N6thrust23THRUST_200600_302600_NS6detail15normal_iteratorINS9_10device_ptrIjEEEESE_SE_jNS9_4plusIvEENS9_8equal_toIvEEjEE10hipError_tPvRmT2_T3_T4_T5_mT6_T7_P12ihipStream_tbENKUlT_T0_E_clISt17integral_constantIbLb1EESZ_EEDaSU_SV_EUlSU_E_NS1_11comp_targetILNS1_3genE10ELNS1_11target_archE1200ELNS1_3gpuE4ELNS1_3repE0EEENS1_30default_config_static_selectorELNS0_4arch9wavefront6targetE0EEEvT1_.num_agpr, 0
	.set _ZN7rocprim17ROCPRIM_400000_NS6detail17trampoline_kernelINS0_14default_configENS1_27scan_by_key_config_selectorIjjEEZZNS1_16scan_by_key_implILNS1_25lookback_scan_determinismE0ELb0ES3_N6thrust23THRUST_200600_302600_NS6detail15normal_iteratorINS9_10device_ptrIjEEEESE_SE_jNS9_4plusIvEENS9_8equal_toIvEEjEE10hipError_tPvRmT2_T3_T4_T5_mT6_T7_P12ihipStream_tbENKUlT_T0_E_clISt17integral_constantIbLb1EESZ_EEDaSU_SV_EUlSU_E_NS1_11comp_targetILNS1_3genE10ELNS1_11target_archE1200ELNS1_3gpuE4ELNS1_3repE0EEENS1_30default_config_static_selectorELNS0_4arch9wavefront6targetE0EEEvT1_.numbered_sgpr, 0
	.set _ZN7rocprim17ROCPRIM_400000_NS6detail17trampoline_kernelINS0_14default_configENS1_27scan_by_key_config_selectorIjjEEZZNS1_16scan_by_key_implILNS1_25lookback_scan_determinismE0ELb0ES3_N6thrust23THRUST_200600_302600_NS6detail15normal_iteratorINS9_10device_ptrIjEEEESE_SE_jNS9_4plusIvEENS9_8equal_toIvEEjEE10hipError_tPvRmT2_T3_T4_T5_mT6_T7_P12ihipStream_tbENKUlT_T0_E_clISt17integral_constantIbLb1EESZ_EEDaSU_SV_EUlSU_E_NS1_11comp_targetILNS1_3genE10ELNS1_11target_archE1200ELNS1_3gpuE4ELNS1_3repE0EEENS1_30default_config_static_selectorELNS0_4arch9wavefront6targetE0EEEvT1_.num_named_barrier, 0
	.set _ZN7rocprim17ROCPRIM_400000_NS6detail17trampoline_kernelINS0_14default_configENS1_27scan_by_key_config_selectorIjjEEZZNS1_16scan_by_key_implILNS1_25lookback_scan_determinismE0ELb0ES3_N6thrust23THRUST_200600_302600_NS6detail15normal_iteratorINS9_10device_ptrIjEEEESE_SE_jNS9_4plusIvEENS9_8equal_toIvEEjEE10hipError_tPvRmT2_T3_T4_T5_mT6_T7_P12ihipStream_tbENKUlT_T0_E_clISt17integral_constantIbLb1EESZ_EEDaSU_SV_EUlSU_E_NS1_11comp_targetILNS1_3genE10ELNS1_11target_archE1200ELNS1_3gpuE4ELNS1_3repE0EEENS1_30default_config_static_selectorELNS0_4arch9wavefront6targetE0EEEvT1_.private_seg_size, 0
	.set _ZN7rocprim17ROCPRIM_400000_NS6detail17trampoline_kernelINS0_14default_configENS1_27scan_by_key_config_selectorIjjEEZZNS1_16scan_by_key_implILNS1_25lookback_scan_determinismE0ELb0ES3_N6thrust23THRUST_200600_302600_NS6detail15normal_iteratorINS9_10device_ptrIjEEEESE_SE_jNS9_4plusIvEENS9_8equal_toIvEEjEE10hipError_tPvRmT2_T3_T4_T5_mT6_T7_P12ihipStream_tbENKUlT_T0_E_clISt17integral_constantIbLb1EESZ_EEDaSU_SV_EUlSU_E_NS1_11comp_targetILNS1_3genE10ELNS1_11target_archE1200ELNS1_3gpuE4ELNS1_3repE0EEENS1_30default_config_static_selectorELNS0_4arch9wavefront6targetE0EEEvT1_.uses_vcc, 0
	.set _ZN7rocprim17ROCPRIM_400000_NS6detail17trampoline_kernelINS0_14default_configENS1_27scan_by_key_config_selectorIjjEEZZNS1_16scan_by_key_implILNS1_25lookback_scan_determinismE0ELb0ES3_N6thrust23THRUST_200600_302600_NS6detail15normal_iteratorINS9_10device_ptrIjEEEESE_SE_jNS9_4plusIvEENS9_8equal_toIvEEjEE10hipError_tPvRmT2_T3_T4_T5_mT6_T7_P12ihipStream_tbENKUlT_T0_E_clISt17integral_constantIbLb1EESZ_EEDaSU_SV_EUlSU_E_NS1_11comp_targetILNS1_3genE10ELNS1_11target_archE1200ELNS1_3gpuE4ELNS1_3repE0EEENS1_30default_config_static_selectorELNS0_4arch9wavefront6targetE0EEEvT1_.uses_flat_scratch, 0
	.set _ZN7rocprim17ROCPRIM_400000_NS6detail17trampoline_kernelINS0_14default_configENS1_27scan_by_key_config_selectorIjjEEZZNS1_16scan_by_key_implILNS1_25lookback_scan_determinismE0ELb0ES3_N6thrust23THRUST_200600_302600_NS6detail15normal_iteratorINS9_10device_ptrIjEEEESE_SE_jNS9_4plusIvEENS9_8equal_toIvEEjEE10hipError_tPvRmT2_T3_T4_T5_mT6_T7_P12ihipStream_tbENKUlT_T0_E_clISt17integral_constantIbLb1EESZ_EEDaSU_SV_EUlSU_E_NS1_11comp_targetILNS1_3genE10ELNS1_11target_archE1200ELNS1_3gpuE4ELNS1_3repE0EEENS1_30default_config_static_selectorELNS0_4arch9wavefront6targetE0EEEvT1_.has_dyn_sized_stack, 0
	.set _ZN7rocprim17ROCPRIM_400000_NS6detail17trampoline_kernelINS0_14default_configENS1_27scan_by_key_config_selectorIjjEEZZNS1_16scan_by_key_implILNS1_25lookback_scan_determinismE0ELb0ES3_N6thrust23THRUST_200600_302600_NS6detail15normal_iteratorINS9_10device_ptrIjEEEESE_SE_jNS9_4plusIvEENS9_8equal_toIvEEjEE10hipError_tPvRmT2_T3_T4_T5_mT6_T7_P12ihipStream_tbENKUlT_T0_E_clISt17integral_constantIbLb1EESZ_EEDaSU_SV_EUlSU_E_NS1_11comp_targetILNS1_3genE10ELNS1_11target_archE1200ELNS1_3gpuE4ELNS1_3repE0EEENS1_30default_config_static_selectorELNS0_4arch9wavefront6targetE0EEEvT1_.has_recursion, 0
	.set _ZN7rocprim17ROCPRIM_400000_NS6detail17trampoline_kernelINS0_14default_configENS1_27scan_by_key_config_selectorIjjEEZZNS1_16scan_by_key_implILNS1_25lookback_scan_determinismE0ELb0ES3_N6thrust23THRUST_200600_302600_NS6detail15normal_iteratorINS9_10device_ptrIjEEEESE_SE_jNS9_4plusIvEENS9_8equal_toIvEEjEE10hipError_tPvRmT2_T3_T4_T5_mT6_T7_P12ihipStream_tbENKUlT_T0_E_clISt17integral_constantIbLb1EESZ_EEDaSU_SV_EUlSU_E_NS1_11comp_targetILNS1_3genE10ELNS1_11target_archE1200ELNS1_3gpuE4ELNS1_3repE0EEENS1_30default_config_static_selectorELNS0_4arch9wavefront6targetE0EEEvT1_.has_indirect_call, 0
	.section	.AMDGPU.csdata,"",@progbits
; Kernel info:
; codeLenInByte = 0
; TotalNumSgprs: 0
; NumVgprs: 0
; ScratchSize: 0
; MemoryBound: 0
; FloatMode: 240
; IeeeMode: 1
; LDSByteSize: 0 bytes/workgroup (compile time only)
; SGPRBlocks: 0
; VGPRBlocks: 0
; NumSGPRsForWavesPerEU: 1
; NumVGPRsForWavesPerEU: 1
; Occupancy: 16
; WaveLimiterHint : 0
; COMPUTE_PGM_RSRC2:SCRATCH_EN: 0
; COMPUTE_PGM_RSRC2:USER_SGPR: 6
; COMPUTE_PGM_RSRC2:TRAP_HANDLER: 0
; COMPUTE_PGM_RSRC2:TGID_X_EN: 1
; COMPUTE_PGM_RSRC2:TGID_Y_EN: 0
; COMPUTE_PGM_RSRC2:TGID_Z_EN: 0
; COMPUTE_PGM_RSRC2:TIDIG_COMP_CNT: 0
	.section	.text._ZN7rocprim17ROCPRIM_400000_NS6detail17trampoline_kernelINS0_14default_configENS1_27scan_by_key_config_selectorIjjEEZZNS1_16scan_by_key_implILNS1_25lookback_scan_determinismE0ELb0ES3_N6thrust23THRUST_200600_302600_NS6detail15normal_iteratorINS9_10device_ptrIjEEEESE_SE_jNS9_4plusIvEENS9_8equal_toIvEEjEE10hipError_tPvRmT2_T3_T4_T5_mT6_T7_P12ihipStream_tbENKUlT_T0_E_clISt17integral_constantIbLb1EESZ_EEDaSU_SV_EUlSU_E_NS1_11comp_targetILNS1_3genE9ELNS1_11target_archE1100ELNS1_3gpuE3ELNS1_3repE0EEENS1_30default_config_static_selectorELNS0_4arch9wavefront6targetE0EEEvT1_,"axG",@progbits,_ZN7rocprim17ROCPRIM_400000_NS6detail17trampoline_kernelINS0_14default_configENS1_27scan_by_key_config_selectorIjjEEZZNS1_16scan_by_key_implILNS1_25lookback_scan_determinismE0ELb0ES3_N6thrust23THRUST_200600_302600_NS6detail15normal_iteratorINS9_10device_ptrIjEEEESE_SE_jNS9_4plusIvEENS9_8equal_toIvEEjEE10hipError_tPvRmT2_T3_T4_T5_mT6_T7_P12ihipStream_tbENKUlT_T0_E_clISt17integral_constantIbLb1EESZ_EEDaSU_SV_EUlSU_E_NS1_11comp_targetILNS1_3genE9ELNS1_11target_archE1100ELNS1_3gpuE3ELNS1_3repE0EEENS1_30default_config_static_selectorELNS0_4arch9wavefront6targetE0EEEvT1_,comdat
	.protected	_ZN7rocprim17ROCPRIM_400000_NS6detail17trampoline_kernelINS0_14default_configENS1_27scan_by_key_config_selectorIjjEEZZNS1_16scan_by_key_implILNS1_25lookback_scan_determinismE0ELb0ES3_N6thrust23THRUST_200600_302600_NS6detail15normal_iteratorINS9_10device_ptrIjEEEESE_SE_jNS9_4plusIvEENS9_8equal_toIvEEjEE10hipError_tPvRmT2_T3_T4_T5_mT6_T7_P12ihipStream_tbENKUlT_T0_E_clISt17integral_constantIbLb1EESZ_EEDaSU_SV_EUlSU_E_NS1_11comp_targetILNS1_3genE9ELNS1_11target_archE1100ELNS1_3gpuE3ELNS1_3repE0EEENS1_30default_config_static_selectorELNS0_4arch9wavefront6targetE0EEEvT1_ ; -- Begin function _ZN7rocprim17ROCPRIM_400000_NS6detail17trampoline_kernelINS0_14default_configENS1_27scan_by_key_config_selectorIjjEEZZNS1_16scan_by_key_implILNS1_25lookback_scan_determinismE0ELb0ES3_N6thrust23THRUST_200600_302600_NS6detail15normal_iteratorINS9_10device_ptrIjEEEESE_SE_jNS9_4plusIvEENS9_8equal_toIvEEjEE10hipError_tPvRmT2_T3_T4_T5_mT6_T7_P12ihipStream_tbENKUlT_T0_E_clISt17integral_constantIbLb1EESZ_EEDaSU_SV_EUlSU_E_NS1_11comp_targetILNS1_3genE9ELNS1_11target_archE1100ELNS1_3gpuE3ELNS1_3repE0EEENS1_30default_config_static_selectorELNS0_4arch9wavefront6targetE0EEEvT1_
	.globl	_ZN7rocprim17ROCPRIM_400000_NS6detail17trampoline_kernelINS0_14default_configENS1_27scan_by_key_config_selectorIjjEEZZNS1_16scan_by_key_implILNS1_25lookback_scan_determinismE0ELb0ES3_N6thrust23THRUST_200600_302600_NS6detail15normal_iteratorINS9_10device_ptrIjEEEESE_SE_jNS9_4plusIvEENS9_8equal_toIvEEjEE10hipError_tPvRmT2_T3_T4_T5_mT6_T7_P12ihipStream_tbENKUlT_T0_E_clISt17integral_constantIbLb1EESZ_EEDaSU_SV_EUlSU_E_NS1_11comp_targetILNS1_3genE9ELNS1_11target_archE1100ELNS1_3gpuE3ELNS1_3repE0EEENS1_30default_config_static_selectorELNS0_4arch9wavefront6targetE0EEEvT1_
	.p2align	8
	.type	_ZN7rocprim17ROCPRIM_400000_NS6detail17trampoline_kernelINS0_14default_configENS1_27scan_by_key_config_selectorIjjEEZZNS1_16scan_by_key_implILNS1_25lookback_scan_determinismE0ELb0ES3_N6thrust23THRUST_200600_302600_NS6detail15normal_iteratorINS9_10device_ptrIjEEEESE_SE_jNS9_4plusIvEENS9_8equal_toIvEEjEE10hipError_tPvRmT2_T3_T4_T5_mT6_T7_P12ihipStream_tbENKUlT_T0_E_clISt17integral_constantIbLb1EESZ_EEDaSU_SV_EUlSU_E_NS1_11comp_targetILNS1_3genE9ELNS1_11target_archE1100ELNS1_3gpuE3ELNS1_3repE0EEENS1_30default_config_static_selectorELNS0_4arch9wavefront6targetE0EEEvT1_,@function
_ZN7rocprim17ROCPRIM_400000_NS6detail17trampoline_kernelINS0_14default_configENS1_27scan_by_key_config_selectorIjjEEZZNS1_16scan_by_key_implILNS1_25lookback_scan_determinismE0ELb0ES3_N6thrust23THRUST_200600_302600_NS6detail15normal_iteratorINS9_10device_ptrIjEEEESE_SE_jNS9_4plusIvEENS9_8equal_toIvEEjEE10hipError_tPvRmT2_T3_T4_T5_mT6_T7_P12ihipStream_tbENKUlT_T0_E_clISt17integral_constantIbLb1EESZ_EEDaSU_SV_EUlSU_E_NS1_11comp_targetILNS1_3genE9ELNS1_11target_archE1100ELNS1_3gpuE3ELNS1_3repE0EEENS1_30default_config_static_selectorELNS0_4arch9wavefront6targetE0EEEvT1_: ; @_ZN7rocprim17ROCPRIM_400000_NS6detail17trampoline_kernelINS0_14default_configENS1_27scan_by_key_config_selectorIjjEEZZNS1_16scan_by_key_implILNS1_25lookback_scan_determinismE0ELb0ES3_N6thrust23THRUST_200600_302600_NS6detail15normal_iteratorINS9_10device_ptrIjEEEESE_SE_jNS9_4plusIvEENS9_8equal_toIvEEjEE10hipError_tPvRmT2_T3_T4_T5_mT6_T7_P12ihipStream_tbENKUlT_T0_E_clISt17integral_constantIbLb1EESZ_EEDaSU_SV_EUlSU_E_NS1_11comp_targetILNS1_3genE9ELNS1_11target_archE1100ELNS1_3gpuE3ELNS1_3repE0EEENS1_30default_config_static_selectorELNS0_4arch9wavefront6targetE0EEEvT1_
; %bb.0:
	.section	.rodata,"a",@progbits
	.p2align	6, 0x0
	.amdhsa_kernel _ZN7rocprim17ROCPRIM_400000_NS6detail17trampoline_kernelINS0_14default_configENS1_27scan_by_key_config_selectorIjjEEZZNS1_16scan_by_key_implILNS1_25lookback_scan_determinismE0ELb0ES3_N6thrust23THRUST_200600_302600_NS6detail15normal_iteratorINS9_10device_ptrIjEEEESE_SE_jNS9_4plusIvEENS9_8equal_toIvEEjEE10hipError_tPvRmT2_T3_T4_T5_mT6_T7_P12ihipStream_tbENKUlT_T0_E_clISt17integral_constantIbLb1EESZ_EEDaSU_SV_EUlSU_E_NS1_11comp_targetILNS1_3genE9ELNS1_11target_archE1100ELNS1_3gpuE3ELNS1_3repE0EEENS1_30default_config_static_selectorELNS0_4arch9wavefront6targetE0EEEvT1_
		.amdhsa_group_segment_fixed_size 0
		.amdhsa_private_segment_fixed_size 0
		.amdhsa_kernarg_size 112
		.amdhsa_user_sgpr_count 6
		.amdhsa_user_sgpr_private_segment_buffer 1
		.amdhsa_user_sgpr_dispatch_ptr 0
		.amdhsa_user_sgpr_queue_ptr 0
		.amdhsa_user_sgpr_kernarg_segment_ptr 1
		.amdhsa_user_sgpr_dispatch_id 0
		.amdhsa_user_sgpr_flat_scratch_init 0
		.amdhsa_user_sgpr_private_segment_size 0
		.amdhsa_wavefront_size32 1
		.amdhsa_uses_dynamic_stack 0
		.amdhsa_system_sgpr_private_segment_wavefront_offset 0
		.amdhsa_system_sgpr_workgroup_id_x 1
		.amdhsa_system_sgpr_workgroup_id_y 0
		.amdhsa_system_sgpr_workgroup_id_z 0
		.amdhsa_system_sgpr_workgroup_info 0
		.amdhsa_system_vgpr_workitem_id 0
		.amdhsa_next_free_vgpr 1
		.amdhsa_next_free_sgpr 1
		.amdhsa_reserve_vcc 0
		.amdhsa_reserve_flat_scratch 0
		.amdhsa_float_round_mode_32 0
		.amdhsa_float_round_mode_16_64 0
		.amdhsa_float_denorm_mode_32 3
		.amdhsa_float_denorm_mode_16_64 3
		.amdhsa_dx10_clamp 1
		.amdhsa_ieee_mode 1
		.amdhsa_fp16_overflow 0
		.amdhsa_workgroup_processor_mode 1
		.amdhsa_memory_ordered 1
		.amdhsa_forward_progress 1
		.amdhsa_shared_vgpr_count 0
		.amdhsa_exception_fp_ieee_invalid_op 0
		.amdhsa_exception_fp_denorm_src 0
		.amdhsa_exception_fp_ieee_div_zero 0
		.amdhsa_exception_fp_ieee_overflow 0
		.amdhsa_exception_fp_ieee_underflow 0
		.amdhsa_exception_fp_ieee_inexact 0
		.amdhsa_exception_int_div_zero 0
	.end_amdhsa_kernel
	.section	.text._ZN7rocprim17ROCPRIM_400000_NS6detail17trampoline_kernelINS0_14default_configENS1_27scan_by_key_config_selectorIjjEEZZNS1_16scan_by_key_implILNS1_25lookback_scan_determinismE0ELb0ES3_N6thrust23THRUST_200600_302600_NS6detail15normal_iteratorINS9_10device_ptrIjEEEESE_SE_jNS9_4plusIvEENS9_8equal_toIvEEjEE10hipError_tPvRmT2_T3_T4_T5_mT6_T7_P12ihipStream_tbENKUlT_T0_E_clISt17integral_constantIbLb1EESZ_EEDaSU_SV_EUlSU_E_NS1_11comp_targetILNS1_3genE9ELNS1_11target_archE1100ELNS1_3gpuE3ELNS1_3repE0EEENS1_30default_config_static_selectorELNS0_4arch9wavefront6targetE0EEEvT1_,"axG",@progbits,_ZN7rocprim17ROCPRIM_400000_NS6detail17trampoline_kernelINS0_14default_configENS1_27scan_by_key_config_selectorIjjEEZZNS1_16scan_by_key_implILNS1_25lookback_scan_determinismE0ELb0ES3_N6thrust23THRUST_200600_302600_NS6detail15normal_iteratorINS9_10device_ptrIjEEEESE_SE_jNS9_4plusIvEENS9_8equal_toIvEEjEE10hipError_tPvRmT2_T3_T4_T5_mT6_T7_P12ihipStream_tbENKUlT_T0_E_clISt17integral_constantIbLb1EESZ_EEDaSU_SV_EUlSU_E_NS1_11comp_targetILNS1_3genE9ELNS1_11target_archE1100ELNS1_3gpuE3ELNS1_3repE0EEENS1_30default_config_static_selectorELNS0_4arch9wavefront6targetE0EEEvT1_,comdat
.Lfunc_end1843:
	.size	_ZN7rocprim17ROCPRIM_400000_NS6detail17trampoline_kernelINS0_14default_configENS1_27scan_by_key_config_selectorIjjEEZZNS1_16scan_by_key_implILNS1_25lookback_scan_determinismE0ELb0ES3_N6thrust23THRUST_200600_302600_NS6detail15normal_iteratorINS9_10device_ptrIjEEEESE_SE_jNS9_4plusIvEENS9_8equal_toIvEEjEE10hipError_tPvRmT2_T3_T4_T5_mT6_T7_P12ihipStream_tbENKUlT_T0_E_clISt17integral_constantIbLb1EESZ_EEDaSU_SV_EUlSU_E_NS1_11comp_targetILNS1_3genE9ELNS1_11target_archE1100ELNS1_3gpuE3ELNS1_3repE0EEENS1_30default_config_static_selectorELNS0_4arch9wavefront6targetE0EEEvT1_, .Lfunc_end1843-_ZN7rocprim17ROCPRIM_400000_NS6detail17trampoline_kernelINS0_14default_configENS1_27scan_by_key_config_selectorIjjEEZZNS1_16scan_by_key_implILNS1_25lookback_scan_determinismE0ELb0ES3_N6thrust23THRUST_200600_302600_NS6detail15normal_iteratorINS9_10device_ptrIjEEEESE_SE_jNS9_4plusIvEENS9_8equal_toIvEEjEE10hipError_tPvRmT2_T3_T4_T5_mT6_T7_P12ihipStream_tbENKUlT_T0_E_clISt17integral_constantIbLb1EESZ_EEDaSU_SV_EUlSU_E_NS1_11comp_targetILNS1_3genE9ELNS1_11target_archE1100ELNS1_3gpuE3ELNS1_3repE0EEENS1_30default_config_static_selectorELNS0_4arch9wavefront6targetE0EEEvT1_
                                        ; -- End function
	.set _ZN7rocprim17ROCPRIM_400000_NS6detail17trampoline_kernelINS0_14default_configENS1_27scan_by_key_config_selectorIjjEEZZNS1_16scan_by_key_implILNS1_25lookback_scan_determinismE0ELb0ES3_N6thrust23THRUST_200600_302600_NS6detail15normal_iteratorINS9_10device_ptrIjEEEESE_SE_jNS9_4plusIvEENS9_8equal_toIvEEjEE10hipError_tPvRmT2_T3_T4_T5_mT6_T7_P12ihipStream_tbENKUlT_T0_E_clISt17integral_constantIbLb1EESZ_EEDaSU_SV_EUlSU_E_NS1_11comp_targetILNS1_3genE9ELNS1_11target_archE1100ELNS1_3gpuE3ELNS1_3repE0EEENS1_30default_config_static_selectorELNS0_4arch9wavefront6targetE0EEEvT1_.num_vgpr, 0
	.set _ZN7rocprim17ROCPRIM_400000_NS6detail17trampoline_kernelINS0_14default_configENS1_27scan_by_key_config_selectorIjjEEZZNS1_16scan_by_key_implILNS1_25lookback_scan_determinismE0ELb0ES3_N6thrust23THRUST_200600_302600_NS6detail15normal_iteratorINS9_10device_ptrIjEEEESE_SE_jNS9_4plusIvEENS9_8equal_toIvEEjEE10hipError_tPvRmT2_T3_T4_T5_mT6_T7_P12ihipStream_tbENKUlT_T0_E_clISt17integral_constantIbLb1EESZ_EEDaSU_SV_EUlSU_E_NS1_11comp_targetILNS1_3genE9ELNS1_11target_archE1100ELNS1_3gpuE3ELNS1_3repE0EEENS1_30default_config_static_selectorELNS0_4arch9wavefront6targetE0EEEvT1_.num_agpr, 0
	.set _ZN7rocprim17ROCPRIM_400000_NS6detail17trampoline_kernelINS0_14default_configENS1_27scan_by_key_config_selectorIjjEEZZNS1_16scan_by_key_implILNS1_25lookback_scan_determinismE0ELb0ES3_N6thrust23THRUST_200600_302600_NS6detail15normal_iteratorINS9_10device_ptrIjEEEESE_SE_jNS9_4plusIvEENS9_8equal_toIvEEjEE10hipError_tPvRmT2_T3_T4_T5_mT6_T7_P12ihipStream_tbENKUlT_T0_E_clISt17integral_constantIbLb1EESZ_EEDaSU_SV_EUlSU_E_NS1_11comp_targetILNS1_3genE9ELNS1_11target_archE1100ELNS1_3gpuE3ELNS1_3repE0EEENS1_30default_config_static_selectorELNS0_4arch9wavefront6targetE0EEEvT1_.numbered_sgpr, 0
	.set _ZN7rocprim17ROCPRIM_400000_NS6detail17trampoline_kernelINS0_14default_configENS1_27scan_by_key_config_selectorIjjEEZZNS1_16scan_by_key_implILNS1_25lookback_scan_determinismE0ELb0ES3_N6thrust23THRUST_200600_302600_NS6detail15normal_iteratorINS9_10device_ptrIjEEEESE_SE_jNS9_4plusIvEENS9_8equal_toIvEEjEE10hipError_tPvRmT2_T3_T4_T5_mT6_T7_P12ihipStream_tbENKUlT_T0_E_clISt17integral_constantIbLb1EESZ_EEDaSU_SV_EUlSU_E_NS1_11comp_targetILNS1_3genE9ELNS1_11target_archE1100ELNS1_3gpuE3ELNS1_3repE0EEENS1_30default_config_static_selectorELNS0_4arch9wavefront6targetE0EEEvT1_.num_named_barrier, 0
	.set _ZN7rocprim17ROCPRIM_400000_NS6detail17trampoline_kernelINS0_14default_configENS1_27scan_by_key_config_selectorIjjEEZZNS1_16scan_by_key_implILNS1_25lookback_scan_determinismE0ELb0ES3_N6thrust23THRUST_200600_302600_NS6detail15normal_iteratorINS9_10device_ptrIjEEEESE_SE_jNS9_4plusIvEENS9_8equal_toIvEEjEE10hipError_tPvRmT2_T3_T4_T5_mT6_T7_P12ihipStream_tbENKUlT_T0_E_clISt17integral_constantIbLb1EESZ_EEDaSU_SV_EUlSU_E_NS1_11comp_targetILNS1_3genE9ELNS1_11target_archE1100ELNS1_3gpuE3ELNS1_3repE0EEENS1_30default_config_static_selectorELNS0_4arch9wavefront6targetE0EEEvT1_.private_seg_size, 0
	.set _ZN7rocprim17ROCPRIM_400000_NS6detail17trampoline_kernelINS0_14default_configENS1_27scan_by_key_config_selectorIjjEEZZNS1_16scan_by_key_implILNS1_25lookback_scan_determinismE0ELb0ES3_N6thrust23THRUST_200600_302600_NS6detail15normal_iteratorINS9_10device_ptrIjEEEESE_SE_jNS9_4plusIvEENS9_8equal_toIvEEjEE10hipError_tPvRmT2_T3_T4_T5_mT6_T7_P12ihipStream_tbENKUlT_T0_E_clISt17integral_constantIbLb1EESZ_EEDaSU_SV_EUlSU_E_NS1_11comp_targetILNS1_3genE9ELNS1_11target_archE1100ELNS1_3gpuE3ELNS1_3repE0EEENS1_30default_config_static_selectorELNS0_4arch9wavefront6targetE0EEEvT1_.uses_vcc, 0
	.set _ZN7rocprim17ROCPRIM_400000_NS6detail17trampoline_kernelINS0_14default_configENS1_27scan_by_key_config_selectorIjjEEZZNS1_16scan_by_key_implILNS1_25lookback_scan_determinismE0ELb0ES3_N6thrust23THRUST_200600_302600_NS6detail15normal_iteratorINS9_10device_ptrIjEEEESE_SE_jNS9_4plusIvEENS9_8equal_toIvEEjEE10hipError_tPvRmT2_T3_T4_T5_mT6_T7_P12ihipStream_tbENKUlT_T0_E_clISt17integral_constantIbLb1EESZ_EEDaSU_SV_EUlSU_E_NS1_11comp_targetILNS1_3genE9ELNS1_11target_archE1100ELNS1_3gpuE3ELNS1_3repE0EEENS1_30default_config_static_selectorELNS0_4arch9wavefront6targetE0EEEvT1_.uses_flat_scratch, 0
	.set _ZN7rocprim17ROCPRIM_400000_NS6detail17trampoline_kernelINS0_14default_configENS1_27scan_by_key_config_selectorIjjEEZZNS1_16scan_by_key_implILNS1_25lookback_scan_determinismE0ELb0ES3_N6thrust23THRUST_200600_302600_NS6detail15normal_iteratorINS9_10device_ptrIjEEEESE_SE_jNS9_4plusIvEENS9_8equal_toIvEEjEE10hipError_tPvRmT2_T3_T4_T5_mT6_T7_P12ihipStream_tbENKUlT_T0_E_clISt17integral_constantIbLb1EESZ_EEDaSU_SV_EUlSU_E_NS1_11comp_targetILNS1_3genE9ELNS1_11target_archE1100ELNS1_3gpuE3ELNS1_3repE0EEENS1_30default_config_static_selectorELNS0_4arch9wavefront6targetE0EEEvT1_.has_dyn_sized_stack, 0
	.set _ZN7rocprim17ROCPRIM_400000_NS6detail17trampoline_kernelINS0_14default_configENS1_27scan_by_key_config_selectorIjjEEZZNS1_16scan_by_key_implILNS1_25lookback_scan_determinismE0ELb0ES3_N6thrust23THRUST_200600_302600_NS6detail15normal_iteratorINS9_10device_ptrIjEEEESE_SE_jNS9_4plusIvEENS9_8equal_toIvEEjEE10hipError_tPvRmT2_T3_T4_T5_mT6_T7_P12ihipStream_tbENKUlT_T0_E_clISt17integral_constantIbLb1EESZ_EEDaSU_SV_EUlSU_E_NS1_11comp_targetILNS1_3genE9ELNS1_11target_archE1100ELNS1_3gpuE3ELNS1_3repE0EEENS1_30default_config_static_selectorELNS0_4arch9wavefront6targetE0EEEvT1_.has_recursion, 0
	.set _ZN7rocprim17ROCPRIM_400000_NS6detail17trampoline_kernelINS0_14default_configENS1_27scan_by_key_config_selectorIjjEEZZNS1_16scan_by_key_implILNS1_25lookback_scan_determinismE0ELb0ES3_N6thrust23THRUST_200600_302600_NS6detail15normal_iteratorINS9_10device_ptrIjEEEESE_SE_jNS9_4plusIvEENS9_8equal_toIvEEjEE10hipError_tPvRmT2_T3_T4_T5_mT6_T7_P12ihipStream_tbENKUlT_T0_E_clISt17integral_constantIbLb1EESZ_EEDaSU_SV_EUlSU_E_NS1_11comp_targetILNS1_3genE9ELNS1_11target_archE1100ELNS1_3gpuE3ELNS1_3repE0EEENS1_30default_config_static_selectorELNS0_4arch9wavefront6targetE0EEEvT1_.has_indirect_call, 0
	.section	.AMDGPU.csdata,"",@progbits
; Kernel info:
; codeLenInByte = 0
; TotalNumSgprs: 0
; NumVgprs: 0
; ScratchSize: 0
; MemoryBound: 0
; FloatMode: 240
; IeeeMode: 1
; LDSByteSize: 0 bytes/workgroup (compile time only)
; SGPRBlocks: 0
; VGPRBlocks: 0
; NumSGPRsForWavesPerEU: 1
; NumVGPRsForWavesPerEU: 1
; Occupancy: 16
; WaveLimiterHint : 0
; COMPUTE_PGM_RSRC2:SCRATCH_EN: 0
; COMPUTE_PGM_RSRC2:USER_SGPR: 6
; COMPUTE_PGM_RSRC2:TRAP_HANDLER: 0
; COMPUTE_PGM_RSRC2:TGID_X_EN: 1
; COMPUTE_PGM_RSRC2:TGID_Y_EN: 0
; COMPUTE_PGM_RSRC2:TGID_Z_EN: 0
; COMPUTE_PGM_RSRC2:TIDIG_COMP_CNT: 0
	.section	.text._ZN7rocprim17ROCPRIM_400000_NS6detail17trampoline_kernelINS0_14default_configENS1_27scan_by_key_config_selectorIjjEEZZNS1_16scan_by_key_implILNS1_25lookback_scan_determinismE0ELb0ES3_N6thrust23THRUST_200600_302600_NS6detail15normal_iteratorINS9_10device_ptrIjEEEESE_SE_jNS9_4plusIvEENS9_8equal_toIvEEjEE10hipError_tPvRmT2_T3_T4_T5_mT6_T7_P12ihipStream_tbENKUlT_T0_E_clISt17integral_constantIbLb1EESZ_EEDaSU_SV_EUlSU_E_NS1_11comp_targetILNS1_3genE8ELNS1_11target_archE1030ELNS1_3gpuE2ELNS1_3repE0EEENS1_30default_config_static_selectorELNS0_4arch9wavefront6targetE0EEEvT1_,"axG",@progbits,_ZN7rocprim17ROCPRIM_400000_NS6detail17trampoline_kernelINS0_14default_configENS1_27scan_by_key_config_selectorIjjEEZZNS1_16scan_by_key_implILNS1_25lookback_scan_determinismE0ELb0ES3_N6thrust23THRUST_200600_302600_NS6detail15normal_iteratorINS9_10device_ptrIjEEEESE_SE_jNS9_4plusIvEENS9_8equal_toIvEEjEE10hipError_tPvRmT2_T3_T4_T5_mT6_T7_P12ihipStream_tbENKUlT_T0_E_clISt17integral_constantIbLb1EESZ_EEDaSU_SV_EUlSU_E_NS1_11comp_targetILNS1_3genE8ELNS1_11target_archE1030ELNS1_3gpuE2ELNS1_3repE0EEENS1_30default_config_static_selectorELNS0_4arch9wavefront6targetE0EEEvT1_,comdat
	.protected	_ZN7rocprim17ROCPRIM_400000_NS6detail17trampoline_kernelINS0_14default_configENS1_27scan_by_key_config_selectorIjjEEZZNS1_16scan_by_key_implILNS1_25lookback_scan_determinismE0ELb0ES3_N6thrust23THRUST_200600_302600_NS6detail15normal_iteratorINS9_10device_ptrIjEEEESE_SE_jNS9_4plusIvEENS9_8equal_toIvEEjEE10hipError_tPvRmT2_T3_T4_T5_mT6_T7_P12ihipStream_tbENKUlT_T0_E_clISt17integral_constantIbLb1EESZ_EEDaSU_SV_EUlSU_E_NS1_11comp_targetILNS1_3genE8ELNS1_11target_archE1030ELNS1_3gpuE2ELNS1_3repE0EEENS1_30default_config_static_selectorELNS0_4arch9wavefront6targetE0EEEvT1_ ; -- Begin function _ZN7rocprim17ROCPRIM_400000_NS6detail17trampoline_kernelINS0_14default_configENS1_27scan_by_key_config_selectorIjjEEZZNS1_16scan_by_key_implILNS1_25lookback_scan_determinismE0ELb0ES3_N6thrust23THRUST_200600_302600_NS6detail15normal_iteratorINS9_10device_ptrIjEEEESE_SE_jNS9_4plusIvEENS9_8equal_toIvEEjEE10hipError_tPvRmT2_T3_T4_T5_mT6_T7_P12ihipStream_tbENKUlT_T0_E_clISt17integral_constantIbLb1EESZ_EEDaSU_SV_EUlSU_E_NS1_11comp_targetILNS1_3genE8ELNS1_11target_archE1030ELNS1_3gpuE2ELNS1_3repE0EEENS1_30default_config_static_selectorELNS0_4arch9wavefront6targetE0EEEvT1_
	.globl	_ZN7rocprim17ROCPRIM_400000_NS6detail17trampoline_kernelINS0_14default_configENS1_27scan_by_key_config_selectorIjjEEZZNS1_16scan_by_key_implILNS1_25lookback_scan_determinismE0ELb0ES3_N6thrust23THRUST_200600_302600_NS6detail15normal_iteratorINS9_10device_ptrIjEEEESE_SE_jNS9_4plusIvEENS9_8equal_toIvEEjEE10hipError_tPvRmT2_T3_T4_T5_mT6_T7_P12ihipStream_tbENKUlT_T0_E_clISt17integral_constantIbLb1EESZ_EEDaSU_SV_EUlSU_E_NS1_11comp_targetILNS1_3genE8ELNS1_11target_archE1030ELNS1_3gpuE2ELNS1_3repE0EEENS1_30default_config_static_selectorELNS0_4arch9wavefront6targetE0EEEvT1_
	.p2align	8
	.type	_ZN7rocprim17ROCPRIM_400000_NS6detail17trampoline_kernelINS0_14default_configENS1_27scan_by_key_config_selectorIjjEEZZNS1_16scan_by_key_implILNS1_25lookback_scan_determinismE0ELb0ES3_N6thrust23THRUST_200600_302600_NS6detail15normal_iteratorINS9_10device_ptrIjEEEESE_SE_jNS9_4plusIvEENS9_8equal_toIvEEjEE10hipError_tPvRmT2_T3_T4_T5_mT6_T7_P12ihipStream_tbENKUlT_T0_E_clISt17integral_constantIbLb1EESZ_EEDaSU_SV_EUlSU_E_NS1_11comp_targetILNS1_3genE8ELNS1_11target_archE1030ELNS1_3gpuE2ELNS1_3repE0EEENS1_30default_config_static_selectorELNS0_4arch9wavefront6targetE0EEEvT1_,@function
_ZN7rocprim17ROCPRIM_400000_NS6detail17trampoline_kernelINS0_14default_configENS1_27scan_by_key_config_selectorIjjEEZZNS1_16scan_by_key_implILNS1_25lookback_scan_determinismE0ELb0ES3_N6thrust23THRUST_200600_302600_NS6detail15normal_iteratorINS9_10device_ptrIjEEEESE_SE_jNS9_4plusIvEENS9_8equal_toIvEEjEE10hipError_tPvRmT2_T3_T4_T5_mT6_T7_P12ihipStream_tbENKUlT_T0_E_clISt17integral_constantIbLb1EESZ_EEDaSU_SV_EUlSU_E_NS1_11comp_targetILNS1_3genE8ELNS1_11target_archE1030ELNS1_3gpuE2ELNS1_3repE0EEENS1_30default_config_static_selectorELNS0_4arch9wavefront6targetE0EEEvT1_: ; @_ZN7rocprim17ROCPRIM_400000_NS6detail17trampoline_kernelINS0_14default_configENS1_27scan_by_key_config_selectorIjjEEZZNS1_16scan_by_key_implILNS1_25lookback_scan_determinismE0ELb0ES3_N6thrust23THRUST_200600_302600_NS6detail15normal_iteratorINS9_10device_ptrIjEEEESE_SE_jNS9_4plusIvEENS9_8equal_toIvEEjEE10hipError_tPvRmT2_T3_T4_T5_mT6_T7_P12ihipStream_tbENKUlT_T0_E_clISt17integral_constantIbLb1EESZ_EEDaSU_SV_EUlSU_E_NS1_11comp_targetILNS1_3genE8ELNS1_11target_archE1030ELNS1_3gpuE2ELNS1_3repE0EEENS1_30default_config_static_selectorELNS0_4arch9wavefront6targetE0EEEvT1_
; %bb.0:
	s_endpgm
	.section	.rodata,"a",@progbits
	.p2align	6, 0x0
	.amdhsa_kernel _ZN7rocprim17ROCPRIM_400000_NS6detail17trampoline_kernelINS0_14default_configENS1_27scan_by_key_config_selectorIjjEEZZNS1_16scan_by_key_implILNS1_25lookback_scan_determinismE0ELb0ES3_N6thrust23THRUST_200600_302600_NS6detail15normal_iteratorINS9_10device_ptrIjEEEESE_SE_jNS9_4plusIvEENS9_8equal_toIvEEjEE10hipError_tPvRmT2_T3_T4_T5_mT6_T7_P12ihipStream_tbENKUlT_T0_E_clISt17integral_constantIbLb1EESZ_EEDaSU_SV_EUlSU_E_NS1_11comp_targetILNS1_3genE8ELNS1_11target_archE1030ELNS1_3gpuE2ELNS1_3repE0EEENS1_30default_config_static_selectorELNS0_4arch9wavefront6targetE0EEEvT1_
		.amdhsa_group_segment_fixed_size 0
		.amdhsa_private_segment_fixed_size 0
		.amdhsa_kernarg_size 112
		.amdhsa_user_sgpr_count 6
		.amdhsa_user_sgpr_private_segment_buffer 1
		.amdhsa_user_sgpr_dispatch_ptr 0
		.amdhsa_user_sgpr_queue_ptr 0
		.amdhsa_user_sgpr_kernarg_segment_ptr 1
		.amdhsa_user_sgpr_dispatch_id 0
		.amdhsa_user_sgpr_flat_scratch_init 0
		.amdhsa_user_sgpr_private_segment_size 0
		.amdhsa_wavefront_size32 1
		.amdhsa_uses_dynamic_stack 0
		.amdhsa_system_sgpr_private_segment_wavefront_offset 0
		.amdhsa_system_sgpr_workgroup_id_x 1
		.amdhsa_system_sgpr_workgroup_id_y 0
		.amdhsa_system_sgpr_workgroup_id_z 0
		.amdhsa_system_sgpr_workgroup_info 0
		.amdhsa_system_vgpr_workitem_id 0
		.amdhsa_next_free_vgpr 1
		.amdhsa_next_free_sgpr 1
		.amdhsa_reserve_vcc 0
		.amdhsa_reserve_flat_scratch 0
		.amdhsa_float_round_mode_32 0
		.amdhsa_float_round_mode_16_64 0
		.amdhsa_float_denorm_mode_32 3
		.amdhsa_float_denorm_mode_16_64 3
		.amdhsa_dx10_clamp 1
		.amdhsa_ieee_mode 1
		.amdhsa_fp16_overflow 0
		.amdhsa_workgroup_processor_mode 1
		.amdhsa_memory_ordered 1
		.amdhsa_forward_progress 1
		.amdhsa_shared_vgpr_count 0
		.amdhsa_exception_fp_ieee_invalid_op 0
		.amdhsa_exception_fp_denorm_src 0
		.amdhsa_exception_fp_ieee_div_zero 0
		.amdhsa_exception_fp_ieee_overflow 0
		.amdhsa_exception_fp_ieee_underflow 0
		.amdhsa_exception_fp_ieee_inexact 0
		.amdhsa_exception_int_div_zero 0
	.end_amdhsa_kernel
	.section	.text._ZN7rocprim17ROCPRIM_400000_NS6detail17trampoline_kernelINS0_14default_configENS1_27scan_by_key_config_selectorIjjEEZZNS1_16scan_by_key_implILNS1_25lookback_scan_determinismE0ELb0ES3_N6thrust23THRUST_200600_302600_NS6detail15normal_iteratorINS9_10device_ptrIjEEEESE_SE_jNS9_4plusIvEENS9_8equal_toIvEEjEE10hipError_tPvRmT2_T3_T4_T5_mT6_T7_P12ihipStream_tbENKUlT_T0_E_clISt17integral_constantIbLb1EESZ_EEDaSU_SV_EUlSU_E_NS1_11comp_targetILNS1_3genE8ELNS1_11target_archE1030ELNS1_3gpuE2ELNS1_3repE0EEENS1_30default_config_static_selectorELNS0_4arch9wavefront6targetE0EEEvT1_,"axG",@progbits,_ZN7rocprim17ROCPRIM_400000_NS6detail17trampoline_kernelINS0_14default_configENS1_27scan_by_key_config_selectorIjjEEZZNS1_16scan_by_key_implILNS1_25lookback_scan_determinismE0ELb0ES3_N6thrust23THRUST_200600_302600_NS6detail15normal_iteratorINS9_10device_ptrIjEEEESE_SE_jNS9_4plusIvEENS9_8equal_toIvEEjEE10hipError_tPvRmT2_T3_T4_T5_mT6_T7_P12ihipStream_tbENKUlT_T0_E_clISt17integral_constantIbLb1EESZ_EEDaSU_SV_EUlSU_E_NS1_11comp_targetILNS1_3genE8ELNS1_11target_archE1030ELNS1_3gpuE2ELNS1_3repE0EEENS1_30default_config_static_selectorELNS0_4arch9wavefront6targetE0EEEvT1_,comdat
.Lfunc_end1844:
	.size	_ZN7rocprim17ROCPRIM_400000_NS6detail17trampoline_kernelINS0_14default_configENS1_27scan_by_key_config_selectorIjjEEZZNS1_16scan_by_key_implILNS1_25lookback_scan_determinismE0ELb0ES3_N6thrust23THRUST_200600_302600_NS6detail15normal_iteratorINS9_10device_ptrIjEEEESE_SE_jNS9_4plusIvEENS9_8equal_toIvEEjEE10hipError_tPvRmT2_T3_T4_T5_mT6_T7_P12ihipStream_tbENKUlT_T0_E_clISt17integral_constantIbLb1EESZ_EEDaSU_SV_EUlSU_E_NS1_11comp_targetILNS1_3genE8ELNS1_11target_archE1030ELNS1_3gpuE2ELNS1_3repE0EEENS1_30default_config_static_selectorELNS0_4arch9wavefront6targetE0EEEvT1_, .Lfunc_end1844-_ZN7rocprim17ROCPRIM_400000_NS6detail17trampoline_kernelINS0_14default_configENS1_27scan_by_key_config_selectorIjjEEZZNS1_16scan_by_key_implILNS1_25lookback_scan_determinismE0ELb0ES3_N6thrust23THRUST_200600_302600_NS6detail15normal_iteratorINS9_10device_ptrIjEEEESE_SE_jNS9_4plusIvEENS9_8equal_toIvEEjEE10hipError_tPvRmT2_T3_T4_T5_mT6_T7_P12ihipStream_tbENKUlT_T0_E_clISt17integral_constantIbLb1EESZ_EEDaSU_SV_EUlSU_E_NS1_11comp_targetILNS1_3genE8ELNS1_11target_archE1030ELNS1_3gpuE2ELNS1_3repE0EEENS1_30default_config_static_selectorELNS0_4arch9wavefront6targetE0EEEvT1_
                                        ; -- End function
	.set _ZN7rocprim17ROCPRIM_400000_NS6detail17trampoline_kernelINS0_14default_configENS1_27scan_by_key_config_selectorIjjEEZZNS1_16scan_by_key_implILNS1_25lookback_scan_determinismE0ELb0ES3_N6thrust23THRUST_200600_302600_NS6detail15normal_iteratorINS9_10device_ptrIjEEEESE_SE_jNS9_4plusIvEENS9_8equal_toIvEEjEE10hipError_tPvRmT2_T3_T4_T5_mT6_T7_P12ihipStream_tbENKUlT_T0_E_clISt17integral_constantIbLb1EESZ_EEDaSU_SV_EUlSU_E_NS1_11comp_targetILNS1_3genE8ELNS1_11target_archE1030ELNS1_3gpuE2ELNS1_3repE0EEENS1_30default_config_static_selectorELNS0_4arch9wavefront6targetE0EEEvT1_.num_vgpr, 0
	.set _ZN7rocprim17ROCPRIM_400000_NS6detail17trampoline_kernelINS0_14default_configENS1_27scan_by_key_config_selectorIjjEEZZNS1_16scan_by_key_implILNS1_25lookback_scan_determinismE0ELb0ES3_N6thrust23THRUST_200600_302600_NS6detail15normal_iteratorINS9_10device_ptrIjEEEESE_SE_jNS9_4plusIvEENS9_8equal_toIvEEjEE10hipError_tPvRmT2_T3_T4_T5_mT6_T7_P12ihipStream_tbENKUlT_T0_E_clISt17integral_constantIbLb1EESZ_EEDaSU_SV_EUlSU_E_NS1_11comp_targetILNS1_3genE8ELNS1_11target_archE1030ELNS1_3gpuE2ELNS1_3repE0EEENS1_30default_config_static_selectorELNS0_4arch9wavefront6targetE0EEEvT1_.num_agpr, 0
	.set _ZN7rocprim17ROCPRIM_400000_NS6detail17trampoline_kernelINS0_14default_configENS1_27scan_by_key_config_selectorIjjEEZZNS1_16scan_by_key_implILNS1_25lookback_scan_determinismE0ELb0ES3_N6thrust23THRUST_200600_302600_NS6detail15normal_iteratorINS9_10device_ptrIjEEEESE_SE_jNS9_4plusIvEENS9_8equal_toIvEEjEE10hipError_tPvRmT2_T3_T4_T5_mT6_T7_P12ihipStream_tbENKUlT_T0_E_clISt17integral_constantIbLb1EESZ_EEDaSU_SV_EUlSU_E_NS1_11comp_targetILNS1_3genE8ELNS1_11target_archE1030ELNS1_3gpuE2ELNS1_3repE0EEENS1_30default_config_static_selectorELNS0_4arch9wavefront6targetE0EEEvT1_.numbered_sgpr, 0
	.set _ZN7rocprim17ROCPRIM_400000_NS6detail17trampoline_kernelINS0_14default_configENS1_27scan_by_key_config_selectorIjjEEZZNS1_16scan_by_key_implILNS1_25lookback_scan_determinismE0ELb0ES3_N6thrust23THRUST_200600_302600_NS6detail15normal_iteratorINS9_10device_ptrIjEEEESE_SE_jNS9_4plusIvEENS9_8equal_toIvEEjEE10hipError_tPvRmT2_T3_T4_T5_mT6_T7_P12ihipStream_tbENKUlT_T0_E_clISt17integral_constantIbLb1EESZ_EEDaSU_SV_EUlSU_E_NS1_11comp_targetILNS1_3genE8ELNS1_11target_archE1030ELNS1_3gpuE2ELNS1_3repE0EEENS1_30default_config_static_selectorELNS0_4arch9wavefront6targetE0EEEvT1_.num_named_barrier, 0
	.set _ZN7rocprim17ROCPRIM_400000_NS6detail17trampoline_kernelINS0_14default_configENS1_27scan_by_key_config_selectorIjjEEZZNS1_16scan_by_key_implILNS1_25lookback_scan_determinismE0ELb0ES3_N6thrust23THRUST_200600_302600_NS6detail15normal_iteratorINS9_10device_ptrIjEEEESE_SE_jNS9_4plusIvEENS9_8equal_toIvEEjEE10hipError_tPvRmT2_T3_T4_T5_mT6_T7_P12ihipStream_tbENKUlT_T0_E_clISt17integral_constantIbLb1EESZ_EEDaSU_SV_EUlSU_E_NS1_11comp_targetILNS1_3genE8ELNS1_11target_archE1030ELNS1_3gpuE2ELNS1_3repE0EEENS1_30default_config_static_selectorELNS0_4arch9wavefront6targetE0EEEvT1_.private_seg_size, 0
	.set _ZN7rocprim17ROCPRIM_400000_NS6detail17trampoline_kernelINS0_14default_configENS1_27scan_by_key_config_selectorIjjEEZZNS1_16scan_by_key_implILNS1_25lookback_scan_determinismE0ELb0ES3_N6thrust23THRUST_200600_302600_NS6detail15normal_iteratorINS9_10device_ptrIjEEEESE_SE_jNS9_4plusIvEENS9_8equal_toIvEEjEE10hipError_tPvRmT2_T3_T4_T5_mT6_T7_P12ihipStream_tbENKUlT_T0_E_clISt17integral_constantIbLb1EESZ_EEDaSU_SV_EUlSU_E_NS1_11comp_targetILNS1_3genE8ELNS1_11target_archE1030ELNS1_3gpuE2ELNS1_3repE0EEENS1_30default_config_static_selectorELNS0_4arch9wavefront6targetE0EEEvT1_.uses_vcc, 0
	.set _ZN7rocprim17ROCPRIM_400000_NS6detail17trampoline_kernelINS0_14default_configENS1_27scan_by_key_config_selectorIjjEEZZNS1_16scan_by_key_implILNS1_25lookback_scan_determinismE0ELb0ES3_N6thrust23THRUST_200600_302600_NS6detail15normal_iteratorINS9_10device_ptrIjEEEESE_SE_jNS9_4plusIvEENS9_8equal_toIvEEjEE10hipError_tPvRmT2_T3_T4_T5_mT6_T7_P12ihipStream_tbENKUlT_T0_E_clISt17integral_constantIbLb1EESZ_EEDaSU_SV_EUlSU_E_NS1_11comp_targetILNS1_3genE8ELNS1_11target_archE1030ELNS1_3gpuE2ELNS1_3repE0EEENS1_30default_config_static_selectorELNS0_4arch9wavefront6targetE0EEEvT1_.uses_flat_scratch, 0
	.set _ZN7rocprim17ROCPRIM_400000_NS6detail17trampoline_kernelINS0_14default_configENS1_27scan_by_key_config_selectorIjjEEZZNS1_16scan_by_key_implILNS1_25lookback_scan_determinismE0ELb0ES3_N6thrust23THRUST_200600_302600_NS6detail15normal_iteratorINS9_10device_ptrIjEEEESE_SE_jNS9_4plusIvEENS9_8equal_toIvEEjEE10hipError_tPvRmT2_T3_T4_T5_mT6_T7_P12ihipStream_tbENKUlT_T0_E_clISt17integral_constantIbLb1EESZ_EEDaSU_SV_EUlSU_E_NS1_11comp_targetILNS1_3genE8ELNS1_11target_archE1030ELNS1_3gpuE2ELNS1_3repE0EEENS1_30default_config_static_selectorELNS0_4arch9wavefront6targetE0EEEvT1_.has_dyn_sized_stack, 0
	.set _ZN7rocprim17ROCPRIM_400000_NS6detail17trampoline_kernelINS0_14default_configENS1_27scan_by_key_config_selectorIjjEEZZNS1_16scan_by_key_implILNS1_25lookback_scan_determinismE0ELb0ES3_N6thrust23THRUST_200600_302600_NS6detail15normal_iteratorINS9_10device_ptrIjEEEESE_SE_jNS9_4plusIvEENS9_8equal_toIvEEjEE10hipError_tPvRmT2_T3_T4_T5_mT6_T7_P12ihipStream_tbENKUlT_T0_E_clISt17integral_constantIbLb1EESZ_EEDaSU_SV_EUlSU_E_NS1_11comp_targetILNS1_3genE8ELNS1_11target_archE1030ELNS1_3gpuE2ELNS1_3repE0EEENS1_30default_config_static_selectorELNS0_4arch9wavefront6targetE0EEEvT1_.has_recursion, 0
	.set _ZN7rocprim17ROCPRIM_400000_NS6detail17trampoline_kernelINS0_14default_configENS1_27scan_by_key_config_selectorIjjEEZZNS1_16scan_by_key_implILNS1_25lookback_scan_determinismE0ELb0ES3_N6thrust23THRUST_200600_302600_NS6detail15normal_iteratorINS9_10device_ptrIjEEEESE_SE_jNS9_4plusIvEENS9_8equal_toIvEEjEE10hipError_tPvRmT2_T3_T4_T5_mT6_T7_P12ihipStream_tbENKUlT_T0_E_clISt17integral_constantIbLb1EESZ_EEDaSU_SV_EUlSU_E_NS1_11comp_targetILNS1_3genE8ELNS1_11target_archE1030ELNS1_3gpuE2ELNS1_3repE0EEENS1_30default_config_static_selectorELNS0_4arch9wavefront6targetE0EEEvT1_.has_indirect_call, 0
	.section	.AMDGPU.csdata,"",@progbits
; Kernel info:
; codeLenInByte = 4
; TotalNumSgprs: 0
; NumVgprs: 0
; ScratchSize: 0
; MemoryBound: 0
; FloatMode: 240
; IeeeMode: 1
; LDSByteSize: 0 bytes/workgroup (compile time only)
; SGPRBlocks: 0
; VGPRBlocks: 0
; NumSGPRsForWavesPerEU: 1
; NumVGPRsForWavesPerEU: 1
; Occupancy: 16
; WaveLimiterHint : 0
; COMPUTE_PGM_RSRC2:SCRATCH_EN: 0
; COMPUTE_PGM_RSRC2:USER_SGPR: 6
; COMPUTE_PGM_RSRC2:TRAP_HANDLER: 0
; COMPUTE_PGM_RSRC2:TGID_X_EN: 1
; COMPUTE_PGM_RSRC2:TGID_Y_EN: 0
; COMPUTE_PGM_RSRC2:TGID_Z_EN: 0
; COMPUTE_PGM_RSRC2:TIDIG_COMP_CNT: 0
	.section	.text._ZN7rocprim17ROCPRIM_400000_NS6detail30init_device_scan_by_key_kernelINS1_19lookback_scan_stateINS0_5tupleIJjbEEELb1ELb1EEEN6thrust23THRUST_200600_302600_NS6detail15normal_iteratorINS8_10device_ptrIjEEEEjNS1_16block_id_wrapperIjLb0EEEEEvT_jjPNSG_10value_typeET0_PNSt15iterator_traitsISJ_E10value_typeEmT1_T2_,"axG",@progbits,_ZN7rocprim17ROCPRIM_400000_NS6detail30init_device_scan_by_key_kernelINS1_19lookback_scan_stateINS0_5tupleIJjbEEELb1ELb1EEEN6thrust23THRUST_200600_302600_NS6detail15normal_iteratorINS8_10device_ptrIjEEEEjNS1_16block_id_wrapperIjLb0EEEEEvT_jjPNSG_10value_typeET0_PNSt15iterator_traitsISJ_E10value_typeEmT1_T2_,comdat
	.protected	_ZN7rocprim17ROCPRIM_400000_NS6detail30init_device_scan_by_key_kernelINS1_19lookback_scan_stateINS0_5tupleIJjbEEELb1ELb1EEEN6thrust23THRUST_200600_302600_NS6detail15normal_iteratorINS8_10device_ptrIjEEEEjNS1_16block_id_wrapperIjLb0EEEEEvT_jjPNSG_10value_typeET0_PNSt15iterator_traitsISJ_E10value_typeEmT1_T2_ ; -- Begin function _ZN7rocprim17ROCPRIM_400000_NS6detail30init_device_scan_by_key_kernelINS1_19lookback_scan_stateINS0_5tupleIJjbEEELb1ELb1EEEN6thrust23THRUST_200600_302600_NS6detail15normal_iteratorINS8_10device_ptrIjEEEEjNS1_16block_id_wrapperIjLb0EEEEEvT_jjPNSG_10value_typeET0_PNSt15iterator_traitsISJ_E10value_typeEmT1_T2_
	.globl	_ZN7rocprim17ROCPRIM_400000_NS6detail30init_device_scan_by_key_kernelINS1_19lookback_scan_stateINS0_5tupleIJjbEEELb1ELb1EEEN6thrust23THRUST_200600_302600_NS6detail15normal_iteratorINS8_10device_ptrIjEEEEjNS1_16block_id_wrapperIjLb0EEEEEvT_jjPNSG_10value_typeET0_PNSt15iterator_traitsISJ_E10value_typeEmT1_T2_
	.p2align	8
	.type	_ZN7rocprim17ROCPRIM_400000_NS6detail30init_device_scan_by_key_kernelINS1_19lookback_scan_stateINS0_5tupleIJjbEEELb1ELb1EEEN6thrust23THRUST_200600_302600_NS6detail15normal_iteratorINS8_10device_ptrIjEEEEjNS1_16block_id_wrapperIjLb0EEEEEvT_jjPNSG_10value_typeET0_PNSt15iterator_traitsISJ_E10value_typeEmT1_T2_,@function
_ZN7rocprim17ROCPRIM_400000_NS6detail30init_device_scan_by_key_kernelINS1_19lookback_scan_stateINS0_5tupleIJjbEEELb1ELb1EEEN6thrust23THRUST_200600_302600_NS6detail15normal_iteratorINS8_10device_ptrIjEEEEjNS1_16block_id_wrapperIjLb0EEEEEvT_jjPNSG_10value_typeET0_PNSt15iterator_traitsISJ_E10value_typeEmT1_T2_: ; @_ZN7rocprim17ROCPRIM_400000_NS6detail30init_device_scan_by_key_kernelINS1_19lookback_scan_stateINS0_5tupleIJjbEEELb1ELb1EEEN6thrust23THRUST_200600_302600_NS6detail15normal_iteratorINS8_10device_ptrIjEEEEjNS1_16block_id_wrapperIjLb0EEEEEvT_jjPNSG_10value_typeET0_PNSt15iterator_traitsISJ_E10value_typeEmT1_T2_
; %bb.0:
	s_clause 0x2
	s_load_dword s0, s[4:5], 0x44
	s_load_dwordx8 s[8:15], s[4:5], 0x0
	s_load_dword s7, s[4:5], 0x38
	s_waitcnt lgkmcnt(0)
	s_and_b32 s16, s0, 0xffff
	s_cmp_eq_u64 s[12:13], 0
	v_mad_u64_u32 v[4:5], null, s6, s16, v[0:1]
	s_cbranch_scc1 .LBB1845_10
; %bb.1:
	s_cmp_lt_u32 s11, s10
	s_mov_b32 s1, 0
	s_cselect_b32 s0, s11, 0
	s_mov_b32 s2, exec_lo
	v_cmpx_eq_u32_e64 s0, v4
	s_cbranch_execz .LBB1845_9
; %bb.2:
	s_add_i32 s0, s11, 32
	v_mov_b32_e32 v6, 0
	s_lshl_b64 s[0:1], s[0:1], 4
	s_mov_b32 s3, exec_lo
	s_add_u32 s0, s8, s0
	s_addc_u32 s1, s9, s1
	v_mov_b32_e32 v0, s0
	v_mov_b32_e32 v1, s1
	;;#ASMSTART
	global_load_dwordx4 v[0:3], v[0:1] off glc dlc	
s_waitcnt vmcnt(0)
	;;#ASMEND
	v_and_b32_e32 v5, 0xff, v2
	v_cmpx_eq_u64_e32 0, v[5:6]
	s_cbranch_execz .LBB1845_8
; %bb.3:
	v_mov_b32_e32 v8, s1
	v_mov_b32_e32 v7, s0
	s_mov_b32 s1, 1
	s_mov_b32 s0, 0
	.p2align	6
.LBB1845_4:                             ; =>This Loop Header: Depth=1
                                        ;     Child Loop BB1845_5 Depth 2
	s_mov_b32 s6, s1
.LBB1845_5:                             ;   Parent Loop BB1845_4 Depth=1
                                        ; =>  This Inner Loop Header: Depth=2
	s_add_i32 s6, s6, -1
	s_sleep 1
	s_cmp_eq_u32 s6, 0
	s_cbranch_scc0 .LBB1845_5
; %bb.6:                                ;   in Loop: Header=BB1845_4 Depth=1
	;;#ASMSTART
	global_load_dwordx4 v[0:3], v[7:8] off glc dlc	
s_waitcnt vmcnt(0)
	;;#ASMEND
	v_and_b32_e32 v5, 0xff, v2
	s_cmp_lt_u32 s1, 32
	s_cselect_b32 s6, -1, 0
	v_cmp_ne_u64_e32 vcc_lo, 0, v[5:6]
	s_cmp_lg_u32 s6, 0
	s_addc_u32 s1, s1, 0
	s_or_b32 s0, vcc_lo, s0
	s_andn2_b32 exec_lo, exec_lo, s0
	s_cbranch_execnz .LBB1845_4
; %bb.7:
	s_or_b32 exec_lo, exec_lo, s0
.LBB1845_8:
	s_or_b32 exec_lo, exec_lo, s3
	v_mov_b32_e32 v2, 0
	global_store_dword v2, v0, s[12:13]
	global_store_byte v2, v1, s[12:13] offset:4
.LBB1845_9:
	s_or_b32 exec_lo, exec_lo, s2
.LBB1845_10:
	s_mov_b32 s0, exec_lo
	v_cmpx_gt_u32_e64 s10, v4
	s_cbranch_execz .LBB1845_12
; %bb.11:
	v_add_nc_u32_e32 v0, 32, v4
	v_mov_b32_e32 v1, 0
	v_lshlrev_b64 v[5:6], 4, v[0:1]
	v_mov_b32_e32 v0, v1
	v_mov_b32_e32 v2, v1
	v_mov_b32_e32 v3, v1
	v_add_co_u32 v5, vcc_lo, s8, v5
	v_add_co_ci_u32_e64 v6, null, s9, v6, vcc_lo
	global_store_dwordx4 v[5:6], v[0:3], off
.LBB1845_12:
	s_or_b32 exec_lo, exec_lo, s0
	v_mov_b32_e32 v5, 0
	s_mov_b32 s0, exec_lo
	v_cmpx_gt_u32_e32 32, v4
	s_cbranch_execz .LBB1845_14
; %bb.13:
	v_lshlrev_b64 v[6:7], 4, v[4:5]
	v_mov_b32_e32 v2, 0xff
	v_mov_b32_e32 v0, v5
	;; [unrolled: 1-line block ×4, first 2 shown]
	v_add_co_u32 v6, vcc_lo, s8, v6
	v_add_co_ci_u32_e64 v7, null, s9, v7, vcc_lo
	global_store_dwordx4 v[6:7], v[0:3], off
.LBB1845_14:
	s_or_b32 exec_lo, exec_lo, s0
	s_load_dwordx2 s[2:3], s[4:5], 0x28
	s_mov_b32 s0, exec_lo
	s_waitcnt lgkmcnt(0)
	v_cmpx_gt_u64_e64 s[2:3], v[4:5]
	s_cbranch_execz .LBB1845_17
; %bb.15:
	s_clause 0x1
	s_load_dword s6, s[4:5], 0x30
	s_load_dwordx2 s[8:9], s[4:5], 0x20
	s_mov_b32 s1, 0
	v_lshlrev_b64 v[2:3], 2, v[4:5]
	s_mul_i32 s4, s7, s16
	s_waitcnt lgkmcnt(0)
	v_mad_u64_u32 v[0:1], null, s6, v4, 0
	s_add_i32 s0, s6, -1
	s_mul_hi_u32 s7, s6, s4
	s_lshl_b64 s[10:11], s[0:1], 2
	s_mul_i32 s6, s6, s4
	s_add_u32 s0, s14, s10
	s_addc_u32 s5, s15, s11
	v_lshlrev_b64 v[0:1], 2, v[0:1]
	s_lshl_b64 s[6:7], s[6:7], 2
	v_add_co_u32 v0, vcc_lo, s0, v0
	v_add_co_ci_u32_e64 v1, null, s5, v1, vcc_lo
	v_add_co_u32 v2, vcc_lo, s8, v2
	v_add_co_ci_u32_e64 v3, null, s9, v3, vcc_lo
	s_mov_b32 s5, s1
	s_lshl_b64 s[8:9], s[4:5], 2
	.p2align	6
.LBB1845_16:                            ; =>This Inner Loop Header: Depth=1
	global_load_dword v6, v[0:1], off
	v_add_co_u32 v4, vcc_lo, v4, s4
	v_add_co_ci_u32_e64 v5, null, 0, v5, vcc_lo
	v_add_co_u32 v0, vcc_lo, v0, s6
	v_add_co_ci_u32_e64 v1, null, s7, v1, vcc_lo
	v_cmp_le_u64_e32 vcc_lo, s[2:3], v[4:5]
	s_or_b32 s1, vcc_lo, s1
	s_waitcnt vmcnt(0)
	global_store_dword v[2:3], v6, off
	v_add_co_u32 v2, s0, v2, s8
	v_add_co_ci_u32_e64 v3, null, s9, v3, s0
	s_andn2_b32 exec_lo, exec_lo, s1
	s_cbranch_execnz .LBB1845_16
.LBB1845_17:
	s_endpgm
	.section	.rodata,"a",@progbits
	.p2align	6, 0x0
	.amdhsa_kernel _ZN7rocprim17ROCPRIM_400000_NS6detail30init_device_scan_by_key_kernelINS1_19lookback_scan_stateINS0_5tupleIJjbEEELb1ELb1EEEN6thrust23THRUST_200600_302600_NS6detail15normal_iteratorINS8_10device_ptrIjEEEEjNS1_16block_id_wrapperIjLb0EEEEEvT_jjPNSG_10value_typeET0_PNSt15iterator_traitsISJ_E10value_typeEmT1_T2_
		.amdhsa_group_segment_fixed_size 0
		.amdhsa_private_segment_fixed_size 0
		.amdhsa_kernarg_size 312
		.amdhsa_user_sgpr_count 6
		.amdhsa_user_sgpr_private_segment_buffer 1
		.amdhsa_user_sgpr_dispatch_ptr 0
		.amdhsa_user_sgpr_queue_ptr 0
		.amdhsa_user_sgpr_kernarg_segment_ptr 1
		.amdhsa_user_sgpr_dispatch_id 0
		.amdhsa_user_sgpr_flat_scratch_init 0
		.amdhsa_user_sgpr_private_segment_size 0
		.amdhsa_wavefront_size32 1
		.amdhsa_uses_dynamic_stack 0
		.amdhsa_system_sgpr_private_segment_wavefront_offset 0
		.amdhsa_system_sgpr_workgroup_id_x 1
		.amdhsa_system_sgpr_workgroup_id_y 0
		.amdhsa_system_sgpr_workgroup_id_z 0
		.amdhsa_system_sgpr_workgroup_info 0
		.amdhsa_system_vgpr_workitem_id 0
		.amdhsa_next_free_vgpr 9
		.amdhsa_next_free_sgpr 17
		.amdhsa_reserve_vcc 1
		.amdhsa_reserve_flat_scratch 0
		.amdhsa_float_round_mode_32 0
		.amdhsa_float_round_mode_16_64 0
		.amdhsa_float_denorm_mode_32 3
		.amdhsa_float_denorm_mode_16_64 3
		.amdhsa_dx10_clamp 1
		.amdhsa_ieee_mode 1
		.amdhsa_fp16_overflow 0
		.amdhsa_workgroup_processor_mode 1
		.amdhsa_memory_ordered 1
		.amdhsa_forward_progress 1
		.amdhsa_shared_vgpr_count 0
		.amdhsa_exception_fp_ieee_invalid_op 0
		.amdhsa_exception_fp_denorm_src 0
		.amdhsa_exception_fp_ieee_div_zero 0
		.amdhsa_exception_fp_ieee_overflow 0
		.amdhsa_exception_fp_ieee_underflow 0
		.amdhsa_exception_fp_ieee_inexact 0
		.amdhsa_exception_int_div_zero 0
	.end_amdhsa_kernel
	.section	.text._ZN7rocprim17ROCPRIM_400000_NS6detail30init_device_scan_by_key_kernelINS1_19lookback_scan_stateINS0_5tupleIJjbEEELb1ELb1EEEN6thrust23THRUST_200600_302600_NS6detail15normal_iteratorINS8_10device_ptrIjEEEEjNS1_16block_id_wrapperIjLb0EEEEEvT_jjPNSG_10value_typeET0_PNSt15iterator_traitsISJ_E10value_typeEmT1_T2_,"axG",@progbits,_ZN7rocprim17ROCPRIM_400000_NS6detail30init_device_scan_by_key_kernelINS1_19lookback_scan_stateINS0_5tupleIJjbEEELb1ELb1EEEN6thrust23THRUST_200600_302600_NS6detail15normal_iteratorINS8_10device_ptrIjEEEEjNS1_16block_id_wrapperIjLb0EEEEEvT_jjPNSG_10value_typeET0_PNSt15iterator_traitsISJ_E10value_typeEmT1_T2_,comdat
.Lfunc_end1845:
	.size	_ZN7rocprim17ROCPRIM_400000_NS6detail30init_device_scan_by_key_kernelINS1_19lookback_scan_stateINS0_5tupleIJjbEEELb1ELb1EEEN6thrust23THRUST_200600_302600_NS6detail15normal_iteratorINS8_10device_ptrIjEEEEjNS1_16block_id_wrapperIjLb0EEEEEvT_jjPNSG_10value_typeET0_PNSt15iterator_traitsISJ_E10value_typeEmT1_T2_, .Lfunc_end1845-_ZN7rocprim17ROCPRIM_400000_NS6detail30init_device_scan_by_key_kernelINS1_19lookback_scan_stateINS0_5tupleIJjbEEELb1ELb1EEEN6thrust23THRUST_200600_302600_NS6detail15normal_iteratorINS8_10device_ptrIjEEEEjNS1_16block_id_wrapperIjLb0EEEEEvT_jjPNSG_10value_typeET0_PNSt15iterator_traitsISJ_E10value_typeEmT1_T2_
                                        ; -- End function
	.set _ZN7rocprim17ROCPRIM_400000_NS6detail30init_device_scan_by_key_kernelINS1_19lookback_scan_stateINS0_5tupleIJjbEEELb1ELb1EEEN6thrust23THRUST_200600_302600_NS6detail15normal_iteratorINS8_10device_ptrIjEEEEjNS1_16block_id_wrapperIjLb0EEEEEvT_jjPNSG_10value_typeET0_PNSt15iterator_traitsISJ_E10value_typeEmT1_T2_.num_vgpr, 9
	.set _ZN7rocprim17ROCPRIM_400000_NS6detail30init_device_scan_by_key_kernelINS1_19lookback_scan_stateINS0_5tupleIJjbEEELb1ELb1EEEN6thrust23THRUST_200600_302600_NS6detail15normal_iteratorINS8_10device_ptrIjEEEEjNS1_16block_id_wrapperIjLb0EEEEEvT_jjPNSG_10value_typeET0_PNSt15iterator_traitsISJ_E10value_typeEmT1_T2_.num_agpr, 0
	.set _ZN7rocprim17ROCPRIM_400000_NS6detail30init_device_scan_by_key_kernelINS1_19lookback_scan_stateINS0_5tupleIJjbEEELb1ELb1EEEN6thrust23THRUST_200600_302600_NS6detail15normal_iteratorINS8_10device_ptrIjEEEEjNS1_16block_id_wrapperIjLb0EEEEEvT_jjPNSG_10value_typeET0_PNSt15iterator_traitsISJ_E10value_typeEmT1_T2_.numbered_sgpr, 17
	.set _ZN7rocprim17ROCPRIM_400000_NS6detail30init_device_scan_by_key_kernelINS1_19lookback_scan_stateINS0_5tupleIJjbEEELb1ELb1EEEN6thrust23THRUST_200600_302600_NS6detail15normal_iteratorINS8_10device_ptrIjEEEEjNS1_16block_id_wrapperIjLb0EEEEEvT_jjPNSG_10value_typeET0_PNSt15iterator_traitsISJ_E10value_typeEmT1_T2_.num_named_barrier, 0
	.set _ZN7rocprim17ROCPRIM_400000_NS6detail30init_device_scan_by_key_kernelINS1_19lookback_scan_stateINS0_5tupleIJjbEEELb1ELb1EEEN6thrust23THRUST_200600_302600_NS6detail15normal_iteratorINS8_10device_ptrIjEEEEjNS1_16block_id_wrapperIjLb0EEEEEvT_jjPNSG_10value_typeET0_PNSt15iterator_traitsISJ_E10value_typeEmT1_T2_.private_seg_size, 0
	.set _ZN7rocprim17ROCPRIM_400000_NS6detail30init_device_scan_by_key_kernelINS1_19lookback_scan_stateINS0_5tupleIJjbEEELb1ELb1EEEN6thrust23THRUST_200600_302600_NS6detail15normal_iteratorINS8_10device_ptrIjEEEEjNS1_16block_id_wrapperIjLb0EEEEEvT_jjPNSG_10value_typeET0_PNSt15iterator_traitsISJ_E10value_typeEmT1_T2_.uses_vcc, 1
	.set _ZN7rocprim17ROCPRIM_400000_NS6detail30init_device_scan_by_key_kernelINS1_19lookback_scan_stateINS0_5tupleIJjbEEELb1ELb1EEEN6thrust23THRUST_200600_302600_NS6detail15normal_iteratorINS8_10device_ptrIjEEEEjNS1_16block_id_wrapperIjLb0EEEEEvT_jjPNSG_10value_typeET0_PNSt15iterator_traitsISJ_E10value_typeEmT1_T2_.uses_flat_scratch, 0
	.set _ZN7rocprim17ROCPRIM_400000_NS6detail30init_device_scan_by_key_kernelINS1_19lookback_scan_stateINS0_5tupleIJjbEEELb1ELb1EEEN6thrust23THRUST_200600_302600_NS6detail15normal_iteratorINS8_10device_ptrIjEEEEjNS1_16block_id_wrapperIjLb0EEEEEvT_jjPNSG_10value_typeET0_PNSt15iterator_traitsISJ_E10value_typeEmT1_T2_.has_dyn_sized_stack, 0
	.set _ZN7rocprim17ROCPRIM_400000_NS6detail30init_device_scan_by_key_kernelINS1_19lookback_scan_stateINS0_5tupleIJjbEEELb1ELb1EEEN6thrust23THRUST_200600_302600_NS6detail15normal_iteratorINS8_10device_ptrIjEEEEjNS1_16block_id_wrapperIjLb0EEEEEvT_jjPNSG_10value_typeET0_PNSt15iterator_traitsISJ_E10value_typeEmT1_T2_.has_recursion, 0
	.set _ZN7rocprim17ROCPRIM_400000_NS6detail30init_device_scan_by_key_kernelINS1_19lookback_scan_stateINS0_5tupleIJjbEEELb1ELb1EEEN6thrust23THRUST_200600_302600_NS6detail15normal_iteratorINS8_10device_ptrIjEEEEjNS1_16block_id_wrapperIjLb0EEEEEvT_jjPNSG_10value_typeET0_PNSt15iterator_traitsISJ_E10value_typeEmT1_T2_.has_indirect_call, 0
	.section	.AMDGPU.csdata,"",@progbits
; Kernel info:
; codeLenInByte = 728
; TotalNumSgprs: 19
; NumVgprs: 9
; ScratchSize: 0
; MemoryBound: 0
; FloatMode: 240
; IeeeMode: 1
; LDSByteSize: 0 bytes/workgroup (compile time only)
; SGPRBlocks: 0
; VGPRBlocks: 1
; NumSGPRsForWavesPerEU: 19
; NumVGPRsForWavesPerEU: 9
; Occupancy: 16
; WaveLimiterHint : 0
; COMPUTE_PGM_RSRC2:SCRATCH_EN: 0
; COMPUTE_PGM_RSRC2:USER_SGPR: 6
; COMPUTE_PGM_RSRC2:TRAP_HANDLER: 0
; COMPUTE_PGM_RSRC2:TGID_X_EN: 1
; COMPUTE_PGM_RSRC2:TGID_Y_EN: 0
; COMPUTE_PGM_RSRC2:TGID_Z_EN: 0
; COMPUTE_PGM_RSRC2:TIDIG_COMP_CNT: 0
	.section	.text._ZN7rocprim17ROCPRIM_400000_NS6detail17trampoline_kernelINS0_14default_configENS1_27scan_by_key_config_selectorIjjEEZZNS1_16scan_by_key_implILNS1_25lookback_scan_determinismE0ELb0ES3_N6thrust23THRUST_200600_302600_NS6detail15normal_iteratorINS9_10device_ptrIjEEEESE_SE_jNS9_4plusIvEENS9_8equal_toIvEEjEE10hipError_tPvRmT2_T3_T4_T5_mT6_T7_P12ihipStream_tbENKUlT_T0_E_clISt17integral_constantIbLb1EESY_IbLb0EEEEDaSU_SV_EUlSU_E_NS1_11comp_targetILNS1_3genE0ELNS1_11target_archE4294967295ELNS1_3gpuE0ELNS1_3repE0EEENS1_30default_config_static_selectorELNS0_4arch9wavefront6targetE0EEEvT1_,"axG",@progbits,_ZN7rocprim17ROCPRIM_400000_NS6detail17trampoline_kernelINS0_14default_configENS1_27scan_by_key_config_selectorIjjEEZZNS1_16scan_by_key_implILNS1_25lookback_scan_determinismE0ELb0ES3_N6thrust23THRUST_200600_302600_NS6detail15normal_iteratorINS9_10device_ptrIjEEEESE_SE_jNS9_4plusIvEENS9_8equal_toIvEEjEE10hipError_tPvRmT2_T3_T4_T5_mT6_T7_P12ihipStream_tbENKUlT_T0_E_clISt17integral_constantIbLb1EESY_IbLb0EEEEDaSU_SV_EUlSU_E_NS1_11comp_targetILNS1_3genE0ELNS1_11target_archE4294967295ELNS1_3gpuE0ELNS1_3repE0EEENS1_30default_config_static_selectorELNS0_4arch9wavefront6targetE0EEEvT1_,comdat
	.protected	_ZN7rocprim17ROCPRIM_400000_NS6detail17trampoline_kernelINS0_14default_configENS1_27scan_by_key_config_selectorIjjEEZZNS1_16scan_by_key_implILNS1_25lookback_scan_determinismE0ELb0ES3_N6thrust23THRUST_200600_302600_NS6detail15normal_iteratorINS9_10device_ptrIjEEEESE_SE_jNS9_4plusIvEENS9_8equal_toIvEEjEE10hipError_tPvRmT2_T3_T4_T5_mT6_T7_P12ihipStream_tbENKUlT_T0_E_clISt17integral_constantIbLb1EESY_IbLb0EEEEDaSU_SV_EUlSU_E_NS1_11comp_targetILNS1_3genE0ELNS1_11target_archE4294967295ELNS1_3gpuE0ELNS1_3repE0EEENS1_30default_config_static_selectorELNS0_4arch9wavefront6targetE0EEEvT1_ ; -- Begin function _ZN7rocprim17ROCPRIM_400000_NS6detail17trampoline_kernelINS0_14default_configENS1_27scan_by_key_config_selectorIjjEEZZNS1_16scan_by_key_implILNS1_25lookback_scan_determinismE0ELb0ES3_N6thrust23THRUST_200600_302600_NS6detail15normal_iteratorINS9_10device_ptrIjEEEESE_SE_jNS9_4plusIvEENS9_8equal_toIvEEjEE10hipError_tPvRmT2_T3_T4_T5_mT6_T7_P12ihipStream_tbENKUlT_T0_E_clISt17integral_constantIbLb1EESY_IbLb0EEEEDaSU_SV_EUlSU_E_NS1_11comp_targetILNS1_3genE0ELNS1_11target_archE4294967295ELNS1_3gpuE0ELNS1_3repE0EEENS1_30default_config_static_selectorELNS0_4arch9wavefront6targetE0EEEvT1_
	.globl	_ZN7rocprim17ROCPRIM_400000_NS6detail17trampoline_kernelINS0_14default_configENS1_27scan_by_key_config_selectorIjjEEZZNS1_16scan_by_key_implILNS1_25lookback_scan_determinismE0ELb0ES3_N6thrust23THRUST_200600_302600_NS6detail15normal_iteratorINS9_10device_ptrIjEEEESE_SE_jNS9_4plusIvEENS9_8equal_toIvEEjEE10hipError_tPvRmT2_T3_T4_T5_mT6_T7_P12ihipStream_tbENKUlT_T0_E_clISt17integral_constantIbLb1EESY_IbLb0EEEEDaSU_SV_EUlSU_E_NS1_11comp_targetILNS1_3genE0ELNS1_11target_archE4294967295ELNS1_3gpuE0ELNS1_3repE0EEENS1_30default_config_static_selectorELNS0_4arch9wavefront6targetE0EEEvT1_
	.p2align	8
	.type	_ZN7rocprim17ROCPRIM_400000_NS6detail17trampoline_kernelINS0_14default_configENS1_27scan_by_key_config_selectorIjjEEZZNS1_16scan_by_key_implILNS1_25lookback_scan_determinismE0ELb0ES3_N6thrust23THRUST_200600_302600_NS6detail15normal_iteratorINS9_10device_ptrIjEEEESE_SE_jNS9_4plusIvEENS9_8equal_toIvEEjEE10hipError_tPvRmT2_T3_T4_T5_mT6_T7_P12ihipStream_tbENKUlT_T0_E_clISt17integral_constantIbLb1EESY_IbLb0EEEEDaSU_SV_EUlSU_E_NS1_11comp_targetILNS1_3genE0ELNS1_11target_archE4294967295ELNS1_3gpuE0ELNS1_3repE0EEENS1_30default_config_static_selectorELNS0_4arch9wavefront6targetE0EEEvT1_,@function
_ZN7rocprim17ROCPRIM_400000_NS6detail17trampoline_kernelINS0_14default_configENS1_27scan_by_key_config_selectorIjjEEZZNS1_16scan_by_key_implILNS1_25lookback_scan_determinismE0ELb0ES3_N6thrust23THRUST_200600_302600_NS6detail15normal_iteratorINS9_10device_ptrIjEEEESE_SE_jNS9_4plusIvEENS9_8equal_toIvEEjEE10hipError_tPvRmT2_T3_T4_T5_mT6_T7_P12ihipStream_tbENKUlT_T0_E_clISt17integral_constantIbLb1EESY_IbLb0EEEEDaSU_SV_EUlSU_E_NS1_11comp_targetILNS1_3genE0ELNS1_11target_archE4294967295ELNS1_3gpuE0ELNS1_3repE0EEENS1_30default_config_static_selectorELNS0_4arch9wavefront6targetE0EEEvT1_: ; @_ZN7rocprim17ROCPRIM_400000_NS6detail17trampoline_kernelINS0_14default_configENS1_27scan_by_key_config_selectorIjjEEZZNS1_16scan_by_key_implILNS1_25lookback_scan_determinismE0ELb0ES3_N6thrust23THRUST_200600_302600_NS6detail15normal_iteratorINS9_10device_ptrIjEEEESE_SE_jNS9_4plusIvEENS9_8equal_toIvEEjEE10hipError_tPvRmT2_T3_T4_T5_mT6_T7_P12ihipStream_tbENKUlT_T0_E_clISt17integral_constantIbLb1EESY_IbLb0EEEEDaSU_SV_EUlSU_E_NS1_11comp_targetILNS1_3genE0ELNS1_11target_archE4294967295ELNS1_3gpuE0ELNS1_3repE0EEENS1_30default_config_static_selectorELNS0_4arch9wavefront6targetE0EEEvT1_
; %bb.0:
	.section	.rodata,"a",@progbits
	.p2align	6, 0x0
	.amdhsa_kernel _ZN7rocprim17ROCPRIM_400000_NS6detail17trampoline_kernelINS0_14default_configENS1_27scan_by_key_config_selectorIjjEEZZNS1_16scan_by_key_implILNS1_25lookback_scan_determinismE0ELb0ES3_N6thrust23THRUST_200600_302600_NS6detail15normal_iteratorINS9_10device_ptrIjEEEESE_SE_jNS9_4plusIvEENS9_8equal_toIvEEjEE10hipError_tPvRmT2_T3_T4_T5_mT6_T7_P12ihipStream_tbENKUlT_T0_E_clISt17integral_constantIbLb1EESY_IbLb0EEEEDaSU_SV_EUlSU_E_NS1_11comp_targetILNS1_3genE0ELNS1_11target_archE4294967295ELNS1_3gpuE0ELNS1_3repE0EEENS1_30default_config_static_selectorELNS0_4arch9wavefront6targetE0EEEvT1_
		.amdhsa_group_segment_fixed_size 0
		.amdhsa_private_segment_fixed_size 0
		.amdhsa_kernarg_size 112
		.amdhsa_user_sgpr_count 6
		.amdhsa_user_sgpr_private_segment_buffer 1
		.amdhsa_user_sgpr_dispatch_ptr 0
		.amdhsa_user_sgpr_queue_ptr 0
		.amdhsa_user_sgpr_kernarg_segment_ptr 1
		.amdhsa_user_sgpr_dispatch_id 0
		.amdhsa_user_sgpr_flat_scratch_init 0
		.amdhsa_user_sgpr_private_segment_size 0
		.amdhsa_wavefront_size32 1
		.amdhsa_uses_dynamic_stack 0
		.amdhsa_system_sgpr_private_segment_wavefront_offset 0
		.amdhsa_system_sgpr_workgroup_id_x 1
		.amdhsa_system_sgpr_workgroup_id_y 0
		.amdhsa_system_sgpr_workgroup_id_z 0
		.amdhsa_system_sgpr_workgroup_info 0
		.amdhsa_system_vgpr_workitem_id 0
		.amdhsa_next_free_vgpr 1
		.amdhsa_next_free_sgpr 1
		.amdhsa_reserve_vcc 0
		.amdhsa_reserve_flat_scratch 0
		.amdhsa_float_round_mode_32 0
		.amdhsa_float_round_mode_16_64 0
		.amdhsa_float_denorm_mode_32 3
		.amdhsa_float_denorm_mode_16_64 3
		.amdhsa_dx10_clamp 1
		.amdhsa_ieee_mode 1
		.amdhsa_fp16_overflow 0
		.amdhsa_workgroup_processor_mode 1
		.amdhsa_memory_ordered 1
		.amdhsa_forward_progress 1
		.amdhsa_shared_vgpr_count 0
		.amdhsa_exception_fp_ieee_invalid_op 0
		.amdhsa_exception_fp_denorm_src 0
		.amdhsa_exception_fp_ieee_div_zero 0
		.amdhsa_exception_fp_ieee_overflow 0
		.amdhsa_exception_fp_ieee_underflow 0
		.amdhsa_exception_fp_ieee_inexact 0
		.amdhsa_exception_int_div_zero 0
	.end_amdhsa_kernel
	.section	.text._ZN7rocprim17ROCPRIM_400000_NS6detail17trampoline_kernelINS0_14default_configENS1_27scan_by_key_config_selectorIjjEEZZNS1_16scan_by_key_implILNS1_25lookback_scan_determinismE0ELb0ES3_N6thrust23THRUST_200600_302600_NS6detail15normal_iteratorINS9_10device_ptrIjEEEESE_SE_jNS9_4plusIvEENS9_8equal_toIvEEjEE10hipError_tPvRmT2_T3_T4_T5_mT6_T7_P12ihipStream_tbENKUlT_T0_E_clISt17integral_constantIbLb1EESY_IbLb0EEEEDaSU_SV_EUlSU_E_NS1_11comp_targetILNS1_3genE0ELNS1_11target_archE4294967295ELNS1_3gpuE0ELNS1_3repE0EEENS1_30default_config_static_selectorELNS0_4arch9wavefront6targetE0EEEvT1_,"axG",@progbits,_ZN7rocprim17ROCPRIM_400000_NS6detail17trampoline_kernelINS0_14default_configENS1_27scan_by_key_config_selectorIjjEEZZNS1_16scan_by_key_implILNS1_25lookback_scan_determinismE0ELb0ES3_N6thrust23THRUST_200600_302600_NS6detail15normal_iteratorINS9_10device_ptrIjEEEESE_SE_jNS9_4plusIvEENS9_8equal_toIvEEjEE10hipError_tPvRmT2_T3_T4_T5_mT6_T7_P12ihipStream_tbENKUlT_T0_E_clISt17integral_constantIbLb1EESY_IbLb0EEEEDaSU_SV_EUlSU_E_NS1_11comp_targetILNS1_3genE0ELNS1_11target_archE4294967295ELNS1_3gpuE0ELNS1_3repE0EEENS1_30default_config_static_selectorELNS0_4arch9wavefront6targetE0EEEvT1_,comdat
.Lfunc_end1846:
	.size	_ZN7rocprim17ROCPRIM_400000_NS6detail17trampoline_kernelINS0_14default_configENS1_27scan_by_key_config_selectorIjjEEZZNS1_16scan_by_key_implILNS1_25lookback_scan_determinismE0ELb0ES3_N6thrust23THRUST_200600_302600_NS6detail15normal_iteratorINS9_10device_ptrIjEEEESE_SE_jNS9_4plusIvEENS9_8equal_toIvEEjEE10hipError_tPvRmT2_T3_T4_T5_mT6_T7_P12ihipStream_tbENKUlT_T0_E_clISt17integral_constantIbLb1EESY_IbLb0EEEEDaSU_SV_EUlSU_E_NS1_11comp_targetILNS1_3genE0ELNS1_11target_archE4294967295ELNS1_3gpuE0ELNS1_3repE0EEENS1_30default_config_static_selectorELNS0_4arch9wavefront6targetE0EEEvT1_, .Lfunc_end1846-_ZN7rocprim17ROCPRIM_400000_NS6detail17trampoline_kernelINS0_14default_configENS1_27scan_by_key_config_selectorIjjEEZZNS1_16scan_by_key_implILNS1_25lookback_scan_determinismE0ELb0ES3_N6thrust23THRUST_200600_302600_NS6detail15normal_iteratorINS9_10device_ptrIjEEEESE_SE_jNS9_4plusIvEENS9_8equal_toIvEEjEE10hipError_tPvRmT2_T3_T4_T5_mT6_T7_P12ihipStream_tbENKUlT_T0_E_clISt17integral_constantIbLb1EESY_IbLb0EEEEDaSU_SV_EUlSU_E_NS1_11comp_targetILNS1_3genE0ELNS1_11target_archE4294967295ELNS1_3gpuE0ELNS1_3repE0EEENS1_30default_config_static_selectorELNS0_4arch9wavefront6targetE0EEEvT1_
                                        ; -- End function
	.set _ZN7rocprim17ROCPRIM_400000_NS6detail17trampoline_kernelINS0_14default_configENS1_27scan_by_key_config_selectorIjjEEZZNS1_16scan_by_key_implILNS1_25lookback_scan_determinismE0ELb0ES3_N6thrust23THRUST_200600_302600_NS6detail15normal_iteratorINS9_10device_ptrIjEEEESE_SE_jNS9_4plusIvEENS9_8equal_toIvEEjEE10hipError_tPvRmT2_T3_T4_T5_mT6_T7_P12ihipStream_tbENKUlT_T0_E_clISt17integral_constantIbLb1EESY_IbLb0EEEEDaSU_SV_EUlSU_E_NS1_11comp_targetILNS1_3genE0ELNS1_11target_archE4294967295ELNS1_3gpuE0ELNS1_3repE0EEENS1_30default_config_static_selectorELNS0_4arch9wavefront6targetE0EEEvT1_.num_vgpr, 0
	.set _ZN7rocprim17ROCPRIM_400000_NS6detail17trampoline_kernelINS0_14default_configENS1_27scan_by_key_config_selectorIjjEEZZNS1_16scan_by_key_implILNS1_25lookback_scan_determinismE0ELb0ES3_N6thrust23THRUST_200600_302600_NS6detail15normal_iteratorINS9_10device_ptrIjEEEESE_SE_jNS9_4plusIvEENS9_8equal_toIvEEjEE10hipError_tPvRmT2_T3_T4_T5_mT6_T7_P12ihipStream_tbENKUlT_T0_E_clISt17integral_constantIbLb1EESY_IbLb0EEEEDaSU_SV_EUlSU_E_NS1_11comp_targetILNS1_3genE0ELNS1_11target_archE4294967295ELNS1_3gpuE0ELNS1_3repE0EEENS1_30default_config_static_selectorELNS0_4arch9wavefront6targetE0EEEvT1_.num_agpr, 0
	.set _ZN7rocprim17ROCPRIM_400000_NS6detail17trampoline_kernelINS0_14default_configENS1_27scan_by_key_config_selectorIjjEEZZNS1_16scan_by_key_implILNS1_25lookback_scan_determinismE0ELb0ES3_N6thrust23THRUST_200600_302600_NS6detail15normal_iteratorINS9_10device_ptrIjEEEESE_SE_jNS9_4plusIvEENS9_8equal_toIvEEjEE10hipError_tPvRmT2_T3_T4_T5_mT6_T7_P12ihipStream_tbENKUlT_T0_E_clISt17integral_constantIbLb1EESY_IbLb0EEEEDaSU_SV_EUlSU_E_NS1_11comp_targetILNS1_3genE0ELNS1_11target_archE4294967295ELNS1_3gpuE0ELNS1_3repE0EEENS1_30default_config_static_selectorELNS0_4arch9wavefront6targetE0EEEvT1_.numbered_sgpr, 0
	.set _ZN7rocprim17ROCPRIM_400000_NS6detail17trampoline_kernelINS0_14default_configENS1_27scan_by_key_config_selectorIjjEEZZNS1_16scan_by_key_implILNS1_25lookback_scan_determinismE0ELb0ES3_N6thrust23THRUST_200600_302600_NS6detail15normal_iteratorINS9_10device_ptrIjEEEESE_SE_jNS9_4plusIvEENS9_8equal_toIvEEjEE10hipError_tPvRmT2_T3_T4_T5_mT6_T7_P12ihipStream_tbENKUlT_T0_E_clISt17integral_constantIbLb1EESY_IbLb0EEEEDaSU_SV_EUlSU_E_NS1_11comp_targetILNS1_3genE0ELNS1_11target_archE4294967295ELNS1_3gpuE0ELNS1_3repE0EEENS1_30default_config_static_selectorELNS0_4arch9wavefront6targetE0EEEvT1_.num_named_barrier, 0
	.set _ZN7rocprim17ROCPRIM_400000_NS6detail17trampoline_kernelINS0_14default_configENS1_27scan_by_key_config_selectorIjjEEZZNS1_16scan_by_key_implILNS1_25lookback_scan_determinismE0ELb0ES3_N6thrust23THRUST_200600_302600_NS6detail15normal_iteratorINS9_10device_ptrIjEEEESE_SE_jNS9_4plusIvEENS9_8equal_toIvEEjEE10hipError_tPvRmT2_T3_T4_T5_mT6_T7_P12ihipStream_tbENKUlT_T0_E_clISt17integral_constantIbLb1EESY_IbLb0EEEEDaSU_SV_EUlSU_E_NS1_11comp_targetILNS1_3genE0ELNS1_11target_archE4294967295ELNS1_3gpuE0ELNS1_3repE0EEENS1_30default_config_static_selectorELNS0_4arch9wavefront6targetE0EEEvT1_.private_seg_size, 0
	.set _ZN7rocprim17ROCPRIM_400000_NS6detail17trampoline_kernelINS0_14default_configENS1_27scan_by_key_config_selectorIjjEEZZNS1_16scan_by_key_implILNS1_25lookback_scan_determinismE0ELb0ES3_N6thrust23THRUST_200600_302600_NS6detail15normal_iteratorINS9_10device_ptrIjEEEESE_SE_jNS9_4plusIvEENS9_8equal_toIvEEjEE10hipError_tPvRmT2_T3_T4_T5_mT6_T7_P12ihipStream_tbENKUlT_T0_E_clISt17integral_constantIbLb1EESY_IbLb0EEEEDaSU_SV_EUlSU_E_NS1_11comp_targetILNS1_3genE0ELNS1_11target_archE4294967295ELNS1_3gpuE0ELNS1_3repE0EEENS1_30default_config_static_selectorELNS0_4arch9wavefront6targetE0EEEvT1_.uses_vcc, 0
	.set _ZN7rocprim17ROCPRIM_400000_NS6detail17trampoline_kernelINS0_14default_configENS1_27scan_by_key_config_selectorIjjEEZZNS1_16scan_by_key_implILNS1_25lookback_scan_determinismE0ELb0ES3_N6thrust23THRUST_200600_302600_NS6detail15normal_iteratorINS9_10device_ptrIjEEEESE_SE_jNS9_4plusIvEENS9_8equal_toIvEEjEE10hipError_tPvRmT2_T3_T4_T5_mT6_T7_P12ihipStream_tbENKUlT_T0_E_clISt17integral_constantIbLb1EESY_IbLb0EEEEDaSU_SV_EUlSU_E_NS1_11comp_targetILNS1_3genE0ELNS1_11target_archE4294967295ELNS1_3gpuE0ELNS1_3repE0EEENS1_30default_config_static_selectorELNS0_4arch9wavefront6targetE0EEEvT1_.uses_flat_scratch, 0
	.set _ZN7rocprim17ROCPRIM_400000_NS6detail17trampoline_kernelINS0_14default_configENS1_27scan_by_key_config_selectorIjjEEZZNS1_16scan_by_key_implILNS1_25lookback_scan_determinismE0ELb0ES3_N6thrust23THRUST_200600_302600_NS6detail15normal_iteratorINS9_10device_ptrIjEEEESE_SE_jNS9_4plusIvEENS9_8equal_toIvEEjEE10hipError_tPvRmT2_T3_T4_T5_mT6_T7_P12ihipStream_tbENKUlT_T0_E_clISt17integral_constantIbLb1EESY_IbLb0EEEEDaSU_SV_EUlSU_E_NS1_11comp_targetILNS1_3genE0ELNS1_11target_archE4294967295ELNS1_3gpuE0ELNS1_3repE0EEENS1_30default_config_static_selectorELNS0_4arch9wavefront6targetE0EEEvT1_.has_dyn_sized_stack, 0
	.set _ZN7rocprim17ROCPRIM_400000_NS6detail17trampoline_kernelINS0_14default_configENS1_27scan_by_key_config_selectorIjjEEZZNS1_16scan_by_key_implILNS1_25lookback_scan_determinismE0ELb0ES3_N6thrust23THRUST_200600_302600_NS6detail15normal_iteratorINS9_10device_ptrIjEEEESE_SE_jNS9_4plusIvEENS9_8equal_toIvEEjEE10hipError_tPvRmT2_T3_T4_T5_mT6_T7_P12ihipStream_tbENKUlT_T0_E_clISt17integral_constantIbLb1EESY_IbLb0EEEEDaSU_SV_EUlSU_E_NS1_11comp_targetILNS1_3genE0ELNS1_11target_archE4294967295ELNS1_3gpuE0ELNS1_3repE0EEENS1_30default_config_static_selectorELNS0_4arch9wavefront6targetE0EEEvT1_.has_recursion, 0
	.set _ZN7rocprim17ROCPRIM_400000_NS6detail17trampoline_kernelINS0_14default_configENS1_27scan_by_key_config_selectorIjjEEZZNS1_16scan_by_key_implILNS1_25lookback_scan_determinismE0ELb0ES3_N6thrust23THRUST_200600_302600_NS6detail15normal_iteratorINS9_10device_ptrIjEEEESE_SE_jNS9_4plusIvEENS9_8equal_toIvEEjEE10hipError_tPvRmT2_T3_T4_T5_mT6_T7_P12ihipStream_tbENKUlT_T0_E_clISt17integral_constantIbLb1EESY_IbLb0EEEEDaSU_SV_EUlSU_E_NS1_11comp_targetILNS1_3genE0ELNS1_11target_archE4294967295ELNS1_3gpuE0ELNS1_3repE0EEENS1_30default_config_static_selectorELNS0_4arch9wavefront6targetE0EEEvT1_.has_indirect_call, 0
	.section	.AMDGPU.csdata,"",@progbits
; Kernel info:
; codeLenInByte = 0
; TotalNumSgprs: 0
; NumVgprs: 0
; ScratchSize: 0
; MemoryBound: 0
; FloatMode: 240
; IeeeMode: 1
; LDSByteSize: 0 bytes/workgroup (compile time only)
; SGPRBlocks: 0
; VGPRBlocks: 0
; NumSGPRsForWavesPerEU: 1
; NumVGPRsForWavesPerEU: 1
; Occupancy: 16
; WaveLimiterHint : 0
; COMPUTE_PGM_RSRC2:SCRATCH_EN: 0
; COMPUTE_PGM_RSRC2:USER_SGPR: 6
; COMPUTE_PGM_RSRC2:TRAP_HANDLER: 0
; COMPUTE_PGM_RSRC2:TGID_X_EN: 1
; COMPUTE_PGM_RSRC2:TGID_Y_EN: 0
; COMPUTE_PGM_RSRC2:TGID_Z_EN: 0
; COMPUTE_PGM_RSRC2:TIDIG_COMP_CNT: 0
	.section	.text._ZN7rocprim17ROCPRIM_400000_NS6detail17trampoline_kernelINS0_14default_configENS1_27scan_by_key_config_selectorIjjEEZZNS1_16scan_by_key_implILNS1_25lookback_scan_determinismE0ELb0ES3_N6thrust23THRUST_200600_302600_NS6detail15normal_iteratorINS9_10device_ptrIjEEEESE_SE_jNS9_4plusIvEENS9_8equal_toIvEEjEE10hipError_tPvRmT2_T3_T4_T5_mT6_T7_P12ihipStream_tbENKUlT_T0_E_clISt17integral_constantIbLb1EESY_IbLb0EEEEDaSU_SV_EUlSU_E_NS1_11comp_targetILNS1_3genE10ELNS1_11target_archE1201ELNS1_3gpuE5ELNS1_3repE0EEENS1_30default_config_static_selectorELNS0_4arch9wavefront6targetE0EEEvT1_,"axG",@progbits,_ZN7rocprim17ROCPRIM_400000_NS6detail17trampoline_kernelINS0_14default_configENS1_27scan_by_key_config_selectorIjjEEZZNS1_16scan_by_key_implILNS1_25lookback_scan_determinismE0ELb0ES3_N6thrust23THRUST_200600_302600_NS6detail15normal_iteratorINS9_10device_ptrIjEEEESE_SE_jNS9_4plusIvEENS9_8equal_toIvEEjEE10hipError_tPvRmT2_T3_T4_T5_mT6_T7_P12ihipStream_tbENKUlT_T0_E_clISt17integral_constantIbLb1EESY_IbLb0EEEEDaSU_SV_EUlSU_E_NS1_11comp_targetILNS1_3genE10ELNS1_11target_archE1201ELNS1_3gpuE5ELNS1_3repE0EEENS1_30default_config_static_selectorELNS0_4arch9wavefront6targetE0EEEvT1_,comdat
	.protected	_ZN7rocprim17ROCPRIM_400000_NS6detail17trampoline_kernelINS0_14default_configENS1_27scan_by_key_config_selectorIjjEEZZNS1_16scan_by_key_implILNS1_25lookback_scan_determinismE0ELb0ES3_N6thrust23THRUST_200600_302600_NS6detail15normal_iteratorINS9_10device_ptrIjEEEESE_SE_jNS9_4plusIvEENS9_8equal_toIvEEjEE10hipError_tPvRmT2_T3_T4_T5_mT6_T7_P12ihipStream_tbENKUlT_T0_E_clISt17integral_constantIbLb1EESY_IbLb0EEEEDaSU_SV_EUlSU_E_NS1_11comp_targetILNS1_3genE10ELNS1_11target_archE1201ELNS1_3gpuE5ELNS1_3repE0EEENS1_30default_config_static_selectorELNS0_4arch9wavefront6targetE0EEEvT1_ ; -- Begin function _ZN7rocprim17ROCPRIM_400000_NS6detail17trampoline_kernelINS0_14default_configENS1_27scan_by_key_config_selectorIjjEEZZNS1_16scan_by_key_implILNS1_25lookback_scan_determinismE0ELb0ES3_N6thrust23THRUST_200600_302600_NS6detail15normal_iteratorINS9_10device_ptrIjEEEESE_SE_jNS9_4plusIvEENS9_8equal_toIvEEjEE10hipError_tPvRmT2_T3_T4_T5_mT6_T7_P12ihipStream_tbENKUlT_T0_E_clISt17integral_constantIbLb1EESY_IbLb0EEEEDaSU_SV_EUlSU_E_NS1_11comp_targetILNS1_3genE10ELNS1_11target_archE1201ELNS1_3gpuE5ELNS1_3repE0EEENS1_30default_config_static_selectorELNS0_4arch9wavefront6targetE0EEEvT1_
	.globl	_ZN7rocprim17ROCPRIM_400000_NS6detail17trampoline_kernelINS0_14default_configENS1_27scan_by_key_config_selectorIjjEEZZNS1_16scan_by_key_implILNS1_25lookback_scan_determinismE0ELb0ES3_N6thrust23THRUST_200600_302600_NS6detail15normal_iteratorINS9_10device_ptrIjEEEESE_SE_jNS9_4plusIvEENS9_8equal_toIvEEjEE10hipError_tPvRmT2_T3_T4_T5_mT6_T7_P12ihipStream_tbENKUlT_T0_E_clISt17integral_constantIbLb1EESY_IbLb0EEEEDaSU_SV_EUlSU_E_NS1_11comp_targetILNS1_3genE10ELNS1_11target_archE1201ELNS1_3gpuE5ELNS1_3repE0EEENS1_30default_config_static_selectorELNS0_4arch9wavefront6targetE0EEEvT1_
	.p2align	8
	.type	_ZN7rocprim17ROCPRIM_400000_NS6detail17trampoline_kernelINS0_14default_configENS1_27scan_by_key_config_selectorIjjEEZZNS1_16scan_by_key_implILNS1_25lookback_scan_determinismE0ELb0ES3_N6thrust23THRUST_200600_302600_NS6detail15normal_iteratorINS9_10device_ptrIjEEEESE_SE_jNS9_4plusIvEENS9_8equal_toIvEEjEE10hipError_tPvRmT2_T3_T4_T5_mT6_T7_P12ihipStream_tbENKUlT_T0_E_clISt17integral_constantIbLb1EESY_IbLb0EEEEDaSU_SV_EUlSU_E_NS1_11comp_targetILNS1_3genE10ELNS1_11target_archE1201ELNS1_3gpuE5ELNS1_3repE0EEENS1_30default_config_static_selectorELNS0_4arch9wavefront6targetE0EEEvT1_,@function
_ZN7rocprim17ROCPRIM_400000_NS6detail17trampoline_kernelINS0_14default_configENS1_27scan_by_key_config_selectorIjjEEZZNS1_16scan_by_key_implILNS1_25lookback_scan_determinismE0ELb0ES3_N6thrust23THRUST_200600_302600_NS6detail15normal_iteratorINS9_10device_ptrIjEEEESE_SE_jNS9_4plusIvEENS9_8equal_toIvEEjEE10hipError_tPvRmT2_T3_T4_T5_mT6_T7_P12ihipStream_tbENKUlT_T0_E_clISt17integral_constantIbLb1EESY_IbLb0EEEEDaSU_SV_EUlSU_E_NS1_11comp_targetILNS1_3genE10ELNS1_11target_archE1201ELNS1_3gpuE5ELNS1_3repE0EEENS1_30default_config_static_selectorELNS0_4arch9wavefront6targetE0EEEvT1_: ; @_ZN7rocprim17ROCPRIM_400000_NS6detail17trampoline_kernelINS0_14default_configENS1_27scan_by_key_config_selectorIjjEEZZNS1_16scan_by_key_implILNS1_25lookback_scan_determinismE0ELb0ES3_N6thrust23THRUST_200600_302600_NS6detail15normal_iteratorINS9_10device_ptrIjEEEESE_SE_jNS9_4plusIvEENS9_8equal_toIvEEjEE10hipError_tPvRmT2_T3_T4_T5_mT6_T7_P12ihipStream_tbENKUlT_T0_E_clISt17integral_constantIbLb1EESY_IbLb0EEEEDaSU_SV_EUlSU_E_NS1_11comp_targetILNS1_3genE10ELNS1_11target_archE1201ELNS1_3gpuE5ELNS1_3repE0EEENS1_30default_config_static_selectorELNS0_4arch9wavefront6targetE0EEEvT1_
; %bb.0:
	.section	.rodata,"a",@progbits
	.p2align	6, 0x0
	.amdhsa_kernel _ZN7rocprim17ROCPRIM_400000_NS6detail17trampoline_kernelINS0_14default_configENS1_27scan_by_key_config_selectorIjjEEZZNS1_16scan_by_key_implILNS1_25lookback_scan_determinismE0ELb0ES3_N6thrust23THRUST_200600_302600_NS6detail15normal_iteratorINS9_10device_ptrIjEEEESE_SE_jNS9_4plusIvEENS9_8equal_toIvEEjEE10hipError_tPvRmT2_T3_T4_T5_mT6_T7_P12ihipStream_tbENKUlT_T0_E_clISt17integral_constantIbLb1EESY_IbLb0EEEEDaSU_SV_EUlSU_E_NS1_11comp_targetILNS1_3genE10ELNS1_11target_archE1201ELNS1_3gpuE5ELNS1_3repE0EEENS1_30default_config_static_selectorELNS0_4arch9wavefront6targetE0EEEvT1_
		.amdhsa_group_segment_fixed_size 0
		.amdhsa_private_segment_fixed_size 0
		.amdhsa_kernarg_size 112
		.amdhsa_user_sgpr_count 6
		.amdhsa_user_sgpr_private_segment_buffer 1
		.amdhsa_user_sgpr_dispatch_ptr 0
		.amdhsa_user_sgpr_queue_ptr 0
		.amdhsa_user_sgpr_kernarg_segment_ptr 1
		.amdhsa_user_sgpr_dispatch_id 0
		.amdhsa_user_sgpr_flat_scratch_init 0
		.amdhsa_user_sgpr_private_segment_size 0
		.amdhsa_wavefront_size32 1
		.amdhsa_uses_dynamic_stack 0
		.amdhsa_system_sgpr_private_segment_wavefront_offset 0
		.amdhsa_system_sgpr_workgroup_id_x 1
		.amdhsa_system_sgpr_workgroup_id_y 0
		.amdhsa_system_sgpr_workgroup_id_z 0
		.amdhsa_system_sgpr_workgroup_info 0
		.amdhsa_system_vgpr_workitem_id 0
		.amdhsa_next_free_vgpr 1
		.amdhsa_next_free_sgpr 1
		.amdhsa_reserve_vcc 0
		.amdhsa_reserve_flat_scratch 0
		.amdhsa_float_round_mode_32 0
		.amdhsa_float_round_mode_16_64 0
		.amdhsa_float_denorm_mode_32 3
		.amdhsa_float_denorm_mode_16_64 3
		.amdhsa_dx10_clamp 1
		.amdhsa_ieee_mode 1
		.amdhsa_fp16_overflow 0
		.amdhsa_workgroup_processor_mode 1
		.amdhsa_memory_ordered 1
		.amdhsa_forward_progress 1
		.amdhsa_shared_vgpr_count 0
		.amdhsa_exception_fp_ieee_invalid_op 0
		.amdhsa_exception_fp_denorm_src 0
		.amdhsa_exception_fp_ieee_div_zero 0
		.amdhsa_exception_fp_ieee_overflow 0
		.amdhsa_exception_fp_ieee_underflow 0
		.amdhsa_exception_fp_ieee_inexact 0
		.amdhsa_exception_int_div_zero 0
	.end_amdhsa_kernel
	.section	.text._ZN7rocprim17ROCPRIM_400000_NS6detail17trampoline_kernelINS0_14default_configENS1_27scan_by_key_config_selectorIjjEEZZNS1_16scan_by_key_implILNS1_25lookback_scan_determinismE0ELb0ES3_N6thrust23THRUST_200600_302600_NS6detail15normal_iteratorINS9_10device_ptrIjEEEESE_SE_jNS9_4plusIvEENS9_8equal_toIvEEjEE10hipError_tPvRmT2_T3_T4_T5_mT6_T7_P12ihipStream_tbENKUlT_T0_E_clISt17integral_constantIbLb1EESY_IbLb0EEEEDaSU_SV_EUlSU_E_NS1_11comp_targetILNS1_3genE10ELNS1_11target_archE1201ELNS1_3gpuE5ELNS1_3repE0EEENS1_30default_config_static_selectorELNS0_4arch9wavefront6targetE0EEEvT1_,"axG",@progbits,_ZN7rocprim17ROCPRIM_400000_NS6detail17trampoline_kernelINS0_14default_configENS1_27scan_by_key_config_selectorIjjEEZZNS1_16scan_by_key_implILNS1_25lookback_scan_determinismE0ELb0ES3_N6thrust23THRUST_200600_302600_NS6detail15normal_iteratorINS9_10device_ptrIjEEEESE_SE_jNS9_4plusIvEENS9_8equal_toIvEEjEE10hipError_tPvRmT2_T3_T4_T5_mT6_T7_P12ihipStream_tbENKUlT_T0_E_clISt17integral_constantIbLb1EESY_IbLb0EEEEDaSU_SV_EUlSU_E_NS1_11comp_targetILNS1_3genE10ELNS1_11target_archE1201ELNS1_3gpuE5ELNS1_3repE0EEENS1_30default_config_static_selectorELNS0_4arch9wavefront6targetE0EEEvT1_,comdat
.Lfunc_end1847:
	.size	_ZN7rocprim17ROCPRIM_400000_NS6detail17trampoline_kernelINS0_14default_configENS1_27scan_by_key_config_selectorIjjEEZZNS1_16scan_by_key_implILNS1_25lookback_scan_determinismE0ELb0ES3_N6thrust23THRUST_200600_302600_NS6detail15normal_iteratorINS9_10device_ptrIjEEEESE_SE_jNS9_4plusIvEENS9_8equal_toIvEEjEE10hipError_tPvRmT2_T3_T4_T5_mT6_T7_P12ihipStream_tbENKUlT_T0_E_clISt17integral_constantIbLb1EESY_IbLb0EEEEDaSU_SV_EUlSU_E_NS1_11comp_targetILNS1_3genE10ELNS1_11target_archE1201ELNS1_3gpuE5ELNS1_3repE0EEENS1_30default_config_static_selectorELNS0_4arch9wavefront6targetE0EEEvT1_, .Lfunc_end1847-_ZN7rocprim17ROCPRIM_400000_NS6detail17trampoline_kernelINS0_14default_configENS1_27scan_by_key_config_selectorIjjEEZZNS1_16scan_by_key_implILNS1_25lookback_scan_determinismE0ELb0ES3_N6thrust23THRUST_200600_302600_NS6detail15normal_iteratorINS9_10device_ptrIjEEEESE_SE_jNS9_4plusIvEENS9_8equal_toIvEEjEE10hipError_tPvRmT2_T3_T4_T5_mT6_T7_P12ihipStream_tbENKUlT_T0_E_clISt17integral_constantIbLb1EESY_IbLb0EEEEDaSU_SV_EUlSU_E_NS1_11comp_targetILNS1_3genE10ELNS1_11target_archE1201ELNS1_3gpuE5ELNS1_3repE0EEENS1_30default_config_static_selectorELNS0_4arch9wavefront6targetE0EEEvT1_
                                        ; -- End function
	.set _ZN7rocprim17ROCPRIM_400000_NS6detail17trampoline_kernelINS0_14default_configENS1_27scan_by_key_config_selectorIjjEEZZNS1_16scan_by_key_implILNS1_25lookback_scan_determinismE0ELb0ES3_N6thrust23THRUST_200600_302600_NS6detail15normal_iteratorINS9_10device_ptrIjEEEESE_SE_jNS9_4plusIvEENS9_8equal_toIvEEjEE10hipError_tPvRmT2_T3_T4_T5_mT6_T7_P12ihipStream_tbENKUlT_T0_E_clISt17integral_constantIbLb1EESY_IbLb0EEEEDaSU_SV_EUlSU_E_NS1_11comp_targetILNS1_3genE10ELNS1_11target_archE1201ELNS1_3gpuE5ELNS1_3repE0EEENS1_30default_config_static_selectorELNS0_4arch9wavefront6targetE0EEEvT1_.num_vgpr, 0
	.set _ZN7rocprim17ROCPRIM_400000_NS6detail17trampoline_kernelINS0_14default_configENS1_27scan_by_key_config_selectorIjjEEZZNS1_16scan_by_key_implILNS1_25lookback_scan_determinismE0ELb0ES3_N6thrust23THRUST_200600_302600_NS6detail15normal_iteratorINS9_10device_ptrIjEEEESE_SE_jNS9_4plusIvEENS9_8equal_toIvEEjEE10hipError_tPvRmT2_T3_T4_T5_mT6_T7_P12ihipStream_tbENKUlT_T0_E_clISt17integral_constantIbLb1EESY_IbLb0EEEEDaSU_SV_EUlSU_E_NS1_11comp_targetILNS1_3genE10ELNS1_11target_archE1201ELNS1_3gpuE5ELNS1_3repE0EEENS1_30default_config_static_selectorELNS0_4arch9wavefront6targetE0EEEvT1_.num_agpr, 0
	.set _ZN7rocprim17ROCPRIM_400000_NS6detail17trampoline_kernelINS0_14default_configENS1_27scan_by_key_config_selectorIjjEEZZNS1_16scan_by_key_implILNS1_25lookback_scan_determinismE0ELb0ES3_N6thrust23THRUST_200600_302600_NS6detail15normal_iteratorINS9_10device_ptrIjEEEESE_SE_jNS9_4plusIvEENS9_8equal_toIvEEjEE10hipError_tPvRmT2_T3_T4_T5_mT6_T7_P12ihipStream_tbENKUlT_T0_E_clISt17integral_constantIbLb1EESY_IbLb0EEEEDaSU_SV_EUlSU_E_NS1_11comp_targetILNS1_3genE10ELNS1_11target_archE1201ELNS1_3gpuE5ELNS1_3repE0EEENS1_30default_config_static_selectorELNS0_4arch9wavefront6targetE0EEEvT1_.numbered_sgpr, 0
	.set _ZN7rocprim17ROCPRIM_400000_NS6detail17trampoline_kernelINS0_14default_configENS1_27scan_by_key_config_selectorIjjEEZZNS1_16scan_by_key_implILNS1_25lookback_scan_determinismE0ELb0ES3_N6thrust23THRUST_200600_302600_NS6detail15normal_iteratorINS9_10device_ptrIjEEEESE_SE_jNS9_4plusIvEENS9_8equal_toIvEEjEE10hipError_tPvRmT2_T3_T4_T5_mT6_T7_P12ihipStream_tbENKUlT_T0_E_clISt17integral_constantIbLb1EESY_IbLb0EEEEDaSU_SV_EUlSU_E_NS1_11comp_targetILNS1_3genE10ELNS1_11target_archE1201ELNS1_3gpuE5ELNS1_3repE0EEENS1_30default_config_static_selectorELNS0_4arch9wavefront6targetE0EEEvT1_.num_named_barrier, 0
	.set _ZN7rocprim17ROCPRIM_400000_NS6detail17trampoline_kernelINS0_14default_configENS1_27scan_by_key_config_selectorIjjEEZZNS1_16scan_by_key_implILNS1_25lookback_scan_determinismE0ELb0ES3_N6thrust23THRUST_200600_302600_NS6detail15normal_iteratorINS9_10device_ptrIjEEEESE_SE_jNS9_4plusIvEENS9_8equal_toIvEEjEE10hipError_tPvRmT2_T3_T4_T5_mT6_T7_P12ihipStream_tbENKUlT_T0_E_clISt17integral_constantIbLb1EESY_IbLb0EEEEDaSU_SV_EUlSU_E_NS1_11comp_targetILNS1_3genE10ELNS1_11target_archE1201ELNS1_3gpuE5ELNS1_3repE0EEENS1_30default_config_static_selectorELNS0_4arch9wavefront6targetE0EEEvT1_.private_seg_size, 0
	.set _ZN7rocprim17ROCPRIM_400000_NS6detail17trampoline_kernelINS0_14default_configENS1_27scan_by_key_config_selectorIjjEEZZNS1_16scan_by_key_implILNS1_25lookback_scan_determinismE0ELb0ES3_N6thrust23THRUST_200600_302600_NS6detail15normal_iteratorINS9_10device_ptrIjEEEESE_SE_jNS9_4plusIvEENS9_8equal_toIvEEjEE10hipError_tPvRmT2_T3_T4_T5_mT6_T7_P12ihipStream_tbENKUlT_T0_E_clISt17integral_constantIbLb1EESY_IbLb0EEEEDaSU_SV_EUlSU_E_NS1_11comp_targetILNS1_3genE10ELNS1_11target_archE1201ELNS1_3gpuE5ELNS1_3repE0EEENS1_30default_config_static_selectorELNS0_4arch9wavefront6targetE0EEEvT1_.uses_vcc, 0
	.set _ZN7rocprim17ROCPRIM_400000_NS6detail17trampoline_kernelINS0_14default_configENS1_27scan_by_key_config_selectorIjjEEZZNS1_16scan_by_key_implILNS1_25lookback_scan_determinismE0ELb0ES3_N6thrust23THRUST_200600_302600_NS6detail15normal_iteratorINS9_10device_ptrIjEEEESE_SE_jNS9_4plusIvEENS9_8equal_toIvEEjEE10hipError_tPvRmT2_T3_T4_T5_mT6_T7_P12ihipStream_tbENKUlT_T0_E_clISt17integral_constantIbLb1EESY_IbLb0EEEEDaSU_SV_EUlSU_E_NS1_11comp_targetILNS1_3genE10ELNS1_11target_archE1201ELNS1_3gpuE5ELNS1_3repE0EEENS1_30default_config_static_selectorELNS0_4arch9wavefront6targetE0EEEvT1_.uses_flat_scratch, 0
	.set _ZN7rocprim17ROCPRIM_400000_NS6detail17trampoline_kernelINS0_14default_configENS1_27scan_by_key_config_selectorIjjEEZZNS1_16scan_by_key_implILNS1_25lookback_scan_determinismE0ELb0ES3_N6thrust23THRUST_200600_302600_NS6detail15normal_iteratorINS9_10device_ptrIjEEEESE_SE_jNS9_4plusIvEENS9_8equal_toIvEEjEE10hipError_tPvRmT2_T3_T4_T5_mT6_T7_P12ihipStream_tbENKUlT_T0_E_clISt17integral_constantIbLb1EESY_IbLb0EEEEDaSU_SV_EUlSU_E_NS1_11comp_targetILNS1_3genE10ELNS1_11target_archE1201ELNS1_3gpuE5ELNS1_3repE0EEENS1_30default_config_static_selectorELNS0_4arch9wavefront6targetE0EEEvT1_.has_dyn_sized_stack, 0
	.set _ZN7rocprim17ROCPRIM_400000_NS6detail17trampoline_kernelINS0_14default_configENS1_27scan_by_key_config_selectorIjjEEZZNS1_16scan_by_key_implILNS1_25lookback_scan_determinismE0ELb0ES3_N6thrust23THRUST_200600_302600_NS6detail15normal_iteratorINS9_10device_ptrIjEEEESE_SE_jNS9_4plusIvEENS9_8equal_toIvEEjEE10hipError_tPvRmT2_T3_T4_T5_mT6_T7_P12ihipStream_tbENKUlT_T0_E_clISt17integral_constantIbLb1EESY_IbLb0EEEEDaSU_SV_EUlSU_E_NS1_11comp_targetILNS1_3genE10ELNS1_11target_archE1201ELNS1_3gpuE5ELNS1_3repE0EEENS1_30default_config_static_selectorELNS0_4arch9wavefront6targetE0EEEvT1_.has_recursion, 0
	.set _ZN7rocprim17ROCPRIM_400000_NS6detail17trampoline_kernelINS0_14default_configENS1_27scan_by_key_config_selectorIjjEEZZNS1_16scan_by_key_implILNS1_25lookback_scan_determinismE0ELb0ES3_N6thrust23THRUST_200600_302600_NS6detail15normal_iteratorINS9_10device_ptrIjEEEESE_SE_jNS9_4plusIvEENS9_8equal_toIvEEjEE10hipError_tPvRmT2_T3_T4_T5_mT6_T7_P12ihipStream_tbENKUlT_T0_E_clISt17integral_constantIbLb1EESY_IbLb0EEEEDaSU_SV_EUlSU_E_NS1_11comp_targetILNS1_3genE10ELNS1_11target_archE1201ELNS1_3gpuE5ELNS1_3repE0EEENS1_30default_config_static_selectorELNS0_4arch9wavefront6targetE0EEEvT1_.has_indirect_call, 0
	.section	.AMDGPU.csdata,"",@progbits
; Kernel info:
; codeLenInByte = 0
; TotalNumSgprs: 0
; NumVgprs: 0
; ScratchSize: 0
; MemoryBound: 0
; FloatMode: 240
; IeeeMode: 1
; LDSByteSize: 0 bytes/workgroup (compile time only)
; SGPRBlocks: 0
; VGPRBlocks: 0
; NumSGPRsForWavesPerEU: 1
; NumVGPRsForWavesPerEU: 1
; Occupancy: 16
; WaveLimiterHint : 0
; COMPUTE_PGM_RSRC2:SCRATCH_EN: 0
; COMPUTE_PGM_RSRC2:USER_SGPR: 6
; COMPUTE_PGM_RSRC2:TRAP_HANDLER: 0
; COMPUTE_PGM_RSRC2:TGID_X_EN: 1
; COMPUTE_PGM_RSRC2:TGID_Y_EN: 0
; COMPUTE_PGM_RSRC2:TGID_Z_EN: 0
; COMPUTE_PGM_RSRC2:TIDIG_COMP_CNT: 0
	.section	.text._ZN7rocprim17ROCPRIM_400000_NS6detail17trampoline_kernelINS0_14default_configENS1_27scan_by_key_config_selectorIjjEEZZNS1_16scan_by_key_implILNS1_25lookback_scan_determinismE0ELb0ES3_N6thrust23THRUST_200600_302600_NS6detail15normal_iteratorINS9_10device_ptrIjEEEESE_SE_jNS9_4plusIvEENS9_8equal_toIvEEjEE10hipError_tPvRmT2_T3_T4_T5_mT6_T7_P12ihipStream_tbENKUlT_T0_E_clISt17integral_constantIbLb1EESY_IbLb0EEEEDaSU_SV_EUlSU_E_NS1_11comp_targetILNS1_3genE5ELNS1_11target_archE942ELNS1_3gpuE9ELNS1_3repE0EEENS1_30default_config_static_selectorELNS0_4arch9wavefront6targetE0EEEvT1_,"axG",@progbits,_ZN7rocprim17ROCPRIM_400000_NS6detail17trampoline_kernelINS0_14default_configENS1_27scan_by_key_config_selectorIjjEEZZNS1_16scan_by_key_implILNS1_25lookback_scan_determinismE0ELb0ES3_N6thrust23THRUST_200600_302600_NS6detail15normal_iteratorINS9_10device_ptrIjEEEESE_SE_jNS9_4plusIvEENS9_8equal_toIvEEjEE10hipError_tPvRmT2_T3_T4_T5_mT6_T7_P12ihipStream_tbENKUlT_T0_E_clISt17integral_constantIbLb1EESY_IbLb0EEEEDaSU_SV_EUlSU_E_NS1_11comp_targetILNS1_3genE5ELNS1_11target_archE942ELNS1_3gpuE9ELNS1_3repE0EEENS1_30default_config_static_selectorELNS0_4arch9wavefront6targetE0EEEvT1_,comdat
	.protected	_ZN7rocprim17ROCPRIM_400000_NS6detail17trampoline_kernelINS0_14default_configENS1_27scan_by_key_config_selectorIjjEEZZNS1_16scan_by_key_implILNS1_25lookback_scan_determinismE0ELb0ES3_N6thrust23THRUST_200600_302600_NS6detail15normal_iteratorINS9_10device_ptrIjEEEESE_SE_jNS9_4plusIvEENS9_8equal_toIvEEjEE10hipError_tPvRmT2_T3_T4_T5_mT6_T7_P12ihipStream_tbENKUlT_T0_E_clISt17integral_constantIbLb1EESY_IbLb0EEEEDaSU_SV_EUlSU_E_NS1_11comp_targetILNS1_3genE5ELNS1_11target_archE942ELNS1_3gpuE9ELNS1_3repE0EEENS1_30default_config_static_selectorELNS0_4arch9wavefront6targetE0EEEvT1_ ; -- Begin function _ZN7rocprim17ROCPRIM_400000_NS6detail17trampoline_kernelINS0_14default_configENS1_27scan_by_key_config_selectorIjjEEZZNS1_16scan_by_key_implILNS1_25lookback_scan_determinismE0ELb0ES3_N6thrust23THRUST_200600_302600_NS6detail15normal_iteratorINS9_10device_ptrIjEEEESE_SE_jNS9_4plusIvEENS9_8equal_toIvEEjEE10hipError_tPvRmT2_T3_T4_T5_mT6_T7_P12ihipStream_tbENKUlT_T0_E_clISt17integral_constantIbLb1EESY_IbLb0EEEEDaSU_SV_EUlSU_E_NS1_11comp_targetILNS1_3genE5ELNS1_11target_archE942ELNS1_3gpuE9ELNS1_3repE0EEENS1_30default_config_static_selectorELNS0_4arch9wavefront6targetE0EEEvT1_
	.globl	_ZN7rocprim17ROCPRIM_400000_NS6detail17trampoline_kernelINS0_14default_configENS1_27scan_by_key_config_selectorIjjEEZZNS1_16scan_by_key_implILNS1_25lookback_scan_determinismE0ELb0ES3_N6thrust23THRUST_200600_302600_NS6detail15normal_iteratorINS9_10device_ptrIjEEEESE_SE_jNS9_4plusIvEENS9_8equal_toIvEEjEE10hipError_tPvRmT2_T3_T4_T5_mT6_T7_P12ihipStream_tbENKUlT_T0_E_clISt17integral_constantIbLb1EESY_IbLb0EEEEDaSU_SV_EUlSU_E_NS1_11comp_targetILNS1_3genE5ELNS1_11target_archE942ELNS1_3gpuE9ELNS1_3repE0EEENS1_30default_config_static_selectorELNS0_4arch9wavefront6targetE0EEEvT1_
	.p2align	8
	.type	_ZN7rocprim17ROCPRIM_400000_NS6detail17trampoline_kernelINS0_14default_configENS1_27scan_by_key_config_selectorIjjEEZZNS1_16scan_by_key_implILNS1_25lookback_scan_determinismE0ELb0ES3_N6thrust23THRUST_200600_302600_NS6detail15normal_iteratorINS9_10device_ptrIjEEEESE_SE_jNS9_4plusIvEENS9_8equal_toIvEEjEE10hipError_tPvRmT2_T3_T4_T5_mT6_T7_P12ihipStream_tbENKUlT_T0_E_clISt17integral_constantIbLb1EESY_IbLb0EEEEDaSU_SV_EUlSU_E_NS1_11comp_targetILNS1_3genE5ELNS1_11target_archE942ELNS1_3gpuE9ELNS1_3repE0EEENS1_30default_config_static_selectorELNS0_4arch9wavefront6targetE0EEEvT1_,@function
_ZN7rocprim17ROCPRIM_400000_NS6detail17trampoline_kernelINS0_14default_configENS1_27scan_by_key_config_selectorIjjEEZZNS1_16scan_by_key_implILNS1_25lookback_scan_determinismE0ELb0ES3_N6thrust23THRUST_200600_302600_NS6detail15normal_iteratorINS9_10device_ptrIjEEEESE_SE_jNS9_4plusIvEENS9_8equal_toIvEEjEE10hipError_tPvRmT2_T3_T4_T5_mT6_T7_P12ihipStream_tbENKUlT_T0_E_clISt17integral_constantIbLb1EESY_IbLb0EEEEDaSU_SV_EUlSU_E_NS1_11comp_targetILNS1_3genE5ELNS1_11target_archE942ELNS1_3gpuE9ELNS1_3repE0EEENS1_30default_config_static_selectorELNS0_4arch9wavefront6targetE0EEEvT1_: ; @_ZN7rocprim17ROCPRIM_400000_NS6detail17trampoline_kernelINS0_14default_configENS1_27scan_by_key_config_selectorIjjEEZZNS1_16scan_by_key_implILNS1_25lookback_scan_determinismE0ELb0ES3_N6thrust23THRUST_200600_302600_NS6detail15normal_iteratorINS9_10device_ptrIjEEEESE_SE_jNS9_4plusIvEENS9_8equal_toIvEEjEE10hipError_tPvRmT2_T3_T4_T5_mT6_T7_P12ihipStream_tbENKUlT_T0_E_clISt17integral_constantIbLb1EESY_IbLb0EEEEDaSU_SV_EUlSU_E_NS1_11comp_targetILNS1_3genE5ELNS1_11target_archE942ELNS1_3gpuE9ELNS1_3repE0EEENS1_30default_config_static_selectorELNS0_4arch9wavefront6targetE0EEEvT1_
; %bb.0:
	.section	.rodata,"a",@progbits
	.p2align	6, 0x0
	.amdhsa_kernel _ZN7rocprim17ROCPRIM_400000_NS6detail17trampoline_kernelINS0_14default_configENS1_27scan_by_key_config_selectorIjjEEZZNS1_16scan_by_key_implILNS1_25lookback_scan_determinismE0ELb0ES3_N6thrust23THRUST_200600_302600_NS6detail15normal_iteratorINS9_10device_ptrIjEEEESE_SE_jNS9_4plusIvEENS9_8equal_toIvEEjEE10hipError_tPvRmT2_T3_T4_T5_mT6_T7_P12ihipStream_tbENKUlT_T0_E_clISt17integral_constantIbLb1EESY_IbLb0EEEEDaSU_SV_EUlSU_E_NS1_11comp_targetILNS1_3genE5ELNS1_11target_archE942ELNS1_3gpuE9ELNS1_3repE0EEENS1_30default_config_static_selectorELNS0_4arch9wavefront6targetE0EEEvT1_
		.amdhsa_group_segment_fixed_size 0
		.amdhsa_private_segment_fixed_size 0
		.amdhsa_kernarg_size 112
		.amdhsa_user_sgpr_count 6
		.amdhsa_user_sgpr_private_segment_buffer 1
		.amdhsa_user_sgpr_dispatch_ptr 0
		.amdhsa_user_sgpr_queue_ptr 0
		.amdhsa_user_sgpr_kernarg_segment_ptr 1
		.amdhsa_user_sgpr_dispatch_id 0
		.amdhsa_user_sgpr_flat_scratch_init 0
		.amdhsa_user_sgpr_private_segment_size 0
		.amdhsa_wavefront_size32 1
		.amdhsa_uses_dynamic_stack 0
		.amdhsa_system_sgpr_private_segment_wavefront_offset 0
		.amdhsa_system_sgpr_workgroup_id_x 1
		.amdhsa_system_sgpr_workgroup_id_y 0
		.amdhsa_system_sgpr_workgroup_id_z 0
		.amdhsa_system_sgpr_workgroup_info 0
		.amdhsa_system_vgpr_workitem_id 0
		.amdhsa_next_free_vgpr 1
		.amdhsa_next_free_sgpr 1
		.amdhsa_reserve_vcc 0
		.amdhsa_reserve_flat_scratch 0
		.amdhsa_float_round_mode_32 0
		.amdhsa_float_round_mode_16_64 0
		.amdhsa_float_denorm_mode_32 3
		.amdhsa_float_denorm_mode_16_64 3
		.amdhsa_dx10_clamp 1
		.amdhsa_ieee_mode 1
		.amdhsa_fp16_overflow 0
		.amdhsa_workgroup_processor_mode 1
		.amdhsa_memory_ordered 1
		.amdhsa_forward_progress 1
		.amdhsa_shared_vgpr_count 0
		.amdhsa_exception_fp_ieee_invalid_op 0
		.amdhsa_exception_fp_denorm_src 0
		.amdhsa_exception_fp_ieee_div_zero 0
		.amdhsa_exception_fp_ieee_overflow 0
		.amdhsa_exception_fp_ieee_underflow 0
		.amdhsa_exception_fp_ieee_inexact 0
		.amdhsa_exception_int_div_zero 0
	.end_amdhsa_kernel
	.section	.text._ZN7rocprim17ROCPRIM_400000_NS6detail17trampoline_kernelINS0_14default_configENS1_27scan_by_key_config_selectorIjjEEZZNS1_16scan_by_key_implILNS1_25lookback_scan_determinismE0ELb0ES3_N6thrust23THRUST_200600_302600_NS6detail15normal_iteratorINS9_10device_ptrIjEEEESE_SE_jNS9_4plusIvEENS9_8equal_toIvEEjEE10hipError_tPvRmT2_T3_T4_T5_mT6_T7_P12ihipStream_tbENKUlT_T0_E_clISt17integral_constantIbLb1EESY_IbLb0EEEEDaSU_SV_EUlSU_E_NS1_11comp_targetILNS1_3genE5ELNS1_11target_archE942ELNS1_3gpuE9ELNS1_3repE0EEENS1_30default_config_static_selectorELNS0_4arch9wavefront6targetE0EEEvT1_,"axG",@progbits,_ZN7rocprim17ROCPRIM_400000_NS6detail17trampoline_kernelINS0_14default_configENS1_27scan_by_key_config_selectorIjjEEZZNS1_16scan_by_key_implILNS1_25lookback_scan_determinismE0ELb0ES3_N6thrust23THRUST_200600_302600_NS6detail15normal_iteratorINS9_10device_ptrIjEEEESE_SE_jNS9_4plusIvEENS9_8equal_toIvEEjEE10hipError_tPvRmT2_T3_T4_T5_mT6_T7_P12ihipStream_tbENKUlT_T0_E_clISt17integral_constantIbLb1EESY_IbLb0EEEEDaSU_SV_EUlSU_E_NS1_11comp_targetILNS1_3genE5ELNS1_11target_archE942ELNS1_3gpuE9ELNS1_3repE0EEENS1_30default_config_static_selectorELNS0_4arch9wavefront6targetE0EEEvT1_,comdat
.Lfunc_end1848:
	.size	_ZN7rocprim17ROCPRIM_400000_NS6detail17trampoline_kernelINS0_14default_configENS1_27scan_by_key_config_selectorIjjEEZZNS1_16scan_by_key_implILNS1_25lookback_scan_determinismE0ELb0ES3_N6thrust23THRUST_200600_302600_NS6detail15normal_iteratorINS9_10device_ptrIjEEEESE_SE_jNS9_4plusIvEENS9_8equal_toIvEEjEE10hipError_tPvRmT2_T3_T4_T5_mT6_T7_P12ihipStream_tbENKUlT_T0_E_clISt17integral_constantIbLb1EESY_IbLb0EEEEDaSU_SV_EUlSU_E_NS1_11comp_targetILNS1_3genE5ELNS1_11target_archE942ELNS1_3gpuE9ELNS1_3repE0EEENS1_30default_config_static_selectorELNS0_4arch9wavefront6targetE0EEEvT1_, .Lfunc_end1848-_ZN7rocprim17ROCPRIM_400000_NS6detail17trampoline_kernelINS0_14default_configENS1_27scan_by_key_config_selectorIjjEEZZNS1_16scan_by_key_implILNS1_25lookback_scan_determinismE0ELb0ES3_N6thrust23THRUST_200600_302600_NS6detail15normal_iteratorINS9_10device_ptrIjEEEESE_SE_jNS9_4plusIvEENS9_8equal_toIvEEjEE10hipError_tPvRmT2_T3_T4_T5_mT6_T7_P12ihipStream_tbENKUlT_T0_E_clISt17integral_constantIbLb1EESY_IbLb0EEEEDaSU_SV_EUlSU_E_NS1_11comp_targetILNS1_3genE5ELNS1_11target_archE942ELNS1_3gpuE9ELNS1_3repE0EEENS1_30default_config_static_selectorELNS0_4arch9wavefront6targetE0EEEvT1_
                                        ; -- End function
	.set _ZN7rocprim17ROCPRIM_400000_NS6detail17trampoline_kernelINS0_14default_configENS1_27scan_by_key_config_selectorIjjEEZZNS1_16scan_by_key_implILNS1_25lookback_scan_determinismE0ELb0ES3_N6thrust23THRUST_200600_302600_NS6detail15normal_iteratorINS9_10device_ptrIjEEEESE_SE_jNS9_4plusIvEENS9_8equal_toIvEEjEE10hipError_tPvRmT2_T3_T4_T5_mT6_T7_P12ihipStream_tbENKUlT_T0_E_clISt17integral_constantIbLb1EESY_IbLb0EEEEDaSU_SV_EUlSU_E_NS1_11comp_targetILNS1_3genE5ELNS1_11target_archE942ELNS1_3gpuE9ELNS1_3repE0EEENS1_30default_config_static_selectorELNS0_4arch9wavefront6targetE0EEEvT1_.num_vgpr, 0
	.set _ZN7rocprim17ROCPRIM_400000_NS6detail17trampoline_kernelINS0_14default_configENS1_27scan_by_key_config_selectorIjjEEZZNS1_16scan_by_key_implILNS1_25lookback_scan_determinismE0ELb0ES3_N6thrust23THRUST_200600_302600_NS6detail15normal_iteratorINS9_10device_ptrIjEEEESE_SE_jNS9_4plusIvEENS9_8equal_toIvEEjEE10hipError_tPvRmT2_T3_T4_T5_mT6_T7_P12ihipStream_tbENKUlT_T0_E_clISt17integral_constantIbLb1EESY_IbLb0EEEEDaSU_SV_EUlSU_E_NS1_11comp_targetILNS1_3genE5ELNS1_11target_archE942ELNS1_3gpuE9ELNS1_3repE0EEENS1_30default_config_static_selectorELNS0_4arch9wavefront6targetE0EEEvT1_.num_agpr, 0
	.set _ZN7rocprim17ROCPRIM_400000_NS6detail17trampoline_kernelINS0_14default_configENS1_27scan_by_key_config_selectorIjjEEZZNS1_16scan_by_key_implILNS1_25lookback_scan_determinismE0ELb0ES3_N6thrust23THRUST_200600_302600_NS6detail15normal_iteratorINS9_10device_ptrIjEEEESE_SE_jNS9_4plusIvEENS9_8equal_toIvEEjEE10hipError_tPvRmT2_T3_T4_T5_mT6_T7_P12ihipStream_tbENKUlT_T0_E_clISt17integral_constantIbLb1EESY_IbLb0EEEEDaSU_SV_EUlSU_E_NS1_11comp_targetILNS1_3genE5ELNS1_11target_archE942ELNS1_3gpuE9ELNS1_3repE0EEENS1_30default_config_static_selectorELNS0_4arch9wavefront6targetE0EEEvT1_.numbered_sgpr, 0
	.set _ZN7rocprim17ROCPRIM_400000_NS6detail17trampoline_kernelINS0_14default_configENS1_27scan_by_key_config_selectorIjjEEZZNS1_16scan_by_key_implILNS1_25lookback_scan_determinismE0ELb0ES3_N6thrust23THRUST_200600_302600_NS6detail15normal_iteratorINS9_10device_ptrIjEEEESE_SE_jNS9_4plusIvEENS9_8equal_toIvEEjEE10hipError_tPvRmT2_T3_T4_T5_mT6_T7_P12ihipStream_tbENKUlT_T0_E_clISt17integral_constantIbLb1EESY_IbLb0EEEEDaSU_SV_EUlSU_E_NS1_11comp_targetILNS1_3genE5ELNS1_11target_archE942ELNS1_3gpuE9ELNS1_3repE0EEENS1_30default_config_static_selectorELNS0_4arch9wavefront6targetE0EEEvT1_.num_named_barrier, 0
	.set _ZN7rocprim17ROCPRIM_400000_NS6detail17trampoline_kernelINS0_14default_configENS1_27scan_by_key_config_selectorIjjEEZZNS1_16scan_by_key_implILNS1_25lookback_scan_determinismE0ELb0ES3_N6thrust23THRUST_200600_302600_NS6detail15normal_iteratorINS9_10device_ptrIjEEEESE_SE_jNS9_4plusIvEENS9_8equal_toIvEEjEE10hipError_tPvRmT2_T3_T4_T5_mT6_T7_P12ihipStream_tbENKUlT_T0_E_clISt17integral_constantIbLb1EESY_IbLb0EEEEDaSU_SV_EUlSU_E_NS1_11comp_targetILNS1_3genE5ELNS1_11target_archE942ELNS1_3gpuE9ELNS1_3repE0EEENS1_30default_config_static_selectorELNS0_4arch9wavefront6targetE0EEEvT1_.private_seg_size, 0
	.set _ZN7rocprim17ROCPRIM_400000_NS6detail17trampoline_kernelINS0_14default_configENS1_27scan_by_key_config_selectorIjjEEZZNS1_16scan_by_key_implILNS1_25lookback_scan_determinismE0ELb0ES3_N6thrust23THRUST_200600_302600_NS6detail15normal_iteratorINS9_10device_ptrIjEEEESE_SE_jNS9_4plusIvEENS9_8equal_toIvEEjEE10hipError_tPvRmT2_T3_T4_T5_mT6_T7_P12ihipStream_tbENKUlT_T0_E_clISt17integral_constantIbLb1EESY_IbLb0EEEEDaSU_SV_EUlSU_E_NS1_11comp_targetILNS1_3genE5ELNS1_11target_archE942ELNS1_3gpuE9ELNS1_3repE0EEENS1_30default_config_static_selectorELNS0_4arch9wavefront6targetE0EEEvT1_.uses_vcc, 0
	.set _ZN7rocprim17ROCPRIM_400000_NS6detail17trampoline_kernelINS0_14default_configENS1_27scan_by_key_config_selectorIjjEEZZNS1_16scan_by_key_implILNS1_25lookback_scan_determinismE0ELb0ES3_N6thrust23THRUST_200600_302600_NS6detail15normal_iteratorINS9_10device_ptrIjEEEESE_SE_jNS9_4plusIvEENS9_8equal_toIvEEjEE10hipError_tPvRmT2_T3_T4_T5_mT6_T7_P12ihipStream_tbENKUlT_T0_E_clISt17integral_constantIbLb1EESY_IbLb0EEEEDaSU_SV_EUlSU_E_NS1_11comp_targetILNS1_3genE5ELNS1_11target_archE942ELNS1_3gpuE9ELNS1_3repE0EEENS1_30default_config_static_selectorELNS0_4arch9wavefront6targetE0EEEvT1_.uses_flat_scratch, 0
	.set _ZN7rocprim17ROCPRIM_400000_NS6detail17trampoline_kernelINS0_14default_configENS1_27scan_by_key_config_selectorIjjEEZZNS1_16scan_by_key_implILNS1_25lookback_scan_determinismE0ELb0ES3_N6thrust23THRUST_200600_302600_NS6detail15normal_iteratorINS9_10device_ptrIjEEEESE_SE_jNS9_4plusIvEENS9_8equal_toIvEEjEE10hipError_tPvRmT2_T3_T4_T5_mT6_T7_P12ihipStream_tbENKUlT_T0_E_clISt17integral_constantIbLb1EESY_IbLb0EEEEDaSU_SV_EUlSU_E_NS1_11comp_targetILNS1_3genE5ELNS1_11target_archE942ELNS1_3gpuE9ELNS1_3repE0EEENS1_30default_config_static_selectorELNS0_4arch9wavefront6targetE0EEEvT1_.has_dyn_sized_stack, 0
	.set _ZN7rocprim17ROCPRIM_400000_NS6detail17trampoline_kernelINS0_14default_configENS1_27scan_by_key_config_selectorIjjEEZZNS1_16scan_by_key_implILNS1_25lookback_scan_determinismE0ELb0ES3_N6thrust23THRUST_200600_302600_NS6detail15normal_iteratorINS9_10device_ptrIjEEEESE_SE_jNS9_4plusIvEENS9_8equal_toIvEEjEE10hipError_tPvRmT2_T3_T4_T5_mT6_T7_P12ihipStream_tbENKUlT_T0_E_clISt17integral_constantIbLb1EESY_IbLb0EEEEDaSU_SV_EUlSU_E_NS1_11comp_targetILNS1_3genE5ELNS1_11target_archE942ELNS1_3gpuE9ELNS1_3repE0EEENS1_30default_config_static_selectorELNS0_4arch9wavefront6targetE0EEEvT1_.has_recursion, 0
	.set _ZN7rocprim17ROCPRIM_400000_NS6detail17trampoline_kernelINS0_14default_configENS1_27scan_by_key_config_selectorIjjEEZZNS1_16scan_by_key_implILNS1_25lookback_scan_determinismE0ELb0ES3_N6thrust23THRUST_200600_302600_NS6detail15normal_iteratorINS9_10device_ptrIjEEEESE_SE_jNS9_4plusIvEENS9_8equal_toIvEEjEE10hipError_tPvRmT2_T3_T4_T5_mT6_T7_P12ihipStream_tbENKUlT_T0_E_clISt17integral_constantIbLb1EESY_IbLb0EEEEDaSU_SV_EUlSU_E_NS1_11comp_targetILNS1_3genE5ELNS1_11target_archE942ELNS1_3gpuE9ELNS1_3repE0EEENS1_30default_config_static_selectorELNS0_4arch9wavefront6targetE0EEEvT1_.has_indirect_call, 0
	.section	.AMDGPU.csdata,"",@progbits
; Kernel info:
; codeLenInByte = 0
; TotalNumSgprs: 0
; NumVgprs: 0
; ScratchSize: 0
; MemoryBound: 0
; FloatMode: 240
; IeeeMode: 1
; LDSByteSize: 0 bytes/workgroup (compile time only)
; SGPRBlocks: 0
; VGPRBlocks: 0
; NumSGPRsForWavesPerEU: 1
; NumVGPRsForWavesPerEU: 1
; Occupancy: 16
; WaveLimiterHint : 0
; COMPUTE_PGM_RSRC2:SCRATCH_EN: 0
; COMPUTE_PGM_RSRC2:USER_SGPR: 6
; COMPUTE_PGM_RSRC2:TRAP_HANDLER: 0
; COMPUTE_PGM_RSRC2:TGID_X_EN: 1
; COMPUTE_PGM_RSRC2:TGID_Y_EN: 0
; COMPUTE_PGM_RSRC2:TGID_Z_EN: 0
; COMPUTE_PGM_RSRC2:TIDIG_COMP_CNT: 0
	.section	.text._ZN7rocprim17ROCPRIM_400000_NS6detail17trampoline_kernelINS0_14default_configENS1_27scan_by_key_config_selectorIjjEEZZNS1_16scan_by_key_implILNS1_25lookback_scan_determinismE0ELb0ES3_N6thrust23THRUST_200600_302600_NS6detail15normal_iteratorINS9_10device_ptrIjEEEESE_SE_jNS9_4plusIvEENS9_8equal_toIvEEjEE10hipError_tPvRmT2_T3_T4_T5_mT6_T7_P12ihipStream_tbENKUlT_T0_E_clISt17integral_constantIbLb1EESY_IbLb0EEEEDaSU_SV_EUlSU_E_NS1_11comp_targetILNS1_3genE4ELNS1_11target_archE910ELNS1_3gpuE8ELNS1_3repE0EEENS1_30default_config_static_selectorELNS0_4arch9wavefront6targetE0EEEvT1_,"axG",@progbits,_ZN7rocprim17ROCPRIM_400000_NS6detail17trampoline_kernelINS0_14default_configENS1_27scan_by_key_config_selectorIjjEEZZNS1_16scan_by_key_implILNS1_25lookback_scan_determinismE0ELb0ES3_N6thrust23THRUST_200600_302600_NS6detail15normal_iteratorINS9_10device_ptrIjEEEESE_SE_jNS9_4plusIvEENS9_8equal_toIvEEjEE10hipError_tPvRmT2_T3_T4_T5_mT6_T7_P12ihipStream_tbENKUlT_T0_E_clISt17integral_constantIbLb1EESY_IbLb0EEEEDaSU_SV_EUlSU_E_NS1_11comp_targetILNS1_3genE4ELNS1_11target_archE910ELNS1_3gpuE8ELNS1_3repE0EEENS1_30default_config_static_selectorELNS0_4arch9wavefront6targetE0EEEvT1_,comdat
	.protected	_ZN7rocprim17ROCPRIM_400000_NS6detail17trampoline_kernelINS0_14default_configENS1_27scan_by_key_config_selectorIjjEEZZNS1_16scan_by_key_implILNS1_25lookback_scan_determinismE0ELb0ES3_N6thrust23THRUST_200600_302600_NS6detail15normal_iteratorINS9_10device_ptrIjEEEESE_SE_jNS9_4plusIvEENS9_8equal_toIvEEjEE10hipError_tPvRmT2_T3_T4_T5_mT6_T7_P12ihipStream_tbENKUlT_T0_E_clISt17integral_constantIbLb1EESY_IbLb0EEEEDaSU_SV_EUlSU_E_NS1_11comp_targetILNS1_3genE4ELNS1_11target_archE910ELNS1_3gpuE8ELNS1_3repE0EEENS1_30default_config_static_selectorELNS0_4arch9wavefront6targetE0EEEvT1_ ; -- Begin function _ZN7rocprim17ROCPRIM_400000_NS6detail17trampoline_kernelINS0_14default_configENS1_27scan_by_key_config_selectorIjjEEZZNS1_16scan_by_key_implILNS1_25lookback_scan_determinismE0ELb0ES3_N6thrust23THRUST_200600_302600_NS6detail15normal_iteratorINS9_10device_ptrIjEEEESE_SE_jNS9_4plusIvEENS9_8equal_toIvEEjEE10hipError_tPvRmT2_T3_T4_T5_mT6_T7_P12ihipStream_tbENKUlT_T0_E_clISt17integral_constantIbLb1EESY_IbLb0EEEEDaSU_SV_EUlSU_E_NS1_11comp_targetILNS1_3genE4ELNS1_11target_archE910ELNS1_3gpuE8ELNS1_3repE0EEENS1_30default_config_static_selectorELNS0_4arch9wavefront6targetE0EEEvT1_
	.globl	_ZN7rocprim17ROCPRIM_400000_NS6detail17trampoline_kernelINS0_14default_configENS1_27scan_by_key_config_selectorIjjEEZZNS1_16scan_by_key_implILNS1_25lookback_scan_determinismE0ELb0ES3_N6thrust23THRUST_200600_302600_NS6detail15normal_iteratorINS9_10device_ptrIjEEEESE_SE_jNS9_4plusIvEENS9_8equal_toIvEEjEE10hipError_tPvRmT2_T3_T4_T5_mT6_T7_P12ihipStream_tbENKUlT_T0_E_clISt17integral_constantIbLb1EESY_IbLb0EEEEDaSU_SV_EUlSU_E_NS1_11comp_targetILNS1_3genE4ELNS1_11target_archE910ELNS1_3gpuE8ELNS1_3repE0EEENS1_30default_config_static_selectorELNS0_4arch9wavefront6targetE0EEEvT1_
	.p2align	8
	.type	_ZN7rocprim17ROCPRIM_400000_NS6detail17trampoline_kernelINS0_14default_configENS1_27scan_by_key_config_selectorIjjEEZZNS1_16scan_by_key_implILNS1_25lookback_scan_determinismE0ELb0ES3_N6thrust23THRUST_200600_302600_NS6detail15normal_iteratorINS9_10device_ptrIjEEEESE_SE_jNS9_4plusIvEENS9_8equal_toIvEEjEE10hipError_tPvRmT2_T3_T4_T5_mT6_T7_P12ihipStream_tbENKUlT_T0_E_clISt17integral_constantIbLb1EESY_IbLb0EEEEDaSU_SV_EUlSU_E_NS1_11comp_targetILNS1_3genE4ELNS1_11target_archE910ELNS1_3gpuE8ELNS1_3repE0EEENS1_30default_config_static_selectorELNS0_4arch9wavefront6targetE0EEEvT1_,@function
_ZN7rocprim17ROCPRIM_400000_NS6detail17trampoline_kernelINS0_14default_configENS1_27scan_by_key_config_selectorIjjEEZZNS1_16scan_by_key_implILNS1_25lookback_scan_determinismE0ELb0ES3_N6thrust23THRUST_200600_302600_NS6detail15normal_iteratorINS9_10device_ptrIjEEEESE_SE_jNS9_4plusIvEENS9_8equal_toIvEEjEE10hipError_tPvRmT2_T3_T4_T5_mT6_T7_P12ihipStream_tbENKUlT_T0_E_clISt17integral_constantIbLb1EESY_IbLb0EEEEDaSU_SV_EUlSU_E_NS1_11comp_targetILNS1_3genE4ELNS1_11target_archE910ELNS1_3gpuE8ELNS1_3repE0EEENS1_30default_config_static_selectorELNS0_4arch9wavefront6targetE0EEEvT1_: ; @_ZN7rocprim17ROCPRIM_400000_NS6detail17trampoline_kernelINS0_14default_configENS1_27scan_by_key_config_selectorIjjEEZZNS1_16scan_by_key_implILNS1_25lookback_scan_determinismE0ELb0ES3_N6thrust23THRUST_200600_302600_NS6detail15normal_iteratorINS9_10device_ptrIjEEEESE_SE_jNS9_4plusIvEENS9_8equal_toIvEEjEE10hipError_tPvRmT2_T3_T4_T5_mT6_T7_P12ihipStream_tbENKUlT_T0_E_clISt17integral_constantIbLb1EESY_IbLb0EEEEDaSU_SV_EUlSU_E_NS1_11comp_targetILNS1_3genE4ELNS1_11target_archE910ELNS1_3gpuE8ELNS1_3repE0EEENS1_30default_config_static_selectorELNS0_4arch9wavefront6targetE0EEEvT1_
; %bb.0:
	.section	.rodata,"a",@progbits
	.p2align	6, 0x0
	.amdhsa_kernel _ZN7rocprim17ROCPRIM_400000_NS6detail17trampoline_kernelINS0_14default_configENS1_27scan_by_key_config_selectorIjjEEZZNS1_16scan_by_key_implILNS1_25lookback_scan_determinismE0ELb0ES3_N6thrust23THRUST_200600_302600_NS6detail15normal_iteratorINS9_10device_ptrIjEEEESE_SE_jNS9_4plusIvEENS9_8equal_toIvEEjEE10hipError_tPvRmT2_T3_T4_T5_mT6_T7_P12ihipStream_tbENKUlT_T0_E_clISt17integral_constantIbLb1EESY_IbLb0EEEEDaSU_SV_EUlSU_E_NS1_11comp_targetILNS1_3genE4ELNS1_11target_archE910ELNS1_3gpuE8ELNS1_3repE0EEENS1_30default_config_static_selectorELNS0_4arch9wavefront6targetE0EEEvT1_
		.amdhsa_group_segment_fixed_size 0
		.amdhsa_private_segment_fixed_size 0
		.amdhsa_kernarg_size 112
		.amdhsa_user_sgpr_count 6
		.amdhsa_user_sgpr_private_segment_buffer 1
		.amdhsa_user_sgpr_dispatch_ptr 0
		.amdhsa_user_sgpr_queue_ptr 0
		.amdhsa_user_sgpr_kernarg_segment_ptr 1
		.amdhsa_user_sgpr_dispatch_id 0
		.amdhsa_user_sgpr_flat_scratch_init 0
		.amdhsa_user_sgpr_private_segment_size 0
		.amdhsa_wavefront_size32 1
		.amdhsa_uses_dynamic_stack 0
		.amdhsa_system_sgpr_private_segment_wavefront_offset 0
		.amdhsa_system_sgpr_workgroup_id_x 1
		.amdhsa_system_sgpr_workgroup_id_y 0
		.amdhsa_system_sgpr_workgroup_id_z 0
		.amdhsa_system_sgpr_workgroup_info 0
		.amdhsa_system_vgpr_workitem_id 0
		.amdhsa_next_free_vgpr 1
		.amdhsa_next_free_sgpr 1
		.amdhsa_reserve_vcc 0
		.amdhsa_reserve_flat_scratch 0
		.amdhsa_float_round_mode_32 0
		.amdhsa_float_round_mode_16_64 0
		.amdhsa_float_denorm_mode_32 3
		.amdhsa_float_denorm_mode_16_64 3
		.amdhsa_dx10_clamp 1
		.amdhsa_ieee_mode 1
		.amdhsa_fp16_overflow 0
		.amdhsa_workgroup_processor_mode 1
		.amdhsa_memory_ordered 1
		.amdhsa_forward_progress 1
		.amdhsa_shared_vgpr_count 0
		.amdhsa_exception_fp_ieee_invalid_op 0
		.amdhsa_exception_fp_denorm_src 0
		.amdhsa_exception_fp_ieee_div_zero 0
		.amdhsa_exception_fp_ieee_overflow 0
		.amdhsa_exception_fp_ieee_underflow 0
		.amdhsa_exception_fp_ieee_inexact 0
		.amdhsa_exception_int_div_zero 0
	.end_amdhsa_kernel
	.section	.text._ZN7rocprim17ROCPRIM_400000_NS6detail17trampoline_kernelINS0_14default_configENS1_27scan_by_key_config_selectorIjjEEZZNS1_16scan_by_key_implILNS1_25lookback_scan_determinismE0ELb0ES3_N6thrust23THRUST_200600_302600_NS6detail15normal_iteratorINS9_10device_ptrIjEEEESE_SE_jNS9_4plusIvEENS9_8equal_toIvEEjEE10hipError_tPvRmT2_T3_T4_T5_mT6_T7_P12ihipStream_tbENKUlT_T0_E_clISt17integral_constantIbLb1EESY_IbLb0EEEEDaSU_SV_EUlSU_E_NS1_11comp_targetILNS1_3genE4ELNS1_11target_archE910ELNS1_3gpuE8ELNS1_3repE0EEENS1_30default_config_static_selectorELNS0_4arch9wavefront6targetE0EEEvT1_,"axG",@progbits,_ZN7rocprim17ROCPRIM_400000_NS6detail17trampoline_kernelINS0_14default_configENS1_27scan_by_key_config_selectorIjjEEZZNS1_16scan_by_key_implILNS1_25lookback_scan_determinismE0ELb0ES3_N6thrust23THRUST_200600_302600_NS6detail15normal_iteratorINS9_10device_ptrIjEEEESE_SE_jNS9_4plusIvEENS9_8equal_toIvEEjEE10hipError_tPvRmT2_T3_T4_T5_mT6_T7_P12ihipStream_tbENKUlT_T0_E_clISt17integral_constantIbLb1EESY_IbLb0EEEEDaSU_SV_EUlSU_E_NS1_11comp_targetILNS1_3genE4ELNS1_11target_archE910ELNS1_3gpuE8ELNS1_3repE0EEENS1_30default_config_static_selectorELNS0_4arch9wavefront6targetE0EEEvT1_,comdat
.Lfunc_end1849:
	.size	_ZN7rocprim17ROCPRIM_400000_NS6detail17trampoline_kernelINS0_14default_configENS1_27scan_by_key_config_selectorIjjEEZZNS1_16scan_by_key_implILNS1_25lookback_scan_determinismE0ELb0ES3_N6thrust23THRUST_200600_302600_NS6detail15normal_iteratorINS9_10device_ptrIjEEEESE_SE_jNS9_4plusIvEENS9_8equal_toIvEEjEE10hipError_tPvRmT2_T3_T4_T5_mT6_T7_P12ihipStream_tbENKUlT_T0_E_clISt17integral_constantIbLb1EESY_IbLb0EEEEDaSU_SV_EUlSU_E_NS1_11comp_targetILNS1_3genE4ELNS1_11target_archE910ELNS1_3gpuE8ELNS1_3repE0EEENS1_30default_config_static_selectorELNS0_4arch9wavefront6targetE0EEEvT1_, .Lfunc_end1849-_ZN7rocprim17ROCPRIM_400000_NS6detail17trampoline_kernelINS0_14default_configENS1_27scan_by_key_config_selectorIjjEEZZNS1_16scan_by_key_implILNS1_25lookback_scan_determinismE0ELb0ES3_N6thrust23THRUST_200600_302600_NS6detail15normal_iteratorINS9_10device_ptrIjEEEESE_SE_jNS9_4plusIvEENS9_8equal_toIvEEjEE10hipError_tPvRmT2_T3_T4_T5_mT6_T7_P12ihipStream_tbENKUlT_T0_E_clISt17integral_constantIbLb1EESY_IbLb0EEEEDaSU_SV_EUlSU_E_NS1_11comp_targetILNS1_3genE4ELNS1_11target_archE910ELNS1_3gpuE8ELNS1_3repE0EEENS1_30default_config_static_selectorELNS0_4arch9wavefront6targetE0EEEvT1_
                                        ; -- End function
	.set _ZN7rocprim17ROCPRIM_400000_NS6detail17trampoline_kernelINS0_14default_configENS1_27scan_by_key_config_selectorIjjEEZZNS1_16scan_by_key_implILNS1_25lookback_scan_determinismE0ELb0ES3_N6thrust23THRUST_200600_302600_NS6detail15normal_iteratorINS9_10device_ptrIjEEEESE_SE_jNS9_4plusIvEENS9_8equal_toIvEEjEE10hipError_tPvRmT2_T3_T4_T5_mT6_T7_P12ihipStream_tbENKUlT_T0_E_clISt17integral_constantIbLb1EESY_IbLb0EEEEDaSU_SV_EUlSU_E_NS1_11comp_targetILNS1_3genE4ELNS1_11target_archE910ELNS1_3gpuE8ELNS1_3repE0EEENS1_30default_config_static_selectorELNS0_4arch9wavefront6targetE0EEEvT1_.num_vgpr, 0
	.set _ZN7rocprim17ROCPRIM_400000_NS6detail17trampoline_kernelINS0_14default_configENS1_27scan_by_key_config_selectorIjjEEZZNS1_16scan_by_key_implILNS1_25lookback_scan_determinismE0ELb0ES3_N6thrust23THRUST_200600_302600_NS6detail15normal_iteratorINS9_10device_ptrIjEEEESE_SE_jNS9_4plusIvEENS9_8equal_toIvEEjEE10hipError_tPvRmT2_T3_T4_T5_mT6_T7_P12ihipStream_tbENKUlT_T0_E_clISt17integral_constantIbLb1EESY_IbLb0EEEEDaSU_SV_EUlSU_E_NS1_11comp_targetILNS1_3genE4ELNS1_11target_archE910ELNS1_3gpuE8ELNS1_3repE0EEENS1_30default_config_static_selectorELNS0_4arch9wavefront6targetE0EEEvT1_.num_agpr, 0
	.set _ZN7rocprim17ROCPRIM_400000_NS6detail17trampoline_kernelINS0_14default_configENS1_27scan_by_key_config_selectorIjjEEZZNS1_16scan_by_key_implILNS1_25lookback_scan_determinismE0ELb0ES3_N6thrust23THRUST_200600_302600_NS6detail15normal_iteratorINS9_10device_ptrIjEEEESE_SE_jNS9_4plusIvEENS9_8equal_toIvEEjEE10hipError_tPvRmT2_T3_T4_T5_mT6_T7_P12ihipStream_tbENKUlT_T0_E_clISt17integral_constantIbLb1EESY_IbLb0EEEEDaSU_SV_EUlSU_E_NS1_11comp_targetILNS1_3genE4ELNS1_11target_archE910ELNS1_3gpuE8ELNS1_3repE0EEENS1_30default_config_static_selectorELNS0_4arch9wavefront6targetE0EEEvT1_.numbered_sgpr, 0
	.set _ZN7rocprim17ROCPRIM_400000_NS6detail17trampoline_kernelINS0_14default_configENS1_27scan_by_key_config_selectorIjjEEZZNS1_16scan_by_key_implILNS1_25lookback_scan_determinismE0ELb0ES3_N6thrust23THRUST_200600_302600_NS6detail15normal_iteratorINS9_10device_ptrIjEEEESE_SE_jNS9_4plusIvEENS9_8equal_toIvEEjEE10hipError_tPvRmT2_T3_T4_T5_mT6_T7_P12ihipStream_tbENKUlT_T0_E_clISt17integral_constantIbLb1EESY_IbLb0EEEEDaSU_SV_EUlSU_E_NS1_11comp_targetILNS1_3genE4ELNS1_11target_archE910ELNS1_3gpuE8ELNS1_3repE0EEENS1_30default_config_static_selectorELNS0_4arch9wavefront6targetE0EEEvT1_.num_named_barrier, 0
	.set _ZN7rocprim17ROCPRIM_400000_NS6detail17trampoline_kernelINS0_14default_configENS1_27scan_by_key_config_selectorIjjEEZZNS1_16scan_by_key_implILNS1_25lookback_scan_determinismE0ELb0ES3_N6thrust23THRUST_200600_302600_NS6detail15normal_iteratorINS9_10device_ptrIjEEEESE_SE_jNS9_4plusIvEENS9_8equal_toIvEEjEE10hipError_tPvRmT2_T3_T4_T5_mT6_T7_P12ihipStream_tbENKUlT_T0_E_clISt17integral_constantIbLb1EESY_IbLb0EEEEDaSU_SV_EUlSU_E_NS1_11comp_targetILNS1_3genE4ELNS1_11target_archE910ELNS1_3gpuE8ELNS1_3repE0EEENS1_30default_config_static_selectorELNS0_4arch9wavefront6targetE0EEEvT1_.private_seg_size, 0
	.set _ZN7rocprim17ROCPRIM_400000_NS6detail17trampoline_kernelINS0_14default_configENS1_27scan_by_key_config_selectorIjjEEZZNS1_16scan_by_key_implILNS1_25lookback_scan_determinismE0ELb0ES3_N6thrust23THRUST_200600_302600_NS6detail15normal_iteratorINS9_10device_ptrIjEEEESE_SE_jNS9_4plusIvEENS9_8equal_toIvEEjEE10hipError_tPvRmT2_T3_T4_T5_mT6_T7_P12ihipStream_tbENKUlT_T0_E_clISt17integral_constantIbLb1EESY_IbLb0EEEEDaSU_SV_EUlSU_E_NS1_11comp_targetILNS1_3genE4ELNS1_11target_archE910ELNS1_3gpuE8ELNS1_3repE0EEENS1_30default_config_static_selectorELNS0_4arch9wavefront6targetE0EEEvT1_.uses_vcc, 0
	.set _ZN7rocprim17ROCPRIM_400000_NS6detail17trampoline_kernelINS0_14default_configENS1_27scan_by_key_config_selectorIjjEEZZNS1_16scan_by_key_implILNS1_25lookback_scan_determinismE0ELb0ES3_N6thrust23THRUST_200600_302600_NS6detail15normal_iteratorINS9_10device_ptrIjEEEESE_SE_jNS9_4plusIvEENS9_8equal_toIvEEjEE10hipError_tPvRmT2_T3_T4_T5_mT6_T7_P12ihipStream_tbENKUlT_T0_E_clISt17integral_constantIbLb1EESY_IbLb0EEEEDaSU_SV_EUlSU_E_NS1_11comp_targetILNS1_3genE4ELNS1_11target_archE910ELNS1_3gpuE8ELNS1_3repE0EEENS1_30default_config_static_selectorELNS0_4arch9wavefront6targetE0EEEvT1_.uses_flat_scratch, 0
	.set _ZN7rocprim17ROCPRIM_400000_NS6detail17trampoline_kernelINS0_14default_configENS1_27scan_by_key_config_selectorIjjEEZZNS1_16scan_by_key_implILNS1_25lookback_scan_determinismE0ELb0ES3_N6thrust23THRUST_200600_302600_NS6detail15normal_iteratorINS9_10device_ptrIjEEEESE_SE_jNS9_4plusIvEENS9_8equal_toIvEEjEE10hipError_tPvRmT2_T3_T4_T5_mT6_T7_P12ihipStream_tbENKUlT_T0_E_clISt17integral_constantIbLb1EESY_IbLb0EEEEDaSU_SV_EUlSU_E_NS1_11comp_targetILNS1_3genE4ELNS1_11target_archE910ELNS1_3gpuE8ELNS1_3repE0EEENS1_30default_config_static_selectorELNS0_4arch9wavefront6targetE0EEEvT1_.has_dyn_sized_stack, 0
	.set _ZN7rocprim17ROCPRIM_400000_NS6detail17trampoline_kernelINS0_14default_configENS1_27scan_by_key_config_selectorIjjEEZZNS1_16scan_by_key_implILNS1_25lookback_scan_determinismE0ELb0ES3_N6thrust23THRUST_200600_302600_NS6detail15normal_iteratorINS9_10device_ptrIjEEEESE_SE_jNS9_4plusIvEENS9_8equal_toIvEEjEE10hipError_tPvRmT2_T3_T4_T5_mT6_T7_P12ihipStream_tbENKUlT_T0_E_clISt17integral_constantIbLb1EESY_IbLb0EEEEDaSU_SV_EUlSU_E_NS1_11comp_targetILNS1_3genE4ELNS1_11target_archE910ELNS1_3gpuE8ELNS1_3repE0EEENS1_30default_config_static_selectorELNS0_4arch9wavefront6targetE0EEEvT1_.has_recursion, 0
	.set _ZN7rocprim17ROCPRIM_400000_NS6detail17trampoline_kernelINS0_14default_configENS1_27scan_by_key_config_selectorIjjEEZZNS1_16scan_by_key_implILNS1_25lookback_scan_determinismE0ELb0ES3_N6thrust23THRUST_200600_302600_NS6detail15normal_iteratorINS9_10device_ptrIjEEEESE_SE_jNS9_4plusIvEENS9_8equal_toIvEEjEE10hipError_tPvRmT2_T3_T4_T5_mT6_T7_P12ihipStream_tbENKUlT_T0_E_clISt17integral_constantIbLb1EESY_IbLb0EEEEDaSU_SV_EUlSU_E_NS1_11comp_targetILNS1_3genE4ELNS1_11target_archE910ELNS1_3gpuE8ELNS1_3repE0EEENS1_30default_config_static_selectorELNS0_4arch9wavefront6targetE0EEEvT1_.has_indirect_call, 0
	.section	.AMDGPU.csdata,"",@progbits
; Kernel info:
; codeLenInByte = 0
; TotalNumSgprs: 0
; NumVgprs: 0
; ScratchSize: 0
; MemoryBound: 0
; FloatMode: 240
; IeeeMode: 1
; LDSByteSize: 0 bytes/workgroup (compile time only)
; SGPRBlocks: 0
; VGPRBlocks: 0
; NumSGPRsForWavesPerEU: 1
; NumVGPRsForWavesPerEU: 1
; Occupancy: 16
; WaveLimiterHint : 0
; COMPUTE_PGM_RSRC2:SCRATCH_EN: 0
; COMPUTE_PGM_RSRC2:USER_SGPR: 6
; COMPUTE_PGM_RSRC2:TRAP_HANDLER: 0
; COMPUTE_PGM_RSRC2:TGID_X_EN: 1
; COMPUTE_PGM_RSRC2:TGID_Y_EN: 0
; COMPUTE_PGM_RSRC2:TGID_Z_EN: 0
; COMPUTE_PGM_RSRC2:TIDIG_COMP_CNT: 0
	.section	.text._ZN7rocprim17ROCPRIM_400000_NS6detail17trampoline_kernelINS0_14default_configENS1_27scan_by_key_config_selectorIjjEEZZNS1_16scan_by_key_implILNS1_25lookback_scan_determinismE0ELb0ES3_N6thrust23THRUST_200600_302600_NS6detail15normal_iteratorINS9_10device_ptrIjEEEESE_SE_jNS9_4plusIvEENS9_8equal_toIvEEjEE10hipError_tPvRmT2_T3_T4_T5_mT6_T7_P12ihipStream_tbENKUlT_T0_E_clISt17integral_constantIbLb1EESY_IbLb0EEEEDaSU_SV_EUlSU_E_NS1_11comp_targetILNS1_3genE3ELNS1_11target_archE908ELNS1_3gpuE7ELNS1_3repE0EEENS1_30default_config_static_selectorELNS0_4arch9wavefront6targetE0EEEvT1_,"axG",@progbits,_ZN7rocprim17ROCPRIM_400000_NS6detail17trampoline_kernelINS0_14default_configENS1_27scan_by_key_config_selectorIjjEEZZNS1_16scan_by_key_implILNS1_25lookback_scan_determinismE0ELb0ES3_N6thrust23THRUST_200600_302600_NS6detail15normal_iteratorINS9_10device_ptrIjEEEESE_SE_jNS9_4plusIvEENS9_8equal_toIvEEjEE10hipError_tPvRmT2_T3_T4_T5_mT6_T7_P12ihipStream_tbENKUlT_T0_E_clISt17integral_constantIbLb1EESY_IbLb0EEEEDaSU_SV_EUlSU_E_NS1_11comp_targetILNS1_3genE3ELNS1_11target_archE908ELNS1_3gpuE7ELNS1_3repE0EEENS1_30default_config_static_selectorELNS0_4arch9wavefront6targetE0EEEvT1_,comdat
	.protected	_ZN7rocprim17ROCPRIM_400000_NS6detail17trampoline_kernelINS0_14default_configENS1_27scan_by_key_config_selectorIjjEEZZNS1_16scan_by_key_implILNS1_25lookback_scan_determinismE0ELb0ES3_N6thrust23THRUST_200600_302600_NS6detail15normal_iteratorINS9_10device_ptrIjEEEESE_SE_jNS9_4plusIvEENS9_8equal_toIvEEjEE10hipError_tPvRmT2_T3_T4_T5_mT6_T7_P12ihipStream_tbENKUlT_T0_E_clISt17integral_constantIbLb1EESY_IbLb0EEEEDaSU_SV_EUlSU_E_NS1_11comp_targetILNS1_3genE3ELNS1_11target_archE908ELNS1_3gpuE7ELNS1_3repE0EEENS1_30default_config_static_selectorELNS0_4arch9wavefront6targetE0EEEvT1_ ; -- Begin function _ZN7rocprim17ROCPRIM_400000_NS6detail17trampoline_kernelINS0_14default_configENS1_27scan_by_key_config_selectorIjjEEZZNS1_16scan_by_key_implILNS1_25lookback_scan_determinismE0ELb0ES3_N6thrust23THRUST_200600_302600_NS6detail15normal_iteratorINS9_10device_ptrIjEEEESE_SE_jNS9_4plusIvEENS9_8equal_toIvEEjEE10hipError_tPvRmT2_T3_T4_T5_mT6_T7_P12ihipStream_tbENKUlT_T0_E_clISt17integral_constantIbLb1EESY_IbLb0EEEEDaSU_SV_EUlSU_E_NS1_11comp_targetILNS1_3genE3ELNS1_11target_archE908ELNS1_3gpuE7ELNS1_3repE0EEENS1_30default_config_static_selectorELNS0_4arch9wavefront6targetE0EEEvT1_
	.globl	_ZN7rocprim17ROCPRIM_400000_NS6detail17trampoline_kernelINS0_14default_configENS1_27scan_by_key_config_selectorIjjEEZZNS1_16scan_by_key_implILNS1_25lookback_scan_determinismE0ELb0ES3_N6thrust23THRUST_200600_302600_NS6detail15normal_iteratorINS9_10device_ptrIjEEEESE_SE_jNS9_4plusIvEENS9_8equal_toIvEEjEE10hipError_tPvRmT2_T3_T4_T5_mT6_T7_P12ihipStream_tbENKUlT_T0_E_clISt17integral_constantIbLb1EESY_IbLb0EEEEDaSU_SV_EUlSU_E_NS1_11comp_targetILNS1_3genE3ELNS1_11target_archE908ELNS1_3gpuE7ELNS1_3repE0EEENS1_30default_config_static_selectorELNS0_4arch9wavefront6targetE0EEEvT1_
	.p2align	8
	.type	_ZN7rocprim17ROCPRIM_400000_NS6detail17trampoline_kernelINS0_14default_configENS1_27scan_by_key_config_selectorIjjEEZZNS1_16scan_by_key_implILNS1_25lookback_scan_determinismE0ELb0ES3_N6thrust23THRUST_200600_302600_NS6detail15normal_iteratorINS9_10device_ptrIjEEEESE_SE_jNS9_4plusIvEENS9_8equal_toIvEEjEE10hipError_tPvRmT2_T3_T4_T5_mT6_T7_P12ihipStream_tbENKUlT_T0_E_clISt17integral_constantIbLb1EESY_IbLb0EEEEDaSU_SV_EUlSU_E_NS1_11comp_targetILNS1_3genE3ELNS1_11target_archE908ELNS1_3gpuE7ELNS1_3repE0EEENS1_30default_config_static_selectorELNS0_4arch9wavefront6targetE0EEEvT1_,@function
_ZN7rocprim17ROCPRIM_400000_NS6detail17trampoline_kernelINS0_14default_configENS1_27scan_by_key_config_selectorIjjEEZZNS1_16scan_by_key_implILNS1_25lookback_scan_determinismE0ELb0ES3_N6thrust23THRUST_200600_302600_NS6detail15normal_iteratorINS9_10device_ptrIjEEEESE_SE_jNS9_4plusIvEENS9_8equal_toIvEEjEE10hipError_tPvRmT2_T3_T4_T5_mT6_T7_P12ihipStream_tbENKUlT_T0_E_clISt17integral_constantIbLb1EESY_IbLb0EEEEDaSU_SV_EUlSU_E_NS1_11comp_targetILNS1_3genE3ELNS1_11target_archE908ELNS1_3gpuE7ELNS1_3repE0EEENS1_30default_config_static_selectorELNS0_4arch9wavefront6targetE0EEEvT1_: ; @_ZN7rocprim17ROCPRIM_400000_NS6detail17trampoline_kernelINS0_14default_configENS1_27scan_by_key_config_selectorIjjEEZZNS1_16scan_by_key_implILNS1_25lookback_scan_determinismE0ELb0ES3_N6thrust23THRUST_200600_302600_NS6detail15normal_iteratorINS9_10device_ptrIjEEEESE_SE_jNS9_4plusIvEENS9_8equal_toIvEEjEE10hipError_tPvRmT2_T3_T4_T5_mT6_T7_P12ihipStream_tbENKUlT_T0_E_clISt17integral_constantIbLb1EESY_IbLb0EEEEDaSU_SV_EUlSU_E_NS1_11comp_targetILNS1_3genE3ELNS1_11target_archE908ELNS1_3gpuE7ELNS1_3repE0EEENS1_30default_config_static_selectorELNS0_4arch9wavefront6targetE0EEEvT1_
; %bb.0:
	.section	.rodata,"a",@progbits
	.p2align	6, 0x0
	.amdhsa_kernel _ZN7rocprim17ROCPRIM_400000_NS6detail17trampoline_kernelINS0_14default_configENS1_27scan_by_key_config_selectorIjjEEZZNS1_16scan_by_key_implILNS1_25lookback_scan_determinismE0ELb0ES3_N6thrust23THRUST_200600_302600_NS6detail15normal_iteratorINS9_10device_ptrIjEEEESE_SE_jNS9_4plusIvEENS9_8equal_toIvEEjEE10hipError_tPvRmT2_T3_T4_T5_mT6_T7_P12ihipStream_tbENKUlT_T0_E_clISt17integral_constantIbLb1EESY_IbLb0EEEEDaSU_SV_EUlSU_E_NS1_11comp_targetILNS1_3genE3ELNS1_11target_archE908ELNS1_3gpuE7ELNS1_3repE0EEENS1_30default_config_static_selectorELNS0_4arch9wavefront6targetE0EEEvT1_
		.amdhsa_group_segment_fixed_size 0
		.amdhsa_private_segment_fixed_size 0
		.amdhsa_kernarg_size 112
		.amdhsa_user_sgpr_count 6
		.amdhsa_user_sgpr_private_segment_buffer 1
		.amdhsa_user_sgpr_dispatch_ptr 0
		.amdhsa_user_sgpr_queue_ptr 0
		.amdhsa_user_sgpr_kernarg_segment_ptr 1
		.amdhsa_user_sgpr_dispatch_id 0
		.amdhsa_user_sgpr_flat_scratch_init 0
		.amdhsa_user_sgpr_private_segment_size 0
		.amdhsa_wavefront_size32 1
		.amdhsa_uses_dynamic_stack 0
		.amdhsa_system_sgpr_private_segment_wavefront_offset 0
		.amdhsa_system_sgpr_workgroup_id_x 1
		.amdhsa_system_sgpr_workgroup_id_y 0
		.amdhsa_system_sgpr_workgroup_id_z 0
		.amdhsa_system_sgpr_workgroup_info 0
		.amdhsa_system_vgpr_workitem_id 0
		.amdhsa_next_free_vgpr 1
		.amdhsa_next_free_sgpr 1
		.amdhsa_reserve_vcc 0
		.amdhsa_reserve_flat_scratch 0
		.amdhsa_float_round_mode_32 0
		.amdhsa_float_round_mode_16_64 0
		.amdhsa_float_denorm_mode_32 3
		.amdhsa_float_denorm_mode_16_64 3
		.amdhsa_dx10_clamp 1
		.amdhsa_ieee_mode 1
		.amdhsa_fp16_overflow 0
		.amdhsa_workgroup_processor_mode 1
		.amdhsa_memory_ordered 1
		.amdhsa_forward_progress 1
		.amdhsa_shared_vgpr_count 0
		.amdhsa_exception_fp_ieee_invalid_op 0
		.amdhsa_exception_fp_denorm_src 0
		.amdhsa_exception_fp_ieee_div_zero 0
		.amdhsa_exception_fp_ieee_overflow 0
		.amdhsa_exception_fp_ieee_underflow 0
		.amdhsa_exception_fp_ieee_inexact 0
		.amdhsa_exception_int_div_zero 0
	.end_amdhsa_kernel
	.section	.text._ZN7rocprim17ROCPRIM_400000_NS6detail17trampoline_kernelINS0_14default_configENS1_27scan_by_key_config_selectorIjjEEZZNS1_16scan_by_key_implILNS1_25lookback_scan_determinismE0ELb0ES3_N6thrust23THRUST_200600_302600_NS6detail15normal_iteratorINS9_10device_ptrIjEEEESE_SE_jNS9_4plusIvEENS9_8equal_toIvEEjEE10hipError_tPvRmT2_T3_T4_T5_mT6_T7_P12ihipStream_tbENKUlT_T0_E_clISt17integral_constantIbLb1EESY_IbLb0EEEEDaSU_SV_EUlSU_E_NS1_11comp_targetILNS1_3genE3ELNS1_11target_archE908ELNS1_3gpuE7ELNS1_3repE0EEENS1_30default_config_static_selectorELNS0_4arch9wavefront6targetE0EEEvT1_,"axG",@progbits,_ZN7rocprim17ROCPRIM_400000_NS6detail17trampoline_kernelINS0_14default_configENS1_27scan_by_key_config_selectorIjjEEZZNS1_16scan_by_key_implILNS1_25lookback_scan_determinismE0ELb0ES3_N6thrust23THRUST_200600_302600_NS6detail15normal_iteratorINS9_10device_ptrIjEEEESE_SE_jNS9_4plusIvEENS9_8equal_toIvEEjEE10hipError_tPvRmT2_T3_T4_T5_mT6_T7_P12ihipStream_tbENKUlT_T0_E_clISt17integral_constantIbLb1EESY_IbLb0EEEEDaSU_SV_EUlSU_E_NS1_11comp_targetILNS1_3genE3ELNS1_11target_archE908ELNS1_3gpuE7ELNS1_3repE0EEENS1_30default_config_static_selectorELNS0_4arch9wavefront6targetE0EEEvT1_,comdat
.Lfunc_end1850:
	.size	_ZN7rocprim17ROCPRIM_400000_NS6detail17trampoline_kernelINS0_14default_configENS1_27scan_by_key_config_selectorIjjEEZZNS1_16scan_by_key_implILNS1_25lookback_scan_determinismE0ELb0ES3_N6thrust23THRUST_200600_302600_NS6detail15normal_iteratorINS9_10device_ptrIjEEEESE_SE_jNS9_4plusIvEENS9_8equal_toIvEEjEE10hipError_tPvRmT2_T3_T4_T5_mT6_T7_P12ihipStream_tbENKUlT_T0_E_clISt17integral_constantIbLb1EESY_IbLb0EEEEDaSU_SV_EUlSU_E_NS1_11comp_targetILNS1_3genE3ELNS1_11target_archE908ELNS1_3gpuE7ELNS1_3repE0EEENS1_30default_config_static_selectorELNS0_4arch9wavefront6targetE0EEEvT1_, .Lfunc_end1850-_ZN7rocprim17ROCPRIM_400000_NS6detail17trampoline_kernelINS0_14default_configENS1_27scan_by_key_config_selectorIjjEEZZNS1_16scan_by_key_implILNS1_25lookback_scan_determinismE0ELb0ES3_N6thrust23THRUST_200600_302600_NS6detail15normal_iteratorINS9_10device_ptrIjEEEESE_SE_jNS9_4plusIvEENS9_8equal_toIvEEjEE10hipError_tPvRmT2_T3_T4_T5_mT6_T7_P12ihipStream_tbENKUlT_T0_E_clISt17integral_constantIbLb1EESY_IbLb0EEEEDaSU_SV_EUlSU_E_NS1_11comp_targetILNS1_3genE3ELNS1_11target_archE908ELNS1_3gpuE7ELNS1_3repE0EEENS1_30default_config_static_selectorELNS0_4arch9wavefront6targetE0EEEvT1_
                                        ; -- End function
	.set _ZN7rocprim17ROCPRIM_400000_NS6detail17trampoline_kernelINS0_14default_configENS1_27scan_by_key_config_selectorIjjEEZZNS1_16scan_by_key_implILNS1_25lookback_scan_determinismE0ELb0ES3_N6thrust23THRUST_200600_302600_NS6detail15normal_iteratorINS9_10device_ptrIjEEEESE_SE_jNS9_4plusIvEENS9_8equal_toIvEEjEE10hipError_tPvRmT2_T3_T4_T5_mT6_T7_P12ihipStream_tbENKUlT_T0_E_clISt17integral_constantIbLb1EESY_IbLb0EEEEDaSU_SV_EUlSU_E_NS1_11comp_targetILNS1_3genE3ELNS1_11target_archE908ELNS1_3gpuE7ELNS1_3repE0EEENS1_30default_config_static_selectorELNS0_4arch9wavefront6targetE0EEEvT1_.num_vgpr, 0
	.set _ZN7rocprim17ROCPRIM_400000_NS6detail17trampoline_kernelINS0_14default_configENS1_27scan_by_key_config_selectorIjjEEZZNS1_16scan_by_key_implILNS1_25lookback_scan_determinismE0ELb0ES3_N6thrust23THRUST_200600_302600_NS6detail15normal_iteratorINS9_10device_ptrIjEEEESE_SE_jNS9_4plusIvEENS9_8equal_toIvEEjEE10hipError_tPvRmT2_T3_T4_T5_mT6_T7_P12ihipStream_tbENKUlT_T0_E_clISt17integral_constantIbLb1EESY_IbLb0EEEEDaSU_SV_EUlSU_E_NS1_11comp_targetILNS1_3genE3ELNS1_11target_archE908ELNS1_3gpuE7ELNS1_3repE0EEENS1_30default_config_static_selectorELNS0_4arch9wavefront6targetE0EEEvT1_.num_agpr, 0
	.set _ZN7rocprim17ROCPRIM_400000_NS6detail17trampoline_kernelINS0_14default_configENS1_27scan_by_key_config_selectorIjjEEZZNS1_16scan_by_key_implILNS1_25lookback_scan_determinismE0ELb0ES3_N6thrust23THRUST_200600_302600_NS6detail15normal_iteratorINS9_10device_ptrIjEEEESE_SE_jNS9_4plusIvEENS9_8equal_toIvEEjEE10hipError_tPvRmT2_T3_T4_T5_mT6_T7_P12ihipStream_tbENKUlT_T0_E_clISt17integral_constantIbLb1EESY_IbLb0EEEEDaSU_SV_EUlSU_E_NS1_11comp_targetILNS1_3genE3ELNS1_11target_archE908ELNS1_3gpuE7ELNS1_3repE0EEENS1_30default_config_static_selectorELNS0_4arch9wavefront6targetE0EEEvT1_.numbered_sgpr, 0
	.set _ZN7rocprim17ROCPRIM_400000_NS6detail17trampoline_kernelINS0_14default_configENS1_27scan_by_key_config_selectorIjjEEZZNS1_16scan_by_key_implILNS1_25lookback_scan_determinismE0ELb0ES3_N6thrust23THRUST_200600_302600_NS6detail15normal_iteratorINS9_10device_ptrIjEEEESE_SE_jNS9_4plusIvEENS9_8equal_toIvEEjEE10hipError_tPvRmT2_T3_T4_T5_mT6_T7_P12ihipStream_tbENKUlT_T0_E_clISt17integral_constantIbLb1EESY_IbLb0EEEEDaSU_SV_EUlSU_E_NS1_11comp_targetILNS1_3genE3ELNS1_11target_archE908ELNS1_3gpuE7ELNS1_3repE0EEENS1_30default_config_static_selectorELNS0_4arch9wavefront6targetE0EEEvT1_.num_named_barrier, 0
	.set _ZN7rocprim17ROCPRIM_400000_NS6detail17trampoline_kernelINS0_14default_configENS1_27scan_by_key_config_selectorIjjEEZZNS1_16scan_by_key_implILNS1_25lookback_scan_determinismE0ELb0ES3_N6thrust23THRUST_200600_302600_NS6detail15normal_iteratorINS9_10device_ptrIjEEEESE_SE_jNS9_4plusIvEENS9_8equal_toIvEEjEE10hipError_tPvRmT2_T3_T4_T5_mT6_T7_P12ihipStream_tbENKUlT_T0_E_clISt17integral_constantIbLb1EESY_IbLb0EEEEDaSU_SV_EUlSU_E_NS1_11comp_targetILNS1_3genE3ELNS1_11target_archE908ELNS1_3gpuE7ELNS1_3repE0EEENS1_30default_config_static_selectorELNS0_4arch9wavefront6targetE0EEEvT1_.private_seg_size, 0
	.set _ZN7rocprim17ROCPRIM_400000_NS6detail17trampoline_kernelINS0_14default_configENS1_27scan_by_key_config_selectorIjjEEZZNS1_16scan_by_key_implILNS1_25lookback_scan_determinismE0ELb0ES3_N6thrust23THRUST_200600_302600_NS6detail15normal_iteratorINS9_10device_ptrIjEEEESE_SE_jNS9_4plusIvEENS9_8equal_toIvEEjEE10hipError_tPvRmT2_T3_T4_T5_mT6_T7_P12ihipStream_tbENKUlT_T0_E_clISt17integral_constantIbLb1EESY_IbLb0EEEEDaSU_SV_EUlSU_E_NS1_11comp_targetILNS1_3genE3ELNS1_11target_archE908ELNS1_3gpuE7ELNS1_3repE0EEENS1_30default_config_static_selectorELNS0_4arch9wavefront6targetE0EEEvT1_.uses_vcc, 0
	.set _ZN7rocprim17ROCPRIM_400000_NS6detail17trampoline_kernelINS0_14default_configENS1_27scan_by_key_config_selectorIjjEEZZNS1_16scan_by_key_implILNS1_25lookback_scan_determinismE0ELb0ES3_N6thrust23THRUST_200600_302600_NS6detail15normal_iteratorINS9_10device_ptrIjEEEESE_SE_jNS9_4plusIvEENS9_8equal_toIvEEjEE10hipError_tPvRmT2_T3_T4_T5_mT6_T7_P12ihipStream_tbENKUlT_T0_E_clISt17integral_constantIbLb1EESY_IbLb0EEEEDaSU_SV_EUlSU_E_NS1_11comp_targetILNS1_3genE3ELNS1_11target_archE908ELNS1_3gpuE7ELNS1_3repE0EEENS1_30default_config_static_selectorELNS0_4arch9wavefront6targetE0EEEvT1_.uses_flat_scratch, 0
	.set _ZN7rocprim17ROCPRIM_400000_NS6detail17trampoline_kernelINS0_14default_configENS1_27scan_by_key_config_selectorIjjEEZZNS1_16scan_by_key_implILNS1_25lookback_scan_determinismE0ELb0ES3_N6thrust23THRUST_200600_302600_NS6detail15normal_iteratorINS9_10device_ptrIjEEEESE_SE_jNS9_4plusIvEENS9_8equal_toIvEEjEE10hipError_tPvRmT2_T3_T4_T5_mT6_T7_P12ihipStream_tbENKUlT_T0_E_clISt17integral_constantIbLb1EESY_IbLb0EEEEDaSU_SV_EUlSU_E_NS1_11comp_targetILNS1_3genE3ELNS1_11target_archE908ELNS1_3gpuE7ELNS1_3repE0EEENS1_30default_config_static_selectorELNS0_4arch9wavefront6targetE0EEEvT1_.has_dyn_sized_stack, 0
	.set _ZN7rocprim17ROCPRIM_400000_NS6detail17trampoline_kernelINS0_14default_configENS1_27scan_by_key_config_selectorIjjEEZZNS1_16scan_by_key_implILNS1_25lookback_scan_determinismE0ELb0ES3_N6thrust23THRUST_200600_302600_NS6detail15normal_iteratorINS9_10device_ptrIjEEEESE_SE_jNS9_4plusIvEENS9_8equal_toIvEEjEE10hipError_tPvRmT2_T3_T4_T5_mT6_T7_P12ihipStream_tbENKUlT_T0_E_clISt17integral_constantIbLb1EESY_IbLb0EEEEDaSU_SV_EUlSU_E_NS1_11comp_targetILNS1_3genE3ELNS1_11target_archE908ELNS1_3gpuE7ELNS1_3repE0EEENS1_30default_config_static_selectorELNS0_4arch9wavefront6targetE0EEEvT1_.has_recursion, 0
	.set _ZN7rocprim17ROCPRIM_400000_NS6detail17trampoline_kernelINS0_14default_configENS1_27scan_by_key_config_selectorIjjEEZZNS1_16scan_by_key_implILNS1_25lookback_scan_determinismE0ELb0ES3_N6thrust23THRUST_200600_302600_NS6detail15normal_iteratorINS9_10device_ptrIjEEEESE_SE_jNS9_4plusIvEENS9_8equal_toIvEEjEE10hipError_tPvRmT2_T3_T4_T5_mT6_T7_P12ihipStream_tbENKUlT_T0_E_clISt17integral_constantIbLb1EESY_IbLb0EEEEDaSU_SV_EUlSU_E_NS1_11comp_targetILNS1_3genE3ELNS1_11target_archE908ELNS1_3gpuE7ELNS1_3repE0EEENS1_30default_config_static_selectorELNS0_4arch9wavefront6targetE0EEEvT1_.has_indirect_call, 0
	.section	.AMDGPU.csdata,"",@progbits
; Kernel info:
; codeLenInByte = 0
; TotalNumSgprs: 0
; NumVgprs: 0
; ScratchSize: 0
; MemoryBound: 0
; FloatMode: 240
; IeeeMode: 1
; LDSByteSize: 0 bytes/workgroup (compile time only)
; SGPRBlocks: 0
; VGPRBlocks: 0
; NumSGPRsForWavesPerEU: 1
; NumVGPRsForWavesPerEU: 1
; Occupancy: 16
; WaveLimiterHint : 0
; COMPUTE_PGM_RSRC2:SCRATCH_EN: 0
; COMPUTE_PGM_RSRC2:USER_SGPR: 6
; COMPUTE_PGM_RSRC2:TRAP_HANDLER: 0
; COMPUTE_PGM_RSRC2:TGID_X_EN: 1
; COMPUTE_PGM_RSRC2:TGID_Y_EN: 0
; COMPUTE_PGM_RSRC2:TGID_Z_EN: 0
; COMPUTE_PGM_RSRC2:TIDIG_COMP_CNT: 0
	.section	.text._ZN7rocprim17ROCPRIM_400000_NS6detail17trampoline_kernelINS0_14default_configENS1_27scan_by_key_config_selectorIjjEEZZNS1_16scan_by_key_implILNS1_25lookback_scan_determinismE0ELb0ES3_N6thrust23THRUST_200600_302600_NS6detail15normal_iteratorINS9_10device_ptrIjEEEESE_SE_jNS9_4plusIvEENS9_8equal_toIvEEjEE10hipError_tPvRmT2_T3_T4_T5_mT6_T7_P12ihipStream_tbENKUlT_T0_E_clISt17integral_constantIbLb1EESY_IbLb0EEEEDaSU_SV_EUlSU_E_NS1_11comp_targetILNS1_3genE2ELNS1_11target_archE906ELNS1_3gpuE6ELNS1_3repE0EEENS1_30default_config_static_selectorELNS0_4arch9wavefront6targetE0EEEvT1_,"axG",@progbits,_ZN7rocprim17ROCPRIM_400000_NS6detail17trampoline_kernelINS0_14default_configENS1_27scan_by_key_config_selectorIjjEEZZNS1_16scan_by_key_implILNS1_25lookback_scan_determinismE0ELb0ES3_N6thrust23THRUST_200600_302600_NS6detail15normal_iteratorINS9_10device_ptrIjEEEESE_SE_jNS9_4plusIvEENS9_8equal_toIvEEjEE10hipError_tPvRmT2_T3_T4_T5_mT6_T7_P12ihipStream_tbENKUlT_T0_E_clISt17integral_constantIbLb1EESY_IbLb0EEEEDaSU_SV_EUlSU_E_NS1_11comp_targetILNS1_3genE2ELNS1_11target_archE906ELNS1_3gpuE6ELNS1_3repE0EEENS1_30default_config_static_selectorELNS0_4arch9wavefront6targetE0EEEvT1_,comdat
	.protected	_ZN7rocprim17ROCPRIM_400000_NS6detail17trampoline_kernelINS0_14default_configENS1_27scan_by_key_config_selectorIjjEEZZNS1_16scan_by_key_implILNS1_25lookback_scan_determinismE0ELb0ES3_N6thrust23THRUST_200600_302600_NS6detail15normal_iteratorINS9_10device_ptrIjEEEESE_SE_jNS9_4plusIvEENS9_8equal_toIvEEjEE10hipError_tPvRmT2_T3_T4_T5_mT6_T7_P12ihipStream_tbENKUlT_T0_E_clISt17integral_constantIbLb1EESY_IbLb0EEEEDaSU_SV_EUlSU_E_NS1_11comp_targetILNS1_3genE2ELNS1_11target_archE906ELNS1_3gpuE6ELNS1_3repE0EEENS1_30default_config_static_selectorELNS0_4arch9wavefront6targetE0EEEvT1_ ; -- Begin function _ZN7rocprim17ROCPRIM_400000_NS6detail17trampoline_kernelINS0_14default_configENS1_27scan_by_key_config_selectorIjjEEZZNS1_16scan_by_key_implILNS1_25lookback_scan_determinismE0ELb0ES3_N6thrust23THRUST_200600_302600_NS6detail15normal_iteratorINS9_10device_ptrIjEEEESE_SE_jNS9_4plusIvEENS9_8equal_toIvEEjEE10hipError_tPvRmT2_T3_T4_T5_mT6_T7_P12ihipStream_tbENKUlT_T0_E_clISt17integral_constantIbLb1EESY_IbLb0EEEEDaSU_SV_EUlSU_E_NS1_11comp_targetILNS1_3genE2ELNS1_11target_archE906ELNS1_3gpuE6ELNS1_3repE0EEENS1_30default_config_static_selectorELNS0_4arch9wavefront6targetE0EEEvT1_
	.globl	_ZN7rocprim17ROCPRIM_400000_NS6detail17trampoline_kernelINS0_14default_configENS1_27scan_by_key_config_selectorIjjEEZZNS1_16scan_by_key_implILNS1_25lookback_scan_determinismE0ELb0ES3_N6thrust23THRUST_200600_302600_NS6detail15normal_iteratorINS9_10device_ptrIjEEEESE_SE_jNS9_4plusIvEENS9_8equal_toIvEEjEE10hipError_tPvRmT2_T3_T4_T5_mT6_T7_P12ihipStream_tbENKUlT_T0_E_clISt17integral_constantIbLb1EESY_IbLb0EEEEDaSU_SV_EUlSU_E_NS1_11comp_targetILNS1_3genE2ELNS1_11target_archE906ELNS1_3gpuE6ELNS1_3repE0EEENS1_30default_config_static_selectorELNS0_4arch9wavefront6targetE0EEEvT1_
	.p2align	8
	.type	_ZN7rocprim17ROCPRIM_400000_NS6detail17trampoline_kernelINS0_14default_configENS1_27scan_by_key_config_selectorIjjEEZZNS1_16scan_by_key_implILNS1_25lookback_scan_determinismE0ELb0ES3_N6thrust23THRUST_200600_302600_NS6detail15normal_iteratorINS9_10device_ptrIjEEEESE_SE_jNS9_4plusIvEENS9_8equal_toIvEEjEE10hipError_tPvRmT2_T3_T4_T5_mT6_T7_P12ihipStream_tbENKUlT_T0_E_clISt17integral_constantIbLb1EESY_IbLb0EEEEDaSU_SV_EUlSU_E_NS1_11comp_targetILNS1_3genE2ELNS1_11target_archE906ELNS1_3gpuE6ELNS1_3repE0EEENS1_30default_config_static_selectorELNS0_4arch9wavefront6targetE0EEEvT1_,@function
_ZN7rocprim17ROCPRIM_400000_NS6detail17trampoline_kernelINS0_14default_configENS1_27scan_by_key_config_selectorIjjEEZZNS1_16scan_by_key_implILNS1_25lookback_scan_determinismE0ELb0ES3_N6thrust23THRUST_200600_302600_NS6detail15normal_iteratorINS9_10device_ptrIjEEEESE_SE_jNS9_4plusIvEENS9_8equal_toIvEEjEE10hipError_tPvRmT2_T3_T4_T5_mT6_T7_P12ihipStream_tbENKUlT_T0_E_clISt17integral_constantIbLb1EESY_IbLb0EEEEDaSU_SV_EUlSU_E_NS1_11comp_targetILNS1_3genE2ELNS1_11target_archE906ELNS1_3gpuE6ELNS1_3repE0EEENS1_30default_config_static_selectorELNS0_4arch9wavefront6targetE0EEEvT1_: ; @_ZN7rocprim17ROCPRIM_400000_NS6detail17trampoline_kernelINS0_14default_configENS1_27scan_by_key_config_selectorIjjEEZZNS1_16scan_by_key_implILNS1_25lookback_scan_determinismE0ELb0ES3_N6thrust23THRUST_200600_302600_NS6detail15normal_iteratorINS9_10device_ptrIjEEEESE_SE_jNS9_4plusIvEENS9_8equal_toIvEEjEE10hipError_tPvRmT2_T3_T4_T5_mT6_T7_P12ihipStream_tbENKUlT_T0_E_clISt17integral_constantIbLb1EESY_IbLb0EEEEDaSU_SV_EUlSU_E_NS1_11comp_targetILNS1_3genE2ELNS1_11target_archE906ELNS1_3gpuE6ELNS1_3repE0EEENS1_30default_config_static_selectorELNS0_4arch9wavefront6targetE0EEEvT1_
; %bb.0:
	.section	.rodata,"a",@progbits
	.p2align	6, 0x0
	.amdhsa_kernel _ZN7rocprim17ROCPRIM_400000_NS6detail17trampoline_kernelINS0_14default_configENS1_27scan_by_key_config_selectorIjjEEZZNS1_16scan_by_key_implILNS1_25lookback_scan_determinismE0ELb0ES3_N6thrust23THRUST_200600_302600_NS6detail15normal_iteratorINS9_10device_ptrIjEEEESE_SE_jNS9_4plusIvEENS9_8equal_toIvEEjEE10hipError_tPvRmT2_T3_T4_T5_mT6_T7_P12ihipStream_tbENKUlT_T0_E_clISt17integral_constantIbLb1EESY_IbLb0EEEEDaSU_SV_EUlSU_E_NS1_11comp_targetILNS1_3genE2ELNS1_11target_archE906ELNS1_3gpuE6ELNS1_3repE0EEENS1_30default_config_static_selectorELNS0_4arch9wavefront6targetE0EEEvT1_
		.amdhsa_group_segment_fixed_size 0
		.amdhsa_private_segment_fixed_size 0
		.amdhsa_kernarg_size 112
		.amdhsa_user_sgpr_count 6
		.amdhsa_user_sgpr_private_segment_buffer 1
		.amdhsa_user_sgpr_dispatch_ptr 0
		.amdhsa_user_sgpr_queue_ptr 0
		.amdhsa_user_sgpr_kernarg_segment_ptr 1
		.amdhsa_user_sgpr_dispatch_id 0
		.amdhsa_user_sgpr_flat_scratch_init 0
		.amdhsa_user_sgpr_private_segment_size 0
		.amdhsa_wavefront_size32 1
		.amdhsa_uses_dynamic_stack 0
		.amdhsa_system_sgpr_private_segment_wavefront_offset 0
		.amdhsa_system_sgpr_workgroup_id_x 1
		.amdhsa_system_sgpr_workgroup_id_y 0
		.amdhsa_system_sgpr_workgroup_id_z 0
		.amdhsa_system_sgpr_workgroup_info 0
		.amdhsa_system_vgpr_workitem_id 0
		.amdhsa_next_free_vgpr 1
		.amdhsa_next_free_sgpr 1
		.amdhsa_reserve_vcc 0
		.amdhsa_reserve_flat_scratch 0
		.amdhsa_float_round_mode_32 0
		.amdhsa_float_round_mode_16_64 0
		.amdhsa_float_denorm_mode_32 3
		.amdhsa_float_denorm_mode_16_64 3
		.amdhsa_dx10_clamp 1
		.amdhsa_ieee_mode 1
		.amdhsa_fp16_overflow 0
		.amdhsa_workgroup_processor_mode 1
		.amdhsa_memory_ordered 1
		.amdhsa_forward_progress 1
		.amdhsa_shared_vgpr_count 0
		.amdhsa_exception_fp_ieee_invalid_op 0
		.amdhsa_exception_fp_denorm_src 0
		.amdhsa_exception_fp_ieee_div_zero 0
		.amdhsa_exception_fp_ieee_overflow 0
		.amdhsa_exception_fp_ieee_underflow 0
		.amdhsa_exception_fp_ieee_inexact 0
		.amdhsa_exception_int_div_zero 0
	.end_amdhsa_kernel
	.section	.text._ZN7rocprim17ROCPRIM_400000_NS6detail17trampoline_kernelINS0_14default_configENS1_27scan_by_key_config_selectorIjjEEZZNS1_16scan_by_key_implILNS1_25lookback_scan_determinismE0ELb0ES3_N6thrust23THRUST_200600_302600_NS6detail15normal_iteratorINS9_10device_ptrIjEEEESE_SE_jNS9_4plusIvEENS9_8equal_toIvEEjEE10hipError_tPvRmT2_T3_T4_T5_mT6_T7_P12ihipStream_tbENKUlT_T0_E_clISt17integral_constantIbLb1EESY_IbLb0EEEEDaSU_SV_EUlSU_E_NS1_11comp_targetILNS1_3genE2ELNS1_11target_archE906ELNS1_3gpuE6ELNS1_3repE0EEENS1_30default_config_static_selectorELNS0_4arch9wavefront6targetE0EEEvT1_,"axG",@progbits,_ZN7rocprim17ROCPRIM_400000_NS6detail17trampoline_kernelINS0_14default_configENS1_27scan_by_key_config_selectorIjjEEZZNS1_16scan_by_key_implILNS1_25lookback_scan_determinismE0ELb0ES3_N6thrust23THRUST_200600_302600_NS6detail15normal_iteratorINS9_10device_ptrIjEEEESE_SE_jNS9_4plusIvEENS9_8equal_toIvEEjEE10hipError_tPvRmT2_T3_T4_T5_mT6_T7_P12ihipStream_tbENKUlT_T0_E_clISt17integral_constantIbLb1EESY_IbLb0EEEEDaSU_SV_EUlSU_E_NS1_11comp_targetILNS1_3genE2ELNS1_11target_archE906ELNS1_3gpuE6ELNS1_3repE0EEENS1_30default_config_static_selectorELNS0_4arch9wavefront6targetE0EEEvT1_,comdat
.Lfunc_end1851:
	.size	_ZN7rocprim17ROCPRIM_400000_NS6detail17trampoline_kernelINS0_14default_configENS1_27scan_by_key_config_selectorIjjEEZZNS1_16scan_by_key_implILNS1_25lookback_scan_determinismE0ELb0ES3_N6thrust23THRUST_200600_302600_NS6detail15normal_iteratorINS9_10device_ptrIjEEEESE_SE_jNS9_4plusIvEENS9_8equal_toIvEEjEE10hipError_tPvRmT2_T3_T4_T5_mT6_T7_P12ihipStream_tbENKUlT_T0_E_clISt17integral_constantIbLb1EESY_IbLb0EEEEDaSU_SV_EUlSU_E_NS1_11comp_targetILNS1_3genE2ELNS1_11target_archE906ELNS1_3gpuE6ELNS1_3repE0EEENS1_30default_config_static_selectorELNS0_4arch9wavefront6targetE0EEEvT1_, .Lfunc_end1851-_ZN7rocprim17ROCPRIM_400000_NS6detail17trampoline_kernelINS0_14default_configENS1_27scan_by_key_config_selectorIjjEEZZNS1_16scan_by_key_implILNS1_25lookback_scan_determinismE0ELb0ES3_N6thrust23THRUST_200600_302600_NS6detail15normal_iteratorINS9_10device_ptrIjEEEESE_SE_jNS9_4plusIvEENS9_8equal_toIvEEjEE10hipError_tPvRmT2_T3_T4_T5_mT6_T7_P12ihipStream_tbENKUlT_T0_E_clISt17integral_constantIbLb1EESY_IbLb0EEEEDaSU_SV_EUlSU_E_NS1_11comp_targetILNS1_3genE2ELNS1_11target_archE906ELNS1_3gpuE6ELNS1_3repE0EEENS1_30default_config_static_selectorELNS0_4arch9wavefront6targetE0EEEvT1_
                                        ; -- End function
	.set _ZN7rocprim17ROCPRIM_400000_NS6detail17trampoline_kernelINS0_14default_configENS1_27scan_by_key_config_selectorIjjEEZZNS1_16scan_by_key_implILNS1_25lookback_scan_determinismE0ELb0ES3_N6thrust23THRUST_200600_302600_NS6detail15normal_iteratorINS9_10device_ptrIjEEEESE_SE_jNS9_4plusIvEENS9_8equal_toIvEEjEE10hipError_tPvRmT2_T3_T4_T5_mT6_T7_P12ihipStream_tbENKUlT_T0_E_clISt17integral_constantIbLb1EESY_IbLb0EEEEDaSU_SV_EUlSU_E_NS1_11comp_targetILNS1_3genE2ELNS1_11target_archE906ELNS1_3gpuE6ELNS1_3repE0EEENS1_30default_config_static_selectorELNS0_4arch9wavefront6targetE0EEEvT1_.num_vgpr, 0
	.set _ZN7rocprim17ROCPRIM_400000_NS6detail17trampoline_kernelINS0_14default_configENS1_27scan_by_key_config_selectorIjjEEZZNS1_16scan_by_key_implILNS1_25lookback_scan_determinismE0ELb0ES3_N6thrust23THRUST_200600_302600_NS6detail15normal_iteratorINS9_10device_ptrIjEEEESE_SE_jNS9_4plusIvEENS9_8equal_toIvEEjEE10hipError_tPvRmT2_T3_T4_T5_mT6_T7_P12ihipStream_tbENKUlT_T0_E_clISt17integral_constantIbLb1EESY_IbLb0EEEEDaSU_SV_EUlSU_E_NS1_11comp_targetILNS1_3genE2ELNS1_11target_archE906ELNS1_3gpuE6ELNS1_3repE0EEENS1_30default_config_static_selectorELNS0_4arch9wavefront6targetE0EEEvT1_.num_agpr, 0
	.set _ZN7rocprim17ROCPRIM_400000_NS6detail17trampoline_kernelINS0_14default_configENS1_27scan_by_key_config_selectorIjjEEZZNS1_16scan_by_key_implILNS1_25lookback_scan_determinismE0ELb0ES3_N6thrust23THRUST_200600_302600_NS6detail15normal_iteratorINS9_10device_ptrIjEEEESE_SE_jNS9_4plusIvEENS9_8equal_toIvEEjEE10hipError_tPvRmT2_T3_T4_T5_mT6_T7_P12ihipStream_tbENKUlT_T0_E_clISt17integral_constantIbLb1EESY_IbLb0EEEEDaSU_SV_EUlSU_E_NS1_11comp_targetILNS1_3genE2ELNS1_11target_archE906ELNS1_3gpuE6ELNS1_3repE0EEENS1_30default_config_static_selectorELNS0_4arch9wavefront6targetE0EEEvT1_.numbered_sgpr, 0
	.set _ZN7rocprim17ROCPRIM_400000_NS6detail17trampoline_kernelINS0_14default_configENS1_27scan_by_key_config_selectorIjjEEZZNS1_16scan_by_key_implILNS1_25lookback_scan_determinismE0ELb0ES3_N6thrust23THRUST_200600_302600_NS6detail15normal_iteratorINS9_10device_ptrIjEEEESE_SE_jNS9_4plusIvEENS9_8equal_toIvEEjEE10hipError_tPvRmT2_T3_T4_T5_mT6_T7_P12ihipStream_tbENKUlT_T0_E_clISt17integral_constantIbLb1EESY_IbLb0EEEEDaSU_SV_EUlSU_E_NS1_11comp_targetILNS1_3genE2ELNS1_11target_archE906ELNS1_3gpuE6ELNS1_3repE0EEENS1_30default_config_static_selectorELNS0_4arch9wavefront6targetE0EEEvT1_.num_named_barrier, 0
	.set _ZN7rocprim17ROCPRIM_400000_NS6detail17trampoline_kernelINS0_14default_configENS1_27scan_by_key_config_selectorIjjEEZZNS1_16scan_by_key_implILNS1_25lookback_scan_determinismE0ELb0ES3_N6thrust23THRUST_200600_302600_NS6detail15normal_iteratorINS9_10device_ptrIjEEEESE_SE_jNS9_4plusIvEENS9_8equal_toIvEEjEE10hipError_tPvRmT2_T3_T4_T5_mT6_T7_P12ihipStream_tbENKUlT_T0_E_clISt17integral_constantIbLb1EESY_IbLb0EEEEDaSU_SV_EUlSU_E_NS1_11comp_targetILNS1_3genE2ELNS1_11target_archE906ELNS1_3gpuE6ELNS1_3repE0EEENS1_30default_config_static_selectorELNS0_4arch9wavefront6targetE0EEEvT1_.private_seg_size, 0
	.set _ZN7rocprim17ROCPRIM_400000_NS6detail17trampoline_kernelINS0_14default_configENS1_27scan_by_key_config_selectorIjjEEZZNS1_16scan_by_key_implILNS1_25lookback_scan_determinismE0ELb0ES3_N6thrust23THRUST_200600_302600_NS6detail15normal_iteratorINS9_10device_ptrIjEEEESE_SE_jNS9_4plusIvEENS9_8equal_toIvEEjEE10hipError_tPvRmT2_T3_T4_T5_mT6_T7_P12ihipStream_tbENKUlT_T0_E_clISt17integral_constantIbLb1EESY_IbLb0EEEEDaSU_SV_EUlSU_E_NS1_11comp_targetILNS1_3genE2ELNS1_11target_archE906ELNS1_3gpuE6ELNS1_3repE0EEENS1_30default_config_static_selectorELNS0_4arch9wavefront6targetE0EEEvT1_.uses_vcc, 0
	.set _ZN7rocprim17ROCPRIM_400000_NS6detail17trampoline_kernelINS0_14default_configENS1_27scan_by_key_config_selectorIjjEEZZNS1_16scan_by_key_implILNS1_25lookback_scan_determinismE0ELb0ES3_N6thrust23THRUST_200600_302600_NS6detail15normal_iteratorINS9_10device_ptrIjEEEESE_SE_jNS9_4plusIvEENS9_8equal_toIvEEjEE10hipError_tPvRmT2_T3_T4_T5_mT6_T7_P12ihipStream_tbENKUlT_T0_E_clISt17integral_constantIbLb1EESY_IbLb0EEEEDaSU_SV_EUlSU_E_NS1_11comp_targetILNS1_3genE2ELNS1_11target_archE906ELNS1_3gpuE6ELNS1_3repE0EEENS1_30default_config_static_selectorELNS0_4arch9wavefront6targetE0EEEvT1_.uses_flat_scratch, 0
	.set _ZN7rocprim17ROCPRIM_400000_NS6detail17trampoline_kernelINS0_14default_configENS1_27scan_by_key_config_selectorIjjEEZZNS1_16scan_by_key_implILNS1_25lookback_scan_determinismE0ELb0ES3_N6thrust23THRUST_200600_302600_NS6detail15normal_iteratorINS9_10device_ptrIjEEEESE_SE_jNS9_4plusIvEENS9_8equal_toIvEEjEE10hipError_tPvRmT2_T3_T4_T5_mT6_T7_P12ihipStream_tbENKUlT_T0_E_clISt17integral_constantIbLb1EESY_IbLb0EEEEDaSU_SV_EUlSU_E_NS1_11comp_targetILNS1_3genE2ELNS1_11target_archE906ELNS1_3gpuE6ELNS1_3repE0EEENS1_30default_config_static_selectorELNS0_4arch9wavefront6targetE0EEEvT1_.has_dyn_sized_stack, 0
	.set _ZN7rocprim17ROCPRIM_400000_NS6detail17trampoline_kernelINS0_14default_configENS1_27scan_by_key_config_selectorIjjEEZZNS1_16scan_by_key_implILNS1_25lookback_scan_determinismE0ELb0ES3_N6thrust23THRUST_200600_302600_NS6detail15normal_iteratorINS9_10device_ptrIjEEEESE_SE_jNS9_4plusIvEENS9_8equal_toIvEEjEE10hipError_tPvRmT2_T3_T4_T5_mT6_T7_P12ihipStream_tbENKUlT_T0_E_clISt17integral_constantIbLb1EESY_IbLb0EEEEDaSU_SV_EUlSU_E_NS1_11comp_targetILNS1_3genE2ELNS1_11target_archE906ELNS1_3gpuE6ELNS1_3repE0EEENS1_30default_config_static_selectorELNS0_4arch9wavefront6targetE0EEEvT1_.has_recursion, 0
	.set _ZN7rocprim17ROCPRIM_400000_NS6detail17trampoline_kernelINS0_14default_configENS1_27scan_by_key_config_selectorIjjEEZZNS1_16scan_by_key_implILNS1_25lookback_scan_determinismE0ELb0ES3_N6thrust23THRUST_200600_302600_NS6detail15normal_iteratorINS9_10device_ptrIjEEEESE_SE_jNS9_4plusIvEENS9_8equal_toIvEEjEE10hipError_tPvRmT2_T3_T4_T5_mT6_T7_P12ihipStream_tbENKUlT_T0_E_clISt17integral_constantIbLb1EESY_IbLb0EEEEDaSU_SV_EUlSU_E_NS1_11comp_targetILNS1_3genE2ELNS1_11target_archE906ELNS1_3gpuE6ELNS1_3repE0EEENS1_30default_config_static_selectorELNS0_4arch9wavefront6targetE0EEEvT1_.has_indirect_call, 0
	.section	.AMDGPU.csdata,"",@progbits
; Kernel info:
; codeLenInByte = 0
; TotalNumSgprs: 0
; NumVgprs: 0
; ScratchSize: 0
; MemoryBound: 0
; FloatMode: 240
; IeeeMode: 1
; LDSByteSize: 0 bytes/workgroup (compile time only)
; SGPRBlocks: 0
; VGPRBlocks: 0
; NumSGPRsForWavesPerEU: 1
; NumVGPRsForWavesPerEU: 1
; Occupancy: 16
; WaveLimiterHint : 0
; COMPUTE_PGM_RSRC2:SCRATCH_EN: 0
; COMPUTE_PGM_RSRC2:USER_SGPR: 6
; COMPUTE_PGM_RSRC2:TRAP_HANDLER: 0
; COMPUTE_PGM_RSRC2:TGID_X_EN: 1
; COMPUTE_PGM_RSRC2:TGID_Y_EN: 0
; COMPUTE_PGM_RSRC2:TGID_Z_EN: 0
; COMPUTE_PGM_RSRC2:TIDIG_COMP_CNT: 0
	.section	.text._ZN7rocprim17ROCPRIM_400000_NS6detail17trampoline_kernelINS0_14default_configENS1_27scan_by_key_config_selectorIjjEEZZNS1_16scan_by_key_implILNS1_25lookback_scan_determinismE0ELb0ES3_N6thrust23THRUST_200600_302600_NS6detail15normal_iteratorINS9_10device_ptrIjEEEESE_SE_jNS9_4plusIvEENS9_8equal_toIvEEjEE10hipError_tPvRmT2_T3_T4_T5_mT6_T7_P12ihipStream_tbENKUlT_T0_E_clISt17integral_constantIbLb1EESY_IbLb0EEEEDaSU_SV_EUlSU_E_NS1_11comp_targetILNS1_3genE10ELNS1_11target_archE1200ELNS1_3gpuE4ELNS1_3repE0EEENS1_30default_config_static_selectorELNS0_4arch9wavefront6targetE0EEEvT1_,"axG",@progbits,_ZN7rocprim17ROCPRIM_400000_NS6detail17trampoline_kernelINS0_14default_configENS1_27scan_by_key_config_selectorIjjEEZZNS1_16scan_by_key_implILNS1_25lookback_scan_determinismE0ELb0ES3_N6thrust23THRUST_200600_302600_NS6detail15normal_iteratorINS9_10device_ptrIjEEEESE_SE_jNS9_4plusIvEENS9_8equal_toIvEEjEE10hipError_tPvRmT2_T3_T4_T5_mT6_T7_P12ihipStream_tbENKUlT_T0_E_clISt17integral_constantIbLb1EESY_IbLb0EEEEDaSU_SV_EUlSU_E_NS1_11comp_targetILNS1_3genE10ELNS1_11target_archE1200ELNS1_3gpuE4ELNS1_3repE0EEENS1_30default_config_static_selectorELNS0_4arch9wavefront6targetE0EEEvT1_,comdat
	.protected	_ZN7rocprim17ROCPRIM_400000_NS6detail17trampoline_kernelINS0_14default_configENS1_27scan_by_key_config_selectorIjjEEZZNS1_16scan_by_key_implILNS1_25lookback_scan_determinismE0ELb0ES3_N6thrust23THRUST_200600_302600_NS6detail15normal_iteratorINS9_10device_ptrIjEEEESE_SE_jNS9_4plusIvEENS9_8equal_toIvEEjEE10hipError_tPvRmT2_T3_T4_T5_mT6_T7_P12ihipStream_tbENKUlT_T0_E_clISt17integral_constantIbLb1EESY_IbLb0EEEEDaSU_SV_EUlSU_E_NS1_11comp_targetILNS1_3genE10ELNS1_11target_archE1200ELNS1_3gpuE4ELNS1_3repE0EEENS1_30default_config_static_selectorELNS0_4arch9wavefront6targetE0EEEvT1_ ; -- Begin function _ZN7rocprim17ROCPRIM_400000_NS6detail17trampoline_kernelINS0_14default_configENS1_27scan_by_key_config_selectorIjjEEZZNS1_16scan_by_key_implILNS1_25lookback_scan_determinismE0ELb0ES3_N6thrust23THRUST_200600_302600_NS6detail15normal_iteratorINS9_10device_ptrIjEEEESE_SE_jNS9_4plusIvEENS9_8equal_toIvEEjEE10hipError_tPvRmT2_T3_T4_T5_mT6_T7_P12ihipStream_tbENKUlT_T0_E_clISt17integral_constantIbLb1EESY_IbLb0EEEEDaSU_SV_EUlSU_E_NS1_11comp_targetILNS1_3genE10ELNS1_11target_archE1200ELNS1_3gpuE4ELNS1_3repE0EEENS1_30default_config_static_selectorELNS0_4arch9wavefront6targetE0EEEvT1_
	.globl	_ZN7rocprim17ROCPRIM_400000_NS6detail17trampoline_kernelINS0_14default_configENS1_27scan_by_key_config_selectorIjjEEZZNS1_16scan_by_key_implILNS1_25lookback_scan_determinismE0ELb0ES3_N6thrust23THRUST_200600_302600_NS6detail15normal_iteratorINS9_10device_ptrIjEEEESE_SE_jNS9_4plusIvEENS9_8equal_toIvEEjEE10hipError_tPvRmT2_T3_T4_T5_mT6_T7_P12ihipStream_tbENKUlT_T0_E_clISt17integral_constantIbLb1EESY_IbLb0EEEEDaSU_SV_EUlSU_E_NS1_11comp_targetILNS1_3genE10ELNS1_11target_archE1200ELNS1_3gpuE4ELNS1_3repE0EEENS1_30default_config_static_selectorELNS0_4arch9wavefront6targetE0EEEvT1_
	.p2align	8
	.type	_ZN7rocprim17ROCPRIM_400000_NS6detail17trampoline_kernelINS0_14default_configENS1_27scan_by_key_config_selectorIjjEEZZNS1_16scan_by_key_implILNS1_25lookback_scan_determinismE0ELb0ES3_N6thrust23THRUST_200600_302600_NS6detail15normal_iteratorINS9_10device_ptrIjEEEESE_SE_jNS9_4plusIvEENS9_8equal_toIvEEjEE10hipError_tPvRmT2_T3_T4_T5_mT6_T7_P12ihipStream_tbENKUlT_T0_E_clISt17integral_constantIbLb1EESY_IbLb0EEEEDaSU_SV_EUlSU_E_NS1_11comp_targetILNS1_3genE10ELNS1_11target_archE1200ELNS1_3gpuE4ELNS1_3repE0EEENS1_30default_config_static_selectorELNS0_4arch9wavefront6targetE0EEEvT1_,@function
_ZN7rocprim17ROCPRIM_400000_NS6detail17trampoline_kernelINS0_14default_configENS1_27scan_by_key_config_selectorIjjEEZZNS1_16scan_by_key_implILNS1_25lookback_scan_determinismE0ELb0ES3_N6thrust23THRUST_200600_302600_NS6detail15normal_iteratorINS9_10device_ptrIjEEEESE_SE_jNS9_4plusIvEENS9_8equal_toIvEEjEE10hipError_tPvRmT2_T3_T4_T5_mT6_T7_P12ihipStream_tbENKUlT_T0_E_clISt17integral_constantIbLb1EESY_IbLb0EEEEDaSU_SV_EUlSU_E_NS1_11comp_targetILNS1_3genE10ELNS1_11target_archE1200ELNS1_3gpuE4ELNS1_3repE0EEENS1_30default_config_static_selectorELNS0_4arch9wavefront6targetE0EEEvT1_: ; @_ZN7rocprim17ROCPRIM_400000_NS6detail17trampoline_kernelINS0_14default_configENS1_27scan_by_key_config_selectorIjjEEZZNS1_16scan_by_key_implILNS1_25lookback_scan_determinismE0ELb0ES3_N6thrust23THRUST_200600_302600_NS6detail15normal_iteratorINS9_10device_ptrIjEEEESE_SE_jNS9_4plusIvEENS9_8equal_toIvEEjEE10hipError_tPvRmT2_T3_T4_T5_mT6_T7_P12ihipStream_tbENKUlT_T0_E_clISt17integral_constantIbLb1EESY_IbLb0EEEEDaSU_SV_EUlSU_E_NS1_11comp_targetILNS1_3genE10ELNS1_11target_archE1200ELNS1_3gpuE4ELNS1_3repE0EEENS1_30default_config_static_selectorELNS0_4arch9wavefront6targetE0EEEvT1_
; %bb.0:
	.section	.rodata,"a",@progbits
	.p2align	6, 0x0
	.amdhsa_kernel _ZN7rocprim17ROCPRIM_400000_NS6detail17trampoline_kernelINS0_14default_configENS1_27scan_by_key_config_selectorIjjEEZZNS1_16scan_by_key_implILNS1_25lookback_scan_determinismE0ELb0ES3_N6thrust23THRUST_200600_302600_NS6detail15normal_iteratorINS9_10device_ptrIjEEEESE_SE_jNS9_4plusIvEENS9_8equal_toIvEEjEE10hipError_tPvRmT2_T3_T4_T5_mT6_T7_P12ihipStream_tbENKUlT_T0_E_clISt17integral_constantIbLb1EESY_IbLb0EEEEDaSU_SV_EUlSU_E_NS1_11comp_targetILNS1_3genE10ELNS1_11target_archE1200ELNS1_3gpuE4ELNS1_3repE0EEENS1_30default_config_static_selectorELNS0_4arch9wavefront6targetE0EEEvT1_
		.amdhsa_group_segment_fixed_size 0
		.amdhsa_private_segment_fixed_size 0
		.amdhsa_kernarg_size 112
		.amdhsa_user_sgpr_count 6
		.amdhsa_user_sgpr_private_segment_buffer 1
		.amdhsa_user_sgpr_dispatch_ptr 0
		.amdhsa_user_sgpr_queue_ptr 0
		.amdhsa_user_sgpr_kernarg_segment_ptr 1
		.amdhsa_user_sgpr_dispatch_id 0
		.amdhsa_user_sgpr_flat_scratch_init 0
		.amdhsa_user_sgpr_private_segment_size 0
		.amdhsa_wavefront_size32 1
		.amdhsa_uses_dynamic_stack 0
		.amdhsa_system_sgpr_private_segment_wavefront_offset 0
		.amdhsa_system_sgpr_workgroup_id_x 1
		.amdhsa_system_sgpr_workgroup_id_y 0
		.amdhsa_system_sgpr_workgroup_id_z 0
		.amdhsa_system_sgpr_workgroup_info 0
		.amdhsa_system_vgpr_workitem_id 0
		.amdhsa_next_free_vgpr 1
		.amdhsa_next_free_sgpr 1
		.amdhsa_reserve_vcc 0
		.amdhsa_reserve_flat_scratch 0
		.amdhsa_float_round_mode_32 0
		.amdhsa_float_round_mode_16_64 0
		.amdhsa_float_denorm_mode_32 3
		.amdhsa_float_denorm_mode_16_64 3
		.amdhsa_dx10_clamp 1
		.amdhsa_ieee_mode 1
		.amdhsa_fp16_overflow 0
		.amdhsa_workgroup_processor_mode 1
		.amdhsa_memory_ordered 1
		.amdhsa_forward_progress 1
		.amdhsa_shared_vgpr_count 0
		.amdhsa_exception_fp_ieee_invalid_op 0
		.amdhsa_exception_fp_denorm_src 0
		.amdhsa_exception_fp_ieee_div_zero 0
		.amdhsa_exception_fp_ieee_overflow 0
		.amdhsa_exception_fp_ieee_underflow 0
		.amdhsa_exception_fp_ieee_inexact 0
		.amdhsa_exception_int_div_zero 0
	.end_amdhsa_kernel
	.section	.text._ZN7rocprim17ROCPRIM_400000_NS6detail17trampoline_kernelINS0_14default_configENS1_27scan_by_key_config_selectorIjjEEZZNS1_16scan_by_key_implILNS1_25lookback_scan_determinismE0ELb0ES3_N6thrust23THRUST_200600_302600_NS6detail15normal_iteratorINS9_10device_ptrIjEEEESE_SE_jNS9_4plusIvEENS9_8equal_toIvEEjEE10hipError_tPvRmT2_T3_T4_T5_mT6_T7_P12ihipStream_tbENKUlT_T0_E_clISt17integral_constantIbLb1EESY_IbLb0EEEEDaSU_SV_EUlSU_E_NS1_11comp_targetILNS1_3genE10ELNS1_11target_archE1200ELNS1_3gpuE4ELNS1_3repE0EEENS1_30default_config_static_selectorELNS0_4arch9wavefront6targetE0EEEvT1_,"axG",@progbits,_ZN7rocprim17ROCPRIM_400000_NS6detail17trampoline_kernelINS0_14default_configENS1_27scan_by_key_config_selectorIjjEEZZNS1_16scan_by_key_implILNS1_25lookback_scan_determinismE0ELb0ES3_N6thrust23THRUST_200600_302600_NS6detail15normal_iteratorINS9_10device_ptrIjEEEESE_SE_jNS9_4plusIvEENS9_8equal_toIvEEjEE10hipError_tPvRmT2_T3_T4_T5_mT6_T7_P12ihipStream_tbENKUlT_T0_E_clISt17integral_constantIbLb1EESY_IbLb0EEEEDaSU_SV_EUlSU_E_NS1_11comp_targetILNS1_3genE10ELNS1_11target_archE1200ELNS1_3gpuE4ELNS1_3repE0EEENS1_30default_config_static_selectorELNS0_4arch9wavefront6targetE0EEEvT1_,comdat
.Lfunc_end1852:
	.size	_ZN7rocprim17ROCPRIM_400000_NS6detail17trampoline_kernelINS0_14default_configENS1_27scan_by_key_config_selectorIjjEEZZNS1_16scan_by_key_implILNS1_25lookback_scan_determinismE0ELb0ES3_N6thrust23THRUST_200600_302600_NS6detail15normal_iteratorINS9_10device_ptrIjEEEESE_SE_jNS9_4plusIvEENS9_8equal_toIvEEjEE10hipError_tPvRmT2_T3_T4_T5_mT6_T7_P12ihipStream_tbENKUlT_T0_E_clISt17integral_constantIbLb1EESY_IbLb0EEEEDaSU_SV_EUlSU_E_NS1_11comp_targetILNS1_3genE10ELNS1_11target_archE1200ELNS1_3gpuE4ELNS1_3repE0EEENS1_30default_config_static_selectorELNS0_4arch9wavefront6targetE0EEEvT1_, .Lfunc_end1852-_ZN7rocprim17ROCPRIM_400000_NS6detail17trampoline_kernelINS0_14default_configENS1_27scan_by_key_config_selectorIjjEEZZNS1_16scan_by_key_implILNS1_25lookback_scan_determinismE0ELb0ES3_N6thrust23THRUST_200600_302600_NS6detail15normal_iteratorINS9_10device_ptrIjEEEESE_SE_jNS9_4plusIvEENS9_8equal_toIvEEjEE10hipError_tPvRmT2_T3_T4_T5_mT6_T7_P12ihipStream_tbENKUlT_T0_E_clISt17integral_constantIbLb1EESY_IbLb0EEEEDaSU_SV_EUlSU_E_NS1_11comp_targetILNS1_3genE10ELNS1_11target_archE1200ELNS1_3gpuE4ELNS1_3repE0EEENS1_30default_config_static_selectorELNS0_4arch9wavefront6targetE0EEEvT1_
                                        ; -- End function
	.set _ZN7rocprim17ROCPRIM_400000_NS6detail17trampoline_kernelINS0_14default_configENS1_27scan_by_key_config_selectorIjjEEZZNS1_16scan_by_key_implILNS1_25lookback_scan_determinismE0ELb0ES3_N6thrust23THRUST_200600_302600_NS6detail15normal_iteratorINS9_10device_ptrIjEEEESE_SE_jNS9_4plusIvEENS9_8equal_toIvEEjEE10hipError_tPvRmT2_T3_T4_T5_mT6_T7_P12ihipStream_tbENKUlT_T0_E_clISt17integral_constantIbLb1EESY_IbLb0EEEEDaSU_SV_EUlSU_E_NS1_11comp_targetILNS1_3genE10ELNS1_11target_archE1200ELNS1_3gpuE4ELNS1_3repE0EEENS1_30default_config_static_selectorELNS0_4arch9wavefront6targetE0EEEvT1_.num_vgpr, 0
	.set _ZN7rocprim17ROCPRIM_400000_NS6detail17trampoline_kernelINS0_14default_configENS1_27scan_by_key_config_selectorIjjEEZZNS1_16scan_by_key_implILNS1_25lookback_scan_determinismE0ELb0ES3_N6thrust23THRUST_200600_302600_NS6detail15normal_iteratorINS9_10device_ptrIjEEEESE_SE_jNS9_4plusIvEENS9_8equal_toIvEEjEE10hipError_tPvRmT2_T3_T4_T5_mT6_T7_P12ihipStream_tbENKUlT_T0_E_clISt17integral_constantIbLb1EESY_IbLb0EEEEDaSU_SV_EUlSU_E_NS1_11comp_targetILNS1_3genE10ELNS1_11target_archE1200ELNS1_3gpuE4ELNS1_3repE0EEENS1_30default_config_static_selectorELNS0_4arch9wavefront6targetE0EEEvT1_.num_agpr, 0
	.set _ZN7rocprim17ROCPRIM_400000_NS6detail17trampoline_kernelINS0_14default_configENS1_27scan_by_key_config_selectorIjjEEZZNS1_16scan_by_key_implILNS1_25lookback_scan_determinismE0ELb0ES3_N6thrust23THRUST_200600_302600_NS6detail15normal_iteratorINS9_10device_ptrIjEEEESE_SE_jNS9_4plusIvEENS9_8equal_toIvEEjEE10hipError_tPvRmT2_T3_T4_T5_mT6_T7_P12ihipStream_tbENKUlT_T0_E_clISt17integral_constantIbLb1EESY_IbLb0EEEEDaSU_SV_EUlSU_E_NS1_11comp_targetILNS1_3genE10ELNS1_11target_archE1200ELNS1_3gpuE4ELNS1_3repE0EEENS1_30default_config_static_selectorELNS0_4arch9wavefront6targetE0EEEvT1_.numbered_sgpr, 0
	.set _ZN7rocprim17ROCPRIM_400000_NS6detail17trampoline_kernelINS0_14default_configENS1_27scan_by_key_config_selectorIjjEEZZNS1_16scan_by_key_implILNS1_25lookback_scan_determinismE0ELb0ES3_N6thrust23THRUST_200600_302600_NS6detail15normal_iteratorINS9_10device_ptrIjEEEESE_SE_jNS9_4plusIvEENS9_8equal_toIvEEjEE10hipError_tPvRmT2_T3_T4_T5_mT6_T7_P12ihipStream_tbENKUlT_T0_E_clISt17integral_constantIbLb1EESY_IbLb0EEEEDaSU_SV_EUlSU_E_NS1_11comp_targetILNS1_3genE10ELNS1_11target_archE1200ELNS1_3gpuE4ELNS1_3repE0EEENS1_30default_config_static_selectorELNS0_4arch9wavefront6targetE0EEEvT1_.num_named_barrier, 0
	.set _ZN7rocprim17ROCPRIM_400000_NS6detail17trampoline_kernelINS0_14default_configENS1_27scan_by_key_config_selectorIjjEEZZNS1_16scan_by_key_implILNS1_25lookback_scan_determinismE0ELb0ES3_N6thrust23THRUST_200600_302600_NS6detail15normal_iteratorINS9_10device_ptrIjEEEESE_SE_jNS9_4plusIvEENS9_8equal_toIvEEjEE10hipError_tPvRmT2_T3_T4_T5_mT6_T7_P12ihipStream_tbENKUlT_T0_E_clISt17integral_constantIbLb1EESY_IbLb0EEEEDaSU_SV_EUlSU_E_NS1_11comp_targetILNS1_3genE10ELNS1_11target_archE1200ELNS1_3gpuE4ELNS1_3repE0EEENS1_30default_config_static_selectorELNS0_4arch9wavefront6targetE0EEEvT1_.private_seg_size, 0
	.set _ZN7rocprim17ROCPRIM_400000_NS6detail17trampoline_kernelINS0_14default_configENS1_27scan_by_key_config_selectorIjjEEZZNS1_16scan_by_key_implILNS1_25lookback_scan_determinismE0ELb0ES3_N6thrust23THRUST_200600_302600_NS6detail15normal_iteratorINS9_10device_ptrIjEEEESE_SE_jNS9_4plusIvEENS9_8equal_toIvEEjEE10hipError_tPvRmT2_T3_T4_T5_mT6_T7_P12ihipStream_tbENKUlT_T0_E_clISt17integral_constantIbLb1EESY_IbLb0EEEEDaSU_SV_EUlSU_E_NS1_11comp_targetILNS1_3genE10ELNS1_11target_archE1200ELNS1_3gpuE4ELNS1_3repE0EEENS1_30default_config_static_selectorELNS0_4arch9wavefront6targetE0EEEvT1_.uses_vcc, 0
	.set _ZN7rocprim17ROCPRIM_400000_NS6detail17trampoline_kernelINS0_14default_configENS1_27scan_by_key_config_selectorIjjEEZZNS1_16scan_by_key_implILNS1_25lookback_scan_determinismE0ELb0ES3_N6thrust23THRUST_200600_302600_NS6detail15normal_iteratorINS9_10device_ptrIjEEEESE_SE_jNS9_4plusIvEENS9_8equal_toIvEEjEE10hipError_tPvRmT2_T3_T4_T5_mT6_T7_P12ihipStream_tbENKUlT_T0_E_clISt17integral_constantIbLb1EESY_IbLb0EEEEDaSU_SV_EUlSU_E_NS1_11comp_targetILNS1_3genE10ELNS1_11target_archE1200ELNS1_3gpuE4ELNS1_3repE0EEENS1_30default_config_static_selectorELNS0_4arch9wavefront6targetE0EEEvT1_.uses_flat_scratch, 0
	.set _ZN7rocprim17ROCPRIM_400000_NS6detail17trampoline_kernelINS0_14default_configENS1_27scan_by_key_config_selectorIjjEEZZNS1_16scan_by_key_implILNS1_25lookback_scan_determinismE0ELb0ES3_N6thrust23THRUST_200600_302600_NS6detail15normal_iteratorINS9_10device_ptrIjEEEESE_SE_jNS9_4plusIvEENS9_8equal_toIvEEjEE10hipError_tPvRmT2_T3_T4_T5_mT6_T7_P12ihipStream_tbENKUlT_T0_E_clISt17integral_constantIbLb1EESY_IbLb0EEEEDaSU_SV_EUlSU_E_NS1_11comp_targetILNS1_3genE10ELNS1_11target_archE1200ELNS1_3gpuE4ELNS1_3repE0EEENS1_30default_config_static_selectorELNS0_4arch9wavefront6targetE0EEEvT1_.has_dyn_sized_stack, 0
	.set _ZN7rocprim17ROCPRIM_400000_NS6detail17trampoline_kernelINS0_14default_configENS1_27scan_by_key_config_selectorIjjEEZZNS1_16scan_by_key_implILNS1_25lookback_scan_determinismE0ELb0ES3_N6thrust23THRUST_200600_302600_NS6detail15normal_iteratorINS9_10device_ptrIjEEEESE_SE_jNS9_4plusIvEENS9_8equal_toIvEEjEE10hipError_tPvRmT2_T3_T4_T5_mT6_T7_P12ihipStream_tbENKUlT_T0_E_clISt17integral_constantIbLb1EESY_IbLb0EEEEDaSU_SV_EUlSU_E_NS1_11comp_targetILNS1_3genE10ELNS1_11target_archE1200ELNS1_3gpuE4ELNS1_3repE0EEENS1_30default_config_static_selectorELNS0_4arch9wavefront6targetE0EEEvT1_.has_recursion, 0
	.set _ZN7rocprim17ROCPRIM_400000_NS6detail17trampoline_kernelINS0_14default_configENS1_27scan_by_key_config_selectorIjjEEZZNS1_16scan_by_key_implILNS1_25lookback_scan_determinismE0ELb0ES3_N6thrust23THRUST_200600_302600_NS6detail15normal_iteratorINS9_10device_ptrIjEEEESE_SE_jNS9_4plusIvEENS9_8equal_toIvEEjEE10hipError_tPvRmT2_T3_T4_T5_mT6_T7_P12ihipStream_tbENKUlT_T0_E_clISt17integral_constantIbLb1EESY_IbLb0EEEEDaSU_SV_EUlSU_E_NS1_11comp_targetILNS1_3genE10ELNS1_11target_archE1200ELNS1_3gpuE4ELNS1_3repE0EEENS1_30default_config_static_selectorELNS0_4arch9wavefront6targetE0EEEvT1_.has_indirect_call, 0
	.section	.AMDGPU.csdata,"",@progbits
; Kernel info:
; codeLenInByte = 0
; TotalNumSgprs: 0
; NumVgprs: 0
; ScratchSize: 0
; MemoryBound: 0
; FloatMode: 240
; IeeeMode: 1
; LDSByteSize: 0 bytes/workgroup (compile time only)
; SGPRBlocks: 0
; VGPRBlocks: 0
; NumSGPRsForWavesPerEU: 1
; NumVGPRsForWavesPerEU: 1
; Occupancy: 16
; WaveLimiterHint : 0
; COMPUTE_PGM_RSRC2:SCRATCH_EN: 0
; COMPUTE_PGM_RSRC2:USER_SGPR: 6
; COMPUTE_PGM_RSRC2:TRAP_HANDLER: 0
; COMPUTE_PGM_RSRC2:TGID_X_EN: 1
; COMPUTE_PGM_RSRC2:TGID_Y_EN: 0
; COMPUTE_PGM_RSRC2:TGID_Z_EN: 0
; COMPUTE_PGM_RSRC2:TIDIG_COMP_CNT: 0
	.section	.text._ZN7rocprim17ROCPRIM_400000_NS6detail17trampoline_kernelINS0_14default_configENS1_27scan_by_key_config_selectorIjjEEZZNS1_16scan_by_key_implILNS1_25lookback_scan_determinismE0ELb0ES3_N6thrust23THRUST_200600_302600_NS6detail15normal_iteratorINS9_10device_ptrIjEEEESE_SE_jNS9_4plusIvEENS9_8equal_toIvEEjEE10hipError_tPvRmT2_T3_T4_T5_mT6_T7_P12ihipStream_tbENKUlT_T0_E_clISt17integral_constantIbLb1EESY_IbLb0EEEEDaSU_SV_EUlSU_E_NS1_11comp_targetILNS1_3genE9ELNS1_11target_archE1100ELNS1_3gpuE3ELNS1_3repE0EEENS1_30default_config_static_selectorELNS0_4arch9wavefront6targetE0EEEvT1_,"axG",@progbits,_ZN7rocprim17ROCPRIM_400000_NS6detail17trampoline_kernelINS0_14default_configENS1_27scan_by_key_config_selectorIjjEEZZNS1_16scan_by_key_implILNS1_25lookback_scan_determinismE0ELb0ES3_N6thrust23THRUST_200600_302600_NS6detail15normal_iteratorINS9_10device_ptrIjEEEESE_SE_jNS9_4plusIvEENS9_8equal_toIvEEjEE10hipError_tPvRmT2_T3_T4_T5_mT6_T7_P12ihipStream_tbENKUlT_T0_E_clISt17integral_constantIbLb1EESY_IbLb0EEEEDaSU_SV_EUlSU_E_NS1_11comp_targetILNS1_3genE9ELNS1_11target_archE1100ELNS1_3gpuE3ELNS1_3repE0EEENS1_30default_config_static_selectorELNS0_4arch9wavefront6targetE0EEEvT1_,comdat
	.protected	_ZN7rocprim17ROCPRIM_400000_NS6detail17trampoline_kernelINS0_14default_configENS1_27scan_by_key_config_selectorIjjEEZZNS1_16scan_by_key_implILNS1_25lookback_scan_determinismE0ELb0ES3_N6thrust23THRUST_200600_302600_NS6detail15normal_iteratorINS9_10device_ptrIjEEEESE_SE_jNS9_4plusIvEENS9_8equal_toIvEEjEE10hipError_tPvRmT2_T3_T4_T5_mT6_T7_P12ihipStream_tbENKUlT_T0_E_clISt17integral_constantIbLb1EESY_IbLb0EEEEDaSU_SV_EUlSU_E_NS1_11comp_targetILNS1_3genE9ELNS1_11target_archE1100ELNS1_3gpuE3ELNS1_3repE0EEENS1_30default_config_static_selectorELNS0_4arch9wavefront6targetE0EEEvT1_ ; -- Begin function _ZN7rocprim17ROCPRIM_400000_NS6detail17trampoline_kernelINS0_14default_configENS1_27scan_by_key_config_selectorIjjEEZZNS1_16scan_by_key_implILNS1_25lookback_scan_determinismE0ELb0ES3_N6thrust23THRUST_200600_302600_NS6detail15normal_iteratorINS9_10device_ptrIjEEEESE_SE_jNS9_4plusIvEENS9_8equal_toIvEEjEE10hipError_tPvRmT2_T3_T4_T5_mT6_T7_P12ihipStream_tbENKUlT_T0_E_clISt17integral_constantIbLb1EESY_IbLb0EEEEDaSU_SV_EUlSU_E_NS1_11comp_targetILNS1_3genE9ELNS1_11target_archE1100ELNS1_3gpuE3ELNS1_3repE0EEENS1_30default_config_static_selectorELNS0_4arch9wavefront6targetE0EEEvT1_
	.globl	_ZN7rocprim17ROCPRIM_400000_NS6detail17trampoline_kernelINS0_14default_configENS1_27scan_by_key_config_selectorIjjEEZZNS1_16scan_by_key_implILNS1_25lookback_scan_determinismE0ELb0ES3_N6thrust23THRUST_200600_302600_NS6detail15normal_iteratorINS9_10device_ptrIjEEEESE_SE_jNS9_4plusIvEENS9_8equal_toIvEEjEE10hipError_tPvRmT2_T3_T4_T5_mT6_T7_P12ihipStream_tbENKUlT_T0_E_clISt17integral_constantIbLb1EESY_IbLb0EEEEDaSU_SV_EUlSU_E_NS1_11comp_targetILNS1_3genE9ELNS1_11target_archE1100ELNS1_3gpuE3ELNS1_3repE0EEENS1_30default_config_static_selectorELNS0_4arch9wavefront6targetE0EEEvT1_
	.p2align	8
	.type	_ZN7rocprim17ROCPRIM_400000_NS6detail17trampoline_kernelINS0_14default_configENS1_27scan_by_key_config_selectorIjjEEZZNS1_16scan_by_key_implILNS1_25lookback_scan_determinismE0ELb0ES3_N6thrust23THRUST_200600_302600_NS6detail15normal_iteratorINS9_10device_ptrIjEEEESE_SE_jNS9_4plusIvEENS9_8equal_toIvEEjEE10hipError_tPvRmT2_T3_T4_T5_mT6_T7_P12ihipStream_tbENKUlT_T0_E_clISt17integral_constantIbLb1EESY_IbLb0EEEEDaSU_SV_EUlSU_E_NS1_11comp_targetILNS1_3genE9ELNS1_11target_archE1100ELNS1_3gpuE3ELNS1_3repE0EEENS1_30default_config_static_selectorELNS0_4arch9wavefront6targetE0EEEvT1_,@function
_ZN7rocprim17ROCPRIM_400000_NS6detail17trampoline_kernelINS0_14default_configENS1_27scan_by_key_config_selectorIjjEEZZNS1_16scan_by_key_implILNS1_25lookback_scan_determinismE0ELb0ES3_N6thrust23THRUST_200600_302600_NS6detail15normal_iteratorINS9_10device_ptrIjEEEESE_SE_jNS9_4plusIvEENS9_8equal_toIvEEjEE10hipError_tPvRmT2_T3_T4_T5_mT6_T7_P12ihipStream_tbENKUlT_T0_E_clISt17integral_constantIbLb1EESY_IbLb0EEEEDaSU_SV_EUlSU_E_NS1_11comp_targetILNS1_3genE9ELNS1_11target_archE1100ELNS1_3gpuE3ELNS1_3repE0EEENS1_30default_config_static_selectorELNS0_4arch9wavefront6targetE0EEEvT1_: ; @_ZN7rocprim17ROCPRIM_400000_NS6detail17trampoline_kernelINS0_14default_configENS1_27scan_by_key_config_selectorIjjEEZZNS1_16scan_by_key_implILNS1_25lookback_scan_determinismE0ELb0ES3_N6thrust23THRUST_200600_302600_NS6detail15normal_iteratorINS9_10device_ptrIjEEEESE_SE_jNS9_4plusIvEENS9_8equal_toIvEEjEE10hipError_tPvRmT2_T3_T4_T5_mT6_T7_P12ihipStream_tbENKUlT_T0_E_clISt17integral_constantIbLb1EESY_IbLb0EEEEDaSU_SV_EUlSU_E_NS1_11comp_targetILNS1_3genE9ELNS1_11target_archE1100ELNS1_3gpuE3ELNS1_3repE0EEENS1_30default_config_static_selectorELNS0_4arch9wavefront6targetE0EEEvT1_
; %bb.0:
	.section	.rodata,"a",@progbits
	.p2align	6, 0x0
	.amdhsa_kernel _ZN7rocprim17ROCPRIM_400000_NS6detail17trampoline_kernelINS0_14default_configENS1_27scan_by_key_config_selectorIjjEEZZNS1_16scan_by_key_implILNS1_25lookback_scan_determinismE0ELb0ES3_N6thrust23THRUST_200600_302600_NS6detail15normal_iteratorINS9_10device_ptrIjEEEESE_SE_jNS9_4plusIvEENS9_8equal_toIvEEjEE10hipError_tPvRmT2_T3_T4_T5_mT6_T7_P12ihipStream_tbENKUlT_T0_E_clISt17integral_constantIbLb1EESY_IbLb0EEEEDaSU_SV_EUlSU_E_NS1_11comp_targetILNS1_3genE9ELNS1_11target_archE1100ELNS1_3gpuE3ELNS1_3repE0EEENS1_30default_config_static_selectorELNS0_4arch9wavefront6targetE0EEEvT1_
		.amdhsa_group_segment_fixed_size 0
		.amdhsa_private_segment_fixed_size 0
		.amdhsa_kernarg_size 112
		.amdhsa_user_sgpr_count 6
		.amdhsa_user_sgpr_private_segment_buffer 1
		.amdhsa_user_sgpr_dispatch_ptr 0
		.amdhsa_user_sgpr_queue_ptr 0
		.amdhsa_user_sgpr_kernarg_segment_ptr 1
		.amdhsa_user_sgpr_dispatch_id 0
		.amdhsa_user_sgpr_flat_scratch_init 0
		.amdhsa_user_sgpr_private_segment_size 0
		.amdhsa_wavefront_size32 1
		.amdhsa_uses_dynamic_stack 0
		.amdhsa_system_sgpr_private_segment_wavefront_offset 0
		.amdhsa_system_sgpr_workgroup_id_x 1
		.amdhsa_system_sgpr_workgroup_id_y 0
		.amdhsa_system_sgpr_workgroup_id_z 0
		.amdhsa_system_sgpr_workgroup_info 0
		.amdhsa_system_vgpr_workitem_id 0
		.amdhsa_next_free_vgpr 1
		.amdhsa_next_free_sgpr 1
		.amdhsa_reserve_vcc 0
		.amdhsa_reserve_flat_scratch 0
		.amdhsa_float_round_mode_32 0
		.amdhsa_float_round_mode_16_64 0
		.amdhsa_float_denorm_mode_32 3
		.amdhsa_float_denorm_mode_16_64 3
		.amdhsa_dx10_clamp 1
		.amdhsa_ieee_mode 1
		.amdhsa_fp16_overflow 0
		.amdhsa_workgroup_processor_mode 1
		.amdhsa_memory_ordered 1
		.amdhsa_forward_progress 1
		.amdhsa_shared_vgpr_count 0
		.amdhsa_exception_fp_ieee_invalid_op 0
		.amdhsa_exception_fp_denorm_src 0
		.amdhsa_exception_fp_ieee_div_zero 0
		.amdhsa_exception_fp_ieee_overflow 0
		.amdhsa_exception_fp_ieee_underflow 0
		.amdhsa_exception_fp_ieee_inexact 0
		.amdhsa_exception_int_div_zero 0
	.end_amdhsa_kernel
	.section	.text._ZN7rocprim17ROCPRIM_400000_NS6detail17trampoline_kernelINS0_14default_configENS1_27scan_by_key_config_selectorIjjEEZZNS1_16scan_by_key_implILNS1_25lookback_scan_determinismE0ELb0ES3_N6thrust23THRUST_200600_302600_NS6detail15normal_iteratorINS9_10device_ptrIjEEEESE_SE_jNS9_4plusIvEENS9_8equal_toIvEEjEE10hipError_tPvRmT2_T3_T4_T5_mT6_T7_P12ihipStream_tbENKUlT_T0_E_clISt17integral_constantIbLb1EESY_IbLb0EEEEDaSU_SV_EUlSU_E_NS1_11comp_targetILNS1_3genE9ELNS1_11target_archE1100ELNS1_3gpuE3ELNS1_3repE0EEENS1_30default_config_static_selectorELNS0_4arch9wavefront6targetE0EEEvT1_,"axG",@progbits,_ZN7rocprim17ROCPRIM_400000_NS6detail17trampoline_kernelINS0_14default_configENS1_27scan_by_key_config_selectorIjjEEZZNS1_16scan_by_key_implILNS1_25lookback_scan_determinismE0ELb0ES3_N6thrust23THRUST_200600_302600_NS6detail15normal_iteratorINS9_10device_ptrIjEEEESE_SE_jNS9_4plusIvEENS9_8equal_toIvEEjEE10hipError_tPvRmT2_T3_T4_T5_mT6_T7_P12ihipStream_tbENKUlT_T0_E_clISt17integral_constantIbLb1EESY_IbLb0EEEEDaSU_SV_EUlSU_E_NS1_11comp_targetILNS1_3genE9ELNS1_11target_archE1100ELNS1_3gpuE3ELNS1_3repE0EEENS1_30default_config_static_selectorELNS0_4arch9wavefront6targetE0EEEvT1_,comdat
.Lfunc_end1853:
	.size	_ZN7rocprim17ROCPRIM_400000_NS6detail17trampoline_kernelINS0_14default_configENS1_27scan_by_key_config_selectorIjjEEZZNS1_16scan_by_key_implILNS1_25lookback_scan_determinismE0ELb0ES3_N6thrust23THRUST_200600_302600_NS6detail15normal_iteratorINS9_10device_ptrIjEEEESE_SE_jNS9_4plusIvEENS9_8equal_toIvEEjEE10hipError_tPvRmT2_T3_T4_T5_mT6_T7_P12ihipStream_tbENKUlT_T0_E_clISt17integral_constantIbLb1EESY_IbLb0EEEEDaSU_SV_EUlSU_E_NS1_11comp_targetILNS1_3genE9ELNS1_11target_archE1100ELNS1_3gpuE3ELNS1_3repE0EEENS1_30default_config_static_selectorELNS0_4arch9wavefront6targetE0EEEvT1_, .Lfunc_end1853-_ZN7rocprim17ROCPRIM_400000_NS6detail17trampoline_kernelINS0_14default_configENS1_27scan_by_key_config_selectorIjjEEZZNS1_16scan_by_key_implILNS1_25lookback_scan_determinismE0ELb0ES3_N6thrust23THRUST_200600_302600_NS6detail15normal_iteratorINS9_10device_ptrIjEEEESE_SE_jNS9_4plusIvEENS9_8equal_toIvEEjEE10hipError_tPvRmT2_T3_T4_T5_mT6_T7_P12ihipStream_tbENKUlT_T0_E_clISt17integral_constantIbLb1EESY_IbLb0EEEEDaSU_SV_EUlSU_E_NS1_11comp_targetILNS1_3genE9ELNS1_11target_archE1100ELNS1_3gpuE3ELNS1_3repE0EEENS1_30default_config_static_selectorELNS0_4arch9wavefront6targetE0EEEvT1_
                                        ; -- End function
	.set _ZN7rocprim17ROCPRIM_400000_NS6detail17trampoline_kernelINS0_14default_configENS1_27scan_by_key_config_selectorIjjEEZZNS1_16scan_by_key_implILNS1_25lookback_scan_determinismE0ELb0ES3_N6thrust23THRUST_200600_302600_NS6detail15normal_iteratorINS9_10device_ptrIjEEEESE_SE_jNS9_4plusIvEENS9_8equal_toIvEEjEE10hipError_tPvRmT2_T3_T4_T5_mT6_T7_P12ihipStream_tbENKUlT_T0_E_clISt17integral_constantIbLb1EESY_IbLb0EEEEDaSU_SV_EUlSU_E_NS1_11comp_targetILNS1_3genE9ELNS1_11target_archE1100ELNS1_3gpuE3ELNS1_3repE0EEENS1_30default_config_static_selectorELNS0_4arch9wavefront6targetE0EEEvT1_.num_vgpr, 0
	.set _ZN7rocprim17ROCPRIM_400000_NS6detail17trampoline_kernelINS0_14default_configENS1_27scan_by_key_config_selectorIjjEEZZNS1_16scan_by_key_implILNS1_25lookback_scan_determinismE0ELb0ES3_N6thrust23THRUST_200600_302600_NS6detail15normal_iteratorINS9_10device_ptrIjEEEESE_SE_jNS9_4plusIvEENS9_8equal_toIvEEjEE10hipError_tPvRmT2_T3_T4_T5_mT6_T7_P12ihipStream_tbENKUlT_T0_E_clISt17integral_constantIbLb1EESY_IbLb0EEEEDaSU_SV_EUlSU_E_NS1_11comp_targetILNS1_3genE9ELNS1_11target_archE1100ELNS1_3gpuE3ELNS1_3repE0EEENS1_30default_config_static_selectorELNS0_4arch9wavefront6targetE0EEEvT1_.num_agpr, 0
	.set _ZN7rocprim17ROCPRIM_400000_NS6detail17trampoline_kernelINS0_14default_configENS1_27scan_by_key_config_selectorIjjEEZZNS1_16scan_by_key_implILNS1_25lookback_scan_determinismE0ELb0ES3_N6thrust23THRUST_200600_302600_NS6detail15normal_iteratorINS9_10device_ptrIjEEEESE_SE_jNS9_4plusIvEENS9_8equal_toIvEEjEE10hipError_tPvRmT2_T3_T4_T5_mT6_T7_P12ihipStream_tbENKUlT_T0_E_clISt17integral_constantIbLb1EESY_IbLb0EEEEDaSU_SV_EUlSU_E_NS1_11comp_targetILNS1_3genE9ELNS1_11target_archE1100ELNS1_3gpuE3ELNS1_3repE0EEENS1_30default_config_static_selectorELNS0_4arch9wavefront6targetE0EEEvT1_.numbered_sgpr, 0
	.set _ZN7rocprim17ROCPRIM_400000_NS6detail17trampoline_kernelINS0_14default_configENS1_27scan_by_key_config_selectorIjjEEZZNS1_16scan_by_key_implILNS1_25lookback_scan_determinismE0ELb0ES3_N6thrust23THRUST_200600_302600_NS6detail15normal_iteratorINS9_10device_ptrIjEEEESE_SE_jNS9_4plusIvEENS9_8equal_toIvEEjEE10hipError_tPvRmT2_T3_T4_T5_mT6_T7_P12ihipStream_tbENKUlT_T0_E_clISt17integral_constantIbLb1EESY_IbLb0EEEEDaSU_SV_EUlSU_E_NS1_11comp_targetILNS1_3genE9ELNS1_11target_archE1100ELNS1_3gpuE3ELNS1_3repE0EEENS1_30default_config_static_selectorELNS0_4arch9wavefront6targetE0EEEvT1_.num_named_barrier, 0
	.set _ZN7rocprim17ROCPRIM_400000_NS6detail17trampoline_kernelINS0_14default_configENS1_27scan_by_key_config_selectorIjjEEZZNS1_16scan_by_key_implILNS1_25lookback_scan_determinismE0ELb0ES3_N6thrust23THRUST_200600_302600_NS6detail15normal_iteratorINS9_10device_ptrIjEEEESE_SE_jNS9_4plusIvEENS9_8equal_toIvEEjEE10hipError_tPvRmT2_T3_T4_T5_mT6_T7_P12ihipStream_tbENKUlT_T0_E_clISt17integral_constantIbLb1EESY_IbLb0EEEEDaSU_SV_EUlSU_E_NS1_11comp_targetILNS1_3genE9ELNS1_11target_archE1100ELNS1_3gpuE3ELNS1_3repE0EEENS1_30default_config_static_selectorELNS0_4arch9wavefront6targetE0EEEvT1_.private_seg_size, 0
	.set _ZN7rocprim17ROCPRIM_400000_NS6detail17trampoline_kernelINS0_14default_configENS1_27scan_by_key_config_selectorIjjEEZZNS1_16scan_by_key_implILNS1_25lookback_scan_determinismE0ELb0ES3_N6thrust23THRUST_200600_302600_NS6detail15normal_iteratorINS9_10device_ptrIjEEEESE_SE_jNS9_4plusIvEENS9_8equal_toIvEEjEE10hipError_tPvRmT2_T3_T4_T5_mT6_T7_P12ihipStream_tbENKUlT_T0_E_clISt17integral_constantIbLb1EESY_IbLb0EEEEDaSU_SV_EUlSU_E_NS1_11comp_targetILNS1_3genE9ELNS1_11target_archE1100ELNS1_3gpuE3ELNS1_3repE0EEENS1_30default_config_static_selectorELNS0_4arch9wavefront6targetE0EEEvT1_.uses_vcc, 0
	.set _ZN7rocprim17ROCPRIM_400000_NS6detail17trampoline_kernelINS0_14default_configENS1_27scan_by_key_config_selectorIjjEEZZNS1_16scan_by_key_implILNS1_25lookback_scan_determinismE0ELb0ES3_N6thrust23THRUST_200600_302600_NS6detail15normal_iteratorINS9_10device_ptrIjEEEESE_SE_jNS9_4plusIvEENS9_8equal_toIvEEjEE10hipError_tPvRmT2_T3_T4_T5_mT6_T7_P12ihipStream_tbENKUlT_T0_E_clISt17integral_constantIbLb1EESY_IbLb0EEEEDaSU_SV_EUlSU_E_NS1_11comp_targetILNS1_3genE9ELNS1_11target_archE1100ELNS1_3gpuE3ELNS1_3repE0EEENS1_30default_config_static_selectorELNS0_4arch9wavefront6targetE0EEEvT1_.uses_flat_scratch, 0
	.set _ZN7rocprim17ROCPRIM_400000_NS6detail17trampoline_kernelINS0_14default_configENS1_27scan_by_key_config_selectorIjjEEZZNS1_16scan_by_key_implILNS1_25lookback_scan_determinismE0ELb0ES3_N6thrust23THRUST_200600_302600_NS6detail15normal_iteratorINS9_10device_ptrIjEEEESE_SE_jNS9_4plusIvEENS9_8equal_toIvEEjEE10hipError_tPvRmT2_T3_T4_T5_mT6_T7_P12ihipStream_tbENKUlT_T0_E_clISt17integral_constantIbLb1EESY_IbLb0EEEEDaSU_SV_EUlSU_E_NS1_11comp_targetILNS1_3genE9ELNS1_11target_archE1100ELNS1_3gpuE3ELNS1_3repE0EEENS1_30default_config_static_selectorELNS0_4arch9wavefront6targetE0EEEvT1_.has_dyn_sized_stack, 0
	.set _ZN7rocprim17ROCPRIM_400000_NS6detail17trampoline_kernelINS0_14default_configENS1_27scan_by_key_config_selectorIjjEEZZNS1_16scan_by_key_implILNS1_25lookback_scan_determinismE0ELb0ES3_N6thrust23THRUST_200600_302600_NS6detail15normal_iteratorINS9_10device_ptrIjEEEESE_SE_jNS9_4plusIvEENS9_8equal_toIvEEjEE10hipError_tPvRmT2_T3_T4_T5_mT6_T7_P12ihipStream_tbENKUlT_T0_E_clISt17integral_constantIbLb1EESY_IbLb0EEEEDaSU_SV_EUlSU_E_NS1_11comp_targetILNS1_3genE9ELNS1_11target_archE1100ELNS1_3gpuE3ELNS1_3repE0EEENS1_30default_config_static_selectorELNS0_4arch9wavefront6targetE0EEEvT1_.has_recursion, 0
	.set _ZN7rocprim17ROCPRIM_400000_NS6detail17trampoline_kernelINS0_14default_configENS1_27scan_by_key_config_selectorIjjEEZZNS1_16scan_by_key_implILNS1_25lookback_scan_determinismE0ELb0ES3_N6thrust23THRUST_200600_302600_NS6detail15normal_iteratorINS9_10device_ptrIjEEEESE_SE_jNS9_4plusIvEENS9_8equal_toIvEEjEE10hipError_tPvRmT2_T3_T4_T5_mT6_T7_P12ihipStream_tbENKUlT_T0_E_clISt17integral_constantIbLb1EESY_IbLb0EEEEDaSU_SV_EUlSU_E_NS1_11comp_targetILNS1_3genE9ELNS1_11target_archE1100ELNS1_3gpuE3ELNS1_3repE0EEENS1_30default_config_static_selectorELNS0_4arch9wavefront6targetE0EEEvT1_.has_indirect_call, 0
	.section	.AMDGPU.csdata,"",@progbits
; Kernel info:
; codeLenInByte = 0
; TotalNumSgprs: 0
; NumVgprs: 0
; ScratchSize: 0
; MemoryBound: 0
; FloatMode: 240
; IeeeMode: 1
; LDSByteSize: 0 bytes/workgroup (compile time only)
; SGPRBlocks: 0
; VGPRBlocks: 0
; NumSGPRsForWavesPerEU: 1
; NumVGPRsForWavesPerEU: 1
; Occupancy: 16
; WaveLimiterHint : 0
; COMPUTE_PGM_RSRC2:SCRATCH_EN: 0
; COMPUTE_PGM_RSRC2:USER_SGPR: 6
; COMPUTE_PGM_RSRC2:TRAP_HANDLER: 0
; COMPUTE_PGM_RSRC2:TGID_X_EN: 1
; COMPUTE_PGM_RSRC2:TGID_Y_EN: 0
; COMPUTE_PGM_RSRC2:TGID_Z_EN: 0
; COMPUTE_PGM_RSRC2:TIDIG_COMP_CNT: 0
	.section	.text._ZN7rocprim17ROCPRIM_400000_NS6detail17trampoline_kernelINS0_14default_configENS1_27scan_by_key_config_selectorIjjEEZZNS1_16scan_by_key_implILNS1_25lookback_scan_determinismE0ELb0ES3_N6thrust23THRUST_200600_302600_NS6detail15normal_iteratorINS9_10device_ptrIjEEEESE_SE_jNS9_4plusIvEENS9_8equal_toIvEEjEE10hipError_tPvRmT2_T3_T4_T5_mT6_T7_P12ihipStream_tbENKUlT_T0_E_clISt17integral_constantIbLb1EESY_IbLb0EEEEDaSU_SV_EUlSU_E_NS1_11comp_targetILNS1_3genE8ELNS1_11target_archE1030ELNS1_3gpuE2ELNS1_3repE0EEENS1_30default_config_static_selectorELNS0_4arch9wavefront6targetE0EEEvT1_,"axG",@progbits,_ZN7rocprim17ROCPRIM_400000_NS6detail17trampoline_kernelINS0_14default_configENS1_27scan_by_key_config_selectorIjjEEZZNS1_16scan_by_key_implILNS1_25lookback_scan_determinismE0ELb0ES3_N6thrust23THRUST_200600_302600_NS6detail15normal_iteratorINS9_10device_ptrIjEEEESE_SE_jNS9_4plusIvEENS9_8equal_toIvEEjEE10hipError_tPvRmT2_T3_T4_T5_mT6_T7_P12ihipStream_tbENKUlT_T0_E_clISt17integral_constantIbLb1EESY_IbLb0EEEEDaSU_SV_EUlSU_E_NS1_11comp_targetILNS1_3genE8ELNS1_11target_archE1030ELNS1_3gpuE2ELNS1_3repE0EEENS1_30default_config_static_selectorELNS0_4arch9wavefront6targetE0EEEvT1_,comdat
	.protected	_ZN7rocprim17ROCPRIM_400000_NS6detail17trampoline_kernelINS0_14default_configENS1_27scan_by_key_config_selectorIjjEEZZNS1_16scan_by_key_implILNS1_25lookback_scan_determinismE0ELb0ES3_N6thrust23THRUST_200600_302600_NS6detail15normal_iteratorINS9_10device_ptrIjEEEESE_SE_jNS9_4plusIvEENS9_8equal_toIvEEjEE10hipError_tPvRmT2_T3_T4_T5_mT6_T7_P12ihipStream_tbENKUlT_T0_E_clISt17integral_constantIbLb1EESY_IbLb0EEEEDaSU_SV_EUlSU_E_NS1_11comp_targetILNS1_3genE8ELNS1_11target_archE1030ELNS1_3gpuE2ELNS1_3repE0EEENS1_30default_config_static_selectorELNS0_4arch9wavefront6targetE0EEEvT1_ ; -- Begin function _ZN7rocprim17ROCPRIM_400000_NS6detail17trampoline_kernelINS0_14default_configENS1_27scan_by_key_config_selectorIjjEEZZNS1_16scan_by_key_implILNS1_25lookback_scan_determinismE0ELb0ES3_N6thrust23THRUST_200600_302600_NS6detail15normal_iteratorINS9_10device_ptrIjEEEESE_SE_jNS9_4plusIvEENS9_8equal_toIvEEjEE10hipError_tPvRmT2_T3_T4_T5_mT6_T7_P12ihipStream_tbENKUlT_T0_E_clISt17integral_constantIbLb1EESY_IbLb0EEEEDaSU_SV_EUlSU_E_NS1_11comp_targetILNS1_3genE8ELNS1_11target_archE1030ELNS1_3gpuE2ELNS1_3repE0EEENS1_30default_config_static_selectorELNS0_4arch9wavefront6targetE0EEEvT1_
	.globl	_ZN7rocprim17ROCPRIM_400000_NS6detail17trampoline_kernelINS0_14default_configENS1_27scan_by_key_config_selectorIjjEEZZNS1_16scan_by_key_implILNS1_25lookback_scan_determinismE0ELb0ES3_N6thrust23THRUST_200600_302600_NS6detail15normal_iteratorINS9_10device_ptrIjEEEESE_SE_jNS9_4plusIvEENS9_8equal_toIvEEjEE10hipError_tPvRmT2_T3_T4_T5_mT6_T7_P12ihipStream_tbENKUlT_T0_E_clISt17integral_constantIbLb1EESY_IbLb0EEEEDaSU_SV_EUlSU_E_NS1_11comp_targetILNS1_3genE8ELNS1_11target_archE1030ELNS1_3gpuE2ELNS1_3repE0EEENS1_30default_config_static_selectorELNS0_4arch9wavefront6targetE0EEEvT1_
	.p2align	8
	.type	_ZN7rocprim17ROCPRIM_400000_NS6detail17trampoline_kernelINS0_14default_configENS1_27scan_by_key_config_selectorIjjEEZZNS1_16scan_by_key_implILNS1_25lookback_scan_determinismE0ELb0ES3_N6thrust23THRUST_200600_302600_NS6detail15normal_iteratorINS9_10device_ptrIjEEEESE_SE_jNS9_4plusIvEENS9_8equal_toIvEEjEE10hipError_tPvRmT2_T3_T4_T5_mT6_T7_P12ihipStream_tbENKUlT_T0_E_clISt17integral_constantIbLb1EESY_IbLb0EEEEDaSU_SV_EUlSU_E_NS1_11comp_targetILNS1_3genE8ELNS1_11target_archE1030ELNS1_3gpuE2ELNS1_3repE0EEENS1_30default_config_static_selectorELNS0_4arch9wavefront6targetE0EEEvT1_,@function
_ZN7rocprim17ROCPRIM_400000_NS6detail17trampoline_kernelINS0_14default_configENS1_27scan_by_key_config_selectorIjjEEZZNS1_16scan_by_key_implILNS1_25lookback_scan_determinismE0ELb0ES3_N6thrust23THRUST_200600_302600_NS6detail15normal_iteratorINS9_10device_ptrIjEEEESE_SE_jNS9_4plusIvEENS9_8equal_toIvEEjEE10hipError_tPvRmT2_T3_T4_T5_mT6_T7_P12ihipStream_tbENKUlT_T0_E_clISt17integral_constantIbLb1EESY_IbLb0EEEEDaSU_SV_EUlSU_E_NS1_11comp_targetILNS1_3genE8ELNS1_11target_archE1030ELNS1_3gpuE2ELNS1_3repE0EEENS1_30default_config_static_selectorELNS0_4arch9wavefront6targetE0EEEvT1_: ; @_ZN7rocprim17ROCPRIM_400000_NS6detail17trampoline_kernelINS0_14default_configENS1_27scan_by_key_config_selectorIjjEEZZNS1_16scan_by_key_implILNS1_25lookback_scan_determinismE0ELb0ES3_N6thrust23THRUST_200600_302600_NS6detail15normal_iteratorINS9_10device_ptrIjEEEESE_SE_jNS9_4plusIvEENS9_8equal_toIvEEjEE10hipError_tPvRmT2_T3_T4_T5_mT6_T7_P12ihipStream_tbENKUlT_T0_E_clISt17integral_constantIbLb1EESY_IbLb0EEEEDaSU_SV_EUlSU_E_NS1_11comp_targetILNS1_3genE8ELNS1_11target_archE1030ELNS1_3gpuE2ELNS1_3repE0EEENS1_30default_config_static_selectorELNS0_4arch9wavefront6targetE0EEEvT1_
; %bb.0:
	s_endpgm
	.section	.rodata,"a",@progbits
	.p2align	6, 0x0
	.amdhsa_kernel _ZN7rocprim17ROCPRIM_400000_NS6detail17trampoline_kernelINS0_14default_configENS1_27scan_by_key_config_selectorIjjEEZZNS1_16scan_by_key_implILNS1_25lookback_scan_determinismE0ELb0ES3_N6thrust23THRUST_200600_302600_NS6detail15normal_iteratorINS9_10device_ptrIjEEEESE_SE_jNS9_4plusIvEENS9_8equal_toIvEEjEE10hipError_tPvRmT2_T3_T4_T5_mT6_T7_P12ihipStream_tbENKUlT_T0_E_clISt17integral_constantIbLb1EESY_IbLb0EEEEDaSU_SV_EUlSU_E_NS1_11comp_targetILNS1_3genE8ELNS1_11target_archE1030ELNS1_3gpuE2ELNS1_3repE0EEENS1_30default_config_static_selectorELNS0_4arch9wavefront6targetE0EEEvT1_
		.amdhsa_group_segment_fixed_size 0
		.amdhsa_private_segment_fixed_size 0
		.amdhsa_kernarg_size 112
		.amdhsa_user_sgpr_count 6
		.amdhsa_user_sgpr_private_segment_buffer 1
		.amdhsa_user_sgpr_dispatch_ptr 0
		.amdhsa_user_sgpr_queue_ptr 0
		.amdhsa_user_sgpr_kernarg_segment_ptr 1
		.amdhsa_user_sgpr_dispatch_id 0
		.amdhsa_user_sgpr_flat_scratch_init 0
		.amdhsa_user_sgpr_private_segment_size 0
		.amdhsa_wavefront_size32 1
		.amdhsa_uses_dynamic_stack 0
		.amdhsa_system_sgpr_private_segment_wavefront_offset 0
		.amdhsa_system_sgpr_workgroup_id_x 1
		.amdhsa_system_sgpr_workgroup_id_y 0
		.amdhsa_system_sgpr_workgroup_id_z 0
		.amdhsa_system_sgpr_workgroup_info 0
		.amdhsa_system_vgpr_workitem_id 0
		.amdhsa_next_free_vgpr 1
		.amdhsa_next_free_sgpr 1
		.amdhsa_reserve_vcc 0
		.amdhsa_reserve_flat_scratch 0
		.amdhsa_float_round_mode_32 0
		.amdhsa_float_round_mode_16_64 0
		.amdhsa_float_denorm_mode_32 3
		.amdhsa_float_denorm_mode_16_64 3
		.amdhsa_dx10_clamp 1
		.amdhsa_ieee_mode 1
		.amdhsa_fp16_overflow 0
		.amdhsa_workgroup_processor_mode 1
		.amdhsa_memory_ordered 1
		.amdhsa_forward_progress 1
		.amdhsa_shared_vgpr_count 0
		.amdhsa_exception_fp_ieee_invalid_op 0
		.amdhsa_exception_fp_denorm_src 0
		.amdhsa_exception_fp_ieee_div_zero 0
		.amdhsa_exception_fp_ieee_overflow 0
		.amdhsa_exception_fp_ieee_underflow 0
		.amdhsa_exception_fp_ieee_inexact 0
		.amdhsa_exception_int_div_zero 0
	.end_amdhsa_kernel
	.section	.text._ZN7rocprim17ROCPRIM_400000_NS6detail17trampoline_kernelINS0_14default_configENS1_27scan_by_key_config_selectorIjjEEZZNS1_16scan_by_key_implILNS1_25lookback_scan_determinismE0ELb0ES3_N6thrust23THRUST_200600_302600_NS6detail15normal_iteratorINS9_10device_ptrIjEEEESE_SE_jNS9_4plusIvEENS9_8equal_toIvEEjEE10hipError_tPvRmT2_T3_T4_T5_mT6_T7_P12ihipStream_tbENKUlT_T0_E_clISt17integral_constantIbLb1EESY_IbLb0EEEEDaSU_SV_EUlSU_E_NS1_11comp_targetILNS1_3genE8ELNS1_11target_archE1030ELNS1_3gpuE2ELNS1_3repE0EEENS1_30default_config_static_selectorELNS0_4arch9wavefront6targetE0EEEvT1_,"axG",@progbits,_ZN7rocprim17ROCPRIM_400000_NS6detail17trampoline_kernelINS0_14default_configENS1_27scan_by_key_config_selectorIjjEEZZNS1_16scan_by_key_implILNS1_25lookback_scan_determinismE0ELb0ES3_N6thrust23THRUST_200600_302600_NS6detail15normal_iteratorINS9_10device_ptrIjEEEESE_SE_jNS9_4plusIvEENS9_8equal_toIvEEjEE10hipError_tPvRmT2_T3_T4_T5_mT6_T7_P12ihipStream_tbENKUlT_T0_E_clISt17integral_constantIbLb1EESY_IbLb0EEEEDaSU_SV_EUlSU_E_NS1_11comp_targetILNS1_3genE8ELNS1_11target_archE1030ELNS1_3gpuE2ELNS1_3repE0EEENS1_30default_config_static_selectorELNS0_4arch9wavefront6targetE0EEEvT1_,comdat
.Lfunc_end1854:
	.size	_ZN7rocprim17ROCPRIM_400000_NS6detail17trampoline_kernelINS0_14default_configENS1_27scan_by_key_config_selectorIjjEEZZNS1_16scan_by_key_implILNS1_25lookback_scan_determinismE0ELb0ES3_N6thrust23THRUST_200600_302600_NS6detail15normal_iteratorINS9_10device_ptrIjEEEESE_SE_jNS9_4plusIvEENS9_8equal_toIvEEjEE10hipError_tPvRmT2_T3_T4_T5_mT6_T7_P12ihipStream_tbENKUlT_T0_E_clISt17integral_constantIbLb1EESY_IbLb0EEEEDaSU_SV_EUlSU_E_NS1_11comp_targetILNS1_3genE8ELNS1_11target_archE1030ELNS1_3gpuE2ELNS1_3repE0EEENS1_30default_config_static_selectorELNS0_4arch9wavefront6targetE0EEEvT1_, .Lfunc_end1854-_ZN7rocprim17ROCPRIM_400000_NS6detail17trampoline_kernelINS0_14default_configENS1_27scan_by_key_config_selectorIjjEEZZNS1_16scan_by_key_implILNS1_25lookback_scan_determinismE0ELb0ES3_N6thrust23THRUST_200600_302600_NS6detail15normal_iteratorINS9_10device_ptrIjEEEESE_SE_jNS9_4plusIvEENS9_8equal_toIvEEjEE10hipError_tPvRmT2_T3_T4_T5_mT6_T7_P12ihipStream_tbENKUlT_T0_E_clISt17integral_constantIbLb1EESY_IbLb0EEEEDaSU_SV_EUlSU_E_NS1_11comp_targetILNS1_3genE8ELNS1_11target_archE1030ELNS1_3gpuE2ELNS1_3repE0EEENS1_30default_config_static_selectorELNS0_4arch9wavefront6targetE0EEEvT1_
                                        ; -- End function
	.set _ZN7rocprim17ROCPRIM_400000_NS6detail17trampoline_kernelINS0_14default_configENS1_27scan_by_key_config_selectorIjjEEZZNS1_16scan_by_key_implILNS1_25lookback_scan_determinismE0ELb0ES3_N6thrust23THRUST_200600_302600_NS6detail15normal_iteratorINS9_10device_ptrIjEEEESE_SE_jNS9_4plusIvEENS9_8equal_toIvEEjEE10hipError_tPvRmT2_T3_T4_T5_mT6_T7_P12ihipStream_tbENKUlT_T0_E_clISt17integral_constantIbLb1EESY_IbLb0EEEEDaSU_SV_EUlSU_E_NS1_11comp_targetILNS1_3genE8ELNS1_11target_archE1030ELNS1_3gpuE2ELNS1_3repE0EEENS1_30default_config_static_selectorELNS0_4arch9wavefront6targetE0EEEvT1_.num_vgpr, 0
	.set _ZN7rocprim17ROCPRIM_400000_NS6detail17trampoline_kernelINS0_14default_configENS1_27scan_by_key_config_selectorIjjEEZZNS1_16scan_by_key_implILNS1_25lookback_scan_determinismE0ELb0ES3_N6thrust23THRUST_200600_302600_NS6detail15normal_iteratorINS9_10device_ptrIjEEEESE_SE_jNS9_4plusIvEENS9_8equal_toIvEEjEE10hipError_tPvRmT2_T3_T4_T5_mT6_T7_P12ihipStream_tbENKUlT_T0_E_clISt17integral_constantIbLb1EESY_IbLb0EEEEDaSU_SV_EUlSU_E_NS1_11comp_targetILNS1_3genE8ELNS1_11target_archE1030ELNS1_3gpuE2ELNS1_3repE0EEENS1_30default_config_static_selectorELNS0_4arch9wavefront6targetE0EEEvT1_.num_agpr, 0
	.set _ZN7rocprim17ROCPRIM_400000_NS6detail17trampoline_kernelINS0_14default_configENS1_27scan_by_key_config_selectorIjjEEZZNS1_16scan_by_key_implILNS1_25lookback_scan_determinismE0ELb0ES3_N6thrust23THRUST_200600_302600_NS6detail15normal_iteratorINS9_10device_ptrIjEEEESE_SE_jNS9_4plusIvEENS9_8equal_toIvEEjEE10hipError_tPvRmT2_T3_T4_T5_mT6_T7_P12ihipStream_tbENKUlT_T0_E_clISt17integral_constantIbLb1EESY_IbLb0EEEEDaSU_SV_EUlSU_E_NS1_11comp_targetILNS1_3genE8ELNS1_11target_archE1030ELNS1_3gpuE2ELNS1_3repE0EEENS1_30default_config_static_selectorELNS0_4arch9wavefront6targetE0EEEvT1_.numbered_sgpr, 0
	.set _ZN7rocprim17ROCPRIM_400000_NS6detail17trampoline_kernelINS0_14default_configENS1_27scan_by_key_config_selectorIjjEEZZNS1_16scan_by_key_implILNS1_25lookback_scan_determinismE0ELb0ES3_N6thrust23THRUST_200600_302600_NS6detail15normal_iteratorINS9_10device_ptrIjEEEESE_SE_jNS9_4plusIvEENS9_8equal_toIvEEjEE10hipError_tPvRmT2_T3_T4_T5_mT6_T7_P12ihipStream_tbENKUlT_T0_E_clISt17integral_constantIbLb1EESY_IbLb0EEEEDaSU_SV_EUlSU_E_NS1_11comp_targetILNS1_3genE8ELNS1_11target_archE1030ELNS1_3gpuE2ELNS1_3repE0EEENS1_30default_config_static_selectorELNS0_4arch9wavefront6targetE0EEEvT1_.num_named_barrier, 0
	.set _ZN7rocprim17ROCPRIM_400000_NS6detail17trampoline_kernelINS0_14default_configENS1_27scan_by_key_config_selectorIjjEEZZNS1_16scan_by_key_implILNS1_25lookback_scan_determinismE0ELb0ES3_N6thrust23THRUST_200600_302600_NS6detail15normal_iteratorINS9_10device_ptrIjEEEESE_SE_jNS9_4plusIvEENS9_8equal_toIvEEjEE10hipError_tPvRmT2_T3_T4_T5_mT6_T7_P12ihipStream_tbENKUlT_T0_E_clISt17integral_constantIbLb1EESY_IbLb0EEEEDaSU_SV_EUlSU_E_NS1_11comp_targetILNS1_3genE8ELNS1_11target_archE1030ELNS1_3gpuE2ELNS1_3repE0EEENS1_30default_config_static_selectorELNS0_4arch9wavefront6targetE0EEEvT1_.private_seg_size, 0
	.set _ZN7rocprim17ROCPRIM_400000_NS6detail17trampoline_kernelINS0_14default_configENS1_27scan_by_key_config_selectorIjjEEZZNS1_16scan_by_key_implILNS1_25lookback_scan_determinismE0ELb0ES3_N6thrust23THRUST_200600_302600_NS6detail15normal_iteratorINS9_10device_ptrIjEEEESE_SE_jNS9_4plusIvEENS9_8equal_toIvEEjEE10hipError_tPvRmT2_T3_T4_T5_mT6_T7_P12ihipStream_tbENKUlT_T0_E_clISt17integral_constantIbLb1EESY_IbLb0EEEEDaSU_SV_EUlSU_E_NS1_11comp_targetILNS1_3genE8ELNS1_11target_archE1030ELNS1_3gpuE2ELNS1_3repE0EEENS1_30default_config_static_selectorELNS0_4arch9wavefront6targetE0EEEvT1_.uses_vcc, 0
	.set _ZN7rocprim17ROCPRIM_400000_NS6detail17trampoline_kernelINS0_14default_configENS1_27scan_by_key_config_selectorIjjEEZZNS1_16scan_by_key_implILNS1_25lookback_scan_determinismE0ELb0ES3_N6thrust23THRUST_200600_302600_NS6detail15normal_iteratorINS9_10device_ptrIjEEEESE_SE_jNS9_4plusIvEENS9_8equal_toIvEEjEE10hipError_tPvRmT2_T3_T4_T5_mT6_T7_P12ihipStream_tbENKUlT_T0_E_clISt17integral_constantIbLb1EESY_IbLb0EEEEDaSU_SV_EUlSU_E_NS1_11comp_targetILNS1_3genE8ELNS1_11target_archE1030ELNS1_3gpuE2ELNS1_3repE0EEENS1_30default_config_static_selectorELNS0_4arch9wavefront6targetE0EEEvT1_.uses_flat_scratch, 0
	.set _ZN7rocprim17ROCPRIM_400000_NS6detail17trampoline_kernelINS0_14default_configENS1_27scan_by_key_config_selectorIjjEEZZNS1_16scan_by_key_implILNS1_25lookback_scan_determinismE0ELb0ES3_N6thrust23THRUST_200600_302600_NS6detail15normal_iteratorINS9_10device_ptrIjEEEESE_SE_jNS9_4plusIvEENS9_8equal_toIvEEjEE10hipError_tPvRmT2_T3_T4_T5_mT6_T7_P12ihipStream_tbENKUlT_T0_E_clISt17integral_constantIbLb1EESY_IbLb0EEEEDaSU_SV_EUlSU_E_NS1_11comp_targetILNS1_3genE8ELNS1_11target_archE1030ELNS1_3gpuE2ELNS1_3repE0EEENS1_30default_config_static_selectorELNS0_4arch9wavefront6targetE0EEEvT1_.has_dyn_sized_stack, 0
	.set _ZN7rocprim17ROCPRIM_400000_NS6detail17trampoline_kernelINS0_14default_configENS1_27scan_by_key_config_selectorIjjEEZZNS1_16scan_by_key_implILNS1_25lookback_scan_determinismE0ELb0ES3_N6thrust23THRUST_200600_302600_NS6detail15normal_iteratorINS9_10device_ptrIjEEEESE_SE_jNS9_4plusIvEENS9_8equal_toIvEEjEE10hipError_tPvRmT2_T3_T4_T5_mT6_T7_P12ihipStream_tbENKUlT_T0_E_clISt17integral_constantIbLb1EESY_IbLb0EEEEDaSU_SV_EUlSU_E_NS1_11comp_targetILNS1_3genE8ELNS1_11target_archE1030ELNS1_3gpuE2ELNS1_3repE0EEENS1_30default_config_static_selectorELNS0_4arch9wavefront6targetE0EEEvT1_.has_recursion, 0
	.set _ZN7rocprim17ROCPRIM_400000_NS6detail17trampoline_kernelINS0_14default_configENS1_27scan_by_key_config_selectorIjjEEZZNS1_16scan_by_key_implILNS1_25lookback_scan_determinismE0ELb0ES3_N6thrust23THRUST_200600_302600_NS6detail15normal_iteratorINS9_10device_ptrIjEEEESE_SE_jNS9_4plusIvEENS9_8equal_toIvEEjEE10hipError_tPvRmT2_T3_T4_T5_mT6_T7_P12ihipStream_tbENKUlT_T0_E_clISt17integral_constantIbLb1EESY_IbLb0EEEEDaSU_SV_EUlSU_E_NS1_11comp_targetILNS1_3genE8ELNS1_11target_archE1030ELNS1_3gpuE2ELNS1_3repE0EEENS1_30default_config_static_selectorELNS0_4arch9wavefront6targetE0EEEvT1_.has_indirect_call, 0
	.section	.AMDGPU.csdata,"",@progbits
; Kernel info:
; codeLenInByte = 4
; TotalNumSgprs: 0
; NumVgprs: 0
; ScratchSize: 0
; MemoryBound: 0
; FloatMode: 240
; IeeeMode: 1
; LDSByteSize: 0 bytes/workgroup (compile time only)
; SGPRBlocks: 0
; VGPRBlocks: 0
; NumSGPRsForWavesPerEU: 1
; NumVGPRsForWavesPerEU: 1
; Occupancy: 16
; WaveLimiterHint : 0
; COMPUTE_PGM_RSRC2:SCRATCH_EN: 0
; COMPUTE_PGM_RSRC2:USER_SGPR: 6
; COMPUTE_PGM_RSRC2:TRAP_HANDLER: 0
; COMPUTE_PGM_RSRC2:TGID_X_EN: 1
; COMPUTE_PGM_RSRC2:TGID_Y_EN: 0
; COMPUTE_PGM_RSRC2:TGID_Z_EN: 0
; COMPUTE_PGM_RSRC2:TIDIG_COMP_CNT: 0
	.section	.text._ZN7rocprim17ROCPRIM_400000_NS6detail30init_device_scan_by_key_kernelINS1_19lookback_scan_stateINS0_5tupleIJjbEEELb0ELb1EEEN6thrust23THRUST_200600_302600_NS6detail15normal_iteratorINS8_10device_ptrIjEEEEjNS1_16block_id_wrapperIjLb1EEEEEvT_jjPNSG_10value_typeET0_PNSt15iterator_traitsISJ_E10value_typeEmT1_T2_,"axG",@progbits,_ZN7rocprim17ROCPRIM_400000_NS6detail30init_device_scan_by_key_kernelINS1_19lookback_scan_stateINS0_5tupleIJjbEEELb0ELb1EEEN6thrust23THRUST_200600_302600_NS6detail15normal_iteratorINS8_10device_ptrIjEEEEjNS1_16block_id_wrapperIjLb1EEEEEvT_jjPNSG_10value_typeET0_PNSt15iterator_traitsISJ_E10value_typeEmT1_T2_,comdat
	.protected	_ZN7rocprim17ROCPRIM_400000_NS6detail30init_device_scan_by_key_kernelINS1_19lookback_scan_stateINS0_5tupleIJjbEEELb0ELb1EEEN6thrust23THRUST_200600_302600_NS6detail15normal_iteratorINS8_10device_ptrIjEEEEjNS1_16block_id_wrapperIjLb1EEEEEvT_jjPNSG_10value_typeET0_PNSt15iterator_traitsISJ_E10value_typeEmT1_T2_ ; -- Begin function _ZN7rocprim17ROCPRIM_400000_NS6detail30init_device_scan_by_key_kernelINS1_19lookback_scan_stateINS0_5tupleIJjbEEELb0ELb1EEEN6thrust23THRUST_200600_302600_NS6detail15normal_iteratorINS8_10device_ptrIjEEEEjNS1_16block_id_wrapperIjLb1EEEEEvT_jjPNSG_10value_typeET0_PNSt15iterator_traitsISJ_E10value_typeEmT1_T2_
	.globl	_ZN7rocprim17ROCPRIM_400000_NS6detail30init_device_scan_by_key_kernelINS1_19lookback_scan_stateINS0_5tupleIJjbEEELb0ELb1EEEN6thrust23THRUST_200600_302600_NS6detail15normal_iteratorINS8_10device_ptrIjEEEEjNS1_16block_id_wrapperIjLb1EEEEEvT_jjPNSG_10value_typeET0_PNSt15iterator_traitsISJ_E10value_typeEmT1_T2_
	.p2align	8
	.type	_ZN7rocprim17ROCPRIM_400000_NS6detail30init_device_scan_by_key_kernelINS1_19lookback_scan_stateINS0_5tupleIJjbEEELb0ELb1EEEN6thrust23THRUST_200600_302600_NS6detail15normal_iteratorINS8_10device_ptrIjEEEEjNS1_16block_id_wrapperIjLb1EEEEEvT_jjPNSG_10value_typeET0_PNSt15iterator_traitsISJ_E10value_typeEmT1_T2_,@function
_ZN7rocprim17ROCPRIM_400000_NS6detail30init_device_scan_by_key_kernelINS1_19lookback_scan_stateINS0_5tupleIJjbEEELb0ELb1EEEN6thrust23THRUST_200600_302600_NS6detail15normal_iteratorINS8_10device_ptrIjEEEEjNS1_16block_id_wrapperIjLb1EEEEEvT_jjPNSG_10value_typeET0_PNSt15iterator_traitsISJ_E10value_typeEmT1_T2_: ; @_ZN7rocprim17ROCPRIM_400000_NS6detail30init_device_scan_by_key_kernelINS1_19lookback_scan_stateINS0_5tupleIJjbEEELb0ELb1EEEN6thrust23THRUST_200600_302600_NS6detail15normal_iteratorINS8_10device_ptrIjEEEEjNS1_16block_id_wrapperIjLb1EEEEEvT_jjPNSG_10value_typeET0_PNSt15iterator_traitsISJ_E10value_typeEmT1_T2_
; %bb.0:
	s_clause 0x2
	s_load_dword s0, s[4:5], 0x4c
	s_load_dwordx8 s[8:15], s[4:5], 0x0
	s_load_dword s7, s[4:5], 0x40
	s_waitcnt lgkmcnt(0)
	s_and_b32 s16, s0, 0xffff
	s_cmp_eq_u64 s[12:13], 0
	v_mad_u64_u32 v[4:5], null, s6, s16, v[0:1]
	s_cbranch_scc1 .LBB1855_8
; %bb.1:
	s_cmp_lt_u32 s11, s10
	s_mov_b32 s1, 0
	s_cselect_b32 s0, s11, 0
	s_mov_b32 s2, exec_lo
	v_cmpx_eq_u32_e64 s0, v4
	s_cbranch_execz .LBB1855_7
; %bb.2:
	s_add_i32 s0, s11, 32
	v_mov_b32_e32 v6, 0
	s_lshl_b64 s[0:1], s[0:1], 4
	s_mov_b32 s3, exec_lo
	s_add_u32 s0, s8, s0
	s_addc_u32 s1, s9, s1
	v_mov_b32_e32 v0, s0
	v_mov_b32_e32 v1, s1
	;;#ASMSTART
	global_load_dwordx4 v[0:3], v[0:1] off glc dlc	
s_waitcnt vmcnt(0)
	;;#ASMEND
	v_and_b32_e32 v5, 0xff, v2
	v_cmpx_eq_u64_e32 0, v[5:6]
	s_cbranch_execz .LBB1855_6
; %bb.3:
	v_mov_b32_e32 v8, s1
	v_mov_b32_e32 v7, s0
	s_mov_b32 s0, 0
.LBB1855_4:                             ; =>This Inner Loop Header: Depth=1
	;;#ASMSTART
	global_load_dwordx4 v[0:3], v[7:8] off glc dlc	
s_waitcnt vmcnt(0)
	;;#ASMEND
	v_and_b32_e32 v5, 0xff, v2
	v_cmp_ne_u64_e32 vcc_lo, 0, v[5:6]
	s_or_b32 s0, vcc_lo, s0
	s_andn2_b32 exec_lo, exec_lo, s0
	s_cbranch_execnz .LBB1855_4
; %bb.5:
	s_or_b32 exec_lo, exec_lo, s0
.LBB1855_6:
	s_or_b32 exec_lo, exec_lo, s3
	v_mov_b32_e32 v2, 0
	global_store_dword v2, v0, s[12:13]
	global_store_byte v2, v1, s[12:13] offset:4
.LBB1855_7:
	s_or_b32 exec_lo, exec_lo, s2
.LBB1855_8:
	s_mov_b32 s0, exec_lo
	v_cmpx_eq_u32_e32 0, v4
	s_cbranch_execz .LBB1855_10
; %bb.9:
	s_load_dwordx2 s[2:3], s[4:5], 0x38
	v_mov_b32_e32 v0, 0
	s_waitcnt lgkmcnt(0)
	global_store_dword v0, v0, s[2:3]
.LBB1855_10:
	s_or_b32 exec_lo, exec_lo, s0
	s_mov_b32 s0, exec_lo
	v_cmpx_gt_u32_e64 s10, v4
	s_cbranch_execz .LBB1855_12
; %bb.11:
	v_add_nc_u32_e32 v0, 32, v4
	v_mov_b32_e32 v1, 0
	v_lshlrev_b64 v[5:6], 4, v[0:1]
	v_mov_b32_e32 v0, v1
	v_mov_b32_e32 v2, v1
	;; [unrolled: 1-line block ×3, first 2 shown]
	v_add_co_u32 v5, vcc_lo, s8, v5
	v_add_co_ci_u32_e64 v6, null, s9, v6, vcc_lo
	global_store_dwordx4 v[5:6], v[0:3], off
.LBB1855_12:
	s_or_b32 exec_lo, exec_lo, s0
	v_mov_b32_e32 v5, 0
	s_mov_b32 s0, exec_lo
	v_cmpx_gt_u32_e32 32, v4
	s_cbranch_execz .LBB1855_14
; %bb.13:
	v_lshlrev_b64 v[6:7], 4, v[4:5]
	v_mov_b32_e32 v2, 0xff
	v_mov_b32_e32 v0, v5
	;; [unrolled: 1-line block ×4, first 2 shown]
	v_add_co_u32 v6, vcc_lo, s8, v6
	v_add_co_ci_u32_e64 v7, null, s9, v7, vcc_lo
	global_store_dwordx4 v[6:7], v[0:3], off
.LBB1855_14:
	s_or_b32 exec_lo, exec_lo, s0
	s_load_dwordx2 s[2:3], s[4:5], 0x28
	s_mov_b32 s0, exec_lo
	s_waitcnt lgkmcnt(0)
	v_cmpx_gt_u64_e64 s[2:3], v[4:5]
	s_cbranch_execz .LBB1855_17
; %bb.15:
	s_clause 0x1
	s_load_dword s6, s[4:5], 0x30
	s_load_dwordx2 s[8:9], s[4:5], 0x20
	s_mov_b32 s1, 0
	v_lshlrev_b64 v[2:3], 2, v[4:5]
	s_mul_i32 s4, s7, s16
	s_waitcnt lgkmcnt(0)
	v_mad_u64_u32 v[0:1], null, s6, v4, 0
	s_add_i32 s0, s6, -1
	s_mul_hi_u32 s7, s6, s4
	s_lshl_b64 s[10:11], s[0:1], 2
	s_mul_i32 s6, s6, s4
	s_add_u32 s0, s14, s10
	s_addc_u32 s5, s15, s11
	v_lshlrev_b64 v[0:1], 2, v[0:1]
	s_lshl_b64 s[6:7], s[6:7], 2
	v_add_co_u32 v0, vcc_lo, s0, v0
	v_add_co_ci_u32_e64 v1, null, s5, v1, vcc_lo
	v_add_co_u32 v2, vcc_lo, s8, v2
	v_add_co_ci_u32_e64 v3, null, s9, v3, vcc_lo
	s_mov_b32 s5, s1
	s_lshl_b64 s[8:9], s[4:5], 2
	.p2align	6
.LBB1855_16:                            ; =>This Inner Loop Header: Depth=1
	global_load_dword v6, v[0:1], off
	v_add_co_u32 v4, vcc_lo, v4, s4
	v_add_co_ci_u32_e64 v5, null, 0, v5, vcc_lo
	v_add_co_u32 v0, vcc_lo, v0, s6
	v_add_co_ci_u32_e64 v1, null, s7, v1, vcc_lo
	v_cmp_le_u64_e32 vcc_lo, s[2:3], v[4:5]
	s_or_b32 s1, vcc_lo, s1
	s_waitcnt vmcnt(0)
	global_store_dword v[2:3], v6, off
	v_add_co_u32 v2, s0, v2, s8
	v_add_co_ci_u32_e64 v3, null, s9, v3, s0
	s_andn2_b32 exec_lo, exec_lo, s1
	s_cbranch_execnz .LBB1855_16
.LBB1855_17:
	s_endpgm
	.section	.rodata,"a",@progbits
	.p2align	6, 0x0
	.amdhsa_kernel _ZN7rocprim17ROCPRIM_400000_NS6detail30init_device_scan_by_key_kernelINS1_19lookback_scan_stateINS0_5tupleIJjbEEELb0ELb1EEEN6thrust23THRUST_200600_302600_NS6detail15normal_iteratorINS8_10device_ptrIjEEEEjNS1_16block_id_wrapperIjLb1EEEEEvT_jjPNSG_10value_typeET0_PNSt15iterator_traitsISJ_E10value_typeEmT1_T2_
		.amdhsa_group_segment_fixed_size 0
		.amdhsa_private_segment_fixed_size 0
		.amdhsa_kernarg_size 320
		.amdhsa_user_sgpr_count 6
		.amdhsa_user_sgpr_private_segment_buffer 1
		.amdhsa_user_sgpr_dispatch_ptr 0
		.amdhsa_user_sgpr_queue_ptr 0
		.amdhsa_user_sgpr_kernarg_segment_ptr 1
		.amdhsa_user_sgpr_dispatch_id 0
		.amdhsa_user_sgpr_flat_scratch_init 0
		.amdhsa_user_sgpr_private_segment_size 0
		.amdhsa_wavefront_size32 1
		.amdhsa_uses_dynamic_stack 0
		.amdhsa_system_sgpr_private_segment_wavefront_offset 0
		.amdhsa_system_sgpr_workgroup_id_x 1
		.amdhsa_system_sgpr_workgroup_id_y 0
		.amdhsa_system_sgpr_workgroup_id_z 0
		.amdhsa_system_sgpr_workgroup_info 0
		.amdhsa_system_vgpr_workitem_id 0
		.amdhsa_next_free_vgpr 9
		.amdhsa_next_free_sgpr 17
		.amdhsa_reserve_vcc 1
		.amdhsa_reserve_flat_scratch 0
		.amdhsa_float_round_mode_32 0
		.amdhsa_float_round_mode_16_64 0
		.amdhsa_float_denorm_mode_32 3
		.amdhsa_float_denorm_mode_16_64 3
		.amdhsa_dx10_clamp 1
		.amdhsa_ieee_mode 1
		.amdhsa_fp16_overflow 0
		.amdhsa_workgroup_processor_mode 1
		.amdhsa_memory_ordered 1
		.amdhsa_forward_progress 1
		.amdhsa_shared_vgpr_count 0
		.amdhsa_exception_fp_ieee_invalid_op 0
		.amdhsa_exception_fp_denorm_src 0
		.amdhsa_exception_fp_ieee_div_zero 0
		.amdhsa_exception_fp_ieee_overflow 0
		.amdhsa_exception_fp_ieee_underflow 0
		.amdhsa_exception_fp_ieee_inexact 0
		.amdhsa_exception_int_div_zero 0
	.end_amdhsa_kernel
	.section	.text._ZN7rocprim17ROCPRIM_400000_NS6detail30init_device_scan_by_key_kernelINS1_19lookback_scan_stateINS0_5tupleIJjbEEELb0ELb1EEEN6thrust23THRUST_200600_302600_NS6detail15normal_iteratorINS8_10device_ptrIjEEEEjNS1_16block_id_wrapperIjLb1EEEEEvT_jjPNSG_10value_typeET0_PNSt15iterator_traitsISJ_E10value_typeEmT1_T2_,"axG",@progbits,_ZN7rocprim17ROCPRIM_400000_NS6detail30init_device_scan_by_key_kernelINS1_19lookback_scan_stateINS0_5tupleIJjbEEELb0ELb1EEEN6thrust23THRUST_200600_302600_NS6detail15normal_iteratorINS8_10device_ptrIjEEEEjNS1_16block_id_wrapperIjLb1EEEEEvT_jjPNSG_10value_typeET0_PNSt15iterator_traitsISJ_E10value_typeEmT1_T2_,comdat
.Lfunc_end1855:
	.size	_ZN7rocprim17ROCPRIM_400000_NS6detail30init_device_scan_by_key_kernelINS1_19lookback_scan_stateINS0_5tupleIJjbEEELb0ELb1EEEN6thrust23THRUST_200600_302600_NS6detail15normal_iteratorINS8_10device_ptrIjEEEEjNS1_16block_id_wrapperIjLb1EEEEEvT_jjPNSG_10value_typeET0_PNSt15iterator_traitsISJ_E10value_typeEmT1_T2_, .Lfunc_end1855-_ZN7rocprim17ROCPRIM_400000_NS6detail30init_device_scan_by_key_kernelINS1_19lookback_scan_stateINS0_5tupleIJjbEEELb0ELb1EEEN6thrust23THRUST_200600_302600_NS6detail15normal_iteratorINS8_10device_ptrIjEEEEjNS1_16block_id_wrapperIjLb1EEEEEvT_jjPNSG_10value_typeET0_PNSt15iterator_traitsISJ_E10value_typeEmT1_T2_
                                        ; -- End function
	.set _ZN7rocprim17ROCPRIM_400000_NS6detail30init_device_scan_by_key_kernelINS1_19lookback_scan_stateINS0_5tupleIJjbEEELb0ELb1EEEN6thrust23THRUST_200600_302600_NS6detail15normal_iteratorINS8_10device_ptrIjEEEEjNS1_16block_id_wrapperIjLb1EEEEEvT_jjPNSG_10value_typeET0_PNSt15iterator_traitsISJ_E10value_typeEmT1_T2_.num_vgpr, 9
	.set _ZN7rocprim17ROCPRIM_400000_NS6detail30init_device_scan_by_key_kernelINS1_19lookback_scan_stateINS0_5tupleIJjbEEELb0ELb1EEEN6thrust23THRUST_200600_302600_NS6detail15normal_iteratorINS8_10device_ptrIjEEEEjNS1_16block_id_wrapperIjLb1EEEEEvT_jjPNSG_10value_typeET0_PNSt15iterator_traitsISJ_E10value_typeEmT1_T2_.num_agpr, 0
	.set _ZN7rocprim17ROCPRIM_400000_NS6detail30init_device_scan_by_key_kernelINS1_19lookback_scan_stateINS0_5tupleIJjbEEELb0ELb1EEEN6thrust23THRUST_200600_302600_NS6detail15normal_iteratorINS8_10device_ptrIjEEEEjNS1_16block_id_wrapperIjLb1EEEEEvT_jjPNSG_10value_typeET0_PNSt15iterator_traitsISJ_E10value_typeEmT1_T2_.numbered_sgpr, 17
	.set _ZN7rocprim17ROCPRIM_400000_NS6detail30init_device_scan_by_key_kernelINS1_19lookback_scan_stateINS0_5tupleIJjbEEELb0ELb1EEEN6thrust23THRUST_200600_302600_NS6detail15normal_iteratorINS8_10device_ptrIjEEEEjNS1_16block_id_wrapperIjLb1EEEEEvT_jjPNSG_10value_typeET0_PNSt15iterator_traitsISJ_E10value_typeEmT1_T2_.num_named_barrier, 0
	.set _ZN7rocprim17ROCPRIM_400000_NS6detail30init_device_scan_by_key_kernelINS1_19lookback_scan_stateINS0_5tupleIJjbEEELb0ELb1EEEN6thrust23THRUST_200600_302600_NS6detail15normal_iteratorINS8_10device_ptrIjEEEEjNS1_16block_id_wrapperIjLb1EEEEEvT_jjPNSG_10value_typeET0_PNSt15iterator_traitsISJ_E10value_typeEmT1_T2_.private_seg_size, 0
	.set _ZN7rocprim17ROCPRIM_400000_NS6detail30init_device_scan_by_key_kernelINS1_19lookback_scan_stateINS0_5tupleIJjbEEELb0ELb1EEEN6thrust23THRUST_200600_302600_NS6detail15normal_iteratorINS8_10device_ptrIjEEEEjNS1_16block_id_wrapperIjLb1EEEEEvT_jjPNSG_10value_typeET0_PNSt15iterator_traitsISJ_E10value_typeEmT1_T2_.uses_vcc, 1
	.set _ZN7rocprim17ROCPRIM_400000_NS6detail30init_device_scan_by_key_kernelINS1_19lookback_scan_stateINS0_5tupleIJjbEEELb0ELb1EEEN6thrust23THRUST_200600_302600_NS6detail15normal_iteratorINS8_10device_ptrIjEEEEjNS1_16block_id_wrapperIjLb1EEEEEvT_jjPNSG_10value_typeET0_PNSt15iterator_traitsISJ_E10value_typeEmT1_T2_.uses_flat_scratch, 0
	.set _ZN7rocprim17ROCPRIM_400000_NS6detail30init_device_scan_by_key_kernelINS1_19lookback_scan_stateINS0_5tupleIJjbEEELb0ELb1EEEN6thrust23THRUST_200600_302600_NS6detail15normal_iteratorINS8_10device_ptrIjEEEEjNS1_16block_id_wrapperIjLb1EEEEEvT_jjPNSG_10value_typeET0_PNSt15iterator_traitsISJ_E10value_typeEmT1_T2_.has_dyn_sized_stack, 0
	.set _ZN7rocprim17ROCPRIM_400000_NS6detail30init_device_scan_by_key_kernelINS1_19lookback_scan_stateINS0_5tupleIJjbEEELb0ELb1EEEN6thrust23THRUST_200600_302600_NS6detail15normal_iteratorINS8_10device_ptrIjEEEEjNS1_16block_id_wrapperIjLb1EEEEEvT_jjPNSG_10value_typeET0_PNSt15iterator_traitsISJ_E10value_typeEmT1_T2_.has_recursion, 0
	.set _ZN7rocprim17ROCPRIM_400000_NS6detail30init_device_scan_by_key_kernelINS1_19lookback_scan_stateINS0_5tupleIJjbEEELb0ELb1EEEN6thrust23THRUST_200600_302600_NS6detail15normal_iteratorINS8_10device_ptrIjEEEEjNS1_16block_id_wrapperIjLb1EEEEEvT_jjPNSG_10value_typeET0_PNSt15iterator_traitsISJ_E10value_typeEmT1_T2_.has_indirect_call, 0
	.section	.AMDGPU.csdata,"",@progbits
; Kernel info:
; codeLenInByte = 728
; TotalNumSgprs: 19
; NumVgprs: 9
; ScratchSize: 0
; MemoryBound: 0
; FloatMode: 240
; IeeeMode: 1
; LDSByteSize: 0 bytes/workgroup (compile time only)
; SGPRBlocks: 0
; VGPRBlocks: 1
; NumSGPRsForWavesPerEU: 19
; NumVGPRsForWavesPerEU: 9
; Occupancy: 16
; WaveLimiterHint : 0
; COMPUTE_PGM_RSRC2:SCRATCH_EN: 0
; COMPUTE_PGM_RSRC2:USER_SGPR: 6
; COMPUTE_PGM_RSRC2:TRAP_HANDLER: 0
; COMPUTE_PGM_RSRC2:TGID_X_EN: 1
; COMPUTE_PGM_RSRC2:TGID_Y_EN: 0
; COMPUTE_PGM_RSRC2:TGID_Z_EN: 0
; COMPUTE_PGM_RSRC2:TIDIG_COMP_CNT: 0
	.section	.text._ZN7rocprim17ROCPRIM_400000_NS6detail17trampoline_kernelINS0_14default_configENS1_27scan_by_key_config_selectorIjjEEZZNS1_16scan_by_key_implILNS1_25lookback_scan_determinismE0ELb0ES3_N6thrust23THRUST_200600_302600_NS6detail15normal_iteratorINS9_10device_ptrIjEEEESE_SE_jNS9_4plusIvEENS9_8equal_toIvEEjEE10hipError_tPvRmT2_T3_T4_T5_mT6_T7_P12ihipStream_tbENKUlT_T0_E_clISt17integral_constantIbLb0EESY_IbLb1EEEEDaSU_SV_EUlSU_E_NS1_11comp_targetILNS1_3genE0ELNS1_11target_archE4294967295ELNS1_3gpuE0ELNS1_3repE0EEENS1_30default_config_static_selectorELNS0_4arch9wavefront6targetE0EEEvT1_,"axG",@progbits,_ZN7rocprim17ROCPRIM_400000_NS6detail17trampoline_kernelINS0_14default_configENS1_27scan_by_key_config_selectorIjjEEZZNS1_16scan_by_key_implILNS1_25lookback_scan_determinismE0ELb0ES3_N6thrust23THRUST_200600_302600_NS6detail15normal_iteratorINS9_10device_ptrIjEEEESE_SE_jNS9_4plusIvEENS9_8equal_toIvEEjEE10hipError_tPvRmT2_T3_T4_T5_mT6_T7_P12ihipStream_tbENKUlT_T0_E_clISt17integral_constantIbLb0EESY_IbLb1EEEEDaSU_SV_EUlSU_E_NS1_11comp_targetILNS1_3genE0ELNS1_11target_archE4294967295ELNS1_3gpuE0ELNS1_3repE0EEENS1_30default_config_static_selectorELNS0_4arch9wavefront6targetE0EEEvT1_,comdat
	.protected	_ZN7rocprim17ROCPRIM_400000_NS6detail17trampoline_kernelINS0_14default_configENS1_27scan_by_key_config_selectorIjjEEZZNS1_16scan_by_key_implILNS1_25lookback_scan_determinismE0ELb0ES3_N6thrust23THRUST_200600_302600_NS6detail15normal_iteratorINS9_10device_ptrIjEEEESE_SE_jNS9_4plusIvEENS9_8equal_toIvEEjEE10hipError_tPvRmT2_T3_T4_T5_mT6_T7_P12ihipStream_tbENKUlT_T0_E_clISt17integral_constantIbLb0EESY_IbLb1EEEEDaSU_SV_EUlSU_E_NS1_11comp_targetILNS1_3genE0ELNS1_11target_archE4294967295ELNS1_3gpuE0ELNS1_3repE0EEENS1_30default_config_static_selectorELNS0_4arch9wavefront6targetE0EEEvT1_ ; -- Begin function _ZN7rocprim17ROCPRIM_400000_NS6detail17trampoline_kernelINS0_14default_configENS1_27scan_by_key_config_selectorIjjEEZZNS1_16scan_by_key_implILNS1_25lookback_scan_determinismE0ELb0ES3_N6thrust23THRUST_200600_302600_NS6detail15normal_iteratorINS9_10device_ptrIjEEEESE_SE_jNS9_4plusIvEENS9_8equal_toIvEEjEE10hipError_tPvRmT2_T3_T4_T5_mT6_T7_P12ihipStream_tbENKUlT_T0_E_clISt17integral_constantIbLb0EESY_IbLb1EEEEDaSU_SV_EUlSU_E_NS1_11comp_targetILNS1_3genE0ELNS1_11target_archE4294967295ELNS1_3gpuE0ELNS1_3repE0EEENS1_30default_config_static_selectorELNS0_4arch9wavefront6targetE0EEEvT1_
	.globl	_ZN7rocprim17ROCPRIM_400000_NS6detail17trampoline_kernelINS0_14default_configENS1_27scan_by_key_config_selectorIjjEEZZNS1_16scan_by_key_implILNS1_25lookback_scan_determinismE0ELb0ES3_N6thrust23THRUST_200600_302600_NS6detail15normal_iteratorINS9_10device_ptrIjEEEESE_SE_jNS9_4plusIvEENS9_8equal_toIvEEjEE10hipError_tPvRmT2_T3_T4_T5_mT6_T7_P12ihipStream_tbENKUlT_T0_E_clISt17integral_constantIbLb0EESY_IbLb1EEEEDaSU_SV_EUlSU_E_NS1_11comp_targetILNS1_3genE0ELNS1_11target_archE4294967295ELNS1_3gpuE0ELNS1_3repE0EEENS1_30default_config_static_selectorELNS0_4arch9wavefront6targetE0EEEvT1_
	.p2align	8
	.type	_ZN7rocprim17ROCPRIM_400000_NS6detail17trampoline_kernelINS0_14default_configENS1_27scan_by_key_config_selectorIjjEEZZNS1_16scan_by_key_implILNS1_25lookback_scan_determinismE0ELb0ES3_N6thrust23THRUST_200600_302600_NS6detail15normal_iteratorINS9_10device_ptrIjEEEESE_SE_jNS9_4plusIvEENS9_8equal_toIvEEjEE10hipError_tPvRmT2_T3_T4_T5_mT6_T7_P12ihipStream_tbENKUlT_T0_E_clISt17integral_constantIbLb0EESY_IbLb1EEEEDaSU_SV_EUlSU_E_NS1_11comp_targetILNS1_3genE0ELNS1_11target_archE4294967295ELNS1_3gpuE0ELNS1_3repE0EEENS1_30default_config_static_selectorELNS0_4arch9wavefront6targetE0EEEvT1_,@function
_ZN7rocprim17ROCPRIM_400000_NS6detail17trampoline_kernelINS0_14default_configENS1_27scan_by_key_config_selectorIjjEEZZNS1_16scan_by_key_implILNS1_25lookback_scan_determinismE0ELb0ES3_N6thrust23THRUST_200600_302600_NS6detail15normal_iteratorINS9_10device_ptrIjEEEESE_SE_jNS9_4plusIvEENS9_8equal_toIvEEjEE10hipError_tPvRmT2_T3_T4_T5_mT6_T7_P12ihipStream_tbENKUlT_T0_E_clISt17integral_constantIbLb0EESY_IbLb1EEEEDaSU_SV_EUlSU_E_NS1_11comp_targetILNS1_3genE0ELNS1_11target_archE4294967295ELNS1_3gpuE0ELNS1_3repE0EEENS1_30default_config_static_selectorELNS0_4arch9wavefront6targetE0EEEvT1_: ; @_ZN7rocprim17ROCPRIM_400000_NS6detail17trampoline_kernelINS0_14default_configENS1_27scan_by_key_config_selectorIjjEEZZNS1_16scan_by_key_implILNS1_25lookback_scan_determinismE0ELb0ES3_N6thrust23THRUST_200600_302600_NS6detail15normal_iteratorINS9_10device_ptrIjEEEESE_SE_jNS9_4plusIvEENS9_8equal_toIvEEjEE10hipError_tPvRmT2_T3_T4_T5_mT6_T7_P12ihipStream_tbENKUlT_T0_E_clISt17integral_constantIbLb0EESY_IbLb1EEEEDaSU_SV_EUlSU_E_NS1_11comp_targetILNS1_3genE0ELNS1_11target_archE4294967295ELNS1_3gpuE0ELNS1_3repE0EEENS1_30default_config_static_selectorELNS0_4arch9wavefront6targetE0EEEvT1_
; %bb.0:
	.section	.rodata,"a",@progbits
	.p2align	6, 0x0
	.amdhsa_kernel _ZN7rocprim17ROCPRIM_400000_NS6detail17trampoline_kernelINS0_14default_configENS1_27scan_by_key_config_selectorIjjEEZZNS1_16scan_by_key_implILNS1_25lookback_scan_determinismE0ELb0ES3_N6thrust23THRUST_200600_302600_NS6detail15normal_iteratorINS9_10device_ptrIjEEEESE_SE_jNS9_4plusIvEENS9_8equal_toIvEEjEE10hipError_tPvRmT2_T3_T4_T5_mT6_T7_P12ihipStream_tbENKUlT_T0_E_clISt17integral_constantIbLb0EESY_IbLb1EEEEDaSU_SV_EUlSU_E_NS1_11comp_targetILNS1_3genE0ELNS1_11target_archE4294967295ELNS1_3gpuE0ELNS1_3repE0EEENS1_30default_config_static_selectorELNS0_4arch9wavefront6targetE0EEEvT1_
		.amdhsa_group_segment_fixed_size 0
		.amdhsa_private_segment_fixed_size 0
		.amdhsa_kernarg_size 112
		.amdhsa_user_sgpr_count 6
		.amdhsa_user_sgpr_private_segment_buffer 1
		.amdhsa_user_sgpr_dispatch_ptr 0
		.amdhsa_user_sgpr_queue_ptr 0
		.amdhsa_user_sgpr_kernarg_segment_ptr 1
		.amdhsa_user_sgpr_dispatch_id 0
		.amdhsa_user_sgpr_flat_scratch_init 0
		.amdhsa_user_sgpr_private_segment_size 0
		.amdhsa_wavefront_size32 1
		.amdhsa_uses_dynamic_stack 0
		.amdhsa_system_sgpr_private_segment_wavefront_offset 0
		.amdhsa_system_sgpr_workgroup_id_x 1
		.amdhsa_system_sgpr_workgroup_id_y 0
		.amdhsa_system_sgpr_workgroup_id_z 0
		.amdhsa_system_sgpr_workgroup_info 0
		.amdhsa_system_vgpr_workitem_id 0
		.amdhsa_next_free_vgpr 1
		.amdhsa_next_free_sgpr 1
		.amdhsa_reserve_vcc 0
		.amdhsa_reserve_flat_scratch 0
		.amdhsa_float_round_mode_32 0
		.amdhsa_float_round_mode_16_64 0
		.amdhsa_float_denorm_mode_32 3
		.amdhsa_float_denorm_mode_16_64 3
		.amdhsa_dx10_clamp 1
		.amdhsa_ieee_mode 1
		.amdhsa_fp16_overflow 0
		.amdhsa_workgroup_processor_mode 1
		.amdhsa_memory_ordered 1
		.amdhsa_forward_progress 1
		.amdhsa_shared_vgpr_count 0
		.amdhsa_exception_fp_ieee_invalid_op 0
		.amdhsa_exception_fp_denorm_src 0
		.amdhsa_exception_fp_ieee_div_zero 0
		.amdhsa_exception_fp_ieee_overflow 0
		.amdhsa_exception_fp_ieee_underflow 0
		.amdhsa_exception_fp_ieee_inexact 0
		.amdhsa_exception_int_div_zero 0
	.end_amdhsa_kernel
	.section	.text._ZN7rocprim17ROCPRIM_400000_NS6detail17trampoline_kernelINS0_14default_configENS1_27scan_by_key_config_selectorIjjEEZZNS1_16scan_by_key_implILNS1_25lookback_scan_determinismE0ELb0ES3_N6thrust23THRUST_200600_302600_NS6detail15normal_iteratorINS9_10device_ptrIjEEEESE_SE_jNS9_4plusIvEENS9_8equal_toIvEEjEE10hipError_tPvRmT2_T3_T4_T5_mT6_T7_P12ihipStream_tbENKUlT_T0_E_clISt17integral_constantIbLb0EESY_IbLb1EEEEDaSU_SV_EUlSU_E_NS1_11comp_targetILNS1_3genE0ELNS1_11target_archE4294967295ELNS1_3gpuE0ELNS1_3repE0EEENS1_30default_config_static_selectorELNS0_4arch9wavefront6targetE0EEEvT1_,"axG",@progbits,_ZN7rocprim17ROCPRIM_400000_NS6detail17trampoline_kernelINS0_14default_configENS1_27scan_by_key_config_selectorIjjEEZZNS1_16scan_by_key_implILNS1_25lookback_scan_determinismE0ELb0ES3_N6thrust23THRUST_200600_302600_NS6detail15normal_iteratorINS9_10device_ptrIjEEEESE_SE_jNS9_4plusIvEENS9_8equal_toIvEEjEE10hipError_tPvRmT2_T3_T4_T5_mT6_T7_P12ihipStream_tbENKUlT_T0_E_clISt17integral_constantIbLb0EESY_IbLb1EEEEDaSU_SV_EUlSU_E_NS1_11comp_targetILNS1_3genE0ELNS1_11target_archE4294967295ELNS1_3gpuE0ELNS1_3repE0EEENS1_30default_config_static_selectorELNS0_4arch9wavefront6targetE0EEEvT1_,comdat
.Lfunc_end1856:
	.size	_ZN7rocprim17ROCPRIM_400000_NS6detail17trampoline_kernelINS0_14default_configENS1_27scan_by_key_config_selectorIjjEEZZNS1_16scan_by_key_implILNS1_25lookback_scan_determinismE0ELb0ES3_N6thrust23THRUST_200600_302600_NS6detail15normal_iteratorINS9_10device_ptrIjEEEESE_SE_jNS9_4plusIvEENS9_8equal_toIvEEjEE10hipError_tPvRmT2_T3_T4_T5_mT6_T7_P12ihipStream_tbENKUlT_T0_E_clISt17integral_constantIbLb0EESY_IbLb1EEEEDaSU_SV_EUlSU_E_NS1_11comp_targetILNS1_3genE0ELNS1_11target_archE4294967295ELNS1_3gpuE0ELNS1_3repE0EEENS1_30default_config_static_selectorELNS0_4arch9wavefront6targetE0EEEvT1_, .Lfunc_end1856-_ZN7rocprim17ROCPRIM_400000_NS6detail17trampoline_kernelINS0_14default_configENS1_27scan_by_key_config_selectorIjjEEZZNS1_16scan_by_key_implILNS1_25lookback_scan_determinismE0ELb0ES3_N6thrust23THRUST_200600_302600_NS6detail15normal_iteratorINS9_10device_ptrIjEEEESE_SE_jNS9_4plusIvEENS9_8equal_toIvEEjEE10hipError_tPvRmT2_T3_T4_T5_mT6_T7_P12ihipStream_tbENKUlT_T0_E_clISt17integral_constantIbLb0EESY_IbLb1EEEEDaSU_SV_EUlSU_E_NS1_11comp_targetILNS1_3genE0ELNS1_11target_archE4294967295ELNS1_3gpuE0ELNS1_3repE0EEENS1_30default_config_static_selectorELNS0_4arch9wavefront6targetE0EEEvT1_
                                        ; -- End function
	.set _ZN7rocprim17ROCPRIM_400000_NS6detail17trampoline_kernelINS0_14default_configENS1_27scan_by_key_config_selectorIjjEEZZNS1_16scan_by_key_implILNS1_25lookback_scan_determinismE0ELb0ES3_N6thrust23THRUST_200600_302600_NS6detail15normal_iteratorINS9_10device_ptrIjEEEESE_SE_jNS9_4plusIvEENS9_8equal_toIvEEjEE10hipError_tPvRmT2_T3_T4_T5_mT6_T7_P12ihipStream_tbENKUlT_T0_E_clISt17integral_constantIbLb0EESY_IbLb1EEEEDaSU_SV_EUlSU_E_NS1_11comp_targetILNS1_3genE0ELNS1_11target_archE4294967295ELNS1_3gpuE0ELNS1_3repE0EEENS1_30default_config_static_selectorELNS0_4arch9wavefront6targetE0EEEvT1_.num_vgpr, 0
	.set _ZN7rocprim17ROCPRIM_400000_NS6detail17trampoline_kernelINS0_14default_configENS1_27scan_by_key_config_selectorIjjEEZZNS1_16scan_by_key_implILNS1_25lookback_scan_determinismE0ELb0ES3_N6thrust23THRUST_200600_302600_NS6detail15normal_iteratorINS9_10device_ptrIjEEEESE_SE_jNS9_4plusIvEENS9_8equal_toIvEEjEE10hipError_tPvRmT2_T3_T4_T5_mT6_T7_P12ihipStream_tbENKUlT_T0_E_clISt17integral_constantIbLb0EESY_IbLb1EEEEDaSU_SV_EUlSU_E_NS1_11comp_targetILNS1_3genE0ELNS1_11target_archE4294967295ELNS1_3gpuE0ELNS1_3repE0EEENS1_30default_config_static_selectorELNS0_4arch9wavefront6targetE0EEEvT1_.num_agpr, 0
	.set _ZN7rocprim17ROCPRIM_400000_NS6detail17trampoline_kernelINS0_14default_configENS1_27scan_by_key_config_selectorIjjEEZZNS1_16scan_by_key_implILNS1_25lookback_scan_determinismE0ELb0ES3_N6thrust23THRUST_200600_302600_NS6detail15normal_iteratorINS9_10device_ptrIjEEEESE_SE_jNS9_4plusIvEENS9_8equal_toIvEEjEE10hipError_tPvRmT2_T3_T4_T5_mT6_T7_P12ihipStream_tbENKUlT_T0_E_clISt17integral_constantIbLb0EESY_IbLb1EEEEDaSU_SV_EUlSU_E_NS1_11comp_targetILNS1_3genE0ELNS1_11target_archE4294967295ELNS1_3gpuE0ELNS1_3repE0EEENS1_30default_config_static_selectorELNS0_4arch9wavefront6targetE0EEEvT1_.numbered_sgpr, 0
	.set _ZN7rocprim17ROCPRIM_400000_NS6detail17trampoline_kernelINS0_14default_configENS1_27scan_by_key_config_selectorIjjEEZZNS1_16scan_by_key_implILNS1_25lookback_scan_determinismE0ELb0ES3_N6thrust23THRUST_200600_302600_NS6detail15normal_iteratorINS9_10device_ptrIjEEEESE_SE_jNS9_4plusIvEENS9_8equal_toIvEEjEE10hipError_tPvRmT2_T3_T4_T5_mT6_T7_P12ihipStream_tbENKUlT_T0_E_clISt17integral_constantIbLb0EESY_IbLb1EEEEDaSU_SV_EUlSU_E_NS1_11comp_targetILNS1_3genE0ELNS1_11target_archE4294967295ELNS1_3gpuE0ELNS1_3repE0EEENS1_30default_config_static_selectorELNS0_4arch9wavefront6targetE0EEEvT1_.num_named_barrier, 0
	.set _ZN7rocprim17ROCPRIM_400000_NS6detail17trampoline_kernelINS0_14default_configENS1_27scan_by_key_config_selectorIjjEEZZNS1_16scan_by_key_implILNS1_25lookback_scan_determinismE0ELb0ES3_N6thrust23THRUST_200600_302600_NS6detail15normal_iteratorINS9_10device_ptrIjEEEESE_SE_jNS9_4plusIvEENS9_8equal_toIvEEjEE10hipError_tPvRmT2_T3_T4_T5_mT6_T7_P12ihipStream_tbENKUlT_T0_E_clISt17integral_constantIbLb0EESY_IbLb1EEEEDaSU_SV_EUlSU_E_NS1_11comp_targetILNS1_3genE0ELNS1_11target_archE4294967295ELNS1_3gpuE0ELNS1_3repE0EEENS1_30default_config_static_selectorELNS0_4arch9wavefront6targetE0EEEvT1_.private_seg_size, 0
	.set _ZN7rocprim17ROCPRIM_400000_NS6detail17trampoline_kernelINS0_14default_configENS1_27scan_by_key_config_selectorIjjEEZZNS1_16scan_by_key_implILNS1_25lookback_scan_determinismE0ELb0ES3_N6thrust23THRUST_200600_302600_NS6detail15normal_iteratorINS9_10device_ptrIjEEEESE_SE_jNS9_4plusIvEENS9_8equal_toIvEEjEE10hipError_tPvRmT2_T3_T4_T5_mT6_T7_P12ihipStream_tbENKUlT_T0_E_clISt17integral_constantIbLb0EESY_IbLb1EEEEDaSU_SV_EUlSU_E_NS1_11comp_targetILNS1_3genE0ELNS1_11target_archE4294967295ELNS1_3gpuE0ELNS1_3repE0EEENS1_30default_config_static_selectorELNS0_4arch9wavefront6targetE0EEEvT1_.uses_vcc, 0
	.set _ZN7rocprim17ROCPRIM_400000_NS6detail17trampoline_kernelINS0_14default_configENS1_27scan_by_key_config_selectorIjjEEZZNS1_16scan_by_key_implILNS1_25lookback_scan_determinismE0ELb0ES3_N6thrust23THRUST_200600_302600_NS6detail15normal_iteratorINS9_10device_ptrIjEEEESE_SE_jNS9_4plusIvEENS9_8equal_toIvEEjEE10hipError_tPvRmT2_T3_T4_T5_mT6_T7_P12ihipStream_tbENKUlT_T0_E_clISt17integral_constantIbLb0EESY_IbLb1EEEEDaSU_SV_EUlSU_E_NS1_11comp_targetILNS1_3genE0ELNS1_11target_archE4294967295ELNS1_3gpuE0ELNS1_3repE0EEENS1_30default_config_static_selectorELNS0_4arch9wavefront6targetE0EEEvT1_.uses_flat_scratch, 0
	.set _ZN7rocprim17ROCPRIM_400000_NS6detail17trampoline_kernelINS0_14default_configENS1_27scan_by_key_config_selectorIjjEEZZNS1_16scan_by_key_implILNS1_25lookback_scan_determinismE0ELb0ES3_N6thrust23THRUST_200600_302600_NS6detail15normal_iteratorINS9_10device_ptrIjEEEESE_SE_jNS9_4plusIvEENS9_8equal_toIvEEjEE10hipError_tPvRmT2_T3_T4_T5_mT6_T7_P12ihipStream_tbENKUlT_T0_E_clISt17integral_constantIbLb0EESY_IbLb1EEEEDaSU_SV_EUlSU_E_NS1_11comp_targetILNS1_3genE0ELNS1_11target_archE4294967295ELNS1_3gpuE0ELNS1_3repE0EEENS1_30default_config_static_selectorELNS0_4arch9wavefront6targetE0EEEvT1_.has_dyn_sized_stack, 0
	.set _ZN7rocprim17ROCPRIM_400000_NS6detail17trampoline_kernelINS0_14default_configENS1_27scan_by_key_config_selectorIjjEEZZNS1_16scan_by_key_implILNS1_25lookback_scan_determinismE0ELb0ES3_N6thrust23THRUST_200600_302600_NS6detail15normal_iteratorINS9_10device_ptrIjEEEESE_SE_jNS9_4plusIvEENS9_8equal_toIvEEjEE10hipError_tPvRmT2_T3_T4_T5_mT6_T7_P12ihipStream_tbENKUlT_T0_E_clISt17integral_constantIbLb0EESY_IbLb1EEEEDaSU_SV_EUlSU_E_NS1_11comp_targetILNS1_3genE0ELNS1_11target_archE4294967295ELNS1_3gpuE0ELNS1_3repE0EEENS1_30default_config_static_selectorELNS0_4arch9wavefront6targetE0EEEvT1_.has_recursion, 0
	.set _ZN7rocprim17ROCPRIM_400000_NS6detail17trampoline_kernelINS0_14default_configENS1_27scan_by_key_config_selectorIjjEEZZNS1_16scan_by_key_implILNS1_25lookback_scan_determinismE0ELb0ES3_N6thrust23THRUST_200600_302600_NS6detail15normal_iteratorINS9_10device_ptrIjEEEESE_SE_jNS9_4plusIvEENS9_8equal_toIvEEjEE10hipError_tPvRmT2_T3_T4_T5_mT6_T7_P12ihipStream_tbENKUlT_T0_E_clISt17integral_constantIbLb0EESY_IbLb1EEEEDaSU_SV_EUlSU_E_NS1_11comp_targetILNS1_3genE0ELNS1_11target_archE4294967295ELNS1_3gpuE0ELNS1_3repE0EEENS1_30default_config_static_selectorELNS0_4arch9wavefront6targetE0EEEvT1_.has_indirect_call, 0
	.section	.AMDGPU.csdata,"",@progbits
; Kernel info:
; codeLenInByte = 0
; TotalNumSgprs: 0
; NumVgprs: 0
; ScratchSize: 0
; MemoryBound: 0
; FloatMode: 240
; IeeeMode: 1
; LDSByteSize: 0 bytes/workgroup (compile time only)
; SGPRBlocks: 0
; VGPRBlocks: 0
; NumSGPRsForWavesPerEU: 1
; NumVGPRsForWavesPerEU: 1
; Occupancy: 16
; WaveLimiterHint : 0
; COMPUTE_PGM_RSRC2:SCRATCH_EN: 0
; COMPUTE_PGM_RSRC2:USER_SGPR: 6
; COMPUTE_PGM_RSRC2:TRAP_HANDLER: 0
; COMPUTE_PGM_RSRC2:TGID_X_EN: 1
; COMPUTE_PGM_RSRC2:TGID_Y_EN: 0
; COMPUTE_PGM_RSRC2:TGID_Z_EN: 0
; COMPUTE_PGM_RSRC2:TIDIG_COMP_CNT: 0
	.section	.text._ZN7rocprim17ROCPRIM_400000_NS6detail17trampoline_kernelINS0_14default_configENS1_27scan_by_key_config_selectorIjjEEZZNS1_16scan_by_key_implILNS1_25lookback_scan_determinismE0ELb0ES3_N6thrust23THRUST_200600_302600_NS6detail15normal_iteratorINS9_10device_ptrIjEEEESE_SE_jNS9_4plusIvEENS9_8equal_toIvEEjEE10hipError_tPvRmT2_T3_T4_T5_mT6_T7_P12ihipStream_tbENKUlT_T0_E_clISt17integral_constantIbLb0EESY_IbLb1EEEEDaSU_SV_EUlSU_E_NS1_11comp_targetILNS1_3genE10ELNS1_11target_archE1201ELNS1_3gpuE5ELNS1_3repE0EEENS1_30default_config_static_selectorELNS0_4arch9wavefront6targetE0EEEvT1_,"axG",@progbits,_ZN7rocprim17ROCPRIM_400000_NS6detail17trampoline_kernelINS0_14default_configENS1_27scan_by_key_config_selectorIjjEEZZNS1_16scan_by_key_implILNS1_25lookback_scan_determinismE0ELb0ES3_N6thrust23THRUST_200600_302600_NS6detail15normal_iteratorINS9_10device_ptrIjEEEESE_SE_jNS9_4plusIvEENS9_8equal_toIvEEjEE10hipError_tPvRmT2_T3_T4_T5_mT6_T7_P12ihipStream_tbENKUlT_T0_E_clISt17integral_constantIbLb0EESY_IbLb1EEEEDaSU_SV_EUlSU_E_NS1_11comp_targetILNS1_3genE10ELNS1_11target_archE1201ELNS1_3gpuE5ELNS1_3repE0EEENS1_30default_config_static_selectorELNS0_4arch9wavefront6targetE0EEEvT1_,comdat
	.protected	_ZN7rocprim17ROCPRIM_400000_NS6detail17trampoline_kernelINS0_14default_configENS1_27scan_by_key_config_selectorIjjEEZZNS1_16scan_by_key_implILNS1_25lookback_scan_determinismE0ELb0ES3_N6thrust23THRUST_200600_302600_NS6detail15normal_iteratorINS9_10device_ptrIjEEEESE_SE_jNS9_4plusIvEENS9_8equal_toIvEEjEE10hipError_tPvRmT2_T3_T4_T5_mT6_T7_P12ihipStream_tbENKUlT_T0_E_clISt17integral_constantIbLb0EESY_IbLb1EEEEDaSU_SV_EUlSU_E_NS1_11comp_targetILNS1_3genE10ELNS1_11target_archE1201ELNS1_3gpuE5ELNS1_3repE0EEENS1_30default_config_static_selectorELNS0_4arch9wavefront6targetE0EEEvT1_ ; -- Begin function _ZN7rocprim17ROCPRIM_400000_NS6detail17trampoline_kernelINS0_14default_configENS1_27scan_by_key_config_selectorIjjEEZZNS1_16scan_by_key_implILNS1_25lookback_scan_determinismE0ELb0ES3_N6thrust23THRUST_200600_302600_NS6detail15normal_iteratorINS9_10device_ptrIjEEEESE_SE_jNS9_4plusIvEENS9_8equal_toIvEEjEE10hipError_tPvRmT2_T3_T4_T5_mT6_T7_P12ihipStream_tbENKUlT_T0_E_clISt17integral_constantIbLb0EESY_IbLb1EEEEDaSU_SV_EUlSU_E_NS1_11comp_targetILNS1_3genE10ELNS1_11target_archE1201ELNS1_3gpuE5ELNS1_3repE0EEENS1_30default_config_static_selectorELNS0_4arch9wavefront6targetE0EEEvT1_
	.globl	_ZN7rocprim17ROCPRIM_400000_NS6detail17trampoline_kernelINS0_14default_configENS1_27scan_by_key_config_selectorIjjEEZZNS1_16scan_by_key_implILNS1_25lookback_scan_determinismE0ELb0ES3_N6thrust23THRUST_200600_302600_NS6detail15normal_iteratorINS9_10device_ptrIjEEEESE_SE_jNS9_4plusIvEENS9_8equal_toIvEEjEE10hipError_tPvRmT2_T3_T4_T5_mT6_T7_P12ihipStream_tbENKUlT_T0_E_clISt17integral_constantIbLb0EESY_IbLb1EEEEDaSU_SV_EUlSU_E_NS1_11comp_targetILNS1_3genE10ELNS1_11target_archE1201ELNS1_3gpuE5ELNS1_3repE0EEENS1_30default_config_static_selectorELNS0_4arch9wavefront6targetE0EEEvT1_
	.p2align	8
	.type	_ZN7rocprim17ROCPRIM_400000_NS6detail17trampoline_kernelINS0_14default_configENS1_27scan_by_key_config_selectorIjjEEZZNS1_16scan_by_key_implILNS1_25lookback_scan_determinismE0ELb0ES3_N6thrust23THRUST_200600_302600_NS6detail15normal_iteratorINS9_10device_ptrIjEEEESE_SE_jNS9_4plusIvEENS9_8equal_toIvEEjEE10hipError_tPvRmT2_T3_T4_T5_mT6_T7_P12ihipStream_tbENKUlT_T0_E_clISt17integral_constantIbLb0EESY_IbLb1EEEEDaSU_SV_EUlSU_E_NS1_11comp_targetILNS1_3genE10ELNS1_11target_archE1201ELNS1_3gpuE5ELNS1_3repE0EEENS1_30default_config_static_selectorELNS0_4arch9wavefront6targetE0EEEvT1_,@function
_ZN7rocprim17ROCPRIM_400000_NS6detail17trampoline_kernelINS0_14default_configENS1_27scan_by_key_config_selectorIjjEEZZNS1_16scan_by_key_implILNS1_25lookback_scan_determinismE0ELb0ES3_N6thrust23THRUST_200600_302600_NS6detail15normal_iteratorINS9_10device_ptrIjEEEESE_SE_jNS9_4plusIvEENS9_8equal_toIvEEjEE10hipError_tPvRmT2_T3_T4_T5_mT6_T7_P12ihipStream_tbENKUlT_T0_E_clISt17integral_constantIbLb0EESY_IbLb1EEEEDaSU_SV_EUlSU_E_NS1_11comp_targetILNS1_3genE10ELNS1_11target_archE1201ELNS1_3gpuE5ELNS1_3repE0EEENS1_30default_config_static_selectorELNS0_4arch9wavefront6targetE0EEEvT1_: ; @_ZN7rocprim17ROCPRIM_400000_NS6detail17trampoline_kernelINS0_14default_configENS1_27scan_by_key_config_selectorIjjEEZZNS1_16scan_by_key_implILNS1_25lookback_scan_determinismE0ELb0ES3_N6thrust23THRUST_200600_302600_NS6detail15normal_iteratorINS9_10device_ptrIjEEEESE_SE_jNS9_4plusIvEENS9_8equal_toIvEEjEE10hipError_tPvRmT2_T3_T4_T5_mT6_T7_P12ihipStream_tbENKUlT_T0_E_clISt17integral_constantIbLb0EESY_IbLb1EEEEDaSU_SV_EUlSU_E_NS1_11comp_targetILNS1_3genE10ELNS1_11target_archE1201ELNS1_3gpuE5ELNS1_3repE0EEENS1_30default_config_static_selectorELNS0_4arch9wavefront6targetE0EEEvT1_
; %bb.0:
	.section	.rodata,"a",@progbits
	.p2align	6, 0x0
	.amdhsa_kernel _ZN7rocprim17ROCPRIM_400000_NS6detail17trampoline_kernelINS0_14default_configENS1_27scan_by_key_config_selectorIjjEEZZNS1_16scan_by_key_implILNS1_25lookback_scan_determinismE0ELb0ES3_N6thrust23THRUST_200600_302600_NS6detail15normal_iteratorINS9_10device_ptrIjEEEESE_SE_jNS9_4plusIvEENS9_8equal_toIvEEjEE10hipError_tPvRmT2_T3_T4_T5_mT6_T7_P12ihipStream_tbENKUlT_T0_E_clISt17integral_constantIbLb0EESY_IbLb1EEEEDaSU_SV_EUlSU_E_NS1_11comp_targetILNS1_3genE10ELNS1_11target_archE1201ELNS1_3gpuE5ELNS1_3repE0EEENS1_30default_config_static_selectorELNS0_4arch9wavefront6targetE0EEEvT1_
		.amdhsa_group_segment_fixed_size 0
		.amdhsa_private_segment_fixed_size 0
		.amdhsa_kernarg_size 112
		.amdhsa_user_sgpr_count 6
		.amdhsa_user_sgpr_private_segment_buffer 1
		.amdhsa_user_sgpr_dispatch_ptr 0
		.amdhsa_user_sgpr_queue_ptr 0
		.amdhsa_user_sgpr_kernarg_segment_ptr 1
		.amdhsa_user_sgpr_dispatch_id 0
		.amdhsa_user_sgpr_flat_scratch_init 0
		.amdhsa_user_sgpr_private_segment_size 0
		.amdhsa_wavefront_size32 1
		.amdhsa_uses_dynamic_stack 0
		.amdhsa_system_sgpr_private_segment_wavefront_offset 0
		.amdhsa_system_sgpr_workgroup_id_x 1
		.amdhsa_system_sgpr_workgroup_id_y 0
		.amdhsa_system_sgpr_workgroup_id_z 0
		.amdhsa_system_sgpr_workgroup_info 0
		.amdhsa_system_vgpr_workitem_id 0
		.amdhsa_next_free_vgpr 1
		.amdhsa_next_free_sgpr 1
		.amdhsa_reserve_vcc 0
		.amdhsa_reserve_flat_scratch 0
		.amdhsa_float_round_mode_32 0
		.amdhsa_float_round_mode_16_64 0
		.amdhsa_float_denorm_mode_32 3
		.amdhsa_float_denorm_mode_16_64 3
		.amdhsa_dx10_clamp 1
		.amdhsa_ieee_mode 1
		.amdhsa_fp16_overflow 0
		.amdhsa_workgroup_processor_mode 1
		.amdhsa_memory_ordered 1
		.amdhsa_forward_progress 1
		.amdhsa_shared_vgpr_count 0
		.amdhsa_exception_fp_ieee_invalid_op 0
		.amdhsa_exception_fp_denorm_src 0
		.amdhsa_exception_fp_ieee_div_zero 0
		.amdhsa_exception_fp_ieee_overflow 0
		.amdhsa_exception_fp_ieee_underflow 0
		.amdhsa_exception_fp_ieee_inexact 0
		.amdhsa_exception_int_div_zero 0
	.end_amdhsa_kernel
	.section	.text._ZN7rocprim17ROCPRIM_400000_NS6detail17trampoline_kernelINS0_14default_configENS1_27scan_by_key_config_selectorIjjEEZZNS1_16scan_by_key_implILNS1_25lookback_scan_determinismE0ELb0ES3_N6thrust23THRUST_200600_302600_NS6detail15normal_iteratorINS9_10device_ptrIjEEEESE_SE_jNS9_4plusIvEENS9_8equal_toIvEEjEE10hipError_tPvRmT2_T3_T4_T5_mT6_T7_P12ihipStream_tbENKUlT_T0_E_clISt17integral_constantIbLb0EESY_IbLb1EEEEDaSU_SV_EUlSU_E_NS1_11comp_targetILNS1_3genE10ELNS1_11target_archE1201ELNS1_3gpuE5ELNS1_3repE0EEENS1_30default_config_static_selectorELNS0_4arch9wavefront6targetE0EEEvT1_,"axG",@progbits,_ZN7rocprim17ROCPRIM_400000_NS6detail17trampoline_kernelINS0_14default_configENS1_27scan_by_key_config_selectorIjjEEZZNS1_16scan_by_key_implILNS1_25lookback_scan_determinismE0ELb0ES3_N6thrust23THRUST_200600_302600_NS6detail15normal_iteratorINS9_10device_ptrIjEEEESE_SE_jNS9_4plusIvEENS9_8equal_toIvEEjEE10hipError_tPvRmT2_T3_T4_T5_mT6_T7_P12ihipStream_tbENKUlT_T0_E_clISt17integral_constantIbLb0EESY_IbLb1EEEEDaSU_SV_EUlSU_E_NS1_11comp_targetILNS1_3genE10ELNS1_11target_archE1201ELNS1_3gpuE5ELNS1_3repE0EEENS1_30default_config_static_selectorELNS0_4arch9wavefront6targetE0EEEvT1_,comdat
.Lfunc_end1857:
	.size	_ZN7rocprim17ROCPRIM_400000_NS6detail17trampoline_kernelINS0_14default_configENS1_27scan_by_key_config_selectorIjjEEZZNS1_16scan_by_key_implILNS1_25lookback_scan_determinismE0ELb0ES3_N6thrust23THRUST_200600_302600_NS6detail15normal_iteratorINS9_10device_ptrIjEEEESE_SE_jNS9_4plusIvEENS9_8equal_toIvEEjEE10hipError_tPvRmT2_T3_T4_T5_mT6_T7_P12ihipStream_tbENKUlT_T0_E_clISt17integral_constantIbLb0EESY_IbLb1EEEEDaSU_SV_EUlSU_E_NS1_11comp_targetILNS1_3genE10ELNS1_11target_archE1201ELNS1_3gpuE5ELNS1_3repE0EEENS1_30default_config_static_selectorELNS0_4arch9wavefront6targetE0EEEvT1_, .Lfunc_end1857-_ZN7rocprim17ROCPRIM_400000_NS6detail17trampoline_kernelINS0_14default_configENS1_27scan_by_key_config_selectorIjjEEZZNS1_16scan_by_key_implILNS1_25lookback_scan_determinismE0ELb0ES3_N6thrust23THRUST_200600_302600_NS6detail15normal_iteratorINS9_10device_ptrIjEEEESE_SE_jNS9_4plusIvEENS9_8equal_toIvEEjEE10hipError_tPvRmT2_T3_T4_T5_mT6_T7_P12ihipStream_tbENKUlT_T0_E_clISt17integral_constantIbLb0EESY_IbLb1EEEEDaSU_SV_EUlSU_E_NS1_11comp_targetILNS1_3genE10ELNS1_11target_archE1201ELNS1_3gpuE5ELNS1_3repE0EEENS1_30default_config_static_selectorELNS0_4arch9wavefront6targetE0EEEvT1_
                                        ; -- End function
	.set _ZN7rocprim17ROCPRIM_400000_NS6detail17trampoline_kernelINS0_14default_configENS1_27scan_by_key_config_selectorIjjEEZZNS1_16scan_by_key_implILNS1_25lookback_scan_determinismE0ELb0ES3_N6thrust23THRUST_200600_302600_NS6detail15normal_iteratorINS9_10device_ptrIjEEEESE_SE_jNS9_4plusIvEENS9_8equal_toIvEEjEE10hipError_tPvRmT2_T3_T4_T5_mT6_T7_P12ihipStream_tbENKUlT_T0_E_clISt17integral_constantIbLb0EESY_IbLb1EEEEDaSU_SV_EUlSU_E_NS1_11comp_targetILNS1_3genE10ELNS1_11target_archE1201ELNS1_3gpuE5ELNS1_3repE0EEENS1_30default_config_static_selectorELNS0_4arch9wavefront6targetE0EEEvT1_.num_vgpr, 0
	.set _ZN7rocprim17ROCPRIM_400000_NS6detail17trampoline_kernelINS0_14default_configENS1_27scan_by_key_config_selectorIjjEEZZNS1_16scan_by_key_implILNS1_25lookback_scan_determinismE0ELb0ES3_N6thrust23THRUST_200600_302600_NS6detail15normal_iteratorINS9_10device_ptrIjEEEESE_SE_jNS9_4plusIvEENS9_8equal_toIvEEjEE10hipError_tPvRmT2_T3_T4_T5_mT6_T7_P12ihipStream_tbENKUlT_T0_E_clISt17integral_constantIbLb0EESY_IbLb1EEEEDaSU_SV_EUlSU_E_NS1_11comp_targetILNS1_3genE10ELNS1_11target_archE1201ELNS1_3gpuE5ELNS1_3repE0EEENS1_30default_config_static_selectorELNS0_4arch9wavefront6targetE0EEEvT1_.num_agpr, 0
	.set _ZN7rocprim17ROCPRIM_400000_NS6detail17trampoline_kernelINS0_14default_configENS1_27scan_by_key_config_selectorIjjEEZZNS1_16scan_by_key_implILNS1_25lookback_scan_determinismE0ELb0ES3_N6thrust23THRUST_200600_302600_NS6detail15normal_iteratorINS9_10device_ptrIjEEEESE_SE_jNS9_4plusIvEENS9_8equal_toIvEEjEE10hipError_tPvRmT2_T3_T4_T5_mT6_T7_P12ihipStream_tbENKUlT_T0_E_clISt17integral_constantIbLb0EESY_IbLb1EEEEDaSU_SV_EUlSU_E_NS1_11comp_targetILNS1_3genE10ELNS1_11target_archE1201ELNS1_3gpuE5ELNS1_3repE0EEENS1_30default_config_static_selectorELNS0_4arch9wavefront6targetE0EEEvT1_.numbered_sgpr, 0
	.set _ZN7rocprim17ROCPRIM_400000_NS6detail17trampoline_kernelINS0_14default_configENS1_27scan_by_key_config_selectorIjjEEZZNS1_16scan_by_key_implILNS1_25lookback_scan_determinismE0ELb0ES3_N6thrust23THRUST_200600_302600_NS6detail15normal_iteratorINS9_10device_ptrIjEEEESE_SE_jNS9_4plusIvEENS9_8equal_toIvEEjEE10hipError_tPvRmT2_T3_T4_T5_mT6_T7_P12ihipStream_tbENKUlT_T0_E_clISt17integral_constantIbLb0EESY_IbLb1EEEEDaSU_SV_EUlSU_E_NS1_11comp_targetILNS1_3genE10ELNS1_11target_archE1201ELNS1_3gpuE5ELNS1_3repE0EEENS1_30default_config_static_selectorELNS0_4arch9wavefront6targetE0EEEvT1_.num_named_barrier, 0
	.set _ZN7rocprim17ROCPRIM_400000_NS6detail17trampoline_kernelINS0_14default_configENS1_27scan_by_key_config_selectorIjjEEZZNS1_16scan_by_key_implILNS1_25lookback_scan_determinismE0ELb0ES3_N6thrust23THRUST_200600_302600_NS6detail15normal_iteratorINS9_10device_ptrIjEEEESE_SE_jNS9_4plusIvEENS9_8equal_toIvEEjEE10hipError_tPvRmT2_T3_T4_T5_mT6_T7_P12ihipStream_tbENKUlT_T0_E_clISt17integral_constantIbLb0EESY_IbLb1EEEEDaSU_SV_EUlSU_E_NS1_11comp_targetILNS1_3genE10ELNS1_11target_archE1201ELNS1_3gpuE5ELNS1_3repE0EEENS1_30default_config_static_selectorELNS0_4arch9wavefront6targetE0EEEvT1_.private_seg_size, 0
	.set _ZN7rocprim17ROCPRIM_400000_NS6detail17trampoline_kernelINS0_14default_configENS1_27scan_by_key_config_selectorIjjEEZZNS1_16scan_by_key_implILNS1_25lookback_scan_determinismE0ELb0ES3_N6thrust23THRUST_200600_302600_NS6detail15normal_iteratorINS9_10device_ptrIjEEEESE_SE_jNS9_4plusIvEENS9_8equal_toIvEEjEE10hipError_tPvRmT2_T3_T4_T5_mT6_T7_P12ihipStream_tbENKUlT_T0_E_clISt17integral_constantIbLb0EESY_IbLb1EEEEDaSU_SV_EUlSU_E_NS1_11comp_targetILNS1_3genE10ELNS1_11target_archE1201ELNS1_3gpuE5ELNS1_3repE0EEENS1_30default_config_static_selectorELNS0_4arch9wavefront6targetE0EEEvT1_.uses_vcc, 0
	.set _ZN7rocprim17ROCPRIM_400000_NS6detail17trampoline_kernelINS0_14default_configENS1_27scan_by_key_config_selectorIjjEEZZNS1_16scan_by_key_implILNS1_25lookback_scan_determinismE0ELb0ES3_N6thrust23THRUST_200600_302600_NS6detail15normal_iteratorINS9_10device_ptrIjEEEESE_SE_jNS9_4plusIvEENS9_8equal_toIvEEjEE10hipError_tPvRmT2_T3_T4_T5_mT6_T7_P12ihipStream_tbENKUlT_T0_E_clISt17integral_constantIbLb0EESY_IbLb1EEEEDaSU_SV_EUlSU_E_NS1_11comp_targetILNS1_3genE10ELNS1_11target_archE1201ELNS1_3gpuE5ELNS1_3repE0EEENS1_30default_config_static_selectorELNS0_4arch9wavefront6targetE0EEEvT1_.uses_flat_scratch, 0
	.set _ZN7rocprim17ROCPRIM_400000_NS6detail17trampoline_kernelINS0_14default_configENS1_27scan_by_key_config_selectorIjjEEZZNS1_16scan_by_key_implILNS1_25lookback_scan_determinismE0ELb0ES3_N6thrust23THRUST_200600_302600_NS6detail15normal_iteratorINS9_10device_ptrIjEEEESE_SE_jNS9_4plusIvEENS9_8equal_toIvEEjEE10hipError_tPvRmT2_T3_T4_T5_mT6_T7_P12ihipStream_tbENKUlT_T0_E_clISt17integral_constantIbLb0EESY_IbLb1EEEEDaSU_SV_EUlSU_E_NS1_11comp_targetILNS1_3genE10ELNS1_11target_archE1201ELNS1_3gpuE5ELNS1_3repE0EEENS1_30default_config_static_selectorELNS0_4arch9wavefront6targetE0EEEvT1_.has_dyn_sized_stack, 0
	.set _ZN7rocprim17ROCPRIM_400000_NS6detail17trampoline_kernelINS0_14default_configENS1_27scan_by_key_config_selectorIjjEEZZNS1_16scan_by_key_implILNS1_25lookback_scan_determinismE0ELb0ES3_N6thrust23THRUST_200600_302600_NS6detail15normal_iteratorINS9_10device_ptrIjEEEESE_SE_jNS9_4plusIvEENS9_8equal_toIvEEjEE10hipError_tPvRmT2_T3_T4_T5_mT6_T7_P12ihipStream_tbENKUlT_T0_E_clISt17integral_constantIbLb0EESY_IbLb1EEEEDaSU_SV_EUlSU_E_NS1_11comp_targetILNS1_3genE10ELNS1_11target_archE1201ELNS1_3gpuE5ELNS1_3repE0EEENS1_30default_config_static_selectorELNS0_4arch9wavefront6targetE0EEEvT1_.has_recursion, 0
	.set _ZN7rocprim17ROCPRIM_400000_NS6detail17trampoline_kernelINS0_14default_configENS1_27scan_by_key_config_selectorIjjEEZZNS1_16scan_by_key_implILNS1_25lookback_scan_determinismE0ELb0ES3_N6thrust23THRUST_200600_302600_NS6detail15normal_iteratorINS9_10device_ptrIjEEEESE_SE_jNS9_4plusIvEENS9_8equal_toIvEEjEE10hipError_tPvRmT2_T3_T4_T5_mT6_T7_P12ihipStream_tbENKUlT_T0_E_clISt17integral_constantIbLb0EESY_IbLb1EEEEDaSU_SV_EUlSU_E_NS1_11comp_targetILNS1_3genE10ELNS1_11target_archE1201ELNS1_3gpuE5ELNS1_3repE0EEENS1_30default_config_static_selectorELNS0_4arch9wavefront6targetE0EEEvT1_.has_indirect_call, 0
	.section	.AMDGPU.csdata,"",@progbits
; Kernel info:
; codeLenInByte = 0
; TotalNumSgprs: 0
; NumVgprs: 0
; ScratchSize: 0
; MemoryBound: 0
; FloatMode: 240
; IeeeMode: 1
; LDSByteSize: 0 bytes/workgroup (compile time only)
; SGPRBlocks: 0
; VGPRBlocks: 0
; NumSGPRsForWavesPerEU: 1
; NumVGPRsForWavesPerEU: 1
; Occupancy: 16
; WaveLimiterHint : 0
; COMPUTE_PGM_RSRC2:SCRATCH_EN: 0
; COMPUTE_PGM_RSRC2:USER_SGPR: 6
; COMPUTE_PGM_RSRC2:TRAP_HANDLER: 0
; COMPUTE_PGM_RSRC2:TGID_X_EN: 1
; COMPUTE_PGM_RSRC2:TGID_Y_EN: 0
; COMPUTE_PGM_RSRC2:TGID_Z_EN: 0
; COMPUTE_PGM_RSRC2:TIDIG_COMP_CNT: 0
	.section	.text._ZN7rocprim17ROCPRIM_400000_NS6detail17trampoline_kernelINS0_14default_configENS1_27scan_by_key_config_selectorIjjEEZZNS1_16scan_by_key_implILNS1_25lookback_scan_determinismE0ELb0ES3_N6thrust23THRUST_200600_302600_NS6detail15normal_iteratorINS9_10device_ptrIjEEEESE_SE_jNS9_4plusIvEENS9_8equal_toIvEEjEE10hipError_tPvRmT2_T3_T4_T5_mT6_T7_P12ihipStream_tbENKUlT_T0_E_clISt17integral_constantIbLb0EESY_IbLb1EEEEDaSU_SV_EUlSU_E_NS1_11comp_targetILNS1_3genE5ELNS1_11target_archE942ELNS1_3gpuE9ELNS1_3repE0EEENS1_30default_config_static_selectorELNS0_4arch9wavefront6targetE0EEEvT1_,"axG",@progbits,_ZN7rocprim17ROCPRIM_400000_NS6detail17trampoline_kernelINS0_14default_configENS1_27scan_by_key_config_selectorIjjEEZZNS1_16scan_by_key_implILNS1_25lookback_scan_determinismE0ELb0ES3_N6thrust23THRUST_200600_302600_NS6detail15normal_iteratorINS9_10device_ptrIjEEEESE_SE_jNS9_4plusIvEENS9_8equal_toIvEEjEE10hipError_tPvRmT2_T3_T4_T5_mT6_T7_P12ihipStream_tbENKUlT_T0_E_clISt17integral_constantIbLb0EESY_IbLb1EEEEDaSU_SV_EUlSU_E_NS1_11comp_targetILNS1_3genE5ELNS1_11target_archE942ELNS1_3gpuE9ELNS1_3repE0EEENS1_30default_config_static_selectorELNS0_4arch9wavefront6targetE0EEEvT1_,comdat
	.protected	_ZN7rocprim17ROCPRIM_400000_NS6detail17trampoline_kernelINS0_14default_configENS1_27scan_by_key_config_selectorIjjEEZZNS1_16scan_by_key_implILNS1_25lookback_scan_determinismE0ELb0ES3_N6thrust23THRUST_200600_302600_NS6detail15normal_iteratorINS9_10device_ptrIjEEEESE_SE_jNS9_4plusIvEENS9_8equal_toIvEEjEE10hipError_tPvRmT2_T3_T4_T5_mT6_T7_P12ihipStream_tbENKUlT_T0_E_clISt17integral_constantIbLb0EESY_IbLb1EEEEDaSU_SV_EUlSU_E_NS1_11comp_targetILNS1_3genE5ELNS1_11target_archE942ELNS1_3gpuE9ELNS1_3repE0EEENS1_30default_config_static_selectorELNS0_4arch9wavefront6targetE0EEEvT1_ ; -- Begin function _ZN7rocprim17ROCPRIM_400000_NS6detail17trampoline_kernelINS0_14default_configENS1_27scan_by_key_config_selectorIjjEEZZNS1_16scan_by_key_implILNS1_25lookback_scan_determinismE0ELb0ES3_N6thrust23THRUST_200600_302600_NS6detail15normal_iteratorINS9_10device_ptrIjEEEESE_SE_jNS9_4plusIvEENS9_8equal_toIvEEjEE10hipError_tPvRmT2_T3_T4_T5_mT6_T7_P12ihipStream_tbENKUlT_T0_E_clISt17integral_constantIbLb0EESY_IbLb1EEEEDaSU_SV_EUlSU_E_NS1_11comp_targetILNS1_3genE5ELNS1_11target_archE942ELNS1_3gpuE9ELNS1_3repE0EEENS1_30default_config_static_selectorELNS0_4arch9wavefront6targetE0EEEvT1_
	.globl	_ZN7rocprim17ROCPRIM_400000_NS6detail17trampoline_kernelINS0_14default_configENS1_27scan_by_key_config_selectorIjjEEZZNS1_16scan_by_key_implILNS1_25lookback_scan_determinismE0ELb0ES3_N6thrust23THRUST_200600_302600_NS6detail15normal_iteratorINS9_10device_ptrIjEEEESE_SE_jNS9_4plusIvEENS9_8equal_toIvEEjEE10hipError_tPvRmT2_T3_T4_T5_mT6_T7_P12ihipStream_tbENKUlT_T0_E_clISt17integral_constantIbLb0EESY_IbLb1EEEEDaSU_SV_EUlSU_E_NS1_11comp_targetILNS1_3genE5ELNS1_11target_archE942ELNS1_3gpuE9ELNS1_3repE0EEENS1_30default_config_static_selectorELNS0_4arch9wavefront6targetE0EEEvT1_
	.p2align	8
	.type	_ZN7rocprim17ROCPRIM_400000_NS6detail17trampoline_kernelINS0_14default_configENS1_27scan_by_key_config_selectorIjjEEZZNS1_16scan_by_key_implILNS1_25lookback_scan_determinismE0ELb0ES3_N6thrust23THRUST_200600_302600_NS6detail15normal_iteratorINS9_10device_ptrIjEEEESE_SE_jNS9_4plusIvEENS9_8equal_toIvEEjEE10hipError_tPvRmT2_T3_T4_T5_mT6_T7_P12ihipStream_tbENKUlT_T0_E_clISt17integral_constantIbLb0EESY_IbLb1EEEEDaSU_SV_EUlSU_E_NS1_11comp_targetILNS1_3genE5ELNS1_11target_archE942ELNS1_3gpuE9ELNS1_3repE0EEENS1_30default_config_static_selectorELNS0_4arch9wavefront6targetE0EEEvT1_,@function
_ZN7rocprim17ROCPRIM_400000_NS6detail17trampoline_kernelINS0_14default_configENS1_27scan_by_key_config_selectorIjjEEZZNS1_16scan_by_key_implILNS1_25lookback_scan_determinismE0ELb0ES3_N6thrust23THRUST_200600_302600_NS6detail15normal_iteratorINS9_10device_ptrIjEEEESE_SE_jNS9_4plusIvEENS9_8equal_toIvEEjEE10hipError_tPvRmT2_T3_T4_T5_mT6_T7_P12ihipStream_tbENKUlT_T0_E_clISt17integral_constantIbLb0EESY_IbLb1EEEEDaSU_SV_EUlSU_E_NS1_11comp_targetILNS1_3genE5ELNS1_11target_archE942ELNS1_3gpuE9ELNS1_3repE0EEENS1_30default_config_static_selectorELNS0_4arch9wavefront6targetE0EEEvT1_: ; @_ZN7rocprim17ROCPRIM_400000_NS6detail17trampoline_kernelINS0_14default_configENS1_27scan_by_key_config_selectorIjjEEZZNS1_16scan_by_key_implILNS1_25lookback_scan_determinismE0ELb0ES3_N6thrust23THRUST_200600_302600_NS6detail15normal_iteratorINS9_10device_ptrIjEEEESE_SE_jNS9_4plusIvEENS9_8equal_toIvEEjEE10hipError_tPvRmT2_T3_T4_T5_mT6_T7_P12ihipStream_tbENKUlT_T0_E_clISt17integral_constantIbLb0EESY_IbLb1EEEEDaSU_SV_EUlSU_E_NS1_11comp_targetILNS1_3genE5ELNS1_11target_archE942ELNS1_3gpuE9ELNS1_3repE0EEENS1_30default_config_static_selectorELNS0_4arch9wavefront6targetE0EEEvT1_
; %bb.0:
	.section	.rodata,"a",@progbits
	.p2align	6, 0x0
	.amdhsa_kernel _ZN7rocprim17ROCPRIM_400000_NS6detail17trampoline_kernelINS0_14default_configENS1_27scan_by_key_config_selectorIjjEEZZNS1_16scan_by_key_implILNS1_25lookback_scan_determinismE0ELb0ES3_N6thrust23THRUST_200600_302600_NS6detail15normal_iteratorINS9_10device_ptrIjEEEESE_SE_jNS9_4plusIvEENS9_8equal_toIvEEjEE10hipError_tPvRmT2_T3_T4_T5_mT6_T7_P12ihipStream_tbENKUlT_T0_E_clISt17integral_constantIbLb0EESY_IbLb1EEEEDaSU_SV_EUlSU_E_NS1_11comp_targetILNS1_3genE5ELNS1_11target_archE942ELNS1_3gpuE9ELNS1_3repE0EEENS1_30default_config_static_selectorELNS0_4arch9wavefront6targetE0EEEvT1_
		.amdhsa_group_segment_fixed_size 0
		.amdhsa_private_segment_fixed_size 0
		.amdhsa_kernarg_size 112
		.amdhsa_user_sgpr_count 6
		.amdhsa_user_sgpr_private_segment_buffer 1
		.amdhsa_user_sgpr_dispatch_ptr 0
		.amdhsa_user_sgpr_queue_ptr 0
		.amdhsa_user_sgpr_kernarg_segment_ptr 1
		.amdhsa_user_sgpr_dispatch_id 0
		.amdhsa_user_sgpr_flat_scratch_init 0
		.amdhsa_user_sgpr_private_segment_size 0
		.amdhsa_wavefront_size32 1
		.amdhsa_uses_dynamic_stack 0
		.amdhsa_system_sgpr_private_segment_wavefront_offset 0
		.amdhsa_system_sgpr_workgroup_id_x 1
		.amdhsa_system_sgpr_workgroup_id_y 0
		.amdhsa_system_sgpr_workgroup_id_z 0
		.amdhsa_system_sgpr_workgroup_info 0
		.amdhsa_system_vgpr_workitem_id 0
		.amdhsa_next_free_vgpr 1
		.amdhsa_next_free_sgpr 1
		.amdhsa_reserve_vcc 0
		.amdhsa_reserve_flat_scratch 0
		.amdhsa_float_round_mode_32 0
		.amdhsa_float_round_mode_16_64 0
		.amdhsa_float_denorm_mode_32 3
		.amdhsa_float_denorm_mode_16_64 3
		.amdhsa_dx10_clamp 1
		.amdhsa_ieee_mode 1
		.amdhsa_fp16_overflow 0
		.amdhsa_workgroup_processor_mode 1
		.amdhsa_memory_ordered 1
		.amdhsa_forward_progress 1
		.amdhsa_shared_vgpr_count 0
		.amdhsa_exception_fp_ieee_invalid_op 0
		.amdhsa_exception_fp_denorm_src 0
		.amdhsa_exception_fp_ieee_div_zero 0
		.amdhsa_exception_fp_ieee_overflow 0
		.amdhsa_exception_fp_ieee_underflow 0
		.amdhsa_exception_fp_ieee_inexact 0
		.amdhsa_exception_int_div_zero 0
	.end_amdhsa_kernel
	.section	.text._ZN7rocprim17ROCPRIM_400000_NS6detail17trampoline_kernelINS0_14default_configENS1_27scan_by_key_config_selectorIjjEEZZNS1_16scan_by_key_implILNS1_25lookback_scan_determinismE0ELb0ES3_N6thrust23THRUST_200600_302600_NS6detail15normal_iteratorINS9_10device_ptrIjEEEESE_SE_jNS9_4plusIvEENS9_8equal_toIvEEjEE10hipError_tPvRmT2_T3_T4_T5_mT6_T7_P12ihipStream_tbENKUlT_T0_E_clISt17integral_constantIbLb0EESY_IbLb1EEEEDaSU_SV_EUlSU_E_NS1_11comp_targetILNS1_3genE5ELNS1_11target_archE942ELNS1_3gpuE9ELNS1_3repE0EEENS1_30default_config_static_selectorELNS0_4arch9wavefront6targetE0EEEvT1_,"axG",@progbits,_ZN7rocprim17ROCPRIM_400000_NS6detail17trampoline_kernelINS0_14default_configENS1_27scan_by_key_config_selectorIjjEEZZNS1_16scan_by_key_implILNS1_25lookback_scan_determinismE0ELb0ES3_N6thrust23THRUST_200600_302600_NS6detail15normal_iteratorINS9_10device_ptrIjEEEESE_SE_jNS9_4plusIvEENS9_8equal_toIvEEjEE10hipError_tPvRmT2_T3_T4_T5_mT6_T7_P12ihipStream_tbENKUlT_T0_E_clISt17integral_constantIbLb0EESY_IbLb1EEEEDaSU_SV_EUlSU_E_NS1_11comp_targetILNS1_3genE5ELNS1_11target_archE942ELNS1_3gpuE9ELNS1_3repE0EEENS1_30default_config_static_selectorELNS0_4arch9wavefront6targetE0EEEvT1_,comdat
.Lfunc_end1858:
	.size	_ZN7rocprim17ROCPRIM_400000_NS6detail17trampoline_kernelINS0_14default_configENS1_27scan_by_key_config_selectorIjjEEZZNS1_16scan_by_key_implILNS1_25lookback_scan_determinismE0ELb0ES3_N6thrust23THRUST_200600_302600_NS6detail15normal_iteratorINS9_10device_ptrIjEEEESE_SE_jNS9_4plusIvEENS9_8equal_toIvEEjEE10hipError_tPvRmT2_T3_T4_T5_mT6_T7_P12ihipStream_tbENKUlT_T0_E_clISt17integral_constantIbLb0EESY_IbLb1EEEEDaSU_SV_EUlSU_E_NS1_11comp_targetILNS1_3genE5ELNS1_11target_archE942ELNS1_3gpuE9ELNS1_3repE0EEENS1_30default_config_static_selectorELNS0_4arch9wavefront6targetE0EEEvT1_, .Lfunc_end1858-_ZN7rocprim17ROCPRIM_400000_NS6detail17trampoline_kernelINS0_14default_configENS1_27scan_by_key_config_selectorIjjEEZZNS1_16scan_by_key_implILNS1_25lookback_scan_determinismE0ELb0ES3_N6thrust23THRUST_200600_302600_NS6detail15normal_iteratorINS9_10device_ptrIjEEEESE_SE_jNS9_4plusIvEENS9_8equal_toIvEEjEE10hipError_tPvRmT2_T3_T4_T5_mT6_T7_P12ihipStream_tbENKUlT_T0_E_clISt17integral_constantIbLb0EESY_IbLb1EEEEDaSU_SV_EUlSU_E_NS1_11comp_targetILNS1_3genE5ELNS1_11target_archE942ELNS1_3gpuE9ELNS1_3repE0EEENS1_30default_config_static_selectorELNS0_4arch9wavefront6targetE0EEEvT1_
                                        ; -- End function
	.set _ZN7rocprim17ROCPRIM_400000_NS6detail17trampoline_kernelINS0_14default_configENS1_27scan_by_key_config_selectorIjjEEZZNS1_16scan_by_key_implILNS1_25lookback_scan_determinismE0ELb0ES3_N6thrust23THRUST_200600_302600_NS6detail15normal_iteratorINS9_10device_ptrIjEEEESE_SE_jNS9_4plusIvEENS9_8equal_toIvEEjEE10hipError_tPvRmT2_T3_T4_T5_mT6_T7_P12ihipStream_tbENKUlT_T0_E_clISt17integral_constantIbLb0EESY_IbLb1EEEEDaSU_SV_EUlSU_E_NS1_11comp_targetILNS1_3genE5ELNS1_11target_archE942ELNS1_3gpuE9ELNS1_3repE0EEENS1_30default_config_static_selectorELNS0_4arch9wavefront6targetE0EEEvT1_.num_vgpr, 0
	.set _ZN7rocprim17ROCPRIM_400000_NS6detail17trampoline_kernelINS0_14default_configENS1_27scan_by_key_config_selectorIjjEEZZNS1_16scan_by_key_implILNS1_25lookback_scan_determinismE0ELb0ES3_N6thrust23THRUST_200600_302600_NS6detail15normal_iteratorINS9_10device_ptrIjEEEESE_SE_jNS9_4plusIvEENS9_8equal_toIvEEjEE10hipError_tPvRmT2_T3_T4_T5_mT6_T7_P12ihipStream_tbENKUlT_T0_E_clISt17integral_constantIbLb0EESY_IbLb1EEEEDaSU_SV_EUlSU_E_NS1_11comp_targetILNS1_3genE5ELNS1_11target_archE942ELNS1_3gpuE9ELNS1_3repE0EEENS1_30default_config_static_selectorELNS0_4arch9wavefront6targetE0EEEvT1_.num_agpr, 0
	.set _ZN7rocprim17ROCPRIM_400000_NS6detail17trampoline_kernelINS0_14default_configENS1_27scan_by_key_config_selectorIjjEEZZNS1_16scan_by_key_implILNS1_25lookback_scan_determinismE0ELb0ES3_N6thrust23THRUST_200600_302600_NS6detail15normal_iteratorINS9_10device_ptrIjEEEESE_SE_jNS9_4plusIvEENS9_8equal_toIvEEjEE10hipError_tPvRmT2_T3_T4_T5_mT6_T7_P12ihipStream_tbENKUlT_T0_E_clISt17integral_constantIbLb0EESY_IbLb1EEEEDaSU_SV_EUlSU_E_NS1_11comp_targetILNS1_3genE5ELNS1_11target_archE942ELNS1_3gpuE9ELNS1_3repE0EEENS1_30default_config_static_selectorELNS0_4arch9wavefront6targetE0EEEvT1_.numbered_sgpr, 0
	.set _ZN7rocprim17ROCPRIM_400000_NS6detail17trampoline_kernelINS0_14default_configENS1_27scan_by_key_config_selectorIjjEEZZNS1_16scan_by_key_implILNS1_25lookback_scan_determinismE0ELb0ES3_N6thrust23THRUST_200600_302600_NS6detail15normal_iteratorINS9_10device_ptrIjEEEESE_SE_jNS9_4plusIvEENS9_8equal_toIvEEjEE10hipError_tPvRmT2_T3_T4_T5_mT6_T7_P12ihipStream_tbENKUlT_T0_E_clISt17integral_constantIbLb0EESY_IbLb1EEEEDaSU_SV_EUlSU_E_NS1_11comp_targetILNS1_3genE5ELNS1_11target_archE942ELNS1_3gpuE9ELNS1_3repE0EEENS1_30default_config_static_selectorELNS0_4arch9wavefront6targetE0EEEvT1_.num_named_barrier, 0
	.set _ZN7rocprim17ROCPRIM_400000_NS6detail17trampoline_kernelINS0_14default_configENS1_27scan_by_key_config_selectorIjjEEZZNS1_16scan_by_key_implILNS1_25lookback_scan_determinismE0ELb0ES3_N6thrust23THRUST_200600_302600_NS6detail15normal_iteratorINS9_10device_ptrIjEEEESE_SE_jNS9_4plusIvEENS9_8equal_toIvEEjEE10hipError_tPvRmT2_T3_T4_T5_mT6_T7_P12ihipStream_tbENKUlT_T0_E_clISt17integral_constantIbLb0EESY_IbLb1EEEEDaSU_SV_EUlSU_E_NS1_11comp_targetILNS1_3genE5ELNS1_11target_archE942ELNS1_3gpuE9ELNS1_3repE0EEENS1_30default_config_static_selectorELNS0_4arch9wavefront6targetE0EEEvT1_.private_seg_size, 0
	.set _ZN7rocprim17ROCPRIM_400000_NS6detail17trampoline_kernelINS0_14default_configENS1_27scan_by_key_config_selectorIjjEEZZNS1_16scan_by_key_implILNS1_25lookback_scan_determinismE0ELb0ES3_N6thrust23THRUST_200600_302600_NS6detail15normal_iteratorINS9_10device_ptrIjEEEESE_SE_jNS9_4plusIvEENS9_8equal_toIvEEjEE10hipError_tPvRmT2_T3_T4_T5_mT6_T7_P12ihipStream_tbENKUlT_T0_E_clISt17integral_constantIbLb0EESY_IbLb1EEEEDaSU_SV_EUlSU_E_NS1_11comp_targetILNS1_3genE5ELNS1_11target_archE942ELNS1_3gpuE9ELNS1_3repE0EEENS1_30default_config_static_selectorELNS0_4arch9wavefront6targetE0EEEvT1_.uses_vcc, 0
	.set _ZN7rocprim17ROCPRIM_400000_NS6detail17trampoline_kernelINS0_14default_configENS1_27scan_by_key_config_selectorIjjEEZZNS1_16scan_by_key_implILNS1_25lookback_scan_determinismE0ELb0ES3_N6thrust23THRUST_200600_302600_NS6detail15normal_iteratorINS9_10device_ptrIjEEEESE_SE_jNS9_4plusIvEENS9_8equal_toIvEEjEE10hipError_tPvRmT2_T3_T4_T5_mT6_T7_P12ihipStream_tbENKUlT_T0_E_clISt17integral_constantIbLb0EESY_IbLb1EEEEDaSU_SV_EUlSU_E_NS1_11comp_targetILNS1_3genE5ELNS1_11target_archE942ELNS1_3gpuE9ELNS1_3repE0EEENS1_30default_config_static_selectorELNS0_4arch9wavefront6targetE0EEEvT1_.uses_flat_scratch, 0
	.set _ZN7rocprim17ROCPRIM_400000_NS6detail17trampoline_kernelINS0_14default_configENS1_27scan_by_key_config_selectorIjjEEZZNS1_16scan_by_key_implILNS1_25lookback_scan_determinismE0ELb0ES3_N6thrust23THRUST_200600_302600_NS6detail15normal_iteratorINS9_10device_ptrIjEEEESE_SE_jNS9_4plusIvEENS9_8equal_toIvEEjEE10hipError_tPvRmT2_T3_T4_T5_mT6_T7_P12ihipStream_tbENKUlT_T0_E_clISt17integral_constantIbLb0EESY_IbLb1EEEEDaSU_SV_EUlSU_E_NS1_11comp_targetILNS1_3genE5ELNS1_11target_archE942ELNS1_3gpuE9ELNS1_3repE0EEENS1_30default_config_static_selectorELNS0_4arch9wavefront6targetE0EEEvT1_.has_dyn_sized_stack, 0
	.set _ZN7rocprim17ROCPRIM_400000_NS6detail17trampoline_kernelINS0_14default_configENS1_27scan_by_key_config_selectorIjjEEZZNS1_16scan_by_key_implILNS1_25lookback_scan_determinismE0ELb0ES3_N6thrust23THRUST_200600_302600_NS6detail15normal_iteratorINS9_10device_ptrIjEEEESE_SE_jNS9_4plusIvEENS9_8equal_toIvEEjEE10hipError_tPvRmT2_T3_T4_T5_mT6_T7_P12ihipStream_tbENKUlT_T0_E_clISt17integral_constantIbLb0EESY_IbLb1EEEEDaSU_SV_EUlSU_E_NS1_11comp_targetILNS1_3genE5ELNS1_11target_archE942ELNS1_3gpuE9ELNS1_3repE0EEENS1_30default_config_static_selectorELNS0_4arch9wavefront6targetE0EEEvT1_.has_recursion, 0
	.set _ZN7rocprim17ROCPRIM_400000_NS6detail17trampoline_kernelINS0_14default_configENS1_27scan_by_key_config_selectorIjjEEZZNS1_16scan_by_key_implILNS1_25lookback_scan_determinismE0ELb0ES3_N6thrust23THRUST_200600_302600_NS6detail15normal_iteratorINS9_10device_ptrIjEEEESE_SE_jNS9_4plusIvEENS9_8equal_toIvEEjEE10hipError_tPvRmT2_T3_T4_T5_mT6_T7_P12ihipStream_tbENKUlT_T0_E_clISt17integral_constantIbLb0EESY_IbLb1EEEEDaSU_SV_EUlSU_E_NS1_11comp_targetILNS1_3genE5ELNS1_11target_archE942ELNS1_3gpuE9ELNS1_3repE0EEENS1_30default_config_static_selectorELNS0_4arch9wavefront6targetE0EEEvT1_.has_indirect_call, 0
	.section	.AMDGPU.csdata,"",@progbits
; Kernel info:
; codeLenInByte = 0
; TotalNumSgprs: 0
; NumVgprs: 0
; ScratchSize: 0
; MemoryBound: 0
; FloatMode: 240
; IeeeMode: 1
; LDSByteSize: 0 bytes/workgroup (compile time only)
; SGPRBlocks: 0
; VGPRBlocks: 0
; NumSGPRsForWavesPerEU: 1
; NumVGPRsForWavesPerEU: 1
; Occupancy: 16
; WaveLimiterHint : 0
; COMPUTE_PGM_RSRC2:SCRATCH_EN: 0
; COMPUTE_PGM_RSRC2:USER_SGPR: 6
; COMPUTE_PGM_RSRC2:TRAP_HANDLER: 0
; COMPUTE_PGM_RSRC2:TGID_X_EN: 1
; COMPUTE_PGM_RSRC2:TGID_Y_EN: 0
; COMPUTE_PGM_RSRC2:TGID_Z_EN: 0
; COMPUTE_PGM_RSRC2:TIDIG_COMP_CNT: 0
	.section	.text._ZN7rocprim17ROCPRIM_400000_NS6detail17trampoline_kernelINS0_14default_configENS1_27scan_by_key_config_selectorIjjEEZZNS1_16scan_by_key_implILNS1_25lookback_scan_determinismE0ELb0ES3_N6thrust23THRUST_200600_302600_NS6detail15normal_iteratorINS9_10device_ptrIjEEEESE_SE_jNS9_4plusIvEENS9_8equal_toIvEEjEE10hipError_tPvRmT2_T3_T4_T5_mT6_T7_P12ihipStream_tbENKUlT_T0_E_clISt17integral_constantIbLb0EESY_IbLb1EEEEDaSU_SV_EUlSU_E_NS1_11comp_targetILNS1_3genE4ELNS1_11target_archE910ELNS1_3gpuE8ELNS1_3repE0EEENS1_30default_config_static_selectorELNS0_4arch9wavefront6targetE0EEEvT1_,"axG",@progbits,_ZN7rocprim17ROCPRIM_400000_NS6detail17trampoline_kernelINS0_14default_configENS1_27scan_by_key_config_selectorIjjEEZZNS1_16scan_by_key_implILNS1_25lookback_scan_determinismE0ELb0ES3_N6thrust23THRUST_200600_302600_NS6detail15normal_iteratorINS9_10device_ptrIjEEEESE_SE_jNS9_4plusIvEENS9_8equal_toIvEEjEE10hipError_tPvRmT2_T3_T4_T5_mT6_T7_P12ihipStream_tbENKUlT_T0_E_clISt17integral_constantIbLb0EESY_IbLb1EEEEDaSU_SV_EUlSU_E_NS1_11comp_targetILNS1_3genE4ELNS1_11target_archE910ELNS1_3gpuE8ELNS1_3repE0EEENS1_30default_config_static_selectorELNS0_4arch9wavefront6targetE0EEEvT1_,comdat
	.protected	_ZN7rocprim17ROCPRIM_400000_NS6detail17trampoline_kernelINS0_14default_configENS1_27scan_by_key_config_selectorIjjEEZZNS1_16scan_by_key_implILNS1_25lookback_scan_determinismE0ELb0ES3_N6thrust23THRUST_200600_302600_NS6detail15normal_iteratorINS9_10device_ptrIjEEEESE_SE_jNS9_4plusIvEENS9_8equal_toIvEEjEE10hipError_tPvRmT2_T3_T4_T5_mT6_T7_P12ihipStream_tbENKUlT_T0_E_clISt17integral_constantIbLb0EESY_IbLb1EEEEDaSU_SV_EUlSU_E_NS1_11comp_targetILNS1_3genE4ELNS1_11target_archE910ELNS1_3gpuE8ELNS1_3repE0EEENS1_30default_config_static_selectorELNS0_4arch9wavefront6targetE0EEEvT1_ ; -- Begin function _ZN7rocprim17ROCPRIM_400000_NS6detail17trampoline_kernelINS0_14default_configENS1_27scan_by_key_config_selectorIjjEEZZNS1_16scan_by_key_implILNS1_25lookback_scan_determinismE0ELb0ES3_N6thrust23THRUST_200600_302600_NS6detail15normal_iteratorINS9_10device_ptrIjEEEESE_SE_jNS9_4plusIvEENS9_8equal_toIvEEjEE10hipError_tPvRmT2_T3_T4_T5_mT6_T7_P12ihipStream_tbENKUlT_T0_E_clISt17integral_constantIbLb0EESY_IbLb1EEEEDaSU_SV_EUlSU_E_NS1_11comp_targetILNS1_3genE4ELNS1_11target_archE910ELNS1_3gpuE8ELNS1_3repE0EEENS1_30default_config_static_selectorELNS0_4arch9wavefront6targetE0EEEvT1_
	.globl	_ZN7rocprim17ROCPRIM_400000_NS6detail17trampoline_kernelINS0_14default_configENS1_27scan_by_key_config_selectorIjjEEZZNS1_16scan_by_key_implILNS1_25lookback_scan_determinismE0ELb0ES3_N6thrust23THRUST_200600_302600_NS6detail15normal_iteratorINS9_10device_ptrIjEEEESE_SE_jNS9_4plusIvEENS9_8equal_toIvEEjEE10hipError_tPvRmT2_T3_T4_T5_mT6_T7_P12ihipStream_tbENKUlT_T0_E_clISt17integral_constantIbLb0EESY_IbLb1EEEEDaSU_SV_EUlSU_E_NS1_11comp_targetILNS1_3genE4ELNS1_11target_archE910ELNS1_3gpuE8ELNS1_3repE0EEENS1_30default_config_static_selectorELNS0_4arch9wavefront6targetE0EEEvT1_
	.p2align	8
	.type	_ZN7rocprim17ROCPRIM_400000_NS6detail17trampoline_kernelINS0_14default_configENS1_27scan_by_key_config_selectorIjjEEZZNS1_16scan_by_key_implILNS1_25lookback_scan_determinismE0ELb0ES3_N6thrust23THRUST_200600_302600_NS6detail15normal_iteratorINS9_10device_ptrIjEEEESE_SE_jNS9_4plusIvEENS9_8equal_toIvEEjEE10hipError_tPvRmT2_T3_T4_T5_mT6_T7_P12ihipStream_tbENKUlT_T0_E_clISt17integral_constantIbLb0EESY_IbLb1EEEEDaSU_SV_EUlSU_E_NS1_11comp_targetILNS1_3genE4ELNS1_11target_archE910ELNS1_3gpuE8ELNS1_3repE0EEENS1_30default_config_static_selectorELNS0_4arch9wavefront6targetE0EEEvT1_,@function
_ZN7rocprim17ROCPRIM_400000_NS6detail17trampoline_kernelINS0_14default_configENS1_27scan_by_key_config_selectorIjjEEZZNS1_16scan_by_key_implILNS1_25lookback_scan_determinismE0ELb0ES3_N6thrust23THRUST_200600_302600_NS6detail15normal_iteratorINS9_10device_ptrIjEEEESE_SE_jNS9_4plusIvEENS9_8equal_toIvEEjEE10hipError_tPvRmT2_T3_T4_T5_mT6_T7_P12ihipStream_tbENKUlT_T0_E_clISt17integral_constantIbLb0EESY_IbLb1EEEEDaSU_SV_EUlSU_E_NS1_11comp_targetILNS1_3genE4ELNS1_11target_archE910ELNS1_3gpuE8ELNS1_3repE0EEENS1_30default_config_static_selectorELNS0_4arch9wavefront6targetE0EEEvT1_: ; @_ZN7rocprim17ROCPRIM_400000_NS6detail17trampoline_kernelINS0_14default_configENS1_27scan_by_key_config_selectorIjjEEZZNS1_16scan_by_key_implILNS1_25lookback_scan_determinismE0ELb0ES3_N6thrust23THRUST_200600_302600_NS6detail15normal_iteratorINS9_10device_ptrIjEEEESE_SE_jNS9_4plusIvEENS9_8equal_toIvEEjEE10hipError_tPvRmT2_T3_T4_T5_mT6_T7_P12ihipStream_tbENKUlT_T0_E_clISt17integral_constantIbLb0EESY_IbLb1EEEEDaSU_SV_EUlSU_E_NS1_11comp_targetILNS1_3genE4ELNS1_11target_archE910ELNS1_3gpuE8ELNS1_3repE0EEENS1_30default_config_static_selectorELNS0_4arch9wavefront6targetE0EEEvT1_
; %bb.0:
	.section	.rodata,"a",@progbits
	.p2align	6, 0x0
	.amdhsa_kernel _ZN7rocprim17ROCPRIM_400000_NS6detail17trampoline_kernelINS0_14default_configENS1_27scan_by_key_config_selectorIjjEEZZNS1_16scan_by_key_implILNS1_25lookback_scan_determinismE0ELb0ES3_N6thrust23THRUST_200600_302600_NS6detail15normal_iteratorINS9_10device_ptrIjEEEESE_SE_jNS9_4plusIvEENS9_8equal_toIvEEjEE10hipError_tPvRmT2_T3_T4_T5_mT6_T7_P12ihipStream_tbENKUlT_T0_E_clISt17integral_constantIbLb0EESY_IbLb1EEEEDaSU_SV_EUlSU_E_NS1_11comp_targetILNS1_3genE4ELNS1_11target_archE910ELNS1_3gpuE8ELNS1_3repE0EEENS1_30default_config_static_selectorELNS0_4arch9wavefront6targetE0EEEvT1_
		.amdhsa_group_segment_fixed_size 0
		.amdhsa_private_segment_fixed_size 0
		.amdhsa_kernarg_size 112
		.amdhsa_user_sgpr_count 6
		.amdhsa_user_sgpr_private_segment_buffer 1
		.amdhsa_user_sgpr_dispatch_ptr 0
		.amdhsa_user_sgpr_queue_ptr 0
		.amdhsa_user_sgpr_kernarg_segment_ptr 1
		.amdhsa_user_sgpr_dispatch_id 0
		.amdhsa_user_sgpr_flat_scratch_init 0
		.amdhsa_user_sgpr_private_segment_size 0
		.amdhsa_wavefront_size32 1
		.amdhsa_uses_dynamic_stack 0
		.amdhsa_system_sgpr_private_segment_wavefront_offset 0
		.amdhsa_system_sgpr_workgroup_id_x 1
		.amdhsa_system_sgpr_workgroup_id_y 0
		.amdhsa_system_sgpr_workgroup_id_z 0
		.amdhsa_system_sgpr_workgroup_info 0
		.amdhsa_system_vgpr_workitem_id 0
		.amdhsa_next_free_vgpr 1
		.amdhsa_next_free_sgpr 1
		.amdhsa_reserve_vcc 0
		.amdhsa_reserve_flat_scratch 0
		.amdhsa_float_round_mode_32 0
		.amdhsa_float_round_mode_16_64 0
		.amdhsa_float_denorm_mode_32 3
		.amdhsa_float_denorm_mode_16_64 3
		.amdhsa_dx10_clamp 1
		.amdhsa_ieee_mode 1
		.amdhsa_fp16_overflow 0
		.amdhsa_workgroup_processor_mode 1
		.amdhsa_memory_ordered 1
		.amdhsa_forward_progress 1
		.amdhsa_shared_vgpr_count 0
		.amdhsa_exception_fp_ieee_invalid_op 0
		.amdhsa_exception_fp_denorm_src 0
		.amdhsa_exception_fp_ieee_div_zero 0
		.amdhsa_exception_fp_ieee_overflow 0
		.amdhsa_exception_fp_ieee_underflow 0
		.amdhsa_exception_fp_ieee_inexact 0
		.amdhsa_exception_int_div_zero 0
	.end_amdhsa_kernel
	.section	.text._ZN7rocprim17ROCPRIM_400000_NS6detail17trampoline_kernelINS0_14default_configENS1_27scan_by_key_config_selectorIjjEEZZNS1_16scan_by_key_implILNS1_25lookback_scan_determinismE0ELb0ES3_N6thrust23THRUST_200600_302600_NS6detail15normal_iteratorINS9_10device_ptrIjEEEESE_SE_jNS9_4plusIvEENS9_8equal_toIvEEjEE10hipError_tPvRmT2_T3_T4_T5_mT6_T7_P12ihipStream_tbENKUlT_T0_E_clISt17integral_constantIbLb0EESY_IbLb1EEEEDaSU_SV_EUlSU_E_NS1_11comp_targetILNS1_3genE4ELNS1_11target_archE910ELNS1_3gpuE8ELNS1_3repE0EEENS1_30default_config_static_selectorELNS0_4arch9wavefront6targetE0EEEvT1_,"axG",@progbits,_ZN7rocprim17ROCPRIM_400000_NS6detail17trampoline_kernelINS0_14default_configENS1_27scan_by_key_config_selectorIjjEEZZNS1_16scan_by_key_implILNS1_25lookback_scan_determinismE0ELb0ES3_N6thrust23THRUST_200600_302600_NS6detail15normal_iteratorINS9_10device_ptrIjEEEESE_SE_jNS9_4plusIvEENS9_8equal_toIvEEjEE10hipError_tPvRmT2_T3_T4_T5_mT6_T7_P12ihipStream_tbENKUlT_T0_E_clISt17integral_constantIbLb0EESY_IbLb1EEEEDaSU_SV_EUlSU_E_NS1_11comp_targetILNS1_3genE4ELNS1_11target_archE910ELNS1_3gpuE8ELNS1_3repE0EEENS1_30default_config_static_selectorELNS0_4arch9wavefront6targetE0EEEvT1_,comdat
.Lfunc_end1859:
	.size	_ZN7rocprim17ROCPRIM_400000_NS6detail17trampoline_kernelINS0_14default_configENS1_27scan_by_key_config_selectorIjjEEZZNS1_16scan_by_key_implILNS1_25lookback_scan_determinismE0ELb0ES3_N6thrust23THRUST_200600_302600_NS6detail15normal_iteratorINS9_10device_ptrIjEEEESE_SE_jNS9_4plusIvEENS9_8equal_toIvEEjEE10hipError_tPvRmT2_T3_T4_T5_mT6_T7_P12ihipStream_tbENKUlT_T0_E_clISt17integral_constantIbLb0EESY_IbLb1EEEEDaSU_SV_EUlSU_E_NS1_11comp_targetILNS1_3genE4ELNS1_11target_archE910ELNS1_3gpuE8ELNS1_3repE0EEENS1_30default_config_static_selectorELNS0_4arch9wavefront6targetE0EEEvT1_, .Lfunc_end1859-_ZN7rocprim17ROCPRIM_400000_NS6detail17trampoline_kernelINS0_14default_configENS1_27scan_by_key_config_selectorIjjEEZZNS1_16scan_by_key_implILNS1_25lookback_scan_determinismE0ELb0ES3_N6thrust23THRUST_200600_302600_NS6detail15normal_iteratorINS9_10device_ptrIjEEEESE_SE_jNS9_4plusIvEENS9_8equal_toIvEEjEE10hipError_tPvRmT2_T3_T4_T5_mT6_T7_P12ihipStream_tbENKUlT_T0_E_clISt17integral_constantIbLb0EESY_IbLb1EEEEDaSU_SV_EUlSU_E_NS1_11comp_targetILNS1_3genE4ELNS1_11target_archE910ELNS1_3gpuE8ELNS1_3repE0EEENS1_30default_config_static_selectorELNS0_4arch9wavefront6targetE0EEEvT1_
                                        ; -- End function
	.set _ZN7rocprim17ROCPRIM_400000_NS6detail17trampoline_kernelINS0_14default_configENS1_27scan_by_key_config_selectorIjjEEZZNS1_16scan_by_key_implILNS1_25lookback_scan_determinismE0ELb0ES3_N6thrust23THRUST_200600_302600_NS6detail15normal_iteratorINS9_10device_ptrIjEEEESE_SE_jNS9_4plusIvEENS9_8equal_toIvEEjEE10hipError_tPvRmT2_T3_T4_T5_mT6_T7_P12ihipStream_tbENKUlT_T0_E_clISt17integral_constantIbLb0EESY_IbLb1EEEEDaSU_SV_EUlSU_E_NS1_11comp_targetILNS1_3genE4ELNS1_11target_archE910ELNS1_3gpuE8ELNS1_3repE0EEENS1_30default_config_static_selectorELNS0_4arch9wavefront6targetE0EEEvT1_.num_vgpr, 0
	.set _ZN7rocprim17ROCPRIM_400000_NS6detail17trampoline_kernelINS0_14default_configENS1_27scan_by_key_config_selectorIjjEEZZNS1_16scan_by_key_implILNS1_25lookback_scan_determinismE0ELb0ES3_N6thrust23THRUST_200600_302600_NS6detail15normal_iteratorINS9_10device_ptrIjEEEESE_SE_jNS9_4plusIvEENS9_8equal_toIvEEjEE10hipError_tPvRmT2_T3_T4_T5_mT6_T7_P12ihipStream_tbENKUlT_T0_E_clISt17integral_constantIbLb0EESY_IbLb1EEEEDaSU_SV_EUlSU_E_NS1_11comp_targetILNS1_3genE4ELNS1_11target_archE910ELNS1_3gpuE8ELNS1_3repE0EEENS1_30default_config_static_selectorELNS0_4arch9wavefront6targetE0EEEvT1_.num_agpr, 0
	.set _ZN7rocprim17ROCPRIM_400000_NS6detail17trampoline_kernelINS0_14default_configENS1_27scan_by_key_config_selectorIjjEEZZNS1_16scan_by_key_implILNS1_25lookback_scan_determinismE0ELb0ES3_N6thrust23THRUST_200600_302600_NS6detail15normal_iteratorINS9_10device_ptrIjEEEESE_SE_jNS9_4plusIvEENS9_8equal_toIvEEjEE10hipError_tPvRmT2_T3_T4_T5_mT6_T7_P12ihipStream_tbENKUlT_T0_E_clISt17integral_constantIbLb0EESY_IbLb1EEEEDaSU_SV_EUlSU_E_NS1_11comp_targetILNS1_3genE4ELNS1_11target_archE910ELNS1_3gpuE8ELNS1_3repE0EEENS1_30default_config_static_selectorELNS0_4arch9wavefront6targetE0EEEvT1_.numbered_sgpr, 0
	.set _ZN7rocprim17ROCPRIM_400000_NS6detail17trampoline_kernelINS0_14default_configENS1_27scan_by_key_config_selectorIjjEEZZNS1_16scan_by_key_implILNS1_25lookback_scan_determinismE0ELb0ES3_N6thrust23THRUST_200600_302600_NS6detail15normal_iteratorINS9_10device_ptrIjEEEESE_SE_jNS9_4plusIvEENS9_8equal_toIvEEjEE10hipError_tPvRmT2_T3_T4_T5_mT6_T7_P12ihipStream_tbENKUlT_T0_E_clISt17integral_constantIbLb0EESY_IbLb1EEEEDaSU_SV_EUlSU_E_NS1_11comp_targetILNS1_3genE4ELNS1_11target_archE910ELNS1_3gpuE8ELNS1_3repE0EEENS1_30default_config_static_selectorELNS0_4arch9wavefront6targetE0EEEvT1_.num_named_barrier, 0
	.set _ZN7rocprim17ROCPRIM_400000_NS6detail17trampoline_kernelINS0_14default_configENS1_27scan_by_key_config_selectorIjjEEZZNS1_16scan_by_key_implILNS1_25lookback_scan_determinismE0ELb0ES3_N6thrust23THRUST_200600_302600_NS6detail15normal_iteratorINS9_10device_ptrIjEEEESE_SE_jNS9_4plusIvEENS9_8equal_toIvEEjEE10hipError_tPvRmT2_T3_T4_T5_mT6_T7_P12ihipStream_tbENKUlT_T0_E_clISt17integral_constantIbLb0EESY_IbLb1EEEEDaSU_SV_EUlSU_E_NS1_11comp_targetILNS1_3genE4ELNS1_11target_archE910ELNS1_3gpuE8ELNS1_3repE0EEENS1_30default_config_static_selectorELNS0_4arch9wavefront6targetE0EEEvT1_.private_seg_size, 0
	.set _ZN7rocprim17ROCPRIM_400000_NS6detail17trampoline_kernelINS0_14default_configENS1_27scan_by_key_config_selectorIjjEEZZNS1_16scan_by_key_implILNS1_25lookback_scan_determinismE0ELb0ES3_N6thrust23THRUST_200600_302600_NS6detail15normal_iteratorINS9_10device_ptrIjEEEESE_SE_jNS9_4plusIvEENS9_8equal_toIvEEjEE10hipError_tPvRmT2_T3_T4_T5_mT6_T7_P12ihipStream_tbENKUlT_T0_E_clISt17integral_constantIbLb0EESY_IbLb1EEEEDaSU_SV_EUlSU_E_NS1_11comp_targetILNS1_3genE4ELNS1_11target_archE910ELNS1_3gpuE8ELNS1_3repE0EEENS1_30default_config_static_selectorELNS0_4arch9wavefront6targetE0EEEvT1_.uses_vcc, 0
	.set _ZN7rocprim17ROCPRIM_400000_NS6detail17trampoline_kernelINS0_14default_configENS1_27scan_by_key_config_selectorIjjEEZZNS1_16scan_by_key_implILNS1_25lookback_scan_determinismE0ELb0ES3_N6thrust23THRUST_200600_302600_NS6detail15normal_iteratorINS9_10device_ptrIjEEEESE_SE_jNS9_4plusIvEENS9_8equal_toIvEEjEE10hipError_tPvRmT2_T3_T4_T5_mT6_T7_P12ihipStream_tbENKUlT_T0_E_clISt17integral_constantIbLb0EESY_IbLb1EEEEDaSU_SV_EUlSU_E_NS1_11comp_targetILNS1_3genE4ELNS1_11target_archE910ELNS1_3gpuE8ELNS1_3repE0EEENS1_30default_config_static_selectorELNS0_4arch9wavefront6targetE0EEEvT1_.uses_flat_scratch, 0
	.set _ZN7rocprim17ROCPRIM_400000_NS6detail17trampoline_kernelINS0_14default_configENS1_27scan_by_key_config_selectorIjjEEZZNS1_16scan_by_key_implILNS1_25lookback_scan_determinismE0ELb0ES3_N6thrust23THRUST_200600_302600_NS6detail15normal_iteratorINS9_10device_ptrIjEEEESE_SE_jNS9_4plusIvEENS9_8equal_toIvEEjEE10hipError_tPvRmT2_T3_T4_T5_mT6_T7_P12ihipStream_tbENKUlT_T0_E_clISt17integral_constantIbLb0EESY_IbLb1EEEEDaSU_SV_EUlSU_E_NS1_11comp_targetILNS1_3genE4ELNS1_11target_archE910ELNS1_3gpuE8ELNS1_3repE0EEENS1_30default_config_static_selectorELNS0_4arch9wavefront6targetE0EEEvT1_.has_dyn_sized_stack, 0
	.set _ZN7rocprim17ROCPRIM_400000_NS6detail17trampoline_kernelINS0_14default_configENS1_27scan_by_key_config_selectorIjjEEZZNS1_16scan_by_key_implILNS1_25lookback_scan_determinismE0ELb0ES3_N6thrust23THRUST_200600_302600_NS6detail15normal_iteratorINS9_10device_ptrIjEEEESE_SE_jNS9_4plusIvEENS9_8equal_toIvEEjEE10hipError_tPvRmT2_T3_T4_T5_mT6_T7_P12ihipStream_tbENKUlT_T0_E_clISt17integral_constantIbLb0EESY_IbLb1EEEEDaSU_SV_EUlSU_E_NS1_11comp_targetILNS1_3genE4ELNS1_11target_archE910ELNS1_3gpuE8ELNS1_3repE0EEENS1_30default_config_static_selectorELNS0_4arch9wavefront6targetE0EEEvT1_.has_recursion, 0
	.set _ZN7rocprim17ROCPRIM_400000_NS6detail17trampoline_kernelINS0_14default_configENS1_27scan_by_key_config_selectorIjjEEZZNS1_16scan_by_key_implILNS1_25lookback_scan_determinismE0ELb0ES3_N6thrust23THRUST_200600_302600_NS6detail15normal_iteratorINS9_10device_ptrIjEEEESE_SE_jNS9_4plusIvEENS9_8equal_toIvEEjEE10hipError_tPvRmT2_T3_T4_T5_mT6_T7_P12ihipStream_tbENKUlT_T0_E_clISt17integral_constantIbLb0EESY_IbLb1EEEEDaSU_SV_EUlSU_E_NS1_11comp_targetILNS1_3genE4ELNS1_11target_archE910ELNS1_3gpuE8ELNS1_3repE0EEENS1_30default_config_static_selectorELNS0_4arch9wavefront6targetE0EEEvT1_.has_indirect_call, 0
	.section	.AMDGPU.csdata,"",@progbits
; Kernel info:
; codeLenInByte = 0
; TotalNumSgprs: 0
; NumVgprs: 0
; ScratchSize: 0
; MemoryBound: 0
; FloatMode: 240
; IeeeMode: 1
; LDSByteSize: 0 bytes/workgroup (compile time only)
; SGPRBlocks: 0
; VGPRBlocks: 0
; NumSGPRsForWavesPerEU: 1
; NumVGPRsForWavesPerEU: 1
; Occupancy: 16
; WaveLimiterHint : 0
; COMPUTE_PGM_RSRC2:SCRATCH_EN: 0
; COMPUTE_PGM_RSRC2:USER_SGPR: 6
; COMPUTE_PGM_RSRC2:TRAP_HANDLER: 0
; COMPUTE_PGM_RSRC2:TGID_X_EN: 1
; COMPUTE_PGM_RSRC2:TGID_Y_EN: 0
; COMPUTE_PGM_RSRC2:TGID_Z_EN: 0
; COMPUTE_PGM_RSRC2:TIDIG_COMP_CNT: 0
	.section	.text._ZN7rocprim17ROCPRIM_400000_NS6detail17trampoline_kernelINS0_14default_configENS1_27scan_by_key_config_selectorIjjEEZZNS1_16scan_by_key_implILNS1_25lookback_scan_determinismE0ELb0ES3_N6thrust23THRUST_200600_302600_NS6detail15normal_iteratorINS9_10device_ptrIjEEEESE_SE_jNS9_4plusIvEENS9_8equal_toIvEEjEE10hipError_tPvRmT2_T3_T4_T5_mT6_T7_P12ihipStream_tbENKUlT_T0_E_clISt17integral_constantIbLb0EESY_IbLb1EEEEDaSU_SV_EUlSU_E_NS1_11comp_targetILNS1_3genE3ELNS1_11target_archE908ELNS1_3gpuE7ELNS1_3repE0EEENS1_30default_config_static_selectorELNS0_4arch9wavefront6targetE0EEEvT1_,"axG",@progbits,_ZN7rocprim17ROCPRIM_400000_NS6detail17trampoline_kernelINS0_14default_configENS1_27scan_by_key_config_selectorIjjEEZZNS1_16scan_by_key_implILNS1_25lookback_scan_determinismE0ELb0ES3_N6thrust23THRUST_200600_302600_NS6detail15normal_iteratorINS9_10device_ptrIjEEEESE_SE_jNS9_4plusIvEENS9_8equal_toIvEEjEE10hipError_tPvRmT2_T3_T4_T5_mT6_T7_P12ihipStream_tbENKUlT_T0_E_clISt17integral_constantIbLb0EESY_IbLb1EEEEDaSU_SV_EUlSU_E_NS1_11comp_targetILNS1_3genE3ELNS1_11target_archE908ELNS1_3gpuE7ELNS1_3repE0EEENS1_30default_config_static_selectorELNS0_4arch9wavefront6targetE0EEEvT1_,comdat
	.protected	_ZN7rocprim17ROCPRIM_400000_NS6detail17trampoline_kernelINS0_14default_configENS1_27scan_by_key_config_selectorIjjEEZZNS1_16scan_by_key_implILNS1_25lookback_scan_determinismE0ELb0ES3_N6thrust23THRUST_200600_302600_NS6detail15normal_iteratorINS9_10device_ptrIjEEEESE_SE_jNS9_4plusIvEENS9_8equal_toIvEEjEE10hipError_tPvRmT2_T3_T4_T5_mT6_T7_P12ihipStream_tbENKUlT_T0_E_clISt17integral_constantIbLb0EESY_IbLb1EEEEDaSU_SV_EUlSU_E_NS1_11comp_targetILNS1_3genE3ELNS1_11target_archE908ELNS1_3gpuE7ELNS1_3repE0EEENS1_30default_config_static_selectorELNS0_4arch9wavefront6targetE0EEEvT1_ ; -- Begin function _ZN7rocprim17ROCPRIM_400000_NS6detail17trampoline_kernelINS0_14default_configENS1_27scan_by_key_config_selectorIjjEEZZNS1_16scan_by_key_implILNS1_25lookback_scan_determinismE0ELb0ES3_N6thrust23THRUST_200600_302600_NS6detail15normal_iteratorINS9_10device_ptrIjEEEESE_SE_jNS9_4plusIvEENS9_8equal_toIvEEjEE10hipError_tPvRmT2_T3_T4_T5_mT6_T7_P12ihipStream_tbENKUlT_T0_E_clISt17integral_constantIbLb0EESY_IbLb1EEEEDaSU_SV_EUlSU_E_NS1_11comp_targetILNS1_3genE3ELNS1_11target_archE908ELNS1_3gpuE7ELNS1_3repE0EEENS1_30default_config_static_selectorELNS0_4arch9wavefront6targetE0EEEvT1_
	.globl	_ZN7rocprim17ROCPRIM_400000_NS6detail17trampoline_kernelINS0_14default_configENS1_27scan_by_key_config_selectorIjjEEZZNS1_16scan_by_key_implILNS1_25lookback_scan_determinismE0ELb0ES3_N6thrust23THRUST_200600_302600_NS6detail15normal_iteratorINS9_10device_ptrIjEEEESE_SE_jNS9_4plusIvEENS9_8equal_toIvEEjEE10hipError_tPvRmT2_T3_T4_T5_mT6_T7_P12ihipStream_tbENKUlT_T0_E_clISt17integral_constantIbLb0EESY_IbLb1EEEEDaSU_SV_EUlSU_E_NS1_11comp_targetILNS1_3genE3ELNS1_11target_archE908ELNS1_3gpuE7ELNS1_3repE0EEENS1_30default_config_static_selectorELNS0_4arch9wavefront6targetE0EEEvT1_
	.p2align	8
	.type	_ZN7rocprim17ROCPRIM_400000_NS6detail17trampoline_kernelINS0_14default_configENS1_27scan_by_key_config_selectorIjjEEZZNS1_16scan_by_key_implILNS1_25lookback_scan_determinismE0ELb0ES3_N6thrust23THRUST_200600_302600_NS6detail15normal_iteratorINS9_10device_ptrIjEEEESE_SE_jNS9_4plusIvEENS9_8equal_toIvEEjEE10hipError_tPvRmT2_T3_T4_T5_mT6_T7_P12ihipStream_tbENKUlT_T0_E_clISt17integral_constantIbLb0EESY_IbLb1EEEEDaSU_SV_EUlSU_E_NS1_11comp_targetILNS1_3genE3ELNS1_11target_archE908ELNS1_3gpuE7ELNS1_3repE0EEENS1_30default_config_static_selectorELNS0_4arch9wavefront6targetE0EEEvT1_,@function
_ZN7rocprim17ROCPRIM_400000_NS6detail17trampoline_kernelINS0_14default_configENS1_27scan_by_key_config_selectorIjjEEZZNS1_16scan_by_key_implILNS1_25lookback_scan_determinismE0ELb0ES3_N6thrust23THRUST_200600_302600_NS6detail15normal_iteratorINS9_10device_ptrIjEEEESE_SE_jNS9_4plusIvEENS9_8equal_toIvEEjEE10hipError_tPvRmT2_T3_T4_T5_mT6_T7_P12ihipStream_tbENKUlT_T0_E_clISt17integral_constantIbLb0EESY_IbLb1EEEEDaSU_SV_EUlSU_E_NS1_11comp_targetILNS1_3genE3ELNS1_11target_archE908ELNS1_3gpuE7ELNS1_3repE0EEENS1_30default_config_static_selectorELNS0_4arch9wavefront6targetE0EEEvT1_: ; @_ZN7rocprim17ROCPRIM_400000_NS6detail17trampoline_kernelINS0_14default_configENS1_27scan_by_key_config_selectorIjjEEZZNS1_16scan_by_key_implILNS1_25lookback_scan_determinismE0ELb0ES3_N6thrust23THRUST_200600_302600_NS6detail15normal_iteratorINS9_10device_ptrIjEEEESE_SE_jNS9_4plusIvEENS9_8equal_toIvEEjEE10hipError_tPvRmT2_T3_T4_T5_mT6_T7_P12ihipStream_tbENKUlT_T0_E_clISt17integral_constantIbLb0EESY_IbLb1EEEEDaSU_SV_EUlSU_E_NS1_11comp_targetILNS1_3genE3ELNS1_11target_archE908ELNS1_3gpuE7ELNS1_3repE0EEENS1_30default_config_static_selectorELNS0_4arch9wavefront6targetE0EEEvT1_
; %bb.0:
	.section	.rodata,"a",@progbits
	.p2align	6, 0x0
	.amdhsa_kernel _ZN7rocprim17ROCPRIM_400000_NS6detail17trampoline_kernelINS0_14default_configENS1_27scan_by_key_config_selectorIjjEEZZNS1_16scan_by_key_implILNS1_25lookback_scan_determinismE0ELb0ES3_N6thrust23THRUST_200600_302600_NS6detail15normal_iteratorINS9_10device_ptrIjEEEESE_SE_jNS9_4plusIvEENS9_8equal_toIvEEjEE10hipError_tPvRmT2_T3_T4_T5_mT6_T7_P12ihipStream_tbENKUlT_T0_E_clISt17integral_constantIbLb0EESY_IbLb1EEEEDaSU_SV_EUlSU_E_NS1_11comp_targetILNS1_3genE3ELNS1_11target_archE908ELNS1_3gpuE7ELNS1_3repE0EEENS1_30default_config_static_selectorELNS0_4arch9wavefront6targetE0EEEvT1_
		.amdhsa_group_segment_fixed_size 0
		.amdhsa_private_segment_fixed_size 0
		.amdhsa_kernarg_size 112
		.amdhsa_user_sgpr_count 6
		.amdhsa_user_sgpr_private_segment_buffer 1
		.amdhsa_user_sgpr_dispatch_ptr 0
		.amdhsa_user_sgpr_queue_ptr 0
		.amdhsa_user_sgpr_kernarg_segment_ptr 1
		.amdhsa_user_sgpr_dispatch_id 0
		.amdhsa_user_sgpr_flat_scratch_init 0
		.amdhsa_user_sgpr_private_segment_size 0
		.amdhsa_wavefront_size32 1
		.amdhsa_uses_dynamic_stack 0
		.amdhsa_system_sgpr_private_segment_wavefront_offset 0
		.amdhsa_system_sgpr_workgroup_id_x 1
		.amdhsa_system_sgpr_workgroup_id_y 0
		.amdhsa_system_sgpr_workgroup_id_z 0
		.amdhsa_system_sgpr_workgroup_info 0
		.amdhsa_system_vgpr_workitem_id 0
		.amdhsa_next_free_vgpr 1
		.amdhsa_next_free_sgpr 1
		.amdhsa_reserve_vcc 0
		.amdhsa_reserve_flat_scratch 0
		.amdhsa_float_round_mode_32 0
		.amdhsa_float_round_mode_16_64 0
		.amdhsa_float_denorm_mode_32 3
		.amdhsa_float_denorm_mode_16_64 3
		.amdhsa_dx10_clamp 1
		.amdhsa_ieee_mode 1
		.amdhsa_fp16_overflow 0
		.amdhsa_workgroup_processor_mode 1
		.amdhsa_memory_ordered 1
		.amdhsa_forward_progress 1
		.amdhsa_shared_vgpr_count 0
		.amdhsa_exception_fp_ieee_invalid_op 0
		.amdhsa_exception_fp_denorm_src 0
		.amdhsa_exception_fp_ieee_div_zero 0
		.amdhsa_exception_fp_ieee_overflow 0
		.amdhsa_exception_fp_ieee_underflow 0
		.amdhsa_exception_fp_ieee_inexact 0
		.amdhsa_exception_int_div_zero 0
	.end_amdhsa_kernel
	.section	.text._ZN7rocprim17ROCPRIM_400000_NS6detail17trampoline_kernelINS0_14default_configENS1_27scan_by_key_config_selectorIjjEEZZNS1_16scan_by_key_implILNS1_25lookback_scan_determinismE0ELb0ES3_N6thrust23THRUST_200600_302600_NS6detail15normal_iteratorINS9_10device_ptrIjEEEESE_SE_jNS9_4plusIvEENS9_8equal_toIvEEjEE10hipError_tPvRmT2_T3_T4_T5_mT6_T7_P12ihipStream_tbENKUlT_T0_E_clISt17integral_constantIbLb0EESY_IbLb1EEEEDaSU_SV_EUlSU_E_NS1_11comp_targetILNS1_3genE3ELNS1_11target_archE908ELNS1_3gpuE7ELNS1_3repE0EEENS1_30default_config_static_selectorELNS0_4arch9wavefront6targetE0EEEvT1_,"axG",@progbits,_ZN7rocprim17ROCPRIM_400000_NS6detail17trampoline_kernelINS0_14default_configENS1_27scan_by_key_config_selectorIjjEEZZNS1_16scan_by_key_implILNS1_25lookback_scan_determinismE0ELb0ES3_N6thrust23THRUST_200600_302600_NS6detail15normal_iteratorINS9_10device_ptrIjEEEESE_SE_jNS9_4plusIvEENS9_8equal_toIvEEjEE10hipError_tPvRmT2_T3_T4_T5_mT6_T7_P12ihipStream_tbENKUlT_T0_E_clISt17integral_constantIbLb0EESY_IbLb1EEEEDaSU_SV_EUlSU_E_NS1_11comp_targetILNS1_3genE3ELNS1_11target_archE908ELNS1_3gpuE7ELNS1_3repE0EEENS1_30default_config_static_selectorELNS0_4arch9wavefront6targetE0EEEvT1_,comdat
.Lfunc_end1860:
	.size	_ZN7rocprim17ROCPRIM_400000_NS6detail17trampoline_kernelINS0_14default_configENS1_27scan_by_key_config_selectorIjjEEZZNS1_16scan_by_key_implILNS1_25lookback_scan_determinismE0ELb0ES3_N6thrust23THRUST_200600_302600_NS6detail15normal_iteratorINS9_10device_ptrIjEEEESE_SE_jNS9_4plusIvEENS9_8equal_toIvEEjEE10hipError_tPvRmT2_T3_T4_T5_mT6_T7_P12ihipStream_tbENKUlT_T0_E_clISt17integral_constantIbLb0EESY_IbLb1EEEEDaSU_SV_EUlSU_E_NS1_11comp_targetILNS1_3genE3ELNS1_11target_archE908ELNS1_3gpuE7ELNS1_3repE0EEENS1_30default_config_static_selectorELNS0_4arch9wavefront6targetE0EEEvT1_, .Lfunc_end1860-_ZN7rocprim17ROCPRIM_400000_NS6detail17trampoline_kernelINS0_14default_configENS1_27scan_by_key_config_selectorIjjEEZZNS1_16scan_by_key_implILNS1_25lookback_scan_determinismE0ELb0ES3_N6thrust23THRUST_200600_302600_NS6detail15normal_iteratorINS9_10device_ptrIjEEEESE_SE_jNS9_4plusIvEENS9_8equal_toIvEEjEE10hipError_tPvRmT2_T3_T4_T5_mT6_T7_P12ihipStream_tbENKUlT_T0_E_clISt17integral_constantIbLb0EESY_IbLb1EEEEDaSU_SV_EUlSU_E_NS1_11comp_targetILNS1_3genE3ELNS1_11target_archE908ELNS1_3gpuE7ELNS1_3repE0EEENS1_30default_config_static_selectorELNS0_4arch9wavefront6targetE0EEEvT1_
                                        ; -- End function
	.set _ZN7rocprim17ROCPRIM_400000_NS6detail17trampoline_kernelINS0_14default_configENS1_27scan_by_key_config_selectorIjjEEZZNS1_16scan_by_key_implILNS1_25lookback_scan_determinismE0ELb0ES3_N6thrust23THRUST_200600_302600_NS6detail15normal_iteratorINS9_10device_ptrIjEEEESE_SE_jNS9_4plusIvEENS9_8equal_toIvEEjEE10hipError_tPvRmT2_T3_T4_T5_mT6_T7_P12ihipStream_tbENKUlT_T0_E_clISt17integral_constantIbLb0EESY_IbLb1EEEEDaSU_SV_EUlSU_E_NS1_11comp_targetILNS1_3genE3ELNS1_11target_archE908ELNS1_3gpuE7ELNS1_3repE0EEENS1_30default_config_static_selectorELNS0_4arch9wavefront6targetE0EEEvT1_.num_vgpr, 0
	.set _ZN7rocprim17ROCPRIM_400000_NS6detail17trampoline_kernelINS0_14default_configENS1_27scan_by_key_config_selectorIjjEEZZNS1_16scan_by_key_implILNS1_25lookback_scan_determinismE0ELb0ES3_N6thrust23THRUST_200600_302600_NS6detail15normal_iteratorINS9_10device_ptrIjEEEESE_SE_jNS9_4plusIvEENS9_8equal_toIvEEjEE10hipError_tPvRmT2_T3_T4_T5_mT6_T7_P12ihipStream_tbENKUlT_T0_E_clISt17integral_constantIbLb0EESY_IbLb1EEEEDaSU_SV_EUlSU_E_NS1_11comp_targetILNS1_3genE3ELNS1_11target_archE908ELNS1_3gpuE7ELNS1_3repE0EEENS1_30default_config_static_selectorELNS0_4arch9wavefront6targetE0EEEvT1_.num_agpr, 0
	.set _ZN7rocprim17ROCPRIM_400000_NS6detail17trampoline_kernelINS0_14default_configENS1_27scan_by_key_config_selectorIjjEEZZNS1_16scan_by_key_implILNS1_25lookback_scan_determinismE0ELb0ES3_N6thrust23THRUST_200600_302600_NS6detail15normal_iteratorINS9_10device_ptrIjEEEESE_SE_jNS9_4plusIvEENS9_8equal_toIvEEjEE10hipError_tPvRmT2_T3_T4_T5_mT6_T7_P12ihipStream_tbENKUlT_T0_E_clISt17integral_constantIbLb0EESY_IbLb1EEEEDaSU_SV_EUlSU_E_NS1_11comp_targetILNS1_3genE3ELNS1_11target_archE908ELNS1_3gpuE7ELNS1_3repE0EEENS1_30default_config_static_selectorELNS0_4arch9wavefront6targetE0EEEvT1_.numbered_sgpr, 0
	.set _ZN7rocprim17ROCPRIM_400000_NS6detail17trampoline_kernelINS0_14default_configENS1_27scan_by_key_config_selectorIjjEEZZNS1_16scan_by_key_implILNS1_25lookback_scan_determinismE0ELb0ES3_N6thrust23THRUST_200600_302600_NS6detail15normal_iteratorINS9_10device_ptrIjEEEESE_SE_jNS9_4plusIvEENS9_8equal_toIvEEjEE10hipError_tPvRmT2_T3_T4_T5_mT6_T7_P12ihipStream_tbENKUlT_T0_E_clISt17integral_constantIbLb0EESY_IbLb1EEEEDaSU_SV_EUlSU_E_NS1_11comp_targetILNS1_3genE3ELNS1_11target_archE908ELNS1_3gpuE7ELNS1_3repE0EEENS1_30default_config_static_selectorELNS0_4arch9wavefront6targetE0EEEvT1_.num_named_barrier, 0
	.set _ZN7rocprim17ROCPRIM_400000_NS6detail17trampoline_kernelINS0_14default_configENS1_27scan_by_key_config_selectorIjjEEZZNS1_16scan_by_key_implILNS1_25lookback_scan_determinismE0ELb0ES3_N6thrust23THRUST_200600_302600_NS6detail15normal_iteratorINS9_10device_ptrIjEEEESE_SE_jNS9_4plusIvEENS9_8equal_toIvEEjEE10hipError_tPvRmT2_T3_T4_T5_mT6_T7_P12ihipStream_tbENKUlT_T0_E_clISt17integral_constantIbLb0EESY_IbLb1EEEEDaSU_SV_EUlSU_E_NS1_11comp_targetILNS1_3genE3ELNS1_11target_archE908ELNS1_3gpuE7ELNS1_3repE0EEENS1_30default_config_static_selectorELNS0_4arch9wavefront6targetE0EEEvT1_.private_seg_size, 0
	.set _ZN7rocprim17ROCPRIM_400000_NS6detail17trampoline_kernelINS0_14default_configENS1_27scan_by_key_config_selectorIjjEEZZNS1_16scan_by_key_implILNS1_25lookback_scan_determinismE0ELb0ES3_N6thrust23THRUST_200600_302600_NS6detail15normal_iteratorINS9_10device_ptrIjEEEESE_SE_jNS9_4plusIvEENS9_8equal_toIvEEjEE10hipError_tPvRmT2_T3_T4_T5_mT6_T7_P12ihipStream_tbENKUlT_T0_E_clISt17integral_constantIbLb0EESY_IbLb1EEEEDaSU_SV_EUlSU_E_NS1_11comp_targetILNS1_3genE3ELNS1_11target_archE908ELNS1_3gpuE7ELNS1_3repE0EEENS1_30default_config_static_selectorELNS0_4arch9wavefront6targetE0EEEvT1_.uses_vcc, 0
	.set _ZN7rocprim17ROCPRIM_400000_NS6detail17trampoline_kernelINS0_14default_configENS1_27scan_by_key_config_selectorIjjEEZZNS1_16scan_by_key_implILNS1_25lookback_scan_determinismE0ELb0ES3_N6thrust23THRUST_200600_302600_NS6detail15normal_iteratorINS9_10device_ptrIjEEEESE_SE_jNS9_4plusIvEENS9_8equal_toIvEEjEE10hipError_tPvRmT2_T3_T4_T5_mT6_T7_P12ihipStream_tbENKUlT_T0_E_clISt17integral_constantIbLb0EESY_IbLb1EEEEDaSU_SV_EUlSU_E_NS1_11comp_targetILNS1_3genE3ELNS1_11target_archE908ELNS1_3gpuE7ELNS1_3repE0EEENS1_30default_config_static_selectorELNS0_4arch9wavefront6targetE0EEEvT1_.uses_flat_scratch, 0
	.set _ZN7rocprim17ROCPRIM_400000_NS6detail17trampoline_kernelINS0_14default_configENS1_27scan_by_key_config_selectorIjjEEZZNS1_16scan_by_key_implILNS1_25lookback_scan_determinismE0ELb0ES3_N6thrust23THRUST_200600_302600_NS6detail15normal_iteratorINS9_10device_ptrIjEEEESE_SE_jNS9_4plusIvEENS9_8equal_toIvEEjEE10hipError_tPvRmT2_T3_T4_T5_mT6_T7_P12ihipStream_tbENKUlT_T0_E_clISt17integral_constantIbLb0EESY_IbLb1EEEEDaSU_SV_EUlSU_E_NS1_11comp_targetILNS1_3genE3ELNS1_11target_archE908ELNS1_3gpuE7ELNS1_3repE0EEENS1_30default_config_static_selectorELNS0_4arch9wavefront6targetE0EEEvT1_.has_dyn_sized_stack, 0
	.set _ZN7rocprim17ROCPRIM_400000_NS6detail17trampoline_kernelINS0_14default_configENS1_27scan_by_key_config_selectorIjjEEZZNS1_16scan_by_key_implILNS1_25lookback_scan_determinismE0ELb0ES3_N6thrust23THRUST_200600_302600_NS6detail15normal_iteratorINS9_10device_ptrIjEEEESE_SE_jNS9_4plusIvEENS9_8equal_toIvEEjEE10hipError_tPvRmT2_T3_T4_T5_mT6_T7_P12ihipStream_tbENKUlT_T0_E_clISt17integral_constantIbLb0EESY_IbLb1EEEEDaSU_SV_EUlSU_E_NS1_11comp_targetILNS1_3genE3ELNS1_11target_archE908ELNS1_3gpuE7ELNS1_3repE0EEENS1_30default_config_static_selectorELNS0_4arch9wavefront6targetE0EEEvT1_.has_recursion, 0
	.set _ZN7rocprim17ROCPRIM_400000_NS6detail17trampoline_kernelINS0_14default_configENS1_27scan_by_key_config_selectorIjjEEZZNS1_16scan_by_key_implILNS1_25lookback_scan_determinismE0ELb0ES3_N6thrust23THRUST_200600_302600_NS6detail15normal_iteratorINS9_10device_ptrIjEEEESE_SE_jNS9_4plusIvEENS9_8equal_toIvEEjEE10hipError_tPvRmT2_T3_T4_T5_mT6_T7_P12ihipStream_tbENKUlT_T0_E_clISt17integral_constantIbLb0EESY_IbLb1EEEEDaSU_SV_EUlSU_E_NS1_11comp_targetILNS1_3genE3ELNS1_11target_archE908ELNS1_3gpuE7ELNS1_3repE0EEENS1_30default_config_static_selectorELNS0_4arch9wavefront6targetE0EEEvT1_.has_indirect_call, 0
	.section	.AMDGPU.csdata,"",@progbits
; Kernel info:
; codeLenInByte = 0
; TotalNumSgprs: 0
; NumVgprs: 0
; ScratchSize: 0
; MemoryBound: 0
; FloatMode: 240
; IeeeMode: 1
; LDSByteSize: 0 bytes/workgroup (compile time only)
; SGPRBlocks: 0
; VGPRBlocks: 0
; NumSGPRsForWavesPerEU: 1
; NumVGPRsForWavesPerEU: 1
; Occupancy: 16
; WaveLimiterHint : 0
; COMPUTE_PGM_RSRC2:SCRATCH_EN: 0
; COMPUTE_PGM_RSRC2:USER_SGPR: 6
; COMPUTE_PGM_RSRC2:TRAP_HANDLER: 0
; COMPUTE_PGM_RSRC2:TGID_X_EN: 1
; COMPUTE_PGM_RSRC2:TGID_Y_EN: 0
; COMPUTE_PGM_RSRC2:TGID_Z_EN: 0
; COMPUTE_PGM_RSRC2:TIDIG_COMP_CNT: 0
	.section	.text._ZN7rocprim17ROCPRIM_400000_NS6detail17trampoline_kernelINS0_14default_configENS1_27scan_by_key_config_selectorIjjEEZZNS1_16scan_by_key_implILNS1_25lookback_scan_determinismE0ELb0ES3_N6thrust23THRUST_200600_302600_NS6detail15normal_iteratorINS9_10device_ptrIjEEEESE_SE_jNS9_4plusIvEENS9_8equal_toIvEEjEE10hipError_tPvRmT2_T3_T4_T5_mT6_T7_P12ihipStream_tbENKUlT_T0_E_clISt17integral_constantIbLb0EESY_IbLb1EEEEDaSU_SV_EUlSU_E_NS1_11comp_targetILNS1_3genE2ELNS1_11target_archE906ELNS1_3gpuE6ELNS1_3repE0EEENS1_30default_config_static_selectorELNS0_4arch9wavefront6targetE0EEEvT1_,"axG",@progbits,_ZN7rocprim17ROCPRIM_400000_NS6detail17trampoline_kernelINS0_14default_configENS1_27scan_by_key_config_selectorIjjEEZZNS1_16scan_by_key_implILNS1_25lookback_scan_determinismE0ELb0ES3_N6thrust23THRUST_200600_302600_NS6detail15normal_iteratorINS9_10device_ptrIjEEEESE_SE_jNS9_4plusIvEENS9_8equal_toIvEEjEE10hipError_tPvRmT2_T3_T4_T5_mT6_T7_P12ihipStream_tbENKUlT_T0_E_clISt17integral_constantIbLb0EESY_IbLb1EEEEDaSU_SV_EUlSU_E_NS1_11comp_targetILNS1_3genE2ELNS1_11target_archE906ELNS1_3gpuE6ELNS1_3repE0EEENS1_30default_config_static_selectorELNS0_4arch9wavefront6targetE0EEEvT1_,comdat
	.protected	_ZN7rocprim17ROCPRIM_400000_NS6detail17trampoline_kernelINS0_14default_configENS1_27scan_by_key_config_selectorIjjEEZZNS1_16scan_by_key_implILNS1_25lookback_scan_determinismE0ELb0ES3_N6thrust23THRUST_200600_302600_NS6detail15normal_iteratorINS9_10device_ptrIjEEEESE_SE_jNS9_4plusIvEENS9_8equal_toIvEEjEE10hipError_tPvRmT2_T3_T4_T5_mT6_T7_P12ihipStream_tbENKUlT_T0_E_clISt17integral_constantIbLb0EESY_IbLb1EEEEDaSU_SV_EUlSU_E_NS1_11comp_targetILNS1_3genE2ELNS1_11target_archE906ELNS1_3gpuE6ELNS1_3repE0EEENS1_30default_config_static_selectorELNS0_4arch9wavefront6targetE0EEEvT1_ ; -- Begin function _ZN7rocprim17ROCPRIM_400000_NS6detail17trampoline_kernelINS0_14default_configENS1_27scan_by_key_config_selectorIjjEEZZNS1_16scan_by_key_implILNS1_25lookback_scan_determinismE0ELb0ES3_N6thrust23THRUST_200600_302600_NS6detail15normal_iteratorINS9_10device_ptrIjEEEESE_SE_jNS9_4plusIvEENS9_8equal_toIvEEjEE10hipError_tPvRmT2_T3_T4_T5_mT6_T7_P12ihipStream_tbENKUlT_T0_E_clISt17integral_constantIbLb0EESY_IbLb1EEEEDaSU_SV_EUlSU_E_NS1_11comp_targetILNS1_3genE2ELNS1_11target_archE906ELNS1_3gpuE6ELNS1_3repE0EEENS1_30default_config_static_selectorELNS0_4arch9wavefront6targetE0EEEvT1_
	.globl	_ZN7rocprim17ROCPRIM_400000_NS6detail17trampoline_kernelINS0_14default_configENS1_27scan_by_key_config_selectorIjjEEZZNS1_16scan_by_key_implILNS1_25lookback_scan_determinismE0ELb0ES3_N6thrust23THRUST_200600_302600_NS6detail15normal_iteratorINS9_10device_ptrIjEEEESE_SE_jNS9_4plusIvEENS9_8equal_toIvEEjEE10hipError_tPvRmT2_T3_T4_T5_mT6_T7_P12ihipStream_tbENKUlT_T0_E_clISt17integral_constantIbLb0EESY_IbLb1EEEEDaSU_SV_EUlSU_E_NS1_11comp_targetILNS1_3genE2ELNS1_11target_archE906ELNS1_3gpuE6ELNS1_3repE0EEENS1_30default_config_static_selectorELNS0_4arch9wavefront6targetE0EEEvT1_
	.p2align	8
	.type	_ZN7rocprim17ROCPRIM_400000_NS6detail17trampoline_kernelINS0_14default_configENS1_27scan_by_key_config_selectorIjjEEZZNS1_16scan_by_key_implILNS1_25lookback_scan_determinismE0ELb0ES3_N6thrust23THRUST_200600_302600_NS6detail15normal_iteratorINS9_10device_ptrIjEEEESE_SE_jNS9_4plusIvEENS9_8equal_toIvEEjEE10hipError_tPvRmT2_T3_T4_T5_mT6_T7_P12ihipStream_tbENKUlT_T0_E_clISt17integral_constantIbLb0EESY_IbLb1EEEEDaSU_SV_EUlSU_E_NS1_11comp_targetILNS1_3genE2ELNS1_11target_archE906ELNS1_3gpuE6ELNS1_3repE0EEENS1_30default_config_static_selectorELNS0_4arch9wavefront6targetE0EEEvT1_,@function
_ZN7rocprim17ROCPRIM_400000_NS6detail17trampoline_kernelINS0_14default_configENS1_27scan_by_key_config_selectorIjjEEZZNS1_16scan_by_key_implILNS1_25lookback_scan_determinismE0ELb0ES3_N6thrust23THRUST_200600_302600_NS6detail15normal_iteratorINS9_10device_ptrIjEEEESE_SE_jNS9_4plusIvEENS9_8equal_toIvEEjEE10hipError_tPvRmT2_T3_T4_T5_mT6_T7_P12ihipStream_tbENKUlT_T0_E_clISt17integral_constantIbLb0EESY_IbLb1EEEEDaSU_SV_EUlSU_E_NS1_11comp_targetILNS1_3genE2ELNS1_11target_archE906ELNS1_3gpuE6ELNS1_3repE0EEENS1_30default_config_static_selectorELNS0_4arch9wavefront6targetE0EEEvT1_: ; @_ZN7rocprim17ROCPRIM_400000_NS6detail17trampoline_kernelINS0_14default_configENS1_27scan_by_key_config_selectorIjjEEZZNS1_16scan_by_key_implILNS1_25lookback_scan_determinismE0ELb0ES3_N6thrust23THRUST_200600_302600_NS6detail15normal_iteratorINS9_10device_ptrIjEEEESE_SE_jNS9_4plusIvEENS9_8equal_toIvEEjEE10hipError_tPvRmT2_T3_T4_T5_mT6_T7_P12ihipStream_tbENKUlT_T0_E_clISt17integral_constantIbLb0EESY_IbLb1EEEEDaSU_SV_EUlSU_E_NS1_11comp_targetILNS1_3genE2ELNS1_11target_archE906ELNS1_3gpuE6ELNS1_3repE0EEENS1_30default_config_static_selectorELNS0_4arch9wavefront6targetE0EEEvT1_
; %bb.0:
	.section	.rodata,"a",@progbits
	.p2align	6, 0x0
	.amdhsa_kernel _ZN7rocprim17ROCPRIM_400000_NS6detail17trampoline_kernelINS0_14default_configENS1_27scan_by_key_config_selectorIjjEEZZNS1_16scan_by_key_implILNS1_25lookback_scan_determinismE0ELb0ES3_N6thrust23THRUST_200600_302600_NS6detail15normal_iteratorINS9_10device_ptrIjEEEESE_SE_jNS9_4plusIvEENS9_8equal_toIvEEjEE10hipError_tPvRmT2_T3_T4_T5_mT6_T7_P12ihipStream_tbENKUlT_T0_E_clISt17integral_constantIbLb0EESY_IbLb1EEEEDaSU_SV_EUlSU_E_NS1_11comp_targetILNS1_3genE2ELNS1_11target_archE906ELNS1_3gpuE6ELNS1_3repE0EEENS1_30default_config_static_selectorELNS0_4arch9wavefront6targetE0EEEvT1_
		.amdhsa_group_segment_fixed_size 0
		.amdhsa_private_segment_fixed_size 0
		.amdhsa_kernarg_size 112
		.amdhsa_user_sgpr_count 6
		.amdhsa_user_sgpr_private_segment_buffer 1
		.amdhsa_user_sgpr_dispatch_ptr 0
		.amdhsa_user_sgpr_queue_ptr 0
		.amdhsa_user_sgpr_kernarg_segment_ptr 1
		.amdhsa_user_sgpr_dispatch_id 0
		.amdhsa_user_sgpr_flat_scratch_init 0
		.amdhsa_user_sgpr_private_segment_size 0
		.amdhsa_wavefront_size32 1
		.amdhsa_uses_dynamic_stack 0
		.amdhsa_system_sgpr_private_segment_wavefront_offset 0
		.amdhsa_system_sgpr_workgroup_id_x 1
		.amdhsa_system_sgpr_workgroup_id_y 0
		.amdhsa_system_sgpr_workgroup_id_z 0
		.amdhsa_system_sgpr_workgroup_info 0
		.amdhsa_system_vgpr_workitem_id 0
		.amdhsa_next_free_vgpr 1
		.amdhsa_next_free_sgpr 1
		.amdhsa_reserve_vcc 0
		.amdhsa_reserve_flat_scratch 0
		.amdhsa_float_round_mode_32 0
		.amdhsa_float_round_mode_16_64 0
		.amdhsa_float_denorm_mode_32 3
		.amdhsa_float_denorm_mode_16_64 3
		.amdhsa_dx10_clamp 1
		.amdhsa_ieee_mode 1
		.amdhsa_fp16_overflow 0
		.amdhsa_workgroup_processor_mode 1
		.amdhsa_memory_ordered 1
		.amdhsa_forward_progress 1
		.amdhsa_shared_vgpr_count 0
		.amdhsa_exception_fp_ieee_invalid_op 0
		.amdhsa_exception_fp_denorm_src 0
		.amdhsa_exception_fp_ieee_div_zero 0
		.amdhsa_exception_fp_ieee_overflow 0
		.amdhsa_exception_fp_ieee_underflow 0
		.amdhsa_exception_fp_ieee_inexact 0
		.amdhsa_exception_int_div_zero 0
	.end_amdhsa_kernel
	.section	.text._ZN7rocprim17ROCPRIM_400000_NS6detail17trampoline_kernelINS0_14default_configENS1_27scan_by_key_config_selectorIjjEEZZNS1_16scan_by_key_implILNS1_25lookback_scan_determinismE0ELb0ES3_N6thrust23THRUST_200600_302600_NS6detail15normal_iteratorINS9_10device_ptrIjEEEESE_SE_jNS9_4plusIvEENS9_8equal_toIvEEjEE10hipError_tPvRmT2_T3_T4_T5_mT6_T7_P12ihipStream_tbENKUlT_T0_E_clISt17integral_constantIbLb0EESY_IbLb1EEEEDaSU_SV_EUlSU_E_NS1_11comp_targetILNS1_3genE2ELNS1_11target_archE906ELNS1_3gpuE6ELNS1_3repE0EEENS1_30default_config_static_selectorELNS0_4arch9wavefront6targetE0EEEvT1_,"axG",@progbits,_ZN7rocprim17ROCPRIM_400000_NS6detail17trampoline_kernelINS0_14default_configENS1_27scan_by_key_config_selectorIjjEEZZNS1_16scan_by_key_implILNS1_25lookback_scan_determinismE0ELb0ES3_N6thrust23THRUST_200600_302600_NS6detail15normal_iteratorINS9_10device_ptrIjEEEESE_SE_jNS9_4plusIvEENS9_8equal_toIvEEjEE10hipError_tPvRmT2_T3_T4_T5_mT6_T7_P12ihipStream_tbENKUlT_T0_E_clISt17integral_constantIbLb0EESY_IbLb1EEEEDaSU_SV_EUlSU_E_NS1_11comp_targetILNS1_3genE2ELNS1_11target_archE906ELNS1_3gpuE6ELNS1_3repE0EEENS1_30default_config_static_selectorELNS0_4arch9wavefront6targetE0EEEvT1_,comdat
.Lfunc_end1861:
	.size	_ZN7rocprim17ROCPRIM_400000_NS6detail17trampoline_kernelINS0_14default_configENS1_27scan_by_key_config_selectorIjjEEZZNS1_16scan_by_key_implILNS1_25lookback_scan_determinismE0ELb0ES3_N6thrust23THRUST_200600_302600_NS6detail15normal_iteratorINS9_10device_ptrIjEEEESE_SE_jNS9_4plusIvEENS9_8equal_toIvEEjEE10hipError_tPvRmT2_T3_T4_T5_mT6_T7_P12ihipStream_tbENKUlT_T0_E_clISt17integral_constantIbLb0EESY_IbLb1EEEEDaSU_SV_EUlSU_E_NS1_11comp_targetILNS1_3genE2ELNS1_11target_archE906ELNS1_3gpuE6ELNS1_3repE0EEENS1_30default_config_static_selectorELNS0_4arch9wavefront6targetE0EEEvT1_, .Lfunc_end1861-_ZN7rocprim17ROCPRIM_400000_NS6detail17trampoline_kernelINS0_14default_configENS1_27scan_by_key_config_selectorIjjEEZZNS1_16scan_by_key_implILNS1_25lookback_scan_determinismE0ELb0ES3_N6thrust23THRUST_200600_302600_NS6detail15normal_iteratorINS9_10device_ptrIjEEEESE_SE_jNS9_4plusIvEENS9_8equal_toIvEEjEE10hipError_tPvRmT2_T3_T4_T5_mT6_T7_P12ihipStream_tbENKUlT_T0_E_clISt17integral_constantIbLb0EESY_IbLb1EEEEDaSU_SV_EUlSU_E_NS1_11comp_targetILNS1_3genE2ELNS1_11target_archE906ELNS1_3gpuE6ELNS1_3repE0EEENS1_30default_config_static_selectorELNS0_4arch9wavefront6targetE0EEEvT1_
                                        ; -- End function
	.set _ZN7rocprim17ROCPRIM_400000_NS6detail17trampoline_kernelINS0_14default_configENS1_27scan_by_key_config_selectorIjjEEZZNS1_16scan_by_key_implILNS1_25lookback_scan_determinismE0ELb0ES3_N6thrust23THRUST_200600_302600_NS6detail15normal_iteratorINS9_10device_ptrIjEEEESE_SE_jNS9_4plusIvEENS9_8equal_toIvEEjEE10hipError_tPvRmT2_T3_T4_T5_mT6_T7_P12ihipStream_tbENKUlT_T0_E_clISt17integral_constantIbLb0EESY_IbLb1EEEEDaSU_SV_EUlSU_E_NS1_11comp_targetILNS1_3genE2ELNS1_11target_archE906ELNS1_3gpuE6ELNS1_3repE0EEENS1_30default_config_static_selectorELNS0_4arch9wavefront6targetE0EEEvT1_.num_vgpr, 0
	.set _ZN7rocprim17ROCPRIM_400000_NS6detail17trampoline_kernelINS0_14default_configENS1_27scan_by_key_config_selectorIjjEEZZNS1_16scan_by_key_implILNS1_25lookback_scan_determinismE0ELb0ES3_N6thrust23THRUST_200600_302600_NS6detail15normal_iteratorINS9_10device_ptrIjEEEESE_SE_jNS9_4plusIvEENS9_8equal_toIvEEjEE10hipError_tPvRmT2_T3_T4_T5_mT6_T7_P12ihipStream_tbENKUlT_T0_E_clISt17integral_constantIbLb0EESY_IbLb1EEEEDaSU_SV_EUlSU_E_NS1_11comp_targetILNS1_3genE2ELNS1_11target_archE906ELNS1_3gpuE6ELNS1_3repE0EEENS1_30default_config_static_selectorELNS0_4arch9wavefront6targetE0EEEvT1_.num_agpr, 0
	.set _ZN7rocprim17ROCPRIM_400000_NS6detail17trampoline_kernelINS0_14default_configENS1_27scan_by_key_config_selectorIjjEEZZNS1_16scan_by_key_implILNS1_25lookback_scan_determinismE0ELb0ES3_N6thrust23THRUST_200600_302600_NS6detail15normal_iteratorINS9_10device_ptrIjEEEESE_SE_jNS9_4plusIvEENS9_8equal_toIvEEjEE10hipError_tPvRmT2_T3_T4_T5_mT6_T7_P12ihipStream_tbENKUlT_T0_E_clISt17integral_constantIbLb0EESY_IbLb1EEEEDaSU_SV_EUlSU_E_NS1_11comp_targetILNS1_3genE2ELNS1_11target_archE906ELNS1_3gpuE6ELNS1_3repE0EEENS1_30default_config_static_selectorELNS0_4arch9wavefront6targetE0EEEvT1_.numbered_sgpr, 0
	.set _ZN7rocprim17ROCPRIM_400000_NS6detail17trampoline_kernelINS0_14default_configENS1_27scan_by_key_config_selectorIjjEEZZNS1_16scan_by_key_implILNS1_25lookback_scan_determinismE0ELb0ES3_N6thrust23THRUST_200600_302600_NS6detail15normal_iteratorINS9_10device_ptrIjEEEESE_SE_jNS9_4plusIvEENS9_8equal_toIvEEjEE10hipError_tPvRmT2_T3_T4_T5_mT6_T7_P12ihipStream_tbENKUlT_T0_E_clISt17integral_constantIbLb0EESY_IbLb1EEEEDaSU_SV_EUlSU_E_NS1_11comp_targetILNS1_3genE2ELNS1_11target_archE906ELNS1_3gpuE6ELNS1_3repE0EEENS1_30default_config_static_selectorELNS0_4arch9wavefront6targetE0EEEvT1_.num_named_barrier, 0
	.set _ZN7rocprim17ROCPRIM_400000_NS6detail17trampoline_kernelINS0_14default_configENS1_27scan_by_key_config_selectorIjjEEZZNS1_16scan_by_key_implILNS1_25lookback_scan_determinismE0ELb0ES3_N6thrust23THRUST_200600_302600_NS6detail15normal_iteratorINS9_10device_ptrIjEEEESE_SE_jNS9_4plusIvEENS9_8equal_toIvEEjEE10hipError_tPvRmT2_T3_T4_T5_mT6_T7_P12ihipStream_tbENKUlT_T0_E_clISt17integral_constantIbLb0EESY_IbLb1EEEEDaSU_SV_EUlSU_E_NS1_11comp_targetILNS1_3genE2ELNS1_11target_archE906ELNS1_3gpuE6ELNS1_3repE0EEENS1_30default_config_static_selectorELNS0_4arch9wavefront6targetE0EEEvT1_.private_seg_size, 0
	.set _ZN7rocprim17ROCPRIM_400000_NS6detail17trampoline_kernelINS0_14default_configENS1_27scan_by_key_config_selectorIjjEEZZNS1_16scan_by_key_implILNS1_25lookback_scan_determinismE0ELb0ES3_N6thrust23THRUST_200600_302600_NS6detail15normal_iteratorINS9_10device_ptrIjEEEESE_SE_jNS9_4plusIvEENS9_8equal_toIvEEjEE10hipError_tPvRmT2_T3_T4_T5_mT6_T7_P12ihipStream_tbENKUlT_T0_E_clISt17integral_constantIbLb0EESY_IbLb1EEEEDaSU_SV_EUlSU_E_NS1_11comp_targetILNS1_3genE2ELNS1_11target_archE906ELNS1_3gpuE6ELNS1_3repE0EEENS1_30default_config_static_selectorELNS0_4arch9wavefront6targetE0EEEvT1_.uses_vcc, 0
	.set _ZN7rocprim17ROCPRIM_400000_NS6detail17trampoline_kernelINS0_14default_configENS1_27scan_by_key_config_selectorIjjEEZZNS1_16scan_by_key_implILNS1_25lookback_scan_determinismE0ELb0ES3_N6thrust23THRUST_200600_302600_NS6detail15normal_iteratorINS9_10device_ptrIjEEEESE_SE_jNS9_4plusIvEENS9_8equal_toIvEEjEE10hipError_tPvRmT2_T3_T4_T5_mT6_T7_P12ihipStream_tbENKUlT_T0_E_clISt17integral_constantIbLb0EESY_IbLb1EEEEDaSU_SV_EUlSU_E_NS1_11comp_targetILNS1_3genE2ELNS1_11target_archE906ELNS1_3gpuE6ELNS1_3repE0EEENS1_30default_config_static_selectorELNS0_4arch9wavefront6targetE0EEEvT1_.uses_flat_scratch, 0
	.set _ZN7rocprim17ROCPRIM_400000_NS6detail17trampoline_kernelINS0_14default_configENS1_27scan_by_key_config_selectorIjjEEZZNS1_16scan_by_key_implILNS1_25lookback_scan_determinismE0ELb0ES3_N6thrust23THRUST_200600_302600_NS6detail15normal_iteratorINS9_10device_ptrIjEEEESE_SE_jNS9_4plusIvEENS9_8equal_toIvEEjEE10hipError_tPvRmT2_T3_T4_T5_mT6_T7_P12ihipStream_tbENKUlT_T0_E_clISt17integral_constantIbLb0EESY_IbLb1EEEEDaSU_SV_EUlSU_E_NS1_11comp_targetILNS1_3genE2ELNS1_11target_archE906ELNS1_3gpuE6ELNS1_3repE0EEENS1_30default_config_static_selectorELNS0_4arch9wavefront6targetE0EEEvT1_.has_dyn_sized_stack, 0
	.set _ZN7rocprim17ROCPRIM_400000_NS6detail17trampoline_kernelINS0_14default_configENS1_27scan_by_key_config_selectorIjjEEZZNS1_16scan_by_key_implILNS1_25lookback_scan_determinismE0ELb0ES3_N6thrust23THRUST_200600_302600_NS6detail15normal_iteratorINS9_10device_ptrIjEEEESE_SE_jNS9_4plusIvEENS9_8equal_toIvEEjEE10hipError_tPvRmT2_T3_T4_T5_mT6_T7_P12ihipStream_tbENKUlT_T0_E_clISt17integral_constantIbLb0EESY_IbLb1EEEEDaSU_SV_EUlSU_E_NS1_11comp_targetILNS1_3genE2ELNS1_11target_archE906ELNS1_3gpuE6ELNS1_3repE0EEENS1_30default_config_static_selectorELNS0_4arch9wavefront6targetE0EEEvT1_.has_recursion, 0
	.set _ZN7rocprim17ROCPRIM_400000_NS6detail17trampoline_kernelINS0_14default_configENS1_27scan_by_key_config_selectorIjjEEZZNS1_16scan_by_key_implILNS1_25lookback_scan_determinismE0ELb0ES3_N6thrust23THRUST_200600_302600_NS6detail15normal_iteratorINS9_10device_ptrIjEEEESE_SE_jNS9_4plusIvEENS9_8equal_toIvEEjEE10hipError_tPvRmT2_T3_T4_T5_mT6_T7_P12ihipStream_tbENKUlT_T0_E_clISt17integral_constantIbLb0EESY_IbLb1EEEEDaSU_SV_EUlSU_E_NS1_11comp_targetILNS1_3genE2ELNS1_11target_archE906ELNS1_3gpuE6ELNS1_3repE0EEENS1_30default_config_static_selectorELNS0_4arch9wavefront6targetE0EEEvT1_.has_indirect_call, 0
	.section	.AMDGPU.csdata,"",@progbits
; Kernel info:
; codeLenInByte = 0
; TotalNumSgprs: 0
; NumVgprs: 0
; ScratchSize: 0
; MemoryBound: 0
; FloatMode: 240
; IeeeMode: 1
; LDSByteSize: 0 bytes/workgroup (compile time only)
; SGPRBlocks: 0
; VGPRBlocks: 0
; NumSGPRsForWavesPerEU: 1
; NumVGPRsForWavesPerEU: 1
; Occupancy: 16
; WaveLimiterHint : 0
; COMPUTE_PGM_RSRC2:SCRATCH_EN: 0
; COMPUTE_PGM_RSRC2:USER_SGPR: 6
; COMPUTE_PGM_RSRC2:TRAP_HANDLER: 0
; COMPUTE_PGM_RSRC2:TGID_X_EN: 1
; COMPUTE_PGM_RSRC2:TGID_Y_EN: 0
; COMPUTE_PGM_RSRC2:TGID_Z_EN: 0
; COMPUTE_PGM_RSRC2:TIDIG_COMP_CNT: 0
	.section	.text._ZN7rocprim17ROCPRIM_400000_NS6detail17trampoline_kernelINS0_14default_configENS1_27scan_by_key_config_selectorIjjEEZZNS1_16scan_by_key_implILNS1_25lookback_scan_determinismE0ELb0ES3_N6thrust23THRUST_200600_302600_NS6detail15normal_iteratorINS9_10device_ptrIjEEEESE_SE_jNS9_4plusIvEENS9_8equal_toIvEEjEE10hipError_tPvRmT2_T3_T4_T5_mT6_T7_P12ihipStream_tbENKUlT_T0_E_clISt17integral_constantIbLb0EESY_IbLb1EEEEDaSU_SV_EUlSU_E_NS1_11comp_targetILNS1_3genE10ELNS1_11target_archE1200ELNS1_3gpuE4ELNS1_3repE0EEENS1_30default_config_static_selectorELNS0_4arch9wavefront6targetE0EEEvT1_,"axG",@progbits,_ZN7rocprim17ROCPRIM_400000_NS6detail17trampoline_kernelINS0_14default_configENS1_27scan_by_key_config_selectorIjjEEZZNS1_16scan_by_key_implILNS1_25lookback_scan_determinismE0ELb0ES3_N6thrust23THRUST_200600_302600_NS6detail15normal_iteratorINS9_10device_ptrIjEEEESE_SE_jNS9_4plusIvEENS9_8equal_toIvEEjEE10hipError_tPvRmT2_T3_T4_T5_mT6_T7_P12ihipStream_tbENKUlT_T0_E_clISt17integral_constantIbLb0EESY_IbLb1EEEEDaSU_SV_EUlSU_E_NS1_11comp_targetILNS1_3genE10ELNS1_11target_archE1200ELNS1_3gpuE4ELNS1_3repE0EEENS1_30default_config_static_selectorELNS0_4arch9wavefront6targetE0EEEvT1_,comdat
	.protected	_ZN7rocprim17ROCPRIM_400000_NS6detail17trampoline_kernelINS0_14default_configENS1_27scan_by_key_config_selectorIjjEEZZNS1_16scan_by_key_implILNS1_25lookback_scan_determinismE0ELb0ES3_N6thrust23THRUST_200600_302600_NS6detail15normal_iteratorINS9_10device_ptrIjEEEESE_SE_jNS9_4plusIvEENS9_8equal_toIvEEjEE10hipError_tPvRmT2_T3_T4_T5_mT6_T7_P12ihipStream_tbENKUlT_T0_E_clISt17integral_constantIbLb0EESY_IbLb1EEEEDaSU_SV_EUlSU_E_NS1_11comp_targetILNS1_3genE10ELNS1_11target_archE1200ELNS1_3gpuE4ELNS1_3repE0EEENS1_30default_config_static_selectorELNS0_4arch9wavefront6targetE0EEEvT1_ ; -- Begin function _ZN7rocprim17ROCPRIM_400000_NS6detail17trampoline_kernelINS0_14default_configENS1_27scan_by_key_config_selectorIjjEEZZNS1_16scan_by_key_implILNS1_25lookback_scan_determinismE0ELb0ES3_N6thrust23THRUST_200600_302600_NS6detail15normal_iteratorINS9_10device_ptrIjEEEESE_SE_jNS9_4plusIvEENS9_8equal_toIvEEjEE10hipError_tPvRmT2_T3_T4_T5_mT6_T7_P12ihipStream_tbENKUlT_T0_E_clISt17integral_constantIbLb0EESY_IbLb1EEEEDaSU_SV_EUlSU_E_NS1_11comp_targetILNS1_3genE10ELNS1_11target_archE1200ELNS1_3gpuE4ELNS1_3repE0EEENS1_30default_config_static_selectorELNS0_4arch9wavefront6targetE0EEEvT1_
	.globl	_ZN7rocprim17ROCPRIM_400000_NS6detail17trampoline_kernelINS0_14default_configENS1_27scan_by_key_config_selectorIjjEEZZNS1_16scan_by_key_implILNS1_25lookback_scan_determinismE0ELb0ES3_N6thrust23THRUST_200600_302600_NS6detail15normal_iteratorINS9_10device_ptrIjEEEESE_SE_jNS9_4plusIvEENS9_8equal_toIvEEjEE10hipError_tPvRmT2_T3_T4_T5_mT6_T7_P12ihipStream_tbENKUlT_T0_E_clISt17integral_constantIbLb0EESY_IbLb1EEEEDaSU_SV_EUlSU_E_NS1_11comp_targetILNS1_3genE10ELNS1_11target_archE1200ELNS1_3gpuE4ELNS1_3repE0EEENS1_30default_config_static_selectorELNS0_4arch9wavefront6targetE0EEEvT1_
	.p2align	8
	.type	_ZN7rocprim17ROCPRIM_400000_NS6detail17trampoline_kernelINS0_14default_configENS1_27scan_by_key_config_selectorIjjEEZZNS1_16scan_by_key_implILNS1_25lookback_scan_determinismE0ELb0ES3_N6thrust23THRUST_200600_302600_NS6detail15normal_iteratorINS9_10device_ptrIjEEEESE_SE_jNS9_4plusIvEENS9_8equal_toIvEEjEE10hipError_tPvRmT2_T3_T4_T5_mT6_T7_P12ihipStream_tbENKUlT_T0_E_clISt17integral_constantIbLb0EESY_IbLb1EEEEDaSU_SV_EUlSU_E_NS1_11comp_targetILNS1_3genE10ELNS1_11target_archE1200ELNS1_3gpuE4ELNS1_3repE0EEENS1_30default_config_static_selectorELNS0_4arch9wavefront6targetE0EEEvT1_,@function
_ZN7rocprim17ROCPRIM_400000_NS6detail17trampoline_kernelINS0_14default_configENS1_27scan_by_key_config_selectorIjjEEZZNS1_16scan_by_key_implILNS1_25lookback_scan_determinismE0ELb0ES3_N6thrust23THRUST_200600_302600_NS6detail15normal_iteratorINS9_10device_ptrIjEEEESE_SE_jNS9_4plusIvEENS9_8equal_toIvEEjEE10hipError_tPvRmT2_T3_T4_T5_mT6_T7_P12ihipStream_tbENKUlT_T0_E_clISt17integral_constantIbLb0EESY_IbLb1EEEEDaSU_SV_EUlSU_E_NS1_11comp_targetILNS1_3genE10ELNS1_11target_archE1200ELNS1_3gpuE4ELNS1_3repE0EEENS1_30default_config_static_selectorELNS0_4arch9wavefront6targetE0EEEvT1_: ; @_ZN7rocprim17ROCPRIM_400000_NS6detail17trampoline_kernelINS0_14default_configENS1_27scan_by_key_config_selectorIjjEEZZNS1_16scan_by_key_implILNS1_25lookback_scan_determinismE0ELb0ES3_N6thrust23THRUST_200600_302600_NS6detail15normal_iteratorINS9_10device_ptrIjEEEESE_SE_jNS9_4plusIvEENS9_8equal_toIvEEjEE10hipError_tPvRmT2_T3_T4_T5_mT6_T7_P12ihipStream_tbENKUlT_T0_E_clISt17integral_constantIbLb0EESY_IbLb1EEEEDaSU_SV_EUlSU_E_NS1_11comp_targetILNS1_3genE10ELNS1_11target_archE1200ELNS1_3gpuE4ELNS1_3repE0EEENS1_30default_config_static_selectorELNS0_4arch9wavefront6targetE0EEEvT1_
; %bb.0:
	.section	.rodata,"a",@progbits
	.p2align	6, 0x0
	.amdhsa_kernel _ZN7rocprim17ROCPRIM_400000_NS6detail17trampoline_kernelINS0_14default_configENS1_27scan_by_key_config_selectorIjjEEZZNS1_16scan_by_key_implILNS1_25lookback_scan_determinismE0ELb0ES3_N6thrust23THRUST_200600_302600_NS6detail15normal_iteratorINS9_10device_ptrIjEEEESE_SE_jNS9_4plusIvEENS9_8equal_toIvEEjEE10hipError_tPvRmT2_T3_T4_T5_mT6_T7_P12ihipStream_tbENKUlT_T0_E_clISt17integral_constantIbLb0EESY_IbLb1EEEEDaSU_SV_EUlSU_E_NS1_11comp_targetILNS1_3genE10ELNS1_11target_archE1200ELNS1_3gpuE4ELNS1_3repE0EEENS1_30default_config_static_selectorELNS0_4arch9wavefront6targetE0EEEvT1_
		.amdhsa_group_segment_fixed_size 0
		.amdhsa_private_segment_fixed_size 0
		.amdhsa_kernarg_size 112
		.amdhsa_user_sgpr_count 6
		.amdhsa_user_sgpr_private_segment_buffer 1
		.amdhsa_user_sgpr_dispatch_ptr 0
		.amdhsa_user_sgpr_queue_ptr 0
		.amdhsa_user_sgpr_kernarg_segment_ptr 1
		.amdhsa_user_sgpr_dispatch_id 0
		.amdhsa_user_sgpr_flat_scratch_init 0
		.amdhsa_user_sgpr_private_segment_size 0
		.amdhsa_wavefront_size32 1
		.amdhsa_uses_dynamic_stack 0
		.amdhsa_system_sgpr_private_segment_wavefront_offset 0
		.amdhsa_system_sgpr_workgroup_id_x 1
		.amdhsa_system_sgpr_workgroup_id_y 0
		.amdhsa_system_sgpr_workgroup_id_z 0
		.amdhsa_system_sgpr_workgroup_info 0
		.amdhsa_system_vgpr_workitem_id 0
		.amdhsa_next_free_vgpr 1
		.amdhsa_next_free_sgpr 1
		.amdhsa_reserve_vcc 0
		.amdhsa_reserve_flat_scratch 0
		.amdhsa_float_round_mode_32 0
		.amdhsa_float_round_mode_16_64 0
		.amdhsa_float_denorm_mode_32 3
		.amdhsa_float_denorm_mode_16_64 3
		.amdhsa_dx10_clamp 1
		.amdhsa_ieee_mode 1
		.amdhsa_fp16_overflow 0
		.amdhsa_workgroup_processor_mode 1
		.amdhsa_memory_ordered 1
		.amdhsa_forward_progress 1
		.amdhsa_shared_vgpr_count 0
		.amdhsa_exception_fp_ieee_invalid_op 0
		.amdhsa_exception_fp_denorm_src 0
		.amdhsa_exception_fp_ieee_div_zero 0
		.amdhsa_exception_fp_ieee_overflow 0
		.amdhsa_exception_fp_ieee_underflow 0
		.amdhsa_exception_fp_ieee_inexact 0
		.amdhsa_exception_int_div_zero 0
	.end_amdhsa_kernel
	.section	.text._ZN7rocprim17ROCPRIM_400000_NS6detail17trampoline_kernelINS0_14default_configENS1_27scan_by_key_config_selectorIjjEEZZNS1_16scan_by_key_implILNS1_25lookback_scan_determinismE0ELb0ES3_N6thrust23THRUST_200600_302600_NS6detail15normal_iteratorINS9_10device_ptrIjEEEESE_SE_jNS9_4plusIvEENS9_8equal_toIvEEjEE10hipError_tPvRmT2_T3_T4_T5_mT6_T7_P12ihipStream_tbENKUlT_T0_E_clISt17integral_constantIbLb0EESY_IbLb1EEEEDaSU_SV_EUlSU_E_NS1_11comp_targetILNS1_3genE10ELNS1_11target_archE1200ELNS1_3gpuE4ELNS1_3repE0EEENS1_30default_config_static_selectorELNS0_4arch9wavefront6targetE0EEEvT1_,"axG",@progbits,_ZN7rocprim17ROCPRIM_400000_NS6detail17trampoline_kernelINS0_14default_configENS1_27scan_by_key_config_selectorIjjEEZZNS1_16scan_by_key_implILNS1_25lookback_scan_determinismE0ELb0ES3_N6thrust23THRUST_200600_302600_NS6detail15normal_iteratorINS9_10device_ptrIjEEEESE_SE_jNS9_4plusIvEENS9_8equal_toIvEEjEE10hipError_tPvRmT2_T3_T4_T5_mT6_T7_P12ihipStream_tbENKUlT_T0_E_clISt17integral_constantIbLb0EESY_IbLb1EEEEDaSU_SV_EUlSU_E_NS1_11comp_targetILNS1_3genE10ELNS1_11target_archE1200ELNS1_3gpuE4ELNS1_3repE0EEENS1_30default_config_static_selectorELNS0_4arch9wavefront6targetE0EEEvT1_,comdat
.Lfunc_end1862:
	.size	_ZN7rocprim17ROCPRIM_400000_NS6detail17trampoline_kernelINS0_14default_configENS1_27scan_by_key_config_selectorIjjEEZZNS1_16scan_by_key_implILNS1_25lookback_scan_determinismE0ELb0ES3_N6thrust23THRUST_200600_302600_NS6detail15normal_iteratorINS9_10device_ptrIjEEEESE_SE_jNS9_4plusIvEENS9_8equal_toIvEEjEE10hipError_tPvRmT2_T3_T4_T5_mT6_T7_P12ihipStream_tbENKUlT_T0_E_clISt17integral_constantIbLb0EESY_IbLb1EEEEDaSU_SV_EUlSU_E_NS1_11comp_targetILNS1_3genE10ELNS1_11target_archE1200ELNS1_3gpuE4ELNS1_3repE0EEENS1_30default_config_static_selectorELNS0_4arch9wavefront6targetE0EEEvT1_, .Lfunc_end1862-_ZN7rocprim17ROCPRIM_400000_NS6detail17trampoline_kernelINS0_14default_configENS1_27scan_by_key_config_selectorIjjEEZZNS1_16scan_by_key_implILNS1_25lookback_scan_determinismE0ELb0ES3_N6thrust23THRUST_200600_302600_NS6detail15normal_iteratorINS9_10device_ptrIjEEEESE_SE_jNS9_4plusIvEENS9_8equal_toIvEEjEE10hipError_tPvRmT2_T3_T4_T5_mT6_T7_P12ihipStream_tbENKUlT_T0_E_clISt17integral_constantIbLb0EESY_IbLb1EEEEDaSU_SV_EUlSU_E_NS1_11comp_targetILNS1_3genE10ELNS1_11target_archE1200ELNS1_3gpuE4ELNS1_3repE0EEENS1_30default_config_static_selectorELNS0_4arch9wavefront6targetE0EEEvT1_
                                        ; -- End function
	.set _ZN7rocprim17ROCPRIM_400000_NS6detail17trampoline_kernelINS0_14default_configENS1_27scan_by_key_config_selectorIjjEEZZNS1_16scan_by_key_implILNS1_25lookback_scan_determinismE0ELb0ES3_N6thrust23THRUST_200600_302600_NS6detail15normal_iteratorINS9_10device_ptrIjEEEESE_SE_jNS9_4plusIvEENS9_8equal_toIvEEjEE10hipError_tPvRmT2_T3_T4_T5_mT6_T7_P12ihipStream_tbENKUlT_T0_E_clISt17integral_constantIbLb0EESY_IbLb1EEEEDaSU_SV_EUlSU_E_NS1_11comp_targetILNS1_3genE10ELNS1_11target_archE1200ELNS1_3gpuE4ELNS1_3repE0EEENS1_30default_config_static_selectorELNS0_4arch9wavefront6targetE0EEEvT1_.num_vgpr, 0
	.set _ZN7rocprim17ROCPRIM_400000_NS6detail17trampoline_kernelINS0_14default_configENS1_27scan_by_key_config_selectorIjjEEZZNS1_16scan_by_key_implILNS1_25lookback_scan_determinismE0ELb0ES3_N6thrust23THRUST_200600_302600_NS6detail15normal_iteratorINS9_10device_ptrIjEEEESE_SE_jNS9_4plusIvEENS9_8equal_toIvEEjEE10hipError_tPvRmT2_T3_T4_T5_mT6_T7_P12ihipStream_tbENKUlT_T0_E_clISt17integral_constantIbLb0EESY_IbLb1EEEEDaSU_SV_EUlSU_E_NS1_11comp_targetILNS1_3genE10ELNS1_11target_archE1200ELNS1_3gpuE4ELNS1_3repE0EEENS1_30default_config_static_selectorELNS0_4arch9wavefront6targetE0EEEvT1_.num_agpr, 0
	.set _ZN7rocprim17ROCPRIM_400000_NS6detail17trampoline_kernelINS0_14default_configENS1_27scan_by_key_config_selectorIjjEEZZNS1_16scan_by_key_implILNS1_25lookback_scan_determinismE0ELb0ES3_N6thrust23THRUST_200600_302600_NS6detail15normal_iteratorINS9_10device_ptrIjEEEESE_SE_jNS9_4plusIvEENS9_8equal_toIvEEjEE10hipError_tPvRmT2_T3_T4_T5_mT6_T7_P12ihipStream_tbENKUlT_T0_E_clISt17integral_constantIbLb0EESY_IbLb1EEEEDaSU_SV_EUlSU_E_NS1_11comp_targetILNS1_3genE10ELNS1_11target_archE1200ELNS1_3gpuE4ELNS1_3repE0EEENS1_30default_config_static_selectorELNS0_4arch9wavefront6targetE0EEEvT1_.numbered_sgpr, 0
	.set _ZN7rocprim17ROCPRIM_400000_NS6detail17trampoline_kernelINS0_14default_configENS1_27scan_by_key_config_selectorIjjEEZZNS1_16scan_by_key_implILNS1_25lookback_scan_determinismE0ELb0ES3_N6thrust23THRUST_200600_302600_NS6detail15normal_iteratorINS9_10device_ptrIjEEEESE_SE_jNS9_4plusIvEENS9_8equal_toIvEEjEE10hipError_tPvRmT2_T3_T4_T5_mT6_T7_P12ihipStream_tbENKUlT_T0_E_clISt17integral_constantIbLb0EESY_IbLb1EEEEDaSU_SV_EUlSU_E_NS1_11comp_targetILNS1_3genE10ELNS1_11target_archE1200ELNS1_3gpuE4ELNS1_3repE0EEENS1_30default_config_static_selectorELNS0_4arch9wavefront6targetE0EEEvT1_.num_named_barrier, 0
	.set _ZN7rocprim17ROCPRIM_400000_NS6detail17trampoline_kernelINS0_14default_configENS1_27scan_by_key_config_selectorIjjEEZZNS1_16scan_by_key_implILNS1_25lookback_scan_determinismE0ELb0ES3_N6thrust23THRUST_200600_302600_NS6detail15normal_iteratorINS9_10device_ptrIjEEEESE_SE_jNS9_4plusIvEENS9_8equal_toIvEEjEE10hipError_tPvRmT2_T3_T4_T5_mT6_T7_P12ihipStream_tbENKUlT_T0_E_clISt17integral_constantIbLb0EESY_IbLb1EEEEDaSU_SV_EUlSU_E_NS1_11comp_targetILNS1_3genE10ELNS1_11target_archE1200ELNS1_3gpuE4ELNS1_3repE0EEENS1_30default_config_static_selectorELNS0_4arch9wavefront6targetE0EEEvT1_.private_seg_size, 0
	.set _ZN7rocprim17ROCPRIM_400000_NS6detail17trampoline_kernelINS0_14default_configENS1_27scan_by_key_config_selectorIjjEEZZNS1_16scan_by_key_implILNS1_25lookback_scan_determinismE0ELb0ES3_N6thrust23THRUST_200600_302600_NS6detail15normal_iteratorINS9_10device_ptrIjEEEESE_SE_jNS9_4plusIvEENS9_8equal_toIvEEjEE10hipError_tPvRmT2_T3_T4_T5_mT6_T7_P12ihipStream_tbENKUlT_T0_E_clISt17integral_constantIbLb0EESY_IbLb1EEEEDaSU_SV_EUlSU_E_NS1_11comp_targetILNS1_3genE10ELNS1_11target_archE1200ELNS1_3gpuE4ELNS1_3repE0EEENS1_30default_config_static_selectorELNS0_4arch9wavefront6targetE0EEEvT1_.uses_vcc, 0
	.set _ZN7rocprim17ROCPRIM_400000_NS6detail17trampoline_kernelINS0_14default_configENS1_27scan_by_key_config_selectorIjjEEZZNS1_16scan_by_key_implILNS1_25lookback_scan_determinismE0ELb0ES3_N6thrust23THRUST_200600_302600_NS6detail15normal_iteratorINS9_10device_ptrIjEEEESE_SE_jNS9_4plusIvEENS9_8equal_toIvEEjEE10hipError_tPvRmT2_T3_T4_T5_mT6_T7_P12ihipStream_tbENKUlT_T0_E_clISt17integral_constantIbLb0EESY_IbLb1EEEEDaSU_SV_EUlSU_E_NS1_11comp_targetILNS1_3genE10ELNS1_11target_archE1200ELNS1_3gpuE4ELNS1_3repE0EEENS1_30default_config_static_selectorELNS0_4arch9wavefront6targetE0EEEvT1_.uses_flat_scratch, 0
	.set _ZN7rocprim17ROCPRIM_400000_NS6detail17trampoline_kernelINS0_14default_configENS1_27scan_by_key_config_selectorIjjEEZZNS1_16scan_by_key_implILNS1_25lookback_scan_determinismE0ELb0ES3_N6thrust23THRUST_200600_302600_NS6detail15normal_iteratorINS9_10device_ptrIjEEEESE_SE_jNS9_4plusIvEENS9_8equal_toIvEEjEE10hipError_tPvRmT2_T3_T4_T5_mT6_T7_P12ihipStream_tbENKUlT_T0_E_clISt17integral_constantIbLb0EESY_IbLb1EEEEDaSU_SV_EUlSU_E_NS1_11comp_targetILNS1_3genE10ELNS1_11target_archE1200ELNS1_3gpuE4ELNS1_3repE0EEENS1_30default_config_static_selectorELNS0_4arch9wavefront6targetE0EEEvT1_.has_dyn_sized_stack, 0
	.set _ZN7rocprim17ROCPRIM_400000_NS6detail17trampoline_kernelINS0_14default_configENS1_27scan_by_key_config_selectorIjjEEZZNS1_16scan_by_key_implILNS1_25lookback_scan_determinismE0ELb0ES3_N6thrust23THRUST_200600_302600_NS6detail15normal_iteratorINS9_10device_ptrIjEEEESE_SE_jNS9_4plusIvEENS9_8equal_toIvEEjEE10hipError_tPvRmT2_T3_T4_T5_mT6_T7_P12ihipStream_tbENKUlT_T0_E_clISt17integral_constantIbLb0EESY_IbLb1EEEEDaSU_SV_EUlSU_E_NS1_11comp_targetILNS1_3genE10ELNS1_11target_archE1200ELNS1_3gpuE4ELNS1_3repE0EEENS1_30default_config_static_selectorELNS0_4arch9wavefront6targetE0EEEvT1_.has_recursion, 0
	.set _ZN7rocprim17ROCPRIM_400000_NS6detail17trampoline_kernelINS0_14default_configENS1_27scan_by_key_config_selectorIjjEEZZNS1_16scan_by_key_implILNS1_25lookback_scan_determinismE0ELb0ES3_N6thrust23THRUST_200600_302600_NS6detail15normal_iteratorINS9_10device_ptrIjEEEESE_SE_jNS9_4plusIvEENS9_8equal_toIvEEjEE10hipError_tPvRmT2_T3_T4_T5_mT6_T7_P12ihipStream_tbENKUlT_T0_E_clISt17integral_constantIbLb0EESY_IbLb1EEEEDaSU_SV_EUlSU_E_NS1_11comp_targetILNS1_3genE10ELNS1_11target_archE1200ELNS1_3gpuE4ELNS1_3repE0EEENS1_30default_config_static_selectorELNS0_4arch9wavefront6targetE0EEEvT1_.has_indirect_call, 0
	.section	.AMDGPU.csdata,"",@progbits
; Kernel info:
; codeLenInByte = 0
; TotalNumSgprs: 0
; NumVgprs: 0
; ScratchSize: 0
; MemoryBound: 0
; FloatMode: 240
; IeeeMode: 1
; LDSByteSize: 0 bytes/workgroup (compile time only)
; SGPRBlocks: 0
; VGPRBlocks: 0
; NumSGPRsForWavesPerEU: 1
; NumVGPRsForWavesPerEU: 1
; Occupancy: 16
; WaveLimiterHint : 0
; COMPUTE_PGM_RSRC2:SCRATCH_EN: 0
; COMPUTE_PGM_RSRC2:USER_SGPR: 6
; COMPUTE_PGM_RSRC2:TRAP_HANDLER: 0
; COMPUTE_PGM_RSRC2:TGID_X_EN: 1
; COMPUTE_PGM_RSRC2:TGID_Y_EN: 0
; COMPUTE_PGM_RSRC2:TGID_Z_EN: 0
; COMPUTE_PGM_RSRC2:TIDIG_COMP_CNT: 0
	.section	.text._ZN7rocprim17ROCPRIM_400000_NS6detail17trampoline_kernelINS0_14default_configENS1_27scan_by_key_config_selectorIjjEEZZNS1_16scan_by_key_implILNS1_25lookback_scan_determinismE0ELb0ES3_N6thrust23THRUST_200600_302600_NS6detail15normal_iteratorINS9_10device_ptrIjEEEESE_SE_jNS9_4plusIvEENS9_8equal_toIvEEjEE10hipError_tPvRmT2_T3_T4_T5_mT6_T7_P12ihipStream_tbENKUlT_T0_E_clISt17integral_constantIbLb0EESY_IbLb1EEEEDaSU_SV_EUlSU_E_NS1_11comp_targetILNS1_3genE9ELNS1_11target_archE1100ELNS1_3gpuE3ELNS1_3repE0EEENS1_30default_config_static_selectorELNS0_4arch9wavefront6targetE0EEEvT1_,"axG",@progbits,_ZN7rocprim17ROCPRIM_400000_NS6detail17trampoline_kernelINS0_14default_configENS1_27scan_by_key_config_selectorIjjEEZZNS1_16scan_by_key_implILNS1_25lookback_scan_determinismE0ELb0ES3_N6thrust23THRUST_200600_302600_NS6detail15normal_iteratorINS9_10device_ptrIjEEEESE_SE_jNS9_4plusIvEENS9_8equal_toIvEEjEE10hipError_tPvRmT2_T3_T4_T5_mT6_T7_P12ihipStream_tbENKUlT_T0_E_clISt17integral_constantIbLb0EESY_IbLb1EEEEDaSU_SV_EUlSU_E_NS1_11comp_targetILNS1_3genE9ELNS1_11target_archE1100ELNS1_3gpuE3ELNS1_3repE0EEENS1_30default_config_static_selectorELNS0_4arch9wavefront6targetE0EEEvT1_,comdat
	.protected	_ZN7rocprim17ROCPRIM_400000_NS6detail17trampoline_kernelINS0_14default_configENS1_27scan_by_key_config_selectorIjjEEZZNS1_16scan_by_key_implILNS1_25lookback_scan_determinismE0ELb0ES3_N6thrust23THRUST_200600_302600_NS6detail15normal_iteratorINS9_10device_ptrIjEEEESE_SE_jNS9_4plusIvEENS9_8equal_toIvEEjEE10hipError_tPvRmT2_T3_T4_T5_mT6_T7_P12ihipStream_tbENKUlT_T0_E_clISt17integral_constantIbLb0EESY_IbLb1EEEEDaSU_SV_EUlSU_E_NS1_11comp_targetILNS1_3genE9ELNS1_11target_archE1100ELNS1_3gpuE3ELNS1_3repE0EEENS1_30default_config_static_selectorELNS0_4arch9wavefront6targetE0EEEvT1_ ; -- Begin function _ZN7rocprim17ROCPRIM_400000_NS6detail17trampoline_kernelINS0_14default_configENS1_27scan_by_key_config_selectorIjjEEZZNS1_16scan_by_key_implILNS1_25lookback_scan_determinismE0ELb0ES3_N6thrust23THRUST_200600_302600_NS6detail15normal_iteratorINS9_10device_ptrIjEEEESE_SE_jNS9_4plusIvEENS9_8equal_toIvEEjEE10hipError_tPvRmT2_T3_T4_T5_mT6_T7_P12ihipStream_tbENKUlT_T0_E_clISt17integral_constantIbLb0EESY_IbLb1EEEEDaSU_SV_EUlSU_E_NS1_11comp_targetILNS1_3genE9ELNS1_11target_archE1100ELNS1_3gpuE3ELNS1_3repE0EEENS1_30default_config_static_selectorELNS0_4arch9wavefront6targetE0EEEvT1_
	.globl	_ZN7rocprim17ROCPRIM_400000_NS6detail17trampoline_kernelINS0_14default_configENS1_27scan_by_key_config_selectorIjjEEZZNS1_16scan_by_key_implILNS1_25lookback_scan_determinismE0ELb0ES3_N6thrust23THRUST_200600_302600_NS6detail15normal_iteratorINS9_10device_ptrIjEEEESE_SE_jNS9_4plusIvEENS9_8equal_toIvEEjEE10hipError_tPvRmT2_T3_T4_T5_mT6_T7_P12ihipStream_tbENKUlT_T0_E_clISt17integral_constantIbLb0EESY_IbLb1EEEEDaSU_SV_EUlSU_E_NS1_11comp_targetILNS1_3genE9ELNS1_11target_archE1100ELNS1_3gpuE3ELNS1_3repE0EEENS1_30default_config_static_selectorELNS0_4arch9wavefront6targetE0EEEvT1_
	.p2align	8
	.type	_ZN7rocprim17ROCPRIM_400000_NS6detail17trampoline_kernelINS0_14default_configENS1_27scan_by_key_config_selectorIjjEEZZNS1_16scan_by_key_implILNS1_25lookback_scan_determinismE0ELb0ES3_N6thrust23THRUST_200600_302600_NS6detail15normal_iteratorINS9_10device_ptrIjEEEESE_SE_jNS9_4plusIvEENS9_8equal_toIvEEjEE10hipError_tPvRmT2_T3_T4_T5_mT6_T7_P12ihipStream_tbENKUlT_T0_E_clISt17integral_constantIbLb0EESY_IbLb1EEEEDaSU_SV_EUlSU_E_NS1_11comp_targetILNS1_3genE9ELNS1_11target_archE1100ELNS1_3gpuE3ELNS1_3repE0EEENS1_30default_config_static_selectorELNS0_4arch9wavefront6targetE0EEEvT1_,@function
_ZN7rocprim17ROCPRIM_400000_NS6detail17trampoline_kernelINS0_14default_configENS1_27scan_by_key_config_selectorIjjEEZZNS1_16scan_by_key_implILNS1_25lookback_scan_determinismE0ELb0ES3_N6thrust23THRUST_200600_302600_NS6detail15normal_iteratorINS9_10device_ptrIjEEEESE_SE_jNS9_4plusIvEENS9_8equal_toIvEEjEE10hipError_tPvRmT2_T3_T4_T5_mT6_T7_P12ihipStream_tbENKUlT_T0_E_clISt17integral_constantIbLb0EESY_IbLb1EEEEDaSU_SV_EUlSU_E_NS1_11comp_targetILNS1_3genE9ELNS1_11target_archE1100ELNS1_3gpuE3ELNS1_3repE0EEENS1_30default_config_static_selectorELNS0_4arch9wavefront6targetE0EEEvT1_: ; @_ZN7rocprim17ROCPRIM_400000_NS6detail17trampoline_kernelINS0_14default_configENS1_27scan_by_key_config_selectorIjjEEZZNS1_16scan_by_key_implILNS1_25lookback_scan_determinismE0ELb0ES3_N6thrust23THRUST_200600_302600_NS6detail15normal_iteratorINS9_10device_ptrIjEEEESE_SE_jNS9_4plusIvEENS9_8equal_toIvEEjEE10hipError_tPvRmT2_T3_T4_T5_mT6_T7_P12ihipStream_tbENKUlT_T0_E_clISt17integral_constantIbLb0EESY_IbLb1EEEEDaSU_SV_EUlSU_E_NS1_11comp_targetILNS1_3genE9ELNS1_11target_archE1100ELNS1_3gpuE3ELNS1_3repE0EEENS1_30default_config_static_selectorELNS0_4arch9wavefront6targetE0EEEvT1_
; %bb.0:
	.section	.rodata,"a",@progbits
	.p2align	6, 0x0
	.amdhsa_kernel _ZN7rocprim17ROCPRIM_400000_NS6detail17trampoline_kernelINS0_14default_configENS1_27scan_by_key_config_selectorIjjEEZZNS1_16scan_by_key_implILNS1_25lookback_scan_determinismE0ELb0ES3_N6thrust23THRUST_200600_302600_NS6detail15normal_iteratorINS9_10device_ptrIjEEEESE_SE_jNS9_4plusIvEENS9_8equal_toIvEEjEE10hipError_tPvRmT2_T3_T4_T5_mT6_T7_P12ihipStream_tbENKUlT_T0_E_clISt17integral_constantIbLb0EESY_IbLb1EEEEDaSU_SV_EUlSU_E_NS1_11comp_targetILNS1_3genE9ELNS1_11target_archE1100ELNS1_3gpuE3ELNS1_3repE0EEENS1_30default_config_static_selectorELNS0_4arch9wavefront6targetE0EEEvT1_
		.amdhsa_group_segment_fixed_size 0
		.amdhsa_private_segment_fixed_size 0
		.amdhsa_kernarg_size 112
		.amdhsa_user_sgpr_count 6
		.amdhsa_user_sgpr_private_segment_buffer 1
		.amdhsa_user_sgpr_dispatch_ptr 0
		.amdhsa_user_sgpr_queue_ptr 0
		.amdhsa_user_sgpr_kernarg_segment_ptr 1
		.amdhsa_user_sgpr_dispatch_id 0
		.amdhsa_user_sgpr_flat_scratch_init 0
		.amdhsa_user_sgpr_private_segment_size 0
		.amdhsa_wavefront_size32 1
		.amdhsa_uses_dynamic_stack 0
		.amdhsa_system_sgpr_private_segment_wavefront_offset 0
		.amdhsa_system_sgpr_workgroup_id_x 1
		.amdhsa_system_sgpr_workgroup_id_y 0
		.amdhsa_system_sgpr_workgroup_id_z 0
		.amdhsa_system_sgpr_workgroup_info 0
		.amdhsa_system_vgpr_workitem_id 0
		.amdhsa_next_free_vgpr 1
		.amdhsa_next_free_sgpr 1
		.amdhsa_reserve_vcc 0
		.amdhsa_reserve_flat_scratch 0
		.amdhsa_float_round_mode_32 0
		.amdhsa_float_round_mode_16_64 0
		.amdhsa_float_denorm_mode_32 3
		.amdhsa_float_denorm_mode_16_64 3
		.amdhsa_dx10_clamp 1
		.amdhsa_ieee_mode 1
		.amdhsa_fp16_overflow 0
		.amdhsa_workgroup_processor_mode 1
		.amdhsa_memory_ordered 1
		.amdhsa_forward_progress 1
		.amdhsa_shared_vgpr_count 0
		.amdhsa_exception_fp_ieee_invalid_op 0
		.amdhsa_exception_fp_denorm_src 0
		.amdhsa_exception_fp_ieee_div_zero 0
		.amdhsa_exception_fp_ieee_overflow 0
		.amdhsa_exception_fp_ieee_underflow 0
		.amdhsa_exception_fp_ieee_inexact 0
		.amdhsa_exception_int_div_zero 0
	.end_amdhsa_kernel
	.section	.text._ZN7rocprim17ROCPRIM_400000_NS6detail17trampoline_kernelINS0_14default_configENS1_27scan_by_key_config_selectorIjjEEZZNS1_16scan_by_key_implILNS1_25lookback_scan_determinismE0ELb0ES3_N6thrust23THRUST_200600_302600_NS6detail15normal_iteratorINS9_10device_ptrIjEEEESE_SE_jNS9_4plusIvEENS9_8equal_toIvEEjEE10hipError_tPvRmT2_T3_T4_T5_mT6_T7_P12ihipStream_tbENKUlT_T0_E_clISt17integral_constantIbLb0EESY_IbLb1EEEEDaSU_SV_EUlSU_E_NS1_11comp_targetILNS1_3genE9ELNS1_11target_archE1100ELNS1_3gpuE3ELNS1_3repE0EEENS1_30default_config_static_selectorELNS0_4arch9wavefront6targetE0EEEvT1_,"axG",@progbits,_ZN7rocprim17ROCPRIM_400000_NS6detail17trampoline_kernelINS0_14default_configENS1_27scan_by_key_config_selectorIjjEEZZNS1_16scan_by_key_implILNS1_25lookback_scan_determinismE0ELb0ES3_N6thrust23THRUST_200600_302600_NS6detail15normal_iteratorINS9_10device_ptrIjEEEESE_SE_jNS9_4plusIvEENS9_8equal_toIvEEjEE10hipError_tPvRmT2_T3_T4_T5_mT6_T7_P12ihipStream_tbENKUlT_T0_E_clISt17integral_constantIbLb0EESY_IbLb1EEEEDaSU_SV_EUlSU_E_NS1_11comp_targetILNS1_3genE9ELNS1_11target_archE1100ELNS1_3gpuE3ELNS1_3repE0EEENS1_30default_config_static_selectorELNS0_4arch9wavefront6targetE0EEEvT1_,comdat
.Lfunc_end1863:
	.size	_ZN7rocprim17ROCPRIM_400000_NS6detail17trampoline_kernelINS0_14default_configENS1_27scan_by_key_config_selectorIjjEEZZNS1_16scan_by_key_implILNS1_25lookback_scan_determinismE0ELb0ES3_N6thrust23THRUST_200600_302600_NS6detail15normal_iteratorINS9_10device_ptrIjEEEESE_SE_jNS9_4plusIvEENS9_8equal_toIvEEjEE10hipError_tPvRmT2_T3_T4_T5_mT6_T7_P12ihipStream_tbENKUlT_T0_E_clISt17integral_constantIbLb0EESY_IbLb1EEEEDaSU_SV_EUlSU_E_NS1_11comp_targetILNS1_3genE9ELNS1_11target_archE1100ELNS1_3gpuE3ELNS1_3repE0EEENS1_30default_config_static_selectorELNS0_4arch9wavefront6targetE0EEEvT1_, .Lfunc_end1863-_ZN7rocprim17ROCPRIM_400000_NS6detail17trampoline_kernelINS0_14default_configENS1_27scan_by_key_config_selectorIjjEEZZNS1_16scan_by_key_implILNS1_25lookback_scan_determinismE0ELb0ES3_N6thrust23THRUST_200600_302600_NS6detail15normal_iteratorINS9_10device_ptrIjEEEESE_SE_jNS9_4plusIvEENS9_8equal_toIvEEjEE10hipError_tPvRmT2_T3_T4_T5_mT6_T7_P12ihipStream_tbENKUlT_T0_E_clISt17integral_constantIbLb0EESY_IbLb1EEEEDaSU_SV_EUlSU_E_NS1_11comp_targetILNS1_3genE9ELNS1_11target_archE1100ELNS1_3gpuE3ELNS1_3repE0EEENS1_30default_config_static_selectorELNS0_4arch9wavefront6targetE0EEEvT1_
                                        ; -- End function
	.set _ZN7rocprim17ROCPRIM_400000_NS6detail17trampoline_kernelINS0_14default_configENS1_27scan_by_key_config_selectorIjjEEZZNS1_16scan_by_key_implILNS1_25lookback_scan_determinismE0ELb0ES3_N6thrust23THRUST_200600_302600_NS6detail15normal_iteratorINS9_10device_ptrIjEEEESE_SE_jNS9_4plusIvEENS9_8equal_toIvEEjEE10hipError_tPvRmT2_T3_T4_T5_mT6_T7_P12ihipStream_tbENKUlT_T0_E_clISt17integral_constantIbLb0EESY_IbLb1EEEEDaSU_SV_EUlSU_E_NS1_11comp_targetILNS1_3genE9ELNS1_11target_archE1100ELNS1_3gpuE3ELNS1_3repE0EEENS1_30default_config_static_selectorELNS0_4arch9wavefront6targetE0EEEvT1_.num_vgpr, 0
	.set _ZN7rocprim17ROCPRIM_400000_NS6detail17trampoline_kernelINS0_14default_configENS1_27scan_by_key_config_selectorIjjEEZZNS1_16scan_by_key_implILNS1_25lookback_scan_determinismE0ELb0ES3_N6thrust23THRUST_200600_302600_NS6detail15normal_iteratorINS9_10device_ptrIjEEEESE_SE_jNS9_4plusIvEENS9_8equal_toIvEEjEE10hipError_tPvRmT2_T3_T4_T5_mT6_T7_P12ihipStream_tbENKUlT_T0_E_clISt17integral_constantIbLb0EESY_IbLb1EEEEDaSU_SV_EUlSU_E_NS1_11comp_targetILNS1_3genE9ELNS1_11target_archE1100ELNS1_3gpuE3ELNS1_3repE0EEENS1_30default_config_static_selectorELNS0_4arch9wavefront6targetE0EEEvT1_.num_agpr, 0
	.set _ZN7rocprim17ROCPRIM_400000_NS6detail17trampoline_kernelINS0_14default_configENS1_27scan_by_key_config_selectorIjjEEZZNS1_16scan_by_key_implILNS1_25lookback_scan_determinismE0ELb0ES3_N6thrust23THRUST_200600_302600_NS6detail15normal_iteratorINS9_10device_ptrIjEEEESE_SE_jNS9_4plusIvEENS9_8equal_toIvEEjEE10hipError_tPvRmT2_T3_T4_T5_mT6_T7_P12ihipStream_tbENKUlT_T0_E_clISt17integral_constantIbLb0EESY_IbLb1EEEEDaSU_SV_EUlSU_E_NS1_11comp_targetILNS1_3genE9ELNS1_11target_archE1100ELNS1_3gpuE3ELNS1_3repE0EEENS1_30default_config_static_selectorELNS0_4arch9wavefront6targetE0EEEvT1_.numbered_sgpr, 0
	.set _ZN7rocprim17ROCPRIM_400000_NS6detail17trampoline_kernelINS0_14default_configENS1_27scan_by_key_config_selectorIjjEEZZNS1_16scan_by_key_implILNS1_25lookback_scan_determinismE0ELb0ES3_N6thrust23THRUST_200600_302600_NS6detail15normal_iteratorINS9_10device_ptrIjEEEESE_SE_jNS9_4plusIvEENS9_8equal_toIvEEjEE10hipError_tPvRmT2_T3_T4_T5_mT6_T7_P12ihipStream_tbENKUlT_T0_E_clISt17integral_constantIbLb0EESY_IbLb1EEEEDaSU_SV_EUlSU_E_NS1_11comp_targetILNS1_3genE9ELNS1_11target_archE1100ELNS1_3gpuE3ELNS1_3repE0EEENS1_30default_config_static_selectorELNS0_4arch9wavefront6targetE0EEEvT1_.num_named_barrier, 0
	.set _ZN7rocprim17ROCPRIM_400000_NS6detail17trampoline_kernelINS0_14default_configENS1_27scan_by_key_config_selectorIjjEEZZNS1_16scan_by_key_implILNS1_25lookback_scan_determinismE0ELb0ES3_N6thrust23THRUST_200600_302600_NS6detail15normal_iteratorINS9_10device_ptrIjEEEESE_SE_jNS9_4plusIvEENS9_8equal_toIvEEjEE10hipError_tPvRmT2_T3_T4_T5_mT6_T7_P12ihipStream_tbENKUlT_T0_E_clISt17integral_constantIbLb0EESY_IbLb1EEEEDaSU_SV_EUlSU_E_NS1_11comp_targetILNS1_3genE9ELNS1_11target_archE1100ELNS1_3gpuE3ELNS1_3repE0EEENS1_30default_config_static_selectorELNS0_4arch9wavefront6targetE0EEEvT1_.private_seg_size, 0
	.set _ZN7rocprim17ROCPRIM_400000_NS6detail17trampoline_kernelINS0_14default_configENS1_27scan_by_key_config_selectorIjjEEZZNS1_16scan_by_key_implILNS1_25lookback_scan_determinismE0ELb0ES3_N6thrust23THRUST_200600_302600_NS6detail15normal_iteratorINS9_10device_ptrIjEEEESE_SE_jNS9_4plusIvEENS9_8equal_toIvEEjEE10hipError_tPvRmT2_T3_T4_T5_mT6_T7_P12ihipStream_tbENKUlT_T0_E_clISt17integral_constantIbLb0EESY_IbLb1EEEEDaSU_SV_EUlSU_E_NS1_11comp_targetILNS1_3genE9ELNS1_11target_archE1100ELNS1_3gpuE3ELNS1_3repE0EEENS1_30default_config_static_selectorELNS0_4arch9wavefront6targetE0EEEvT1_.uses_vcc, 0
	.set _ZN7rocprim17ROCPRIM_400000_NS6detail17trampoline_kernelINS0_14default_configENS1_27scan_by_key_config_selectorIjjEEZZNS1_16scan_by_key_implILNS1_25lookback_scan_determinismE0ELb0ES3_N6thrust23THRUST_200600_302600_NS6detail15normal_iteratorINS9_10device_ptrIjEEEESE_SE_jNS9_4plusIvEENS9_8equal_toIvEEjEE10hipError_tPvRmT2_T3_T4_T5_mT6_T7_P12ihipStream_tbENKUlT_T0_E_clISt17integral_constantIbLb0EESY_IbLb1EEEEDaSU_SV_EUlSU_E_NS1_11comp_targetILNS1_3genE9ELNS1_11target_archE1100ELNS1_3gpuE3ELNS1_3repE0EEENS1_30default_config_static_selectorELNS0_4arch9wavefront6targetE0EEEvT1_.uses_flat_scratch, 0
	.set _ZN7rocprim17ROCPRIM_400000_NS6detail17trampoline_kernelINS0_14default_configENS1_27scan_by_key_config_selectorIjjEEZZNS1_16scan_by_key_implILNS1_25lookback_scan_determinismE0ELb0ES3_N6thrust23THRUST_200600_302600_NS6detail15normal_iteratorINS9_10device_ptrIjEEEESE_SE_jNS9_4plusIvEENS9_8equal_toIvEEjEE10hipError_tPvRmT2_T3_T4_T5_mT6_T7_P12ihipStream_tbENKUlT_T0_E_clISt17integral_constantIbLb0EESY_IbLb1EEEEDaSU_SV_EUlSU_E_NS1_11comp_targetILNS1_3genE9ELNS1_11target_archE1100ELNS1_3gpuE3ELNS1_3repE0EEENS1_30default_config_static_selectorELNS0_4arch9wavefront6targetE0EEEvT1_.has_dyn_sized_stack, 0
	.set _ZN7rocprim17ROCPRIM_400000_NS6detail17trampoline_kernelINS0_14default_configENS1_27scan_by_key_config_selectorIjjEEZZNS1_16scan_by_key_implILNS1_25lookback_scan_determinismE0ELb0ES3_N6thrust23THRUST_200600_302600_NS6detail15normal_iteratorINS9_10device_ptrIjEEEESE_SE_jNS9_4plusIvEENS9_8equal_toIvEEjEE10hipError_tPvRmT2_T3_T4_T5_mT6_T7_P12ihipStream_tbENKUlT_T0_E_clISt17integral_constantIbLb0EESY_IbLb1EEEEDaSU_SV_EUlSU_E_NS1_11comp_targetILNS1_3genE9ELNS1_11target_archE1100ELNS1_3gpuE3ELNS1_3repE0EEENS1_30default_config_static_selectorELNS0_4arch9wavefront6targetE0EEEvT1_.has_recursion, 0
	.set _ZN7rocprim17ROCPRIM_400000_NS6detail17trampoline_kernelINS0_14default_configENS1_27scan_by_key_config_selectorIjjEEZZNS1_16scan_by_key_implILNS1_25lookback_scan_determinismE0ELb0ES3_N6thrust23THRUST_200600_302600_NS6detail15normal_iteratorINS9_10device_ptrIjEEEESE_SE_jNS9_4plusIvEENS9_8equal_toIvEEjEE10hipError_tPvRmT2_T3_T4_T5_mT6_T7_P12ihipStream_tbENKUlT_T0_E_clISt17integral_constantIbLb0EESY_IbLb1EEEEDaSU_SV_EUlSU_E_NS1_11comp_targetILNS1_3genE9ELNS1_11target_archE1100ELNS1_3gpuE3ELNS1_3repE0EEENS1_30default_config_static_selectorELNS0_4arch9wavefront6targetE0EEEvT1_.has_indirect_call, 0
	.section	.AMDGPU.csdata,"",@progbits
; Kernel info:
; codeLenInByte = 0
; TotalNumSgprs: 0
; NumVgprs: 0
; ScratchSize: 0
; MemoryBound: 0
; FloatMode: 240
; IeeeMode: 1
; LDSByteSize: 0 bytes/workgroup (compile time only)
; SGPRBlocks: 0
; VGPRBlocks: 0
; NumSGPRsForWavesPerEU: 1
; NumVGPRsForWavesPerEU: 1
; Occupancy: 16
; WaveLimiterHint : 0
; COMPUTE_PGM_RSRC2:SCRATCH_EN: 0
; COMPUTE_PGM_RSRC2:USER_SGPR: 6
; COMPUTE_PGM_RSRC2:TRAP_HANDLER: 0
; COMPUTE_PGM_RSRC2:TGID_X_EN: 1
; COMPUTE_PGM_RSRC2:TGID_Y_EN: 0
; COMPUTE_PGM_RSRC2:TGID_Z_EN: 0
; COMPUTE_PGM_RSRC2:TIDIG_COMP_CNT: 0
	.section	.text._ZN7rocprim17ROCPRIM_400000_NS6detail17trampoline_kernelINS0_14default_configENS1_27scan_by_key_config_selectorIjjEEZZNS1_16scan_by_key_implILNS1_25lookback_scan_determinismE0ELb0ES3_N6thrust23THRUST_200600_302600_NS6detail15normal_iteratorINS9_10device_ptrIjEEEESE_SE_jNS9_4plusIvEENS9_8equal_toIvEEjEE10hipError_tPvRmT2_T3_T4_T5_mT6_T7_P12ihipStream_tbENKUlT_T0_E_clISt17integral_constantIbLb0EESY_IbLb1EEEEDaSU_SV_EUlSU_E_NS1_11comp_targetILNS1_3genE8ELNS1_11target_archE1030ELNS1_3gpuE2ELNS1_3repE0EEENS1_30default_config_static_selectorELNS0_4arch9wavefront6targetE0EEEvT1_,"axG",@progbits,_ZN7rocprim17ROCPRIM_400000_NS6detail17trampoline_kernelINS0_14default_configENS1_27scan_by_key_config_selectorIjjEEZZNS1_16scan_by_key_implILNS1_25lookback_scan_determinismE0ELb0ES3_N6thrust23THRUST_200600_302600_NS6detail15normal_iteratorINS9_10device_ptrIjEEEESE_SE_jNS9_4plusIvEENS9_8equal_toIvEEjEE10hipError_tPvRmT2_T3_T4_T5_mT6_T7_P12ihipStream_tbENKUlT_T0_E_clISt17integral_constantIbLb0EESY_IbLb1EEEEDaSU_SV_EUlSU_E_NS1_11comp_targetILNS1_3genE8ELNS1_11target_archE1030ELNS1_3gpuE2ELNS1_3repE0EEENS1_30default_config_static_selectorELNS0_4arch9wavefront6targetE0EEEvT1_,comdat
	.protected	_ZN7rocprim17ROCPRIM_400000_NS6detail17trampoline_kernelINS0_14default_configENS1_27scan_by_key_config_selectorIjjEEZZNS1_16scan_by_key_implILNS1_25lookback_scan_determinismE0ELb0ES3_N6thrust23THRUST_200600_302600_NS6detail15normal_iteratorINS9_10device_ptrIjEEEESE_SE_jNS9_4plusIvEENS9_8equal_toIvEEjEE10hipError_tPvRmT2_T3_T4_T5_mT6_T7_P12ihipStream_tbENKUlT_T0_E_clISt17integral_constantIbLb0EESY_IbLb1EEEEDaSU_SV_EUlSU_E_NS1_11comp_targetILNS1_3genE8ELNS1_11target_archE1030ELNS1_3gpuE2ELNS1_3repE0EEENS1_30default_config_static_selectorELNS0_4arch9wavefront6targetE0EEEvT1_ ; -- Begin function _ZN7rocprim17ROCPRIM_400000_NS6detail17trampoline_kernelINS0_14default_configENS1_27scan_by_key_config_selectorIjjEEZZNS1_16scan_by_key_implILNS1_25lookback_scan_determinismE0ELb0ES3_N6thrust23THRUST_200600_302600_NS6detail15normal_iteratorINS9_10device_ptrIjEEEESE_SE_jNS9_4plusIvEENS9_8equal_toIvEEjEE10hipError_tPvRmT2_T3_T4_T5_mT6_T7_P12ihipStream_tbENKUlT_T0_E_clISt17integral_constantIbLb0EESY_IbLb1EEEEDaSU_SV_EUlSU_E_NS1_11comp_targetILNS1_3genE8ELNS1_11target_archE1030ELNS1_3gpuE2ELNS1_3repE0EEENS1_30default_config_static_selectorELNS0_4arch9wavefront6targetE0EEEvT1_
	.globl	_ZN7rocprim17ROCPRIM_400000_NS6detail17trampoline_kernelINS0_14default_configENS1_27scan_by_key_config_selectorIjjEEZZNS1_16scan_by_key_implILNS1_25lookback_scan_determinismE0ELb0ES3_N6thrust23THRUST_200600_302600_NS6detail15normal_iteratorINS9_10device_ptrIjEEEESE_SE_jNS9_4plusIvEENS9_8equal_toIvEEjEE10hipError_tPvRmT2_T3_T4_T5_mT6_T7_P12ihipStream_tbENKUlT_T0_E_clISt17integral_constantIbLb0EESY_IbLb1EEEEDaSU_SV_EUlSU_E_NS1_11comp_targetILNS1_3genE8ELNS1_11target_archE1030ELNS1_3gpuE2ELNS1_3repE0EEENS1_30default_config_static_selectorELNS0_4arch9wavefront6targetE0EEEvT1_
	.p2align	8
	.type	_ZN7rocprim17ROCPRIM_400000_NS6detail17trampoline_kernelINS0_14default_configENS1_27scan_by_key_config_selectorIjjEEZZNS1_16scan_by_key_implILNS1_25lookback_scan_determinismE0ELb0ES3_N6thrust23THRUST_200600_302600_NS6detail15normal_iteratorINS9_10device_ptrIjEEEESE_SE_jNS9_4plusIvEENS9_8equal_toIvEEjEE10hipError_tPvRmT2_T3_T4_T5_mT6_T7_P12ihipStream_tbENKUlT_T0_E_clISt17integral_constantIbLb0EESY_IbLb1EEEEDaSU_SV_EUlSU_E_NS1_11comp_targetILNS1_3genE8ELNS1_11target_archE1030ELNS1_3gpuE2ELNS1_3repE0EEENS1_30default_config_static_selectorELNS0_4arch9wavefront6targetE0EEEvT1_,@function
_ZN7rocprim17ROCPRIM_400000_NS6detail17trampoline_kernelINS0_14default_configENS1_27scan_by_key_config_selectorIjjEEZZNS1_16scan_by_key_implILNS1_25lookback_scan_determinismE0ELb0ES3_N6thrust23THRUST_200600_302600_NS6detail15normal_iteratorINS9_10device_ptrIjEEEESE_SE_jNS9_4plusIvEENS9_8equal_toIvEEjEE10hipError_tPvRmT2_T3_T4_T5_mT6_T7_P12ihipStream_tbENKUlT_T0_E_clISt17integral_constantIbLb0EESY_IbLb1EEEEDaSU_SV_EUlSU_E_NS1_11comp_targetILNS1_3genE8ELNS1_11target_archE1030ELNS1_3gpuE2ELNS1_3repE0EEENS1_30default_config_static_selectorELNS0_4arch9wavefront6targetE0EEEvT1_: ; @_ZN7rocprim17ROCPRIM_400000_NS6detail17trampoline_kernelINS0_14default_configENS1_27scan_by_key_config_selectorIjjEEZZNS1_16scan_by_key_implILNS1_25lookback_scan_determinismE0ELb0ES3_N6thrust23THRUST_200600_302600_NS6detail15normal_iteratorINS9_10device_ptrIjEEEESE_SE_jNS9_4plusIvEENS9_8equal_toIvEEjEE10hipError_tPvRmT2_T3_T4_T5_mT6_T7_P12ihipStream_tbENKUlT_T0_E_clISt17integral_constantIbLb0EESY_IbLb1EEEEDaSU_SV_EUlSU_E_NS1_11comp_targetILNS1_3genE8ELNS1_11target_archE1030ELNS1_3gpuE2ELNS1_3repE0EEENS1_30default_config_static_selectorELNS0_4arch9wavefront6targetE0EEEvT1_
; %bb.0:
	s_clause 0x1
	s_load_dwordx4 s[24:27], s[4:5], 0x28
	s_load_dwordx2 s[28:29], s[4:5], 0x38
	v_cmp_ne_u32_e64 s1, 0, v0
	v_cmp_eq_u32_e64 s0, 0, v0
	s_and_saveexec_b32 s2, s0
	s_cbranch_execz .LBB1864_4
; %bb.1:
	s_mov_b32 s6, exec_lo
	s_mov_b32 s3, exec_lo
	v_mbcnt_lo_u32_b32 v1, s6, 0
                                        ; implicit-def: $vgpr2
	v_cmpx_eq_u32_e32 0, v1
	s_cbranch_execz .LBB1864_3
; %bb.2:
	s_load_dwordx2 s[8:9], s[4:5], 0x68
	s_bcnt1_i32_b32 s6, s6
	v_mov_b32_e32 v2, 0
	v_mov_b32_e32 v3, s6
	s_waitcnt lgkmcnt(0)
	global_atomic_add v2, v2, v3, s[8:9] glc
.LBB1864_3:
	s_or_b32 exec_lo, exec_lo, s3
	s_waitcnt vmcnt(0)
	v_readfirstlane_b32 s3, v2
	v_mov_b32_e32 v2, 0
	v_add_nc_u32_e32 v1, s3, v1
	ds_write_b32 v2, v1
.LBB1864_4:
	s_or_b32 exec_lo, exec_lo, s2
	v_mov_b32_e32 v1, 0
	s_clause 0x2
	s_load_dwordx8 s[8:15], s[4:5], 0x0
	s_load_dword s30, s[4:5], 0x40
	s_load_dwordx8 s[16:23], s[4:5], 0x48
	s_waitcnt lgkmcnt(0)
	s_barrier
	buffer_gl0_inv
	ds_read_b32 v1, v1
	s_waitcnt lgkmcnt(0)
	s_barrier
	buffer_gl0_inv
	s_barrier
	buffer_gl0_inv
	s_lshl_b64 s[6:7], s[10:11], 2
	s_mul_i32 s2, s29, s30
	s_add_u32 s4, s8, s6
	s_addc_u32 s5, s9, s7
	s_mul_hi_u32 s3, s28, s30
	s_add_u32 s12, s12, s6
	v_readfirstlane_b32 s27, v1
	s_addc_u32 s13, s13, s7
	s_add_i32 s33, s3, s2
	s_cmp_lg_u64 s[20:21], 0
	s_mov_b32 s3, 0
	s_mul_i32 s2, s27, 0x300
	s_cselect_b32 s31, -1, 0
	s_lshl_b64 s[8:9], s[2:3], 2
	s_mul_i32 s2, s28, s30
	s_add_u32 s10, s4, s8
	s_addc_u32 s11, s5, s9
	s_add_u32 s5, s12, s8
	s_addc_u32 s30, s13, s9
	;; [unrolled: 2-line block ×3, first 2 shown]
	s_add_u32 s16, s16, -1
	s_addc_u32 s17, s17, -1
	s_mul_i32 s21, s16, 0xfffffd00
	v_cmp_ge_u64_e64 s20, s[12:13], s[16:17]
	s_and_b32 vcc_lo, exec_lo, s20
	s_cbranch_vccz .LBB1864_26
; %bb.5:
	v_mov_b32_e32 v1, s10
	v_mov_b32_e32 v2, s11
	s_add_i32 s33, s21, s26
	v_cmp_gt_u32_e64 s2, s33, v0
	flat_load_dword v2, v[1:2]
	s_waitcnt vmcnt(0) lgkmcnt(0)
	v_mov_b32_e32 v3, v2
	s_and_saveexec_b32 s3, s2
	s_cbranch_execz .LBB1864_7
; %bb.6:
	v_lshlrev_b32_e32 v1, 2, v0
	v_add_co_u32 v3, s4, s10, v1
	v_add_co_ci_u32_e64 v4, null, s11, 0, s4
	flat_load_dword v3, v[3:4]
.LBB1864_7:
	s_or_b32 exec_lo, exec_lo, s3
	v_or_b32_e32 v1, 0x100, v0
	v_mov_b32_e32 v4, v2
	v_cmp_gt_u32_e64 s3, s33, v1
	s_and_saveexec_b32 s4, s3
	s_cbranch_execz .LBB1864_9
; %bb.8:
	v_lshlrev_b32_e32 v1, 2, v0
	v_add_co_u32 v4, s16, s10, v1
	v_add_co_ci_u32_e64 v5, null, s11, 0, s16
	flat_load_dword v4, v[4:5] offset:1024
.LBB1864_9:
	s_or_b32 exec_lo, exec_lo, s4
	v_or_b32_e32 v1, 0x200, v0
	v_cmp_gt_u32_e64 s4, s33, v1
	v_lshlrev_b32_e32 v8, 2, v1
	s_and_saveexec_b32 s16, s4
	s_cbranch_execz .LBB1864_11
; %bb.10:
	v_add_co_u32 v1, s17, s10, v8
	v_add_co_ci_u32_e64 v2, null, s11, 0, s17
	flat_load_dword v2, v[1:2]
.LBB1864_11:
	s_or_b32 exec_lo, exec_lo, s16
	v_lshlrev_b32_e32 v9, 2, v0
	v_lshlrev_b32_e32 v1, 3, v0
	s_cmp_eq_u64 s[12:13], 0
	s_mov_b64 s[16:17], s[10:11]
	s_waitcnt vmcnt(0) lgkmcnt(0)
	ds_write2st64_b32 v9, v3, v4 offset1:4
	v_add_nc_u32_e32 v7, v9, v1
	ds_write_b32 v9, v2 offset:2048
	s_waitcnt lgkmcnt(0)
	s_barrier
	buffer_gl0_inv
	ds_read2_b32 v[4:5], v7 offset1:1
	ds_read_b32 v6, v7 offset:8
	s_cbranch_scc1 .LBB1864_15
; %bb.12:
	s_andn2_b32 vcc_lo, exec_lo, s31
	s_cbranch_vccnz .LBB1864_105
; %bb.13:
	s_lshl_b64 s[16:17], s[12:13], 2
	s_add_u32 s16, s22, s16
	s_addc_u32 s17, s23, s17
	s_add_u32 s16, s16, -4
	s_addc_u32 s17, s17, -1
	s_cbranch_execnz .LBB1864_15
.LBB1864_14:
	s_add_u32 s16, s10, -4
	s_addc_u32 s17, s11, -1
.LBB1864_15:
	v_mov_b32_e32 v2, s16
	v_mov_b32_e32 v3, s17
	flat_load_dword v13, v[2:3]
	v_sub_nc_u32_e32 v2, v7, v1
	s_waitcnt lgkmcnt(1)
	ds_write_b32 v2, v6 offset:3072
	s_waitcnt vmcnt(0) lgkmcnt(0)
	s_barrier
	buffer_gl0_inv
	s_and_saveexec_b32 s16, s1
; %bb.16:
	v_sub_nc_u32_e32 v1, 0, v1
	v_add_nc_u32_e32 v1, v7, v1
	ds_read_b32 v13, v1 offset:3068
; %bb.17:
	s_or_b32 exec_lo, exec_lo, s16
	v_mov_b32_e32 v1, 0
	s_waitcnt lgkmcnt(0)
	s_barrier
	buffer_gl0_inv
	v_mov_b32_e32 v2, v1
	v_mov_b32_e32 v3, v1
	s_and_saveexec_b32 s16, s2
	s_cbranch_execnz .LBB1864_103
; %bb.18:
	s_or_b32 exec_lo, exec_lo, s16
	s_and_saveexec_b32 s2, s3
	s_cbranch_execnz .LBB1864_104
.LBB1864_19:
	s_or_b32 exec_lo, exec_lo, s2
	s_and_saveexec_b32 s2, s4
	s_cbranch_execz .LBB1864_21
.LBB1864_20:
	v_add_co_u32 v10, s3, s5, v8
	v_add_co_ci_u32_e64 v11, null, s30, 0, s3
	flat_load_dword v3, v[10:11]
.LBB1864_21:
	s_or_b32 exec_lo, exec_lo, s2
	s_waitcnt vmcnt(0) lgkmcnt(0)
	ds_write2st64_b32 v9, v1, v2 offset1:4
	ds_write_b32 v9, v3 offset:2048
	v_mov_b32_e32 v9, 0
	v_mov_b32_e32 v11, 0
	v_mul_u32_u24_e32 v8, 3, v0
	v_mov_b32_e32 v10, 0
	v_mov_b32_e32 v12, 0
	s_mov_b32 s16, 0
	s_mov_b32 s3, 0
	s_mov_b32 s17, exec_lo
	s_waitcnt lgkmcnt(0)
	s_barrier
	buffer_gl0_inv
                                        ; implicit-def: $sgpr4
                                        ; implicit-def: $vgpr2
	v_cmpx_gt_u32_e64 s33, v8
	s_cbranch_execz .LBB1864_25
; %bb.22:
	ds_read_b32 v9, v7
	v_cmp_ne_u32_e32 vcc_lo, v13, v4
	v_mov_b32_e32 v11, 0
	v_add_nc_u32_e32 v1, 1, v8
	v_mov_b32_e32 v12, 0
	s_mov_b32 s2, 0
	v_cndmask_b32_e64 v10, 0, 1, vcc_lo
	s_mov_b32 s3, exec_lo
                                        ; implicit-def: $sgpr4
                                        ; implicit-def: $vgpr2
	v_cmpx_gt_u32_e64 s33, v1
	s_xor_b32 s3, exec_lo, s3
	s_cbranch_execz .LBB1864_24
; %bb.23:
	ds_read2_b32 v[1:2], v7 offset0:1 offset1:2
	v_add_nc_u32_e32 v3, 2, v8
	v_cmp_ne_u32_e64 s2, v4, v5
	v_cmp_ne_u32_e64 s4, v5, v6
	v_cmp_gt_u32_e32 vcc_lo, s33, v3
	v_cndmask_b32_e64 v12, 0, 1, s2
	s_and_b32 s2, vcc_lo, exec_lo
	s_waitcnt lgkmcnt(0)
	v_mov_b32_e32 v11, v1
.LBB1864_24:
	s_or_b32 exec_lo, exec_lo, s3
	s_and_b32 s3, s2, exec_lo
.LBB1864_25:
	s_or_b32 exec_lo, exec_lo, s17
	v_lshlrev_b32_e32 v18, 2, v0
	v_lshlrev_b32_e32 v19, 3, v0
	s_and_b32 vcc_lo, exec_lo, s16
	s_cbranch_vccnz .LBB1864_27
	s_branch .LBB1864_35
.LBB1864_26:
                                        ; implicit-def: $sgpr4
                                        ; implicit-def: $vgpr2
                                        ; implicit-def: $vgpr9_vgpr10
                                        ; implicit-def: $vgpr11_vgpr12
	v_lshlrev_b32_e32 v18, 2, v0
	v_lshlrev_b32_e32 v19, 3, v0
	s_cbranch_execz .LBB1864_35
.LBB1864_27:
	v_add_co_u32 v1, s2, s10, v18
	v_add_co_ci_u32_e64 v2, null, s11, 0, s2
	s_cmp_eq_u64 s[12:13], 0
	v_add_co_u32 v3, vcc_lo, 0x800, v1
	v_add_co_ci_u32_e64 v4, null, 0, v2, vcc_lo
	s_clause 0x2
	flat_load_dword v5, v[1:2]
	flat_load_dword v2, v[1:2] offset:1024
	flat_load_dword v3, v[3:4]
	v_add_nc_u32_e32 v1, v18, v19
	s_waitcnt vmcnt(1) lgkmcnt(1)
	ds_write2st64_b32 v18, v5, v2 offset1:4
	s_waitcnt vmcnt(0) lgkmcnt(1)
	ds_write_b32 v18, v3 offset:2048
	s_waitcnt lgkmcnt(0)
	s_barrier
	buffer_gl0_inv
	ds_read2_b32 v[3:4], v1 offset1:1
	ds_read_b32 v5, v1 offset:8
	s_cbranch_scc1 .LBB1864_32
; %bb.28:
	s_andn2_b32 vcc_lo, exec_lo, s31
	s_cbranch_vccnz .LBB1864_106
; %bb.29:
	s_lshl_b64 s[2:3], s[12:13], 2
	s_add_u32 s2, s22, s2
	s_addc_u32 s3, s23, s3
	s_add_u32 s2, s2, -4
	s_addc_u32 s3, s3, -1
	s_cbranch_execnz .LBB1864_31
.LBB1864_30:
	s_add_u32 s2, s10, -4
	s_addc_u32 s3, s11, -1
.LBB1864_31:
	s_mov_b64 s[10:11], s[2:3]
.LBB1864_32:
	v_mov_b32_e32 v6, s10
	v_mov_b32_e32 v7, s11
	v_sub_nc_u32_e32 v2, v1, v19
	flat_load_dword v6, v[6:7]
	s_waitcnt lgkmcnt(1)
	ds_write_b32 v2, v5 offset:3072
	s_waitcnt vmcnt(0) lgkmcnt(0)
	s_barrier
	buffer_gl0_inv
	s_and_saveexec_b32 s2, s1
; %bb.33:
	v_sub_nc_u32_e32 v2, 0, v19
	v_add_nc_u32_e32 v2, v1, v2
	ds_read_b32 v6, v2 offset:3068
; %bb.34:
	s_or_b32 exec_lo, exec_lo, s2
	v_add_co_u32 v7, s2, s5, v18
	v_add_co_ci_u32_e64 v8, null, s30, 0, s2
	s_waitcnt lgkmcnt(0)
	v_add_co_u32 v9, vcc_lo, 0x800, v7
	v_add_co_ci_u32_e64 v10, null, 0, v8, vcc_lo
	s_barrier
	buffer_gl0_inv
	s_clause 0x2
	flat_load_dword v2, v[7:8]
	flat_load_dword v7, v[7:8] offset:1024
	flat_load_dword v8, v[9:10]
	v_cmp_ne_u32_e32 vcc_lo, v6, v3
	v_cmp_ne_u32_e64 s4, v4, v5
	s_mov_b32 s3, -1
	s_waitcnt vmcnt(1) lgkmcnt(1)
	ds_write2st64_b32 v18, v2, v7 offset1:4
	s_waitcnt vmcnt(0) lgkmcnt(1)
	ds_write_b32 v18, v8 offset:2048
	s_waitcnt lgkmcnt(0)
	s_barrier
	buffer_gl0_inv
	ds_read2_b32 v[7:8], v1 offset1:1
	ds_read_b32 v2, v1 offset:8
	v_cndmask_b32_e64 v10, 0, 1, vcc_lo
	v_cmp_ne_u32_e32 vcc_lo, v3, v4
	v_cndmask_b32_e64 v12, 0, 1, vcc_lo
	s_waitcnt lgkmcnt(1)
	v_mov_b32_e32 v9, v7
	v_mov_b32_e32 v11, v8
.LBB1864_35:
	v_mov_b32_e32 v13, 0
	v_mov_b32_e32 v14, 0
	s_and_saveexec_b32 s2, s3
	s_cbranch_execz .LBB1864_37
; %bb.36:
	v_cndmask_b32_e64 v14, 0, 1, s4
	s_waitcnt lgkmcnt(0)
	v_mov_b32_e32 v13, v2
.LBB1864_37:
	s_or_b32 exec_lo, exec_lo, s2
	v_or_b32_e32 v23, v12, v14
	v_mbcnt_lo_u32_b32 v20, -1, 0
	v_lshrrev_b32_e32 v21, 5, v0
	v_or_b32_e32 v22, 31, v0
	s_cmp_lg_u32 s27, 0
	s_mov_b32 s4, 0
	s_waitcnt lgkmcnt(0)
	s_barrier
	buffer_gl0_inv
	s_cbranch_scc0 .LBB1864_63
; %bb.38:
	v_and_b32_e32 v2, 0xff, v23
	v_mov_b32_e32 v1, 0
	s_mov_b32 s5, 1
	v_and_b32_e32 v8, 15, v20
	v_cmp_gt_u64_e64 s2, s[4:5], v[11:12]
	v_cmp_gt_u64_e64 s3, s[4:5], v[13:14]
	v_cmp_eq_u64_e32 vcc_lo, 0, v[1:2]
	v_cndmask_b32_e64 v3, 0, v9, s2
	v_cndmask_b32_e32 v2, 1, v10, vcc_lo
	v_add_nc_u32_e32 v3, v3, v11
	v_and_b32_e32 v4, 0xff, v2
	v_and_b32_e32 v6, 1, v2
	v_cndmask_b32_e64 v3, 0, v3, s3
	v_mov_b32_dpp v5, v4 row_shr:1 row_mask:0xf bank_mask:0xf
	v_cmp_eq_u32_e32 vcc_lo, 1, v6
	v_add_nc_u32_e32 v3, v3, v13
	v_and_b32_e32 v5, 1, v5
	v_mov_b32_dpp v7, v3 row_shr:1 row_mask:0xf bank_mask:0xf
	v_cndmask_b32_e64 v5, v5, 1, vcc_lo
	v_cmp_eq_u16_e32 vcc_lo, 0, v4
	v_cndmask_b32_e32 v6, 0, v7, vcc_lo
	v_cmp_eq_u32_e32 vcc_lo, 0, v8
	v_cndmask_b32_e32 v4, v5, v4, vcc_lo
	v_cndmask_b32_e32 v2, v5, v2, vcc_lo
	v_cndmask_b32_e64 v6, v6, 0, vcc_lo
	v_mov_b32_dpp v5, v4 row_shr:2 row_mask:0xf bank_mask:0xf
	v_and_b32_e32 v7, 1, v2
	v_add_nc_u32_e32 v3, v6, v3
	v_cmp_eq_u16_sdwa s4, v2, v1 src0_sel:BYTE_0 src1_sel:DWORD
	v_and_b32_e32 v5, 1, v5
	v_cmp_eq_u32_e32 vcc_lo, 1, v7
	v_cndmask_b32_e64 v5, v5, 1, vcc_lo
	v_cmp_lt_u32_e32 vcc_lo, 1, v8
	v_cndmask_b32_e32 v7, v2, v5, vcc_lo
	v_cndmask_b32_e32 v4, v4, v5, vcc_lo
	v_mov_b32_dpp v2, v3 row_shr:2 row_mask:0xf bank_mask:0xf
	s_and_b32 vcc_lo, vcc_lo, s4
	v_and_b32_e32 v6, 1, v7
	v_mov_b32_dpp v5, v4 row_shr:4 row_mask:0xf bank_mask:0xf
	v_cndmask_b32_e32 v2, 0, v2, vcc_lo
	v_cmp_eq_u16_sdwa s4, v7, v1 src0_sel:BYTE_0 src1_sel:DWORD
	v_cmp_eq_u32_e32 vcc_lo, 1, v6
	v_and_b32_e32 v5, 1, v5
	v_add_nc_u32_e32 v2, v2, v3
	v_cndmask_b32_e64 v5, v5, 1, vcc_lo
	v_cmp_lt_u32_e32 vcc_lo, 3, v8
	v_cndmask_b32_e32 v3, v7, v5, vcc_lo
	v_cndmask_b32_e32 v4, v4, v5, vcc_lo
	v_mov_b32_dpp v5, v2 row_shr:4 row_mask:0xf bank_mask:0xf
	s_and_b32 vcc_lo, vcc_lo, s4
	v_and_b32_e32 v7, 1, v3
	v_mov_b32_dpp v6, v4 row_shr:8 row_mask:0xf bank_mask:0xf
	v_cndmask_b32_e32 v5, 0, v5, vcc_lo
	v_cmp_eq_u16_sdwa s4, v3, v1 src0_sel:BYTE_0 src1_sel:DWORD
	v_cmp_eq_u32_e32 vcc_lo, 1, v7
	v_and_b32_e32 v6, 1, v6
	v_add_nc_u32_e32 v2, v5, v2
	v_bfe_i32 v7, v20, 4, 1
	v_cndmask_b32_e64 v5, v6, 1, vcc_lo
	v_cmp_lt_u32_e32 vcc_lo, 7, v8
	v_mov_b32_dpp v6, v2 row_shr:8 row_mask:0xf bank_mask:0xf
	s_and_b32 s4, vcc_lo, s4
	v_cndmask_b32_e32 v4, v4, v5, vcc_lo
	v_cndmask_b32_e64 v6, 0, v6, s4
	v_cndmask_b32_e32 v3, v3, v5, vcc_lo
	ds_swizzle_b32 v5, v4 offset:swizzle(BROADCAST,32,15)
	v_add_nc_u32_e32 v2, v6, v2
	v_and_b32_e32 v8, 1, v3
	v_cmp_eq_u16_sdwa vcc_lo, v3, v1 src0_sel:BYTE_0 src1_sel:DWORD
	v_and_b32_e32 v3, 16, v20
	ds_swizzle_b32 v6, v2 offset:swizzle(BROADCAST,32,15)
	v_cmp_eq_u32_e64 s4, 0, v3
	s_waitcnt lgkmcnt(1)
	v_and_b32_e32 v5, 1, v5
	s_waitcnt lgkmcnt(0)
	v_cndmask_b32_e32 v1, 0, v6, vcc_lo
	v_cmp_eq_u32_e32 vcc_lo, 1, v8
	v_and_b32_e32 v1, v7, v1
	v_cndmask_b32_e64 v5, v5, 1, vcc_lo
	v_add_nc_u32_e32 v3, v1, v2
	v_cndmask_b32_e64 v4, v5, v4, s4
	v_lshlrev_b32_e32 v5, 3, v21
	s_mov_b32 s4, exec_lo
	v_cmpx_eq_u32_e64 v0, v22
	s_cbranch_execz .LBB1864_40
; %bb.39:
	ds_write_b32 v5, v3
	ds_write_b8 v5, v4 offset:4
.LBB1864_40:
	s_or_b32 exec_lo, exec_lo, s4
	s_mov_b32 s4, exec_lo
	s_waitcnt lgkmcnt(0)
	s_barrier
	buffer_gl0_inv
	v_cmpx_gt_u32_e32 8, v0
	s_cbranch_execz .LBB1864_46
; %bb.41:
	ds_read_b64 v[1:2], v19
	v_and_b32_e32 v6, 7, v20
	s_mov_b32 s5, exec_lo
	s_waitcnt lgkmcnt(0)
	v_and_b32_e32 v7, 0xffffff00, v2
	v_mov_b32_dpp v15, v1 row_shr:1 row_mask:0xf bank_mask:0xf
	v_mov_b32_dpp v16, v2 row_shr:1 row_mask:0xf bank_mask:0xf
	v_mov_b32_e32 v8, v2
	v_cmpx_ne_u32_e32 0, v6
	s_cbranch_execz .LBB1864_43
; %bb.42:
	v_mov_b32_e32 v8, 0
	v_and_b32_e32 v17, 1, v2
	v_and_b32_e32 v16, 1, v16
	v_cmp_eq_u16_sdwa vcc_lo, v2, v8 src0_sel:BYTE_0 src1_sel:DWORD
	v_cndmask_b32_e32 v2, 0, v15, vcc_lo
	v_cmp_eq_u32_e32 vcc_lo, 1, v17
	v_add_nc_u32_e32 v1, v2, v1
	v_cndmask_b32_e64 v15, v16, 1, vcc_lo
	v_or_b32_sdwa v8, v7, v15 dst_sel:DWORD dst_unused:UNUSED_PAD src0_sel:DWORD src1_sel:WORD_0
	v_mov_b32_e32 v2, v15
.LBB1864_43:
	s_or_b32 exec_lo, exec_lo, s5
	v_mov_b32_dpp v15, v1 row_shr:2 row_mask:0xf bank_mask:0xf
	v_mov_b32_dpp v16, v8 row_shr:2 row_mask:0xf bank_mask:0xf
	s_mov_b32 s5, exec_lo
	v_cmpx_lt_u32_e32 1, v6
	s_cbranch_execz .LBB1864_45
; %bb.44:
	v_mov_b32_e32 v8, 0
	v_and_b32_e32 v17, 1, v2
	v_and_b32_e32 v16, 1, v16
	v_cmp_eq_u16_sdwa vcc_lo, v2, v8 src0_sel:BYTE_0 src1_sel:DWORD
	v_cndmask_b32_e32 v2, 0, v15, vcc_lo
	v_cmp_eq_u32_e32 vcc_lo, 1, v17
	v_add_nc_u32_e32 v1, v2, v1
	v_cndmask_b32_e64 v15, v16, 1, vcc_lo
	v_or_b32_sdwa v8, v7, v15 dst_sel:DWORD dst_unused:UNUSED_PAD src0_sel:DWORD src1_sel:WORD_0
	v_mov_b32_e32 v2, v15
.LBB1864_45:
	s_or_b32 exec_lo, exec_lo, s5
	v_mov_b32_dpp v7, v8 row_shr:4 row_mask:0xf bank_mask:0xf
	v_and_b32_e32 v15, 1, v2
	v_mov_b32_e32 v8, 0
	v_and_b32_e32 v7, 1, v7
	v_cmp_eq_u32_e32 vcc_lo, 1, v15
	v_cmp_eq_u16_sdwa s5, v2, v8 src0_sel:BYTE_0 src1_sel:DWORD
	v_cndmask_b32_e64 v7, v7, 1, vcc_lo
	v_cmp_lt_u32_e32 vcc_lo, 3, v6
	v_mov_b32_dpp v6, v1 row_shr:4 row_mask:0xf bank_mask:0xf
	v_cndmask_b32_e32 v2, v2, v7, vcc_lo
	s_and_b32 vcc_lo, vcc_lo, s5
	v_cndmask_b32_e32 v6, 0, v6, vcc_lo
	v_add_nc_u32_e32 v1, v6, v1
	ds_write_b32 v19, v1
	ds_write_b8 v19, v2 offset:4
.LBB1864_46:
	s_or_b32 exec_lo, exec_lo, s4
	v_mov_b32_e32 v24, 0
	v_mov_b32_e32 v25, 0
	s_mov_b32 s5, exec_lo
	v_cmp_gt_u32_e32 vcc_lo, 32, v0
	s_waitcnt lgkmcnt(0)
	s_barrier
	buffer_gl0_inv
	v_cmpx_lt_u32_e32 31, v0
	s_cbranch_execz .LBB1864_48
; %bb.47:
	v_add_nc_u32_e32 v1, -8, v5
	v_cmp_eq_u32_e64 s4, 0, v4
	v_and_b32_e32 v2, 1, v4
	ds_read_b32 v24, v1
	v_add_nc_u32_e32 v1, -4, v5
	ds_read_u8 v25, v1
	s_waitcnt lgkmcnt(1)
	v_cndmask_b32_e64 v1, 0, v24, s4
	v_cmp_eq_u32_e64 s4, 1, v2
	v_add_nc_u32_e32 v3, v1, v3
	s_waitcnt lgkmcnt(0)
	v_cndmask_b32_e64 v4, v25, 1, s4
.LBB1864_48:
	s_or_b32 exec_lo, exec_lo, s5
	v_sub_co_u32 v1, s4, v20, 1
	v_cmp_gt_i32_e64 s5, 0, v1
	v_cndmask_b32_e64 v1, v1, v20, s5
	v_lshlrev_b32_e32 v1, 2, v1
	ds_bpermute_b32 v26, v1, v3
	ds_bpermute_b32 v27, v1, v4
	s_and_saveexec_b32 s12, vcc_lo
	s_cbranch_execz .LBB1864_68
; %bb.49:
	v_mov_b32_e32 v4, 0
	ds_read_b64 v[1:2], v4 offset:56
	s_and_saveexec_b32 s5, s4
	s_cbranch_execz .LBB1864_51
; %bb.50:
	s_add_i32 s10, s27, 32
	s_mov_b32 s11, 0
	v_mov_b32_e32 v3, 1
	s_lshl_b64 s[10:11], s[10:11], 4
	s_add_u32 s10, s24, s10
	s_addc_u32 s11, s25, s11
	v_mov_b32_e32 v5, s10
	v_mov_b32_e32 v6, s11
	s_waitcnt lgkmcnt(0)
	;;#ASMSTART
	global_store_dwordx4 v[5:6], v[1:4] off	
s_waitcnt vmcnt(0)
	;;#ASMEND
.LBB1864_51:
	s_or_b32 exec_lo, exec_lo, s5
	v_xad_u32 v15, v20, -1, s27
	s_mov_b32 s10, 0
	v_add_nc_u32_e32 v3, 32, v15
	v_lshlrev_b64 v[5:6], 4, v[3:4]
	v_add_co_u32 v16, vcc_lo, s24, v5
	v_add_co_ci_u32_e64 v17, null, s25, v6, vcc_lo
	;;#ASMSTART
	global_load_dwordx4 v[5:8], v[16:17] off glc dlc	
s_waitcnt vmcnt(0)
	;;#ASMEND
	v_and_b32_e32 v6, 0xff, v6
	v_cmp_eq_u16_sdwa s11, v7, v4 src0_sel:BYTE_0 src1_sel:DWORD
	s_and_saveexec_b32 s5, s11
	s_cbranch_execz .LBB1864_55
; %bb.52:
	v_mov_b32_e32 v3, 0
.LBB1864_53:                            ; =>This Inner Loop Header: Depth=1
	;;#ASMSTART
	global_load_dwordx4 v[5:8], v[16:17] off glc dlc	
s_waitcnt vmcnt(0)
	;;#ASMEND
	v_cmp_ne_u16_sdwa s11, v7, v3 src0_sel:BYTE_0 src1_sel:DWORD
	s_or_b32 s10, s11, s10
	s_andn2_b32 exec_lo, exec_lo, s10
	s_cbranch_execnz .LBB1864_53
; %bb.54:
	s_or_b32 exec_lo, exec_lo, s10
	v_and_b32_e32 v6, 0xff, v6
.LBB1864_55:
	s_or_b32 exec_lo, exec_lo, s5
	v_cmp_ne_u32_e32 vcc_lo, 31, v20
	v_mov_b32_e32 v28, 2
	v_lshlrev_b32_e64 v29, v20, -1
	v_and_b32_e32 v8, 1, v6
	s_mov_b32 s10, 0
	v_add_co_ci_u32_e64 v3, null, 0, v20, vcc_lo
	v_cmp_eq_u16_sdwa s5, v7, v28 src0_sel:BYTE_0 src1_sel:DWORD
	v_cmp_eq_u32_e32 vcc_lo, 1, v8
	s_mov_b32 s11, 1
	v_lshlrev_b32_e32 v17, 2, v3
	v_add_nc_u32_e32 v37, 8, v20
	v_and_or_b32 v4, s5, v29, 0x80000000
	v_cmp_gt_u64_e64 s5, s[10:11], v[5:6]
	v_lshl_or_b32 v38, v20, 2, 64
	ds_bpermute_b32 v3, v17, v6
	ds_bpermute_b32 v16, v17, v5
	v_ffbl_b32_e32 v4, v4
	v_add_nc_u32_e32 v39, 16, v20
	s_waitcnt lgkmcnt(1)
	v_and_b32_e32 v3, 1, v3
	v_cndmask_b32_e64 v3, v3, 1, vcc_lo
	v_cmp_gt_u32_e32 vcc_lo, 30, v20
	v_and_b32_e32 v31, 0xffff, v3
	v_cndmask_b32_e64 v8, 0, 2, vcc_lo
	v_cmp_lt_u32_e32 vcc_lo, v20, v4
	v_add_lshl_u32 v30, v8, v20, 2
	v_cndmask_b32_e32 v8, v6, v31, vcc_lo
	v_cndmask_b32_e32 v3, v6, v3, vcc_lo
	s_and_b32 vcc_lo, vcc_lo, s5
	s_waitcnt lgkmcnt(0)
	v_cndmask_b32_e32 v6, 0, v16, vcc_lo
	ds_bpermute_b32 v31, v30, v8
	v_and_b32_e32 v16, 1, v3
	v_add_nc_u32_e32 v5, v6, v5
	v_cmp_eq_u32_e32 vcc_lo, 1, v16
	v_mov_b32_e32 v16, 0
	ds_bpermute_b32 v6, v30, v5
	v_cmp_eq_u16_sdwa s5, v3, v16 src0_sel:BYTE_0 src1_sel:DWORD
	s_waitcnt lgkmcnt(1)
	v_and_b32_e32 v32, 1, v31
	v_add_nc_u32_e32 v31, 2, v20
	v_cndmask_b32_e64 v33, v32, 1, vcc_lo
	v_cmp_gt_u32_e32 vcc_lo, 28, v20
	v_and_b32_e32 v34, 0xffff, v33
	v_cndmask_b32_e64 v32, 0, 4, vcc_lo
	v_cmp_gt_u32_e32 vcc_lo, v31, v4
	v_add_lshl_u32 v32, v32, v20, 2
	v_cndmask_b32_e32 v8, v34, v8, vcc_lo
	v_cndmask_b32_e32 v35, v33, v3, vcc_lo
	s_waitcnt lgkmcnt(0)
	v_cndmask_b32_e64 v3, 0, v6, s5
	v_add_nc_u32_e32 v33, 4, v20
	ds_bpermute_b32 v6, v32, v8
	v_and_b32_e32 v34, 1, v35
	v_cndmask_b32_e64 v3, v3, 0, vcc_lo
	v_cmp_eq_u16_sdwa s5, v35, v16 src0_sel:BYTE_0 src1_sel:DWORD
	v_cmp_eq_u32_e32 vcc_lo, 1, v34
	v_add_nc_u32_e32 v3, v3, v5
	ds_bpermute_b32 v5, v32, v3
	s_waitcnt lgkmcnt(1)
	v_and_b32_e32 v6, 1, v6
	v_cndmask_b32_e64 v6, v6, 1, vcc_lo
	v_cmp_gt_u32_e32 vcc_lo, 24, v20
	v_and_b32_e32 v36, 0xffff, v6
	v_cndmask_b32_e64 v34, 0, 8, vcc_lo
	v_cmp_gt_u32_e32 vcc_lo, v33, v4
	s_waitcnt lgkmcnt(0)
	v_cndmask_b32_e64 v5, 0, v5, s5
	v_add_lshl_u32 v34, v34, v20, 2
	v_cndmask_b32_e32 v8, v36, v8, vcc_lo
	v_cndmask_b32_e32 v6, v6, v35, vcc_lo
	v_cndmask_b32_e64 v5, v5, 0, vcc_lo
	ds_bpermute_b32 v35, v34, v8
	v_and_b32_e32 v36, 1, v6
	v_add_nc_u32_e32 v3, v5, v3
	v_cmp_eq_u32_e32 vcc_lo, 1, v36
	ds_bpermute_b32 v5, v34, v3
	s_waitcnt lgkmcnt(1)
	v_and_b32_e32 v35, 1, v35
	v_cndmask_b32_e64 v35, v35, 1, vcc_lo
	v_cmp_eq_u16_sdwa vcc_lo, v6, v16 src0_sel:BYTE_0 src1_sel:DWORD
	v_and_b32_e32 v36, 0xffff, v35
	s_waitcnt lgkmcnt(0)
	v_cndmask_b32_e32 v5, 0, v5, vcc_lo
	v_cmp_gt_u32_e32 vcc_lo, v37, v4
	v_cndmask_b32_e64 v5, v5, 0, vcc_lo
	v_cndmask_b32_e32 v8, v36, v8, vcc_lo
	v_cndmask_b32_e32 v6, v35, v6, vcc_lo
	v_add_nc_u32_e32 v3, v5, v3
	ds_bpermute_b32 v5, v38, v8
	v_and_b32_e32 v35, 1, v6
	v_cmp_eq_u16_sdwa vcc_lo, v6, v16 src0_sel:BYTE_0 src1_sel:DWORD
	ds_bpermute_b32 v8, v38, v3
	s_waitcnt lgkmcnt(1)
	v_and_b32_e32 v5, 1, v5
	s_waitcnt lgkmcnt(0)
	v_cndmask_b32_e32 v8, 0, v8, vcc_lo
	v_cmp_eq_u32_e32 vcc_lo, 1, v35
	v_cndmask_b32_e64 v5, v5, 1, vcc_lo
	v_cmp_gt_u32_e32 vcc_lo, v39, v4
	v_cndmask_b32_e32 v4, v5, v6, vcc_lo
	v_cndmask_b32_e64 v5, v8, 0, vcc_lo
	v_add_nc_u32_e32 v3, v5, v3
	s_branch .LBB1864_59
.LBB1864_56:                            ;   in Loop: Header=BB1864_59 Depth=1
	s_or_b32 exec_lo, exec_lo, s13
	v_and_b32_e32 v6, 0xff, v6
.LBB1864_57:                            ;   in Loop: Header=BB1864_59 Depth=1
	s_or_b32 exec_lo, exec_lo, s5
	ds_bpermute_b32 v3, v17, v6
	v_cmp_eq_u16_sdwa s5, v7, v28 src0_sel:BYTE_0 src1_sel:DWORD
	v_and_b32_e32 v4, 1, v6
	v_subrev_nc_u32_e32 v15, 32, v15
	v_and_or_b32 v8, s5, v29, 0x80000000
	v_cmp_eq_u32_e32 vcc_lo, 1, v4
	v_cmp_gt_u64_e64 s5, s[10:11], v[5:6]
	v_ffbl_b32_e32 v4, v8
	ds_bpermute_b32 v8, v17, v5
	s_waitcnt lgkmcnt(1)
	v_and_b32_e32 v3, 1, v3
	v_cndmask_b32_e64 v3, v3, 1, vcc_lo
	v_cmp_lt_u32_e32 vcc_lo, v20, v4
	v_and_b32_e32 v40, 0xffff, v3
	v_cndmask_b32_e32 v3, v6, v3, vcc_lo
	v_cndmask_b32_e32 v40, v6, v40, vcc_lo
	s_and_b32 vcc_lo, vcc_lo, s5
	v_cmp_eq_u16_sdwa s5, v3, v16 src0_sel:BYTE_0 src1_sel:DWORD
	s_waitcnt lgkmcnt(0)
	v_cndmask_b32_e32 v6, 0, v8, vcc_lo
	v_and_b32_e32 v8, 1, v3
	ds_bpermute_b32 v41, v30, v40
	v_add_nc_u32_e32 v5, v6, v5
	v_cmp_eq_u32_e32 vcc_lo, 1, v8
	ds_bpermute_b32 v6, v30, v5
	s_waitcnt lgkmcnt(1)
	v_and_b32_e32 v41, 1, v41
	v_cndmask_b32_e64 v8, v41, 1, vcc_lo
	v_cmp_gt_u32_e32 vcc_lo, v31, v4
	v_and_b32_e32 v41, 0xffff, v8
	v_cndmask_b32_e32 v8, v8, v3, vcc_lo
	s_waitcnt lgkmcnt(0)
	v_cndmask_b32_e64 v3, 0, v6, s5
	v_cndmask_b32_e32 v40, v41, v40, vcc_lo
	v_and_b32_e32 v41, 1, v8
	v_cndmask_b32_e64 v3, v3, 0, vcc_lo
	v_cmp_eq_u16_sdwa s5, v8, v16 src0_sel:BYTE_0 src1_sel:DWORD
	ds_bpermute_b32 v6, v32, v40
	v_cmp_eq_u32_e32 vcc_lo, 1, v41
	v_add_nc_u32_e32 v3, v3, v5
	ds_bpermute_b32 v5, v32, v3
	s_waitcnt lgkmcnt(1)
	v_and_b32_e32 v6, 1, v6
	v_cndmask_b32_e64 v6, v6, 1, vcc_lo
	v_cmp_gt_u32_e32 vcc_lo, v33, v4
	s_waitcnt lgkmcnt(0)
	v_cndmask_b32_e64 v5, 0, v5, s5
	s_mov_b32 s5, 0
	v_and_b32_e32 v41, 0xffff, v6
	v_cndmask_b32_e32 v6, v6, v8, vcc_lo
	v_cndmask_b32_e64 v5, v5, 0, vcc_lo
	v_cndmask_b32_e32 v8, v41, v40, vcc_lo
	v_and_b32_e32 v41, 1, v6
	v_add_nc_u32_e32 v3, v5, v3
	ds_bpermute_b32 v40, v34, v8
	v_cmp_eq_u32_e32 vcc_lo, 1, v41
	ds_bpermute_b32 v5, v34, v3
	s_waitcnt lgkmcnt(1)
	v_and_b32_e32 v40, 1, v40
	v_cndmask_b32_e64 v40, v40, 1, vcc_lo
	v_cmp_eq_u16_sdwa vcc_lo, v6, v16 src0_sel:BYTE_0 src1_sel:DWORD
	v_and_b32_e32 v41, 0xffff, v40
	s_waitcnt lgkmcnt(0)
	v_cndmask_b32_e32 v5, 0, v5, vcc_lo
	v_cmp_gt_u32_e32 vcc_lo, v37, v4
	v_cndmask_b32_e64 v5, v5, 0, vcc_lo
	v_cndmask_b32_e32 v8, v41, v8, vcc_lo
	v_cndmask_b32_e32 v6, v40, v6, vcc_lo
	v_add_nc_u32_e32 v3, v5, v3
	ds_bpermute_b32 v5, v38, v8
	v_and_b32_e32 v40, 1, v6
	ds_bpermute_b32 v8, v38, v3
	v_cmp_eq_u32_e32 vcc_lo, 1, v40
	s_waitcnt lgkmcnt(1)
	v_cndmask_b32_e64 v5, v5, 1, vcc_lo
	v_cmp_eq_u16_sdwa vcc_lo, v6, v16 src0_sel:BYTE_0 src1_sel:DWORD
	s_waitcnt lgkmcnt(0)
	v_cndmask_b32_e32 v8, 0, v8, vcc_lo
	v_cmp_gt_u32_e32 vcc_lo, v39, v4
	v_cndmask_b32_e32 v4, v5, v6, vcc_lo
	v_cndmask_b32_e64 v5, v8, 0, vcc_lo
	v_cmp_eq_u16_sdwa vcc_lo, v35, v16 src0_sel:BYTE_0 src1_sel:DWORD
	v_and_b32_e32 v4, 1, v4
	v_add_nc_u32_e32 v3, v5, v3
	v_and_b32_e32 v5, 1, v35
	v_cndmask_b32_e32 v3, 0, v3, vcc_lo
	v_cmp_eq_u32_e32 vcc_lo, 1, v5
	v_add_nc_u32_e32 v3, v3, v36
	v_cndmask_b32_e64 v4, v4, 1, vcc_lo
.LBB1864_58:                            ;   in Loop: Header=BB1864_59 Depth=1
	s_and_b32 vcc_lo, exec_lo, s5
	s_cbranch_vccnz .LBB1864_64
.LBB1864_59:                            ; =>This Loop Header: Depth=1
                                        ;     Child Loop BB1864_62 Depth 2
	v_cmp_ne_u16_sdwa s5, v7, v28 src0_sel:BYTE_0 src1_sel:DWORD
	v_mov_b32_e32 v35, v4
	v_mov_b32_e32 v36, v3
                                        ; implicit-def: $vgpr4
                                        ; implicit-def: $vgpr3
                                        ; implicit-def: $vgpr7
	s_cmp_lg_u32 s5, exec_lo
	s_mov_b32 s5, -1
	s_cbranch_scc1 .LBB1864_58
; %bb.60:                               ;   in Loop: Header=BB1864_59 Depth=1
	v_lshlrev_b64 v[3:4], 4, v[15:16]
	v_add_co_u32 v3, vcc_lo, s24, v3
	v_add_co_ci_u32_e64 v4, null, s25, v4, vcc_lo
	;;#ASMSTART
	global_load_dwordx4 v[5:8], v[3:4] off glc dlc	
s_waitcnt vmcnt(0)
	;;#ASMEND
	v_and_b32_e32 v6, 0xff, v6
	v_cmp_eq_u16_sdwa s13, v7, v16 src0_sel:BYTE_0 src1_sel:DWORD
	s_and_saveexec_b32 s5, s13
	s_cbranch_execz .LBB1864_57
; %bb.61:                               ;   in Loop: Header=BB1864_59 Depth=1
	s_mov_b32 s13, 0
.LBB1864_62:                            ;   Parent Loop BB1864_59 Depth=1
                                        ; =>  This Inner Loop Header: Depth=2
	;;#ASMSTART
	global_load_dwordx4 v[5:8], v[3:4] off glc dlc	
s_waitcnt vmcnt(0)
	;;#ASMEND
	v_cmp_ne_u16_sdwa s16, v7, v16 src0_sel:BYTE_0 src1_sel:DWORD
	s_or_b32 s13, s16, s13
	s_andn2_b32 exec_lo, exec_lo, s13
	s_cbranch_execnz .LBB1864_62
	s_branch .LBB1864_56
.LBB1864_63:
                                        ; implicit-def: $vgpr7
                                        ; implicit-def: $vgpr5
                                        ; implicit-def: $vgpr6
	s_cbranch_execnz .LBB1864_69
	s_branch .LBB1864_86
.LBB1864_64:
	s_and_saveexec_b32 s5, s4
	s_cbranch_execz .LBB1864_66
; %bb.65:
	v_mov_b32_e32 v4, 0
	v_and_b32_e32 v3, 1, v2
	s_mov_b32 s11, 0
	s_add_i32 s10, s27, 32
	v_and_b32_e32 v5, 1, v35
	v_cmp_eq_u32_sdwa vcc_lo, v2, v4 src0_sel:BYTE_0 src1_sel:DWORD
	s_lshl_b64 s[10:11], s[10:11], 4
	s_add_u32 s10, s24, s10
	s_addc_u32 s11, s25, s11
	v_cndmask_b32_e32 v2, 0, v36, vcc_lo
	v_cmp_eq_u32_e32 vcc_lo, 1, v3
	v_mov_b32_e32 v3, 2
	v_add_nc_u32_e32 v1, v2, v1
	v_cndmask_b32_e64 v2, v5, 1, vcc_lo
	v_mov_b32_e32 v5, s10
	v_mov_b32_e32 v6, s11
	;;#ASMSTART
	global_store_dwordx4 v[5:6], v[1:4] off	
s_waitcnt vmcnt(0)
	;;#ASMEND
.LBB1864_66:
	s_or_b32 exec_lo, exec_lo, s5
	s_and_b32 exec_lo, exec_lo, s0
	s_cbranch_execz .LBB1864_68
; %bb.67:
	v_mov_b32_e32 v1, 0
	ds_write_b32 v1, v36 offset:56
	ds_write_b8 v1, v35 offset:60
.LBB1864_68:
	s_or_b32 exec_lo, exec_lo, s12
	v_mov_b32_e32 v1, 0
	s_waitcnt lgkmcnt(0)
	v_cndmask_b32_e64 v2, v27, v25, s4
	v_and_b32_e32 v4, 1, v10
	s_barrier
	buffer_gl0_inv
	ds_read_b32 v3, v1 offset:56
	v_and_b32_e32 v2, 1, v2
	v_cmp_eq_u32_e32 vcc_lo, 1, v4
	v_cndmask_b32_e64 v5, v26, v24, s4
	s_mov_b32 s5, 1
	s_mov_b32 s4, 0
	v_cndmask_b32_e64 v2, v2, 1, vcc_lo
	v_cmp_gt_u64_e32 vcc_lo, s[4:5], v[9:10]
	v_cndmask_b32_e64 v2, v2, v10, s0
	v_cndmask_b32_e32 v4, 0, v5, vcc_lo
	v_cmp_eq_u16_sdwa vcc_lo, v2, v1 src0_sel:BYTE_0 src1_sel:DWORD
	v_cndmask_b32_e64 v4, v4, 0, s0
	s_waitcnt lgkmcnt(0)
	v_cndmask_b32_e32 v1, 0, v3, vcc_lo
	v_add3_u32 v7, v4, v9, v1
	v_cndmask_b32_e64 v1, 0, v7, s2
	v_add_nc_u32_e32 v5, v1, v11
	v_cndmask_b32_e64 v1, 0, v5, s3
	v_add_nc_u32_e32 v6, v1, v13
	s_branch .LBB1864_86
.LBB1864_69:
	s_cmp_lg_u64 s[28:29], 0
	s_cselect_b32 s2, -1, 0
	s_cmp_lg_u64 s[18:19], 0
	s_cselect_b32 s3, -1, 0
	s_and_b32 s2, s2, s3
	s_and_b32 s3, s0, s2
	s_and_saveexec_b32 s2, s3
	s_cbranch_execz .LBB1864_71
; %bb.70:
	v_mov_b32_e32 v1, 0
	s_mov_b32 s4, 0
	s_mov_b32 s5, 1
	s_clause 0x1
	global_load_dword v2, v1, s[18:19]
	global_load_ubyte v3, v1, s[18:19] offset:4
	v_cmp_gt_u64_e32 vcc_lo, s[4:5], v[9:10]
	s_waitcnt vmcnt(1)
	v_cndmask_b32_e32 v4, 0, v2, vcc_lo
	v_and_b32_e32 v2, 1, v10
	s_waitcnt vmcnt(0)
	v_and_b32_e32 v3, 1, v3
	v_add_nc_u32_e32 v9, v4, v9
	v_cmp_eq_u64_e32 vcc_lo, 0, v[1:2]
	v_cndmask_b32_e32 v10, 1, v3, vcc_lo
.LBB1864_71:
	s_or_b32 exec_lo, exec_lo, s2
	v_and_b32_e32 v2, 0xff, v23
	v_mov_b32_e32 v1, 0
	s_mov_b32 s4, 0
	s_mov_b32 s5, 1
	v_and_b32_e32 v7, 15, v20
	v_cmp_eq_u64_e32 vcc_lo, 0, v[1:2]
	v_cmp_eq_u32_e64 s3, 0, v7
	v_cndmask_b32_e32 v2, 1, v10, vcc_lo
	v_cmp_gt_u64_e32 vcc_lo, s[4:5], v[11:12]
	v_and_b32_e32 v3, 0xff, v2
	v_and_b32_e32 v6, 1, v2
	v_cndmask_b32_e32 v5, 0, v9, vcc_lo
	v_mov_b32_dpp v4, v3 row_shr:1 row_mask:0xf bank_mask:0xf
	v_cmp_eq_u32_e64 s2, 1, v6
	v_add_nc_u32_e32 v5, v5, v11
	v_and_b32_e32 v4, 1, v4
	v_cndmask_b32_e64 v4, v4, 1, s2
	v_cmp_gt_u64_e64 s2, s[4:5], v[13:14]
	v_cmp_eq_u16_e64 s4, 0, v3
	v_cndmask_b32_e64 v8, v4, v3, s3
	v_cndmask_b32_e64 v2, v4, v2, s3
	;; [unrolled: 1-line block ×3, first 2 shown]
	v_mov_b32_dpp v4, v8 row_shr:2 row_mask:0xf bank_mask:0xf
	v_and_b32_e32 v14, 1, v2
	v_add_nc_u32_e32 v6, v6, v13
	v_and_b32_e32 v4, 1, v4
	v_mov_b32_dpp v12, v6 row_shr:1 row_mask:0xf bank_mask:0xf
	v_cndmask_b32_e64 v3, 0, v12, s4
	v_cmp_eq_u32_e64 s4, 1, v14
	v_cndmask_b32_e64 v3, v3, 0, s3
	v_cndmask_b32_e64 v4, v4, 1, s4
	v_cmp_lt_u32_e64 s4, 1, v7
	v_cmp_eq_u16_sdwa s3, v2, v1 src0_sel:BYTE_0 src1_sel:DWORD
	v_add_nc_u32_e32 v3, v3, v6
	v_cndmask_b32_e64 v12, v2, v4, s4
	v_cndmask_b32_e64 v4, v8, v4, s4
	s_and_b32 s3, s4, s3
	v_mov_b32_dpp v2, v3 row_shr:2 row_mask:0xf bank_mask:0xf
	v_and_b32_e32 v14, 1, v12
	v_mov_b32_dpp v8, v4 row_shr:4 row_mask:0xf bank_mask:0xf
	v_cmp_eq_u16_sdwa s4, v12, v1 src0_sel:BYTE_0 src1_sel:DWORD
	v_cndmask_b32_e64 v2, 0, v2, s3
	v_cmp_eq_u32_e64 s3, 1, v14
	v_and_b32_e32 v8, 1, v8
	v_add_nc_u32_e32 v2, v2, v3
	v_cndmask_b32_e64 v8, v8, 1, s3
	v_cmp_lt_u32_e64 s3, 3, v7
	v_cndmask_b32_e64 v3, v12, v8, s3
	v_cndmask_b32_e64 v4, v4, v8, s3
	v_mov_b32_dpp v8, v2 row_shr:4 row_mask:0xf bank_mask:0xf
	s_and_b32 s3, s3, s4
	v_and_b32_e32 v14, 1, v3
	v_mov_b32_dpp v12, v4 row_shr:8 row_mask:0xf bank_mask:0xf
	v_cndmask_b32_e64 v8, 0, v8, s3
	v_cmp_eq_u16_sdwa s4, v3, v1 src0_sel:BYTE_0 src1_sel:DWORD
	v_cmp_eq_u32_e64 s3, 1, v14
	v_and_b32_e32 v12, 1, v12
	v_add_nc_u32_e32 v2, v8, v2
	v_cndmask_b32_e64 v8, v12, 1, s3
	v_cmp_lt_u32_e64 s3, 7, v7
	v_mov_b32_dpp v7, v2 row_shr:8 row_mask:0xf bank_mask:0xf
	v_bfe_i32 v12, v20, 4, 1
	s_and_b32 s4, s3, s4
	v_cndmask_b32_e64 v4, v4, v8, s3
	v_cndmask_b32_e64 v7, 0, v7, s4
	;; [unrolled: 1-line block ×3, first 2 shown]
	s_mov_b32 s4, exec_lo
	v_add_nc_u32_e32 v2, v7, v2
	ds_swizzle_b32 v7, v4 offset:swizzle(BROADCAST,32,15)
	v_and_b32_e32 v14, 1, v3
	v_cmp_eq_u16_sdwa s3, v3, v1 src0_sel:BYTE_0 src1_sel:DWORD
	v_and_b32_e32 v3, 16, v20
	ds_swizzle_b32 v8, v2 offset:swizzle(BROADCAST,32,15)
	s_waitcnt lgkmcnt(1)
	v_and_b32_e32 v7, 1, v7
	s_waitcnt lgkmcnt(0)
	v_cndmask_b32_e64 v1, 0, v8, s3
	v_cmp_eq_u32_e64 s3, 1, v14
	v_and_b32_e32 v1, v12, v1
	v_cndmask_b32_e64 v7, v7, 1, s3
	v_cmp_eq_u32_e64 s3, 0, v3
	v_add_nc_u32_e32 v3, v1, v2
	v_cndmask_b32_e64 v4, v7, v4, s3
	v_cmpx_eq_u32_e64 v0, v22
	s_cbranch_execz .LBB1864_73
; %bb.72:
	v_lshlrev_b32_e32 v1, 3, v21
	ds_write_b32 v1, v3
	ds_write_b8 v1, v4 offset:4
.LBB1864_73:
	s_or_b32 exec_lo, exec_lo, s4
	s_mov_b32 s4, exec_lo
	s_waitcnt lgkmcnt(0)
	s_barrier
	buffer_gl0_inv
	v_cmpx_gt_u32_e32 8, v0
	s_cbranch_execz .LBB1864_79
; %bb.74:
	ds_read_b64 v[1:2], v19
	v_and_b32_e32 v7, 7, v20
	s_mov_b32 s5, exec_lo
	s_waitcnt lgkmcnt(0)
	v_and_b32_e32 v8, 0xffffff00, v2
	v_mov_b32_dpp v14, v1 row_shr:1 row_mask:0xf bank_mask:0xf
	v_mov_b32_dpp v15, v2 row_shr:1 row_mask:0xf bank_mask:0xf
	v_mov_b32_e32 v12, v2
	v_cmpx_ne_u32_e32 0, v7
	s_cbranch_execz .LBB1864_76
; %bb.75:
	v_mov_b32_e32 v12, 0
	v_and_b32_e32 v16, 1, v2
	v_and_b32_e32 v15, 1, v15
	v_cmp_eq_u16_sdwa s3, v2, v12 src0_sel:BYTE_0 src1_sel:DWORD
	v_cndmask_b32_e64 v2, 0, v14, s3
	v_cmp_eq_u32_e64 s3, 1, v16
	v_add_nc_u32_e32 v1, v2, v1
	v_cndmask_b32_e64 v14, v15, 1, s3
	v_or_b32_sdwa v12, v8, v14 dst_sel:DWORD dst_unused:UNUSED_PAD src0_sel:DWORD src1_sel:WORD_0
	v_mov_b32_e32 v2, v14
.LBB1864_76:
	s_or_b32 exec_lo, exec_lo, s5
	v_mov_b32_dpp v14, v1 row_shr:2 row_mask:0xf bank_mask:0xf
	v_mov_b32_dpp v15, v12 row_shr:2 row_mask:0xf bank_mask:0xf
	s_mov_b32 s5, exec_lo
	v_cmpx_lt_u32_e32 1, v7
	s_cbranch_execz .LBB1864_78
; %bb.77:
	v_mov_b32_e32 v12, 0
	v_and_b32_e32 v16, 1, v2
	v_and_b32_e32 v15, 1, v15
	v_cmp_eq_u16_sdwa s3, v2, v12 src0_sel:BYTE_0 src1_sel:DWORD
	v_cndmask_b32_e64 v2, 0, v14, s3
	v_cmp_eq_u32_e64 s3, 1, v16
	v_add_nc_u32_e32 v1, v2, v1
	v_cndmask_b32_e64 v14, v15, 1, s3
	v_or_b32_sdwa v12, v8, v14 dst_sel:DWORD dst_unused:UNUSED_PAD src0_sel:DWORD src1_sel:WORD_0
	v_mov_b32_e32 v2, v14
.LBB1864_78:
	s_or_b32 exec_lo, exec_lo, s5
	v_mov_b32_dpp v8, v12 row_shr:4 row_mask:0xf bank_mask:0xf
	v_and_b32_e32 v14, 1, v2
	v_mov_b32_e32 v12, 0
	v_and_b32_e32 v8, 1, v8
	v_cmp_eq_u32_e64 s3, 1, v14
	v_cmp_eq_u16_sdwa s5, v2, v12 src0_sel:BYTE_0 src1_sel:DWORD
	v_cndmask_b32_e64 v8, v8, 1, s3
	v_cmp_lt_u32_e64 s3, 3, v7
	v_mov_b32_dpp v7, v1 row_shr:4 row_mask:0xf bank_mask:0xf
	v_cndmask_b32_e64 v2, v2, v8, s3
	s_and_b32 s3, s3, s5
	v_cndmask_b32_e64 v7, 0, v7, s3
	v_add_nc_u32_e32 v1, v7, v1
	ds_write_b32 v19, v1
	ds_write_b8 v19, v2 offset:4
.LBB1864_79:
	s_or_b32 exec_lo, exec_lo, s4
	v_mov_b32_e32 v1, 0
	s_mov_b32 s4, exec_lo
	s_waitcnt lgkmcnt(0)
	s_barrier
	buffer_gl0_inv
	v_cmpx_lt_u32_e32 31, v0
	s_cbranch_execz .LBB1864_81
; %bb.80:
	v_lshl_add_u32 v1, v21, 3, -8
	v_cmp_eq_u32_e64 s3, 0, v4
	ds_read_b32 v1, v1
	s_waitcnt lgkmcnt(0)
	v_cndmask_b32_e64 v2, 0, v1, s3
	v_add_nc_u32_e32 v3, v2, v3
.LBB1864_81:
	s_or_b32 exec_lo, exec_lo, s4
	v_add_nc_u32_e32 v2, -1, v20
	s_mov_b32 s4, 0
	v_cmp_gt_i32_e64 s3, 0, v2
	v_cndmask_b32_e64 v2, v2, v20, s3
	v_lshlrev_b32_e32 v2, 2, v2
	ds_bpermute_b32 v2, v2, v3
	s_and_saveexec_b32 s3, s1
	s_cbranch_execz .LBB1864_83
; %bb.82:
	v_cmp_eq_u32_e64 s1, 0, v20
	s_mov_b32 s5, 1
	;;#ASMSTART
	;;#ASMEND
	s_waitcnt lgkmcnt(0)
	v_cndmask_b32_e64 v1, v2, v1, s1
	v_cmp_gt_u64_e64 s1, s[4:5], v[9:10]
	v_cndmask_b32_e64 v1, 0, v1, s1
	v_add_nc_u32_e32 v9, v1, v9
	v_cndmask_b32_e32 v1, 0, v9, vcc_lo
	v_add_nc_u32_e32 v5, v1, v11
	v_cndmask_b32_e64 v1, 0, v5, s2
	v_add_nc_u32_e32 v6, v1, v13
.LBB1864_83:
	s_or_b32 exec_lo, exec_lo, s3
	s_and_saveexec_b32 s1, s0
	s_cbranch_execz .LBB1864_85
; %bb.84:
	v_mov_b32_e32 v4, 0
	s_add_u32 s2, s24, 0x200
	s_addc_u32 s3, s25, 0
	v_mov_b32_e32 v3, 2
	v_mov_b32_e32 v8, s3
	ds_read_b32 v1, v4 offset:56
	s_waitcnt lgkmcnt(1)
	ds_read_u8 v2, v4 offset:60
	v_mov_b32_e32 v7, s2
	s_waitcnt lgkmcnt(0)
	;;#ASMSTART
	global_store_dwordx4 v[7:8], v[1:4] off	
s_waitcnt vmcnt(0)
	;;#ASMEND
.LBB1864_85:
	s_or_b32 exec_lo, exec_lo, s1
	v_mov_b32_e32 v7, v9
.LBB1864_86:
	s_add_u32 s0, s14, s6
	v_mov_b32_e32 v3, 0
	s_addc_u32 s1, s15, s7
	s_add_u32 s0, s0, s8
	s_addc_u32 s1, s1, s9
	s_and_b32 vcc_lo, exec_lo, s20
	s_cbranch_vccz .LBB1864_98
; %bb.87:
	v_mul_u32_u24_e32 v1, 3, v0
	v_mov_b32_e32 v4, 0
	s_waitcnt lgkmcnt(0)
	v_mov_b32_e32 v2, 0
	s_add_i32 s21, s21, s26
	s_mov_b32 s2, exec_lo
	v_cmpx_gt_u32_e64 s21, v1
	s_cbranch_execz .LBB1864_93
; %bb.88:
	v_add_nc_u32_e32 v3, 1, v1
	v_mov_b32_e32 v2, 0
	v_mov_b32_e32 v4, 0
	s_mov_b32 s3, exec_lo
	v_cmpx_gt_u32_e64 s21, v3
	s_cbranch_execz .LBB1864_92
; %bb.89:
	v_add_nc_u32_e32 v2, 2, v1
	v_cmp_gt_u32_e32 vcc_lo, s21, v2
	v_mov_b32_e32 v2, 0
	s_and_saveexec_b32 s4, vcc_lo
; %bb.90:
	v_mov_b32_e32 v2, v6
; %bb.91:
	s_or_b32 exec_lo, exec_lo, s4
	v_mov_b32_e32 v4, v5
.LBB1864_92:
	s_or_b32 exec_lo, exec_lo, s3
	v_mov_b32_e32 v3, v7
.LBB1864_93:
	s_or_b32 exec_lo, exec_lo, s2
	v_lshlrev_b32_e32 v8, 2, v1
	s_barrier
	buffer_gl0_inv
	v_sub_nc_u32_e32 v1, v8, v19
	ds_write2_b32 v8, v3, v4 offset1:1
	ds_write_b32 v8, v2 offset:8
	s_waitcnt lgkmcnt(0)
	s_barrier
	buffer_gl0_inv
	ds_read2st64_b32 v[1:2], v1 offset0:4 offset1:8
	v_add_co_u32 v3, s2, s0, v18
	v_add_co_ci_u32_e64 v4, null, s1, 0, s2
	s_mov_b32 s2, exec_lo
	v_cmpx_gt_u32_e64 s21, v0
	s_cbranch_execz .LBB1864_95
; %bb.94:
	v_sub_nc_u32_e32 v9, 0, v19
	v_add_nc_u32_e32 v8, v8, v9
	ds_read_b32 v8, v8
	s_waitcnt lgkmcnt(0)
	flat_store_dword v[3:4], v8
.LBB1864_95:
	s_or_b32 exec_lo, exec_lo, s2
	v_or_b32_e32 v8, 0x100, v0
	s_mov_b32 s2, exec_lo
	v_cmpx_gt_u32_e64 s21, v8
	s_cbranch_execz .LBB1864_97
; %bb.96:
	s_waitcnt lgkmcnt(0)
	flat_store_dword v[3:4], v1 offset:1024
.LBB1864_97:
	s_or_b32 exec_lo, exec_lo, s2
	s_waitcnt lgkmcnt(0)
	v_or_b32_e32 v1, 0x200, v0
	v_cmp_gt_u32_e64 s2, s21, v1
	s_branch .LBB1864_100
.LBB1864_98:
	s_mov_b32 s2, 0
                                        ; implicit-def: $vgpr2
	s_cbranch_execz .LBB1864_100
; %bb.99:
	v_mul_u32_u24_e32 v1, 12, v0
	s_waitcnt lgkmcnt(0)
	s_waitcnt_vscnt null, 0x0
	s_barrier
	buffer_gl0_inv
	s_or_b32 s2, s2, exec_lo
	v_sub_nc_u32_e32 v2, v1, v19
	ds_write2_b32 v1, v7, v5 offset1:1
	ds_write_b32 v1, v6 offset:8
	s_waitcnt lgkmcnt(0)
	s_barrier
	buffer_gl0_inv
	ds_read2st64_b32 v[3:4], v2 offset1:4
	ds_read_b32 v2, v2 offset:2048
	v_add_co_u32 v5, s3, s0, v18
	v_add_co_ci_u32_e64 v6, null, s1, 0, s3
	s_waitcnt lgkmcnt(1)
	flat_store_dword v[5:6], v3
	flat_store_dword v[5:6], v4 offset:1024
.LBB1864_100:
	s_and_saveexec_b32 s3, s2
	s_cbranch_execnz .LBB1864_102
; %bb.101:
	s_endpgm
.LBB1864_102:
	v_lshlrev_b32_e32 v0, 2, v0
	v_add_co_u32 v0, s0, s0, v0
	v_add_co_ci_u32_e64 v1, null, s1, 0, s0
	v_add_co_u32 v0, vcc_lo, 0x800, v0
	v_add_co_ci_u32_e64 v1, null, 0, v1, vcc_lo
	s_waitcnt lgkmcnt(0)
	flat_store_dword v[0:1], v2
	s_endpgm
.LBB1864_103:
	v_add_co_u32 v2, s2, s5, v9
	v_add_co_ci_u32_e64 v3, null, s30, 0, s2
	v_mov_b32_e32 v11, v1
	v_mov_b32_e32 v12, v1
	flat_load_dword v10, v[2:3]
	s_waitcnt vmcnt(0) lgkmcnt(0)
	v_mov_b32_e32 v1, v10
	v_mov_b32_e32 v2, v11
	;; [unrolled: 1-line block ×3, first 2 shown]
	s_or_b32 exec_lo, exec_lo, s16
	s_and_saveexec_b32 s2, s3
	s_cbranch_execz .LBB1864_19
.LBB1864_104:
	v_add_co_u32 v10, s3, s5, v9
	v_add_co_ci_u32_e64 v11, null, s30, 0, s3
	flat_load_dword v2, v[10:11] offset:1024
	s_or_b32 exec_lo, exec_lo, s2
	s_and_saveexec_b32 s2, s4
	s_cbranch_execnz .LBB1864_20
	s_branch .LBB1864_21
.LBB1864_105:
                                        ; implicit-def: $sgpr16_sgpr17
	s_branch .LBB1864_14
.LBB1864_106:
                                        ; implicit-def: $sgpr2_sgpr3
	s_branch .LBB1864_30
	.section	.rodata,"a",@progbits
	.p2align	6, 0x0
	.amdhsa_kernel _ZN7rocprim17ROCPRIM_400000_NS6detail17trampoline_kernelINS0_14default_configENS1_27scan_by_key_config_selectorIjjEEZZNS1_16scan_by_key_implILNS1_25lookback_scan_determinismE0ELb0ES3_N6thrust23THRUST_200600_302600_NS6detail15normal_iteratorINS9_10device_ptrIjEEEESE_SE_jNS9_4plusIvEENS9_8equal_toIvEEjEE10hipError_tPvRmT2_T3_T4_T5_mT6_T7_P12ihipStream_tbENKUlT_T0_E_clISt17integral_constantIbLb0EESY_IbLb1EEEEDaSU_SV_EUlSU_E_NS1_11comp_targetILNS1_3genE8ELNS1_11target_archE1030ELNS1_3gpuE2ELNS1_3repE0EEENS1_30default_config_static_selectorELNS0_4arch9wavefront6targetE0EEEvT1_
		.amdhsa_group_segment_fixed_size 5120
		.amdhsa_private_segment_fixed_size 0
		.amdhsa_kernarg_size 112
		.amdhsa_user_sgpr_count 6
		.amdhsa_user_sgpr_private_segment_buffer 1
		.amdhsa_user_sgpr_dispatch_ptr 0
		.amdhsa_user_sgpr_queue_ptr 0
		.amdhsa_user_sgpr_kernarg_segment_ptr 1
		.amdhsa_user_sgpr_dispatch_id 0
		.amdhsa_user_sgpr_flat_scratch_init 0
		.amdhsa_user_sgpr_private_segment_size 0
		.amdhsa_wavefront_size32 1
		.amdhsa_uses_dynamic_stack 0
		.amdhsa_system_sgpr_private_segment_wavefront_offset 0
		.amdhsa_system_sgpr_workgroup_id_x 1
		.amdhsa_system_sgpr_workgroup_id_y 0
		.amdhsa_system_sgpr_workgroup_id_z 0
		.amdhsa_system_sgpr_workgroup_info 0
		.amdhsa_system_vgpr_workitem_id 0
		.amdhsa_next_free_vgpr 42
		.amdhsa_next_free_sgpr 34
		.amdhsa_reserve_vcc 1
		.amdhsa_reserve_flat_scratch 1
		.amdhsa_float_round_mode_32 0
		.amdhsa_float_round_mode_16_64 0
		.amdhsa_float_denorm_mode_32 3
		.amdhsa_float_denorm_mode_16_64 3
		.amdhsa_dx10_clamp 1
		.amdhsa_ieee_mode 1
		.amdhsa_fp16_overflow 0
		.amdhsa_workgroup_processor_mode 1
		.amdhsa_memory_ordered 1
		.amdhsa_forward_progress 1
		.amdhsa_shared_vgpr_count 0
		.amdhsa_exception_fp_ieee_invalid_op 0
		.amdhsa_exception_fp_denorm_src 0
		.amdhsa_exception_fp_ieee_div_zero 0
		.amdhsa_exception_fp_ieee_overflow 0
		.amdhsa_exception_fp_ieee_underflow 0
		.amdhsa_exception_fp_ieee_inexact 0
		.amdhsa_exception_int_div_zero 0
	.end_amdhsa_kernel
	.section	.text._ZN7rocprim17ROCPRIM_400000_NS6detail17trampoline_kernelINS0_14default_configENS1_27scan_by_key_config_selectorIjjEEZZNS1_16scan_by_key_implILNS1_25lookback_scan_determinismE0ELb0ES3_N6thrust23THRUST_200600_302600_NS6detail15normal_iteratorINS9_10device_ptrIjEEEESE_SE_jNS9_4plusIvEENS9_8equal_toIvEEjEE10hipError_tPvRmT2_T3_T4_T5_mT6_T7_P12ihipStream_tbENKUlT_T0_E_clISt17integral_constantIbLb0EESY_IbLb1EEEEDaSU_SV_EUlSU_E_NS1_11comp_targetILNS1_3genE8ELNS1_11target_archE1030ELNS1_3gpuE2ELNS1_3repE0EEENS1_30default_config_static_selectorELNS0_4arch9wavefront6targetE0EEEvT1_,"axG",@progbits,_ZN7rocprim17ROCPRIM_400000_NS6detail17trampoline_kernelINS0_14default_configENS1_27scan_by_key_config_selectorIjjEEZZNS1_16scan_by_key_implILNS1_25lookback_scan_determinismE0ELb0ES3_N6thrust23THRUST_200600_302600_NS6detail15normal_iteratorINS9_10device_ptrIjEEEESE_SE_jNS9_4plusIvEENS9_8equal_toIvEEjEE10hipError_tPvRmT2_T3_T4_T5_mT6_T7_P12ihipStream_tbENKUlT_T0_E_clISt17integral_constantIbLb0EESY_IbLb1EEEEDaSU_SV_EUlSU_E_NS1_11comp_targetILNS1_3genE8ELNS1_11target_archE1030ELNS1_3gpuE2ELNS1_3repE0EEENS1_30default_config_static_selectorELNS0_4arch9wavefront6targetE0EEEvT1_,comdat
.Lfunc_end1864:
	.size	_ZN7rocprim17ROCPRIM_400000_NS6detail17trampoline_kernelINS0_14default_configENS1_27scan_by_key_config_selectorIjjEEZZNS1_16scan_by_key_implILNS1_25lookback_scan_determinismE0ELb0ES3_N6thrust23THRUST_200600_302600_NS6detail15normal_iteratorINS9_10device_ptrIjEEEESE_SE_jNS9_4plusIvEENS9_8equal_toIvEEjEE10hipError_tPvRmT2_T3_T4_T5_mT6_T7_P12ihipStream_tbENKUlT_T0_E_clISt17integral_constantIbLb0EESY_IbLb1EEEEDaSU_SV_EUlSU_E_NS1_11comp_targetILNS1_3genE8ELNS1_11target_archE1030ELNS1_3gpuE2ELNS1_3repE0EEENS1_30default_config_static_selectorELNS0_4arch9wavefront6targetE0EEEvT1_, .Lfunc_end1864-_ZN7rocprim17ROCPRIM_400000_NS6detail17trampoline_kernelINS0_14default_configENS1_27scan_by_key_config_selectorIjjEEZZNS1_16scan_by_key_implILNS1_25lookback_scan_determinismE0ELb0ES3_N6thrust23THRUST_200600_302600_NS6detail15normal_iteratorINS9_10device_ptrIjEEEESE_SE_jNS9_4plusIvEENS9_8equal_toIvEEjEE10hipError_tPvRmT2_T3_T4_T5_mT6_T7_P12ihipStream_tbENKUlT_T0_E_clISt17integral_constantIbLb0EESY_IbLb1EEEEDaSU_SV_EUlSU_E_NS1_11comp_targetILNS1_3genE8ELNS1_11target_archE1030ELNS1_3gpuE2ELNS1_3repE0EEENS1_30default_config_static_selectorELNS0_4arch9wavefront6targetE0EEEvT1_
                                        ; -- End function
	.set _ZN7rocprim17ROCPRIM_400000_NS6detail17trampoline_kernelINS0_14default_configENS1_27scan_by_key_config_selectorIjjEEZZNS1_16scan_by_key_implILNS1_25lookback_scan_determinismE0ELb0ES3_N6thrust23THRUST_200600_302600_NS6detail15normal_iteratorINS9_10device_ptrIjEEEESE_SE_jNS9_4plusIvEENS9_8equal_toIvEEjEE10hipError_tPvRmT2_T3_T4_T5_mT6_T7_P12ihipStream_tbENKUlT_T0_E_clISt17integral_constantIbLb0EESY_IbLb1EEEEDaSU_SV_EUlSU_E_NS1_11comp_targetILNS1_3genE8ELNS1_11target_archE1030ELNS1_3gpuE2ELNS1_3repE0EEENS1_30default_config_static_selectorELNS0_4arch9wavefront6targetE0EEEvT1_.num_vgpr, 42
	.set _ZN7rocprim17ROCPRIM_400000_NS6detail17trampoline_kernelINS0_14default_configENS1_27scan_by_key_config_selectorIjjEEZZNS1_16scan_by_key_implILNS1_25lookback_scan_determinismE0ELb0ES3_N6thrust23THRUST_200600_302600_NS6detail15normal_iteratorINS9_10device_ptrIjEEEESE_SE_jNS9_4plusIvEENS9_8equal_toIvEEjEE10hipError_tPvRmT2_T3_T4_T5_mT6_T7_P12ihipStream_tbENKUlT_T0_E_clISt17integral_constantIbLb0EESY_IbLb1EEEEDaSU_SV_EUlSU_E_NS1_11comp_targetILNS1_3genE8ELNS1_11target_archE1030ELNS1_3gpuE2ELNS1_3repE0EEENS1_30default_config_static_selectorELNS0_4arch9wavefront6targetE0EEEvT1_.num_agpr, 0
	.set _ZN7rocprim17ROCPRIM_400000_NS6detail17trampoline_kernelINS0_14default_configENS1_27scan_by_key_config_selectorIjjEEZZNS1_16scan_by_key_implILNS1_25lookback_scan_determinismE0ELb0ES3_N6thrust23THRUST_200600_302600_NS6detail15normal_iteratorINS9_10device_ptrIjEEEESE_SE_jNS9_4plusIvEENS9_8equal_toIvEEjEE10hipError_tPvRmT2_T3_T4_T5_mT6_T7_P12ihipStream_tbENKUlT_T0_E_clISt17integral_constantIbLb0EESY_IbLb1EEEEDaSU_SV_EUlSU_E_NS1_11comp_targetILNS1_3genE8ELNS1_11target_archE1030ELNS1_3gpuE2ELNS1_3repE0EEENS1_30default_config_static_selectorELNS0_4arch9wavefront6targetE0EEEvT1_.numbered_sgpr, 34
	.set _ZN7rocprim17ROCPRIM_400000_NS6detail17trampoline_kernelINS0_14default_configENS1_27scan_by_key_config_selectorIjjEEZZNS1_16scan_by_key_implILNS1_25lookback_scan_determinismE0ELb0ES3_N6thrust23THRUST_200600_302600_NS6detail15normal_iteratorINS9_10device_ptrIjEEEESE_SE_jNS9_4plusIvEENS9_8equal_toIvEEjEE10hipError_tPvRmT2_T3_T4_T5_mT6_T7_P12ihipStream_tbENKUlT_T0_E_clISt17integral_constantIbLb0EESY_IbLb1EEEEDaSU_SV_EUlSU_E_NS1_11comp_targetILNS1_3genE8ELNS1_11target_archE1030ELNS1_3gpuE2ELNS1_3repE0EEENS1_30default_config_static_selectorELNS0_4arch9wavefront6targetE0EEEvT1_.num_named_barrier, 0
	.set _ZN7rocprim17ROCPRIM_400000_NS6detail17trampoline_kernelINS0_14default_configENS1_27scan_by_key_config_selectorIjjEEZZNS1_16scan_by_key_implILNS1_25lookback_scan_determinismE0ELb0ES3_N6thrust23THRUST_200600_302600_NS6detail15normal_iteratorINS9_10device_ptrIjEEEESE_SE_jNS9_4plusIvEENS9_8equal_toIvEEjEE10hipError_tPvRmT2_T3_T4_T5_mT6_T7_P12ihipStream_tbENKUlT_T0_E_clISt17integral_constantIbLb0EESY_IbLb1EEEEDaSU_SV_EUlSU_E_NS1_11comp_targetILNS1_3genE8ELNS1_11target_archE1030ELNS1_3gpuE2ELNS1_3repE0EEENS1_30default_config_static_selectorELNS0_4arch9wavefront6targetE0EEEvT1_.private_seg_size, 0
	.set _ZN7rocprim17ROCPRIM_400000_NS6detail17trampoline_kernelINS0_14default_configENS1_27scan_by_key_config_selectorIjjEEZZNS1_16scan_by_key_implILNS1_25lookback_scan_determinismE0ELb0ES3_N6thrust23THRUST_200600_302600_NS6detail15normal_iteratorINS9_10device_ptrIjEEEESE_SE_jNS9_4plusIvEENS9_8equal_toIvEEjEE10hipError_tPvRmT2_T3_T4_T5_mT6_T7_P12ihipStream_tbENKUlT_T0_E_clISt17integral_constantIbLb0EESY_IbLb1EEEEDaSU_SV_EUlSU_E_NS1_11comp_targetILNS1_3genE8ELNS1_11target_archE1030ELNS1_3gpuE2ELNS1_3repE0EEENS1_30default_config_static_selectorELNS0_4arch9wavefront6targetE0EEEvT1_.uses_vcc, 1
	.set _ZN7rocprim17ROCPRIM_400000_NS6detail17trampoline_kernelINS0_14default_configENS1_27scan_by_key_config_selectorIjjEEZZNS1_16scan_by_key_implILNS1_25lookback_scan_determinismE0ELb0ES3_N6thrust23THRUST_200600_302600_NS6detail15normal_iteratorINS9_10device_ptrIjEEEESE_SE_jNS9_4plusIvEENS9_8equal_toIvEEjEE10hipError_tPvRmT2_T3_T4_T5_mT6_T7_P12ihipStream_tbENKUlT_T0_E_clISt17integral_constantIbLb0EESY_IbLb1EEEEDaSU_SV_EUlSU_E_NS1_11comp_targetILNS1_3genE8ELNS1_11target_archE1030ELNS1_3gpuE2ELNS1_3repE0EEENS1_30default_config_static_selectorELNS0_4arch9wavefront6targetE0EEEvT1_.uses_flat_scratch, 1
	.set _ZN7rocprim17ROCPRIM_400000_NS6detail17trampoline_kernelINS0_14default_configENS1_27scan_by_key_config_selectorIjjEEZZNS1_16scan_by_key_implILNS1_25lookback_scan_determinismE0ELb0ES3_N6thrust23THRUST_200600_302600_NS6detail15normal_iteratorINS9_10device_ptrIjEEEESE_SE_jNS9_4plusIvEENS9_8equal_toIvEEjEE10hipError_tPvRmT2_T3_T4_T5_mT6_T7_P12ihipStream_tbENKUlT_T0_E_clISt17integral_constantIbLb0EESY_IbLb1EEEEDaSU_SV_EUlSU_E_NS1_11comp_targetILNS1_3genE8ELNS1_11target_archE1030ELNS1_3gpuE2ELNS1_3repE0EEENS1_30default_config_static_selectorELNS0_4arch9wavefront6targetE0EEEvT1_.has_dyn_sized_stack, 0
	.set _ZN7rocprim17ROCPRIM_400000_NS6detail17trampoline_kernelINS0_14default_configENS1_27scan_by_key_config_selectorIjjEEZZNS1_16scan_by_key_implILNS1_25lookback_scan_determinismE0ELb0ES3_N6thrust23THRUST_200600_302600_NS6detail15normal_iteratorINS9_10device_ptrIjEEEESE_SE_jNS9_4plusIvEENS9_8equal_toIvEEjEE10hipError_tPvRmT2_T3_T4_T5_mT6_T7_P12ihipStream_tbENKUlT_T0_E_clISt17integral_constantIbLb0EESY_IbLb1EEEEDaSU_SV_EUlSU_E_NS1_11comp_targetILNS1_3genE8ELNS1_11target_archE1030ELNS1_3gpuE2ELNS1_3repE0EEENS1_30default_config_static_selectorELNS0_4arch9wavefront6targetE0EEEvT1_.has_recursion, 0
	.set _ZN7rocprim17ROCPRIM_400000_NS6detail17trampoline_kernelINS0_14default_configENS1_27scan_by_key_config_selectorIjjEEZZNS1_16scan_by_key_implILNS1_25lookback_scan_determinismE0ELb0ES3_N6thrust23THRUST_200600_302600_NS6detail15normal_iteratorINS9_10device_ptrIjEEEESE_SE_jNS9_4plusIvEENS9_8equal_toIvEEjEE10hipError_tPvRmT2_T3_T4_T5_mT6_T7_P12ihipStream_tbENKUlT_T0_E_clISt17integral_constantIbLb0EESY_IbLb1EEEEDaSU_SV_EUlSU_E_NS1_11comp_targetILNS1_3genE8ELNS1_11target_archE1030ELNS1_3gpuE2ELNS1_3repE0EEENS1_30default_config_static_selectorELNS0_4arch9wavefront6targetE0EEEvT1_.has_indirect_call, 0
	.section	.AMDGPU.csdata,"",@progbits
; Kernel info:
; codeLenInByte = 6332
; TotalNumSgprs: 36
; NumVgprs: 42
; ScratchSize: 0
; MemoryBound: 0
; FloatMode: 240
; IeeeMode: 1
; LDSByteSize: 5120 bytes/workgroup (compile time only)
; SGPRBlocks: 0
; VGPRBlocks: 5
; NumSGPRsForWavesPerEU: 36
; NumVGPRsForWavesPerEU: 42
; Occupancy: 16
; WaveLimiterHint : 1
; COMPUTE_PGM_RSRC2:SCRATCH_EN: 0
; COMPUTE_PGM_RSRC2:USER_SGPR: 6
; COMPUTE_PGM_RSRC2:TRAP_HANDLER: 0
; COMPUTE_PGM_RSRC2:TGID_X_EN: 1
; COMPUTE_PGM_RSRC2:TGID_Y_EN: 0
; COMPUTE_PGM_RSRC2:TGID_Z_EN: 0
; COMPUTE_PGM_RSRC2:TIDIG_COMP_CNT: 0
	.section	.text._ZN6thrust23THRUST_200600_302600_NS11hip_rocprim14__parallel_for6kernelILj256ENS1_10for_each_fINS0_10device_ptrI11FixedVectorIiLj1EEEENS0_6detail16wrapped_functionINS9_23allocator_traits_detail5gozerEvEEEElLj1EEEvT0_T1_SG_,"axG",@progbits,_ZN6thrust23THRUST_200600_302600_NS11hip_rocprim14__parallel_for6kernelILj256ENS1_10for_each_fINS0_10device_ptrI11FixedVectorIiLj1EEEENS0_6detail16wrapped_functionINS9_23allocator_traits_detail5gozerEvEEEElLj1EEEvT0_T1_SG_,comdat
	.protected	_ZN6thrust23THRUST_200600_302600_NS11hip_rocprim14__parallel_for6kernelILj256ENS1_10for_each_fINS0_10device_ptrI11FixedVectorIiLj1EEEENS0_6detail16wrapped_functionINS9_23allocator_traits_detail5gozerEvEEEElLj1EEEvT0_T1_SG_ ; -- Begin function _ZN6thrust23THRUST_200600_302600_NS11hip_rocprim14__parallel_for6kernelILj256ENS1_10for_each_fINS0_10device_ptrI11FixedVectorIiLj1EEEENS0_6detail16wrapped_functionINS9_23allocator_traits_detail5gozerEvEEEElLj1EEEvT0_T1_SG_
	.globl	_ZN6thrust23THRUST_200600_302600_NS11hip_rocprim14__parallel_for6kernelILj256ENS1_10for_each_fINS0_10device_ptrI11FixedVectorIiLj1EEEENS0_6detail16wrapped_functionINS9_23allocator_traits_detail5gozerEvEEEElLj1EEEvT0_T1_SG_
	.p2align	8
	.type	_ZN6thrust23THRUST_200600_302600_NS11hip_rocprim14__parallel_for6kernelILj256ENS1_10for_each_fINS0_10device_ptrI11FixedVectorIiLj1EEEENS0_6detail16wrapped_functionINS9_23allocator_traits_detail5gozerEvEEEElLj1EEEvT0_T1_SG_,@function
_ZN6thrust23THRUST_200600_302600_NS11hip_rocprim14__parallel_for6kernelILj256ENS1_10for_each_fINS0_10device_ptrI11FixedVectorIiLj1EEEENS0_6detail16wrapped_functionINS9_23allocator_traits_detail5gozerEvEEEElLj1EEEvT0_T1_SG_: ; @_ZN6thrust23THRUST_200600_302600_NS11hip_rocprim14__parallel_for6kernelILj256ENS1_10for_each_fINS0_10device_ptrI11FixedVectorIiLj1EEEENS0_6detail16wrapped_functionINS9_23allocator_traits_detail5gozerEvEEEElLj1EEEvT0_T1_SG_
; %bb.0:
	s_endpgm
	.section	.rodata,"a",@progbits
	.p2align	6, 0x0
	.amdhsa_kernel _ZN6thrust23THRUST_200600_302600_NS11hip_rocprim14__parallel_for6kernelILj256ENS1_10for_each_fINS0_10device_ptrI11FixedVectorIiLj1EEEENS0_6detail16wrapped_functionINS9_23allocator_traits_detail5gozerEvEEEElLj1EEEvT0_T1_SG_
		.amdhsa_group_segment_fixed_size 0
		.amdhsa_private_segment_fixed_size 0
		.amdhsa_kernarg_size 32
		.amdhsa_user_sgpr_count 6
		.amdhsa_user_sgpr_private_segment_buffer 1
		.amdhsa_user_sgpr_dispatch_ptr 0
		.amdhsa_user_sgpr_queue_ptr 0
		.amdhsa_user_sgpr_kernarg_segment_ptr 1
		.amdhsa_user_sgpr_dispatch_id 0
		.amdhsa_user_sgpr_flat_scratch_init 0
		.amdhsa_user_sgpr_private_segment_size 0
		.amdhsa_wavefront_size32 1
		.amdhsa_uses_dynamic_stack 0
		.amdhsa_system_sgpr_private_segment_wavefront_offset 0
		.amdhsa_system_sgpr_workgroup_id_x 1
		.amdhsa_system_sgpr_workgroup_id_y 0
		.amdhsa_system_sgpr_workgroup_id_z 0
		.amdhsa_system_sgpr_workgroup_info 0
		.amdhsa_system_vgpr_workitem_id 0
		.amdhsa_next_free_vgpr 1
		.amdhsa_next_free_sgpr 1
		.amdhsa_reserve_vcc 0
		.amdhsa_reserve_flat_scratch 0
		.amdhsa_float_round_mode_32 0
		.amdhsa_float_round_mode_16_64 0
		.amdhsa_float_denorm_mode_32 3
		.amdhsa_float_denorm_mode_16_64 3
		.amdhsa_dx10_clamp 1
		.amdhsa_ieee_mode 1
		.amdhsa_fp16_overflow 0
		.amdhsa_workgroup_processor_mode 1
		.amdhsa_memory_ordered 1
		.amdhsa_forward_progress 1
		.amdhsa_shared_vgpr_count 0
		.amdhsa_exception_fp_ieee_invalid_op 0
		.amdhsa_exception_fp_denorm_src 0
		.amdhsa_exception_fp_ieee_div_zero 0
		.amdhsa_exception_fp_ieee_overflow 0
		.amdhsa_exception_fp_ieee_underflow 0
		.amdhsa_exception_fp_ieee_inexact 0
		.amdhsa_exception_int_div_zero 0
	.end_amdhsa_kernel
	.section	.text._ZN6thrust23THRUST_200600_302600_NS11hip_rocprim14__parallel_for6kernelILj256ENS1_10for_each_fINS0_10device_ptrI11FixedVectorIiLj1EEEENS0_6detail16wrapped_functionINS9_23allocator_traits_detail5gozerEvEEEElLj1EEEvT0_T1_SG_,"axG",@progbits,_ZN6thrust23THRUST_200600_302600_NS11hip_rocprim14__parallel_for6kernelILj256ENS1_10for_each_fINS0_10device_ptrI11FixedVectorIiLj1EEEENS0_6detail16wrapped_functionINS9_23allocator_traits_detail5gozerEvEEEElLj1EEEvT0_T1_SG_,comdat
.Lfunc_end1865:
	.size	_ZN6thrust23THRUST_200600_302600_NS11hip_rocprim14__parallel_for6kernelILj256ENS1_10for_each_fINS0_10device_ptrI11FixedVectorIiLj1EEEENS0_6detail16wrapped_functionINS9_23allocator_traits_detail5gozerEvEEEElLj1EEEvT0_T1_SG_, .Lfunc_end1865-_ZN6thrust23THRUST_200600_302600_NS11hip_rocprim14__parallel_for6kernelILj256ENS1_10for_each_fINS0_10device_ptrI11FixedVectorIiLj1EEEENS0_6detail16wrapped_functionINS9_23allocator_traits_detail5gozerEvEEEElLj1EEEvT0_T1_SG_
                                        ; -- End function
	.set _ZN6thrust23THRUST_200600_302600_NS11hip_rocprim14__parallel_for6kernelILj256ENS1_10for_each_fINS0_10device_ptrI11FixedVectorIiLj1EEEENS0_6detail16wrapped_functionINS9_23allocator_traits_detail5gozerEvEEEElLj1EEEvT0_T1_SG_.num_vgpr, 0
	.set _ZN6thrust23THRUST_200600_302600_NS11hip_rocprim14__parallel_for6kernelILj256ENS1_10for_each_fINS0_10device_ptrI11FixedVectorIiLj1EEEENS0_6detail16wrapped_functionINS9_23allocator_traits_detail5gozerEvEEEElLj1EEEvT0_T1_SG_.num_agpr, 0
	.set _ZN6thrust23THRUST_200600_302600_NS11hip_rocprim14__parallel_for6kernelILj256ENS1_10for_each_fINS0_10device_ptrI11FixedVectorIiLj1EEEENS0_6detail16wrapped_functionINS9_23allocator_traits_detail5gozerEvEEEElLj1EEEvT0_T1_SG_.numbered_sgpr, 0
	.set _ZN6thrust23THRUST_200600_302600_NS11hip_rocprim14__parallel_for6kernelILj256ENS1_10for_each_fINS0_10device_ptrI11FixedVectorIiLj1EEEENS0_6detail16wrapped_functionINS9_23allocator_traits_detail5gozerEvEEEElLj1EEEvT0_T1_SG_.num_named_barrier, 0
	.set _ZN6thrust23THRUST_200600_302600_NS11hip_rocprim14__parallel_for6kernelILj256ENS1_10for_each_fINS0_10device_ptrI11FixedVectorIiLj1EEEENS0_6detail16wrapped_functionINS9_23allocator_traits_detail5gozerEvEEEElLj1EEEvT0_T1_SG_.private_seg_size, 0
	.set _ZN6thrust23THRUST_200600_302600_NS11hip_rocprim14__parallel_for6kernelILj256ENS1_10for_each_fINS0_10device_ptrI11FixedVectorIiLj1EEEENS0_6detail16wrapped_functionINS9_23allocator_traits_detail5gozerEvEEEElLj1EEEvT0_T1_SG_.uses_vcc, 0
	.set _ZN6thrust23THRUST_200600_302600_NS11hip_rocprim14__parallel_for6kernelILj256ENS1_10for_each_fINS0_10device_ptrI11FixedVectorIiLj1EEEENS0_6detail16wrapped_functionINS9_23allocator_traits_detail5gozerEvEEEElLj1EEEvT0_T1_SG_.uses_flat_scratch, 0
	.set _ZN6thrust23THRUST_200600_302600_NS11hip_rocprim14__parallel_for6kernelILj256ENS1_10for_each_fINS0_10device_ptrI11FixedVectorIiLj1EEEENS0_6detail16wrapped_functionINS9_23allocator_traits_detail5gozerEvEEEElLj1EEEvT0_T1_SG_.has_dyn_sized_stack, 0
	.set _ZN6thrust23THRUST_200600_302600_NS11hip_rocprim14__parallel_for6kernelILj256ENS1_10for_each_fINS0_10device_ptrI11FixedVectorIiLj1EEEENS0_6detail16wrapped_functionINS9_23allocator_traits_detail5gozerEvEEEElLj1EEEvT0_T1_SG_.has_recursion, 0
	.set _ZN6thrust23THRUST_200600_302600_NS11hip_rocprim14__parallel_for6kernelILj256ENS1_10for_each_fINS0_10device_ptrI11FixedVectorIiLj1EEEENS0_6detail16wrapped_functionINS9_23allocator_traits_detail5gozerEvEEEElLj1EEEvT0_T1_SG_.has_indirect_call, 0
	.section	.AMDGPU.csdata,"",@progbits
; Kernel info:
; codeLenInByte = 4
; TotalNumSgprs: 0
; NumVgprs: 0
; ScratchSize: 0
; MemoryBound: 0
; FloatMode: 240
; IeeeMode: 1
; LDSByteSize: 0 bytes/workgroup (compile time only)
; SGPRBlocks: 0
; VGPRBlocks: 0
; NumSGPRsForWavesPerEU: 1
; NumVGPRsForWavesPerEU: 1
; Occupancy: 16
; WaveLimiterHint : 0
; COMPUTE_PGM_RSRC2:SCRATCH_EN: 0
; COMPUTE_PGM_RSRC2:USER_SGPR: 6
; COMPUTE_PGM_RSRC2:TRAP_HANDLER: 0
; COMPUTE_PGM_RSRC2:TGID_X_EN: 1
; COMPUTE_PGM_RSRC2:TGID_Y_EN: 0
; COMPUTE_PGM_RSRC2:TGID_Z_EN: 0
; COMPUTE_PGM_RSRC2:TIDIG_COMP_CNT: 0
	.section	.text._ZN6thrust23THRUST_200600_302600_NS11hip_rocprim14__parallel_for6kernelILj256ENS1_10for_each_fINS0_10device_ptrI11FixedVectorIiLj1EEEENS0_6detail16wrapped_functionINS9_23allocator_traits_detail24construct1_via_allocatorINS0_16device_allocatorIS7_EEEEvEEEEmLj1EEEvT0_T1_SJ_,"axG",@progbits,_ZN6thrust23THRUST_200600_302600_NS11hip_rocprim14__parallel_for6kernelILj256ENS1_10for_each_fINS0_10device_ptrI11FixedVectorIiLj1EEEENS0_6detail16wrapped_functionINS9_23allocator_traits_detail24construct1_via_allocatorINS0_16device_allocatorIS7_EEEEvEEEEmLj1EEEvT0_T1_SJ_,comdat
	.protected	_ZN6thrust23THRUST_200600_302600_NS11hip_rocprim14__parallel_for6kernelILj256ENS1_10for_each_fINS0_10device_ptrI11FixedVectorIiLj1EEEENS0_6detail16wrapped_functionINS9_23allocator_traits_detail24construct1_via_allocatorINS0_16device_allocatorIS7_EEEEvEEEEmLj1EEEvT0_T1_SJ_ ; -- Begin function _ZN6thrust23THRUST_200600_302600_NS11hip_rocprim14__parallel_for6kernelILj256ENS1_10for_each_fINS0_10device_ptrI11FixedVectorIiLj1EEEENS0_6detail16wrapped_functionINS9_23allocator_traits_detail24construct1_via_allocatorINS0_16device_allocatorIS7_EEEEvEEEEmLj1EEEvT0_T1_SJ_
	.globl	_ZN6thrust23THRUST_200600_302600_NS11hip_rocprim14__parallel_for6kernelILj256ENS1_10for_each_fINS0_10device_ptrI11FixedVectorIiLj1EEEENS0_6detail16wrapped_functionINS9_23allocator_traits_detail24construct1_via_allocatorINS0_16device_allocatorIS7_EEEEvEEEEmLj1EEEvT0_T1_SJ_
	.p2align	8
	.type	_ZN6thrust23THRUST_200600_302600_NS11hip_rocprim14__parallel_for6kernelILj256ENS1_10for_each_fINS0_10device_ptrI11FixedVectorIiLj1EEEENS0_6detail16wrapped_functionINS9_23allocator_traits_detail24construct1_via_allocatorINS0_16device_allocatorIS7_EEEEvEEEEmLj1EEEvT0_T1_SJ_,@function
_ZN6thrust23THRUST_200600_302600_NS11hip_rocprim14__parallel_for6kernelILj256ENS1_10for_each_fINS0_10device_ptrI11FixedVectorIiLj1EEEENS0_6detail16wrapped_functionINS9_23allocator_traits_detail24construct1_via_allocatorINS0_16device_allocatorIS7_EEEEvEEEEmLj1EEEvT0_T1_SJ_: ; @_ZN6thrust23THRUST_200600_302600_NS11hip_rocprim14__parallel_for6kernelILj256ENS1_10for_each_fINS0_10device_ptrI11FixedVectorIiLj1EEEENS0_6detail16wrapped_functionINS9_23allocator_traits_detail24construct1_via_allocatorINS0_16device_allocatorIS7_EEEEvEEEEmLj1EEEvT0_T1_SJ_
; %bb.0:
	s_clause 0x1
	s_load_dwordx4 s[8:11], s[4:5], 0x10
	s_load_dwordx2 s[0:1], s[4:5], 0x0
	s_lshl_b32 s2, s6, 8
	s_waitcnt lgkmcnt(0)
	s_add_u32 s2, s10, s2
	s_addc_u32 s3, s11, 0
	s_sub_u32 s4, s8, s2
	s_subb_u32 s5, s9, s3
	v_cmp_lt_u64_e64 s5, 0xff, s[4:5]
	s_and_b32 vcc_lo, exec_lo, s5
	s_mov_b32 s5, -1
	s_cbranch_vccz .LBB1866_3
; %bb.1:
	s_andn2_b32 vcc_lo, exec_lo, s5
	s_cbranch_vccz .LBB1866_6
.LBB1866_2:
	s_endpgm
.LBB1866_3:
	v_cmp_gt_u32_e32 vcc_lo, s4, v0
	s_and_saveexec_b32 s4, vcc_lo
	s_cbranch_execz .LBB1866_5
; %bb.4:
	v_lshlrev_b32_e32 v1, 2, v0
	s_lshl_b64 s[6:7], s[2:3], 2
	v_mov_b32_e32 v3, 0
	s_add_u32 s5, s0, s6
	s_addc_u32 s6, s1, s7
	v_add_co_u32 v1, s5, s5, v1
	v_add_co_ci_u32_e64 v2, null, s6, 0, s5
	flat_store_dword v[1:2], v3
.LBB1866_5:
	s_or_b32 exec_lo, exec_lo, s4
	s_cbranch_execnz .LBB1866_2
.LBB1866_6:
	v_lshlrev_b32_e32 v0, 2, v0
	s_lshl_b64 s[2:3], s[2:3], 2
	v_mov_b32_e32 v2, 0
	s_add_u32 s0, s0, s2
	s_addc_u32 s1, s1, s3
	v_add_co_u32 v0, s0, s0, v0
	v_add_co_ci_u32_e64 v1, null, s1, 0, s0
	flat_store_dword v[0:1], v2
	s_endpgm
	.section	.rodata,"a",@progbits
	.p2align	6, 0x0
	.amdhsa_kernel _ZN6thrust23THRUST_200600_302600_NS11hip_rocprim14__parallel_for6kernelILj256ENS1_10for_each_fINS0_10device_ptrI11FixedVectorIiLj1EEEENS0_6detail16wrapped_functionINS9_23allocator_traits_detail24construct1_via_allocatorINS0_16device_allocatorIS7_EEEEvEEEEmLj1EEEvT0_T1_SJ_
		.amdhsa_group_segment_fixed_size 0
		.amdhsa_private_segment_fixed_size 0
		.amdhsa_kernarg_size 32
		.amdhsa_user_sgpr_count 6
		.amdhsa_user_sgpr_private_segment_buffer 1
		.amdhsa_user_sgpr_dispatch_ptr 0
		.amdhsa_user_sgpr_queue_ptr 0
		.amdhsa_user_sgpr_kernarg_segment_ptr 1
		.amdhsa_user_sgpr_dispatch_id 0
		.amdhsa_user_sgpr_flat_scratch_init 0
		.amdhsa_user_sgpr_private_segment_size 0
		.amdhsa_wavefront_size32 1
		.amdhsa_uses_dynamic_stack 0
		.amdhsa_system_sgpr_private_segment_wavefront_offset 0
		.amdhsa_system_sgpr_workgroup_id_x 1
		.amdhsa_system_sgpr_workgroup_id_y 0
		.amdhsa_system_sgpr_workgroup_id_z 0
		.amdhsa_system_sgpr_workgroup_info 0
		.amdhsa_system_vgpr_workitem_id 0
		.amdhsa_next_free_vgpr 4
		.amdhsa_next_free_sgpr 12
		.amdhsa_reserve_vcc 1
		.amdhsa_reserve_flat_scratch 0
		.amdhsa_float_round_mode_32 0
		.amdhsa_float_round_mode_16_64 0
		.amdhsa_float_denorm_mode_32 3
		.amdhsa_float_denorm_mode_16_64 3
		.amdhsa_dx10_clamp 1
		.amdhsa_ieee_mode 1
		.amdhsa_fp16_overflow 0
		.amdhsa_workgroup_processor_mode 1
		.amdhsa_memory_ordered 1
		.amdhsa_forward_progress 1
		.amdhsa_shared_vgpr_count 0
		.amdhsa_exception_fp_ieee_invalid_op 0
		.amdhsa_exception_fp_denorm_src 0
		.amdhsa_exception_fp_ieee_div_zero 0
		.amdhsa_exception_fp_ieee_overflow 0
		.amdhsa_exception_fp_ieee_underflow 0
		.amdhsa_exception_fp_ieee_inexact 0
		.amdhsa_exception_int_div_zero 0
	.end_amdhsa_kernel
	.section	.text._ZN6thrust23THRUST_200600_302600_NS11hip_rocprim14__parallel_for6kernelILj256ENS1_10for_each_fINS0_10device_ptrI11FixedVectorIiLj1EEEENS0_6detail16wrapped_functionINS9_23allocator_traits_detail24construct1_via_allocatorINS0_16device_allocatorIS7_EEEEvEEEEmLj1EEEvT0_T1_SJ_,"axG",@progbits,_ZN6thrust23THRUST_200600_302600_NS11hip_rocprim14__parallel_for6kernelILj256ENS1_10for_each_fINS0_10device_ptrI11FixedVectorIiLj1EEEENS0_6detail16wrapped_functionINS9_23allocator_traits_detail24construct1_via_allocatorINS0_16device_allocatorIS7_EEEEvEEEEmLj1EEEvT0_T1_SJ_,comdat
.Lfunc_end1866:
	.size	_ZN6thrust23THRUST_200600_302600_NS11hip_rocprim14__parallel_for6kernelILj256ENS1_10for_each_fINS0_10device_ptrI11FixedVectorIiLj1EEEENS0_6detail16wrapped_functionINS9_23allocator_traits_detail24construct1_via_allocatorINS0_16device_allocatorIS7_EEEEvEEEEmLj1EEEvT0_T1_SJ_, .Lfunc_end1866-_ZN6thrust23THRUST_200600_302600_NS11hip_rocprim14__parallel_for6kernelILj256ENS1_10for_each_fINS0_10device_ptrI11FixedVectorIiLj1EEEENS0_6detail16wrapped_functionINS9_23allocator_traits_detail24construct1_via_allocatorINS0_16device_allocatorIS7_EEEEvEEEEmLj1EEEvT0_T1_SJ_
                                        ; -- End function
	.set _ZN6thrust23THRUST_200600_302600_NS11hip_rocprim14__parallel_for6kernelILj256ENS1_10for_each_fINS0_10device_ptrI11FixedVectorIiLj1EEEENS0_6detail16wrapped_functionINS9_23allocator_traits_detail24construct1_via_allocatorINS0_16device_allocatorIS7_EEEEvEEEEmLj1EEEvT0_T1_SJ_.num_vgpr, 4
	.set _ZN6thrust23THRUST_200600_302600_NS11hip_rocprim14__parallel_for6kernelILj256ENS1_10for_each_fINS0_10device_ptrI11FixedVectorIiLj1EEEENS0_6detail16wrapped_functionINS9_23allocator_traits_detail24construct1_via_allocatorINS0_16device_allocatorIS7_EEEEvEEEEmLj1EEEvT0_T1_SJ_.num_agpr, 0
	.set _ZN6thrust23THRUST_200600_302600_NS11hip_rocprim14__parallel_for6kernelILj256ENS1_10for_each_fINS0_10device_ptrI11FixedVectorIiLj1EEEENS0_6detail16wrapped_functionINS9_23allocator_traits_detail24construct1_via_allocatorINS0_16device_allocatorIS7_EEEEvEEEEmLj1EEEvT0_T1_SJ_.numbered_sgpr, 12
	.set _ZN6thrust23THRUST_200600_302600_NS11hip_rocprim14__parallel_for6kernelILj256ENS1_10for_each_fINS0_10device_ptrI11FixedVectorIiLj1EEEENS0_6detail16wrapped_functionINS9_23allocator_traits_detail24construct1_via_allocatorINS0_16device_allocatorIS7_EEEEvEEEEmLj1EEEvT0_T1_SJ_.num_named_barrier, 0
	.set _ZN6thrust23THRUST_200600_302600_NS11hip_rocprim14__parallel_for6kernelILj256ENS1_10for_each_fINS0_10device_ptrI11FixedVectorIiLj1EEEENS0_6detail16wrapped_functionINS9_23allocator_traits_detail24construct1_via_allocatorINS0_16device_allocatorIS7_EEEEvEEEEmLj1EEEvT0_T1_SJ_.private_seg_size, 0
	.set _ZN6thrust23THRUST_200600_302600_NS11hip_rocprim14__parallel_for6kernelILj256ENS1_10for_each_fINS0_10device_ptrI11FixedVectorIiLj1EEEENS0_6detail16wrapped_functionINS9_23allocator_traits_detail24construct1_via_allocatorINS0_16device_allocatorIS7_EEEEvEEEEmLj1EEEvT0_T1_SJ_.uses_vcc, 1
	.set _ZN6thrust23THRUST_200600_302600_NS11hip_rocprim14__parallel_for6kernelILj256ENS1_10for_each_fINS0_10device_ptrI11FixedVectorIiLj1EEEENS0_6detail16wrapped_functionINS9_23allocator_traits_detail24construct1_via_allocatorINS0_16device_allocatorIS7_EEEEvEEEEmLj1EEEvT0_T1_SJ_.uses_flat_scratch, 0
	.set _ZN6thrust23THRUST_200600_302600_NS11hip_rocprim14__parallel_for6kernelILj256ENS1_10for_each_fINS0_10device_ptrI11FixedVectorIiLj1EEEENS0_6detail16wrapped_functionINS9_23allocator_traits_detail24construct1_via_allocatorINS0_16device_allocatorIS7_EEEEvEEEEmLj1EEEvT0_T1_SJ_.has_dyn_sized_stack, 0
	.set _ZN6thrust23THRUST_200600_302600_NS11hip_rocprim14__parallel_for6kernelILj256ENS1_10for_each_fINS0_10device_ptrI11FixedVectorIiLj1EEEENS0_6detail16wrapped_functionINS9_23allocator_traits_detail24construct1_via_allocatorINS0_16device_allocatorIS7_EEEEvEEEEmLj1EEEvT0_T1_SJ_.has_recursion, 0
	.set _ZN6thrust23THRUST_200600_302600_NS11hip_rocprim14__parallel_for6kernelILj256ENS1_10for_each_fINS0_10device_ptrI11FixedVectorIiLj1EEEENS0_6detail16wrapped_functionINS9_23allocator_traits_detail24construct1_via_allocatorINS0_16device_allocatorIS7_EEEEvEEEEmLj1EEEvT0_T1_SJ_.has_indirect_call, 0
	.section	.AMDGPU.csdata,"",@progbits
; Kernel info:
; codeLenInByte = 192
; TotalNumSgprs: 14
; NumVgprs: 4
; ScratchSize: 0
; MemoryBound: 0
; FloatMode: 240
; IeeeMode: 1
; LDSByteSize: 0 bytes/workgroup (compile time only)
; SGPRBlocks: 0
; VGPRBlocks: 0
; NumSGPRsForWavesPerEU: 14
; NumVGPRsForWavesPerEU: 4
; Occupancy: 16
; WaveLimiterHint : 0
; COMPUTE_PGM_RSRC2:SCRATCH_EN: 0
; COMPUTE_PGM_RSRC2:USER_SGPR: 6
; COMPUTE_PGM_RSRC2:TRAP_HANDLER: 0
; COMPUTE_PGM_RSRC2:TGID_X_EN: 1
; COMPUTE_PGM_RSRC2:TGID_Y_EN: 0
; COMPUTE_PGM_RSRC2:TGID_Z_EN: 0
; COMPUTE_PGM_RSRC2:TIDIG_COMP_CNT: 0
	.section	.text._ZN7rocprim17ROCPRIM_400000_NS6detail30init_device_scan_by_key_kernelINS1_19lookback_scan_stateINS0_5tupleIJ11FixedVectorIiLj1EEbEEELb0ELb1EEEN6thrust23THRUST_200600_302600_NS6detail15normal_iteratorINSA_10device_ptrIjEEEEjNS1_16block_id_wrapperIjLb0EEEEEvT_jjPNSI_10value_typeET0_PNSt15iterator_traitsISL_E10value_typeEmT1_T2_,"axG",@progbits,_ZN7rocprim17ROCPRIM_400000_NS6detail30init_device_scan_by_key_kernelINS1_19lookback_scan_stateINS0_5tupleIJ11FixedVectorIiLj1EEbEEELb0ELb1EEEN6thrust23THRUST_200600_302600_NS6detail15normal_iteratorINSA_10device_ptrIjEEEEjNS1_16block_id_wrapperIjLb0EEEEEvT_jjPNSI_10value_typeET0_PNSt15iterator_traitsISL_E10value_typeEmT1_T2_,comdat
	.protected	_ZN7rocprim17ROCPRIM_400000_NS6detail30init_device_scan_by_key_kernelINS1_19lookback_scan_stateINS0_5tupleIJ11FixedVectorIiLj1EEbEEELb0ELb1EEEN6thrust23THRUST_200600_302600_NS6detail15normal_iteratorINSA_10device_ptrIjEEEEjNS1_16block_id_wrapperIjLb0EEEEEvT_jjPNSI_10value_typeET0_PNSt15iterator_traitsISL_E10value_typeEmT1_T2_ ; -- Begin function _ZN7rocprim17ROCPRIM_400000_NS6detail30init_device_scan_by_key_kernelINS1_19lookback_scan_stateINS0_5tupleIJ11FixedVectorIiLj1EEbEEELb0ELb1EEEN6thrust23THRUST_200600_302600_NS6detail15normal_iteratorINSA_10device_ptrIjEEEEjNS1_16block_id_wrapperIjLb0EEEEEvT_jjPNSI_10value_typeET0_PNSt15iterator_traitsISL_E10value_typeEmT1_T2_
	.globl	_ZN7rocprim17ROCPRIM_400000_NS6detail30init_device_scan_by_key_kernelINS1_19lookback_scan_stateINS0_5tupleIJ11FixedVectorIiLj1EEbEEELb0ELb1EEEN6thrust23THRUST_200600_302600_NS6detail15normal_iteratorINSA_10device_ptrIjEEEEjNS1_16block_id_wrapperIjLb0EEEEEvT_jjPNSI_10value_typeET0_PNSt15iterator_traitsISL_E10value_typeEmT1_T2_
	.p2align	8
	.type	_ZN7rocprim17ROCPRIM_400000_NS6detail30init_device_scan_by_key_kernelINS1_19lookback_scan_stateINS0_5tupleIJ11FixedVectorIiLj1EEbEEELb0ELb1EEEN6thrust23THRUST_200600_302600_NS6detail15normal_iteratorINSA_10device_ptrIjEEEEjNS1_16block_id_wrapperIjLb0EEEEEvT_jjPNSI_10value_typeET0_PNSt15iterator_traitsISL_E10value_typeEmT1_T2_,@function
_ZN7rocprim17ROCPRIM_400000_NS6detail30init_device_scan_by_key_kernelINS1_19lookback_scan_stateINS0_5tupleIJ11FixedVectorIiLj1EEbEEELb0ELb1EEEN6thrust23THRUST_200600_302600_NS6detail15normal_iteratorINSA_10device_ptrIjEEEEjNS1_16block_id_wrapperIjLb0EEEEEvT_jjPNSI_10value_typeET0_PNSt15iterator_traitsISL_E10value_typeEmT1_T2_: ; @_ZN7rocprim17ROCPRIM_400000_NS6detail30init_device_scan_by_key_kernelINS1_19lookback_scan_stateINS0_5tupleIJ11FixedVectorIiLj1EEbEEELb0ELb1EEEN6thrust23THRUST_200600_302600_NS6detail15normal_iteratorINSA_10device_ptrIjEEEEjNS1_16block_id_wrapperIjLb0EEEEEvT_jjPNSI_10value_typeET0_PNSt15iterator_traitsISL_E10value_typeEmT1_T2_
; %bb.0:
	s_clause 0x2
	s_load_dword s0, s[4:5], 0x44
	s_load_dwordx8 s[8:15], s[4:5], 0x0
	s_load_dword s7, s[4:5], 0x38
	s_waitcnt lgkmcnt(0)
	s_and_b32 s16, s0, 0xffff
	s_cmp_eq_u64 s[12:13], 0
	v_mad_u64_u32 v[4:5], null, s6, s16, v[0:1]
	s_cbranch_scc1 .LBB1867_8
; %bb.1:
	s_cmp_lt_u32 s11, s10
	s_mov_b32 s1, 0
	s_cselect_b32 s0, s11, 0
	s_mov_b32 s2, exec_lo
	v_cmpx_eq_u32_e64 s0, v4
	s_cbranch_execz .LBB1867_7
; %bb.2:
	s_add_i32 s0, s11, 32
	v_mov_b32_e32 v6, 0
	s_lshl_b64 s[0:1], s[0:1], 4
	s_mov_b32 s3, exec_lo
	s_add_u32 s0, s8, s0
	s_addc_u32 s1, s9, s1
	v_mov_b32_e32 v0, s0
	v_mov_b32_e32 v1, s1
	;;#ASMSTART
	global_load_dwordx4 v[0:3], v[0:1] off glc dlc	
s_waitcnt vmcnt(0)
	;;#ASMEND
	v_and_b32_e32 v5, 0xff, v2
	v_cmpx_eq_u64_e32 0, v[5:6]
	s_cbranch_execz .LBB1867_6
; %bb.3:
	v_mov_b32_e32 v8, s1
	v_mov_b32_e32 v7, s0
	s_mov_b32 s0, 0
.LBB1867_4:                             ; =>This Inner Loop Header: Depth=1
	;;#ASMSTART
	global_load_dwordx4 v[0:3], v[7:8] off glc dlc	
s_waitcnt vmcnt(0)
	;;#ASMEND
	v_and_b32_e32 v5, 0xff, v2
	v_cmp_ne_u64_e32 vcc_lo, 0, v[5:6]
	s_or_b32 s0, vcc_lo, s0
	s_andn2_b32 exec_lo, exec_lo, s0
	s_cbranch_execnz .LBB1867_4
; %bb.5:
	s_or_b32 exec_lo, exec_lo, s0
.LBB1867_6:
	s_or_b32 exec_lo, exec_lo, s3
	v_mov_b32_e32 v2, 0
	global_store_dword v2, v0, s[12:13]
	global_store_byte v2, v1, s[12:13] offset:4
.LBB1867_7:
	s_or_b32 exec_lo, exec_lo, s2
.LBB1867_8:
	s_mov_b32 s0, exec_lo
	v_cmpx_gt_u32_e64 s10, v4
	s_cbranch_execz .LBB1867_10
; %bb.9:
	v_add_nc_u32_e32 v0, 32, v4
	v_mov_b32_e32 v1, 0
	v_lshlrev_b64 v[5:6], 4, v[0:1]
	v_mov_b32_e32 v0, v1
	v_mov_b32_e32 v2, v1
	;; [unrolled: 1-line block ×3, first 2 shown]
	v_add_co_u32 v5, vcc_lo, s8, v5
	v_add_co_ci_u32_e64 v6, null, s9, v6, vcc_lo
	global_store_dwordx4 v[5:6], v[0:3], off
.LBB1867_10:
	s_or_b32 exec_lo, exec_lo, s0
	v_mov_b32_e32 v5, 0
	s_mov_b32 s0, exec_lo
	v_cmpx_gt_u32_e32 32, v4
	s_cbranch_execz .LBB1867_12
; %bb.11:
	v_lshlrev_b64 v[6:7], 4, v[4:5]
	v_mov_b32_e32 v2, 0xff
	v_mov_b32_e32 v0, v5
	;; [unrolled: 1-line block ×4, first 2 shown]
	v_add_co_u32 v6, vcc_lo, s8, v6
	v_add_co_ci_u32_e64 v7, null, s9, v7, vcc_lo
	global_store_dwordx4 v[6:7], v[0:3], off
.LBB1867_12:
	s_or_b32 exec_lo, exec_lo, s0
	s_load_dwordx2 s[2:3], s[4:5], 0x28
	s_mov_b32 s0, exec_lo
	s_waitcnt lgkmcnt(0)
	v_cmpx_gt_u64_e64 s[2:3], v[4:5]
	s_cbranch_execz .LBB1867_15
; %bb.13:
	s_clause 0x1
	s_load_dword s6, s[4:5], 0x30
	s_load_dwordx2 s[8:9], s[4:5], 0x20
	s_mov_b32 s1, 0
	v_lshlrev_b64 v[2:3], 2, v[4:5]
	s_mul_i32 s4, s7, s16
	s_waitcnt lgkmcnt(0)
	v_mad_u64_u32 v[0:1], null, s6, v4, 0
	s_add_i32 s0, s6, -1
	s_mul_hi_u32 s7, s6, s4
	s_lshl_b64 s[10:11], s[0:1], 2
	s_mul_i32 s6, s6, s4
	s_add_u32 s0, s14, s10
	s_addc_u32 s5, s15, s11
	v_lshlrev_b64 v[0:1], 2, v[0:1]
	s_lshl_b64 s[6:7], s[6:7], 2
	v_add_co_u32 v0, vcc_lo, s0, v0
	v_add_co_ci_u32_e64 v1, null, s5, v1, vcc_lo
	v_add_co_u32 v2, vcc_lo, s8, v2
	v_add_co_ci_u32_e64 v3, null, s9, v3, vcc_lo
	s_mov_b32 s5, s1
	s_lshl_b64 s[8:9], s[4:5], 2
	.p2align	6
.LBB1867_14:                            ; =>This Inner Loop Header: Depth=1
	global_load_dword v6, v[0:1], off
	v_add_co_u32 v4, vcc_lo, v4, s4
	v_add_co_ci_u32_e64 v5, null, 0, v5, vcc_lo
	v_add_co_u32 v0, vcc_lo, v0, s6
	v_add_co_ci_u32_e64 v1, null, s7, v1, vcc_lo
	v_cmp_le_u64_e32 vcc_lo, s[2:3], v[4:5]
	s_or_b32 s1, vcc_lo, s1
	s_waitcnt vmcnt(0)
	global_store_dword v[2:3], v6, off
	v_add_co_u32 v2, s0, v2, s8
	v_add_co_ci_u32_e64 v3, null, s9, v3, s0
	s_andn2_b32 exec_lo, exec_lo, s1
	s_cbranch_execnz .LBB1867_14
.LBB1867_15:
	s_endpgm
	.section	.rodata,"a",@progbits
	.p2align	6, 0x0
	.amdhsa_kernel _ZN7rocprim17ROCPRIM_400000_NS6detail30init_device_scan_by_key_kernelINS1_19lookback_scan_stateINS0_5tupleIJ11FixedVectorIiLj1EEbEEELb0ELb1EEEN6thrust23THRUST_200600_302600_NS6detail15normal_iteratorINSA_10device_ptrIjEEEEjNS1_16block_id_wrapperIjLb0EEEEEvT_jjPNSI_10value_typeET0_PNSt15iterator_traitsISL_E10value_typeEmT1_T2_
		.amdhsa_group_segment_fixed_size 0
		.amdhsa_private_segment_fixed_size 0
		.amdhsa_kernarg_size 312
		.amdhsa_user_sgpr_count 6
		.amdhsa_user_sgpr_private_segment_buffer 1
		.amdhsa_user_sgpr_dispatch_ptr 0
		.amdhsa_user_sgpr_queue_ptr 0
		.amdhsa_user_sgpr_kernarg_segment_ptr 1
		.amdhsa_user_sgpr_dispatch_id 0
		.amdhsa_user_sgpr_flat_scratch_init 0
		.amdhsa_user_sgpr_private_segment_size 0
		.amdhsa_wavefront_size32 1
		.amdhsa_uses_dynamic_stack 0
		.amdhsa_system_sgpr_private_segment_wavefront_offset 0
		.amdhsa_system_sgpr_workgroup_id_x 1
		.amdhsa_system_sgpr_workgroup_id_y 0
		.amdhsa_system_sgpr_workgroup_id_z 0
		.amdhsa_system_sgpr_workgroup_info 0
		.amdhsa_system_vgpr_workitem_id 0
		.amdhsa_next_free_vgpr 9
		.amdhsa_next_free_sgpr 17
		.amdhsa_reserve_vcc 1
		.amdhsa_reserve_flat_scratch 0
		.amdhsa_float_round_mode_32 0
		.amdhsa_float_round_mode_16_64 0
		.amdhsa_float_denorm_mode_32 3
		.amdhsa_float_denorm_mode_16_64 3
		.amdhsa_dx10_clamp 1
		.amdhsa_ieee_mode 1
		.amdhsa_fp16_overflow 0
		.amdhsa_workgroup_processor_mode 1
		.amdhsa_memory_ordered 1
		.amdhsa_forward_progress 1
		.amdhsa_shared_vgpr_count 0
		.amdhsa_exception_fp_ieee_invalid_op 0
		.amdhsa_exception_fp_denorm_src 0
		.amdhsa_exception_fp_ieee_div_zero 0
		.amdhsa_exception_fp_ieee_overflow 0
		.amdhsa_exception_fp_ieee_underflow 0
		.amdhsa_exception_fp_ieee_inexact 0
		.amdhsa_exception_int_div_zero 0
	.end_amdhsa_kernel
	.section	.text._ZN7rocprim17ROCPRIM_400000_NS6detail30init_device_scan_by_key_kernelINS1_19lookback_scan_stateINS0_5tupleIJ11FixedVectorIiLj1EEbEEELb0ELb1EEEN6thrust23THRUST_200600_302600_NS6detail15normal_iteratorINSA_10device_ptrIjEEEEjNS1_16block_id_wrapperIjLb0EEEEEvT_jjPNSI_10value_typeET0_PNSt15iterator_traitsISL_E10value_typeEmT1_T2_,"axG",@progbits,_ZN7rocprim17ROCPRIM_400000_NS6detail30init_device_scan_by_key_kernelINS1_19lookback_scan_stateINS0_5tupleIJ11FixedVectorIiLj1EEbEEELb0ELb1EEEN6thrust23THRUST_200600_302600_NS6detail15normal_iteratorINSA_10device_ptrIjEEEEjNS1_16block_id_wrapperIjLb0EEEEEvT_jjPNSI_10value_typeET0_PNSt15iterator_traitsISL_E10value_typeEmT1_T2_,comdat
.Lfunc_end1867:
	.size	_ZN7rocprim17ROCPRIM_400000_NS6detail30init_device_scan_by_key_kernelINS1_19lookback_scan_stateINS0_5tupleIJ11FixedVectorIiLj1EEbEEELb0ELb1EEEN6thrust23THRUST_200600_302600_NS6detail15normal_iteratorINSA_10device_ptrIjEEEEjNS1_16block_id_wrapperIjLb0EEEEEvT_jjPNSI_10value_typeET0_PNSt15iterator_traitsISL_E10value_typeEmT1_T2_, .Lfunc_end1867-_ZN7rocprim17ROCPRIM_400000_NS6detail30init_device_scan_by_key_kernelINS1_19lookback_scan_stateINS0_5tupleIJ11FixedVectorIiLj1EEbEEELb0ELb1EEEN6thrust23THRUST_200600_302600_NS6detail15normal_iteratorINSA_10device_ptrIjEEEEjNS1_16block_id_wrapperIjLb0EEEEEvT_jjPNSI_10value_typeET0_PNSt15iterator_traitsISL_E10value_typeEmT1_T2_
                                        ; -- End function
	.set _ZN7rocprim17ROCPRIM_400000_NS6detail30init_device_scan_by_key_kernelINS1_19lookback_scan_stateINS0_5tupleIJ11FixedVectorIiLj1EEbEEELb0ELb1EEEN6thrust23THRUST_200600_302600_NS6detail15normal_iteratorINSA_10device_ptrIjEEEEjNS1_16block_id_wrapperIjLb0EEEEEvT_jjPNSI_10value_typeET0_PNSt15iterator_traitsISL_E10value_typeEmT1_T2_.num_vgpr, 9
	.set _ZN7rocprim17ROCPRIM_400000_NS6detail30init_device_scan_by_key_kernelINS1_19lookback_scan_stateINS0_5tupleIJ11FixedVectorIiLj1EEbEEELb0ELb1EEEN6thrust23THRUST_200600_302600_NS6detail15normal_iteratorINSA_10device_ptrIjEEEEjNS1_16block_id_wrapperIjLb0EEEEEvT_jjPNSI_10value_typeET0_PNSt15iterator_traitsISL_E10value_typeEmT1_T2_.num_agpr, 0
	.set _ZN7rocprim17ROCPRIM_400000_NS6detail30init_device_scan_by_key_kernelINS1_19lookback_scan_stateINS0_5tupleIJ11FixedVectorIiLj1EEbEEELb0ELb1EEEN6thrust23THRUST_200600_302600_NS6detail15normal_iteratorINSA_10device_ptrIjEEEEjNS1_16block_id_wrapperIjLb0EEEEEvT_jjPNSI_10value_typeET0_PNSt15iterator_traitsISL_E10value_typeEmT1_T2_.numbered_sgpr, 17
	.set _ZN7rocprim17ROCPRIM_400000_NS6detail30init_device_scan_by_key_kernelINS1_19lookback_scan_stateINS0_5tupleIJ11FixedVectorIiLj1EEbEEELb0ELb1EEEN6thrust23THRUST_200600_302600_NS6detail15normal_iteratorINSA_10device_ptrIjEEEEjNS1_16block_id_wrapperIjLb0EEEEEvT_jjPNSI_10value_typeET0_PNSt15iterator_traitsISL_E10value_typeEmT1_T2_.num_named_barrier, 0
	.set _ZN7rocprim17ROCPRIM_400000_NS6detail30init_device_scan_by_key_kernelINS1_19lookback_scan_stateINS0_5tupleIJ11FixedVectorIiLj1EEbEEELb0ELb1EEEN6thrust23THRUST_200600_302600_NS6detail15normal_iteratorINSA_10device_ptrIjEEEEjNS1_16block_id_wrapperIjLb0EEEEEvT_jjPNSI_10value_typeET0_PNSt15iterator_traitsISL_E10value_typeEmT1_T2_.private_seg_size, 0
	.set _ZN7rocprim17ROCPRIM_400000_NS6detail30init_device_scan_by_key_kernelINS1_19lookback_scan_stateINS0_5tupleIJ11FixedVectorIiLj1EEbEEELb0ELb1EEEN6thrust23THRUST_200600_302600_NS6detail15normal_iteratorINSA_10device_ptrIjEEEEjNS1_16block_id_wrapperIjLb0EEEEEvT_jjPNSI_10value_typeET0_PNSt15iterator_traitsISL_E10value_typeEmT1_T2_.uses_vcc, 1
	.set _ZN7rocprim17ROCPRIM_400000_NS6detail30init_device_scan_by_key_kernelINS1_19lookback_scan_stateINS0_5tupleIJ11FixedVectorIiLj1EEbEEELb0ELb1EEEN6thrust23THRUST_200600_302600_NS6detail15normal_iteratorINSA_10device_ptrIjEEEEjNS1_16block_id_wrapperIjLb0EEEEEvT_jjPNSI_10value_typeET0_PNSt15iterator_traitsISL_E10value_typeEmT1_T2_.uses_flat_scratch, 0
	.set _ZN7rocprim17ROCPRIM_400000_NS6detail30init_device_scan_by_key_kernelINS1_19lookback_scan_stateINS0_5tupleIJ11FixedVectorIiLj1EEbEEELb0ELb1EEEN6thrust23THRUST_200600_302600_NS6detail15normal_iteratorINSA_10device_ptrIjEEEEjNS1_16block_id_wrapperIjLb0EEEEEvT_jjPNSI_10value_typeET0_PNSt15iterator_traitsISL_E10value_typeEmT1_T2_.has_dyn_sized_stack, 0
	.set _ZN7rocprim17ROCPRIM_400000_NS6detail30init_device_scan_by_key_kernelINS1_19lookback_scan_stateINS0_5tupleIJ11FixedVectorIiLj1EEbEEELb0ELb1EEEN6thrust23THRUST_200600_302600_NS6detail15normal_iteratorINSA_10device_ptrIjEEEEjNS1_16block_id_wrapperIjLb0EEEEEvT_jjPNSI_10value_typeET0_PNSt15iterator_traitsISL_E10value_typeEmT1_T2_.has_recursion, 0
	.set _ZN7rocprim17ROCPRIM_400000_NS6detail30init_device_scan_by_key_kernelINS1_19lookback_scan_stateINS0_5tupleIJ11FixedVectorIiLj1EEbEEELb0ELb1EEEN6thrust23THRUST_200600_302600_NS6detail15normal_iteratorINSA_10device_ptrIjEEEEjNS1_16block_id_wrapperIjLb0EEEEEvT_jjPNSI_10value_typeET0_PNSt15iterator_traitsISL_E10value_typeEmT1_T2_.has_indirect_call, 0
	.section	.AMDGPU.csdata,"",@progbits
; Kernel info:
; codeLenInByte = 664
; TotalNumSgprs: 19
; NumVgprs: 9
; ScratchSize: 0
; MemoryBound: 0
; FloatMode: 240
; IeeeMode: 1
; LDSByteSize: 0 bytes/workgroup (compile time only)
; SGPRBlocks: 0
; VGPRBlocks: 1
; NumSGPRsForWavesPerEU: 19
; NumVGPRsForWavesPerEU: 9
; Occupancy: 16
; WaveLimiterHint : 0
; COMPUTE_PGM_RSRC2:SCRATCH_EN: 0
; COMPUTE_PGM_RSRC2:USER_SGPR: 6
; COMPUTE_PGM_RSRC2:TRAP_HANDLER: 0
; COMPUTE_PGM_RSRC2:TGID_X_EN: 1
; COMPUTE_PGM_RSRC2:TGID_Y_EN: 0
; COMPUTE_PGM_RSRC2:TGID_Z_EN: 0
; COMPUTE_PGM_RSRC2:TIDIG_COMP_CNT: 0
	.section	.text._ZN7rocprim17ROCPRIM_400000_NS6detail30init_device_scan_by_key_kernelINS1_19lookback_scan_stateINS0_5tupleIJ11FixedVectorIiLj1EEbEEELb0ELb1EEENS1_16block_id_wrapperIjLb0EEEEEvT_jjPNSB_10value_typeET0_,"axG",@progbits,_ZN7rocprim17ROCPRIM_400000_NS6detail30init_device_scan_by_key_kernelINS1_19lookback_scan_stateINS0_5tupleIJ11FixedVectorIiLj1EEbEEELb0ELb1EEENS1_16block_id_wrapperIjLb0EEEEEvT_jjPNSB_10value_typeET0_,comdat
	.protected	_ZN7rocprim17ROCPRIM_400000_NS6detail30init_device_scan_by_key_kernelINS1_19lookback_scan_stateINS0_5tupleIJ11FixedVectorIiLj1EEbEEELb0ELb1EEENS1_16block_id_wrapperIjLb0EEEEEvT_jjPNSB_10value_typeET0_ ; -- Begin function _ZN7rocprim17ROCPRIM_400000_NS6detail30init_device_scan_by_key_kernelINS1_19lookback_scan_stateINS0_5tupleIJ11FixedVectorIiLj1EEbEEELb0ELb1EEENS1_16block_id_wrapperIjLb0EEEEEvT_jjPNSB_10value_typeET0_
	.globl	_ZN7rocprim17ROCPRIM_400000_NS6detail30init_device_scan_by_key_kernelINS1_19lookback_scan_stateINS0_5tupleIJ11FixedVectorIiLj1EEbEEELb0ELb1EEENS1_16block_id_wrapperIjLb0EEEEEvT_jjPNSB_10value_typeET0_
	.p2align	8
	.type	_ZN7rocprim17ROCPRIM_400000_NS6detail30init_device_scan_by_key_kernelINS1_19lookback_scan_stateINS0_5tupleIJ11FixedVectorIiLj1EEbEEELb0ELb1EEENS1_16block_id_wrapperIjLb0EEEEEvT_jjPNSB_10value_typeET0_,@function
_ZN7rocprim17ROCPRIM_400000_NS6detail30init_device_scan_by_key_kernelINS1_19lookback_scan_stateINS0_5tupleIJ11FixedVectorIiLj1EEbEEELb0ELb1EEENS1_16block_id_wrapperIjLb0EEEEEvT_jjPNSB_10value_typeET0_: ; @_ZN7rocprim17ROCPRIM_400000_NS6detail30init_device_scan_by_key_kernelINS1_19lookback_scan_stateINS0_5tupleIJ11FixedVectorIiLj1EEbEEELb0ELb1EEENS1_16block_id_wrapperIjLb0EEEEEvT_jjPNSB_10value_typeET0_
; %bb.0:
	s_clause 0x2
	s_load_dword s7, s[4:5], 0x2c
	s_load_dwordx2 s[8:9], s[4:5], 0x10
	s_load_dwordx4 s[0:3], s[4:5], 0x0
	s_waitcnt lgkmcnt(0)
	s_and_b32 s4, s7, 0xffff
	s_cmp_eq_u64 s[8:9], 0
	v_mad_u64_u32 v[0:1], null, s6, s4, v[0:1]
	s_cbranch_scc1 .LBB1868_8
; %bb.1:
	s_cmp_lt_u32 s3, s2
	s_mov_b32 s5, 0
	s_cselect_b32 s4, s3, 0
	s_mov_b32 s6, exec_lo
	v_cmpx_eq_u32_e64 s4, v0
	s_cbranch_execz .LBB1868_7
; %bb.2:
	s_add_i32 s4, s3, 32
	v_mov_b32_e32 v5, 0
	s_lshl_b64 s[4:5], s[4:5], 4
	s_mov_b32 s3, exec_lo
	s_add_u32 s4, s0, s4
	s_addc_u32 s5, s1, s5
	v_mov_b32_e32 v1, s4
	v_mov_b32_e32 v2, s5
	;;#ASMSTART
	global_load_dwordx4 v[1:4], v[1:2] off glc dlc	
s_waitcnt vmcnt(0)
	;;#ASMEND
	v_and_b32_e32 v4, 0xff, v3
	v_cmpx_eq_u64_e32 0, v[4:5]
	s_cbranch_execz .LBB1868_6
; %bb.3:
	v_mov_b32_e32 v7, s5
	v_mov_b32_e32 v6, s4
	s_mov_b32 s4, 0
.LBB1868_4:                             ; =>This Inner Loop Header: Depth=1
	;;#ASMSTART
	global_load_dwordx4 v[1:4], v[6:7] off glc dlc	
s_waitcnt vmcnt(0)
	;;#ASMEND
	v_and_b32_e32 v4, 0xff, v3
	v_cmp_ne_u64_e32 vcc_lo, 0, v[4:5]
	s_or_b32 s4, vcc_lo, s4
	s_andn2_b32 exec_lo, exec_lo, s4
	s_cbranch_execnz .LBB1868_4
; %bb.5:
	s_or_b32 exec_lo, exec_lo, s4
.LBB1868_6:
	s_or_b32 exec_lo, exec_lo, s3
	v_mov_b32_e32 v3, 0
	global_store_dword v3, v1, s[8:9]
	global_store_byte v3, v2, s[8:9] offset:4
.LBB1868_7:
	s_or_b32 exec_lo, exec_lo, s6
.LBB1868_8:
	v_cmp_gt_u32_e32 vcc_lo, s2, v0
	s_and_saveexec_b32 s2, vcc_lo
	s_cbranch_execz .LBB1868_10
; %bb.9:
	v_add_nc_u32_e32 v1, 32, v0
	v_mov_b32_e32 v2, 0
	v_lshlrev_b64 v[4:5], 4, v[1:2]
	v_mov_b32_e32 v1, v2
	v_mov_b32_e32 v3, v2
	v_add_co_u32 v6, vcc_lo, s0, v4
	v_add_co_ci_u32_e64 v7, null, s1, v5, vcc_lo
	v_mov_b32_e32 v4, v2
	global_store_dwordx4 v[6:7], v[1:4], off
.LBB1868_10:
	s_or_b32 exec_lo, exec_lo, s2
	s_mov_b32 s2, exec_lo
	v_cmpx_gt_u32_e32 32, v0
	s_cbranch_execz .LBB1868_12
; %bb.11:
	v_mov_b32_e32 v1, 0
	v_mov_b32_e32 v2, 0xff
	v_lshlrev_b64 v[3:4], 4, v[0:1]
	v_mov_b32_e32 v0, v1
	v_add_co_u32 v5, vcc_lo, s0, v3
	v_add_co_ci_u32_e64 v6, null, s1, v4, vcc_lo
	v_mov_b32_e32 v3, v1
	global_store_dwordx4 v[5:6], v[0:3], off
.LBB1868_12:
	s_endpgm
	.section	.rodata,"a",@progbits
	.p2align	6, 0x0
	.amdhsa_kernel _ZN7rocprim17ROCPRIM_400000_NS6detail30init_device_scan_by_key_kernelINS1_19lookback_scan_stateINS0_5tupleIJ11FixedVectorIiLj1EEbEEELb0ELb1EEENS1_16block_id_wrapperIjLb0EEEEEvT_jjPNSB_10value_typeET0_
		.amdhsa_group_segment_fixed_size 0
		.amdhsa_private_segment_fixed_size 0
		.amdhsa_kernarg_size 288
		.amdhsa_user_sgpr_count 6
		.amdhsa_user_sgpr_private_segment_buffer 1
		.amdhsa_user_sgpr_dispatch_ptr 0
		.amdhsa_user_sgpr_queue_ptr 0
		.amdhsa_user_sgpr_kernarg_segment_ptr 1
		.amdhsa_user_sgpr_dispatch_id 0
		.amdhsa_user_sgpr_flat_scratch_init 0
		.amdhsa_user_sgpr_private_segment_size 0
		.amdhsa_wavefront_size32 1
		.amdhsa_uses_dynamic_stack 0
		.amdhsa_system_sgpr_private_segment_wavefront_offset 0
		.amdhsa_system_sgpr_workgroup_id_x 1
		.amdhsa_system_sgpr_workgroup_id_y 0
		.amdhsa_system_sgpr_workgroup_id_z 0
		.amdhsa_system_sgpr_workgroup_info 0
		.amdhsa_system_vgpr_workitem_id 0
		.amdhsa_next_free_vgpr 8
		.amdhsa_next_free_sgpr 10
		.amdhsa_reserve_vcc 1
		.amdhsa_reserve_flat_scratch 0
		.amdhsa_float_round_mode_32 0
		.amdhsa_float_round_mode_16_64 0
		.amdhsa_float_denorm_mode_32 3
		.amdhsa_float_denorm_mode_16_64 3
		.amdhsa_dx10_clamp 1
		.amdhsa_ieee_mode 1
		.amdhsa_fp16_overflow 0
		.amdhsa_workgroup_processor_mode 1
		.amdhsa_memory_ordered 1
		.amdhsa_forward_progress 1
		.amdhsa_shared_vgpr_count 0
		.amdhsa_exception_fp_ieee_invalid_op 0
		.amdhsa_exception_fp_denorm_src 0
		.amdhsa_exception_fp_ieee_div_zero 0
		.amdhsa_exception_fp_ieee_overflow 0
		.amdhsa_exception_fp_ieee_underflow 0
		.amdhsa_exception_fp_ieee_inexact 0
		.amdhsa_exception_int_div_zero 0
	.end_amdhsa_kernel
	.section	.text._ZN7rocprim17ROCPRIM_400000_NS6detail30init_device_scan_by_key_kernelINS1_19lookback_scan_stateINS0_5tupleIJ11FixedVectorIiLj1EEbEEELb0ELb1EEENS1_16block_id_wrapperIjLb0EEEEEvT_jjPNSB_10value_typeET0_,"axG",@progbits,_ZN7rocprim17ROCPRIM_400000_NS6detail30init_device_scan_by_key_kernelINS1_19lookback_scan_stateINS0_5tupleIJ11FixedVectorIiLj1EEbEEELb0ELb1EEENS1_16block_id_wrapperIjLb0EEEEEvT_jjPNSB_10value_typeET0_,comdat
.Lfunc_end1868:
	.size	_ZN7rocprim17ROCPRIM_400000_NS6detail30init_device_scan_by_key_kernelINS1_19lookback_scan_stateINS0_5tupleIJ11FixedVectorIiLj1EEbEEELb0ELb1EEENS1_16block_id_wrapperIjLb0EEEEEvT_jjPNSB_10value_typeET0_, .Lfunc_end1868-_ZN7rocprim17ROCPRIM_400000_NS6detail30init_device_scan_by_key_kernelINS1_19lookback_scan_stateINS0_5tupleIJ11FixedVectorIiLj1EEbEEELb0ELb1EEENS1_16block_id_wrapperIjLb0EEEEEvT_jjPNSB_10value_typeET0_
                                        ; -- End function
	.set _ZN7rocprim17ROCPRIM_400000_NS6detail30init_device_scan_by_key_kernelINS1_19lookback_scan_stateINS0_5tupleIJ11FixedVectorIiLj1EEbEEELb0ELb1EEENS1_16block_id_wrapperIjLb0EEEEEvT_jjPNSB_10value_typeET0_.num_vgpr, 8
	.set _ZN7rocprim17ROCPRIM_400000_NS6detail30init_device_scan_by_key_kernelINS1_19lookback_scan_stateINS0_5tupleIJ11FixedVectorIiLj1EEbEEELb0ELb1EEENS1_16block_id_wrapperIjLb0EEEEEvT_jjPNSB_10value_typeET0_.num_agpr, 0
	.set _ZN7rocprim17ROCPRIM_400000_NS6detail30init_device_scan_by_key_kernelINS1_19lookback_scan_stateINS0_5tupleIJ11FixedVectorIiLj1EEbEEELb0ELb1EEENS1_16block_id_wrapperIjLb0EEEEEvT_jjPNSB_10value_typeET0_.numbered_sgpr, 10
	.set _ZN7rocprim17ROCPRIM_400000_NS6detail30init_device_scan_by_key_kernelINS1_19lookback_scan_stateINS0_5tupleIJ11FixedVectorIiLj1EEbEEELb0ELb1EEENS1_16block_id_wrapperIjLb0EEEEEvT_jjPNSB_10value_typeET0_.num_named_barrier, 0
	.set _ZN7rocprim17ROCPRIM_400000_NS6detail30init_device_scan_by_key_kernelINS1_19lookback_scan_stateINS0_5tupleIJ11FixedVectorIiLj1EEbEEELb0ELb1EEENS1_16block_id_wrapperIjLb0EEEEEvT_jjPNSB_10value_typeET0_.private_seg_size, 0
	.set _ZN7rocprim17ROCPRIM_400000_NS6detail30init_device_scan_by_key_kernelINS1_19lookback_scan_stateINS0_5tupleIJ11FixedVectorIiLj1EEbEEELb0ELb1EEENS1_16block_id_wrapperIjLb0EEEEEvT_jjPNSB_10value_typeET0_.uses_vcc, 1
	.set _ZN7rocprim17ROCPRIM_400000_NS6detail30init_device_scan_by_key_kernelINS1_19lookback_scan_stateINS0_5tupleIJ11FixedVectorIiLj1EEbEEELb0ELb1EEENS1_16block_id_wrapperIjLb0EEEEEvT_jjPNSB_10value_typeET0_.uses_flat_scratch, 0
	.set _ZN7rocprim17ROCPRIM_400000_NS6detail30init_device_scan_by_key_kernelINS1_19lookback_scan_stateINS0_5tupleIJ11FixedVectorIiLj1EEbEEELb0ELb1EEENS1_16block_id_wrapperIjLb0EEEEEvT_jjPNSB_10value_typeET0_.has_dyn_sized_stack, 0
	.set _ZN7rocprim17ROCPRIM_400000_NS6detail30init_device_scan_by_key_kernelINS1_19lookback_scan_stateINS0_5tupleIJ11FixedVectorIiLj1EEbEEELb0ELb1EEENS1_16block_id_wrapperIjLb0EEEEEvT_jjPNSB_10value_typeET0_.has_recursion, 0
	.set _ZN7rocprim17ROCPRIM_400000_NS6detail30init_device_scan_by_key_kernelINS1_19lookback_scan_stateINS0_5tupleIJ11FixedVectorIiLj1EEbEEELb0ELb1EEENS1_16block_id_wrapperIjLb0EEEEEvT_jjPNSB_10value_typeET0_.has_indirect_call, 0
	.section	.AMDGPU.csdata,"",@progbits
; Kernel info:
; codeLenInByte = 416
; TotalNumSgprs: 12
; NumVgprs: 8
; ScratchSize: 0
; MemoryBound: 0
; FloatMode: 240
; IeeeMode: 1
; LDSByteSize: 0 bytes/workgroup (compile time only)
; SGPRBlocks: 0
; VGPRBlocks: 0
; NumSGPRsForWavesPerEU: 12
; NumVGPRsForWavesPerEU: 8
; Occupancy: 16
; WaveLimiterHint : 0
; COMPUTE_PGM_RSRC2:SCRATCH_EN: 0
; COMPUTE_PGM_RSRC2:USER_SGPR: 6
; COMPUTE_PGM_RSRC2:TRAP_HANDLER: 0
; COMPUTE_PGM_RSRC2:TGID_X_EN: 1
; COMPUTE_PGM_RSRC2:TGID_Y_EN: 0
; COMPUTE_PGM_RSRC2:TGID_Z_EN: 0
; COMPUTE_PGM_RSRC2:TIDIG_COMP_CNT: 0
	.section	.text._ZN7rocprim17ROCPRIM_400000_NS6detail17trampoline_kernelINS0_14default_configENS1_27scan_by_key_config_selectorIj11FixedVectorIiLj1EEEEZZNS1_16scan_by_key_implILNS1_25lookback_scan_determinismE0ELb0ES3_N6thrust23THRUST_200600_302600_NS6detail15normal_iteratorINSB_10device_ptrIjEEEENSD_INSE_IS6_EEEESI_S6_NSB_4plusIvEENSB_8equal_toIvEES6_EE10hipError_tPvRmT2_T3_T4_T5_mT6_T7_P12ihipStream_tbENKUlT_T0_E_clISt17integral_constantIbLb0EES13_EEDaSY_SZ_EUlSY_E_NS1_11comp_targetILNS1_3genE0ELNS1_11target_archE4294967295ELNS1_3gpuE0ELNS1_3repE0EEENS1_30default_config_static_selectorELNS0_4arch9wavefront6targetE0EEEvT1_,"axG",@progbits,_ZN7rocprim17ROCPRIM_400000_NS6detail17trampoline_kernelINS0_14default_configENS1_27scan_by_key_config_selectorIj11FixedVectorIiLj1EEEEZZNS1_16scan_by_key_implILNS1_25lookback_scan_determinismE0ELb0ES3_N6thrust23THRUST_200600_302600_NS6detail15normal_iteratorINSB_10device_ptrIjEEEENSD_INSE_IS6_EEEESI_S6_NSB_4plusIvEENSB_8equal_toIvEES6_EE10hipError_tPvRmT2_T3_T4_T5_mT6_T7_P12ihipStream_tbENKUlT_T0_E_clISt17integral_constantIbLb0EES13_EEDaSY_SZ_EUlSY_E_NS1_11comp_targetILNS1_3genE0ELNS1_11target_archE4294967295ELNS1_3gpuE0ELNS1_3repE0EEENS1_30default_config_static_selectorELNS0_4arch9wavefront6targetE0EEEvT1_,comdat
	.protected	_ZN7rocprim17ROCPRIM_400000_NS6detail17trampoline_kernelINS0_14default_configENS1_27scan_by_key_config_selectorIj11FixedVectorIiLj1EEEEZZNS1_16scan_by_key_implILNS1_25lookback_scan_determinismE0ELb0ES3_N6thrust23THRUST_200600_302600_NS6detail15normal_iteratorINSB_10device_ptrIjEEEENSD_INSE_IS6_EEEESI_S6_NSB_4plusIvEENSB_8equal_toIvEES6_EE10hipError_tPvRmT2_T3_T4_T5_mT6_T7_P12ihipStream_tbENKUlT_T0_E_clISt17integral_constantIbLb0EES13_EEDaSY_SZ_EUlSY_E_NS1_11comp_targetILNS1_3genE0ELNS1_11target_archE4294967295ELNS1_3gpuE0ELNS1_3repE0EEENS1_30default_config_static_selectorELNS0_4arch9wavefront6targetE0EEEvT1_ ; -- Begin function _ZN7rocprim17ROCPRIM_400000_NS6detail17trampoline_kernelINS0_14default_configENS1_27scan_by_key_config_selectorIj11FixedVectorIiLj1EEEEZZNS1_16scan_by_key_implILNS1_25lookback_scan_determinismE0ELb0ES3_N6thrust23THRUST_200600_302600_NS6detail15normal_iteratorINSB_10device_ptrIjEEEENSD_INSE_IS6_EEEESI_S6_NSB_4plusIvEENSB_8equal_toIvEES6_EE10hipError_tPvRmT2_T3_T4_T5_mT6_T7_P12ihipStream_tbENKUlT_T0_E_clISt17integral_constantIbLb0EES13_EEDaSY_SZ_EUlSY_E_NS1_11comp_targetILNS1_3genE0ELNS1_11target_archE4294967295ELNS1_3gpuE0ELNS1_3repE0EEENS1_30default_config_static_selectorELNS0_4arch9wavefront6targetE0EEEvT1_
	.globl	_ZN7rocprim17ROCPRIM_400000_NS6detail17trampoline_kernelINS0_14default_configENS1_27scan_by_key_config_selectorIj11FixedVectorIiLj1EEEEZZNS1_16scan_by_key_implILNS1_25lookback_scan_determinismE0ELb0ES3_N6thrust23THRUST_200600_302600_NS6detail15normal_iteratorINSB_10device_ptrIjEEEENSD_INSE_IS6_EEEESI_S6_NSB_4plusIvEENSB_8equal_toIvEES6_EE10hipError_tPvRmT2_T3_T4_T5_mT6_T7_P12ihipStream_tbENKUlT_T0_E_clISt17integral_constantIbLb0EES13_EEDaSY_SZ_EUlSY_E_NS1_11comp_targetILNS1_3genE0ELNS1_11target_archE4294967295ELNS1_3gpuE0ELNS1_3repE0EEENS1_30default_config_static_selectorELNS0_4arch9wavefront6targetE0EEEvT1_
	.p2align	8
	.type	_ZN7rocprim17ROCPRIM_400000_NS6detail17trampoline_kernelINS0_14default_configENS1_27scan_by_key_config_selectorIj11FixedVectorIiLj1EEEEZZNS1_16scan_by_key_implILNS1_25lookback_scan_determinismE0ELb0ES3_N6thrust23THRUST_200600_302600_NS6detail15normal_iteratorINSB_10device_ptrIjEEEENSD_INSE_IS6_EEEESI_S6_NSB_4plusIvEENSB_8equal_toIvEES6_EE10hipError_tPvRmT2_T3_T4_T5_mT6_T7_P12ihipStream_tbENKUlT_T0_E_clISt17integral_constantIbLb0EES13_EEDaSY_SZ_EUlSY_E_NS1_11comp_targetILNS1_3genE0ELNS1_11target_archE4294967295ELNS1_3gpuE0ELNS1_3repE0EEENS1_30default_config_static_selectorELNS0_4arch9wavefront6targetE0EEEvT1_,@function
_ZN7rocprim17ROCPRIM_400000_NS6detail17trampoline_kernelINS0_14default_configENS1_27scan_by_key_config_selectorIj11FixedVectorIiLj1EEEEZZNS1_16scan_by_key_implILNS1_25lookback_scan_determinismE0ELb0ES3_N6thrust23THRUST_200600_302600_NS6detail15normal_iteratorINSB_10device_ptrIjEEEENSD_INSE_IS6_EEEESI_S6_NSB_4plusIvEENSB_8equal_toIvEES6_EE10hipError_tPvRmT2_T3_T4_T5_mT6_T7_P12ihipStream_tbENKUlT_T0_E_clISt17integral_constantIbLb0EES13_EEDaSY_SZ_EUlSY_E_NS1_11comp_targetILNS1_3genE0ELNS1_11target_archE4294967295ELNS1_3gpuE0ELNS1_3repE0EEENS1_30default_config_static_selectorELNS0_4arch9wavefront6targetE0EEEvT1_: ; @_ZN7rocprim17ROCPRIM_400000_NS6detail17trampoline_kernelINS0_14default_configENS1_27scan_by_key_config_selectorIj11FixedVectorIiLj1EEEEZZNS1_16scan_by_key_implILNS1_25lookback_scan_determinismE0ELb0ES3_N6thrust23THRUST_200600_302600_NS6detail15normal_iteratorINSB_10device_ptrIjEEEENSD_INSE_IS6_EEEESI_S6_NSB_4plusIvEENSB_8equal_toIvEES6_EE10hipError_tPvRmT2_T3_T4_T5_mT6_T7_P12ihipStream_tbENKUlT_T0_E_clISt17integral_constantIbLb0EES13_EEDaSY_SZ_EUlSY_E_NS1_11comp_targetILNS1_3genE0ELNS1_11target_archE4294967295ELNS1_3gpuE0ELNS1_3repE0EEENS1_30default_config_static_selectorELNS0_4arch9wavefront6targetE0EEEvT1_
; %bb.0:
	.section	.rodata,"a",@progbits
	.p2align	6, 0x0
	.amdhsa_kernel _ZN7rocprim17ROCPRIM_400000_NS6detail17trampoline_kernelINS0_14default_configENS1_27scan_by_key_config_selectorIj11FixedVectorIiLj1EEEEZZNS1_16scan_by_key_implILNS1_25lookback_scan_determinismE0ELb0ES3_N6thrust23THRUST_200600_302600_NS6detail15normal_iteratorINSB_10device_ptrIjEEEENSD_INSE_IS6_EEEESI_S6_NSB_4plusIvEENSB_8equal_toIvEES6_EE10hipError_tPvRmT2_T3_T4_T5_mT6_T7_P12ihipStream_tbENKUlT_T0_E_clISt17integral_constantIbLb0EES13_EEDaSY_SZ_EUlSY_E_NS1_11comp_targetILNS1_3genE0ELNS1_11target_archE4294967295ELNS1_3gpuE0ELNS1_3repE0EEENS1_30default_config_static_selectorELNS0_4arch9wavefront6targetE0EEEvT1_
		.amdhsa_group_segment_fixed_size 0
		.amdhsa_private_segment_fixed_size 0
		.amdhsa_kernarg_size 112
		.amdhsa_user_sgpr_count 6
		.amdhsa_user_sgpr_private_segment_buffer 1
		.amdhsa_user_sgpr_dispatch_ptr 0
		.amdhsa_user_sgpr_queue_ptr 0
		.amdhsa_user_sgpr_kernarg_segment_ptr 1
		.amdhsa_user_sgpr_dispatch_id 0
		.amdhsa_user_sgpr_flat_scratch_init 0
		.amdhsa_user_sgpr_private_segment_size 0
		.amdhsa_wavefront_size32 1
		.amdhsa_uses_dynamic_stack 0
		.amdhsa_system_sgpr_private_segment_wavefront_offset 0
		.amdhsa_system_sgpr_workgroup_id_x 1
		.amdhsa_system_sgpr_workgroup_id_y 0
		.amdhsa_system_sgpr_workgroup_id_z 0
		.amdhsa_system_sgpr_workgroup_info 0
		.amdhsa_system_vgpr_workitem_id 0
		.amdhsa_next_free_vgpr 1
		.amdhsa_next_free_sgpr 1
		.amdhsa_reserve_vcc 0
		.amdhsa_reserve_flat_scratch 0
		.amdhsa_float_round_mode_32 0
		.amdhsa_float_round_mode_16_64 0
		.amdhsa_float_denorm_mode_32 3
		.amdhsa_float_denorm_mode_16_64 3
		.amdhsa_dx10_clamp 1
		.amdhsa_ieee_mode 1
		.amdhsa_fp16_overflow 0
		.amdhsa_workgroup_processor_mode 1
		.amdhsa_memory_ordered 1
		.amdhsa_forward_progress 1
		.amdhsa_shared_vgpr_count 0
		.amdhsa_exception_fp_ieee_invalid_op 0
		.amdhsa_exception_fp_denorm_src 0
		.amdhsa_exception_fp_ieee_div_zero 0
		.amdhsa_exception_fp_ieee_overflow 0
		.amdhsa_exception_fp_ieee_underflow 0
		.amdhsa_exception_fp_ieee_inexact 0
		.amdhsa_exception_int_div_zero 0
	.end_amdhsa_kernel
	.section	.text._ZN7rocprim17ROCPRIM_400000_NS6detail17trampoline_kernelINS0_14default_configENS1_27scan_by_key_config_selectorIj11FixedVectorIiLj1EEEEZZNS1_16scan_by_key_implILNS1_25lookback_scan_determinismE0ELb0ES3_N6thrust23THRUST_200600_302600_NS6detail15normal_iteratorINSB_10device_ptrIjEEEENSD_INSE_IS6_EEEESI_S6_NSB_4plusIvEENSB_8equal_toIvEES6_EE10hipError_tPvRmT2_T3_T4_T5_mT6_T7_P12ihipStream_tbENKUlT_T0_E_clISt17integral_constantIbLb0EES13_EEDaSY_SZ_EUlSY_E_NS1_11comp_targetILNS1_3genE0ELNS1_11target_archE4294967295ELNS1_3gpuE0ELNS1_3repE0EEENS1_30default_config_static_selectorELNS0_4arch9wavefront6targetE0EEEvT1_,"axG",@progbits,_ZN7rocprim17ROCPRIM_400000_NS6detail17trampoline_kernelINS0_14default_configENS1_27scan_by_key_config_selectorIj11FixedVectorIiLj1EEEEZZNS1_16scan_by_key_implILNS1_25lookback_scan_determinismE0ELb0ES3_N6thrust23THRUST_200600_302600_NS6detail15normal_iteratorINSB_10device_ptrIjEEEENSD_INSE_IS6_EEEESI_S6_NSB_4plusIvEENSB_8equal_toIvEES6_EE10hipError_tPvRmT2_T3_T4_T5_mT6_T7_P12ihipStream_tbENKUlT_T0_E_clISt17integral_constantIbLb0EES13_EEDaSY_SZ_EUlSY_E_NS1_11comp_targetILNS1_3genE0ELNS1_11target_archE4294967295ELNS1_3gpuE0ELNS1_3repE0EEENS1_30default_config_static_selectorELNS0_4arch9wavefront6targetE0EEEvT1_,comdat
.Lfunc_end1869:
	.size	_ZN7rocprim17ROCPRIM_400000_NS6detail17trampoline_kernelINS0_14default_configENS1_27scan_by_key_config_selectorIj11FixedVectorIiLj1EEEEZZNS1_16scan_by_key_implILNS1_25lookback_scan_determinismE0ELb0ES3_N6thrust23THRUST_200600_302600_NS6detail15normal_iteratorINSB_10device_ptrIjEEEENSD_INSE_IS6_EEEESI_S6_NSB_4plusIvEENSB_8equal_toIvEES6_EE10hipError_tPvRmT2_T3_T4_T5_mT6_T7_P12ihipStream_tbENKUlT_T0_E_clISt17integral_constantIbLb0EES13_EEDaSY_SZ_EUlSY_E_NS1_11comp_targetILNS1_3genE0ELNS1_11target_archE4294967295ELNS1_3gpuE0ELNS1_3repE0EEENS1_30default_config_static_selectorELNS0_4arch9wavefront6targetE0EEEvT1_, .Lfunc_end1869-_ZN7rocprim17ROCPRIM_400000_NS6detail17trampoline_kernelINS0_14default_configENS1_27scan_by_key_config_selectorIj11FixedVectorIiLj1EEEEZZNS1_16scan_by_key_implILNS1_25lookback_scan_determinismE0ELb0ES3_N6thrust23THRUST_200600_302600_NS6detail15normal_iteratorINSB_10device_ptrIjEEEENSD_INSE_IS6_EEEESI_S6_NSB_4plusIvEENSB_8equal_toIvEES6_EE10hipError_tPvRmT2_T3_T4_T5_mT6_T7_P12ihipStream_tbENKUlT_T0_E_clISt17integral_constantIbLb0EES13_EEDaSY_SZ_EUlSY_E_NS1_11comp_targetILNS1_3genE0ELNS1_11target_archE4294967295ELNS1_3gpuE0ELNS1_3repE0EEENS1_30default_config_static_selectorELNS0_4arch9wavefront6targetE0EEEvT1_
                                        ; -- End function
	.set _ZN7rocprim17ROCPRIM_400000_NS6detail17trampoline_kernelINS0_14default_configENS1_27scan_by_key_config_selectorIj11FixedVectorIiLj1EEEEZZNS1_16scan_by_key_implILNS1_25lookback_scan_determinismE0ELb0ES3_N6thrust23THRUST_200600_302600_NS6detail15normal_iteratorINSB_10device_ptrIjEEEENSD_INSE_IS6_EEEESI_S6_NSB_4plusIvEENSB_8equal_toIvEES6_EE10hipError_tPvRmT2_T3_T4_T5_mT6_T7_P12ihipStream_tbENKUlT_T0_E_clISt17integral_constantIbLb0EES13_EEDaSY_SZ_EUlSY_E_NS1_11comp_targetILNS1_3genE0ELNS1_11target_archE4294967295ELNS1_3gpuE0ELNS1_3repE0EEENS1_30default_config_static_selectorELNS0_4arch9wavefront6targetE0EEEvT1_.num_vgpr, 0
	.set _ZN7rocprim17ROCPRIM_400000_NS6detail17trampoline_kernelINS0_14default_configENS1_27scan_by_key_config_selectorIj11FixedVectorIiLj1EEEEZZNS1_16scan_by_key_implILNS1_25lookback_scan_determinismE0ELb0ES3_N6thrust23THRUST_200600_302600_NS6detail15normal_iteratorINSB_10device_ptrIjEEEENSD_INSE_IS6_EEEESI_S6_NSB_4plusIvEENSB_8equal_toIvEES6_EE10hipError_tPvRmT2_T3_T4_T5_mT6_T7_P12ihipStream_tbENKUlT_T0_E_clISt17integral_constantIbLb0EES13_EEDaSY_SZ_EUlSY_E_NS1_11comp_targetILNS1_3genE0ELNS1_11target_archE4294967295ELNS1_3gpuE0ELNS1_3repE0EEENS1_30default_config_static_selectorELNS0_4arch9wavefront6targetE0EEEvT1_.num_agpr, 0
	.set _ZN7rocprim17ROCPRIM_400000_NS6detail17trampoline_kernelINS0_14default_configENS1_27scan_by_key_config_selectorIj11FixedVectorIiLj1EEEEZZNS1_16scan_by_key_implILNS1_25lookback_scan_determinismE0ELb0ES3_N6thrust23THRUST_200600_302600_NS6detail15normal_iteratorINSB_10device_ptrIjEEEENSD_INSE_IS6_EEEESI_S6_NSB_4plusIvEENSB_8equal_toIvEES6_EE10hipError_tPvRmT2_T3_T4_T5_mT6_T7_P12ihipStream_tbENKUlT_T0_E_clISt17integral_constantIbLb0EES13_EEDaSY_SZ_EUlSY_E_NS1_11comp_targetILNS1_3genE0ELNS1_11target_archE4294967295ELNS1_3gpuE0ELNS1_3repE0EEENS1_30default_config_static_selectorELNS0_4arch9wavefront6targetE0EEEvT1_.numbered_sgpr, 0
	.set _ZN7rocprim17ROCPRIM_400000_NS6detail17trampoline_kernelINS0_14default_configENS1_27scan_by_key_config_selectorIj11FixedVectorIiLj1EEEEZZNS1_16scan_by_key_implILNS1_25lookback_scan_determinismE0ELb0ES3_N6thrust23THRUST_200600_302600_NS6detail15normal_iteratorINSB_10device_ptrIjEEEENSD_INSE_IS6_EEEESI_S6_NSB_4plusIvEENSB_8equal_toIvEES6_EE10hipError_tPvRmT2_T3_T4_T5_mT6_T7_P12ihipStream_tbENKUlT_T0_E_clISt17integral_constantIbLb0EES13_EEDaSY_SZ_EUlSY_E_NS1_11comp_targetILNS1_3genE0ELNS1_11target_archE4294967295ELNS1_3gpuE0ELNS1_3repE0EEENS1_30default_config_static_selectorELNS0_4arch9wavefront6targetE0EEEvT1_.num_named_barrier, 0
	.set _ZN7rocprim17ROCPRIM_400000_NS6detail17trampoline_kernelINS0_14default_configENS1_27scan_by_key_config_selectorIj11FixedVectorIiLj1EEEEZZNS1_16scan_by_key_implILNS1_25lookback_scan_determinismE0ELb0ES3_N6thrust23THRUST_200600_302600_NS6detail15normal_iteratorINSB_10device_ptrIjEEEENSD_INSE_IS6_EEEESI_S6_NSB_4plusIvEENSB_8equal_toIvEES6_EE10hipError_tPvRmT2_T3_T4_T5_mT6_T7_P12ihipStream_tbENKUlT_T0_E_clISt17integral_constantIbLb0EES13_EEDaSY_SZ_EUlSY_E_NS1_11comp_targetILNS1_3genE0ELNS1_11target_archE4294967295ELNS1_3gpuE0ELNS1_3repE0EEENS1_30default_config_static_selectorELNS0_4arch9wavefront6targetE0EEEvT1_.private_seg_size, 0
	.set _ZN7rocprim17ROCPRIM_400000_NS6detail17trampoline_kernelINS0_14default_configENS1_27scan_by_key_config_selectorIj11FixedVectorIiLj1EEEEZZNS1_16scan_by_key_implILNS1_25lookback_scan_determinismE0ELb0ES3_N6thrust23THRUST_200600_302600_NS6detail15normal_iteratorINSB_10device_ptrIjEEEENSD_INSE_IS6_EEEESI_S6_NSB_4plusIvEENSB_8equal_toIvEES6_EE10hipError_tPvRmT2_T3_T4_T5_mT6_T7_P12ihipStream_tbENKUlT_T0_E_clISt17integral_constantIbLb0EES13_EEDaSY_SZ_EUlSY_E_NS1_11comp_targetILNS1_3genE0ELNS1_11target_archE4294967295ELNS1_3gpuE0ELNS1_3repE0EEENS1_30default_config_static_selectorELNS0_4arch9wavefront6targetE0EEEvT1_.uses_vcc, 0
	.set _ZN7rocprim17ROCPRIM_400000_NS6detail17trampoline_kernelINS0_14default_configENS1_27scan_by_key_config_selectorIj11FixedVectorIiLj1EEEEZZNS1_16scan_by_key_implILNS1_25lookback_scan_determinismE0ELb0ES3_N6thrust23THRUST_200600_302600_NS6detail15normal_iteratorINSB_10device_ptrIjEEEENSD_INSE_IS6_EEEESI_S6_NSB_4plusIvEENSB_8equal_toIvEES6_EE10hipError_tPvRmT2_T3_T4_T5_mT6_T7_P12ihipStream_tbENKUlT_T0_E_clISt17integral_constantIbLb0EES13_EEDaSY_SZ_EUlSY_E_NS1_11comp_targetILNS1_3genE0ELNS1_11target_archE4294967295ELNS1_3gpuE0ELNS1_3repE0EEENS1_30default_config_static_selectorELNS0_4arch9wavefront6targetE0EEEvT1_.uses_flat_scratch, 0
	.set _ZN7rocprim17ROCPRIM_400000_NS6detail17trampoline_kernelINS0_14default_configENS1_27scan_by_key_config_selectorIj11FixedVectorIiLj1EEEEZZNS1_16scan_by_key_implILNS1_25lookback_scan_determinismE0ELb0ES3_N6thrust23THRUST_200600_302600_NS6detail15normal_iteratorINSB_10device_ptrIjEEEENSD_INSE_IS6_EEEESI_S6_NSB_4plusIvEENSB_8equal_toIvEES6_EE10hipError_tPvRmT2_T3_T4_T5_mT6_T7_P12ihipStream_tbENKUlT_T0_E_clISt17integral_constantIbLb0EES13_EEDaSY_SZ_EUlSY_E_NS1_11comp_targetILNS1_3genE0ELNS1_11target_archE4294967295ELNS1_3gpuE0ELNS1_3repE0EEENS1_30default_config_static_selectorELNS0_4arch9wavefront6targetE0EEEvT1_.has_dyn_sized_stack, 0
	.set _ZN7rocprim17ROCPRIM_400000_NS6detail17trampoline_kernelINS0_14default_configENS1_27scan_by_key_config_selectorIj11FixedVectorIiLj1EEEEZZNS1_16scan_by_key_implILNS1_25lookback_scan_determinismE0ELb0ES3_N6thrust23THRUST_200600_302600_NS6detail15normal_iteratorINSB_10device_ptrIjEEEENSD_INSE_IS6_EEEESI_S6_NSB_4plusIvEENSB_8equal_toIvEES6_EE10hipError_tPvRmT2_T3_T4_T5_mT6_T7_P12ihipStream_tbENKUlT_T0_E_clISt17integral_constantIbLb0EES13_EEDaSY_SZ_EUlSY_E_NS1_11comp_targetILNS1_3genE0ELNS1_11target_archE4294967295ELNS1_3gpuE0ELNS1_3repE0EEENS1_30default_config_static_selectorELNS0_4arch9wavefront6targetE0EEEvT1_.has_recursion, 0
	.set _ZN7rocprim17ROCPRIM_400000_NS6detail17trampoline_kernelINS0_14default_configENS1_27scan_by_key_config_selectorIj11FixedVectorIiLj1EEEEZZNS1_16scan_by_key_implILNS1_25lookback_scan_determinismE0ELb0ES3_N6thrust23THRUST_200600_302600_NS6detail15normal_iteratorINSB_10device_ptrIjEEEENSD_INSE_IS6_EEEESI_S6_NSB_4plusIvEENSB_8equal_toIvEES6_EE10hipError_tPvRmT2_T3_T4_T5_mT6_T7_P12ihipStream_tbENKUlT_T0_E_clISt17integral_constantIbLb0EES13_EEDaSY_SZ_EUlSY_E_NS1_11comp_targetILNS1_3genE0ELNS1_11target_archE4294967295ELNS1_3gpuE0ELNS1_3repE0EEENS1_30default_config_static_selectorELNS0_4arch9wavefront6targetE0EEEvT1_.has_indirect_call, 0
	.section	.AMDGPU.csdata,"",@progbits
; Kernel info:
; codeLenInByte = 0
; TotalNumSgprs: 0
; NumVgprs: 0
; ScratchSize: 0
; MemoryBound: 0
; FloatMode: 240
; IeeeMode: 1
; LDSByteSize: 0 bytes/workgroup (compile time only)
; SGPRBlocks: 0
; VGPRBlocks: 0
; NumSGPRsForWavesPerEU: 1
; NumVGPRsForWavesPerEU: 1
; Occupancy: 16
; WaveLimiterHint : 0
; COMPUTE_PGM_RSRC2:SCRATCH_EN: 0
; COMPUTE_PGM_RSRC2:USER_SGPR: 6
; COMPUTE_PGM_RSRC2:TRAP_HANDLER: 0
; COMPUTE_PGM_RSRC2:TGID_X_EN: 1
; COMPUTE_PGM_RSRC2:TGID_Y_EN: 0
; COMPUTE_PGM_RSRC2:TGID_Z_EN: 0
; COMPUTE_PGM_RSRC2:TIDIG_COMP_CNT: 0
	.section	.text._ZN7rocprim17ROCPRIM_400000_NS6detail17trampoline_kernelINS0_14default_configENS1_27scan_by_key_config_selectorIj11FixedVectorIiLj1EEEEZZNS1_16scan_by_key_implILNS1_25lookback_scan_determinismE0ELb0ES3_N6thrust23THRUST_200600_302600_NS6detail15normal_iteratorINSB_10device_ptrIjEEEENSD_INSE_IS6_EEEESI_S6_NSB_4plusIvEENSB_8equal_toIvEES6_EE10hipError_tPvRmT2_T3_T4_T5_mT6_T7_P12ihipStream_tbENKUlT_T0_E_clISt17integral_constantIbLb0EES13_EEDaSY_SZ_EUlSY_E_NS1_11comp_targetILNS1_3genE10ELNS1_11target_archE1201ELNS1_3gpuE5ELNS1_3repE0EEENS1_30default_config_static_selectorELNS0_4arch9wavefront6targetE0EEEvT1_,"axG",@progbits,_ZN7rocprim17ROCPRIM_400000_NS6detail17trampoline_kernelINS0_14default_configENS1_27scan_by_key_config_selectorIj11FixedVectorIiLj1EEEEZZNS1_16scan_by_key_implILNS1_25lookback_scan_determinismE0ELb0ES3_N6thrust23THRUST_200600_302600_NS6detail15normal_iteratorINSB_10device_ptrIjEEEENSD_INSE_IS6_EEEESI_S6_NSB_4plusIvEENSB_8equal_toIvEES6_EE10hipError_tPvRmT2_T3_T4_T5_mT6_T7_P12ihipStream_tbENKUlT_T0_E_clISt17integral_constantIbLb0EES13_EEDaSY_SZ_EUlSY_E_NS1_11comp_targetILNS1_3genE10ELNS1_11target_archE1201ELNS1_3gpuE5ELNS1_3repE0EEENS1_30default_config_static_selectorELNS0_4arch9wavefront6targetE0EEEvT1_,comdat
	.protected	_ZN7rocprim17ROCPRIM_400000_NS6detail17trampoline_kernelINS0_14default_configENS1_27scan_by_key_config_selectorIj11FixedVectorIiLj1EEEEZZNS1_16scan_by_key_implILNS1_25lookback_scan_determinismE0ELb0ES3_N6thrust23THRUST_200600_302600_NS6detail15normal_iteratorINSB_10device_ptrIjEEEENSD_INSE_IS6_EEEESI_S6_NSB_4plusIvEENSB_8equal_toIvEES6_EE10hipError_tPvRmT2_T3_T4_T5_mT6_T7_P12ihipStream_tbENKUlT_T0_E_clISt17integral_constantIbLb0EES13_EEDaSY_SZ_EUlSY_E_NS1_11comp_targetILNS1_3genE10ELNS1_11target_archE1201ELNS1_3gpuE5ELNS1_3repE0EEENS1_30default_config_static_selectorELNS0_4arch9wavefront6targetE0EEEvT1_ ; -- Begin function _ZN7rocprim17ROCPRIM_400000_NS6detail17trampoline_kernelINS0_14default_configENS1_27scan_by_key_config_selectorIj11FixedVectorIiLj1EEEEZZNS1_16scan_by_key_implILNS1_25lookback_scan_determinismE0ELb0ES3_N6thrust23THRUST_200600_302600_NS6detail15normal_iteratorINSB_10device_ptrIjEEEENSD_INSE_IS6_EEEESI_S6_NSB_4plusIvEENSB_8equal_toIvEES6_EE10hipError_tPvRmT2_T3_T4_T5_mT6_T7_P12ihipStream_tbENKUlT_T0_E_clISt17integral_constantIbLb0EES13_EEDaSY_SZ_EUlSY_E_NS1_11comp_targetILNS1_3genE10ELNS1_11target_archE1201ELNS1_3gpuE5ELNS1_3repE0EEENS1_30default_config_static_selectorELNS0_4arch9wavefront6targetE0EEEvT1_
	.globl	_ZN7rocprim17ROCPRIM_400000_NS6detail17trampoline_kernelINS0_14default_configENS1_27scan_by_key_config_selectorIj11FixedVectorIiLj1EEEEZZNS1_16scan_by_key_implILNS1_25lookback_scan_determinismE0ELb0ES3_N6thrust23THRUST_200600_302600_NS6detail15normal_iteratorINSB_10device_ptrIjEEEENSD_INSE_IS6_EEEESI_S6_NSB_4plusIvEENSB_8equal_toIvEES6_EE10hipError_tPvRmT2_T3_T4_T5_mT6_T7_P12ihipStream_tbENKUlT_T0_E_clISt17integral_constantIbLb0EES13_EEDaSY_SZ_EUlSY_E_NS1_11comp_targetILNS1_3genE10ELNS1_11target_archE1201ELNS1_3gpuE5ELNS1_3repE0EEENS1_30default_config_static_selectorELNS0_4arch9wavefront6targetE0EEEvT1_
	.p2align	8
	.type	_ZN7rocprim17ROCPRIM_400000_NS6detail17trampoline_kernelINS0_14default_configENS1_27scan_by_key_config_selectorIj11FixedVectorIiLj1EEEEZZNS1_16scan_by_key_implILNS1_25lookback_scan_determinismE0ELb0ES3_N6thrust23THRUST_200600_302600_NS6detail15normal_iteratorINSB_10device_ptrIjEEEENSD_INSE_IS6_EEEESI_S6_NSB_4plusIvEENSB_8equal_toIvEES6_EE10hipError_tPvRmT2_T3_T4_T5_mT6_T7_P12ihipStream_tbENKUlT_T0_E_clISt17integral_constantIbLb0EES13_EEDaSY_SZ_EUlSY_E_NS1_11comp_targetILNS1_3genE10ELNS1_11target_archE1201ELNS1_3gpuE5ELNS1_3repE0EEENS1_30default_config_static_selectorELNS0_4arch9wavefront6targetE0EEEvT1_,@function
_ZN7rocprim17ROCPRIM_400000_NS6detail17trampoline_kernelINS0_14default_configENS1_27scan_by_key_config_selectorIj11FixedVectorIiLj1EEEEZZNS1_16scan_by_key_implILNS1_25lookback_scan_determinismE0ELb0ES3_N6thrust23THRUST_200600_302600_NS6detail15normal_iteratorINSB_10device_ptrIjEEEENSD_INSE_IS6_EEEESI_S6_NSB_4plusIvEENSB_8equal_toIvEES6_EE10hipError_tPvRmT2_T3_T4_T5_mT6_T7_P12ihipStream_tbENKUlT_T0_E_clISt17integral_constantIbLb0EES13_EEDaSY_SZ_EUlSY_E_NS1_11comp_targetILNS1_3genE10ELNS1_11target_archE1201ELNS1_3gpuE5ELNS1_3repE0EEENS1_30default_config_static_selectorELNS0_4arch9wavefront6targetE0EEEvT1_: ; @_ZN7rocprim17ROCPRIM_400000_NS6detail17trampoline_kernelINS0_14default_configENS1_27scan_by_key_config_selectorIj11FixedVectorIiLj1EEEEZZNS1_16scan_by_key_implILNS1_25lookback_scan_determinismE0ELb0ES3_N6thrust23THRUST_200600_302600_NS6detail15normal_iteratorINSB_10device_ptrIjEEEENSD_INSE_IS6_EEEESI_S6_NSB_4plusIvEENSB_8equal_toIvEES6_EE10hipError_tPvRmT2_T3_T4_T5_mT6_T7_P12ihipStream_tbENKUlT_T0_E_clISt17integral_constantIbLb0EES13_EEDaSY_SZ_EUlSY_E_NS1_11comp_targetILNS1_3genE10ELNS1_11target_archE1201ELNS1_3gpuE5ELNS1_3repE0EEENS1_30default_config_static_selectorELNS0_4arch9wavefront6targetE0EEEvT1_
; %bb.0:
	.section	.rodata,"a",@progbits
	.p2align	6, 0x0
	.amdhsa_kernel _ZN7rocprim17ROCPRIM_400000_NS6detail17trampoline_kernelINS0_14default_configENS1_27scan_by_key_config_selectorIj11FixedVectorIiLj1EEEEZZNS1_16scan_by_key_implILNS1_25lookback_scan_determinismE0ELb0ES3_N6thrust23THRUST_200600_302600_NS6detail15normal_iteratorINSB_10device_ptrIjEEEENSD_INSE_IS6_EEEESI_S6_NSB_4plusIvEENSB_8equal_toIvEES6_EE10hipError_tPvRmT2_T3_T4_T5_mT6_T7_P12ihipStream_tbENKUlT_T0_E_clISt17integral_constantIbLb0EES13_EEDaSY_SZ_EUlSY_E_NS1_11comp_targetILNS1_3genE10ELNS1_11target_archE1201ELNS1_3gpuE5ELNS1_3repE0EEENS1_30default_config_static_selectorELNS0_4arch9wavefront6targetE0EEEvT1_
		.amdhsa_group_segment_fixed_size 0
		.amdhsa_private_segment_fixed_size 0
		.amdhsa_kernarg_size 112
		.amdhsa_user_sgpr_count 6
		.amdhsa_user_sgpr_private_segment_buffer 1
		.amdhsa_user_sgpr_dispatch_ptr 0
		.amdhsa_user_sgpr_queue_ptr 0
		.amdhsa_user_sgpr_kernarg_segment_ptr 1
		.amdhsa_user_sgpr_dispatch_id 0
		.amdhsa_user_sgpr_flat_scratch_init 0
		.amdhsa_user_sgpr_private_segment_size 0
		.amdhsa_wavefront_size32 1
		.amdhsa_uses_dynamic_stack 0
		.amdhsa_system_sgpr_private_segment_wavefront_offset 0
		.amdhsa_system_sgpr_workgroup_id_x 1
		.amdhsa_system_sgpr_workgroup_id_y 0
		.amdhsa_system_sgpr_workgroup_id_z 0
		.amdhsa_system_sgpr_workgroup_info 0
		.amdhsa_system_vgpr_workitem_id 0
		.amdhsa_next_free_vgpr 1
		.amdhsa_next_free_sgpr 1
		.amdhsa_reserve_vcc 0
		.amdhsa_reserve_flat_scratch 0
		.amdhsa_float_round_mode_32 0
		.amdhsa_float_round_mode_16_64 0
		.amdhsa_float_denorm_mode_32 3
		.amdhsa_float_denorm_mode_16_64 3
		.amdhsa_dx10_clamp 1
		.amdhsa_ieee_mode 1
		.amdhsa_fp16_overflow 0
		.amdhsa_workgroup_processor_mode 1
		.amdhsa_memory_ordered 1
		.amdhsa_forward_progress 1
		.amdhsa_shared_vgpr_count 0
		.amdhsa_exception_fp_ieee_invalid_op 0
		.amdhsa_exception_fp_denorm_src 0
		.amdhsa_exception_fp_ieee_div_zero 0
		.amdhsa_exception_fp_ieee_overflow 0
		.amdhsa_exception_fp_ieee_underflow 0
		.amdhsa_exception_fp_ieee_inexact 0
		.amdhsa_exception_int_div_zero 0
	.end_amdhsa_kernel
	.section	.text._ZN7rocprim17ROCPRIM_400000_NS6detail17trampoline_kernelINS0_14default_configENS1_27scan_by_key_config_selectorIj11FixedVectorIiLj1EEEEZZNS1_16scan_by_key_implILNS1_25lookback_scan_determinismE0ELb0ES3_N6thrust23THRUST_200600_302600_NS6detail15normal_iteratorINSB_10device_ptrIjEEEENSD_INSE_IS6_EEEESI_S6_NSB_4plusIvEENSB_8equal_toIvEES6_EE10hipError_tPvRmT2_T3_T4_T5_mT6_T7_P12ihipStream_tbENKUlT_T0_E_clISt17integral_constantIbLb0EES13_EEDaSY_SZ_EUlSY_E_NS1_11comp_targetILNS1_3genE10ELNS1_11target_archE1201ELNS1_3gpuE5ELNS1_3repE0EEENS1_30default_config_static_selectorELNS0_4arch9wavefront6targetE0EEEvT1_,"axG",@progbits,_ZN7rocprim17ROCPRIM_400000_NS6detail17trampoline_kernelINS0_14default_configENS1_27scan_by_key_config_selectorIj11FixedVectorIiLj1EEEEZZNS1_16scan_by_key_implILNS1_25lookback_scan_determinismE0ELb0ES3_N6thrust23THRUST_200600_302600_NS6detail15normal_iteratorINSB_10device_ptrIjEEEENSD_INSE_IS6_EEEESI_S6_NSB_4plusIvEENSB_8equal_toIvEES6_EE10hipError_tPvRmT2_T3_T4_T5_mT6_T7_P12ihipStream_tbENKUlT_T0_E_clISt17integral_constantIbLb0EES13_EEDaSY_SZ_EUlSY_E_NS1_11comp_targetILNS1_3genE10ELNS1_11target_archE1201ELNS1_3gpuE5ELNS1_3repE0EEENS1_30default_config_static_selectorELNS0_4arch9wavefront6targetE0EEEvT1_,comdat
.Lfunc_end1870:
	.size	_ZN7rocprim17ROCPRIM_400000_NS6detail17trampoline_kernelINS0_14default_configENS1_27scan_by_key_config_selectorIj11FixedVectorIiLj1EEEEZZNS1_16scan_by_key_implILNS1_25lookback_scan_determinismE0ELb0ES3_N6thrust23THRUST_200600_302600_NS6detail15normal_iteratorINSB_10device_ptrIjEEEENSD_INSE_IS6_EEEESI_S6_NSB_4plusIvEENSB_8equal_toIvEES6_EE10hipError_tPvRmT2_T3_T4_T5_mT6_T7_P12ihipStream_tbENKUlT_T0_E_clISt17integral_constantIbLb0EES13_EEDaSY_SZ_EUlSY_E_NS1_11comp_targetILNS1_3genE10ELNS1_11target_archE1201ELNS1_3gpuE5ELNS1_3repE0EEENS1_30default_config_static_selectorELNS0_4arch9wavefront6targetE0EEEvT1_, .Lfunc_end1870-_ZN7rocprim17ROCPRIM_400000_NS6detail17trampoline_kernelINS0_14default_configENS1_27scan_by_key_config_selectorIj11FixedVectorIiLj1EEEEZZNS1_16scan_by_key_implILNS1_25lookback_scan_determinismE0ELb0ES3_N6thrust23THRUST_200600_302600_NS6detail15normal_iteratorINSB_10device_ptrIjEEEENSD_INSE_IS6_EEEESI_S6_NSB_4plusIvEENSB_8equal_toIvEES6_EE10hipError_tPvRmT2_T3_T4_T5_mT6_T7_P12ihipStream_tbENKUlT_T0_E_clISt17integral_constantIbLb0EES13_EEDaSY_SZ_EUlSY_E_NS1_11comp_targetILNS1_3genE10ELNS1_11target_archE1201ELNS1_3gpuE5ELNS1_3repE0EEENS1_30default_config_static_selectorELNS0_4arch9wavefront6targetE0EEEvT1_
                                        ; -- End function
	.set _ZN7rocprim17ROCPRIM_400000_NS6detail17trampoline_kernelINS0_14default_configENS1_27scan_by_key_config_selectorIj11FixedVectorIiLj1EEEEZZNS1_16scan_by_key_implILNS1_25lookback_scan_determinismE0ELb0ES3_N6thrust23THRUST_200600_302600_NS6detail15normal_iteratorINSB_10device_ptrIjEEEENSD_INSE_IS6_EEEESI_S6_NSB_4plusIvEENSB_8equal_toIvEES6_EE10hipError_tPvRmT2_T3_T4_T5_mT6_T7_P12ihipStream_tbENKUlT_T0_E_clISt17integral_constantIbLb0EES13_EEDaSY_SZ_EUlSY_E_NS1_11comp_targetILNS1_3genE10ELNS1_11target_archE1201ELNS1_3gpuE5ELNS1_3repE0EEENS1_30default_config_static_selectorELNS0_4arch9wavefront6targetE0EEEvT1_.num_vgpr, 0
	.set _ZN7rocprim17ROCPRIM_400000_NS6detail17trampoline_kernelINS0_14default_configENS1_27scan_by_key_config_selectorIj11FixedVectorIiLj1EEEEZZNS1_16scan_by_key_implILNS1_25lookback_scan_determinismE0ELb0ES3_N6thrust23THRUST_200600_302600_NS6detail15normal_iteratorINSB_10device_ptrIjEEEENSD_INSE_IS6_EEEESI_S6_NSB_4plusIvEENSB_8equal_toIvEES6_EE10hipError_tPvRmT2_T3_T4_T5_mT6_T7_P12ihipStream_tbENKUlT_T0_E_clISt17integral_constantIbLb0EES13_EEDaSY_SZ_EUlSY_E_NS1_11comp_targetILNS1_3genE10ELNS1_11target_archE1201ELNS1_3gpuE5ELNS1_3repE0EEENS1_30default_config_static_selectorELNS0_4arch9wavefront6targetE0EEEvT1_.num_agpr, 0
	.set _ZN7rocprim17ROCPRIM_400000_NS6detail17trampoline_kernelINS0_14default_configENS1_27scan_by_key_config_selectorIj11FixedVectorIiLj1EEEEZZNS1_16scan_by_key_implILNS1_25lookback_scan_determinismE0ELb0ES3_N6thrust23THRUST_200600_302600_NS6detail15normal_iteratorINSB_10device_ptrIjEEEENSD_INSE_IS6_EEEESI_S6_NSB_4plusIvEENSB_8equal_toIvEES6_EE10hipError_tPvRmT2_T3_T4_T5_mT6_T7_P12ihipStream_tbENKUlT_T0_E_clISt17integral_constantIbLb0EES13_EEDaSY_SZ_EUlSY_E_NS1_11comp_targetILNS1_3genE10ELNS1_11target_archE1201ELNS1_3gpuE5ELNS1_3repE0EEENS1_30default_config_static_selectorELNS0_4arch9wavefront6targetE0EEEvT1_.numbered_sgpr, 0
	.set _ZN7rocprim17ROCPRIM_400000_NS6detail17trampoline_kernelINS0_14default_configENS1_27scan_by_key_config_selectorIj11FixedVectorIiLj1EEEEZZNS1_16scan_by_key_implILNS1_25lookback_scan_determinismE0ELb0ES3_N6thrust23THRUST_200600_302600_NS6detail15normal_iteratorINSB_10device_ptrIjEEEENSD_INSE_IS6_EEEESI_S6_NSB_4plusIvEENSB_8equal_toIvEES6_EE10hipError_tPvRmT2_T3_T4_T5_mT6_T7_P12ihipStream_tbENKUlT_T0_E_clISt17integral_constantIbLb0EES13_EEDaSY_SZ_EUlSY_E_NS1_11comp_targetILNS1_3genE10ELNS1_11target_archE1201ELNS1_3gpuE5ELNS1_3repE0EEENS1_30default_config_static_selectorELNS0_4arch9wavefront6targetE0EEEvT1_.num_named_barrier, 0
	.set _ZN7rocprim17ROCPRIM_400000_NS6detail17trampoline_kernelINS0_14default_configENS1_27scan_by_key_config_selectorIj11FixedVectorIiLj1EEEEZZNS1_16scan_by_key_implILNS1_25lookback_scan_determinismE0ELb0ES3_N6thrust23THRUST_200600_302600_NS6detail15normal_iteratorINSB_10device_ptrIjEEEENSD_INSE_IS6_EEEESI_S6_NSB_4plusIvEENSB_8equal_toIvEES6_EE10hipError_tPvRmT2_T3_T4_T5_mT6_T7_P12ihipStream_tbENKUlT_T0_E_clISt17integral_constantIbLb0EES13_EEDaSY_SZ_EUlSY_E_NS1_11comp_targetILNS1_3genE10ELNS1_11target_archE1201ELNS1_3gpuE5ELNS1_3repE0EEENS1_30default_config_static_selectorELNS0_4arch9wavefront6targetE0EEEvT1_.private_seg_size, 0
	.set _ZN7rocprim17ROCPRIM_400000_NS6detail17trampoline_kernelINS0_14default_configENS1_27scan_by_key_config_selectorIj11FixedVectorIiLj1EEEEZZNS1_16scan_by_key_implILNS1_25lookback_scan_determinismE0ELb0ES3_N6thrust23THRUST_200600_302600_NS6detail15normal_iteratorINSB_10device_ptrIjEEEENSD_INSE_IS6_EEEESI_S6_NSB_4plusIvEENSB_8equal_toIvEES6_EE10hipError_tPvRmT2_T3_T4_T5_mT6_T7_P12ihipStream_tbENKUlT_T0_E_clISt17integral_constantIbLb0EES13_EEDaSY_SZ_EUlSY_E_NS1_11comp_targetILNS1_3genE10ELNS1_11target_archE1201ELNS1_3gpuE5ELNS1_3repE0EEENS1_30default_config_static_selectorELNS0_4arch9wavefront6targetE0EEEvT1_.uses_vcc, 0
	.set _ZN7rocprim17ROCPRIM_400000_NS6detail17trampoline_kernelINS0_14default_configENS1_27scan_by_key_config_selectorIj11FixedVectorIiLj1EEEEZZNS1_16scan_by_key_implILNS1_25lookback_scan_determinismE0ELb0ES3_N6thrust23THRUST_200600_302600_NS6detail15normal_iteratorINSB_10device_ptrIjEEEENSD_INSE_IS6_EEEESI_S6_NSB_4plusIvEENSB_8equal_toIvEES6_EE10hipError_tPvRmT2_T3_T4_T5_mT6_T7_P12ihipStream_tbENKUlT_T0_E_clISt17integral_constantIbLb0EES13_EEDaSY_SZ_EUlSY_E_NS1_11comp_targetILNS1_3genE10ELNS1_11target_archE1201ELNS1_3gpuE5ELNS1_3repE0EEENS1_30default_config_static_selectorELNS0_4arch9wavefront6targetE0EEEvT1_.uses_flat_scratch, 0
	.set _ZN7rocprim17ROCPRIM_400000_NS6detail17trampoline_kernelINS0_14default_configENS1_27scan_by_key_config_selectorIj11FixedVectorIiLj1EEEEZZNS1_16scan_by_key_implILNS1_25lookback_scan_determinismE0ELb0ES3_N6thrust23THRUST_200600_302600_NS6detail15normal_iteratorINSB_10device_ptrIjEEEENSD_INSE_IS6_EEEESI_S6_NSB_4plusIvEENSB_8equal_toIvEES6_EE10hipError_tPvRmT2_T3_T4_T5_mT6_T7_P12ihipStream_tbENKUlT_T0_E_clISt17integral_constantIbLb0EES13_EEDaSY_SZ_EUlSY_E_NS1_11comp_targetILNS1_3genE10ELNS1_11target_archE1201ELNS1_3gpuE5ELNS1_3repE0EEENS1_30default_config_static_selectorELNS0_4arch9wavefront6targetE0EEEvT1_.has_dyn_sized_stack, 0
	.set _ZN7rocprim17ROCPRIM_400000_NS6detail17trampoline_kernelINS0_14default_configENS1_27scan_by_key_config_selectorIj11FixedVectorIiLj1EEEEZZNS1_16scan_by_key_implILNS1_25lookback_scan_determinismE0ELb0ES3_N6thrust23THRUST_200600_302600_NS6detail15normal_iteratorINSB_10device_ptrIjEEEENSD_INSE_IS6_EEEESI_S6_NSB_4plusIvEENSB_8equal_toIvEES6_EE10hipError_tPvRmT2_T3_T4_T5_mT6_T7_P12ihipStream_tbENKUlT_T0_E_clISt17integral_constantIbLb0EES13_EEDaSY_SZ_EUlSY_E_NS1_11comp_targetILNS1_3genE10ELNS1_11target_archE1201ELNS1_3gpuE5ELNS1_3repE0EEENS1_30default_config_static_selectorELNS0_4arch9wavefront6targetE0EEEvT1_.has_recursion, 0
	.set _ZN7rocprim17ROCPRIM_400000_NS6detail17trampoline_kernelINS0_14default_configENS1_27scan_by_key_config_selectorIj11FixedVectorIiLj1EEEEZZNS1_16scan_by_key_implILNS1_25lookback_scan_determinismE0ELb0ES3_N6thrust23THRUST_200600_302600_NS6detail15normal_iteratorINSB_10device_ptrIjEEEENSD_INSE_IS6_EEEESI_S6_NSB_4plusIvEENSB_8equal_toIvEES6_EE10hipError_tPvRmT2_T3_T4_T5_mT6_T7_P12ihipStream_tbENKUlT_T0_E_clISt17integral_constantIbLb0EES13_EEDaSY_SZ_EUlSY_E_NS1_11comp_targetILNS1_3genE10ELNS1_11target_archE1201ELNS1_3gpuE5ELNS1_3repE0EEENS1_30default_config_static_selectorELNS0_4arch9wavefront6targetE0EEEvT1_.has_indirect_call, 0
	.section	.AMDGPU.csdata,"",@progbits
; Kernel info:
; codeLenInByte = 0
; TotalNumSgprs: 0
; NumVgprs: 0
; ScratchSize: 0
; MemoryBound: 0
; FloatMode: 240
; IeeeMode: 1
; LDSByteSize: 0 bytes/workgroup (compile time only)
; SGPRBlocks: 0
; VGPRBlocks: 0
; NumSGPRsForWavesPerEU: 1
; NumVGPRsForWavesPerEU: 1
; Occupancy: 16
; WaveLimiterHint : 0
; COMPUTE_PGM_RSRC2:SCRATCH_EN: 0
; COMPUTE_PGM_RSRC2:USER_SGPR: 6
; COMPUTE_PGM_RSRC2:TRAP_HANDLER: 0
; COMPUTE_PGM_RSRC2:TGID_X_EN: 1
; COMPUTE_PGM_RSRC2:TGID_Y_EN: 0
; COMPUTE_PGM_RSRC2:TGID_Z_EN: 0
; COMPUTE_PGM_RSRC2:TIDIG_COMP_CNT: 0
	.section	.text._ZN7rocprim17ROCPRIM_400000_NS6detail17trampoline_kernelINS0_14default_configENS1_27scan_by_key_config_selectorIj11FixedVectorIiLj1EEEEZZNS1_16scan_by_key_implILNS1_25lookback_scan_determinismE0ELb0ES3_N6thrust23THRUST_200600_302600_NS6detail15normal_iteratorINSB_10device_ptrIjEEEENSD_INSE_IS6_EEEESI_S6_NSB_4plusIvEENSB_8equal_toIvEES6_EE10hipError_tPvRmT2_T3_T4_T5_mT6_T7_P12ihipStream_tbENKUlT_T0_E_clISt17integral_constantIbLb0EES13_EEDaSY_SZ_EUlSY_E_NS1_11comp_targetILNS1_3genE5ELNS1_11target_archE942ELNS1_3gpuE9ELNS1_3repE0EEENS1_30default_config_static_selectorELNS0_4arch9wavefront6targetE0EEEvT1_,"axG",@progbits,_ZN7rocprim17ROCPRIM_400000_NS6detail17trampoline_kernelINS0_14default_configENS1_27scan_by_key_config_selectorIj11FixedVectorIiLj1EEEEZZNS1_16scan_by_key_implILNS1_25lookback_scan_determinismE0ELb0ES3_N6thrust23THRUST_200600_302600_NS6detail15normal_iteratorINSB_10device_ptrIjEEEENSD_INSE_IS6_EEEESI_S6_NSB_4plusIvEENSB_8equal_toIvEES6_EE10hipError_tPvRmT2_T3_T4_T5_mT6_T7_P12ihipStream_tbENKUlT_T0_E_clISt17integral_constantIbLb0EES13_EEDaSY_SZ_EUlSY_E_NS1_11comp_targetILNS1_3genE5ELNS1_11target_archE942ELNS1_3gpuE9ELNS1_3repE0EEENS1_30default_config_static_selectorELNS0_4arch9wavefront6targetE0EEEvT1_,comdat
	.protected	_ZN7rocprim17ROCPRIM_400000_NS6detail17trampoline_kernelINS0_14default_configENS1_27scan_by_key_config_selectorIj11FixedVectorIiLj1EEEEZZNS1_16scan_by_key_implILNS1_25lookback_scan_determinismE0ELb0ES3_N6thrust23THRUST_200600_302600_NS6detail15normal_iteratorINSB_10device_ptrIjEEEENSD_INSE_IS6_EEEESI_S6_NSB_4plusIvEENSB_8equal_toIvEES6_EE10hipError_tPvRmT2_T3_T4_T5_mT6_T7_P12ihipStream_tbENKUlT_T0_E_clISt17integral_constantIbLb0EES13_EEDaSY_SZ_EUlSY_E_NS1_11comp_targetILNS1_3genE5ELNS1_11target_archE942ELNS1_3gpuE9ELNS1_3repE0EEENS1_30default_config_static_selectorELNS0_4arch9wavefront6targetE0EEEvT1_ ; -- Begin function _ZN7rocprim17ROCPRIM_400000_NS6detail17trampoline_kernelINS0_14default_configENS1_27scan_by_key_config_selectorIj11FixedVectorIiLj1EEEEZZNS1_16scan_by_key_implILNS1_25lookback_scan_determinismE0ELb0ES3_N6thrust23THRUST_200600_302600_NS6detail15normal_iteratorINSB_10device_ptrIjEEEENSD_INSE_IS6_EEEESI_S6_NSB_4plusIvEENSB_8equal_toIvEES6_EE10hipError_tPvRmT2_T3_T4_T5_mT6_T7_P12ihipStream_tbENKUlT_T0_E_clISt17integral_constantIbLb0EES13_EEDaSY_SZ_EUlSY_E_NS1_11comp_targetILNS1_3genE5ELNS1_11target_archE942ELNS1_3gpuE9ELNS1_3repE0EEENS1_30default_config_static_selectorELNS0_4arch9wavefront6targetE0EEEvT1_
	.globl	_ZN7rocprim17ROCPRIM_400000_NS6detail17trampoline_kernelINS0_14default_configENS1_27scan_by_key_config_selectorIj11FixedVectorIiLj1EEEEZZNS1_16scan_by_key_implILNS1_25lookback_scan_determinismE0ELb0ES3_N6thrust23THRUST_200600_302600_NS6detail15normal_iteratorINSB_10device_ptrIjEEEENSD_INSE_IS6_EEEESI_S6_NSB_4plusIvEENSB_8equal_toIvEES6_EE10hipError_tPvRmT2_T3_T4_T5_mT6_T7_P12ihipStream_tbENKUlT_T0_E_clISt17integral_constantIbLb0EES13_EEDaSY_SZ_EUlSY_E_NS1_11comp_targetILNS1_3genE5ELNS1_11target_archE942ELNS1_3gpuE9ELNS1_3repE0EEENS1_30default_config_static_selectorELNS0_4arch9wavefront6targetE0EEEvT1_
	.p2align	8
	.type	_ZN7rocprim17ROCPRIM_400000_NS6detail17trampoline_kernelINS0_14default_configENS1_27scan_by_key_config_selectorIj11FixedVectorIiLj1EEEEZZNS1_16scan_by_key_implILNS1_25lookback_scan_determinismE0ELb0ES3_N6thrust23THRUST_200600_302600_NS6detail15normal_iteratorINSB_10device_ptrIjEEEENSD_INSE_IS6_EEEESI_S6_NSB_4plusIvEENSB_8equal_toIvEES6_EE10hipError_tPvRmT2_T3_T4_T5_mT6_T7_P12ihipStream_tbENKUlT_T0_E_clISt17integral_constantIbLb0EES13_EEDaSY_SZ_EUlSY_E_NS1_11comp_targetILNS1_3genE5ELNS1_11target_archE942ELNS1_3gpuE9ELNS1_3repE0EEENS1_30default_config_static_selectorELNS0_4arch9wavefront6targetE0EEEvT1_,@function
_ZN7rocprim17ROCPRIM_400000_NS6detail17trampoline_kernelINS0_14default_configENS1_27scan_by_key_config_selectorIj11FixedVectorIiLj1EEEEZZNS1_16scan_by_key_implILNS1_25lookback_scan_determinismE0ELb0ES3_N6thrust23THRUST_200600_302600_NS6detail15normal_iteratorINSB_10device_ptrIjEEEENSD_INSE_IS6_EEEESI_S6_NSB_4plusIvEENSB_8equal_toIvEES6_EE10hipError_tPvRmT2_T3_T4_T5_mT6_T7_P12ihipStream_tbENKUlT_T0_E_clISt17integral_constantIbLb0EES13_EEDaSY_SZ_EUlSY_E_NS1_11comp_targetILNS1_3genE5ELNS1_11target_archE942ELNS1_3gpuE9ELNS1_3repE0EEENS1_30default_config_static_selectorELNS0_4arch9wavefront6targetE0EEEvT1_: ; @_ZN7rocprim17ROCPRIM_400000_NS6detail17trampoline_kernelINS0_14default_configENS1_27scan_by_key_config_selectorIj11FixedVectorIiLj1EEEEZZNS1_16scan_by_key_implILNS1_25lookback_scan_determinismE0ELb0ES3_N6thrust23THRUST_200600_302600_NS6detail15normal_iteratorINSB_10device_ptrIjEEEENSD_INSE_IS6_EEEESI_S6_NSB_4plusIvEENSB_8equal_toIvEES6_EE10hipError_tPvRmT2_T3_T4_T5_mT6_T7_P12ihipStream_tbENKUlT_T0_E_clISt17integral_constantIbLb0EES13_EEDaSY_SZ_EUlSY_E_NS1_11comp_targetILNS1_3genE5ELNS1_11target_archE942ELNS1_3gpuE9ELNS1_3repE0EEENS1_30default_config_static_selectorELNS0_4arch9wavefront6targetE0EEEvT1_
; %bb.0:
	.section	.rodata,"a",@progbits
	.p2align	6, 0x0
	.amdhsa_kernel _ZN7rocprim17ROCPRIM_400000_NS6detail17trampoline_kernelINS0_14default_configENS1_27scan_by_key_config_selectorIj11FixedVectorIiLj1EEEEZZNS1_16scan_by_key_implILNS1_25lookback_scan_determinismE0ELb0ES3_N6thrust23THRUST_200600_302600_NS6detail15normal_iteratorINSB_10device_ptrIjEEEENSD_INSE_IS6_EEEESI_S6_NSB_4plusIvEENSB_8equal_toIvEES6_EE10hipError_tPvRmT2_T3_T4_T5_mT6_T7_P12ihipStream_tbENKUlT_T0_E_clISt17integral_constantIbLb0EES13_EEDaSY_SZ_EUlSY_E_NS1_11comp_targetILNS1_3genE5ELNS1_11target_archE942ELNS1_3gpuE9ELNS1_3repE0EEENS1_30default_config_static_selectorELNS0_4arch9wavefront6targetE0EEEvT1_
		.amdhsa_group_segment_fixed_size 0
		.amdhsa_private_segment_fixed_size 0
		.amdhsa_kernarg_size 112
		.amdhsa_user_sgpr_count 6
		.amdhsa_user_sgpr_private_segment_buffer 1
		.amdhsa_user_sgpr_dispatch_ptr 0
		.amdhsa_user_sgpr_queue_ptr 0
		.amdhsa_user_sgpr_kernarg_segment_ptr 1
		.amdhsa_user_sgpr_dispatch_id 0
		.amdhsa_user_sgpr_flat_scratch_init 0
		.amdhsa_user_sgpr_private_segment_size 0
		.amdhsa_wavefront_size32 1
		.amdhsa_uses_dynamic_stack 0
		.amdhsa_system_sgpr_private_segment_wavefront_offset 0
		.amdhsa_system_sgpr_workgroup_id_x 1
		.amdhsa_system_sgpr_workgroup_id_y 0
		.amdhsa_system_sgpr_workgroup_id_z 0
		.amdhsa_system_sgpr_workgroup_info 0
		.amdhsa_system_vgpr_workitem_id 0
		.amdhsa_next_free_vgpr 1
		.amdhsa_next_free_sgpr 1
		.amdhsa_reserve_vcc 0
		.amdhsa_reserve_flat_scratch 0
		.amdhsa_float_round_mode_32 0
		.amdhsa_float_round_mode_16_64 0
		.amdhsa_float_denorm_mode_32 3
		.amdhsa_float_denorm_mode_16_64 3
		.amdhsa_dx10_clamp 1
		.amdhsa_ieee_mode 1
		.amdhsa_fp16_overflow 0
		.amdhsa_workgroup_processor_mode 1
		.amdhsa_memory_ordered 1
		.amdhsa_forward_progress 1
		.amdhsa_shared_vgpr_count 0
		.amdhsa_exception_fp_ieee_invalid_op 0
		.amdhsa_exception_fp_denorm_src 0
		.amdhsa_exception_fp_ieee_div_zero 0
		.amdhsa_exception_fp_ieee_overflow 0
		.amdhsa_exception_fp_ieee_underflow 0
		.amdhsa_exception_fp_ieee_inexact 0
		.amdhsa_exception_int_div_zero 0
	.end_amdhsa_kernel
	.section	.text._ZN7rocprim17ROCPRIM_400000_NS6detail17trampoline_kernelINS0_14default_configENS1_27scan_by_key_config_selectorIj11FixedVectorIiLj1EEEEZZNS1_16scan_by_key_implILNS1_25lookback_scan_determinismE0ELb0ES3_N6thrust23THRUST_200600_302600_NS6detail15normal_iteratorINSB_10device_ptrIjEEEENSD_INSE_IS6_EEEESI_S6_NSB_4plusIvEENSB_8equal_toIvEES6_EE10hipError_tPvRmT2_T3_T4_T5_mT6_T7_P12ihipStream_tbENKUlT_T0_E_clISt17integral_constantIbLb0EES13_EEDaSY_SZ_EUlSY_E_NS1_11comp_targetILNS1_3genE5ELNS1_11target_archE942ELNS1_3gpuE9ELNS1_3repE0EEENS1_30default_config_static_selectorELNS0_4arch9wavefront6targetE0EEEvT1_,"axG",@progbits,_ZN7rocprim17ROCPRIM_400000_NS6detail17trampoline_kernelINS0_14default_configENS1_27scan_by_key_config_selectorIj11FixedVectorIiLj1EEEEZZNS1_16scan_by_key_implILNS1_25lookback_scan_determinismE0ELb0ES3_N6thrust23THRUST_200600_302600_NS6detail15normal_iteratorINSB_10device_ptrIjEEEENSD_INSE_IS6_EEEESI_S6_NSB_4plusIvEENSB_8equal_toIvEES6_EE10hipError_tPvRmT2_T3_T4_T5_mT6_T7_P12ihipStream_tbENKUlT_T0_E_clISt17integral_constantIbLb0EES13_EEDaSY_SZ_EUlSY_E_NS1_11comp_targetILNS1_3genE5ELNS1_11target_archE942ELNS1_3gpuE9ELNS1_3repE0EEENS1_30default_config_static_selectorELNS0_4arch9wavefront6targetE0EEEvT1_,comdat
.Lfunc_end1871:
	.size	_ZN7rocprim17ROCPRIM_400000_NS6detail17trampoline_kernelINS0_14default_configENS1_27scan_by_key_config_selectorIj11FixedVectorIiLj1EEEEZZNS1_16scan_by_key_implILNS1_25lookback_scan_determinismE0ELb0ES3_N6thrust23THRUST_200600_302600_NS6detail15normal_iteratorINSB_10device_ptrIjEEEENSD_INSE_IS6_EEEESI_S6_NSB_4plusIvEENSB_8equal_toIvEES6_EE10hipError_tPvRmT2_T3_T4_T5_mT6_T7_P12ihipStream_tbENKUlT_T0_E_clISt17integral_constantIbLb0EES13_EEDaSY_SZ_EUlSY_E_NS1_11comp_targetILNS1_3genE5ELNS1_11target_archE942ELNS1_3gpuE9ELNS1_3repE0EEENS1_30default_config_static_selectorELNS0_4arch9wavefront6targetE0EEEvT1_, .Lfunc_end1871-_ZN7rocprim17ROCPRIM_400000_NS6detail17trampoline_kernelINS0_14default_configENS1_27scan_by_key_config_selectorIj11FixedVectorIiLj1EEEEZZNS1_16scan_by_key_implILNS1_25lookback_scan_determinismE0ELb0ES3_N6thrust23THRUST_200600_302600_NS6detail15normal_iteratorINSB_10device_ptrIjEEEENSD_INSE_IS6_EEEESI_S6_NSB_4plusIvEENSB_8equal_toIvEES6_EE10hipError_tPvRmT2_T3_T4_T5_mT6_T7_P12ihipStream_tbENKUlT_T0_E_clISt17integral_constantIbLb0EES13_EEDaSY_SZ_EUlSY_E_NS1_11comp_targetILNS1_3genE5ELNS1_11target_archE942ELNS1_3gpuE9ELNS1_3repE0EEENS1_30default_config_static_selectorELNS0_4arch9wavefront6targetE0EEEvT1_
                                        ; -- End function
	.set _ZN7rocprim17ROCPRIM_400000_NS6detail17trampoline_kernelINS0_14default_configENS1_27scan_by_key_config_selectorIj11FixedVectorIiLj1EEEEZZNS1_16scan_by_key_implILNS1_25lookback_scan_determinismE0ELb0ES3_N6thrust23THRUST_200600_302600_NS6detail15normal_iteratorINSB_10device_ptrIjEEEENSD_INSE_IS6_EEEESI_S6_NSB_4plusIvEENSB_8equal_toIvEES6_EE10hipError_tPvRmT2_T3_T4_T5_mT6_T7_P12ihipStream_tbENKUlT_T0_E_clISt17integral_constantIbLb0EES13_EEDaSY_SZ_EUlSY_E_NS1_11comp_targetILNS1_3genE5ELNS1_11target_archE942ELNS1_3gpuE9ELNS1_3repE0EEENS1_30default_config_static_selectorELNS0_4arch9wavefront6targetE0EEEvT1_.num_vgpr, 0
	.set _ZN7rocprim17ROCPRIM_400000_NS6detail17trampoline_kernelINS0_14default_configENS1_27scan_by_key_config_selectorIj11FixedVectorIiLj1EEEEZZNS1_16scan_by_key_implILNS1_25lookback_scan_determinismE0ELb0ES3_N6thrust23THRUST_200600_302600_NS6detail15normal_iteratorINSB_10device_ptrIjEEEENSD_INSE_IS6_EEEESI_S6_NSB_4plusIvEENSB_8equal_toIvEES6_EE10hipError_tPvRmT2_T3_T4_T5_mT6_T7_P12ihipStream_tbENKUlT_T0_E_clISt17integral_constantIbLb0EES13_EEDaSY_SZ_EUlSY_E_NS1_11comp_targetILNS1_3genE5ELNS1_11target_archE942ELNS1_3gpuE9ELNS1_3repE0EEENS1_30default_config_static_selectorELNS0_4arch9wavefront6targetE0EEEvT1_.num_agpr, 0
	.set _ZN7rocprim17ROCPRIM_400000_NS6detail17trampoline_kernelINS0_14default_configENS1_27scan_by_key_config_selectorIj11FixedVectorIiLj1EEEEZZNS1_16scan_by_key_implILNS1_25lookback_scan_determinismE0ELb0ES3_N6thrust23THRUST_200600_302600_NS6detail15normal_iteratorINSB_10device_ptrIjEEEENSD_INSE_IS6_EEEESI_S6_NSB_4plusIvEENSB_8equal_toIvEES6_EE10hipError_tPvRmT2_T3_T4_T5_mT6_T7_P12ihipStream_tbENKUlT_T0_E_clISt17integral_constantIbLb0EES13_EEDaSY_SZ_EUlSY_E_NS1_11comp_targetILNS1_3genE5ELNS1_11target_archE942ELNS1_3gpuE9ELNS1_3repE0EEENS1_30default_config_static_selectorELNS0_4arch9wavefront6targetE0EEEvT1_.numbered_sgpr, 0
	.set _ZN7rocprim17ROCPRIM_400000_NS6detail17trampoline_kernelINS0_14default_configENS1_27scan_by_key_config_selectorIj11FixedVectorIiLj1EEEEZZNS1_16scan_by_key_implILNS1_25lookback_scan_determinismE0ELb0ES3_N6thrust23THRUST_200600_302600_NS6detail15normal_iteratorINSB_10device_ptrIjEEEENSD_INSE_IS6_EEEESI_S6_NSB_4plusIvEENSB_8equal_toIvEES6_EE10hipError_tPvRmT2_T3_T4_T5_mT6_T7_P12ihipStream_tbENKUlT_T0_E_clISt17integral_constantIbLb0EES13_EEDaSY_SZ_EUlSY_E_NS1_11comp_targetILNS1_3genE5ELNS1_11target_archE942ELNS1_3gpuE9ELNS1_3repE0EEENS1_30default_config_static_selectorELNS0_4arch9wavefront6targetE0EEEvT1_.num_named_barrier, 0
	.set _ZN7rocprim17ROCPRIM_400000_NS6detail17trampoline_kernelINS0_14default_configENS1_27scan_by_key_config_selectorIj11FixedVectorIiLj1EEEEZZNS1_16scan_by_key_implILNS1_25lookback_scan_determinismE0ELb0ES3_N6thrust23THRUST_200600_302600_NS6detail15normal_iteratorINSB_10device_ptrIjEEEENSD_INSE_IS6_EEEESI_S6_NSB_4plusIvEENSB_8equal_toIvEES6_EE10hipError_tPvRmT2_T3_T4_T5_mT6_T7_P12ihipStream_tbENKUlT_T0_E_clISt17integral_constantIbLb0EES13_EEDaSY_SZ_EUlSY_E_NS1_11comp_targetILNS1_3genE5ELNS1_11target_archE942ELNS1_3gpuE9ELNS1_3repE0EEENS1_30default_config_static_selectorELNS0_4arch9wavefront6targetE0EEEvT1_.private_seg_size, 0
	.set _ZN7rocprim17ROCPRIM_400000_NS6detail17trampoline_kernelINS0_14default_configENS1_27scan_by_key_config_selectorIj11FixedVectorIiLj1EEEEZZNS1_16scan_by_key_implILNS1_25lookback_scan_determinismE0ELb0ES3_N6thrust23THRUST_200600_302600_NS6detail15normal_iteratorINSB_10device_ptrIjEEEENSD_INSE_IS6_EEEESI_S6_NSB_4plusIvEENSB_8equal_toIvEES6_EE10hipError_tPvRmT2_T3_T4_T5_mT6_T7_P12ihipStream_tbENKUlT_T0_E_clISt17integral_constantIbLb0EES13_EEDaSY_SZ_EUlSY_E_NS1_11comp_targetILNS1_3genE5ELNS1_11target_archE942ELNS1_3gpuE9ELNS1_3repE0EEENS1_30default_config_static_selectorELNS0_4arch9wavefront6targetE0EEEvT1_.uses_vcc, 0
	.set _ZN7rocprim17ROCPRIM_400000_NS6detail17trampoline_kernelINS0_14default_configENS1_27scan_by_key_config_selectorIj11FixedVectorIiLj1EEEEZZNS1_16scan_by_key_implILNS1_25lookback_scan_determinismE0ELb0ES3_N6thrust23THRUST_200600_302600_NS6detail15normal_iteratorINSB_10device_ptrIjEEEENSD_INSE_IS6_EEEESI_S6_NSB_4plusIvEENSB_8equal_toIvEES6_EE10hipError_tPvRmT2_T3_T4_T5_mT6_T7_P12ihipStream_tbENKUlT_T0_E_clISt17integral_constantIbLb0EES13_EEDaSY_SZ_EUlSY_E_NS1_11comp_targetILNS1_3genE5ELNS1_11target_archE942ELNS1_3gpuE9ELNS1_3repE0EEENS1_30default_config_static_selectorELNS0_4arch9wavefront6targetE0EEEvT1_.uses_flat_scratch, 0
	.set _ZN7rocprim17ROCPRIM_400000_NS6detail17trampoline_kernelINS0_14default_configENS1_27scan_by_key_config_selectorIj11FixedVectorIiLj1EEEEZZNS1_16scan_by_key_implILNS1_25lookback_scan_determinismE0ELb0ES3_N6thrust23THRUST_200600_302600_NS6detail15normal_iteratorINSB_10device_ptrIjEEEENSD_INSE_IS6_EEEESI_S6_NSB_4plusIvEENSB_8equal_toIvEES6_EE10hipError_tPvRmT2_T3_T4_T5_mT6_T7_P12ihipStream_tbENKUlT_T0_E_clISt17integral_constantIbLb0EES13_EEDaSY_SZ_EUlSY_E_NS1_11comp_targetILNS1_3genE5ELNS1_11target_archE942ELNS1_3gpuE9ELNS1_3repE0EEENS1_30default_config_static_selectorELNS0_4arch9wavefront6targetE0EEEvT1_.has_dyn_sized_stack, 0
	.set _ZN7rocprim17ROCPRIM_400000_NS6detail17trampoline_kernelINS0_14default_configENS1_27scan_by_key_config_selectorIj11FixedVectorIiLj1EEEEZZNS1_16scan_by_key_implILNS1_25lookback_scan_determinismE0ELb0ES3_N6thrust23THRUST_200600_302600_NS6detail15normal_iteratorINSB_10device_ptrIjEEEENSD_INSE_IS6_EEEESI_S6_NSB_4plusIvEENSB_8equal_toIvEES6_EE10hipError_tPvRmT2_T3_T4_T5_mT6_T7_P12ihipStream_tbENKUlT_T0_E_clISt17integral_constantIbLb0EES13_EEDaSY_SZ_EUlSY_E_NS1_11comp_targetILNS1_3genE5ELNS1_11target_archE942ELNS1_3gpuE9ELNS1_3repE0EEENS1_30default_config_static_selectorELNS0_4arch9wavefront6targetE0EEEvT1_.has_recursion, 0
	.set _ZN7rocprim17ROCPRIM_400000_NS6detail17trampoline_kernelINS0_14default_configENS1_27scan_by_key_config_selectorIj11FixedVectorIiLj1EEEEZZNS1_16scan_by_key_implILNS1_25lookback_scan_determinismE0ELb0ES3_N6thrust23THRUST_200600_302600_NS6detail15normal_iteratorINSB_10device_ptrIjEEEENSD_INSE_IS6_EEEESI_S6_NSB_4plusIvEENSB_8equal_toIvEES6_EE10hipError_tPvRmT2_T3_T4_T5_mT6_T7_P12ihipStream_tbENKUlT_T0_E_clISt17integral_constantIbLb0EES13_EEDaSY_SZ_EUlSY_E_NS1_11comp_targetILNS1_3genE5ELNS1_11target_archE942ELNS1_3gpuE9ELNS1_3repE0EEENS1_30default_config_static_selectorELNS0_4arch9wavefront6targetE0EEEvT1_.has_indirect_call, 0
	.section	.AMDGPU.csdata,"",@progbits
; Kernel info:
; codeLenInByte = 0
; TotalNumSgprs: 0
; NumVgprs: 0
; ScratchSize: 0
; MemoryBound: 0
; FloatMode: 240
; IeeeMode: 1
; LDSByteSize: 0 bytes/workgroup (compile time only)
; SGPRBlocks: 0
; VGPRBlocks: 0
; NumSGPRsForWavesPerEU: 1
; NumVGPRsForWavesPerEU: 1
; Occupancy: 16
; WaveLimiterHint : 0
; COMPUTE_PGM_RSRC2:SCRATCH_EN: 0
; COMPUTE_PGM_RSRC2:USER_SGPR: 6
; COMPUTE_PGM_RSRC2:TRAP_HANDLER: 0
; COMPUTE_PGM_RSRC2:TGID_X_EN: 1
; COMPUTE_PGM_RSRC2:TGID_Y_EN: 0
; COMPUTE_PGM_RSRC2:TGID_Z_EN: 0
; COMPUTE_PGM_RSRC2:TIDIG_COMP_CNT: 0
	.section	.text._ZN7rocprim17ROCPRIM_400000_NS6detail17trampoline_kernelINS0_14default_configENS1_27scan_by_key_config_selectorIj11FixedVectorIiLj1EEEEZZNS1_16scan_by_key_implILNS1_25lookback_scan_determinismE0ELb0ES3_N6thrust23THRUST_200600_302600_NS6detail15normal_iteratorINSB_10device_ptrIjEEEENSD_INSE_IS6_EEEESI_S6_NSB_4plusIvEENSB_8equal_toIvEES6_EE10hipError_tPvRmT2_T3_T4_T5_mT6_T7_P12ihipStream_tbENKUlT_T0_E_clISt17integral_constantIbLb0EES13_EEDaSY_SZ_EUlSY_E_NS1_11comp_targetILNS1_3genE4ELNS1_11target_archE910ELNS1_3gpuE8ELNS1_3repE0EEENS1_30default_config_static_selectorELNS0_4arch9wavefront6targetE0EEEvT1_,"axG",@progbits,_ZN7rocprim17ROCPRIM_400000_NS6detail17trampoline_kernelINS0_14default_configENS1_27scan_by_key_config_selectorIj11FixedVectorIiLj1EEEEZZNS1_16scan_by_key_implILNS1_25lookback_scan_determinismE0ELb0ES3_N6thrust23THRUST_200600_302600_NS6detail15normal_iteratorINSB_10device_ptrIjEEEENSD_INSE_IS6_EEEESI_S6_NSB_4plusIvEENSB_8equal_toIvEES6_EE10hipError_tPvRmT2_T3_T4_T5_mT6_T7_P12ihipStream_tbENKUlT_T0_E_clISt17integral_constantIbLb0EES13_EEDaSY_SZ_EUlSY_E_NS1_11comp_targetILNS1_3genE4ELNS1_11target_archE910ELNS1_3gpuE8ELNS1_3repE0EEENS1_30default_config_static_selectorELNS0_4arch9wavefront6targetE0EEEvT1_,comdat
	.protected	_ZN7rocprim17ROCPRIM_400000_NS6detail17trampoline_kernelINS0_14default_configENS1_27scan_by_key_config_selectorIj11FixedVectorIiLj1EEEEZZNS1_16scan_by_key_implILNS1_25lookback_scan_determinismE0ELb0ES3_N6thrust23THRUST_200600_302600_NS6detail15normal_iteratorINSB_10device_ptrIjEEEENSD_INSE_IS6_EEEESI_S6_NSB_4plusIvEENSB_8equal_toIvEES6_EE10hipError_tPvRmT2_T3_T4_T5_mT6_T7_P12ihipStream_tbENKUlT_T0_E_clISt17integral_constantIbLb0EES13_EEDaSY_SZ_EUlSY_E_NS1_11comp_targetILNS1_3genE4ELNS1_11target_archE910ELNS1_3gpuE8ELNS1_3repE0EEENS1_30default_config_static_selectorELNS0_4arch9wavefront6targetE0EEEvT1_ ; -- Begin function _ZN7rocprim17ROCPRIM_400000_NS6detail17trampoline_kernelINS0_14default_configENS1_27scan_by_key_config_selectorIj11FixedVectorIiLj1EEEEZZNS1_16scan_by_key_implILNS1_25lookback_scan_determinismE0ELb0ES3_N6thrust23THRUST_200600_302600_NS6detail15normal_iteratorINSB_10device_ptrIjEEEENSD_INSE_IS6_EEEESI_S6_NSB_4plusIvEENSB_8equal_toIvEES6_EE10hipError_tPvRmT2_T3_T4_T5_mT6_T7_P12ihipStream_tbENKUlT_T0_E_clISt17integral_constantIbLb0EES13_EEDaSY_SZ_EUlSY_E_NS1_11comp_targetILNS1_3genE4ELNS1_11target_archE910ELNS1_3gpuE8ELNS1_3repE0EEENS1_30default_config_static_selectorELNS0_4arch9wavefront6targetE0EEEvT1_
	.globl	_ZN7rocprim17ROCPRIM_400000_NS6detail17trampoline_kernelINS0_14default_configENS1_27scan_by_key_config_selectorIj11FixedVectorIiLj1EEEEZZNS1_16scan_by_key_implILNS1_25lookback_scan_determinismE0ELb0ES3_N6thrust23THRUST_200600_302600_NS6detail15normal_iteratorINSB_10device_ptrIjEEEENSD_INSE_IS6_EEEESI_S6_NSB_4plusIvEENSB_8equal_toIvEES6_EE10hipError_tPvRmT2_T3_T4_T5_mT6_T7_P12ihipStream_tbENKUlT_T0_E_clISt17integral_constantIbLb0EES13_EEDaSY_SZ_EUlSY_E_NS1_11comp_targetILNS1_3genE4ELNS1_11target_archE910ELNS1_3gpuE8ELNS1_3repE0EEENS1_30default_config_static_selectorELNS0_4arch9wavefront6targetE0EEEvT1_
	.p2align	8
	.type	_ZN7rocprim17ROCPRIM_400000_NS6detail17trampoline_kernelINS0_14default_configENS1_27scan_by_key_config_selectorIj11FixedVectorIiLj1EEEEZZNS1_16scan_by_key_implILNS1_25lookback_scan_determinismE0ELb0ES3_N6thrust23THRUST_200600_302600_NS6detail15normal_iteratorINSB_10device_ptrIjEEEENSD_INSE_IS6_EEEESI_S6_NSB_4plusIvEENSB_8equal_toIvEES6_EE10hipError_tPvRmT2_T3_T4_T5_mT6_T7_P12ihipStream_tbENKUlT_T0_E_clISt17integral_constantIbLb0EES13_EEDaSY_SZ_EUlSY_E_NS1_11comp_targetILNS1_3genE4ELNS1_11target_archE910ELNS1_3gpuE8ELNS1_3repE0EEENS1_30default_config_static_selectorELNS0_4arch9wavefront6targetE0EEEvT1_,@function
_ZN7rocprim17ROCPRIM_400000_NS6detail17trampoline_kernelINS0_14default_configENS1_27scan_by_key_config_selectorIj11FixedVectorIiLj1EEEEZZNS1_16scan_by_key_implILNS1_25lookback_scan_determinismE0ELb0ES3_N6thrust23THRUST_200600_302600_NS6detail15normal_iteratorINSB_10device_ptrIjEEEENSD_INSE_IS6_EEEESI_S6_NSB_4plusIvEENSB_8equal_toIvEES6_EE10hipError_tPvRmT2_T3_T4_T5_mT6_T7_P12ihipStream_tbENKUlT_T0_E_clISt17integral_constantIbLb0EES13_EEDaSY_SZ_EUlSY_E_NS1_11comp_targetILNS1_3genE4ELNS1_11target_archE910ELNS1_3gpuE8ELNS1_3repE0EEENS1_30default_config_static_selectorELNS0_4arch9wavefront6targetE0EEEvT1_: ; @_ZN7rocprim17ROCPRIM_400000_NS6detail17trampoline_kernelINS0_14default_configENS1_27scan_by_key_config_selectorIj11FixedVectorIiLj1EEEEZZNS1_16scan_by_key_implILNS1_25lookback_scan_determinismE0ELb0ES3_N6thrust23THRUST_200600_302600_NS6detail15normal_iteratorINSB_10device_ptrIjEEEENSD_INSE_IS6_EEEESI_S6_NSB_4plusIvEENSB_8equal_toIvEES6_EE10hipError_tPvRmT2_T3_T4_T5_mT6_T7_P12ihipStream_tbENKUlT_T0_E_clISt17integral_constantIbLb0EES13_EEDaSY_SZ_EUlSY_E_NS1_11comp_targetILNS1_3genE4ELNS1_11target_archE910ELNS1_3gpuE8ELNS1_3repE0EEENS1_30default_config_static_selectorELNS0_4arch9wavefront6targetE0EEEvT1_
; %bb.0:
	.section	.rodata,"a",@progbits
	.p2align	6, 0x0
	.amdhsa_kernel _ZN7rocprim17ROCPRIM_400000_NS6detail17trampoline_kernelINS0_14default_configENS1_27scan_by_key_config_selectorIj11FixedVectorIiLj1EEEEZZNS1_16scan_by_key_implILNS1_25lookback_scan_determinismE0ELb0ES3_N6thrust23THRUST_200600_302600_NS6detail15normal_iteratorINSB_10device_ptrIjEEEENSD_INSE_IS6_EEEESI_S6_NSB_4plusIvEENSB_8equal_toIvEES6_EE10hipError_tPvRmT2_T3_T4_T5_mT6_T7_P12ihipStream_tbENKUlT_T0_E_clISt17integral_constantIbLb0EES13_EEDaSY_SZ_EUlSY_E_NS1_11comp_targetILNS1_3genE4ELNS1_11target_archE910ELNS1_3gpuE8ELNS1_3repE0EEENS1_30default_config_static_selectorELNS0_4arch9wavefront6targetE0EEEvT1_
		.amdhsa_group_segment_fixed_size 0
		.amdhsa_private_segment_fixed_size 0
		.amdhsa_kernarg_size 112
		.amdhsa_user_sgpr_count 6
		.amdhsa_user_sgpr_private_segment_buffer 1
		.amdhsa_user_sgpr_dispatch_ptr 0
		.amdhsa_user_sgpr_queue_ptr 0
		.amdhsa_user_sgpr_kernarg_segment_ptr 1
		.amdhsa_user_sgpr_dispatch_id 0
		.amdhsa_user_sgpr_flat_scratch_init 0
		.amdhsa_user_sgpr_private_segment_size 0
		.amdhsa_wavefront_size32 1
		.amdhsa_uses_dynamic_stack 0
		.amdhsa_system_sgpr_private_segment_wavefront_offset 0
		.amdhsa_system_sgpr_workgroup_id_x 1
		.amdhsa_system_sgpr_workgroup_id_y 0
		.amdhsa_system_sgpr_workgroup_id_z 0
		.amdhsa_system_sgpr_workgroup_info 0
		.amdhsa_system_vgpr_workitem_id 0
		.amdhsa_next_free_vgpr 1
		.amdhsa_next_free_sgpr 1
		.amdhsa_reserve_vcc 0
		.amdhsa_reserve_flat_scratch 0
		.amdhsa_float_round_mode_32 0
		.amdhsa_float_round_mode_16_64 0
		.amdhsa_float_denorm_mode_32 3
		.amdhsa_float_denorm_mode_16_64 3
		.amdhsa_dx10_clamp 1
		.amdhsa_ieee_mode 1
		.amdhsa_fp16_overflow 0
		.amdhsa_workgroup_processor_mode 1
		.amdhsa_memory_ordered 1
		.amdhsa_forward_progress 1
		.amdhsa_shared_vgpr_count 0
		.amdhsa_exception_fp_ieee_invalid_op 0
		.amdhsa_exception_fp_denorm_src 0
		.amdhsa_exception_fp_ieee_div_zero 0
		.amdhsa_exception_fp_ieee_overflow 0
		.amdhsa_exception_fp_ieee_underflow 0
		.amdhsa_exception_fp_ieee_inexact 0
		.amdhsa_exception_int_div_zero 0
	.end_amdhsa_kernel
	.section	.text._ZN7rocprim17ROCPRIM_400000_NS6detail17trampoline_kernelINS0_14default_configENS1_27scan_by_key_config_selectorIj11FixedVectorIiLj1EEEEZZNS1_16scan_by_key_implILNS1_25lookback_scan_determinismE0ELb0ES3_N6thrust23THRUST_200600_302600_NS6detail15normal_iteratorINSB_10device_ptrIjEEEENSD_INSE_IS6_EEEESI_S6_NSB_4plusIvEENSB_8equal_toIvEES6_EE10hipError_tPvRmT2_T3_T4_T5_mT6_T7_P12ihipStream_tbENKUlT_T0_E_clISt17integral_constantIbLb0EES13_EEDaSY_SZ_EUlSY_E_NS1_11comp_targetILNS1_3genE4ELNS1_11target_archE910ELNS1_3gpuE8ELNS1_3repE0EEENS1_30default_config_static_selectorELNS0_4arch9wavefront6targetE0EEEvT1_,"axG",@progbits,_ZN7rocprim17ROCPRIM_400000_NS6detail17trampoline_kernelINS0_14default_configENS1_27scan_by_key_config_selectorIj11FixedVectorIiLj1EEEEZZNS1_16scan_by_key_implILNS1_25lookback_scan_determinismE0ELb0ES3_N6thrust23THRUST_200600_302600_NS6detail15normal_iteratorINSB_10device_ptrIjEEEENSD_INSE_IS6_EEEESI_S6_NSB_4plusIvEENSB_8equal_toIvEES6_EE10hipError_tPvRmT2_T3_T4_T5_mT6_T7_P12ihipStream_tbENKUlT_T0_E_clISt17integral_constantIbLb0EES13_EEDaSY_SZ_EUlSY_E_NS1_11comp_targetILNS1_3genE4ELNS1_11target_archE910ELNS1_3gpuE8ELNS1_3repE0EEENS1_30default_config_static_selectorELNS0_4arch9wavefront6targetE0EEEvT1_,comdat
.Lfunc_end1872:
	.size	_ZN7rocprim17ROCPRIM_400000_NS6detail17trampoline_kernelINS0_14default_configENS1_27scan_by_key_config_selectorIj11FixedVectorIiLj1EEEEZZNS1_16scan_by_key_implILNS1_25lookback_scan_determinismE0ELb0ES3_N6thrust23THRUST_200600_302600_NS6detail15normal_iteratorINSB_10device_ptrIjEEEENSD_INSE_IS6_EEEESI_S6_NSB_4plusIvEENSB_8equal_toIvEES6_EE10hipError_tPvRmT2_T3_T4_T5_mT6_T7_P12ihipStream_tbENKUlT_T0_E_clISt17integral_constantIbLb0EES13_EEDaSY_SZ_EUlSY_E_NS1_11comp_targetILNS1_3genE4ELNS1_11target_archE910ELNS1_3gpuE8ELNS1_3repE0EEENS1_30default_config_static_selectorELNS0_4arch9wavefront6targetE0EEEvT1_, .Lfunc_end1872-_ZN7rocprim17ROCPRIM_400000_NS6detail17trampoline_kernelINS0_14default_configENS1_27scan_by_key_config_selectorIj11FixedVectorIiLj1EEEEZZNS1_16scan_by_key_implILNS1_25lookback_scan_determinismE0ELb0ES3_N6thrust23THRUST_200600_302600_NS6detail15normal_iteratorINSB_10device_ptrIjEEEENSD_INSE_IS6_EEEESI_S6_NSB_4plusIvEENSB_8equal_toIvEES6_EE10hipError_tPvRmT2_T3_T4_T5_mT6_T7_P12ihipStream_tbENKUlT_T0_E_clISt17integral_constantIbLb0EES13_EEDaSY_SZ_EUlSY_E_NS1_11comp_targetILNS1_3genE4ELNS1_11target_archE910ELNS1_3gpuE8ELNS1_3repE0EEENS1_30default_config_static_selectorELNS0_4arch9wavefront6targetE0EEEvT1_
                                        ; -- End function
	.set _ZN7rocprim17ROCPRIM_400000_NS6detail17trampoline_kernelINS0_14default_configENS1_27scan_by_key_config_selectorIj11FixedVectorIiLj1EEEEZZNS1_16scan_by_key_implILNS1_25lookback_scan_determinismE0ELb0ES3_N6thrust23THRUST_200600_302600_NS6detail15normal_iteratorINSB_10device_ptrIjEEEENSD_INSE_IS6_EEEESI_S6_NSB_4plusIvEENSB_8equal_toIvEES6_EE10hipError_tPvRmT2_T3_T4_T5_mT6_T7_P12ihipStream_tbENKUlT_T0_E_clISt17integral_constantIbLb0EES13_EEDaSY_SZ_EUlSY_E_NS1_11comp_targetILNS1_3genE4ELNS1_11target_archE910ELNS1_3gpuE8ELNS1_3repE0EEENS1_30default_config_static_selectorELNS0_4arch9wavefront6targetE0EEEvT1_.num_vgpr, 0
	.set _ZN7rocprim17ROCPRIM_400000_NS6detail17trampoline_kernelINS0_14default_configENS1_27scan_by_key_config_selectorIj11FixedVectorIiLj1EEEEZZNS1_16scan_by_key_implILNS1_25lookback_scan_determinismE0ELb0ES3_N6thrust23THRUST_200600_302600_NS6detail15normal_iteratorINSB_10device_ptrIjEEEENSD_INSE_IS6_EEEESI_S6_NSB_4plusIvEENSB_8equal_toIvEES6_EE10hipError_tPvRmT2_T3_T4_T5_mT6_T7_P12ihipStream_tbENKUlT_T0_E_clISt17integral_constantIbLb0EES13_EEDaSY_SZ_EUlSY_E_NS1_11comp_targetILNS1_3genE4ELNS1_11target_archE910ELNS1_3gpuE8ELNS1_3repE0EEENS1_30default_config_static_selectorELNS0_4arch9wavefront6targetE0EEEvT1_.num_agpr, 0
	.set _ZN7rocprim17ROCPRIM_400000_NS6detail17trampoline_kernelINS0_14default_configENS1_27scan_by_key_config_selectorIj11FixedVectorIiLj1EEEEZZNS1_16scan_by_key_implILNS1_25lookback_scan_determinismE0ELb0ES3_N6thrust23THRUST_200600_302600_NS6detail15normal_iteratorINSB_10device_ptrIjEEEENSD_INSE_IS6_EEEESI_S6_NSB_4plusIvEENSB_8equal_toIvEES6_EE10hipError_tPvRmT2_T3_T4_T5_mT6_T7_P12ihipStream_tbENKUlT_T0_E_clISt17integral_constantIbLb0EES13_EEDaSY_SZ_EUlSY_E_NS1_11comp_targetILNS1_3genE4ELNS1_11target_archE910ELNS1_3gpuE8ELNS1_3repE0EEENS1_30default_config_static_selectorELNS0_4arch9wavefront6targetE0EEEvT1_.numbered_sgpr, 0
	.set _ZN7rocprim17ROCPRIM_400000_NS6detail17trampoline_kernelINS0_14default_configENS1_27scan_by_key_config_selectorIj11FixedVectorIiLj1EEEEZZNS1_16scan_by_key_implILNS1_25lookback_scan_determinismE0ELb0ES3_N6thrust23THRUST_200600_302600_NS6detail15normal_iteratorINSB_10device_ptrIjEEEENSD_INSE_IS6_EEEESI_S6_NSB_4plusIvEENSB_8equal_toIvEES6_EE10hipError_tPvRmT2_T3_T4_T5_mT6_T7_P12ihipStream_tbENKUlT_T0_E_clISt17integral_constantIbLb0EES13_EEDaSY_SZ_EUlSY_E_NS1_11comp_targetILNS1_3genE4ELNS1_11target_archE910ELNS1_3gpuE8ELNS1_3repE0EEENS1_30default_config_static_selectorELNS0_4arch9wavefront6targetE0EEEvT1_.num_named_barrier, 0
	.set _ZN7rocprim17ROCPRIM_400000_NS6detail17trampoline_kernelINS0_14default_configENS1_27scan_by_key_config_selectorIj11FixedVectorIiLj1EEEEZZNS1_16scan_by_key_implILNS1_25lookback_scan_determinismE0ELb0ES3_N6thrust23THRUST_200600_302600_NS6detail15normal_iteratorINSB_10device_ptrIjEEEENSD_INSE_IS6_EEEESI_S6_NSB_4plusIvEENSB_8equal_toIvEES6_EE10hipError_tPvRmT2_T3_T4_T5_mT6_T7_P12ihipStream_tbENKUlT_T0_E_clISt17integral_constantIbLb0EES13_EEDaSY_SZ_EUlSY_E_NS1_11comp_targetILNS1_3genE4ELNS1_11target_archE910ELNS1_3gpuE8ELNS1_3repE0EEENS1_30default_config_static_selectorELNS0_4arch9wavefront6targetE0EEEvT1_.private_seg_size, 0
	.set _ZN7rocprim17ROCPRIM_400000_NS6detail17trampoline_kernelINS0_14default_configENS1_27scan_by_key_config_selectorIj11FixedVectorIiLj1EEEEZZNS1_16scan_by_key_implILNS1_25lookback_scan_determinismE0ELb0ES3_N6thrust23THRUST_200600_302600_NS6detail15normal_iteratorINSB_10device_ptrIjEEEENSD_INSE_IS6_EEEESI_S6_NSB_4plusIvEENSB_8equal_toIvEES6_EE10hipError_tPvRmT2_T3_T4_T5_mT6_T7_P12ihipStream_tbENKUlT_T0_E_clISt17integral_constantIbLb0EES13_EEDaSY_SZ_EUlSY_E_NS1_11comp_targetILNS1_3genE4ELNS1_11target_archE910ELNS1_3gpuE8ELNS1_3repE0EEENS1_30default_config_static_selectorELNS0_4arch9wavefront6targetE0EEEvT1_.uses_vcc, 0
	.set _ZN7rocprim17ROCPRIM_400000_NS6detail17trampoline_kernelINS0_14default_configENS1_27scan_by_key_config_selectorIj11FixedVectorIiLj1EEEEZZNS1_16scan_by_key_implILNS1_25lookback_scan_determinismE0ELb0ES3_N6thrust23THRUST_200600_302600_NS6detail15normal_iteratorINSB_10device_ptrIjEEEENSD_INSE_IS6_EEEESI_S6_NSB_4plusIvEENSB_8equal_toIvEES6_EE10hipError_tPvRmT2_T3_T4_T5_mT6_T7_P12ihipStream_tbENKUlT_T0_E_clISt17integral_constantIbLb0EES13_EEDaSY_SZ_EUlSY_E_NS1_11comp_targetILNS1_3genE4ELNS1_11target_archE910ELNS1_3gpuE8ELNS1_3repE0EEENS1_30default_config_static_selectorELNS0_4arch9wavefront6targetE0EEEvT1_.uses_flat_scratch, 0
	.set _ZN7rocprim17ROCPRIM_400000_NS6detail17trampoline_kernelINS0_14default_configENS1_27scan_by_key_config_selectorIj11FixedVectorIiLj1EEEEZZNS1_16scan_by_key_implILNS1_25lookback_scan_determinismE0ELb0ES3_N6thrust23THRUST_200600_302600_NS6detail15normal_iteratorINSB_10device_ptrIjEEEENSD_INSE_IS6_EEEESI_S6_NSB_4plusIvEENSB_8equal_toIvEES6_EE10hipError_tPvRmT2_T3_T4_T5_mT6_T7_P12ihipStream_tbENKUlT_T0_E_clISt17integral_constantIbLb0EES13_EEDaSY_SZ_EUlSY_E_NS1_11comp_targetILNS1_3genE4ELNS1_11target_archE910ELNS1_3gpuE8ELNS1_3repE0EEENS1_30default_config_static_selectorELNS0_4arch9wavefront6targetE0EEEvT1_.has_dyn_sized_stack, 0
	.set _ZN7rocprim17ROCPRIM_400000_NS6detail17trampoline_kernelINS0_14default_configENS1_27scan_by_key_config_selectorIj11FixedVectorIiLj1EEEEZZNS1_16scan_by_key_implILNS1_25lookback_scan_determinismE0ELb0ES3_N6thrust23THRUST_200600_302600_NS6detail15normal_iteratorINSB_10device_ptrIjEEEENSD_INSE_IS6_EEEESI_S6_NSB_4plusIvEENSB_8equal_toIvEES6_EE10hipError_tPvRmT2_T3_T4_T5_mT6_T7_P12ihipStream_tbENKUlT_T0_E_clISt17integral_constantIbLb0EES13_EEDaSY_SZ_EUlSY_E_NS1_11comp_targetILNS1_3genE4ELNS1_11target_archE910ELNS1_3gpuE8ELNS1_3repE0EEENS1_30default_config_static_selectorELNS0_4arch9wavefront6targetE0EEEvT1_.has_recursion, 0
	.set _ZN7rocprim17ROCPRIM_400000_NS6detail17trampoline_kernelINS0_14default_configENS1_27scan_by_key_config_selectorIj11FixedVectorIiLj1EEEEZZNS1_16scan_by_key_implILNS1_25lookback_scan_determinismE0ELb0ES3_N6thrust23THRUST_200600_302600_NS6detail15normal_iteratorINSB_10device_ptrIjEEEENSD_INSE_IS6_EEEESI_S6_NSB_4plusIvEENSB_8equal_toIvEES6_EE10hipError_tPvRmT2_T3_T4_T5_mT6_T7_P12ihipStream_tbENKUlT_T0_E_clISt17integral_constantIbLb0EES13_EEDaSY_SZ_EUlSY_E_NS1_11comp_targetILNS1_3genE4ELNS1_11target_archE910ELNS1_3gpuE8ELNS1_3repE0EEENS1_30default_config_static_selectorELNS0_4arch9wavefront6targetE0EEEvT1_.has_indirect_call, 0
	.section	.AMDGPU.csdata,"",@progbits
; Kernel info:
; codeLenInByte = 0
; TotalNumSgprs: 0
; NumVgprs: 0
; ScratchSize: 0
; MemoryBound: 0
; FloatMode: 240
; IeeeMode: 1
; LDSByteSize: 0 bytes/workgroup (compile time only)
; SGPRBlocks: 0
; VGPRBlocks: 0
; NumSGPRsForWavesPerEU: 1
; NumVGPRsForWavesPerEU: 1
; Occupancy: 16
; WaveLimiterHint : 0
; COMPUTE_PGM_RSRC2:SCRATCH_EN: 0
; COMPUTE_PGM_RSRC2:USER_SGPR: 6
; COMPUTE_PGM_RSRC2:TRAP_HANDLER: 0
; COMPUTE_PGM_RSRC2:TGID_X_EN: 1
; COMPUTE_PGM_RSRC2:TGID_Y_EN: 0
; COMPUTE_PGM_RSRC2:TGID_Z_EN: 0
; COMPUTE_PGM_RSRC2:TIDIG_COMP_CNT: 0
	.section	.text._ZN7rocprim17ROCPRIM_400000_NS6detail17trampoline_kernelINS0_14default_configENS1_27scan_by_key_config_selectorIj11FixedVectorIiLj1EEEEZZNS1_16scan_by_key_implILNS1_25lookback_scan_determinismE0ELb0ES3_N6thrust23THRUST_200600_302600_NS6detail15normal_iteratorINSB_10device_ptrIjEEEENSD_INSE_IS6_EEEESI_S6_NSB_4plusIvEENSB_8equal_toIvEES6_EE10hipError_tPvRmT2_T3_T4_T5_mT6_T7_P12ihipStream_tbENKUlT_T0_E_clISt17integral_constantIbLb0EES13_EEDaSY_SZ_EUlSY_E_NS1_11comp_targetILNS1_3genE3ELNS1_11target_archE908ELNS1_3gpuE7ELNS1_3repE0EEENS1_30default_config_static_selectorELNS0_4arch9wavefront6targetE0EEEvT1_,"axG",@progbits,_ZN7rocprim17ROCPRIM_400000_NS6detail17trampoline_kernelINS0_14default_configENS1_27scan_by_key_config_selectorIj11FixedVectorIiLj1EEEEZZNS1_16scan_by_key_implILNS1_25lookback_scan_determinismE0ELb0ES3_N6thrust23THRUST_200600_302600_NS6detail15normal_iteratorINSB_10device_ptrIjEEEENSD_INSE_IS6_EEEESI_S6_NSB_4plusIvEENSB_8equal_toIvEES6_EE10hipError_tPvRmT2_T3_T4_T5_mT6_T7_P12ihipStream_tbENKUlT_T0_E_clISt17integral_constantIbLb0EES13_EEDaSY_SZ_EUlSY_E_NS1_11comp_targetILNS1_3genE3ELNS1_11target_archE908ELNS1_3gpuE7ELNS1_3repE0EEENS1_30default_config_static_selectorELNS0_4arch9wavefront6targetE0EEEvT1_,comdat
	.protected	_ZN7rocprim17ROCPRIM_400000_NS6detail17trampoline_kernelINS0_14default_configENS1_27scan_by_key_config_selectorIj11FixedVectorIiLj1EEEEZZNS1_16scan_by_key_implILNS1_25lookback_scan_determinismE0ELb0ES3_N6thrust23THRUST_200600_302600_NS6detail15normal_iteratorINSB_10device_ptrIjEEEENSD_INSE_IS6_EEEESI_S6_NSB_4plusIvEENSB_8equal_toIvEES6_EE10hipError_tPvRmT2_T3_T4_T5_mT6_T7_P12ihipStream_tbENKUlT_T0_E_clISt17integral_constantIbLb0EES13_EEDaSY_SZ_EUlSY_E_NS1_11comp_targetILNS1_3genE3ELNS1_11target_archE908ELNS1_3gpuE7ELNS1_3repE0EEENS1_30default_config_static_selectorELNS0_4arch9wavefront6targetE0EEEvT1_ ; -- Begin function _ZN7rocprim17ROCPRIM_400000_NS6detail17trampoline_kernelINS0_14default_configENS1_27scan_by_key_config_selectorIj11FixedVectorIiLj1EEEEZZNS1_16scan_by_key_implILNS1_25lookback_scan_determinismE0ELb0ES3_N6thrust23THRUST_200600_302600_NS6detail15normal_iteratorINSB_10device_ptrIjEEEENSD_INSE_IS6_EEEESI_S6_NSB_4plusIvEENSB_8equal_toIvEES6_EE10hipError_tPvRmT2_T3_T4_T5_mT6_T7_P12ihipStream_tbENKUlT_T0_E_clISt17integral_constantIbLb0EES13_EEDaSY_SZ_EUlSY_E_NS1_11comp_targetILNS1_3genE3ELNS1_11target_archE908ELNS1_3gpuE7ELNS1_3repE0EEENS1_30default_config_static_selectorELNS0_4arch9wavefront6targetE0EEEvT1_
	.globl	_ZN7rocprim17ROCPRIM_400000_NS6detail17trampoline_kernelINS0_14default_configENS1_27scan_by_key_config_selectorIj11FixedVectorIiLj1EEEEZZNS1_16scan_by_key_implILNS1_25lookback_scan_determinismE0ELb0ES3_N6thrust23THRUST_200600_302600_NS6detail15normal_iteratorINSB_10device_ptrIjEEEENSD_INSE_IS6_EEEESI_S6_NSB_4plusIvEENSB_8equal_toIvEES6_EE10hipError_tPvRmT2_T3_T4_T5_mT6_T7_P12ihipStream_tbENKUlT_T0_E_clISt17integral_constantIbLb0EES13_EEDaSY_SZ_EUlSY_E_NS1_11comp_targetILNS1_3genE3ELNS1_11target_archE908ELNS1_3gpuE7ELNS1_3repE0EEENS1_30default_config_static_selectorELNS0_4arch9wavefront6targetE0EEEvT1_
	.p2align	8
	.type	_ZN7rocprim17ROCPRIM_400000_NS6detail17trampoline_kernelINS0_14default_configENS1_27scan_by_key_config_selectorIj11FixedVectorIiLj1EEEEZZNS1_16scan_by_key_implILNS1_25lookback_scan_determinismE0ELb0ES3_N6thrust23THRUST_200600_302600_NS6detail15normal_iteratorINSB_10device_ptrIjEEEENSD_INSE_IS6_EEEESI_S6_NSB_4plusIvEENSB_8equal_toIvEES6_EE10hipError_tPvRmT2_T3_T4_T5_mT6_T7_P12ihipStream_tbENKUlT_T0_E_clISt17integral_constantIbLb0EES13_EEDaSY_SZ_EUlSY_E_NS1_11comp_targetILNS1_3genE3ELNS1_11target_archE908ELNS1_3gpuE7ELNS1_3repE0EEENS1_30default_config_static_selectorELNS0_4arch9wavefront6targetE0EEEvT1_,@function
_ZN7rocprim17ROCPRIM_400000_NS6detail17trampoline_kernelINS0_14default_configENS1_27scan_by_key_config_selectorIj11FixedVectorIiLj1EEEEZZNS1_16scan_by_key_implILNS1_25lookback_scan_determinismE0ELb0ES3_N6thrust23THRUST_200600_302600_NS6detail15normal_iteratorINSB_10device_ptrIjEEEENSD_INSE_IS6_EEEESI_S6_NSB_4plusIvEENSB_8equal_toIvEES6_EE10hipError_tPvRmT2_T3_T4_T5_mT6_T7_P12ihipStream_tbENKUlT_T0_E_clISt17integral_constantIbLb0EES13_EEDaSY_SZ_EUlSY_E_NS1_11comp_targetILNS1_3genE3ELNS1_11target_archE908ELNS1_3gpuE7ELNS1_3repE0EEENS1_30default_config_static_selectorELNS0_4arch9wavefront6targetE0EEEvT1_: ; @_ZN7rocprim17ROCPRIM_400000_NS6detail17trampoline_kernelINS0_14default_configENS1_27scan_by_key_config_selectorIj11FixedVectorIiLj1EEEEZZNS1_16scan_by_key_implILNS1_25lookback_scan_determinismE0ELb0ES3_N6thrust23THRUST_200600_302600_NS6detail15normal_iteratorINSB_10device_ptrIjEEEENSD_INSE_IS6_EEEESI_S6_NSB_4plusIvEENSB_8equal_toIvEES6_EE10hipError_tPvRmT2_T3_T4_T5_mT6_T7_P12ihipStream_tbENKUlT_T0_E_clISt17integral_constantIbLb0EES13_EEDaSY_SZ_EUlSY_E_NS1_11comp_targetILNS1_3genE3ELNS1_11target_archE908ELNS1_3gpuE7ELNS1_3repE0EEENS1_30default_config_static_selectorELNS0_4arch9wavefront6targetE0EEEvT1_
; %bb.0:
	.section	.rodata,"a",@progbits
	.p2align	6, 0x0
	.amdhsa_kernel _ZN7rocprim17ROCPRIM_400000_NS6detail17trampoline_kernelINS0_14default_configENS1_27scan_by_key_config_selectorIj11FixedVectorIiLj1EEEEZZNS1_16scan_by_key_implILNS1_25lookback_scan_determinismE0ELb0ES3_N6thrust23THRUST_200600_302600_NS6detail15normal_iteratorINSB_10device_ptrIjEEEENSD_INSE_IS6_EEEESI_S6_NSB_4plusIvEENSB_8equal_toIvEES6_EE10hipError_tPvRmT2_T3_T4_T5_mT6_T7_P12ihipStream_tbENKUlT_T0_E_clISt17integral_constantIbLb0EES13_EEDaSY_SZ_EUlSY_E_NS1_11comp_targetILNS1_3genE3ELNS1_11target_archE908ELNS1_3gpuE7ELNS1_3repE0EEENS1_30default_config_static_selectorELNS0_4arch9wavefront6targetE0EEEvT1_
		.amdhsa_group_segment_fixed_size 0
		.amdhsa_private_segment_fixed_size 0
		.amdhsa_kernarg_size 112
		.amdhsa_user_sgpr_count 6
		.amdhsa_user_sgpr_private_segment_buffer 1
		.amdhsa_user_sgpr_dispatch_ptr 0
		.amdhsa_user_sgpr_queue_ptr 0
		.amdhsa_user_sgpr_kernarg_segment_ptr 1
		.amdhsa_user_sgpr_dispatch_id 0
		.amdhsa_user_sgpr_flat_scratch_init 0
		.amdhsa_user_sgpr_private_segment_size 0
		.amdhsa_wavefront_size32 1
		.amdhsa_uses_dynamic_stack 0
		.amdhsa_system_sgpr_private_segment_wavefront_offset 0
		.amdhsa_system_sgpr_workgroup_id_x 1
		.amdhsa_system_sgpr_workgroup_id_y 0
		.amdhsa_system_sgpr_workgroup_id_z 0
		.amdhsa_system_sgpr_workgroup_info 0
		.amdhsa_system_vgpr_workitem_id 0
		.amdhsa_next_free_vgpr 1
		.amdhsa_next_free_sgpr 1
		.amdhsa_reserve_vcc 0
		.amdhsa_reserve_flat_scratch 0
		.amdhsa_float_round_mode_32 0
		.amdhsa_float_round_mode_16_64 0
		.amdhsa_float_denorm_mode_32 3
		.amdhsa_float_denorm_mode_16_64 3
		.amdhsa_dx10_clamp 1
		.amdhsa_ieee_mode 1
		.amdhsa_fp16_overflow 0
		.amdhsa_workgroup_processor_mode 1
		.amdhsa_memory_ordered 1
		.amdhsa_forward_progress 1
		.amdhsa_shared_vgpr_count 0
		.amdhsa_exception_fp_ieee_invalid_op 0
		.amdhsa_exception_fp_denorm_src 0
		.amdhsa_exception_fp_ieee_div_zero 0
		.amdhsa_exception_fp_ieee_overflow 0
		.amdhsa_exception_fp_ieee_underflow 0
		.amdhsa_exception_fp_ieee_inexact 0
		.amdhsa_exception_int_div_zero 0
	.end_amdhsa_kernel
	.section	.text._ZN7rocprim17ROCPRIM_400000_NS6detail17trampoline_kernelINS0_14default_configENS1_27scan_by_key_config_selectorIj11FixedVectorIiLj1EEEEZZNS1_16scan_by_key_implILNS1_25lookback_scan_determinismE0ELb0ES3_N6thrust23THRUST_200600_302600_NS6detail15normal_iteratorINSB_10device_ptrIjEEEENSD_INSE_IS6_EEEESI_S6_NSB_4plusIvEENSB_8equal_toIvEES6_EE10hipError_tPvRmT2_T3_T4_T5_mT6_T7_P12ihipStream_tbENKUlT_T0_E_clISt17integral_constantIbLb0EES13_EEDaSY_SZ_EUlSY_E_NS1_11comp_targetILNS1_3genE3ELNS1_11target_archE908ELNS1_3gpuE7ELNS1_3repE0EEENS1_30default_config_static_selectorELNS0_4arch9wavefront6targetE0EEEvT1_,"axG",@progbits,_ZN7rocprim17ROCPRIM_400000_NS6detail17trampoline_kernelINS0_14default_configENS1_27scan_by_key_config_selectorIj11FixedVectorIiLj1EEEEZZNS1_16scan_by_key_implILNS1_25lookback_scan_determinismE0ELb0ES3_N6thrust23THRUST_200600_302600_NS6detail15normal_iteratorINSB_10device_ptrIjEEEENSD_INSE_IS6_EEEESI_S6_NSB_4plusIvEENSB_8equal_toIvEES6_EE10hipError_tPvRmT2_T3_T4_T5_mT6_T7_P12ihipStream_tbENKUlT_T0_E_clISt17integral_constantIbLb0EES13_EEDaSY_SZ_EUlSY_E_NS1_11comp_targetILNS1_3genE3ELNS1_11target_archE908ELNS1_3gpuE7ELNS1_3repE0EEENS1_30default_config_static_selectorELNS0_4arch9wavefront6targetE0EEEvT1_,comdat
.Lfunc_end1873:
	.size	_ZN7rocprim17ROCPRIM_400000_NS6detail17trampoline_kernelINS0_14default_configENS1_27scan_by_key_config_selectorIj11FixedVectorIiLj1EEEEZZNS1_16scan_by_key_implILNS1_25lookback_scan_determinismE0ELb0ES3_N6thrust23THRUST_200600_302600_NS6detail15normal_iteratorINSB_10device_ptrIjEEEENSD_INSE_IS6_EEEESI_S6_NSB_4plusIvEENSB_8equal_toIvEES6_EE10hipError_tPvRmT2_T3_T4_T5_mT6_T7_P12ihipStream_tbENKUlT_T0_E_clISt17integral_constantIbLb0EES13_EEDaSY_SZ_EUlSY_E_NS1_11comp_targetILNS1_3genE3ELNS1_11target_archE908ELNS1_3gpuE7ELNS1_3repE0EEENS1_30default_config_static_selectorELNS0_4arch9wavefront6targetE0EEEvT1_, .Lfunc_end1873-_ZN7rocprim17ROCPRIM_400000_NS6detail17trampoline_kernelINS0_14default_configENS1_27scan_by_key_config_selectorIj11FixedVectorIiLj1EEEEZZNS1_16scan_by_key_implILNS1_25lookback_scan_determinismE0ELb0ES3_N6thrust23THRUST_200600_302600_NS6detail15normal_iteratorINSB_10device_ptrIjEEEENSD_INSE_IS6_EEEESI_S6_NSB_4plusIvEENSB_8equal_toIvEES6_EE10hipError_tPvRmT2_T3_T4_T5_mT6_T7_P12ihipStream_tbENKUlT_T0_E_clISt17integral_constantIbLb0EES13_EEDaSY_SZ_EUlSY_E_NS1_11comp_targetILNS1_3genE3ELNS1_11target_archE908ELNS1_3gpuE7ELNS1_3repE0EEENS1_30default_config_static_selectorELNS0_4arch9wavefront6targetE0EEEvT1_
                                        ; -- End function
	.set _ZN7rocprim17ROCPRIM_400000_NS6detail17trampoline_kernelINS0_14default_configENS1_27scan_by_key_config_selectorIj11FixedVectorIiLj1EEEEZZNS1_16scan_by_key_implILNS1_25lookback_scan_determinismE0ELb0ES3_N6thrust23THRUST_200600_302600_NS6detail15normal_iteratorINSB_10device_ptrIjEEEENSD_INSE_IS6_EEEESI_S6_NSB_4plusIvEENSB_8equal_toIvEES6_EE10hipError_tPvRmT2_T3_T4_T5_mT6_T7_P12ihipStream_tbENKUlT_T0_E_clISt17integral_constantIbLb0EES13_EEDaSY_SZ_EUlSY_E_NS1_11comp_targetILNS1_3genE3ELNS1_11target_archE908ELNS1_3gpuE7ELNS1_3repE0EEENS1_30default_config_static_selectorELNS0_4arch9wavefront6targetE0EEEvT1_.num_vgpr, 0
	.set _ZN7rocprim17ROCPRIM_400000_NS6detail17trampoline_kernelINS0_14default_configENS1_27scan_by_key_config_selectorIj11FixedVectorIiLj1EEEEZZNS1_16scan_by_key_implILNS1_25lookback_scan_determinismE0ELb0ES3_N6thrust23THRUST_200600_302600_NS6detail15normal_iteratorINSB_10device_ptrIjEEEENSD_INSE_IS6_EEEESI_S6_NSB_4plusIvEENSB_8equal_toIvEES6_EE10hipError_tPvRmT2_T3_T4_T5_mT6_T7_P12ihipStream_tbENKUlT_T0_E_clISt17integral_constantIbLb0EES13_EEDaSY_SZ_EUlSY_E_NS1_11comp_targetILNS1_3genE3ELNS1_11target_archE908ELNS1_3gpuE7ELNS1_3repE0EEENS1_30default_config_static_selectorELNS0_4arch9wavefront6targetE0EEEvT1_.num_agpr, 0
	.set _ZN7rocprim17ROCPRIM_400000_NS6detail17trampoline_kernelINS0_14default_configENS1_27scan_by_key_config_selectorIj11FixedVectorIiLj1EEEEZZNS1_16scan_by_key_implILNS1_25lookback_scan_determinismE0ELb0ES3_N6thrust23THRUST_200600_302600_NS6detail15normal_iteratorINSB_10device_ptrIjEEEENSD_INSE_IS6_EEEESI_S6_NSB_4plusIvEENSB_8equal_toIvEES6_EE10hipError_tPvRmT2_T3_T4_T5_mT6_T7_P12ihipStream_tbENKUlT_T0_E_clISt17integral_constantIbLb0EES13_EEDaSY_SZ_EUlSY_E_NS1_11comp_targetILNS1_3genE3ELNS1_11target_archE908ELNS1_3gpuE7ELNS1_3repE0EEENS1_30default_config_static_selectorELNS0_4arch9wavefront6targetE0EEEvT1_.numbered_sgpr, 0
	.set _ZN7rocprim17ROCPRIM_400000_NS6detail17trampoline_kernelINS0_14default_configENS1_27scan_by_key_config_selectorIj11FixedVectorIiLj1EEEEZZNS1_16scan_by_key_implILNS1_25lookback_scan_determinismE0ELb0ES3_N6thrust23THRUST_200600_302600_NS6detail15normal_iteratorINSB_10device_ptrIjEEEENSD_INSE_IS6_EEEESI_S6_NSB_4plusIvEENSB_8equal_toIvEES6_EE10hipError_tPvRmT2_T3_T4_T5_mT6_T7_P12ihipStream_tbENKUlT_T0_E_clISt17integral_constantIbLb0EES13_EEDaSY_SZ_EUlSY_E_NS1_11comp_targetILNS1_3genE3ELNS1_11target_archE908ELNS1_3gpuE7ELNS1_3repE0EEENS1_30default_config_static_selectorELNS0_4arch9wavefront6targetE0EEEvT1_.num_named_barrier, 0
	.set _ZN7rocprim17ROCPRIM_400000_NS6detail17trampoline_kernelINS0_14default_configENS1_27scan_by_key_config_selectorIj11FixedVectorIiLj1EEEEZZNS1_16scan_by_key_implILNS1_25lookback_scan_determinismE0ELb0ES3_N6thrust23THRUST_200600_302600_NS6detail15normal_iteratorINSB_10device_ptrIjEEEENSD_INSE_IS6_EEEESI_S6_NSB_4plusIvEENSB_8equal_toIvEES6_EE10hipError_tPvRmT2_T3_T4_T5_mT6_T7_P12ihipStream_tbENKUlT_T0_E_clISt17integral_constantIbLb0EES13_EEDaSY_SZ_EUlSY_E_NS1_11comp_targetILNS1_3genE3ELNS1_11target_archE908ELNS1_3gpuE7ELNS1_3repE0EEENS1_30default_config_static_selectorELNS0_4arch9wavefront6targetE0EEEvT1_.private_seg_size, 0
	.set _ZN7rocprim17ROCPRIM_400000_NS6detail17trampoline_kernelINS0_14default_configENS1_27scan_by_key_config_selectorIj11FixedVectorIiLj1EEEEZZNS1_16scan_by_key_implILNS1_25lookback_scan_determinismE0ELb0ES3_N6thrust23THRUST_200600_302600_NS6detail15normal_iteratorINSB_10device_ptrIjEEEENSD_INSE_IS6_EEEESI_S6_NSB_4plusIvEENSB_8equal_toIvEES6_EE10hipError_tPvRmT2_T3_T4_T5_mT6_T7_P12ihipStream_tbENKUlT_T0_E_clISt17integral_constantIbLb0EES13_EEDaSY_SZ_EUlSY_E_NS1_11comp_targetILNS1_3genE3ELNS1_11target_archE908ELNS1_3gpuE7ELNS1_3repE0EEENS1_30default_config_static_selectorELNS0_4arch9wavefront6targetE0EEEvT1_.uses_vcc, 0
	.set _ZN7rocprim17ROCPRIM_400000_NS6detail17trampoline_kernelINS0_14default_configENS1_27scan_by_key_config_selectorIj11FixedVectorIiLj1EEEEZZNS1_16scan_by_key_implILNS1_25lookback_scan_determinismE0ELb0ES3_N6thrust23THRUST_200600_302600_NS6detail15normal_iteratorINSB_10device_ptrIjEEEENSD_INSE_IS6_EEEESI_S6_NSB_4plusIvEENSB_8equal_toIvEES6_EE10hipError_tPvRmT2_T3_T4_T5_mT6_T7_P12ihipStream_tbENKUlT_T0_E_clISt17integral_constantIbLb0EES13_EEDaSY_SZ_EUlSY_E_NS1_11comp_targetILNS1_3genE3ELNS1_11target_archE908ELNS1_3gpuE7ELNS1_3repE0EEENS1_30default_config_static_selectorELNS0_4arch9wavefront6targetE0EEEvT1_.uses_flat_scratch, 0
	.set _ZN7rocprim17ROCPRIM_400000_NS6detail17trampoline_kernelINS0_14default_configENS1_27scan_by_key_config_selectorIj11FixedVectorIiLj1EEEEZZNS1_16scan_by_key_implILNS1_25lookback_scan_determinismE0ELb0ES3_N6thrust23THRUST_200600_302600_NS6detail15normal_iteratorINSB_10device_ptrIjEEEENSD_INSE_IS6_EEEESI_S6_NSB_4plusIvEENSB_8equal_toIvEES6_EE10hipError_tPvRmT2_T3_T4_T5_mT6_T7_P12ihipStream_tbENKUlT_T0_E_clISt17integral_constantIbLb0EES13_EEDaSY_SZ_EUlSY_E_NS1_11comp_targetILNS1_3genE3ELNS1_11target_archE908ELNS1_3gpuE7ELNS1_3repE0EEENS1_30default_config_static_selectorELNS0_4arch9wavefront6targetE0EEEvT1_.has_dyn_sized_stack, 0
	.set _ZN7rocprim17ROCPRIM_400000_NS6detail17trampoline_kernelINS0_14default_configENS1_27scan_by_key_config_selectorIj11FixedVectorIiLj1EEEEZZNS1_16scan_by_key_implILNS1_25lookback_scan_determinismE0ELb0ES3_N6thrust23THRUST_200600_302600_NS6detail15normal_iteratorINSB_10device_ptrIjEEEENSD_INSE_IS6_EEEESI_S6_NSB_4plusIvEENSB_8equal_toIvEES6_EE10hipError_tPvRmT2_T3_T4_T5_mT6_T7_P12ihipStream_tbENKUlT_T0_E_clISt17integral_constantIbLb0EES13_EEDaSY_SZ_EUlSY_E_NS1_11comp_targetILNS1_3genE3ELNS1_11target_archE908ELNS1_3gpuE7ELNS1_3repE0EEENS1_30default_config_static_selectorELNS0_4arch9wavefront6targetE0EEEvT1_.has_recursion, 0
	.set _ZN7rocprim17ROCPRIM_400000_NS6detail17trampoline_kernelINS0_14default_configENS1_27scan_by_key_config_selectorIj11FixedVectorIiLj1EEEEZZNS1_16scan_by_key_implILNS1_25lookback_scan_determinismE0ELb0ES3_N6thrust23THRUST_200600_302600_NS6detail15normal_iteratorINSB_10device_ptrIjEEEENSD_INSE_IS6_EEEESI_S6_NSB_4plusIvEENSB_8equal_toIvEES6_EE10hipError_tPvRmT2_T3_T4_T5_mT6_T7_P12ihipStream_tbENKUlT_T0_E_clISt17integral_constantIbLb0EES13_EEDaSY_SZ_EUlSY_E_NS1_11comp_targetILNS1_3genE3ELNS1_11target_archE908ELNS1_3gpuE7ELNS1_3repE0EEENS1_30default_config_static_selectorELNS0_4arch9wavefront6targetE0EEEvT1_.has_indirect_call, 0
	.section	.AMDGPU.csdata,"",@progbits
; Kernel info:
; codeLenInByte = 0
; TotalNumSgprs: 0
; NumVgprs: 0
; ScratchSize: 0
; MemoryBound: 0
; FloatMode: 240
; IeeeMode: 1
; LDSByteSize: 0 bytes/workgroup (compile time only)
; SGPRBlocks: 0
; VGPRBlocks: 0
; NumSGPRsForWavesPerEU: 1
; NumVGPRsForWavesPerEU: 1
; Occupancy: 16
; WaveLimiterHint : 0
; COMPUTE_PGM_RSRC2:SCRATCH_EN: 0
; COMPUTE_PGM_RSRC2:USER_SGPR: 6
; COMPUTE_PGM_RSRC2:TRAP_HANDLER: 0
; COMPUTE_PGM_RSRC2:TGID_X_EN: 1
; COMPUTE_PGM_RSRC2:TGID_Y_EN: 0
; COMPUTE_PGM_RSRC2:TGID_Z_EN: 0
; COMPUTE_PGM_RSRC2:TIDIG_COMP_CNT: 0
	.section	.text._ZN7rocprim17ROCPRIM_400000_NS6detail17trampoline_kernelINS0_14default_configENS1_27scan_by_key_config_selectorIj11FixedVectorIiLj1EEEEZZNS1_16scan_by_key_implILNS1_25lookback_scan_determinismE0ELb0ES3_N6thrust23THRUST_200600_302600_NS6detail15normal_iteratorINSB_10device_ptrIjEEEENSD_INSE_IS6_EEEESI_S6_NSB_4plusIvEENSB_8equal_toIvEES6_EE10hipError_tPvRmT2_T3_T4_T5_mT6_T7_P12ihipStream_tbENKUlT_T0_E_clISt17integral_constantIbLb0EES13_EEDaSY_SZ_EUlSY_E_NS1_11comp_targetILNS1_3genE2ELNS1_11target_archE906ELNS1_3gpuE6ELNS1_3repE0EEENS1_30default_config_static_selectorELNS0_4arch9wavefront6targetE0EEEvT1_,"axG",@progbits,_ZN7rocprim17ROCPRIM_400000_NS6detail17trampoline_kernelINS0_14default_configENS1_27scan_by_key_config_selectorIj11FixedVectorIiLj1EEEEZZNS1_16scan_by_key_implILNS1_25lookback_scan_determinismE0ELb0ES3_N6thrust23THRUST_200600_302600_NS6detail15normal_iteratorINSB_10device_ptrIjEEEENSD_INSE_IS6_EEEESI_S6_NSB_4plusIvEENSB_8equal_toIvEES6_EE10hipError_tPvRmT2_T3_T4_T5_mT6_T7_P12ihipStream_tbENKUlT_T0_E_clISt17integral_constantIbLb0EES13_EEDaSY_SZ_EUlSY_E_NS1_11comp_targetILNS1_3genE2ELNS1_11target_archE906ELNS1_3gpuE6ELNS1_3repE0EEENS1_30default_config_static_selectorELNS0_4arch9wavefront6targetE0EEEvT1_,comdat
	.protected	_ZN7rocprim17ROCPRIM_400000_NS6detail17trampoline_kernelINS0_14default_configENS1_27scan_by_key_config_selectorIj11FixedVectorIiLj1EEEEZZNS1_16scan_by_key_implILNS1_25lookback_scan_determinismE0ELb0ES3_N6thrust23THRUST_200600_302600_NS6detail15normal_iteratorINSB_10device_ptrIjEEEENSD_INSE_IS6_EEEESI_S6_NSB_4plusIvEENSB_8equal_toIvEES6_EE10hipError_tPvRmT2_T3_T4_T5_mT6_T7_P12ihipStream_tbENKUlT_T0_E_clISt17integral_constantIbLb0EES13_EEDaSY_SZ_EUlSY_E_NS1_11comp_targetILNS1_3genE2ELNS1_11target_archE906ELNS1_3gpuE6ELNS1_3repE0EEENS1_30default_config_static_selectorELNS0_4arch9wavefront6targetE0EEEvT1_ ; -- Begin function _ZN7rocprim17ROCPRIM_400000_NS6detail17trampoline_kernelINS0_14default_configENS1_27scan_by_key_config_selectorIj11FixedVectorIiLj1EEEEZZNS1_16scan_by_key_implILNS1_25lookback_scan_determinismE0ELb0ES3_N6thrust23THRUST_200600_302600_NS6detail15normal_iteratorINSB_10device_ptrIjEEEENSD_INSE_IS6_EEEESI_S6_NSB_4plusIvEENSB_8equal_toIvEES6_EE10hipError_tPvRmT2_T3_T4_T5_mT6_T7_P12ihipStream_tbENKUlT_T0_E_clISt17integral_constantIbLb0EES13_EEDaSY_SZ_EUlSY_E_NS1_11comp_targetILNS1_3genE2ELNS1_11target_archE906ELNS1_3gpuE6ELNS1_3repE0EEENS1_30default_config_static_selectorELNS0_4arch9wavefront6targetE0EEEvT1_
	.globl	_ZN7rocprim17ROCPRIM_400000_NS6detail17trampoline_kernelINS0_14default_configENS1_27scan_by_key_config_selectorIj11FixedVectorIiLj1EEEEZZNS1_16scan_by_key_implILNS1_25lookback_scan_determinismE0ELb0ES3_N6thrust23THRUST_200600_302600_NS6detail15normal_iteratorINSB_10device_ptrIjEEEENSD_INSE_IS6_EEEESI_S6_NSB_4plusIvEENSB_8equal_toIvEES6_EE10hipError_tPvRmT2_T3_T4_T5_mT6_T7_P12ihipStream_tbENKUlT_T0_E_clISt17integral_constantIbLb0EES13_EEDaSY_SZ_EUlSY_E_NS1_11comp_targetILNS1_3genE2ELNS1_11target_archE906ELNS1_3gpuE6ELNS1_3repE0EEENS1_30default_config_static_selectorELNS0_4arch9wavefront6targetE0EEEvT1_
	.p2align	8
	.type	_ZN7rocprim17ROCPRIM_400000_NS6detail17trampoline_kernelINS0_14default_configENS1_27scan_by_key_config_selectorIj11FixedVectorIiLj1EEEEZZNS1_16scan_by_key_implILNS1_25lookback_scan_determinismE0ELb0ES3_N6thrust23THRUST_200600_302600_NS6detail15normal_iteratorINSB_10device_ptrIjEEEENSD_INSE_IS6_EEEESI_S6_NSB_4plusIvEENSB_8equal_toIvEES6_EE10hipError_tPvRmT2_T3_T4_T5_mT6_T7_P12ihipStream_tbENKUlT_T0_E_clISt17integral_constantIbLb0EES13_EEDaSY_SZ_EUlSY_E_NS1_11comp_targetILNS1_3genE2ELNS1_11target_archE906ELNS1_3gpuE6ELNS1_3repE0EEENS1_30default_config_static_selectorELNS0_4arch9wavefront6targetE0EEEvT1_,@function
_ZN7rocprim17ROCPRIM_400000_NS6detail17trampoline_kernelINS0_14default_configENS1_27scan_by_key_config_selectorIj11FixedVectorIiLj1EEEEZZNS1_16scan_by_key_implILNS1_25lookback_scan_determinismE0ELb0ES3_N6thrust23THRUST_200600_302600_NS6detail15normal_iteratorINSB_10device_ptrIjEEEENSD_INSE_IS6_EEEESI_S6_NSB_4plusIvEENSB_8equal_toIvEES6_EE10hipError_tPvRmT2_T3_T4_T5_mT6_T7_P12ihipStream_tbENKUlT_T0_E_clISt17integral_constantIbLb0EES13_EEDaSY_SZ_EUlSY_E_NS1_11comp_targetILNS1_3genE2ELNS1_11target_archE906ELNS1_3gpuE6ELNS1_3repE0EEENS1_30default_config_static_selectorELNS0_4arch9wavefront6targetE0EEEvT1_: ; @_ZN7rocprim17ROCPRIM_400000_NS6detail17trampoline_kernelINS0_14default_configENS1_27scan_by_key_config_selectorIj11FixedVectorIiLj1EEEEZZNS1_16scan_by_key_implILNS1_25lookback_scan_determinismE0ELb0ES3_N6thrust23THRUST_200600_302600_NS6detail15normal_iteratorINSB_10device_ptrIjEEEENSD_INSE_IS6_EEEESI_S6_NSB_4plusIvEENSB_8equal_toIvEES6_EE10hipError_tPvRmT2_T3_T4_T5_mT6_T7_P12ihipStream_tbENKUlT_T0_E_clISt17integral_constantIbLb0EES13_EEDaSY_SZ_EUlSY_E_NS1_11comp_targetILNS1_3genE2ELNS1_11target_archE906ELNS1_3gpuE6ELNS1_3repE0EEENS1_30default_config_static_selectorELNS0_4arch9wavefront6targetE0EEEvT1_
; %bb.0:
	.section	.rodata,"a",@progbits
	.p2align	6, 0x0
	.amdhsa_kernel _ZN7rocprim17ROCPRIM_400000_NS6detail17trampoline_kernelINS0_14default_configENS1_27scan_by_key_config_selectorIj11FixedVectorIiLj1EEEEZZNS1_16scan_by_key_implILNS1_25lookback_scan_determinismE0ELb0ES3_N6thrust23THRUST_200600_302600_NS6detail15normal_iteratorINSB_10device_ptrIjEEEENSD_INSE_IS6_EEEESI_S6_NSB_4plusIvEENSB_8equal_toIvEES6_EE10hipError_tPvRmT2_T3_T4_T5_mT6_T7_P12ihipStream_tbENKUlT_T0_E_clISt17integral_constantIbLb0EES13_EEDaSY_SZ_EUlSY_E_NS1_11comp_targetILNS1_3genE2ELNS1_11target_archE906ELNS1_3gpuE6ELNS1_3repE0EEENS1_30default_config_static_selectorELNS0_4arch9wavefront6targetE0EEEvT1_
		.amdhsa_group_segment_fixed_size 0
		.amdhsa_private_segment_fixed_size 0
		.amdhsa_kernarg_size 112
		.amdhsa_user_sgpr_count 6
		.amdhsa_user_sgpr_private_segment_buffer 1
		.amdhsa_user_sgpr_dispatch_ptr 0
		.amdhsa_user_sgpr_queue_ptr 0
		.amdhsa_user_sgpr_kernarg_segment_ptr 1
		.amdhsa_user_sgpr_dispatch_id 0
		.amdhsa_user_sgpr_flat_scratch_init 0
		.amdhsa_user_sgpr_private_segment_size 0
		.amdhsa_wavefront_size32 1
		.amdhsa_uses_dynamic_stack 0
		.amdhsa_system_sgpr_private_segment_wavefront_offset 0
		.amdhsa_system_sgpr_workgroup_id_x 1
		.amdhsa_system_sgpr_workgroup_id_y 0
		.amdhsa_system_sgpr_workgroup_id_z 0
		.amdhsa_system_sgpr_workgroup_info 0
		.amdhsa_system_vgpr_workitem_id 0
		.amdhsa_next_free_vgpr 1
		.amdhsa_next_free_sgpr 1
		.amdhsa_reserve_vcc 0
		.amdhsa_reserve_flat_scratch 0
		.amdhsa_float_round_mode_32 0
		.amdhsa_float_round_mode_16_64 0
		.amdhsa_float_denorm_mode_32 3
		.amdhsa_float_denorm_mode_16_64 3
		.amdhsa_dx10_clamp 1
		.amdhsa_ieee_mode 1
		.amdhsa_fp16_overflow 0
		.amdhsa_workgroup_processor_mode 1
		.amdhsa_memory_ordered 1
		.amdhsa_forward_progress 1
		.amdhsa_shared_vgpr_count 0
		.amdhsa_exception_fp_ieee_invalid_op 0
		.amdhsa_exception_fp_denorm_src 0
		.amdhsa_exception_fp_ieee_div_zero 0
		.amdhsa_exception_fp_ieee_overflow 0
		.amdhsa_exception_fp_ieee_underflow 0
		.amdhsa_exception_fp_ieee_inexact 0
		.amdhsa_exception_int_div_zero 0
	.end_amdhsa_kernel
	.section	.text._ZN7rocprim17ROCPRIM_400000_NS6detail17trampoline_kernelINS0_14default_configENS1_27scan_by_key_config_selectorIj11FixedVectorIiLj1EEEEZZNS1_16scan_by_key_implILNS1_25lookback_scan_determinismE0ELb0ES3_N6thrust23THRUST_200600_302600_NS6detail15normal_iteratorINSB_10device_ptrIjEEEENSD_INSE_IS6_EEEESI_S6_NSB_4plusIvEENSB_8equal_toIvEES6_EE10hipError_tPvRmT2_T3_T4_T5_mT6_T7_P12ihipStream_tbENKUlT_T0_E_clISt17integral_constantIbLb0EES13_EEDaSY_SZ_EUlSY_E_NS1_11comp_targetILNS1_3genE2ELNS1_11target_archE906ELNS1_3gpuE6ELNS1_3repE0EEENS1_30default_config_static_selectorELNS0_4arch9wavefront6targetE0EEEvT1_,"axG",@progbits,_ZN7rocprim17ROCPRIM_400000_NS6detail17trampoline_kernelINS0_14default_configENS1_27scan_by_key_config_selectorIj11FixedVectorIiLj1EEEEZZNS1_16scan_by_key_implILNS1_25lookback_scan_determinismE0ELb0ES3_N6thrust23THRUST_200600_302600_NS6detail15normal_iteratorINSB_10device_ptrIjEEEENSD_INSE_IS6_EEEESI_S6_NSB_4plusIvEENSB_8equal_toIvEES6_EE10hipError_tPvRmT2_T3_T4_T5_mT6_T7_P12ihipStream_tbENKUlT_T0_E_clISt17integral_constantIbLb0EES13_EEDaSY_SZ_EUlSY_E_NS1_11comp_targetILNS1_3genE2ELNS1_11target_archE906ELNS1_3gpuE6ELNS1_3repE0EEENS1_30default_config_static_selectorELNS0_4arch9wavefront6targetE0EEEvT1_,comdat
.Lfunc_end1874:
	.size	_ZN7rocprim17ROCPRIM_400000_NS6detail17trampoline_kernelINS0_14default_configENS1_27scan_by_key_config_selectorIj11FixedVectorIiLj1EEEEZZNS1_16scan_by_key_implILNS1_25lookback_scan_determinismE0ELb0ES3_N6thrust23THRUST_200600_302600_NS6detail15normal_iteratorINSB_10device_ptrIjEEEENSD_INSE_IS6_EEEESI_S6_NSB_4plusIvEENSB_8equal_toIvEES6_EE10hipError_tPvRmT2_T3_T4_T5_mT6_T7_P12ihipStream_tbENKUlT_T0_E_clISt17integral_constantIbLb0EES13_EEDaSY_SZ_EUlSY_E_NS1_11comp_targetILNS1_3genE2ELNS1_11target_archE906ELNS1_3gpuE6ELNS1_3repE0EEENS1_30default_config_static_selectorELNS0_4arch9wavefront6targetE0EEEvT1_, .Lfunc_end1874-_ZN7rocprim17ROCPRIM_400000_NS6detail17trampoline_kernelINS0_14default_configENS1_27scan_by_key_config_selectorIj11FixedVectorIiLj1EEEEZZNS1_16scan_by_key_implILNS1_25lookback_scan_determinismE0ELb0ES3_N6thrust23THRUST_200600_302600_NS6detail15normal_iteratorINSB_10device_ptrIjEEEENSD_INSE_IS6_EEEESI_S6_NSB_4plusIvEENSB_8equal_toIvEES6_EE10hipError_tPvRmT2_T3_T4_T5_mT6_T7_P12ihipStream_tbENKUlT_T0_E_clISt17integral_constantIbLb0EES13_EEDaSY_SZ_EUlSY_E_NS1_11comp_targetILNS1_3genE2ELNS1_11target_archE906ELNS1_3gpuE6ELNS1_3repE0EEENS1_30default_config_static_selectorELNS0_4arch9wavefront6targetE0EEEvT1_
                                        ; -- End function
	.set _ZN7rocprim17ROCPRIM_400000_NS6detail17trampoline_kernelINS0_14default_configENS1_27scan_by_key_config_selectorIj11FixedVectorIiLj1EEEEZZNS1_16scan_by_key_implILNS1_25lookback_scan_determinismE0ELb0ES3_N6thrust23THRUST_200600_302600_NS6detail15normal_iteratorINSB_10device_ptrIjEEEENSD_INSE_IS6_EEEESI_S6_NSB_4plusIvEENSB_8equal_toIvEES6_EE10hipError_tPvRmT2_T3_T4_T5_mT6_T7_P12ihipStream_tbENKUlT_T0_E_clISt17integral_constantIbLb0EES13_EEDaSY_SZ_EUlSY_E_NS1_11comp_targetILNS1_3genE2ELNS1_11target_archE906ELNS1_3gpuE6ELNS1_3repE0EEENS1_30default_config_static_selectorELNS0_4arch9wavefront6targetE0EEEvT1_.num_vgpr, 0
	.set _ZN7rocprim17ROCPRIM_400000_NS6detail17trampoline_kernelINS0_14default_configENS1_27scan_by_key_config_selectorIj11FixedVectorIiLj1EEEEZZNS1_16scan_by_key_implILNS1_25lookback_scan_determinismE0ELb0ES3_N6thrust23THRUST_200600_302600_NS6detail15normal_iteratorINSB_10device_ptrIjEEEENSD_INSE_IS6_EEEESI_S6_NSB_4plusIvEENSB_8equal_toIvEES6_EE10hipError_tPvRmT2_T3_T4_T5_mT6_T7_P12ihipStream_tbENKUlT_T0_E_clISt17integral_constantIbLb0EES13_EEDaSY_SZ_EUlSY_E_NS1_11comp_targetILNS1_3genE2ELNS1_11target_archE906ELNS1_3gpuE6ELNS1_3repE0EEENS1_30default_config_static_selectorELNS0_4arch9wavefront6targetE0EEEvT1_.num_agpr, 0
	.set _ZN7rocprim17ROCPRIM_400000_NS6detail17trampoline_kernelINS0_14default_configENS1_27scan_by_key_config_selectorIj11FixedVectorIiLj1EEEEZZNS1_16scan_by_key_implILNS1_25lookback_scan_determinismE0ELb0ES3_N6thrust23THRUST_200600_302600_NS6detail15normal_iteratorINSB_10device_ptrIjEEEENSD_INSE_IS6_EEEESI_S6_NSB_4plusIvEENSB_8equal_toIvEES6_EE10hipError_tPvRmT2_T3_T4_T5_mT6_T7_P12ihipStream_tbENKUlT_T0_E_clISt17integral_constantIbLb0EES13_EEDaSY_SZ_EUlSY_E_NS1_11comp_targetILNS1_3genE2ELNS1_11target_archE906ELNS1_3gpuE6ELNS1_3repE0EEENS1_30default_config_static_selectorELNS0_4arch9wavefront6targetE0EEEvT1_.numbered_sgpr, 0
	.set _ZN7rocprim17ROCPRIM_400000_NS6detail17trampoline_kernelINS0_14default_configENS1_27scan_by_key_config_selectorIj11FixedVectorIiLj1EEEEZZNS1_16scan_by_key_implILNS1_25lookback_scan_determinismE0ELb0ES3_N6thrust23THRUST_200600_302600_NS6detail15normal_iteratorINSB_10device_ptrIjEEEENSD_INSE_IS6_EEEESI_S6_NSB_4plusIvEENSB_8equal_toIvEES6_EE10hipError_tPvRmT2_T3_T4_T5_mT6_T7_P12ihipStream_tbENKUlT_T0_E_clISt17integral_constantIbLb0EES13_EEDaSY_SZ_EUlSY_E_NS1_11comp_targetILNS1_3genE2ELNS1_11target_archE906ELNS1_3gpuE6ELNS1_3repE0EEENS1_30default_config_static_selectorELNS0_4arch9wavefront6targetE0EEEvT1_.num_named_barrier, 0
	.set _ZN7rocprim17ROCPRIM_400000_NS6detail17trampoline_kernelINS0_14default_configENS1_27scan_by_key_config_selectorIj11FixedVectorIiLj1EEEEZZNS1_16scan_by_key_implILNS1_25lookback_scan_determinismE0ELb0ES3_N6thrust23THRUST_200600_302600_NS6detail15normal_iteratorINSB_10device_ptrIjEEEENSD_INSE_IS6_EEEESI_S6_NSB_4plusIvEENSB_8equal_toIvEES6_EE10hipError_tPvRmT2_T3_T4_T5_mT6_T7_P12ihipStream_tbENKUlT_T0_E_clISt17integral_constantIbLb0EES13_EEDaSY_SZ_EUlSY_E_NS1_11comp_targetILNS1_3genE2ELNS1_11target_archE906ELNS1_3gpuE6ELNS1_3repE0EEENS1_30default_config_static_selectorELNS0_4arch9wavefront6targetE0EEEvT1_.private_seg_size, 0
	.set _ZN7rocprim17ROCPRIM_400000_NS6detail17trampoline_kernelINS0_14default_configENS1_27scan_by_key_config_selectorIj11FixedVectorIiLj1EEEEZZNS1_16scan_by_key_implILNS1_25lookback_scan_determinismE0ELb0ES3_N6thrust23THRUST_200600_302600_NS6detail15normal_iteratorINSB_10device_ptrIjEEEENSD_INSE_IS6_EEEESI_S6_NSB_4plusIvEENSB_8equal_toIvEES6_EE10hipError_tPvRmT2_T3_T4_T5_mT6_T7_P12ihipStream_tbENKUlT_T0_E_clISt17integral_constantIbLb0EES13_EEDaSY_SZ_EUlSY_E_NS1_11comp_targetILNS1_3genE2ELNS1_11target_archE906ELNS1_3gpuE6ELNS1_3repE0EEENS1_30default_config_static_selectorELNS0_4arch9wavefront6targetE0EEEvT1_.uses_vcc, 0
	.set _ZN7rocprim17ROCPRIM_400000_NS6detail17trampoline_kernelINS0_14default_configENS1_27scan_by_key_config_selectorIj11FixedVectorIiLj1EEEEZZNS1_16scan_by_key_implILNS1_25lookback_scan_determinismE0ELb0ES3_N6thrust23THRUST_200600_302600_NS6detail15normal_iteratorINSB_10device_ptrIjEEEENSD_INSE_IS6_EEEESI_S6_NSB_4plusIvEENSB_8equal_toIvEES6_EE10hipError_tPvRmT2_T3_T4_T5_mT6_T7_P12ihipStream_tbENKUlT_T0_E_clISt17integral_constantIbLb0EES13_EEDaSY_SZ_EUlSY_E_NS1_11comp_targetILNS1_3genE2ELNS1_11target_archE906ELNS1_3gpuE6ELNS1_3repE0EEENS1_30default_config_static_selectorELNS0_4arch9wavefront6targetE0EEEvT1_.uses_flat_scratch, 0
	.set _ZN7rocprim17ROCPRIM_400000_NS6detail17trampoline_kernelINS0_14default_configENS1_27scan_by_key_config_selectorIj11FixedVectorIiLj1EEEEZZNS1_16scan_by_key_implILNS1_25lookback_scan_determinismE0ELb0ES3_N6thrust23THRUST_200600_302600_NS6detail15normal_iteratorINSB_10device_ptrIjEEEENSD_INSE_IS6_EEEESI_S6_NSB_4plusIvEENSB_8equal_toIvEES6_EE10hipError_tPvRmT2_T3_T4_T5_mT6_T7_P12ihipStream_tbENKUlT_T0_E_clISt17integral_constantIbLb0EES13_EEDaSY_SZ_EUlSY_E_NS1_11comp_targetILNS1_3genE2ELNS1_11target_archE906ELNS1_3gpuE6ELNS1_3repE0EEENS1_30default_config_static_selectorELNS0_4arch9wavefront6targetE0EEEvT1_.has_dyn_sized_stack, 0
	.set _ZN7rocprim17ROCPRIM_400000_NS6detail17trampoline_kernelINS0_14default_configENS1_27scan_by_key_config_selectorIj11FixedVectorIiLj1EEEEZZNS1_16scan_by_key_implILNS1_25lookback_scan_determinismE0ELb0ES3_N6thrust23THRUST_200600_302600_NS6detail15normal_iteratorINSB_10device_ptrIjEEEENSD_INSE_IS6_EEEESI_S6_NSB_4plusIvEENSB_8equal_toIvEES6_EE10hipError_tPvRmT2_T3_T4_T5_mT6_T7_P12ihipStream_tbENKUlT_T0_E_clISt17integral_constantIbLb0EES13_EEDaSY_SZ_EUlSY_E_NS1_11comp_targetILNS1_3genE2ELNS1_11target_archE906ELNS1_3gpuE6ELNS1_3repE0EEENS1_30default_config_static_selectorELNS0_4arch9wavefront6targetE0EEEvT1_.has_recursion, 0
	.set _ZN7rocprim17ROCPRIM_400000_NS6detail17trampoline_kernelINS0_14default_configENS1_27scan_by_key_config_selectorIj11FixedVectorIiLj1EEEEZZNS1_16scan_by_key_implILNS1_25lookback_scan_determinismE0ELb0ES3_N6thrust23THRUST_200600_302600_NS6detail15normal_iteratorINSB_10device_ptrIjEEEENSD_INSE_IS6_EEEESI_S6_NSB_4plusIvEENSB_8equal_toIvEES6_EE10hipError_tPvRmT2_T3_T4_T5_mT6_T7_P12ihipStream_tbENKUlT_T0_E_clISt17integral_constantIbLb0EES13_EEDaSY_SZ_EUlSY_E_NS1_11comp_targetILNS1_3genE2ELNS1_11target_archE906ELNS1_3gpuE6ELNS1_3repE0EEENS1_30default_config_static_selectorELNS0_4arch9wavefront6targetE0EEEvT1_.has_indirect_call, 0
	.section	.AMDGPU.csdata,"",@progbits
; Kernel info:
; codeLenInByte = 0
; TotalNumSgprs: 0
; NumVgprs: 0
; ScratchSize: 0
; MemoryBound: 0
; FloatMode: 240
; IeeeMode: 1
; LDSByteSize: 0 bytes/workgroup (compile time only)
; SGPRBlocks: 0
; VGPRBlocks: 0
; NumSGPRsForWavesPerEU: 1
; NumVGPRsForWavesPerEU: 1
; Occupancy: 16
; WaveLimiterHint : 0
; COMPUTE_PGM_RSRC2:SCRATCH_EN: 0
; COMPUTE_PGM_RSRC2:USER_SGPR: 6
; COMPUTE_PGM_RSRC2:TRAP_HANDLER: 0
; COMPUTE_PGM_RSRC2:TGID_X_EN: 1
; COMPUTE_PGM_RSRC2:TGID_Y_EN: 0
; COMPUTE_PGM_RSRC2:TGID_Z_EN: 0
; COMPUTE_PGM_RSRC2:TIDIG_COMP_CNT: 0
	.section	.text._ZN7rocprim17ROCPRIM_400000_NS6detail17trampoline_kernelINS0_14default_configENS1_27scan_by_key_config_selectorIj11FixedVectorIiLj1EEEEZZNS1_16scan_by_key_implILNS1_25lookback_scan_determinismE0ELb0ES3_N6thrust23THRUST_200600_302600_NS6detail15normal_iteratorINSB_10device_ptrIjEEEENSD_INSE_IS6_EEEESI_S6_NSB_4plusIvEENSB_8equal_toIvEES6_EE10hipError_tPvRmT2_T3_T4_T5_mT6_T7_P12ihipStream_tbENKUlT_T0_E_clISt17integral_constantIbLb0EES13_EEDaSY_SZ_EUlSY_E_NS1_11comp_targetILNS1_3genE10ELNS1_11target_archE1200ELNS1_3gpuE4ELNS1_3repE0EEENS1_30default_config_static_selectorELNS0_4arch9wavefront6targetE0EEEvT1_,"axG",@progbits,_ZN7rocprim17ROCPRIM_400000_NS6detail17trampoline_kernelINS0_14default_configENS1_27scan_by_key_config_selectorIj11FixedVectorIiLj1EEEEZZNS1_16scan_by_key_implILNS1_25lookback_scan_determinismE0ELb0ES3_N6thrust23THRUST_200600_302600_NS6detail15normal_iteratorINSB_10device_ptrIjEEEENSD_INSE_IS6_EEEESI_S6_NSB_4plusIvEENSB_8equal_toIvEES6_EE10hipError_tPvRmT2_T3_T4_T5_mT6_T7_P12ihipStream_tbENKUlT_T0_E_clISt17integral_constantIbLb0EES13_EEDaSY_SZ_EUlSY_E_NS1_11comp_targetILNS1_3genE10ELNS1_11target_archE1200ELNS1_3gpuE4ELNS1_3repE0EEENS1_30default_config_static_selectorELNS0_4arch9wavefront6targetE0EEEvT1_,comdat
	.protected	_ZN7rocprim17ROCPRIM_400000_NS6detail17trampoline_kernelINS0_14default_configENS1_27scan_by_key_config_selectorIj11FixedVectorIiLj1EEEEZZNS1_16scan_by_key_implILNS1_25lookback_scan_determinismE0ELb0ES3_N6thrust23THRUST_200600_302600_NS6detail15normal_iteratorINSB_10device_ptrIjEEEENSD_INSE_IS6_EEEESI_S6_NSB_4plusIvEENSB_8equal_toIvEES6_EE10hipError_tPvRmT2_T3_T4_T5_mT6_T7_P12ihipStream_tbENKUlT_T0_E_clISt17integral_constantIbLb0EES13_EEDaSY_SZ_EUlSY_E_NS1_11comp_targetILNS1_3genE10ELNS1_11target_archE1200ELNS1_3gpuE4ELNS1_3repE0EEENS1_30default_config_static_selectorELNS0_4arch9wavefront6targetE0EEEvT1_ ; -- Begin function _ZN7rocprim17ROCPRIM_400000_NS6detail17trampoline_kernelINS0_14default_configENS1_27scan_by_key_config_selectorIj11FixedVectorIiLj1EEEEZZNS1_16scan_by_key_implILNS1_25lookback_scan_determinismE0ELb0ES3_N6thrust23THRUST_200600_302600_NS6detail15normal_iteratorINSB_10device_ptrIjEEEENSD_INSE_IS6_EEEESI_S6_NSB_4plusIvEENSB_8equal_toIvEES6_EE10hipError_tPvRmT2_T3_T4_T5_mT6_T7_P12ihipStream_tbENKUlT_T0_E_clISt17integral_constantIbLb0EES13_EEDaSY_SZ_EUlSY_E_NS1_11comp_targetILNS1_3genE10ELNS1_11target_archE1200ELNS1_3gpuE4ELNS1_3repE0EEENS1_30default_config_static_selectorELNS0_4arch9wavefront6targetE0EEEvT1_
	.globl	_ZN7rocprim17ROCPRIM_400000_NS6detail17trampoline_kernelINS0_14default_configENS1_27scan_by_key_config_selectorIj11FixedVectorIiLj1EEEEZZNS1_16scan_by_key_implILNS1_25lookback_scan_determinismE0ELb0ES3_N6thrust23THRUST_200600_302600_NS6detail15normal_iteratorINSB_10device_ptrIjEEEENSD_INSE_IS6_EEEESI_S6_NSB_4plusIvEENSB_8equal_toIvEES6_EE10hipError_tPvRmT2_T3_T4_T5_mT6_T7_P12ihipStream_tbENKUlT_T0_E_clISt17integral_constantIbLb0EES13_EEDaSY_SZ_EUlSY_E_NS1_11comp_targetILNS1_3genE10ELNS1_11target_archE1200ELNS1_3gpuE4ELNS1_3repE0EEENS1_30default_config_static_selectorELNS0_4arch9wavefront6targetE0EEEvT1_
	.p2align	8
	.type	_ZN7rocprim17ROCPRIM_400000_NS6detail17trampoline_kernelINS0_14default_configENS1_27scan_by_key_config_selectorIj11FixedVectorIiLj1EEEEZZNS1_16scan_by_key_implILNS1_25lookback_scan_determinismE0ELb0ES3_N6thrust23THRUST_200600_302600_NS6detail15normal_iteratorINSB_10device_ptrIjEEEENSD_INSE_IS6_EEEESI_S6_NSB_4plusIvEENSB_8equal_toIvEES6_EE10hipError_tPvRmT2_T3_T4_T5_mT6_T7_P12ihipStream_tbENKUlT_T0_E_clISt17integral_constantIbLb0EES13_EEDaSY_SZ_EUlSY_E_NS1_11comp_targetILNS1_3genE10ELNS1_11target_archE1200ELNS1_3gpuE4ELNS1_3repE0EEENS1_30default_config_static_selectorELNS0_4arch9wavefront6targetE0EEEvT1_,@function
_ZN7rocprim17ROCPRIM_400000_NS6detail17trampoline_kernelINS0_14default_configENS1_27scan_by_key_config_selectorIj11FixedVectorIiLj1EEEEZZNS1_16scan_by_key_implILNS1_25lookback_scan_determinismE0ELb0ES3_N6thrust23THRUST_200600_302600_NS6detail15normal_iteratorINSB_10device_ptrIjEEEENSD_INSE_IS6_EEEESI_S6_NSB_4plusIvEENSB_8equal_toIvEES6_EE10hipError_tPvRmT2_T3_T4_T5_mT6_T7_P12ihipStream_tbENKUlT_T0_E_clISt17integral_constantIbLb0EES13_EEDaSY_SZ_EUlSY_E_NS1_11comp_targetILNS1_3genE10ELNS1_11target_archE1200ELNS1_3gpuE4ELNS1_3repE0EEENS1_30default_config_static_selectorELNS0_4arch9wavefront6targetE0EEEvT1_: ; @_ZN7rocprim17ROCPRIM_400000_NS6detail17trampoline_kernelINS0_14default_configENS1_27scan_by_key_config_selectorIj11FixedVectorIiLj1EEEEZZNS1_16scan_by_key_implILNS1_25lookback_scan_determinismE0ELb0ES3_N6thrust23THRUST_200600_302600_NS6detail15normal_iteratorINSB_10device_ptrIjEEEENSD_INSE_IS6_EEEESI_S6_NSB_4plusIvEENSB_8equal_toIvEES6_EE10hipError_tPvRmT2_T3_T4_T5_mT6_T7_P12ihipStream_tbENKUlT_T0_E_clISt17integral_constantIbLb0EES13_EEDaSY_SZ_EUlSY_E_NS1_11comp_targetILNS1_3genE10ELNS1_11target_archE1200ELNS1_3gpuE4ELNS1_3repE0EEENS1_30default_config_static_selectorELNS0_4arch9wavefront6targetE0EEEvT1_
; %bb.0:
	.section	.rodata,"a",@progbits
	.p2align	6, 0x0
	.amdhsa_kernel _ZN7rocprim17ROCPRIM_400000_NS6detail17trampoline_kernelINS0_14default_configENS1_27scan_by_key_config_selectorIj11FixedVectorIiLj1EEEEZZNS1_16scan_by_key_implILNS1_25lookback_scan_determinismE0ELb0ES3_N6thrust23THRUST_200600_302600_NS6detail15normal_iteratorINSB_10device_ptrIjEEEENSD_INSE_IS6_EEEESI_S6_NSB_4plusIvEENSB_8equal_toIvEES6_EE10hipError_tPvRmT2_T3_T4_T5_mT6_T7_P12ihipStream_tbENKUlT_T0_E_clISt17integral_constantIbLb0EES13_EEDaSY_SZ_EUlSY_E_NS1_11comp_targetILNS1_3genE10ELNS1_11target_archE1200ELNS1_3gpuE4ELNS1_3repE0EEENS1_30default_config_static_selectorELNS0_4arch9wavefront6targetE0EEEvT1_
		.amdhsa_group_segment_fixed_size 0
		.amdhsa_private_segment_fixed_size 0
		.amdhsa_kernarg_size 112
		.amdhsa_user_sgpr_count 6
		.amdhsa_user_sgpr_private_segment_buffer 1
		.amdhsa_user_sgpr_dispatch_ptr 0
		.amdhsa_user_sgpr_queue_ptr 0
		.amdhsa_user_sgpr_kernarg_segment_ptr 1
		.amdhsa_user_sgpr_dispatch_id 0
		.amdhsa_user_sgpr_flat_scratch_init 0
		.amdhsa_user_sgpr_private_segment_size 0
		.amdhsa_wavefront_size32 1
		.amdhsa_uses_dynamic_stack 0
		.amdhsa_system_sgpr_private_segment_wavefront_offset 0
		.amdhsa_system_sgpr_workgroup_id_x 1
		.amdhsa_system_sgpr_workgroup_id_y 0
		.amdhsa_system_sgpr_workgroup_id_z 0
		.amdhsa_system_sgpr_workgroup_info 0
		.amdhsa_system_vgpr_workitem_id 0
		.amdhsa_next_free_vgpr 1
		.amdhsa_next_free_sgpr 1
		.amdhsa_reserve_vcc 0
		.amdhsa_reserve_flat_scratch 0
		.amdhsa_float_round_mode_32 0
		.amdhsa_float_round_mode_16_64 0
		.amdhsa_float_denorm_mode_32 3
		.amdhsa_float_denorm_mode_16_64 3
		.amdhsa_dx10_clamp 1
		.amdhsa_ieee_mode 1
		.amdhsa_fp16_overflow 0
		.amdhsa_workgroup_processor_mode 1
		.amdhsa_memory_ordered 1
		.amdhsa_forward_progress 1
		.amdhsa_shared_vgpr_count 0
		.amdhsa_exception_fp_ieee_invalid_op 0
		.amdhsa_exception_fp_denorm_src 0
		.amdhsa_exception_fp_ieee_div_zero 0
		.amdhsa_exception_fp_ieee_overflow 0
		.amdhsa_exception_fp_ieee_underflow 0
		.amdhsa_exception_fp_ieee_inexact 0
		.amdhsa_exception_int_div_zero 0
	.end_amdhsa_kernel
	.section	.text._ZN7rocprim17ROCPRIM_400000_NS6detail17trampoline_kernelINS0_14default_configENS1_27scan_by_key_config_selectorIj11FixedVectorIiLj1EEEEZZNS1_16scan_by_key_implILNS1_25lookback_scan_determinismE0ELb0ES3_N6thrust23THRUST_200600_302600_NS6detail15normal_iteratorINSB_10device_ptrIjEEEENSD_INSE_IS6_EEEESI_S6_NSB_4plusIvEENSB_8equal_toIvEES6_EE10hipError_tPvRmT2_T3_T4_T5_mT6_T7_P12ihipStream_tbENKUlT_T0_E_clISt17integral_constantIbLb0EES13_EEDaSY_SZ_EUlSY_E_NS1_11comp_targetILNS1_3genE10ELNS1_11target_archE1200ELNS1_3gpuE4ELNS1_3repE0EEENS1_30default_config_static_selectorELNS0_4arch9wavefront6targetE0EEEvT1_,"axG",@progbits,_ZN7rocprim17ROCPRIM_400000_NS6detail17trampoline_kernelINS0_14default_configENS1_27scan_by_key_config_selectorIj11FixedVectorIiLj1EEEEZZNS1_16scan_by_key_implILNS1_25lookback_scan_determinismE0ELb0ES3_N6thrust23THRUST_200600_302600_NS6detail15normal_iteratorINSB_10device_ptrIjEEEENSD_INSE_IS6_EEEESI_S6_NSB_4plusIvEENSB_8equal_toIvEES6_EE10hipError_tPvRmT2_T3_T4_T5_mT6_T7_P12ihipStream_tbENKUlT_T0_E_clISt17integral_constantIbLb0EES13_EEDaSY_SZ_EUlSY_E_NS1_11comp_targetILNS1_3genE10ELNS1_11target_archE1200ELNS1_3gpuE4ELNS1_3repE0EEENS1_30default_config_static_selectorELNS0_4arch9wavefront6targetE0EEEvT1_,comdat
.Lfunc_end1875:
	.size	_ZN7rocprim17ROCPRIM_400000_NS6detail17trampoline_kernelINS0_14default_configENS1_27scan_by_key_config_selectorIj11FixedVectorIiLj1EEEEZZNS1_16scan_by_key_implILNS1_25lookback_scan_determinismE0ELb0ES3_N6thrust23THRUST_200600_302600_NS6detail15normal_iteratorINSB_10device_ptrIjEEEENSD_INSE_IS6_EEEESI_S6_NSB_4plusIvEENSB_8equal_toIvEES6_EE10hipError_tPvRmT2_T3_T4_T5_mT6_T7_P12ihipStream_tbENKUlT_T0_E_clISt17integral_constantIbLb0EES13_EEDaSY_SZ_EUlSY_E_NS1_11comp_targetILNS1_3genE10ELNS1_11target_archE1200ELNS1_3gpuE4ELNS1_3repE0EEENS1_30default_config_static_selectorELNS0_4arch9wavefront6targetE0EEEvT1_, .Lfunc_end1875-_ZN7rocprim17ROCPRIM_400000_NS6detail17trampoline_kernelINS0_14default_configENS1_27scan_by_key_config_selectorIj11FixedVectorIiLj1EEEEZZNS1_16scan_by_key_implILNS1_25lookback_scan_determinismE0ELb0ES3_N6thrust23THRUST_200600_302600_NS6detail15normal_iteratorINSB_10device_ptrIjEEEENSD_INSE_IS6_EEEESI_S6_NSB_4plusIvEENSB_8equal_toIvEES6_EE10hipError_tPvRmT2_T3_T4_T5_mT6_T7_P12ihipStream_tbENKUlT_T0_E_clISt17integral_constantIbLb0EES13_EEDaSY_SZ_EUlSY_E_NS1_11comp_targetILNS1_3genE10ELNS1_11target_archE1200ELNS1_3gpuE4ELNS1_3repE0EEENS1_30default_config_static_selectorELNS0_4arch9wavefront6targetE0EEEvT1_
                                        ; -- End function
	.set _ZN7rocprim17ROCPRIM_400000_NS6detail17trampoline_kernelINS0_14default_configENS1_27scan_by_key_config_selectorIj11FixedVectorIiLj1EEEEZZNS1_16scan_by_key_implILNS1_25lookback_scan_determinismE0ELb0ES3_N6thrust23THRUST_200600_302600_NS6detail15normal_iteratorINSB_10device_ptrIjEEEENSD_INSE_IS6_EEEESI_S6_NSB_4plusIvEENSB_8equal_toIvEES6_EE10hipError_tPvRmT2_T3_T4_T5_mT6_T7_P12ihipStream_tbENKUlT_T0_E_clISt17integral_constantIbLb0EES13_EEDaSY_SZ_EUlSY_E_NS1_11comp_targetILNS1_3genE10ELNS1_11target_archE1200ELNS1_3gpuE4ELNS1_3repE0EEENS1_30default_config_static_selectorELNS0_4arch9wavefront6targetE0EEEvT1_.num_vgpr, 0
	.set _ZN7rocprim17ROCPRIM_400000_NS6detail17trampoline_kernelINS0_14default_configENS1_27scan_by_key_config_selectorIj11FixedVectorIiLj1EEEEZZNS1_16scan_by_key_implILNS1_25lookback_scan_determinismE0ELb0ES3_N6thrust23THRUST_200600_302600_NS6detail15normal_iteratorINSB_10device_ptrIjEEEENSD_INSE_IS6_EEEESI_S6_NSB_4plusIvEENSB_8equal_toIvEES6_EE10hipError_tPvRmT2_T3_T4_T5_mT6_T7_P12ihipStream_tbENKUlT_T0_E_clISt17integral_constantIbLb0EES13_EEDaSY_SZ_EUlSY_E_NS1_11comp_targetILNS1_3genE10ELNS1_11target_archE1200ELNS1_3gpuE4ELNS1_3repE0EEENS1_30default_config_static_selectorELNS0_4arch9wavefront6targetE0EEEvT1_.num_agpr, 0
	.set _ZN7rocprim17ROCPRIM_400000_NS6detail17trampoline_kernelINS0_14default_configENS1_27scan_by_key_config_selectorIj11FixedVectorIiLj1EEEEZZNS1_16scan_by_key_implILNS1_25lookback_scan_determinismE0ELb0ES3_N6thrust23THRUST_200600_302600_NS6detail15normal_iteratorINSB_10device_ptrIjEEEENSD_INSE_IS6_EEEESI_S6_NSB_4plusIvEENSB_8equal_toIvEES6_EE10hipError_tPvRmT2_T3_T4_T5_mT6_T7_P12ihipStream_tbENKUlT_T0_E_clISt17integral_constantIbLb0EES13_EEDaSY_SZ_EUlSY_E_NS1_11comp_targetILNS1_3genE10ELNS1_11target_archE1200ELNS1_3gpuE4ELNS1_3repE0EEENS1_30default_config_static_selectorELNS0_4arch9wavefront6targetE0EEEvT1_.numbered_sgpr, 0
	.set _ZN7rocprim17ROCPRIM_400000_NS6detail17trampoline_kernelINS0_14default_configENS1_27scan_by_key_config_selectorIj11FixedVectorIiLj1EEEEZZNS1_16scan_by_key_implILNS1_25lookback_scan_determinismE0ELb0ES3_N6thrust23THRUST_200600_302600_NS6detail15normal_iteratorINSB_10device_ptrIjEEEENSD_INSE_IS6_EEEESI_S6_NSB_4plusIvEENSB_8equal_toIvEES6_EE10hipError_tPvRmT2_T3_T4_T5_mT6_T7_P12ihipStream_tbENKUlT_T0_E_clISt17integral_constantIbLb0EES13_EEDaSY_SZ_EUlSY_E_NS1_11comp_targetILNS1_3genE10ELNS1_11target_archE1200ELNS1_3gpuE4ELNS1_3repE0EEENS1_30default_config_static_selectorELNS0_4arch9wavefront6targetE0EEEvT1_.num_named_barrier, 0
	.set _ZN7rocprim17ROCPRIM_400000_NS6detail17trampoline_kernelINS0_14default_configENS1_27scan_by_key_config_selectorIj11FixedVectorIiLj1EEEEZZNS1_16scan_by_key_implILNS1_25lookback_scan_determinismE0ELb0ES3_N6thrust23THRUST_200600_302600_NS6detail15normal_iteratorINSB_10device_ptrIjEEEENSD_INSE_IS6_EEEESI_S6_NSB_4plusIvEENSB_8equal_toIvEES6_EE10hipError_tPvRmT2_T3_T4_T5_mT6_T7_P12ihipStream_tbENKUlT_T0_E_clISt17integral_constantIbLb0EES13_EEDaSY_SZ_EUlSY_E_NS1_11comp_targetILNS1_3genE10ELNS1_11target_archE1200ELNS1_3gpuE4ELNS1_3repE0EEENS1_30default_config_static_selectorELNS0_4arch9wavefront6targetE0EEEvT1_.private_seg_size, 0
	.set _ZN7rocprim17ROCPRIM_400000_NS6detail17trampoline_kernelINS0_14default_configENS1_27scan_by_key_config_selectorIj11FixedVectorIiLj1EEEEZZNS1_16scan_by_key_implILNS1_25lookback_scan_determinismE0ELb0ES3_N6thrust23THRUST_200600_302600_NS6detail15normal_iteratorINSB_10device_ptrIjEEEENSD_INSE_IS6_EEEESI_S6_NSB_4plusIvEENSB_8equal_toIvEES6_EE10hipError_tPvRmT2_T3_T4_T5_mT6_T7_P12ihipStream_tbENKUlT_T0_E_clISt17integral_constantIbLb0EES13_EEDaSY_SZ_EUlSY_E_NS1_11comp_targetILNS1_3genE10ELNS1_11target_archE1200ELNS1_3gpuE4ELNS1_3repE0EEENS1_30default_config_static_selectorELNS0_4arch9wavefront6targetE0EEEvT1_.uses_vcc, 0
	.set _ZN7rocprim17ROCPRIM_400000_NS6detail17trampoline_kernelINS0_14default_configENS1_27scan_by_key_config_selectorIj11FixedVectorIiLj1EEEEZZNS1_16scan_by_key_implILNS1_25lookback_scan_determinismE0ELb0ES3_N6thrust23THRUST_200600_302600_NS6detail15normal_iteratorINSB_10device_ptrIjEEEENSD_INSE_IS6_EEEESI_S6_NSB_4plusIvEENSB_8equal_toIvEES6_EE10hipError_tPvRmT2_T3_T4_T5_mT6_T7_P12ihipStream_tbENKUlT_T0_E_clISt17integral_constantIbLb0EES13_EEDaSY_SZ_EUlSY_E_NS1_11comp_targetILNS1_3genE10ELNS1_11target_archE1200ELNS1_3gpuE4ELNS1_3repE0EEENS1_30default_config_static_selectorELNS0_4arch9wavefront6targetE0EEEvT1_.uses_flat_scratch, 0
	.set _ZN7rocprim17ROCPRIM_400000_NS6detail17trampoline_kernelINS0_14default_configENS1_27scan_by_key_config_selectorIj11FixedVectorIiLj1EEEEZZNS1_16scan_by_key_implILNS1_25lookback_scan_determinismE0ELb0ES3_N6thrust23THRUST_200600_302600_NS6detail15normal_iteratorINSB_10device_ptrIjEEEENSD_INSE_IS6_EEEESI_S6_NSB_4plusIvEENSB_8equal_toIvEES6_EE10hipError_tPvRmT2_T3_T4_T5_mT6_T7_P12ihipStream_tbENKUlT_T0_E_clISt17integral_constantIbLb0EES13_EEDaSY_SZ_EUlSY_E_NS1_11comp_targetILNS1_3genE10ELNS1_11target_archE1200ELNS1_3gpuE4ELNS1_3repE0EEENS1_30default_config_static_selectorELNS0_4arch9wavefront6targetE0EEEvT1_.has_dyn_sized_stack, 0
	.set _ZN7rocprim17ROCPRIM_400000_NS6detail17trampoline_kernelINS0_14default_configENS1_27scan_by_key_config_selectorIj11FixedVectorIiLj1EEEEZZNS1_16scan_by_key_implILNS1_25lookback_scan_determinismE0ELb0ES3_N6thrust23THRUST_200600_302600_NS6detail15normal_iteratorINSB_10device_ptrIjEEEENSD_INSE_IS6_EEEESI_S6_NSB_4plusIvEENSB_8equal_toIvEES6_EE10hipError_tPvRmT2_T3_T4_T5_mT6_T7_P12ihipStream_tbENKUlT_T0_E_clISt17integral_constantIbLb0EES13_EEDaSY_SZ_EUlSY_E_NS1_11comp_targetILNS1_3genE10ELNS1_11target_archE1200ELNS1_3gpuE4ELNS1_3repE0EEENS1_30default_config_static_selectorELNS0_4arch9wavefront6targetE0EEEvT1_.has_recursion, 0
	.set _ZN7rocprim17ROCPRIM_400000_NS6detail17trampoline_kernelINS0_14default_configENS1_27scan_by_key_config_selectorIj11FixedVectorIiLj1EEEEZZNS1_16scan_by_key_implILNS1_25lookback_scan_determinismE0ELb0ES3_N6thrust23THRUST_200600_302600_NS6detail15normal_iteratorINSB_10device_ptrIjEEEENSD_INSE_IS6_EEEESI_S6_NSB_4plusIvEENSB_8equal_toIvEES6_EE10hipError_tPvRmT2_T3_T4_T5_mT6_T7_P12ihipStream_tbENKUlT_T0_E_clISt17integral_constantIbLb0EES13_EEDaSY_SZ_EUlSY_E_NS1_11comp_targetILNS1_3genE10ELNS1_11target_archE1200ELNS1_3gpuE4ELNS1_3repE0EEENS1_30default_config_static_selectorELNS0_4arch9wavefront6targetE0EEEvT1_.has_indirect_call, 0
	.section	.AMDGPU.csdata,"",@progbits
; Kernel info:
; codeLenInByte = 0
; TotalNumSgprs: 0
; NumVgprs: 0
; ScratchSize: 0
; MemoryBound: 0
; FloatMode: 240
; IeeeMode: 1
; LDSByteSize: 0 bytes/workgroup (compile time only)
; SGPRBlocks: 0
; VGPRBlocks: 0
; NumSGPRsForWavesPerEU: 1
; NumVGPRsForWavesPerEU: 1
; Occupancy: 16
; WaveLimiterHint : 0
; COMPUTE_PGM_RSRC2:SCRATCH_EN: 0
; COMPUTE_PGM_RSRC2:USER_SGPR: 6
; COMPUTE_PGM_RSRC2:TRAP_HANDLER: 0
; COMPUTE_PGM_RSRC2:TGID_X_EN: 1
; COMPUTE_PGM_RSRC2:TGID_Y_EN: 0
; COMPUTE_PGM_RSRC2:TGID_Z_EN: 0
; COMPUTE_PGM_RSRC2:TIDIG_COMP_CNT: 0
	.section	.text._ZN7rocprim17ROCPRIM_400000_NS6detail17trampoline_kernelINS0_14default_configENS1_27scan_by_key_config_selectorIj11FixedVectorIiLj1EEEEZZNS1_16scan_by_key_implILNS1_25lookback_scan_determinismE0ELb0ES3_N6thrust23THRUST_200600_302600_NS6detail15normal_iteratorINSB_10device_ptrIjEEEENSD_INSE_IS6_EEEESI_S6_NSB_4plusIvEENSB_8equal_toIvEES6_EE10hipError_tPvRmT2_T3_T4_T5_mT6_T7_P12ihipStream_tbENKUlT_T0_E_clISt17integral_constantIbLb0EES13_EEDaSY_SZ_EUlSY_E_NS1_11comp_targetILNS1_3genE9ELNS1_11target_archE1100ELNS1_3gpuE3ELNS1_3repE0EEENS1_30default_config_static_selectorELNS0_4arch9wavefront6targetE0EEEvT1_,"axG",@progbits,_ZN7rocprim17ROCPRIM_400000_NS6detail17trampoline_kernelINS0_14default_configENS1_27scan_by_key_config_selectorIj11FixedVectorIiLj1EEEEZZNS1_16scan_by_key_implILNS1_25lookback_scan_determinismE0ELb0ES3_N6thrust23THRUST_200600_302600_NS6detail15normal_iteratorINSB_10device_ptrIjEEEENSD_INSE_IS6_EEEESI_S6_NSB_4plusIvEENSB_8equal_toIvEES6_EE10hipError_tPvRmT2_T3_T4_T5_mT6_T7_P12ihipStream_tbENKUlT_T0_E_clISt17integral_constantIbLb0EES13_EEDaSY_SZ_EUlSY_E_NS1_11comp_targetILNS1_3genE9ELNS1_11target_archE1100ELNS1_3gpuE3ELNS1_3repE0EEENS1_30default_config_static_selectorELNS0_4arch9wavefront6targetE0EEEvT1_,comdat
	.protected	_ZN7rocprim17ROCPRIM_400000_NS6detail17trampoline_kernelINS0_14default_configENS1_27scan_by_key_config_selectorIj11FixedVectorIiLj1EEEEZZNS1_16scan_by_key_implILNS1_25lookback_scan_determinismE0ELb0ES3_N6thrust23THRUST_200600_302600_NS6detail15normal_iteratorINSB_10device_ptrIjEEEENSD_INSE_IS6_EEEESI_S6_NSB_4plusIvEENSB_8equal_toIvEES6_EE10hipError_tPvRmT2_T3_T4_T5_mT6_T7_P12ihipStream_tbENKUlT_T0_E_clISt17integral_constantIbLb0EES13_EEDaSY_SZ_EUlSY_E_NS1_11comp_targetILNS1_3genE9ELNS1_11target_archE1100ELNS1_3gpuE3ELNS1_3repE0EEENS1_30default_config_static_selectorELNS0_4arch9wavefront6targetE0EEEvT1_ ; -- Begin function _ZN7rocprim17ROCPRIM_400000_NS6detail17trampoline_kernelINS0_14default_configENS1_27scan_by_key_config_selectorIj11FixedVectorIiLj1EEEEZZNS1_16scan_by_key_implILNS1_25lookback_scan_determinismE0ELb0ES3_N6thrust23THRUST_200600_302600_NS6detail15normal_iteratorINSB_10device_ptrIjEEEENSD_INSE_IS6_EEEESI_S6_NSB_4plusIvEENSB_8equal_toIvEES6_EE10hipError_tPvRmT2_T3_T4_T5_mT6_T7_P12ihipStream_tbENKUlT_T0_E_clISt17integral_constantIbLb0EES13_EEDaSY_SZ_EUlSY_E_NS1_11comp_targetILNS1_3genE9ELNS1_11target_archE1100ELNS1_3gpuE3ELNS1_3repE0EEENS1_30default_config_static_selectorELNS0_4arch9wavefront6targetE0EEEvT1_
	.globl	_ZN7rocprim17ROCPRIM_400000_NS6detail17trampoline_kernelINS0_14default_configENS1_27scan_by_key_config_selectorIj11FixedVectorIiLj1EEEEZZNS1_16scan_by_key_implILNS1_25lookback_scan_determinismE0ELb0ES3_N6thrust23THRUST_200600_302600_NS6detail15normal_iteratorINSB_10device_ptrIjEEEENSD_INSE_IS6_EEEESI_S6_NSB_4plusIvEENSB_8equal_toIvEES6_EE10hipError_tPvRmT2_T3_T4_T5_mT6_T7_P12ihipStream_tbENKUlT_T0_E_clISt17integral_constantIbLb0EES13_EEDaSY_SZ_EUlSY_E_NS1_11comp_targetILNS1_3genE9ELNS1_11target_archE1100ELNS1_3gpuE3ELNS1_3repE0EEENS1_30default_config_static_selectorELNS0_4arch9wavefront6targetE0EEEvT1_
	.p2align	8
	.type	_ZN7rocprim17ROCPRIM_400000_NS6detail17trampoline_kernelINS0_14default_configENS1_27scan_by_key_config_selectorIj11FixedVectorIiLj1EEEEZZNS1_16scan_by_key_implILNS1_25lookback_scan_determinismE0ELb0ES3_N6thrust23THRUST_200600_302600_NS6detail15normal_iteratorINSB_10device_ptrIjEEEENSD_INSE_IS6_EEEESI_S6_NSB_4plusIvEENSB_8equal_toIvEES6_EE10hipError_tPvRmT2_T3_T4_T5_mT6_T7_P12ihipStream_tbENKUlT_T0_E_clISt17integral_constantIbLb0EES13_EEDaSY_SZ_EUlSY_E_NS1_11comp_targetILNS1_3genE9ELNS1_11target_archE1100ELNS1_3gpuE3ELNS1_3repE0EEENS1_30default_config_static_selectorELNS0_4arch9wavefront6targetE0EEEvT1_,@function
_ZN7rocprim17ROCPRIM_400000_NS6detail17trampoline_kernelINS0_14default_configENS1_27scan_by_key_config_selectorIj11FixedVectorIiLj1EEEEZZNS1_16scan_by_key_implILNS1_25lookback_scan_determinismE0ELb0ES3_N6thrust23THRUST_200600_302600_NS6detail15normal_iteratorINSB_10device_ptrIjEEEENSD_INSE_IS6_EEEESI_S6_NSB_4plusIvEENSB_8equal_toIvEES6_EE10hipError_tPvRmT2_T3_T4_T5_mT6_T7_P12ihipStream_tbENKUlT_T0_E_clISt17integral_constantIbLb0EES13_EEDaSY_SZ_EUlSY_E_NS1_11comp_targetILNS1_3genE9ELNS1_11target_archE1100ELNS1_3gpuE3ELNS1_3repE0EEENS1_30default_config_static_selectorELNS0_4arch9wavefront6targetE0EEEvT1_: ; @_ZN7rocprim17ROCPRIM_400000_NS6detail17trampoline_kernelINS0_14default_configENS1_27scan_by_key_config_selectorIj11FixedVectorIiLj1EEEEZZNS1_16scan_by_key_implILNS1_25lookback_scan_determinismE0ELb0ES3_N6thrust23THRUST_200600_302600_NS6detail15normal_iteratorINSB_10device_ptrIjEEEENSD_INSE_IS6_EEEESI_S6_NSB_4plusIvEENSB_8equal_toIvEES6_EE10hipError_tPvRmT2_T3_T4_T5_mT6_T7_P12ihipStream_tbENKUlT_T0_E_clISt17integral_constantIbLb0EES13_EEDaSY_SZ_EUlSY_E_NS1_11comp_targetILNS1_3genE9ELNS1_11target_archE1100ELNS1_3gpuE3ELNS1_3repE0EEENS1_30default_config_static_selectorELNS0_4arch9wavefront6targetE0EEEvT1_
; %bb.0:
	.section	.rodata,"a",@progbits
	.p2align	6, 0x0
	.amdhsa_kernel _ZN7rocprim17ROCPRIM_400000_NS6detail17trampoline_kernelINS0_14default_configENS1_27scan_by_key_config_selectorIj11FixedVectorIiLj1EEEEZZNS1_16scan_by_key_implILNS1_25lookback_scan_determinismE0ELb0ES3_N6thrust23THRUST_200600_302600_NS6detail15normal_iteratorINSB_10device_ptrIjEEEENSD_INSE_IS6_EEEESI_S6_NSB_4plusIvEENSB_8equal_toIvEES6_EE10hipError_tPvRmT2_T3_T4_T5_mT6_T7_P12ihipStream_tbENKUlT_T0_E_clISt17integral_constantIbLb0EES13_EEDaSY_SZ_EUlSY_E_NS1_11comp_targetILNS1_3genE9ELNS1_11target_archE1100ELNS1_3gpuE3ELNS1_3repE0EEENS1_30default_config_static_selectorELNS0_4arch9wavefront6targetE0EEEvT1_
		.amdhsa_group_segment_fixed_size 0
		.amdhsa_private_segment_fixed_size 0
		.amdhsa_kernarg_size 112
		.amdhsa_user_sgpr_count 6
		.amdhsa_user_sgpr_private_segment_buffer 1
		.amdhsa_user_sgpr_dispatch_ptr 0
		.amdhsa_user_sgpr_queue_ptr 0
		.amdhsa_user_sgpr_kernarg_segment_ptr 1
		.amdhsa_user_sgpr_dispatch_id 0
		.amdhsa_user_sgpr_flat_scratch_init 0
		.amdhsa_user_sgpr_private_segment_size 0
		.amdhsa_wavefront_size32 1
		.amdhsa_uses_dynamic_stack 0
		.amdhsa_system_sgpr_private_segment_wavefront_offset 0
		.amdhsa_system_sgpr_workgroup_id_x 1
		.amdhsa_system_sgpr_workgroup_id_y 0
		.amdhsa_system_sgpr_workgroup_id_z 0
		.amdhsa_system_sgpr_workgroup_info 0
		.amdhsa_system_vgpr_workitem_id 0
		.amdhsa_next_free_vgpr 1
		.amdhsa_next_free_sgpr 1
		.amdhsa_reserve_vcc 0
		.amdhsa_reserve_flat_scratch 0
		.amdhsa_float_round_mode_32 0
		.amdhsa_float_round_mode_16_64 0
		.amdhsa_float_denorm_mode_32 3
		.amdhsa_float_denorm_mode_16_64 3
		.amdhsa_dx10_clamp 1
		.amdhsa_ieee_mode 1
		.amdhsa_fp16_overflow 0
		.amdhsa_workgroup_processor_mode 1
		.amdhsa_memory_ordered 1
		.amdhsa_forward_progress 1
		.amdhsa_shared_vgpr_count 0
		.amdhsa_exception_fp_ieee_invalid_op 0
		.amdhsa_exception_fp_denorm_src 0
		.amdhsa_exception_fp_ieee_div_zero 0
		.amdhsa_exception_fp_ieee_overflow 0
		.amdhsa_exception_fp_ieee_underflow 0
		.amdhsa_exception_fp_ieee_inexact 0
		.amdhsa_exception_int_div_zero 0
	.end_amdhsa_kernel
	.section	.text._ZN7rocprim17ROCPRIM_400000_NS6detail17trampoline_kernelINS0_14default_configENS1_27scan_by_key_config_selectorIj11FixedVectorIiLj1EEEEZZNS1_16scan_by_key_implILNS1_25lookback_scan_determinismE0ELb0ES3_N6thrust23THRUST_200600_302600_NS6detail15normal_iteratorINSB_10device_ptrIjEEEENSD_INSE_IS6_EEEESI_S6_NSB_4plusIvEENSB_8equal_toIvEES6_EE10hipError_tPvRmT2_T3_T4_T5_mT6_T7_P12ihipStream_tbENKUlT_T0_E_clISt17integral_constantIbLb0EES13_EEDaSY_SZ_EUlSY_E_NS1_11comp_targetILNS1_3genE9ELNS1_11target_archE1100ELNS1_3gpuE3ELNS1_3repE0EEENS1_30default_config_static_selectorELNS0_4arch9wavefront6targetE0EEEvT1_,"axG",@progbits,_ZN7rocprim17ROCPRIM_400000_NS6detail17trampoline_kernelINS0_14default_configENS1_27scan_by_key_config_selectorIj11FixedVectorIiLj1EEEEZZNS1_16scan_by_key_implILNS1_25lookback_scan_determinismE0ELb0ES3_N6thrust23THRUST_200600_302600_NS6detail15normal_iteratorINSB_10device_ptrIjEEEENSD_INSE_IS6_EEEESI_S6_NSB_4plusIvEENSB_8equal_toIvEES6_EE10hipError_tPvRmT2_T3_T4_T5_mT6_T7_P12ihipStream_tbENKUlT_T0_E_clISt17integral_constantIbLb0EES13_EEDaSY_SZ_EUlSY_E_NS1_11comp_targetILNS1_3genE9ELNS1_11target_archE1100ELNS1_3gpuE3ELNS1_3repE0EEENS1_30default_config_static_selectorELNS0_4arch9wavefront6targetE0EEEvT1_,comdat
.Lfunc_end1876:
	.size	_ZN7rocprim17ROCPRIM_400000_NS6detail17trampoline_kernelINS0_14default_configENS1_27scan_by_key_config_selectorIj11FixedVectorIiLj1EEEEZZNS1_16scan_by_key_implILNS1_25lookback_scan_determinismE0ELb0ES3_N6thrust23THRUST_200600_302600_NS6detail15normal_iteratorINSB_10device_ptrIjEEEENSD_INSE_IS6_EEEESI_S6_NSB_4plusIvEENSB_8equal_toIvEES6_EE10hipError_tPvRmT2_T3_T4_T5_mT6_T7_P12ihipStream_tbENKUlT_T0_E_clISt17integral_constantIbLb0EES13_EEDaSY_SZ_EUlSY_E_NS1_11comp_targetILNS1_3genE9ELNS1_11target_archE1100ELNS1_3gpuE3ELNS1_3repE0EEENS1_30default_config_static_selectorELNS0_4arch9wavefront6targetE0EEEvT1_, .Lfunc_end1876-_ZN7rocprim17ROCPRIM_400000_NS6detail17trampoline_kernelINS0_14default_configENS1_27scan_by_key_config_selectorIj11FixedVectorIiLj1EEEEZZNS1_16scan_by_key_implILNS1_25lookback_scan_determinismE0ELb0ES3_N6thrust23THRUST_200600_302600_NS6detail15normal_iteratorINSB_10device_ptrIjEEEENSD_INSE_IS6_EEEESI_S6_NSB_4plusIvEENSB_8equal_toIvEES6_EE10hipError_tPvRmT2_T3_T4_T5_mT6_T7_P12ihipStream_tbENKUlT_T0_E_clISt17integral_constantIbLb0EES13_EEDaSY_SZ_EUlSY_E_NS1_11comp_targetILNS1_3genE9ELNS1_11target_archE1100ELNS1_3gpuE3ELNS1_3repE0EEENS1_30default_config_static_selectorELNS0_4arch9wavefront6targetE0EEEvT1_
                                        ; -- End function
	.set _ZN7rocprim17ROCPRIM_400000_NS6detail17trampoline_kernelINS0_14default_configENS1_27scan_by_key_config_selectorIj11FixedVectorIiLj1EEEEZZNS1_16scan_by_key_implILNS1_25lookback_scan_determinismE0ELb0ES3_N6thrust23THRUST_200600_302600_NS6detail15normal_iteratorINSB_10device_ptrIjEEEENSD_INSE_IS6_EEEESI_S6_NSB_4plusIvEENSB_8equal_toIvEES6_EE10hipError_tPvRmT2_T3_T4_T5_mT6_T7_P12ihipStream_tbENKUlT_T0_E_clISt17integral_constantIbLb0EES13_EEDaSY_SZ_EUlSY_E_NS1_11comp_targetILNS1_3genE9ELNS1_11target_archE1100ELNS1_3gpuE3ELNS1_3repE0EEENS1_30default_config_static_selectorELNS0_4arch9wavefront6targetE0EEEvT1_.num_vgpr, 0
	.set _ZN7rocprim17ROCPRIM_400000_NS6detail17trampoline_kernelINS0_14default_configENS1_27scan_by_key_config_selectorIj11FixedVectorIiLj1EEEEZZNS1_16scan_by_key_implILNS1_25lookback_scan_determinismE0ELb0ES3_N6thrust23THRUST_200600_302600_NS6detail15normal_iteratorINSB_10device_ptrIjEEEENSD_INSE_IS6_EEEESI_S6_NSB_4plusIvEENSB_8equal_toIvEES6_EE10hipError_tPvRmT2_T3_T4_T5_mT6_T7_P12ihipStream_tbENKUlT_T0_E_clISt17integral_constantIbLb0EES13_EEDaSY_SZ_EUlSY_E_NS1_11comp_targetILNS1_3genE9ELNS1_11target_archE1100ELNS1_3gpuE3ELNS1_3repE0EEENS1_30default_config_static_selectorELNS0_4arch9wavefront6targetE0EEEvT1_.num_agpr, 0
	.set _ZN7rocprim17ROCPRIM_400000_NS6detail17trampoline_kernelINS0_14default_configENS1_27scan_by_key_config_selectorIj11FixedVectorIiLj1EEEEZZNS1_16scan_by_key_implILNS1_25lookback_scan_determinismE0ELb0ES3_N6thrust23THRUST_200600_302600_NS6detail15normal_iteratorINSB_10device_ptrIjEEEENSD_INSE_IS6_EEEESI_S6_NSB_4plusIvEENSB_8equal_toIvEES6_EE10hipError_tPvRmT2_T3_T4_T5_mT6_T7_P12ihipStream_tbENKUlT_T0_E_clISt17integral_constantIbLb0EES13_EEDaSY_SZ_EUlSY_E_NS1_11comp_targetILNS1_3genE9ELNS1_11target_archE1100ELNS1_3gpuE3ELNS1_3repE0EEENS1_30default_config_static_selectorELNS0_4arch9wavefront6targetE0EEEvT1_.numbered_sgpr, 0
	.set _ZN7rocprim17ROCPRIM_400000_NS6detail17trampoline_kernelINS0_14default_configENS1_27scan_by_key_config_selectorIj11FixedVectorIiLj1EEEEZZNS1_16scan_by_key_implILNS1_25lookback_scan_determinismE0ELb0ES3_N6thrust23THRUST_200600_302600_NS6detail15normal_iteratorINSB_10device_ptrIjEEEENSD_INSE_IS6_EEEESI_S6_NSB_4plusIvEENSB_8equal_toIvEES6_EE10hipError_tPvRmT2_T3_T4_T5_mT6_T7_P12ihipStream_tbENKUlT_T0_E_clISt17integral_constantIbLb0EES13_EEDaSY_SZ_EUlSY_E_NS1_11comp_targetILNS1_3genE9ELNS1_11target_archE1100ELNS1_3gpuE3ELNS1_3repE0EEENS1_30default_config_static_selectorELNS0_4arch9wavefront6targetE0EEEvT1_.num_named_barrier, 0
	.set _ZN7rocprim17ROCPRIM_400000_NS6detail17trampoline_kernelINS0_14default_configENS1_27scan_by_key_config_selectorIj11FixedVectorIiLj1EEEEZZNS1_16scan_by_key_implILNS1_25lookback_scan_determinismE0ELb0ES3_N6thrust23THRUST_200600_302600_NS6detail15normal_iteratorINSB_10device_ptrIjEEEENSD_INSE_IS6_EEEESI_S6_NSB_4plusIvEENSB_8equal_toIvEES6_EE10hipError_tPvRmT2_T3_T4_T5_mT6_T7_P12ihipStream_tbENKUlT_T0_E_clISt17integral_constantIbLb0EES13_EEDaSY_SZ_EUlSY_E_NS1_11comp_targetILNS1_3genE9ELNS1_11target_archE1100ELNS1_3gpuE3ELNS1_3repE0EEENS1_30default_config_static_selectorELNS0_4arch9wavefront6targetE0EEEvT1_.private_seg_size, 0
	.set _ZN7rocprim17ROCPRIM_400000_NS6detail17trampoline_kernelINS0_14default_configENS1_27scan_by_key_config_selectorIj11FixedVectorIiLj1EEEEZZNS1_16scan_by_key_implILNS1_25lookback_scan_determinismE0ELb0ES3_N6thrust23THRUST_200600_302600_NS6detail15normal_iteratorINSB_10device_ptrIjEEEENSD_INSE_IS6_EEEESI_S6_NSB_4plusIvEENSB_8equal_toIvEES6_EE10hipError_tPvRmT2_T3_T4_T5_mT6_T7_P12ihipStream_tbENKUlT_T0_E_clISt17integral_constantIbLb0EES13_EEDaSY_SZ_EUlSY_E_NS1_11comp_targetILNS1_3genE9ELNS1_11target_archE1100ELNS1_3gpuE3ELNS1_3repE0EEENS1_30default_config_static_selectorELNS0_4arch9wavefront6targetE0EEEvT1_.uses_vcc, 0
	.set _ZN7rocprim17ROCPRIM_400000_NS6detail17trampoline_kernelINS0_14default_configENS1_27scan_by_key_config_selectorIj11FixedVectorIiLj1EEEEZZNS1_16scan_by_key_implILNS1_25lookback_scan_determinismE0ELb0ES3_N6thrust23THRUST_200600_302600_NS6detail15normal_iteratorINSB_10device_ptrIjEEEENSD_INSE_IS6_EEEESI_S6_NSB_4plusIvEENSB_8equal_toIvEES6_EE10hipError_tPvRmT2_T3_T4_T5_mT6_T7_P12ihipStream_tbENKUlT_T0_E_clISt17integral_constantIbLb0EES13_EEDaSY_SZ_EUlSY_E_NS1_11comp_targetILNS1_3genE9ELNS1_11target_archE1100ELNS1_3gpuE3ELNS1_3repE0EEENS1_30default_config_static_selectorELNS0_4arch9wavefront6targetE0EEEvT1_.uses_flat_scratch, 0
	.set _ZN7rocprim17ROCPRIM_400000_NS6detail17trampoline_kernelINS0_14default_configENS1_27scan_by_key_config_selectorIj11FixedVectorIiLj1EEEEZZNS1_16scan_by_key_implILNS1_25lookback_scan_determinismE0ELb0ES3_N6thrust23THRUST_200600_302600_NS6detail15normal_iteratorINSB_10device_ptrIjEEEENSD_INSE_IS6_EEEESI_S6_NSB_4plusIvEENSB_8equal_toIvEES6_EE10hipError_tPvRmT2_T3_T4_T5_mT6_T7_P12ihipStream_tbENKUlT_T0_E_clISt17integral_constantIbLb0EES13_EEDaSY_SZ_EUlSY_E_NS1_11comp_targetILNS1_3genE9ELNS1_11target_archE1100ELNS1_3gpuE3ELNS1_3repE0EEENS1_30default_config_static_selectorELNS0_4arch9wavefront6targetE0EEEvT1_.has_dyn_sized_stack, 0
	.set _ZN7rocprim17ROCPRIM_400000_NS6detail17trampoline_kernelINS0_14default_configENS1_27scan_by_key_config_selectorIj11FixedVectorIiLj1EEEEZZNS1_16scan_by_key_implILNS1_25lookback_scan_determinismE0ELb0ES3_N6thrust23THRUST_200600_302600_NS6detail15normal_iteratorINSB_10device_ptrIjEEEENSD_INSE_IS6_EEEESI_S6_NSB_4plusIvEENSB_8equal_toIvEES6_EE10hipError_tPvRmT2_T3_T4_T5_mT6_T7_P12ihipStream_tbENKUlT_T0_E_clISt17integral_constantIbLb0EES13_EEDaSY_SZ_EUlSY_E_NS1_11comp_targetILNS1_3genE9ELNS1_11target_archE1100ELNS1_3gpuE3ELNS1_3repE0EEENS1_30default_config_static_selectorELNS0_4arch9wavefront6targetE0EEEvT1_.has_recursion, 0
	.set _ZN7rocprim17ROCPRIM_400000_NS6detail17trampoline_kernelINS0_14default_configENS1_27scan_by_key_config_selectorIj11FixedVectorIiLj1EEEEZZNS1_16scan_by_key_implILNS1_25lookback_scan_determinismE0ELb0ES3_N6thrust23THRUST_200600_302600_NS6detail15normal_iteratorINSB_10device_ptrIjEEEENSD_INSE_IS6_EEEESI_S6_NSB_4plusIvEENSB_8equal_toIvEES6_EE10hipError_tPvRmT2_T3_T4_T5_mT6_T7_P12ihipStream_tbENKUlT_T0_E_clISt17integral_constantIbLb0EES13_EEDaSY_SZ_EUlSY_E_NS1_11comp_targetILNS1_3genE9ELNS1_11target_archE1100ELNS1_3gpuE3ELNS1_3repE0EEENS1_30default_config_static_selectorELNS0_4arch9wavefront6targetE0EEEvT1_.has_indirect_call, 0
	.section	.AMDGPU.csdata,"",@progbits
; Kernel info:
; codeLenInByte = 0
; TotalNumSgprs: 0
; NumVgprs: 0
; ScratchSize: 0
; MemoryBound: 0
; FloatMode: 240
; IeeeMode: 1
; LDSByteSize: 0 bytes/workgroup (compile time only)
; SGPRBlocks: 0
; VGPRBlocks: 0
; NumSGPRsForWavesPerEU: 1
; NumVGPRsForWavesPerEU: 1
; Occupancy: 16
; WaveLimiterHint : 0
; COMPUTE_PGM_RSRC2:SCRATCH_EN: 0
; COMPUTE_PGM_RSRC2:USER_SGPR: 6
; COMPUTE_PGM_RSRC2:TRAP_HANDLER: 0
; COMPUTE_PGM_RSRC2:TGID_X_EN: 1
; COMPUTE_PGM_RSRC2:TGID_Y_EN: 0
; COMPUTE_PGM_RSRC2:TGID_Z_EN: 0
; COMPUTE_PGM_RSRC2:TIDIG_COMP_CNT: 0
	.section	.text._ZN7rocprim17ROCPRIM_400000_NS6detail17trampoline_kernelINS0_14default_configENS1_27scan_by_key_config_selectorIj11FixedVectorIiLj1EEEEZZNS1_16scan_by_key_implILNS1_25lookback_scan_determinismE0ELb0ES3_N6thrust23THRUST_200600_302600_NS6detail15normal_iteratorINSB_10device_ptrIjEEEENSD_INSE_IS6_EEEESI_S6_NSB_4plusIvEENSB_8equal_toIvEES6_EE10hipError_tPvRmT2_T3_T4_T5_mT6_T7_P12ihipStream_tbENKUlT_T0_E_clISt17integral_constantIbLb0EES13_EEDaSY_SZ_EUlSY_E_NS1_11comp_targetILNS1_3genE8ELNS1_11target_archE1030ELNS1_3gpuE2ELNS1_3repE0EEENS1_30default_config_static_selectorELNS0_4arch9wavefront6targetE0EEEvT1_,"axG",@progbits,_ZN7rocprim17ROCPRIM_400000_NS6detail17trampoline_kernelINS0_14default_configENS1_27scan_by_key_config_selectorIj11FixedVectorIiLj1EEEEZZNS1_16scan_by_key_implILNS1_25lookback_scan_determinismE0ELb0ES3_N6thrust23THRUST_200600_302600_NS6detail15normal_iteratorINSB_10device_ptrIjEEEENSD_INSE_IS6_EEEESI_S6_NSB_4plusIvEENSB_8equal_toIvEES6_EE10hipError_tPvRmT2_T3_T4_T5_mT6_T7_P12ihipStream_tbENKUlT_T0_E_clISt17integral_constantIbLb0EES13_EEDaSY_SZ_EUlSY_E_NS1_11comp_targetILNS1_3genE8ELNS1_11target_archE1030ELNS1_3gpuE2ELNS1_3repE0EEENS1_30default_config_static_selectorELNS0_4arch9wavefront6targetE0EEEvT1_,comdat
	.protected	_ZN7rocprim17ROCPRIM_400000_NS6detail17trampoline_kernelINS0_14default_configENS1_27scan_by_key_config_selectorIj11FixedVectorIiLj1EEEEZZNS1_16scan_by_key_implILNS1_25lookback_scan_determinismE0ELb0ES3_N6thrust23THRUST_200600_302600_NS6detail15normal_iteratorINSB_10device_ptrIjEEEENSD_INSE_IS6_EEEESI_S6_NSB_4plusIvEENSB_8equal_toIvEES6_EE10hipError_tPvRmT2_T3_T4_T5_mT6_T7_P12ihipStream_tbENKUlT_T0_E_clISt17integral_constantIbLb0EES13_EEDaSY_SZ_EUlSY_E_NS1_11comp_targetILNS1_3genE8ELNS1_11target_archE1030ELNS1_3gpuE2ELNS1_3repE0EEENS1_30default_config_static_selectorELNS0_4arch9wavefront6targetE0EEEvT1_ ; -- Begin function _ZN7rocprim17ROCPRIM_400000_NS6detail17trampoline_kernelINS0_14default_configENS1_27scan_by_key_config_selectorIj11FixedVectorIiLj1EEEEZZNS1_16scan_by_key_implILNS1_25lookback_scan_determinismE0ELb0ES3_N6thrust23THRUST_200600_302600_NS6detail15normal_iteratorINSB_10device_ptrIjEEEENSD_INSE_IS6_EEEESI_S6_NSB_4plusIvEENSB_8equal_toIvEES6_EE10hipError_tPvRmT2_T3_T4_T5_mT6_T7_P12ihipStream_tbENKUlT_T0_E_clISt17integral_constantIbLb0EES13_EEDaSY_SZ_EUlSY_E_NS1_11comp_targetILNS1_3genE8ELNS1_11target_archE1030ELNS1_3gpuE2ELNS1_3repE0EEENS1_30default_config_static_selectorELNS0_4arch9wavefront6targetE0EEEvT1_
	.globl	_ZN7rocprim17ROCPRIM_400000_NS6detail17trampoline_kernelINS0_14default_configENS1_27scan_by_key_config_selectorIj11FixedVectorIiLj1EEEEZZNS1_16scan_by_key_implILNS1_25lookback_scan_determinismE0ELb0ES3_N6thrust23THRUST_200600_302600_NS6detail15normal_iteratorINSB_10device_ptrIjEEEENSD_INSE_IS6_EEEESI_S6_NSB_4plusIvEENSB_8equal_toIvEES6_EE10hipError_tPvRmT2_T3_T4_T5_mT6_T7_P12ihipStream_tbENKUlT_T0_E_clISt17integral_constantIbLb0EES13_EEDaSY_SZ_EUlSY_E_NS1_11comp_targetILNS1_3genE8ELNS1_11target_archE1030ELNS1_3gpuE2ELNS1_3repE0EEENS1_30default_config_static_selectorELNS0_4arch9wavefront6targetE0EEEvT1_
	.p2align	8
	.type	_ZN7rocprim17ROCPRIM_400000_NS6detail17trampoline_kernelINS0_14default_configENS1_27scan_by_key_config_selectorIj11FixedVectorIiLj1EEEEZZNS1_16scan_by_key_implILNS1_25lookback_scan_determinismE0ELb0ES3_N6thrust23THRUST_200600_302600_NS6detail15normal_iteratorINSB_10device_ptrIjEEEENSD_INSE_IS6_EEEESI_S6_NSB_4plusIvEENSB_8equal_toIvEES6_EE10hipError_tPvRmT2_T3_T4_T5_mT6_T7_P12ihipStream_tbENKUlT_T0_E_clISt17integral_constantIbLb0EES13_EEDaSY_SZ_EUlSY_E_NS1_11comp_targetILNS1_3genE8ELNS1_11target_archE1030ELNS1_3gpuE2ELNS1_3repE0EEENS1_30default_config_static_selectorELNS0_4arch9wavefront6targetE0EEEvT1_,@function
_ZN7rocprim17ROCPRIM_400000_NS6detail17trampoline_kernelINS0_14default_configENS1_27scan_by_key_config_selectorIj11FixedVectorIiLj1EEEEZZNS1_16scan_by_key_implILNS1_25lookback_scan_determinismE0ELb0ES3_N6thrust23THRUST_200600_302600_NS6detail15normal_iteratorINSB_10device_ptrIjEEEENSD_INSE_IS6_EEEESI_S6_NSB_4plusIvEENSB_8equal_toIvEES6_EE10hipError_tPvRmT2_T3_T4_T5_mT6_T7_P12ihipStream_tbENKUlT_T0_E_clISt17integral_constantIbLb0EES13_EEDaSY_SZ_EUlSY_E_NS1_11comp_targetILNS1_3genE8ELNS1_11target_archE1030ELNS1_3gpuE2ELNS1_3repE0EEENS1_30default_config_static_selectorELNS0_4arch9wavefront6targetE0EEEvT1_: ; @_ZN7rocprim17ROCPRIM_400000_NS6detail17trampoline_kernelINS0_14default_configENS1_27scan_by_key_config_selectorIj11FixedVectorIiLj1EEEEZZNS1_16scan_by_key_implILNS1_25lookback_scan_determinismE0ELb0ES3_N6thrust23THRUST_200600_302600_NS6detail15normal_iteratorINSB_10device_ptrIjEEEENSD_INSE_IS6_EEEESI_S6_NSB_4plusIvEENSB_8equal_toIvEES6_EE10hipError_tPvRmT2_T3_T4_T5_mT6_T7_P12ihipStream_tbENKUlT_T0_E_clISt17integral_constantIbLb0EES13_EEDaSY_SZ_EUlSY_E_NS1_11comp_targetILNS1_3genE8ELNS1_11target_archE1030ELNS1_3gpuE2ELNS1_3repE0EEENS1_30default_config_static_selectorELNS0_4arch9wavefront6targetE0EEEvT1_
; %bb.0:
	s_clause 0x4
	s_load_dwordx8 s[8:15], s[4:5], 0x0
	s_load_dwordx2 s[28:29], s[4:5], 0x38
	s_load_dword s2, s[4:5], 0x40
	s_load_dwordx8 s[16:23], s[4:5], 0x48
	s_load_dwordx4 s[24:27], s[4:5], 0x28
	s_mov_b32 s1, 0
	s_waitcnt lgkmcnt(0)
	s_barrier
	buffer_gl0_inv
	s_lshl_b64 s[10:11], s[10:11], 2
	s_add_u32 s4, s8, s10
	s_mul_i32 s0, s29, s2
	s_mul_hi_u32 s3, s28, s2
	s_addc_u32 s5, s9, s11
	s_add_u32 s7, s12, s10
	s_addc_u32 s12, s13, s11
	s_add_i32 s13, s3, s0
	s_cmp_lg_u64 s[20:21], 0
	s_mul_i32 s0, s6, 0x300
	s_cselect_b32 s27, -1, 0
	s_lshl_b64 s[8:9], s[0:1], 2
	s_mul_i32 s0, s28, s2
	s_add_u32 s4, s4, s8
	s_addc_u32 s5, s5, s9
	s_add_u32 s3, s7, s8
	s_addc_u32 s21, s12, s9
	;; [unrolled: 2-line block ×3, first 2 shown]
	s_add_u32 s16, s16, -1
	s_addc_u32 s17, s17, -1
	s_mul_i32 s7, s16, 0xfffffd00
	v_cmp_ge_u64_e64 s20, s[12:13], s[16:17]
	s_and_b32 vcc_lo, exec_lo, s20
	s_cbranch_vccz .LBB1877_22
; %bb.1:
	v_mov_b32_e32 v1, s4
	v_mov_b32_e32 v2, s5
	s_add_i32 s30, s7, s26
	v_cmp_gt_u32_e64 s0, s30, v0
	flat_load_dword v1, v[1:2]
	s_waitcnt vmcnt(0) lgkmcnt(0)
	v_mov_b32_e32 v2, v1
	s_and_saveexec_b32 s1, s0
	s_cbranch_execz .LBB1877_3
; %bb.2:
	v_lshlrev_b32_e32 v2, 2, v0
	v_add_co_u32 v2, s2, s4, v2
	v_add_co_ci_u32_e64 v3, null, s5, 0, s2
	flat_load_dword v2, v[2:3]
.LBB1877_3:
	s_or_b32 exec_lo, exec_lo, s1
	v_or_b32_e32 v3, 0x100, v0
	v_cmp_gt_u32_e64 s1, s30, v3
	v_mov_b32_e32 v3, v1
	s_and_saveexec_b32 s2, s1
	s_cbranch_execz .LBB1877_5
; %bb.4:
	v_lshlrev_b32_e32 v3, 2, v0
	v_add_co_u32 v3, s16, s4, v3
	v_add_co_ci_u32_e64 v4, null, s5, 0, s16
	flat_load_dword v3, v[3:4] offset:1024
.LBB1877_5:
	s_or_b32 exec_lo, exec_lo, s2
	v_or_b32_e32 v4, 0x200, v0
	v_cmp_gt_u32_e64 s2, s30, v4
	v_lshlrev_b32_e32 v4, 2, v4
	s_and_saveexec_b32 s16, s2
	s_cbranch_execz .LBB1877_7
; %bb.6:
	v_add_co_u32 v5, s17, s4, v4
	v_add_co_ci_u32_e64 v6, null, s5, 0, s17
	flat_load_dword v1, v[5:6]
.LBB1877_7:
	s_or_b32 exec_lo, exec_lo, s16
	v_lshlrev_b32_e32 v6, 2, v0
	v_lshlrev_b32_e32 v8, 3, v0
	s_cmp_eq_u64 s[12:13], 0
	s_mov_b64 s[16:17], s[4:5]
	s_waitcnt vmcnt(0) lgkmcnt(0)
	ds_write2st64_b32 v6, v2, v3 offset1:4
	v_add_nc_u32_e32 v3, v6, v8
	ds_write_b32 v6, v1 offset:2048
	s_waitcnt lgkmcnt(0)
	s_barrier
	buffer_gl0_inv
	ds_read2_b32 v[1:2], v3 offset1:1
	ds_read_b32 v5, v3 offset:8
	s_cbranch_scc1 .LBB1877_11
; %bb.8:
	s_andn2_b32 vcc_lo, exec_lo, s27
	s_cbranch_vccnz .LBB1877_95
; %bb.9:
	s_lshl_b64 s[16:17], s[12:13], 2
	s_add_u32 s16, s22, s16
	s_addc_u32 s17, s23, s17
	s_add_u32 s16, s16, -4
	s_addc_u32 s17, s17, -1
	s_cbranch_execnz .LBB1877_11
.LBB1877_10:
	s_add_u32 s16, s4, -4
	s_addc_u32 s17, s5, -1
.LBB1877_11:
	v_mov_b32_e32 v9, s16
	v_mov_b32_e32 v10, s17
	s_mov_b32 s16, exec_lo
	flat_load_dword v7, v[9:10]
	v_sub_nc_u32_e32 v9, v3, v8
	s_waitcnt lgkmcnt(1)
	ds_write_b32 v9, v5 offset:3072
	s_waitcnt vmcnt(0) lgkmcnt(0)
	s_barrier
	buffer_gl0_inv
	v_cmpx_ne_u32_e32 0, v0
; %bb.12:
	v_sub_nc_u32_e32 v7, 0, v8
	v_add_nc_u32_e32 v7, v3, v7
	ds_read_b32 v7, v7 offset:3068
; %bb.13:
	s_or_b32 exec_lo, exec_lo, s16
	v_mov_b32_e32 v9, 0
	v_mov_b32_e32 v10, 0
	s_waitcnt lgkmcnt(0)
	s_barrier
	buffer_gl0_inv
	s_and_saveexec_b32 s16, s0
	s_cbranch_execnz .LBB1877_93
; %bb.14:
	s_or_b32 exec_lo, exec_lo, s16
	s_and_saveexec_b32 s0, s1
	s_cbranch_execnz .LBB1877_94
.LBB1877_15:
	s_or_b32 exec_lo, exec_lo, s0
	v_mov_b32_e32 v11, 0
	s_and_saveexec_b32 s0, s2
	s_cbranch_execz .LBB1877_17
.LBB1877_16:
	v_add_co_u32 v11, s1, s3, v4
	v_add_co_ci_u32_e64 v12, null, s21, 0, s1
	flat_load_dword v11, v[11:12]
.LBB1877_17:
	s_or_b32 exec_lo, exec_lo, s0
	s_waitcnt vmcnt(0) lgkmcnt(0)
	ds_write2st64_b32 v6, v10, v9 offset1:4
	ds_write_b32 v6, v11 offset:2048
	v_mov_b32_e32 v9, 0
	v_mov_b32_e32 v11, 0
	v_mul_u32_u24_e32 v8, 3, v0
	v_mov_b32_e32 v10, 0
	v_mov_b32_e32 v12, 0
	s_mov_b32 s16, 0
	s_mov_b32 s1, 0
	s_mov_b32 s17, exec_lo
	s_waitcnt lgkmcnt(0)
	s_barrier
	buffer_gl0_inv
                                        ; implicit-def: $sgpr2
                                        ; implicit-def: $vgpr4
	v_cmpx_gt_u32_e64 s30, v8
	s_cbranch_execz .LBB1877_21
; %bb.18:
	ds_read_b32 v9, v3
	v_add_nc_u32_e32 v4, 1, v8
	v_cmp_ne_u32_e32 vcc_lo, v7, v1
	v_mov_b32_e32 v11, 0
	v_mov_b32_e32 v12, 0
	s_mov_b32 s0, 0
                                        ; implicit-def: $sgpr2
	v_cndmask_b32_e64 v10, 0, 1, vcc_lo
	v_cmp_gt_u32_e32 vcc_lo, s30, v4
                                        ; implicit-def: $vgpr4
	s_and_saveexec_b32 s1, vcc_lo
	s_xor_b32 s1, exec_lo, s1
	s_cbranch_execz .LBB1877_20
; %bb.19:
	ds_read2_b32 v[3:4], v3 offset0:1 offset1:2
	v_add_nc_u32_e32 v6, 2, v8
	v_cmp_ne_u32_e64 s0, v1, v2
	v_cmp_ne_u32_e64 s2, v2, v5
	v_cmp_gt_u32_e32 vcc_lo, s30, v6
	v_cndmask_b32_e64 v12, 0, 1, s0
	s_and_b32 s0, vcc_lo, exec_lo
	s_waitcnt lgkmcnt(0)
	v_mov_b32_e32 v11, v3
.LBB1877_20:
	s_or_b32 exec_lo, exec_lo, s1
	s_and_b32 s1, s0, exec_lo
.LBB1877_21:
	s_or_b32 exec_lo, exec_lo, s17
	v_lshlrev_b32_e32 v19, 2, v0
	v_lshlrev_b32_e32 v18, 3, v0
	s_and_b32 vcc_lo, exec_lo, s16
	s_cbranch_vccnz .LBB1877_23
	s_branch .LBB1877_31
.LBB1877_22:
                                        ; implicit-def: $sgpr2
                                        ; implicit-def: $vgpr4
                                        ; implicit-def: $vgpr9_vgpr10
                                        ; implicit-def: $vgpr11_vgpr12
	v_lshlrev_b32_e32 v19, 2, v0
	v_lshlrev_b32_e32 v18, 3, v0
	s_cbranch_execz .LBB1877_31
.LBB1877_23:
	v_add_co_u32 v1, s0, s4, v19
	v_add_co_ci_u32_e64 v2, null, s5, 0, s0
	s_cmp_eq_u64 s[12:13], 0
	v_add_co_u32 v3, vcc_lo, 0x800, v1
	v_add_co_ci_u32_e64 v4, null, 0, v2, vcc_lo
	s_clause 0x2
	flat_load_dword v5, v[1:2]
	flat_load_dword v1, v[1:2] offset:1024
	flat_load_dword v2, v[3:4]
	v_add_nc_u32_e32 v3, v19, v18
	s_waitcnt vmcnt(1) lgkmcnt(1)
	ds_write2st64_b32 v19, v5, v1 offset1:4
	s_waitcnt vmcnt(0) lgkmcnt(1)
	ds_write_b32 v19, v2 offset:2048
	s_waitcnt lgkmcnt(0)
	s_barrier
	buffer_gl0_inv
	ds_read2_b32 v[1:2], v3 offset1:1
	ds_read_b32 v5, v3 offset:8
	s_cbranch_scc1 .LBB1877_28
; %bb.24:
	s_andn2_b32 vcc_lo, exec_lo, s27
	s_cbranch_vccnz .LBB1877_96
; %bb.25:
	s_lshl_b64 s[0:1], s[12:13], 2
	s_add_u32 s0, s22, s0
	s_addc_u32 s1, s23, s1
	s_add_u32 s0, s0, -4
	s_addc_u32 s1, s1, -1
	s_cbranch_execnz .LBB1877_27
.LBB1877_26:
	s_add_u32 s0, s4, -4
	s_addc_u32 s1, s5, -1
.LBB1877_27:
	s_mov_b64 s[4:5], s[0:1]
.LBB1877_28:
	v_mov_b32_e32 v7, s5
	v_mov_b32_e32 v6, s4
	v_sub_nc_u32_e32 v4, v3, v18
	s_mov_b32 s0, exec_lo
	flat_load_dword v6, v[6:7]
	s_waitcnt lgkmcnt(1)
	ds_write_b32 v4, v5 offset:3072
	s_waitcnt vmcnt(0) lgkmcnt(0)
	s_barrier
	buffer_gl0_inv
	v_cmpx_ne_u32_e32 0, v0
; %bb.29:
	v_sub_nc_u32_e32 v4, 0, v18
	v_add_nc_u32_e32 v4, v3, v4
	ds_read_b32 v6, v4 offset:3068
; %bb.30:
	s_or_b32 exec_lo, exec_lo, s0
	v_add_co_u32 v7, s0, s3, v19
	v_add_co_ci_u32_e64 v8, null, s21, 0, s0
	s_waitcnt lgkmcnt(0)
	v_add_co_u32 v9, vcc_lo, 0x800, v7
	v_add_co_ci_u32_e64 v10, null, 0, v8, vcc_lo
	s_barrier
	buffer_gl0_inv
	s_clause 0x2
	flat_load_dword v4, v[7:8]
	flat_load_dword v7, v[7:8] offset:1024
	flat_load_dword v8, v[9:10]
	v_cmp_ne_u32_e32 vcc_lo, v6, v1
	v_cmp_ne_u32_e64 s2, v2, v5
	s_mov_b32 s1, -1
	s_waitcnt vmcnt(1) lgkmcnt(1)
	ds_write2st64_b32 v19, v4, v7 offset1:4
	s_waitcnt vmcnt(0) lgkmcnt(1)
	ds_write_b32 v19, v8 offset:2048
	s_waitcnt lgkmcnt(0)
	s_barrier
	buffer_gl0_inv
	ds_read2_b32 v[7:8], v3 offset1:1
	ds_read_b32 v4, v3 offset:8
	v_cndmask_b32_e64 v10, 0, 1, vcc_lo
	v_cmp_ne_u32_e32 vcc_lo, v1, v2
	v_cndmask_b32_e64 v12, 0, 1, vcc_lo
	s_waitcnt lgkmcnt(1)
	v_mov_b32_e32 v9, v7
	v_mov_b32_e32 v11, v8
.LBB1877_31:
	v_mov_b32_e32 v13, 0
	v_mov_b32_e32 v14, 0
	s_and_saveexec_b32 s0, s1
	s_cbranch_execz .LBB1877_33
; %bb.32:
	v_cndmask_b32_e64 v14, 0, 1, s2
	s_waitcnt lgkmcnt(0)
	v_mov_b32_e32 v13, v4
.LBB1877_33:
	s_or_b32 exec_lo, exec_lo, s0
	v_or_b32_e32 v23, v12, v14
	v_mbcnt_lo_u32_b32 v20, -1, 0
	v_lshrrev_b32_e32 v21, 5, v0
	v_or_b32_e32 v22, 31, v0
	s_cmp_lg_u32 s6, 0
	s_mov_b32 s2, 0
	s_waitcnt lgkmcnt(0)
	s_barrier
	buffer_gl0_inv
	s_cbranch_scc0 .LBB1877_59
; %bb.34:
	v_and_b32_e32 v2, 0xff, v23
	v_mov_b32_e32 v1, 0
	s_mov_b32 s3, 1
	v_and_b32_e32 v8, 15, v20
	v_cmp_gt_u64_e64 s0, s[2:3], v[11:12]
	v_cmp_gt_u64_e64 s1, s[2:3], v[13:14]
	v_cmp_eq_u64_e32 vcc_lo, 0, v[1:2]
	v_cndmask_b32_e64 v3, 0, v9, s0
	v_cndmask_b32_e32 v2, 1, v10, vcc_lo
	v_add_nc_u32_e32 v3, v3, v11
	v_and_b32_e32 v4, 0xff, v2
	v_and_b32_e32 v6, 1, v2
	v_cndmask_b32_e64 v3, 0, v3, s1
	v_mov_b32_dpp v5, v4 row_shr:1 row_mask:0xf bank_mask:0xf
	v_cmp_eq_u32_e32 vcc_lo, 1, v6
	v_add_nc_u32_e32 v3, v3, v13
	v_and_b32_e32 v5, 1, v5
	v_mov_b32_dpp v7, v3 row_shr:1 row_mask:0xf bank_mask:0xf
	v_cndmask_b32_e64 v5, v5, 1, vcc_lo
	v_cmp_eq_u16_e32 vcc_lo, 0, v4
	v_cndmask_b32_e32 v6, 0, v7, vcc_lo
	v_cmp_eq_u32_e32 vcc_lo, 0, v8
	v_cndmask_b32_e32 v4, v5, v4, vcc_lo
	v_cndmask_b32_e32 v2, v5, v2, vcc_lo
	v_cndmask_b32_e64 v6, v6, 0, vcc_lo
	v_mov_b32_dpp v5, v4 row_shr:2 row_mask:0xf bank_mask:0xf
	v_and_b32_e32 v7, 1, v2
	v_add_nc_u32_e32 v3, v6, v3
	v_cmp_eq_u16_sdwa s2, v2, v1 src0_sel:BYTE_0 src1_sel:DWORD
	v_and_b32_e32 v5, 1, v5
	v_cmp_eq_u32_e32 vcc_lo, 1, v7
	v_cndmask_b32_e64 v5, v5, 1, vcc_lo
	v_cmp_lt_u32_e32 vcc_lo, 1, v8
	v_cndmask_b32_e32 v7, v2, v5, vcc_lo
	v_cndmask_b32_e32 v4, v4, v5, vcc_lo
	v_mov_b32_dpp v2, v3 row_shr:2 row_mask:0xf bank_mask:0xf
	s_and_b32 vcc_lo, vcc_lo, s2
	v_and_b32_e32 v6, 1, v7
	v_mov_b32_dpp v5, v4 row_shr:4 row_mask:0xf bank_mask:0xf
	v_cndmask_b32_e32 v2, 0, v2, vcc_lo
	v_cmp_eq_u16_sdwa s2, v7, v1 src0_sel:BYTE_0 src1_sel:DWORD
	v_cmp_eq_u32_e32 vcc_lo, 1, v6
	v_and_b32_e32 v5, 1, v5
	v_add_nc_u32_e32 v2, v2, v3
	v_cndmask_b32_e64 v5, v5, 1, vcc_lo
	v_cmp_lt_u32_e32 vcc_lo, 3, v8
	v_cndmask_b32_e32 v3, v7, v5, vcc_lo
	v_cndmask_b32_e32 v4, v4, v5, vcc_lo
	v_mov_b32_dpp v5, v2 row_shr:4 row_mask:0xf bank_mask:0xf
	s_and_b32 vcc_lo, vcc_lo, s2
	v_and_b32_e32 v7, 1, v3
	v_mov_b32_dpp v6, v4 row_shr:8 row_mask:0xf bank_mask:0xf
	v_cndmask_b32_e32 v5, 0, v5, vcc_lo
	v_cmp_eq_u16_sdwa s2, v3, v1 src0_sel:BYTE_0 src1_sel:DWORD
	v_cmp_eq_u32_e32 vcc_lo, 1, v7
	v_and_b32_e32 v6, 1, v6
	v_add_nc_u32_e32 v2, v5, v2
	v_bfe_i32 v7, v20, 4, 1
	v_cndmask_b32_e64 v5, v6, 1, vcc_lo
	v_cmp_lt_u32_e32 vcc_lo, 7, v8
	v_mov_b32_dpp v6, v2 row_shr:8 row_mask:0xf bank_mask:0xf
	s_and_b32 s2, vcc_lo, s2
	v_cndmask_b32_e32 v4, v4, v5, vcc_lo
	v_cndmask_b32_e64 v6, 0, v6, s2
	v_cndmask_b32_e32 v3, v3, v5, vcc_lo
	ds_swizzle_b32 v5, v4 offset:swizzle(BROADCAST,32,15)
	v_add_nc_u32_e32 v2, v6, v2
	v_and_b32_e32 v8, 1, v3
	v_cmp_eq_u16_sdwa vcc_lo, v3, v1 src0_sel:BYTE_0 src1_sel:DWORD
	v_and_b32_e32 v3, 16, v20
	ds_swizzle_b32 v6, v2 offset:swizzle(BROADCAST,32,15)
	v_cmp_eq_u32_e64 s2, 0, v3
	s_waitcnt lgkmcnt(1)
	v_and_b32_e32 v5, 1, v5
	s_waitcnt lgkmcnt(0)
	v_cndmask_b32_e32 v1, 0, v6, vcc_lo
	v_cmp_eq_u32_e32 vcc_lo, 1, v8
	v_and_b32_e32 v1, v7, v1
	v_cndmask_b32_e64 v5, v5, 1, vcc_lo
	v_add_nc_u32_e32 v3, v1, v2
	v_cndmask_b32_e64 v4, v5, v4, s2
	v_lshlrev_b32_e32 v5, 3, v21
	s_mov_b32 s2, exec_lo
	v_cmpx_eq_u32_e64 v0, v22
	s_cbranch_execz .LBB1877_36
; %bb.35:
	ds_write_b32 v5, v3
	ds_write_b8 v5, v4 offset:4
.LBB1877_36:
	s_or_b32 exec_lo, exec_lo, s2
	s_mov_b32 s2, exec_lo
	s_waitcnt lgkmcnt(0)
	s_barrier
	buffer_gl0_inv
	v_cmpx_gt_u32_e32 8, v0
	s_cbranch_execz .LBB1877_42
; %bb.37:
	ds_read_b64 v[1:2], v18
	v_and_b32_e32 v6, 7, v20
	s_mov_b32 s3, exec_lo
	s_waitcnt lgkmcnt(0)
	v_and_b32_e32 v7, 0xffffff00, v2
	v_mov_b32_dpp v15, v1 row_shr:1 row_mask:0xf bank_mask:0xf
	v_mov_b32_dpp v16, v2 row_shr:1 row_mask:0xf bank_mask:0xf
	v_mov_b32_e32 v8, v2
	v_cmpx_ne_u32_e32 0, v6
	s_cbranch_execz .LBB1877_39
; %bb.38:
	v_mov_b32_e32 v8, 0
	v_and_b32_e32 v17, 1, v2
	v_and_b32_e32 v16, 1, v16
	v_cmp_eq_u16_sdwa vcc_lo, v2, v8 src0_sel:BYTE_0 src1_sel:DWORD
	v_cndmask_b32_e32 v2, 0, v15, vcc_lo
	v_cmp_eq_u32_e32 vcc_lo, 1, v17
	v_add_nc_u32_e32 v1, v2, v1
	v_cndmask_b32_e64 v15, v16, 1, vcc_lo
	v_or_b32_sdwa v8, v7, v15 dst_sel:DWORD dst_unused:UNUSED_PAD src0_sel:DWORD src1_sel:WORD_0
	v_mov_b32_e32 v2, v15
.LBB1877_39:
	s_or_b32 exec_lo, exec_lo, s3
	v_mov_b32_dpp v15, v1 row_shr:2 row_mask:0xf bank_mask:0xf
	v_mov_b32_dpp v16, v8 row_shr:2 row_mask:0xf bank_mask:0xf
	s_mov_b32 s3, exec_lo
	v_cmpx_lt_u32_e32 1, v6
	s_cbranch_execz .LBB1877_41
; %bb.40:
	v_mov_b32_e32 v8, 0
	v_and_b32_e32 v17, 1, v2
	v_and_b32_e32 v16, 1, v16
	v_cmp_eq_u16_sdwa vcc_lo, v2, v8 src0_sel:BYTE_0 src1_sel:DWORD
	v_cndmask_b32_e32 v2, 0, v15, vcc_lo
	v_cmp_eq_u32_e32 vcc_lo, 1, v17
	v_add_nc_u32_e32 v1, v2, v1
	v_cndmask_b32_e64 v15, v16, 1, vcc_lo
	v_or_b32_sdwa v8, v7, v15 dst_sel:DWORD dst_unused:UNUSED_PAD src0_sel:DWORD src1_sel:WORD_0
	v_mov_b32_e32 v2, v15
.LBB1877_41:
	s_or_b32 exec_lo, exec_lo, s3
	v_mov_b32_dpp v7, v8 row_shr:4 row_mask:0xf bank_mask:0xf
	v_and_b32_e32 v15, 1, v2
	v_mov_b32_e32 v8, 0
	v_and_b32_e32 v7, 1, v7
	v_cmp_eq_u32_e32 vcc_lo, 1, v15
	v_cmp_eq_u16_sdwa s3, v2, v8 src0_sel:BYTE_0 src1_sel:DWORD
	v_cndmask_b32_e64 v7, v7, 1, vcc_lo
	v_cmp_lt_u32_e32 vcc_lo, 3, v6
	v_mov_b32_dpp v6, v1 row_shr:4 row_mask:0xf bank_mask:0xf
	v_cndmask_b32_e32 v2, v2, v7, vcc_lo
	s_and_b32 vcc_lo, vcc_lo, s3
	v_cndmask_b32_e32 v6, 0, v6, vcc_lo
	v_add_nc_u32_e32 v1, v6, v1
	ds_write_b32 v18, v1
	ds_write_b8 v18, v2 offset:4
.LBB1877_42:
	s_or_b32 exec_lo, exec_lo, s2
	v_mov_b32_e32 v24, 0
	v_mov_b32_e32 v25, 0
	s_mov_b32 s3, exec_lo
	v_cmp_gt_u32_e32 vcc_lo, 32, v0
	s_waitcnt lgkmcnt(0)
	s_barrier
	buffer_gl0_inv
	v_cmpx_lt_u32_e32 31, v0
	s_cbranch_execz .LBB1877_44
; %bb.43:
	v_add_nc_u32_e32 v1, -8, v5
	v_cmp_eq_u32_e64 s2, 0, v4
	v_and_b32_e32 v2, 1, v4
	ds_read_b32 v24, v1
	v_add_nc_u32_e32 v1, -4, v5
	ds_read_u8 v25, v1
	s_waitcnt lgkmcnt(1)
	v_cndmask_b32_e64 v1, 0, v24, s2
	v_cmp_eq_u32_e64 s2, 1, v2
	v_add_nc_u32_e32 v3, v1, v3
	s_waitcnt lgkmcnt(0)
	v_cndmask_b32_e64 v4, v25, 1, s2
.LBB1877_44:
	s_or_b32 exec_lo, exec_lo, s3
	v_sub_co_u32 v1, s2, v20, 1
	v_cmp_gt_i32_e64 s3, 0, v1
	v_cndmask_b32_e64 v1, v1, v20, s3
	v_lshlrev_b32_e32 v1, 2, v1
	ds_bpermute_b32 v26, v1, v3
	ds_bpermute_b32 v27, v1, v4
	s_and_saveexec_b32 s12, vcc_lo
	s_cbranch_execz .LBB1877_64
; %bb.45:
	v_mov_b32_e32 v4, 0
	ds_read_b64 v[1:2], v4 offset:56
	s_and_saveexec_b32 s3, s2
	s_cbranch_execz .LBB1877_47
; %bb.46:
	s_add_i32 s4, s6, 32
	s_mov_b32 s5, 0
	v_mov_b32_e32 v3, 1
	s_lshl_b64 s[4:5], s[4:5], 4
	s_add_u32 s4, s24, s4
	s_addc_u32 s5, s25, s5
	v_mov_b32_e32 v6, s5
	v_mov_b32_e32 v5, s4
	s_waitcnt lgkmcnt(0)
	;;#ASMSTART
	global_store_dwordx4 v[5:6], v[1:4] off	
s_waitcnt vmcnt(0)
	;;#ASMEND
.LBB1877_47:
	s_or_b32 exec_lo, exec_lo, s3
	v_xad_u32 v15, v20, -1, s6
	s_mov_b32 s4, 0
	v_add_nc_u32_e32 v3, 32, v15
	v_lshlrev_b64 v[5:6], 4, v[3:4]
	v_add_co_u32 v16, vcc_lo, s24, v5
	v_add_co_ci_u32_e64 v17, null, s25, v6, vcc_lo
	;;#ASMSTART
	global_load_dwordx4 v[5:8], v[16:17] off glc dlc	
s_waitcnt vmcnt(0)
	;;#ASMEND
	v_and_b32_e32 v6, 0xff, v6
	v_cmp_eq_u16_sdwa s5, v7, v4 src0_sel:BYTE_0 src1_sel:DWORD
	s_and_saveexec_b32 s3, s5
	s_cbranch_execz .LBB1877_51
; %bb.48:
	v_mov_b32_e32 v3, 0
.LBB1877_49:                            ; =>This Inner Loop Header: Depth=1
	;;#ASMSTART
	global_load_dwordx4 v[5:8], v[16:17] off glc dlc	
s_waitcnt vmcnt(0)
	;;#ASMEND
	v_cmp_ne_u16_sdwa s5, v7, v3 src0_sel:BYTE_0 src1_sel:DWORD
	s_or_b32 s4, s5, s4
	s_andn2_b32 exec_lo, exec_lo, s4
	s_cbranch_execnz .LBB1877_49
; %bb.50:
	s_or_b32 exec_lo, exec_lo, s4
	v_and_b32_e32 v6, 0xff, v6
.LBB1877_51:
	s_or_b32 exec_lo, exec_lo, s3
	v_cmp_ne_u32_e32 vcc_lo, 31, v20
	v_mov_b32_e32 v28, 2
	v_lshlrev_b32_e64 v29, v20, -1
	v_and_b32_e32 v8, 1, v6
	s_mov_b32 s4, 0
	v_add_co_ci_u32_e64 v3, null, 0, v20, vcc_lo
	v_cmp_eq_u16_sdwa s3, v7, v28 src0_sel:BYTE_0 src1_sel:DWORD
	v_cmp_eq_u32_e32 vcc_lo, 1, v8
	s_mov_b32 s5, 1
	v_lshlrev_b32_e32 v17, 2, v3
	v_add_nc_u32_e32 v37, 8, v20
	v_and_or_b32 v4, s3, v29, 0x80000000
	v_cmp_gt_u64_e64 s3, s[4:5], v[5:6]
	v_lshl_or_b32 v38, v20, 2, 64
	ds_bpermute_b32 v3, v17, v6
	ds_bpermute_b32 v16, v17, v5
	v_ffbl_b32_e32 v4, v4
	v_add_nc_u32_e32 v39, 16, v20
	s_waitcnt lgkmcnt(1)
	v_and_b32_e32 v3, 1, v3
	v_cndmask_b32_e64 v3, v3, 1, vcc_lo
	v_cmp_gt_u32_e32 vcc_lo, 30, v20
	v_and_b32_e32 v31, 0xffff, v3
	v_cndmask_b32_e64 v8, 0, 2, vcc_lo
	v_cmp_lt_u32_e32 vcc_lo, v20, v4
	v_add_lshl_u32 v30, v8, v20, 2
	v_cndmask_b32_e32 v8, v6, v31, vcc_lo
	v_cndmask_b32_e32 v3, v6, v3, vcc_lo
	s_and_b32 vcc_lo, vcc_lo, s3
	s_waitcnt lgkmcnt(0)
	v_cndmask_b32_e32 v6, 0, v16, vcc_lo
	ds_bpermute_b32 v31, v30, v8
	v_and_b32_e32 v16, 1, v3
	v_add_nc_u32_e32 v5, v6, v5
	v_cmp_eq_u32_e32 vcc_lo, 1, v16
	v_mov_b32_e32 v16, 0
	ds_bpermute_b32 v6, v30, v5
	v_cmp_eq_u16_sdwa s3, v3, v16 src0_sel:BYTE_0 src1_sel:DWORD
	s_waitcnt lgkmcnt(1)
	v_and_b32_e32 v32, 1, v31
	v_add_nc_u32_e32 v31, 2, v20
	v_cndmask_b32_e64 v33, v32, 1, vcc_lo
	v_cmp_gt_u32_e32 vcc_lo, 28, v20
	v_and_b32_e32 v34, 0xffff, v33
	v_cndmask_b32_e64 v32, 0, 4, vcc_lo
	v_cmp_gt_u32_e32 vcc_lo, v31, v4
	v_add_lshl_u32 v32, v32, v20, 2
	v_cndmask_b32_e32 v8, v34, v8, vcc_lo
	v_cndmask_b32_e32 v35, v33, v3, vcc_lo
	s_waitcnt lgkmcnt(0)
	v_cndmask_b32_e64 v3, 0, v6, s3
	v_add_nc_u32_e32 v33, 4, v20
	ds_bpermute_b32 v6, v32, v8
	v_and_b32_e32 v34, 1, v35
	v_cndmask_b32_e64 v3, v3, 0, vcc_lo
	v_cmp_eq_u16_sdwa s3, v35, v16 src0_sel:BYTE_0 src1_sel:DWORD
	v_cmp_eq_u32_e32 vcc_lo, 1, v34
	v_add_nc_u32_e32 v3, v3, v5
	ds_bpermute_b32 v5, v32, v3
	s_waitcnt lgkmcnt(1)
	v_and_b32_e32 v6, 1, v6
	v_cndmask_b32_e64 v6, v6, 1, vcc_lo
	v_cmp_gt_u32_e32 vcc_lo, 24, v20
	v_and_b32_e32 v36, 0xffff, v6
	v_cndmask_b32_e64 v34, 0, 8, vcc_lo
	v_cmp_gt_u32_e32 vcc_lo, v33, v4
	s_waitcnt lgkmcnt(0)
	v_cndmask_b32_e64 v5, 0, v5, s3
	v_add_lshl_u32 v34, v34, v20, 2
	v_cndmask_b32_e32 v8, v36, v8, vcc_lo
	v_cndmask_b32_e32 v6, v6, v35, vcc_lo
	v_cndmask_b32_e64 v5, v5, 0, vcc_lo
	ds_bpermute_b32 v35, v34, v8
	v_and_b32_e32 v36, 1, v6
	v_add_nc_u32_e32 v3, v5, v3
	v_cmp_eq_u32_e32 vcc_lo, 1, v36
	ds_bpermute_b32 v5, v34, v3
	s_waitcnt lgkmcnt(1)
	v_and_b32_e32 v35, 1, v35
	v_cndmask_b32_e64 v35, v35, 1, vcc_lo
	v_cmp_eq_u16_sdwa vcc_lo, v6, v16 src0_sel:BYTE_0 src1_sel:DWORD
	v_and_b32_e32 v36, 0xffff, v35
	s_waitcnt lgkmcnt(0)
	v_cndmask_b32_e32 v5, 0, v5, vcc_lo
	v_cmp_gt_u32_e32 vcc_lo, v37, v4
	v_cndmask_b32_e64 v5, v5, 0, vcc_lo
	v_cndmask_b32_e32 v8, v36, v8, vcc_lo
	v_cndmask_b32_e32 v6, v35, v6, vcc_lo
	v_add_nc_u32_e32 v3, v5, v3
	ds_bpermute_b32 v5, v38, v8
	v_and_b32_e32 v35, 1, v6
	v_cmp_eq_u16_sdwa vcc_lo, v6, v16 src0_sel:BYTE_0 src1_sel:DWORD
	ds_bpermute_b32 v8, v38, v3
	s_waitcnt lgkmcnt(1)
	v_and_b32_e32 v5, 1, v5
	s_waitcnt lgkmcnt(0)
	v_cndmask_b32_e32 v8, 0, v8, vcc_lo
	v_cmp_eq_u32_e32 vcc_lo, 1, v35
	v_cndmask_b32_e64 v5, v5, 1, vcc_lo
	v_cmp_gt_u32_e32 vcc_lo, v39, v4
	v_cndmask_b32_e32 v4, v5, v6, vcc_lo
	v_cndmask_b32_e64 v5, v8, 0, vcc_lo
	v_add_nc_u32_e32 v3, v5, v3
	s_branch .LBB1877_55
.LBB1877_52:                            ;   in Loop: Header=BB1877_55 Depth=1
	s_or_b32 exec_lo, exec_lo, s13
	v_and_b32_e32 v6, 0xff, v6
.LBB1877_53:                            ;   in Loop: Header=BB1877_55 Depth=1
	s_or_b32 exec_lo, exec_lo, s3
	ds_bpermute_b32 v3, v17, v6
	v_cmp_eq_u16_sdwa s3, v7, v28 src0_sel:BYTE_0 src1_sel:DWORD
	v_and_b32_e32 v4, 1, v6
	v_subrev_nc_u32_e32 v15, 32, v15
	v_and_or_b32 v8, s3, v29, 0x80000000
	v_cmp_eq_u32_e32 vcc_lo, 1, v4
	v_cmp_gt_u64_e64 s3, s[4:5], v[5:6]
	v_ffbl_b32_e32 v4, v8
	ds_bpermute_b32 v8, v17, v5
	s_waitcnt lgkmcnt(1)
	v_and_b32_e32 v3, 1, v3
	v_cndmask_b32_e64 v3, v3, 1, vcc_lo
	v_cmp_lt_u32_e32 vcc_lo, v20, v4
	v_and_b32_e32 v40, 0xffff, v3
	v_cndmask_b32_e32 v3, v6, v3, vcc_lo
	v_cndmask_b32_e32 v40, v6, v40, vcc_lo
	s_and_b32 vcc_lo, vcc_lo, s3
	v_cmp_eq_u16_sdwa s3, v3, v16 src0_sel:BYTE_0 src1_sel:DWORD
	s_waitcnt lgkmcnt(0)
	v_cndmask_b32_e32 v6, 0, v8, vcc_lo
	v_and_b32_e32 v8, 1, v3
	ds_bpermute_b32 v41, v30, v40
	v_add_nc_u32_e32 v5, v6, v5
	v_cmp_eq_u32_e32 vcc_lo, 1, v8
	ds_bpermute_b32 v6, v30, v5
	s_waitcnt lgkmcnt(1)
	v_and_b32_e32 v41, 1, v41
	v_cndmask_b32_e64 v8, v41, 1, vcc_lo
	v_cmp_gt_u32_e32 vcc_lo, v31, v4
	v_and_b32_e32 v41, 0xffff, v8
	v_cndmask_b32_e32 v8, v8, v3, vcc_lo
	s_waitcnt lgkmcnt(0)
	v_cndmask_b32_e64 v3, 0, v6, s3
	v_cndmask_b32_e32 v40, v41, v40, vcc_lo
	v_and_b32_e32 v41, 1, v8
	v_cndmask_b32_e64 v3, v3, 0, vcc_lo
	v_cmp_eq_u16_sdwa s3, v8, v16 src0_sel:BYTE_0 src1_sel:DWORD
	ds_bpermute_b32 v6, v32, v40
	v_cmp_eq_u32_e32 vcc_lo, 1, v41
	v_add_nc_u32_e32 v3, v3, v5
	ds_bpermute_b32 v5, v32, v3
	s_waitcnt lgkmcnt(1)
	v_and_b32_e32 v6, 1, v6
	v_cndmask_b32_e64 v6, v6, 1, vcc_lo
	v_cmp_gt_u32_e32 vcc_lo, v33, v4
	s_waitcnt lgkmcnt(0)
	v_cndmask_b32_e64 v5, 0, v5, s3
	s_mov_b32 s3, 0
	v_and_b32_e32 v41, 0xffff, v6
	v_cndmask_b32_e32 v6, v6, v8, vcc_lo
	v_cndmask_b32_e64 v5, v5, 0, vcc_lo
	v_cndmask_b32_e32 v8, v41, v40, vcc_lo
	v_and_b32_e32 v41, 1, v6
	v_add_nc_u32_e32 v3, v5, v3
	ds_bpermute_b32 v40, v34, v8
	v_cmp_eq_u32_e32 vcc_lo, 1, v41
	ds_bpermute_b32 v5, v34, v3
	s_waitcnt lgkmcnt(1)
	v_and_b32_e32 v40, 1, v40
	v_cndmask_b32_e64 v40, v40, 1, vcc_lo
	v_cmp_eq_u16_sdwa vcc_lo, v6, v16 src0_sel:BYTE_0 src1_sel:DWORD
	v_and_b32_e32 v41, 0xffff, v40
	s_waitcnt lgkmcnt(0)
	v_cndmask_b32_e32 v5, 0, v5, vcc_lo
	v_cmp_gt_u32_e32 vcc_lo, v37, v4
	v_cndmask_b32_e64 v5, v5, 0, vcc_lo
	v_cndmask_b32_e32 v8, v41, v8, vcc_lo
	v_cndmask_b32_e32 v6, v40, v6, vcc_lo
	v_add_nc_u32_e32 v3, v5, v3
	ds_bpermute_b32 v5, v38, v8
	v_and_b32_e32 v40, 1, v6
	ds_bpermute_b32 v8, v38, v3
	v_cmp_eq_u32_e32 vcc_lo, 1, v40
	s_waitcnt lgkmcnt(1)
	v_cndmask_b32_e64 v5, v5, 1, vcc_lo
	v_cmp_eq_u16_sdwa vcc_lo, v6, v16 src0_sel:BYTE_0 src1_sel:DWORD
	s_waitcnt lgkmcnt(0)
	v_cndmask_b32_e32 v8, 0, v8, vcc_lo
	v_cmp_gt_u32_e32 vcc_lo, v39, v4
	v_cndmask_b32_e32 v4, v5, v6, vcc_lo
	v_cndmask_b32_e64 v5, v8, 0, vcc_lo
	v_cmp_eq_u16_sdwa vcc_lo, v35, v16 src0_sel:BYTE_0 src1_sel:DWORD
	v_and_b32_e32 v4, 1, v4
	v_add_nc_u32_e32 v3, v5, v3
	v_and_b32_e32 v5, 1, v35
	v_cndmask_b32_e32 v3, 0, v3, vcc_lo
	v_cmp_eq_u32_e32 vcc_lo, 1, v5
	v_add_nc_u32_e32 v3, v3, v36
	v_cndmask_b32_e64 v4, v4, 1, vcc_lo
.LBB1877_54:                            ;   in Loop: Header=BB1877_55 Depth=1
	s_and_b32 vcc_lo, exec_lo, s3
	s_cbranch_vccnz .LBB1877_60
.LBB1877_55:                            ; =>This Loop Header: Depth=1
                                        ;     Child Loop BB1877_58 Depth 2
	v_cmp_ne_u16_sdwa s3, v7, v28 src0_sel:BYTE_0 src1_sel:DWORD
	v_mov_b32_e32 v35, v4
	v_mov_b32_e32 v36, v3
                                        ; implicit-def: $vgpr4
                                        ; implicit-def: $vgpr3
                                        ; implicit-def: $vgpr7
	s_cmp_lg_u32 s3, exec_lo
	s_mov_b32 s3, -1
	s_cbranch_scc1 .LBB1877_54
; %bb.56:                               ;   in Loop: Header=BB1877_55 Depth=1
	v_lshlrev_b64 v[3:4], 4, v[15:16]
	v_add_co_u32 v3, vcc_lo, s24, v3
	v_add_co_ci_u32_e64 v4, null, s25, v4, vcc_lo
	;;#ASMSTART
	global_load_dwordx4 v[5:8], v[3:4] off glc dlc	
s_waitcnt vmcnt(0)
	;;#ASMEND
	v_and_b32_e32 v6, 0xff, v6
	v_cmp_eq_u16_sdwa s13, v7, v16 src0_sel:BYTE_0 src1_sel:DWORD
	s_and_saveexec_b32 s3, s13
	s_cbranch_execz .LBB1877_53
; %bb.57:                               ;   in Loop: Header=BB1877_55 Depth=1
	s_mov_b32 s13, 0
.LBB1877_58:                            ;   Parent Loop BB1877_55 Depth=1
                                        ; =>  This Inner Loop Header: Depth=2
	;;#ASMSTART
	global_load_dwordx4 v[5:8], v[3:4] off glc dlc	
s_waitcnt vmcnt(0)
	;;#ASMEND
	v_cmp_ne_u16_sdwa s16, v7, v16 src0_sel:BYTE_0 src1_sel:DWORD
	s_or_b32 s13, s16, s13
	s_andn2_b32 exec_lo, exec_lo, s13
	s_cbranch_execnz .LBB1877_58
	s_branch .LBB1877_52
.LBB1877_59:
                                        ; implicit-def: $vgpr7
                                        ; implicit-def: $vgpr5
                                        ; implicit-def: $vgpr6
	s_cbranch_execnz .LBB1877_65
	s_branch .LBB1877_82
.LBB1877_60:
	s_and_saveexec_b32 s3, s2
	s_cbranch_execz .LBB1877_62
; %bb.61:
	v_mov_b32_e32 v4, 0
	v_and_b32_e32 v3, 1, v2
	s_mov_b32 s5, 0
	s_add_i32 s4, s6, 32
	v_and_b32_e32 v5, 1, v35
	v_cmp_eq_u32_sdwa vcc_lo, v2, v4 src0_sel:BYTE_0 src1_sel:DWORD
	s_lshl_b64 s[4:5], s[4:5], 4
	s_add_u32 s4, s24, s4
	s_addc_u32 s5, s25, s5
	v_cndmask_b32_e32 v2, 0, v36, vcc_lo
	v_cmp_eq_u32_e32 vcc_lo, 1, v3
	v_mov_b32_e32 v3, 2
	v_add_nc_u32_e32 v1, v2, v1
	v_cndmask_b32_e64 v2, v5, 1, vcc_lo
	v_mov_b32_e32 v6, s5
	v_mov_b32_e32 v5, s4
	;;#ASMSTART
	global_store_dwordx4 v[5:6], v[1:4] off	
s_waitcnt vmcnt(0)
	;;#ASMEND
.LBB1877_62:
	s_or_b32 exec_lo, exec_lo, s3
	v_cmp_eq_u32_e32 vcc_lo, 0, v0
	s_and_b32 exec_lo, exec_lo, vcc_lo
	s_cbranch_execz .LBB1877_64
; %bb.63:
	v_mov_b32_e32 v1, 0
	ds_write_b32 v1, v36 offset:56
	ds_write_b8 v1, v35 offset:60
.LBB1877_64:
	s_or_b32 exec_lo, exec_lo, s12
	s_waitcnt lgkmcnt(0)
	v_cndmask_b32_e64 v2, v27, v25, s2
	v_and_b32_e32 v4, 1, v10
	v_mov_b32_e32 v1, 0
	v_cndmask_b32_e64 v5, v26, v24, s2
	s_mov_b32 s2, 0
	v_and_b32_e32 v2, 1, v2
	v_cmp_eq_u32_e32 vcc_lo, 1, v4
	s_mov_b32 s3, 1
	s_barrier
	buffer_gl0_inv
	v_cndmask_b32_e64 v2, v2, 1, vcc_lo
	v_cmp_gt_u64_e32 vcc_lo, s[2:3], v[9:10]
	ds_read_b32 v3, v1 offset:56
	v_cndmask_b32_e32 v4, 0, v5, vcc_lo
	v_cmp_eq_u32_e32 vcc_lo, 0, v0
	v_cndmask_b32_e32 v2, v2, v10, vcc_lo
	v_cndmask_b32_e64 v4, v4, 0, vcc_lo
	v_cmp_eq_u16_sdwa vcc_lo, v2, v1 src0_sel:BYTE_0 src1_sel:DWORD
	s_waitcnt lgkmcnt(0)
	v_cndmask_b32_e32 v1, 0, v3, vcc_lo
	v_add3_u32 v7, v4, v9, v1
	v_cndmask_b32_e64 v1, 0, v7, s0
	v_add_nc_u32_e32 v5, v1, v11
	v_cndmask_b32_e64 v1, 0, v5, s1
	v_add_nc_u32_e32 v6, v1, v13
	s_branch .LBB1877_82
.LBB1877_65:
	s_cmp_lg_u64 s[28:29], 0
	v_cmp_eq_u32_e32 vcc_lo, 0, v0
	s_cselect_b32 s1, -1, 0
	s_cmp_lg_u64 s[18:19], 0
	v_cmp_ne_u32_e64 s0, 0, v0
	s_cselect_b32 s2, -1, 0
	s_mov_b32 s4, 0
	s_and_b32 s1, s1, s2
	s_and_b32 s1, vcc_lo, s1
	s_and_saveexec_b32 s2, s1
	s_cbranch_execz .LBB1877_67
; %bb.66:
	v_mov_b32_e32 v1, 0
	s_mov_b32 s5, 1
	s_clause 0x1
	global_load_dword v2, v1, s[18:19]
	global_load_ubyte v3, v1, s[18:19] offset:4
	v_cmp_gt_u64_e64 s1, s[4:5], v[9:10]
	s_waitcnt vmcnt(1)
	v_cndmask_b32_e64 v4, 0, v2, s1
	v_and_b32_e32 v2, 1, v10
	s_waitcnt vmcnt(0)
	v_and_b32_e32 v3, 1, v3
	v_add_nc_u32_e32 v9, v4, v9
	v_cmp_eq_u64_e64 s1, 0, v[1:2]
	v_cndmask_b32_e64 v10, 1, v3, s1
.LBB1877_67:
	s_or_b32 exec_lo, exec_lo, s2
	v_and_b32_e32 v2, 0xff, v23
	v_mov_b32_e32 v1, 0
	s_mov_b32 s5, 1
	v_and_b32_e32 v7, 15, v20
	v_cmp_eq_u64_e64 s1, 0, v[1:2]
	v_cmp_eq_u32_e64 s3, 0, v7
	v_cndmask_b32_e64 v2, 1, v10, s1
	v_cmp_gt_u64_e64 s1, s[4:5], v[11:12]
	v_and_b32_e32 v3, 0xff, v2
	v_and_b32_e32 v6, 1, v2
	v_cndmask_b32_e64 v5, 0, v9, s1
	v_mov_b32_dpp v4, v3 row_shr:1 row_mask:0xf bank_mask:0xf
	v_cmp_eq_u32_e64 s2, 1, v6
	v_add_nc_u32_e32 v5, v5, v11
	v_and_b32_e32 v4, 1, v4
	v_cndmask_b32_e64 v4, v4, 1, s2
	v_cmp_gt_u64_e64 s2, s[4:5], v[13:14]
	v_cmp_eq_u16_e64 s4, 0, v3
	v_cndmask_b32_e64 v8, v4, v3, s3
	v_cndmask_b32_e64 v2, v4, v2, s3
	;; [unrolled: 1-line block ×3, first 2 shown]
	v_mov_b32_dpp v4, v8 row_shr:2 row_mask:0xf bank_mask:0xf
	v_and_b32_e32 v14, 1, v2
	v_add_nc_u32_e32 v6, v6, v13
	v_and_b32_e32 v4, 1, v4
	v_mov_b32_dpp v12, v6 row_shr:1 row_mask:0xf bank_mask:0xf
	v_cndmask_b32_e64 v3, 0, v12, s4
	v_cmp_eq_u32_e64 s4, 1, v14
	v_cndmask_b32_e64 v3, v3, 0, s3
	v_cndmask_b32_e64 v4, v4, 1, s4
	v_cmp_lt_u32_e64 s4, 1, v7
	v_cmp_eq_u16_sdwa s3, v2, v1 src0_sel:BYTE_0 src1_sel:DWORD
	v_add_nc_u32_e32 v3, v3, v6
	v_cndmask_b32_e64 v12, v2, v4, s4
	v_cndmask_b32_e64 v4, v8, v4, s4
	s_and_b32 s3, s4, s3
	v_mov_b32_dpp v2, v3 row_shr:2 row_mask:0xf bank_mask:0xf
	v_and_b32_e32 v14, 1, v12
	v_mov_b32_dpp v8, v4 row_shr:4 row_mask:0xf bank_mask:0xf
	v_cmp_eq_u16_sdwa s4, v12, v1 src0_sel:BYTE_0 src1_sel:DWORD
	v_cndmask_b32_e64 v2, 0, v2, s3
	v_cmp_eq_u32_e64 s3, 1, v14
	v_and_b32_e32 v8, 1, v8
	v_add_nc_u32_e32 v2, v2, v3
	v_cndmask_b32_e64 v8, v8, 1, s3
	v_cmp_lt_u32_e64 s3, 3, v7
	v_cndmask_b32_e64 v3, v12, v8, s3
	v_cndmask_b32_e64 v4, v4, v8, s3
	v_mov_b32_dpp v8, v2 row_shr:4 row_mask:0xf bank_mask:0xf
	s_and_b32 s3, s3, s4
	v_and_b32_e32 v14, 1, v3
	v_mov_b32_dpp v12, v4 row_shr:8 row_mask:0xf bank_mask:0xf
	v_cndmask_b32_e64 v8, 0, v8, s3
	v_cmp_eq_u16_sdwa s4, v3, v1 src0_sel:BYTE_0 src1_sel:DWORD
	v_cmp_eq_u32_e64 s3, 1, v14
	v_and_b32_e32 v12, 1, v12
	v_add_nc_u32_e32 v2, v8, v2
	v_cndmask_b32_e64 v8, v12, 1, s3
	v_cmp_lt_u32_e64 s3, 7, v7
	v_mov_b32_dpp v7, v2 row_shr:8 row_mask:0xf bank_mask:0xf
	v_bfe_i32 v12, v20, 4, 1
	s_and_b32 s4, s3, s4
	v_cndmask_b32_e64 v4, v4, v8, s3
	v_cndmask_b32_e64 v7, 0, v7, s4
	;; [unrolled: 1-line block ×3, first 2 shown]
	s_mov_b32 s4, exec_lo
	v_add_nc_u32_e32 v2, v7, v2
	ds_swizzle_b32 v7, v4 offset:swizzle(BROADCAST,32,15)
	v_and_b32_e32 v14, 1, v3
	v_cmp_eq_u16_sdwa s3, v3, v1 src0_sel:BYTE_0 src1_sel:DWORD
	v_and_b32_e32 v3, 16, v20
	ds_swizzle_b32 v8, v2 offset:swizzle(BROADCAST,32,15)
	s_waitcnt lgkmcnt(1)
	v_and_b32_e32 v7, 1, v7
	s_waitcnt lgkmcnt(0)
	v_cndmask_b32_e64 v1, 0, v8, s3
	v_cmp_eq_u32_e64 s3, 1, v14
	v_and_b32_e32 v1, v12, v1
	v_cndmask_b32_e64 v7, v7, 1, s3
	v_cmp_eq_u32_e64 s3, 0, v3
	v_add_nc_u32_e32 v3, v1, v2
	v_cndmask_b32_e64 v4, v7, v4, s3
	v_cmpx_eq_u32_e64 v0, v22
	s_cbranch_execz .LBB1877_69
; %bb.68:
	v_lshlrev_b32_e32 v1, 3, v21
	ds_write_b32 v1, v3
	ds_write_b8 v1, v4 offset:4
.LBB1877_69:
	s_or_b32 exec_lo, exec_lo, s4
	s_mov_b32 s4, exec_lo
	s_waitcnt lgkmcnt(0)
	s_barrier
	buffer_gl0_inv
	v_cmpx_gt_u32_e32 8, v0
	s_cbranch_execz .LBB1877_75
; %bb.70:
	ds_read_b64 v[1:2], v18
	v_and_b32_e32 v7, 7, v20
	s_mov_b32 s5, exec_lo
	s_waitcnt lgkmcnt(0)
	v_and_b32_e32 v8, 0xffffff00, v2
	v_mov_b32_dpp v14, v1 row_shr:1 row_mask:0xf bank_mask:0xf
	v_mov_b32_dpp v15, v2 row_shr:1 row_mask:0xf bank_mask:0xf
	v_mov_b32_e32 v12, v2
	v_cmpx_ne_u32_e32 0, v7
	s_cbranch_execz .LBB1877_72
; %bb.71:
	v_mov_b32_e32 v12, 0
	v_and_b32_e32 v16, 1, v2
	v_and_b32_e32 v15, 1, v15
	v_cmp_eq_u16_sdwa s3, v2, v12 src0_sel:BYTE_0 src1_sel:DWORD
	v_cndmask_b32_e64 v2, 0, v14, s3
	v_cmp_eq_u32_e64 s3, 1, v16
	v_add_nc_u32_e32 v1, v2, v1
	v_cndmask_b32_e64 v14, v15, 1, s3
	v_or_b32_sdwa v12, v8, v14 dst_sel:DWORD dst_unused:UNUSED_PAD src0_sel:DWORD src1_sel:WORD_0
	v_mov_b32_e32 v2, v14
.LBB1877_72:
	s_or_b32 exec_lo, exec_lo, s5
	v_mov_b32_dpp v14, v1 row_shr:2 row_mask:0xf bank_mask:0xf
	v_mov_b32_dpp v15, v12 row_shr:2 row_mask:0xf bank_mask:0xf
	s_mov_b32 s5, exec_lo
	v_cmpx_lt_u32_e32 1, v7
	s_cbranch_execz .LBB1877_74
; %bb.73:
	v_mov_b32_e32 v12, 0
	v_and_b32_e32 v16, 1, v2
	v_and_b32_e32 v15, 1, v15
	v_cmp_eq_u16_sdwa s3, v2, v12 src0_sel:BYTE_0 src1_sel:DWORD
	v_cndmask_b32_e64 v2, 0, v14, s3
	v_cmp_eq_u32_e64 s3, 1, v16
	v_add_nc_u32_e32 v1, v2, v1
	v_cndmask_b32_e64 v14, v15, 1, s3
	v_or_b32_sdwa v12, v8, v14 dst_sel:DWORD dst_unused:UNUSED_PAD src0_sel:DWORD src1_sel:WORD_0
	v_mov_b32_e32 v2, v14
.LBB1877_74:
	s_or_b32 exec_lo, exec_lo, s5
	v_mov_b32_dpp v8, v12 row_shr:4 row_mask:0xf bank_mask:0xf
	v_and_b32_e32 v14, 1, v2
	v_mov_b32_e32 v12, 0
	v_and_b32_e32 v8, 1, v8
	v_cmp_eq_u32_e64 s3, 1, v14
	v_cmp_eq_u16_sdwa s5, v2, v12 src0_sel:BYTE_0 src1_sel:DWORD
	v_cndmask_b32_e64 v8, v8, 1, s3
	v_cmp_lt_u32_e64 s3, 3, v7
	v_mov_b32_dpp v7, v1 row_shr:4 row_mask:0xf bank_mask:0xf
	v_cndmask_b32_e64 v2, v2, v8, s3
	s_and_b32 s3, s3, s5
	v_cndmask_b32_e64 v7, 0, v7, s3
	v_add_nc_u32_e32 v1, v7, v1
	ds_write_b32 v18, v1
	ds_write_b8 v18, v2 offset:4
.LBB1877_75:
	s_or_b32 exec_lo, exec_lo, s4
	v_mov_b32_e32 v1, 0
	s_mov_b32 s4, exec_lo
	s_waitcnt lgkmcnt(0)
	s_barrier
	buffer_gl0_inv
	v_cmpx_lt_u32_e32 31, v0
	s_cbranch_execz .LBB1877_77
; %bb.76:
	v_lshl_add_u32 v1, v21, 3, -8
	v_cmp_eq_u32_e64 s3, 0, v4
	ds_read_b32 v1, v1
	s_waitcnt lgkmcnt(0)
	v_cndmask_b32_e64 v2, 0, v1, s3
	v_add_nc_u32_e32 v3, v2, v3
.LBB1877_77:
	s_or_b32 exec_lo, exec_lo, s4
	v_add_nc_u32_e32 v2, -1, v20
	s_mov_b32 s4, 0
	v_cmp_gt_i32_e64 s3, 0, v2
	v_cndmask_b32_e64 v2, v2, v20, s3
	v_lshlrev_b32_e32 v2, 2, v2
	ds_bpermute_b32 v2, v2, v3
	s_and_saveexec_b32 s3, s0
	s_cbranch_execz .LBB1877_79
; %bb.78:
	v_cmp_eq_u32_e64 s0, 0, v20
	s_mov_b32 s5, 1
	;;#ASMSTART
	;;#ASMEND
	s_waitcnt lgkmcnt(0)
	v_cndmask_b32_e64 v1, v2, v1, s0
	v_cmp_gt_u64_e64 s0, s[4:5], v[9:10]
	v_cndmask_b32_e64 v1, 0, v1, s0
	v_add_nc_u32_e32 v9, v1, v9
	v_cndmask_b32_e64 v1, 0, v9, s1
	v_add_nc_u32_e32 v5, v1, v11
	;; [unrolled: 2-line block ×3, first 2 shown]
.LBB1877_79:
	s_or_b32 exec_lo, exec_lo, s3
	s_and_saveexec_b32 s0, vcc_lo
	s_cbranch_execz .LBB1877_81
; %bb.80:
	v_mov_b32_e32 v4, 0
	s_add_u32 s2, s24, 0x200
	s_addc_u32 s3, s25, 0
	v_mov_b32_e32 v3, 2
	v_mov_b32_e32 v8, s3
	ds_read_b32 v1, v4 offset:56
	s_waitcnt lgkmcnt(1)
	ds_read_u8 v2, v4 offset:60
	v_mov_b32_e32 v7, s2
	s_waitcnt lgkmcnt(0)
	;;#ASMSTART
	global_store_dwordx4 v[7:8], v[1:4] off	
s_waitcnt vmcnt(0)
	;;#ASMEND
.LBB1877_81:
	s_or_b32 exec_lo, exec_lo, s0
	v_mov_b32_e32 v7, v9
.LBB1877_82:
	s_add_u32 s0, s14, s10
	s_addc_u32 s1, s15, s11
	s_add_u32 s2, s0, s8
	s_addc_u32 s3, s1, s9
	s_and_b32 vcc_lo, exec_lo, s20
	s_cbranch_vccz .LBB1877_88
; %bb.83:
	v_mul_u32_u24_e32 v1, 3, v0
	s_add_i32 s7, s7, s26
	s_waitcnt lgkmcnt(0)
	s_barrier
	buffer_gl0_inv
	v_add_nc_u32_e32 v2, 1, v1
	v_add_nc_u32_e32 v3, 2, v1
	v_cmp_gt_u32_e32 vcc_lo, s7, v1
	v_lshlrev_b32_e32 v8, 2, v1
	v_cmp_gt_u32_e64 s0, s7, v2
	v_cmp_gt_u32_e64 s1, s7, v3
	v_cndmask_b32_e32 v2, 0, v7, vcc_lo
	v_sub_nc_u32_e32 v4, v8, v18
	s_and_b32 vcc_lo, vcc_lo, s0
	v_cndmask_b32_e32 v1, 0, v5, vcc_lo
	s_and_b32 vcc_lo, vcc_lo, s1
	v_cndmask_b32_e32 v3, 0, v6, vcc_lo
	ds_write2_b32 v8, v2, v1 offset1:1
	ds_write_b32 v8, v3 offset:8
	s_waitcnt lgkmcnt(0)
	s_barrier
	buffer_gl0_inv
	ds_read2st64_b32 v[1:2], v4 offset0:4 offset1:8
	v_add_co_u32 v3, s0, s2, v19
	v_add_co_ci_u32_e64 v4, null, s3, 0, s0
	s_mov_b32 s0, exec_lo
	v_cmpx_gt_u32_e64 s7, v0
	s_cbranch_execz .LBB1877_85
; %bb.84:
	v_sub_nc_u32_e32 v9, 0, v18
	v_add_nc_u32_e32 v8, v8, v9
	ds_read_b32 v8, v8
	s_waitcnt lgkmcnt(0)
	flat_store_dword v[3:4], v8
.LBB1877_85:
	s_or_b32 exec_lo, exec_lo, s0
	v_or_b32_e32 v8, 0x100, v0
	s_mov_b32 s0, exec_lo
	v_cmpx_gt_u32_e64 s7, v8
	s_cbranch_execz .LBB1877_87
; %bb.86:
	s_waitcnt lgkmcnt(0)
	flat_store_dword v[3:4], v1 offset:1024
.LBB1877_87:
	s_or_b32 exec_lo, exec_lo, s0
	s_waitcnt lgkmcnt(0)
	v_or_b32_e32 v1, 0x200, v0
	v_cmp_gt_u32_e64 s0, s7, v1
	s_branch .LBB1877_90
.LBB1877_88:
	s_mov_b32 s0, 0
                                        ; implicit-def: $vgpr2
	s_cbranch_execz .LBB1877_90
; %bb.89:
	v_mul_u32_u24_e32 v1, 12, v0
	s_waitcnt lgkmcnt(0)
	s_waitcnt_vscnt null, 0x0
	s_barrier
	buffer_gl0_inv
	s_or_b32 s0, s0, exec_lo
	v_sub_nc_u32_e32 v2, v1, v18
	ds_write2_b32 v1, v7, v5 offset1:1
	ds_write_b32 v1, v6 offset:8
	s_waitcnt lgkmcnt(0)
	s_barrier
	buffer_gl0_inv
	ds_read2st64_b32 v[3:4], v2 offset1:4
	ds_read_b32 v2, v2 offset:2048
	v_lshlrev_b32_e32 v1, 2, v0
	v_add_co_u32 v5, s1, s2, v1
	v_add_co_ci_u32_e64 v6, null, s3, 0, s1
	s_waitcnt lgkmcnt(1)
	flat_store_dword v[5:6], v3
	flat_store_dword v[5:6], v4 offset:1024
.LBB1877_90:
	s_and_saveexec_b32 s1, s0
	s_cbranch_execnz .LBB1877_92
; %bb.91:
	s_endpgm
.LBB1877_92:
	v_lshlrev_b32_e32 v0, 2, v0
	v_add_co_u32 v0, s0, s2, v0
	v_add_co_ci_u32_e64 v1, null, s3, 0, s0
	v_add_co_u32 v0, vcc_lo, 0x800, v0
	v_add_co_ci_u32_e64 v1, null, 0, v1, vcc_lo
	s_waitcnt lgkmcnt(0)
	flat_store_dword v[0:1], v2
	s_endpgm
.LBB1877_93:
	v_add_co_u32 v10, s0, s3, v6
	v_add_co_ci_u32_e64 v11, null, s21, 0, s0
	flat_load_dword v10, v[10:11]
	s_or_b32 exec_lo, exec_lo, s16
	s_and_saveexec_b32 s0, s1
	s_cbranch_execz .LBB1877_15
.LBB1877_94:
	v_add_co_u32 v8, s1, s3, v6
	v_add_co_ci_u32_e64 v9, null, s21, 0, s1
	flat_load_dword v9, v[8:9] offset:1024
	s_or_b32 exec_lo, exec_lo, s0
	v_mov_b32_e32 v11, 0
	s_and_saveexec_b32 s0, s2
	s_cbranch_execnz .LBB1877_16
	s_branch .LBB1877_17
.LBB1877_95:
                                        ; implicit-def: $sgpr16_sgpr17
	s_branch .LBB1877_10
.LBB1877_96:
                                        ; implicit-def: $sgpr0_sgpr1
	s_branch .LBB1877_26
	.section	.rodata,"a",@progbits
	.p2align	6, 0x0
	.amdhsa_kernel _ZN7rocprim17ROCPRIM_400000_NS6detail17trampoline_kernelINS0_14default_configENS1_27scan_by_key_config_selectorIj11FixedVectorIiLj1EEEEZZNS1_16scan_by_key_implILNS1_25lookback_scan_determinismE0ELb0ES3_N6thrust23THRUST_200600_302600_NS6detail15normal_iteratorINSB_10device_ptrIjEEEENSD_INSE_IS6_EEEESI_S6_NSB_4plusIvEENSB_8equal_toIvEES6_EE10hipError_tPvRmT2_T3_T4_T5_mT6_T7_P12ihipStream_tbENKUlT_T0_E_clISt17integral_constantIbLb0EES13_EEDaSY_SZ_EUlSY_E_NS1_11comp_targetILNS1_3genE8ELNS1_11target_archE1030ELNS1_3gpuE2ELNS1_3repE0EEENS1_30default_config_static_selectorELNS0_4arch9wavefront6targetE0EEEvT1_
		.amdhsa_group_segment_fixed_size 5120
		.amdhsa_private_segment_fixed_size 0
		.amdhsa_kernarg_size 112
		.amdhsa_user_sgpr_count 6
		.amdhsa_user_sgpr_private_segment_buffer 1
		.amdhsa_user_sgpr_dispatch_ptr 0
		.amdhsa_user_sgpr_queue_ptr 0
		.amdhsa_user_sgpr_kernarg_segment_ptr 1
		.amdhsa_user_sgpr_dispatch_id 0
		.amdhsa_user_sgpr_flat_scratch_init 0
		.amdhsa_user_sgpr_private_segment_size 0
		.amdhsa_wavefront_size32 1
		.amdhsa_uses_dynamic_stack 0
		.amdhsa_system_sgpr_private_segment_wavefront_offset 0
		.amdhsa_system_sgpr_workgroup_id_x 1
		.amdhsa_system_sgpr_workgroup_id_y 0
		.amdhsa_system_sgpr_workgroup_id_z 0
		.amdhsa_system_sgpr_workgroup_info 0
		.amdhsa_system_vgpr_workitem_id 0
		.amdhsa_next_free_vgpr 42
		.amdhsa_next_free_sgpr 31
		.amdhsa_reserve_vcc 1
		.amdhsa_reserve_flat_scratch 1
		.amdhsa_float_round_mode_32 0
		.amdhsa_float_round_mode_16_64 0
		.amdhsa_float_denorm_mode_32 3
		.amdhsa_float_denorm_mode_16_64 3
		.amdhsa_dx10_clamp 1
		.amdhsa_ieee_mode 1
		.amdhsa_fp16_overflow 0
		.amdhsa_workgroup_processor_mode 1
		.amdhsa_memory_ordered 1
		.amdhsa_forward_progress 1
		.amdhsa_shared_vgpr_count 0
		.amdhsa_exception_fp_ieee_invalid_op 0
		.amdhsa_exception_fp_denorm_src 0
		.amdhsa_exception_fp_ieee_div_zero 0
		.amdhsa_exception_fp_ieee_overflow 0
		.amdhsa_exception_fp_ieee_underflow 0
		.amdhsa_exception_fp_ieee_inexact 0
		.amdhsa_exception_int_div_zero 0
	.end_amdhsa_kernel
	.section	.text._ZN7rocprim17ROCPRIM_400000_NS6detail17trampoline_kernelINS0_14default_configENS1_27scan_by_key_config_selectorIj11FixedVectorIiLj1EEEEZZNS1_16scan_by_key_implILNS1_25lookback_scan_determinismE0ELb0ES3_N6thrust23THRUST_200600_302600_NS6detail15normal_iteratorINSB_10device_ptrIjEEEENSD_INSE_IS6_EEEESI_S6_NSB_4plusIvEENSB_8equal_toIvEES6_EE10hipError_tPvRmT2_T3_T4_T5_mT6_T7_P12ihipStream_tbENKUlT_T0_E_clISt17integral_constantIbLb0EES13_EEDaSY_SZ_EUlSY_E_NS1_11comp_targetILNS1_3genE8ELNS1_11target_archE1030ELNS1_3gpuE2ELNS1_3repE0EEENS1_30default_config_static_selectorELNS0_4arch9wavefront6targetE0EEEvT1_,"axG",@progbits,_ZN7rocprim17ROCPRIM_400000_NS6detail17trampoline_kernelINS0_14default_configENS1_27scan_by_key_config_selectorIj11FixedVectorIiLj1EEEEZZNS1_16scan_by_key_implILNS1_25lookback_scan_determinismE0ELb0ES3_N6thrust23THRUST_200600_302600_NS6detail15normal_iteratorINSB_10device_ptrIjEEEENSD_INSE_IS6_EEEESI_S6_NSB_4plusIvEENSB_8equal_toIvEES6_EE10hipError_tPvRmT2_T3_T4_T5_mT6_T7_P12ihipStream_tbENKUlT_T0_E_clISt17integral_constantIbLb0EES13_EEDaSY_SZ_EUlSY_E_NS1_11comp_targetILNS1_3genE8ELNS1_11target_archE1030ELNS1_3gpuE2ELNS1_3repE0EEENS1_30default_config_static_selectorELNS0_4arch9wavefront6targetE0EEEvT1_,comdat
.Lfunc_end1877:
	.size	_ZN7rocprim17ROCPRIM_400000_NS6detail17trampoline_kernelINS0_14default_configENS1_27scan_by_key_config_selectorIj11FixedVectorIiLj1EEEEZZNS1_16scan_by_key_implILNS1_25lookback_scan_determinismE0ELb0ES3_N6thrust23THRUST_200600_302600_NS6detail15normal_iteratorINSB_10device_ptrIjEEEENSD_INSE_IS6_EEEESI_S6_NSB_4plusIvEENSB_8equal_toIvEES6_EE10hipError_tPvRmT2_T3_T4_T5_mT6_T7_P12ihipStream_tbENKUlT_T0_E_clISt17integral_constantIbLb0EES13_EEDaSY_SZ_EUlSY_E_NS1_11comp_targetILNS1_3genE8ELNS1_11target_archE1030ELNS1_3gpuE2ELNS1_3repE0EEENS1_30default_config_static_selectorELNS0_4arch9wavefront6targetE0EEEvT1_, .Lfunc_end1877-_ZN7rocprim17ROCPRIM_400000_NS6detail17trampoline_kernelINS0_14default_configENS1_27scan_by_key_config_selectorIj11FixedVectorIiLj1EEEEZZNS1_16scan_by_key_implILNS1_25lookback_scan_determinismE0ELb0ES3_N6thrust23THRUST_200600_302600_NS6detail15normal_iteratorINSB_10device_ptrIjEEEENSD_INSE_IS6_EEEESI_S6_NSB_4plusIvEENSB_8equal_toIvEES6_EE10hipError_tPvRmT2_T3_T4_T5_mT6_T7_P12ihipStream_tbENKUlT_T0_E_clISt17integral_constantIbLb0EES13_EEDaSY_SZ_EUlSY_E_NS1_11comp_targetILNS1_3genE8ELNS1_11target_archE1030ELNS1_3gpuE2ELNS1_3repE0EEENS1_30default_config_static_selectorELNS0_4arch9wavefront6targetE0EEEvT1_
                                        ; -- End function
	.set _ZN7rocprim17ROCPRIM_400000_NS6detail17trampoline_kernelINS0_14default_configENS1_27scan_by_key_config_selectorIj11FixedVectorIiLj1EEEEZZNS1_16scan_by_key_implILNS1_25lookback_scan_determinismE0ELb0ES3_N6thrust23THRUST_200600_302600_NS6detail15normal_iteratorINSB_10device_ptrIjEEEENSD_INSE_IS6_EEEESI_S6_NSB_4plusIvEENSB_8equal_toIvEES6_EE10hipError_tPvRmT2_T3_T4_T5_mT6_T7_P12ihipStream_tbENKUlT_T0_E_clISt17integral_constantIbLb0EES13_EEDaSY_SZ_EUlSY_E_NS1_11comp_targetILNS1_3genE8ELNS1_11target_archE1030ELNS1_3gpuE2ELNS1_3repE0EEENS1_30default_config_static_selectorELNS0_4arch9wavefront6targetE0EEEvT1_.num_vgpr, 42
	.set _ZN7rocprim17ROCPRIM_400000_NS6detail17trampoline_kernelINS0_14default_configENS1_27scan_by_key_config_selectorIj11FixedVectorIiLj1EEEEZZNS1_16scan_by_key_implILNS1_25lookback_scan_determinismE0ELb0ES3_N6thrust23THRUST_200600_302600_NS6detail15normal_iteratorINSB_10device_ptrIjEEEENSD_INSE_IS6_EEEESI_S6_NSB_4plusIvEENSB_8equal_toIvEES6_EE10hipError_tPvRmT2_T3_T4_T5_mT6_T7_P12ihipStream_tbENKUlT_T0_E_clISt17integral_constantIbLb0EES13_EEDaSY_SZ_EUlSY_E_NS1_11comp_targetILNS1_3genE8ELNS1_11target_archE1030ELNS1_3gpuE2ELNS1_3repE0EEENS1_30default_config_static_selectorELNS0_4arch9wavefront6targetE0EEEvT1_.num_agpr, 0
	.set _ZN7rocprim17ROCPRIM_400000_NS6detail17trampoline_kernelINS0_14default_configENS1_27scan_by_key_config_selectorIj11FixedVectorIiLj1EEEEZZNS1_16scan_by_key_implILNS1_25lookback_scan_determinismE0ELb0ES3_N6thrust23THRUST_200600_302600_NS6detail15normal_iteratorINSB_10device_ptrIjEEEENSD_INSE_IS6_EEEESI_S6_NSB_4plusIvEENSB_8equal_toIvEES6_EE10hipError_tPvRmT2_T3_T4_T5_mT6_T7_P12ihipStream_tbENKUlT_T0_E_clISt17integral_constantIbLb0EES13_EEDaSY_SZ_EUlSY_E_NS1_11comp_targetILNS1_3genE8ELNS1_11target_archE1030ELNS1_3gpuE2ELNS1_3repE0EEENS1_30default_config_static_selectorELNS0_4arch9wavefront6targetE0EEEvT1_.numbered_sgpr, 31
	.set _ZN7rocprim17ROCPRIM_400000_NS6detail17trampoline_kernelINS0_14default_configENS1_27scan_by_key_config_selectorIj11FixedVectorIiLj1EEEEZZNS1_16scan_by_key_implILNS1_25lookback_scan_determinismE0ELb0ES3_N6thrust23THRUST_200600_302600_NS6detail15normal_iteratorINSB_10device_ptrIjEEEENSD_INSE_IS6_EEEESI_S6_NSB_4plusIvEENSB_8equal_toIvEES6_EE10hipError_tPvRmT2_T3_T4_T5_mT6_T7_P12ihipStream_tbENKUlT_T0_E_clISt17integral_constantIbLb0EES13_EEDaSY_SZ_EUlSY_E_NS1_11comp_targetILNS1_3genE8ELNS1_11target_archE1030ELNS1_3gpuE2ELNS1_3repE0EEENS1_30default_config_static_selectorELNS0_4arch9wavefront6targetE0EEEvT1_.num_named_barrier, 0
	.set _ZN7rocprim17ROCPRIM_400000_NS6detail17trampoline_kernelINS0_14default_configENS1_27scan_by_key_config_selectorIj11FixedVectorIiLj1EEEEZZNS1_16scan_by_key_implILNS1_25lookback_scan_determinismE0ELb0ES3_N6thrust23THRUST_200600_302600_NS6detail15normal_iteratorINSB_10device_ptrIjEEEENSD_INSE_IS6_EEEESI_S6_NSB_4plusIvEENSB_8equal_toIvEES6_EE10hipError_tPvRmT2_T3_T4_T5_mT6_T7_P12ihipStream_tbENKUlT_T0_E_clISt17integral_constantIbLb0EES13_EEDaSY_SZ_EUlSY_E_NS1_11comp_targetILNS1_3genE8ELNS1_11target_archE1030ELNS1_3gpuE2ELNS1_3repE0EEENS1_30default_config_static_selectorELNS0_4arch9wavefront6targetE0EEEvT1_.private_seg_size, 0
	.set _ZN7rocprim17ROCPRIM_400000_NS6detail17trampoline_kernelINS0_14default_configENS1_27scan_by_key_config_selectorIj11FixedVectorIiLj1EEEEZZNS1_16scan_by_key_implILNS1_25lookback_scan_determinismE0ELb0ES3_N6thrust23THRUST_200600_302600_NS6detail15normal_iteratorINSB_10device_ptrIjEEEENSD_INSE_IS6_EEEESI_S6_NSB_4plusIvEENSB_8equal_toIvEES6_EE10hipError_tPvRmT2_T3_T4_T5_mT6_T7_P12ihipStream_tbENKUlT_T0_E_clISt17integral_constantIbLb0EES13_EEDaSY_SZ_EUlSY_E_NS1_11comp_targetILNS1_3genE8ELNS1_11target_archE1030ELNS1_3gpuE2ELNS1_3repE0EEENS1_30default_config_static_selectorELNS0_4arch9wavefront6targetE0EEEvT1_.uses_vcc, 1
	.set _ZN7rocprim17ROCPRIM_400000_NS6detail17trampoline_kernelINS0_14default_configENS1_27scan_by_key_config_selectorIj11FixedVectorIiLj1EEEEZZNS1_16scan_by_key_implILNS1_25lookback_scan_determinismE0ELb0ES3_N6thrust23THRUST_200600_302600_NS6detail15normal_iteratorINSB_10device_ptrIjEEEENSD_INSE_IS6_EEEESI_S6_NSB_4plusIvEENSB_8equal_toIvEES6_EE10hipError_tPvRmT2_T3_T4_T5_mT6_T7_P12ihipStream_tbENKUlT_T0_E_clISt17integral_constantIbLb0EES13_EEDaSY_SZ_EUlSY_E_NS1_11comp_targetILNS1_3genE8ELNS1_11target_archE1030ELNS1_3gpuE2ELNS1_3repE0EEENS1_30default_config_static_selectorELNS0_4arch9wavefront6targetE0EEEvT1_.uses_flat_scratch, 1
	.set _ZN7rocprim17ROCPRIM_400000_NS6detail17trampoline_kernelINS0_14default_configENS1_27scan_by_key_config_selectorIj11FixedVectorIiLj1EEEEZZNS1_16scan_by_key_implILNS1_25lookback_scan_determinismE0ELb0ES3_N6thrust23THRUST_200600_302600_NS6detail15normal_iteratorINSB_10device_ptrIjEEEENSD_INSE_IS6_EEEESI_S6_NSB_4plusIvEENSB_8equal_toIvEES6_EE10hipError_tPvRmT2_T3_T4_T5_mT6_T7_P12ihipStream_tbENKUlT_T0_E_clISt17integral_constantIbLb0EES13_EEDaSY_SZ_EUlSY_E_NS1_11comp_targetILNS1_3genE8ELNS1_11target_archE1030ELNS1_3gpuE2ELNS1_3repE0EEENS1_30default_config_static_selectorELNS0_4arch9wavefront6targetE0EEEvT1_.has_dyn_sized_stack, 0
	.set _ZN7rocprim17ROCPRIM_400000_NS6detail17trampoline_kernelINS0_14default_configENS1_27scan_by_key_config_selectorIj11FixedVectorIiLj1EEEEZZNS1_16scan_by_key_implILNS1_25lookback_scan_determinismE0ELb0ES3_N6thrust23THRUST_200600_302600_NS6detail15normal_iteratorINSB_10device_ptrIjEEEENSD_INSE_IS6_EEEESI_S6_NSB_4plusIvEENSB_8equal_toIvEES6_EE10hipError_tPvRmT2_T3_T4_T5_mT6_T7_P12ihipStream_tbENKUlT_T0_E_clISt17integral_constantIbLb0EES13_EEDaSY_SZ_EUlSY_E_NS1_11comp_targetILNS1_3genE8ELNS1_11target_archE1030ELNS1_3gpuE2ELNS1_3repE0EEENS1_30default_config_static_selectorELNS0_4arch9wavefront6targetE0EEEvT1_.has_recursion, 0
	.set _ZN7rocprim17ROCPRIM_400000_NS6detail17trampoline_kernelINS0_14default_configENS1_27scan_by_key_config_selectorIj11FixedVectorIiLj1EEEEZZNS1_16scan_by_key_implILNS1_25lookback_scan_determinismE0ELb0ES3_N6thrust23THRUST_200600_302600_NS6detail15normal_iteratorINSB_10device_ptrIjEEEENSD_INSE_IS6_EEEESI_S6_NSB_4plusIvEENSB_8equal_toIvEES6_EE10hipError_tPvRmT2_T3_T4_T5_mT6_T7_P12ihipStream_tbENKUlT_T0_E_clISt17integral_constantIbLb0EES13_EEDaSY_SZ_EUlSY_E_NS1_11comp_targetILNS1_3genE8ELNS1_11target_archE1030ELNS1_3gpuE2ELNS1_3repE0EEENS1_30default_config_static_selectorELNS0_4arch9wavefront6targetE0EEEvT1_.has_indirect_call, 0
	.section	.AMDGPU.csdata,"",@progbits
; Kernel info:
; codeLenInByte = 6160
; TotalNumSgprs: 33
; NumVgprs: 42
; ScratchSize: 0
; MemoryBound: 0
; FloatMode: 240
; IeeeMode: 1
; LDSByteSize: 5120 bytes/workgroup (compile time only)
; SGPRBlocks: 0
; VGPRBlocks: 5
; NumSGPRsForWavesPerEU: 33
; NumVGPRsForWavesPerEU: 42
; Occupancy: 16
; WaveLimiterHint : 1
; COMPUTE_PGM_RSRC2:SCRATCH_EN: 0
; COMPUTE_PGM_RSRC2:USER_SGPR: 6
; COMPUTE_PGM_RSRC2:TRAP_HANDLER: 0
; COMPUTE_PGM_RSRC2:TGID_X_EN: 1
; COMPUTE_PGM_RSRC2:TGID_Y_EN: 0
; COMPUTE_PGM_RSRC2:TGID_Z_EN: 0
; COMPUTE_PGM_RSRC2:TIDIG_COMP_CNT: 0
	.section	.text._ZN7rocprim17ROCPRIM_400000_NS6detail30init_device_scan_by_key_kernelINS1_19lookback_scan_stateINS0_5tupleIJ11FixedVectorIiLj1EEbEEELb1ELb1EEEN6thrust23THRUST_200600_302600_NS6detail15normal_iteratorINSA_10device_ptrIjEEEEjNS1_16block_id_wrapperIjLb1EEEEEvT_jjPNSI_10value_typeET0_PNSt15iterator_traitsISL_E10value_typeEmT1_T2_,"axG",@progbits,_ZN7rocprim17ROCPRIM_400000_NS6detail30init_device_scan_by_key_kernelINS1_19lookback_scan_stateINS0_5tupleIJ11FixedVectorIiLj1EEbEEELb1ELb1EEEN6thrust23THRUST_200600_302600_NS6detail15normal_iteratorINSA_10device_ptrIjEEEEjNS1_16block_id_wrapperIjLb1EEEEEvT_jjPNSI_10value_typeET0_PNSt15iterator_traitsISL_E10value_typeEmT1_T2_,comdat
	.protected	_ZN7rocprim17ROCPRIM_400000_NS6detail30init_device_scan_by_key_kernelINS1_19lookback_scan_stateINS0_5tupleIJ11FixedVectorIiLj1EEbEEELb1ELb1EEEN6thrust23THRUST_200600_302600_NS6detail15normal_iteratorINSA_10device_ptrIjEEEEjNS1_16block_id_wrapperIjLb1EEEEEvT_jjPNSI_10value_typeET0_PNSt15iterator_traitsISL_E10value_typeEmT1_T2_ ; -- Begin function _ZN7rocprim17ROCPRIM_400000_NS6detail30init_device_scan_by_key_kernelINS1_19lookback_scan_stateINS0_5tupleIJ11FixedVectorIiLj1EEbEEELb1ELb1EEEN6thrust23THRUST_200600_302600_NS6detail15normal_iteratorINSA_10device_ptrIjEEEEjNS1_16block_id_wrapperIjLb1EEEEEvT_jjPNSI_10value_typeET0_PNSt15iterator_traitsISL_E10value_typeEmT1_T2_
	.globl	_ZN7rocprim17ROCPRIM_400000_NS6detail30init_device_scan_by_key_kernelINS1_19lookback_scan_stateINS0_5tupleIJ11FixedVectorIiLj1EEbEEELb1ELb1EEEN6thrust23THRUST_200600_302600_NS6detail15normal_iteratorINSA_10device_ptrIjEEEEjNS1_16block_id_wrapperIjLb1EEEEEvT_jjPNSI_10value_typeET0_PNSt15iterator_traitsISL_E10value_typeEmT1_T2_
	.p2align	8
	.type	_ZN7rocprim17ROCPRIM_400000_NS6detail30init_device_scan_by_key_kernelINS1_19lookback_scan_stateINS0_5tupleIJ11FixedVectorIiLj1EEbEEELb1ELb1EEEN6thrust23THRUST_200600_302600_NS6detail15normal_iteratorINSA_10device_ptrIjEEEEjNS1_16block_id_wrapperIjLb1EEEEEvT_jjPNSI_10value_typeET0_PNSt15iterator_traitsISL_E10value_typeEmT1_T2_,@function
_ZN7rocprim17ROCPRIM_400000_NS6detail30init_device_scan_by_key_kernelINS1_19lookback_scan_stateINS0_5tupleIJ11FixedVectorIiLj1EEbEEELb1ELb1EEEN6thrust23THRUST_200600_302600_NS6detail15normal_iteratorINSA_10device_ptrIjEEEEjNS1_16block_id_wrapperIjLb1EEEEEvT_jjPNSI_10value_typeET0_PNSt15iterator_traitsISL_E10value_typeEmT1_T2_: ; @_ZN7rocprim17ROCPRIM_400000_NS6detail30init_device_scan_by_key_kernelINS1_19lookback_scan_stateINS0_5tupleIJ11FixedVectorIiLj1EEbEEELb1ELb1EEEN6thrust23THRUST_200600_302600_NS6detail15normal_iteratorINSA_10device_ptrIjEEEEjNS1_16block_id_wrapperIjLb1EEEEEvT_jjPNSI_10value_typeET0_PNSt15iterator_traitsISL_E10value_typeEmT1_T2_
; %bb.0:
	s_clause 0x2
	s_load_dword s0, s[4:5], 0x4c
	s_load_dwordx8 s[8:15], s[4:5], 0x0
	s_load_dword s7, s[4:5], 0x40
	s_waitcnt lgkmcnt(0)
	s_and_b32 s16, s0, 0xffff
	s_cmp_eq_u64 s[12:13], 0
	v_mad_u64_u32 v[4:5], null, s6, s16, v[0:1]
	s_cbranch_scc1 .LBB1878_10
; %bb.1:
	s_cmp_lt_u32 s11, s10
	s_mov_b32 s1, 0
	s_cselect_b32 s0, s11, 0
	s_mov_b32 s2, exec_lo
	v_cmpx_eq_u32_e64 s0, v4
	s_cbranch_execz .LBB1878_9
; %bb.2:
	s_add_i32 s0, s11, 32
	v_mov_b32_e32 v6, 0
	s_lshl_b64 s[0:1], s[0:1], 4
	s_mov_b32 s3, exec_lo
	s_add_u32 s0, s8, s0
	s_addc_u32 s1, s9, s1
	v_mov_b32_e32 v0, s0
	v_mov_b32_e32 v1, s1
	;;#ASMSTART
	global_load_dwordx4 v[0:3], v[0:1] off glc dlc	
s_waitcnt vmcnt(0)
	;;#ASMEND
	v_and_b32_e32 v5, 0xff, v2
	v_cmpx_eq_u64_e32 0, v[5:6]
	s_cbranch_execz .LBB1878_8
; %bb.3:
	v_mov_b32_e32 v8, s1
	v_mov_b32_e32 v7, s0
	s_mov_b32 s1, 1
	s_mov_b32 s0, 0
	.p2align	6
.LBB1878_4:                             ; =>This Loop Header: Depth=1
                                        ;     Child Loop BB1878_5 Depth 2
	s_mov_b32 s6, s1
.LBB1878_5:                             ;   Parent Loop BB1878_4 Depth=1
                                        ; =>  This Inner Loop Header: Depth=2
	s_add_i32 s6, s6, -1
	s_sleep 1
	s_cmp_eq_u32 s6, 0
	s_cbranch_scc0 .LBB1878_5
; %bb.6:                                ;   in Loop: Header=BB1878_4 Depth=1
	;;#ASMSTART
	global_load_dwordx4 v[0:3], v[7:8] off glc dlc	
s_waitcnt vmcnt(0)
	;;#ASMEND
	v_and_b32_e32 v5, 0xff, v2
	s_cmp_lt_u32 s1, 32
	s_cselect_b32 s6, -1, 0
	v_cmp_ne_u64_e32 vcc_lo, 0, v[5:6]
	s_cmp_lg_u32 s6, 0
	s_addc_u32 s1, s1, 0
	s_or_b32 s0, vcc_lo, s0
	s_andn2_b32 exec_lo, exec_lo, s0
	s_cbranch_execnz .LBB1878_4
; %bb.7:
	s_or_b32 exec_lo, exec_lo, s0
.LBB1878_8:
	s_or_b32 exec_lo, exec_lo, s3
	v_mov_b32_e32 v2, 0
	global_store_dword v2, v0, s[12:13]
	global_store_byte v2, v1, s[12:13] offset:4
.LBB1878_9:
	s_or_b32 exec_lo, exec_lo, s2
.LBB1878_10:
	s_mov_b32 s0, exec_lo
	v_cmpx_eq_u32_e32 0, v4
	s_cbranch_execz .LBB1878_12
; %bb.11:
	s_load_dwordx2 s[2:3], s[4:5], 0x38
	v_mov_b32_e32 v0, 0
	s_waitcnt lgkmcnt(0)
	global_store_dword v0, v0, s[2:3]
.LBB1878_12:
	s_or_b32 exec_lo, exec_lo, s0
	s_mov_b32 s0, exec_lo
	v_cmpx_gt_u32_e64 s10, v4
	s_cbranch_execz .LBB1878_14
; %bb.13:
	v_add_nc_u32_e32 v0, 32, v4
	v_mov_b32_e32 v1, 0
	v_lshlrev_b64 v[5:6], 4, v[0:1]
	v_mov_b32_e32 v0, v1
	v_mov_b32_e32 v2, v1
	;; [unrolled: 1-line block ×3, first 2 shown]
	v_add_co_u32 v5, vcc_lo, s8, v5
	v_add_co_ci_u32_e64 v6, null, s9, v6, vcc_lo
	global_store_dwordx4 v[5:6], v[0:3], off
.LBB1878_14:
	s_or_b32 exec_lo, exec_lo, s0
	v_mov_b32_e32 v5, 0
	s_mov_b32 s0, exec_lo
	v_cmpx_gt_u32_e32 32, v4
	s_cbranch_execz .LBB1878_16
; %bb.15:
	v_lshlrev_b64 v[6:7], 4, v[4:5]
	v_mov_b32_e32 v2, 0xff
	v_mov_b32_e32 v0, v5
	;; [unrolled: 1-line block ×4, first 2 shown]
	v_add_co_u32 v6, vcc_lo, s8, v6
	v_add_co_ci_u32_e64 v7, null, s9, v7, vcc_lo
	global_store_dwordx4 v[6:7], v[0:3], off
.LBB1878_16:
	s_or_b32 exec_lo, exec_lo, s0
	s_load_dwordx2 s[2:3], s[4:5], 0x28
	s_mov_b32 s0, exec_lo
	s_waitcnt lgkmcnt(0)
	v_cmpx_gt_u64_e64 s[2:3], v[4:5]
	s_cbranch_execz .LBB1878_19
; %bb.17:
	s_clause 0x1
	s_load_dword s6, s[4:5], 0x30
	s_load_dwordx2 s[8:9], s[4:5], 0x20
	s_mov_b32 s1, 0
	v_lshlrev_b64 v[2:3], 2, v[4:5]
	s_mul_i32 s4, s7, s16
	s_waitcnt lgkmcnt(0)
	v_mad_u64_u32 v[0:1], null, s6, v4, 0
	s_add_i32 s0, s6, -1
	s_mul_hi_u32 s7, s6, s4
	s_lshl_b64 s[10:11], s[0:1], 2
	s_mul_i32 s6, s6, s4
	s_add_u32 s0, s14, s10
	s_addc_u32 s5, s15, s11
	v_lshlrev_b64 v[0:1], 2, v[0:1]
	s_lshl_b64 s[6:7], s[6:7], 2
	v_add_co_u32 v0, vcc_lo, s0, v0
	v_add_co_ci_u32_e64 v1, null, s5, v1, vcc_lo
	v_add_co_u32 v2, vcc_lo, s8, v2
	v_add_co_ci_u32_e64 v3, null, s9, v3, vcc_lo
	s_mov_b32 s5, s1
	s_lshl_b64 s[8:9], s[4:5], 2
	.p2align	6
.LBB1878_18:                            ; =>This Inner Loop Header: Depth=1
	global_load_dword v6, v[0:1], off
	v_add_co_u32 v4, vcc_lo, v4, s4
	v_add_co_ci_u32_e64 v5, null, 0, v5, vcc_lo
	v_add_co_u32 v0, vcc_lo, v0, s6
	v_add_co_ci_u32_e64 v1, null, s7, v1, vcc_lo
	v_cmp_le_u64_e32 vcc_lo, s[2:3], v[4:5]
	s_or_b32 s1, vcc_lo, s1
	s_waitcnt vmcnt(0)
	global_store_dword v[2:3], v6, off
	v_add_co_u32 v2, s0, v2, s8
	v_add_co_ci_u32_e64 v3, null, s9, v3, s0
	s_andn2_b32 exec_lo, exec_lo, s1
	s_cbranch_execnz .LBB1878_18
.LBB1878_19:
	s_endpgm
	.section	.rodata,"a",@progbits
	.p2align	6, 0x0
	.amdhsa_kernel _ZN7rocprim17ROCPRIM_400000_NS6detail30init_device_scan_by_key_kernelINS1_19lookback_scan_stateINS0_5tupleIJ11FixedVectorIiLj1EEbEEELb1ELb1EEEN6thrust23THRUST_200600_302600_NS6detail15normal_iteratorINSA_10device_ptrIjEEEEjNS1_16block_id_wrapperIjLb1EEEEEvT_jjPNSI_10value_typeET0_PNSt15iterator_traitsISL_E10value_typeEmT1_T2_
		.amdhsa_group_segment_fixed_size 0
		.amdhsa_private_segment_fixed_size 0
		.amdhsa_kernarg_size 320
		.amdhsa_user_sgpr_count 6
		.amdhsa_user_sgpr_private_segment_buffer 1
		.amdhsa_user_sgpr_dispatch_ptr 0
		.amdhsa_user_sgpr_queue_ptr 0
		.amdhsa_user_sgpr_kernarg_segment_ptr 1
		.amdhsa_user_sgpr_dispatch_id 0
		.amdhsa_user_sgpr_flat_scratch_init 0
		.amdhsa_user_sgpr_private_segment_size 0
		.amdhsa_wavefront_size32 1
		.amdhsa_uses_dynamic_stack 0
		.amdhsa_system_sgpr_private_segment_wavefront_offset 0
		.amdhsa_system_sgpr_workgroup_id_x 1
		.amdhsa_system_sgpr_workgroup_id_y 0
		.amdhsa_system_sgpr_workgroup_id_z 0
		.amdhsa_system_sgpr_workgroup_info 0
		.amdhsa_system_vgpr_workitem_id 0
		.amdhsa_next_free_vgpr 9
		.amdhsa_next_free_sgpr 17
		.amdhsa_reserve_vcc 1
		.amdhsa_reserve_flat_scratch 0
		.amdhsa_float_round_mode_32 0
		.amdhsa_float_round_mode_16_64 0
		.amdhsa_float_denorm_mode_32 3
		.amdhsa_float_denorm_mode_16_64 3
		.amdhsa_dx10_clamp 1
		.amdhsa_ieee_mode 1
		.amdhsa_fp16_overflow 0
		.amdhsa_workgroup_processor_mode 1
		.amdhsa_memory_ordered 1
		.amdhsa_forward_progress 1
		.amdhsa_shared_vgpr_count 0
		.amdhsa_exception_fp_ieee_invalid_op 0
		.amdhsa_exception_fp_denorm_src 0
		.amdhsa_exception_fp_ieee_div_zero 0
		.amdhsa_exception_fp_ieee_overflow 0
		.amdhsa_exception_fp_ieee_underflow 0
		.amdhsa_exception_fp_ieee_inexact 0
		.amdhsa_exception_int_div_zero 0
	.end_amdhsa_kernel
	.section	.text._ZN7rocprim17ROCPRIM_400000_NS6detail30init_device_scan_by_key_kernelINS1_19lookback_scan_stateINS0_5tupleIJ11FixedVectorIiLj1EEbEEELb1ELb1EEEN6thrust23THRUST_200600_302600_NS6detail15normal_iteratorINSA_10device_ptrIjEEEEjNS1_16block_id_wrapperIjLb1EEEEEvT_jjPNSI_10value_typeET0_PNSt15iterator_traitsISL_E10value_typeEmT1_T2_,"axG",@progbits,_ZN7rocprim17ROCPRIM_400000_NS6detail30init_device_scan_by_key_kernelINS1_19lookback_scan_stateINS0_5tupleIJ11FixedVectorIiLj1EEbEEELb1ELb1EEEN6thrust23THRUST_200600_302600_NS6detail15normal_iteratorINSA_10device_ptrIjEEEEjNS1_16block_id_wrapperIjLb1EEEEEvT_jjPNSI_10value_typeET0_PNSt15iterator_traitsISL_E10value_typeEmT1_T2_,comdat
.Lfunc_end1878:
	.size	_ZN7rocprim17ROCPRIM_400000_NS6detail30init_device_scan_by_key_kernelINS1_19lookback_scan_stateINS0_5tupleIJ11FixedVectorIiLj1EEbEEELb1ELb1EEEN6thrust23THRUST_200600_302600_NS6detail15normal_iteratorINSA_10device_ptrIjEEEEjNS1_16block_id_wrapperIjLb1EEEEEvT_jjPNSI_10value_typeET0_PNSt15iterator_traitsISL_E10value_typeEmT1_T2_, .Lfunc_end1878-_ZN7rocprim17ROCPRIM_400000_NS6detail30init_device_scan_by_key_kernelINS1_19lookback_scan_stateINS0_5tupleIJ11FixedVectorIiLj1EEbEEELb1ELb1EEEN6thrust23THRUST_200600_302600_NS6detail15normal_iteratorINSA_10device_ptrIjEEEEjNS1_16block_id_wrapperIjLb1EEEEEvT_jjPNSI_10value_typeET0_PNSt15iterator_traitsISL_E10value_typeEmT1_T2_
                                        ; -- End function
	.set _ZN7rocprim17ROCPRIM_400000_NS6detail30init_device_scan_by_key_kernelINS1_19lookback_scan_stateINS0_5tupleIJ11FixedVectorIiLj1EEbEEELb1ELb1EEEN6thrust23THRUST_200600_302600_NS6detail15normal_iteratorINSA_10device_ptrIjEEEEjNS1_16block_id_wrapperIjLb1EEEEEvT_jjPNSI_10value_typeET0_PNSt15iterator_traitsISL_E10value_typeEmT1_T2_.num_vgpr, 9
	.set _ZN7rocprim17ROCPRIM_400000_NS6detail30init_device_scan_by_key_kernelINS1_19lookback_scan_stateINS0_5tupleIJ11FixedVectorIiLj1EEbEEELb1ELb1EEEN6thrust23THRUST_200600_302600_NS6detail15normal_iteratorINSA_10device_ptrIjEEEEjNS1_16block_id_wrapperIjLb1EEEEEvT_jjPNSI_10value_typeET0_PNSt15iterator_traitsISL_E10value_typeEmT1_T2_.num_agpr, 0
	.set _ZN7rocprim17ROCPRIM_400000_NS6detail30init_device_scan_by_key_kernelINS1_19lookback_scan_stateINS0_5tupleIJ11FixedVectorIiLj1EEbEEELb1ELb1EEEN6thrust23THRUST_200600_302600_NS6detail15normal_iteratorINSA_10device_ptrIjEEEEjNS1_16block_id_wrapperIjLb1EEEEEvT_jjPNSI_10value_typeET0_PNSt15iterator_traitsISL_E10value_typeEmT1_T2_.numbered_sgpr, 17
	.set _ZN7rocprim17ROCPRIM_400000_NS6detail30init_device_scan_by_key_kernelINS1_19lookback_scan_stateINS0_5tupleIJ11FixedVectorIiLj1EEbEEELb1ELb1EEEN6thrust23THRUST_200600_302600_NS6detail15normal_iteratorINSA_10device_ptrIjEEEEjNS1_16block_id_wrapperIjLb1EEEEEvT_jjPNSI_10value_typeET0_PNSt15iterator_traitsISL_E10value_typeEmT1_T2_.num_named_barrier, 0
	.set _ZN7rocprim17ROCPRIM_400000_NS6detail30init_device_scan_by_key_kernelINS1_19lookback_scan_stateINS0_5tupleIJ11FixedVectorIiLj1EEbEEELb1ELb1EEEN6thrust23THRUST_200600_302600_NS6detail15normal_iteratorINSA_10device_ptrIjEEEEjNS1_16block_id_wrapperIjLb1EEEEEvT_jjPNSI_10value_typeET0_PNSt15iterator_traitsISL_E10value_typeEmT1_T2_.private_seg_size, 0
	.set _ZN7rocprim17ROCPRIM_400000_NS6detail30init_device_scan_by_key_kernelINS1_19lookback_scan_stateINS0_5tupleIJ11FixedVectorIiLj1EEbEEELb1ELb1EEEN6thrust23THRUST_200600_302600_NS6detail15normal_iteratorINSA_10device_ptrIjEEEEjNS1_16block_id_wrapperIjLb1EEEEEvT_jjPNSI_10value_typeET0_PNSt15iterator_traitsISL_E10value_typeEmT1_T2_.uses_vcc, 1
	.set _ZN7rocprim17ROCPRIM_400000_NS6detail30init_device_scan_by_key_kernelINS1_19lookback_scan_stateINS0_5tupleIJ11FixedVectorIiLj1EEbEEELb1ELb1EEEN6thrust23THRUST_200600_302600_NS6detail15normal_iteratorINSA_10device_ptrIjEEEEjNS1_16block_id_wrapperIjLb1EEEEEvT_jjPNSI_10value_typeET0_PNSt15iterator_traitsISL_E10value_typeEmT1_T2_.uses_flat_scratch, 0
	.set _ZN7rocprim17ROCPRIM_400000_NS6detail30init_device_scan_by_key_kernelINS1_19lookback_scan_stateINS0_5tupleIJ11FixedVectorIiLj1EEbEEELb1ELb1EEEN6thrust23THRUST_200600_302600_NS6detail15normal_iteratorINSA_10device_ptrIjEEEEjNS1_16block_id_wrapperIjLb1EEEEEvT_jjPNSI_10value_typeET0_PNSt15iterator_traitsISL_E10value_typeEmT1_T2_.has_dyn_sized_stack, 0
	.set _ZN7rocprim17ROCPRIM_400000_NS6detail30init_device_scan_by_key_kernelINS1_19lookback_scan_stateINS0_5tupleIJ11FixedVectorIiLj1EEbEEELb1ELb1EEEN6thrust23THRUST_200600_302600_NS6detail15normal_iteratorINSA_10device_ptrIjEEEEjNS1_16block_id_wrapperIjLb1EEEEEvT_jjPNSI_10value_typeET0_PNSt15iterator_traitsISL_E10value_typeEmT1_T2_.has_recursion, 0
	.set _ZN7rocprim17ROCPRIM_400000_NS6detail30init_device_scan_by_key_kernelINS1_19lookback_scan_stateINS0_5tupleIJ11FixedVectorIiLj1EEbEEELb1ELb1EEEN6thrust23THRUST_200600_302600_NS6detail15normal_iteratorINSA_10device_ptrIjEEEEjNS1_16block_id_wrapperIjLb1EEEEEvT_jjPNSI_10value_typeET0_PNSt15iterator_traitsISL_E10value_typeEmT1_T2_.has_indirect_call, 0
	.section	.AMDGPU.csdata,"",@progbits
; Kernel info:
; codeLenInByte = 792
; TotalNumSgprs: 19
; NumVgprs: 9
; ScratchSize: 0
; MemoryBound: 0
; FloatMode: 240
; IeeeMode: 1
; LDSByteSize: 0 bytes/workgroup (compile time only)
; SGPRBlocks: 0
; VGPRBlocks: 1
; NumSGPRsForWavesPerEU: 19
; NumVGPRsForWavesPerEU: 9
; Occupancy: 16
; WaveLimiterHint : 0
; COMPUTE_PGM_RSRC2:SCRATCH_EN: 0
; COMPUTE_PGM_RSRC2:USER_SGPR: 6
; COMPUTE_PGM_RSRC2:TRAP_HANDLER: 0
; COMPUTE_PGM_RSRC2:TGID_X_EN: 1
; COMPUTE_PGM_RSRC2:TGID_Y_EN: 0
; COMPUTE_PGM_RSRC2:TGID_Z_EN: 0
; COMPUTE_PGM_RSRC2:TIDIG_COMP_CNT: 0
	.section	.text._ZN7rocprim17ROCPRIM_400000_NS6detail30init_device_scan_by_key_kernelINS1_19lookback_scan_stateINS0_5tupleIJ11FixedVectorIiLj1EEbEEELb1ELb1EEENS1_16block_id_wrapperIjLb1EEEEEvT_jjPNSB_10value_typeET0_,"axG",@progbits,_ZN7rocprim17ROCPRIM_400000_NS6detail30init_device_scan_by_key_kernelINS1_19lookback_scan_stateINS0_5tupleIJ11FixedVectorIiLj1EEbEEELb1ELb1EEENS1_16block_id_wrapperIjLb1EEEEEvT_jjPNSB_10value_typeET0_,comdat
	.protected	_ZN7rocprim17ROCPRIM_400000_NS6detail30init_device_scan_by_key_kernelINS1_19lookback_scan_stateINS0_5tupleIJ11FixedVectorIiLj1EEbEEELb1ELb1EEENS1_16block_id_wrapperIjLb1EEEEEvT_jjPNSB_10value_typeET0_ ; -- Begin function _ZN7rocprim17ROCPRIM_400000_NS6detail30init_device_scan_by_key_kernelINS1_19lookback_scan_stateINS0_5tupleIJ11FixedVectorIiLj1EEbEEELb1ELb1EEENS1_16block_id_wrapperIjLb1EEEEEvT_jjPNSB_10value_typeET0_
	.globl	_ZN7rocprim17ROCPRIM_400000_NS6detail30init_device_scan_by_key_kernelINS1_19lookback_scan_stateINS0_5tupleIJ11FixedVectorIiLj1EEbEEELb1ELb1EEENS1_16block_id_wrapperIjLb1EEEEEvT_jjPNSB_10value_typeET0_
	.p2align	8
	.type	_ZN7rocprim17ROCPRIM_400000_NS6detail30init_device_scan_by_key_kernelINS1_19lookback_scan_stateINS0_5tupleIJ11FixedVectorIiLj1EEbEEELb1ELb1EEENS1_16block_id_wrapperIjLb1EEEEEvT_jjPNSB_10value_typeET0_,@function
_ZN7rocprim17ROCPRIM_400000_NS6detail30init_device_scan_by_key_kernelINS1_19lookback_scan_stateINS0_5tupleIJ11FixedVectorIiLj1EEbEEELb1ELb1EEENS1_16block_id_wrapperIjLb1EEEEEvT_jjPNSB_10value_typeET0_: ; @_ZN7rocprim17ROCPRIM_400000_NS6detail30init_device_scan_by_key_kernelINS1_19lookback_scan_stateINS0_5tupleIJ11FixedVectorIiLj1EEbEEELb1ELb1EEENS1_16block_id_wrapperIjLb1EEEEEvT_jjPNSB_10value_typeET0_
; %bb.0:
	s_clause 0x1
	s_load_dword s0, s[4:5], 0x2c
	s_load_dwordx8 s[8:15], s[4:5], 0x0
	s_waitcnt lgkmcnt(0)
	s_and_b32 s0, s0, 0xffff
	s_cmp_eq_u64 s[12:13], 0
	v_mad_u64_u32 v[0:1], null, s6, s0, v[0:1]
	s_cbranch_scc1 .LBB1879_10
; %bb.1:
	s_cmp_lt_u32 s11, s10
	s_mov_b32 s1, 0
	s_cselect_b32 s0, s11, 0
	s_mov_b32 s2, exec_lo
	v_cmpx_eq_u32_e64 s0, v0
	s_cbranch_execz .LBB1879_9
; %bb.2:
	s_add_i32 s0, s11, 32
	v_mov_b32_e32 v5, 0
	s_lshl_b64 s[0:1], s[0:1], 4
	s_mov_b32 s3, exec_lo
	s_add_u32 s0, s8, s0
	s_addc_u32 s1, s9, s1
	v_mov_b32_e32 v2, s1
	v_mov_b32_e32 v1, s0
	;;#ASMSTART
	global_load_dwordx4 v[1:4], v[1:2] off glc dlc	
s_waitcnt vmcnt(0)
	;;#ASMEND
	v_and_b32_e32 v4, 0xff, v3
	v_cmpx_eq_u64_e32 0, v[4:5]
	s_cbranch_execz .LBB1879_8
; %bb.3:
	v_mov_b32_e32 v7, s1
	v_mov_b32_e32 v6, s0
	s_mov_b32 s1, 1
	s_mov_b32 s0, 0
	.p2align	6
.LBB1879_4:                             ; =>This Loop Header: Depth=1
                                        ;     Child Loop BB1879_5 Depth 2
	s_mov_b32 s4, s1
.LBB1879_5:                             ;   Parent Loop BB1879_4 Depth=1
                                        ; =>  This Inner Loop Header: Depth=2
	s_add_i32 s4, s4, -1
	s_sleep 1
	s_cmp_eq_u32 s4, 0
	s_cbranch_scc0 .LBB1879_5
; %bb.6:                                ;   in Loop: Header=BB1879_4 Depth=1
	;;#ASMSTART
	global_load_dwordx4 v[1:4], v[6:7] off glc dlc	
s_waitcnt vmcnt(0)
	;;#ASMEND
	v_and_b32_e32 v4, 0xff, v3
	s_cmp_lt_u32 s1, 32
	s_cselect_b32 s4, -1, 0
	s_cmp_lg_u32 s4, 0
	v_cmp_ne_u64_e32 vcc_lo, 0, v[4:5]
	s_addc_u32 s1, s1, 0
	s_or_b32 s0, vcc_lo, s0
	s_andn2_b32 exec_lo, exec_lo, s0
	s_cbranch_execnz .LBB1879_4
; %bb.7:
	s_or_b32 exec_lo, exec_lo, s0
.LBB1879_8:
	s_or_b32 exec_lo, exec_lo, s3
	v_mov_b32_e32 v3, 0
	global_store_dword v3, v1, s[12:13]
	global_store_byte v3, v2, s[12:13] offset:4
.LBB1879_9:
	s_or_b32 exec_lo, exec_lo, s2
.LBB1879_10:
	s_mov_b32 s0, exec_lo
	v_cmpx_eq_u32_e32 0, v0
	s_cbranch_execz .LBB1879_12
; %bb.11:
	v_mov_b32_e32 v1, 0
	global_store_dword v1, v1, s[14:15]
.LBB1879_12:
	s_or_b32 exec_lo, exec_lo, s0
	s_mov_b32 s0, exec_lo
	v_cmpx_gt_u32_e64 s10, v0
	s_cbranch_execz .LBB1879_14
; %bb.13:
	v_add_nc_u32_e32 v1, 32, v0
	v_mov_b32_e32 v2, 0
	v_lshlrev_b64 v[4:5], 4, v[1:2]
	v_mov_b32_e32 v1, v2
	v_mov_b32_e32 v3, v2
	v_add_co_u32 v6, vcc_lo, s8, v4
	v_add_co_ci_u32_e64 v7, null, s9, v5, vcc_lo
	v_mov_b32_e32 v4, v2
	global_store_dwordx4 v[6:7], v[1:4], off
.LBB1879_14:
	s_or_b32 exec_lo, exec_lo, s0
	s_mov_b32 s0, exec_lo
	v_cmpx_gt_u32_e32 32, v0
	s_cbranch_execz .LBB1879_16
; %bb.15:
	v_mov_b32_e32 v1, 0
	v_mov_b32_e32 v2, 0xff
	v_lshlrev_b64 v[3:4], 4, v[0:1]
	v_mov_b32_e32 v0, v1
	v_add_co_u32 v5, vcc_lo, s8, v3
	v_add_co_ci_u32_e64 v6, null, s9, v4, vcc_lo
	v_mov_b32_e32 v3, v1
	global_store_dwordx4 v[5:6], v[0:3], off
.LBB1879_16:
	s_endpgm
	.section	.rodata,"a",@progbits
	.p2align	6, 0x0
	.amdhsa_kernel _ZN7rocprim17ROCPRIM_400000_NS6detail30init_device_scan_by_key_kernelINS1_19lookback_scan_stateINS0_5tupleIJ11FixedVectorIiLj1EEbEEELb1ELb1EEENS1_16block_id_wrapperIjLb1EEEEEvT_jjPNSB_10value_typeET0_
		.amdhsa_group_segment_fixed_size 0
		.amdhsa_private_segment_fixed_size 0
		.amdhsa_kernarg_size 288
		.amdhsa_user_sgpr_count 6
		.amdhsa_user_sgpr_private_segment_buffer 1
		.amdhsa_user_sgpr_dispatch_ptr 0
		.amdhsa_user_sgpr_queue_ptr 0
		.amdhsa_user_sgpr_kernarg_segment_ptr 1
		.amdhsa_user_sgpr_dispatch_id 0
		.amdhsa_user_sgpr_flat_scratch_init 0
		.amdhsa_user_sgpr_private_segment_size 0
		.amdhsa_wavefront_size32 1
		.amdhsa_uses_dynamic_stack 0
		.amdhsa_system_sgpr_private_segment_wavefront_offset 0
		.amdhsa_system_sgpr_workgroup_id_x 1
		.amdhsa_system_sgpr_workgroup_id_y 0
		.amdhsa_system_sgpr_workgroup_id_z 0
		.amdhsa_system_sgpr_workgroup_info 0
		.amdhsa_system_vgpr_workitem_id 0
		.amdhsa_next_free_vgpr 8
		.amdhsa_next_free_sgpr 16
		.amdhsa_reserve_vcc 1
		.amdhsa_reserve_flat_scratch 0
		.amdhsa_float_round_mode_32 0
		.amdhsa_float_round_mode_16_64 0
		.amdhsa_float_denorm_mode_32 3
		.amdhsa_float_denorm_mode_16_64 3
		.amdhsa_dx10_clamp 1
		.amdhsa_ieee_mode 1
		.amdhsa_fp16_overflow 0
		.amdhsa_workgroup_processor_mode 1
		.amdhsa_memory_ordered 1
		.amdhsa_forward_progress 1
		.amdhsa_shared_vgpr_count 0
		.amdhsa_exception_fp_ieee_invalid_op 0
		.amdhsa_exception_fp_denorm_src 0
		.amdhsa_exception_fp_ieee_div_zero 0
		.amdhsa_exception_fp_ieee_overflow 0
		.amdhsa_exception_fp_ieee_underflow 0
		.amdhsa_exception_fp_ieee_inexact 0
		.amdhsa_exception_int_div_zero 0
	.end_amdhsa_kernel
	.section	.text._ZN7rocprim17ROCPRIM_400000_NS6detail30init_device_scan_by_key_kernelINS1_19lookback_scan_stateINS0_5tupleIJ11FixedVectorIiLj1EEbEEELb1ELb1EEENS1_16block_id_wrapperIjLb1EEEEEvT_jjPNSB_10value_typeET0_,"axG",@progbits,_ZN7rocprim17ROCPRIM_400000_NS6detail30init_device_scan_by_key_kernelINS1_19lookback_scan_stateINS0_5tupleIJ11FixedVectorIiLj1EEbEEELb1ELb1EEENS1_16block_id_wrapperIjLb1EEEEEvT_jjPNSB_10value_typeET0_,comdat
.Lfunc_end1879:
	.size	_ZN7rocprim17ROCPRIM_400000_NS6detail30init_device_scan_by_key_kernelINS1_19lookback_scan_stateINS0_5tupleIJ11FixedVectorIiLj1EEbEEELb1ELb1EEENS1_16block_id_wrapperIjLb1EEEEEvT_jjPNSB_10value_typeET0_, .Lfunc_end1879-_ZN7rocprim17ROCPRIM_400000_NS6detail30init_device_scan_by_key_kernelINS1_19lookback_scan_stateINS0_5tupleIJ11FixedVectorIiLj1EEbEEELb1ELb1EEENS1_16block_id_wrapperIjLb1EEEEEvT_jjPNSB_10value_typeET0_
                                        ; -- End function
	.set _ZN7rocprim17ROCPRIM_400000_NS6detail30init_device_scan_by_key_kernelINS1_19lookback_scan_stateINS0_5tupleIJ11FixedVectorIiLj1EEbEEELb1ELb1EEENS1_16block_id_wrapperIjLb1EEEEEvT_jjPNSB_10value_typeET0_.num_vgpr, 8
	.set _ZN7rocprim17ROCPRIM_400000_NS6detail30init_device_scan_by_key_kernelINS1_19lookback_scan_stateINS0_5tupleIJ11FixedVectorIiLj1EEbEEELb1ELb1EEENS1_16block_id_wrapperIjLb1EEEEEvT_jjPNSB_10value_typeET0_.num_agpr, 0
	.set _ZN7rocprim17ROCPRIM_400000_NS6detail30init_device_scan_by_key_kernelINS1_19lookback_scan_stateINS0_5tupleIJ11FixedVectorIiLj1EEbEEELb1ELb1EEENS1_16block_id_wrapperIjLb1EEEEEvT_jjPNSB_10value_typeET0_.numbered_sgpr, 16
	.set _ZN7rocprim17ROCPRIM_400000_NS6detail30init_device_scan_by_key_kernelINS1_19lookback_scan_stateINS0_5tupleIJ11FixedVectorIiLj1EEbEEELb1ELb1EEENS1_16block_id_wrapperIjLb1EEEEEvT_jjPNSB_10value_typeET0_.num_named_barrier, 0
	.set _ZN7rocprim17ROCPRIM_400000_NS6detail30init_device_scan_by_key_kernelINS1_19lookback_scan_stateINS0_5tupleIJ11FixedVectorIiLj1EEbEEELb1ELb1EEENS1_16block_id_wrapperIjLb1EEEEEvT_jjPNSB_10value_typeET0_.private_seg_size, 0
	.set _ZN7rocprim17ROCPRIM_400000_NS6detail30init_device_scan_by_key_kernelINS1_19lookback_scan_stateINS0_5tupleIJ11FixedVectorIiLj1EEbEEELb1ELb1EEENS1_16block_id_wrapperIjLb1EEEEEvT_jjPNSB_10value_typeET0_.uses_vcc, 1
	.set _ZN7rocprim17ROCPRIM_400000_NS6detail30init_device_scan_by_key_kernelINS1_19lookback_scan_stateINS0_5tupleIJ11FixedVectorIiLj1EEbEEELb1ELb1EEENS1_16block_id_wrapperIjLb1EEEEEvT_jjPNSB_10value_typeET0_.uses_flat_scratch, 0
	.set _ZN7rocprim17ROCPRIM_400000_NS6detail30init_device_scan_by_key_kernelINS1_19lookback_scan_stateINS0_5tupleIJ11FixedVectorIiLj1EEbEEELb1ELb1EEENS1_16block_id_wrapperIjLb1EEEEEvT_jjPNSB_10value_typeET0_.has_dyn_sized_stack, 0
	.set _ZN7rocprim17ROCPRIM_400000_NS6detail30init_device_scan_by_key_kernelINS1_19lookback_scan_stateINS0_5tupleIJ11FixedVectorIiLj1EEbEEELb1ELb1EEENS1_16block_id_wrapperIjLb1EEEEEvT_jjPNSB_10value_typeET0_.has_recursion, 0
	.set _ZN7rocprim17ROCPRIM_400000_NS6detail30init_device_scan_by_key_kernelINS1_19lookback_scan_stateINS0_5tupleIJ11FixedVectorIiLj1EEbEEELb1ELb1EEENS1_16block_id_wrapperIjLb1EEEEEvT_jjPNSB_10value_typeET0_.has_indirect_call, 0
	.section	.AMDGPU.csdata,"",@progbits
; Kernel info:
; codeLenInByte = 492
; TotalNumSgprs: 18
; NumVgprs: 8
; ScratchSize: 0
; MemoryBound: 0
; FloatMode: 240
; IeeeMode: 1
; LDSByteSize: 0 bytes/workgroup (compile time only)
; SGPRBlocks: 0
; VGPRBlocks: 0
; NumSGPRsForWavesPerEU: 18
; NumVGPRsForWavesPerEU: 8
; Occupancy: 16
; WaveLimiterHint : 0
; COMPUTE_PGM_RSRC2:SCRATCH_EN: 0
; COMPUTE_PGM_RSRC2:USER_SGPR: 6
; COMPUTE_PGM_RSRC2:TRAP_HANDLER: 0
; COMPUTE_PGM_RSRC2:TGID_X_EN: 1
; COMPUTE_PGM_RSRC2:TGID_Y_EN: 0
; COMPUTE_PGM_RSRC2:TGID_Z_EN: 0
; COMPUTE_PGM_RSRC2:TIDIG_COMP_CNT: 0
	.section	.text._ZN7rocprim17ROCPRIM_400000_NS6detail17trampoline_kernelINS0_14default_configENS1_27scan_by_key_config_selectorIj11FixedVectorIiLj1EEEEZZNS1_16scan_by_key_implILNS1_25lookback_scan_determinismE0ELb0ES3_N6thrust23THRUST_200600_302600_NS6detail15normal_iteratorINSB_10device_ptrIjEEEENSD_INSE_IS6_EEEESI_S6_NSB_4plusIvEENSB_8equal_toIvEES6_EE10hipError_tPvRmT2_T3_T4_T5_mT6_T7_P12ihipStream_tbENKUlT_T0_E_clISt17integral_constantIbLb1EES13_EEDaSY_SZ_EUlSY_E_NS1_11comp_targetILNS1_3genE0ELNS1_11target_archE4294967295ELNS1_3gpuE0ELNS1_3repE0EEENS1_30default_config_static_selectorELNS0_4arch9wavefront6targetE0EEEvT1_,"axG",@progbits,_ZN7rocprim17ROCPRIM_400000_NS6detail17trampoline_kernelINS0_14default_configENS1_27scan_by_key_config_selectorIj11FixedVectorIiLj1EEEEZZNS1_16scan_by_key_implILNS1_25lookback_scan_determinismE0ELb0ES3_N6thrust23THRUST_200600_302600_NS6detail15normal_iteratorINSB_10device_ptrIjEEEENSD_INSE_IS6_EEEESI_S6_NSB_4plusIvEENSB_8equal_toIvEES6_EE10hipError_tPvRmT2_T3_T4_T5_mT6_T7_P12ihipStream_tbENKUlT_T0_E_clISt17integral_constantIbLb1EES13_EEDaSY_SZ_EUlSY_E_NS1_11comp_targetILNS1_3genE0ELNS1_11target_archE4294967295ELNS1_3gpuE0ELNS1_3repE0EEENS1_30default_config_static_selectorELNS0_4arch9wavefront6targetE0EEEvT1_,comdat
	.protected	_ZN7rocprim17ROCPRIM_400000_NS6detail17trampoline_kernelINS0_14default_configENS1_27scan_by_key_config_selectorIj11FixedVectorIiLj1EEEEZZNS1_16scan_by_key_implILNS1_25lookback_scan_determinismE0ELb0ES3_N6thrust23THRUST_200600_302600_NS6detail15normal_iteratorINSB_10device_ptrIjEEEENSD_INSE_IS6_EEEESI_S6_NSB_4plusIvEENSB_8equal_toIvEES6_EE10hipError_tPvRmT2_T3_T4_T5_mT6_T7_P12ihipStream_tbENKUlT_T0_E_clISt17integral_constantIbLb1EES13_EEDaSY_SZ_EUlSY_E_NS1_11comp_targetILNS1_3genE0ELNS1_11target_archE4294967295ELNS1_3gpuE0ELNS1_3repE0EEENS1_30default_config_static_selectorELNS0_4arch9wavefront6targetE0EEEvT1_ ; -- Begin function _ZN7rocprim17ROCPRIM_400000_NS6detail17trampoline_kernelINS0_14default_configENS1_27scan_by_key_config_selectorIj11FixedVectorIiLj1EEEEZZNS1_16scan_by_key_implILNS1_25lookback_scan_determinismE0ELb0ES3_N6thrust23THRUST_200600_302600_NS6detail15normal_iteratorINSB_10device_ptrIjEEEENSD_INSE_IS6_EEEESI_S6_NSB_4plusIvEENSB_8equal_toIvEES6_EE10hipError_tPvRmT2_T3_T4_T5_mT6_T7_P12ihipStream_tbENKUlT_T0_E_clISt17integral_constantIbLb1EES13_EEDaSY_SZ_EUlSY_E_NS1_11comp_targetILNS1_3genE0ELNS1_11target_archE4294967295ELNS1_3gpuE0ELNS1_3repE0EEENS1_30default_config_static_selectorELNS0_4arch9wavefront6targetE0EEEvT1_
	.globl	_ZN7rocprim17ROCPRIM_400000_NS6detail17trampoline_kernelINS0_14default_configENS1_27scan_by_key_config_selectorIj11FixedVectorIiLj1EEEEZZNS1_16scan_by_key_implILNS1_25lookback_scan_determinismE0ELb0ES3_N6thrust23THRUST_200600_302600_NS6detail15normal_iteratorINSB_10device_ptrIjEEEENSD_INSE_IS6_EEEESI_S6_NSB_4plusIvEENSB_8equal_toIvEES6_EE10hipError_tPvRmT2_T3_T4_T5_mT6_T7_P12ihipStream_tbENKUlT_T0_E_clISt17integral_constantIbLb1EES13_EEDaSY_SZ_EUlSY_E_NS1_11comp_targetILNS1_3genE0ELNS1_11target_archE4294967295ELNS1_3gpuE0ELNS1_3repE0EEENS1_30default_config_static_selectorELNS0_4arch9wavefront6targetE0EEEvT1_
	.p2align	8
	.type	_ZN7rocprim17ROCPRIM_400000_NS6detail17trampoline_kernelINS0_14default_configENS1_27scan_by_key_config_selectorIj11FixedVectorIiLj1EEEEZZNS1_16scan_by_key_implILNS1_25lookback_scan_determinismE0ELb0ES3_N6thrust23THRUST_200600_302600_NS6detail15normal_iteratorINSB_10device_ptrIjEEEENSD_INSE_IS6_EEEESI_S6_NSB_4plusIvEENSB_8equal_toIvEES6_EE10hipError_tPvRmT2_T3_T4_T5_mT6_T7_P12ihipStream_tbENKUlT_T0_E_clISt17integral_constantIbLb1EES13_EEDaSY_SZ_EUlSY_E_NS1_11comp_targetILNS1_3genE0ELNS1_11target_archE4294967295ELNS1_3gpuE0ELNS1_3repE0EEENS1_30default_config_static_selectorELNS0_4arch9wavefront6targetE0EEEvT1_,@function
_ZN7rocprim17ROCPRIM_400000_NS6detail17trampoline_kernelINS0_14default_configENS1_27scan_by_key_config_selectorIj11FixedVectorIiLj1EEEEZZNS1_16scan_by_key_implILNS1_25lookback_scan_determinismE0ELb0ES3_N6thrust23THRUST_200600_302600_NS6detail15normal_iteratorINSB_10device_ptrIjEEEENSD_INSE_IS6_EEEESI_S6_NSB_4plusIvEENSB_8equal_toIvEES6_EE10hipError_tPvRmT2_T3_T4_T5_mT6_T7_P12ihipStream_tbENKUlT_T0_E_clISt17integral_constantIbLb1EES13_EEDaSY_SZ_EUlSY_E_NS1_11comp_targetILNS1_3genE0ELNS1_11target_archE4294967295ELNS1_3gpuE0ELNS1_3repE0EEENS1_30default_config_static_selectorELNS0_4arch9wavefront6targetE0EEEvT1_: ; @_ZN7rocprim17ROCPRIM_400000_NS6detail17trampoline_kernelINS0_14default_configENS1_27scan_by_key_config_selectorIj11FixedVectorIiLj1EEEEZZNS1_16scan_by_key_implILNS1_25lookback_scan_determinismE0ELb0ES3_N6thrust23THRUST_200600_302600_NS6detail15normal_iteratorINSB_10device_ptrIjEEEENSD_INSE_IS6_EEEESI_S6_NSB_4plusIvEENSB_8equal_toIvEES6_EE10hipError_tPvRmT2_T3_T4_T5_mT6_T7_P12ihipStream_tbENKUlT_T0_E_clISt17integral_constantIbLb1EES13_EEDaSY_SZ_EUlSY_E_NS1_11comp_targetILNS1_3genE0ELNS1_11target_archE4294967295ELNS1_3gpuE0ELNS1_3repE0EEENS1_30default_config_static_selectorELNS0_4arch9wavefront6targetE0EEEvT1_
; %bb.0:
	.section	.rodata,"a",@progbits
	.p2align	6, 0x0
	.amdhsa_kernel _ZN7rocprim17ROCPRIM_400000_NS6detail17trampoline_kernelINS0_14default_configENS1_27scan_by_key_config_selectorIj11FixedVectorIiLj1EEEEZZNS1_16scan_by_key_implILNS1_25lookback_scan_determinismE0ELb0ES3_N6thrust23THRUST_200600_302600_NS6detail15normal_iteratorINSB_10device_ptrIjEEEENSD_INSE_IS6_EEEESI_S6_NSB_4plusIvEENSB_8equal_toIvEES6_EE10hipError_tPvRmT2_T3_T4_T5_mT6_T7_P12ihipStream_tbENKUlT_T0_E_clISt17integral_constantIbLb1EES13_EEDaSY_SZ_EUlSY_E_NS1_11comp_targetILNS1_3genE0ELNS1_11target_archE4294967295ELNS1_3gpuE0ELNS1_3repE0EEENS1_30default_config_static_selectorELNS0_4arch9wavefront6targetE0EEEvT1_
		.amdhsa_group_segment_fixed_size 0
		.amdhsa_private_segment_fixed_size 0
		.amdhsa_kernarg_size 112
		.amdhsa_user_sgpr_count 6
		.amdhsa_user_sgpr_private_segment_buffer 1
		.amdhsa_user_sgpr_dispatch_ptr 0
		.amdhsa_user_sgpr_queue_ptr 0
		.amdhsa_user_sgpr_kernarg_segment_ptr 1
		.amdhsa_user_sgpr_dispatch_id 0
		.amdhsa_user_sgpr_flat_scratch_init 0
		.amdhsa_user_sgpr_private_segment_size 0
		.amdhsa_wavefront_size32 1
		.amdhsa_uses_dynamic_stack 0
		.amdhsa_system_sgpr_private_segment_wavefront_offset 0
		.amdhsa_system_sgpr_workgroup_id_x 1
		.amdhsa_system_sgpr_workgroup_id_y 0
		.amdhsa_system_sgpr_workgroup_id_z 0
		.amdhsa_system_sgpr_workgroup_info 0
		.amdhsa_system_vgpr_workitem_id 0
		.amdhsa_next_free_vgpr 1
		.amdhsa_next_free_sgpr 1
		.amdhsa_reserve_vcc 0
		.amdhsa_reserve_flat_scratch 0
		.amdhsa_float_round_mode_32 0
		.amdhsa_float_round_mode_16_64 0
		.amdhsa_float_denorm_mode_32 3
		.amdhsa_float_denorm_mode_16_64 3
		.amdhsa_dx10_clamp 1
		.amdhsa_ieee_mode 1
		.amdhsa_fp16_overflow 0
		.amdhsa_workgroup_processor_mode 1
		.amdhsa_memory_ordered 1
		.amdhsa_forward_progress 1
		.amdhsa_shared_vgpr_count 0
		.amdhsa_exception_fp_ieee_invalid_op 0
		.amdhsa_exception_fp_denorm_src 0
		.amdhsa_exception_fp_ieee_div_zero 0
		.amdhsa_exception_fp_ieee_overflow 0
		.amdhsa_exception_fp_ieee_underflow 0
		.amdhsa_exception_fp_ieee_inexact 0
		.amdhsa_exception_int_div_zero 0
	.end_amdhsa_kernel
	.section	.text._ZN7rocprim17ROCPRIM_400000_NS6detail17trampoline_kernelINS0_14default_configENS1_27scan_by_key_config_selectorIj11FixedVectorIiLj1EEEEZZNS1_16scan_by_key_implILNS1_25lookback_scan_determinismE0ELb0ES3_N6thrust23THRUST_200600_302600_NS6detail15normal_iteratorINSB_10device_ptrIjEEEENSD_INSE_IS6_EEEESI_S6_NSB_4plusIvEENSB_8equal_toIvEES6_EE10hipError_tPvRmT2_T3_T4_T5_mT6_T7_P12ihipStream_tbENKUlT_T0_E_clISt17integral_constantIbLb1EES13_EEDaSY_SZ_EUlSY_E_NS1_11comp_targetILNS1_3genE0ELNS1_11target_archE4294967295ELNS1_3gpuE0ELNS1_3repE0EEENS1_30default_config_static_selectorELNS0_4arch9wavefront6targetE0EEEvT1_,"axG",@progbits,_ZN7rocprim17ROCPRIM_400000_NS6detail17trampoline_kernelINS0_14default_configENS1_27scan_by_key_config_selectorIj11FixedVectorIiLj1EEEEZZNS1_16scan_by_key_implILNS1_25lookback_scan_determinismE0ELb0ES3_N6thrust23THRUST_200600_302600_NS6detail15normal_iteratorINSB_10device_ptrIjEEEENSD_INSE_IS6_EEEESI_S6_NSB_4plusIvEENSB_8equal_toIvEES6_EE10hipError_tPvRmT2_T3_T4_T5_mT6_T7_P12ihipStream_tbENKUlT_T0_E_clISt17integral_constantIbLb1EES13_EEDaSY_SZ_EUlSY_E_NS1_11comp_targetILNS1_3genE0ELNS1_11target_archE4294967295ELNS1_3gpuE0ELNS1_3repE0EEENS1_30default_config_static_selectorELNS0_4arch9wavefront6targetE0EEEvT1_,comdat
.Lfunc_end1880:
	.size	_ZN7rocprim17ROCPRIM_400000_NS6detail17trampoline_kernelINS0_14default_configENS1_27scan_by_key_config_selectorIj11FixedVectorIiLj1EEEEZZNS1_16scan_by_key_implILNS1_25lookback_scan_determinismE0ELb0ES3_N6thrust23THRUST_200600_302600_NS6detail15normal_iteratorINSB_10device_ptrIjEEEENSD_INSE_IS6_EEEESI_S6_NSB_4plusIvEENSB_8equal_toIvEES6_EE10hipError_tPvRmT2_T3_T4_T5_mT6_T7_P12ihipStream_tbENKUlT_T0_E_clISt17integral_constantIbLb1EES13_EEDaSY_SZ_EUlSY_E_NS1_11comp_targetILNS1_3genE0ELNS1_11target_archE4294967295ELNS1_3gpuE0ELNS1_3repE0EEENS1_30default_config_static_selectorELNS0_4arch9wavefront6targetE0EEEvT1_, .Lfunc_end1880-_ZN7rocprim17ROCPRIM_400000_NS6detail17trampoline_kernelINS0_14default_configENS1_27scan_by_key_config_selectorIj11FixedVectorIiLj1EEEEZZNS1_16scan_by_key_implILNS1_25lookback_scan_determinismE0ELb0ES3_N6thrust23THRUST_200600_302600_NS6detail15normal_iteratorINSB_10device_ptrIjEEEENSD_INSE_IS6_EEEESI_S6_NSB_4plusIvEENSB_8equal_toIvEES6_EE10hipError_tPvRmT2_T3_T4_T5_mT6_T7_P12ihipStream_tbENKUlT_T0_E_clISt17integral_constantIbLb1EES13_EEDaSY_SZ_EUlSY_E_NS1_11comp_targetILNS1_3genE0ELNS1_11target_archE4294967295ELNS1_3gpuE0ELNS1_3repE0EEENS1_30default_config_static_selectorELNS0_4arch9wavefront6targetE0EEEvT1_
                                        ; -- End function
	.set _ZN7rocprim17ROCPRIM_400000_NS6detail17trampoline_kernelINS0_14default_configENS1_27scan_by_key_config_selectorIj11FixedVectorIiLj1EEEEZZNS1_16scan_by_key_implILNS1_25lookback_scan_determinismE0ELb0ES3_N6thrust23THRUST_200600_302600_NS6detail15normal_iteratorINSB_10device_ptrIjEEEENSD_INSE_IS6_EEEESI_S6_NSB_4plusIvEENSB_8equal_toIvEES6_EE10hipError_tPvRmT2_T3_T4_T5_mT6_T7_P12ihipStream_tbENKUlT_T0_E_clISt17integral_constantIbLb1EES13_EEDaSY_SZ_EUlSY_E_NS1_11comp_targetILNS1_3genE0ELNS1_11target_archE4294967295ELNS1_3gpuE0ELNS1_3repE0EEENS1_30default_config_static_selectorELNS0_4arch9wavefront6targetE0EEEvT1_.num_vgpr, 0
	.set _ZN7rocprim17ROCPRIM_400000_NS6detail17trampoline_kernelINS0_14default_configENS1_27scan_by_key_config_selectorIj11FixedVectorIiLj1EEEEZZNS1_16scan_by_key_implILNS1_25lookback_scan_determinismE0ELb0ES3_N6thrust23THRUST_200600_302600_NS6detail15normal_iteratorINSB_10device_ptrIjEEEENSD_INSE_IS6_EEEESI_S6_NSB_4plusIvEENSB_8equal_toIvEES6_EE10hipError_tPvRmT2_T3_T4_T5_mT6_T7_P12ihipStream_tbENKUlT_T0_E_clISt17integral_constantIbLb1EES13_EEDaSY_SZ_EUlSY_E_NS1_11comp_targetILNS1_3genE0ELNS1_11target_archE4294967295ELNS1_3gpuE0ELNS1_3repE0EEENS1_30default_config_static_selectorELNS0_4arch9wavefront6targetE0EEEvT1_.num_agpr, 0
	.set _ZN7rocprim17ROCPRIM_400000_NS6detail17trampoline_kernelINS0_14default_configENS1_27scan_by_key_config_selectorIj11FixedVectorIiLj1EEEEZZNS1_16scan_by_key_implILNS1_25lookback_scan_determinismE0ELb0ES3_N6thrust23THRUST_200600_302600_NS6detail15normal_iteratorINSB_10device_ptrIjEEEENSD_INSE_IS6_EEEESI_S6_NSB_4plusIvEENSB_8equal_toIvEES6_EE10hipError_tPvRmT2_T3_T4_T5_mT6_T7_P12ihipStream_tbENKUlT_T0_E_clISt17integral_constantIbLb1EES13_EEDaSY_SZ_EUlSY_E_NS1_11comp_targetILNS1_3genE0ELNS1_11target_archE4294967295ELNS1_3gpuE0ELNS1_3repE0EEENS1_30default_config_static_selectorELNS0_4arch9wavefront6targetE0EEEvT1_.numbered_sgpr, 0
	.set _ZN7rocprim17ROCPRIM_400000_NS6detail17trampoline_kernelINS0_14default_configENS1_27scan_by_key_config_selectorIj11FixedVectorIiLj1EEEEZZNS1_16scan_by_key_implILNS1_25lookback_scan_determinismE0ELb0ES3_N6thrust23THRUST_200600_302600_NS6detail15normal_iteratorINSB_10device_ptrIjEEEENSD_INSE_IS6_EEEESI_S6_NSB_4plusIvEENSB_8equal_toIvEES6_EE10hipError_tPvRmT2_T3_T4_T5_mT6_T7_P12ihipStream_tbENKUlT_T0_E_clISt17integral_constantIbLb1EES13_EEDaSY_SZ_EUlSY_E_NS1_11comp_targetILNS1_3genE0ELNS1_11target_archE4294967295ELNS1_3gpuE0ELNS1_3repE0EEENS1_30default_config_static_selectorELNS0_4arch9wavefront6targetE0EEEvT1_.num_named_barrier, 0
	.set _ZN7rocprim17ROCPRIM_400000_NS6detail17trampoline_kernelINS0_14default_configENS1_27scan_by_key_config_selectorIj11FixedVectorIiLj1EEEEZZNS1_16scan_by_key_implILNS1_25lookback_scan_determinismE0ELb0ES3_N6thrust23THRUST_200600_302600_NS6detail15normal_iteratorINSB_10device_ptrIjEEEENSD_INSE_IS6_EEEESI_S6_NSB_4plusIvEENSB_8equal_toIvEES6_EE10hipError_tPvRmT2_T3_T4_T5_mT6_T7_P12ihipStream_tbENKUlT_T0_E_clISt17integral_constantIbLb1EES13_EEDaSY_SZ_EUlSY_E_NS1_11comp_targetILNS1_3genE0ELNS1_11target_archE4294967295ELNS1_3gpuE0ELNS1_3repE0EEENS1_30default_config_static_selectorELNS0_4arch9wavefront6targetE0EEEvT1_.private_seg_size, 0
	.set _ZN7rocprim17ROCPRIM_400000_NS6detail17trampoline_kernelINS0_14default_configENS1_27scan_by_key_config_selectorIj11FixedVectorIiLj1EEEEZZNS1_16scan_by_key_implILNS1_25lookback_scan_determinismE0ELb0ES3_N6thrust23THRUST_200600_302600_NS6detail15normal_iteratorINSB_10device_ptrIjEEEENSD_INSE_IS6_EEEESI_S6_NSB_4plusIvEENSB_8equal_toIvEES6_EE10hipError_tPvRmT2_T3_T4_T5_mT6_T7_P12ihipStream_tbENKUlT_T0_E_clISt17integral_constantIbLb1EES13_EEDaSY_SZ_EUlSY_E_NS1_11comp_targetILNS1_3genE0ELNS1_11target_archE4294967295ELNS1_3gpuE0ELNS1_3repE0EEENS1_30default_config_static_selectorELNS0_4arch9wavefront6targetE0EEEvT1_.uses_vcc, 0
	.set _ZN7rocprim17ROCPRIM_400000_NS6detail17trampoline_kernelINS0_14default_configENS1_27scan_by_key_config_selectorIj11FixedVectorIiLj1EEEEZZNS1_16scan_by_key_implILNS1_25lookback_scan_determinismE0ELb0ES3_N6thrust23THRUST_200600_302600_NS6detail15normal_iteratorINSB_10device_ptrIjEEEENSD_INSE_IS6_EEEESI_S6_NSB_4plusIvEENSB_8equal_toIvEES6_EE10hipError_tPvRmT2_T3_T4_T5_mT6_T7_P12ihipStream_tbENKUlT_T0_E_clISt17integral_constantIbLb1EES13_EEDaSY_SZ_EUlSY_E_NS1_11comp_targetILNS1_3genE0ELNS1_11target_archE4294967295ELNS1_3gpuE0ELNS1_3repE0EEENS1_30default_config_static_selectorELNS0_4arch9wavefront6targetE0EEEvT1_.uses_flat_scratch, 0
	.set _ZN7rocprim17ROCPRIM_400000_NS6detail17trampoline_kernelINS0_14default_configENS1_27scan_by_key_config_selectorIj11FixedVectorIiLj1EEEEZZNS1_16scan_by_key_implILNS1_25lookback_scan_determinismE0ELb0ES3_N6thrust23THRUST_200600_302600_NS6detail15normal_iteratorINSB_10device_ptrIjEEEENSD_INSE_IS6_EEEESI_S6_NSB_4plusIvEENSB_8equal_toIvEES6_EE10hipError_tPvRmT2_T3_T4_T5_mT6_T7_P12ihipStream_tbENKUlT_T0_E_clISt17integral_constantIbLb1EES13_EEDaSY_SZ_EUlSY_E_NS1_11comp_targetILNS1_3genE0ELNS1_11target_archE4294967295ELNS1_3gpuE0ELNS1_3repE0EEENS1_30default_config_static_selectorELNS0_4arch9wavefront6targetE0EEEvT1_.has_dyn_sized_stack, 0
	.set _ZN7rocprim17ROCPRIM_400000_NS6detail17trampoline_kernelINS0_14default_configENS1_27scan_by_key_config_selectorIj11FixedVectorIiLj1EEEEZZNS1_16scan_by_key_implILNS1_25lookback_scan_determinismE0ELb0ES3_N6thrust23THRUST_200600_302600_NS6detail15normal_iteratorINSB_10device_ptrIjEEEENSD_INSE_IS6_EEEESI_S6_NSB_4plusIvEENSB_8equal_toIvEES6_EE10hipError_tPvRmT2_T3_T4_T5_mT6_T7_P12ihipStream_tbENKUlT_T0_E_clISt17integral_constantIbLb1EES13_EEDaSY_SZ_EUlSY_E_NS1_11comp_targetILNS1_3genE0ELNS1_11target_archE4294967295ELNS1_3gpuE0ELNS1_3repE0EEENS1_30default_config_static_selectorELNS0_4arch9wavefront6targetE0EEEvT1_.has_recursion, 0
	.set _ZN7rocprim17ROCPRIM_400000_NS6detail17trampoline_kernelINS0_14default_configENS1_27scan_by_key_config_selectorIj11FixedVectorIiLj1EEEEZZNS1_16scan_by_key_implILNS1_25lookback_scan_determinismE0ELb0ES3_N6thrust23THRUST_200600_302600_NS6detail15normal_iteratorINSB_10device_ptrIjEEEENSD_INSE_IS6_EEEESI_S6_NSB_4plusIvEENSB_8equal_toIvEES6_EE10hipError_tPvRmT2_T3_T4_T5_mT6_T7_P12ihipStream_tbENKUlT_T0_E_clISt17integral_constantIbLb1EES13_EEDaSY_SZ_EUlSY_E_NS1_11comp_targetILNS1_3genE0ELNS1_11target_archE4294967295ELNS1_3gpuE0ELNS1_3repE0EEENS1_30default_config_static_selectorELNS0_4arch9wavefront6targetE0EEEvT1_.has_indirect_call, 0
	.section	.AMDGPU.csdata,"",@progbits
; Kernel info:
; codeLenInByte = 0
; TotalNumSgprs: 0
; NumVgprs: 0
; ScratchSize: 0
; MemoryBound: 0
; FloatMode: 240
; IeeeMode: 1
; LDSByteSize: 0 bytes/workgroup (compile time only)
; SGPRBlocks: 0
; VGPRBlocks: 0
; NumSGPRsForWavesPerEU: 1
; NumVGPRsForWavesPerEU: 1
; Occupancy: 16
; WaveLimiterHint : 0
; COMPUTE_PGM_RSRC2:SCRATCH_EN: 0
; COMPUTE_PGM_RSRC2:USER_SGPR: 6
; COMPUTE_PGM_RSRC2:TRAP_HANDLER: 0
; COMPUTE_PGM_RSRC2:TGID_X_EN: 1
; COMPUTE_PGM_RSRC2:TGID_Y_EN: 0
; COMPUTE_PGM_RSRC2:TGID_Z_EN: 0
; COMPUTE_PGM_RSRC2:TIDIG_COMP_CNT: 0
	.section	.text._ZN7rocprim17ROCPRIM_400000_NS6detail17trampoline_kernelINS0_14default_configENS1_27scan_by_key_config_selectorIj11FixedVectorIiLj1EEEEZZNS1_16scan_by_key_implILNS1_25lookback_scan_determinismE0ELb0ES3_N6thrust23THRUST_200600_302600_NS6detail15normal_iteratorINSB_10device_ptrIjEEEENSD_INSE_IS6_EEEESI_S6_NSB_4plusIvEENSB_8equal_toIvEES6_EE10hipError_tPvRmT2_T3_T4_T5_mT6_T7_P12ihipStream_tbENKUlT_T0_E_clISt17integral_constantIbLb1EES13_EEDaSY_SZ_EUlSY_E_NS1_11comp_targetILNS1_3genE10ELNS1_11target_archE1201ELNS1_3gpuE5ELNS1_3repE0EEENS1_30default_config_static_selectorELNS0_4arch9wavefront6targetE0EEEvT1_,"axG",@progbits,_ZN7rocprim17ROCPRIM_400000_NS6detail17trampoline_kernelINS0_14default_configENS1_27scan_by_key_config_selectorIj11FixedVectorIiLj1EEEEZZNS1_16scan_by_key_implILNS1_25lookback_scan_determinismE0ELb0ES3_N6thrust23THRUST_200600_302600_NS6detail15normal_iteratorINSB_10device_ptrIjEEEENSD_INSE_IS6_EEEESI_S6_NSB_4plusIvEENSB_8equal_toIvEES6_EE10hipError_tPvRmT2_T3_T4_T5_mT6_T7_P12ihipStream_tbENKUlT_T0_E_clISt17integral_constantIbLb1EES13_EEDaSY_SZ_EUlSY_E_NS1_11comp_targetILNS1_3genE10ELNS1_11target_archE1201ELNS1_3gpuE5ELNS1_3repE0EEENS1_30default_config_static_selectorELNS0_4arch9wavefront6targetE0EEEvT1_,comdat
	.protected	_ZN7rocprim17ROCPRIM_400000_NS6detail17trampoline_kernelINS0_14default_configENS1_27scan_by_key_config_selectorIj11FixedVectorIiLj1EEEEZZNS1_16scan_by_key_implILNS1_25lookback_scan_determinismE0ELb0ES3_N6thrust23THRUST_200600_302600_NS6detail15normal_iteratorINSB_10device_ptrIjEEEENSD_INSE_IS6_EEEESI_S6_NSB_4plusIvEENSB_8equal_toIvEES6_EE10hipError_tPvRmT2_T3_T4_T5_mT6_T7_P12ihipStream_tbENKUlT_T0_E_clISt17integral_constantIbLb1EES13_EEDaSY_SZ_EUlSY_E_NS1_11comp_targetILNS1_3genE10ELNS1_11target_archE1201ELNS1_3gpuE5ELNS1_3repE0EEENS1_30default_config_static_selectorELNS0_4arch9wavefront6targetE0EEEvT1_ ; -- Begin function _ZN7rocprim17ROCPRIM_400000_NS6detail17trampoline_kernelINS0_14default_configENS1_27scan_by_key_config_selectorIj11FixedVectorIiLj1EEEEZZNS1_16scan_by_key_implILNS1_25lookback_scan_determinismE0ELb0ES3_N6thrust23THRUST_200600_302600_NS6detail15normal_iteratorINSB_10device_ptrIjEEEENSD_INSE_IS6_EEEESI_S6_NSB_4plusIvEENSB_8equal_toIvEES6_EE10hipError_tPvRmT2_T3_T4_T5_mT6_T7_P12ihipStream_tbENKUlT_T0_E_clISt17integral_constantIbLb1EES13_EEDaSY_SZ_EUlSY_E_NS1_11comp_targetILNS1_3genE10ELNS1_11target_archE1201ELNS1_3gpuE5ELNS1_3repE0EEENS1_30default_config_static_selectorELNS0_4arch9wavefront6targetE0EEEvT1_
	.globl	_ZN7rocprim17ROCPRIM_400000_NS6detail17trampoline_kernelINS0_14default_configENS1_27scan_by_key_config_selectorIj11FixedVectorIiLj1EEEEZZNS1_16scan_by_key_implILNS1_25lookback_scan_determinismE0ELb0ES3_N6thrust23THRUST_200600_302600_NS6detail15normal_iteratorINSB_10device_ptrIjEEEENSD_INSE_IS6_EEEESI_S6_NSB_4plusIvEENSB_8equal_toIvEES6_EE10hipError_tPvRmT2_T3_T4_T5_mT6_T7_P12ihipStream_tbENKUlT_T0_E_clISt17integral_constantIbLb1EES13_EEDaSY_SZ_EUlSY_E_NS1_11comp_targetILNS1_3genE10ELNS1_11target_archE1201ELNS1_3gpuE5ELNS1_3repE0EEENS1_30default_config_static_selectorELNS0_4arch9wavefront6targetE0EEEvT1_
	.p2align	8
	.type	_ZN7rocprim17ROCPRIM_400000_NS6detail17trampoline_kernelINS0_14default_configENS1_27scan_by_key_config_selectorIj11FixedVectorIiLj1EEEEZZNS1_16scan_by_key_implILNS1_25lookback_scan_determinismE0ELb0ES3_N6thrust23THRUST_200600_302600_NS6detail15normal_iteratorINSB_10device_ptrIjEEEENSD_INSE_IS6_EEEESI_S6_NSB_4plusIvEENSB_8equal_toIvEES6_EE10hipError_tPvRmT2_T3_T4_T5_mT6_T7_P12ihipStream_tbENKUlT_T0_E_clISt17integral_constantIbLb1EES13_EEDaSY_SZ_EUlSY_E_NS1_11comp_targetILNS1_3genE10ELNS1_11target_archE1201ELNS1_3gpuE5ELNS1_3repE0EEENS1_30default_config_static_selectorELNS0_4arch9wavefront6targetE0EEEvT1_,@function
_ZN7rocprim17ROCPRIM_400000_NS6detail17trampoline_kernelINS0_14default_configENS1_27scan_by_key_config_selectorIj11FixedVectorIiLj1EEEEZZNS1_16scan_by_key_implILNS1_25lookback_scan_determinismE0ELb0ES3_N6thrust23THRUST_200600_302600_NS6detail15normal_iteratorINSB_10device_ptrIjEEEENSD_INSE_IS6_EEEESI_S6_NSB_4plusIvEENSB_8equal_toIvEES6_EE10hipError_tPvRmT2_T3_T4_T5_mT6_T7_P12ihipStream_tbENKUlT_T0_E_clISt17integral_constantIbLb1EES13_EEDaSY_SZ_EUlSY_E_NS1_11comp_targetILNS1_3genE10ELNS1_11target_archE1201ELNS1_3gpuE5ELNS1_3repE0EEENS1_30default_config_static_selectorELNS0_4arch9wavefront6targetE0EEEvT1_: ; @_ZN7rocprim17ROCPRIM_400000_NS6detail17trampoline_kernelINS0_14default_configENS1_27scan_by_key_config_selectorIj11FixedVectorIiLj1EEEEZZNS1_16scan_by_key_implILNS1_25lookback_scan_determinismE0ELb0ES3_N6thrust23THRUST_200600_302600_NS6detail15normal_iteratorINSB_10device_ptrIjEEEENSD_INSE_IS6_EEEESI_S6_NSB_4plusIvEENSB_8equal_toIvEES6_EE10hipError_tPvRmT2_T3_T4_T5_mT6_T7_P12ihipStream_tbENKUlT_T0_E_clISt17integral_constantIbLb1EES13_EEDaSY_SZ_EUlSY_E_NS1_11comp_targetILNS1_3genE10ELNS1_11target_archE1201ELNS1_3gpuE5ELNS1_3repE0EEENS1_30default_config_static_selectorELNS0_4arch9wavefront6targetE0EEEvT1_
; %bb.0:
	.section	.rodata,"a",@progbits
	.p2align	6, 0x0
	.amdhsa_kernel _ZN7rocprim17ROCPRIM_400000_NS6detail17trampoline_kernelINS0_14default_configENS1_27scan_by_key_config_selectorIj11FixedVectorIiLj1EEEEZZNS1_16scan_by_key_implILNS1_25lookback_scan_determinismE0ELb0ES3_N6thrust23THRUST_200600_302600_NS6detail15normal_iteratorINSB_10device_ptrIjEEEENSD_INSE_IS6_EEEESI_S6_NSB_4plusIvEENSB_8equal_toIvEES6_EE10hipError_tPvRmT2_T3_T4_T5_mT6_T7_P12ihipStream_tbENKUlT_T0_E_clISt17integral_constantIbLb1EES13_EEDaSY_SZ_EUlSY_E_NS1_11comp_targetILNS1_3genE10ELNS1_11target_archE1201ELNS1_3gpuE5ELNS1_3repE0EEENS1_30default_config_static_selectorELNS0_4arch9wavefront6targetE0EEEvT1_
		.amdhsa_group_segment_fixed_size 0
		.amdhsa_private_segment_fixed_size 0
		.amdhsa_kernarg_size 112
		.amdhsa_user_sgpr_count 6
		.amdhsa_user_sgpr_private_segment_buffer 1
		.amdhsa_user_sgpr_dispatch_ptr 0
		.amdhsa_user_sgpr_queue_ptr 0
		.amdhsa_user_sgpr_kernarg_segment_ptr 1
		.amdhsa_user_sgpr_dispatch_id 0
		.amdhsa_user_sgpr_flat_scratch_init 0
		.amdhsa_user_sgpr_private_segment_size 0
		.amdhsa_wavefront_size32 1
		.amdhsa_uses_dynamic_stack 0
		.amdhsa_system_sgpr_private_segment_wavefront_offset 0
		.amdhsa_system_sgpr_workgroup_id_x 1
		.amdhsa_system_sgpr_workgroup_id_y 0
		.amdhsa_system_sgpr_workgroup_id_z 0
		.amdhsa_system_sgpr_workgroup_info 0
		.amdhsa_system_vgpr_workitem_id 0
		.amdhsa_next_free_vgpr 1
		.amdhsa_next_free_sgpr 1
		.amdhsa_reserve_vcc 0
		.amdhsa_reserve_flat_scratch 0
		.amdhsa_float_round_mode_32 0
		.amdhsa_float_round_mode_16_64 0
		.amdhsa_float_denorm_mode_32 3
		.amdhsa_float_denorm_mode_16_64 3
		.amdhsa_dx10_clamp 1
		.amdhsa_ieee_mode 1
		.amdhsa_fp16_overflow 0
		.amdhsa_workgroup_processor_mode 1
		.amdhsa_memory_ordered 1
		.amdhsa_forward_progress 1
		.amdhsa_shared_vgpr_count 0
		.amdhsa_exception_fp_ieee_invalid_op 0
		.amdhsa_exception_fp_denorm_src 0
		.amdhsa_exception_fp_ieee_div_zero 0
		.amdhsa_exception_fp_ieee_overflow 0
		.amdhsa_exception_fp_ieee_underflow 0
		.amdhsa_exception_fp_ieee_inexact 0
		.amdhsa_exception_int_div_zero 0
	.end_amdhsa_kernel
	.section	.text._ZN7rocprim17ROCPRIM_400000_NS6detail17trampoline_kernelINS0_14default_configENS1_27scan_by_key_config_selectorIj11FixedVectorIiLj1EEEEZZNS1_16scan_by_key_implILNS1_25lookback_scan_determinismE0ELb0ES3_N6thrust23THRUST_200600_302600_NS6detail15normal_iteratorINSB_10device_ptrIjEEEENSD_INSE_IS6_EEEESI_S6_NSB_4plusIvEENSB_8equal_toIvEES6_EE10hipError_tPvRmT2_T3_T4_T5_mT6_T7_P12ihipStream_tbENKUlT_T0_E_clISt17integral_constantIbLb1EES13_EEDaSY_SZ_EUlSY_E_NS1_11comp_targetILNS1_3genE10ELNS1_11target_archE1201ELNS1_3gpuE5ELNS1_3repE0EEENS1_30default_config_static_selectorELNS0_4arch9wavefront6targetE0EEEvT1_,"axG",@progbits,_ZN7rocprim17ROCPRIM_400000_NS6detail17trampoline_kernelINS0_14default_configENS1_27scan_by_key_config_selectorIj11FixedVectorIiLj1EEEEZZNS1_16scan_by_key_implILNS1_25lookback_scan_determinismE0ELb0ES3_N6thrust23THRUST_200600_302600_NS6detail15normal_iteratorINSB_10device_ptrIjEEEENSD_INSE_IS6_EEEESI_S6_NSB_4plusIvEENSB_8equal_toIvEES6_EE10hipError_tPvRmT2_T3_T4_T5_mT6_T7_P12ihipStream_tbENKUlT_T0_E_clISt17integral_constantIbLb1EES13_EEDaSY_SZ_EUlSY_E_NS1_11comp_targetILNS1_3genE10ELNS1_11target_archE1201ELNS1_3gpuE5ELNS1_3repE0EEENS1_30default_config_static_selectorELNS0_4arch9wavefront6targetE0EEEvT1_,comdat
.Lfunc_end1881:
	.size	_ZN7rocprim17ROCPRIM_400000_NS6detail17trampoline_kernelINS0_14default_configENS1_27scan_by_key_config_selectorIj11FixedVectorIiLj1EEEEZZNS1_16scan_by_key_implILNS1_25lookback_scan_determinismE0ELb0ES3_N6thrust23THRUST_200600_302600_NS6detail15normal_iteratorINSB_10device_ptrIjEEEENSD_INSE_IS6_EEEESI_S6_NSB_4plusIvEENSB_8equal_toIvEES6_EE10hipError_tPvRmT2_T3_T4_T5_mT6_T7_P12ihipStream_tbENKUlT_T0_E_clISt17integral_constantIbLb1EES13_EEDaSY_SZ_EUlSY_E_NS1_11comp_targetILNS1_3genE10ELNS1_11target_archE1201ELNS1_3gpuE5ELNS1_3repE0EEENS1_30default_config_static_selectorELNS0_4arch9wavefront6targetE0EEEvT1_, .Lfunc_end1881-_ZN7rocprim17ROCPRIM_400000_NS6detail17trampoline_kernelINS0_14default_configENS1_27scan_by_key_config_selectorIj11FixedVectorIiLj1EEEEZZNS1_16scan_by_key_implILNS1_25lookback_scan_determinismE0ELb0ES3_N6thrust23THRUST_200600_302600_NS6detail15normal_iteratorINSB_10device_ptrIjEEEENSD_INSE_IS6_EEEESI_S6_NSB_4plusIvEENSB_8equal_toIvEES6_EE10hipError_tPvRmT2_T3_T4_T5_mT6_T7_P12ihipStream_tbENKUlT_T0_E_clISt17integral_constantIbLb1EES13_EEDaSY_SZ_EUlSY_E_NS1_11comp_targetILNS1_3genE10ELNS1_11target_archE1201ELNS1_3gpuE5ELNS1_3repE0EEENS1_30default_config_static_selectorELNS0_4arch9wavefront6targetE0EEEvT1_
                                        ; -- End function
	.set _ZN7rocprim17ROCPRIM_400000_NS6detail17trampoline_kernelINS0_14default_configENS1_27scan_by_key_config_selectorIj11FixedVectorIiLj1EEEEZZNS1_16scan_by_key_implILNS1_25lookback_scan_determinismE0ELb0ES3_N6thrust23THRUST_200600_302600_NS6detail15normal_iteratorINSB_10device_ptrIjEEEENSD_INSE_IS6_EEEESI_S6_NSB_4plusIvEENSB_8equal_toIvEES6_EE10hipError_tPvRmT2_T3_T4_T5_mT6_T7_P12ihipStream_tbENKUlT_T0_E_clISt17integral_constantIbLb1EES13_EEDaSY_SZ_EUlSY_E_NS1_11comp_targetILNS1_3genE10ELNS1_11target_archE1201ELNS1_3gpuE5ELNS1_3repE0EEENS1_30default_config_static_selectorELNS0_4arch9wavefront6targetE0EEEvT1_.num_vgpr, 0
	.set _ZN7rocprim17ROCPRIM_400000_NS6detail17trampoline_kernelINS0_14default_configENS1_27scan_by_key_config_selectorIj11FixedVectorIiLj1EEEEZZNS1_16scan_by_key_implILNS1_25lookback_scan_determinismE0ELb0ES3_N6thrust23THRUST_200600_302600_NS6detail15normal_iteratorINSB_10device_ptrIjEEEENSD_INSE_IS6_EEEESI_S6_NSB_4plusIvEENSB_8equal_toIvEES6_EE10hipError_tPvRmT2_T3_T4_T5_mT6_T7_P12ihipStream_tbENKUlT_T0_E_clISt17integral_constantIbLb1EES13_EEDaSY_SZ_EUlSY_E_NS1_11comp_targetILNS1_3genE10ELNS1_11target_archE1201ELNS1_3gpuE5ELNS1_3repE0EEENS1_30default_config_static_selectorELNS0_4arch9wavefront6targetE0EEEvT1_.num_agpr, 0
	.set _ZN7rocprim17ROCPRIM_400000_NS6detail17trampoline_kernelINS0_14default_configENS1_27scan_by_key_config_selectorIj11FixedVectorIiLj1EEEEZZNS1_16scan_by_key_implILNS1_25lookback_scan_determinismE0ELb0ES3_N6thrust23THRUST_200600_302600_NS6detail15normal_iteratorINSB_10device_ptrIjEEEENSD_INSE_IS6_EEEESI_S6_NSB_4plusIvEENSB_8equal_toIvEES6_EE10hipError_tPvRmT2_T3_T4_T5_mT6_T7_P12ihipStream_tbENKUlT_T0_E_clISt17integral_constantIbLb1EES13_EEDaSY_SZ_EUlSY_E_NS1_11comp_targetILNS1_3genE10ELNS1_11target_archE1201ELNS1_3gpuE5ELNS1_3repE0EEENS1_30default_config_static_selectorELNS0_4arch9wavefront6targetE0EEEvT1_.numbered_sgpr, 0
	.set _ZN7rocprim17ROCPRIM_400000_NS6detail17trampoline_kernelINS0_14default_configENS1_27scan_by_key_config_selectorIj11FixedVectorIiLj1EEEEZZNS1_16scan_by_key_implILNS1_25lookback_scan_determinismE0ELb0ES3_N6thrust23THRUST_200600_302600_NS6detail15normal_iteratorINSB_10device_ptrIjEEEENSD_INSE_IS6_EEEESI_S6_NSB_4plusIvEENSB_8equal_toIvEES6_EE10hipError_tPvRmT2_T3_T4_T5_mT6_T7_P12ihipStream_tbENKUlT_T0_E_clISt17integral_constantIbLb1EES13_EEDaSY_SZ_EUlSY_E_NS1_11comp_targetILNS1_3genE10ELNS1_11target_archE1201ELNS1_3gpuE5ELNS1_3repE0EEENS1_30default_config_static_selectorELNS0_4arch9wavefront6targetE0EEEvT1_.num_named_barrier, 0
	.set _ZN7rocprim17ROCPRIM_400000_NS6detail17trampoline_kernelINS0_14default_configENS1_27scan_by_key_config_selectorIj11FixedVectorIiLj1EEEEZZNS1_16scan_by_key_implILNS1_25lookback_scan_determinismE0ELb0ES3_N6thrust23THRUST_200600_302600_NS6detail15normal_iteratorINSB_10device_ptrIjEEEENSD_INSE_IS6_EEEESI_S6_NSB_4plusIvEENSB_8equal_toIvEES6_EE10hipError_tPvRmT2_T3_T4_T5_mT6_T7_P12ihipStream_tbENKUlT_T0_E_clISt17integral_constantIbLb1EES13_EEDaSY_SZ_EUlSY_E_NS1_11comp_targetILNS1_3genE10ELNS1_11target_archE1201ELNS1_3gpuE5ELNS1_3repE0EEENS1_30default_config_static_selectorELNS0_4arch9wavefront6targetE0EEEvT1_.private_seg_size, 0
	.set _ZN7rocprim17ROCPRIM_400000_NS6detail17trampoline_kernelINS0_14default_configENS1_27scan_by_key_config_selectorIj11FixedVectorIiLj1EEEEZZNS1_16scan_by_key_implILNS1_25lookback_scan_determinismE0ELb0ES3_N6thrust23THRUST_200600_302600_NS6detail15normal_iteratorINSB_10device_ptrIjEEEENSD_INSE_IS6_EEEESI_S6_NSB_4plusIvEENSB_8equal_toIvEES6_EE10hipError_tPvRmT2_T3_T4_T5_mT6_T7_P12ihipStream_tbENKUlT_T0_E_clISt17integral_constantIbLb1EES13_EEDaSY_SZ_EUlSY_E_NS1_11comp_targetILNS1_3genE10ELNS1_11target_archE1201ELNS1_3gpuE5ELNS1_3repE0EEENS1_30default_config_static_selectorELNS0_4arch9wavefront6targetE0EEEvT1_.uses_vcc, 0
	.set _ZN7rocprim17ROCPRIM_400000_NS6detail17trampoline_kernelINS0_14default_configENS1_27scan_by_key_config_selectorIj11FixedVectorIiLj1EEEEZZNS1_16scan_by_key_implILNS1_25lookback_scan_determinismE0ELb0ES3_N6thrust23THRUST_200600_302600_NS6detail15normal_iteratorINSB_10device_ptrIjEEEENSD_INSE_IS6_EEEESI_S6_NSB_4plusIvEENSB_8equal_toIvEES6_EE10hipError_tPvRmT2_T3_T4_T5_mT6_T7_P12ihipStream_tbENKUlT_T0_E_clISt17integral_constantIbLb1EES13_EEDaSY_SZ_EUlSY_E_NS1_11comp_targetILNS1_3genE10ELNS1_11target_archE1201ELNS1_3gpuE5ELNS1_3repE0EEENS1_30default_config_static_selectorELNS0_4arch9wavefront6targetE0EEEvT1_.uses_flat_scratch, 0
	.set _ZN7rocprim17ROCPRIM_400000_NS6detail17trampoline_kernelINS0_14default_configENS1_27scan_by_key_config_selectorIj11FixedVectorIiLj1EEEEZZNS1_16scan_by_key_implILNS1_25lookback_scan_determinismE0ELb0ES3_N6thrust23THRUST_200600_302600_NS6detail15normal_iteratorINSB_10device_ptrIjEEEENSD_INSE_IS6_EEEESI_S6_NSB_4plusIvEENSB_8equal_toIvEES6_EE10hipError_tPvRmT2_T3_T4_T5_mT6_T7_P12ihipStream_tbENKUlT_T0_E_clISt17integral_constantIbLb1EES13_EEDaSY_SZ_EUlSY_E_NS1_11comp_targetILNS1_3genE10ELNS1_11target_archE1201ELNS1_3gpuE5ELNS1_3repE0EEENS1_30default_config_static_selectorELNS0_4arch9wavefront6targetE0EEEvT1_.has_dyn_sized_stack, 0
	.set _ZN7rocprim17ROCPRIM_400000_NS6detail17trampoline_kernelINS0_14default_configENS1_27scan_by_key_config_selectorIj11FixedVectorIiLj1EEEEZZNS1_16scan_by_key_implILNS1_25lookback_scan_determinismE0ELb0ES3_N6thrust23THRUST_200600_302600_NS6detail15normal_iteratorINSB_10device_ptrIjEEEENSD_INSE_IS6_EEEESI_S6_NSB_4plusIvEENSB_8equal_toIvEES6_EE10hipError_tPvRmT2_T3_T4_T5_mT6_T7_P12ihipStream_tbENKUlT_T0_E_clISt17integral_constantIbLb1EES13_EEDaSY_SZ_EUlSY_E_NS1_11comp_targetILNS1_3genE10ELNS1_11target_archE1201ELNS1_3gpuE5ELNS1_3repE0EEENS1_30default_config_static_selectorELNS0_4arch9wavefront6targetE0EEEvT1_.has_recursion, 0
	.set _ZN7rocprim17ROCPRIM_400000_NS6detail17trampoline_kernelINS0_14default_configENS1_27scan_by_key_config_selectorIj11FixedVectorIiLj1EEEEZZNS1_16scan_by_key_implILNS1_25lookback_scan_determinismE0ELb0ES3_N6thrust23THRUST_200600_302600_NS6detail15normal_iteratorINSB_10device_ptrIjEEEENSD_INSE_IS6_EEEESI_S6_NSB_4plusIvEENSB_8equal_toIvEES6_EE10hipError_tPvRmT2_T3_T4_T5_mT6_T7_P12ihipStream_tbENKUlT_T0_E_clISt17integral_constantIbLb1EES13_EEDaSY_SZ_EUlSY_E_NS1_11comp_targetILNS1_3genE10ELNS1_11target_archE1201ELNS1_3gpuE5ELNS1_3repE0EEENS1_30default_config_static_selectorELNS0_4arch9wavefront6targetE0EEEvT1_.has_indirect_call, 0
	.section	.AMDGPU.csdata,"",@progbits
; Kernel info:
; codeLenInByte = 0
; TotalNumSgprs: 0
; NumVgprs: 0
; ScratchSize: 0
; MemoryBound: 0
; FloatMode: 240
; IeeeMode: 1
; LDSByteSize: 0 bytes/workgroup (compile time only)
; SGPRBlocks: 0
; VGPRBlocks: 0
; NumSGPRsForWavesPerEU: 1
; NumVGPRsForWavesPerEU: 1
; Occupancy: 16
; WaveLimiterHint : 0
; COMPUTE_PGM_RSRC2:SCRATCH_EN: 0
; COMPUTE_PGM_RSRC2:USER_SGPR: 6
; COMPUTE_PGM_RSRC2:TRAP_HANDLER: 0
; COMPUTE_PGM_RSRC2:TGID_X_EN: 1
; COMPUTE_PGM_RSRC2:TGID_Y_EN: 0
; COMPUTE_PGM_RSRC2:TGID_Z_EN: 0
; COMPUTE_PGM_RSRC2:TIDIG_COMP_CNT: 0
	.section	.text._ZN7rocprim17ROCPRIM_400000_NS6detail17trampoline_kernelINS0_14default_configENS1_27scan_by_key_config_selectorIj11FixedVectorIiLj1EEEEZZNS1_16scan_by_key_implILNS1_25lookback_scan_determinismE0ELb0ES3_N6thrust23THRUST_200600_302600_NS6detail15normal_iteratorINSB_10device_ptrIjEEEENSD_INSE_IS6_EEEESI_S6_NSB_4plusIvEENSB_8equal_toIvEES6_EE10hipError_tPvRmT2_T3_T4_T5_mT6_T7_P12ihipStream_tbENKUlT_T0_E_clISt17integral_constantIbLb1EES13_EEDaSY_SZ_EUlSY_E_NS1_11comp_targetILNS1_3genE5ELNS1_11target_archE942ELNS1_3gpuE9ELNS1_3repE0EEENS1_30default_config_static_selectorELNS0_4arch9wavefront6targetE0EEEvT1_,"axG",@progbits,_ZN7rocprim17ROCPRIM_400000_NS6detail17trampoline_kernelINS0_14default_configENS1_27scan_by_key_config_selectorIj11FixedVectorIiLj1EEEEZZNS1_16scan_by_key_implILNS1_25lookback_scan_determinismE0ELb0ES3_N6thrust23THRUST_200600_302600_NS6detail15normal_iteratorINSB_10device_ptrIjEEEENSD_INSE_IS6_EEEESI_S6_NSB_4plusIvEENSB_8equal_toIvEES6_EE10hipError_tPvRmT2_T3_T4_T5_mT6_T7_P12ihipStream_tbENKUlT_T0_E_clISt17integral_constantIbLb1EES13_EEDaSY_SZ_EUlSY_E_NS1_11comp_targetILNS1_3genE5ELNS1_11target_archE942ELNS1_3gpuE9ELNS1_3repE0EEENS1_30default_config_static_selectorELNS0_4arch9wavefront6targetE0EEEvT1_,comdat
	.protected	_ZN7rocprim17ROCPRIM_400000_NS6detail17trampoline_kernelINS0_14default_configENS1_27scan_by_key_config_selectorIj11FixedVectorIiLj1EEEEZZNS1_16scan_by_key_implILNS1_25lookback_scan_determinismE0ELb0ES3_N6thrust23THRUST_200600_302600_NS6detail15normal_iteratorINSB_10device_ptrIjEEEENSD_INSE_IS6_EEEESI_S6_NSB_4plusIvEENSB_8equal_toIvEES6_EE10hipError_tPvRmT2_T3_T4_T5_mT6_T7_P12ihipStream_tbENKUlT_T0_E_clISt17integral_constantIbLb1EES13_EEDaSY_SZ_EUlSY_E_NS1_11comp_targetILNS1_3genE5ELNS1_11target_archE942ELNS1_3gpuE9ELNS1_3repE0EEENS1_30default_config_static_selectorELNS0_4arch9wavefront6targetE0EEEvT1_ ; -- Begin function _ZN7rocprim17ROCPRIM_400000_NS6detail17trampoline_kernelINS0_14default_configENS1_27scan_by_key_config_selectorIj11FixedVectorIiLj1EEEEZZNS1_16scan_by_key_implILNS1_25lookback_scan_determinismE0ELb0ES3_N6thrust23THRUST_200600_302600_NS6detail15normal_iteratorINSB_10device_ptrIjEEEENSD_INSE_IS6_EEEESI_S6_NSB_4plusIvEENSB_8equal_toIvEES6_EE10hipError_tPvRmT2_T3_T4_T5_mT6_T7_P12ihipStream_tbENKUlT_T0_E_clISt17integral_constantIbLb1EES13_EEDaSY_SZ_EUlSY_E_NS1_11comp_targetILNS1_3genE5ELNS1_11target_archE942ELNS1_3gpuE9ELNS1_3repE0EEENS1_30default_config_static_selectorELNS0_4arch9wavefront6targetE0EEEvT1_
	.globl	_ZN7rocprim17ROCPRIM_400000_NS6detail17trampoline_kernelINS0_14default_configENS1_27scan_by_key_config_selectorIj11FixedVectorIiLj1EEEEZZNS1_16scan_by_key_implILNS1_25lookback_scan_determinismE0ELb0ES3_N6thrust23THRUST_200600_302600_NS6detail15normal_iteratorINSB_10device_ptrIjEEEENSD_INSE_IS6_EEEESI_S6_NSB_4plusIvEENSB_8equal_toIvEES6_EE10hipError_tPvRmT2_T3_T4_T5_mT6_T7_P12ihipStream_tbENKUlT_T0_E_clISt17integral_constantIbLb1EES13_EEDaSY_SZ_EUlSY_E_NS1_11comp_targetILNS1_3genE5ELNS1_11target_archE942ELNS1_3gpuE9ELNS1_3repE0EEENS1_30default_config_static_selectorELNS0_4arch9wavefront6targetE0EEEvT1_
	.p2align	8
	.type	_ZN7rocprim17ROCPRIM_400000_NS6detail17trampoline_kernelINS0_14default_configENS1_27scan_by_key_config_selectorIj11FixedVectorIiLj1EEEEZZNS1_16scan_by_key_implILNS1_25lookback_scan_determinismE0ELb0ES3_N6thrust23THRUST_200600_302600_NS6detail15normal_iteratorINSB_10device_ptrIjEEEENSD_INSE_IS6_EEEESI_S6_NSB_4plusIvEENSB_8equal_toIvEES6_EE10hipError_tPvRmT2_T3_T4_T5_mT6_T7_P12ihipStream_tbENKUlT_T0_E_clISt17integral_constantIbLb1EES13_EEDaSY_SZ_EUlSY_E_NS1_11comp_targetILNS1_3genE5ELNS1_11target_archE942ELNS1_3gpuE9ELNS1_3repE0EEENS1_30default_config_static_selectorELNS0_4arch9wavefront6targetE0EEEvT1_,@function
_ZN7rocprim17ROCPRIM_400000_NS6detail17trampoline_kernelINS0_14default_configENS1_27scan_by_key_config_selectorIj11FixedVectorIiLj1EEEEZZNS1_16scan_by_key_implILNS1_25lookback_scan_determinismE0ELb0ES3_N6thrust23THRUST_200600_302600_NS6detail15normal_iteratorINSB_10device_ptrIjEEEENSD_INSE_IS6_EEEESI_S6_NSB_4plusIvEENSB_8equal_toIvEES6_EE10hipError_tPvRmT2_T3_T4_T5_mT6_T7_P12ihipStream_tbENKUlT_T0_E_clISt17integral_constantIbLb1EES13_EEDaSY_SZ_EUlSY_E_NS1_11comp_targetILNS1_3genE5ELNS1_11target_archE942ELNS1_3gpuE9ELNS1_3repE0EEENS1_30default_config_static_selectorELNS0_4arch9wavefront6targetE0EEEvT1_: ; @_ZN7rocprim17ROCPRIM_400000_NS6detail17trampoline_kernelINS0_14default_configENS1_27scan_by_key_config_selectorIj11FixedVectorIiLj1EEEEZZNS1_16scan_by_key_implILNS1_25lookback_scan_determinismE0ELb0ES3_N6thrust23THRUST_200600_302600_NS6detail15normal_iteratorINSB_10device_ptrIjEEEENSD_INSE_IS6_EEEESI_S6_NSB_4plusIvEENSB_8equal_toIvEES6_EE10hipError_tPvRmT2_T3_T4_T5_mT6_T7_P12ihipStream_tbENKUlT_T0_E_clISt17integral_constantIbLb1EES13_EEDaSY_SZ_EUlSY_E_NS1_11comp_targetILNS1_3genE5ELNS1_11target_archE942ELNS1_3gpuE9ELNS1_3repE0EEENS1_30default_config_static_selectorELNS0_4arch9wavefront6targetE0EEEvT1_
; %bb.0:
	.section	.rodata,"a",@progbits
	.p2align	6, 0x0
	.amdhsa_kernel _ZN7rocprim17ROCPRIM_400000_NS6detail17trampoline_kernelINS0_14default_configENS1_27scan_by_key_config_selectorIj11FixedVectorIiLj1EEEEZZNS1_16scan_by_key_implILNS1_25lookback_scan_determinismE0ELb0ES3_N6thrust23THRUST_200600_302600_NS6detail15normal_iteratorINSB_10device_ptrIjEEEENSD_INSE_IS6_EEEESI_S6_NSB_4plusIvEENSB_8equal_toIvEES6_EE10hipError_tPvRmT2_T3_T4_T5_mT6_T7_P12ihipStream_tbENKUlT_T0_E_clISt17integral_constantIbLb1EES13_EEDaSY_SZ_EUlSY_E_NS1_11comp_targetILNS1_3genE5ELNS1_11target_archE942ELNS1_3gpuE9ELNS1_3repE0EEENS1_30default_config_static_selectorELNS0_4arch9wavefront6targetE0EEEvT1_
		.amdhsa_group_segment_fixed_size 0
		.amdhsa_private_segment_fixed_size 0
		.amdhsa_kernarg_size 112
		.amdhsa_user_sgpr_count 6
		.amdhsa_user_sgpr_private_segment_buffer 1
		.amdhsa_user_sgpr_dispatch_ptr 0
		.amdhsa_user_sgpr_queue_ptr 0
		.amdhsa_user_sgpr_kernarg_segment_ptr 1
		.amdhsa_user_sgpr_dispatch_id 0
		.amdhsa_user_sgpr_flat_scratch_init 0
		.amdhsa_user_sgpr_private_segment_size 0
		.amdhsa_wavefront_size32 1
		.amdhsa_uses_dynamic_stack 0
		.amdhsa_system_sgpr_private_segment_wavefront_offset 0
		.amdhsa_system_sgpr_workgroup_id_x 1
		.amdhsa_system_sgpr_workgroup_id_y 0
		.amdhsa_system_sgpr_workgroup_id_z 0
		.amdhsa_system_sgpr_workgroup_info 0
		.amdhsa_system_vgpr_workitem_id 0
		.amdhsa_next_free_vgpr 1
		.amdhsa_next_free_sgpr 1
		.amdhsa_reserve_vcc 0
		.amdhsa_reserve_flat_scratch 0
		.amdhsa_float_round_mode_32 0
		.amdhsa_float_round_mode_16_64 0
		.amdhsa_float_denorm_mode_32 3
		.amdhsa_float_denorm_mode_16_64 3
		.amdhsa_dx10_clamp 1
		.amdhsa_ieee_mode 1
		.amdhsa_fp16_overflow 0
		.amdhsa_workgroup_processor_mode 1
		.amdhsa_memory_ordered 1
		.amdhsa_forward_progress 1
		.amdhsa_shared_vgpr_count 0
		.amdhsa_exception_fp_ieee_invalid_op 0
		.amdhsa_exception_fp_denorm_src 0
		.amdhsa_exception_fp_ieee_div_zero 0
		.amdhsa_exception_fp_ieee_overflow 0
		.amdhsa_exception_fp_ieee_underflow 0
		.amdhsa_exception_fp_ieee_inexact 0
		.amdhsa_exception_int_div_zero 0
	.end_amdhsa_kernel
	.section	.text._ZN7rocprim17ROCPRIM_400000_NS6detail17trampoline_kernelINS0_14default_configENS1_27scan_by_key_config_selectorIj11FixedVectorIiLj1EEEEZZNS1_16scan_by_key_implILNS1_25lookback_scan_determinismE0ELb0ES3_N6thrust23THRUST_200600_302600_NS6detail15normal_iteratorINSB_10device_ptrIjEEEENSD_INSE_IS6_EEEESI_S6_NSB_4plusIvEENSB_8equal_toIvEES6_EE10hipError_tPvRmT2_T3_T4_T5_mT6_T7_P12ihipStream_tbENKUlT_T0_E_clISt17integral_constantIbLb1EES13_EEDaSY_SZ_EUlSY_E_NS1_11comp_targetILNS1_3genE5ELNS1_11target_archE942ELNS1_3gpuE9ELNS1_3repE0EEENS1_30default_config_static_selectorELNS0_4arch9wavefront6targetE0EEEvT1_,"axG",@progbits,_ZN7rocprim17ROCPRIM_400000_NS6detail17trampoline_kernelINS0_14default_configENS1_27scan_by_key_config_selectorIj11FixedVectorIiLj1EEEEZZNS1_16scan_by_key_implILNS1_25lookback_scan_determinismE0ELb0ES3_N6thrust23THRUST_200600_302600_NS6detail15normal_iteratorINSB_10device_ptrIjEEEENSD_INSE_IS6_EEEESI_S6_NSB_4plusIvEENSB_8equal_toIvEES6_EE10hipError_tPvRmT2_T3_T4_T5_mT6_T7_P12ihipStream_tbENKUlT_T0_E_clISt17integral_constantIbLb1EES13_EEDaSY_SZ_EUlSY_E_NS1_11comp_targetILNS1_3genE5ELNS1_11target_archE942ELNS1_3gpuE9ELNS1_3repE0EEENS1_30default_config_static_selectorELNS0_4arch9wavefront6targetE0EEEvT1_,comdat
.Lfunc_end1882:
	.size	_ZN7rocprim17ROCPRIM_400000_NS6detail17trampoline_kernelINS0_14default_configENS1_27scan_by_key_config_selectorIj11FixedVectorIiLj1EEEEZZNS1_16scan_by_key_implILNS1_25lookback_scan_determinismE0ELb0ES3_N6thrust23THRUST_200600_302600_NS6detail15normal_iteratorINSB_10device_ptrIjEEEENSD_INSE_IS6_EEEESI_S6_NSB_4plusIvEENSB_8equal_toIvEES6_EE10hipError_tPvRmT2_T3_T4_T5_mT6_T7_P12ihipStream_tbENKUlT_T0_E_clISt17integral_constantIbLb1EES13_EEDaSY_SZ_EUlSY_E_NS1_11comp_targetILNS1_3genE5ELNS1_11target_archE942ELNS1_3gpuE9ELNS1_3repE0EEENS1_30default_config_static_selectorELNS0_4arch9wavefront6targetE0EEEvT1_, .Lfunc_end1882-_ZN7rocprim17ROCPRIM_400000_NS6detail17trampoline_kernelINS0_14default_configENS1_27scan_by_key_config_selectorIj11FixedVectorIiLj1EEEEZZNS1_16scan_by_key_implILNS1_25lookback_scan_determinismE0ELb0ES3_N6thrust23THRUST_200600_302600_NS6detail15normal_iteratorINSB_10device_ptrIjEEEENSD_INSE_IS6_EEEESI_S6_NSB_4plusIvEENSB_8equal_toIvEES6_EE10hipError_tPvRmT2_T3_T4_T5_mT6_T7_P12ihipStream_tbENKUlT_T0_E_clISt17integral_constantIbLb1EES13_EEDaSY_SZ_EUlSY_E_NS1_11comp_targetILNS1_3genE5ELNS1_11target_archE942ELNS1_3gpuE9ELNS1_3repE0EEENS1_30default_config_static_selectorELNS0_4arch9wavefront6targetE0EEEvT1_
                                        ; -- End function
	.set _ZN7rocprim17ROCPRIM_400000_NS6detail17trampoline_kernelINS0_14default_configENS1_27scan_by_key_config_selectorIj11FixedVectorIiLj1EEEEZZNS1_16scan_by_key_implILNS1_25lookback_scan_determinismE0ELb0ES3_N6thrust23THRUST_200600_302600_NS6detail15normal_iteratorINSB_10device_ptrIjEEEENSD_INSE_IS6_EEEESI_S6_NSB_4plusIvEENSB_8equal_toIvEES6_EE10hipError_tPvRmT2_T3_T4_T5_mT6_T7_P12ihipStream_tbENKUlT_T0_E_clISt17integral_constantIbLb1EES13_EEDaSY_SZ_EUlSY_E_NS1_11comp_targetILNS1_3genE5ELNS1_11target_archE942ELNS1_3gpuE9ELNS1_3repE0EEENS1_30default_config_static_selectorELNS0_4arch9wavefront6targetE0EEEvT1_.num_vgpr, 0
	.set _ZN7rocprim17ROCPRIM_400000_NS6detail17trampoline_kernelINS0_14default_configENS1_27scan_by_key_config_selectorIj11FixedVectorIiLj1EEEEZZNS1_16scan_by_key_implILNS1_25lookback_scan_determinismE0ELb0ES3_N6thrust23THRUST_200600_302600_NS6detail15normal_iteratorINSB_10device_ptrIjEEEENSD_INSE_IS6_EEEESI_S6_NSB_4plusIvEENSB_8equal_toIvEES6_EE10hipError_tPvRmT2_T3_T4_T5_mT6_T7_P12ihipStream_tbENKUlT_T0_E_clISt17integral_constantIbLb1EES13_EEDaSY_SZ_EUlSY_E_NS1_11comp_targetILNS1_3genE5ELNS1_11target_archE942ELNS1_3gpuE9ELNS1_3repE0EEENS1_30default_config_static_selectorELNS0_4arch9wavefront6targetE0EEEvT1_.num_agpr, 0
	.set _ZN7rocprim17ROCPRIM_400000_NS6detail17trampoline_kernelINS0_14default_configENS1_27scan_by_key_config_selectorIj11FixedVectorIiLj1EEEEZZNS1_16scan_by_key_implILNS1_25lookback_scan_determinismE0ELb0ES3_N6thrust23THRUST_200600_302600_NS6detail15normal_iteratorINSB_10device_ptrIjEEEENSD_INSE_IS6_EEEESI_S6_NSB_4plusIvEENSB_8equal_toIvEES6_EE10hipError_tPvRmT2_T3_T4_T5_mT6_T7_P12ihipStream_tbENKUlT_T0_E_clISt17integral_constantIbLb1EES13_EEDaSY_SZ_EUlSY_E_NS1_11comp_targetILNS1_3genE5ELNS1_11target_archE942ELNS1_3gpuE9ELNS1_3repE0EEENS1_30default_config_static_selectorELNS0_4arch9wavefront6targetE0EEEvT1_.numbered_sgpr, 0
	.set _ZN7rocprim17ROCPRIM_400000_NS6detail17trampoline_kernelINS0_14default_configENS1_27scan_by_key_config_selectorIj11FixedVectorIiLj1EEEEZZNS1_16scan_by_key_implILNS1_25lookback_scan_determinismE0ELb0ES3_N6thrust23THRUST_200600_302600_NS6detail15normal_iteratorINSB_10device_ptrIjEEEENSD_INSE_IS6_EEEESI_S6_NSB_4plusIvEENSB_8equal_toIvEES6_EE10hipError_tPvRmT2_T3_T4_T5_mT6_T7_P12ihipStream_tbENKUlT_T0_E_clISt17integral_constantIbLb1EES13_EEDaSY_SZ_EUlSY_E_NS1_11comp_targetILNS1_3genE5ELNS1_11target_archE942ELNS1_3gpuE9ELNS1_3repE0EEENS1_30default_config_static_selectorELNS0_4arch9wavefront6targetE0EEEvT1_.num_named_barrier, 0
	.set _ZN7rocprim17ROCPRIM_400000_NS6detail17trampoline_kernelINS0_14default_configENS1_27scan_by_key_config_selectorIj11FixedVectorIiLj1EEEEZZNS1_16scan_by_key_implILNS1_25lookback_scan_determinismE0ELb0ES3_N6thrust23THRUST_200600_302600_NS6detail15normal_iteratorINSB_10device_ptrIjEEEENSD_INSE_IS6_EEEESI_S6_NSB_4plusIvEENSB_8equal_toIvEES6_EE10hipError_tPvRmT2_T3_T4_T5_mT6_T7_P12ihipStream_tbENKUlT_T0_E_clISt17integral_constantIbLb1EES13_EEDaSY_SZ_EUlSY_E_NS1_11comp_targetILNS1_3genE5ELNS1_11target_archE942ELNS1_3gpuE9ELNS1_3repE0EEENS1_30default_config_static_selectorELNS0_4arch9wavefront6targetE0EEEvT1_.private_seg_size, 0
	.set _ZN7rocprim17ROCPRIM_400000_NS6detail17trampoline_kernelINS0_14default_configENS1_27scan_by_key_config_selectorIj11FixedVectorIiLj1EEEEZZNS1_16scan_by_key_implILNS1_25lookback_scan_determinismE0ELb0ES3_N6thrust23THRUST_200600_302600_NS6detail15normal_iteratorINSB_10device_ptrIjEEEENSD_INSE_IS6_EEEESI_S6_NSB_4plusIvEENSB_8equal_toIvEES6_EE10hipError_tPvRmT2_T3_T4_T5_mT6_T7_P12ihipStream_tbENKUlT_T0_E_clISt17integral_constantIbLb1EES13_EEDaSY_SZ_EUlSY_E_NS1_11comp_targetILNS1_3genE5ELNS1_11target_archE942ELNS1_3gpuE9ELNS1_3repE0EEENS1_30default_config_static_selectorELNS0_4arch9wavefront6targetE0EEEvT1_.uses_vcc, 0
	.set _ZN7rocprim17ROCPRIM_400000_NS6detail17trampoline_kernelINS0_14default_configENS1_27scan_by_key_config_selectorIj11FixedVectorIiLj1EEEEZZNS1_16scan_by_key_implILNS1_25lookback_scan_determinismE0ELb0ES3_N6thrust23THRUST_200600_302600_NS6detail15normal_iteratorINSB_10device_ptrIjEEEENSD_INSE_IS6_EEEESI_S6_NSB_4plusIvEENSB_8equal_toIvEES6_EE10hipError_tPvRmT2_T3_T4_T5_mT6_T7_P12ihipStream_tbENKUlT_T0_E_clISt17integral_constantIbLb1EES13_EEDaSY_SZ_EUlSY_E_NS1_11comp_targetILNS1_3genE5ELNS1_11target_archE942ELNS1_3gpuE9ELNS1_3repE0EEENS1_30default_config_static_selectorELNS0_4arch9wavefront6targetE0EEEvT1_.uses_flat_scratch, 0
	.set _ZN7rocprim17ROCPRIM_400000_NS6detail17trampoline_kernelINS0_14default_configENS1_27scan_by_key_config_selectorIj11FixedVectorIiLj1EEEEZZNS1_16scan_by_key_implILNS1_25lookback_scan_determinismE0ELb0ES3_N6thrust23THRUST_200600_302600_NS6detail15normal_iteratorINSB_10device_ptrIjEEEENSD_INSE_IS6_EEEESI_S6_NSB_4plusIvEENSB_8equal_toIvEES6_EE10hipError_tPvRmT2_T3_T4_T5_mT6_T7_P12ihipStream_tbENKUlT_T0_E_clISt17integral_constantIbLb1EES13_EEDaSY_SZ_EUlSY_E_NS1_11comp_targetILNS1_3genE5ELNS1_11target_archE942ELNS1_3gpuE9ELNS1_3repE0EEENS1_30default_config_static_selectorELNS0_4arch9wavefront6targetE0EEEvT1_.has_dyn_sized_stack, 0
	.set _ZN7rocprim17ROCPRIM_400000_NS6detail17trampoline_kernelINS0_14default_configENS1_27scan_by_key_config_selectorIj11FixedVectorIiLj1EEEEZZNS1_16scan_by_key_implILNS1_25lookback_scan_determinismE0ELb0ES3_N6thrust23THRUST_200600_302600_NS6detail15normal_iteratorINSB_10device_ptrIjEEEENSD_INSE_IS6_EEEESI_S6_NSB_4plusIvEENSB_8equal_toIvEES6_EE10hipError_tPvRmT2_T3_T4_T5_mT6_T7_P12ihipStream_tbENKUlT_T0_E_clISt17integral_constantIbLb1EES13_EEDaSY_SZ_EUlSY_E_NS1_11comp_targetILNS1_3genE5ELNS1_11target_archE942ELNS1_3gpuE9ELNS1_3repE0EEENS1_30default_config_static_selectorELNS0_4arch9wavefront6targetE0EEEvT1_.has_recursion, 0
	.set _ZN7rocprim17ROCPRIM_400000_NS6detail17trampoline_kernelINS0_14default_configENS1_27scan_by_key_config_selectorIj11FixedVectorIiLj1EEEEZZNS1_16scan_by_key_implILNS1_25lookback_scan_determinismE0ELb0ES3_N6thrust23THRUST_200600_302600_NS6detail15normal_iteratorINSB_10device_ptrIjEEEENSD_INSE_IS6_EEEESI_S6_NSB_4plusIvEENSB_8equal_toIvEES6_EE10hipError_tPvRmT2_T3_T4_T5_mT6_T7_P12ihipStream_tbENKUlT_T0_E_clISt17integral_constantIbLb1EES13_EEDaSY_SZ_EUlSY_E_NS1_11comp_targetILNS1_3genE5ELNS1_11target_archE942ELNS1_3gpuE9ELNS1_3repE0EEENS1_30default_config_static_selectorELNS0_4arch9wavefront6targetE0EEEvT1_.has_indirect_call, 0
	.section	.AMDGPU.csdata,"",@progbits
; Kernel info:
; codeLenInByte = 0
; TotalNumSgprs: 0
; NumVgprs: 0
; ScratchSize: 0
; MemoryBound: 0
; FloatMode: 240
; IeeeMode: 1
; LDSByteSize: 0 bytes/workgroup (compile time only)
; SGPRBlocks: 0
; VGPRBlocks: 0
; NumSGPRsForWavesPerEU: 1
; NumVGPRsForWavesPerEU: 1
; Occupancy: 16
; WaveLimiterHint : 0
; COMPUTE_PGM_RSRC2:SCRATCH_EN: 0
; COMPUTE_PGM_RSRC2:USER_SGPR: 6
; COMPUTE_PGM_RSRC2:TRAP_HANDLER: 0
; COMPUTE_PGM_RSRC2:TGID_X_EN: 1
; COMPUTE_PGM_RSRC2:TGID_Y_EN: 0
; COMPUTE_PGM_RSRC2:TGID_Z_EN: 0
; COMPUTE_PGM_RSRC2:TIDIG_COMP_CNT: 0
	.section	.text._ZN7rocprim17ROCPRIM_400000_NS6detail17trampoline_kernelINS0_14default_configENS1_27scan_by_key_config_selectorIj11FixedVectorIiLj1EEEEZZNS1_16scan_by_key_implILNS1_25lookback_scan_determinismE0ELb0ES3_N6thrust23THRUST_200600_302600_NS6detail15normal_iteratorINSB_10device_ptrIjEEEENSD_INSE_IS6_EEEESI_S6_NSB_4plusIvEENSB_8equal_toIvEES6_EE10hipError_tPvRmT2_T3_T4_T5_mT6_T7_P12ihipStream_tbENKUlT_T0_E_clISt17integral_constantIbLb1EES13_EEDaSY_SZ_EUlSY_E_NS1_11comp_targetILNS1_3genE4ELNS1_11target_archE910ELNS1_3gpuE8ELNS1_3repE0EEENS1_30default_config_static_selectorELNS0_4arch9wavefront6targetE0EEEvT1_,"axG",@progbits,_ZN7rocprim17ROCPRIM_400000_NS6detail17trampoline_kernelINS0_14default_configENS1_27scan_by_key_config_selectorIj11FixedVectorIiLj1EEEEZZNS1_16scan_by_key_implILNS1_25lookback_scan_determinismE0ELb0ES3_N6thrust23THRUST_200600_302600_NS6detail15normal_iteratorINSB_10device_ptrIjEEEENSD_INSE_IS6_EEEESI_S6_NSB_4plusIvEENSB_8equal_toIvEES6_EE10hipError_tPvRmT2_T3_T4_T5_mT6_T7_P12ihipStream_tbENKUlT_T0_E_clISt17integral_constantIbLb1EES13_EEDaSY_SZ_EUlSY_E_NS1_11comp_targetILNS1_3genE4ELNS1_11target_archE910ELNS1_3gpuE8ELNS1_3repE0EEENS1_30default_config_static_selectorELNS0_4arch9wavefront6targetE0EEEvT1_,comdat
	.protected	_ZN7rocprim17ROCPRIM_400000_NS6detail17trampoline_kernelINS0_14default_configENS1_27scan_by_key_config_selectorIj11FixedVectorIiLj1EEEEZZNS1_16scan_by_key_implILNS1_25lookback_scan_determinismE0ELb0ES3_N6thrust23THRUST_200600_302600_NS6detail15normal_iteratorINSB_10device_ptrIjEEEENSD_INSE_IS6_EEEESI_S6_NSB_4plusIvEENSB_8equal_toIvEES6_EE10hipError_tPvRmT2_T3_T4_T5_mT6_T7_P12ihipStream_tbENKUlT_T0_E_clISt17integral_constantIbLb1EES13_EEDaSY_SZ_EUlSY_E_NS1_11comp_targetILNS1_3genE4ELNS1_11target_archE910ELNS1_3gpuE8ELNS1_3repE0EEENS1_30default_config_static_selectorELNS0_4arch9wavefront6targetE0EEEvT1_ ; -- Begin function _ZN7rocprim17ROCPRIM_400000_NS6detail17trampoline_kernelINS0_14default_configENS1_27scan_by_key_config_selectorIj11FixedVectorIiLj1EEEEZZNS1_16scan_by_key_implILNS1_25lookback_scan_determinismE0ELb0ES3_N6thrust23THRUST_200600_302600_NS6detail15normal_iteratorINSB_10device_ptrIjEEEENSD_INSE_IS6_EEEESI_S6_NSB_4plusIvEENSB_8equal_toIvEES6_EE10hipError_tPvRmT2_T3_T4_T5_mT6_T7_P12ihipStream_tbENKUlT_T0_E_clISt17integral_constantIbLb1EES13_EEDaSY_SZ_EUlSY_E_NS1_11comp_targetILNS1_3genE4ELNS1_11target_archE910ELNS1_3gpuE8ELNS1_3repE0EEENS1_30default_config_static_selectorELNS0_4arch9wavefront6targetE0EEEvT1_
	.globl	_ZN7rocprim17ROCPRIM_400000_NS6detail17trampoline_kernelINS0_14default_configENS1_27scan_by_key_config_selectorIj11FixedVectorIiLj1EEEEZZNS1_16scan_by_key_implILNS1_25lookback_scan_determinismE0ELb0ES3_N6thrust23THRUST_200600_302600_NS6detail15normal_iteratorINSB_10device_ptrIjEEEENSD_INSE_IS6_EEEESI_S6_NSB_4plusIvEENSB_8equal_toIvEES6_EE10hipError_tPvRmT2_T3_T4_T5_mT6_T7_P12ihipStream_tbENKUlT_T0_E_clISt17integral_constantIbLb1EES13_EEDaSY_SZ_EUlSY_E_NS1_11comp_targetILNS1_3genE4ELNS1_11target_archE910ELNS1_3gpuE8ELNS1_3repE0EEENS1_30default_config_static_selectorELNS0_4arch9wavefront6targetE0EEEvT1_
	.p2align	8
	.type	_ZN7rocprim17ROCPRIM_400000_NS6detail17trampoline_kernelINS0_14default_configENS1_27scan_by_key_config_selectorIj11FixedVectorIiLj1EEEEZZNS1_16scan_by_key_implILNS1_25lookback_scan_determinismE0ELb0ES3_N6thrust23THRUST_200600_302600_NS6detail15normal_iteratorINSB_10device_ptrIjEEEENSD_INSE_IS6_EEEESI_S6_NSB_4plusIvEENSB_8equal_toIvEES6_EE10hipError_tPvRmT2_T3_T4_T5_mT6_T7_P12ihipStream_tbENKUlT_T0_E_clISt17integral_constantIbLb1EES13_EEDaSY_SZ_EUlSY_E_NS1_11comp_targetILNS1_3genE4ELNS1_11target_archE910ELNS1_3gpuE8ELNS1_3repE0EEENS1_30default_config_static_selectorELNS0_4arch9wavefront6targetE0EEEvT1_,@function
_ZN7rocprim17ROCPRIM_400000_NS6detail17trampoline_kernelINS0_14default_configENS1_27scan_by_key_config_selectorIj11FixedVectorIiLj1EEEEZZNS1_16scan_by_key_implILNS1_25lookback_scan_determinismE0ELb0ES3_N6thrust23THRUST_200600_302600_NS6detail15normal_iteratorINSB_10device_ptrIjEEEENSD_INSE_IS6_EEEESI_S6_NSB_4plusIvEENSB_8equal_toIvEES6_EE10hipError_tPvRmT2_T3_T4_T5_mT6_T7_P12ihipStream_tbENKUlT_T0_E_clISt17integral_constantIbLb1EES13_EEDaSY_SZ_EUlSY_E_NS1_11comp_targetILNS1_3genE4ELNS1_11target_archE910ELNS1_3gpuE8ELNS1_3repE0EEENS1_30default_config_static_selectorELNS0_4arch9wavefront6targetE0EEEvT1_: ; @_ZN7rocprim17ROCPRIM_400000_NS6detail17trampoline_kernelINS0_14default_configENS1_27scan_by_key_config_selectorIj11FixedVectorIiLj1EEEEZZNS1_16scan_by_key_implILNS1_25lookback_scan_determinismE0ELb0ES3_N6thrust23THRUST_200600_302600_NS6detail15normal_iteratorINSB_10device_ptrIjEEEENSD_INSE_IS6_EEEESI_S6_NSB_4plusIvEENSB_8equal_toIvEES6_EE10hipError_tPvRmT2_T3_T4_T5_mT6_T7_P12ihipStream_tbENKUlT_T0_E_clISt17integral_constantIbLb1EES13_EEDaSY_SZ_EUlSY_E_NS1_11comp_targetILNS1_3genE4ELNS1_11target_archE910ELNS1_3gpuE8ELNS1_3repE0EEENS1_30default_config_static_selectorELNS0_4arch9wavefront6targetE0EEEvT1_
; %bb.0:
	.section	.rodata,"a",@progbits
	.p2align	6, 0x0
	.amdhsa_kernel _ZN7rocprim17ROCPRIM_400000_NS6detail17trampoline_kernelINS0_14default_configENS1_27scan_by_key_config_selectorIj11FixedVectorIiLj1EEEEZZNS1_16scan_by_key_implILNS1_25lookback_scan_determinismE0ELb0ES3_N6thrust23THRUST_200600_302600_NS6detail15normal_iteratorINSB_10device_ptrIjEEEENSD_INSE_IS6_EEEESI_S6_NSB_4plusIvEENSB_8equal_toIvEES6_EE10hipError_tPvRmT2_T3_T4_T5_mT6_T7_P12ihipStream_tbENKUlT_T0_E_clISt17integral_constantIbLb1EES13_EEDaSY_SZ_EUlSY_E_NS1_11comp_targetILNS1_3genE4ELNS1_11target_archE910ELNS1_3gpuE8ELNS1_3repE0EEENS1_30default_config_static_selectorELNS0_4arch9wavefront6targetE0EEEvT1_
		.amdhsa_group_segment_fixed_size 0
		.amdhsa_private_segment_fixed_size 0
		.amdhsa_kernarg_size 112
		.amdhsa_user_sgpr_count 6
		.amdhsa_user_sgpr_private_segment_buffer 1
		.amdhsa_user_sgpr_dispatch_ptr 0
		.amdhsa_user_sgpr_queue_ptr 0
		.amdhsa_user_sgpr_kernarg_segment_ptr 1
		.amdhsa_user_sgpr_dispatch_id 0
		.amdhsa_user_sgpr_flat_scratch_init 0
		.amdhsa_user_sgpr_private_segment_size 0
		.amdhsa_wavefront_size32 1
		.amdhsa_uses_dynamic_stack 0
		.amdhsa_system_sgpr_private_segment_wavefront_offset 0
		.amdhsa_system_sgpr_workgroup_id_x 1
		.amdhsa_system_sgpr_workgroup_id_y 0
		.amdhsa_system_sgpr_workgroup_id_z 0
		.amdhsa_system_sgpr_workgroup_info 0
		.amdhsa_system_vgpr_workitem_id 0
		.amdhsa_next_free_vgpr 1
		.amdhsa_next_free_sgpr 1
		.amdhsa_reserve_vcc 0
		.amdhsa_reserve_flat_scratch 0
		.amdhsa_float_round_mode_32 0
		.amdhsa_float_round_mode_16_64 0
		.amdhsa_float_denorm_mode_32 3
		.amdhsa_float_denorm_mode_16_64 3
		.amdhsa_dx10_clamp 1
		.amdhsa_ieee_mode 1
		.amdhsa_fp16_overflow 0
		.amdhsa_workgroup_processor_mode 1
		.amdhsa_memory_ordered 1
		.amdhsa_forward_progress 1
		.amdhsa_shared_vgpr_count 0
		.amdhsa_exception_fp_ieee_invalid_op 0
		.amdhsa_exception_fp_denorm_src 0
		.amdhsa_exception_fp_ieee_div_zero 0
		.amdhsa_exception_fp_ieee_overflow 0
		.amdhsa_exception_fp_ieee_underflow 0
		.amdhsa_exception_fp_ieee_inexact 0
		.amdhsa_exception_int_div_zero 0
	.end_amdhsa_kernel
	.section	.text._ZN7rocprim17ROCPRIM_400000_NS6detail17trampoline_kernelINS0_14default_configENS1_27scan_by_key_config_selectorIj11FixedVectorIiLj1EEEEZZNS1_16scan_by_key_implILNS1_25lookback_scan_determinismE0ELb0ES3_N6thrust23THRUST_200600_302600_NS6detail15normal_iteratorINSB_10device_ptrIjEEEENSD_INSE_IS6_EEEESI_S6_NSB_4plusIvEENSB_8equal_toIvEES6_EE10hipError_tPvRmT2_T3_T4_T5_mT6_T7_P12ihipStream_tbENKUlT_T0_E_clISt17integral_constantIbLb1EES13_EEDaSY_SZ_EUlSY_E_NS1_11comp_targetILNS1_3genE4ELNS1_11target_archE910ELNS1_3gpuE8ELNS1_3repE0EEENS1_30default_config_static_selectorELNS0_4arch9wavefront6targetE0EEEvT1_,"axG",@progbits,_ZN7rocprim17ROCPRIM_400000_NS6detail17trampoline_kernelINS0_14default_configENS1_27scan_by_key_config_selectorIj11FixedVectorIiLj1EEEEZZNS1_16scan_by_key_implILNS1_25lookback_scan_determinismE0ELb0ES3_N6thrust23THRUST_200600_302600_NS6detail15normal_iteratorINSB_10device_ptrIjEEEENSD_INSE_IS6_EEEESI_S6_NSB_4plusIvEENSB_8equal_toIvEES6_EE10hipError_tPvRmT2_T3_T4_T5_mT6_T7_P12ihipStream_tbENKUlT_T0_E_clISt17integral_constantIbLb1EES13_EEDaSY_SZ_EUlSY_E_NS1_11comp_targetILNS1_3genE4ELNS1_11target_archE910ELNS1_3gpuE8ELNS1_3repE0EEENS1_30default_config_static_selectorELNS0_4arch9wavefront6targetE0EEEvT1_,comdat
.Lfunc_end1883:
	.size	_ZN7rocprim17ROCPRIM_400000_NS6detail17trampoline_kernelINS0_14default_configENS1_27scan_by_key_config_selectorIj11FixedVectorIiLj1EEEEZZNS1_16scan_by_key_implILNS1_25lookback_scan_determinismE0ELb0ES3_N6thrust23THRUST_200600_302600_NS6detail15normal_iteratorINSB_10device_ptrIjEEEENSD_INSE_IS6_EEEESI_S6_NSB_4plusIvEENSB_8equal_toIvEES6_EE10hipError_tPvRmT2_T3_T4_T5_mT6_T7_P12ihipStream_tbENKUlT_T0_E_clISt17integral_constantIbLb1EES13_EEDaSY_SZ_EUlSY_E_NS1_11comp_targetILNS1_3genE4ELNS1_11target_archE910ELNS1_3gpuE8ELNS1_3repE0EEENS1_30default_config_static_selectorELNS0_4arch9wavefront6targetE0EEEvT1_, .Lfunc_end1883-_ZN7rocprim17ROCPRIM_400000_NS6detail17trampoline_kernelINS0_14default_configENS1_27scan_by_key_config_selectorIj11FixedVectorIiLj1EEEEZZNS1_16scan_by_key_implILNS1_25lookback_scan_determinismE0ELb0ES3_N6thrust23THRUST_200600_302600_NS6detail15normal_iteratorINSB_10device_ptrIjEEEENSD_INSE_IS6_EEEESI_S6_NSB_4plusIvEENSB_8equal_toIvEES6_EE10hipError_tPvRmT2_T3_T4_T5_mT6_T7_P12ihipStream_tbENKUlT_T0_E_clISt17integral_constantIbLb1EES13_EEDaSY_SZ_EUlSY_E_NS1_11comp_targetILNS1_3genE4ELNS1_11target_archE910ELNS1_3gpuE8ELNS1_3repE0EEENS1_30default_config_static_selectorELNS0_4arch9wavefront6targetE0EEEvT1_
                                        ; -- End function
	.set _ZN7rocprim17ROCPRIM_400000_NS6detail17trampoline_kernelINS0_14default_configENS1_27scan_by_key_config_selectorIj11FixedVectorIiLj1EEEEZZNS1_16scan_by_key_implILNS1_25lookback_scan_determinismE0ELb0ES3_N6thrust23THRUST_200600_302600_NS6detail15normal_iteratorINSB_10device_ptrIjEEEENSD_INSE_IS6_EEEESI_S6_NSB_4plusIvEENSB_8equal_toIvEES6_EE10hipError_tPvRmT2_T3_T4_T5_mT6_T7_P12ihipStream_tbENKUlT_T0_E_clISt17integral_constantIbLb1EES13_EEDaSY_SZ_EUlSY_E_NS1_11comp_targetILNS1_3genE4ELNS1_11target_archE910ELNS1_3gpuE8ELNS1_3repE0EEENS1_30default_config_static_selectorELNS0_4arch9wavefront6targetE0EEEvT1_.num_vgpr, 0
	.set _ZN7rocprim17ROCPRIM_400000_NS6detail17trampoline_kernelINS0_14default_configENS1_27scan_by_key_config_selectorIj11FixedVectorIiLj1EEEEZZNS1_16scan_by_key_implILNS1_25lookback_scan_determinismE0ELb0ES3_N6thrust23THRUST_200600_302600_NS6detail15normal_iteratorINSB_10device_ptrIjEEEENSD_INSE_IS6_EEEESI_S6_NSB_4plusIvEENSB_8equal_toIvEES6_EE10hipError_tPvRmT2_T3_T4_T5_mT6_T7_P12ihipStream_tbENKUlT_T0_E_clISt17integral_constantIbLb1EES13_EEDaSY_SZ_EUlSY_E_NS1_11comp_targetILNS1_3genE4ELNS1_11target_archE910ELNS1_3gpuE8ELNS1_3repE0EEENS1_30default_config_static_selectorELNS0_4arch9wavefront6targetE0EEEvT1_.num_agpr, 0
	.set _ZN7rocprim17ROCPRIM_400000_NS6detail17trampoline_kernelINS0_14default_configENS1_27scan_by_key_config_selectorIj11FixedVectorIiLj1EEEEZZNS1_16scan_by_key_implILNS1_25lookback_scan_determinismE0ELb0ES3_N6thrust23THRUST_200600_302600_NS6detail15normal_iteratorINSB_10device_ptrIjEEEENSD_INSE_IS6_EEEESI_S6_NSB_4plusIvEENSB_8equal_toIvEES6_EE10hipError_tPvRmT2_T3_T4_T5_mT6_T7_P12ihipStream_tbENKUlT_T0_E_clISt17integral_constantIbLb1EES13_EEDaSY_SZ_EUlSY_E_NS1_11comp_targetILNS1_3genE4ELNS1_11target_archE910ELNS1_3gpuE8ELNS1_3repE0EEENS1_30default_config_static_selectorELNS0_4arch9wavefront6targetE0EEEvT1_.numbered_sgpr, 0
	.set _ZN7rocprim17ROCPRIM_400000_NS6detail17trampoline_kernelINS0_14default_configENS1_27scan_by_key_config_selectorIj11FixedVectorIiLj1EEEEZZNS1_16scan_by_key_implILNS1_25lookback_scan_determinismE0ELb0ES3_N6thrust23THRUST_200600_302600_NS6detail15normal_iteratorINSB_10device_ptrIjEEEENSD_INSE_IS6_EEEESI_S6_NSB_4plusIvEENSB_8equal_toIvEES6_EE10hipError_tPvRmT2_T3_T4_T5_mT6_T7_P12ihipStream_tbENKUlT_T0_E_clISt17integral_constantIbLb1EES13_EEDaSY_SZ_EUlSY_E_NS1_11comp_targetILNS1_3genE4ELNS1_11target_archE910ELNS1_3gpuE8ELNS1_3repE0EEENS1_30default_config_static_selectorELNS0_4arch9wavefront6targetE0EEEvT1_.num_named_barrier, 0
	.set _ZN7rocprim17ROCPRIM_400000_NS6detail17trampoline_kernelINS0_14default_configENS1_27scan_by_key_config_selectorIj11FixedVectorIiLj1EEEEZZNS1_16scan_by_key_implILNS1_25lookback_scan_determinismE0ELb0ES3_N6thrust23THRUST_200600_302600_NS6detail15normal_iteratorINSB_10device_ptrIjEEEENSD_INSE_IS6_EEEESI_S6_NSB_4plusIvEENSB_8equal_toIvEES6_EE10hipError_tPvRmT2_T3_T4_T5_mT6_T7_P12ihipStream_tbENKUlT_T0_E_clISt17integral_constantIbLb1EES13_EEDaSY_SZ_EUlSY_E_NS1_11comp_targetILNS1_3genE4ELNS1_11target_archE910ELNS1_3gpuE8ELNS1_3repE0EEENS1_30default_config_static_selectorELNS0_4arch9wavefront6targetE0EEEvT1_.private_seg_size, 0
	.set _ZN7rocprim17ROCPRIM_400000_NS6detail17trampoline_kernelINS0_14default_configENS1_27scan_by_key_config_selectorIj11FixedVectorIiLj1EEEEZZNS1_16scan_by_key_implILNS1_25lookback_scan_determinismE0ELb0ES3_N6thrust23THRUST_200600_302600_NS6detail15normal_iteratorINSB_10device_ptrIjEEEENSD_INSE_IS6_EEEESI_S6_NSB_4plusIvEENSB_8equal_toIvEES6_EE10hipError_tPvRmT2_T3_T4_T5_mT6_T7_P12ihipStream_tbENKUlT_T0_E_clISt17integral_constantIbLb1EES13_EEDaSY_SZ_EUlSY_E_NS1_11comp_targetILNS1_3genE4ELNS1_11target_archE910ELNS1_3gpuE8ELNS1_3repE0EEENS1_30default_config_static_selectorELNS0_4arch9wavefront6targetE0EEEvT1_.uses_vcc, 0
	.set _ZN7rocprim17ROCPRIM_400000_NS6detail17trampoline_kernelINS0_14default_configENS1_27scan_by_key_config_selectorIj11FixedVectorIiLj1EEEEZZNS1_16scan_by_key_implILNS1_25lookback_scan_determinismE0ELb0ES3_N6thrust23THRUST_200600_302600_NS6detail15normal_iteratorINSB_10device_ptrIjEEEENSD_INSE_IS6_EEEESI_S6_NSB_4plusIvEENSB_8equal_toIvEES6_EE10hipError_tPvRmT2_T3_T4_T5_mT6_T7_P12ihipStream_tbENKUlT_T0_E_clISt17integral_constantIbLb1EES13_EEDaSY_SZ_EUlSY_E_NS1_11comp_targetILNS1_3genE4ELNS1_11target_archE910ELNS1_3gpuE8ELNS1_3repE0EEENS1_30default_config_static_selectorELNS0_4arch9wavefront6targetE0EEEvT1_.uses_flat_scratch, 0
	.set _ZN7rocprim17ROCPRIM_400000_NS6detail17trampoline_kernelINS0_14default_configENS1_27scan_by_key_config_selectorIj11FixedVectorIiLj1EEEEZZNS1_16scan_by_key_implILNS1_25lookback_scan_determinismE0ELb0ES3_N6thrust23THRUST_200600_302600_NS6detail15normal_iteratorINSB_10device_ptrIjEEEENSD_INSE_IS6_EEEESI_S6_NSB_4plusIvEENSB_8equal_toIvEES6_EE10hipError_tPvRmT2_T3_T4_T5_mT6_T7_P12ihipStream_tbENKUlT_T0_E_clISt17integral_constantIbLb1EES13_EEDaSY_SZ_EUlSY_E_NS1_11comp_targetILNS1_3genE4ELNS1_11target_archE910ELNS1_3gpuE8ELNS1_3repE0EEENS1_30default_config_static_selectorELNS0_4arch9wavefront6targetE0EEEvT1_.has_dyn_sized_stack, 0
	.set _ZN7rocprim17ROCPRIM_400000_NS6detail17trampoline_kernelINS0_14default_configENS1_27scan_by_key_config_selectorIj11FixedVectorIiLj1EEEEZZNS1_16scan_by_key_implILNS1_25lookback_scan_determinismE0ELb0ES3_N6thrust23THRUST_200600_302600_NS6detail15normal_iteratorINSB_10device_ptrIjEEEENSD_INSE_IS6_EEEESI_S6_NSB_4plusIvEENSB_8equal_toIvEES6_EE10hipError_tPvRmT2_T3_T4_T5_mT6_T7_P12ihipStream_tbENKUlT_T0_E_clISt17integral_constantIbLb1EES13_EEDaSY_SZ_EUlSY_E_NS1_11comp_targetILNS1_3genE4ELNS1_11target_archE910ELNS1_3gpuE8ELNS1_3repE0EEENS1_30default_config_static_selectorELNS0_4arch9wavefront6targetE0EEEvT1_.has_recursion, 0
	.set _ZN7rocprim17ROCPRIM_400000_NS6detail17trampoline_kernelINS0_14default_configENS1_27scan_by_key_config_selectorIj11FixedVectorIiLj1EEEEZZNS1_16scan_by_key_implILNS1_25lookback_scan_determinismE0ELb0ES3_N6thrust23THRUST_200600_302600_NS6detail15normal_iteratorINSB_10device_ptrIjEEEENSD_INSE_IS6_EEEESI_S6_NSB_4plusIvEENSB_8equal_toIvEES6_EE10hipError_tPvRmT2_T3_T4_T5_mT6_T7_P12ihipStream_tbENKUlT_T0_E_clISt17integral_constantIbLb1EES13_EEDaSY_SZ_EUlSY_E_NS1_11comp_targetILNS1_3genE4ELNS1_11target_archE910ELNS1_3gpuE8ELNS1_3repE0EEENS1_30default_config_static_selectorELNS0_4arch9wavefront6targetE0EEEvT1_.has_indirect_call, 0
	.section	.AMDGPU.csdata,"",@progbits
; Kernel info:
; codeLenInByte = 0
; TotalNumSgprs: 0
; NumVgprs: 0
; ScratchSize: 0
; MemoryBound: 0
; FloatMode: 240
; IeeeMode: 1
; LDSByteSize: 0 bytes/workgroup (compile time only)
; SGPRBlocks: 0
; VGPRBlocks: 0
; NumSGPRsForWavesPerEU: 1
; NumVGPRsForWavesPerEU: 1
; Occupancy: 16
; WaveLimiterHint : 0
; COMPUTE_PGM_RSRC2:SCRATCH_EN: 0
; COMPUTE_PGM_RSRC2:USER_SGPR: 6
; COMPUTE_PGM_RSRC2:TRAP_HANDLER: 0
; COMPUTE_PGM_RSRC2:TGID_X_EN: 1
; COMPUTE_PGM_RSRC2:TGID_Y_EN: 0
; COMPUTE_PGM_RSRC2:TGID_Z_EN: 0
; COMPUTE_PGM_RSRC2:TIDIG_COMP_CNT: 0
	.section	.text._ZN7rocprim17ROCPRIM_400000_NS6detail17trampoline_kernelINS0_14default_configENS1_27scan_by_key_config_selectorIj11FixedVectorIiLj1EEEEZZNS1_16scan_by_key_implILNS1_25lookback_scan_determinismE0ELb0ES3_N6thrust23THRUST_200600_302600_NS6detail15normal_iteratorINSB_10device_ptrIjEEEENSD_INSE_IS6_EEEESI_S6_NSB_4plusIvEENSB_8equal_toIvEES6_EE10hipError_tPvRmT2_T3_T4_T5_mT6_T7_P12ihipStream_tbENKUlT_T0_E_clISt17integral_constantIbLb1EES13_EEDaSY_SZ_EUlSY_E_NS1_11comp_targetILNS1_3genE3ELNS1_11target_archE908ELNS1_3gpuE7ELNS1_3repE0EEENS1_30default_config_static_selectorELNS0_4arch9wavefront6targetE0EEEvT1_,"axG",@progbits,_ZN7rocprim17ROCPRIM_400000_NS6detail17trampoline_kernelINS0_14default_configENS1_27scan_by_key_config_selectorIj11FixedVectorIiLj1EEEEZZNS1_16scan_by_key_implILNS1_25lookback_scan_determinismE0ELb0ES3_N6thrust23THRUST_200600_302600_NS6detail15normal_iteratorINSB_10device_ptrIjEEEENSD_INSE_IS6_EEEESI_S6_NSB_4plusIvEENSB_8equal_toIvEES6_EE10hipError_tPvRmT2_T3_T4_T5_mT6_T7_P12ihipStream_tbENKUlT_T0_E_clISt17integral_constantIbLb1EES13_EEDaSY_SZ_EUlSY_E_NS1_11comp_targetILNS1_3genE3ELNS1_11target_archE908ELNS1_3gpuE7ELNS1_3repE0EEENS1_30default_config_static_selectorELNS0_4arch9wavefront6targetE0EEEvT1_,comdat
	.protected	_ZN7rocprim17ROCPRIM_400000_NS6detail17trampoline_kernelINS0_14default_configENS1_27scan_by_key_config_selectorIj11FixedVectorIiLj1EEEEZZNS1_16scan_by_key_implILNS1_25lookback_scan_determinismE0ELb0ES3_N6thrust23THRUST_200600_302600_NS6detail15normal_iteratorINSB_10device_ptrIjEEEENSD_INSE_IS6_EEEESI_S6_NSB_4plusIvEENSB_8equal_toIvEES6_EE10hipError_tPvRmT2_T3_T4_T5_mT6_T7_P12ihipStream_tbENKUlT_T0_E_clISt17integral_constantIbLb1EES13_EEDaSY_SZ_EUlSY_E_NS1_11comp_targetILNS1_3genE3ELNS1_11target_archE908ELNS1_3gpuE7ELNS1_3repE0EEENS1_30default_config_static_selectorELNS0_4arch9wavefront6targetE0EEEvT1_ ; -- Begin function _ZN7rocprim17ROCPRIM_400000_NS6detail17trampoline_kernelINS0_14default_configENS1_27scan_by_key_config_selectorIj11FixedVectorIiLj1EEEEZZNS1_16scan_by_key_implILNS1_25lookback_scan_determinismE0ELb0ES3_N6thrust23THRUST_200600_302600_NS6detail15normal_iteratorINSB_10device_ptrIjEEEENSD_INSE_IS6_EEEESI_S6_NSB_4plusIvEENSB_8equal_toIvEES6_EE10hipError_tPvRmT2_T3_T4_T5_mT6_T7_P12ihipStream_tbENKUlT_T0_E_clISt17integral_constantIbLb1EES13_EEDaSY_SZ_EUlSY_E_NS1_11comp_targetILNS1_3genE3ELNS1_11target_archE908ELNS1_3gpuE7ELNS1_3repE0EEENS1_30default_config_static_selectorELNS0_4arch9wavefront6targetE0EEEvT1_
	.globl	_ZN7rocprim17ROCPRIM_400000_NS6detail17trampoline_kernelINS0_14default_configENS1_27scan_by_key_config_selectorIj11FixedVectorIiLj1EEEEZZNS1_16scan_by_key_implILNS1_25lookback_scan_determinismE0ELb0ES3_N6thrust23THRUST_200600_302600_NS6detail15normal_iteratorINSB_10device_ptrIjEEEENSD_INSE_IS6_EEEESI_S6_NSB_4plusIvEENSB_8equal_toIvEES6_EE10hipError_tPvRmT2_T3_T4_T5_mT6_T7_P12ihipStream_tbENKUlT_T0_E_clISt17integral_constantIbLb1EES13_EEDaSY_SZ_EUlSY_E_NS1_11comp_targetILNS1_3genE3ELNS1_11target_archE908ELNS1_3gpuE7ELNS1_3repE0EEENS1_30default_config_static_selectorELNS0_4arch9wavefront6targetE0EEEvT1_
	.p2align	8
	.type	_ZN7rocprim17ROCPRIM_400000_NS6detail17trampoline_kernelINS0_14default_configENS1_27scan_by_key_config_selectorIj11FixedVectorIiLj1EEEEZZNS1_16scan_by_key_implILNS1_25lookback_scan_determinismE0ELb0ES3_N6thrust23THRUST_200600_302600_NS6detail15normal_iteratorINSB_10device_ptrIjEEEENSD_INSE_IS6_EEEESI_S6_NSB_4plusIvEENSB_8equal_toIvEES6_EE10hipError_tPvRmT2_T3_T4_T5_mT6_T7_P12ihipStream_tbENKUlT_T0_E_clISt17integral_constantIbLb1EES13_EEDaSY_SZ_EUlSY_E_NS1_11comp_targetILNS1_3genE3ELNS1_11target_archE908ELNS1_3gpuE7ELNS1_3repE0EEENS1_30default_config_static_selectorELNS0_4arch9wavefront6targetE0EEEvT1_,@function
_ZN7rocprim17ROCPRIM_400000_NS6detail17trampoline_kernelINS0_14default_configENS1_27scan_by_key_config_selectorIj11FixedVectorIiLj1EEEEZZNS1_16scan_by_key_implILNS1_25lookback_scan_determinismE0ELb0ES3_N6thrust23THRUST_200600_302600_NS6detail15normal_iteratorINSB_10device_ptrIjEEEENSD_INSE_IS6_EEEESI_S6_NSB_4plusIvEENSB_8equal_toIvEES6_EE10hipError_tPvRmT2_T3_T4_T5_mT6_T7_P12ihipStream_tbENKUlT_T0_E_clISt17integral_constantIbLb1EES13_EEDaSY_SZ_EUlSY_E_NS1_11comp_targetILNS1_3genE3ELNS1_11target_archE908ELNS1_3gpuE7ELNS1_3repE0EEENS1_30default_config_static_selectorELNS0_4arch9wavefront6targetE0EEEvT1_: ; @_ZN7rocprim17ROCPRIM_400000_NS6detail17trampoline_kernelINS0_14default_configENS1_27scan_by_key_config_selectorIj11FixedVectorIiLj1EEEEZZNS1_16scan_by_key_implILNS1_25lookback_scan_determinismE0ELb0ES3_N6thrust23THRUST_200600_302600_NS6detail15normal_iteratorINSB_10device_ptrIjEEEENSD_INSE_IS6_EEEESI_S6_NSB_4plusIvEENSB_8equal_toIvEES6_EE10hipError_tPvRmT2_T3_T4_T5_mT6_T7_P12ihipStream_tbENKUlT_T0_E_clISt17integral_constantIbLb1EES13_EEDaSY_SZ_EUlSY_E_NS1_11comp_targetILNS1_3genE3ELNS1_11target_archE908ELNS1_3gpuE7ELNS1_3repE0EEENS1_30default_config_static_selectorELNS0_4arch9wavefront6targetE0EEEvT1_
; %bb.0:
	.section	.rodata,"a",@progbits
	.p2align	6, 0x0
	.amdhsa_kernel _ZN7rocprim17ROCPRIM_400000_NS6detail17trampoline_kernelINS0_14default_configENS1_27scan_by_key_config_selectorIj11FixedVectorIiLj1EEEEZZNS1_16scan_by_key_implILNS1_25lookback_scan_determinismE0ELb0ES3_N6thrust23THRUST_200600_302600_NS6detail15normal_iteratorINSB_10device_ptrIjEEEENSD_INSE_IS6_EEEESI_S6_NSB_4plusIvEENSB_8equal_toIvEES6_EE10hipError_tPvRmT2_T3_T4_T5_mT6_T7_P12ihipStream_tbENKUlT_T0_E_clISt17integral_constantIbLb1EES13_EEDaSY_SZ_EUlSY_E_NS1_11comp_targetILNS1_3genE3ELNS1_11target_archE908ELNS1_3gpuE7ELNS1_3repE0EEENS1_30default_config_static_selectorELNS0_4arch9wavefront6targetE0EEEvT1_
		.amdhsa_group_segment_fixed_size 0
		.amdhsa_private_segment_fixed_size 0
		.amdhsa_kernarg_size 112
		.amdhsa_user_sgpr_count 6
		.amdhsa_user_sgpr_private_segment_buffer 1
		.amdhsa_user_sgpr_dispatch_ptr 0
		.amdhsa_user_sgpr_queue_ptr 0
		.amdhsa_user_sgpr_kernarg_segment_ptr 1
		.amdhsa_user_sgpr_dispatch_id 0
		.amdhsa_user_sgpr_flat_scratch_init 0
		.amdhsa_user_sgpr_private_segment_size 0
		.amdhsa_wavefront_size32 1
		.amdhsa_uses_dynamic_stack 0
		.amdhsa_system_sgpr_private_segment_wavefront_offset 0
		.amdhsa_system_sgpr_workgroup_id_x 1
		.amdhsa_system_sgpr_workgroup_id_y 0
		.amdhsa_system_sgpr_workgroup_id_z 0
		.amdhsa_system_sgpr_workgroup_info 0
		.amdhsa_system_vgpr_workitem_id 0
		.amdhsa_next_free_vgpr 1
		.amdhsa_next_free_sgpr 1
		.amdhsa_reserve_vcc 0
		.amdhsa_reserve_flat_scratch 0
		.amdhsa_float_round_mode_32 0
		.amdhsa_float_round_mode_16_64 0
		.amdhsa_float_denorm_mode_32 3
		.amdhsa_float_denorm_mode_16_64 3
		.amdhsa_dx10_clamp 1
		.amdhsa_ieee_mode 1
		.amdhsa_fp16_overflow 0
		.amdhsa_workgroup_processor_mode 1
		.amdhsa_memory_ordered 1
		.amdhsa_forward_progress 1
		.amdhsa_shared_vgpr_count 0
		.amdhsa_exception_fp_ieee_invalid_op 0
		.amdhsa_exception_fp_denorm_src 0
		.amdhsa_exception_fp_ieee_div_zero 0
		.amdhsa_exception_fp_ieee_overflow 0
		.amdhsa_exception_fp_ieee_underflow 0
		.amdhsa_exception_fp_ieee_inexact 0
		.amdhsa_exception_int_div_zero 0
	.end_amdhsa_kernel
	.section	.text._ZN7rocprim17ROCPRIM_400000_NS6detail17trampoline_kernelINS0_14default_configENS1_27scan_by_key_config_selectorIj11FixedVectorIiLj1EEEEZZNS1_16scan_by_key_implILNS1_25lookback_scan_determinismE0ELb0ES3_N6thrust23THRUST_200600_302600_NS6detail15normal_iteratorINSB_10device_ptrIjEEEENSD_INSE_IS6_EEEESI_S6_NSB_4plusIvEENSB_8equal_toIvEES6_EE10hipError_tPvRmT2_T3_T4_T5_mT6_T7_P12ihipStream_tbENKUlT_T0_E_clISt17integral_constantIbLb1EES13_EEDaSY_SZ_EUlSY_E_NS1_11comp_targetILNS1_3genE3ELNS1_11target_archE908ELNS1_3gpuE7ELNS1_3repE0EEENS1_30default_config_static_selectorELNS0_4arch9wavefront6targetE0EEEvT1_,"axG",@progbits,_ZN7rocprim17ROCPRIM_400000_NS6detail17trampoline_kernelINS0_14default_configENS1_27scan_by_key_config_selectorIj11FixedVectorIiLj1EEEEZZNS1_16scan_by_key_implILNS1_25lookback_scan_determinismE0ELb0ES3_N6thrust23THRUST_200600_302600_NS6detail15normal_iteratorINSB_10device_ptrIjEEEENSD_INSE_IS6_EEEESI_S6_NSB_4plusIvEENSB_8equal_toIvEES6_EE10hipError_tPvRmT2_T3_T4_T5_mT6_T7_P12ihipStream_tbENKUlT_T0_E_clISt17integral_constantIbLb1EES13_EEDaSY_SZ_EUlSY_E_NS1_11comp_targetILNS1_3genE3ELNS1_11target_archE908ELNS1_3gpuE7ELNS1_3repE0EEENS1_30default_config_static_selectorELNS0_4arch9wavefront6targetE0EEEvT1_,comdat
.Lfunc_end1884:
	.size	_ZN7rocprim17ROCPRIM_400000_NS6detail17trampoline_kernelINS0_14default_configENS1_27scan_by_key_config_selectorIj11FixedVectorIiLj1EEEEZZNS1_16scan_by_key_implILNS1_25lookback_scan_determinismE0ELb0ES3_N6thrust23THRUST_200600_302600_NS6detail15normal_iteratorINSB_10device_ptrIjEEEENSD_INSE_IS6_EEEESI_S6_NSB_4plusIvEENSB_8equal_toIvEES6_EE10hipError_tPvRmT2_T3_T4_T5_mT6_T7_P12ihipStream_tbENKUlT_T0_E_clISt17integral_constantIbLb1EES13_EEDaSY_SZ_EUlSY_E_NS1_11comp_targetILNS1_3genE3ELNS1_11target_archE908ELNS1_3gpuE7ELNS1_3repE0EEENS1_30default_config_static_selectorELNS0_4arch9wavefront6targetE0EEEvT1_, .Lfunc_end1884-_ZN7rocprim17ROCPRIM_400000_NS6detail17trampoline_kernelINS0_14default_configENS1_27scan_by_key_config_selectorIj11FixedVectorIiLj1EEEEZZNS1_16scan_by_key_implILNS1_25lookback_scan_determinismE0ELb0ES3_N6thrust23THRUST_200600_302600_NS6detail15normal_iteratorINSB_10device_ptrIjEEEENSD_INSE_IS6_EEEESI_S6_NSB_4plusIvEENSB_8equal_toIvEES6_EE10hipError_tPvRmT2_T3_T4_T5_mT6_T7_P12ihipStream_tbENKUlT_T0_E_clISt17integral_constantIbLb1EES13_EEDaSY_SZ_EUlSY_E_NS1_11comp_targetILNS1_3genE3ELNS1_11target_archE908ELNS1_3gpuE7ELNS1_3repE0EEENS1_30default_config_static_selectorELNS0_4arch9wavefront6targetE0EEEvT1_
                                        ; -- End function
	.set _ZN7rocprim17ROCPRIM_400000_NS6detail17trampoline_kernelINS0_14default_configENS1_27scan_by_key_config_selectorIj11FixedVectorIiLj1EEEEZZNS1_16scan_by_key_implILNS1_25lookback_scan_determinismE0ELb0ES3_N6thrust23THRUST_200600_302600_NS6detail15normal_iteratorINSB_10device_ptrIjEEEENSD_INSE_IS6_EEEESI_S6_NSB_4plusIvEENSB_8equal_toIvEES6_EE10hipError_tPvRmT2_T3_T4_T5_mT6_T7_P12ihipStream_tbENKUlT_T0_E_clISt17integral_constantIbLb1EES13_EEDaSY_SZ_EUlSY_E_NS1_11comp_targetILNS1_3genE3ELNS1_11target_archE908ELNS1_3gpuE7ELNS1_3repE0EEENS1_30default_config_static_selectorELNS0_4arch9wavefront6targetE0EEEvT1_.num_vgpr, 0
	.set _ZN7rocprim17ROCPRIM_400000_NS6detail17trampoline_kernelINS0_14default_configENS1_27scan_by_key_config_selectorIj11FixedVectorIiLj1EEEEZZNS1_16scan_by_key_implILNS1_25lookback_scan_determinismE0ELb0ES3_N6thrust23THRUST_200600_302600_NS6detail15normal_iteratorINSB_10device_ptrIjEEEENSD_INSE_IS6_EEEESI_S6_NSB_4plusIvEENSB_8equal_toIvEES6_EE10hipError_tPvRmT2_T3_T4_T5_mT6_T7_P12ihipStream_tbENKUlT_T0_E_clISt17integral_constantIbLb1EES13_EEDaSY_SZ_EUlSY_E_NS1_11comp_targetILNS1_3genE3ELNS1_11target_archE908ELNS1_3gpuE7ELNS1_3repE0EEENS1_30default_config_static_selectorELNS0_4arch9wavefront6targetE0EEEvT1_.num_agpr, 0
	.set _ZN7rocprim17ROCPRIM_400000_NS6detail17trampoline_kernelINS0_14default_configENS1_27scan_by_key_config_selectorIj11FixedVectorIiLj1EEEEZZNS1_16scan_by_key_implILNS1_25lookback_scan_determinismE0ELb0ES3_N6thrust23THRUST_200600_302600_NS6detail15normal_iteratorINSB_10device_ptrIjEEEENSD_INSE_IS6_EEEESI_S6_NSB_4plusIvEENSB_8equal_toIvEES6_EE10hipError_tPvRmT2_T3_T4_T5_mT6_T7_P12ihipStream_tbENKUlT_T0_E_clISt17integral_constantIbLb1EES13_EEDaSY_SZ_EUlSY_E_NS1_11comp_targetILNS1_3genE3ELNS1_11target_archE908ELNS1_3gpuE7ELNS1_3repE0EEENS1_30default_config_static_selectorELNS0_4arch9wavefront6targetE0EEEvT1_.numbered_sgpr, 0
	.set _ZN7rocprim17ROCPRIM_400000_NS6detail17trampoline_kernelINS0_14default_configENS1_27scan_by_key_config_selectorIj11FixedVectorIiLj1EEEEZZNS1_16scan_by_key_implILNS1_25lookback_scan_determinismE0ELb0ES3_N6thrust23THRUST_200600_302600_NS6detail15normal_iteratorINSB_10device_ptrIjEEEENSD_INSE_IS6_EEEESI_S6_NSB_4plusIvEENSB_8equal_toIvEES6_EE10hipError_tPvRmT2_T3_T4_T5_mT6_T7_P12ihipStream_tbENKUlT_T0_E_clISt17integral_constantIbLb1EES13_EEDaSY_SZ_EUlSY_E_NS1_11comp_targetILNS1_3genE3ELNS1_11target_archE908ELNS1_3gpuE7ELNS1_3repE0EEENS1_30default_config_static_selectorELNS0_4arch9wavefront6targetE0EEEvT1_.num_named_barrier, 0
	.set _ZN7rocprim17ROCPRIM_400000_NS6detail17trampoline_kernelINS0_14default_configENS1_27scan_by_key_config_selectorIj11FixedVectorIiLj1EEEEZZNS1_16scan_by_key_implILNS1_25lookback_scan_determinismE0ELb0ES3_N6thrust23THRUST_200600_302600_NS6detail15normal_iteratorINSB_10device_ptrIjEEEENSD_INSE_IS6_EEEESI_S6_NSB_4plusIvEENSB_8equal_toIvEES6_EE10hipError_tPvRmT2_T3_T4_T5_mT6_T7_P12ihipStream_tbENKUlT_T0_E_clISt17integral_constantIbLb1EES13_EEDaSY_SZ_EUlSY_E_NS1_11comp_targetILNS1_3genE3ELNS1_11target_archE908ELNS1_3gpuE7ELNS1_3repE0EEENS1_30default_config_static_selectorELNS0_4arch9wavefront6targetE0EEEvT1_.private_seg_size, 0
	.set _ZN7rocprim17ROCPRIM_400000_NS6detail17trampoline_kernelINS0_14default_configENS1_27scan_by_key_config_selectorIj11FixedVectorIiLj1EEEEZZNS1_16scan_by_key_implILNS1_25lookback_scan_determinismE0ELb0ES3_N6thrust23THRUST_200600_302600_NS6detail15normal_iteratorINSB_10device_ptrIjEEEENSD_INSE_IS6_EEEESI_S6_NSB_4plusIvEENSB_8equal_toIvEES6_EE10hipError_tPvRmT2_T3_T4_T5_mT6_T7_P12ihipStream_tbENKUlT_T0_E_clISt17integral_constantIbLb1EES13_EEDaSY_SZ_EUlSY_E_NS1_11comp_targetILNS1_3genE3ELNS1_11target_archE908ELNS1_3gpuE7ELNS1_3repE0EEENS1_30default_config_static_selectorELNS0_4arch9wavefront6targetE0EEEvT1_.uses_vcc, 0
	.set _ZN7rocprim17ROCPRIM_400000_NS6detail17trampoline_kernelINS0_14default_configENS1_27scan_by_key_config_selectorIj11FixedVectorIiLj1EEEEZZNS1_16scan_by_key_implILNS1_25lookback_scan_determinismE0ELb0ES3_N6thrust23THRUST_200600_302600_NS6detail15normal_iteratorINSB_10device_ptrIjEEEENSD_INSE_IS6_EEEESI_S6_NSB_4plusIvEENSB_8equal_toIvEES6_EE10hipError_tPvRmT2_T3_T4_T5_mT6_T7_P12ihipStream_tbENKUlT_T0_E_clISt17integral_constantIbLb1EES13_EEDaSY_SZ_EUlSY_E_NS1_11comp_targetILNS1_3genE3ELNS1_11target_archE908ELNS1_3gpuE7ELNS1_3repE0EEENS1_30default_config_static_selectorELNS0_4arch9wavefront6targetE0EEEvT1_.uses_flat_scratch, 0
	.set _ZN7rocprim17ROCPRIM_400000_NS6detail17trampoline_kernelINS0_14default_configENS1_27scan_by_key_config_selectorIj11FixedVectorIiLj1EEEEZZNS1_16scan_by_key_implILNS1_25lookback_scan_determinismE0ELb0ES3_N6thrust23THRUST_200600_302600_NS6detail15normal_iteratorINSB_10device_ptrIjEEEENSD_INSE_IS6_EEEESI_S6_NSB_4plusIvEENSB_8equal_toIvEES6_EE10hipError_tPvRmT2_T3_T4_T5_mT6_T7_P12ihipStream_tbENKUlT_T0_E_clISt17integral_constantIbLb1EES13_EEDaSY_SZ_EUlSY_E_NS1_11comp_targetILNS1_3genE3ELNS1_11target_archE908ELNS1_3gpuE7ELNS1_3repE0EEENS1_30default_config_static_selectorELNS0_4arch9wavefront6targetE0EEEvT1_.has_dyn_sized_stack, 0
	.set _ZN7rocprim17ROCPRIM_400000_NS6detail17trampoline_kernelINS0_14default_configENS1_27scan_by_key_config_selectorIj11FixedVectorIiLj1EEEEZZNS1_16scan_by_key_implILNS1_25lookback_scan_determinismE0ELb0ES3_N6thrust23THRUST_200600_302600_NS6detail15normal_iteratorINSB_10device_ptrIjEEEENSD_INSE_IS6_EEEESI_S6_NSB_4plusIvEENSB_8equal_toIvEES6_EE10hipError_tPvRmT2_T3_T4_T5_mT6_T7_P12ihipStream_tbENKUlT_T0_E_clISt17integral_constantIbLb1EES13_EEDaSY_SZ_EUlSY_E_NS1_11comp_targetILNS1_3genE3ELNS1_11target_archE908ELNS1_3gpuE7ELNS1_3repE0EEENS1_30default_config_static_selectorELNS0_4arch9wavefront6targetE0EEEvT1_.has_recursion, 0
	.set _ZN7rocprim17ROCPRIM_400000_NS6detail17trampoline_kernelINS0_14default_configENS1_27scan_by_key_config_selectorIj11FixedVectorIiLj1EEEEZZNS1_16scan_by_key_implILNS1_25lookback_scan_determinismE0ELb0ES3_N6thrust23THRUST_200600_302600_NS6detail15normal_iteratorINSB_10device_ptrIjEEEENSD_INSE_IS6_EEEESI_S6_NSB_4plusIvEENSB_8equal_toIvEES6_EE10hipError_tPvRmT2_T3_T4_T5_mT6_T7_P12ihipStream_tbENKUlT_T0_E_clISt17integral_constantIbLb1EES13_EEDaSY_SZ_EUlSY_E_NS1_11comp_targetILNS1_3genE3ELNS1_11target_archE908ELNS1_3gpuE7ELNS1_3repE0EEENS1_30default_config_static_selectorELNS0_4arch9wavefront6targetE0EEEvT1_.has_indirect_call, 0
	.section	.AMDGPU.csdata,"",@progbits
; Kernel info:
; codeLenInByte = 0
; TotalNumSgprs: 0
; NumVgprs: 0
; ScratchSize: 0
; MemoryBound: 0
; FloatMode: 240
; IeeeMode: 1
; LDSByteSize: 0 bytes/workgroup (compile time only)
; SGPRBlocks: 0
; VGPRBlocks: 0
; NumSGPRsForWavesPerEU: 1
; NumVGPRsForWavesPerEU: 1
; Occupancy: 16
; WaveLimiterHint : 0
; COMPUTE_PGM_RSRC2:SCRATCH_EN: 0
; COMPUTE_PGM_RSRC2:USER_SGPR: 6
; COMPUTE_PGM_RSRC2:TRAP_HANDLER: 0
; COMPUTE_PGM_RSRC2:TGID_X_EN: 1
; COMPUTE_PGM_RSRC2:TGID_Y_EN: 0
; COMPUTE_PGM_RSRC2:TGID_Z_EN: 0
; COMPUTE_PGM_RSRC2:TIDIG_COMP_CNT: 0
	.section	.text._ZN7rocprim17ROCPRIM_400000_NS6detail17trampoline_kernelINS0_14default_configENS1_27scan_by_key_config_selectorIj11FixedVectorIiLj1EEEEZZNS1_16scan_by_key_implILNS1_25lookback_scan_determinismE0ELb0ES3_N6thrust23THRUST_200600_302600_NS6detail15normal_iteratorINSB_10device_ptrIjEEEENSD_INSE_IS6_EEEESI_S6_NSB_4plusIvEENSB_8equal_toIvEES6_EE10hipError_tPvRmT2_T3_T4_T5_mT6_T7_P12ihipStream_tbENKUlT_T0_E_clISt17integral_constantIbLb1EES13_EEDaSY_SZ_EUlSY_E_NS1_11comp_targetILNS1_3genE2ELNS1_11target_archE906ELNS1_3gpuE6ELNS1_3repE0EEENS1_30default_config_static_selectorELNS0_4arch9wavefront6targetE0EEEvT1_,"axG",@progbits,_ZN7rocprim17ROCPRIM_400000_NS6detail17trampoline_kernelINS0_14default_configENS1_27scan_by_key_config_selectorIj11FixedVectorIiLj1EEEEZZNS1_16scan_by_key_implILNS1_25lookback_scan_determinismE0ELb0ES3_N6thrust23THRUST_200600_302600_NS6detail15normal_iteratorINSB_10device_ptrIjEEEENSD_INSE_IS6_EEEESI_S6_NSB_4plusIvEENSB_8equal_toIvEES6_EE10hipError_tPvRmT2_T3_T4_T5_mT6_T7_P12ihipStream_tbENKUlT_T0_E_clISt17integral_constantIbLb1EES13_EEDaSY_SZ_EUlSY_E_NS1_11comp_targetILNS1_3genE2ELNS1_11target_archE906ELNS1_3gpuE6ELNS1_3repE0EEENS1_30default_config_static_selectorELNS0_4arch9wavefront6targetE0EEEvT1_,comdat
	.protected	_ZN7rocprim17ROCPRIM_400000_NS6detail17trampoline_kernelINS0_14default_configENS1_27scan_by_key_config_selectorIj11FixedVectorIiLj1EEEEZZNS1_16scan_by_key_implILNS1_25lookback_scan_determinismE0ELb0ES3_N6thrust23THRUST_200600_302600_NS6detail15normal_iteratorINSB_10device_ptrIjEEEENSD_INSE_IS6_EEEESI_S6_NSB_4plusIvEENSB_8equal_toIvEES6_EE10hipError_tPvRmT2_T3_T4_T5_mT6_T7_P12ihipStream_tbENKUlT_T0_E_clISt17integral_constantIbLb1EES13_EEDaSY_SZ_EUlSY_E_NS1_11comp_targetILNS1_3genE2ELNS1_11target_archE906ELNS1_3gpuE6ELNS1_3repE0EEENS1_30default_config_static_selectorELNS0_4arch9wavefront6targetE0EEEvT1_ ; -- Begin function _ZN7rocprim17ROCPRIM_400000_NS6detail17trampoline_kernelINS0_14default_configENS1_27scan_by_key_config_selectorIj11FixedVectorIiLj1EEEEZZNS1_16scan_by_key_implILNS1_25lookback_scan_determinismE0ELb0ES3_N6thrust23THRUST_200600_302600_NS6detail15normal_iteratorINSB_10device_ptrIjEEEENSD_INSE_IS6_EEEESI_S6_NSB_4plusIvEENSB_8equal_toIvEES6_EE10hipError_tPvRmT2_T3_T4_T5_mT6_T7_P12ihipStream_tbENKUlT_T0_E_clISt17integral_constantIbLb1EES13_EEDaSY_SZ_EUlSY_E_NS1_11comp_targetILNS1_3genE2ELNS1_11target_archE906ELNS1_3gpuE6ELNS1_3repE0EEENS1_30default_config_static_selectorELNS0_4arch9wavefront6targetE0EEEvT1_
	.globl	_ZN7rocprim17ROCPRIM_400000_NS6detail17trampoline_kernelINS0_14default_configENS1_27scan_by_key_config_selectorIj11FixedVectorIiLj1EEEEZZNS1_16scan_by_key_implILNS1_25lookback_scan_determinismE0ELb0ES3_N6thrust23THRUST_200600_302600_NS6detail15normal_iteratorINSB_10device_ptrIjEEEENSD_INSE_IS6_EEEESI_S6_NSB_4plusIvEENSB_8equal_toIvEES6_EE10hipError_tPvRmT2_T3_T4_T5_mT6_T7_P12ihipStream_tbENKUlT_T0_E_clISt17integral_constantIbLb1EES13_EEDaSY_SZ_EUlSY_E_NS1_11comp_targetILNS1_3genE2ELNS1_11target_archE906ELNS1_3gpuE6ELNS1_3repE0EEENS1_30default_config_static_selectorELNS0_4arch9wavefront6targetE0EEEvT1_
	.p2align	8
	.type	_ZN7rocprim17ROCPRIM_400000_NS6detail17trampoline_kernelINS0_14default_configENS1_27scan_by_key_config_selectorIj11FixedVectorIiLj1EEEEZZNS1_16scan_by_key_implILNS1_25lookback_scan_determinismE0ELb0ES3_N6thrust23THRUST_200600_302600_NS6detail15normal_iteratorINSB_10device_ptrIjEEEENSD_INSE_IS6_EEEESI_S6_NSB_4plusIvEENSB_8equal_toIvEES6_EE10hipError_tPvRmT2_T3_T4_T5_mT6_T7_P12ihipStream_tbENKUlT_T0_E_clISt17integral_constantIbLb1EES13_EEDaSY_SZ_EUlSY_E_NS1_11comp_targetILNS1_3genE2ELNS1_11target_archE906ELNS1_3gpuE6ELNS1_3repE0EEENS1_30default_config_static_selectorELNS0_4arch9wavefront6targetE0EEEvT1_,@function
_ZN7rocprim17ROCPRIM_400000_NS6detail17trampoline_kernelINS0_14default_configENS1_27scan_by_key_config_selectorIj11FixedVectorIiLj1EEEEZZNS1_16scan_by_key_implILNS1_25lookback_scan_determinismE0ELb0ES3_N6thrust23THRUST_200600_302600_NS6detail15normal_iteratorINSB_10device_ptrIjEEEENSD_INSE_IS6_EEEESI_S6_NSB_4plusIvEENSB_8equal_toIvEES6_EE10hipError_tPvRmT2_T3_T4_T5_mT6_T7_P12ihipStream_tbENKUlT_T0_E_clISt17integral_constantIbLb1EES13_EEDaSY_SZ_EUlSY_E_NS1_11comp_targetILNS1_3genE2ELNS1_11target_archE906ELNS1_3gpuE6ELNS1_3repE0EEENS1_30default_config_static_selectorELNS0_4arch9wavefront6targetE0EEEvT1_: ; @_ZN7rocprim17ROCPRIM_400000_NS6detail17trampoline_kernelINS0_14default_configENS1_27scan_by_key_config_selectorIj11FixedVectorIiLj1EEEEZZNS1_16scan_by_key_implILNS1_25lookback_scan_determinismE0ELb0ES3_N6thrust23THRUST_200600_302600_NS6detail15normal_iteratorINSB_10device_ptrIjEEEENSD_INSE_IS6_EEEESI_S6_NSB_4plusIvEENSB_8equal_toIvEES6_EE10hipError_tPvRmT2_T3_T4_T5_mT6_T7_P12ihipStream_tbENKUlT_T0_E_clISt17integral_constantIbLb1EES13_EEDaSY_SZ_EUlSY_E_NS1_11comp_targetILNS1_3genE2ELNS1_11target_archE906ELNS1_3gpuE6ELNS1_3repE0EEENS1_30default_config_static_selectorELNS0_4arch9wavefront6targetE0EEEvT1_
; %bb.0:
	.section	.rodata,"a",@progbits
	.p2align	6, 0x0
	.amdhsa_kernel _ZN7rocprim17ROCPRIM_400000_NS6detail17trampoline_kernelINS0_14default_configENS1_27scan_by_key_config_selectorIj11FixedVectorIiLj1EEEEZZNS1_16scan_by_key_implILNS1_25lookback_scan_determinismE0ELb0ES3_N6thrust23THRUST_200600_302600_NS6detail15normal_iteratorINSB_10device_ptrIjEEEENSD_INSE_IS6_EEEESI_S6_NSB_4plusIvEENSB_8equal_toIvEES6_EE10hipError_tPvRmT2_T3_T4_T5_mT6_T7_P12ihipStream_tbENKUlT_T0_E_clISt17integral_constantIbLb1EES13_EEDaSY_SZ_EUlSY_E_NS1_11comp_targetILNS1_3genE2ELNS1_11target_archE906ELNS1_3gpuE6ELNS1_3repE0EEENS1_30default_config_static_selectorELNS0_4arch9wavefront6targetE0EEEvT1_
		.amdhsa_group_segment_fixed_size 0
		.amdhsa_private_segment_fixed_size 0
		.amdhsa_kernarg_size 112
		.amdhsa_user_sgpr_count 6
		.amdhsa_user_sgpr_private_segment_buffer 1
		.amdhsa_user_sgpr_dispatch_ptr 0
		.amdhsa_user_sgpr_queue_ptr 0
		.amdhsa_user_sgpr_kernarg_segment_ptr 1
		.amdhsa_user_sgpr_dispatch_id 0
		.amdhsa_user_sgpr_flat_scratch_init 0
		.amdhsa_user_sgpr_private_segment_size 0
		.amdhsa_wavefront_size32 1
		.amdhsa_uses_dynamic_stack 0
		.amdhsa_system_sgpr_private_segment_wavefront_offset 0
		.amdhsa_system_sgpr_workgroup_id_x 1
		.amdhsa_system_sgpr_workgroup_id_y 0
		.amdhsa_system_sgpr_workgroup_id_z 0
		.amdhsa_system_sgpr_workgroup_info 0
		.amdhsa_system_vgpr_workitem_id 0
		.amdhsa_next_free_vgpr 1
		.amdhsa_next_free_sgpr 1
		.amdhsa_reserve_vcc 0
		.amdhsa_reserve_flat_scratch 0
		.amdhsa_float_round_mode_32 0
		.amdhsa_float_round_mode_16_64 0
		.amdhsa_float_denorm_mode_32 3
		.amdhsa_float_denorm_mode_16_64 3
		.amdhsa_dx10_clamp 1
		.amdhsa_ieee_mode 1
		.amdhsa_fp16_overflow 0
		.amdhsa_workgroup_processor_mode 1
		.amdhsa_memory_ordered 1
		.amdhsa_forward_progress 1
		.amdhsa_shared_vgpr_count 0
		.amdhsa_exception_fp_ieee_invalid_op 0
		.amdhsa_exception_fp_denorm_src 0
		.amdhsa_exception_fp_ieee_div_zero 0
		.amdhsa_exception_fp_ieee_overflow 0
		.amdhsa_exception_fp_ieee_underflow 0
		.amdhsa_exception_fp_ieee_inexact 0
		.amdhsa_exception_int_div_zero 0
	.end_amdhsa_kernel
	.section	.text._ZN7rocprim17ROCPRIM_400000_NS6detail17trampoline_kernelINS0_14default_configENS1_27scan_by_key_config_selectorIj11FixedVectorIiLj1EEEEZZNS1_16scan_by_key_implILNS1_25lookback_scan_determinismE0ELb0ES3_N6thrust23THRUST_200600_302600_NS6detail15normal_iteratorINSB_10device_ptrIjEEEENSD_INSE_IS6_EEEESI_S6_NSB_4plusIvEENSB_8equal_toIvEES6_EE10hipError_tPvRmT2_T3_T4_T5_mT6_T7_P12ihipStream_tbENKUlT_T0_E_clISt17integral_constantIbLb1EES13_EEDaSY_SZ_EUlSY_E_NS1_11comp_targetILNS1_3genE2ELNS1_11target_archE906ELNS1_3gpuE6ELNS1_3repE0EEENS1_30default_config_static_selectorELNS0_4arch9wavefront6targetE0EEEvT1_,"axG",@progbits,_ZN7rocprim17ROCPRIM_400000_NS6detail17trampoline_kernelINS0_14default_configENS1_27scan_by_key_config_selectorIj11FixedVectorIiLj1EEEEZZNS1_16scan_by_key_implILNS1_25lookback_scan_determinismE0ELb0ES3_N6thrust23THRUST_200600_302600_NS6detail15normal_iteratorINSB_10device_ptrIjEEEENSD_INSE_IS6_EEEESI_S6_NSB_4plusIvEENSB_8equal_toIvEES6_EE10hipError_tPvRmT2_T3_T4_T5_mT6_T7_P12ihipStream_tbENKUlT_T0_E_clISt17integral_constantIbLb1EES13_EEDaSY_SZ_EUlSY_E_NS1_11comp_targetILNS1_3genE2ELNS1_11target_archE906ELNS1_3gpuE6ELNS1_3repE0EEENS1_30default_config_static_selectorELNS0_4arch9wavefront6targetE0EEEvT1_,comdat
.Lfunc_end1885:
	.size	_ZN7rocprim17ROCPRIM_400000_NS6detail17trampoline_kernelINS0_14default_configENS1_27scan_by_key_config_selectorIj11FixedVectorIiLj1EEEEZZNS1_16scan_by_key_implILNS1_25lookback_scan_determinismE0ELb0ES3_N6thrust23THRUST_200600_302600_NS6detail15normal_iteratorINSB_10device_ptrIjEEEENSD_INSE_IS6_EEEESI_S6_NSB_4plusIvEENSB_8equal_toIvEES6_EE10hipError_tPvRmT2_T3_T4_T5_mT6_T7_P12ihipStream_tbENKUlT_T0_E_clISt17integral_constantIbLb1EES13_EEDaSY_SZ_EUlSY_E_NS1_11comp_targetILNS1_3genE2ELNS1_11target_archE906ELNS1_3gpuE6ELNS1_3repE0EEENS1_30default_config_static_selectorELNS0_4arch9wavefront6targetE0EEEvT1_, .Lfunc_end1885-_ZN7rocprim17ROCPRIM_400000_NS6detail17trampoline_kernelINS0_14default_configENS1_27scan_by_key_config_selectorIj11FixedVectorIiLj1EEEEZZNS1_16scan_by_key_implILNS1_25lookback_scan_determinismE0ELb0ES3_N6thrust23THRUST_200600_302600_NS6detail15normal_iteratorINSB_10device_ptrIjEEEENSD_INSE_IS6_EEEESI_S6_NSB_4plusIvEENSB_8equal_toIvEES6_EE10hipError_tPvRmT2_T3_T4_T5_mT6_T7_P12ihipStream_tbENKUlT_T0_E_clISt17integral_constantIbLb1EES13_EEDaSY_SZ_EUlSY_E_NS1_11comp_targetILNS1_3genE2ELNS1_11target_archE906ELNS1_3gpuE6ELNS1_3repE0EEENS1_30default_config_static_selectorELNS0_4arch9wavefront6targetE0EEEvT1_
                                        ; -- End function
	.set _ZN7rocprim17ROCPRIM_400000_NS6detail17trampoline_kernelINS0_14default_configENS1_27scan_by_key_config_selectorIj11FixedVectorIiLj1EEEEZZNS1_16scan_by_key_implILNS1_25lookback_scan_determinismE0ELb0ES3_N6thrust23THRUST_200600_302600_NS6detail15normal_iteratorINSB_10device_ptrIjEEEENSD_INSE_IS6_EEEESI_S6_NSB_4plusIvEENSB_8equal_toIvEES6_EE10hipError_tPvRmT2_T3_T4_T5_mT6_T7_P12ihipStream_tbENKUlT_T0_E_clISt17integral_constantIbLb1EES13_EEDaSY_SZ_EUlSY_E_NS1_11comp_targetILNS1_3genE2ELNS1_11target_archE906ELNS1_3gpuE6ELNS1_3repE0EEENS1_30default_config_static_selectorELNS0_4arch9wavefront6targetE0EEEvT1_.num_vgpr, 0
	.set _ZN7rocprim17ROCPRIM_400000_NS6detail17trampoline_kernelINS0_14default_configENS1_27scan_by_key_config_selectorIj11FixedVectorIiLj1EEEEZZNS1_16scan_by_key_implILNS1_25lookback_scan_determinismE0ELb0ES3_N6thrust23THRUST_200600_302600_NS6detail15normal_iteratorINSB_10device_ptrIjEEEENSD_INSE_IS6_EEEESI_S6_NSB_4plusIvEENSB_8equal_toIvEES6_EE10hipError_tPvRmT2_T3_T4_T5_mT6_T7_P12ihipStream_tbENKUlT_T0_E_clISt17integral_constantIbLb1EES13_EEDaSY_SZ_EUlSY_E_NS1_11comp_targetILNS1_3genE2ELNS1_11target_archE906ELNS1_3gpuE6ELNS1_3repE0EEENS1_30default_config_static_selectorELNS0_4arch9wavefront6targetE0EEEvT1_.num_agpr, 0
	.set _ZN7rocprim17ROCPRIM_400000_NS6detail17trampoline_kernelINS0_14default_configENS1_27scan_by_key_config_selectorIj11FixedVectorIiLj1EEEEZZNS1_16scan_by_key_implILNS1_25lookback_scan_determinismE0ELb0ES3_N6thrust23THRUST_200600_302600_NS6detail15normal_iteratorINSB_10device_ptrIjEEEENSD_INSE_IS6_EEEESI_S6_NSB_4plusIvEENSB_8equal_toIvEES6_EE10hipError_tPvRmT2_T3_T4_T5_mT6_T7_P12ihipStream_tbENKUlT_T0_E_clISt17integral_constantIbLb1EES13_EEDaSY_SZ_EUlSY_E_NS1_11comp_targetILNS1_3genE2ELNS1_11target_archE906ELNS1_3gpuE6ELNS1_3repE0EEENS1_30default_config_static_selectorELNS0_4arch9wavefront6targetE0EEEvT1_.numbered_sgpr, 0
	.set _ZN7rocprim17ROCPRIM_400000_NS6detail17trampoline_kernelINS0_14default_configENS1_27scan_by_key_config_selectorIj11FixedVectorIiLj1EEEEZZNS1_16scan_by_key_implILNS1_25lookback_scan_determinismE0ELb0ES3_N6thrust23THRUST_200600_302600_NS6detail15normal_iteratorINSB_10device_ptrIjEEEENSD_INSE_IS6_EEEESI_S6_NSB_4plusIvEENSB_8equal_toIvEES6_EE10hipError_tPvRmT2_T3_T4_T5_mT6_T7_P12ihipStream_tbENKUlT_T0_E_clISt17integral_constantIbLb1EES13_EEDaSY_SZ_EUlSY_E_NS1_11comp_targetILNS1_3genE2ELNS1_11target_archE906ELNS1_3gpuE6ELNS1_3repE0EEENS1_30default_config_static_selectorELNS0_4arch9wavefront6targetE0EEEvT1_.num_named_barrier, 0
	.set _ZN7rocprim17ROCPRIM_400000_NS6detail17trampoline_kernelINS0_14default_configENS1_27scan_by_key_config_selectorIj11FixedVectorIiLj1EEEEZZNS1_16scan_by_key_implILNS1_25lookback_scan_determinismE0ELb0ES3_N6thrust23THRUST_200600_302600_NS6detail15normal_iteratorINSB_10device_ptrIjEEEENSD_INSE_IS6_EEEESI_S6_NSB_4plusIvEENSB_8equal_toIvEES6_EE10hipError_tPvRmT2_T3_T4_T5_mT6_T7_P12ihipStream_tbENKUlT_T0_E_clISt17integral_constantIbLb1EES13_EEDaSY_SZ_EUlSY_E_NS1_11comp_targetILNS1_3genE2ELNS1_11target_archE906ELNS1_3gpuE6ELNS1_3repE0EEENS1_30default_config_static_selectorELNS0_4arch9wavefront6targetE0EEEvT1_.private_seg_size, 0
	.set _ZN7rocprim17ROCPRIM_400000_NS6detail17trampoline_kernelINS0_14default_configENS1_27scan_by_key_config_selectorIj11FixedVectorIiLj1EEEEZZNS1_16scan_by_key_implILNS1_25lookback_scan_determinismE0ELb0ES3_N6thrust23THRUST_200600_302600_NS6detail15normal_iteratorINSB_10device_ptrIjEEEENSD_INSE_IS6_EEEESI_S6_NSB_4plusIvEENSB_8equal_toIvEES6_EE10hipError_tPvRmT2_T3_T4_T5_mT6_T7_P12ihipStream_tbENKUlT_T0_E_clISt17integral_constantIbLb1EES13_EEDaSY_SZ_EUlSY_E_NS1_11comp_targetILNS1_3genE2ELNS1_11target_archE906ELNS1_3gpuE6ELNS1_3repE0EEENS1_30default_config_static_selectorELNS0_4arch9wavefront6targetE0EEEvT1_.uses_vcc, 0
	.set _ZN7rocprim17ROCPRIM_400000_NS6detail17trampoline_kernelINS0_14default_configENS1_27scan_by_key_config_selectorIj11FixedVectorIiLj1EEEEZZNS1_16scan_by_key_implILNS1_25lookback_scan_determinismE0ELb0ES3_N6thrust23THRUST_200600_302600_NS6detail15normal_iteratorINSB_10device_ptrIjEEEENSD_INSE_IS6_EEEESI_S6_NSB_4plusIvEENSB_8equal_toIvEES6_EE10hipError_tPvRmT2_T3_T4_T5_mT6_T7_P12ihipStream_tbENKUlT_T0_E_clISt17integral_constantIbLb1EES13_EEDaSY_SZ_EUlSY_E_NS1_11comp_targetILNS1_3genE2ELNS1_11target_archE906ELNS1_3gpuE6ELNS1_3repE0EEENS1_30default_config_static_selectorELNS0_4arch9wavefront6targetE0EEEvT1_.uses_flat_scratch, 0
	.set _ZN7rocprim17ROCPRIM_400000_NS6detail17trampoline_kernelINS0_14default_configENS1_27scan_by_key_config_selectorIj11FixedVectorIiLj1EEEEZZNS1_16scan_by_key_implILNS1_25lookback_scan_determinismE0ELb0ES3_N6thrust23THRUST_200600_302600_NS6detail15normal_iteratorINSB_10device_ptrIjEEEENSD_INSE_IS6_EEEESI_S6_NSB_4plusIvEENSB_8equal_toIvEES6_EE10hipError_tPvRmT2_T3_T4_T5_mT6_T7_P12ihipStream_tbENKUlT_T0_E_clISt17integral_constantIbLb1EES13_EEDaSY_SZ_EUlSY_E_NS1_11comp_targetILNS1_3genE2ELNS1_11target_archE906ELNS1_3gpuE6ELNS1_3repE0EEENS1_30default_config_static_selectorELNS0_4arch9wavefront6targetE0EEEvT1_.has_dyn_sized_stack, 0
	.set _ZN7rocprim17ROCPRIM_400000_NS6detail17trampoline_kernelINS0_14default_configENS1_27scan_by_key_config_selectorIj11FixedVectorIiLj1EEEEZZNS1_16scan_by_key_implILNS1_25lookback_scan_determinismE0ELb0ES3_N6thrust23THRUST_200600_302600_NS6detail15normal_iteratorINSB_10device_ptrIjEEEENSD_INSE_IS6_EEEESI_S6_NSB_4plusIvEENSB_8equal_toIvEES6_EE10hipError_tPvRmT2_T3_T4_T5_mT6_T7_P12ihipStream_tbENKUlT_T0_E_clISt17integral_constantIbLb1EES13_EEDaSY_SZ_EUlSY_E_NS1_11comp_targetILNS1_3genE2ELNS1_11target_archE906ELNS1_3gpuE6ELNS1_3repE0EEENS1_30default_config_static_selectorELNS0_4arch9wavefront6targetE0EEEvT1_.has_recursion, 0
	.set _ZN7rocprim17ROCPRIM_400000_NS6detail17trampoline_kernelINS0_14default_configENS1_27scan_by_key_config_selectorIj11FixedVectorIiLj1EEEEZZNS1_16scan_by_key_implILNS1_25lookback_scan_determinismE0ELb0ES3_N6thrust23THRUST_200600_302600_NS6detail15normal_iteratorINSB_10device_ptrIjEEEENSD_INSE_IS6_EEEESI_S6_NSB_4plusIvEENSB_8equal_toIvEES6_EE10hipError_tPvRmT2_T3_T4_T5_mT6_T7_P12ihipStream_tbENKUlT_T0_E_clISt17integral_constantIbLb1EES13_EEDaSY_SZ_EUlSY_E_NS1_11comp_targetILNS1_3genE2ELNS1_11target_archE906ELNS1_3gpuE6ELNS1_3repE0EEENS1_30default_config_static_selectorELNS0_4arch9wavefront6targetE0EEEvT1_.has_indirect_call, 0
	.section	.AMDGPU.csdata,"",@progbits
; Kernel info:
; codeLenInByte = 0
; TotalNumSgprs: 0
; NumVgprs: 0
; ScratchSize: 0
; MemoryBound: 0
; FloatMode: 240
; IeeeMode: 1
; LDSByteSize: 0 bytes/workgroup (compile time only)
; SGPRBlocks: 0
; VGPRBlocks: 0
; NumSGPRsForWavesPerEU: 1
; NumVGPRsForWavesPerEU: 1
; Occupancy: 16
; WaveLimiterHint : 0
; COMPUTE_PGM_RSRC2:SCRATCH_EN: 0
; COMPUTE_PGM_RSRC2:USER_SGPR: 6
; COMPUTE_PGM_RSRC2:TRAP_HANDLER: 0
; COMPUTE_PGM_RSRC2:TGID_X_EN: 1
; COMPUTE_PGM_RSRC2:TGID_Y_EN: 0
; COMPUTE_PGM_RSRC2:TGID_Z_EN: 0
; COMPUTE_PGM_RSRC2:TIDIG_COMP_CNT: 0
	.section	.text._ZN7rocprim17ROCPRIM_400000_NS6detail17trampoline_kernelINS0_14default_configENS1_27scan_by_key_config_selectorIj11FixedVectorIiLj1EEEEZZNS1_16scan_by_key_implILNS1_25lookback_scan_determinismE0ELb0ES3_N6thrust23THRUST_200600_302600_NS6detail15normal_iteratorINSB_10device_ptrIjEEEENSD_INSE_IS6_EEEESI_S6_NSB_4plusIvEENSB_8equal_toIvEES6_EE10hipError_tPvRmT2_T3_T4_T5_mT6_T7_P12ihipStream_tbENKUlT_T0_E_clISt17integral_constantIbLb1EES13_EEDaSY_SZ_EUlSY_E_NS1_11comp_targetILNS1_3genE10ELNS1_11target_archE1200ELNS1_3gpuE4ELNS1_3repE0EEENS1_30default_config_static_selectorELNS0_4arch9wavefront6targetE0EEEvT1_,"axG",@progbits,_ZN7rocprim17ROCPRIM_400000_NS6detail17trampoline_kernelINS0_14default_configENS1_27scan_by_key_config_selectorIj11FixedVectorIiLj1EEEEZZNS1_16scan_by_key_implILNS1_25lookback_scan_determinismE0ELb0ES3_N6thrust23THRUST_200600_302600_NS6detail15normal_iteratorINSB_10device_ptrIjEEEENSD_INSE_IS6_EEEESI_S6_NSB_4plusIvEENSB_8equal_toIvEES6_EE10hipError_tPvRmT2_T3_T4_T5_mT6_T7_P12ihipStream_tbENKUlT_T0_E_clISt17integral_constantIbLb1EES13_EEDaSY_SZ_EUlSY_E_NS1_11comp_targetILNS1_3genE10ELNS1_11target_archE1200ELNS1_3gpuE4ELNS1_3repE0EEENS1_30default_config_static_selectorELNS0_4arch9wavefront6targetE0EEEvT1_,comdat
	.protected	_ZN7rocprim17ROCPRIM_400000_NS6detail17trampoline_kernelINS0_14default_configENS1_27scan_by_key_config_selectorIj11FixedVectorIiLj1EEEEZZNS1_16scan_by_key_implILNS1_25lookback_scan_determinismE0ELb0ES3_N6thrust23THRUST_200600_302600_NS6detail15normal_iteratorINSB_10device_ptrIjEEEENSD_INSE_IS6_EEEESI_S6_NSB_4plusIvEENSB_8equal_toIvEES6_EE10hipError_tPvRmT2_T3_T4_T5_mT6_T7_P12ihipStream_tbENKUlT_T0_E_clISt17integral_constantIbLb1EES13_EEDaSY_SZ_EUlSY_E_NS1_11comp_targetILNS1_3genE10ELNS1_11target_archE1200ELNS1_3gpuE4ELNS1_3repE0EEENS1_30default_config_static_selectorELNS0_4arch9wavefront6targetE0EEEvT1_ ; -- Begin function _ZN7rocprim17ROCPRIM_400000_NS6detail17trampoline_kernelINS0_14default_configENS1_27scan_by_key_config_selectorIj11FixedVectorIiLj1EEEEZZNS1_16scan_by_key_implILNS1_25lookback_scan_determinismE0ELb0ES3_N6thrust23THRUST_200600_302600_NS6detail15normal_iteratorINSB_10device_ptrIjEEEENSD_INSE_IS6_EEEESI_S6_NSB_4plusIvEENSB_8equal_toIvEES6_EE10hipError_tPvRmT2_T3_T4_T5_mT6_T7_P12ihipStream_tbENKUlT_T0_E_clISt17integral_constantIbLb1EES13_EEDaSY_SZ_EUlSY_E_NS1_11comp_targetILNS1_3genE10ELNS1_11target_archE1200ELNS1_3gpuE4ELNS1_3repE0EEENS1_30default_config_static_selectorELNS0_4arch9wavefront6targetE0EEEvT1_
	.globl	_ZN7rocprim17ROCPRIM_400000_NS6detail17trampoline_kernelINS0_14default_configENS1_27scan_by_key_config_selectorIj11FixedVectorIiLj1EEEEZZNS1_16scan_by_key_implILNS1_25lookback_scan_determinismE0ELb0ES3_N6thrust23THRUST_200600_302600_NS6detail15normal_iteratorINSB_10device_ptrIjEEEENSD_INSE_IS6_EEEESI_S6_NSB_4plusIvEENSB_8equal_toIvEES6_EE10hipError_tPvRmT2_T3_T4_T5_mT6_T7_P12ihipStream_tbENKUlT_T0_E_clISt17integral_constantIbLb1EES13_EEDaSY_SZ_EUlSY_E_NS1_11comp_targetILNS1_3genE10ELNS1_11target_archE1200ELNS1_3gpuE4ELNS1_3repE0EEENS1_30default_config_static_selectorELNS0_4arch9wavefront6targetE0EEEvT1_
	.p2align	8
	.type	_ZN7rocprim17ROCPRIM_400000_NS6detail17trampoline_kernelINS0_14default_configENS1_27scan_by_key_config_selectorIj11FixedVectorIiLj1EEEEZZNS1_16scan_by_key_implILNS1_25lookback_scan_determinismE0ELb0ES3_N6thrust23THRUST_200600_302600_NS6detail15normal_iteratorINSB_10device_ptrIjEEEENSD_INSE_IS6_EEEESI_S6_NSB_4plusIvEENSB_8equal_toIvEES6_EE10hipError_tPvRmT2_T3_T4_T5_mT6_T7_P12ihipStream_tbENKUlT_T0_E_clISt17integral_constantIbLb1EES13_EEDaSY_SZ_EUlSY_E_NS1_11comp_targetILNS1_3genE10ELNS1_11target_archE1200ELNS1_3gpuE4ELNS1_3repE0EEENS1_30default_config_static_selectorELNS0_4arch9wavefront6targetE0EEEvT1_,@function
_ZN7rocprim17ROCPRIM_400000_NS6detail17trampoline_kernelINS0_14default_configENS1_27scan_by_key_config_selectorIj11FixedVectorIiLj1EEEEZZNS1_16scan_by_key_implILNS1_25lookback_scan_determinismE0ELb0ES3_N6thrust23THRUST_200600_302600_NS6detail15normal_iteratorINSB_10device_ptrIjEEEENSD_INSE_IS6_EEEESI_S6_NSB_4plusIvEENSB_8equal_toIvEES6_EE10hipError_tPvRmT2_T3_T4_T5_mT6_T7_P12ihipStream_tbENKUlT_T0_E_clISt17integral_constantIbLb1EES13_EEDaSY_SZ_EUlSY_E_NS1_11comp_targetILNS1_3genE10ELNS1_11target_archE1200ELNS1_3gpuE4ELNS1_3repE0EEENS1_30default_config_static_selectorELNS0_4arch9wavefront6targetE0EEEvT1_: ; @_ZN7rocprim17ROCPRIM_400000_NS6detail17trampoline_kernelINS0_14default_configENS1_27scan_by_key_config_selectorIj11FixedVectorIiLj1EEEEZZNS1_16scan_by_key_implILNS1_25lookback_scan_determinismE0ELb0ES3_N6thrust23THRUST_200600_302600_NS6detail15normal_iteratorINSB_10device_ptrIjEEEENSD_INSE_IS6_EEEESI_S6_NSB_4plusIvEENSB_8equal_toIvEES6_EE10hipError_tPvRmT2_T3_T4_T5_mT6_T7_P12ihipStream_tbENKUlT_T0_E_clISt17integral_constantIbLb1EES13_EEDaSY_SZ_EUlSY_E_NS1_11comp_targetILNS1_3genE10ELNS1_11target_archE1200ELNS1_3gpuE4ELNS1_3repE0EEENS1_30default_config_static_selectorELNS0_4arch9wavefront6targetE0EEEvT1_
; %bb.0:
	.section	.rodata,"a",@progbits
	.p2align	6, 0x0
	.amdhsa_kernel _ZN7rocprim17ROCPRIM_400000_NS6detail17trampoline_kernelINS0_14default_configENS1_27scan_by_key_config_selectorIj11FixedVectorIiLj1EEEEZZNS1_16scan_by_key_implILNS1_25lookback_scan_determinismE0ELb0ES3_N6thrust23THRUST_200600_302600_NS6detail15normal_iteratorINSB_10device_ptrIjEEEENSD_INSE_IS6_EEEESI_S6_NSB_4plusIvEENSB_8equal_toIvEES6_EE10hipError_tPvRmT2_T3_T4_T5_mT6_T7_P12ihipStream_tbENKUlT_T0_E_clISt17integral_constantIbLb1EES13_EEDaSY_SZ_EUlSY_E_NS1_11comp_targetILNS1_3genE10ELNS1_11target_archE1200ELNS1_3gpuE4ELNS1_3repE0EEENS1_30default_config_static_selectorELNS0_4arch9wavefront6targetE0EEEvT1_
		.amdhsa_group_segment_fixed_size 0
		.amdhsa_private_segment_fixed_size 0
		.amdhsa_kernarg_size 112
		.amdhsa_user_sgpr_count 6
		.amdhsa_user_sgpr_private_segment_buffer 1
		.amdhsa_user_sgpr_dispatch_ptr 0
		.amdhsa_user_sgpr_queue_ptr 0
		.amdhsa_user_sgpr_kernarg_segment_ptr 1
		.amdhsa_user_sgpr_dispatch_id 0
		.amdhsa_user_sgpr_flat_scratch_init 0
		.amdhsa_user_sgpr_private_segment_size 0
		.amdhsa_wavefront_size32 1
		.amdhsa_uses_dynamic_stack 0
		.amdhsa_system_sgpr_private_segment_wavefront_offset 0
		.amdhsa_system_sgpr_workgroup_id_x 1
		.amdhsa_system_sgpr_workgroup_id_y 0
		.amdhsa_system_sgpr_workgroup_id_z 0
		.amdhsa_system_sgpr_workgroup_info 0
		.amdhsa_system_vgpr_workitem_id 0
		.amdhsa_next_free_vgpr 1
		.amdhsa_next_free_sgpr 1
		.amdhsa_reserve_vcc 0
		.amdhsa_reserve_flat_scratch 0
		.amdhsa_float_round_mode_32 0
		.amdhsa_float_round_mode_16_64 0
		.amdhsa_float_denorm_mode_32 3
		.amdhsa_float_denorm_mode_16_64 3
		.amdhsa_dx10_clamp 1
		.amdhsa_ieee_mode 1
		.amdhsa_fp16_overflow 0
		.amdhsa_workgroup_processor_mode 1
		.amdhsa_memory_ordered 1
		.amdhsa_forward_progress 1
		.amdhsa_shared_vgpr_count 0
		.amdhsa_exception_fp_ieee_invalid_op 0
		.amdhsa_exception_fp_denorm_src 0
		.amdhsa_exception_fp_ieee_div_zero 0
		.amdhsa_exception_fp_ieee_overflow 0
		.amdhsa_exception_fp_ieee_underflow 0
		.amdhsa_exception_fp_ieee_inexact 0
		.amdhsa_exception_int_div_zero 0
	.end_amdhsa_kernel
	.section	.text._ZN7rocprim17ROCPRIM_400000_NS6detail17trampoline_kernelINS0_14default_configENS1_27scan_by_key_config_selectorIj11FixedVectorIiLj1EEEEZZNS1_16scan_by_key_implILNS1_25lookback_scan_determinismE0ELb0ES3_N6thrust23THRUST_200600_302600_NS6detail15normal_iteratorINSB_10device_ptrIjEEEENSD_INSE_IS6_EEEESI_S6_NSB_4plusIvEENSB_8equal_toIvEES6_EE10hipError_tPvRmT2_T3_T4_T5_mT6_T7_P12ihipStream_tbENKUlT_T0_E_clISt17integral_constantIbLb1EES13_EEDaSY_SZ_EUlSY_E_NS1_11comp_targetILNS1_3genE10ELNS1_11target_archE1200ELNS1_3gpuE4ELNS1_3repE0EEENS1_30default_config_static_selectorELNS0_4arch9wavefront6targetE0EEEvT1_,"axG",@progbits,_ZN7rocprim17ROCPRIM_400000_NS6detail17trampoline_kernelINS0_14default_configENS1_27scan_by_key_config_selectorIj11FixedVectorIiLj1EEEEZZNS1_16scan_by_key_implILNS1_25lookback_scan_determinismE0ELb0ES3_N6thrust23THRUST_200600_302600_NS6detail15normal_iteratorINSB_10device_ptrIjEEEENSD_INSE_IS6_EEEESI_S6_NSB_4plusIvEENSB_8equal_toIvEES6_EE10hipError_tPvRmT2_T3_T4_T5_mT6_T7_P12ihipStream_tbENKUlT_T0_E_clISt17integral_constantIbLb1EES13_EEDaSY_SZ_EUlSY_E_NS1_11comp_targetILNS1_3genE10ELNS1_11target_archE1200ELNS1_3gpuE4ELNS1_3repE0EEENS1_30default_config_static_selectorELNS0_4arch9wavefront6targetE0EEEvT1_,comdat
.Lfunc_end1886:
	.size	_ZN7rocprim17ROCPRIM_400000_NS6detail17trampoline_kernelINS0_14default_configENS1_27scan_by_key_config_selectorIj11FixedVectorIiLj1EEEEZZNS1_16scan_by_key_implILNS1_25lookback_scan_determinismE0ELb0ES3_N6thrust23THRUST_200600_302600_NS6detail15normal_iteratorINSB_10device_ptrIjEEEENSD_INSE_IS6_EEEESI_S6_NSB_4plusIvEENSB_8equal_toIvEES6_EE10hipError_tPvRmT2_T3_T4_T5_mT6_T7_P12ihipStream_tbENKUlT_T0_E_clISt17integral_constantIbLb1EES13_EEDaSY_SZ_EUlSY_E_NS1_11comp_targetILNS1_3genE10ELNS1_11target_archE1200ELNS1_3gpuE4ELNS1_3repE0EEENS1_30default_config_static_selectorELNS0_4arch9wavefront6targetE0EEEvT1_, .Lfunc_end1886-_ZN7rocprim17ROCPRIM_400000_NS6detail17trampoline_kernelINS0_14default_configENS1_27scan_by_key_config_selectorIj11FixedVectorIiLj1EEEEZZNS1_16scan_by_key_implILNS1_25lookback_scan_determinismE0ELb0ES3_N6thrust23THRUST_200600_302600_NS6detail15normal_iteratorINSB_10device_ptrIjEEEENSD_INSE_IS6_EEEESI_S6_NSB_4plusIvEENSB_8equal_toIvEES6_EE10hipError_tPvRmT2_T3_T4_T5_mT6_T7_P12ihipStream_tbENKUlT_T0_E_clISt17integral_constantIbLb1EES13_EEDaSY_SZ_EUlSY_E_NS1_11comp_targetILNS1_3genE10ELNS1_11target_archE1200ELNS1_3gpuE4ELNS1_3repE0EEENS1_30default_config_static_selectorELNS0_4arch9wavefront6targetE0EEEvT1_
                                        ; -- End function
	.set _ZN7rocprim17ROCPRIM_400000_NS6detail17trampoline_kernelINS0_14default_configENS1_27scan_by_key_config_selectorIj11FixedVectorIiLj1EEEEZZNS1_16scan_by_key_implILNS1_25lookback_scan_determinismE0ELb0ES3_N6thrust23THRUST_200600_302600_NS6detail15normal_iteratorINSB_10device_ptrIjEEEENSD_INSE_IS6_EEEESI_S6_NSB_4plusIvEENSB_8equal_toIvEES6_EE10hipError_tPvRmT2_T3_T4_T5_mT6_T7_P12ihipStream_tbENKUlT_T0_E_clISt17integral_constantIbLb1EES13_EEDaSY_SZ_EUlSY_E_NS1_11comp_targetILNS1_3genE10ELNS1_11target_archE1200ELNS1_3gpuE4ELNS1_3repE0EEENS1_30default_config_static_selectorELNS0_4arch9wavefront6targetE0EEEvT1_.num_vgpr, 0
	.set _ZN7rocprim17ROCPRIM_400000_NS6detail17trampoline_kernelINS0_14default_configENS1_27scan_by_key_config_selectorIj11FixedVectorIiLj1EEEEZZNS1_16scan_by_key_implILNS1_25lookback_scan_determinismE0ELb0ES3_N6thrust23THRUST_200600_302600_NS6detail15normal_iteratorINSB_10device_ptrIjEEEENSD_INSE_IS6_EEEESI_S6_NSB_4plusIvEENSB_8equal_toIvEES6_EE10hipError_tPvRmT2_T3_T4_T5_mT6_T7_P12ihipStream_tbENKUlT_T0_E_clISt17integral_constantIbLb1EES13_EEDaSY_SZ_EUlSY_E_NS1_11comp_targetILNS1_3genE10ELNS1_11target_archE1200ELNS1_3gpuE4ELNS1_3repE0EEENS1_30default_config_static_selectorELNS0_4arch9wavefront6targetE0EEEvT1_.num_agpr, 0
	.set _ZN7rocprim17ROCPRIM_400000_NS6detail17trampoline_kernelINS0_14default_configENS1_27scan_by_key_config_selectorIj11FixedVectorIiLj1EEEEZZNS1_16scan_by_key_implILNS1_25lookback_scan_determinismE0ELb0ES3_N6thrust23THRUST_200600_302600_NS6detail15normal_iteratorINSB_10device_ptrIjEEEENSD_INSE_IS6_EEEESI_S6_NSB_4plusIvEENSB_8equal_toIvEES6_EE10hipError_tPvRmT2_T3_T4_T5_mT6_T7_P12ihipStream_tbENKUlT_T0_E_clISt17integral_constantIbLb1EES13_EEDaSY_SZ_EUlSY_E_NS1_11comp_targetILNS1_3genE10ELNS1_11target_archE1200ELNS1_3gpuE4ELNS1_3repE0EEENS1_30default_config_static_selectorELNS0_4arch9wavefront6targetE0EEEvT1_.numbered_sgpr, 0
	.set _ZN7rocprim17ROCPRIM_400000_NS6detail17trampoline_kernelINS0_14default_configENS1_27scan_by_key_config_selectorIj11FixedVectorIiLj1EEEEZZNS1_16scan_by_key_implILNS1_25lookback_scan_determinismE0ELb0ES3_N6thrust23THRUST_200600_302600_NS6detail15normal_iteratorINSB_10device_ptrIjEEEENSD_INSE_IS6_EEEESI_S6_NSB_4plusIvEENSB_8equal_toIvEES6_EE10hipError_tPvRmT2_T3_T4_T5_mT6_T7_P12ihipStream_tbENKUlT_T0_E_clISt17integral_constantIbLb1EES13_EEDaSY_SZ_EUlSY_E_NS1_11comp_targetILNS1_3genE10ELNS1_11target_archE1200ELNS1_3gpuE4ELNS1_3repE0EEENS1_30default_config_static_selectorELNS0_4arch9wavefront6targetE0EEEvT1_.num_named_barrier, 0
	.set _ZN7rocprim17ROCPRIM_400000_NS6detail17trampoline_kernelINS0_14default_configENS1_27scan_by_key_config_selectorIj11FixedVectorIiLj1EEEEZZNS1_16scan_by_key_implILNS1_25lookback_scan_determinismE0ELb0ES3_N6thrust23THRUST_200600_302600_NS6detail15normal_iteratorINSB_10device_ptrIjEEEENSD_INSE_IS6_EEEESI_S6_NSB_4plusIvEENSB_8equal_toIvEES6_EE10hipError_tPvRmT2_T3_T4_T5_mT6_T7_P12ihipStream_tbENKUlT_T0_E_clISt17integral_constantIbLb1EES13_EEDaSY_SZ_EUlSY_E_NS1_11comp_targetILNS1_3genE10ELNS1_11target_archE1200ELNS1_3gpuE4ELNS1_3repE0EEENS1_30default_config_static_selectorELNS0_4arch9wavefront6targetE0EEEvT1_.private_seg_size, 0
	.set _ZN7rocprim17ROCPRIM_400000_NS6detail17trampoline_kernelINS0_14default_configENS1_27scan_by_key_config_selectorIj11FixedVectorIiLj1EEEEZZNS1_16scan_by_key_implILNS1_25lookback_scan_determinismE0ELb0ES3_N6thrust23THRUST_200600_302600_NS6detail15normal_iteratorINSB_10device_ptrIjEEEENSD_INSE_IS6_EEEESI_S6_NSB_4plusIvEENSB_8equal_toIvEES6_EE10hipError_tPvRmT2_T3_T4_T5_mT6_T7_P12ihipStream_tbENKUlT_T0_E_clISt17integral_constantIbLb1EES13_EEDaSY_SZ_EUlSY_E_NS1_11comp_targetILNS1_3genE10ELNS1_11target_archE1200ELNS1_3gpuE4ELNS1_3repE0EEENS1_30default_config_static_selectorELNS0_4arch9wavefront6targetE0EEEvT1_.uses_vcc, 0
	.set _ZN7rocprim17ROCPRIM_400000_NS6detail17trampoline_kernelINS0_14default_configENS1_27scan_by_key_config_selectorIj11FixedVectorIiLj1EEEEZZNS1_16scan_by_key_implILNS1_25lookback_scan_determinismE0ELb0ES3_N6thrust23THRUST_200600_302600_NS6detail15normal_iteratorINSB_10device_ptrIjEEEENSD_INSE_IS6_EEEESI_S6_NSB_4plusIvEENSB_8equal_toIvEES6_EE10hipError_tPvRmT2_T3_T4_T5_mT6_T7_P12ihipStream_tbENKUlT_T0_E_clISt17integral_constantIbLb1EES13_EEDaSY_SZ_EUlSY_E_NS1_11comp_targetILNS1_3genE10ELNS1_11target_archE1200ELNS1_3gpuE4ELNS1_3repE0EEENS1_30default_config_static_selectorELNS0_4arch9wavefront6targetE0EEEvT1_.uses_flat_scratch, 0
	.set _ZN7rocprim17ROCPRIM_400000_NS6detail17trampoline_kernelINS0_14default_configENS1_27scan_by_key_config_selectorIj11FixedVectorIiLj1EEEEZZNS1_16scan_by_key_implILNS1_25lookback_scan_determinismE0ELb0ES3_N6thrust23THRUST_200600_302600_NS6detail15normal_iteratorINSB_10device_ptrIjEEEENSD_INSE_IS6_EEEESI_S6_NSB_4plusIvEENSB_8equal_toIvEES6_EE10hipError_tPvRmT2_T3_T4_T5_mT6_T7_P12ihipStream_tbENKUlT_T0_E_clISt17integral_constantIbLb1EES13_EEDaSY_SZ_EUlSY_E_NS1_11comp_targetILNS1_3genE10ELNS1_11target_archE1200ELNS1_3gpuE4ELNS1_3repE0EEENS1_30default_config_static_selectorELNS0_4arch9wavefront6targetE0EEEvT1_.has_dyn_sized_stack, 0
	.set _ZN7rocprim17ROCPRIM_400000_NS6detail17trampoline_kernelINS0_14default_configENS1_27scan_by_key_config_selectorIj11FixedVectorIiLj1EEEEZZNS1_16scan_by_key_implILNS1_25lookback_scan_determinismE0ELb0ES3_N6thrust23THRUST_200600_302600_NS6detail15normal_iteratorINSB_10device_ptrIjEEEENSD_INSE_IS6_EEEESI_S6_NSB_4plusIvEENSB_8equal_toIvEES6_EE10hipError_tPvRmT2_T3_T4_T5_mT6_T7_P12ihipStream_tbENKUlT_T0_E_clISt17integral_constantIbLb1EES13_EEDaSY_SZ_EUlSY_E_NS1_11comp_targetILNS1_3genE10ELNS1_11target_archE1200ELNS1_3gpuE4ELNS1_3repE0EEENS1_30default_config_static_selectorELNS0_4arch9wavefront6targetE0EEEvT1_.has_recursion, 0
	.set _ZN7rocprim17ROCPRIM_400000_NS6detail17trampoline_kernelINS0_14default_configENS1_27scan_by_key_config_selectorIj11FixedVectorIiLj1EEEEZZNS1_16scan_by_key_implILNS1_25lookback_scan_determinismE0ELb0ES3_N6thrust23THRUST_200600_302600_NS6detail15normal_iteratorINSB_10device_ptrIjEEEENSD_INSE_IS6_EEEESI_S6_NSB_4plusIvEENSB_8equal_toIvEES6_EE10hipError_tPvRmT2_T3_T4_T5_mT6_T7_P12ihipStream_tbENKUlT_T0_E_clISt17integral_constantIbLb1EES13_EEDaSY_SZ_EUlSY_E_NS1_11comp_targetILNS1_3genE10ELNS1_11target_archE1200ELNS1_3gpuE4ELNS1_3repE0EEENS1_30default_config_static_selectorELNS0_4arch9wavefront6targetE0EEEvT1_.has_indirect_call, 0
	.section	.AMDGPU.csdata,"",@progbits
; Kernel info:
; codeLenInByte = 0
; TotalNumSgprs: 0
; NumVgprs: 0
; ScratchSize: 0
; MemoryBound: 0
; FloatMode: 240
; IeeeMode: 1
; LDSByteSize: 0 bytes/workgroup (compile time only)
; SGPRBlocks: 0
; VGPRBlocks: 0
; NumSGPRsForWavesPerEU: 1
; NumVGPRsForWavesPerEU: 1
; Occupancy: 16
; WaveLimiterHint : 0
; COMPUTE_PGM_RSRC2:SCRATCH_EN: 0
; COMPUTE_PGM_RSRC2:USER_SGPR: 6
; COMPUTE_PGM_RSRC2:TRAP_HANDLER: 0
; COMPUTE_PGM_RSRC2:TGID_X_EN: 1
; COMPUTE_PGM_RSRC2:TGID_Y_EN: 0
; COMPUTE_PGM_RSRC2:TGID_Z_EN: 0
; COMPUTE_PGM_RSRC2:TIDIG_COMP_CNT: 0
	.section	.text._ZN7rocprim17ROCPRIM_400000_NS6detail17trampoline_kernelINS0_14default_configENS1_27scan_by_key_config_selectorIj11FixedVectorIiLj1EEEEZZNS1_16scan_by_key_implILNS1_25lookback_scan_determinismE0ELb0ES3_N6thrust23THRUST_200600_302600_NS6detail15normal_iteratorINSB_10device_ptrIjEEEENSD_INSE_IS6_EEEESI_S6_NSB_4plusIvEENSB_8equal_toIvEES6_EE10hipError_tPvRmT2_T3_T4_T5_mT6_T7_P12ihipStream_tbENKUlT_T0_E_clISt17integral_constantIbLb1EES13_EEDaSY_SZ_EUlSY_E_NS1_11comp_targetILNS1_3genE9ELNS1_11target_archE1100ELNS1_3gpuE3ELNS1_3repE0EEENS1_30default_config_static_selectorELNS0_4arch9wavefront6targetE0EEEvT1_,"axG",@progbits,_ZN7rocprim17ROCPRIM_400000_NS6detail17trampoline_kernelINS0_14default_configENS1_27scan_by_key_config_selectorIj11FixedVectorIiLj1EEEEZZNS1_16scan_by_key_implILNS1_25lookback_scan_determinismE0ELb0ES3_N6thrust23THRUST_200600_302600_NS6detail15normal_iteratorINSB_10device_ptrIjEEEENSD_INSE_IS6_EEEESI_S6_NSB_4plusIvEENSB_8equal_toIvEES6_EE10hipError_tPvRmT2_T3_T4_T5_mT6_T7_P12ihipStream_tbENKUlT_T0_E_clISt17integral_constantIbLb1EES13_EEDaSY_SZ_EUlSY_E_NS1_11comp_targetILNS1_3genE9ELNS1_11target_archE1100ELNS1_3gpuE3ELNS1_3repE0EEENS1_30default_config_static_selectorELNS0_4arch9wavefront6targetE0EEEvT1_,comdat
	.protected	_ZN7rocprim17ROCPRIM_400000_NS6detail17trampoline_kernelINS0_14default_configENS1_27scan_by_key_config_selectorIj11FixedVectorIiLj1EEEEZZNS1_16scan_by_key_implILNS1_25lookback_scan_determinismE0ELb0ES3_N6thrust23THRUST_200600_302600_NS6detail15normal_iteratorINSB_10device_ptrIjEEEENSD_INSE_IS6_EEEESI_S6_NSB_4plusIvEENSB_8equal_toIvEES6_EE10hipError_tPvRmT2_T3_T4_T5_mT6_T7_P12ihipStream_tbENKUlT_T0_E_clISt17integral_constantIbLb1EES13_EEDaSY_SZ_EUlSY_E_NS1_11comp_targetILNS1_3genE9ELNS1_11target_archE1100ELNS1_3gpuE3ELNS1_3repE0EEENS1_30default_config_static_selectorELNS0_4arch9wavefront6targetE0EEEvT1_ ; -- Begin function _ZN7rocprim17ROCPRIM_400000_NS6detail17trampoline_kernelINS0_14default_configENS1_27scan_by_key_config_selectorIj11FixedVectorIiLj1EEEEZZNS1_16scan_by_key_implILNS1_25lookback_scan_determinismE0ELb0ES3_N6thrust23THRUST_200600_302600_NS6detail15normal_iteratorINSB_10device_ptrIjEEEENSD_INSE_IS6_EEEESI_S6_NSB_4plusIvEENSB_8equal_toIvEES6_EE10hipError_tPvRmT2_T3_T4_T5_mT6_T7_P12ihipStream_tbENKUlT_T0_E_clISt17integral_constantIbLb1EES13_EEDaSY_SZ_EUlSY_E_NS1_11comp_targetILNS1_3genE9ELNS1_11target_archE1100ELNS1_3gpuE3ELNS1_3repE0EEENS1_30default_config_static_selectorELNS0_4arch9wavefront6targetE0EEEvT1_
	.globl	_ZN7rocprim17ROCPRIM_400000_NS6detail17trampoline_kernelINS0_14default_configENS1_27scan_by_key_config_selectorIj11FixedVectorIiLj1EEEEZZNS1_16scan_by_key_implILNS1_25lookback_scan_determinismE0ELb0ES3_N6thrust23THRUST_200600_302600_NS6detail15normal_iteratorINSB_10device_ptrIjEEEENSD_INSE_IS6_EEEESI_S6_NSB_4plusIvEENSB_8equal_toIvEES6_EE10hipError_tPvRmT2_T3_T4_T5_mT6_T7_P12ihipStream_tbENKUlT_T0_E_clISt17integral_constantIbLb1EES13_EEDaSY_SZ_EUlSY_E_NS1_11comp_targetILNS1_3genE9ELNS1_11target_archE1100ELNS1_3gpuE3ELNS1_3repE0EEENS1_30default_config_static_selectorELNS0_4arch9wavefront6targetE0EEEvT1_
	.p2align	8
	.type	_ZN7rocprim17ROCPRIM_400000_NS6detail17trampoline_kernelINS0_14default_configENS1_27scan_by_key_config_selectorIj11FixedVectorIiLj1EEEEZZNS1_16scan_by_key_implILNS1_25lookback_scan_determinismE0ELb0ES3_N6thrust23THRUST_200600_302600_NS6detail15normal_iteratorINSB_10device_ptrIjEEEENSD_INSE_IS6_EEEESI_S6_NSB_4plusIvEENSB_8equal_toIvEES6_EE10hipError_tPvRmT2_T3_T4_T5_mT6_T7_P12ihipStream_tbENKUlT_T0_E_clISt17integral_constantIbLb1EES13_EEDaSY_SZ_EUlSY_E_NS1_11comp_targetILNS1_3genE9ELNS1_11target_archE1100ELNS1_3gpuE3ELNS1_3repE0EEENS1_30default_config_static_selectorELNS0_4arch9wavefront6targetE0EEEvT1_,@function
_ZN7rocprim17ROCPRIM_400000_NS6detail17trampoline_kernelINS0_14default_configENS1_27scan_by_key_config_selectorIj11FixedVectorIiLj1EEEEZZNS1_16scan_by_key_implILNS1_25lookback_scan_determinismE0ELb0ES3_N6thrust23THRUST_200600_302600_NS6detail15normal_iteratorINSB_10device_ptrIjEEEENSD_INSE_IS6_EEEESI_S6_NSB_4plusIvEENSB_8equal_toIvEES6_EE10hipError_tPvRmT2_T3_T4_T5_mT6_T7_P12ihipStream_tbENKUlT_T0_E_clISt17integral_constantIbLb1EES13_EEDaSY_SZ_EUlSY_E_NS1_11comp_targetILNS1_3genE9ELNS1_11target_archE1100ELNS1_3gpuE3ELNS1_3repE0EEENS1_30default_config_static_selectorELNS0_4arch9wavefront6targetE0EEEvT1_: ; @_ZN7rocprim17ROCPRIM_400000_NS6detail17trampoline_kernelINS0_14default_configENS1_27scan_by_key_config_selectorIj11FixedVectorIiLj1EEEEZZNS1_16scan_by_key_implILNS1_25lookback_scan_determinismE0ELb0ES3_N6thrust23THRUST_200600_302600_NS6detail15normal_iteratorINSB_10device_ptrIjEEEENSD_INSE_IS6_EEEESI_S6_NSB_4plusIvEENSB_8equal_toIvEES6_EE10hipError_tPvRmT2_T3_T4_T5_mT6_T7_P12ihipStream_tbENKUlT_T0_E_clISt17integral_constantIbLb1EES13_EEDaSY_SZ_EUlSY_E_NS1_11comp_targetILNS1_3genE9ELNS1_11target_archE1100ELNS1_3gpuE3ELNS1_3repE0EEENS1_30default_config_static_selectorELNS0_4arch9wavefront6targetE0EEEvT1_
; %bb.0:
	.section	.rodata,"a",@progbits
	.p2align	6, 0x0
	.amdhsa_kernel _ZN7rocprim17ROCPRIM_400000_NS6detail17trampoline_kernelINS0_14default_configENS1_27scan_by_key_config_selectorIj11FixedVectorIiLj1EEEEZZNS1_16scan_by_key_implILNS1_25lookback_scan_determinismE0ELb0ES3_N6thrust23THRUST_200600_302600_NS6detail15normal_iteratorINSB_10device_ptrIjEEEENSD_INSE_IS6_EEEESI_S6_NSB_4plusIvEENSB_8equal_toIvEES6_EE10hipError_tPvRmT2_T3_T4_T5_mT6_T7_P12ihipStream_tbENKUlT_T0_E_clISt17integral_constantIbLb1EES13_EEDaSY_SZ_EUlSY_E_NS1_11comp_targetILNS1_3genE9ELNS1_11target_archE1100ELNS1_3gpuE3ELNS1_3repE0EEENS1_30default_config_static_selectorELNS0_4arch9wavefront6targetE0EEEvT1_
		.amdhsa_group_segment_fixed_size 0
		.amdhsa_private_segment_fixed_size 0
		.amdhsa_kernarg_size 112
		.amdhsa_user_sgpr_count 6
		.amdhsa_user_sgpr_private_segment_buffer 1
		.amdhsa_user_sgpr_dispatch_ptr 0
		.amdhsa_user_sgpr_queue_ptr 0
		.amdhsa_user_sgpr_kernarg_segment_ptr 1
		.amdhsa_user_sgpr_dispatch_id 0
		.amdhsa_user_sgpr_flat_scratch_init 0
		.amdhsa_user_sgpr_private_segment_size 0
		.amdhsa_wavefront_size32 1
		.amdhsa_uses_dynamic_stack 0
		.amdhsa_system_sgpr_private_segment_wavefront_offset 0
		.amdhsa_system_sgpr_workgroup_id_x 1
		.amdhsa_system_sgpr_workgroup_id_y 0
		.amdhsa_system_sgpr_workgroup_id_z 0
		.amdhsa_system_sgpr_workgroup_info 0
		.amdhsa_system_vgpr_workitem_id 0
		.amdhsa_next_free_vgpr 1
		.amdhsa_next_free_sgpr 1
		.amdhsa_reserve_vcc 0
		.amdhsa_reserve_flat_scratch 0
		.amdhsa_float_round_mode_32 0
		.amdhsa_float_round_mode_16_64 0
		.amdhsa_float_denorm_mode_32 3
		.amdhsa_float_denorm_mode_16_64 3
		.amdhsa_dx10_clamp 1
		.amdhsa_ieee_mode 1
		.amdhsa_fp16_overflow 0
		.amdhsa_workgroup_processor_mode 1
		.amdhsa_memory_ordered 1
		.amdhsa_forward_progress 1
		.amdhsa_shared_vgpr_count 0
		.amdhsa_exception_fp_ieee_invalid_op 0
		.amdhsa_exception_fp_denorm_src 0
		.amdhsa_exception_fp_ieee_div_zero 0
		.amdhsa_exception_fp_ieee_overflow 0
		.amdhsa_exception_fp_ieee_underflow 0
		.amdhsa_exception_fp_ieee_inexact 0
		.amdhsa_exception_int_div_zero 0
	.end_amdhsa_kernel
	.section	.text._ZN7rocprim17ROCPRIM_400000_NS6detail17trampoline_kernelINS0_14default_configENS1_27scan_by_key_config_selectorIj11FixedVectorIiLj1EEEEZZNS1_16scan_by_key_implILNS1_25lookback_scan_determinismE0ELb0ES3_N6thrust23THRUST_200600_302600_NS6detail15normal_iteratorINSB_10device_ptrIjEEEENSD_INSE_IS6_EEEESI_S6_NSB_4plusIvEENSB_8equal_toIvEES6_EE10hipError_tPvRmT2_T3_T4_T5_mT6_T7_P12ihipStream_tbENKUlT_T0_E_clISt17integral_constantIbLb1EES13_EEDaSY_SZ_EUlSY_E_NS1_11comp_targetILNS1_3genE9ELNS1_11target_archE1100ELNS1_3gpuE3ELNS1_3repE0EEENS1_30default_config_static_selectorELNS0_4arch9wavefront6targetE0EEEvT1_,"axG",@progbits,_ZN7rocprim17ROCPRIM_400000_NS6detail17trampoline_kernelINS0_14default_configENS1_27scan_by_key_config_selectorIj11FixedVectorIiLj1EEEEZZNS1_16scan_by_key_implILNS1_25lookback_scan_determinismE0ELb0ES3_N6thrust23THRUST_200600_302600_NS6detail15normal_iteratorINSB_10device_ptrIjEEEENSD_INSE_IS6_EEEESI_S6_NSB_4plusIvEENSB_8equal_toIvEES6_EE10hipError_tPvRmT2_T3_T4_T5_mT6_T7_P12ihipStream_tbENKUlT_T0_E_clISt17integral_constantIbLb1EES13_EEDaSY_SZ_EUlSY_E_NS1_11comp_targetILNS1_3genE9ELNS1_11target_archE1100ELNS1_3gpuE3ELNS1_3repE0EEENS1_30default_config_static_selectorELNS0_4arch9wavefront6targetE0EEEvT1_,comdat
.Lfunc_end1887:
	.size	_ZN7rocprim17ROCPRIM_400000_NS6detail17trampoline_kernelINS0_14default_configENS1_27scan_by_key_config_selectorIj11FixedVectorIiLj1EEEEZZNS1_16scan_by_key_implILNS1_25lookback_scan_determinismE0ELb0ES3_N6thrust23THRUST_200600_302600_NS6detail15normal_iteratorINSB_10device_ptrIjEEEENSD_INSE_IS6_EEEESI_S6_NSB_4plusIvEENSB_8equal_toIvEES6_EE10hipError_tPvRmT2_T3_T4_T5_mT6_T7_P12ihipStream_tbENKUlT_T0_E_clISt17integral_constantIbLb1EES13_EEDaSY_SZ_EUlSY_E_NS1_11comp_targetILNS1_3genE9ELNS1_11target_archE1100ELNS1_3gpuE3ELNS1_3repE0EEENS1_30default_config_static_selectorELNS0_4arch9wavefront6targetE0EEEvT1_, .Lfunc_end1887-_ZN7rocprim17ROCPRIM_400000_NS6detail17trampoline_kernelINS0_14default_configENS1_27scan_by_key_config_selectorIj11FixedVectorIiLj1EEEEZZNS1_16scan_by_key_implILNS1_25lookback_scan_determinismE0ELb0ES3_N6thrust23THRUST_200600_302600_NS6detail15normal_iteratorINSB_10device_ptrIjEEEENSD_INSE_IS6_EEEESI_S6_NSB_4plusIvEENSB_8equal_toIvEES6_EE10hipError_tPvRmT2_T3_T4_T5_mT6_T7_P12ihipStream_tbENKUlT_T0_E_clISt17integral_constantIbLb1EES13_EEDaSY_SZ_EUlSY_E_NS1_11comp_targetILNS1_3genE9ELNS1_11target_archE1100ELNS1_3gpuE3ELNS1_3repE0EEENS1_30default_config_static_selectorELNS0_4arch9wavefront6targetE0EEEvT1_
                                        ; -- End function
	.set _ZN7rocprim17ROCPRIM_400000_NS6detail17trampoline_kernelINS0_14default_configENS1_27scan_by_key_config_selectorIj11FixedVectorIiLj1EEEEZZNS1_16scan_by_key_implILNS1_25lookback_scan_determinismE0ELb0ES3_N6thrust23THRUST_200600_302600_NS6detail15normal_iteratorINSB_10device_ptrIjEEEENSD_INSE_IS6_EEEESI_S6_NSB_4plusIvEENSB_8equal_toIvEES6_EE10hipError_tPvRmT2_T3_T4_T5_mT6_T7_P12ihipStream_tbENKUlT_T0_E_clISt17integral_constantIbLb1EES13_EEDaSY_SZ_EUlSY_E_NS1_11comp_targetILNS1_3genE9ELNS1_11target_archE1100ELNS1_3gpuE3ELNS1_3repE0EEENS1_30default_config_static_selectorELNS0_4arch9wavefront6targetE0EEEvT1_.num_vgpr, 0
	.set _ZN7rocprim17ROCPRIM_400000_NS6detail17trampoline_kernelINS0_14default_configENS1_27scan_by_key_config_selectorIj11FixedVectorIiLj1EEEEZZNS1_16scan_by_key_implILNS1_25lookback_scan_determinismE0ELb0ES3_N6thrust23THRUST_200600_302600_NS6detail15normal_iteratorINSB_10device_ptrIjEEEENSD_INSE_IS6_EEEESI_S6_NSB_4plusIvEENSB_8equal_toIvEES6_EE10hipError_tPvRmT2_T3_T4_T5_mT6_T7_P12ihipStream_tbENKUlT_T0_E_clISt17integral_constantIbLb1EES13_EEDaSY_SZ_EUlSY_E_NS1_11comp_targetILNS1_3genE9ELNS1_11target_archE1100ELNS1_3gpuE3ELNS1_3repE0EEENS1_30default_config_static_selectorELNS0_4arch9wavefront6targetE0EEEvT1_.num_agpr, 0
	.set _ZN7rocprim17ROCPRIM_400000_NS6detail17trampoline_kernelINS0_14default_configENS1_27scan_by_key_config_selectorIj11FixedVectorIiLj1EEEEZZNS1_16scan_by_key_implILNS1_25lookback_scan_determinismE0ELb0ES3_N6thrust23THRUST_200600_302600_NS6detail15normal_iteratorINSB_10device_ptrIjEEEENSD_INSE_IS6_EEEESI_S6_NSB_4plusIvEENSB_8equal_toIvEES6_EE10hipError_tPvRmT2_T3_T4_T5_mT6_T7_P12ihipStream_tbENKUlT_T0_E_clISt17integral_constantIbLb1EES13_EEDaSY_SZ_EUlSY_E_NS1_11comp_targetILNS1_3genE9ELNS1_11target_archE1100ELNS1_3gpuE3ELNS1_3repE0EEENS1_30default_config_static_selectorELNS0_4arch9wavefront6targetE0EEEvT1_.numbered_sgpr, 0
	.set _ZN7rocprim17ROCPRIM_400000_NS6detail17trampoline_kernelINS0_14default_configENS1_27scan_by_key_config_selectorIj11FixedVectorIiLj1EEEEZZNS1_16scan_by_key_implILNS1_25lookback_scan_determinismE0ELb0ES3_N6thrust23THRUST_200600_302600_NS6detail15normal_iteratorINSB_10device_ptrIjEEEENSD_INSE_IS6_EEEESI_S6_NSB_4plusIvEENSB_8equal_toIvEES6_EE10hipError_tPvRmT2_T3_T4_T5_mT6_T7_P12ihipStream_tbENKUlT_T0_E_clISt17integral_constantIbLb1EES13_EEDaSY_SZ_EUlSY_E_NS1_11comp_targetILNS1_3genE9ELNS1_11target_archE1100ELNS1_3gpuE3ELNS1_3repE0EEENS1_30default_config_static_selectorELNS0_4arch9wavefront6targetE0EEEvT1_.num_named_barrier, 0
	.set _ZN7rocprim17ROCPRIM_400000_NS6detail17trampoline_kernelINS0_14default_configENS1_27scan_by_key_config_selectorIj11FixedVectorIiLj1EEEEZZNS1_16scan_by_key_implILNS1_25lookback_scan_determinismE0ELb0ES3_N6thrust23THRUST_200600_302600_NS6detail15normal_iteratorINSB_10device_ptrIjEEEENSD_INSE_IS6_EEEESI_S6_NSB_4plusIvEENSB_8equal_toIvEES6_EE10hipError_tPvRmT2_T3_T4_T5_mT6_T7_P12ihipStream_tbENKUlT_T0_E_clISt17integral_constantIbLb1EES13_EEDaSY_SZ_EUlSY_E_NS1_11comp_targetILNS1_3genE9ELNS1_11target_archE1100ELNS1_3gpuE3ELNS1_3repE0EEENS1_30default_config_static_selectorELNS0_4arch9wavefront6targetE0EEEvT1_.private_seg_size, 0
	.set _ZN7rocprim17ROCPRIM_400000_NS6detail17trampoline_kernelINS0_14default_configENS1_27scan_by_key_config_selectorIj11FixedVectorIiLj1EEEEZZNS1_16scan_by_key_implILNS1_25lookback_scan_determinismE0ELb0ES3_N6thrust23THRUST_200600_302600_NS6detail15normal_iteratorINSB_10device_ptrIjEEEENSD_INSE_IS6_EEEESI_S6_NSB_4plusIvEENSB_8equal_toIvEES6_EE10hipError_tPvRmT2_T3_T4_T5_mT6_T7_P12ihipStream_tbENKUlT_T0_E_clISt17integral_constantIbLb1EES13_EEDaSY_SZ_EUlSY_E_NS1_11comp_targetILNS1_3genE9ELNS1_11target_archE1100ELNS1_3gpuE3ELNS1_3repE0EEENS1_30default_config_static_selectorELNS0_4arch9wavefront6targetE0EEEvT1_.uses_vcc, 0
	.set _ZN7rocprim17ROCPRIM_400000_NS6detail17trampoline_kernelINS0_14default_configENS1_27scan_by_key_config_selectorIj11FixedVectorIiLj1EEEEZZNS1_16scan_by_key_implILNS1_25lookback_scan_determinismE0ELb0ES3_N6thrust23THRUST_200600_302600_NS6detail15normal_iteratorINSB_10device_ptrIjEEEENSD_INSE_IS6_EEEESI_S6_NSB_4plusIvEENSB_8equal_toIvEES6_EE10hipError_tPvRmT2_T3_T4_T5_mT6_T7_P12ihipStream_tbENKUlT_T0_E_clISt17integral_constantIbLb1EES13_EEDaSY_SZ_EUlSY_E_NS1_11comp_targetILNS1_3genE9ELNS1_11target_archE1100ELNS1_3gpuE3ELNS1_3repE0EEENS1_30default_config_static_selectorELNS0_4arch9wavefront6targetE0EEEvT1_.uses_flat_scratch, 0
	.set _ZN7rocprim17ROCPRIM_400000_NS6detail17trampoline_kernelINS0_14default_configENS1_27scan_by_key_config_selectorIj11FixedVectorIiLj1EEEEZZNS1_16scan_by_key_implILNS1_25lookback_scan_determinismE0ELb0ES3_N6thrust23THRUST_200600_302600_NS6detail15normal_iteratorINSB_10device_ptrIjEEEENSD_INSE_IS6_EEEESI_S6_NSB_4plusIvEENSB_8equal_toIvEES6_EE10hipError_tPvRmT2_T3_T4_T5_mT6_T7_P12ihipStream_tbENKUlT_T0_E_clISt17integral_constantIbLb1EES13_EEDaSY_SZ_EUlSY_E_NS1_11comp_targetILNS1_3genE9ELNS1_11target_archE1100ELNS1_3gpuE3ELNS1_3repE0EEENS1_30default_config_static_selectorELNS0_4arch9wavefront6targetE0EEEvT1_.has_dyn_sized_stack, 0
	.set _ZN7rocprim17ROCPRIM_400000_NS6detail17trampoline_kernelINS0_14default_configENS1_27scan_by_key_config_selectorIj11FixedVectorIiLj1EEEEZZNS1_16scan_by_key_implILNS1_25lookback_scan_determinismE0ELb0ES3_N6thrust23THRUST_200600_302600_NS6detail15normal_iteratorINSB_10device_ptrIjEEEENSD_INSE_IS6_EEEESI_S6_NSB_4plusIvEENSB_8equal_toIvEES6_EE10hipError_tPvRmT2_T3_T4_T5_mT6_T7_P12ihipStream_tbENKUlT_T0_E_clISt17integral_constantIbLb1EES13_EEDaSY_SZ_EUlSY_E_NS1_11comp_targetILNS1_3genE9ELNS1_11target_archE1100ELNS1_3gpuE3ELNS1_3repE0EEENS1_30default_config_static_selectorELNS0_4arch9wavefront6targetE0EEEvT1_.has_recursion, 0
	.set _ZN7rocprim17ROCPRIM_400000_NS6detail17trampoline_kernelINS0_14default_configENS1_27scan_by_key_config_selectorIj11FixedVectorIiLj1EEEEZZNS1_16scan_by_key_implILNS1_25lookback_scan_determinismE0ELb0ES3_N6thrust23THRUST_200600_302600_NS6detail15normal_iteratorINSB_10device_ptrIjEEEENSD_INSE_IS6_EEEESI_S6_NSB_4plusIvEENSB_8equal_toIvEES6_EE10hipError_tPvRmT2_T3_T4_T5_mT6_T7_P12ihipStream_tbENKUlT_T0_E_clISt17integral_constantIbLb1EES13_EEDaSY_SZ_EUlSY_E_NS1_11comp_targetILNS1_3genE9ELNS1_11target_archE1100ELNS1_3gpuE3ELNS1_3repE0EEENS1_30default_config_static_selectorELNS0_4arch9wavefront6targetE0EEEvT1_.has_indirect_call, 0
	.section	.AMDGPU.csdata,"",@progbits
; Kernel info:
; codeLenInByte = 0
; TotalNumSgprs: 0
; NumVgprs: 0
; ScratchSize: 0
; MemoryBound: 0
; FloatMode: 240
; IeeeMode: 1
; LDSByteSize: 0 bytes/workgroup (compile time only)
; SGPRBlocks: 0
; VGPRBlocks: 0
; NumSGPRsForWavesPerEU: 1
; NumVGPRsForWavesPerEU: 1
; Occupancy: 16
; WaveLimiterHint : 0
; COMPUTE_PGM_RSRC2:SCRATCH_EN: 0
; COMPUTE_PGM_RSRC2:USER_SGPR: 6
; COMPUTE_PGM_RSRC2:TRAP_HANDLER: 0
; COMPUTE_PGM_RSRC2:TGID_X_EN: 1
; COMPUTE_PGM_RSRC2:TGID_Y_EN: 0
; COMPUTE_PGM_RSRC2:TGID_Z_EN: 0
; COMPUTE_PGM_RSRC2:TIDIG_COMP_CNT: 0
	.section	.text._ZN7rocprim17ROCPRIM_400000_NS6detail17trampoline_kernelINS0_14default_configENS1_27scan_by_key_config_selectorIj11FixedVectorIiLj1EEEEZZNS1_16scan_by_key_implILNS1_25lookback_scan_determinismE0ELb0ES3_N6thrust23THRUST_200600_302600_NS6detail15normal_iteratorINSB_10device_ptrIjEEEENSD_INSE_IS6_EEEESI_S6_NSB_4plusIvEENSB_8equal_toIvEES6_EE10hipError_tPvRmT2_T3_T4_T5_mT6_T7_P12ihipStream_tbENKUlT_T0_E_clISt17integral_constantIbLb1EES13_EEDaSY_SZ_EUlSY_E_NS1_11comp_targetILNS1_3genE8ELNS1_11target_archE1030ELNS1_3gpuE2ELNS1_3repE0EEENS1_30default_config_static_selectorELNS0_4arch9wavefront6targetE0EEEvT1_,"axG",@progbits,_ZN7rocprim17ROCPRIM_400000_NS6detail17trampoline_kernelINS0_14default_configENS1_27scan_by_key_config_selectorIj11FixedVectorIiLj1EEEEZZNS1_16scan_by_key_implILNS1_25lookback_scan_determinismE0ELb0ES3_N6thrust23THRUST_200600_302600_NS6detail15normal_iteratorINSB_10device_ptrIjEEEENSD_INSE_IS6_EEEESI_S6_NSB_4plusIvEENSB_8equal_toIvEES6_EE10hipError_tPvRmT2_T3_T4_T5_mT6_T7_P12ihipStream_tbENKUlT_T0_E_clISt17integral_constantIbLb1EES13_EEDaSY_SZ_EUlSY_E_NS1_11comp_targetILNS1_3genE8ELNS1_11target_archE1030ELNS1_3gpuE2ELNS1_3repE0EEENS1_30default_config_static_selectorELNS0_4arch9wavefront6targetE0EEEvT1_,comdat
	.protected	_ZN7rocprim17ROCPRIM_400000_NS6detail17trampoline_kernelINS0_14default_configENS1_27scan_by_key_config_selectorIj11FixedVectorIiLj1EEEEZZNS1_16scan_by_key_implILNS1_25lookback_scan_determinismE0ELb0ES3_N6thrust23THRUST_200600_302600_NS6detail15normal_iteratorINSB_10device_ptrIjEEEENSD_INSE_IS6_EEEESI_S6_NSB_4plusIvEENSB_8equal_toIvEES6_EE10hipError_tPvRmT2_T3_T4_T5_mT6_T7_P12ihipStream_tbENKUlT_T0_E_clISt17integral_constantIbLb1EES13_EEDaSY_SZ_EUlSY_E_NS1_11comp_targetILNS1_3genE8ELNS1_11target_archE1030ELNS1_3gpuE2ELNS1_3repE0EEENS1_30default_config_static_selectorELNS0_4arch9wavefront6targetE0EEEvT1_ ; -- Begin function _ZN7rocprim17ROCPRIM_400000_NS6detail17trampoline_kernelINS0_14default_configENS1_27scan_by_key_config_selectorIj11FixedVectorIiLj1EEEEZZNS1_16scan_by_key_implILNS1_25lookback_scan_determinismE0ELb0ES3_N6thrust23THRUST_200600_302600_NS6detail15normal_iteratorINSB_10device_ptrIjEEEENSD_INSE_IS6_EEEESI_S6_NSB_4plusIvEENSB_8equal_toIvEES6_EE10hipError_tPvRmT2_T3_T4_T5_mT6_T7_P12ihipStream_tbENKUlT_T0_E_clISt17integral_constantIbLb1EES13_EEDaSY_SZ_EUlSY_E_NS1_11comp_targetILNS1_3genE8ELNS1_11target_archE1030ELNS1_3gpuE2ELNS1_3repE0EEENS1_30default_config_static_selectorELNS0_4arch9wavefront6targetE0EEEvT1_
	.globl	_ZN7rocprim17ROCPRIM_400000_NS6detail17trampoline_kernelINS0_14default_configENS1_27scan_by_key_config_selectorIj11FixedVectorIiLj1EEEEZZNS1_16scan_by_key_implILNS1_25lookback_scan_determinismE0ELb0ES3_N6thrust23THRUST_200600_302600_NS6detail15normal_iteratorINSB_10device_ptrIjEEEENSD_INSE_IS6_EEEESI_S6_NSB_4plusIvEENSB_8equal_toIvEES6_EE10hipError_tPvRmT2_T3_T4_T5_mT6_T7_P12ihipStream_tbENKUlT_T0_E_clISt17integral_constantIbLb1EES13_EEDaSY_SZ_EUlSY_E_NS1_11comp_targetILNS1_3genE8ELNS1_11target_archE1030ELNS1_3gpuE2ELNS1_3repE0EEENS1_30default_config_static_selectorELNS0_4arch9wavefront6targetE0EEEvT1_
	.p2align	8
	.type	_ZN7rocprim17ROCPRIM_400000_NS6detail17trampoline_kernelINS0_14default_configENS1_27scan_by_key_config_selectorIj11FixedVectorIiLj1EEEEZZNS1_16scan_by_key_implILNS1_25lookback_scan_determinismE0ELb0ES3_N6thrust23THRUST_200600_302600_NS6detail15normal_iteratorINSB_10device_ptrIjEEEENSD_INSE_IS6_EEEESI_S6_NSB_4plusIvEENSB_8equal_toIvEES6_EE10hipError_tPvRmT2_T3_T4_T5_mT6_T7_P12ihipStream_tbENKUlT_T0_E_clISt17integral_constantIbLb1EES13_EEDaSY_SZ_EUlSY_E_NS1_11comp_targetILNS1_3genE8ELNS1_11target_archE1030ELNS1_3gpuE2ELNS1_3repE0EEENS1_30default_config_static_selectorELNS0_4arch9wavefront6targetE0EEEvT1_,@function
_ZN7rocprim17ROCPRIM_400000_NS6detail17trampoline_kernelINS0_14default_configENS1_27scan_by_key_config_selectorIj11FixedVectorIiLj1EEEEZZNS1_16scan_by_key_implILNS1_25lookback_scan_determinismE0ELb0ES3_N6thrust23THRUST_200600_302600_NS6detail15normal_iteratorINSB_10device_ptrIjEEEENSD_INSE_IS6_EEEESI_S6_NSB_4plusIvEENSB_8equal_toIvEES6_EE10hipError_tPvRmT2_T3_T4_T5_mT6_T7_P12ihipStream_tbENKUlT_T0_E_clISt17integral_constantIbLb1EES13_EEDaSY_SZ_EUlSY_E_NS1_11comp_targetILNS1_3genE8ELNS1_11target_archE1030ELNS1_3gpuE2ELNS1_3repE0EEENS1_30default_config_static_selectorELNS0_4arch9wavefront6targetE0EEEvT1_: ; @_ZN7rocprim17ROCPRIM_400000_NS6detail17trampoline_kernelINS0_14default_configENS1_27scan_by_key_config_selectorIj11FixedVectorIiLj1EEEEZZNS1_16scan_by_key_implILNS1_25lookback_scan_determinismE0ELb0ES3_N6thrust23THRUST_200600_302600_NS6detail15normal_iteratorINSB_10device_ptrIjEEEENSD_INSE_IS6_EEEESI_S6_NSB_4plusIvEENSB_8equal_toIvEES6_EE10hipError_tPvRmT2_T3_T4_T5_mT6_T7_P12ihipStream_tbENKUlT_T0_E_clISt17integral_constantIbLb1EES13_EEDaSY_SZ_EUlSY_E_NS1_11comp_targetILNS1_3genE8ELNS1_11target_archE1030ELNS1_3gpuE2ELNS1_3repE0EEENS1_30default_config_static_selectorELNS0_4arch9wavefront6targetE0EEEvT1_
; %bb.0:
	s_endpgm
	.section	.rodata,"a",@progbits
	.p2align	6, 0x0
	.amdhsa_kernel _ZN7rocprim17ROCPRIM_400000_NS6detail17trampoline_kernelINS0_14default_configENS1_27scan_by_key_config_selectorIj11FixedVectorIiLj1EEEEZZNS1_16scan_by_key_implILNS1_25lookback_scan_determinismE0ELb0ES3_N6thrust23THRUST_200600_302600_NS6detail15normal_iteratorINSB_10device_ptrIjEEEENSD_INSE_IS6_EEEESI_S6_NSB_4plusIvEENSB_8equal_toIvEES6_EE10hipError_tPvRmT2_T3_T4_T5_mT6_T7_P12ihipStream_tbENKUlT_T0_E_clISt17integral_constantIbLb1EES13_EEDaSY_SZ_EUlSY_E_NS1_11comp_targetILNS1_3genE8ELNS1_11target_archE1030ELNS1_3gpuE2ELNS1_3repE0EEENS1_30default_config_static_selectorELNS0_4arch9wavefront6targetE0EEEvT1_
		.amdhsa_group_segment_fixed_size 0
		.amdhsa_private_segment_fixed_size 0
		.amdhsa_kernarg_size 112
		.amdhsa_user_sgpr_count 6
		.amdhsa_user_sgpr_private_segment_buffer 1
		.amdhsa_user_sgpr_dispatch_ptr 0
		.amdhsa_user_sgpr_queue_ptr 0
		.amdhsa_user_sgpr_kernarg_segment_ptr 1
		.amdhsa_user_sgpr_dispatch_id 0
		.amdhsa_user_sgpr_flat_scratch_init 0
		.amdhsa_user_sgpr_private_segment_size 0
		.amdhsa_wavefront_size32 1
		.amdhsa_uses_dynamic_stack 0
		.amdhsa_system_sgpr_private_segment_wavefront_offset 0
		.amdhsa_system_sgpr_workgroup_id_x 1
		.amdhsa_system_sgpr_workgroup_id_y 0
		.amdhsa_system_sgpr_workgroup_id_z 0
		.amdhsa_system_sgpr_workgroup_info 0
		.amdhsa_system_vgpr_workitem_id 0
		.amdhsa_next_free_vgpr 1
		.amdhsa_next_free_sgpr 1
		.amdhsa_reserve_vcc 0
		.amdhsa_reserve_flat_scratch 0
		.amdhsa_float_round_mode_32 0
		.amdhsa_float_round_mode_16_64 0
		.amdhsa_float_denorm_mode_32 3
		.amdhsa_float_denorm_mode_16_64 3
		.amdhsa_dx10_clamp 1
		.amdhsa_ieee_mode 1
		.amdhsa_fp16_overflow 0
		.amdhsa_workgroup_processor_mode 1
		.amdhsa_memory_ordered 1
		.amdhsa_forward_progress 1
		.amdhsa_shared_vgpr_count 0
		.amdhsa_exception_fp_ieee_invalid_op 0
		.amdhsa_exception_fp_denorm_src 0
		.amdhsa_exception_fp_ieee_div_zero 0
		.amdhsa_exception_fp_ieee_overflow 0
		.amdhsa_exception_fp_ieee_underflow 0
		.amdhsa_exception_fp_ieee_inexact 0
		.amdhsa_exception_int_div_zero 0
	.end_amdhsa_kernel
	.section	.text._ZN7rocprim17ROCPRIM_400000_NS6detail17trampoline_kernelINS0_14default_configENS1_27scan_by_key_config_selectorIj11FixedVectorIiLj1EEEEZZNS1_16scan_by_key_implILNS1_25lookback_scan_determinismE0ELb0ES3_N6thrust23THRUST_200600_302600_NS6detail15normal_iteratorINSB_10device_ptrIjEEEENSD_INSE_IS6_EEEESI_S6_NSB_4plusIvEENSB_8equal_toIvEES6_EE10hipError_tPvRmT2_T3_T4_T5_mT6_T7_P12ihipStream_tbENKUlT_T0_E_clISt17integral_constantIbLb1EES13_EEDaSY_SZ_EUlSY_E_NS1_11comp_targetILNS1_3genE8ELNS1_11target_archE1030ELNS1_3gpuE2ELNS1_3repE0EEENS1_30default_config_static_selectorELNS0_4arch9wavefront6targetE0EEEvT1_,"axG",@progbits,_ZN7rocprim17ROCPRIM_400000_NS6detail17trampoline_kernelINS0_14default_configENS1_27scan_by_key_config_selectorIj11FixedVectorIiLj1EEEEZZNS1_16scan_by_key_implILNS1_25lookback_scan_determinismE0ELb0ES3_N6thrust23THRUST_200600_302600_NS6detail15normal_iteratorINSB_10device_ptrIjEEEENSD_INSE_IS6_EEEESI_S6_NSB_4plusIvEENSB_8equal_toIvEES6_EE10hipError_tPvRmT2_T3_T4_T5_mT6_T7_P12ihipStream_tbENKUlT_T0_E_clISt17integral_constantIbLb1EES13_EEDaSY_SZ_EUlSY_E_NS1_11comp_targetILNS1_3genE8ELNS1_11target_archE1030ELNS1_3gpuE2ELNS1_3repE0EEENS1_30default_config_static_selectorELNS0_4arch9wavefront6targetE0EEEvT1_,comdat
.Lfunc_end1888:
	.size	_ZN7rocprim17ROCPRIM_400000_NS6detail17trampoline_kernelINS0_14default_configENS1_27scan_by_key_config_selectorIj11FixedVectorIiLj1EEEEZZNS1_16scan_by_key_implILNS1_25lookback_scan_determinismE0ELb0ES3_N6thrust23THRUST_200600_302600_NS6detail15normal_iteratorINSB_10device_ptrIjEEEENSD_INSE_IS6_EEEESI_S6_NSB_4plusIvEENSB_8equal_toIvEES6_EE10hipError_tPvRmT2_T3_T4_T5_mT6_T7_P12ihipStream_tbENKUlT_T0_E_clISt17integral_constantIbLb1EES13_EEDaSY_SZ_EUlSY_E_NS1_11comp_targetILNS1_3genE8ELNS1_11target_archE1030ELNS1_3gpuE2ELNS1_3repE0EEENS1_30default_config_static_selectorELNS0_4arch9wavefront6targetE0EEEvT1_, .Lfunc_end1888-_ZN7rocprim17ROCPRIM_400000_NS6detail17trampoline_kernelINS0_14default_configENS1_27scan_by_key_config_selectorIj11FixedVectorIiLj1EEEEZZNS1_16scan_by_key_implILNS1_25lookback_scan_determinismE0ELb0ES3_N6thrust23THRUST_200600_302600_NS6detail15normal_iteratorINSB_10device_ptrIjEEEENSD_INSE_IS6_EEEESI_S6_NSB_4plusIvEENSB_8equal_toIvEES6_EE10hipError_tPvRmT2_T3_T4_T5_mT6_T7_P12ihipStream_tbENKUlT_T0_E_clISt17integral_constantIbLb1EES13_EEDaSY_SZ_EUlSY_E_NS1_11comp_targetILNS1_3genE8ELNS1_11target_archE1030ELNS1_3gpuE2ELNS1_3repE0EEENS1_30default_config_static_selectorELNS0_4arch9wavefront6targetE0EEEvT1_
                                        ; -- End function
	.set _ZN7rocprim17ROCPRIM_400000_NS6detail17trampoline_kernelINS0_14default_configENS1_27scan_by_key_config_selectorIj11FixedVectorIiLj1EEEEZZNS1_16scan_by_key_implILNS1_25lookback_scan_determinismE0ELb0ES3_N6thrust23THRUST_200600_302600_NS6detail15normal_iteratorINSB_10device_ptrIjEEEENSD_INSE_IS6_EEEESI_S6_NSB_4plusIvEENSB_8equal_toIvEES6_EE10hipError_tPvRmT2_T3_T4_T5_mT6_T7_P12ihipStream_tbENKUlT_T0_E_clISt17integral_constantIbLb1EES13_EEDaSY_SZ_EUlSY_E_NS1_11comp_targetILNS1_3genE8ELNS1_11target_archE1030ELNS1_3gpuE2ELNS1_3repE0EEENS1_30default_config_static_selectorELNS0_4arch9wavefront6targetE0EEEvT1_.num_vgpr, 0
	.set _ZN7rocprim17ROCPRIM_400000_NS6detail17trampoline_kernelINS0_14default_configENS1_27scan_by_key_config_selectorIj11FixedVectorIiLj1EEEEZZNS1_16scan_by_key_implILNS1_25lookback_scan_determinismE0ELb0ES3_N6thrust23THRUST_200600_302600_NS6detail15normal_iteratorINSB_10device_ptrIjEEEENSD_INSE_IS6_EEEESI_S6_NSB_4plusIvEENSB_8equal_toIvEES6_EE10hipError_tPvRmT2_T3_T4_T5_mT6_T7_P12ihipStream_tbENKUlT_T0_E_clISt17integral_constantIbLb1EES13_EEDaSY_SZ_EUlSY_E_NS1_11comp_targetILNS1_3genE8ELNS1_11target_archE1030ELNS1_3gpuE2ELNS1_3repE0EEENS1_30default_config_static_selectorELNS0_4arch9wavefront6targetE0EEEvT1_.num_agpr, 0
	.set _ZN7rocprim17ROCPRIM_400000_NS6detail17trampoline_kernelINS0_14default_configENS1_27scan_by_key_config_selectorIj11FixedVectorIiLj1EEEEZZNS1_16scan_by_key_implILNS1_25lookback_scan_determinismE0ELb0ES3_N6thrust23THRUST_200600_302600_NS6detail15normal_iteratorINSB_10device_ptrIjEEEENSD_INSE_IS6_EEEESI_S6_NSB_4plusIvEENSB_8equal_toIvEES6_EE10hipError_tPvRmT2_T3_T4_T5_mT6_T7_P12ihipStream_tbENKUlT_T0_E_clISt17integral_constantIbLb1EES13_EEDaSY_SZ_EUlSY_E_NS1_11comp_targetILNS1_3genE8ELNS1_11target_archE1030ELNS1_3gpuE2ELNS1_3repE0EEENS1_30default_config_static_selectorELNS0_4arch9wavefront6targetE0EEEvT1_.numbered_sgpr, 0
	.set _ZN7rocprim17ROCPRIM_400000_NS6detail17trampoline_kernelINS0_14default_configENS1_27scan_by_key_config_selectorIj11FixedVectorIiLj1EEEEZZNS1_16scan_by_key_implILNS1_25lookback_scan_determinismE0ELb0ES3_N6thrust23THRUST_200600_302600_NS6detail15normal_iteratorINSB_10device_ptrIjEEEENSD_INSE_IS6_EEEESI_S6_NSB_4plusIvEENSB_8equal_toIvEES6_EE10hipError_tPvRmT2_T3_T4_T5_mT6_T7_P12ihipStream_tbENKUlT_T0_E_clISt17integral_constantIbLb1EES13_EEDaSY_SZ_EUlSY_E_NS1_11comp_targetILNS1_3genE8ELNS1_11target_archE1030ELNS1_3gpuE2ELNS1_3repE0EEENS1_30default_config_static_selectorELNS0_4arch9wavefront6targetE0EEEvT1_.num_named_barrier, 0
	.set _ZN7rocprim17ROCPRIM_400000_NS6detail17trampoline_kernelINS0_14default_configENS1_27scan_by_key_config_selectorIj11FixedVectorIiLj1EEEEZZNS1_16scan_by_key_implILNS1_25lookback_scan_determinismE0ELb0ES3_N6thrust23THRUST_200600_302600_NS6detail15normal_iteratorINSB_10device_ptrIjEEEENSD_INSE_IS6_EEEESI_S6_NSB_4plusIvEENSB_8equal_toIvEES6_EE10hipError_tPvRmT2_T3_T4_T5_mT6_T7_P12ihipStream_tbENKUlT_T0_E_clISt17integral_constantIbLb1EES13_EEDaSY_SZ_EUlSY_E_NS1_11comp_targetILNS1_3genE8ELNS1_11target_archE1030ELNS1_3gpuE2ELNS1_3repE0EEENS1_30default_config_static_selectorELNS0_4arch9wavefront6targetE0EEEvT1_.private_seg_size, 0
	.set _ZN7rocprim17ROCPRIM_400000_NS6detail17trampoline_kernelINS0_14default_configENS1_27scan_by_key_config_selectorIj11FixedVectorIiLj1EEEEZZNS1_16scan_by_key_implILNS1_25lookback_scan_determinismE0ELb0ES3_N6thrust23THRUST_200600_302600_NS6detail15normal_iteratorINSB_10device_ptrIjEEEENSD_INSE_IS6_EEEESI_S6_NSB_4plusIvEENSB_8equal_toIvEES6_EE10hipError_tPvRmT2_T3_T4_T5_mT6_T7_P12ihipStream_tbENKUlT_T0_E_clISt17integral_constantIbLb1EES13_EEDaSY_SZ_EUlSY_E_NS1_11comp_targetILNS1_3genE8ELNS1_11target_archE1030ELNS1_3gpuE2ELNS1_3repE0EEENS1_30default_config_static_selectorELNS0_4arch9wavefront6targetE0EEEvT1_.uses_vcc, 0
	.set _ZN7rocprim17ROCPRIM_400000_NS6detail17trampoline_kernelINS0_14default_configENS1_27scan_by_key_config_selectorIj11FixedVectorIiLj1EEEEZZNS1_16scan_by_key_implILNS1_25lookback_scan_determinismE0ELb0ES3_N6thrust23THRUST_200600_302600_NS6detail15normal_iteratorINSB_10device_ptrIjEEEENSD_INSE_IS6_EEEESI_S6_NSB_4plusIvEENSB_8equal_toIvEES6_EE10hipError_tPvRmT2_T3_T4_T5_mT6_T7_P12ihipStream_tbENKUlT_T0_E_clISt17integral_constantIbLb1EES13_EEDaSY_SZ_EUlSY_E_NS1_11comp_targetILNS1_3genE8ELNS1_11target_archE1030ELNS1_3gpuE2ELNS1_3repE0EEENS1_30default_config_static_selectorELNS0_4arch9wavefront6targetE0EEEvT1_.uses_flat_scratch, 0
	.set _ZN7rocprim17ROCPRIM_400000_NS6detail17trampoline_kernelINS0_14default_configENS1_27scan_by_key_config_selectorIj11FixedVectorIiLj1EEEEZZNS1_16scan_by_key_implILNS1_25lookback_scan_determinismE0ELb0ES3_N6thrust23THRUST_200600_302600_NS6detail15normal_iteratorINSB_10device_ptrIjEEEENSD_INSE_IS6_EEEESI_S6_NSB_4plusIvEENSB_8equal_toIvEES6_EE10hipError_tPvRmT2_T3_T4_T5_mT6_T7_P12ihipStream_tbENKUlT_T0_E_clISt17integral_constantIbLb1EES13_EEDaSY_SZ_EUlSY_E_NS1_11comp_targetILNS1_3genE8ELNS1_11target_archE1030ELNS1_3gpuE2ELNS1_3repE0EEENS1_30default_config_static_selectorELNS0_4arch9wavefront6targetE0EEEvT1_.has_dyn_sized_stack, 0
	.set _ZN7rocprim17ROCPRIM_400000_NS6detail17trampoline_kernelINS0_14default_configENS1_27scan_by_key_config_selectorIj11FixedVectorIiLj1EEEEZZNS1_16scan_by_key_implILNS1_25lookback_scan_determinismE0ELb0ES3_N6thrust23THRUST_200600_302600_NS6detail15normal_iteratorINSB_10device_ptrIjEEEENSD_INSE_IS6_EEEESI_S6_NSB_4plusIvEENSB_8equal_toIvEES6_EE10hipError_tPvRmT2_T3_T4_T5_mT6_T7_P12ihipStream_tbENKUlT_T0_E_clISt17integral_constantIbLb1EES13_EEDaSY_SZ_EUlSY_E_NS1_11comp_targetILNS1_3genE8ELNS1_11target_archE1030ELNS1_3gpuE2ELNS1_3repE0EEENS1_30default_config_static_selectorELNS0_4arch9wavefront6targetE0EEEvT1_.has_recursion, 0
	.set _ZN7rocprim17ROCPRIM_400000_NS6detail17trampoline_kernelINS0_14default_configENS1_27scan_by_key_config_selectorIj11FixedVectorIiLj1EEEEZZNS1_16scan_by_key_implILNS1_25lookback_scan_determinismE0ELb0ES3_N6thrust23THRUST_200600_302600_NS6detail15normal_iteratorINSB_10device_ptrIjEEEENSD_INSE_IS6_EEEESI_S6_NSB_4plusIvEENSB_8equal_toIvEES6_EE10hipError_tPvRmT2_T3_T4_T5_mT6_T7_P12ihipStream_tbENKUlT_T0_E_clISt17integral_constantIbLb1EES13_EEDaSY_SZ_EUlSY_E_NS1_11comp_targetILNS1_3genE8ELNS1_11target_archE1030ELNS1_3gpuE2ELNS1_3repE0EEENS1_30default_config_static_selectorELNS0_4arch9wavefront6targetE0EEEvT1_.has_indirect_call, 0
	.section	.AMDGPU.csdata,"",@progbits
; Kernel info:
; codeLenInByte = 4
; TotalNumSgprs: 0
; NumVgprs: 0
; ScratchSize: 0
; MemoryBound: 0
; FloatMode: 240
; IeeeMode: 1
; LDSByteSize: 0 bytes/workgroup (compile time only)
; SGPRBlocks: 0
; VGPRBlocks: 0
; NumSGPRsForWavesPerEU: 1
; NumVGPRsForWavesPerEU: 1
; Occupancy: 16
; WaveLimiterHint : 0
; COMPUTE_PGM_RSRC2:SCRATCH_EN: 0
; COMPUTE_PGM_RSRC2:USER_SGPR: 6
; COMPUTE_PGM_RSRC2:TRAP_HANDLER: 0
; COMPUTE_PGM_RSRC2:TGID_X_EN: 1
; COMPUTE_PGM_RSRC2:TGID_Y_EN: 0
; COMPUTE_PGM_RSRC2:TGID_Z_EN: 0
; COMPUTE_PGM_RSRC2:TIDIG_COMP_CNT: 0
	.section	.text._ZN7rocprim17ROCPRIM_400000_NS6detail30init_device_scan_by_key_kernelINS1_19lookback_scan_stateINS0_5tupleIJ11FixedVectorIiLj1EEbEEELb1ELb1EEEN6thrust23THRUST_200600_302600_NS6detail15normal_iteratorINSA_10device_ptrIjEEEEjNS1_16block_id_wrapperIjLb0EEEEEvT_jjPNSI_10value_typeET0_PNSt15iterator_traitsISL_E10value_typeEmT1_T2_,"axG",@progbits,_ZN7rocprim17ROCPRIM_400000_NS6detail30init_device_scan_by_key_kernelINS1_19lookback_scan_stateINS0_5tupleIJ11FixedVectorIiLj1EEbEEELb1ELb1EEEN6thrust23THRUST_200600_302600_NS6detail15normal_iteratorINSA_10device_ptrIjEEEEjNS1_16block_id_wrapperIjLb0EEEEEvT_jjPNSI_10value_typeET0_PNSt15iterator_traitsISL_E10value_typeEmT1_T2_,comdat
	.protected	_ZN7rocprim17ROCPRIM_400000_NS6detail30init_device_scan_by_key_kernelINS1_19lookback_scan_stateINS0_5tupleIJ11FixedVectorIiLj1EEbEEELb1ELb1EEEN6thrust23THRUST_200600_302600_NS6detail15normal_iteratorINSA_10device_ptrIjEEEEjNS1_16block_id_wrapperIjLb0EEEEEvT_jjPNSI_10value_typeET0_PNSt15iterator_traitsISL_E10value_typeEmT1_T2_ ; -- Begin function _ZN7rocprim17ROCPRIM_400000_NS6detail30init_device_scan_by_key_kernelINS1_19lookback_scan_stateINS0_5tupleIJ11FixedVectorIiLj1EEbEEELb1ELb1EEEN6thrust23THRUST_200600_302600_NS6detail15normal_iteratorINSA_10device_ptrIjEEEEjNS1_16block_id_wrapperIjLb0EEEEEvT_jjPNSI_10value_typeET0_PNSt15iterator_traitsISL_E10value_typeEmT1_T2_
	.globl	_ZN7rocprim17ROCPRIM_400000_NS6detail30init_device_scan_by_key_kernelINS1_19lookback_scan_stateINS0_5tupleIJ11FixedVectorIiLj1EEbEEELb1ELb1EEEN6thrust23THRUST_200600_302600_NS6detail15normal_iteratorINSA_10device_ptrIjEEEEjNS1_16block_id_wrapperIjLb0EEEEEvT_jjPNSI_10value_typeET0_PNSt15iterator_traitsISL_E10value_typeEmT1_T2_
	.p2align	8
	.type	_ZN7rocprim17ROCPRIM_400000_NS6detail30init_device_scan_by_key_kernelINS1_19lookback_scan_stateINS0_5tupleIJ11FixedVectorIiLj1EEbEEELb1ELb1EEEN6thrust23THRUST_200600_302600_NS6detail15normal_iteratorINSA_10device_ptrIjEEEEjNS1_16block_id_wrapperIjLb0EEEEEvT_jjPNSI_10value_typeET0_PNSt15iterator_traitsISL_E10value_typeEmT1_T2_,@function
_ZN7rocprim17ROCPRIM_400000_NS6detail30init_device_scan_by_key_kernelINS1_19lookback_scan_stateINS0_5tupleIJ11FixedVectorIiLj1EEbEEELb1ELb1EEEN6thrust23THRUST_200600_302600_NS6detail15normal_iteratorINSA_10device_ptrIjEEEEjNS1_16block_id_wrapperIjLb0EEEEEvT_jjPNSI_10value_typeET0_PNSt15iterator_traitsISL_E10value_typeEmT1_T2_: ; @_ZN7rocprim17ROCPRIM_400000_NS6detail30init_device_scan_by_key_kernelINS1_19lookback_scan_stateINS0_5tupleIJ11FixedVectorIiLj1EEbEEELb1ELb1EEEN6thrust23THRUST_200600_302600_NS6detail15normal_iteratorINSA_10device_ptrIjEEEEjNS1_16block_id_wrapperIjLb0EEEEEvT_jjPNSI_10value_typeET0_PNSt15iterator_traitsISL_E10value_typeEmT1_T2_
; %bb.0:
	s_clause 0x2
	s_load_dword s0, s[4:5], 0x44
	s_load_dwordx8 s[8:15], s[4:5], 0x0
	s_load_dword s7, s[4:5], 0x38
	s_waitcnt lgkmcnt(0)
	s_and_b32 s16, s0, 0xffff
	s_cmp_eq_u64 s[12:13], 0
	v_mad_u64_u32 v[4:5], null, s6, s16, v[0:1]
	s_cbranch_scc1 .LBB1889_10
; %bb.1:
	s_cmp_lt_u32 s11, s10
	s_mov_b32 s1, 0
	s_cselect_b32 s0, s11, 0
	s_mov_b32 s2, exec_lo
	v_cmpx_eq_u32_e64 s0, v4
	s_cbranch_execz .LBB1889_9
; %bb.2:
	s_add_i32 s0, s11, 32
	v_mov_b32_e32 v6, 0
	s_lshl_b64 s[0:1], s[0:1], 4
	s_mov_b32 s3, exec_lo
	s_add_u32 s0, s8, s0
	s_addc_u32 s1, s9, s1
	v_mov_b32_e32 v0, s0
	v_mov_b32_e32 v1, s1
	;;#ASMSTART
	global_load_dwordx4 v[0:3], v[0:1] off glc dlc	
s_waitcnt vmcnt(0)
	;;#ASMEND
	v_and_b32_e32 v5, 0xff, v2
	v_cmpx_eq_u64_e32 0, v[5:6]
	s_cbranch_execz .LBB1889_8
; %bb.3:
	v_mov_b32_e32 v8, s1
	v_mov_b32_e32 v7, s0
	s_mov_b32 s1, 1
	s_mov_b32 s0, 0
	.p2align	6
.LBB1889_4:                             ; =>This Loop Header: Depth=1
                                        ;     Child Loop BB1889_5 Depth 2
	s_mov_b32 s6, s1
.LBB1889_5:                             ;   Parent Loop BB1889_4 Depth=1
                                        ; =>  This Inner Loop Header: Depth=2
	s_add_i32 s6, s6, -1
	s_sleep 1
	s_cmp_eq_u32 s6, 0
	s_cbranch_scc0 .LBB1889_5
; %bb.6:                                ;   in Loop: Header=BB1889_4 Depth=1
	;;#ASMSTART
	global_load_dwordx4 v[0:3], v[7:8] off glc dlc	
s_waitcnt vmcnt(0)
	;;#ASMEND
	v_and_b32_e32 v5, 0xff, v2
	s_cmp_lt_u32 s1, 32
	s_cselect_b32 s6, -1, 0
	v_cmp_ne_u64_e32 vcc_lo, 0, v[5:6]
	s_cmp_lg_u32 s6, 0
	s_addc_u32 s1, s1, 0
	s_or_b32 s0, vcc_lo, s0
	s_andn2_b32 exec_lo, exec_lo, s0
	s_cbranch_execnz .LBB1889_4
; %bb.7:
	s_or_b32 exec_lo, exec_lo, s0
.LBB1889_8:
	s_or_b32 exec_lo, exec_lo, s3
	v_mov_b32_e32 v2, 0
	global_store_dword v2, v0, s[12:13]
	global_store_byte v2, v1, s[12:13] offset:4
.LBB1889_9:
	s_or_b32 exec_lo, exec_lo, s2
.LBB1889_10:
	s_mov_b32 s0, exec_lo
	v_cmpx_gt_u32_e64 s10, v4
	s_cbranch_execz .LBB1889_12
; %bb.11:
	v_add_nc_u32_e32 v0, 32, v4
	v_mov_b32_e32 v1, 0
	v_lshlrev_b64 v[5:6], 4, v[0:1]
	v_mov_b32_e32 v0, v1
	v_mov_b32_e32 v2, v1
	;; [unrolled: 1-line block ×3, first 2 shown]
	v_add_co_u32 v5, vcc_lo, s8, v5
	v_add_co_ci_u32_e64 v6, null, s9, v6, vcc_lo
	global_store_dwordx4 v[5:6], v[0:3], off
.LBB1889_12:
	s_or_b32 exec_lo, exec_lo, s0
	v_mov_b32_e32 v5, 0
	s_mov_b32 s0, exec_lo
	v_cmpx_gt_u32_e32 32, v4
	s_cbranch_execz .LBB1889_14
; %bb.13:
	v_lshlrev_b64 v[6:7], 4, v[4:5]
	v_mov_b32_e32 v2, 0xff
	v_mov_b32_e32 v0, v5
	;; [unrolled: 1-line block ×4, first 2 shown]
	v_add_co_u32 v6, vcc_lo, s8, v6
	v_add_co_ci_u32_e64 v7, null, s9, v7, vcc_lo
	global_store_dwordx4 v[6:7], v[0:3], off
.LBB1889_14:
	s_or_b32 exec_lo, exec_lo, s0
	s_load_dwordx2 s[2:3], s[4:5], 0x28
	s_mov_b32 s0, exec_lo
	s_waitcnt lgkmcnt(0)
	v_cmpx_gt_u64_e64 s[2:3], v[4:5]
	s_cbranch_execz .LBB1889_17
; %bb.15:
	s_clause 0x1
	s_load_dword s6, s[4:5], 0x30
	s_load_dwordx2 s[8:9], s[4:5], 0x20
	s_mov_b32 s1, 0
	v_lshlrev_b64 v[2:3], 2, v[4:5]
	s_mul_i32 s4, s7, s16
	s_waitcnt lgkmcnt(0)
	v_mad_u64_u32 v[0:1], null, s6, v4, 0
	s_add_i32 s0, s6, -1
	s_mul_hi_u32 s7, s6, s4
	s_lshl_b64 s[10:11], s[0:1], 2
	s_mul_i32 s6, s6, s4
	s_add_u32 s0, s14, s10
	s_addc_u32 s5, s15, s11
	v_lshlrev_b64 v[0:1], 2, v[0:1]
	s_lshl_b64 s[6:7], s[6:7], 2
	v_add_co_u32 v0, vcc_lo, s0, v0
	v_add_co_ci_u32_e64 v1, null, s5, v1, vcc_lo
	v_add_co_u32 v2, vcc_lo, s8, v2
	v_add_co_ci_u32_e64 v3, null, s9, v3, vcc_lo
	s_mov_b32 s5, s1
	s_lshl_b64 s[8:9], s[4:5], 2
	.p2align	6
.LBB1889_16:                            ; =>This Inner Loop Header: Depth=1
	global_load_dword v6, v[0:1], off
	v_add_co_u32 v4, vcc_lo, v4, s4
	v_add_co_ci_u32_e64 v5, null, 0, v5, vcc_lo
	v_add_co_u32 v0, vcc_lo, v0, s6
	v_add_co_ci_u32_e64 v1, null, s7, v1, vcc_lo
	v_cmp_le_u64_e32 vcc_lo, s[2:3], v[4:5]
	s_or_b32 s1, vcc_lo, s1
	s_waitcnt vmcnt(0)
	global_store_dword v[2:3], v6, off
	v_add_co_u32 v2, s0, v2, s8
	v_add_co_ci_u32_e64 v3, null, s9, v3, s0
	s_andn2_b32 exec_lo, exec_lo, s1
	s_cbranch_execnz .LBB1889_16
.LBB1889_17:
	s_endpgm
	.section	.rodata,"a",@progbits
	.p2align	6, 0x0
	.amdhsa_kernel _ZN7rocprim17ROCPRIM_400000_NS6detail30init_device_scan_by_key_kernelINS1_19lookback_scan_stateINS0_5tupleIJ11FixedVectorIiLj1EEbEEELb1ELb1EEEN6thrust23THRUST_200600_302600_NS6detail15normal_iteratorINSA_10device_ptrIjEEEEjNS1_16block_id_wrapperIjLb0EEEEEvT_jjPNSI_10value_typeET0_PNSt15iterator_traitsISL_E10value_typeEmT1_T2_
		.amdhsa_group_segment_fixed_size 0
		.amdhsa_private_segment_fixed_size 0
		.amdhsa_kernarg_size 312
		.amdhsa_user_sgpr_count 6
		.amdhsa_user_sgpr_private_segment_buffer 1
		.amdhsa_user_sgpr_dispatch_ptr 0
		.amdhsa_user_sgpr_queue_ptr 0
		.amdhsa_user_sgpr_kernarg_segment_ptr 1
		.amdhsa_user_sgpr_dispatch_id 0
		.amdhsa_user_sgpr_flat_scratch_init 0
		.amdhsa_user_sgpr_private_segment_size 0
		.amdhsa_wavefront_size32 1
		.amdhsa_uses_dynamic_stack 0
		.amdhsa_system_sgpr_private_segment_wavefront_offset 0
		.amdhsa_system_sgpr_workgroup_id_x 1
		.amdhsa_system_sgpr_workgroup_id_y 0
		.amdhsa_system_sgpr_workgroup_id_z 0
		.amdhsa_system_sgpr_workgroup_info 0
		.amdhsa_system_vgpr_workitem_id 0
		.amdhsa_next_free_vgpr 9
		.amdhsa_next_free_sgpr 17
		.amdhsa_reserve_vcc 1
		.amdhsa_reserve_flat_scratch 0
		.amdhsa_float_round_mode_32 0
		.amdhsa_float_round_mode_16_64 0
		.amdhsa_float_denorm_mode_32 3
		.amdhsa_float_denorm_mode_16_64 3
		.amdhsa_dx10_clamp 1
		.amdhsa_ieee_mode 1
		.amdhsa_fp16_overflow 0
		.amdhsa_workgroup_processor_mode 1
		.amdhsa_memory_ordered 1
		.amdhsa_forward_progress 1
		.amdhsa_shared_vgpr_count 0
		.amdhsa_exception_fp_ieee_invalid_op 0
		.amdhsa_exception_fp_denorm_src 0
		.amdhsa_exception_fp_ieee_div_zero 0
		.amdhsa_exception_fp_ieee_overflow 0
		.amdhsa_exception_fp_ieee_underflow 0
		.amdhsa_exception_fp_ieee_inexact 0
		.amdhsa_exception_int_div_zero 0
	.end_amdhsa_kernel
	.section	.text._ZN7rocprim17ROCPRIM_400000_NS6detail30init_device_scan_by_key_kernelINS1_19lookback_scan_stateINS0_5tupleIJ11FixedVectorIiLj1EEbEEELb1ELb1EEEN6thrust23THRUST_200600_302600_NS6detail15normal_iteratorINSA_10device_ptrIjEEEEjNS1_16block_id_wrapperIjLb0EEEEEvT_jjPNSI_10value_typeET0_PNSt15iterator_traitsISL_E10value_typeEmT1_T2_,"axG",@progbits,_ZN7rocprim17ROCPRIM_400000_NS6detail30init_device_scan_by_key_kernelINS1_19lookback_scan_stateINS0_5tupleIJ11FixedVectorIiLj1EEbEEELb1ELb1EEEN6thrust23THRUST_200600_302600_NS6detail15normal_iteratorINSA_10device_ptrIjEEEEjNS1_16block_id_wrapperIjLb0EEEEEvT_jjPNSI_10value_typeET0_PNSt15iterator_traitsISL_E10value_typeEmT1_T2_,comdat
.Lfunc_end1889:
	.size	_ZN7rocprim17ROCPRIM_400000_NS6detail30init_device_scan_by_key_kernelINS1_19lookback_scan_stateINS0_5tupleIJ11FixedVectorIiLj1EEbEEELb1ELb1EEEN6thrust23THRUST_200600_302600_NS6detail15normal_iteratorINSA_10device_ptrIjEEEEjNS1_16block_id_wrapperIjLb0EEEEEvT_jjPNSI_10value_typeET0_PNSt15iterator_traitsISL_E10value_typeEmT1_T2_, .Lfunc_end1889-_ZN7rocprim17ROCPRIM_400000_NS6detail30init_device_scan_by_key_kernelINS1_19lookback_scan_stateINS0_5tupleIJ11FixedVectorIiLj1EEbEEELb1ELb1EEEN6thrust23THRUST_200600_302600_NS6detail15normal_iteratorINSA_10device_ptrIjEEEEjNS1_16block_id_wrapperIjLb0EEEEEvT_jjPNSI_10value_typeET0_PNSt15iterator_traitsISL_E10value_typeEmT1_T2_
                                        ; -- End function
	.set _ZN7rocprim17ROCPRIM_400000_NS6detail30init_device_scan_by_key_kernelINS1_19lookback_scan_stateINS0_5tupleIJ11FixedVectorIiLj1EEbEEELb1ELb1EEEN6thrust23THRUST_200600_302600_NS6detail15normal_iteratorINSA_10device_ptrIjEEEEjNS1_16block_id_wrapperIjLb0EEEEEvT_jjPNSI_10value_typeET0_PNSt15iterator_traitsISL_E10value_typeEmT1_T2_.num_vgpr, 9
	.set _ZN7rocprim17ROCPRIM_400000_NS6detail30init_device_scan_by_key_kernelINS1_19lookback_scan_stateINS0_5tupleIJ11FixedVectorIiLj1EEbEEELb1ELb1EEEN6thrust23THRUST_200600_302600_NS6detail15normal_iteratorINSA_10device_ptrIjEEEEjNS1_16block_id_wrapperIjLb0EEEEEvT_jjPNSI_10value_typeET0_PNSt15iterator_traitsISL_E10value_typeEmT1_T2_.num_agpr, 0
	.set _ZN7rocprim17ROCPRIM_400000_NS6detail30init_device_scan_by_key_kernelINS1_19lookback_scan_stateINS0_5tupleIJ11FixedVectorIiLj1EEbEEELb1ELb1EEEN6thrust23THRUST_200600_302600_NS6detail15normal_iteratorINSA_10device_ptrIjEEEEjNS1_16block_id_wrapperIjLb0EEEEEvT_jjPNSI_10value_typeET0_PNSt15iterator_traitsISL_E10value_typeEmT1_T2_.numbered_sgpr, 17
	.set _ZN7rocprim17ROCPRIM_400000_NS6detail30init_device_scan_by_key_kernelINS1_19lookback_scan_stateINS0_5tupleIJ11FixedVectorIiLj1EEbEEELb1ELb1EEEN6thrust23THRUST_200600_302600_NS6detail15normal_iteratorINSA_10device_ptrIjEEEEjNS1_16block_id_wrapperIjLb0EEEEEvT_jjPNSI_10value_typeET0_PNSt15iterator_traitsISL_E10value_typeEmT1_T2_.num_named_barrier, 0
	.set _ZN7rocprim17ROCPRIM_400000_NS6detail30init_device_scan_by_key_kernelINS1_19lookback_scan_stateINS0_5tupleIJ11FixedVectorIiLj1EEbEEELb1ELb1EEEN6thrust23THRUST_200600_302600_NS6detail15normal_iteratorINSA_10device_ptrIjEEEEjNS1_16block_id_wrapperIjLb0EEEEEvT_jjPNSI_10value_typeET0_PNSt15iterator_traitsISL_E10value_typeEmT1_T2_.private_seg_size, 0
	.set _ZN7rocprim17ROCPRIM_400000_NS6detail30init_device_scan_by_key_kernelINS1_19lookback_scan_stateINS0_5tupleIJ11FixedVectorIiLj1EEbEEELb1ELb1EEEN6thrust23THRUST_200600_302600_NS6detail15normal_iteratorINSA_10device_ptrIjEEEEjNS1_16block_id_wrapperIjLb0EEEEEvT_jjPNSI_10value_typeET0_PNSt15iterator_traitsISL_E10value_typeEmT1_T2_.uses_vcc, 1
	.set _ZN7rocprim17ROCPRIM_400000_NS6detail30init_device_scan_by_key_kernelINS1_19lookback_scan_stateINS0_5tupleIJ11FixedVectorIiLj1EEbEEELb1ELb1EEEN6thrust23THRUST_200600_302600_NS6detail15normal_iteratorINSA_10device_ptrIjEEEEjNS1_16block_id_wrapperIjLb0EEEEEvT_jjPNSI_10value_typeET0_PNSt15iterator_traitsISL_E10value_typeEmT1_T2_.uses_flat_scratch, 0
	.set _ZN7rocprim17ROCPRIM_400000_NS6detail30init_device_scan_by_key_kernelINS1_19lookback_scan_stateINS0_5tupleIJ11FixedVectorIiLj1EEbEEELb1ELb1EEEN6thrust23THRUST_200600_302600_NS6detail15normal_iteratorINSA_10device_ptrIjEEEEjNS1_16block_id_wrapperIjLb0EEEEEvT_jjPNSI_10value_typeET0_PNSt15iterator_traitsISL_E10value_typeEmT1_T2_.has_dyn_sized_stack, 0
	.set _ZN7rocprim17ROCPRIM_400000_NS6detail30init_device_scan_by_key_kernelINS1_19lookback_scan_stateINS0_5tupleIJ11FixedVectorIiLj1EEbEEELb1ELb1EEEN6thrust23THRUST_200600_302600_NS6detail15normal_iteratorINSA_10device_ptrIjEEEEjNS1_16block_id_wrapperIjLb0EEEEEvT_jjPNSI_10value_typeET0_PNSt15iterator_traitsISL_E10value_typeEmT1_T2_.has_recursion, 0
	.set _ZN7rocprim17ROCPRIM_400000_NS6detail30init_device_scan_by_key_kernelINS1_19lookback_scan_stateINS0_5tupleIJ11FixedVectorIiLj1EEbEEELb1ELb1EEEN6thrust23THRUST_200600_302600_NS6detail15normal_iteratorINSA_10device_ptrIjEEEEjNS1_16block_id_wrapperIjLb0EEEEEvT_jjPNSI_10value_typeET0_PNSt15iterator_traitsISL_E10value_typeEmT1_T2_.has_indirect_call, 0
	.section	.AMDGPU.csdata,"",@progbits
; Kernel info:
; codeLenInByte = 728
; TotalNumSgprs: 19
; NumVgprs: 9
; ScratchSize: 0
; MemoryBound: 0
; FloatMode: 240
; IeeeMode: 1
; LDSByteSize: 0 bytes/workgroup (compile time only)
; SGPRBlocks: 0
; VGPRBlocks: 1
; NumSGPRsForWavesPerEU: 19
; NumVGPRsForWavesPerEU: 9
; Occupancy: 16
; WaveLimiterHint : 0
; COMPUTE_PGM_RSRC2:SCRATCH_EN: 0
; COMPUTE_PGM_RSRC2:USER_SGPR: 6
; COMPUTE_PGM_RSRC2:TRAP_HANDLER: 0
; COMPUTE_PGM_RSRC2:TGID_X_EN: 1
; COMPUTE_PGM_RSRC2:TGID_Y_EN: 0
; COMPUTE_PGM_RSRC2:TGID_Z_EN: 0
; COMPUTE_PGM_RSRC2:TIDIG_COMP_CNT: 0
	.section	.text._ZN7rocprim17ROCPRIM_400000_NS6detail30init_device_scan_by_key_kernelINS1_19lookback_scan_stateINS0_5tupleIJ11FixedVectorIiLj1EEbEEELb1ELb1EEENS1_16block_id_wrapperIjLb0EEEEEvT_jjPNSB_10value_typeET0_,"axG",@progbits,_ZN7rocprim17ROCPRIM_400000_NS6detail30init_device_scan_by_key_kernelINS1_19lookback_scan_stateINS0_5tupleIJ11FixedVectorIiLj1EEbEEELb1ELb1EEENS1_16block_id_wrapperIjLb0EEEEEvT_jjPNSB_10value_typeET0_,comdat
	.protected	_ZN7rocprim17ROCPRIM_400000_NS6detail30init_device_scan_by_key_kernelINS1_19lookback_scan_stateINS0_5tupleIJ11FixedVectorIiLj1EEbEEELb1ELb1EEENS1_16block_id_wrapperIjLb0EEEEEvT_jjPNSB_10value_typeET0_ ; -- Begin function _ZN7rocprim17ROCPRIM_400000_NS6detail30init_device_scan_by_key_kernelINS1_19lookback_scan_stateINS0_5tupleIJ11FixedVectorIiLj1EEbEEELb1ELb1EEENS1_16block_id_wrapperIjLb0EEEEEvT_jjPNSB_10value_typeET0_
	.globl	_ZN7rocprim17ROCPRIM_400000_NS6detail30init_device_scan_by_key_kernelINS1_19lookback_scan_stateINS0_5tupleIJ11FixedVectorIiLj1EEbEEELb1ELb1EEENS1_16block_id_wrapperIjLb0EEEEEvT_jjPNSB_10value_typeET0_
	.p2align	8
	.type	_ZN7rocprim17ROCPRIM_400000_NS6detail30init_device_scan_by_key_kernelINS1_19lookback_scan_stateINS0_5tupleIJ11FixedVectorIiLj1EEbEEELb1ELb1EEENS1_16block_id_wrapperIjLb0EEEEEvT_jjPNSB_10value_typeET0_,@function
_ZN7rocprim17ROCPRIM_400000_NS6detail30init_device_scan_by_key_kernelINS1_19lookback_scan_stateINS0_5tupleIJ11FixedVectorIiLj1EEbEEELb1ELb1EEENS1_16block_id_wrapperIjLb0EEEEEvT_jjPNSB_10value_typeET0_: ; @_ZN7rocprim17ROCPRIM_400000_NS6detail30init_device_scan_by_key_kernelINS1_19lookback_scan_stateINS0_5tupleIJ11FixedVectorIiLj1EEbEEELb1ELb1EEENS1_16block_id_wrapperIjLb0EEEEEvT_jjPNSB_10value_typeET0_
; %bb.0:
	s_clause 0x2
	s_load_dword s7, s[4:5], 0x2c
	s_load_dwordx2 s[8:9], s[4:5], 0x10
	s_load_dwordx4 s[0:3], s[4:5], 0x0
	s_waitcnt lgkmcnt(0)
	s_and_b32 s4, s7, 0xffff
	s_cmp_eq_u64 s[8:9], 0
	v_mad_u64_u32 v[0:1], null, s6, s4, v[0:1]
	s_cbranch_scc1 .LBB1890_10
; %bb.1:
	s_cmp_lt_u32 s3, s2
	s_mov_b32 s5, 0
	s_cselect_b32 s4, s3, 0
	s_mov_b32 s6, exec_lo
	v_cmpx_eq_u32_e64 s4, v0
	s_cbranch_execz .LBB1890_9
; %bb.2:
	s_add_i32 s4, s3, 32
	v_mov_b32_e32 v5, 0
	s_lshl_b64 s[4:5], s[4:5], 4
	s_mov_b32 s3, exec_lo
	s_add_u32 s4, s0, s4
	s_addc_u32 s5, s1, s5
	v_mov_b32_e32 v1, s4
	v_mov_b32_e32 v2, s5
	;;#ASMSTART
	global_load_dwordx4 v[1:4], v[1:2] off glc dlc	
s_waitcnt vmcnt(0)
	;;#ASMEND
	v_and_b32_e32 v4, 0xff, v3
	v_cmpx_eq_u64_e32 0, v[4:5]
	s_cbranch_execz .LBB1890_8
; %bb.3:
	v_mov_b32_e32 v7, s5
	v_mov_b32_e32 v6, s4
	s_mov_b32 s5, 1
	s_mov_b32 s4, 0
	.p2align	6
.LBB1890_4:                             ; =>This Loop Header: Depth=1
                                        ;     Child Loop BB1890_5 Depth 2
	s_mov_b32 s7, s5
.LBB1890_5:                             ;   Parent Loop BB1890_4 Depth=1
                                        ; =>  This Inner Loop Header: Depth=2
	s_add_i32 s7, s7, -1
	s_sleep 1
	s_cmp_eq_u32 s7, 0
	s_cbranch_scc0 .LBB1890_5
; %bb.6:                                ;   in Loop: Header=BB1890_4 Depth=1
	;;#ASMSTART
	global_load_dwordx4 v[1:4], v[6:7] off glc dlc	
s_waitcnt vmcnt(0)
	;;#ASMEND
	v_and_b32_e32 v4, 0xff, v3
	s_cmp_lt_u32 s5, 32
	s_cselect_b32 s7, -1, 0
	s_cmp_lg_u32 s7, 0
	v_cmp_ne_u64_e32 vcc_lo, 0, v[4:5]
	s_addc_u32 s5, s5, 0
	s_or_b32 s4, vcc_lo, s4
	s_andn2_b32 exec_lo, exec_lo, s4
	s_cbranch_execnz .LBB1890_4
; %bb.7:
	s_or_b32 exec_lo, exec_lo, s4
.LBB1890_8:
	s_or_b32 exec_lo, exec_lo, s3
	v_mov_b32_e32 v3, 0
	global_store_dword v3, v1, s[8:9]
	global_store_byte v3, v2, s[8:9] offset:4
.LBB1890_9:
	s_or_b32 exec_lo, exec_lo, s6
.LBB1890_10:
	v_cmp_gt_u32_e32 vcc_lo, s2, v0
	s_and_saveexec_b32 s2, vcc_lo
	s_cbranch_execz .LBB1890_12
; %bb.11:
	v_add_nc_u32_e32 v1, 32, v0
	v_mov_b32_e32 v2, 0
	v_lshlrev_b64 v[4:5], 4, v[1:2]
	v_mov_b32_e32 v1, v2
	v_mov_b32_e32 v3, v2
	v_add_co_u32 v6, vcc_lo, s0, v4
	v_add_co_ci_u32_e64 v7, null, s1, v5, vcc_lo
	v_mov_b32_e32 v4, v2
	global_store_dwordx4 v[6:7], v[1:4], off
.LBB1890_12:
	s_or_b32 exec_lo, exec_lo, s2
	s_mov_b32 s2, exec_lo
	v_cmpx_gt_u32_e32 32, v0
	s_cbranch_execz .LBB1890_14
; %bb.13:
	v_mov_b32_e32 v1, 0
	v_mov_b32_e32 v2, 0xff
	v_lshlrev_b64 v[3:4], 4, v[0:1]
	v_mov_b32_e32 v0, v1
	v_add_co_u32 v5, vcc_lo, s0, v3
	v_add_co_ci_u32_e64 v6, null, s1, v4, vcc_lo
	v_mov_b32_e32 v3, v1
	global_store_dwordx4 v[5:6], v[0:3], off
.LBB1890_14:
	s_endpgm
	.section	.rodata,"a",@progbits
	.p2align	6, 0x0
	.amdhsa_kernel _ZN7rocprim17ROCPRIM_400000_NS6detail30init_device_scan_by_key_kernelINS1_19lookback_scan_stateINS0_5tupleIJ11FixedVectorIiLj1EEbEEELb1ELb1EEENS1_16block_id_wrapperIjLb0EEEEEvT_jjPNSB_10value_typeET0_
		.amdhsa_group_segment_fixed_size 0
		.amdhsa_private_segment_fixed_size 0
		.amdhsa_kernarg_size 288
		.amdhsa_user_sgpr_count 6
		.amdhsa_user_sgpr_private_segment_buffer 1
		.amdhsa_user_sgpr_dispatch_ptr 0
		.amdhsa_user_sgpr_queue_ptr 0
		.amdhsa_user_sgpr_kernarg_segment_ptr 1
		.amdhsa_user_sgpr_dispatch_id 0
		.amdhsa_user_sgpr_flat_scratch_init 0
		.amdhsa_user_sgpr_private_segment_size 0
		.amdhsa_wavefront_size32 1
		.amdhsa_uses_dynamic_stack 0
		.amdhsa_system_sgpr_private_segment_wavefront_offset 0
		.amdhsa_system_sgpr_workgroup_id_x 1
		.amdhsa_system_sgpr_workgroup_id_y 0
		.amdhsa_system_sgpr_workgroup_id_z 0
		.amdhsa_system_sgpr_workgroup_info 0
		.amdhsa_system_vgpr_workitem_id 0
		.amdhsa_next_free_vgpr 8
		.amdhsa_next_free_sgpr 10
		.amdhsa_reserve_vcc 1
		.amdhsa_reserve_flat_scratch 0
		.amdhsa_float_round_mode_32 0
		.amdhsa_float_round_mode_16_64 0
		.amdhsa_float_denorm_mode_32 3
		.amdhsa_float_denorm_mode_16_64 3
		.amdhsa_dx10_clamp 1
		.amdhsa_ieee_mode 1
		.amdhsa_fp16_overflow 0
		.amdhsa_workgroup_processor_mode 1
		.amdhsa_memory_ordered 1
		.amdhsa_forward_progress 1
		.amdhsa_shared_vgpr_count 0
		.amdhsa_exception_fp_ieee_invalid_op 0
		.amdhsa_exception_fp_denorm_src 0
		.amdhsa_exception_fp_ieee_div_zero 0
		.amdhsa_exception_fp_ieee_overflow 0
		.amdhsa_exception_fp_ieee_underflow 0
		.amdhsa_exception_fp_ieee_inexact 0
		.amdhsa_exception_int_div_zero 0
	.end_amdhsa_kernel
	.section	.text._ZN7rocprim17ROCPRIM_400000_NS6detail30init_device_scan_by_key_kernelINS1_19lookback_scan_stateINS0_5tupleIJ11FixedVectorIiLj1EEbEEELb1ELb1EEENS1_16block_id_wrapperIjLb0EEEEEvT_jjPNSB_10value_typeET0_,"axG",@progbits,_ZN7rocprim17ROCPRIM_400000_NS6detail30init_device_scan_by_key_kernelINS1_19lookback_scan_stateINS0_5tupleIJ11FixedVectorIiLj1EEbEEELb1ELb1EEENS1_16block_id_wrapperIjLb0EEEEEvT_jjPNSB_10value_typeET0_,comdat
.Lfunc_end1890:
	.size	_ZN7rocprim17ROCPRIM_400000_NS6detail30init_device_scan_by_key_kernelINS1_19lookback_scan_stateINS0_5tupleIJ11FixedVectorIiLj1EEbEEELb1ELb1EEENS1_16block_id_wrapperIjLb0EEEEEvT_jjPNSB_10value_typeET0_, .Lfunc_end1890-_ZN7rocprim17ROCPRIM_400000_NS6detail30init_device_scan_by_key_kernelINS1_19lookback_scan_stateINS0_5tupleIJ11FixedVectorIiLj1EEbEEELb1ELb1EEENS1_16block_id_wrapperIjLb0EEEEEvT_jjPNSB_10value_typeET0_
                                        ; -- End function
	.set _ZN7rocprim17ROCPRIM_400000_NS6detail30init_device_scan_by_key_kernelINS1_19lookback_scan_stateINS0_5tupleIJ11FixedVectorIiLj1EEbEEELb1ELb1EEENS1_16block_id_wrapperIjLb0EEEEEvT_jjPNSB_10value_typeET0_.num_vgpr, 8
	.set _ZN7rocprim17ROCPRIM_400000_NS6detail30init_device_scan_by_key_kernelINS1_19lookback_scan_stateINS0_5tupleIJ11FixedVectorIiLj1EEbEEELb1ELb1EEENS1_16block_id_wrapperIjLb0EEEEEvT_jjPNSB_10value_typeET0_.num_agpr, 0
	.set _ZN7rocprim17ROCPRIM_400000_NS6detail30init_device_scan_by_key_kernelINS1_19lookback_scan_stateINS0_5tupleIJ11FixedVectorIiLj1EEbEEELb1ELb1EEENS1_16block_id_wrapperIjLb0EEEEEvT_jjPNSB_10value_typeET0_.numbered_sgpr, 10
	.set _ZN7rocprim17ROCPRIM_400000_NS6detail30init_device_scan_by_key_kernelINS1_19lookback_scan_stateINS0_5tupleIJ11FixedVectorIiLj1EEbEEELb1ELb1EEENS1_16block_id_wrapperIjLb0EEEEEvT_jjPNSB_10value_typeET0_.num_named_barrier, 0
	.set _ZN7rocprim17ROCPRIM_400000_NS6detail30init_device_scan_by_key_kernelINS1_19lookback_scan_stateINS0_5tupleIJ11FixedVectorIiLj1EEbEEELb1ELb1EEENS1_16block_id_wrapperIjLb0EEEEEvT_jjPNSB_10value_typeET0_.private_seg_size, 0
	.set _ZN7rocprim17ROCPRIM_400000_NS6detail30init_device_scan_by_key_kernelINS1_19lookback_scan_stateINS0_5tupleIJ11FixedVectorIiLj1EEbEEELb1ELb1EEENS1_16block_id_wrapperIjLb0EEEEEvT_jjPNSB_10value_typeET0_.uses_vcc, 1
	.set _ZN7rocprim17ROCPRIM_400000_NS6detail30init_device_scan_by_key_kernelINS1_19lookback_scan_stateINS0_5tupleIJ11FixedVectorIiLj1EEbEEELb1ELb1EEENS1_16block_id_wrapperIjLb0EEEEEvT_jjPNSB_10value_typeET0_.uses_flat_scratch, 0
	.set _ZN7rocprim17ROCPRIM_400000_NS6detail30init_device_scan_by_key_kernelINS1_19lookback_scan_stateINS0_5tupleIJ11FixedVectorIiLj1EEbEEELb1ELb1EEENS1_16block_id_wrapperIjLb0EEEEEvT_jjPNSB_10value_typeET0_.has_dyn_sized_stack, 0
	.set _ZN7rocprim17ROCPRIM_400000_NS6detail30init_device_scan_by_key_kernelINS1_19lookback_scan_stateINS0_5tupleIJ11FixedVectorIiLj1EEbEEELb1ELb1EEENS1_16block_id_wrapperIjLb0EEEEEvT_jjPNSB_10value_typeET0_.has_recursion, 0
	.set _ZN7rocprim17ROCPRIM_400000_NS6detail30init_device_scan_by_key_kernelINS1_19lookback_scan_stateINS0_5tupleIJ11FixedVectorIiLj1EEbEEELb1ELb1EEENS1_16block_id_wrapperIjLb0EEEEEvT_jjPNSB_10value_typeET0_.has_indirect_call, 0
	.section	.AMDGPU.csdata,"",@progbits
; Kernel info:
; codeLenInByte = 460
; TotalNumSgprs: 12
; NumVgprs: 8
; ScratchSize: 0
; MemoryBound: 0
; FloatMode: 240
; IeeeMode: 1
; LDSByteSize: 0 bytes/workgroup (compile time only)
; SGPRBlocks: 0
; VGPRBlocks: 0
; NumSGPRsForWavesPerEU: 12
; NumVGPRsForWavesPerEU: 8
; Occupancy: 16
; WaveLimiterHint : 0
; COMPUTE_PGM_RSRC2:SCRATCH_EN: 0
; COMPUTE_PGM_RSRC2:USER_SGPR: 6
; COMPUTE_PGM_RSRC2:TRAP_HANDLER: 0
; COMPUTE_PGM_RSRC2:TGID_X_EN: 1
; COMPUTE_PGM_RSRC2:TGID_Y_EN: 0
; COMPUTE_PGM_RSRC2:TGID_Z_EN: 0
; COMPUTE_PGM_RSRC2:TIDIG_COMP_CNT: 0
	.section	.text._ZN7rocprim17ROCPRIM_400000_NS6detail17trampoline_kernelINS0_14default_configENS1_27scan_by_key_config_selectorIj11FixedVectorIiLj1EEEEZZNS1_16scan_by_key_implILNS1_25lookback_scan_determinismE0ELb0ES3_N6thrust23THRUST_200600_302600_NS6detail15normal_iteratorINSB_10device_ptrIjEEEENSD_INSE_IS6_EEEESI_S6_NSB_4plusIvEENSB_8equal_toIvEES6_EE10hipError_tPvRmT2_T3_T4_T5_mT6_T7_P12ihipStream_tbENKUlT_T0_E_clISt17integral_constantIbLb1EES12_IbLb0EEEEDaSY_SZ_EUlSY_E_NS1_11comp_targetILNS1_3genE0ELNS1_11target_archE4294967295ELNS1_3gpuE0ELNS1_3repE0EEENS1_30default_config_static_selectorELNS0_4arch9wavefront6targetE0EEEvT1_,"axG",@progbits,_ZN7rocprim17ROCPRIM_400000_NS6detail17trampoline_kernelINS0_14default_configENS1_27scan_by_key_config_selectorIj11FixedVectorIiLj1EEEEZZNS1_16scan_by_key_implILNS1_25lookback_scan_determinismE0ELb0ES3_N6thrust23THRUST_200600_302600_NS6detail15normal_iteratorINSB_10device_ptrIjEEEENSD_INSE_IS6_EEEESI_S6_NSB_4plusIvEENSB_8equal_toIvEES6_EE10hipError_tPvRmT2_T3_T4_T5_mT6_T7_P12ihipStream_tbENKUlT_T0_E_clISt17integral_constantIbLb1EES12_IbLb0EEEEDaSY_SZ_EUlSY_E_NS1_11comp_targetILNS1_3genE0ELNS1_11target_archE4294967295ELNS1_3gpuE0ELNS1_3repE0EEENS1_30default_config_static_selectorELNS0_4arch9wavefront6targetE0EEEvT1_,comdat
	.protected	_ZN7rocprim17ROCPRIM_400000_NS6detail17trampoline_kernelINS0_14default_configENS1_27scan_by_key_config_selectorIj11FixedVectorIiLj1EEEEZZNS1_16scan_by_key_implILNS1_25lookback_scan_determinismE0ELb0ES3_N6thrust23THRUST_200600_302600_NS6detail15normal_iteratorINSB_10device_ptrIjEEEENSD_INSE_IS6_EEEESI_S6_NSB_4plusIvEENSB_8equal_toIvEES6_EE10hipError_tPvRmT2_T3_T4_T5_mT6_T7_P12ihipStream_tbENKUlT_T0_E_clISt17integral_constantIbLb1EES12_IbLb0EEEEDaSY_SZ_EUlSY_E_NS1_11comp_targetILNS1_3genE0ELNS1_11target_archE4294967295ELNS1_3gpuE0ELNS1_3repE0EEENS1_30default_config_static_selectorELNS0_4arch9wavefront6targetE0EEEvT1_ ; -- Begin function _ZN7rocprim17ROCPRIM_400000_NS6detail17trampoline_kernelINS0_14default_configENS1_27scan_by_key_config_selectorIj11FixedVectorIiLj1EEEEZZNS1_16scan_by_key_implILNS1_25lookback_scan_determinismE0ELb0ES3_N6thrust23THRUST_200600_302600_NS6detail15normal_iteratorINSB_10device_ptrIjEEEENSD_INSE_IS6_EEEESI_S6_NSB_4plusIvEENSB_8equal_toIvEES6_EE10hipError_tPvRmT2_T3_T4_T5_mT6_T7_P12ihipStream_tbENKUlT_T0_E_clISt17integral_constantIbLb1EES12_IbLb0EEEEDaSY_SZ_EUlSY_E_NS1_11comp_targetILNS1_3genE0ELNS1_11target_archE4294967295ELNS1_3gpuE0ELNS1_3repE0EEENS1_30default_config_static_selectorELNS0_4arch9wavefront6targetE0EEEvT1_
	.globl	_ZN7rocprim17ROCPRIM_400000_NS6detail17trampoline_kernelINS0_14default_configENS1_27scan_by_key_config_selectorIj11FixedVectorIiLj1EEEEZZNS1_16scan_by_key_implILNS1_25lookback_scan_determinismE0ELb0ES3_N6thrust23THRUST_200600_302600_NS6detail15normal_iteratorINSB_10device_ptrIjEEEENSD_INSE_IS6_EEEESI_S6_NSB_4plusIvEENSB_8equal_toIvEES6_EE10hipError_tPvRmT2_T3_T4_T5_mT6_T7_P12ihipStream_tbENKUlT_T0_E_clISt17integral_constantIbLb1EES12_IbLb0EEEEDaSY_SZ_EUlSY_E_NS1_11comp_targetILNS1_3genE0ELNS1_11target_archE4294967295ELNS1_3gpuE0ELNS1_3repE0EEENS1_30default_config_static_selectorELNS0_4arch9wavefront6targetE0EEEvT1_
	.p2align	8
	.type	_ZN7rocprim17ROCPRIM_400000_NS6detail17trampoline_kernelINS0_14default_configENS1_27scan_by_key_config_selectorIj11FixedVectorIiLj1EEEEZZNS1_16scan_by_key_implILNS1_25lookback_scan_determinismE0ELb0ES3_N6thrust23THRUST_200600_302600_NS6detail15normal_iteratorINSB_10device_ptrIjEEEENSD_INSE_IS6_EEEESI_S6_NSB_4plusIvEENSB_8equal_toIvEES6_EE10hipError_tPvRmT2_T3_T4_T5_mT6_T7_P12ihipStream_tbENKUlT_T0_E_clISt17integral_constantIbLb1EES12_IbLb0EEEEDaSY_SZ_EUlSY_E_NS1_11comp_targetILNS1_3genE0ELNS1_11target_archE4294967295ELNS1_3gpuE0ELNS1_3repE0EEENS1_30default_config_static_selectorELNS0_4arch9wavefront6targetE0EEEvT1_,@function
_ZN7rocprim17ROCPRIM_400000_NS6detail17trampoline_kernelINS0_14default_configENS1_27scan_by_key_config_selectorIj11FixedVectorIiLj1EEEEZZNS1_16scan_by_key_implILNS1_25lookback_scan_determinismE0ELb0ES3_N6thrust23THRUST_200600_302600_NS6detail15normal_iteratorINSB_10device_ptrIjEEEENSD_INSE_IS6_EEEESI_S6_NSB_4plusIvEENSB_8equal_toIvEES6_EE10hipError_tPvRmT2_T3_T4_T5_mT6_T7_P12ihipStream_tbENKUlT_T0_E_clISt17integral_constantIbLb1EES12_IbLb0EEEEDaSY_SZ_EUlSY_E_NS1_11comp_targetILNS1_3genE0ELNS1_11target_archE4294967295ELNS1_3gpuE0ELNS1_3repE0EEENS1_30default_config_static_selectorELNS0_4arch9wavefront6targetE0EEEvT1_: ; @_ZN7rocprim17ROCPRIM_400000_NS6detail17trampoline_kernelINS0_14default_configENS1_27scan_by_key_config_selectorIj11FixedVectorIiLj1EEEEZZNS1_16scan_by_key_implILNS1_25lookback_scan_determinismE0ELb0ES3_N6thrust23THRUST_200600_302600_NS6detail15normal_iteratorINSB_10device_ptrIjEEEENSD_INSE_IS6_EEEESI_S6_NSB_4plusIvEENSB_8equal_toIvEES6_EE10hipError_tPvRmT2_T3_T4_T5_mT6_T7_P12ihipStream_tbENKUlT_T0_E_clISt17integral_constantIbLb1EES12_IbLb0EEEEDaSY_SZ_EUlSY_E_NS1_11comp_targetILNS1_3genE0ELNS1_11target_archE4294967295ELNS1_3gpuE0ELNS1_3repE0EEENS1_30default_config_static_selectorELNS0_4arch9wavefront6targetE0EEEvT1_
; %bb.0:
	.section	.rodata,"a",@progbits
	.p2align	6, 0x0
	.amdhsa_kernel _ZN7rocprim17ROCPRIM_400000_NS6detail17trampoline_kernelINS0_14default_configENS1_27scan_by_key_config_selectorIj11FixedVectorIiLj1EEEEZZNS1_16scan_by_key_implILNS1_25lookback_scan_determinismE0ELb0ES3_N6thrust23THRUST_200600_302600_NS6detail15normal_iteratorINSB_10device_ptrIjEEEENSD_INSE_IS6_EEEESI_S6_NSB_4plusIvEENSB_8equal_toIvEES6_EE10hipError_tPvRmT2_T3_T4_T5_mT6_T7_P12ihipStream_tbENKUlT_T0_E_clISt17integral_constantIbLb1EES12_IbLb0EEEEDaSY_SZ_EUlSY_E_NS1_11comp_targetILNS1_3genE0ELNS1_11target_archE4294967295ELNS1_3gpuE0ELNS1_3repE0EEENS1_30default_config_static_selectorELNS0_4arch9wavefront6targetE0EEEvT1_
		.amdhsa_group_segment_fixed_size 0
		.amdhsa_private_segment_fixed_size 0
		.amdhsa_kernarg_size 112
		.amdhsa_user_sgpr_count 6
		.amdhsa_user_sgpr_private_segment_buffer 1
		.amdhsa_user_sgpr_dispatch_ptr 0
		.amdhsa_user_sgpr_queue_ptr 0
		.amdhsa_user_sgpr_kernarg_segment_ptr 1
		.amdhsa_user_sgpr_dispatch_id 0
		.amdhsa_user_sgpr_flat_scratch_init 0
		.amdhsa_user_sgpr_private_segment_size 0
		.amdhsa_wavefront_size32 1
		.amdhsa_uses_dynamic_stack 0
		.amdhsa_system_sgpr_private_segment_wavefront_offset 0
		.amdhsa_system_sgpr_workgroup_id_x 1
		.amdhsa_system_sgpr_workgroup_id_y 0
		.amdhsa_system_sgpr_workgroup_id_z 0
		.amdhsa_system_sgpr_workgroup_info 0
		.amdhsa_system_vgpr_workitem_id 0
		.amdhsa_next_free_vgpr 1
		.amdhsa_next_free_sgpr 1
		.amdhsa_reserve_vcc 0
		.amdhsa_reserve_flat_scratch 0
		.amdhsa_float_round_mode_32 0
		.amdhsa_float_round_mode_16_64 0
		.amdhsa_float_denorm_mode_32 3
		.amdhsa_float_denorm_mode_16_64 3
		.amdhsa_dx10_clamp 1
		.amdhsa_ieee_mode 1
		.amdhsa_fp16_overflow 0
		.amdhsa_workgroup_processor_mode 1
		.amdhsa_memory_ordered 1
		.amdhsa_forward_progress 1
		.amdhsa_shared_vgpr_count 0
		.amdhsa_exception_fp_ieee_invalid_op 0
		.amdhsa_exception_fp_denorm_src 0
		.amdhsa_exception_fp_ieee_div_zero 0
		.amdhsa_exception_fp_ieee_overflow 0
		.amdhsa_exception_fp_ieee_underflow 0
		.amdhsa_exception_fp_ieee_inexact 0
		.amdhsa_exception_int_div_zero 0
	.end_amdhsa_kernel
	.section	.text._ZN7rocprim17ROCPRIM_400000_NS6detail17trampoline_kernelINS0_14default_configENS1_27scan_by_key_config_selectorIj11FixedVectorIiLj1EEEEZZNS1_16scan_by_key_implILNS1_25lookback_scan_determinismE0ELb0ES3_N6thrust23THRUST_200600_302600_NS6detail15normal_iteratorINSB_10device_ptrIjEEEENSD_INSE_IS6_EEEESI_S6_NSB_4plusIvEENSB_8equal_toIvEES6_EE10hipError_tPvRmT2_T3_T4_T5_mT6_T7_P12ihipStream_tbENKUlT_T0_E_clISt17integral_constantIbLb1EES12_IbLb0EEEEDaSY_SZ_EUlSY_E_NS1_11comp_targetILNS1_3genE0ELNS1_11target_archE4294967295ELNS1_3gpuE0ELNS1_3repE0EEENS1_30default_config_static_selectorELNS0_4arch9wavefront6targetE0EEEvT1_,"axG",@progbits,_ZN7rocprim17ROCPRIM_400000_NS6detail17trampoline_kernelINS0_14default_configENS1_27scan_by_key_config_selectorIj11FixedVectorIiLj1EEEEZZNS1_16scan_by_key_implILNS1_25lookback_scan_determinismE0ELb0ES3_N6thrust23THRUST_200600_302600_NS6detail15normal_iteratorINSB_10device_ptrIjEEEENSD_INSE_IS6_EEEESI_S6_NSB_4plusIvEENSB_8equal_toIvEES6_EE10hipError_tPvRmT2_T3_T4_T5_mT6_T7_P12ihipStream_tbENKUlT_T0_E_clISt17integral_constantIbLb1EES12_IbLb0EEEEDaSY_SZ_EUlSY_E_NS1_11comp_targetILNS1_3genE0ELNS1_11target_archE4294967295ELNS1_3gpuE0ELNS1_3repE0EEENS1_30default_config_static_selectorELNS0_4arch9wavefront6targetE0EEEvT1_,comdat
.Lfunc_end1891:
	.size	_ZN7rocprim17ROCPRIM_400000_NS6detail17trampoline_kernelINS0_14default_configENS1_27scan_by_key_config_selectorIj11FixedVectorIiLj1EEEEZZNS1_16scan_by_key_implILNS1_25lookback_scan_determinismE0ELb0ES3_N6thrust23THRUST_200600_302600_NS6detail15normal_iteratorINSB_10device_ptrIjEEEENSD_INSE_IS6_EEEESI_S6_NSB_4plusIvEENSB_8equal_toIvEES6_EE10hipError_tPvRmT2_T3_T4_T5_mT6_T7_P12ihipStream_tbENKUlT_T0_E_clISt17integral_constantIbLb1EES12_IbLb0EEEEDaSY_SZ_EUlSY_E_NS1_11comp_targetILNS1_3genE0ELNS1_11target_archE4294967295ELNS1_3gpuE0ELNS1_3repE0EEENS1_30default_config_static_selectorELNS0_4arch9wavefront6targetE0EEEvT1_, .Lfunc_end1891-_ZN7rocprim17ROCPRIM_400000_NS6detail17trampoline_kernelINS0_14default_configENS1_27scan_by_key_config_selectorIj11FixedVectorIiLj1EEEEZZNS1_16scan_by_key_implILNS1_25lookback_scan_determinismE0ELb0ES3_N6thrust23THRUST_200600_302600_NS6detail15normal_iteratorINSB_10device_ptrIjEEEENSD_INSE_IS6_EEEESI_S6_NSB_4plusIvEENSB_8equal_toIvEES6_EE10hipError_tPvRmT2_T3_T4_T5_mT6_T7_P12ihipStream_tbENKUlT_T0_E_clISt17integral_constantIbLb1EES12_IbLb0EEEEDaSY_SZ_EUlSY_E_NS1_11comp_targetILNS1_3genE0ELNS1_11target_archE4294967295ELNS1_3gpuE0ELNS1_3repE0EEENS1_30default_config_static_selectorELNS0_4arch9wavefront6targetE0EEEvT1_
                                        ; -- End function
	.set _ZN7rocprim17ROCPRIM_400000_NS6detail17trampoline_kernelINS0_14default_configENS1_27scan_by_key_config_selectorIj11FixedVectorIiLj1EEEEZZNS1_16scan_by_key_implILNS1_25lookback_scan_determinismE0ELb0ES3_N6thrust23THRUST_200600_302600_NS6detail15normal_iteratorINSB_10device_ptrIjEEEENSD_INSE_IS6_EEEESI_S6_NSB_4plusIvEENSB_8equal_toIvEES6_EE10hipError_tPvRmT2_T3_T4_T5_mT6_T7_P12ihipStream_tbENKUlT_T0_E_clISt17integral_constantIbLb1EES12_IbLb0EEEEDaSY_SZ_EUlSY_E_NS1_11comp_targetILNS1_3genE0ELNS1_11target_archE4294967295ELNS1_3gpuE0ELNS1_3repE0EEENS1_30default_config_static_selectorELNS0_4arch9wavefront6targetE0EEEvT1_.num_vgpr, 0
	.set _ZN7rocprim17ROCPRIM_400000_NS6detail17trampoline_kernelINS0_14default_configENS1_27scan_by_key_config_selectorIj11FixedVectorIiLj1EEEEZZNS1_16scan_by_key_implILNS1_25lookback_scan_determinismE0ELb0ES3_N6thrust23THRUST_200600_302600_NS6detail15normal_iteratorINSB_10device_ptrIjEEEENSD_INSE_IS6_EEEESI_S6_NSB_4plusIvEENSB_8equal_toIvEES6_EE10hipError_tPvRmT2_T3_T4_T5_mT6_T7_P12ihipStream_tbENKUlT_T0_E_clISt17integral_constantIbLb1EES12_IbLb0EEEEDaSY_SZ_EUlSY_E_NS1_11comp_targetILNS1_3genE0ELNS1_11target_archE4294967295ELNS1_3gpuE0ELNS1_3repE0EEENS1_30default_config_static_selectorELNS0_4arch9wavefront6targetE0EEEvT1_.num_agpr, 0
	.set _ZN7rocprim17ROCPRIM_400000_NS6detail17trampoline_kernelINS0_14default_configENS1_27scan_by_key_config_selectorIj11FixedVectorIiLj1EEEEZZNS1_16scan_by_key_implILNS1_25lookback_scan_determinismE0ELb0ES3_N6thrust23THRUST_200600_302600_NS6detail15normal_iteratorINSB_10device_ptrIjEEEENSD_INSE_IS6_EEEESI_S6_NSB_4plusIvEENSB_8equal_toIvEES6_EE10hipError_tPvRmT2_T3_T4_T5_mT6_T7_P12ihipStream_tbENKUlT_T0_E_clISt17integral_constantIbLb1EES12_IbLb0EEEEDaSY_SZ_EUlSY_E_NS1_11comp_targetILNS1_3genE0ELNS1_11target_archE4294967295ELNS1_3gpuE0ELNS1_3repE0EEENS1_30default_config_static_selectorELNS0_4arch9wavefront6targetE0EEEvT1_.numbered_sgpr, 0
	.set _ZN7rocprim17ROCPRIM_400000_NS6detail17trampoline_kernelINS0_14default_configENS1_27scan_by_key_config_selectorIj11FixedVectorIiLj1EEEEZZNS1_16scan_by_key_implILNS1_25lookback_scan_determinismE0ELb0ES3_N6thrust23THRUST_200600_302600_NS6detail15normal_iteratorINSB_10device_ptrIjEEEENSD_INSE_IS6_EEEESI_S6_NSB_4plusIvEENSB_8equal_toIvEES6_EE10hipError_tPvRmT2_T3_T4_T5_mT6_T7_P12ihipStream_tbENKUlT_T0_E_clISt17integral_constantIbLb1EES12_IbLb0EEEEDaSY_SZ_EUlSY_E_NS1_11comp_targetILNS1_3genE0ELNS1_11target_archE4294967295ELNS1_3gpuE0ELNS1_3repE0EEENS1_30default_config_static_selectorELNS0_4arch9wavefront6targetE0EEEvT1_.num_named_barrier, 0
	.set _ZN7rocprim17ROCPRIM_400000_NS6detail17trampoline_kernelINS0_14default_configENS1_27scan_by_key_config_selectorIj11FixedVectorIiLj1EEEEZZNS1_16scan_by_key_implILNS1_25lookback_scan_determinismE0ELb0ES3_N6thrust23THRUST_200600_302600_NS6detail15normal_iteratorINSB_10device_ptrIjEEEENSD_INSE_IS6_EEEESI_S6_NSB_4plusIvEENSB_8equal_toIvEES6_EE10hipError_tPvRmT2_T3_T4_T5_mT6_T7_P12ihipStream_tbENKUlT_T0_E_clISt17integral_constantIbLb1EES12_IbLb0EEEEDaSY_SZ_EUlSY_E_NS1_11comp_targetILNS1_3genE0ELNS1_11target_archE4294967295ELNS1_3gpuE0ELNS1_3repE0EEENS1_30default_config_static_selectorELNS0_4arch9wavefront6targetE0EEEvT1_.private_seg_size, 0
	.set _ZN7rocprim17ROCPRIM_400000_NS6detail17trampoline_kernelINS0_14default_configENS1_27scan_by_key_config_selectorIj11FixedVectorIiLj1EEEEZZNS1_16scan_by_key_implILNS1_25lookback_scan_determinismE0ELb0ES3_N6thrust23THRUST_200600_302600_NS6detail15normal_iteratorINSB_10device_ptrIjEEEENSD_INSE_IS6_EEEESI_S6_NSB_4plusIvEENSB_8equal_toIvEES6_EE10hipError_tPvRmT2_T3_T4_T5_mT6_T7_P12ihipStream_tbENKUlT_T0_E_clISt17integral_constantIbLb1EES12_IbLb0EEEEDaSY_SZ_EUlSY_E_NS1_11comp_targetILNS1_3genE0ELNS1_11target_archE4294967295ELNS1_3gpuE0ELNS1_3repE0EEENS1_30default_config_static_selectorELNS0_4arch9wavefront6targetE0EEEvT1_.uses_vcc, 0
	.set _ZN7rocprim17ROCPRIM_400000_NS6detail17trampoline_kernelINS0_14default_configENS1_27scan_by_key_config_selectorIj11FixedVectorIiLj1EEEEZZNS1_16scan_by_key_implILNS1_25lookback_scan_determinismE0ELb0ES3_N6thrust23THRUST_200600_302600_NS6detail15normal_iteratorINSB_10device_ptrIjEEEENSD_INSE_IS6_EEEESI_S6_NSB_4plusIvEENSB_8equal_toIvEES6_EE10hipError_tPvRmT2_T3_T4_T5_mT6_T7_P12ihipStream_tbENKUlT_T0_E_clISt17integral_constantIbLb1EES12_IbLb0EEEEDaSY_SZ_EUlSY_E_NS1_11comp_targetILNS1_3genE0ELNS1_11target_archE4294967295ELNS1_3gpuE0ELNS1_3repE0EEENS1_30default_config_static_selectorELNS0_4arch9wavefront6targetE0EEEvT1_.uses_flat_scratch, 0
	.set _ZN7rocprim17ROCPRIM_400000_NS6detail17trampoline_kernelINS0_14default_configENS1_27scan_by_key_config_selectorIj11FixedVectorIiLj1EEEEZZNS1_16scan_by_key_implILNS1_25lookback_scan_determinismE0ELb0ES3_N6thrust23THRUST_200600_302600_NS6detail15normal_iteratorINSB_10device_ptrIjEEEENSD_INSE_IS6_EEEESI_S6_NSB_4plusIvEENSB_8equal_toIvEES6_EE10hipError_tPvRmT2_T3_T4_T5_mT6_T7_P12ihipStream_tbENKUlT_T0_E_clISt17integral_constantIbLb1EES12_IbLb0EEEEDaSY_SZ_EUlSY_E_NS1_11comp_targetILNS1_3genE0ELNS1_11target_archE4294967295ELNS1_3gpuE0ELNS1_3repE0EEENS1_30default_config_static_selectorELNS0_4arch9wavefront6targetE0EEEvT1_.has_dyn_sized_stack, 0
	.set _ZN7rocprim17ROCPRIM_400000_NS6detail17trampoline_kernelINS0_14default_configENS1_27scan_by_key_config_selectorIj11FixedVectorIiLj1EEEEZZNS1_16scan_by_key_implILNS1_25lookback_scan_determinismE0ELb0ES3_N6thrust23THRUST_200600_302600_NS6detail15normal_iteratorINSB_10device_ptrIjEEEENSD_INSE_IS6_EEEESI_S6_NSB_4plusIvEENSB_8equal_toIvEES6_EE10hipError_tPvRmT2_T3_T4_T5_mT6_T7_P12ihipStream_tbENKUlT_T0_E_clISt17integral_constantIbLb1EES12_IbLb0EEEEDaSY_SZ_EUlSY_E_NS1_11comp_targetILNS1_3genE0ELNS1_11target_archE4294967295ELNS1_3gpuE0ELNS1_3repE0EEENS1_30default_config_static_selectorELNS0_4arch9wavefront6targetE0EEEvT1_.has_recursion, 0
	.set _ZN7rocprim17ROCPRIM_400000_NS6detail17trampoline_kernelINS0_14default_configENS1_27scan_by_key_config_selectorIj11FixedVectorIiLj1EEEEZZNS1_16scan_by_key_implILNS1_25lookback_scan_determinismE0ELb0ES3_N6thrust23THRUST_200600_302600_NS6detail15normal_iteratorINSB_10device_ptrIjEEEENSD_INSE_IS6_EEEESI_S6_NSB_4plusIvEENSB_8equal_toIvEES6_EE10hipError_tPvRmT2_T3_T4_T5_mT6_T7_P12ihipStream_tbENKUlT_T0_E_clISt17integral_constantIbLb1EES12_IbLb0EEEEDaSY_SZ_EUlSY_E_NS1_11comp_targetILNS1_3genE0ELNS1_11target_archE4294967295ELNS1_3gpuE0ELNS1_3repE0EEENS1_30default_config_static_selectorELNS0_4arch9wavefront6targetE0EEEvT1_.has_indirect_call, 0
	.section	.AMDGPU.csdata,"",@progbits
; Kernel info:
; codeLenInByte = 0
; TotalNumSgprs: 0
; NumVgprs: 0
; ScratchSize: 0
; MemoryBound: 0
; FloatMode: 240
; IeeeMode: 1
; LDSByteSize: 0 bytes/workgroup (compile time only)
; SGPRBlocks: 0
; VGPRBlocks: 0
; NumSGPRsForWavesPerEU: 1
; NumVGPRsForWavesPerEU: 1
; Occupancy: 16
; WaveLimiterHint : 0
; COMPUTE_PGM_RSRC2:SCRATCH_EN: 0
; COMPUTE_PGM_RSRC2:USER_SGPR: 6
; COMPUTE_PGM_RSRC2:TRAP_HANDLER: 0
; COMPUTE_PGM_RSRC2:TGID_X_EN: 1
; COMPUTE_PGM_RSRC2:TGID_Y_EN: 0
; COMPUTE_PGM_RSRC2:TGID_Z_EN: 0
; COMPUTE_PGM_RSRC2:TIDIG_COMP_CNT: 0
	.section	.text._ZN7rocprim17ROCPRIM_400000_NS6detail17trampoline_kernelINS0_14default_configENS1_27scan_by_key_config_selectorIj11FixedVectorIiLj1EEEEZZNS1_16scan_by_key_implILNS1_25lookback_scan_determinismE0ELb0ES3_N6thrust23THRUST_200600_302600_NS6detail15normal_iteratorINSB_10device_ptrIjEEEENSD_INSE_IS6_EEEESI_S6_NSB_4plusIvEENSB_8equal_toIvEES6_EE10hipError_tPvRmT2_T3_T4_T5_mT6_T7_P12ihipStream_tbENKUlT_T0_E_clISt17integral_constantIbLb1EES12_IbLb0EEEEDaSY_SZ_EUlSY_E_NS1_11comp_targetILNS1_3genE10ELNS1_11target_archE1201ELNS1_3gpuE5ELNS1_3repE0EEENS1_30default_config_static_selectorELNS0_4arch9wavefront6targetE0EEEvT1_,"axG",@progbits,_ZN7rocprim17ROCPRIM_400000_NS6detail17trampoline_kernelINS0_14default_configENS1_27scan_by_key_config_selectorIj11FixedVectorIiLj1EEEEZZNS1_16scan_by_key_implILNS1_25lookback_scan_determinismE0ELb0ES3_N6thrust23THRUST_200600_302600_NS6detail15normal_iteratorINSB_10device_ptrIjEEEENSD_INSE_IS6_EEEESI_S6_NSB_4plusIvEENSB_8equal_toIvEES6_EE10hipError_tPvRmT2_T3_T4_T5_mT6_T7_P12ihipStream_tbENKUlT_T0_E_clISt17integral_constantIbLb1EES12_IbLb0EEEEDaSY_SZ_EUlSY_E_NS1_11comp_targetILNS1_3genE10ELNS1_11target_archE1201ELNS1_3gpuE5ELNS1_3repE0EEENS1_30default_config_static_selectorELNS0_4arch9wavefront6targetE0EEEvT1_,comdat
	.protected	_ZN7rocprim17ROCPRIM_400000_NS6detail17trampoline_kernelINS0_14default_configENS1_27scan_by_key_config_selectorIj11FixedVectorIiLj1EEEEZZNS1_16scan_by_key_implILNS1_25lookback_scan_determinismE0ELb0ES3_N6thrust23THRUST_200600_302600_NS6detail15normal_iteratorINSB_10device_ptrIjEEEENSD_INSE_IS6_EEEESI_S6_NSB_4plusIvEENSB_8equal_toIvEES6_EE10hipError_tPvRmT2_T3_T4_T5_mT6_T7_P12ihipStream_tbENKUlT_T0_E_clISt17integral_constantIbLb1EES12_IbLb0EEEEDaSY_SZ_EUlSY_E_NS1_11comp_targetILNS1_3genE10ELNS1_11target_archE1201ELNS1_3gpuE5ELNS1_3repE0EEENS1_30default_config_static_selectorELNS0_4arch9wavefront6targetE0EEEvT1_ ; -- Begin function _ZN7rocprim17ROCPRIM_400000_NS6detail17trampoline_kernelINS0_14default_configENS1_27scan_by_key_config_selectorIj11FixedVectorIiLj1EEEEZZNS1_16scan_by_key_implILNS1_25lookback_scan_determinismE0ELb0ES3_N6thrust23THRUST_200600_302600_NS6detail15normal_iteratorINSB_10device_ptrIjEEEENSD_INSE_IS6_EEEESI_S6_NSB_4plusIvEENSB_8equal_toIvEES6_EE10hipError_tPvRmT2_T3_T4_T5_mT6_T7_P12ihipStream_tbENKUlT_T0_E_clISt17integral_constantIbLb1EES12_IbLb0EEEEDaSY_SZ_EUlSY_E_NS1_11comp_targetILNS1_3genE10ELNS1_11target_archE1201ELNS1_3gpuE5ELNS1_3repE0EEENS1_30default_config_static_selectorELNS0_4arch9wavefront6targetE0EEEvT1_
	.globl	_ZN7rocprim17ROCPRIM_400000_NS6detail17trampoline_kernelINS0_14default_configENS1_27scan_by_key_config_selectorIj11FixedVectorIiLj1EEEEZZNS1_16scan_by_key_implILNS1_25lookback_scan_determinismE0ELb0ES3_N6thrust23THRUST_200600_302600_NS6detail15normal_iteratorINSB_10device_ptrIjEEEENSD_INSE_IS6_EEEESI_S6_NSB_4plusIvEENSB_8equal_toIvEES6_EE10hipError_tPvRmT2_T3_T4_T5_mT6_T7_P12ihipStream_tbENKUlT_T0_E_clISt17integral_constantIbLb1EES12_IbLb0EEEEDaSY_SZ_EUlSY_E_NS1_11comp_targetILNS1_3genE10ELNS1_11target_archE1201ELNS1_3gpuE5ELNS1_3repE0EEENS1_30default_config_static_selectorELNS0_4arch9wavefront6targetE0EEEvT1_
	.p2align	8
	.type	_ZN7rocprim17ROCPRIM_400000_NS6detail17trampoline_kernelINS0_14default_configENS1_27scan_by_key_config_selectorIj11FixedVectorIiLj1EEEEZZNS1_16scan_by_key_implILNS1_25lookback_scan_determinismE0ELb0ES3_N6thrust23THRUST_200600_302600_NS6detail15normal_iteratorINSB_10device_ptrIjEEEENSD_INSE_IS6_EEEESI_S6_NSB_4plusIvEENSB_8equal_toIvEES6_EE10hipError_tPvRmT2_T3_T4_T5_mT6_T7_P12ihipStream_tbENKUlT_T0_E_clISt17integral_constantIbLb1EES12_IbLb0EEEEDaSY_SZ_EUlSY_E_NS1_11comp_targetILNS1_3genE10ELNS1_11target_archE1201ELNS1_3gpuE5ELNS1_3repE0EEENS1_30default_config_static_selectorELNS0_4arch9wavefront6targetE0EEEvT1_,@function
_ZN7rocprim17ROCPRIM_400000_NS6detail17trampoline_kernelINS0_14default_configENS1_27scan_by_key_config_selectorIj11FixedVectorIiLj1EEEEZZNS1_16scan_by_key_implILNS1_25lookback_scan_determinismE0ELb0ES3_N6thrust23THRUST_200600_302600_NS6detail15normal_iteratorINSB_10device_ptrIjEEEENSD_INSE_IS6_EEEESI_S6_NSB_4plusIvEENSB_8equal_toIvEES6_EE10hipError_tPvRmT2_T3_T4_T5_mT6_T7_P12ihipStream_tbENKUlT_T0_E_clISt17integral_constantIbLb1EES12_IbLb0EEEEDaSY_SZ_EUlSY_E_NS1_11comp_targetILNS1_3genE10ELNS1_11target_archE1201ELNS1_3gpuE5ELNS1_3repE0EEENS1_30default_config_static_selectorELNS0_4arch9wavefront6targetE0EEEvT1_: ; @_ZN7rocprim17ROCPRIM_400000_NS6detail17trampoline_kernelINS0_14default_configENS1_27scan_by_key_config_selectorIj11FixedVectorIiLj1EEEEZZNS1_16scan_by_key_implILNS1_25lookback_scan_determinismE0ELb0ES3_N6thrust23THRUST_200600_302600_NS6detail15normal_iteratorINSB_10device_ptrIjEEEENSD_INSE_IS6_EEEESI_S6_NSB_4plusIvEENSB_8equal_toIvEES6_EE10hipError_tPvRmT2_T3_T4_T5_mT6_T7_P12ihipStream_tbENKUlT_T0_E_clISt17integral_constantIbLb1EES12_IbLb0EEEEDaSY_SZ_EUlSY_E_NS1_11comp_targetILNS1_3genE10ELNS1_11target_archE1201ELNS1_3gpuE5ELNS1_3repE0EEENS1_30default_config_static_selectorELNS0_4arch9wavefront6targetE0EEEvT1_
; %bb.0:
	.section	.rodata,"a",@progbits
	.p2align	6, 0x0
	.amdhsa_kernel _ZN7rocprim17ROCPRIM_400000_NS6detail17trampoline_kernelINS0_14default_configENS1_27scan_by_key_config_selectorIj11FixedVectorIiLj1EEEEZZNS1_16scan_by_key_implILNS1_25lookback_scan_determinismE0ELb0ES3_N6thrust23THRUST_200600_302600_NS6detail15normal_iteratorINSB_10device_ptrIjEEEENSD_INSE_IS6_EEEESI_S6_NSB_4plusIvEENSB_8equal_toIvEES6_EE10hipError_tPvRmT2_T3_T4_T5_mT6_T7_P12ihipStream_tbENKUlT_T0_E_clISt17integral_constantIbLb1EES12_IbLb0EEEEDaSY_SZ_EUlSY_E_NS1_11comp_targetILNS1_3genE10ELNS1_11target_archE1201ELNS1_3gpuE5ELNS1_3repE0EEENS1_30default_config_static_selectorELNS0_4arch9wavefront6targetE0EEEvT1_
		.amdhsa_group_segment_fixed_size 0
		.amdhsa_private_segment_fixed_size 0
		.amdhsa_kernarg_size 112
		.amdhsa_user_sgpr_count 6
		.amdhsa_user_sgpr_private_segment_buffer 1
		.amdhsa_user_sgpr_dispatch_ptr 0
		.amdhsa_user_sgpr_queue_ptr 0
		.amdhsa_user_sgpr_kernarg_segment_ptr 1
		.amdhsa_user_sgpr_dispatch_id 0
		.amdhsa_user_sgpr_flat_scratch_init 0
		.amdhsa_user_sgpr_private_segment_size 0
		.amdhsa_wavefront_size32 1
		.amdhsa_uses_dynamic_stack 0
		.amdhsa_system_sgpr_private_segment_wavefront_offset 0
		.amdhsa_system_sgpr_workgroup_id_x 1
		.amdhsa_system_sgpr_workgroup_id_y 0
		.amdhsa_system_sgpr_workgroup_id_z 0
		.amdhsa_system_sgpr_workgroup_info 0
		.amdhsa_system_vgpr_workitem_id 0
		.amdhsa_next_free_vgpr 1
		.amdhsa_next_free_sgpr 1
		.amdhsa_reserve_vcc 0
		.amdhsa_reserve_flat_scratch 0
		.amdhsa_float_round_mode_32 0
		.amdhsa_float_round_mode_16_64 0
		.amdhsa_float_denorm_mode_32 3
		.amdhsa_float_denorm_mode_16_64 3
		.amdhsa_dx10_clamp 1
		.amdhsa_ieee_mode 1
		.amdhsa_fp16_overflow 0
		.amdhsa_workgroup_processor_mode 1
		.amdhsa_memory_ordered 1
		.amdhsa_forward_progress 1
		.amdhsa_shared_vgpr_count 0
		.amdhsa_exception_fp_ieee_invalid_op 0
		.amdhsa_exception_fp_denorm_src 0
		.amdhsa_exception_fp_ieee_div_zero 0
		.amdhsa_exception_fp_ieee_overflow 0
		.amdhsa_exception_fp_ieee_underflow 0
		.amdhsa_exception_fp_ieee_inexact 0
		.amdhsa_exception_int_div_zero 0
	.end_amdhsa_kernel
	.section	.text._ZN7rocprim17ROCPRIM_400000_NS6detail17trampoline_kernelINS0_14default_configENS1_27scan_by_key_config_selectorIj11FixedVectorIiLj1EEEEZZNS1_16scan_by_key_implILNS1_25lookback_scan_determinismE0ELb0ES3_N6thrust23THRUST_200600_302600_NS6detail15normal_iteratorINSB_10device_ptrIjEEEENSD_INSE_IS6_EEEESI_S6_NSB_4plusIvEENSB_8equal_toIvEES6_EE10hipError_tPvRmT2_T3_T4_T5_mT6_T7_P12ihipStream_tbENKUlT_T0_E_clISt17integral_constantIbLb1EES12_IbLb0EEEEDaSY_SZ_EUlSY_E_NS1_11comp_targetILNS1_3genE10ELNS1_11target_archE1201ELNS1_3gpuE5ELNS1_3repE0EEENS1_30default_config_static_selectorELNS0_4arch9wavefront6targetE0EEEvT1_,"axG",@progbits,_ZN7rocprim17ROCPRIM_400000_NS6detail17trampoline_kernelINS0_14default_configENS1_27scan_by_key_config_selectorIj11FixedVectorIiLj1EEEEZZNS1_16scan_by_key_implILNS1_25lookback_scan_determinismE0ELb0ES3_N6thrust23THRUST_200600_302600_NS6detail15normal_iteratorINSB_10device_ptrIjEEEENSD_INSE_IS6_EEEESI_S6_NSB_4plusIvEENSB_8equal_toIvEES6_EE10hipError_tPvRmT2_T3_T4_T5_mT6_T7_P12ihipStream_tbENKUlT_T0_E_clISt17integral_constantIbLb1EES12_IbLb0EEEEDaSY_SZ_EUlSY_E_NS1_11comp_targetILNS1_3genE10ELNS1_11target_archE1201ELNS1_3gpuE5ELNS1_3repE0EEENS1_30default_config_static_selectorELNS0_4arch9wavefront6targetE0EEEvT1_,comdat
.Lfunc_end1892:
	.size	_ZN7rocprim17ROCPRIM_400000_NS6detail17trampoline_kernelINS0_14default_configENS1_27scan_by_key_config_selectorIj11FixedVectorIiLj1EEEEZZNS1_16scan_by_key_implILNS1_25lookback_scan_determinismE0ELb0ES3_N6thrust23THRUST_200600_302600_NS6detail15normal_iteratorINSB_10device_ptrIjEEEENSD_INSE_IS6_EEEESI_S6_NSB_4plusIvEENSB_8equal_toIvEES6_EE10hipError_tPvRmT2_T3_T4_T5_mT6_T7_P12ihipStream_tbENKUlT_T0_E_clISt17integral_constantIbLb1EES12_IbLb0EEEEDaSY_SZ_EUlSY_E_NS1_11comp_targetILNS1_3genE10ELNS1_11target_archE1201ELNS1_3gpuE5ELNS1_3repE0EEENS1_30default_config_static_selectorELNS0_4arch9wavefront6targetE0EEEvT1_, .Lfunc_end1892-_ZN7rocprim17ROCPRIM_400000_NS6detail17trampoline_kernelINS0_14default_configENS1_27scan_by_key_config_selectorIj11FixedVectorIiLj1EEEEZZNS1_16scan_by_key_implILNS1_25lookback_scan_determinismE0ELb0ES3_N6thrust23THRUST_200600_302600_NS6detail15normal_iteratorINSB_10device_ptrIjEEEENSD_INSE_IS6_EEEESI_S6_NSB_4plusIvEENSB_8equal_toIvEES6_EE10hipError_tPvRmT2_T3_T4_T5_mT6_T7_P12ihipStream_tbENKUlT_T0_E_clISt17integral_constantIbLb1EES12_IbLb0EEEEDaSY_SZ_EUlSY_E_NS1_11comp_targetILNS1_3genE10ELNS1_11target_archE1201ELNS1_3gpuE5ELNS1_3repE0EEENS1_30default_config_static_selectorELNS0_4arch9wavefront6targetE0EEEvT1_
                                        ; -- End function
	.set _ZN7rocprim17ROCPRIM_400000_NS6detail17trampoline_kernelINS0_14default_configENS1_27scan_by_key_config_selectorIj11FixedVectorIiLj1EEEEZZNS1_16scan_by_key_implILNS1_25lookback_scan_determinismE0ELb0ES3_N6thrust23THRUST_200600_302600_NS6detail15normal_iteratorINSB_10device_ptrIjEEEENSD_INSE_IS6_EEEESI_S6_NSB_4plusIvEENSB_8equal_toIvEES6_EE10hipError_tPvRmT2_T3_T4_T5_mT6_T7_P12ihipStream_tbENKUlT_T0_E_clISt17integral_constantIbLb1EES12_IbLb0EEEEDaSY_SZ_EUlSY_E_NS1_11comp_targetILNS1_3genE10ELNS1_11target_archE1201ELNS1_3gpuE5ELNS1_3repE0EEENS1_30default_config_static_selectorELNS0_4arch9wavefront6targetE0EEEvT1_.num_vgpr, 0
	.set _ZN7rocprim17ROCPRIM_400000_NS6detail17trampoline_kernelINS0_14default_configENS1_27scan_by_key_config_selectorIj11FixedVectorIiLj1EEEEZZNS1_16scan_by_key_implILNS1_25lookback_scan_determinismE0ELb0ES3_N6thrust23THRUST_200600_302600_NS6detail15normal_iteratorINSB_10device_ptrIjEEEENSD_INSE_IS6_EEEESI_S6_NSB_4plusIvEENSB_8equal_toIvEES6_EE10hipError_tPvRmT2_T3_T4_T5_mT6_T7_P12ihipStream_tbENKUlT_T0_E_clISt17integral_constantIbLb1EES12_IbLb0EEEEDaSY_SZ_EUlSY_E_NS1_11comp_targetILNS1_3genE10ELNS1_11target_archE1201ELNS1_3gpuE5ELNS1_3repE0EEENS1_30default_config_static_selectorELNS0_4arch9wavefront6targetE0EEEvT1_.num_agpr, 0
	.set _ZN7rocprim17ROCPRIM_400000_NS6detail17trampoline_kernelINS0_14default_configENS1_27scan_by_key_config_selectorIj11FixedVectorIiLj1EEEEZZNS1_16scan_by_key_implILNS1_25lookback_scan_determinismE0ELb0ES3_N6thrust23THRUST_200600_302600_NS6detail15normal_iteratorINSB_10device_ptrIjEEEENSD_INSE_IS6_EEEESI_S6_NSB_4plusIvEENSB_8equal_toIvEES6_EE10hipError_tPvRmT2_T3_T4_T5_mT6_T7_P12ihipStream_tbENKUlT_T0_E_clISt17integral_constantIbLb1EES12_IbLb0EEEEDaSY_SZ_EUlSY_E_NS1_11comp_targetILNS1_3genE10ELNS1_11target_archE1201ELNS1_3gpuE5ELNS1_3repE0EEENS1_30default_config_static_selectorELNS0_4arch9wavefront6targetE0EEEvT1_.numbered_sgpr, 0
	.set _ZN7rocprim17ROCPRIM_400000_NS6detail17trampoline_kernelINS0_14default_configENS1_27scan_by_key_config_selectorIj11FixedVectorIiLj1EEEEZZNS1_16scan_by_key_implILNS1_25lookback_scan_determinismE0ELb0ES3_N6thrust23THRUST_200600_302600_NS6detail15normal_iteratorINSB_10device_ptrIjEEEENSD_INSE_IS6_EEEESI_S6_NSB_4plusIvEENSB_8equal_toIvEES6_EE10hipError_tPvRmT2_T3_T4_T5_mT6_T7_P12ihipStream_tbENKUlT_T0_E_clISt17integral_constantIbLb1EES12_IbLb0EEEEDaSY_SZ_EUlSY_E_NS1_11comp_targetILNS1_3genE10ELNS1_11target_archE1201ELNS1_3gpuE5ELNS1_3repE0EEENS1_30default_config_static_selectorELNS0_4arch9wavefront6targetE0EEEvT1_.num_named_barrier, 0
	.set _ZN7rocprim17ROCPRIM_400000_NS6detail17trampoline_kernelINS0_14default_configENS1_27scan_by_key_config_selectorIj11FixedVectorIiLj1EEEEZZNS1_16scan_by_key_implILNS1_25lookback_scan_determinismE0ELb0ES3_N6thrust23THRUST_200600_302600_NS6detail15normal_iteratorINSB_10device_ptrIjEEEENSD_INSE_IS6_EEEESI_S6_NSB_4plusIvEENSB_8equal_toIvEES6_EE10hipError_tPvRmT2_T3_T4_T5_mT6_T7_P12ihipStream_tbENKUlT_T0_E_clISt17integral_constantIbLb1EES12_IbLb0EEEEDaSY_SZ_EUlSY_E_NS1_11comp_targetILNS1_3genE10ELNS1_11target_archE1201ELNS1_3gpuE5ELNS1_3repE0EEENS1_30default_config_static_selectorELNS0_4arch9wavefront6targetE0EEEvT1_.private_seg_size, 0
	.set _ZN7rocprim17ROCPRIM_400000_NS6detail17trampoline_kernelINS0_14default_configENS1_27scan_by_key_config_selectorIj11FixedVectorIiLj1EEEEZZNS1_16scan_by_key_implILNS1_25lookback_scan_determinismE0ELb0ES3_N6thrust23THRUST_200600_302600_NS6detail15normal_iteratorINSB_10device_ptrIjEEEENSD_INSE_IS6_EEEESI_S6_NSB_4plusIvEENSB_8equal_toIvEES6_EE10hipError_tPvRmT2_T3_T4_T5_mT6_T7_P12ihipStream_tbENKUlT_T0_E_clISt17integral_constantIbLb1EES12_IbLb0EEEEDaSY_SZ_EUlSY_E_NS1_11comp_targetILNS1_3genE10ELNS1_11target_archE1201ELNS1_3gpuE5ELNS1_3repE0EEENS1_30default_config_static_selectorELNS0_4arch9wavefront6targetE0EEEvT1_.uses_vcc, 0
	.set _ZN7rocprim17ROCPRIM_400000_NS6detail17trampoline_kernelINS0_14default_configENS1_27scan_by_key_config_selectorIj11FixedVectorIiLj1EEEEZZNS1_16scan_by_key_implILNS1_25lookback_scan_determinismE0ELb0ES3_N6thrust23THRUST_200600_302600_NS6detail15normal_iteratorINSB_10device_ptrIjEEEENSD_INSE_IS6_EEEESI_S6_NSB_4plusIvEENSB_8equal_toIvEES6_EE10hipError_tPvRmT2_T3_T4_T5_mT6_T7_P12ihipStream_tbENKUlT_T0_E_clISt17integral_constantIbLb1EES12_IbLb0EEEEDaSY_SZ_EUlSY_E_NS1_11comp_targetILNS1_3genE10ELNS1_11target_archE1201ELNS1_3gpuE5ELNS1_3repE0EEENS1_30default_config_static_selectorELNS0_4arch9wavefront6targetE0EEEvT1_.uses_flat_scratch, 0
	.set _ZN7rocprim17ROCPRIM_400000_NS6detail17trampoline_kernelINS0_14default_configENS1_27scan_by_key_config_selectorIj11FixedVectorIiLj1EEEEZZNS1_16scan_by_key_implILNS1_25lookback_scan_determinismE0ELb0ES3_N6thrust23THRUST_200600_302600_NS6detail15normal_iteratorINSB_10device_ptrIjEEEENSD_INSE_IS6_EEEESI_S6_NSB_4plusIvEENSB_8equal_toIvEES6_EE10hipError_tPvRmT2_T3_T4_T5_mT6_T7_P12ihipStream_tbENKUlT_T0_E_clISt17integral_constantIbLb1EES12_IbLb0EEEEDaSY_SZ_EUlSY_E_NS1_11comp_targetILNS1_3genE10ELNS1_11target_archE1201ELNS1_3gpuE5ELNS1_3repE0EEENS1_30default_config_static_selectorELNS0_4arch9wavefront6targetE0EEEvT1_.has_dyn_sized_stack, 0
	.set _ZN7rocprim17ROCPRIM_400000_NS6detail17trampoline_kernelINS0_14default_configENS1_27scan_by_key_config_selectorIj11FixedVectorIiLj1EEEEZZNS1_16scan_by_key_implILNS1_25lookback_scan_determinismE0ELb0ES3_N6thrust23THRUST_200600_302600_NS6detail15normal_iteratorINSB_10device_ptrIjEEEENSD_INSE_IS6_EEEESI_S6_NSB_4plusIvEENSB_8equal_toIvEES6_EE10hipError_tPvRmT2_T3_T4_T5_mT6_T7_P12ihipStream_tbENKUlT_T0_E_clISt17integral_constantIbLb1EES12_IbLb0EEEEDaSY_SZ_EUlSY_E_NS1_11comp_targetILNS1_3genE10ELNS1_11target_archE1201ELNS1_3gpuE5ELNS1_3repE0EEENS1_30default_config_static_selectorELNS0_4arch9wavefront6targetE0EEEvT1_.has_recursion, 0
	.set _ZN7rocprim17ROCPRIM_400000_NS6detail17trampoline_kernelINS0_14default_configENS1_27scan_by_key_config_selectorIj11FixedVectorIiLj1EEEEZZNS1_16scan_by_key_implILNS1_25lookback_scan_determinismE0ELb0ES3_N6thrust23THRUST_200600_302600_NS6detail15normal_iteratorINSB_10device_ptrIjEEEENSD_INSE_IS6_EEEESI_S6_NSB_4plusIvEENSB_8equal_toIvEES6_EE10hipError_tPvRmT2_T3_T4_T5_mT6_T7_P12ihipStream_tbENKUlT_T0_E_clISt17integral_constantIbLb1EES12_IbLb0EEEEDaSY_SZ_EUlSY_E_NS1_11comp_targetILNS1_3genE10ELNS1_11target_archE1201ELNS1_3gpuE5ELNS1_3repE0EEENS1_30default_config_static_selectorELNS0_4arch9wavefront6targetE0EEEvT1_.has_indirect_call, 0
	.section	.AMDGPU.csdata,"",@progbits
; Kernel info:
; codeLenInByte = 0
; TotalNumSgprs: 0
; NumVgprs: 0
; ScratchSize: 0
; MemoryBound: 0
; FloatMode: 240
; IeeeMode: 1
; LDSByteSize: 0 bytes/workgroup (compile time only)
; SGPRBlocks: 0
; VGPRBlocks: 0
; NumSGPRsForWavesPerEU: 1
; NumVGPRsForWavesPerEU: 1
; Occupancy: 16
; WaveLimiterHint : 0
; COMPUTE_PGM_RSRC2:SCRATCH_EN: 0
; COMPUTE_PGM_RSRC2:USER_SGPR: 6
; COMPUTE_PGM_RSRC2:TRAP_HANDLER: 0
; COMPUTE_PGM_RSRC2:TGID_X_EN: 1
; COMPUTE_PGM_RSRC2:TGID_Y_EN: 0
; COMPUTE_PGM_RSRC2:TGID_Z_EN: 0
; COMPUTE_PGM_RSRC2:TIDIG_COMP_CNT: 0
	.section	.text._ZN7rocprim17ROCPRIM_400000_NS6detail17trampoline_kernelINS0_14default_configENS1_27scan_by_key_config_selectorIj11FixedVectorIiLj1EEEEZZNS1_16scan_by_key_implILNS1_25lookback_scan_determinismE0ELb0ES3_N6thrust23THRUST_200600_302600_NS6detail15normal_iteratorINSB_10device_ptrIjEEEENSD_INSE_IS6_EEEESI_S6_NSB_4plusIvEENSB_8equal_toIvEES6_EE10hipError_tPvRmT2_T3_T4_T5_mT6_T7_P12ihipStream_tbENKUlT_T0_E_clISt17integral_constantIbLb1EES12_IbLb0EEEEDaSY_SZ_EUlSY_E_NS1_11comp_targetILNS1_3genE5ELNS1_11target_archE942ELNS1_3gpuE9ELNS1_3repE0EEENS1_30default_config_static_selectorELNS0_4arch9wavefront6targetE0EEEvT1_,"axG",@progbits,_ZN7rocprim17ROCPRIM_400000_NS6detail17trampoline_kernelINS0_14default_configENS1_27scan_by_key_config_selectorIj11FixedVectorIiLj1EEEEZZNS1_16scan_by_key_implILNS1_25lookback_scan_determinismE0ELb0ES3_N6thrust23THRUST_200600_302600_NS6detail15normal_iteratorINSB_10device_ptrIjEEEENSD_INSE_IS6_EEEESI_S6_NSB_4plusIvEENSB_8equal_toIvEES6_EE10hipError_tPvRmT2_T3_T4_T5_mT6_T7_P12ihipStream_tbENKUlT_T0_E_clISt17integral_constantIbLb1EES12_IbLb0EEEEDaSY_SZ_EUlSY_E_NS1_11comp_targetILNS1_3genE5ELNS1_11target_archE942ELNS1_3gpuE9ELNS1_3repE0EEENS1_30default_config_static_selectorELNS0_4arch9wavefront6targetE0EEEvT1_,comdat
	.protected	_ZN7rocprim17ROCPRIM_400000_NS6detail17trampoline_kernelINS0_14default_configENS1_27scan_by_key_config_selectorIj11FixedVectorIiLj1EEEEZZNS1_16scan_by_key_implILNS1_25lookback_scan_determinismE0ELb0ES3_N6thrust23THRUST_200600_302600_NS6detail15normal_iteratorINSB_10device_ptrIjEEEENSD_INSE_IS6_EEEESI_S6_NSB_4plusIvEENSB_8equal_toIvEES6_EE10hipError_tPvRmT2_T3_T4_T5_mT6_T7_P12ihipStream_tbENKUlT_T0_E_clISt17integral_constantIbLb1EES12_IbLb0EEEEDaSY_SZ_EUlSY_E_NS1_11comp_targetILNS1_3genE5ELNS1_11target_archE942ELNS1_3gpuE9ELNS1_3repE0EEENS1_30default_config_static_selectorELNS0_4arch9wavefront6targetE0EEEvT1_ ; -- Begin function _ZN7rocprim17ROCPRIM_400000_NS6detail17trampoline_kernelINS0_14default_configENS1_27scan_by_key_config_selectorIj11FixedVectorIiLj1EEEEZZNS1_16scan_by_key_implILNS1_25lookback_scan_determinismE0ELb0ES3_N6thrust23THRUST_200600_302600_NS6detail15normal_iteratorINSB_10device_ptrIjEEEENSD_INSE_IS6_EEEESI_S6_NSB_4plusIvEENSB_8equal_toIvEES6_EE10hipError_tPvRmT2_T3_T4_T5_mT6_T7_P12ihipStream_tbENKUlT_T0_E_clISt17integral_constantIbLb1EES12_IbLb0EEEEDaSY_SZ_EUlSY_E_NS1_11comp_targetILNS1_3genE5ELNS1_11target_archE942ELNS1_3gpuE9ELNS1_3repE0EEENS1_30default_config_static_selectorELNS0_4arch9wavefront6targetE0EEEvT1_
	.globl	_ZN7rocprim17ROCPRIM_400000_NS6detail17trampoline_kernelINS0_14default_configENS1_27scan_by_key_config_selectorIj11FixedVectorIiLj1EEEEZZNS1_16scan_by_key_implILNS1_25lookback_scan_determinismE0ELb0ES3_N6thrust23THRUST_200600_302600_NS6detail15normal_iteratorINSB_10device_ptrIjEEEENSD_INSE_IS6_EEEESI_S6_NSB_4plusIvEENSB_8equal_toIvEES6_EE10hipError_tPvRmT2_T3_T4_T5_mT6_T7_P12ihipStream_tbENKUlT_T0_E_clISt17integral_constantIbLb1EES12_IbLb0EEEEDaSY_SZ_EUlSY_E_NS1_11comp_targetILNS1_3genE5ELNS1_11target_archE942ELNS1_3gpuE9ELNS1_3repE0EEENS1_30default_config_static_selectorELNS0_4arch9wavefront6targetE0EEEvT1_
	.p2align	8
	.type	_ZN7rocprim17ROCPRIM_400000_NS6detail17trampoline_kernelINS0_14default_configENS1_27scan_by_key_config_selectorIj11FixedVectorIiLj1EEEEZZNS1_16scan_by_key_implILNS1_25lookback_scan_determinismE0ELb0ES3_N6thrust23THRUST_200600_302600_NS6detail15normal_iteratorINSB_10device_ptrIjEEEENSD_INSE_IS6_EEEESI_S6_NSB_4plusIvEENSB_8equal_toIvEES6_EE10hipError_tPvRmT2_T3_T4_T5_mT6_T7_P12ihipStream_tbENKUlT_T0_E_clISt17integral_constantIbLb1EES12_IbLb0EEEEDaSY_SZ_EUlSY_E_NS1_11comp_targetILNS1_3genE5ELNS1_11target_archE942ELNS1_3gpuE9ELNS1_3repE0EEENS1_30default_config_static_selectorELNS0_4arch9wavefront6targetE0EEEvT1_,@function
_ZN7rocprim17ROCPRIM_400000_NS6detail17trampoline_kernelINS0_14default_configENS1_27scan_by_key_config_selectorIj11FixedVectorIiLj1EEEEZZNS1_16scan_by_key_implILNS1_25lookback_scan_determinismE0ELb0ES3_N6thrust23THRUST_200600_302600_NS6detail15normal_iteratorINSB_10device_ptrIjEEEENSD_INSE_IS6_EEEESI_S6_NSB_4plusIvEENSB_8equal_toIvEES6_EE10hipError_tPvRmT2_T3_T4_T5_mT6_T7_P12ihipStream_tbENKUlT_T0_E_clISt17integral_constantIbLb1EES12_IbLb0EEEEDaSY_SZ_EUlSY_E_NS1_11comp_targetILNS1_3genE5ELNS1_11target_archE942ELNS1_3gpuE9ELNS1_3repE0EEENS1_30default_config_static_selectorELNS0_4arch9wavefront6targetE0EEEvT1_: ; @_ZN7rocprim17ROCPRIM_400000_NS6detail17trampoline_kernelINS0_14default_configENS1_27scan_by_key_config_selectorIj11FixedVectorIiLj1EEEEZZNS1_16scan_by_key_implILNS1_25lookback_scan_determinismE0ELb0ES3_N6thrust23THRUST_200600_302600_NS6detail15normal_iteratorINSB_10device_ptrIjEEEENSD_INSE_IS6_EEEESI_S6_NSB_4plusIvEENSB_8equal_toIvEES6_EE10hipError_tPvRmT2_T3_T4_T5_mT6_T7_P12ihipStream_tbENKUlT_T0_E_clISt17integral_constantIbLb1EES12_IbLb0EEEEDaSY_SZ_EUlSY_E_NS1_11comp_targetILNS1_3genE5ELNS1_11target_archE942ELNS1_3gpuE9ELNS1_3repE0EEENS1_30default_config_static_selectorELNS0_4arch9wavefront6targetE0EEEvT1_
; %bb.0:
	.section	.rodata,"a",@progbits
	.p2align	6, 0x0
	.amdhsa_kernel _ZN7rocprim17ROCPRIM_400000_NS6detail17trampoline_kernelINS0_14default_configENS1_27scan_by_key_config_selectorIj11FixedVectorIiLj1EEEEZZNS1_16scan_by_key_implILNS1_25lookback_scan_determinismE0ELb0ES3_N6thrust23THRUST_200600_302600_NS6detail15normal_iteratorINSB_10device_ptrIjEEEENSD_INSE_IS6_EEEESI_S6_NSB_4plusIvEENSB_8equal_toIvEES6_EE10hipError_tPvRmT2_T3_T4_T5_mT6_T7_P12ihipStream_tbENKUlT_T0_E_clISt17integral_constantIbLb1EES12_IbLb0EEEEDaSY_SZ_EUlSY_E_NS1_11comp_targetILNS1_3genE5ELNS1_11target_archE942ELNS1_3gpuE9ELNS1_3repE0EEENS1_30default_config_static_selectorELNS0_4arch9wavefront6targetE0EEEvT1_
		.amdhsa_group_segment_fixed_size 0
		.amdhsa_private_segment_fixed_size 0
		.amdhsa_kernarg_size 112
		.amdhsa_user_sgpr_count 6
		.amdhsa_user_sgpr_private_segment_buffer 1
		.amdhsa_user_sgpr_dispatch_ptr 0
		.amdhsa_user_sgpr_queue_ptr 0
		.amdhsa_user_sgpr_kernarg_segment_ptr 1
		.amdhsa_user_sgpr_dispatch_id 0
		.amdhsa_user_sgpr_flat_scratch_init 0
		.amdhsa_user_sgpr_private_segment_size 0
		.amdhsa_wavefront_size32 1
		.amdhsa_uses_dynamic_stack 0
		.amdhsa_system_sgpr_private_segment_wavefront_offset 0
		.amdhsa_system_sgpr_workgroup_id_x 1
		.amdhsa_system_sgpr_workgroup_id_y 0
		.amdhsa_system_sgpr_workgroup_id_z 0
		.amdhsa_system_sgpr_workgroup_info 0
		.amdhsa_system_vgpr_workitem_id 0
		.amdhsa_next_free_vgpr 1
		.amdhsa_next_free_sgpr 1
		.amdhsa_reserve_vcc 0
		.amdhsa_reserve_flat_scratch 0
		.amdhsa_float_round_mode_32 0
		.amdhsa_float_round_mode_16_64 0
		.amdhsa_float_denorm_mode_32 3
		.amdhsa_float_denorm_mode_16_64 3
		.amdhsa_dx10_clamp 1
		.amdhsa_ieee_mode 1
		.amdhsa_fp16_overflow 0
		.amdhsa_workgroup_processor_mode 1
		.amdhsa_memory_ordered 1
		.amdhsa_forward_progress 1
		.amdhsa_shared_vgpr_count 0
		.amdhsa_exception_fp_ieee_invalid_op 0
		.amdhsa_exception_fp_denorm_src 0
		.amdhsa_exception_fp_ieee_div_zero 0
		.amdhsa_exception_fp_ieee_overflow 0
		.amdhsa_exception_fp_ieee_underflow 0
		.amdhsa_exception_fp_ieee_inexact 0
		.amdhsa_exception_int_div_zero 0
	.end_amdhsa_kernel
	.section	.text._ZN7rocprim17ROCPRIM_400000_NS6detail17trampoline_kernelINS0_14default_configENS1_27scan_by_key_config_selectorIj11FixedVectorIiLj1EEEEZZNS1_16scan_by_key_implILNS1_25lookback_scan_determinismE0ELb0ES3_N6thrust23THRUST_200600_302600_NS6detail15normal_iteratorINSB_10device_ptrIjEEEENSD_INSE_IS6_EEEESI_S6_NSB_4plusIvEENSB_8equal_toIvEES6_EE10hipError_tPvRmT2_T3_T4_T5_mT6_T7_P12ihipStream_tbENKUlT_T0_E_clISt17integral_constantIbLb1EES12_IbLb0EEEEDaSY_SZ_EUlSY_E_NS1_11comp_targetILNS1_3genE5ELNS1_11target_archE942ELNS1_3gpuE9ELNS1_3repE0EEENS1_30default_config_static_selectorELNS0_4arch9wavefront6targetE0EEEvT1_,"axG",@progbits,_ZN7rocprim17ROCPRIM_400000_NS6detail17trampoline_kernelINS0_14default_configENS1_27scan_by_key_config_selectorIj11FixedVectorIiLj1EEEEZZNS1_16scan_by_key_implILNS1_25lookback_scan_determinismE0ELb0ES3_N6thrust23THRUST_200600_302600_NS6detail15normal_iteratorINSB_10device_ptrIjEEEENSD_INSE_IS6_EEEESI_S6_NSB_4plusIvEENSB_8equal_toIvEES6_EE10hipError_tPvRmT2_T3_T4_T5_mT6_T7_P12ihipStream_tbENKUlT_T0_E_clISt17integral_constantIbLb1EES12_IbLb0EEEEDaSY_SZ_EUlSY_E_NS1_11comp_targetILNS1_3genE5ELNS1_11target_archE942ELNS1_3gpuE9ELNS1_3repE0EEENS1_30default_config_static_selectorELNS0_4arch9wavefront6targetE0EEEvT1_,comdat
.Lfunc_end1893:
	.size	_ZN7rocprim17ROCPRIM_400000_NS6detail17trampoline_kernelINS0_14default_configENS1_27scan_by_key_config_selectorIj11FixedVectorIiLj1EEEEZZNS1_16scan_by_key_implILNS1_25lookback_scan_determinismE0ELb0ES3_N6thrust23THRUST_200600_302600_NS6detail15normal_iteratorINSB_10device_ptrIjEEEENSD_INSE_IS6_EEEESI_S6_NSB_4plusIvEENSB_8equal_toIvEES6_EE10hipError_tPvRmT2_T3_T4_T5_mT6_T7_P12ihipStream_tbENKUlT_T0_E_clISt17integral_constantIbLb1EES12_IbLb0EEEEDaSY_SZ_EUlSY_E_NS1_11comp_targetILNS1_3genE5ELNS1_11target_archE942ELNS1_3gpuE9ELNS1_3repE0EEENS1_30default_config_static_selectorELNS0_4arch9wavefront6targetE0EEEvT1_, .Lfunc_end1893-_ZN7rocprim17ROCPRIM_400000_NS6detail17trampoline_kernelINS0_14default_configENS1_27scan_by_key_config_selectorIj11FixedVectorIiLj1EEEEZZNS1_16scan_by_key_implILNS1_25lookback_scan_determinismE0ELb0ES3_N6thrust23THRUST_200600_302600_NS6detail15normal_iteratorINSB_10device_ptrIjEEEENSD_INSE_IS6_EEEESI_S6_NSB_4plusIvEENSB_8equal_toIvEES6_EE10hipError_tPvRmT2_T3_T4_T5_mT6_T7_P12ihipStream_tbENKUlT_T0_E_clISt17integral_constantIbLb1EES12_IbLb0EEEEDaSY_SZ_EUlSY_E_NS1_11comp_targetILNS1_3genE5ELNS1_11target_archE942ELNS1_3gpuE9ELNS1_3repE0EEENS1_30default_config_static_selectorELNS0_4arch9wavefront6targetE0EEEvT1_
                                        ; -- End function
	.set _ZN7rocprim17ROCPRIM_400000_NS6detail17trampoline_kernelINS0_14default_configENS1_27scan_by_key_config_selectorIj11FixedVectorIiLj1EEEEZZNS1_16scan_by_key_implILNS1_25lookback_scan_determinismE0ELb0ES3_N6thrust23THRUST_200600_302600_NS6detail15normal_iteratorINSB_10device_ptrIjEEEENSD_INSE_IS6_EEEESI_S6_NSB_4plusIvEENSB_8equal_toIvEES6_EE10hipError_tPvRmT2_T3_T4_T5_mT6_T7_P12ihipStream_tbENKUlT_T0_E_clISt17integral_constantIbLb1EES12_IbLb0EEEEDaSY_SZ_EUlSY_E_NS1_11comp_targetILNS1_3genE5ELNS1_11target_archE942ELNS1_3gpuE9ELNS1_3repE0EEENS1_30default_config_static_selectorELNS0_4arch9wavefront6targetE0EEEvT1_.num_vgpr, 0
	.set _ZN7rocprim17ROCPRIM_400000_NS6detail17trampoline_kernelINS0_14default_configENS1_27scan_by_key_config_selectorIj11FixedVectorIiLj1EEEEZZNS1_16scan_by_key_implILNS1_25lookback_scan_determinismE0ELb0ES3_N6thrust23THRUST_200600_302600_NS6detail15normal_iteratorINSB_10device_ptrIjEEEENSD_INSE_IS6_EEEESI_S6_NSB_4plusIvEENSB_8equal_toIvEES6_EE10hipError_tPvRmT2_T3_T4_T5_mT6_T7_P12ihipStream_tbENKUlT_T0_E_clISt17integral_constantIbLb1EES12_IbLb0EEEEDaSY_SZ_EUlSY_E_NS1_11comp_targetILNS1_3genE5ELNS1_11target_archE942ELNS1_3gpuE9ELNS1_3repE0EEENS1_30default_config_static_selectorELNS0_4arch9wavefront6targetE0EEEvT1_.num_agpr, 0
	.set _ZN7rocprim17ROCPRIM_400000_NS6detail17trampoline_kernelINS0_14default_configENS1_27scan_by_key_config_selectorIj11FixedVectorIiLj1EEEEZZNS1_16scan_by_key_implILNS1_25lookback_scan_determinismE0ELb0ES3_N6thrust23THRUST_200600_302600_NS6detail15normal_iteratorINSB_10device_ptrIjEEEENSD_INSE_IS6_EEEESI_S6_NSB_4plusIvEENSB_8equal_toIvEES6_EE10hipError_tPvRmT2_T3_T4_T5_mT6_T7_P12ihipStream_tbENKUlT_T0_E_clISt17integral_constantIbLb1EES12_IbLb0EEEEDaSY_SZ_EUlSY_E_NS1_11comp_targetILNS1_3genE5ELNS1_11target_archE942ELNS1_3gpuE9ELNS1_3repE0EEENS1_30default_config_static_selectorELNS0_4arch9wavefront6targetE0EEEvT1_.numbered_sgpr, 0
	.set _ZN7rocprim17ROCPRIM_400000_NS6detail17trampoline_kernelINS0_14default_configENS1_27scan_by_key_config_selectorIj11FixedVectorIiLj1EEEEZZNS1_16scan_by_key_implILNS1_25lookback_scan_determinismE0ELb0ES3_N6thrust23THRUST_200600_302600_NS6detail15normal_iteratorINSB_10device_ptrIjEEEENSD_INSE_IS6_EEEESI_S6_NSB_4plusIvEENSB_8equal_toIvEES6_EE10hipError_tPvRmT2_T3_T4_T5_mT6_T7_P12ihipStream_tbENKUlT_T0_E_clISt17integral_constantIbLb1EES12_IbLb0EEEEDaSY_SZ_EUlSY_E_NS1_11comp_targetILNS1_3genE5ELNS1_11target_archE942ELNS1_3gpuE9ELNS1_3repE0EEENS1_30default_config_static_selectorELNS0_4arch9wavefront6targetE0EEEvT1_.num_named_barrier, 0
	.set _ZN7rocprim17ROCPRIM_400000_NS6detail17trampoline_kernelINS0_14default_configENS1_27scan_by_key_config_selectorIj11FixedVectorIiLj1EEEEZZNS1_16scan_by_key_implILNS1_25lookback_scan_determinismE0ELb0ES3_N6thrust23THRUST_200600_302600_NS6detail15normal_iteratorINSB_10device_ptrIjEEEENSD_INSE_IS6_EEEESI_S6_NSB_4plusIvEENSB_8equal_toIvEES6_EE10hipError_tPvRmT2_T3_T4_T5_mT6_T7_P12ihipStream_tbENKUlT_T0_E_clISt17integral_constantIbLb1EES12_IbLb0EEEEDaSY_SZ_EUlSY_E_NS1_11comp_targetILNS1_3genE5ELNS1_11target_archE942ELNS1_3gpuE9ELNS1_3repE0EEENS1_30default_config_static_selectorELNS0_4arch9wavefront6targetE0EEEvT1_.private_seg_size, 0
	.set _ZN7rocprim17ROCPRIM_400000_NS6detail17trampoline_kernelINS0_14default_configENS1_27scan_by_key_config_selectorIj11FixedVectorIiLj1EEEEZZNS1_16scan_by_key_implILNS1_25lookback_scan_determinismE0ELb0ES3_N6thrust23THRUST_200600_302600_NS6detail15normal_iteratorINSB_10device_ptrIjEEEENSD_INSE_IS6_EEEESI_S6_NSB_4plusIvEENSB_8equal_toIvEES6_EE10hipError_tPvRmT2_T3_T4_T5_mT6_T7_P12ihipStream_tbENKUlT_T0_E_clISt17integral_constantIbLb1EES12_IbLb0EEEEDaSY_SZ_EUlSY_E_NS1_11comp_targetILNS1_3genE5ELNS1_11target_archE942ELNS1_3gpuE9ELNS1_3repE0EEENS1_30default_config_static_selectorELNS0_4arch9wavefront6targetE0EEEvT1_.uses_vcc, 0
	.set _ZN7rocprim17ROCPRIM_400000_NS6detail17trampoline_kernelINS0_14default_configENS1_27scan_by_key_config_selectorIj11FixedVectorIiLj1EEEEZZNS1_16scan_by_key_implILNS1_25lookback_scan_determinismE0ELb0ES3_N6thrust23THRUST_200600_302600_NS6detail15normal_iteratorINSB_10device_ptrIjEEEENSD_INSE_IS6_EEEESI_S6_NSB_4plusIvEENSB_8equal_toIvEES6_EE10hipError_tPvRmT2_T3_T4_T5_mT6_T7_P12ihipStream_tbENKUlT_T0_E_clISt17integral_constantIbLb1EES12_IbLb0EEEEDaSY_SZ_EUlSY_E_NS1_11comp_targetILNS1_3genE5ELNS1_11target_archE942ELNS1_3gpuE9ELNS1_3repE0EEENS1_30default_config_static_selectorELNS0_4arch9wavefront6targetE0EEEvT1_.uses_flat_scratch, 0
	.set _ZN7rocprim17ROCPRIM_400000_NS6detail17trampoline_kernelINS0_14default_configENS1_27scan_by_key_config_selectorIj11FixedVectorIiLj1EEEEZZNS1_16scan_by_key_implILNS1_25lookback_scan_determinismE0ELb0ES3_N6thrust23THRUST_200600_302600_NS6detail15normal_iteratorINSB_10device_ptrIjEEEENSD_INSE_IS6_EEEESI_S6_NSB_4plusIvEENSB_8equal_toIvEES6_EE10hipError_tPvRmT2_T3_T4_T5_mT6_T7_P12ihipStream_tbENKUlT_T0_E_clISt17integral_constantIbLb1EES12_IbLb0EEEEDaSY_SZ_EUlSY_E_NS1_11comp_targetILNS1_3genE5ELNS1_11target_archE942ELNS1_3gpuE9ELNS1_3repE0EEENS1_30default_config_static_selectorELNS0_4arch9wavefront6targetE0EEEvT1_.has_dyn_sized_stack, 0
	.set _ZN7rocprim17ROCPRIM_400000_NS6detail17trampoline_kernelINS0_14default_configENS1_27scan_by_key_config_selectorIj11FixedVectorIiLj1EEEEZZNS1_16scan_by_key_implILNS1_25lookback_scan_determinismE0ELb0ES3_N6thrust23THRUST_200600_302600_NS6detail15normal_iteratorINSB_10device_ptrIjEEEENSD_INSE_IS6_EEEESI_S6_NSB_4plusIvEENSB_8equal_toIvEES6_EE10hipError_tPvRmT2_T3_T4_T5_mT6_T7_P12ihipStream_tbENKUlT_T0_E_clISt17integral_constantIbLb1EES12_IbLb0EEEEDaSY_SZ_EUlSY_E_NS1_11comp_targetILNS1_3genE5ELNS1_11target_archE942ELNS1_3gpuE9ELNS1_3repE0EEENS1_30default_config_static_selectorELNS0_4arch9wavefront6targetE0EEEvT1_.has_recursion, 0
	.set _ZN7rocprim17ROCPRIM_400000_NS6detail17trampoline_kernelINS0_14default_configENS1_27scan_by_key_config_selectorIj11FixedVectorIiLj1EEEEZZNS1_16scan_by_key_implILNS1_25lookback_scan_determinismE0ELb0ES3_N6thrust23THRUST_200600_302600_NS6detail15normal_iteratorINSB_10device_ptrIjEEEENSD_INSE_IS6_EEEESI_S6_NSB_4plusIvEENSB_8equal_toIvEES6_EE10hipError_tPvRmT2_T3_T4_T5_mT6_T7_P12ihipStream_tbENKUlT_T0_E_clISt17integral_constantIbLb1EES12_IbLb0EEEEDaSY_SZ_EUlSY_E_NS1_11comp_targetILNS1_3genE5ELNS1_11target_archE942ELNS1_3gpuE9ELNS1_3repE0EEENS1_30default_config_static_selectorELNS0_4arch9wavefront6targetE0EEEvT1_.has_indirect_call, 0
	.section	.AMDGPU.csdata,"",@progbits
; Kernel info:
; codeLenInByte = 0
; TotalNumSgprs: 0
; NumVgprs: 0
; ScratchSize: 0
; MemoryBound: 0
; FloatMode: 240
; IeeeMode: 1
; LDSByteSize: 0 bytes/workgroup (compile time only)
; SGPRBlocks: 0
; VGPRBlocks: 0
; NumSGPRsForWavesPerEU: 1
; NumVGPRsForWavesPerEU: 1
; Occupancy: 16
; WaveLimiterHint : 0
; COMPUTE_PGM_RSRC2:SCRATCH_EN: 0
; COMPUTE_PGM_RSRC2:USER_SGPR: 6
; COMPUTE_PGM_RSRC2:TRAP_HANDLER: 0
; COMPUTE_PGM_RSRC2:TGID_X_EN: 1
; COMPUTE_PGM_RSRC2:TGID_Y_EN: 0
; COMPUTE_PGM_RSRC2:TGID_Z_EN: 0
; COMPUTE_PGM_RSRC2:TIDIG_COMP_CNT: 0
	.section	.text._ZN7rocprim17ROCPRIM_400000_NS6detail17trampoline_kernelINS0_14default_configENS1_27scan_by_key_config_selectorIj11FixedVectorIiLj1EEEEZZNS1_16scan_by_key_implILNS1_25lookback_scan_determinismE0ELb0ES3_N6thrust23THRUST_200600_302600_NS6detail15normal_iteratorINSB_10device_ptrIjEEEENSD_INSE_IS6_EEEESI_S6_NSB_4plusIvEENSB_8equal_toIvEES6_EE10hipError_tPvRmT2_T3_T4_T5_mT6_T7_P12ihipStream_tbENKUlT_T0_E_clISt17integral_constantIbLb1EES12_IbLb0EEEEDaSY_SZ_EUlSY_E_NS1_11comp_targetILNS1_3genE4ELNS1_11target_archE910ELNS1_3gpuE8ELNS1_3repE0EEENS1_30default_config_static_selectorELNS0_4arch9wavefront6targetE0EEEvT1_,"axG",@progbits,_ZN7rocprim17ROCPRIM_400000_NS6detail17trampoline_kernelINS0_14default_configENS1_27scan_by_key_config_selectorIj11FixedVectorIiLj1EEEEZZNS1_16scan_by_key_implILNS1_25lookback_scan_determinismE0ELb0ES3_N6thrust23THRUST_200600_302600_NS6detail15normal_iteratorINSB_10device_ptrIjEEEENSD_INSE_IS6_EEEESI_S6_NSB_4plusIvEENSB_8equal_toIvEES6_EE10hipError_tPvRmT2_T3_T4_T5_mT6_T7_P12ihipStream_tbENKUlT_T0_E_clISt17integral_constantIbLb1EES12_IbLb0EEEEDaSY_SZ_EUlSY_E_NS1_11comp_targetILNS1_3genE4ELNS1_11target_archE910ELNS1_3gpuE8ELNS1_3repE0EEENS1_30default_config_static_selectorELNS0_4arch9wavefront6targetE0EEEvT1_,comdat
	.protected	_ZN7rocprim17ROCPRIM_400000_NS6detail17trampoline_kernelINS0_14default_configENS1_27scan_by_key_config_selectorIj11FixedVectorIiLj1EEEEZZNS1_16scan_by_key_implILNS1_25lookback_scan_determinismE0ELb0ES3_N6thrust23THRUST_200600_302600_NS6detail15normal_iteratorINSB_10device_ptrIjEEEENSD_INSE_IS6_EEEESI_S6_NSB_4plusIvEENSB_8equal_toIvEES6_EE10hipError_tPvRmT2_T3_T4_T5_mT6_T7_P12ihipStream_tbENKUlT_T0_E_clISt17integral_constantIbLb1EES12_IbLb0EEEEDaSY_SZ_EUlSY_E_NS1_11comp_targetILNS1_3genE4ELNS1_11target_archE910ELNS1_3gpuE8ELNS1_3repE0EEENS1_30default_config_static_selectorELNS0_4arch9wavefront6targetE0EEEvT1_ ; -- Begin function _ZN7rocprim17ROCPRIM_400000_NS6detail17trampoline_kernelINS0_14default_configENS1_27scan_by_key_config_selectorIj11FixedVectorIiLj1EEEEZZNS1_16scan_by_key_implILNS1_25lookback_scan_determinismE0ELb0ES3_N6thrust23THRUST_200600_302600_NS6detail15normal_iteratorINSB_10device_ptrIjEEEENSD_INSE_IS6_EEEESI_S6_NSB_4plusIvEENSB_8equal_toIvEES6_EE10hipError_tPvRmT2_T3_T4_T5_mT6_T7_P12ihipStream_tbENKUlT_T0_E_clISt17integral_constantIbLb1EES12_IbLb0EEEEDaSY_SZ_EUlSY_E_NS1_11comp_targetILNS1_3genE4ELNS1_11target_archE910ELNS1_3gpuE8ELNS1_3repE0EEENS1_30default_config_static_selectorELNS0_4arch9wavefront6targetE0EEEvT1_
	.globl	_ZN7rocprim17ROCPRIM_400000_NS6detail17trampoline_kernelINS0_14default_configENS1_27scan_by_key_config_selectorIj11FixedVectorIiLj1EEEEZZNS1_16scan_by_key_implILNS1_25lookback_scan_determinismE0ELb0ES3_N6thrust23THRUST_200600_302600_NS6detail15normal_iteratorINSB_10device_ptrIjEEEENSD_INSE_IS6_EEEESI_S6_NSB_4plusIvEENSB_8equal_toIvEES6_EE10hipError_tPvRmT2_T3_T4_T5_mT6_T7_P12ihipStream_tbENKUlT_T0_E_clISt17integral_constantIbLb1EES12_IbLb0EEEEDaSY_SZ_EUlSY_E_NS1_11comp_targetILNS1_3genE4ELNS1_11target_archE910ELNS1_3gpuE8ELNS1_3repE0EEENS1_30default_config_static_selectorELNS0_4arch9wavefront6targetE0EEEvT1_
	.p2align	8
	.type	_ZN7rocprim17ROCPRIM_400000_NS6detail17trampoline_kernelINS0_14default_configENS1_27scan_by_key_config_selectorIj11FixedVectorIiLj1EEEEZZNS1_16scan_by_key_implILNS1_25lookback_scan_determinismE0ELb0ES3_N6thrust23THRUST_200600_302600_NS6detail15normal_iteratorINSB_10device_ptrIjEEEENSD_INSE_IS6_EEEESI_S6_NSB_4plusIvEENSB_8equal_toIvEES6_EE10hipError_tPvRmT2_T3_T4_T5_mT6_T7_P12ihipStream_tbENKUlT_T0_E_clISt17integral_constantIbLb1EES12_IbLb0EEEEDaSY_SZ_EUlSY_E_NS1_11comp_targetILNS1_3genE4ELNS1_11target_archE910ELNS1_3gpuE8ELNS1_3repE0EEENS1_30default_config_static_selectorELNS0_4arch9wavefront6targetE0EEEvT1_,@function
_ZN7rocprim17ROCPRIM_400000_NS6detail17trampoline_kernelINS0_14default_configENS1_27scan_by_key_config_selectorIj11FixedVectorIiLj1EEEEZZNS1_16scan_by_key_implILNS1_25lookback_scan_determinismE0ELb0ES3_N6thrust23THRUST_200600_302600_NS6detail15normal_iteratorINSB_10device_ptrIjEEEENSD_INSE_IS6_EEEESI_S6_NSB_4plusIvEENSB_8equal_toIvEES6_EE10hipError_tPvRmT2_T3_T4_T5_mT6_T7_P12ihipStream_tbENKUlT_T0_E_clISt17integral_constantIbLb1EES12_IbLb0EEEEDaSY_SZ_EUlSY_E_NS1_11comp_targetILNS1_3genE4ELNS1_11target_archE910ELNS1_3gpuE8ELNS1_3repE0EEENS1_30default_config_static_selectorELNS0_4arch9wavefront6targetE0EEEvT1_: ; @_ZN7rocprim17ROCPRIM_400000_NS6detail17trampoline_kernelINS0_14default_configENS1_27scan_by_key_config_selectorIj11FixedVectorIiLj1EEEEZZNS1_16scan_by_key_implILNS1_25lookback_scan_determinismE0ELb0ES3_N6thrust23THRUST_200600_302600_NS6detail15normal_iteratorINSB_10device_ptrIjEEEENSD_INSE_IS6_EEEESI_S6_NSB_4plusIvEENSB_8equal_toIvEES6_EE10hipError_tPvRmT2_T3_T4_T5_mT6_T7_P12ihipStream_tbENKUlT_T0_E_clISt17integral_constantIbLb1EES12_IbLb0EEEEDaSY_SZ_EUlSY_E_NS1_11comp_targetILNS1_3genE4ELNS1_11target_archE910ELNS1_3gpuE8ELNS1_3repE0EEENS1_30default_config_static_selectorELNS0_4arch9wavefront6targetE0EEEvT1_
; %bb.0:
	.section	.rodata,"a",@progbits
	.p2align	6, 0x0
	.amdhsa_kernel _ZN7rocprim17ROCPRIM_400000_NS6detail17trampoline_kernelINS0_14default_configENS1_27scan_by_key_config_selectorIj11FixedVectorIiLj1EEEEZZNS1_16scan_by_key_implILNS1_25lookback_scan_determinismE0ELb0ES3_N6thrust23THRUST_200600_302600_NS6detail15normal_iteratorINSB_10device_ptrIjEEEENSD_INSE_IS6_EEEESI_S6_NSB_4plusIvEENSB_8equal_toIvEES6_EE10hipError_tPvRmT2_T3_T4_T5_mT6_T7_P12ihipStream_tbENKUlT_T0_E_clISt17integral_constantIbLb1EES12_IbLb0EEEEDaSY_SZ_EUlSY_E_NS1_11comp_targetILNS1_3genE4ELNS1_11target_archE910ELNS1_3gpuE8ELNS1_3repE0EEENS1_30default_config_static_selectorELNS0_4arch9wavefront6targetE0EEEvT1_
		.amdhsa_group_segment_fixed_size 0
		.amdhsa_private_segment_fixed_size 0
		.amdhsa_kernarg_size 112
		.amdhsa_user_sgpr_count 6
		.amdhsa_user_sgpr_private_segment_buffer 1
		.amdhsa_user_sgpr_dispatch_ptr 0
		.amdhsa_user_sgpr_queue_ptr 0
		.amdhsa_user_sgpr_kernarg_segment_ptr 1
		.amdhsa_user_sgpr_dispatch_id 0
		.amdhsa_user_sgpr_flat_scratch_init 0
		.amdhsa_user_sgpr_private_segment_size 0
		.amdhsa_wavefront_size32 1
		.amdhsa_uses_dynamic_stack 0
		.amdhsa_system_sgpr_private_segment_wavefront_offset 0
		.amdhsa_system_sgpr_workgroup_id_x 1
		.amdhsa_system_sgpr_workgroup_id_y 0
		.amdhsa_system_sgpr_workgroup_id_z 0
		.amdhsa_system_sgpr_workgroup_info 0
		.amdhsa_system_vgpr_workitem_id 0
		.amdhsa_next_free_vgpr 1
		.amdhsa_next_free_sgpr 1
		.amdhsa_reserve_vcc 0
		.amdhsa_reserve_flat_scratch 0
		.amdhsa_float_round_mode_32 0
		.amdhsa_float_round_mode_16_64 0
		.amdhsa_float_denorm_mode_32 3
		.amdhsa_float_denorm_mode_16_64 3
		.amdhsa_dx10_clamp 1
		.amdhsa_ieee_mode 1
		.amdhsa_fp16_overflow 0
		.amdhsa_workgroup_processor_mode 1
		.amdhsa_memory_ordered 1
		.amdhsa_forward_progress 1
		.amdhsa_shared_vgpr_count 0
		.amdhsa_exception_fp_ieee_invalid_op 0
		.amdhsa_exception_fp_denorm_src 0
		.amdhsa_exception_fp_ieee_div_zero 0
		.amdhsa_exception_fp_ieee_overflow 0
		.amdhsa_exception_fp_ieee_underflow 0
		.amdhsa_exception_fp_ieee_inexact 0
		.amdhsa_exception_int_div_zero 0
	.end_amdhsa_kernel
	.section	.text._ZN7rocprim17ROCPRIM_400000_NS6detail17trampoline_kernelINS0_14default_configENS1_27scan_by_key_config_selectorIj11FixedVectorIiLj1EEEEZZNS1_16scan_by_key_implILNS1_25lookback_scan_determinismE0ELb0ES3_N6thrust23THRUST_200600_302600_NS6detail15normal_iteratorINSB_10device_ptrIjEEEENSD_INSE_IS6_EEEESI_S6_NSB_4plusIvEENSB_8equal_toIvEES6_EE10hipError_tPvRmT2_T3_T4_T5_mT6_T7_P12ihipStream_tbENKUlT_T0_E_clISt17integral_constantIbLb1EES12_IbLb0EEEEDaSY_SZ_EUlSY_E_NS1_11comp_targetILNS1_3genE4ELNS1_11target_archE910ELNS1_3gpuE8ELNS1_3repE0EEENS1_30default_config_static_selectorELNS0_4arch9wavefront6targetE0EEEvT1_,"axG",@progbits,_ZN7rocprim17ROCPRIM_400000_NS6detail17trampoline_kernelINS0_14default_configENS1_27scan_by_key_config_selectorIj11FixedVectorIiLj1EEEEZZNS1_16scan_by_key_implILNS1_25lookback_scan_determinismE0ELb0ES3_N6thrust23THRUST_200600_302600_NS6detail15normal_iteratorINSB_10device_ptrIjEEEENSD_INSE_IS6_EEEESI_S6_NSB_4plusIvEENSB_8equal_toIvEES6_EE10hipError_tPvRmT2_T3_T4_T5_mT6_T7_P12ihipStream_tbENKUlT_T0_E_clISt17integral_constantIbLb1EES12_IbLb0EEEEDaSY_SZ_EUlSY_E_NS1_11comp_targetILNS1_3genE4ELNS1_11target_archE910ELNS1_3gpuE8ELNS1_3repE0EEENS1_30default_config_static_selectorELNS0_4arch9wavefront6targetE0EEEvT1_,comdat
.Lfunc_end1894:
	.size	_ZN7rocprim17ROCPRIM_400000_NS6detail17trampoline_kernelINS0_14default_configENS1_27scan_by_key_config_selectorIj11FixedVectorIiLj1EEEEZZNS1_16scan_by_key_implILNS1_25lookback_scan_determinismE0ELb0ES3_N6thrust23THRUST_200600_302600_NS6detail15normal_iteratorINSB_10device_ptrIjEEEENSD_INSE_IS6_EEEESI_S6_NSB_4plusIvEENSB_8equal_toIvEES6_EE10hipError_tPvRmT2_T3_T4_T5_mT6_T7_P12ihipStream_tbENKUlT_T0_E_clISt17integral_constantIbLb1EES12_IbLb0EEEEDaSY_SZ_EUlSY_E_NS1_11comp_targetILNS1_3genE4ELNS1_11target_archE910ELNS1_3gpuE8ELNS1_3repE0EEENS1_30default_config_static_selectorELNS0_4arch9wavefront6targetE0EEEvT1_, .Lfunc_end1894-_ZN7rocprim17ROCPRIM_400000_NS6detail17trampoline_kernelINS0_14default_configENS1_27scan_by_key_config_selectorIj11FixedVectorIiLj1EEEEZZNS1_16scan_by_key_implILNS1_25lookback_scan_determinismE0ELb0ES3_N6thrust23THRUST_200600_302600_NS6detail15normal_iteratorINSB_10device_ptrIjEEEENSD_INSE_IS6_EEEESI_S6_NSB_4plusIvEENSB_8equal_toIvEES6_EE10hipError_tPvRmT2_T3_T4_T5_mT6_T7_P12ihipStream_tbENKUlT_T0_E_clISt17integral_constantIbLb1EES12_IbLb0EEEEDaSY_SZ_EUlSY_E_NS1_11comp_targetILNS1_3genE4ELNS1_11target_archE910ELNS1_3gpuE8ELNS1_3repE0EEENS1_30default_config_static_selectorELNS0_4arch9wavefront6targetE0EEEvT1_
                                        ; -- End function
	.set _ZN7rocprim17ROCPRIM_400000_NS6detail17trampoline_kernelINS0_14default_configENS1_27scan_by_key_config_selectorIj11FixedVectorIiLj1EEEEZZNS1_16scan_by_key_implILNS1_25lookback_scan_determinismE0ELb0ES3_N6thrust23THRUST_200600_302600_NS6detail15normal_iteratorINSB_10device_ptrIjEEEENSD_INSE_IS6_EEEESI_S6_NSB_4plusIvEENSB_8equal_toIvEES6_EE10hipError_tPvRmT2_T3_T4_T5_mT6_T7_P12ihipStream_tbENKUlT_T0_E_clISt17integral_constantIbLb1EES12_IbLb0EEEEDaSY_SZ_EUlSY_E_NS1_11comp_targetILNS1_3genE4ELNS1_11target_archE910ELNS1_3gpuE8ELNS1_3repE0EEENS1_30default_config_static_selectorELNS0_4arch9wavefront6targetE0EEEvT1_.num_vgpr, 0
	.set _ZN7rocprim17ROCPRIM_400000_NS6detail17trampoline_kernelINS0_14default_configENS1_27scan_by_key_config_selectorIj11FixedVectorIiLj1EEEEZZNS1_16scan_by_key_implILNS1_25lookback_scan_determinismE0ELb0ES3_N6thrust23THRUST_200600_302600_NS6detail15normal_iteratorINSB_10device_ptrIjEEEENSD_INSE_IS6_EEEESI_S6_NSB_4plusIvEENSB_8equal_toIvEES6_EE10hipError_tPvRmT2_T3_T4_T5_mT6_T7_P12ihipStream_tbENKUlT_T0_E_clISt17integral_constantIbLb1EES12_IbLb0EEEEDaSY_SZ_EUlSY_E_NS1_11comp_targetILNS1_3genE4ELNS1_11target_archE910ELNS1_3gpuE8ELNS1_3repE0EEENS1_30default_config_static_selectorELNS0_4arch9wavefront6targetE0EEEvT1_.num_agpr, 0
	.set _ZN7rocprim17ROCPRIM_400000_NS6detail17trampoline_kernelINS0_14default_configENS1_27scan_by_key_config_selectorIj11FixedVectorIiLj1EEEEZZNS1_16scan_by_key_implILNS1_25lookback_scan_determinismE0ELb0ES3_N6thrust23THRUST_200600_302600_NS6detail15normal_iteratorINSB_10device_ptrIjEEEENSD_INSE_IS6_EEEESI_S6_NSB_4plusIvEENSB_8equal_toIvEES6_EE10hipError_tPvRmT2_T3_T4_T5_mT6_T7_P12ihipStream_tbENKUlT_T0_E_clISt17integral_constantIbLb1EES12_IbLb0EEEEDaSY_SZ_EUlSY_E_NS1_11comp_targetILNS1_3genE4ELNS1_11target_archE910ELNS1_3gpuE8ELNS1_3repE0EEENS1_30default_config_static_selectorELNS0_4arch9wavefront6targetE0EEEvT1_.numbered_sgpr, 0
	.set _ZN7rocprim17ROCPRIM_400000_NS6detail17trampoline_kernelINS0_14default_configENS1_27scan_by_key_config_selectorIj11FixedVectorIiLj1EEEEZZNS1_16scan_by_key_implILNS1_25lookback_scan_determinismE0ELb0ES3_N6thrust23THRUST_200600_302600_NS6detail15normal_iteratorINSB_10device_ptrIjEEEENSD_INSE_IS6_EEEESI_S6_NSB_4plusIvEENSB_8equal_toIvEES6_EE10hipError_tPvRmT2_T3_T4_T5_mT6_T7_P12ihipStream_tbENKUlT_T0_E_clISt17integral_constantIbLb1EES12_IbLb0EEEEDaSY_SZ_EUlSY_E_NS1_11comp_targetILNS1_3genE4ELNS1_11target_archE910ELNS1_3gpuE8ELNS1_3repE0EEENS1_30default_config_static_selectorELNS0_4arch9wavefront6targetE0EEEvT1_.num_named_barrier, 0
	.set _ZN7rocprim17ROCPRIM_400000_NS6detail17trampoline_kernelINS0_14default_configENS1_27scan_by_key_config_selectorIj11FixedVectorIiLj1EEEEZZNS1_16scan_by_key_implILNS1_25lookback_scan_determinismE0ELb0ES3_N6thrust23THRUST_200600_302600_NS6detail15normal_iteratorINSB_10device_ptrIjEEEENSD_INSE_IS6_EEEESI_S6_NSB_4plusIvEENSB_8equal_toIvEES6_EE10hipError_tPvRmT2_T3_T4_T5_mT6_T7_P12ihipStream_tbENKUlT_T0_E_clISt17integral_constantIbLb1EES12_IbLb0EEEEDaSY_SZ_EUlSY_E_NS1_11comp_targetILNS1_3genE4ELNS1_11target_archE910ELNS1_3gpuE8ELNS1_3repE0EEENS1_30default_config_static_selectorELNS0_4arch9wavefront6targetE0EEEvT1_.private_seg_size, 0
	.set _ZN7rocprim17ROCPRIM_400000_NS6detail17trampoline_kernelINS0_14default_configENS1_27scan_by_key_config_selectorIj11FixedVectorIiLj1EEEEZZNS1_16scan_by_key_implILNS1_25lookback_scan_determinismE0ELb0ES3_N6thrust23THRUST_200600_302600_NS6detail15normal_iteratorINSB_10device_ptrIjEEEENSD_INSE_IS6_EEEESI_S6_NSB_4plusIvEENSB_8equal_toIvEES6_EE10hipError_tPvRmT2_T3_T4_T5_mT6_T7_P12ihipStream_tbENKUlT_T0_E_clISt17integral_constantIbLb1EES12_IbLb0EEEEDaSY_SZ_EUlSY_E_NS1_11comp_targetILNS1_3genE4ELNS1_11target_archE910ELNS1_3gpuE8ELNS1_3repE0EEENS1_30default_config_static_selectorELNS0_4arch9wavefront6targetE0EEEvT1_.uses_vcc, 0
	.set _ZN7rocprim17ROCPRIM_400000_NS6detail17trampoline_kernelINS0_14default_configENS1_27scan_by_key_config_selectorIj11FixedVectorIiLj1EEEEZZNS1_16scan_by_key_implILNS1_25lookback_scan_determinismE0ELb0ES3_N6thrust23THRUST_200600_302600_NS6detail15normal_iteratorINSB_10device_ptrIjEEEENSD_INSE_IS6_EEEESI_S6_NSB_4plusIvEENSB_8equal_toIvEES6_EE10hipError_tPvRmT2_T3_T4_T5_mT6_T7_P12ihipStream_tbENKUlT_T0_E_clISt17integral_constantIbLb1EES12_IbLb0EEEEDaSY_SZ_EUlSY_E_NS1_11comp_targetILNS1_3genE4ELNS1_11target_archE910ELNS1_3gpuE8ELNS1_3repE0EEENS1_30default_config_static_selectorELNS0_4arch9wavefront6targetE0EEEvT1_.uses_flat_scratch, 0
	.set _ZN7rocprim17ROCPRIM_400000_NS6detail17trampoline_kernelINS0_14default_configENS1_27scan_by_key_config_selectorIj11FixedVectorIiLj1EEEEZZNS1_16scan_by_key_implILNS1_25lookback_scan_determinismE0ELb0ES3_N6thrust23THRUST_200600_302600_NS6detail15normal_iteratorINSB_10device_ptrIjEEEENSD_INSE_IS6_EEEESI_S6_NSB_4plusIvEENSB_8equal_toIvEES6_EE10hipError_tPvRmT2_T3_T4_T5_mT6_T7_P12ihipStream_tbENKUlT_T0_E_clISt17integral_constantIbLb1EES12_IbLb0EEEEDaSY_SZ_EUlSY_E_NS1_11comp_targetILNS1_3genE4ELNS1_11target_archE910ELNS1_3gpuE8ELNS1_3repE0EEENS1_30default_config_static_selectorELNS0_4arch9wavefront6targetE0EEEvT1_.has_dyn_sized_stack, 0
	.set _ZN7rocprim17ROCPRIM_400000_NS6detail17trampoline_kernelINS0_14default_configENS1_27scan_by_key_config_selectorIj11FixedVectorIiLj1EEEEZZNS1_16scan_by_key_implILNS1_25lookback_scan_determinismE0ELb0ES3_N6thrust23THRUST_200600_302600_NS6detail15normal_iteratorINSB_10device_ptrIjEEEENSD_INSE_IS6_EEEESI_S6_NSB_4plusIvEENSB_8equal_toIvEES6_EE10hipError_tPvRmT2_T3_T4_T5_mT6_T7_P12ihipStream_tbENKUlT_T0_E_clISt17integral_constantIbLb1EES12_IbLb0EEEEDaSY_SZ_EUlSY_E_NS1_11comp_targetILNS1_3genE4ELNS1_11target_archE910ELNS1_3gpuE8ELNS1_3repE0EEENS1_30default_config_static_selectorELNS0_4arch9wavefront6targetE0EEEvT1_.has_recursion, 0
	.set _ZN7rocprim17ROCPRIM_400000_NS6detail17trampoline_kernelINS0_14default_configENS1_27scan_by_key_config_selectorIj11FixedVectorIiLj1EEEEZZNS1_16scan_by_key_implILNS1_25lookback_scan_determinismE0ELb0ES3_N6thrust23THRUST_200600_302600_NS6detail15normal_iteratorINSB_10device_ptrIjEEEENSD_INSE_IS6_EEEESI_S6_NSB_4plusIvEENSB_8equal_toIvEES6_EE10hipError_tPvRmT2_T3_T4_T5_mT6_T7_P12ihipStream_tbENKUlT_T0_E_clISt17integral_constantIbLb1EES12_IbLb0EEEEDaSY_SZ_EUlSY_E_NS1_11comp_targetILNS1_3genE4ELNS1_11target_archE910ELNS1_3gpuE8ELNS1_3repE0EEENS1_30default_config_static_selectorELNS0_4arch9wavefront6targetE0EEEvT1_.has_indirect_call, 0
	.section	.AMDGPU.csdata,"",@progbits
; Kernel info:
; codeLenInByte = 0
; TotalNumSgprs: 0
; NumVgprs: 0
; ScratchSize: 0
; MemoryBound: 0
; FloatMode: 240
; IeeeMode: 1
; LDSByteSize: 0 bytes/workgroup (compile time only)
; SGPRBlocks: 0
; VGPRBlocks: 0
; NumSGPRsForWavesPerEU: 1
; NumVGPRsForWavesPerEU: 1
; Occupancy: 16
; WaveLimiterHint : 0
; COMPUTE_PGM_RSRC2:SCRATCH_EN: 0
; COMPUTE_PGM_RSRC2:USER_SGPR: 6
; COMPUTE_PGM_RSRC2:TRAP_HANDLER: 0
; COMPUTE_PGM_RSRC2:TGID_X_EN: 1
; COMPUTE_PGM_RSRC2:TGID_Y_EN: 0
; COMPUTE_PGM_RSRC2:TGID_Z_EN: 0
; COMPUTE_PGM_RSRC2:TIDIG_COMP_CNT: 0
	.section	.text._ZN7rocprim17ROCPRIM_400000_NS6detail17trampoline_kernelINS0_14default_configENS1_27scan_by_key_config_selectorIj11FixedVectorIiLj1EEEEZZNS1_16scan_by_key_implILNS1_25lookback_scan_determinismE0ELb0ES3_N6thrust23THRUST_200600_302600_NS6detail15normal_iteratorINSB_10device_ptrIjEEEENSD_INSE_IS6_EEEESI_S6_NSB_4plusIvEENSB_8equal_toIvEES6_EE10hipError_tPvRmT2_T3_T4_T5_mT6_T7_P12ihipStream_tbENKUlT_T0_E_clISt17integral_constantIbLb1EES12_IbLb0EEEEDaSY_SZ_EUlSY_E_NS1_11comp_targetILNS1_3genE3ELNS1_11target_archE908ELNS1_3gpuE7ELNS1_3repE0EEENS1_30default_config_static_selectorELNS0_4arch9wavefront6targetE0EEEvT1_,"axG",@progbits,_ZN7rocprim17ROCPRIM_400000_NS6detail17trampoline_kernelINS0_14default_configENS1_27scan_by_key_config_selectorIj11FixedVectorIiLj1EEEEZZNS1_16scan_by_key_implILNS1_25lookback_scan_determinismE0ELb0ES3_N6thrust23THRUST_200600_302600_NS6detail15normal_iteratorINSB_10device_ptrIjEEEENSD_INSE_IS6_EEEESI_S6_NSB_4plusIvEENSB_8equal_toIvEES6_EE10hipError_tPvRmT2_T3_T4_T5_mT6_T7_P12ihipStream_tbENKUlT_T0_E_clISt17integral_constantIbLb1EES12_IbLb0EEEEDaSY_SZ_EUlSY_E_NS1_11comp_targetILNS1_3genE3ELNS1_11target_archE908ELNS1_3gpuE7ELNS1_3repE0EEENS1_30default_config_static_selectorELNS0_4arch9wavefront6targetE0EEEvT1_,comdat
	.protected	_ZN7rocprim17ROCPRIM_400000_NS6detail17trampoline_kernelINS0_14default_configENS1_27scan_by_key_config_selectorIj11FixedVectorIiLj1EEEEZZNS1_16scan_by_key_implILNS1_25lookback_scan_determinismE0ELb0ES3_N6thrust23THRUST_200600_302600_NS6detail15normal_iteratorINSB_10device_ptrIjEEEENSD_INSE_IS6_EEEESI_S6_NSB_4plusIvEENSB_8equal_toIvEES6_EE10hipError_tPvRmT2_T3_T4_T5_mT6_T7_P12ihipStream_tbENKUlT_T0_E_clISt17integral_constantIbLb1EES12_IbLb0EEEEDaSY_SZ_EUlSY_E_NS1_11comp_targetILNS1_3genE3ELNS1_11target_archE908ELNS1_3gpuE7ELNS1_3repE0EEENS1_30default_config_static_selectorELNS0_4arch9wavefront6targetE0EEEvT1_ ; -- Begin function _ZN7rocprim17ROCPRIM_400000_NS6detail17trampoline_kernelINS0_14default_configENS1_27scan_by_key_config_selectorIj11FixedVectorIiLj1EEEEZZNS1_16scan_by_key_implILNS1_25lookback_scan_determinismE0ELb0ES3_N6thrust23THRUST_200600_302600_NS6detail15normal_iteratorINSB_10device_ptrIjEEEENSD_INSE_IS6_EEEESI_S6_NSB_4plusIvEENSB_8equal_toIvEES6_EE10hipError_tPvRmT2_T3_T4_T5_mT6_T7_P12ihipStream_tbENKUlT_T0_E_clISt17integral_constantIbLb1EES12_IbLb0EEEEDaSY_SZ_EUlSY_E_NS1_11comp_targetILNS1_3genE3ELNS1_11target_archE908ELNS1_3gpuE7ELNS1_3repE0EEENS1_30default_config_static_selectorELNS0_4arch9wavefront6targetE0EEEvT1_
	.globl	_ZN7rocprim17ROCPRIM_400000_NS6detail17trampoline_kernelINS0_14default_configENS1_27scan_by_key_config_selectorIj11FixedVectorIiLj1EEEEZZNS1_16scan_by_key_implILNS1_25lookback_scan_determinismE0ELb0ES3_N6thrust23THRUST_200600_302600_NS6detail15normal_iteratorINSB_10device_ptrIjEEEENSD_INSE_IS6_EEEESI_S6_NSB_4plusIvEENSB_8equal_toIvEES6_EE10hipError_tPvRmT2_T3_T4_T5_mT6_T7_P12ihipStream_tbENKUlT_T0_E_clISt17integral_constantIbLb1EES12_IbLb0EEEEDaSY_SZ_EUlSY_E_NS1_11comp_targetILNS1_3genE3ELNS1_11target_archE908ELNS1_3gpuE7ELNS1_3repE0EEENS1_30default_config_static_selectorELNS0_4arch9wavefront6targetE0EEEvT1_
	.p2align	8
	.type	_ZN7rocprim17ROCPRIM_400000_NS6detail17trampoline_kernelINS0_14default_configENS1_27scan_by_key_config_selectorIj11FixedVectorIiLj1EEEEZZNS1_16scan_by_key_implILNS1_25lookback_scan_determinismE0ELb0ES3_N6thrust23THRUST_200600_302600_NS6detail15normal_iteratorINSB_10device_ptrIjEEEENSD_INSE_IS6_EEEESI_S6_NSB_4plusIvEENSB_8equal_toIvEES6_EE10hipError_tPvRmT2_T3_T4_T5_mT6_T7_P12ihipStream_tbENKUlT_T0_E_clISt17integral_constantIbLb1EES12_IbLb0EEEEDaSY_SZ_EUlSY_E_NS1_11comp_targetILNS1_3genE3ELNS1_11target_archE908ELNS1_3gpuE7ELNS1_3repE0EEENS1_30default_config_static_selectorELNS0_4arch9wavefront6targetE0EEEvT1_,@function
_ZN7rocprim17ROCPRIM_400000_NS6detail17trampoline_kernelINS0_14default_configENS1_27scan_by_key_config_selectorIj11FixedVectorIiLj1EEEEZZNS1_16scan_by_key_implILNS1_25lookback_scan_determinismE0ELb0ES3_N6thrust23THRUST_200600_302600_NS6detail15normal_iteratorINSB_10device_ptrIjEEEENSD_INSE_IS6_EEEESI_S6_NSB_4plusIvEENSB_8equal_toIvEES6_EE10hipError_tPvRmT2_T3_T4_T5_mT6_T7_P12ihipStream_tbENKUlT_T0_E_clISt17integral_constantIbLb1EES12_IbLb0EEEEDaSY_SZ_EUlSY_E_NS1_11comp_targetILNS1_3genE3ELNS1_11target_archE908ELNS1_3gpuE7ELNS1_3repE0EEENS1_30default_config_static_selectorELNS0_4arch9wavefront6targetE0EEEvT1_: ; @_ZN7rocprim17ROCPRIM_400000_NS6detail17trampoline_kernelINS0_14default_configENS1_27scan_by_key_config_selectorIj11FixedVectorIiLj1EEEEZZNS1_16scan_by_key_implILNS1_25lookback_scan_determinismE0ELb0ES3_N6thrust23THRUST_200600_302600_NS6detail15normal_iteratorINSB_10device_ptrIjEEEENSD_INSE_IS6_EEEESI_S6_NSB_4plusIvEENSB_8equal_toIvEES6_EE10hipError_tPvRmT2_T3_T4_T5_mT6_T7_P12ihipStream_tbENKUlT_T0_E_clISt17integral_constantIbLb1EES12_IbLb0EEEEDaSY_SZ_EUlSY_E_NS1_11comp_targetILNS1_3genE3ELNS1_11target_archE908ELNS1_3gpuE7ELNS1_3repE0EEENS1_30default_config_static_selectorELNS0_4arch9wavefront6targetE0EEEvT1_
; %bb.0:
	.section	.rodata,"a",@progbits
	.p2align	6, 0x0
	.amdhsa_kernel _ZN7rocprim17ROCPRIM_400000_NS6detail17trampoline_kernelINS0_14default_configENS1_27scan_by_key_config_selectorIj11FixedVectorIiLj1EEEEZZNS1_16scan_by_key_implILNS1_25lookback_scan_determinismE0ELb0ES3_N6thrust23THRUST_200600_302600_NS6detail15normal_iteratorINSB_10device_ptrIjEEEENSD_INSE_IS6_EEEESI_S6_NSB_4plusIvEENSB_8equal_toIvEES6_EE10hipError_tPvRmT2_T3_T4_T5_mT6_T7_P12ihipStream_tbENKUlT_T0_E_clISt17integral_constantIbLb1EES12_IbLb0EEEEDaSY_SZ_EUlSY_E_NS1_11comp_targetILNS1_3genE3ELNS1_11target_archE908ELNS1_3gpuE7ELNS1_3repE0EEENS1_30default_config_static_selectorELNS0_4arch9wavefront6targetE0EEEvT1_
		.amdhsa_group_segment_fixed_size 0
		.amdhsa_private_segment_fixed_size 0
		.amdhsa_kernarg_size 112
		.amdhsa_user_sgpr_count 6
		.amdhsa_user_sgpr_private_segment_buffer 1
		.amdhsa_user_sgpr_dispatch_ptr 0
		.amdhsa_user_sgpr_queue_ptr 0
		.amdhsa_user_sgpr_kernarg_segment_ptr 1
		.amdhsa_user_sgpr_dispatch_id 0
		.amdhsa_user_sgpr_flat_scratch_init 0
		.amdhsa_user_sgpr_private_segment_size 0
		.amdhsa_wavefront_size32 1
		.amdhsa_uses_dynamic_stack 0
		.amdhsa_system_sgpr_private_segment_wavefront_offset 0
		.amdhsa_system_sgpr_workgroup_id_x 1
		.amdhsa_system_sgpr_workgroup_id_y 0
		.amdhsa_system_sgpr_workgroup_id_z 0
		.amdhsa_system_sgpr_workgroup_info 0
		.amdhsa_system_vgpr_workitem_id 0
		.amdhsa_next_free_vgpr 1
		.amdhsa_next_free_sgpr 1
		.amdhsa_reserve_vcc 0
		.amdhsa_reserve_flat_scratch 0
		.amdhsa_float_round_mode_32 0
		.amdhsa_float_round_mode_16_64 0
		.amdhsa_float_denorm_mode_32 3
		.amdhsa_float_denorm_mode_16_64 3
		.amdhsa_dx10_clamp 1
		.amdhsa_ieee_mode 1
		.amdhsa_fp16_overflow 0
		.amdhsa_workgroup_processor_mode 1
		.amdhsa_memory_ordered 1
		.amdhsa_forward_progress 1
		.amdhsa_shared_vgpr_count 0
		.amdhsa_exception_fp_ieee_invalid_op 0
		.amdhsa_exception_fp_denorm_src 0
		.amdhsa_exception_fp_ieee_div_zero 0
		.amdhsa_exception_fp_ieee_overflow 0
		.amdhsa_exception_fp_ieee_underflow 0
		.amdhsa_exception_fp_ieee_inexact 0
		.amdhsa_exception_int_div_zero 0
	.end_amdhsa_kernel
	.section	.text._ZN7rocprim17ROCPRIM_400000_NS6detail17trampoline_kernelINS0_14default_configENS1_27scan_by_key_config_selectorIj11FixedVectorIiLj1EEEEZZNS1_16scan_by_key_implILNS1_25lookback_scan_determinismE0ELb0ES3_N6thrust23THRUST_200600_302600_NS6detail15normal_iteratorINSB_10device_ptrIjEEEENSD_INSE_IS6_EEEESI_S6_NSB_4plusIvEENSB_8equal_toIvEES6_EE10hipError_tPvRmT2_T3_T4_T5_mT6_T7_P12ihipStream_tbENKUlT_T0_E_clISt17integral_constantIbLb1EES12_IbLb0EEEEDaSY_SZ_EUlSY_E_NS1_11comp_targetILNS1_3genE3ELNS1_11target_archE908ELNS1_3gpuE7ELNS1_3repE0EEENS1_30default_config_static_selectorELNS0_4arch9wavefront6targetE0EEEvT1_,"axG",@progbits,_ZN7rocprim17ROCPRIM_400000_NS6detail17trampoline_kernelINS0_14default_configENS1_27scan_by_key_config_selectorIj11FixedVectorIiLj1EEEEZZNS1_16scan_by_key_implILNS1_25lookback_scan_determinismE0ELb0ES3_N6thrust23THRUST_200600_302600_NS6detail15normal_iteratorINSB_10device_ptrIjEEEENSD_INSE_IS6_EEEESI_S6_NSB_4plusIvEENSB_8equal_toIvEES6_EE10hipError_tPvRmT2_T3_T4_T5_mT6_T7_P12ihipStream_tbENKUlT_T0_E_clISt17integral_constantIbLb1EES12_IbLb0EEEEDaSY_SZ_EUlSY_E_NS1_11comp_targetILNS1_3genE3ELNS1_11target_archE908ELNS1_3gpuE7ELNS1_3repE0EEENS1_30default_config_static_selectorELNS0_4arch9wavefront6targetE0EEEvT1_,comdat
.Lfunc_end1895:
	.size	_ZN7rocprim17ROCPRIM_400000_NS6detail17trampoline_kernelINS0_14default_configENS1_27scan_by_key_config_selectorIj11FixedVectorIiLj1EEEEZZNS1_16scan_by_key_implILNS1_25lookback_scan_determinismE0ELb0ES3_N6thrust23THRUST_200600_302600_NS6detail15normal_iteratorINSB_10device_ptrIjEEEENSD_INSE_IS6_EEEESI_S6_NSB_4plusIvEENSB_8equal_toIvEES6_EE10hipError_tPvRmT2_T3_T4_T5_mT6_T7_P12ihipStream_tbENKUlT_T0_E_clISt17integral_constantIbLb1EES12_IbLb0EEEEDaSY_SZ_EUlSY_E_NS1_11comp_targetILNS1_3genE3ELNS1_11target_archE908ELNS1_3gpuE7ELNS1_3repE0EEENS1_30default_config_static_selectorELNS0_4arch9wavefront6targetE0EEEvT1_, .Lfunc_end1895-_ZN7rocprim17ROCPRIM_400000_NS6detail17trampoline_kernelINS0_14default_configENS1_27scan_by_key_config_selectorIj11FixedVectorIiLj1EEEEZZNS1_16scan_by_key_implILNS1_25lookback_scan_determinismE0ELb0ES3_N6thrust23THRUST_200600_302600_NS6detail15normal_iteratorINSB_10device_ptrIjEEEENSD_INSE_IS6_EEEESI_S6_NSB_4plusIvEENSB_8equal_toIvEES6_EE10hipError_tPvRmT2_T3_T4_T5_mT6_T7_P12ihipStream_tbENKUlT_T0_E_clISt17integral_constantIbLb1EES12_IbLb0EEEEDaSY_SZ_EUlSY_E_NS1_11comp_targetILNS1_3genE3ELNS1_11target_archE908ELNS1_3gpuE7ELNS1_3repE0EEENS1_30default_config_static_selectorELNS0_4arch9wavefront6targetE0EEEvT1_
                                        ; -- End function
	.set _ZN7rocprim17ROCPRIM_400000_NS6detail17trampoline_kernelINS0_14default_configENS1_27scan_by_key_config_selectorIj11FixedVectorIiLj1EEEEZZNS1_16scan_by_key_implILNS1_25lookback_scan_determinismE0ELb0ES3_N6thrust23THRUST_200600_302600_NS6detail15normal_iteratorINSB_10device_ptrIjEEEENSD_INSE_IS6_EEEESI_S6_NSB_4plusIvEENSB_8equal_toIvEES6_EE10hipError_tPvRmT2_T3_T4_T5_mT6_T7_P12ihipStream_tbENKUlT_T0_E_clISt17integral_constantIbLb1EES12_IbLb0EEEEDaSY_SZ_EUlSY_E_NS1_11comp_targetILNS1_3genE3ELNS1_11target_archE908ELNS1_3gpuE7ELNS1_3repE0EEENS1_30default_config_static_selectorELNS0_4arch9wavefront6targetE0EEEvT1_.num_vgpr, 0
	.set _ZN7rocprim17ROCPRIM_400000_NS6detail17trampoline_kernelINS0_14default_configENS1_27scan_by_key_config_selectorIj11FixedVectorIiLj1EEEEZZNS1_16scan_by_key_implILNS1_25lookback_scan_determinismE0ELb0ES3_N6thrust23THRUST_200600_302600_NS6detail15normal_iteratorINSB_10device_ptrIjEEEENSD_INSE_IS6_EEEESI_S6_NSB_4plusIvEENSB_8equal_toIvEES6_EE10hipError_tPvRmT2_T3_T4_T5_mT6_T7_P12ihipStream_tbENKUlT_T0_E_clISt17integral_constantIbLb1EES12_IbLb0EEEEDaSY_SZ_EUlSY_E_NS1_11comp_targetILNS1_3genE3ELNS1_11target_archE908ELNS1_3gpuE7ELNS1_3repE0EEENS1_30default_config_static_selectorELNS0_4arch9wavefront6targetE0EEEvT1_.num_agpr, 0
	.set _ZN7rocprim17ROCPRIM_400000_NS6detail17trampoline_kernelINS0_14default_configENS1_27scan_by_key_config_selectorIj11FixedVectorIiLj1EEEEZZNS1_16scan_by_key_implILNS1_25lookback_scan_determinismE0ELb0ES3_N6thrust23THRUST_200600_302600_NS6detail15normal_iteratorINSB_10device_ptrIjEEEENSD_INSE_IS6_EEEESI_S6_NSB_4plusIvEENSB_8equal_toIvEES6_EE10hipError_tPvRmT2_T3_T4_T5_mT6_T7_P12ihipStream_tbENKUlT_T0_E_clISt17integral_constantIbLb1EES12_IbLb0EEEEDaSY_SZ_EUlSY_E_NS1_11comp_targetILNS1_3genE3ELNS1_11target_archE908ELNS1_3gpuE7ELNS1_3repE0EEENS1_30default_config_static_selectorELNS0_4arch9wavefront6targetE0EEEvT1_.numbered_sgpr, 0
	.set _ZN7rocprim17ROCPRIM_400000_NS6detail17trampoline_kernelINS0_14default_configENS1_27scan_by_key_config_selectorIj11FixedVectorIiLj1EEEEZZNS1_16scan_by_key_implILNS1_25lookback_scan_determinismE0ELb0ES3_N6thrust23THRUST_200600_302600_NS6detail15normal_iteratorINSB_10device_ptrIjEEEENSD_INSE_IS6_EEEESI_S6_NSB_4plusIvEENSB_8equal_toIvEES6_EE10hipError_tPvRmT2_T3_T4_T5_mT6_T7_P12ihipStream_tbENKUlT_T0_E_clISt17integral_constantIbLb1EES12_IbLb0EEEEDaSY_SZ_EUlSY_E_NS1_11comp_targetILNS1_3genE3ELNS1_11target_archE908ELNS1_3gpuE7ELNS1_3repE0EEENS1_30default_config_static_selectorELNS0_4arch9wavefront6targetE0EEEvT1_.num_named_barrier, 0
	.set _ZN7rocprim17ROCPRIM_400000_NS6detail17trampoline_kernelINS0_14default_configENS1_27scan_by_key_config_selectorIj11FixedVectorIiLj1EEEEZZNS1_16scan_by_key_implILNS1_25lookback_scan_determinismE0ELb0ES3_N6thrust23THRUST_200600_302600_NS6detail15normal_iteratorINSB_10device_ptrIjEEEENSD_INSE_IS6_EEEESI_S6_NSB_4plusIvEENSB_8equal_toIvEES6_EE10hipError_tPvRmT2_T3_T4_T5_mT6_T7_P12ihipStream_tbENKUlT_T0_E_clISt17integral_constantIbLb1EES12_IbLb0EEEEDaSY_SZ_EUlSY_E_NS1_11comp_targetILNS1_3genE3ELNS1_11target_archE908ELNS1_3gpuE7ELNS1_3repE0EEENS1_30default_config_static_selectorELNS0_4arch9wavefront6targetE0EEEvT1_.private_seg_size, 0
	.set _ZN7rocprim17ROCPRIM_400000_NS6detail17trampoline_kernelINS0_14default_configENS1_27scan_by_key_config_selectorIj11FixedVectorIiLj1EEEEZZNS1_16scan_by_key_implILNS1_25lookback_scan_determinismE0ELb0ES3_N6thrust23THRUST_200600_302600_NS6detail15normal_iteratorINSB_10device_ptrIjEEEENSD_INSE_IS6_EEEESI_S6_NSB_4plusIvEENSB_8equal_toIvEES6_EE10hipError_tPvRmT2_T3_T4_T5_mT6_T7_P12ihipStream_tbENKUlT_T0_E_clISt17integral_constantIbLb1EES12_IbLb0EEEEDaSY_SZ_EUlSY_E_NS1_11comp_targetILNS1_3genE3ELNS1_11target_archE908ELNS1_3gpuE7ELNS1_3repE0EEENS1_30default_config_static_selectorELNS0_4arch9wavefront6targetE0EEEvT1_.uses_vcc, 0
	.set _ZN7rocprim17ROCPRIM_400000_NS6detail17trampoline_kernelINS0_14default_configENS1_27scan_by_key_config_selectorIj11FixedVectorIiLj1EEEEZZNS1_16scan_by_key_implILNS1_25lookback_scan_determinismE0ELb0ES3_N6thrust23THRUST_200600_302600_NS6detail15normal_iteratorINSB_10device_ptrIjEEEENSD_INSE_IS6_EEEESI_S6_NSB_4plusIvEENSB_8equal_toIvEES6_EE10hipError_tPvRmT2_T3_T4_T5_mT6_T7_P12ihipStream_tbENKUlT_T0_E_clISt17integral_constantIbLb1EES12_IbLb0EEEEDaSY_SZ_EUlSY_E_NS1_11comp_targetILNS1_3genE3ELNS1_11target_archE908ELNS1_3gpuE7ELNS1_3repE0EEENS1_30default_config_static_selectorELNS0_4arch9wavefront6targetE0EEEvT1_.uses_flat_scratch, 0
	.set _ZN7rocprim17ROCPRIM_400000_NS6detail17trampoline_kernelINS0_14default_configENS1_27scan_by_key_config_selectorIj11FixedVectorIiLj1EEEEZZNS1_16scan_by_key_implILNS1_25lookback_scan_determinismE0ELb0ES3_N6thrust23THRUST_200600_302600_NS6detail15normal_iteratorINSB_10device_ptrIjEEEENSD_INSE_IS6_EEEESI_S6_NSB_4plusIvEENSB_8equal_toIvEES6_EE10hipError_tPvRmT2_T3_T4_T5_mT6_T7_P12ihipStream_tbENKUlT_T0_E_clISt17integral_constantIbLb1EES12_IbLb0EEEEDaSY_SZ_EUlSY_E_NS1_11comp_targetILNS1_3genE3ELNS1_11target_archE908ELNS1_3gpuE7ELNS1_3repE0EEENS1_30default_config_static_selectorELNS0_4arch9wavefront6targetE0EEEvT1_.has_dyn_sized_stack, 0
	.set _ZN7rocprim17ROCPRIM_400000_NS6detail17trampoline_kernelINS0_14default_configENS1_27scan_by_key_config_selectorIj11FixedVectorIiLj1EEEEZZNS1_16scan_by_key_implILNS1_25lookback_scan_determinismE0ELb0ES3_N6thrust23THRUST_200600_302600_NS6detail15normal_iteratorINSB_10device_ptrIjEEEENSD_INSE_IS6_EEEESI_S6_NSB_4plusIvEENSB_8equal_toIvEES6_EE10hipError_tPvRmT2_T3_T4_T5_mT6_T7_P12ihipStream_tbENKUlT_T0_E_clISt17integral_constantIbLb1EES12_IbLb0EEEEDaSY_SZ_EUlSY_E_NS1_11comp_targetILNS1_3genE3ELNS1_11target_archE908ELNS1_3gpuE7ELNS1_3repE0EEENS1_30default_config_static_selectorELNS0_4arch9wavefront6targetE0EEEvT1_.has_recursion, 0
	.set _ZN7rocprim17ROCPRIM_400000_NS6detail17trampoline_kernelINS0_14default_configENS1_27scan_by_key_config_selectorIj11FixedVectorIiLj1EEEEZZNS1_16scan_by_key_implILNS1_25lookback_scan_determinismE0ELb0ES3_N6thrust23THRUST_200600_302600_NS6detail15normal_iteratorINSB_10device_ptrIjEEEENSD_INSE_IS6_EEEESI_S6_NSB_4plusIvEENSB_8equal_toIvEES6_EE10hipError_tPvRmT2_T3_T4_T5_mT6_T7_P12ihipStream_tbENKUlT_T0_E_clISt17integral_constantIbLb1EES12_IbLb0EEEEDaSY_SZ_EUlSY_E_NS1_11comp_targetILNS1_3genE3ELNS1_11target_archE908ELNS1_3gpuE7ELNS1_3repE0EEENS1_30default_config_static_selectorELNS0_4arch9wavefront6targetE0EEEvT1_.has_indirect_call, 0
	.section	.AMDGPU.csdata,"",@progbits
; Kernel info:
; codeLenInByte = 0
; TotalNumSgprs: 0
; NumVgprs: 0
; ScratchSize: 0
; MemoryBound: 0
; FloatMode: 240
; IeeeMode: 1
; LDSByteSize: 0 bytes/workgroup (compile time only)
; SGPRBlocks: 0
; VGPRBlocks: 0
; NumSGPRsForWavesPerEU: 1
; NumVGPRsForWavesPerEU: 1
; Occupancy: 16
; WaveLimiterHint : 0
; COMPUTE_PGM_RSRC2:SCRATCH_EN: 0
; COMPUTE_PGM_RSRC2:USER_SGPR: 6
; COMPUTE_PGM_RSRC2:TRAP_HANDLER: 0
; COMPUTE_PGM_RSRC2:TGID_X_EN: 1
; COMPUTE_PGM_RSRC2:TGID_Y_EN: 0
; COMPUTE_PGM_RSRC2:TGID_Z_EN: 0
; COMPUTE_PGM_RSRC2:TIDIG_COMP_CNT: 0
	.section	.text._ZN7rocprim17ROCPRIM_400000_NS6detail17trampoline_kernelINS0_14default_configENS1_27scan_by_key_config_selectorIj11FixedVectorIiLj1EEEEZZNS1_16scan_by_key_implILNS1_25lookback_scan_determinismE0ELb0ES3_N6thrust23THRUST_200600_302600_NS6detail15normal_iteratorINSB_10device_ptrIjEEEENSD_INSE_IS6_EEEESI_S6_NSB_4plusIvEENSB_8equal_toIvEES6_EE10hipError_tPvRmT2_T3_T4_T5_mT6_T7_P12ihipStream_tbENKUlT_T0_E_clISt17integral_constantIbLb1EES12_IbLb0EEEEDaSY_SZ_EUlSY_E_NS1_11comp_targetILNS1_3genE2ELNS1_11target_archE906ELNS1_3gpuE6ELNS1_3repE0EEENS1_30default_config_static_selectorELNS0_4arch9wavefront6targetE0EEEvT1_,"axG",@progbits,_ZN7rocprim17ROCPRIM_400000_NS6detail17trampoline_kernelINS0_14default_configENS1_27scan_by_key_config_selectorIj11FixedVectorIiLj1EEEEZZNS1_16scan_by_key_implILNS1_25lookback_scan_determinismE0ELb0ES3_N6thrust23THRUST_200600_302600_NS6detail15normal_iteratorINSB_10device_ptrIjEEEENSD_INSE_IS6_EEEESI_S6_NSB_4plusIvEENSB_8equal_toIvEES6_EE10hipError_tPvRmT2_T3_T4_T5_mT6_T7_P12ihipStream_tbENKUlT_T0_E_clISt17integral_constantIbLb1EES12_IbLb0EEEEDaSY_SZ_EUlSY_E_NS1_11comp_targetILNS1_3genE2ELNS1_11target_archE906ELNS1_3gpuE6ELNS1_3repE0EEENS1_30default_config_static_selectorELNS0_4arch9wavefront6targetE0EEEvT1_,comdat
	.protected	_ZN7rocprim17ROCPRIM_400000_NS6detail17trampoline_kernelINS0_14default_configENS1_27scan_by_key_config_selectorIj11FixedVectorIiLj1EEEEZZNS1_16scan_by_key_implILNS1_25lookback_scan_determinismE0ELb0ES3_N6thrust23THRUST_200600_302600_NS6detail15normal_iteratorINSB_10device_ptrIjEEEENSD_INSE_IS6_EEEESI_S6_NSB_4plusIvEENSB_8equal_toIvEES6_EE10hipError_tPvRmT2_T3_T4_T5_mT6_T7_P12ihipStream_tbENKUlT_T0_E_clISt17integral_constantIbLb1EES12_IbLb0EEEEDaSY_SZ_EUlSY_E_NS1_11comp_targetILNS1_3genE2ELNS1_11target_archE906ELNS1_3gpuE6ELNS1_3repE0EEENS1_30default_config_static_selectorELNS0_4arch9wavefront6targetE0EEEvT1_ ; -- Begin function _ZN7rocprim17ROCPRIM_400000_NS6detail17trampoline_kernelINS0_14default_configENS1_27scan_by_key_config_selectorIj11FixedVectorIiLj1EEEEZZNS1_16scan_by_key_implILNS1_25lookback_scan_determinismE0ELb0ES3_N6thrust23THRUST_200600_302600_NS6detail15normal_iteratorINSB_10device_ptrIjEEEENSD_INSE_IS6_EEEESI_S6_NSB_4plusIvEENSB_8equal_toIvEES6_EE10hipError_tPvRmT2_T3_T4_T5_mT6_T7_P12ihipStream_tbENKUlT_T0_E_clISt17integral_constantIbLb1EES12_IbLb0EEEEDaSY_SZ_EUlSY_E_NS1_11comp_targetILNS1_3genE2ELNS1_11target_archE906ELNS1_3gpuE6ELNS1_3repE0EEENS1_30default_config_static_selectorELNS0_4arch9wavefront6targetE0EEEvT1_
	.globl	_ZN7rocprim17ROCPRIM_400000_NS6detail17trampoline_kernelINS0_14default_configENS1_27scan_by_key_config_selectorIj11FixedVectorIiLj1EEEEZZNS1_16scan_by_key_implILNS1_25lookback_scan_determinismE0ELb0ES3_N6thrust23THRUST_200600_302600_NS6detail15normal_iteratorINSB_10device_ptrIjEEEENSD_INSE_IS6_EEEESI_S6_NSB_4plusIvEENSB_8equal_toIvEES6_EE10hipError_tPvRmT2_T3_T4_T5_mT6_T7_P12ihipStream_tbENKUlT_T0_E_clISt17integral_constantIbLb1EES12_IbLb0EEEEDaSY_SZ_EUlSY_E_NS1_11comp_targetILNS1_3genE2ELNS1_11target_archE906ELNS1_3gpuE6ELNS1_3repE0EEENS1_30default_config_static_selectorELNS0_4arch9wavefront6targetE0EEEvT1_
	.p2align	8
	.type	_ZN7rocprim17ROCPRIM_400000_NS6detail17trampoline_kernelINS0_14default_configENS1_27scan_by_key_config_selectorIj11FixedVectorIiLj1EEEEZZNS1_16scan_by_key_implILNS1_25lookback_scan_determinismE0ELb0ES3_N6thrust23THRUST_200600_302600_NS6detail15normal_iteratorINSB_10device_ptrIjEEEENSD_INSE_IS6_EEEESI_S6_NSB_4plusIvEENSB_8equal_toIvEES6_EE10hipError_tPvRmT2_T3_T4_T5_mT6_T7_P12ihipStream_tbENKUlT_T0_E_clISt17integral_constantIbLb1EES12_IbLb0EEEEDaSY_SZ_EUlSY_E_NS1_11comp_targetILNS1_3genE2ELNS1_11target_archE906ELNS1_3gpuE6ELNS1_3repE0EEENS1_30default_config_static_selectorELNS0_4arch9wavefront6targetE0EEEvT1_,@function
_ZN7rocprim17ROCPRIM_400000_NS6detail17trampoline_kernelINS0_14default_configENS1_27scan_by_key_config_selectorIj11FixedVectorIiLj1EEEEZZNS1_16scan_by_key_implILNS1_25lookback_scan_determinismE0ELb0ES3_N6thrust23THRUST_200600_302600_NS6detail15normal_iteratorINSB_10device_ptrIjEEEENSD_INSE_IS6_EEEESI_S6_NSB_4plusIvEENSB_8equal_toIvEES6_EE10hipError_tPvRmT2_T3_T4_T5_mT6_T7_P12ihipStream_tbENKUlT_T0_E_clISt17integral_constantIbLb1EES12_IbLb0EEEEDaSY_SZ_EUlSY_E_NS1_11comp_targetILNS1_3genE2ELNS1_11target_archE906ELNS1_3gpuE6ELNS1_3repE0EEENS1_30default_config_static_selectorELNS0_4arch9wavefront6targetE0EEEvT1_: ; @_ZN7rocprim17ROCPRIM_400000_NS6detail17trampoline_kernelINS0_14default_configENS1_27scan_by_key_config_selectorIj11FixedVectorIiLj1EEEEZZNS1_16scan_by_key_implILNS1_25lookback_scan_determinismE0ELb0ES3_N6thrust23THRUST_200600_302600_NS6detail15normal_iteratorINSB_10device_ptrIjEEEENSD_INSE_IS6_EEEESI_S6_NSB_4plusIvEENSB_8equal_toIvEES6_EE10hipError_tPvRmT2_T3_T4_T5_mT6_T7_P12ihipStream_tbENKUlT_T0_E_clISt17integral_constantIbLb1EES12_IbLb0EEEEDaSY_SZ_EUlSY_E_NS1_11comp_targetILNS1_3genE2ELNS1_11target_archE906ELNS1_3gpuE6ELNS1_3repE0EEENS1_30default_config_static_selectorELNS0_4arch9wavefront6targetE0EEEvT1_
; %bb.0:
	.section	.rodata,"a",@progbits
	.p2align	6, 0x0
	.amdhsa_kernel _ZN7rocprim17ROCPRIM_400000_NS6detail17trampoline_kernelINS0_14default_configENS1_27scan_by_key_config_selectorIj11FixedVectorIiLj1EEEEZZNS1_16scan_by_key_implILNS1_25lookback_scan_determinismE0ELb0ES3_N6thrust23THRUST_200600_302600_NS6detail15normal_iteratorINSB_10device_ptrIjEEEENSD_INSE_IS6_EEEESI_S6_NSB_4plusIvEENSB_8equal_toIvEES6_EE10hipError_tPvRmT2_T3_T4_T5_mT6_T7_P12ihipStream_tbENKUlT_T0_E_clISt17integral_constantIbLb1EES12_IbLb0EEEEDaSY_SZ_EUlSY_E_NS1_11comp_targetILNS1_3genE2ELNS1_11target_archE906ELNS1_3gpuE6ELNS1_3repE0EEENS1_30default_config_static_selectorELNS0_4arch9wavefront6targetE0EEEvT1_
		.amdhsa_group_segment_fixed_size 0
		.amdhsa_private_segment_fixed_size 0
		.amdhsa_kernarg_size 112
		.amdhsa_user_sgpr_count 6
		.amdhsa_user_sgpr_private_segment_buffer 1
		.amdhsa_user_sgpr_dispatch_ptr 0
		.amdhsa_user_sgpr_queue_ptr 0
		.amdhsa_user_sgpr_kernarg_segment_ptr 1
		.amdhsa_user_sgpr_dispatch_id 0
		.amdhsa_user_sgpr_flat_scratch_init 0
		.amdhsa_user_sgpr_private_segment_size 0
		.amdhsa_wavefront_size32 1
		.amdhsa_uses_dynamic_stack 0
		.amdhsa_system_sgpr_private_segment_wavefront_offset 0
		.amdhsa_system_sgpr_workgroup_id_x 1
		.amdhsa_system_sgpr_workgroup_id_y 0
		.amdhsa_system_sgpr_workgroup_id_z 0
		.amdhsa_system_sgpr_workgroup_info 0
		.amdhsa_system_vgpr_workitem_id 0
		.amdhsa_next_free_vgpr 1
		.amdhsa_next_free_sgpr 1
		.amdhsa_reserve_vcc 0
		.amdhsa_reserve_flat_scratch 0
		.amdhsa_float_round_mode_32 0
		.amdhsa_float_round_mode_16_64 0
		.amdhsa_float_denorm_mode_32 3
		.amdhsa_float_denorm_mode_16_64 3
		.amdhsa_dx10_clamp 1
		.amdhsa_ieee_mode 1
		.amdhsa_fp16_overflow 0
		.amdhsa_workgroup_processor_mode 1
		.amdhsa_memory_ordered 1
		.amdhsa_forward_progress 1
		.amdhsa_shared_vgpr_count 0
		.amdhsa_exception_fp_ieee_invalid_op 0
		.amdhsa_exception_fp_denorm_src 0
		.amdhsa_exception_fp_ieee_div_zero 0
		.amdhsa_exception_fp_ieee_overflow 0
		.amdhsa_exception_fp_ieee_underflow 0
		.amdhsa_exception_fp_ieee_inexact 0
		.amdhsa_exception_int_div_zero 0
	.end_amdhsa_kernel
	.section	.text._ZN7rocprim17ROCPRIM_400000_NS6detail17trampoline_kernelINS0_14default_configENS1_27scan_by_key_config_selectorIj11FixedVectorIiLj1EEEEZZNS1_16scan_by_key_implILNS1_25lookback_scan_determinismE0ELb0ES3_N6thrust23THRUST_200600_302600_NS6detail15normal_iteratorINSB_10device_ptrIjEEEENSD_INSE_IS6_EEEESI_S6_NSB_4plusIvEENSB_8equal_toIvEES6_EE10hipError_tPvRmT2_T3_T4_T5_mT6_T7_P12ihipStream_tbENKUlT_T0_E_clISt17integral_constantIbLb1EES12_IbLb0EEEEDaSY_SZ_EUlSY_E_NS1_11comp_targetILNS1_3genE2ELNS1_11target_archE906ELNS1_3gpuE6ELNS1_3repE0EEENS1_30default_config_static_selectorELNS0_4arch9wavefront6targetE0EEEvT1_,"axG",@progbits,_ZN7rocprim17ROCPRIM_400000_NS6detail17trampoline_kernelINS0_14default_configENS1_27scan_by_key_config_selectorIj11FixedVectorIiLj1EEEEZZNS1_16scan_by_key_implILNS1_25lookback_scan_determinismE0ELb0ES3_N6thrust23THRUST_200600_302600_NS6detail15normal_iteratorINSB_10device_ptrIjEEEENSD_INSE_IS6_EEEESI_S6_NSB_4plusIvEENSB_8equal_toIvEES6_EE10hipError_tPvRmT2_T3_T4_T5_mT6_T7_P12ihipStream_tbENKUlT_T0_E_clISt17integral_constantIbLb1EES12_IbLb0EEEEDaSY_SZ_EUlSY_E_NS1_11comp_targetILNS1_3genE2ELNS1_11target_archE906ELNS1_3gpuE6ELNS1_3repE0EEENS1_30default_config_static_selectorELNS0_4arch9wavefront6targetE0EEEvT1_,comdat
.Lfunc_end1896:
	.size	_ZN7rocprim17ROCPRIM_400000_NS6detail17trampoline_kernelINS0_14default_configENS1_27scan_by_key_config_selectorIj11FixedVectorIiLj1EEEEZZNS1_16scan_by_key_implILNS1_25lookback_scan_determinismE0ELb0ES3_N6thrust23THRUST_200600_302600_NS6detail15normal_iteratorINSB_10device_ptrIjEEEENSD_INSE_IS6_EEEESI_S6_NSB_4plusIvEENSB_8equal_toIvEES6_EE10hipError_tPvRmT2_T3_T4_T5_mT6_T7_P12ihipStream_tbENKUlT_T0_E_clISt17integral_constantIbLb1EES12_IbLb0EEEEDaSY_SZ_EUlSY_E_NS1_11comp_targetILNS1_3genE2ELNS1_11target_archE906ELNS1_3gpuE6ELNS1_3repE0EEENS1_30default_config_static_selectorELNS0_4arch9wavefront6targetE0EEEvT1_, .Lfunc_end1896-_ZN7rocprim17ROCPRIM_400000_NS6detail17trampoline_kernelINS0_14default_configENS1_27scan_by_key_config_selectorIj11FixedVectorIiLj1EEEEZZNS1_16scan_by_key_implILNS1_25lookback_scan_determinismE0ELb0ES3_N6thrust23THRUST_200600_302600_NS6detail15normal_iteratorINSB_10device_ptrIjEEEENSD_INSE_IS6_EEEESI_S6_NSB_4plusIvEENSB_8equal_toIvEES6_EE10hipError_tPvRmT2_T3_T4_T5_mT6_T7_P12ihipStream_tbENKUlT_T0_E_clISt17integral_constantIbLb1EES12_IbLb0EEEEDaSY_SZ_EUlSY_E_NS1_11comp_targetILNS1_3genE2ELNS1_11target_archE906ELNS1_3gpuE6ELNS1_3repE0EEENS1_30default_config_static_selectorELNS0_4arch9wavefront6targetE0EEEvT1_
                                        ; -- End function
	.set _ZN7rocprim17ROCPRIM_400000_NS6detail17trampoline_kernelINS0_14default_configENS1_27scan_by_key_config_selectorIj11FixedVectorIiLj1EEEEZZNS1_16scan_by_key_implILNS1_25lookback_scan_determinismE0ELb0ES3_N6thrust23THRUST_200600_302600_NS6detail15normal_iteratorINSB_10device_ptrIjEEEENSD_INSE_IS6_EEEESI_S6_NSB_4plusIvEENSB_8equal_toIvEES6_EE10hipError_tPvRmT2_T3_T4_T5_mT6_T7_P12ihipStream_tbENKUlT_T0_E_clISt17integral_constantIbLb1EES12_IbLb0EEEEDaSY_SZ_EUlSY_E_NS1_11comp_targetILNS1_3genE2ELNS1_11target_archE906ELNS1_3gpuE6ELNS1_3repE0EEENS1_30default_config_static_selectorELNS0_4arch9wavefront6targetE0EEEvT1_.num_vgpr, 0
	.set _ZN7rocprim17ROCPRIM_400000_NS6detail17trampoline_kernelINS0_14default_configENS1_27scan_by_key_config_selectorIj11FixedVectorIiLj1EEEEZZNS1_16scan_by_key_implILNS1_25lookback_scan_determinismE0ELb0ES3_N6thrust23THRUST_200600_302600_NS6detail15normal_iteratorINSB_10device_ptrIjEEEENSD_INSE_IS6_EEEESI_S6_NSB_4plusIvEENSB_8equal_toIvEES6_EE10hipError_tPvRmT2_T3_T4_T5_mT6_T7_P12ihipStream_tbENKUlT_T0_E_clISt17integral_constantIbLb1EES12_IbLb0EEEEDaSY_SZ_EUlSY_E_NS1_11comp_targetILNS1_3genE2ELNS1_11target_archE906ELNS1_3gpuE6ELNS1_3repE0EEENS1_30default_config_static_selectorELNS0_4arch9wavefront6targetE0EEEvT1_.num_agpr, 0
	.set _ZN7rocprim17ROCPRIM_400000_NS6detail17trampoline_kernelINS0_14default_configENS1_27scan_by_key_config_selectorIj11FixedVectorIiLj1EEEEZZNS1_16scan_by_key_implILNS1_25lookback_scan_determinismE0ELb0ES3_N6thrust23THRUST_200600_302600_NS6detail15normal_iteratorINSB_10device_ptrIjEEEENSD_INSE_IS6_EEEESI_S6_NSB_4plusIvEENSB_8equal_toIvEES6_EE10hipError_tPvRmT2_T3_T4_T5_mT6_T7_P12ihipStream_tbENKUlT_T0_E_clISt17integral_constantIbLb1EES12_IbLb0EEEEDaSY_SZ_EUlSY_E_NS1_11comp_targetILNS1_3genE2ELNS1_11target_archE906ELNS1_3gpuE6ELNS1_3repE0EEENS1_30default_config_static_selectorELNS0_4arch9wavefront6targetE0EEEvT1_.numbered_sgpr, 0
	.set _ZN7rocprim17ROCPRIM_400000_NS6detail17trampoline_kernelINS0_14default_configENS1_27scan_by_key_config_selectorIj11FixedVectorIiLj1EEEEZZNS1_16scan_by_key_implILNS1_25lookback_scan_determinismE0ELb0ES3_N6thrust23THRUST_200600_302600_NS6detail15normal_iteratorINSB_10device_ptrIjEEEENSD_INSE_IS6_EEEESI_S6_NSB_4plusIvEENSB_8equal_toIvEES6_EE10hipError_tPvRmT2_T3_T4_T5_mT6_T7_P12ihipStream_tbENKUlT_T0_E_clISt17integral_constantIbLb1EES12_IbLb0EEEEDaSY_SZ_EUlSY_E_NS1_11comp_targetILNS1_3genE2ELNS1_11target_archE906ELNS1_3gpuE6ELNS1_3repE0EEENS1_30default_config_static_selectorELNS0_4arch9wavefront6targetE0EEEvT1_.num_named_barrier, 0
	.set _ZN7rocprim17ROCPRIM_400000_NS6detail17trampoline_kernelINS0_14default_configENS1_27scan_by_key_config_selectorIj11FixedVectorIiLj1EEEEZZNS1_16scan_by_key_implILNS1_25lookback_scan_determinismE0ELb0ES3_N6thrust23THRUST_200600_302600_NS6detail15normal_iteratorINSB_10device_ptrIjEEEENSD_INSE_IS6_EEEESI_S6_NSB_4plusIvEENSB_8equal_toIvEES6_EE10hipError_tPvRmT2_T3_T4_T5_mT6_T7_P12ihipStream_tbENKUlT_T0_E_clISt17integral_constantIbLb1EES12_IbLb0EEEEDaSY_SZ_EUlSY_E_NS1_11comp_targetILNS1_3genE2ELNS1_11target_archE906ELNS1_3gpuE6ELNS1_3repE0EEENS1_30default_config_static_selectorELNS0_4arch9wavefront6targetE0EEEvT1_.private_seg_size, 0
	.set _ZN7rocprim17ROCPRIM_400000_NS6detail17trampoline_kernelINS0_14default_configENS1_27scan_by_key_config_selectorIj11FixedVectorIiLj1EEEEZZNS1_16scan_by_key_implILNS1_25lookback_scan_determinismE0ELb0ES3_N6thrust23THRUST_200600_302600_NS6detail15normal_iteratorINSB_10device_ptrIjEEEENSD_INSE_IS6_EEEESI_S6_NSB_4plusIvEENSB_8equal_toIvEES6_EE10hipError_tPvRmT2_T3_T4_T5_mT6_T7_P12ihipStream_tbENKUlT_T0_E_clISt17integral_constantIbLb1EES12_IbLb0EEEEDaSY_SZ_EUlSY_E_NS1_11comp_targetILNS1_3genE2ELNS1_11target_archE906ELNS1_3gpuE6ELNS1_3repE0EEENS1_30default_config_static_selectorELNS0_4arch9wavefront6targetE0EEEvT1_.uses_vcc, 0
	.set _ZN7rocprim17ROCPRIM_400000_NS6detail17trampoline_kernelINS0_14default_configENS1_27scan_by_key_config_selectorIj11FixedVectorIiLj1EEEEZZNS1_16scan_by_key_implILNS1_25lookback_scan_determinismE0ELb0ES3_N6thrust23THRUST_200600_302600_NS6detail15normal_iteratorINSB_10device_ptrIjEEEENSD_INSE_IS6_EEEESI_S6_NSB_4plusIvEENSB_8equal_toIvEES6_EE10hipError_tPvRmT2_T3_T4_T5_mT6_T7_P12ihipStream_tbENKUlT_T0_E_clISt17integral_constantIbLb1EES12_IbLb0EEEEDaSY_SZ_EUlSY_E_NS1_11comp_targetILNS1_3genE2ELNS1_11target_archE906ELNS1_3gpuE6ELNS1_3repE0EEENS1_30default_config_static_selectorELNS0_4arch9wavefront6targetE0EEEvT1_.uses_flat_scratch, 0
	.set _ZN7rocprim17ROCPRIM_400000_NS6detail17trampoline_kernelINS0_14default_configENS1_27scan_by_key_config_selectorIj11FixedVectorIiLj1EEEEZZNS1_16scan_by_key_implILNS1_25lookback_scan_determinismE0ELb0ES3_N6thrust23THRUST_200600_302600_NS6detail15normal_iteratorINSB_10device_ptrIjEEEENSD_INSE_IS6_EEEESI_S6_NSB_4plusIvEENSB_8equal_toIvEES6_EE10hipError_tPvRmT2_T3_T4_T5_mT6_T7_P12ihipStream_tbENKUlT_T0_E_clISt17integral_constantIbLb1EES12_IbLb0EEEEDaSY_SZ_EUlSY_E_NS1_11comp_targetILNS1_3genE2ELNS1_11target_archE906ELNS1_3gpuE6ELNS1_3repE0EEENS1_30default_config_static_selectorELNS0_4arch9wavefront6targetE0EEEvT1_.has_dyn_sized_stack, 0
	.set _ZN7rocprim17ROCPRIM_400000_NS6detail17trampoline_kernelINS0_14default_configENS1_27scan_by_key_config_selectorIj11FixedVectorIiLj1EEEEZZNS1_16scan_by_key_implILNS1_25lookback_scan_determinismE0ELb0ES3_N6thrust23THRUST_200600_302600_NS6detail15normal_iteratorINSB_10device_ptrIjEEEENSD_INSE_IS6_EEEESI_S6_NSB_4plusIvEENSB_8equal_toIvEES6_EE10hipError_tPvRmT2_T3_T4_T5_mT6_T7_P12ihipStream_tbENKUlT_T0_E_clISt17integral_constantIbLb1EES12_IbLb0EEEEDaSY_SZ_EUlSY_E_NS1_11comp_targetILNS1_3genE2ELNS1_11target_archE906ELNS1_3gpuE6ELNS1_3repE0EEENS1_30default_config_static_selectorELNS0_4arch9wavefront6targetE0EEEvT1_.has_recursion, 0
	.set _ZN7rocprim17ROCPRIM_400000_NS6detail17trampoline_kernelINS0_14default_configENS1_27scan_by_key_config_selectorIj11FixedVectorIiLj1EEEEZZNS1_16scan_by_key_implILNS1_25lookback_scan_determinismE0ELb0ES3_N6thrust23THRUST_200600_302600_NS6detail15normal_iteratorINSB_10device_ptrIjEEEENSD_INSE_IS6_EEEESI_S6_NSB_4plusIvEENSB_8equal_toIvEES6_EE10hipError_tPvRmT2_T3_T4_T5_mT6_T7_P12ihipStream_tbENKUlT_T0_E_clISt17integral_constantIbLb1EES12_IbLb0EEEEDaSY_SZ_EUlSY_E_NS1_11comp_targetILNS1_3genE2ELNS1_11target_archE906ELNS1_3gpuE6ELNS1_3repE0EEENS1_30default_config_static_selectorELNS0_4arch9wavefront6targetE0EEEvT1_.has_indirect_call, 0
	.section	.AMDGPU.csdata,"",@progbits
; Kernel info:
; codeLenInByte = 0
; TotalNumSgprs: 0
; NumVgprs: 0
; ScratchSize: 0
; MemoryBound: 0
; FloatMode: 240
; IeeeMode: 1
; LDSByteSize: 0 bytes/workgroup (compile time only)
; SGPRBlocks: 0
; VGPRBlocks: 0
; NumSGPRsForWavesPerEU: 1
; NumVGPRsForWavesPerEU: 1
; Occupancy: 16
; WaveLimiterHint : 0
; COMPUTE_PGM_RSRC2:SCRATCH_EN: 0
; COMPUTE_PGM_RSRC2:USER_SGPR: 6
; COMPUTE_PGM_RSRC2:TRAP_HANDLER: 0
; COMPUTE_PGM_RSRC2:TGID_X_EN: 1
; COMPUTE_PGM_RSRC2:TGID_Y_EN: 0
; COMPUTE_PGM_RSRC2:TGID_Z_EN: 0
; COMPUTE_PGM_RSRC2:TIDIG_COMP_CNT: 0
	.section	.text._ZN7rocprim17ROCPRIM_400000_NS6detail17trampoline_kernelINS0_14default_configENS1_27scan_by_key_config_selectorIj11FixedVectorIiLj1EEEEZZNS1_16scan_by_key_implILNS1_25lookback_scan_determinismE0ELb0ES3_N6thrust23THRUST_200600_302600_NS6detail15normal_iteratorINSB_10device_ptrIjEEEENSD_INSE_IS6_EEEESI_S6_NSB_4plusIvEENSB_8equal_toIvEES6_EE10hipError_tPvRmT2_T3_T4_T5_mT6_T7_P12ihipStream_tbENKUlT_T0_E_clISt17integral_constantIbLb1EES12_IbLb0EEEEDaSY_SZ_EUlSY_E_NS1_11comp_targetILNS1_3genE10ELNS1_11target_archE1200ELNS1_3gpuE4ELNS1_3repE0EEENS1_30default_config_static_selectorELNS0_4arch9wavefront6targetE0EEEvT1_,"axG",@progbits,_ZN7rocprim17ROCPRIM_400000_NS6detail17trampoline_kernelINS0_14default_configENS1_27scan_by_key_config_selectorIj11FixedVectorIiLj1EEEEZZNS1_16scan_by_key_implILNS1_25lookback_scan_determinismE0ELb0ES3_N6thrust23THRUST_200600_302600_NS6detail15normal_iteratorINSB_10device_ptrIjEEEENSD_INSE_IS6_EEEESI_S6_NSB_4plusIvEENSB_8equal_toIvEES6_EE10hipError_tPvRmT2_T3_T4_T5_mT6_T7_P12ihipStream_tbENKUlT_T0_E_clISt17integral_constantIbLb1EES12_IbLb0EEEEDaSY_SZ_EUlSY_E_NS1_11comp_targetILNS1_3genE10ELNS1_11target_archE1200ELNS1_3gpuE4ELNS1_3repE0EEENS1_30default_config_static_selectorELNS0_4arch9wavefront6targetE0EEEvT1_,comdat
	.protected	_ZN7rocprim17ROCPRIM_400000_NS6detail17trampoline_kernelINS0_14default_configENS1_27scan_by_key_config_selectorIj11FixedVectorIiLj1EEEEZZNS1_16scan_by_key_implILNS1_25lookback_scan_determinismE0ELb0ES3_N6thrust23THRUST_200600_302600_NS6detail15normal_iteratorINSB_10device_ptrIjEEEENSD_INSE_IS6_EEEESI_S6_NSB_4plusIvEENSB_8equal_toIvEES6_EE10hipError_tPvRmT2_T3_T4_T5_mT6_T7_P12ihipStream_tbENKUlT_T0_E_clISt17integral_constantIbLb1EES12_IbLb0EEEEDaSY_SZ_EUlSY_E_NS1_11comp_targetILNS1_3genE10ELNS1_11target_archE1200ELNS1_3gpuE4ELNS1_3repE0EEENS1_30default_config_static_selectorELNS0_4arch9wavefront6targetE0EEEvT1_ ; -- Begin function _ZN7rocprim17ROCPRIM_400000_NS6detail17trampoline_kernelINS0_14default_configENS1_27scan_by_key_config_selectorIj11FixedVectorIiLj1EEEEZZNS1_16scan_by_key_implILNS1_25lookback_scan_determinismE0ELb0ES3_N6thrust23THRUST_200600_302600_NS6detail15normal_iteratorINSB_10device_ptrIjEEEENSD_INSE_IS6_EEEESI_S6_NSB_4plusIvEENSB_8equal_toIvEES6_EE10hipError_tPvRmT2_T3_T4_T5_mT6_T7_P12ihipStream_tbENKUlT_T0_E_clISt17integral_constantIbLb1EES12_IbLb0EEEEDaSY_SZ_EUlSY_E_NS1_11comp_targetILNS1_3genE10ELNS1_11target_archE1200ELNS1_3gpuE4ELNS1_3repE0EEENS1_30default_config_static_selectorELNS0_4arch9wavefront6targetE0EEEvT1_
	.globl	_ZN7rocprim17ROCPRIM_400000_NS6detail17trampoline_kernelINS0_14default_configENS1_27scan_by_key_config_selectorIj11FixedVectorIiLj1EEEEZZNS1_16scan_by_key_implILNS1_25lookback_scan_determinismE0ELb0ES3_N6thrust23THRUST_200600_302600_NS6detail15normal_iteratorINSB_10device_ptrIjEEEENSD_INSE_IS6_EEEESI_S6_NSB_4plusIvEENSB_8equal_toIvEES6_EE10hipError_tPvRmT2_T3_T4_T5_mT6_T7_P12ihipStream_tbENKUlT_T0_E_clISt17integral_constantIbLb1EES12_IbLb0EEEEDaSY_SZ_EUlSY_E_NS1_11comp_targetILNS1_3genE10ELNS1_11target_archE1200ELNS1_3gpuE4ELNS1_3repE0EEENS1_30default_config_static_selectorELNS0_4arch9wavefront6targetE0EEEvT1_
	.p2align	8
	.type	_ZN7rocprim17ROCPRIM_400000_NS6detail17trampoline_kernelINS0_14default_configENS1_27scan_by_key_config_selectorIj11FixedVectorIiLj1EEEEZZNS1_16scan_by_key_implILNS1_25lookback_scan_determinismE0ELb0ES3_N6thrust23THRUST_200600_302600_NS6detail15normal_iteratorINSB_10device_ptrIjEEEENSD_INSE_IS6_EEEESI_S6_NSB_4plusIvEENSB_8equal_toIvEES6_EE10hipError_tPvRmT2_T3_T4_T5_mT6_T7_P12ihipStream_tbENKUlT_T0_E_clISt17integral_constantIbLb1EES12_IbLb0EEEEDaSY_SZ_EUlSY_E_NS1_11comp_targetILNS1_3genE10ELNS1_11target_archE1200ELNS1_3gpuE4ELNS1_3repE0EEENS1_30default_config_static_selectorELNS0_4arch9wavefront6targetE0EEEvT1_,@function
_ZN7rocprim17ROCPRIM_400000_NS6detail17trampoline_kernelINS0_14default_configENS1_27scan_by_key_config_selectorIj11FixedVectorIiLj1EEEEZZNS1_16scan_by_key_implILNS1_25lookback_scan_determinismE0ELb0ES3_N6thrust23THRUST_200600_302600_NS6detail15normal_iteratorINSB_10device_ptrIjEEEENSD_INSE_IS6_EEEESI_S6_NSB_4plusIvEENSB_8equal_toIvEES6_EE10hipError_tPvRmT2_T3_T4_T5_mT6_T7_P12ihipStream_tbENKUlT_T0_E_clISt17integral_constantIbLb1EES12_IbLb0EEEEDaSY_SZ_EUlSY_E_NS1_11comp_targetILNS1_3genE10ELNS1_11target_archE1200ELNS1_3gpuE4ELNS1_3repE0EEENS1_30default_config_static_selectorELNS0_4arch9wavefront6targetE0EEEvT1_: ; @_ZN7rocprim17ROCPRIM_400000_NS6detail17trampoline_kernelINS0_14default_configENS1_27scan_by_key_config_selectorIj11FixedVectorIiLj1EEEEZZNS1_16scan_by_key_implILNS1_25lookback_scan_determinismE0ELb0ES3_N6thrust23THRUST_200600_302600_NS6detail15normal_iteratorINSB_10device_ptrIjEEEENSD_INSE_IS6_EEEESI_S6_NSB_4plusIvEENSB_8equal_toIvEES6_EE10hipError_tPvRmT2_T3_T4_T5_mT6_T7_P12ihipStream_tbENKUlT_T0_E_clISt17integral_constantIbLb1EES12_IbLb0EEEEDaSY_SZ_EUlSY_E_NS1_11comp_targetILNS1_3genE10ELNS1_11target_archE1200ELNS1_3gpuE4ELNS1_3repE0EEENS1_30default_config_static_selectorELNS0_4arch9wavefront6targetE0EEEvT1_
; %bb.0:
	.section	.rodata,"a",@progbits
	.p2align	6, 0x0
	.amdhsa_kernel _ZN7rocprim17ROCPRIM_400000_NS6detail17trampoline_kernelINS0_14default_configENS1_27scan_by_key_config_selectorIj11FixedVectorIiLj1EEEEZZNS1_16scan_by_key_implILNS1_25lookback_scan_determinismE0ELb0ES3_N6thrust23THRUST_200600_302600_NS6detail15normal_iteratorINSB_10device_ptrIjEEEENSD_INSE_IS6_EEEESI_S6_NSB_4plusIvEENSB_8equal_toIvEES6_EE10hipError_tPvRmT2_T3_T4_T5_mT6_T7_P12ihipStream_tbENKUlT_T0_E_clISt17integral_constantIbLb1EES12_IbLb0EEEEDaSY_SZ_EUlSY_E_NS1_11comp_targetILNS1_3genE10ELNS1_11target_archE1200ELNS1_3gpuE4ELNS1_3repE0EEENS1_30default_config_static_selectorELNS0_4arch9wavefront6targetE0EEEvT1_
		.amdhsa_group_segment_fixed_size 0
		.amdhsa_private_segment_fixed_size 0
		.amdhsa_kernarg_size 112
		.amdhsa_user_sgpr_count 6
		.amdhsa_user_sgpr_private_segment_buffer 1
		.amdhsa_user_sgpr_dispatch_ptr 0
		.amdhsa_user_sgpr_queue_ptr 0
		.amdhsa_user_sgpr_kernarg_segment_ptr 1
		.amdhsa_user_sgpr_dispatch_id 0
		.amdhsa_user_sgpr_flat_scratch_init 0
		.amdhsa_user_sgpr_private_segment_size 0
		.amdhsa_wavefront_size32 1
		.amdhsa_uses_dynamic_stack 0
		.amdhsa_system_sgpr_private_segment_wavefront_offset 0
		.amdhsa_system_sgpr_workgroup_id_x 1
		.amdhsa_system_sgpr_workgroup_id_y 0
		.amdhsa_system_sgpr_workgroup_id_z 0
		.amdhsa_system_sgpr_workgroup_info 0
		.amdhsa_system_vgpr_workitem_id 0
		.amdhsa_next_free_vgpr 1
		.amdhsa_next_free_sgpr 1
		.amdhsa_reserve_vcc 0
		.amdhsa_reserve_flat_scratch 0
		.amdhsa_float_round_mode_32 0
		.amdhsa_float_round_mode_16_64 0
		.amdhsa_float_denorm_mode_32 3
		.amdhsa_float_denorm_mode_16_64 3
		.amdhsa_dx10_clamp 1
		.amdhsa_ieee_mode 1
		.amdhsa_fp16_overflow 0
		.amdhsa_workgroup_processor_mode 1
		.amdhsa_memory_ordered 1
		.amdhsa_forward_progress 1
		.amdhsa_shared_vgpr_count 0
		.amdhsa_exception_fp_ieee_invalid_op 0
		.amdhsa_exception_fp_denorm_src 0
		.amdhsa_exception_fp_ieee_div_zero 0
		.amdhsa_exception_fp_ieee_overflow 0
		.amdhsa_exception_fp_ieee_underflow 0
		.amdhsa_exception_fp_ieee_inexact 0
		.amdhsa_exception_int_div_zero 0
	.end_amdhsa_kernel
	.section	.text._ZN7rocprim17ROCPRIM_400000_NS6detail17trampoline_kernelINS0_14default_configENS1_27scan_by_key_config_selectorIj11FixedVectorIiLj1EEEEZZNS1_16scan_by_key_implILNS1_25lookback_scan_determinismE0ELb0ES3_N6thrust23THRUST_200600_302600_NS6detail15normal_iteratorINSB_10device_ptrIjEEEENSD_INSE_IS6_EEEESI_S6_NSB_4plusIvEENSB_8equal_toIvEES6_EE10hipError_tPvRmT2_T3_T4_T5_mT6_T7_P12ihipStream_tbENKUlT_T0_E_clISt17integral_constantIbLb1EES12_IbLb0EEEEDaSY_SZ_EUlSY_E_NS1_11comp_targetILNS1_3genE10ELNS1_11target_archE1200ELNS1_3gpuE4ELNS1_3repE0EEENS1_30default_config_static_selectorELNS0_4arch9wavefront6targetE0EEEvT1_,"axG",@progbits,_ZN7rocprim17ROCPRIM_400000_NS6detail17trampoline_kernelINS0_14default_configENS1_27scan_by_key_config_selectorIj11FixedVectorIiLj1EEEEZZNS1_16scan_by_key_implILNS1_25lookback_scan_determinismE0ELb0ES3_N6thrust23THRUST_200600_302600_NS6detail15normal_iteratorINSB_10device_ptrIjEEEENSD_INSE_IS6_EEEESI_S6_NSB_4plusIvEENSB_8equal_toIvEES6_EE10hipError_tPvRmT2_T3_T4_T5_mT6_T7_P12ihipStream_tbENKUlT_T0_E_clISt17integral_constantIbLb1EES12_IbLb0EEEEDaSY_SZ_EUlSY_E_NS1_11comp_targetILNS1_3genE10ELNS1_11target_archE1200ELNS1_3gpuE4ELNS1_3repE0EEENS1_30default_config_static_selectorELNS0_4arch9wavefront6targetE0EEEvT1_,comdat
.Lfunc_end1897:
	.size	_ZN7rocprim17ROCPRIM_400000_NS6detail17trampoline_kernelINS0_14default_configENS1_27scan_by_key_config_selectorIj11FixedVectorIiLj1EEEEZZNS1_16scan_by_key_implILNS1_25lookback_scan_determinismE0ELb0ES3_N6thrust23THRUST_200600_302600_NS6detail15normal_iteratorINSB_10device_ptrIjEEEENSD_INSE_IS6_EEEESI_S6_NSB_4plusIvEENSB_8equal_toIvEES6_EE10hipError_tPvRmT2_T3_T4_T5_mT6_T7_P12ihipStream_tbENKUlT_T0_E_clISt17integral_constantIbLb1EES12_IbLb0EEEEDaSY_SZ_EUlSY_E_NS1_11comp_targetILNS1_3genE10ELNS1_11target_archE1200ELNS1_3gpuE4ELNS1_3repE0EEENS1_30default_config_static_selectorELNS0_4arch9wavefront6targetE0EEEvT1_, .Lfunc_end1897-_ZN7rocprim17ROCPRIM_400000_NS6detail17trampoline_kernelINS0_14default_configENS1_27scan_by_key_config_selectorIj11FixedVectorIiLj1EEEEZZNS1_16scan_by_key_implILNS1_25lookback_scan_determinismE0ELb0ES3_N6thrust23THRUST_200600_302600_NS6detail15normal_iteratorINSB_10device_ptrIjEEEENSD_INSE_IS6_EEEESI_S6_NSB_4plusIvEENSB_8equal_toIvEES6_EE10hipError_tPvRmT2_T3_T4_T5_mT6_T7_P12ihipStream_tbENKUlT_T0_E_clISt17integral_constantIbLb1EES12_IbLb0EEEEDaSY_SZ_EUlSY_E_NS1_11comp_targetILNS1_3genE10ELNS1_11target_archE1200ELNS1_3gpuE4ELNS1_3repE0EEENS1_30default_config_static_selectorELNS0_4arch9wavefront6targetE0EEEvT1_
                                        ; -- End function
	.set _ZN7rocprim17ROCPRIM_400000_NS6detail17trampoline_kernelINS0_14default_configENS1_27scan_by_key_config_selectorIj11FixedVectorIiLj1EEEEZZNS1_16scan_by_key_implILNS1_25lookback_scan_determinismE0ELb0ES3_N6thrust23THRUST_200600_302600_NS6detail15normal_iteratorINSB_10device_ptrIjEEEENSD_INSE_IS6_EEEESI_S6_NSB_4plusIvEENSB_8equal_toIvEES6_EE10hipError_tPvRmT2_T3_T4_T5_mT6_T7_P12ihipStream_tbENKUlT_T0_E_clISt17integral_constantIbLb1EES12_IbLb0EEEEDaSY_SZ_EUlSY_E_NS1_11comp_targetILNS1_3genE10ELNS1_11target_archE1200ELNS1_3gpuE4ELNS1_3repE0EEENS1_30default_config_static_selectorELNS0_4arch9wavefront6targetE0EEEvT1_.num_vgpr, 0
	.set _ZN7rocprim17ROCPRIM_400000_NS6detail17trampoline_kernelINS0_14default_configENS1_27scan_by_key_config_selectorIj11FixedVectorIiLj1EEEEZZNS1_16scan_by_key_implILNS1_25lookback_scan_determinismE0ELb0ES3_N6thrust23THRUST_200600_302600_NS6detail15normal_iteratorINSB_10device_ptrIjEEEENSD_INSE_IS6_EEEESI_S6_NSB_4plusIvEENSB_8equal_toIvEES6_EE10hipError_tPvRmT2_T3_T4_T5_mT6_T7_P12ihipStream_tbENKUlT_T0_E_clISt17integral_constantIbLb1EES12_IbLb0EEEEDaSY_SZ_EUlSY_E_NS1_11comp_targetILNS1_3genE10ELNS1_11target_archE1200ELNS1_3gpuE4ELNS1_3repE0EEENS1_30default_config_static_selectorELNS0_4arch9wavefront6targetE0EEEvT1_.num_agpr, 0
	.set _ZN7rocprim17ROCPRIM_400000_NS6detail17trampoline_kernelINS0_14default_configENS1_27scan_by_key_config_selectorIj11FixedVectorIiLj1EEEEZZNS1_16scan_by_key_implILNS1_25lookback_scan_determinismE0ELb0ES3_N6thrust23THRUST_200600_302600_NS6detail15normal_iteratorINSB_10device_ptrIjEEEENSD_INSE_IS6_EEEESI_S6_NSB_4plusIvEENSB_8equal_toIvEES6_EE10hipError_tPvRmT2_T3_T4_T5_mT6_T7_P12ihipStream_tbENKUlT_T0_E_clISt17integral_constantIbLb1EES12_IbLb0EEEEDaSY_SZ_EUlSY_E_NS1_11comp_targetILNS1_3genE10ELNS1_11target_archE1200ELNS1_3gpuE4ELNS1_3repE0EEENS1_30default_config_static_selectorELNS0_4arch9wavefront6targetE0EEEvT1_.numbered_sgpr, 0
	.set _ZN7rocprim17ROCPRIM_400000_NS6detail17trampoline_kernelINS0_14default_configENS1_27scan_by_key_config_selectorIj11FixedVectorIiLj1EEEEZZNS1_16scan_by_key_implILNS1_25lookback_scan_determinismE0ELb0ES3_N6thrust23THRUST_200600_302600_NS6detail15normal_iteratorINSB_10device_ptrIjEEEENSD_INSE_IS6_EEEESI_S6_NSB_4plusIvEENSB_8equal_toIvEES6_EE10hipError_tPvRmT2_T3_T4_T5_mT6_T7_P12ihipStream_tbENKUlT_T0_E_clISt17integral_constantIbLb1EES12_IbLb0EEEEDaSY_SZ_EUlSY_E_NS1_11comp_targetILNS1_3genE10ELNS1_11target_archE1200ELNS1_3gpuE4ELNS1_3repE0EEENS1_30default_config_static_selectorELNS0_4arch9wavefront6targetE0EEEvT1_.num_named_barrier, 0
	.set _ZN7rocprim17ROCPRIM_400000_NS6detail17trampoline_kernelINS0_14default_configENS1_27scan_by_key_config_selectorIj11FixedVectorIiLj1EEEEZZNS1_16scan_by_key_implILNS1_25lookback_scan_determinismE0ELb0ES3_N6thrust23THRUST_200600_302600_NS6detail15normal_iteratorINSB_10device_ptrIjEEEENSD_INSE_IS6_EEEESI_S6_NSB_4plusIvEENSB_8equal_toIvEES6_EE10hipError_tPvRmT2_T3_T4_T5_mT6_T7_P12ihipStream_tbENKUlT_T0_E_clISt17integral_constantIbLb1EES12_IbLb0EEEEDaSY_SZ_EUlSY_E_NS1_11comp_targetILNS1_3genE10ELNS1_11target_archE1200ELNS1_3gpuE4ELNS1_3repE0EEENS1_30default_config_static_selectorELNS0_4arch9wavefront6targetE0EEEvT1_.private_seg_size, 0
	.set _ZN7rocprim17ROCPRIM_400000_NS6detail17trampoline_kernelINS0_14default_configENS1_27scan_by_key_config_selectorIj11FixedVectorIiLj1EEEEZZNS1_16scan_by_key_implILNS1_25lookback_scan_determinismE0ELb0ES3_N6thrust23THRUST_200600_302600_NS6detail15normal_iteratorINSB_10device_ptrIjEEEENSD_INSE_IS6_EEEESI_S6_NSB_4plusIvEENSB_8equal_toIvEES6_EE10hipError_tPvRmT2_T3_T4_T5_mT6_T7_P12ihipStream_tbENKUlT_T0_E_clISt17integral_constantIbLb1EES12_IbLb0EEEEDaSY_SZ_EUlSY_E_NS1_11comp_targetILNS1_3genE10ELNS1_11target_archE1200ELNS1_3gpuE4ELNS1_3repE0EEENS1_30default_config_static_selectorELNS0_4arch9wavefront6targetE0EEEvT1_.uses_vcc, 0
	.set _ZN7rocprim17ROCPRIM_400000_NS6detail17trampoline_kernelINS0_14default_configENS1_27scan_by_key_config_selectorIj11FixedVectorIiLj1EEEEZZNS1_16scan_by_key_implILNS1_25lookback_scan_determinismE0ELb0ES3_N6thrust23THRUST_200600_302600_NS6detail15normal_iteratorINSB_10device_ptrIjEEEENSD_INSE_IS6_EEEESI_S6_NSB_4plusIvEENSB_8equal_toIvEES6_EE10hipError_tPvRmT2_T3_T4_T5_mT6_T7_P12ihipStream_tbENKUlT_T0_E_clISt17integral_constantIbLb1EES12_IbLb0EEEEDaSY_SZ_EUlSY_E_NS1_11comp_targetILNS1_3genE10ELNS1_11target_archE1200ELNS1_3gpuE4ELNS1_3repE0EEENS1_30default_config_static_selectorELNS0_4arch9wavefront6targetE0EEEvT1_.uses_flat_scratch, 0
	.set _ZN7rocprim17ROCPRIM_400000_NS6detail17trampoline_kernelINS0_14default_configENS1_27scan_by_key_config_selectorIj11FixedVectorIiLj1EEEEZZNS1_16scan_by_key_implILNS1_25lookback_scan_determinismE0ELb0ES3_N6thrust23THRUST_200600_302600_NS6detail15normal_iteratorINSB_10device_ptrIjEEEENSD_INSE_IS6_EEEESI_S6_NSB_4plusIvEENSB_8equal_toIvEES6_EE10hipError_tPvRmT2_T3_T4_T5_mT6_T7_P12ihipStream_tbENKUlT_T0_E_clISt17integral_constantIbLb1EES12_IbLb0EEEEDaSY_SZ_EUlSY_E_NS1_11comp_targetILNS1_3genE10ELNS1_11target_archE1200ELNS1_3gpuE4ELNS1_3repE0EEENS1_30default_config_static_selectorELNS0_4arch9wavefront6targetE0EEEvT1_.has_dyn_sized_stack, 0
	.set _ZN7rocprim17ROCPRIM_400000_NS6detail17trampoline_kernelINS0_14default_configENS1_27scan_by_key_config_selectorIj11FixedVectorIiLj1EEEEZZNS1_16scan_by_key_implILNS1_25lookback_scan_determinismE0ELb0ES3_N6thrust23THRUST_200600_302600_NS6detail15normal_iteratorINSB_10device_ptrIjEEEENSD_INSE_IS6_EEEESI_S6_NSB_4plusIvEENSB_8equal_toIvEES6_EE10hipError_tPvRmT2_T3_T4_T5_mT6_T7_P12ihipStream_tbENKUlT_T0_E_clISt17integral_constantIbLb1EES12_IbLb0EEEEDaSY_SZ_EUlSY_E_NS1_11comp_targetILNS1_3genE10ELNS1_11target_archE1200ELNS1_3gpuE4ELNS1_3repE0EEENS1_30default_config_static_selectorELNS0_4arch9wavefront6targetE0EEEvT1_.has_recursion, 0
	.set _ZN7rocprim17ROCPRIM_400000_NS6detail17trampoline_kernelINS0_14default_configENS1_27scan_by_key_config_selectorIj11FixedVectorIiLj1EEEEZZNS1_16scan_by_key_implILNS1_25lookback_scan_determinismE0ELb0ES3_N6thrust23THRUST_200600_302600_NS6detail15normal_iteratorINSB_10device_ptrIjEEEENSD_INSE_IS6_EEEESI_S6_NSB_4plusIvEENSB_8equal_toIvEES6_EE10hipError_tPvRmT2_T3_T4_T5_mT6_T7_P12ihipStream_tbENKUlT_T0_E_clISt17integral_constantIbLb1EES12_IbLb0EEEEDaSY_SZ_EUlSY_E_NS1_11comp_targetILNS1_3genE10ELNS1_11target_archE1200ELNS1_3gpuE4ELNS1_3repE0EEENS1_30default_config_static_selectorELNS0_4arch9wavefront6targetE0EEEvT1_.has_indirect_call, 0
	.section	.AMDGPU.csdata,"",@progbits
; Kernel info:
; codeLenInByte = 0
; TotalNumSgprs: 0
; NumVgprs: 0
; ScratchSize: 0
; MemoryBound: 0
; FloatMode: 240
; IeeeMode: 1
; LDSByteSize: 0 bytes/workgroup (compile time only)
; SGPRBlocks: 0
; VGPRBlocks: 0
; NumSGPRsForWavesPerEU: 1
; NumVGPRsForWavesPerEU: 1
; Occupancy: 16
; WaveLimiterHint : 0
; COMPUTE_PGM_RSRC2:SCRATCH_EN: 0
; COMPUTE_PGM_RSRC2:USER_SGPR: 6
; COMPUTE_PGM_RSRC2:TRAP_HANDLER: 0
; COMPUTE_PGM_RSRC2:TGID_X_EN: 1
; COMPUTE_PGM_RSRC2:TGID_Y_EN: 0
; COMPUTE_PGM_RSRC2:TGID_Z_EN: 0
; COMPUTE_PGM_RSRC2:TIDIG_COMP_CNT: 0
	.section	.text._ZN7rocprim17ROCPRIM_400000_NS6detail17trampoline_kernelINS0_14default_configENS1_27scan_by_key_config_selectorIj11FixedVectorIiLj1EEEEZZNS1_16scan_by_key_implILNS1_25lookback_scan_determinismE0ELb0ES3_N6thrust23THRUST_200600_302600_NS6detail15normal_iteratorINSB_10device_ptrIjEEEENSD_INSE_IS6_EEEESI_S6_NSB_4plusIvEENSB_8equal_toIvEES6_EE10hipError_tPvRmT2_T3_T4_T5_mT6_T7_P12ihipStream_tbENKUlT_T0_E_clISt17integral_constantIbLb1EES12_IbLb0EEEEDaSY_SZ_EUlSY_E_NS1_11comp_targetILNS1_3genE9ELNS1_11target_archE1100ELNS1_3gpuE3ELNS1_3repE0EEENS1_30default_config_static_selectorELNS0_4arch9wavefront6targetE0EEEvT1_,"axG",@progbits,_ZN7rocprim17ROCPRIM_400000_NS6detail17trampoline_kernelINS0_14default_configENS1_27scan_by_key_config_selectorIj11FixedVectorIiLj1EEEEZZNS1_16scan_by_key_implILNS1_25lookback_scan_determinismE0ELb0ES3_N6thrust23THRUST_200600_302600_NS6detail15normal_iteratorINSB_10device_ptrIjEEEENSD_INSE_IS6_EEEESI_S6_NSB_4plusIvEENSB_8equal_toIvEES6_EE10hipError_tPvRmT2_T3_T4_T5_mT6_T7_P12ihipStream_tbENKUlT_T0_E_clISt17integral_constantIbLb1EES12_IbLb0EEEEDaSY_SZ_EUlSY_E_NS1_11comp_targetILNS1_3genE9ELNS1_11target_archE1100ELNS1_3gpuE3ELNS1_3repE0EEENS1_30default_config_static_selectorELNS0_4arch9wavefront6targetE0EEEvT1_,comdat
	.protected	_ZN7rocprim17ROCPRIM_400000_NS6detail17trampoline_kernelINS0_14default_configENS1_27scan_by_key_config_selectorIj11FixedVectorIiLj1EEEEZZNS1_16scan_by_key_implILNS1_25lookback_scan_determinismE0ELb0ES3_N6thrust23THRUST_200600_302600_NS6detail15normal_iteratorINSB_10device_ptrIjEEEENSD_INSE_IS6_EEEESI_S6_NSB_4plusIvEENSB_8equal_toIvEES6_EE10hipError_tPvRmT2_T3_T4_T5_mT6_T7_P12ihipStream_tbENKUlT_T0_E_clISt17integral_constantIbLb1EES12_IbLb0EEEEDaSY_SZ_EUlSY_E_NS1_11comp_targetILNS1_3genE9ELNS1_11target_archE1100ELNS1_3gpuE3ELNS1_3repE0EEENS1_30default_config_static_selectorELNS0_4arch9wavefront6targetE0EEEvT1_ ; -- Begin function _ZN7rocprim17ROCPRIM_400000_NS6detail17trampoline_kernelINS0_14default_configENS1_27scan_by_key_config_selectorIj11FixedVectorIiLj1EEEEZZNS1_16scan_by_key_implILNS1_25lookback_scan_determinismE0ELb0ES3_N6thrust23THRUST_200600_302600_NS6detail15normal_iteratorINSB_10device_ptrIjEEEENSD_INSE_IS6_EEEESI_S6_NSB_4plusIvEENSB_8equal_toIvEES6_EE10hipError_tPvRmT2_T3_T4_T5_mT6_T7_P12ihipStream_tbENKUlT_T0_E_clISt17integral_constantIbLb1EES12_IbLb0EEEEDaSY_SZ_EUlSY_E_NS1_11comp_targetILNS1_3genE9ELNS1_11target_archE1100ELNS1_3gpuE3ELNS1_3repE0EEENS1_30default_config_static_selectorELNS0_4arch9wavefront6targetE0EEEvT1_
	.globl	_ZN7rocprim17ROCPRIM_400000_NS6detail17trampoline_kernelINS0_14default_configENS1_27scan_by_key_config_selectorIj11FixedVectorIiLj1EEEEZZNS1_16scan_by_key_implILNS1_25lookback_scan_determinismE0ELb0ES3_N6thrust23THRUST_200600_302600_NS6detail15normal_iteratorINSB_10device_ptrIjEEEENSD_INSE_IS6_EEEESI_S6_NSB_4plusIvEENSB_8equal_toIvEES6_EE10hipError_tPvRmT2_T3_T4_T5_mT6_T7_P12ihipStream_tbENKUlT_T0_E_clISt17integral_constantIbLb1EES12_IbLb0EEEEDaSY_SZ_EUlSY_E_NS1_11comp_targetILNS1_3genE9ELNS1_11target_archE1100ELNS1_3gpuE3ELNS1_3repE0EEENS1_30default_config_static_selectorELNS0_4arch9wavefront6targetE0EEEvT1_
	.p2align	8
	.type	_ZN7rocprim17ROCPRIM_400000_NS6detail17trampoline_kernelINS0_14default_configENS1_27scan_by_key_config_selectorIj11FixedVectorIiLj1EEEEZZNS1_16scan_by_key_implILNS1_25lookback_scan_determinismE0ELb0ES3_N6thrust23THRUST_200600_302600_NS6detail15normal_iteratorINSB_10device_ptrIjEEEENSD_INSE_IS6_EEEESI_S6_NSB_4plusIvEENSB_8equal_toIvEES6_EE10hipError_tPvRmT2_T3_T4_T5_mT6_T7_P12ihipStream_tbENKUlT_T0_E_clISt17integral_constantIbLb1EES12_IbLb0EEEEDaSY_SZ_EUlSY_E_NS1_11comp_targetILNS1_3genE9ELNS1_11target_archE1100ELNS1_3gpuE3ELNS1_3repE0EEENS1_30default_config_static_selectorELNS0_4arch9wavefront6targetE0EEEvT1_,@function
_ZN7rocprim17ROCPRIM_400000_NS6detail17trampoline_kernelINS0_14default_configENS1_27scan_by_key_config_selectorIj11FixedVectorIiLj1EEEEZZNS1_16scan_by_key_implILNS1_25lookback_scan_determinismE0ELb0ES3_N6thrust23THRUST_200600_302600_NS6detail15normal_iteratorINSB_10device_ptrIjEEEENSD_INSE_IS6_EEEESI_S6_NSB_4plusIvEENSB_8equal_toIvEES6_EE10hipError_tPvRmT2_T3_T4_T5_mT6_T7_P12ihipStream_tbENKUlT_T0_E_clISt17integral_constantIbLb1EES12_IbLb0EEEEDaSY_SZ_EUlSY_E_NS1_11comp_targetILNS1_3genE9ELNS1_11target_archE1100ELNS1_3gpuE3ELNS1_3repE0EEENS1_30default_config_static_selectorELNS0_4arch9wavefront6targetE0EEEvT1_: ; @_ZN7rocprim17ROCPRIM_400000_NS6detail17trampoline_kernelINS0_14default_configENS1_27scan_by_key_config_selectorIj11FixedVectorIiLj1EEEEZZNS1_16scan_by_key_implILNS1_25lookback_scan_determinismE0ELb0ES3_N6thrust23THRUST_200600_302600_NS6detail15normal_iteratorINSB_10device_ptrIjEEEENSD_INSE_IS6_EEEESI_S6_NSB_4plusIvEENSB_8equal_toIvEES6_EE10hipError_tPvRmT2_T3_T4_T5_mT6_T7_P12ihipStream_tbENKUlT_T0_E_clISt17integral_constantIbLb1EES12_IbLb0EEEEDaSY_SZ_EUlSY_E_NS1_11comp_targetILNS1_3genE9ELNS1_11target_archE1100ELNS1_3gpuE3ELNS1_3repE0EEENS1_30default_config_static_selectorELNS0_4arch9wavefront6targetE0EEEvT1_
; %bb.0:
	.section	.rodata,"a",@progbits
	.p2align	6, 0x0
	.amdhsa_kernel _ZN7rocprim17ROCPRIM_400000_NS6detail17trampoline_kernelINS0_14default_configENS1_27scan_by_key_config_selectorIj11FixedVectorIiLj1EEEEZZNS1_16scan_by_key_implILNS1_25lookback_scan_determinismE0ELb0ES3_N6thrust23THRUST_200600_302600_NS6detail15normal_iteratorINSB_10device_ptrIjEEEENSD_INSE_IS6_EEEESI_S6_NSB_4plusIvEENSB_8equal_toIvEES6_EE10hipError_tPvRmT2_T3_T4_T5_mT6_T7_P12ihipStream_tbENKUlT_T0_E_clISt17integral_constantIbLb1EES12_IbLb0EEEEDaSY_SZ_EUlSY_E_NS1_11comp_targetILNS1_3genE9ELNS1_11target_archE1100ELNS1_3gpuE3ELNS1_3repE0EEENS1_30default_config_static_selectorELNS0_4arch9wavefront6targetE0EEEvT1_
		.amdhsa_group_segment_fixed_size 0
		.amdhsa_private_segment_fixed_size 0
		.amdhsa_kernarg_size 112
		.amdhsa_user_sgpr_count 6
		.amdhsa_user_sgpr_private_segment_buffer 1
		.amdhsa_user_sgpr_dispatch_ptr 0
		.amdhsa_user_sgpr_queue_ptr 0
		.amdhsa_user_sgpr_kernarg_segment_ptr 1
		.amdhsa_user_sgpr_dispatch_id 0
		.amdhsa_user_sgpr_flat_scratch_init 0
		.amdhsa_user_sgpr_private_segment_size 0
		.amdhsa_wavefront_size32 1
		.amdhsa_uses_dynamic_stack 0
		.amdhsa_system_sgpr_private_segment_wavefront_offset 0
		.amdhsa_system_sgpr_workgroup_id_x 1
		.amdhsa_system_sgpr_workgroup_id_y 0
		.amdhsa_system_sgpr_workgroup_id_z 0
		.amdhsa_system_sgpr_workgroup_info 0
		.amdhsa_system_vgpr_workitem_id 0
		.amdhsa_next_free_vgpr 1
		.amdhsa_next_free_sgpr 1
		.amdhsa_reserve_vcc 0
		.amdhsa_reserve_flat_scratch 0
		.amdhsa_float_round_mode_32 0
		.amdhsa_float_round_mode_16_64 0
		.amdhsa_float_denorm_mode_32 3
		.amdhsa_float_denorm_mode_16_64 3
		.amdhsa_dx10_clamp 1
		.amdhsa_ieee_mode 1
		.amdhsa_fp16_overflow 0
		.amdhsa_workgroup_processor_mode 1
		.amdhsa_memory_ordered 1
		.amdhsa_forward_progress 1
		.amdhsa_shared_vgpr_count 0
		.amdhsa_exception_fp_ieee_invalid_op 0
		.amdhsa_exception_fp_denorm_src 0
		.amdhsa_exception_fp_ieee_div_zero 0
		.amdhsa_exception_fp_ieee_overflow 0
		.amdhsa_exception_fp_ieee_underflow 0
		.amdhsa_exception_fp_ieee_inexact 0
		.amdhsa_exception_int_div_zero 0
	.end_amdhsa_kernel
	.section	.text._ZN7rocprim17ROCPRIM_400000_NS6detail17trampoline_kernelINS0_14default_configENS1_27scan_by_key_config_selectorIj11FixedVectorIiLj1EEEEZZNS1_16scan_by_key_implILNS1_25lookback_scan_determinismE0ELb0ES3_N6thrust23THRUST_200600_302600_NS6detail15normal_iteratorINSB_10device_ptrIjEEEENSD_INSE_IS6_EEEESI_S6_NSB_4plusIvEENSB_8equal_toIvEES6_EE10hipError_tPvRmT2_T3_T4_T5_mT6_T7_P12ihipStream_tbENKUlT_T0_E_clISt17integral_constantIbLb1EES12_IbLb0EEEEDaSY_SZ_EUlSY_E_NS1_11comp_targetILNS1_3genE9ELNS1_11target_archE1100ELNS1_3gpuE3ELNS1_3repE0EEENS1_30default_config_static_selectorELNS0_4arch9wavefront6targetE0EEEvT1_,"axG",@progbits,_ZN7rocprim17ROCPRIM_400000_NS6detail17trampoline_kernelINS0_14default_configENS1_27scan_by_key_config_selectorIj11FixedVectorIiLj1EEEEZZNS1_16scan_by_key_implILNS1_25lookback_scan_determinismE0ELb0ES3_N6thrust23THRUST_200600_302600_NS6detail15normal_iteratorINSB_10device_ptrIjEEEENSD_INSE_IS6_EEEESI_S6_NSB_4plusIvEENSB_8equal_toIvEES6_EE10hipError_tPvRmT2_T3_T4_T5_mT6_T7_P12ihipStream_tbENKUlT_T0_E_clISt17integral_constantIbLb1EES12_IbLb0EEEEDaSY_SZ_EUlSY_E_NS1_11comp_targetILNS1_3genE9ELNS1_11target_archE1100ELNS1_3gpuE3ELNS1_3repE0EEENS1_30default_config_static_selectorELNS0_4arch9wavefront6targetE0EEEvT1_,comdat
.Lfunc_end1898:
	.size	_ZN7rocprim17ROCPRIM_400000_NS6detail17trampoline_kernelINS0_14default_configENS1_27scan_by_key_config_selectorIj11FixedVectorIiLj1EEEEZZNS1_16scan_by_key_implILNS1_25lookback_scan_determinismE0ELb0ES3_N6thrust23THRUST_200600_302600_NS6detail15normal_iteratorINSB_10device_ptrIjEEEENSD_INSE_IS6_EEEESI_S6_NSB_4plusIvEENSB_8equal_toIvEES6_EE10hipError_tPvRmT2_T3_T4_T5_mT6_T7_P12ihipStream_tbENKUlT_T0_E_clISt17integral_constantIbLb1EES12_IbLb0EEEEDaSY_SZ_EUlSY_E_NS1_11comp_targetILNS1_3genE9ELNS1_11target_archE1100ELNS1_3gpuE3ELNS1_3repE0EEENS1_30default_config_static_selectorELNS0_4arch9wavefront6targetE0EEEvT1_, .Lfunc_end1898-_ZN7rocprim17ROCPRIM_400000_NS6detail17trampoline_kernelINS0_14default_configENS1_27scan_by_key_config_selectorIj11FixedVectorIiLj1EEEEZZNS1_16scan_by_key_implILNS1_25lookback_scan_determinismE0ELb0ES3_N6thrust23THRUST_200600_302600_NS6detail15normal_iteratorINSB_10device_ptrIjEEEENSD_INSE_IS6_EEEESI_S6_NSB_4plusIvEENSB_8equal_toIvEES6_EE10hipError_tPvRmT2_T3_T4_T5_mT6_T7_P12ihipStream_tbENKUlT_T0_E_clISt17integral_constantIbLb1EES12_IbLb0EEEEDaSY_SZ_EUlSY_E_NS1_11comp_targetILNS1_3genE9ELNS1_11target_archE1100ELNS1_3gpuE3ELNS1_3repE0EEENS1_30default_config_static_selectorELNS0_4arch9wavefront6targetE0EEEvT1_
                                        ; -- End function
	.set _ZN7rocprim17ROCPRIM_400000_NS6detail17trampoline_kernelINS0_14default_configENS1_27scan_by_key_config_selectorIj11FixedVectorIiLj1EEEEZZNS1_16scan_by_key_implILNS1_25lookback_scan_determinismE0ELb0ES3_N6thrust23THRUST_200600_302600_NS6detail15normal_iteratorINSB_10device_ptrIjEEEENSD_INSE_IS6_EEEESI_S6_NSB_4plusIvEENSB_8equal_toIvEES6_EE10hipError_tPvRmT2_T3_T4_T5_mT6_T7_P12ihipStream_tbENKUlT_T0_E_clISt17integral_constantIbLb1EES12_IbLb0EEEEDaSY_SZ_EUlSY_E_NS1_11comp_targetILNS1_3genE9ELNS1_11target_archE1100ELNS1_3gpuE3ELNS1_3repE0EEENS1_30default_config_static_selectorELNS0_4arch9wavefront6targetE0EEEvT1_.num_vgpr, 0
	.set _ZN7rocprim17ROCPRIM_400000_NS6detail17trampoline_kernelINS0_14default_configENS1_27scan_by_key_config_selectorIj11FixedVectorIiLj1EEEEZZNS1_16scan_by_key_implILNS1_25lookback_scan_determinismE0ELb0ES3_N6thrust23THRUST_200600_302600_NS6detail15normal_iteratorINSB_10device_ptrIjEEEENSD_INSE_IS6_EEEESI_S6_NSB_4plusIvEENSB_8equal_toIvEES6_EE10hipError_tPvRmT2_T3_T4_T5_mT6_T7_P12ihipStream_tbENKUlT_T0_E_clISt17integral_constantIbLb1EES12_IbLb0EEEEDaSY_SZ_EUlSY_E_NS1_11comp_targetILNS1_3genE9ELNS1_11target_archE1100ELNS1_3gpuE3ELNS1_3repE0EEENS1_30default_config_static_selectorELNS0_4arch9wavefront6targetE0EEEvT1_.num_agpr, 0
	.set _ZN7rocprim17ROCPRIM_400000_NS6detail17trampoline_kernelINS0_14default_configENS1_27scan_by_key_config_selectorIj11FixedVectorIiLj1EEEEZZNS1_16scan_by_key_implILNS1_25lookback_scan_determinismE0ELb0ES3_N6thrust23THRUST_200600_302600_NS6detail15normal_iteratorINSB_10device_ptrIjEEEENSD_INSE_IS6_EEEESI_S6_NSB_4plusIvEENSB_8equal_toIvEES6_EE10hipError_tPvRmT2_T3_T4_T5_mT6_T7_P12ihipStream_tbENKUlT_T0_E_clISt17integral_constantIbLb1EES12_IbLb0EEEEDaSY_SZ_EUlSY_E_NS1_11comp_targetILNS1_3genE9ELNS1_11target_archE1100ELNS1_3gpuE3ELNS1_3repE0EEENS1_30default_config_static_selectorELNS0_4arch9wavefront6targetE0EEEvT1_.numbered_sgpr, 0
	.set _ZN7rocprim17ROCPRIM_400000_NS6detail17trampoline_kernelINS0_14default_configENS1_27scan_by_key_config_selectorIj11FixedVectorIiLj1EEEEZZNS1_16scan_by_key_implILNS1_25lookback_scan_determinismE0ELb0ES3_N6thrust23THRUST_200600_302600_NS6detail15normal_iteratorINSB_10device_ptrIjEEEENSD_INSE_IS6_EEEESI_S6_NSB_4plusIvEENSB_8equal_toIvEES6_EE10hipError_tPvRmT2_T3_T4_T5_mT6_T7_P12ihipStream_tbENKUlT_T0_E_clISt17integral_constantIbLb1EES12_IbLb0EEEEDaSY_SZ_EUlSY_E_NS1_11comp_targetILNS1_3genE9ELNS1_11target_archE1100ELNS1_3gpuE3ELNS1_3repE0EEENS1_30default_config_static_selectorELNS0_4arch9wavefront6targetE0EEEvT1_.num_named_barrier, 0
	.set _ZN7rocprim17ROCPRIM_400000_NS6detail17trampoline_kernelINS0_14default_configENS1_27scan_by_key_config_selectorIj11FixedVectorIiLj1EEEEZZNS1_16scan_by_key_implILNS1_25lookback_scan_determinismE0ELb0ES3_N6thrust23THRUST_200600_302600_NS6detail15normal_iteratorINSB_10device_ptrIjEEEENSD_INSE_IS6_EEEESI_S6_NSB_4plusIvEENSB_8equal_toIvEES6_EE10hipError_tPvRmT2_T3_T4_T5_mT6_T7_P12ihipStream_tbENKUlT_T0_E_clISt17integral_constantIbLb1EES12_IbLb0EEEEDaSY_SZ_EUlSY_E_NS1_11comp_targetILNS1_3genE9ELNS1_11target_archE1100ELNS1_3gpuE3ELNS1_3repE0EEENS1_30default_config_static_selectorELNS0_4arch9wavefront6targetE0EEEvT1_.private_seg_size, 0
	.set _ZN7rocprim17ROCPRIM_400000_NS6detail17trampoline_kernelINS0_14default_configENS1_27scan_by_key_config_selectorIj11FixedVectorIiLj1EEEEZZNS1_16scan_by_key_implILNS1_25lookback_scan_determinismE0ELb0ES3_N6thrust23THRUST_200600_302600_NS6detail15normal_iteratorINSB_10device_ptrIjEEEENSD_INSE_IS6_EEEESI_S6_NSB_4plusIvEENSB_8equal_toIvEES6_EE10hipError_tPvRmT2_T3_T4_T5_mT6_T7_P12ihipStream_tbENKUlT_T0_E_clISt17integral_constantIbLb1EES12_IbLb0EEEEDaSY_SZ_EUlSY_E_NS1_11comp_targetILNS1_3genE9ELNS1_11target_archE1100ELNS1_3gpuE3ELNS1_3repE0EEENS1_30default_config_static_selectorELNS0_4arch9wavefront6targetE0EEEvT1_.uses_vcc, 0
	.set _ZN7rocprim17ROCPRIM_400000_NS6detail17trampoline_kernelINS0_14default_configENS1_27scan_by_key_config_selectorIj11FixedVectorIiLj1EEEEZZNS1_16scan_by_key_implILNS1_25lookback_scan_determinismE0ELb0ES3_N6thrust23THRUST_200600_302600_NS6detail15normal_iteratorINSB_10device_ptrIjEEEENSD_INSE_IS6_EEEESI_S6_NSB_4plusIvEENSB_8equal_toIvEES6_EE10hipError_tPvRmT2_T3_T4_T5_mT6_T7_P12ihipStream_tbENKUlT_T0_E_clISt17integral_constantIbLb1EES12_IbLb0EEEEDaSY_SZ_EUlSY_E_NS1_11comp_targetILNS1_3genE9ELNS1_11target_archE1100ELNS1_3gpuE3ELNS1_3repE0EEENS1_30default_config_static_selectorELNS0_4arch9wavefront6targetE0EEEvT1_.uses_flat_scratch, 0
	.set _ZN7rocprim17ROCPRIM_400000_NS6detail17trampoline_kernelINS0_14default_configENS1_27scan_by_key_config_selectorIj11FixedVectorIiLj1EEEEZZNS1_16scan_by_key_implILNS1_25lookback_scan_determinismE0ELb0ES3_N6thrust23THRUST_200600_302600_NS6detail15normal_iteratorINSB_10device_ptrIjEEEENSD_INSE_IS6_EEEESI_S6_NSB_4plusIvEENSB_8equal_toIvEES6_EE10hipError_tPvRmT2_T3_T4_T5_mT6_T7_P12ihipStream_tbENKUlT_T0_E_clISt17integral_constantIbLb1EES12_IbLb0EEEEDaSY_SZ_EUlSY_E_NS1_11comp_targetILNS1_3genE9ELNS1_11target_archE1100ELNS1_3gpuE3ELNS1_3repE0EEENS1_30default_config_static_selectorELNS0_4arch9wavefront6targetE0EEEvT1_.has_dyn_sized_stack, 0
	.set _ZN7rocprim17ROCPRIM_400000_NS6detail17trampoline_kernelINS0_14default_configENS1_27scan_by_key_config_selectorIj11FixedVectorIiLj1EEEEZZNS1_16scan_by_key_implILNS1_25lookback_scan_determinismE0ELb0ES3_N6thrust23THRUST_200600_302600_NS6detail15normal_iteratorINSB_10device_ptrIjEEEENSD_INSE_IS6_EEEESI_S6_NSB_4plusIvEENSB_8equal_toIvEES6_EE10hipError_tPvRmT2_T3_T4_T5_mT6_T7_P12ihipStream_tbENKUlT_T0_E_clISt17integral_constantIbLb1EES12_IbLb0EEEEDaSY_SZ_EUlSY_E_NS1_11comp_targetILNS1_3genE9ELNS1_11target_archE1100ELNS1_3gpuE3ELNS1_3repE0EEENS1_30default_config_static_selectorELNS0_4arch9wavefront6targetE0EEEvT1_.has_recursion, 0
	.set _ZN7rocprim17ROCPRIM_400000_NS6detail17trampoline_kernelINS0_14default_configENS1_27scan_by_key_config_selectorIj11FixedVectorIiLj1EEEEZZNS1_16scan_by_key_implILNS1_25lookback_scan_determinismE0ELb0ES3_N6thrust23THRUST_200600_302600_NS6detail15normal_iteratorINSB_10device_ptrIjEEEENSD_INSE_IS6_EEEESI_S6_NSB_4plusIvEENSB_8equal_toIvEES6_EE10hipError_tPvRmT2_T3_T4_T5_mT6_T7_P12ihipStream_tbENKUlT_T0_E_clISt17integral_constantIbLb1EES12_IbLb0EEEEDaSY_SZ_EUlSY_E_NS1_11comp_targetILNS1_3genE9ELNS1_11target_archE1100ELNS1_3gpuE3ELNS1_3repE0EEENS1_30default_config_static_selectorELNS0_4arch9wavefront6targetE0EEEvT1_.has_indirect_call, 0
	.section	.AMDGPU.csdata,"",@progbits
; Kernel info:
; codeLenInByte = 0
; TotalNumSgprs: 0
; NumVgprs: 0
; ScratchSize: 0
; MemoryBound: 0
; FloatMode: 240
; IeeeMode: 1
; LDSByteSize: 0 bytes/workgroup (compile time only)
; SGPRBlocks: 0
; VGPRBlocks: 0
; NumSGPRsForWavesPerEU: 1
; NumVGPRsForWavesPerEU: 1
; Occupancy: 16
; WaveLimiterHint : 0
; COMPUTE_PGM_RSRC2:SCRATCH_EN: 0
; COMPUTE_PGM_RSRC2:USER_SGPR: 6
; COMPUTE_PGM_RSRC2:TRAP_HANDLER: 0
; COMPUTE_PGM_RSRC2:TGID_X_EN: 1
; COMPUTE_PGM_RSRC2:TGID_Y_EN: 0
; COMPUTE_PGM_RSRC2:TGID_Z_EN: 0
; COMPUTE_PGM_RSRC2:TIDIG_COMP_CNT: 0
	.section	.text._ZN7rocprim17ROCPRIM_400000_NS6detail17trampoline_kernelINS0_14default_configENS1_27scan_by_key_config_selectorIj11FixedVectorIiLj1EEEEZZNS1_16scan_by_key_implILNS1_25lookback_scan_determinismE0ELb0ES3_N6thrust23THRUST_200600_302600_NS6detail15normal_iteratorINSB_10device_ptrIjEEEENSD_INSE_IS6_EEEESI_S6_NSB_4plusIvEENSB_8equal_toIvEES6_EE10hipError_tPvRmT2_T3_T4_T5_mT6_T7_P12ihipStream_tbENKUlT_T0_E_clISt17integral_constantIbLb1EES12_IbLb0EEEEDaSY_SZ_EUlSY_E_NS1_11comp_targetILNS1_3genE8ELNS1_11target_archE1030ELNS1_3gpuE2ELNS1_3repE0EEENS1_30default_config_static_selectorELNS0_4arch9wavefront6targetE0EEEvT1_,"axG",@progbits,_ZN7rocprim17ROCPRIM_400000_NS6detail17trampoline_kernelINS0_14default_configENS1_27scan_by_key_config_selectorIj11FixedVectorIiLj1EEEEZZNS1_16scan_by_key_implILNS1_25lookback_scan_determinismE0ELb0ES3_N6thrust23THRUST_200600_302600_NS6detail15normal_iteratorINSB_10device_ptrIjEEEENSD_INSE_IS6_EEEESI_S6_NSB_4plusIvEENSB_8equal_toIvEES6_EE10hipError_tPvRmT2_T3_T4_T5_mT6_T7_P12ihipStream_tbENKUlT_T0_E_clISt17integral_constantIbLb1EES12_IbLb0EEEEDaSY_SZ_EUlSY_E_NS1_11comp_targetILNS1_3genE8ELNS1_11target_archE1030ELNS1_3gpuE2ELNS1_3repE0EEENS1_30default_config_static_selectorELNS0_4arch9wavefront6targetE0EEEvT1_,comdat
	.protected	_ZN7rocprim17ROCPRIM_400000_NS6detail17trampoline_kernelINS0_14default_configENS1_27scan_by_key_config_selectorIj11FixedVectorIiLj1EEEEZZNS1_16scan_by_key_implILNS1_25lookback_scan_determinismE0ELb0ES3_N6thrust23THRUST_200600_302600_NS6detail15normal_iteratorINSB_10device_ptrIjEEEENSD_INSE_IS6_EEEESI_S6_NSB_4plusIvEENSB_8equal_toIvEES6_EE10hipError_tPvRmT2_T3_T4_T5_mT6_T7_P12ihipStream_tbENKUlT_T0_E_clISt17integral_constantIbLb1EES12_IbLb0EEEEDaSY_SZ_EUlSY_E_NS1_11comp_targetILNS1_3genE8ELNS1_11target_archE1030ELNS1_3gpuE2ELNS1_3repE0EEENS1_30default_config_static_selectorELNS0_4arch9wavefront6targetE0EEEvT1_ ; -- Begin function _ZN7rocprim17ROCPRIM_400000_NS6detail17trampoline_kernelINS0_14default_configENS1_27scan_by_key_config_selectorIj11FixedVectorIiLj1EEEEZZNS1_16scan_by_key_implILNS1_25lookback_scan_determinismE0ELb0ES3_N6thrust23THRUST_200600_302600_NS6detail15normal_iteratorINSB_10device_ptrIjEEEENSD_INSE_IS6_EEEESI_S6_NSB_4plusIvEENSB_8equal_toIvEES6_EE10hipError_tPvRmT2_T3_T4_T5_mT6_T7_P12ihipStream_tbENKUlT_T0_E_clISt17integral_constantIbLb1EES12_IbLb0EEEEDaSY_SZ_EUlSY_E_NS1_11comp_targetILNS1_3genE8ELNS1_11target_archE1030ELNS1_3gpuE2ELNS1_3repE0EEENS1_30default_config_static_selectorELNS0_4arch9wavefront6targetE0EEEvT1_
	.globl	_ZN7rocprim17ROCPRIM_400000_NS6detail17trampoline_kernelINS0_14default_configENS1_27scan_by_key_config_selectorIj11FixedVectorIiLj1EEEEZZNS1_16scan_by_key_implILNS1_25lookback_scan_determinismE0ELb0ES3_N6thrust23THRUST_200600_302600_NS6detail15normal_iteratorINSB_10device_ptrIjEEEENSD_INSE_IS6_EEEESI_S6_NSB_4plusIvEENSB_8equal_toIvEES6_EE10hipError_tPvRmT2_T3_T4_T5_mT6_T7_P12ihipStream_tbENKUlT_T0_E_clISt17integral_constantIbLb1EES12_IbLb0EEEEDaSY_SZ_EUlSY_E_NS1_11comp_targetILNS1_3genE8ELNS1_11target_archE1030ELNS1_3gpuE2ELNS1_3repE0EEENS1_30default_config_static_selectorELNS0_4arch9wavefront6targetE0EEEvT1_
	.p2align	8
	.type	_ZN7rocprim17ROCPRIM_400000_NS6detail17trampoline_kernelINS0_14default_configENS1_27scan_by_key_config_selectorIj11FixedVectorIiLj1EEEEZZNS1_16scan_by_key_implILNS1_25lookback_scan_determinismE0ELb0ES3_N6thrust23THRUST_200600_302600_NS6detail15normal_iteratorINSB_10device_ptrIjEEEENSD_INSE_IS6_EEEESI_S6_NSB_4plusIvEENSB_8equal_toIvEES6_EE10hipError_tPvRmT2_T3_T4_T5_mT6_T7_P12ihipStream_tbENKUlT_T0_E_clISt17integral_constantIbLb1EES12_IbLb0EEEEDaSY_SZ_EUlSY_E_NS1_11comp_targetILNS1_3genE8ELNS1_11target_archE1030ELNS1_3gpuE2ELNS1_3repE0EEENS1_30default_config_static_selectorELNS0_4arch9wavefront6targetE0EEEvT1_,@function
_ZN7rocprim17ROCPRIM_400000_NS6detail17trampoline_kernelINS0_14default_configENS1_27scan_by_key_config_selectorIj11FixedVectorIiLj1EEEEZZNS1_16scan_by_key_implILNS1_25lookback_scan_determinismE0ELb0ES3_N6thrust23THRUST_200600_302600_NS6detail15normal_iteratorINSB_10device_ptrIjEEEENSD_INSE_IS6_EEEESI_S6_NSB_4plusIvEENSB_8equal_toIvEES6_EE10hipError_tPvRmT2_T3_T4_T5_mT6_T7_P12ihipStream_tbENKUlT_T0_E_clISt17integral_constantIbLb1EES12_IbLb0EEEEDaSY_SZ_EUlSY_E_NS1_11comp_targetILNS1_3genE8ELNS1_11target_archE1030ELNS1_3gpuE2ELNS1_3repE0EEENS1_30default_config_static_selectorELNS0_4arch9wavefront6targetE0EEEvT1_: ; @_ZN7rocprim17ROCPRIM_400000_NS6detail17trampoline_kernelINS0_14default_configENS1_27scan_by_key_config_selectorIj11FixedVectorIiLj1EEEEZZNS1_16scan_by_key_implILNS1_25lookback_scan_determinismE0ELb0ES3_N6thrust23THRUST_200600_302600_NS6detail15normal_iteratorINSB_10device_ptrIjEEEENSD_INSE_IS6_EEEESI_S6_NSB_4plusIvEENSB_8equal_toIvEES6_EE10hipError_tPvRmT2_T3_T4_T5_mT6_T7_P12ihipStream_tbENKUlT_T0_E_clISt17integral_constantIbLb1EES12_IbLb0EEEEDaSY_SZ_EUlSY_E_NS1_11comp_targetILNS1_3genE8ELNS1_11target_archE1030ELNS1_3gpuE2ELNS1_3repE0EEENS1_30default_config_static_selectorELNS0_4arch9wavefront6targetE0EEEvT1_
; %bb.0:
	s_endpgm
	.section	.rodata,"a",@progbits
	.p2align	6, 0x0
	.amdhsa_kernel _ZN7rocprim17ROCPRIM_400000_NS6detail17trampoline_kernelINS0_14default_configENS1_27scan_by_key_config_selectorIj11FixedVectorIiLj1EEEEZZNS1_16scan_by_key_implILNS1_25lookback_scan_determinismE0ELb0ES3_N6thrust23THRUST_200600_302600_NS6detail15normal_iteratorINSB_10device_ptrIjEEEENSD_INSE_IS6_EEEESI_S6_NSB_4plusIvEENSB_8equal_toIvEES6_EE10hipError_tPvRmT2_T3_T4_T5_mT6_T7_P12ihipStream_tbENKUlT_T0_E_clISt17integral_constantIbLb1EES12_IbLb0EEEEDaSY_SZ_EUlSY_E_NS1_11comp_targetILNS1_3genE8ELNS1_11target_archE1030ELNS1_3gpuE2ELNS1_3repE0EEENS1_30default_config_static_selectorELNS0_4arch9wavefront6targetE0EEEvT1_
		.amdhsa_group_segment_fixed_size 0
		.amdhsa_private_segment_fixed_size 0
		.amdhsa_kernarg_size 112
		.amdhsa_user_sgpr_count 6
		.amdhsa_user_sgpr_private_segment_buffer 1
		.amdhsa_user_sgpr_dispatch_ptr 0
		.amdhsa_user_sgpr_queue_ptr 0
		.amdhsa_user_sgpr_kernarg_segment_ptr 1
		.amdhsa_user_sgpr_dispatch_id 0
		.amdhsa_user_sgpr_flat_scratch_init 0
		.amdhsa_user_sgpr_private_segment_size 0
		.amdhsa_wavefront_size32 1
		.amdhsa_uses_dynamic_stack 0
		.amdhsa_system_sgpr_private_segment_wavefront_offset 0
		.amdhsa_system_sgpr_workgroup_id_x 1
		.amdhsa_system_sgpr_workgroup_id_y 0
		.amdhsa_system_sgpr_workgroup_id_z 0
		.amdhsa_system_sgpr_workgroup_info 0
		.amdhsa_system_vgpr_workitem_id 0
		.amdhsa_next_free_vgpr 1
		.amdhsa_next_free_sgpr 1
		.amdhsa_reserve_vcc 0
		.amdhsa_reserve_flat_scratch 0
		.amdhsa_float_round_mode_32 0
		.amdhsa_float_round_mode_16_64 0
		.amdhsa_float_denorm_mode_32 3
		.amdhsa_float_denorm_mode_16_64 3
		.amdhsa_dx10_clamp 1
		.amdhsa_ieee_mode 1
		.amdhsa_fp16_overflow 0
		.amdhsa_workgroup_processor_mode 1
		.amdhsa_memory_ordered 1
		.amdhsa_forward_progress 1
		.amdhsa_shared_vgpr_count 0
		.amdhsa_exception_fp_ieee_invalid_op 0
		.amdhsa_exception_fp_denorm_src 0
		.amdhsa_exception_fp_ieee_div_zero 0
		.amdhsa_exception_fp_ieee_overflow 0
		.amdhsa_exception_fp_ieee_underflow 0
		.amdhsa_exception_fp_ieee_inexact 0
		.amdhsa_exception_int_div_zero 0
	.end_amdhsa_kernel
	.section	.text._ZN7rocprim17ROCPRIM_400000_NS6detail17trampoline_kernelINS0_14default_configENS1_27scan_by_key_config_selectorIj11FixedVectorIiLj1EEEEZZNS1_16scan_by_key_implILNS1_25lookback_scan_determinismE0ELb0ES3_N6thrust23THRUST_200600_302600_NS6detail15normal_iteratorINSB_10device_ptrIjEEEENSD_INSE_IS6_EEEESI_S6_NSB_4plusIvEENSB_8equal_toIvEES6_EE10hipError_tPvRmT2_T3_T4_T5_mT6_T7_P12ihipStream_tbENKUlT_T0_E_clISt17integral_constantIbLb1EES12_IbLb0EEEEDaSY_SZ_EUlSY_E_NS1_11comp_targetILNS1_3genE8ELNS1_11target_archE1030ELNS1_3gpuE2ELNS1_3repE0EEENS1_30default_config_static_selectorELNS0_4arch9wavefront6targetE0EEEvT1_,"axG",@progbits,_ZN7rocprim17ROCPRIM_400000_NS6detail17trampoline_kernelINS0_14default_configENS1_27scan_by_key_config_selectorIj11FixedVectorIiLj1EEEEZZNS1_16scan_by_key_implILNS1_25lookback_scan_determinismE0ELb0ES3_N6thrust23THRUST_200600_302600_NS6detail15normal_iteratorINSB_10device_ptrIjEEEENSD_INSE_IS6_EEEESI_S6_NSB_4plusIvEENSB_8equal_toIvEES6_EE10hipError_tPvRmT2_T3_T4_T5_mT6_T7_P12ihipStream_tbENKUlT_T0_E_clISt17integral_constantIbLb1EES12_IbLb0EEEEDaSY_SZ_EUlSY_E_NS1_11comp_targetILNS1_3genE8ELNS1_11target_archE1030ELNS1_3gpuE2ELNS1_3repE0EEENS1_30default_config_static_selectorELNS0_4arch9wavefront6targetE0EEEvT1_,comdat
.Lfunc_end1899:
	.size	_ZN7rocprim17ROCPRIM_400000_NS6detail17trampoline_kernelINS0_14default_configENS1_27scan_by_key_config_selectorIj11FixedVectorIiLj1EEEEZZNS1_16scan_by_key_implILNS1_25lookback_scan_determinismE0ELb0ES3_N6thrust23THRUST_200600_302600_NS6detail15normal_iteratorINSB_10device_ptrIjEEEENSD_INSE_IS6_EEEESI_S6_NSB_4plusIvEENSB_8equal_toIvEES6_EE10hipError_tPvRmT2_T3_T4_T5_mT6_T7_P12ihipStream_tbENKUlT_T0_E_clISt17integral_constantIbLb1EES12_IbLb0EEEEDaSY_SZ_EUlSY_E_NS1_11comp_targetILNS1_3genE8ELNS1_11target_archE1030ELNS1_3gpuE2ELNS1_3repE0EEENS1_30default_config_static_selectorELNS0_4arch9wavefront6targetE0EEEvT1_, .Lfunc_end1899-_ZN7rocprim17ROCPRIM_400000_NS6detail17trampoline_kernelINS0_14default_configENS1_27scan_by_key_config_selectorIj11FixedVectorIiLj1EEEEZZNS1_16scan_by_key_implILNS1_25lookback_scan_determinismE0ELb0ES3_N6thrust23THRUST_200600_302600_NS6detail15normal_iteratorINSB_10device_ptrIjEEEENSD_INSE_IS6_EEEESI_S6_NSB_4plusIvEENSB_8equal_toIvEES6_EE10hipError_tPvRmT2_T3_T4_T5_mT6_T7_P12ihipStream_tbENKUlT_T0_E_clISt17integral_constantIbLb1EES12_IbLb0EEEEDaSY_SZ_EUlSY_E_NS1_11comp_targetILNS1_3genE8ELNS1_11target_archE1030ELNS1_3gpuE2ELNS1_3repE0EEENS1_30default_config_static_selectorELNS0_4arch9wavefront6targetE0EEEvT1_
                                        ; -- End function
	.set _ZN7rocprim17ROCPRIM_400000_NS6detail17trampoline_kernelINS0_14default_configENS1_27scan_by_key_config_selectorIj11FixedVectorIiLj1EEEEZZNS1_16scan_by_key_implILNS1_25lookback_scan_determinismE0ELb0ES3_N6thrust23THRUST_200600_302600_NS6detail15normal_iteratorINSB_10device_ptrIjEEEENSD_INSE_IS6_EEEESI_S6_NSB_4plusIvEENSB_8equal_toIvEES6_EE10hipError_tPvRmT2_T3_T4_T5_mT6_T7_P12ihipStream_tbENKUlT_T0_E_clISt17integral_constantIbLb1EES12_IbLb0EEEEDaSY_SZ_EUlSY_E_NS1_11comp_targetILNS1_3genE8ELNS1_11target_archE1030ELNS1_3gpuE2ELNS1_3repE0EEENS1_30default_config_static_selectorELNS0_4arch9wavefront6targetE0EEEvT1_.num_vgpr, 0
	.set _ZN7rocprim17ROCPRIM_400000_NS6detail17trampoline_kernelINS0_14default_configENS1_27scan_by_key_config_selectorIj11FixedVectorIiLj1EEEEZZNS1_16scan_by_key_implILNS1_25lookback_scan_determinismE0ELb0ES3_N6thrust23THRUST_200600_302600_NS6detail15normal_iteratorINSB_10device_ptrIjEEEENSD_INSE_IS6_EEEESI_S6_NSB_4plusIvEENSB_8equal_toIvEES6_EE10hipError_tPvRmT2_T3_T4_T5_mT6_T7_P12ihipStream_tbENKUlT_T0_E_clISt17integral_constantIbLb1EES12_IbLb0EEEEDaSY_SZ_EUlSY_E_NS1_11comp_targetILNS1_3genE8ELNS1_11target_archE1030ELNS1_3gpuE2ELNS1_3repE0EEENS1_30default_config_static_selectorELNS0_4arch9wavefront6targetE0EEEvT1_.num_agpr, 0
	.set _ZN7rocprim17ROCPRIM_400000_NS6detail17trampoline_kernelINS0_14default_configENS1_27scan_by_key_config_selectorIj11FixedVectorIiLj1EEEEZZNS1_16scan_by_key_implILNS1_25lookback_scan_determinismE0ELb0ES3_N6thrust23THRUST_200600_302600_NS6detail15normal_iteratorINSB_10device_ptrIjEEEENSD_INSE_IS6_EEEESI_S6_NSB_4plusIvEENSB_8equal_toIvEES6_EE10hipError_tPvRmT2_T3_T4_T5_mT6_T7_P12ihipStream_tbENKUlT_T0_E_clISt17integral_constantIbLb1EES12_IbLb0EEEEDaSY_SZ_EUlSY_E_NS1_11comp_targetILNS1_3genE8ELNS1_11target_archE1030ELNS1_3gpuE2ELNS1_3repE0EEENS1_30default_config_static_selectorELNS0_4arch9wavefront6targetE0EEEvT1_.numbered_sgpr, 0
	.set _ZN7rocprim17ROCPRIM_400000_NS6detail17trampoline_kernelINS0_14default_configENS1_27scan_by_key_config_selectorIj11FixedVectorIiLj1EEEEZZNS1_16scan_by_key_implILNS1_25lookback_scan_determinismE0ELb0ES3_N6thrust23THRUST_200600_302600_NS6detail15normal_iteratorINSB_10device_ptrIjEEEENSD_INSE_IS6_EEEESI_S6_NSB_4plusIvEENSB_8equal_toIvEES6_EE10hipError_tPvRmT2_T3_T4_T5_mT6_T7_P12ihipStream_tbENKUlT_T0_E_clISt17integral_constantIbLb1EES12_IbLb0EEEEDaSY_SZ_EUlSY_E_NS1_11comp_targetILNS1_3genE8ELNS1_11target_archE1030ELNS1_3gpuE2ELNS1_3repE0EEENS1_30default_config_static_selectorELNS0_4arch9wavefront6targetE0EEEvT1_.num_named_barrier, 0
	.set _ZN7rocprim17ROCPRIM_400000_NS6detail17trampoline_kernelINS0_14default_configENS1_27scan_by_key_config_selectorIj11FixedVectorIiLj1EEEEZZNS1_16scan_by_key_implILNS1_25lookback_scan_determinismE0ELb0ES3_N6thrust23THRUST_200600_302600_NS6detail15normal_iteratorINSB_10device_ptrIjEEEENSD_INSE_IS6_EEEESI_S6_NSB_4plusIvEENSB_8equal_toIvEES6_EE10hipError_tPvRmT2_T3_T4_T5_mT6_T7_P12ihipStream_tbENKUlT_T0_E_clISt17integral_constantIbLb1EES12_IbLb0EEEEDaSY_SZ_EUlSY_E_NS1_11comp_targetILNS1_3genE8ELNS1_11target_archE1030ELNS1_3gpuE2ELNS1_3repE0EEENS1_30default_config_static_selectorELNS0_4arch9wavefront6targetE0EEEvT1_.private_seg_size, 0
	.set _ZN7rocprim17ROCPRIM_400000_NS6detail17trampoline_kernelINS0_14default_configENS1_27scan_by_key_config_selectorIj11FixedVectorIiLj1EEEEZZNS1_16scan_by_key_implILNS1_25lookback_scan_determinismE0ELb0ES3_N6thrust23THRUST_200600_302600_NS6detail15normal_iteratorINSB_10device_ptrIjEEEENSD_INSE_IS6_EEEESI_S6_NSB_4plusIvEENSB_8equal_toIvEES6_EE10hipError_tPvRmT2_T3_T4_T5_mT6_T7_P12ihipStream_tbENKUlT_T0_E_clISt17integral_constantIbLb1EES12_IbLb0EEEEDaSY_SZ_EUlSY_E_NS1_11comp_targetILNS1_3genE8ELNS1_11target_archE1030ELNS1_3gpuE2ELNS1_3repE0EEENS1_30default_config_static_selectorELNS0_4arch9wavefront6targetE0EEEvT1_.uses_vcc, 0
	.set _ZN7rocprim17ROCPRIM_400000_NS6detail17trampoline_kernelINS0_14default_configENS1_27scan_by_key_config_selectorIj11FixedVectorIiLj1EEEEZZNS1_16scan_by_key_implILNS1_25lookback_scan_determinismE0ELb0ES3_N6thrust23THRUST_200600_302600_NS6detail15normal_iteratorINSB_10device_ptrIjEEEENSD_INSE_IS6_EEEESI_S6_NSB_4plusIvEENSB_8equal_toIvEES6_EE10hipError_tPvRmT2_T3_T4_T5_mT6_T7_P12ihipStream_tbENKUlT_T0_E_clISt17integral_constantIbLb1EES12_IbLb0EEEEDaSY_SZ_EUlSY_E_NS1_11comp_targetILNS1_3genE8ELNS1_11target_archE1030ELNS1_3gpuE2ELNS1_3repE0EEENS1_30default_config_static_selectorELNS0_4arch9wavefront6targetE0EEEvT1_.uses_flat_scratch, 0
	.set _ZN7rocprim17ROCPRIM_400000_NS6detail17trampoline_kernelINS0_14default_configENS1_27scan_by_key_config_selectorIj11FixedVectorIiLj1EEEEZZNS1_16scan_by_key_implILNS1_25lookback_scan_determinismE0ELb0ES3_N6thrust23THRUST_200600_302600_NS6detail15normal_iteratorINSB_10device_ptrIjEEEENSD_INSE_IS6_EEEESI_S6_NSB_4plusIvEENSB_8equal_toIvEES6_EE10hipError_tPvRmT2_T3_T4_T5_mT6_T7_P12ihipStream_tbENKUlT_T0_E_clISt17integral_constantIbLb1EES12_IbLb0EEEEDaSY_SZ_EUlSY_E_NS1_11comp_targetILNS1_3genE8ELNS1_11target_archE1030ELNS1_3gpuE2ELNS1_3repE0EEENS1_30default_config_static_selectorELNS0_4arch9wavefront6targetE0EEEvT1_.has_dyn_sized_stack, 0
	.set _ZN7rocprim17ROCPRIM_400000_NS6detail17trampoline_kernelINS0_14default_configENS1_27scan_by_key_config_selectorIj11FixedVectorIiLj1EEEEZZNS1_16scan_by_key_implILNS1_25lookback_scan_determinismE0ELb0ES3_N6thrust23THRUST_200600_302600_NS6detail15normal_iteratorINSB_10device_ptrIjEEEENSD_INSE_IS6_EEEESI_S6_NSB_4plusIvEENSB_8equal_toIvEES6_EE10hipError_tPvRmT2_T3_T4_T5_mT6_T7_P12ihipStream_tbENKUlT_T0_E_clISt17integral_constantIbLb1EES12_IbLb0EEEEDaSY_SZ_EUlSY_E_NS1_11comp_targetILNS1_3genE8ELNS1_11target_archE1030ELNS1_3gpuE2ELNS1_3repE0EEENS1_30default_config_static_selectorELNS0_4arch9wavefront6targetE0EEEvT1_.has_recursion, 0
	.set _ZN7rocprim17ROCPRIM_400000_NS6detail17trampoline_kernelINS0_14default_configENS1_27scan_by_key_config_selectorIj11FixedVectorIiLj1EEEEZZNS1_16scan_by_key_implILNS1_25lookback_scan_determinismE0ELb0ES3_N6thrust23THRUST_200600_302600_NS6detail15normal_iteratorINSB_10device_ptrIjEEEENSD_INSE_IS6_EEEESI_S6_NSB_4plusIvEENSB_8equal_toIvEES6_EE10hipError_tPvRmT2_T3_T4_T5_mT6_T7_P12ihipStream_tbENKUlT_T0_E_clISt17integral_constantIbLb1EES12_IbLb0EEEEDaSY_SZ_EUlSY_E_NS1_11comp_targetILNS1_3genE8ELNS1_11target_archE1030ELNS1_3gpuE2ELNS1_3repE0EEENS1_30default_config_static_selectorELNS0_4arch9wavefront6targetE0EEEvT1_.has_indirect_call, 0
	.section	.AMDGPU.csdata,"",@progbits
; Kernel info:
; codeLenInByte = 4
; TotalNumSgprs: 0
; NumVgprs: 0
; ScratchSize: 0
; MemoryBound: 0
; FloatMode: 240
; IeeeMode: 1
; LDSByteSize: 0 bytes/workgroup (compile time only)
; SGPRBlocks: 0
; VGPRBlocks: 0
; NumSGPRsForWavesPerEU: 1
; NumVGPRsForWavesPerEU: 1
; Occupancy: 16
; WaveLimiterHint : 0
; COMPUTE_PGM_RSRC2:SCRATCH_EN: 0
; COMPUTE_PGM_RSRC2:USER_SGPR: 6
; COMPUTE_PGM_RSRC2:TRAP_HANDLER: 0
; COMPUTE_PGM_RSRC2:TGID_X_EN: 1
; COMPUTE_PGM_RSRC2:TGID_Y_EN: 0
; COMPUTE_PGM_RSRC2:TGID_Z_EN: 0
; COMPUTE_PGM_RSRC2:TIDIG_COMP_CNT: 0
	.section	.text._ZN7rocprim17ROCPRIM_400000_NS6detail30init_device_scan_by_key_kernelINS1_19lookback_scan_stateINS0_5tupleIJ11FixedVectorIiLj1EEbEEELb0ELb1EEEN6thrust23THRUST_200600_302600_NS6detail15normal_iteratorINSA_10device_ptrIjEEEEjNS1_16block_id_wrapperIjLb1EEEEEvT_jjPNSI_10value_typeET0_PNSt15iterator_traitsISL_E10value_typeEmT1_T2_,"axG",@progbits,_ZN7rocprim17ROCPRIM_400000_NS6detail30init_device_scan_by_key_kernelINS1_19lookback_scan_stateINS0_5tupleIJ11FixedVectorIiLj1EEbEEELb0ELb1EEEN6thrust23THRUST_200600_302600_NS6detail15normal_iteratorINSA_10device_ptrIjEEEEjNS1_16block_id_wrapperIjLb1EEEEEvT_jjPNSI_10value_typeET0_PNSt15iterator_traitsISL_E10value_typeEmT1_T2_,comdat
	.protected	_ZN7rocprim17ROCPRIM_400000_NS6detail30init_device_scan_by_key_kernelINS1_19lookback_scan_stateINS0_5tupleIJ11FixedVectorIiLj1EEbEEELb0ELb1EEEN6thrust23THRUST_200600_302600_NS6detail15normal_iteratorINSA_10device_ptrIjEEEEjNS1_16block_id_wrapperIjLb1EEEEEvT_jjPNSI_10value_typeET0_PNSt15iterator_traitsISL_E10value_typeEmT1_T2_ ; -- Begin function _ZN7rocprim17ROCPRIM_400000_NS6detail30init_device_scan_by_key_kernelINS1_19lookback_scan_stateINS0_5tupleIJ11FixedVectorIiLj1EEbEEELb0ELb1EEEN6thrust23THRUST_200600_302600_NS6detail15normal_iteratorINSA_10device_ptrIjEEEEjNS1_16block_id_wrapperIjLb1EEEEEvT_jjPNSI_10value_typeET0_PNSt15iterator_traitsISL_E10value_typeEmT1_T2_
	.globl	_ZN7rocprim17ROCPRIM_400000_NS6detail30init_device_scan_by_key_kernelINS1_19lookback_scan_stateINS0_5tupleIJ11FixedVectorIiLj1EEbEEELb0ELb1EEEN6thrust23THRUST_200600_302600_NS6detail15normal_iteratorINSA_10device_ptrIjEEEEjNS1_16block_id_wrapperIjLb1EEEEEvT_jjPNSI_10value_typeET0_PNSt15iterator_traitsISL_E10value_typeEmT1_T2_
	.p2align	8
	.type	_ZN7rocprim17ROCPRIM_400000_NS6detail30init_device_scan_by_key_kernelINS1_19lookback_scan_stateINS0_5tupleIJ11FixedVectorIiLj1EEbEEELb0ELb1EEEN6thrust23THRUST_200600_302600_NS6detail15normal_iteratorINSA_10device_ptrIjEEEEjNS1_16block_id_wrapperIjLb1EEEEEvT_jjPNSI_10value_typeET0_PNSt15iterator_traitsISL_E10value_typeEmT1_T2_,@function
_ZN7rocprim17ROCPRIM_400000_NS6detail30init_device_scan_by_key_kernelINS1_19lookback_scan_stateINS0_5tupleIJ11FixedVectorIiLj1EEbEEELb0ELb1EEEN6thrust23THRUST_200600_302600_NS6detail15normal_iteratorINSA_10device_ptrIjEEEEjNS1_16block_id_wrapperIjLb1EEEEEvT_jjPNSI_10value_typeET0_PNSt15iterator_traitsISL_E10value_typeEmT1_T2_: ; @_ZN7rocprim17ROCPRIM_400000_NS6detail30init_device_scan_by_key_kernelINS1_19lookback_scan_stateINS0_5tupleIJ11FixedVectorIiLj1EEbEEELb0ELb1EEEN6thrust23THRUST_200600_302600_NS6detail15normal_iteratorINSA_10device_ptrIjEEEEjNS1_16block_id_wrapperIjLb1EEEEEvT_jjPNSI_10value_typeET0_PNSt15iterator_traitsISL_E10value_typeEmT1_T2_
; %bb.0:
	s_clause 0x2
	s_load_dword s0, s[4:5], 0x4c
	s_load_dwordx8 s[8:15], s[4:5], 0x0
	s_load_dword s7, s[4:5], 0x40
	s_waitcnt lgkmcnt(0)
	s_and_b32 s16, s0, 0xffff
	s_cmp_eq_u64 s[12:13], 0
	v_mad_u64_u32 v[4:5], null, s6, s16, v[0:1]
	s_cbranch_scc1 .LBB1900_8
; %bb.1:
	s_cmp_lt_u32 s11, s10
	s_mov_b32 s1, 0
	s_cselect_b32 s0, s11, 0
	s_mov_b32 s2, exec_lo
	v_cmpx_eq_u32_e64 s0, v4
	s_cbranch_execz .LBB1900_7
; %bb.2:
	s_add_i32 s0, s11, 32
	v_mov_b32_e32 v6, 0
	s_lshl_b64 s[0:1], s[0:1], 4
	s_mov_b32 s3, exec_lo
	s_add_u32 s0, s8, s0
	s_addc_u32 s1, s9, s1
	v_mov_b32_e32 v0, s0
	v_mov_b32_e32 v1, s1
	;;#ASMSTART
	global_load_dwordx4 v[0:3], v[0:1] off glc dlc	
s_waitcnt vmcnt(0)
	;;#ASMEND
	v_and_b32_e32 v5, 0xff, v2
	v_cmpx_eq_u64_e32 0, v[5:6]
	s_cbranch_execz .LBB1900_6
; %bb.3:
	v_mov_b32_e32 v8, s1
	v_mov_b32_e32 v7, s0
	s_mov_b32 s0, 0
.LBB1900_4:                             ; =>This Inner Loop Header: Depth=1
	;;#ASMSTART
	global_load_dwordx4 v[0:3], v[7:8] off glc dlc	
s_waitcnt vmcnt(0)
	;;#ASMEND
	v_and_b32_e32 v5, 0xff, v2
	v_cmp_ne_u64_e32 vcc_lo, 0, v[5:6]
	s_or_b32 s0, vcc_lo, s0
	s_andn2_b32 exec_lo, exec_lo, s0
	s_cbranch_execnz .LBB1900_4
; %bb.5:
	s_or_b32 exec_lo, exec_lo, s0
.LBB1900_6:
	s_or_b32 exec_lo, exec_lo, s3
	v_mov_b32_e32 v2, 0
	global_store_dword v2, v0, s[12:13]
	global_store_byte v2, v1, s[12:13] offset:4
.LBB1900_7:
	s_or_b32 exec_lo, exec_lo, s2
.LBB1900_8:
	s_mov_b32 s0, exec_lo
	v_cmpx_eq_u32_e32 0, v4
	s_cbranch_execz .LBB1900_10
; %bb.9:
	s_load_dwordx2 s[2:3], s[4:5], 0x38
	v_mov_b32_e32 v0, 0
	s_waitcnt lgkmcnt(0)
	global_store_dword v0, v0, s[2:3]
.LBB1900_10:
	s_or_b32 exec_lo, exec_lo, s0
	s_mov_b32 s0, exec_lo
	v_cmpx_gt_u32_e64 s10, v4
	s_cbranch_execz .LBB1900_12
; %bb.11:
	v_add_nc_u32_e32 v0, 32, v4
	v_mov_b32_e32 v1, 0
	v_lshlrev_b64 v[5:6], 4, v[0:1]
	v_mov_b32_e32 v0, v1
	v_mov_b32_e32 v2, v1
	v_mov_b32_e32 v3, v1
	v_add_co_u32 v5, vcc_lo, s8, v5
	v_add_co_ci_u32_e64 v6, null, s9, v6, vcc_lo
	global_store_dwordx4 v[5:6], v[0:3], off
.LBB1900_12:
	s_or_b32 exec_lo, exec_lo, s0
	v_mov_b32_e32 v5, 0
	s_mov_b32 s0, exec_lo
	v_cmpx_gt_u32_e32 32, v4
	s_cbranch_execz .LBB1900_14
; %bb.13:
	v_lshlrev_b64 v[6:7], 4, v[4:5]
	v_mov_b32_e32 v2, 0xff
	v_mov_b32_e32 v0, v5
	;; [unrolled: 1-line block ×4, first 2 shown]
	v_add_co_u32 v6, vcc_lo, s8, v6
	v_add_co_ci_u32_e64 v7, null, s9, v7, vcc_lo
	global_store_dwordx4 v[6:7], v[0:3], off
.LBB1900_14:
	s_or_b32 exec_lo, exec_lo, s0
	s_load_dwordx2 s[2:3], s[4:5], 0x28
	s_mov_b32 s0, exec_lo
	s_waitcnt lgkmcnt(0)
	v_cmpx_gt_u64_e64 s[2:3], v[4:5]
	s_cbranch_execz .LBB1900_17
; %bb.15:
	s_clause 0x1
	s_load_dword s6, s[4:5], 0x30
	s_load_dwordx2 s[8:9], s[4:5], 0x20
	s_mov_b32 s1, 0
	v_lshlrev_b64 v[2:3], 2, v[4:5]
	s_mul_i32 s4, s7, s16
	s_waitcnt lgkmcnt(0)
	v_mad_u64_u32 v[0:1], null, s6, v4, 0
	s_add_i32 s0, s6, -1
	s_mul_hi_u32 s7, s6, s4
	s_lshl_b64 s[10:11], s[0:1], 2
	s_mul_i32 s6, s6, s4
	s_add_u32 s0, s14, s10
	s_addc_u32 s5, s15, s11
	v_lshlrev_b64 v[0:1], 2, v[0:1]
	s_lshl_b64 s[6:7], s[6:7], 2
	v_add_co_u32 v0, vcc_lo, s0, v0
	v_add_co_ci_u32_e64 v1, null, s5, v1, vcc_lo
	v_add_co_u32 v2, vcc_lo, s8, v2
	v_add_co_ci_u32_e64 v3, null, s9, v3, vcc_lo
	s_mov_b32 s5, s1
	s_lshl_b64 s[8:9], s[4:5], 2
	.p2align	6
.LBB1900_16:                            ; =>This Inner Loop Header: Depth=1
	global_load_dword v6, v[0:1], off
	v_add_co_u32 v4, vcc_lo, v4, s4
	v_add_co_ci_u32_e64 v5, null, 0, v5, vcc_lo
	v_add_co_u32 v0, vcc_lo, v0, s6
	v_add_co_ci_u32_e64 v1, null, s7, v1, vcc_lo
	v_cmp_le_u64_e32 vcc_lo, s[2:3], v[4:5]
	s_or_b32 s1, vcc_lo, s1
	s_waitcnt vmcnt(0)
	global_store_dword v[2:3], v6, off
	v_add_co_u32 v2, s0, v2, s8
	v_add_co_ci_u32_e64 v3, null, s9, v3, s0
	s_andn2_b32 exec_lo, exec_lo, s1
	s_cbranch_execnz .LBB1900_16
.LBB1900_17:
	s_endpgm
	.section	.rodata,"a",@progbits
	.p2align	6, 0x0
	.amdhsa_kernel _ZN7rocprim17ROCPRIM_400000_NS6detail30init_device_scan_by_key_kernelINS1_19lookback_scan_stateINS0_5tupleIJ11FixedVectorIiLj1EEbEEELb0ELb1EEEN6thrust23THRUST_200600_302600_NS6detail15normal_iteratorINSA_10device_ptrIjEEEEjNS1_16block_id_wrapperIjLb1EEEEEvT_jjPNSI_10value_typeET0_PNSt15iterator_traitsISL_E10value_typeEmT1_T2_
		.amdhsa_group_segment_fixed_size 0
		.amdhsa_private_segment_fixed_size 0
		.amdhsa_kernarg_size 320
		.amdhsa_user_sgpr_count 6
		.amdhsa_user_sgpr_private_segment_buffer 1
		.amdhsa_user_sgpr_dispatch_ptr 0
		.amdhsa_user_sgpr_queue_ptr 0
		.amdhsa_user_sgpr_kernarg_segment_ptr 1
		.amdhsa_user_sgpr_dispatch_id 0
		.amdhsa_user_sgpr_flat_scratch_init 0
		.amdhsa_user_sgpr_private_segment_size 0
		.amdhsa_wavefront_size32 1
		.amdhsa_uses_dynamic_stack 0
		.amdhsa_system_sgpr_private_segment_wavefront_offset 0
		.amdhsa_system_sgpr_workgroup_id_x 1
		.amdhsa_system_sgpr_workgroup_id_y 0
		.amdhsa_system_sgpr_workgroup_id_z 0
		.amdhsa_system_sgpr_workgroup_info 0
		.amdhsa_system_vgpr_workitem_id 0
		.amdhsa_next_free_vgpr 9
		.amdhsa_next_free_sgpr 17
		.amdhsa_reserve_vcc 1
		.amdhsa_reserve_flat_scratch 0
		.amdhsa_float_round_mode_32 0
		.amdhsa_float_round_mode_16_64 0
		.amdhsa_float_denorm_mode_32 3
		.amdhsa_float_denorm_mode_16_64 3
		.amdhsa_dx10_clamp 1
		.amdhsa_ieee_mode 1
		.amdhsa_fp16_overflow 0
		.amdhsa_workgroup_processor_mode 1
		.amdhsa_memory_ordered 1
		.amdhsa_forward_progress 1
		.amdhsa_shared_vgpr_count 0
		.amdhsa_exception_fp_ieee_invalid_op 0
		.amdhsa_exception_fp_denorm_src 0
		.amdhsa_exception_fp_ieee_div_zero 0
		.amdhsa_exception_fp_ieee_overflow 0
		.amdhsa_exception_fp_ieee_underflow 0
		.amdhsa_exception_fp_ieee_inexact 0
		.amdhsa_exception_int_div_zero 0
	.end_amdhsa_kernel
	.section	.text._ZN7rocprim17ROCPRIM_400000_NS6detail30init_device_scan_by_key_kernelINS1_19lookback_scan_stateINS0_5tupleIJ11FixedVectorIiLj1EEbEEELb0ELb1EEEN6thrust23THRUST_200600_302600_NS6detail15normal_iteratorINSA_10device_ptrIjEEEEjNS1_16block_id_wrapperIjLb1EEEEEvT_jjPNSI_10value_typeET0_PNSt15iterator_traitsISL_E10value_typeEmT1_T2_,"axG",@progbits,_ZN7rocprim17ROCPRIM_400000_NS6detail30init_device_scan_by_key_kernelINS1_19lookback_scan_stateINS0_5tupleIJ11FixedVectorIiLj1EEbEEELb0ELb1EEEN6thrust23THRUST_200600_302600_NS6detail15normal_iteratorINSA_10device_ptrIjEEEEjNS1_16block_id_wrapperIjLb1EEEEEvT_jjPNSI_10value_typeET0_PNSt15iterator_traitsISL_E10value_typeEmT1_T2_,comdat
.Lfunc_end1900:
	.size	_ZN7rocprim17ROCPRIM_400000_NS6detail30init_device_scan_by_key_kernelINS1_19lookback_scan_stateINS0_5tupleIJ11FixedVectorIiLj1EEbEEELb0ELb1EEEN6thrust23THRUST_200600_302600_NS6detail15normal_iteratorINSA_10device_ptrIjEEEEjNS1_16block_id_wrapperIjLb1EEEEEvT_jjPNSI_10value_typeET0_PNSt15iterator_traitsISL_E10value_typeEmT1_T2_, .Lfunc_end1900-_ZN7rocprim17ROCPRIM_400000_NS6detail30init_device_scan_by_key_kernelINS1_19lookback_scan_stateINS0_5tupleIJ11FixedVectorIiLj1EEbEEELb0ELb1EEEN6thrust23THRUST_200600_302600_NS6detail15normal_iteratorINSA_10device_ptrIjEEEEjNS1_16block_id_wrapperIjLb1EEEEEvT_jjPNSI_10value_typeET0_PNSt15iterator_traitsISL_E10value_typeEmT1_T2_
                                        ; -- End function
	.set _ZN7rocprim17ROCPRIM_400000_NS6detail30init_device_scan_by_key_kernelINS1_19lookback_scan_stateINS0_5tupleIJ11FixedVectorIiLj1EEbEEELb0ELb1EEEN6thrust23THRUST_200600_302600_NS6detail15normal_iteratorINSA_10device_ptrIjEEEEjNS1_16block_id_wrapperIjLb1EEEEEvT_jjPNSI_10value_typeET0_PNSt15iterator_traitsISL_E10value_typeEmT1_T2_.num_vgpr, 9
	.set _ZN7rocprim17ROCPRIM_400000_NS6detail30init_device_scan_by_key_kernelINS1_19lookback_scan_stateINS0_5tupleIJ11FixedVectorIiLj1EEbEEELb0ELb1EEEN6thrust23THRUST_200600_302600_NS6detail15normal_iteratorINSA_10device_ptrIjEEEEjNS1_16block_id_wrapperIjLb1EEEEEvT_jjPNSI_10value_typeET0_PNSt15iterator_traitsISL_E10value_typeEmT1_T2_.num_agpr, 0
	.set _ZN7rocprim17ROCPRIM_400000_NS6detail30init_device_scan_by_key_kernelINS1_19lookback_scan_stateINS0_5tupleIJ11FixedVectorIiLj1EEbEEELb0ELb1EEEN6thrust23THRUST_200600_302600_NS6detail15normal_iteratorINSA_10device_ptrIjEEEEjNS1_16block_id_wrapperIjLb1EEEEEvT_jjPNSI_10value_typeET0_PNSt15iterator_traitsISL_E10value_typeEmT1_T2_.numbered_sgpr, 17
	.set _ZN7rocprim17ROCPRIM_400000_NS6detail30init_device_scan_by_key_kernelINS1_19lookback_scan_stateINS0_5tupleIJ11FixedVectorIiLj1EEbEEELb0ELb1EEEN6thrust23THRUST_200600_302600_NS6detail15normal_iteratorINSA_10device_ptrIjEEEEjNS1_16block_id_wrapperIjLb1EEEEEvT_jjPNSI_10value_typeET0_PNSt15iterator_traitsISL_E10value_typeEmT1_T2_.num_named_barrier, 0
	.set _ZN7rocprim17ROCPRIM_400000_NS6detail30init_device_scan_by_key_kernelINS1_19lookback_scan_stateINS0_5tupleIJ11FixedVectorIiLj1EEbEEELb0ELb1EEEN6thrust23THRUST_200600_302600_NS6detail15normal_iteratorINSA_10device_ptrIjEEEEjNS1_16block_id_wrapperIjLb1EEEEEvT_jjPNSI_10value_typeET0_PNSt15iterator_traitsISL_E10value_typeEmT1_T2_.private_seg_size, 0
	.set _ZN7rocprim17ROCPRIM_400000_NS6detail30init_device_scan_by_key_kernelINS1_19lookback_scan_stateINS0_5tupleIJ11FixedVectorIiLj1EEbEEELb0ELb1EEEN6thrust23THRUST_200600_302600_NS6detail15normal_iteratorINSA_10device_ptrIjEEEEjNS1_16block_id_wrapperIjLb1EEEEEvT_jjPNSI_10value_typeET0_PNSt15iterator_traitsISL_E10value_typeEmT1_T2_.uses_vcc, 1
	.set _ZN7rocprim17ROCPRIM_400000_NS6detail30init_device_scan_by_key_kernelINS1_19lookback_scan_stateINS0_5tupleIJ11FixedVectorIiLj1EEbEEELb0ELb1EEEN6thrust23THRUST_200600_302600_NS6detail15normal_iteratorINSA_10device_ptrIjEEEEjNS1_16block_id_wrapperIjLb1EEEEEvT_jjPNSI_10value_typeET0_PNSt15iterator_traitsISL_E10value_typeEmT1_T2_.uses_flat_scratch, 0
	.set _ZN7rocprim17ROCPRIM_400000_NS6detail30init_device_scan_by_key_kernelINS1_19lookback_scan_stateINS0_5tupleIJ11FixedVectorIiLj1EEbEEELb0ELb1EEEN6thrust23THRUST_200600_302600_NS6detail15normal_iteratorINSA_10device_ptrIjEEEEjNS1_16block_id_wrapperIjLb1EEEEEvT_jjPNSI_10value_typeET0_PNSt15iterator_traitsISL_E10value_typeEmT1_T2_.has_dyn_sized_stack, 0
	.set _ZN7rocprim17ROCPRIM_400000_NS6detail30init_device_scan_by_key_kernelINS1_19lookback_scan_stateINS0_5tupleIJ11FixedVectorIiLj1EEbEEELb0ELb1EEEN6thrust23THRUST_200600_302600_NS6detail15normal_iteratorINSA_10device_ptrIjEEEEjNS1_16block_id_wrapperIjLb1EEEEEvT_jjPNSI_10value_typeET0_PNSt15iterator_traitsISL_E10value_typeEmT1_T2_.has_recursion, 0
	.set _ZN7rocprim17ROCPRIM_400000_NS6detail30init_device_scan_by_key_kernelINS1_19lookback_scan_stateINS0_5tupleIJ11FixedVectorIiLj1EEbEEELb0ELb1EEEN6thrust23THRUST_200600_302600_NS6detail15normal_iteratorINSA_10device_ptrIjEEEEjNS1_16block_id_wrapperIjLb1EEEEEvT_jjPNSI_10value_typeET0_PNSt15iterator_traitsISL_E10value_typeEmT1_T2_.has_indirect_call, 0
	.section	.AMDGPU.csdata,"",@progbits
; Kernel info:
; codeLenInByte = 728
; TotalNumSgprs: 19
; NumVgprs: 9
; ScratchSize: 0
; MemoryBound: 0
; FloatMode: 240
; IeeeMode: 1
; LDSByteSize: 0 bytes/workgroup (compile time only)
; SGPRBlocks: 0
; VGPRBlocks: 1
; NumSGPRsForWavesPerEU: 19
; NumVGPRsForWavesPerEU: 9
; Occupancy: 16
; WaveLimiterHint : 0
; COMPUTE_PGM_RSRC2:SCRATCH_EN: 0
; COMPUTE_PGM_RSRC2:USER_SGPR: 6
; COMPUTE_PGM_RSRC2:TRAP_HANDLER: 0
; COMPUTE_PGM_RSRC2:TGID_X_EN: 1
; COMPUTE_PGM_RSRC2:TGID_Y_EN: 0
; COMPUTE_PGM_RSRC2:TGID_Z_EN: 0
; COMPUTE_PGM_RSRC2:TIDIG_COMP_CNT: 0
	.section	.text._ZN7rocprim17ROCPRIM_400000_NS6detail30init_device_scan_by_key_kernelINS1_19lookback_scan_stateINS0_5tupleIJ11FixedVectorIiLj1EEbEEELb0ELb1EEENS1_16block_id_wrapperIjLb1EEEEEvT_jjPNSB_10value_typeET0_,"axG",@progbits,_ZN7rocprim17ROCPRIM_400000_NS6detail30init_device_scan_by_key_kernelINS1_19lookback_scan_stateINS0_5tupleIJ11FixedVectorIiLj1EEbEEELb0ELb1EEENS1_16block_id_wrapperIjLb1EEEEEvT_jjPNSB_10value_typeET0_,comdat
	.protected	_ZN7rocprim17ROCPRIM_400000_NS6detail30init_device_scan_by_key_kernelINS1_19lookback_scan_stateINS0_5tupleIJ11FixedVectorIiLj1EEbEEELb0ELb1EEENS1_16block_id_wrapperIjLb1EEEEEvT_jjPNSB_10value_typeET0_ ; -- Begin function _ZN7rocprim17ROCPRIM_400000_NS6detail30init_device_scan_by_key_kernelINS1_19lookback_scan_stateINS0_5tupleIJ11FixedVectorIiLj1EEbEEELb0ELb1EEENS1_16block_id_wrapperIjLb1EEEEEvT_jjPNSB_10value_typeET0_
	.globl	_ZN7rocprim17ROCPRIM_400000_NS6detail30init_device_scan_by_key_kernelINS1_19lookback_scan_stateINS0_5tupleIJ11FixedVectorIiLj1EEbEEELb0ELb1EEENS1_16block_id_wrapperIjLb1EEEEEvT_jjPNSB_10value_typeET0_
	.p2align	8
	.type	_ZN7rocprim17ROCPRIM_400000_NS6detail30init_device_scan_by_key_kernelINS1_19lookback_scan_stateINS0_5tupleIJ11FixedVectorIiLj1EEbEEELb0ELb1EEENS1_16block_id_wrapperIjLb1EEEEEvT_jjPNSB_10value_typeET0_,@function
_ZN7rocprim17ROCPRIM_400000_NS6detail30init_device_scan_by_key_kernelINS1_19lookback_scan_stateINS0_5tupleIJ11FixedVectorIiLj1EEbEEELb0ELb1EEENS1_16block_id_wrapperIjLb1EEEEEvT_jjPNSB_10value_typeET0_: ; @_ZN7rocprim17ROCPRIM_400000_NS6detail30init_device_scan_by_key_kernelINS1_19lookback_scan_stateINS0_5tupleIJ11FixedVectorIiLj1EEbEEELb0ELb1EEENS1_16block_id_wrapperIjLb1EEEEEvT_jjPNSB_10value_typeET0_
; %bb.0:
	s_clause 0x1
	s_load_dword s0, s[4:5], 0x2c
	s_load_dwordx8 s[8:15], s[4:5], 0x0
	s_waitcnt lgkmcnt(0)
	s_and_b32 s0, s0, 0xffff
	s_cmp_eq_u64 s[12:13], 0
	v_mad_u64_u32 v[0:1], null, s6, s0, v[0:1]
	s_cbranch_scc1 .LBB1901_8
; %bb.1:
	s_cmp_lt_u32 s11, s10
	s_mov_b32 s1, 0
	s_cselect_b32 s0, s11, 0
	s_mov_b32 s2, exec_lo
	v_cmpx_eq_u32_e64 s0, v0
	s_cbranch_execz .LBB1901_7
; %bb.2:
	s_add_i32 s0, s11, 32
	v_mov_b32_e32 v5, 0
	s_lshl_b64 s[0:1], s[0:1], 4
	s_mov_b32 s3, exec_lo
	s_add_u32 s0, s8, s0
	s_addc_u32 s1, s9, s1
	v_mov_b32_e32 v2, s1
	v_mov_b32_e32 v1, s0
	;;#ASMSTART
	global_load_dwordx4 v[1:4], v[1:2] off glc dlc	
s_waitcnt vmcnt(0)
	;;#ASMEND
	v_and_b32_e32 v4, 0xff, v3
	v_cmpx_eq_u64_e32 0, v[4:5]
	s_cbranch_execz .LBB1901_6
; %bb.3:
	v_mov_b32_e32 v7, s1
	v_mov_b32_e32 v6, s0
	s_mov_b32 s0, 0
.LBB1901_4:                             ; =>This Inner Loop Header: Depth=1
	;;#ASMSTART
	global_load_dwordx4 v[1:4], v[6:7] off glc dlc	
s_waitcnt vmcnt(0)
	;;#ASMEND
	v_and_b32_e32 v4, 0xff, v3
	v_cmp_ne_u64_e32 vcc_lo, 0, v[4:5]
	s_or_b32 s0, vcc_lo, s0
	s_andn2_b32 exec_lo, exec_lo, s0
	s_cbranch_execnz .LBB1901_4
; %bb.5:
	s_or_b32 exec_lo, exec_lo, s0
.LBB1901_6:
	s_or_b32 exec_lo, exec_lo, s3
	v_mov_b32_e32 v3, 0
	global_store_dword v3, v1, s[12:13]
	global_store_byte v3, v2, s[12:13] offset:4
.LBB1901_7:
	s_or_b32 exec_lo, exec_lo, s2
.LBB1901_8:
	s_mov_b32 s0, exec_lo
	v_cmpx_eq_u32_e32 0, v0
	s_cbranch_execz .LBB1901_10
; %bb.9:
	v_mov_b32_e32 v1, 0
	global_store_dword v1, v1, s[14:15]
.LBB1901_10:
	s_or_b32 exec_lo, exec_lo, s0
	s_mov_b32 s0, exec_lo
	v_cmpx_gt_u32_e64 s10, v0
	s_cbranch_execz .LBB1901_12
; %bb.11:
	v_add_nc_u32_e32 v1, 32, v0
	v_mov_b32_e32 v2, 0
	v_lshlrev_b64 v[4:5], 4, v[1:2]
	v_mov_b32_e32 v1, v2
	v_mov_b32_e32 v3, v2
	v_add_co_u32 v6, vcc_lo, s8, v4
	v_add_co_ci_u32_e64 v7, null, s9, v5, vcc_lo
	v_mov_b32_e32 v4, v2
	global_store_dwordx4 v[6:7], v[1:4], off
.LBB1901_12:
	s_or_b32 exec_lo, exec_lo, s0
	s_mov_b32 s0, exec_lo
	v_cmpx_gt_u32_e32 32, v0
	s_cbranch_execz .LBB1901_14
; %bb.13:
	v_mov_b32_e32 v1, 0
	v_mov_b32_e32 v2, 0xff
	v_lshlrev_b64 v[3:4], 4, v[0:1]
	v_mov_b32_e32 v0, v1
	v_add_co_u32 v5, vcc_lo, s8, v3
	v_add_co_ci_u32_e64 v6, null, s9, v4, vcc_lo
	v_mov_b32_e32 v3, v1
	global_store_dwordx4 v[5:6], v[0:3], off
.LBB1901_14:
	s_endpgm
	.section	.rodata,"a",@progbits
	.p2align	6, 0x0
	.amdhsa_kernel _ZN7rocprim17ROCPRIM_400000_NS6detail30init_device_scan_by_key_kernelINS1_19lookback_scan_stateINS0_5tupleIJ11FixedVectorIiLj1EEbEEELb0ELb1EEENS1_16block_id_wrapperIjLb1EEEEEvT_jjPNSB_10value_typeET0_
		.amdhsa_group_segment_fixed_size 0
		.amdhsa_private_segment_fixed_size 0
		.amdhsa_kernarg_size 288
		.amdhsa_user_sgpr_count 6
		.amdhsa_user_sgpr_private_segment_buffer 1
		.amdhsa_user_sgpr_dispatch_ptr 0
		.amdhsa_user_sgpr_queue_ptr 0
		.amdhsa_user_sgpr_kernarg_segment_ptr 1
		.amdhsa_user_sgpr_dispatch_id 0
		.amdhsa_user_sgpr_flat_scratch_init 0
		.amdhsa_user_sgpr_private_segment_size 0
		.amdhsa_wavefront_size32 1
		.amdhsa_uses_dynamic_stack 0
		.amdhsa_system_sgpr_private_segment_wavefront_offset 0
		.amdhsa_system_sgpr_workgroup_id_x 1
		.amdhsa_system_sgpr_workgroup_id_y 0
		.amdhsa_system_sgpr_workgroup_id_z 0
		.amdhsa_system_sgpr_workgroup_info 0
		.amdhsa_system_vgpr_workitem_id 0
		.amdhsa_next_free_vgpr 8
		.amdhsa_next_free_sgpr 16
		.amdhsa_reserve_vcc 1
		.amdhsa_reserve_flat_scratch 0
		.amdhsa_float_round_mode_32 0
		.amdhsa_float_round_mode_16_64 0
		.amdhsa_float_denorm_mode_32 3
		.amdhsa_float_denorm_mode_16_64 3
		.amdhsa_dx10_clamp 1
		.amdhsa_ieee_mode 1
		.amdhsa_fp16_overflow 0
		.amdhsa_workgroup_processor_mode 1
		.amdhsa_memory_ordered 1
		.amdhsa_forward_progress 1
		.amdhsa_shared_vgpr_count 0
		.amdhsa_exception_fp_ieee_invalid_op 0
		.amdhsa_exception_fp_denorm_src 0
		.amdhsa_exception_fp_ieee_div_zero 0
		.amdhsa_exception_fp_ieee_overflow 0
		.amdhsa_exception_fp_ieee_underflow 0
		.amdhsa_exception_fp_ieee_inexact 0
		.amdhsa_exception_int_div_zero 0
	.end_amdhsa_kernel
	.section	.text._ZN7rocprim17ROCPRIM_400000_NS6detail30init_device_scan_by_key_kernelINS1_19lookback_scan_stateINS0_5tupleIJ11FixedVectorIiLj1EEbEEELb0ELb1EEENS1_16block_id_wrapperIjLb1EEEEEvT_jjPNSB_10value_typeET0_,"axG",@progbits,_ZN7rocprim17ROCPRIM_400000_NS6detail30init_device_scan_by_key_kernelINS1_19lookback_scan_stateINS0_5tupleIJ11FixedVectorIiLj1EEbEEELb0ELb1EEENS1_16block_id_wrapperIjLb1EEEEEvT_jjPNSB_10value_typeET0_,comdat
.Lfunc_end1901:
	.size	_ZN7rocprim17ROCPRIM_400000_NS6detail30init_device_scan_by_key_kernelINS1_19lookback_scan_stateINS0_5tupleIJ11FixedVectorIiLj1EEbEEELb0ELb1EEENS1_16block_id_wrapperIjLb1EEEEEvT_jjPNSB_10value_typeET0_, .Lfunc_end1901-_ZN7rocprim17ROCPRIM_400000_NS6detail30init_device_scan_by_key_kernelINS1_19lookback_scan_stateINS0_5tupleIJ11FixedVectorIiLj1EEbEEELb0ELb1EEENS1_16block_id_wrapperIjLb1EEEEEvT_jjPNSB_10value_typeET0_
                                        ; -- End function
	.set _ZN7rocprim17ROCPRIM_400000_NS6detail30init_device_scan_by_key_kernelINS1_19lookback_scan_stateINS0_5tupleIJ11FixedVectorIiLj1EEbEEELb0ELb1EEENS1_16block_id_wrapperIjLb1EEEEEvT_jjPNSB_10value_typeET0_.num_vgpr, 8
	.set _ZN7rocprim17ROCPRIM_400000_NS6detail30init_device_scan_by_key_kernelINS1_19lookback_scan_stateINS0_5tupleIJ11FixedVectorIiLj1EEbEEELb0ELb1EEENS1_16block_id_wrapperIjLb1EEEEEvT_jjPNSB_10value_typeET0_.num_agpr, 0
	.set _ZN7rocprim17ROCPRIM_400000_NS6detail30init_device_scan_by_key_kernelINS1_19lookback_scan_stateINS0_5tupleIJ11FixedVectorIiLj1EEbEEELb0ELb1EEENS1_16block_id_wrapperIjLb1EEEEEvT_jjPNSB_10value_typeET0_.numbered_sgpr, 16
	.set _ZN7rocprim17ROCPRIM_400000_NS6detail30init_device_scan_by_key_kernelINS1_19lookback_scan_stateINS0_5tupleIJ11FixedVectorIiLj1EEbEEELb0ELb1EEENS1_16block_id_wrapperIjLb1EEEEEvT_jjPNSB_10value_typeET0_.num_named_barrier, 0
	.set _ZN7rocprim17ROCPRIM_400000_NS6detail30init_device_scan_by_key_kernelINS1_19lookback_scan_stateINS0_5tupleIJ11FixedVectorIiLj1EEbEEELb0ELb1EEENS1_16block_id_wrapperIjLb1EEEEEvT_jjPNSB_10value_typeET0_.private_seg_size, 0
	.set _ZN7rocprim17ROCPRIM_400000_NS6detail30init_device_scan_by_key_kernelINS1_19lookback_scan_stateINS0_5tupleIJ11FixedVectorIiLj1EEbEEELb0ELb1EEENS1_16block_id_wrapperIjLb1EEEEEvT_jjPNSB_10value_typeET0_.uses_vcc, 1
	.set _ZN7rocprim17ROCPRIM_400000_NS6detail30init_device_scan_by_key_kernelINS1_19lookback_scan_stateINS0_5tupleIJ11FixedVectorIiLj1EEbEEELb0ELb1EEENS1_16block_id_wrapperIjLb1EEEEEvT_jjPNSB_10value_typeET0_.uses_flat_scratch, 0
	.set _ZN7rocprim17ROCPRIM_400000_NS6detail30init_device_scan_by_key_kernelINS1_19lookback_scan_stateINS0_5tupleIJ11FixedVectorIiLj1EEbEEELb0ELb1EEENS1_16block_id_wrapperIjLb1EEEEEvT_jjPNSB_10value_typeET0_.has_dyn_sized_stack, 0
	.set _ZN7rocprim17ROCPRIM_400000_NS6detail30init_device_scan_by_key_kernelINS1_19lookback_scan_stateINS0_5tupleIJ11FixedVectorIiLj1EEbEEELb0ELb1EEENS1_16block_id_wrapperIjLb1EEEEEvT_jjPNSB_10value_typeET0_.has_recursion, 0
	.set _ZN7rocprim17ROCPRIM_400000_NS6detail30init_device_scan_by_key_kernelINS1_19lookback_scan_stateINS0_5tupleIJ11FixedVectorIiLj1EEbEEELb0ELb1EEENS1_16block_id_wrapperIjLb1EEEEEvT_jjPNSB_10value_typeET0_.has_indirect_call, 0
	.section	.AMDGPU.csdata,"",@progbits
; Kernel info:
; codeLenInByte = 440
; TotalNumSgprs: 18
; NumVgprs: 8
; ScratchSize: 0
; MemoryBound: 0
; FloatMode: 240
; IeeeMode: 1
; LDSByteSize: 0 bytes/workgroup (compile time only)
; SGPRBlocks: 0
; VGPRBlocks: 0
; NumSGPRsForWavesPerEU: 18
; NumVGPRsForWavesPerEU: 8
; Occupancy: 16
; WaveLimiterHint : 0
; COMPUTE_PGM_RSRC2:SCRATCH_EN: 0
; COMPUTE_PGM_RSRC2:USER_SGPR: 6
; COMPUTE_PGM_RSRC2:TRAP_HANDLER: 0
; COMPUTE_PGM_RSRC2:TGID_X_EN: 1
; COMPUTE_PGM_RSRC2:TGID_Y_EN: 0
; COMPUTE_PGM_RSRC2:TGID_Z_EN: 0
; COMPUTE_PGM_RSRC2:TIDIG_COMP_CNT: 0
	.section	.text._ZN7rocprim17ROCPRIM_400000_NS6detail17trampoline_kernelINS0_14default_configENS1_27scan_by_key_config_selectorIj11FixedVectorIiLj1EEEEZZNS1_16scan_by_key_implILNS1_25lookback_scan_determinismE0ELb0ES3_N6thrust23THRUST_200600_302600_NS6detail15normal_iteratorINSB_10device_ptrIjEEEENSD_INSE_IS6_EEEESI_S6_NSB_4plusIvEENSB_8equal_toIvEES6_EE10hipError_tPvRmT2_T3_T4_T5_mT6_T7_P12ihipStream_tbENKUlT_T0_E_clISt17integral_constantIbLb0EES12_IbLb1EEEEDaSY_SZ_EUlSY_E_NS1_11comp_targetILNS1_3genE0ELNS1_11target_archE4294967295ELNS1_3gpuE0ELNS1_3repE0EEENS1_30default_config_static_selectorELNS0_4arch9wavefront6targetE0EEEvT1_,"axG",@progbits,_ZN7rocprim17ROCPRIM_400000_NS6detail17trampoline_kernelINS0_14default_configENS1_27scan_by_key_config_selectorIj11FixedVectorIiLj1EEEEZZNS1_16scan_by_key_implILNS1_25lookback_scan_determinismE0ELb0ES3_N6thrust23THRUST_200600_302600_NS6detail15normal_iteratorINSB_10device_ptrIjEEEENSD_INSE_IS6_EEEESI_S6_NSB_4plusIvEENSB_8equal_toIvEES6_EE10hipError_tPvRmT2_T3_T4_T5_mT6_T7_P12ihipStream_tbENKUlT_T0_E_clISt17integral_constantIbLb0EES12_IbLb1EEEEDaSY_SZ_EUlSY_E_NS1_11comp_targetILNS1_3genE0ELNS1_11target_archE4294967295ELNS1_3gpuE0ELNS1_3repE0EEENS1_30default_config_static_selectorELNS0_4arch9wavefront6targetE0EEEvT1_,comdat
	.protected	_ZN7rocprim17ROCPRIM_400000_NS6detail17trampoline_kernelINS0_14default_configENS1_27scan_by_key_config_selectorIj11FixedVectorIiLj1EEEEZZNS1_16scan_by_key_implILNS1_25lookback_scan_determinismE0ELb0ES3_N6thrust23THRUST_200600_302600_NS6detail15normal_iteratorINSB_10device_ptrIjEEEENSD_INSE_IS6_EEEESI_S6_NSB_4plusIvEENSB_8equal_toIvEES6_EE10hipError_tPvRmT2_T3_T4_T5_mT6_T7_P12ihipStream_tbENKUlT_T0_E_clISt17integral_constantIbLb0EES12_IbLb1EEEEDaSY_SZ_EUlSY_E_NS1_11comp_targetILNS1_3genE0ELNS1_11target_archE4294967295ELNS1_3gpuE0ELNS1_3repE0EEENS1_30default_config_static_selectorELNS0_4arch9wavefront6targetE0EEEvT1_ ; -- Begin function _ZN7rocprim17ROCPRIM_400000_NS6detail17trampoline_kernelINS0_14default_configENS1_27scan_by_key_config_selectorIj11FixedVectorIiLj1EEEEZZNS1_16scan_by_key_implILNS1_25lookback_scan_determinismE0ELb0ES3_N6thrust23THRUST_200600_302600_NS6detail15normal_iteratorINSB_10device_ptrIjEEEENSD_INSE_IS6_EEEESI_S6_NSB_4plusIvEENSB_8equal_toIvEES6_EE10hipError_tPvRmT2_T3_T4_T5_mT6_T7_P12ihipStream_tbENKUlT_T0_E_clISt17integral_constantIbLb0EES12_IbLb1EEEEDaSY_SZ_EUlSY_E_NS1_11comp_targetILNS1_3genE0ELNS1_11target_archE4294967295ELNS1_3gpuE0ELNS1_3repE0EEENS1_30default_config_static_selectorELNS0_4arch9wavefront6targetE0EEEvT1_
	.globl	_ZN7rocprim17ROCPRIM_400000_NS6detail17trampoline_kernelINS0_14default_configENS1_27scan_by_key_config_selectorIj11FixedVectorIiLj1EEEEZZNS1_16scan_by_key_implILNS1_25lookback_scan_determinismE0ELb0ES3_N6thrust23THRUST_200600_302600_NS6detail15normal_iteratorINSB_10device_ptrIjEEEENSD_INSE_IS6_EEEESI_S6_NSB_4plusIvEENSB_8equal_toIvEES6_EE10hipError_tPvRmT2_T3_T4_T5_mT6_T7_P12ihipStream_tbENKUlT_T0_E_clISt17integral_constantIbLb0EES12_IbLb1EEEEDaSY_SZ_EUlSY_E_NS1_11comp_targetILNS1_3genE0ELNS1_11target_archE4294967295ELNS1_3gpuE0ELNS1_3repE0EEENS1_30default_config_static_selectorELNS0_4arch9wavefront6targetE0EEEvT1_
	.p2align	8
	.type	_ZN7rocprim17ROCPRIM_400000_NS6detail17trampoline_kernelINS0_14default_configENS1_27scan_by_key_config_selectorIj11FixedVectorIiLj1EEEEZZNS1_16scan_by_key_implILNS1_25lookback_scan_determinismE0ELb0ES3_N6thrust23THRUST_200600_302600_NS6detail15normal_iteratorINSB_10device_ptrIjEEEENSD_INSE_IS6_EEEESI_S6_NSB_4plusIvEENSB_8equal_toIvEES6_EE10hipError_tPvRmT2_T3_T4_T5_mT6_T7_P12ihipStream_tbENKUlT_T0_E_clISt17integral_constantIbLb0EES12_IbLb1EEEEDaSY_SZ_EUlSY_E_NS1_11comp_targetILNS1_3genE0ELNS1_11target_archE4294967295ELNS1_3gpuE0ELNS1_3repE0EEENS1_30default_config_static_selectorELNS0_4arch9wavefront6targetE0EEEvT1_,@function
_ZN7rocprim17ROCPRIM_400000_NS6detail17trampoline_kernelINS0_14default_configENS1_27scan_by_key_config_selectorIj11FixedVectorIiLj1EEEEZZNS1_16scan_by_key_implILNS1_25lookback_scan_determinismE0ELb0ES3_N6thrust23THRUST_200600_302600_NS6detail15normal_iteratorINSB_10device_ptrIjEEEENSD_INSE_IS6_EEEESI_S6_NSB_4plusIvEENSB_8equal_toIvEES6_EE10hipError_tPvRmT2_T3_T4_T5_mT6_T7_P12ihipStream_tbENKUlT_T0_E_clISt17integral_constantIbLb0EES12_IbLb1EEEEDaSY_SZ_EUlSY_E_NS1_11comp_targetILNS1_3genE0ELNS1_11target_archE4294967295ELNS1_3gpuE0ELNS1_3repE0EEENS1_30default_config_static_selectorELNS0_4arch9wavefront6targetE0EEEvT1_: ; @_ZN7rocprim17ROCPRIM_400000_NS6detail17trampoline_kernelINS0_14default_configENS1_27scan_by_key_config_selectorIj11FixedVectorIiLj1EEEEZZNS1_16scan_by_key_implILNS1_25lookback_scan_determinismE0ELb0ES3_N6thrust23THRUST_200600_302600_NS6detail15normal_iteratorINSB_10device_ptrIjEEEENSD_INSE_IS6_EEEESI_S6_NSB_4plusIvEENSB_8equal_toIvEES6_EE10hipError_tPvRmT2_T3_T4_T5_mT6_T7_P12ihipStream_tbENKUlT_T0_E_clISt17integral_constantIbLb0EES12_IbLb1EEEEDaSY_SZ_EUlSY_E_NS1_11comp_targetILNS1_3genE0ELNS1_11target_archE4294967295ELNS1_3gpuE0ELNS1_3repE0EEENS1_30default_config_static_selectorELNS0_4arch9wavefront6targetE0EEEvT1_
; %bb.0:
	.section	.rodata,"a",@progbits
	.p2align	6, 0x0
	.amdhsa_kernel _ZN7rocprim17ROCPRIM_400000_NS6detail17trampoline_kernelINS0_14default_configENS1_27scan_by_key_config_selectorIj11FixedVectorIiLj1EEEEZZNS1_16scan_by_key_implILNS1_25lookback_scan_determinismE0ELb0ES3_N6thrust23THRUST_200600_302600_NS6detail15normal_iteratorINSB_10device_ptrIjEEEENSD_INSE_IS6_EEEESI_S6_NSB_4plusIvEENSB_8equal_toIvEES6_EE10hipError_tPvRmT2_T3_T4_T5_mT6_T7_P12ihipStream_tbENKUlT_T0_E_clISt17integral_constantIbLb0EES12_IbLb1EEEEDaSY_SZ_EUlSY_E_NS1_11comp_targetILNS1_3genE0ELNS1_11target_archE4294967295ELNS1_3gpuE0ELNS1_3repE0EEENS1_30default_config_static_selectorELNS0_4arch9wavefront6targetE0EEEvT1_
		.amdhsa_group_segment_fixed_size 0
		.amdhsa_private_segment_fixed_size 0
		.amdhsa_kernarg_size 112
		.amdhsa_user_sgpr_count 6
		.amdhsa_user_sgpr_private_segment_buffer 1
		.amdhsa_user_sgpr_dispatch_ptr 0
		.amdhsa_user_sgpr_queue_ptr 0
		.amdhsa_user_sgpr_kernarg_segment_ptr 1
		.amdhsa_user_sgpr_dispatch_id 0
		.amdhsa_user_sgpr_flat_scratch_init 0
		.amdhsa_user_sgpr_private_segment_size 0
		.amdhsa_wavefront_size32 1
		.amdhsa_uses_dynamic_stack 0
		.amdhsa_system_sgpr_private_segment_wavefront_offset 0
		.amdhsa_system_sgpr_workgroup_id_x 1
		.amdhsa_system_sgpr_workgroup_id_y 0
		.amdhsa_system_sgpr_workgroup_id_z 0
		.amdhsa_system_sgpr_workgroup_info 0
		.amdhsa_system_vgpr_workitem_id 0
		.amdhsa_next_free_vgpr 1
		.amdhsa_next_free_sgpr 1
		.amdhsa_reserve_vcc 0
		.amdhsa_reserve_flat_scratch 0
		.amdhsa_float_round_mode_32 0
		.amdhsa_float_round_mode_16_64 0
		.amdhsa_float_denorm_mode_32 3
		.amdhsa_float_denorm_mode_16_64 3
		.amdhsa_dx10_clamp 1
		.amdhsa_ieee_mode 1
		.amdhsa_fp16_overflow 0
		.amdhsa_workgroup_processor_mode 1
		.amdhsa_memory_ordered 1
		.amdhsa_forward_progress 1
		.amdhsa_shared_vgpr_count 0
		.amdhsa_exception_fp_ieee_invalid_op 0
		.amdhsa_exception_fp_denorm_src 0
		.amdhsa_exception_fp_ieee_div_zero 0
		.amdhsa_exception_fp_ieee_overflow 0
		.amdhsa_exception_fp_ieee_underflow 0
		.amdhsa_exception_fp_ieee_inexact 0
		.amdhsa_exception_int_div_zero 0
	.end_amdhsa_kernel
	.section	.text._ZN7rocprim17ROCPRIM_400000_NS6detail17trampoline_kernelINS0_14default_configENS1_27scan_by_key_config_selectorIj11FixedVectorIiLj1EEEEZZNS1_16scan_by_key_implILNS1_25lookback_scan_determinismE0ELb0ES3_N6thrust23THRUST_200600_302600_NS6detail15normal_iteratorINSB_10device_ptrIjEEEENSD_INSE_IS6_EEEESI_S6_NSB_4plusIvEENSB_8equal_toIvEES6_EE10hipError_tPvRmT2_T3_T4_T5_mT6_T7_P12ihipStream_tbENKUlT_T0_E_clISt17integral_constantIbLb0EES12_IbLb1EEEEDaSY_SZ_EUlSY_E_NS1_11comp_targetILNS1_3genE0ELNS1_11target_archE4294967295ELNS1_3gpuE0ELNS1_3repE0EEENS1_30default_config_static_selectorELNS0_4arch9wavefront6targetE0EEEvT1_,"axG",@progbits,_ZN7rocprim17ROCPRIM_400000_NS6detail17trampoline_kernelINS0_14default_configENS1_27scan_by_key_config_selectorIj11FixedVectorIiLj1EEEEZZNS1_16scan_by_key_implILNS1_25lookback_scan_determinismE0ELb0ES3_N6thrust23THRUST_200600_302600_NS6detail15normal_iteratorINSB_10device_ptrIjEEEENSD_INSE_IS6_EEEESI_S6_NSB_4plusIvEENSB_8equal_toIvEES6_EE10hipError_tPvRmT2_T3_T4_T5_mT6_T7_P12ihipStream_tbENKUlT_T0_E_clISt17integral_constantIbLb0EES12_IbLb1EEEEDaSY_SZ_EUlSY_E_NS1_11comp_targetILNS1_3genE0ELNS1_11target_archE4294967295ELNS1_3gpuE0ELNS1_3repE0EEENS1_30default_config_static_selectorELNS0_4arch9wavefront6targetE0EEEvT1_,comdat
.Lfunc_end1902:
	.size	_ZN7rocprim17ROCPRIM_400000_NS6detail17trampoline_kernelINS0_14default_configENS1_27scan_by_key_config_selectorIj11FixedVectorIiLj1EEEEZZNS1_16scan_by_key_implILNS1_25lookback_scan_determinismE0ELb0ES3_N6thrust23THRUST_200600_302600_NS6detail15normal_iteratorINSB_10device_ptrIjEEEENSD_INSE_IS6_EEEESI_S6_NSB_4plusIvEENSB_8equal_toIvEES6_EE10hipError_tPvRmT2_T3_T4_T5_mT6_T7_P12ihipStream_tbENKUlT_T0_E_clISt17integral_constantIbLb0EES12_IbLb1EEEEDaSY_SZ_EUlSY_E_NS1_11comp_targetILNS1_3genE0ELNS1_11target_archE4294967295ELNS1_3gpuE0ELNS1_3repE0EEENS1_30default_config_static_selectorELNS0_4arch9wavefront6targetE0EEEvT1_, .Lfunc_end1902-_ZN7rocprim17ROCPRIM_400000_NS6detail17trampoline_kernelINS0_14default_configENS1_27scan_by_key_config_selectorIj11FixedVectorIiLj1EEEEZZNS1_16scan_by_key_implILNS1_25lookback_scan_determinismE0ELb0ES3_N6thrust23THRUST_200600_302600_NS6detail15normal_iteratorINSB_10device_ptrIjEEEENSD_INSE_IS6_EEEESI_S6_NSB_4plusIvEENSB_8equal_toIvEES6_EE10hipError_tPvRmT2_T3_T4_T5_mT6_T7_P12ihipStream_tbENKUlT_T0_E_clISt17integral_constantIbLb0EES12_IbLb1EEEEDaSY_SZ_EUlSY_E_NS1_11comp_targetILNS1_3genE0ELNS1_11target_archE4294967295ELNS1_3gpuE0ELNS1_3repE0EEENS1_30default_config_static_selectorELNS0_4arch9wavefront6targetE0EEEvT1_
                                        ; -- End function
	.set _ZN7rocprim17ROCPRIM_400000_NS6detail17trampoline_kernelINS0_14default_configENS1_27scan_by_key_config_selectorIj11FixedVectorIiLj1EEEEZZNS1_16scan_by_key_implILNS1_25lookback_scan_determinismE0ELb0ES3_N6thrust23THRUST_200600_302600_NS6detail15normal_iteratorINSB_10device_ptrIjEEEENSD_INSE_IS6_EEEESI_S6_NSB_4plusIvEENSB_8equal_toIvEES6_EE10hipError_tPvRmT2_T3_T4_T5_mT6_T7_P12ihipStream_tbENKUlT_T0_E_clISt17integral_constantIbLb0EES12_IbLb1EEEEDaSY_SZ_EUlSY_E_NS1_11comp_targetILNS1_3genE0ELNS1_11target_archE4294967295ELNS1_3gpuE0ELNS1_3repE0EEENS1_30default_config_static_selectorELNS0_4arch9wavefront6targetE0EEEvT1_.num_vgpr, 0
	.set _ZN7rocprim17ROCPRIM_400000_NS6detail17trampoline_kernelINS0_14default_configENS1_27scan_by_key_config_selectorIj11FixedVectorIiLj1EEEEZZNS1_16scan_by_key_implILNS1_25lookback_scan_determinismE0ELb0ES3_N6thrust23THRUST_200600_302600_NS6detail15normal_iteratorINSB_10device_ptrIjEEEENSD_INSE_IS6_EEEESI_S6_NSB_4plusIvEENSB_8equal_toIvEES6_EE10hipError_tPvRmT2_T3_T4_T5_mT6_T7_P12ihipStream_tbENKUlT_T0_E_clISt17integral_constantIbLb0EES12_IbLb1EEEEDaSY_SZ_EUlSY_E_NS1_11comp_targetILNS1_3genE0ELNS1_11target_archE4294967295ELNS1_3gpuE0ELNS1_3repE0EEENS1_30default_config_static_selectorELNS0_4arch9wavefront6targetE0EEEvT1_.num_agpr, 0
	.set _ZN7rocprim17ROCPRIM_400000_NS6detail17trampoline_kernelINS0_14default_configENS1_27scan_by_key_config_selectorIj11FixedVectorIiLj1EEEEZZNS1_16scan_by_key_implILNS1_25lookback_scan_determinismE0ELb0ES3_N6thrust23THRUST_200600_302600_NS6detail15normal_iteratorINSB_10device_ptrIjEEEENSD_INSE_IS6_EEEESI_S6_NSB_4plusIvEENSB_8equal_toIvEES6_EE10hipError_tPvRmT2_T3_T4_T5_mT6_T7_P12ihipStream_tbENKUlT_T0_E_clISt17integral_constantIbLb0EES12_IbLb1EEEEDaSY_SZ_EUlSY_E_NS1_11comp_targetILNS1_3genE0ELNS1_11target_archE4294967295ELNS1_3gpuE0ELNS1_3repE0EEENS1_30default_config_static_selectorELNS0_4arch9wavefront6targetE0EEEvT1_.numbered_sgpr, 0
	.set _ZN7rocprim17ROCPRIM_400000_NS6detail17trampoline_kernelINS0_14default_configENS1_27scan_by_key_config_selectorIj11FixedVectorIiLj1EEEEZZNS1_16scan_by_key_implILNS1_25lookback_scan_determinismE0ELb0ES3_N6thrust23THRUST_200600_302600_NS6detail15normal_iteratorINSB_10device_ptrIjEEEENSD_INSE_IS6_EEEESI_S6_NSB_4plusIvEENSB_8equal_toIvEES6_EE10hipError_tPvRmT2_T3_T4_T5_mT6_T7_P12ihipStream_tbENKUlT_T0_E_clISt17integral_constantIbLb0EES12_IbLb1EEEEDaSY_SZ_EUlSY_E_NS1_11comp_targetILNS1_3genE0ELNS1_11target_archE4294967295ELNS1_3gpuE0ELNS1_3repE0EEENS1_30default_config_static_selectorELNS0_4arch9wavefront6targetE0EEEvT1_.num_named_barrier, 0
	.set _ZN7rocprim17ROCPRIM_400000_NS6detail17trampoline_kernelINS0_14default_configENS1_27scan_by_key_config_selectorIj11FixedVectorIiLj1EEEEZZNS1_16scan_by_key_implILNS1_25lookback_scan_determinismE0ELb0ES3_N6thrust23THRUST_200600_302600_NS6detail15normal_iteratorINSB_10device_ptrIjEEEENSD_INSE_IS6_EEEESI_S6_NSB_4plusIvEENSB_8equal_toIvEES6_EE10hipError_tPvRmT2_T3_T4_T5_mT6_T7_P12ihipStream_tbENKUlT_T0_E_clISt17integral_constantIbLb0EES12_IbLb1EEEEDaSY_SZ_EUlSY_E_NS1_11comp_targetILNS1_3genE0ELNS1_11target_archE4294967295ELNS1_3gpuE0ELNS1_3repE0EEENS1_30default_config_static_selectorELNS0_4arch9wavefront6targetE0EEEvT1_.private_seg_size, 0
	.set _ZN7rocprim17ROCPRIM_400000_NS6detail17trampoline_kernelINS0_14default_configENS1_27scan_by_key_config_selectorIj11FixedVectorIiLj1EEEEZZNS1_16scan_by_key_implILNS1_25lookback_scan_determinismE0ELb0ES3_N6thrust23THRUST_200600_302600_NS6detail15normal_iteratorINSB_10device_ptrIjEEEENSD_INSE_IS6_EEEESI_S6_NSB_4plusIvEENSB_8equal_toIvEES6_EE10hipError_tPvRmT2_T3_T4_T5_mT6_T7_P12ihipStream_tbENKUlT_T0_E_clISt17integral_constantIbLb0EES12_IbLb1EEEEDaSY_SZ_EUlSY_E_NS1_11comp_targetILNS1_3genE0ELNS1_11target_archE4294967295ELNS1_3gpuE0ELNS1_3repE0EEENS1_30default_config_static_selectorELNS0_4arch9wavefront6targetE0EEEvT1_.uses_vcc, 0
	.set _ZN7rocprim17ROCPRIM_400000_NS6detail17trampoline_kernelINS0_14default_configENS1_27scan_by_key_config_selectorIj11FixedVectorIiLj1EEEEZZNS1_16scan_by_key_implILNS1_25lookback_scan_determinismE0ELb0ES3_N6thrust23THRUST_200600_302600_NS6detail15normal_iteratorINSB_10device_ptrIjEEEENSD_INSE_IS6_EEEESI_S6_NSB_4plusIvEENSB_8equal_toIvEES6_EE10hipError_tPvRmT2_T3_T4_T5_mT6_T7_P12ihipStream_tbENKUlT_T0_E_clISt17integral_constantIbLb0EES12_IbLb1EEEEDaSY_SZ_EUlSY_E_NS1_11comp_targetILNS1_3genE0ELNS1_11target_archE4294967295ELNS1_3gpuE0ELNS1_3repE0EEENS1_30default_config_static_selectorELNS0_4arch9wavefront6targetE0EEEvT1_.uses_flat_scratch, 0
	.set _ZN7rocprim17ROCPRIM_400000_NS6detail17trampoline_kernelINS0_14default_configENS1_27scan_by_key_config_selectorIj11FixedVectorIiLj1EEEEZZNS1_16scan_by_key_implILNS1_25lookback_scan_determinismE0ELb0ES3_N6thrust23THRUST_200600_302600_NS6detail15normal_iteratorINSB_10device_ptrIjEEEENSD_INSE_IS6_EEEESI_S6_NSB_4plusIvEENSB_8equal_toIvEES6_EE10hipError_tPvRmT2_T3_T4_T5_mT6_T7_P12ihipStream_tbENKUlT_T0_E_clISt17integral_constantIbLb0EES12_IbLb1EEEEDaSY_SZ_EUlSY_E_NS1_11comp_targetILNS1_3genE0ELNS1_11target_archE4294967295ELNS1_3gpuE0ELNS1_3repE0EEENS1_30default_config_static_selectorELNS0_4arch9wavefront6targetE0EEEvT1_.has_dyn_sized_stack, 0
	.set _ZN7rocprim17ROCPRIM_400000_NS6detail17trampoline_kernelINS0_14default_configENS1_27scan_by_key_config_selectorIj11FixedVectorIiLj1EEEEZZNS1_16scan_by_key_implILNS1_25lookback_scan_determinismE0ELb0ES3_N6thrust23THRUST_200600_302600_NS6detail15normal_iteratorINSB_10device_ptrIjEEEENSD_INSE_IS6_EEEESI_S6_NSB_4plusIvEENSB_8equal_toIvEES6_EE10hipError_tPvRmT2_T3_T4_T5_mT6_T7_P12ihipStream_tbENKUlT_T0_E_clISt17integral_constantIbLb0EES12_IbLb1EEEEDaSY_SZ_EUlSY_E_NS1_11comp_targetILNS1_3genE0ELNS1_11target_archE4294967295ELNS1_3gpuE0ELNS1_3repE0EEENS1_30default_config_static_selectorELNS0_4arch9wavefront6targetE0EEEvT1_.has_recursion, 0
	.set _ZN7rocprim17ROCPRIM_400000_NS6detail17trampoline_kernelINS0_14default_configENS1_27scan_by_key_config_selectorIj11FixedVectorIiLj1EEEEZZNS1_16scan_by_key_implILNS1_25lookback_scan_determinismE0ELb0ES3_N6thrust23THRUST_200600_302600_NS6detail15normal_iteratorINSB_10device_ptrIjEEEENSD_INSE_IS6_EEEESI_S6_NSB_4plusIvEENSB_8equal_toIvEES6_EE10hipError_tPvRmT2_T3_T4_T5_mT6_T7_P12ihipStream_tbENKUlT_T0_E_clISt17integral_constantIbLb0EES12_IbLb1EEEEDaSY_SZ_EUlSY_E_NS1_11comp_targetILNS1_3genE0ELNS1_11target_archE4294967295ELNS1_3gpuE0ELNS1_3repE0EEENS1_30default_config_static_selectorELNS0_4arch9wavefront6targetE0EEEvT1_.has_indirect_call, 0
	.section	.AMDGPU.csdata,"",@progbits
; Kernel info:
; codeLenInByte = 0
; TotalNumSgprs: 0
; NumVgprs: 0
; ScratchSize: 0
; MemoryBound: 0
; FloatMode: 240
; IeeeMode: 1
; LDSByteSize: 0 bytes/workgroup (compile time only)
; SGPRBlocks: 0
; VGPRBlocks: 0
; NumSGPRsForWavesPerEU: 1
; NumVGPRsForWavesPerEU: 1
; Occupancy: 16
; WaveLimiterHint : 0
; COMPUTE_PGM_RSRC2:SCRATCH_EN: 0
; COMPUTE_PGM_RSRC2:USER_SGPR: 6
; COMPUTE_PGM_RSRC2:TRAP_HANDLER: 0
; COMPUTE_PGM_RSRC2:TGID_X_EN: 1
; COMPUTE_PGM_RSRC2:TGID_Y_EN: 0
; COMPUTE_PGM_RSRC2:TGID_Z_EN: 0
; COMPUTE_PGM_RSRC2:TIDIG_COMP_CNT: 0
	.section	.text._ZN7rocprim17ROCPRIM_400000_NS6detail17trampoline_kernelINS0_14default_configENS1_27scan_by_key_config_selectorIj11FixedVectorIiLj1EEEEZZNS1_16scan_by_key_implILNS1_25lookback_scan_determinismE0ELb0ES3_N6thrust23THRUST_200600_302600_NS6detail15normal_iteratorINSB_10device_ptrIjEEEENSD_INSE_IS6_EEEESI_S6_NSB_4plusIvEENSB_8equal_toIvEES6_EE10hipError_tPvRmT2_T3_T4_T5_mT6_T7_P12ihipStream_tbENKUlT_T0_E_clISt17integral_constantIbLb0EES12_IbLb1EEEEDaSY_SZ_EUlSY_E_NS1_11comp_targetILNS1_3genE10ELNS1_11target_archE1201ELNS1_3gpuE5ELNS1_3repE0EEENS1_30default_config_static_selectorELNS0_4arch9wavefront6targetE0EEEvT1_,"axG",@progbits,_ZN7rocprim17ROCPRIM_400000_NS6detail17trampoline_kernelINS0_14default_configENS1_27scan_by_key_config_selectorIj11FixedVectorIiLj1EEEEZZNS1_16scan_by_key_implILNS1_25lookback_scan_determinismE0ELb0ES3_N6thrust23THRUST_200600_302600_NS6detail15normal_iteratorINSB_10device_ptrIjEEEENSD_INSE_IS6_EEEESI_S6_NSB_4plusIvEENSB_8equal_toIvEES6_EE10hipError_tPvRmT2_T3_T4_T5_mT6_T7_P12ihipStream_tbENKUlT_T0_E_clISt17integral_constantIbLb0EES12_IbLb1EEEEDaSY_SZ_EUlSY_E_NS1_11comp_targetILNS1_3genE10ELNS1_11target_archE1201ELNS1_3gpuE5ELNS1_3repE0EEENS1_30default_config_static_selectorELNS0_4arch9wavefront6targetE0EEEvT1_,comdat
	.protected	_ZN7rocprim17ROCPRIM_400000_NS6detail17trampoline_kernelINS0_14default_configENS1_27scan_by_key_config_selectorIj11FixedVectorIiLj1EEEEZZNS1_16scan_by_key_implILNS1_25lookback_scan_determinismE0ELb0ES3_N6thrust23THRUST_200600_302600_NS6detail15normal_iteratorINSB_10device_ptrIjEEEENSD_INSE_IS6_EEEESI_S6_NSB_4plusIvEENSB_8equal_toIvEES6_EE10hipError_tPvRmT2_T3_T4_T5_mT6_T7_P12ihipStream_tbENKUlT_T0_E_clISt17integral_constantIbLb0EES12_IbLb1EEEEDaSY_SZ_EUlSY_E_NS1_11comp_targetILNS1_3genE10ELNS1_11target_archE1201ELNS1_3gpuE5ELNS1_3repE0EEENS1_30default_config_static_selectorELNS0_4arch9wavefront6targetE0EEEvT1_ ; -- Begin function _ZN7rocprim17ROCPRIM_400000_NS6detail17trampoline_kernelINS0_14default_configENS1_27scan_by_key_config_selectorIj11FixedVectorIiLj1EEEEZZNS1_16scan_by_key_implILNS1_25lookback_scan_determinismE0ELb0ES3_N6thrust23THRUST_200600_302600_NS6detail15normal_iteratorINSB_10device_ptrIjEEEENSD_INSE_IS6_EEEESI_S6_NSB_4plusIvEENSB_8equal_toIvEES6_EE10hipError_tPvRmT2_T3_T4_T5_mT6_T7_P12ihipStream_tbENKUlT_T0_E_clISt17integral_constantIbLb0EES12_IbLb1EEEEDaSY_SZ_EUlSY_E_NS1_11comp_targetILNS1_3genE10ELNS1_11target_archE1201ELNS1_3gpuE5ELNS1_3repE0EEENS1_30default_config_static_selectorELNS0_4arch9wavefront6targetE0EEEvT1_
	.globl	_ZN7rocprim17ROCPRIM_400000_NS6detail17trampoline_kernelINS0_14default_configENS1_27scan_by_key_config_selectorIj11FixedVectorIiLj1EEEEZZNS1_16scan_by_key_implILNS1_25lookback_scan_determinismE0ELb0ES3_N6thrust23THRUST_200600_302600_NS6detail15normal_iteratorINSB_10device_ptrIjEEEENSD_INSE_IS6_EEEESI_S6_NSB_4plusIvEENSB_8equal_toIvEES6_EE10hipError_tPvRmT2_T3_T4_T5_mT6_T7_P12ihipStream_tbENKUlT_T0_E_clISt17integral_constantIbLb0EES12_IbLb1EEEEDaSY_SZ_EUlSY_E_NS1_11comp_targetILNS1_3genE10ELNS1_11target_archE1201ELNS1_3gpuE5ELNS1_3repE0EEENS1_30default_config_static_selectorELNS0_4arch9wavefront6targetE0EEEvT1_
	.p2align	8
	.type	_ZN7rocprim17ROCPRIM_400000_NS6detail17trampoline_kernelINS0_14default_configENS1_27scan_by_key_config_selectorIj11FixedVectorIiLj1EEEEZZNS1_16scan_by_key_implILNS1_25lookback_scan_determinismE0ELb0ES3_N6thrust23THRUST_200600_302600_NS6detail15normal_iteratorINSB_10device_ptrIjEEEENSD_INSE_IS6_EEEESI_S6_NSB_4plusIvEENSB_8equal_toIvEES6_EE10hipError_tPvRmT2_T3_T4_T5_mT6_T7_P12ihipStream_tbENKUlT_T0_E_clISt17integral_constantIbLb0EES12_IbLb1EEEEDaSY_SZ_EUlSY_E_NS1_11comp_targetILNS1_3genE10ELNS1_11target_archE1201ELNS1_3gpuE5ELNS1_3repE0EEENS1_30default_config_static_selectorELNS0_4arch9wavefront6targetE0EEEvT1_,@function
_ZN7rocprim17ROCPRIM_400000_NS6detail17trampoline_kernelINS0_14default_configENS1_27scan_by_key_config_selectorIj11FixedVectorIiLj1EEEEZZNS1_16scan_by_key_implILNS1_25lookback_scan_determinismE0ELb0ES3_N6thrust23THRUST_200600_302600_NS6detail15normal_iteratorINSB_10device_ptrIjEEEENSD_INSE_IS6_EEEESI_S6_NSB_4plusIvEENSB_8equal_toIvEES6_EE10hipError_tPvRmT2_T3_T4_T5_mT6_T7_P12ihipStream_tbENKUlT_T0_E_clISt17integral_constantIbLb0EES12_IbLb1EEEEDaSY_SZ_EUlSY_E_NS1_11comp_targetILNS1_3genE10ELNS1_11target_archE1201ELNS1_3gpuE5ELNS1_3repE0EEENS1_30default_config_static_selectorELNS0_4arch9wavefront6targetE0EEEvT1_: ; @_ZN7rocprim17ROCPRIM_400000_NS6detail17trampoline_kernelINS0_14default_configENS1_27scan_by_key_config_selectorIj11FixedVectorIiLj1EEEEZZNS1_16scan_by_key_implILNS1_25lookback_scan_determinismE0ELb0ES3_N6thrust23THRUST_200600_302600_NS6detail15normal_iteratorINSB_10device_ptrIjEEEENSD_INSE_IS6_EEEESI_S6_NSB_4plusIvEENSB_8equal_toIvEES6_EE10hipError_tPvRmT2_T3_T4_T5_mT6_T7_P12ihipStream_tbENKUlT_T0_E_clISt17integral_constantIbLb0EES12_IbLb1EEEEDaSY_SZ_EUlSY_E_NS1_11comp_targetILNS1_3genE10ELNS1_11target_archE1201ELNS1_3gpuE5ELNS1_3repE0EEENS1_30default_config_static_selectorELNS0_4arch9wavefront6targetE0EEEvT1_
; %bb.0:
	.section	.rodata,"a",@progbits
	.p2align	6, 0x0
	.amdhsa_kernel _ZN7rocprim17ROCPRIM_400000_NS6detail17trampoline_kernelINS0_14default_configENS1_27scan_by_key_config_selectorIj11FixedVectorIiLj1EEEEZZNS1_16scan_by_key_implILNS1_25lookback_scan_determinismE0ELb0ES3_N6thrust23THRUST_200600_302600_NS6detail15normal_iteratorINSB_10device_ptrIjEEEENSD_INSE_IS6_EEEESI_S6_NSB_4plusIvEENSB_8equal_toIvEES6_EE10hipError_tPvRmT2_T3_T4_T5_mT6_T7_P12ihipStream_tbENKUlT_T0_E_clISt17integral_constantIbLb0EES12_IbLb1EEEEDaSY_SZ_EUlSY_E_NS1_11comp_targetILNS1_3genE10ELNS1_11target_archE1201ELNS1_3gpuE5ELNS1_3repE0EEENS1_30default_config_static_selectorELNS0_4arch9wavefront6targetE0EEEvT1_
		.amdhsa_group_segment_fixed_size 0
		.amdhsa_private_segment_fixed_size 0
		.amdhsa_kernarg_size 112
		.amdhsa_user_sgpr_count 6
		.amdhsa_user_sgpr_private_segment_buffer 1
		.amdhsa_user_sgpr_dispatch_ptr 0
		.amdhsa_user_sgpr_queue_ptr 0
		.amdhsa_user_sgpr_kernarg_segment_ptr 1
		.amdhsa_user_sgpr_dispatch_id 0
		.amdhsa_user_sgpr_flat_scratch_init 0
		.amdhsa_user_sgpr_private_segment_size 0
		.amdhsa_wavefront_size32 1
		.amdhsa_uses_dynamic_stack 0
		.amdhsa_system_sgpr_private_segment_wavefront_offset 0
		.amdhsa_system_sgpr_workgroup_id_x 1
		.amdhsa_system_sgpr_workgroup_id_y 0
		.amdhsa_system_sgpr_workgroup_id_z 0
		.amdhsa_system_sgpr_workgroup_info 0
		.amdhsa_system_vgpr_workitem_id 0
		.amdhsa_next_free_vgpr 1
		.amdhsa_next_free_sgpr 1
		.amdhsa_reserve_vcc 0
		.amdhsa_reserve_flat_scratch 0
		.amdhsa_float_round_mode_32 0
		.amdhsa_float_round_mode_16_64 0
		.amdhsa_float_denorm_mode_32 3
		.amdhsa_float_denorm_mode_16_64 3
		.amdhsa_dx10_clamp 1
		.amdhsa_ieee_mode 1
		.amdhsa_fp16_overflow 0
		.amdhsa_workgroup_processor_mode 1
		.amdhsa_memory_ordered 1
		.amdhsa_forward_progress 1
		.amdhsa_shared_vgpr_count 0
		.amdhsa_exception_fp_ieee_invalid_op 0
		.amdhsa_exception_fp_denorm_src 0
		.amdhsa_exception_fp_ieee_div_zero 0
		.amdhsa_exception_fp_ieee_overflow 0
		.amdhsa_exception_fp_ieee_underflow 0
		.amdhsa_exception_fp_ieee_inexact 0
		.amdhsa_exception_int_div_zero 0
	.end_amdhsa_kernel
	.section	.text._ZN7rocprim17ROCPRIM_400000_NS6detail17trampoline_kernelINS0_14default_configENS1_27scan_by_key_config_selectorIj11FixedVectorIiLj1EEEEZZNS1_16scan_by_key_implILNS1_25lookback_scan_determinismE0ELb0ES3_N6thrust23THRUST_200600_302600_NS6detail15normal_iteratorINSB_10device_ptrIjEEEENSD_INSE_IS6_EEEESI_S6_NSB_4plusIvEENSB_8equal_toIvEES6_EE10hipError_tPvRmT2_T3_T4_T5_mT6_T7_P12ihipStream_tbENKUlT_T0_E_clISt17integral_constantIbLb0EES12_IbLb1EEEEDaSY_SZ_EUlSY_E_NS1_11comp_targetILNS1_3genE10ELNS1_11target_archE1201ELNS1_3gpuE5ELNS1_3repE0EEENS1_30default_config_static_selectorELNS0_4arch9wavefront6targetE0EEEvT1_,"axG",@progbits,_ZN7rocprim17ROCPRIM_400000_NS6detail17trampoline_kernelINS0_14default_configENS1_27scan_by_key_config_selectorIj11FixedVectorIiLj1EEEEZZNS1_16scan_by_key_implILNS1_25lookback_scan_determinismE0ELb0ES3_N6thrust23THRUST_200600_302600_NS6detail15normal_iteratorINSB_10device_ptrIjEEEENSD_INSE_IS6_EEEESI_S6_NSB_4plusIvEENSB_8equal_toIvEES6_EE10hipError_tPvRmT2_T3_T4_T5_mT6_T7_P12ihipStream_tbENKUlT_T0_E_clISt17integral_constantIbLb0EES12_IbLb1EEEEDaSY_SZ_EUlSY_E_NS1_11comp_targetILNS1_3genE10ELNS1_11target_archE1201ELNS1_3gpuE5ELNS1_3repE0EEENS1_30default_config_static_selectorELNS0_4arch9wavefront6targetE0EEEvT1_,comdat
.Lfunc_end1903:
	.size	_ZN7rocprim17ROCPRIM_400000_NS6detail17trampoline_kernelINS0_14default_configENS1_27scan_by_key_config_selectorIj11FixedVectorIiLj1EEEEZZNS1_16scan_by_key_implILNS1_25lookback_scan_determinismE0ELb0ES3_N6thrust23THRUST_200600_302600_NS6detail15normal_iteratorINSB_10device_ptrIjEEEENSD_INSE_IS6_EEEESI_S6_NSB_4plusIvEENSB_8equal_toIvEES6_EE10hipError_tPvRmT2_T3_T4_T5_mT6_T7_P12ihipStream_tbENKUlT_T0_E_clISt17integral_constantIbLb0EES12_IbLb1EEEEDaSY_SZ_EUlSY_E_NS1_11comp_targetILNS1_3genE10ELNS1_11target_archE1201ELNS1_3gpuE5ELNS1_3repE0EEENS1_30default_config_static_selectorELNS0_4arch9wavefront6targetE0EEEvT1_, .Lfunc_end1903-_ZN7rocprim17ROCPRIM_400000_NS6detail17trampoline_kernelINS0_14default_configENS1_27scan_by_key_config_selectorIj11FixedVectorIiLj1EEEEZZNS1_16scan_by_key_implILNS1_25lookback_scan_determinismE0ELb0ES3_N6thrust23THRUST_200600_302600_NS6detail15normal_iteratorINSB_10device_ptrIjEEEENSD_INSE_IS6_EEEESI_S6_NSB_4plusIvEENSB_8equal_toIvEES6_EE10hipError_tPvRmT2_T3_T4_T5_mT6_T7_P12ihipStream_tbENKUlT_T0_E_clISt17integral_constantIbLb0EES12_IbLb1EEEEDaSY_SZ_EUlSY_E_NS1_11comp_targetILNS1_3genE10ELNS1_11target_archE1201ELNS1_3gpuE5ELNS1_3repE0EEENS1_30default_config_static_selectorELNS0_4arch9wavefront6targetE0EEEvT1_
                                        ; -- End function
	.set _ZN7rocprim17ROCPRIM_400000_NS6detail17trampoline_kernelINS0_14default_configENS1_27scan_by_key_config_selectorIj11FixedVectorIiLj1EEEEZZNS1_16scan_by_key_implILNS1_25lookback_scan_determinismE0ELb0ES3_N6thrust23THRUST_200600_302600_NS6detail15normal_iteratorINSB_10device_ptrIjEEEENSD_INSE_IS6_EEEESI_S6_NSB_4plusIvEENSB_8equal_toIvEES6_EE10hipError_tPvRmT2_T3_T4_T5_mT6_T7_P12ihipStream_tbENKUlT_T0_E_clISt17integral_constantIbLb0EES12_IbLb1EEEEDaSY_SZ_EUlSY_E_NS1_11comp_targetILNS1_3genE10ELNS1_11target_archE1201ELNS1_3gpuE5ELNS1_3repE0EEENS1_30default_config_static_selectorELNS0_4arch9wavefront6targetE0EEEvT1_.num_vgpr, 0
	.set _ZN7rocprim17ROCPRIM_400000_NS6detail17trampoline_kernelINS0_14default_configENS1_27scan_by_key_config_selectorIj11FixedVectorIiLj1EEEEZZNS1_16scan_by_key_implILNS1_25lookback_scan_determinismE0ELb0ES3_N6thrust23THRUST_200600_302600_NS6detail15normal_iteratorINSB_10device_ptrIjEEEENSD_INSE_IS6_EEEESI_S6_NSB_4plusIvEENSB_8equal_toIvEES6_EE10hipError_tPvRmT2_T3_T4_T5_mT6_T7_P12ihipStream_tbENKUlT_T0_E_clISt17integral_constantIbLb0EES12_IbLb1EEEEDaSY_SZ_EUlSY_E_NS1_11comp_targetILNS1_3genE10ELNS1_11target_archE1201ELNS1_3gpuE5ELNS1_3repE0EEENS1_30default_config_static_selectorELNS0_4arch9wavefront6targetE0EEEvT1_.num_agpr, 0
	.set _ZN7rocprim17ROCPRIM_400000_NS6detail17trampoline_kernelINS0_14default_configENS1_27scan_by_key_config_selectorIj11FixedVectorIiLj1EEEEZZNS1_16scan_by_key_implILNS1_25lookback_scan_determinismE0ELb0ES3_N6thrust23THRUST_200600_302600_NS6detail15normal_iteratorINSB_10device_ptrIjEEEENSD_INSE_IS6_EEEESI_S6_NSB_4plusIvEENSB_8equal_toIvEES6_EE10hipError_tPvRmT2_T3_T4_T5_mT6_T7_P12ihipStream_tbENKUlT_T0_E_clISt17integral_constantIbLb0EES12_IbLb1EEEEDaSY_SZ_EUlSY_E_NS1_11comp_targetILNS1_3genE10ELNS1_11target_archE1201ELNS1_3gpuE5ELNS1_3repE0EEENS1_30default_config_static_selectorELNS0_4arch9wavefront6targetE0EEEvT1_.numbered_sgpr, 0
	.set _ZN7rocprim17ROCPRIM_400000_NS6detail17trampoline_kernelINS0_14default_configENS1_27scan_by_key_config_selectorIj11FixedVectorIiLj1EEEEZZNS1_16scan_by_key_implILNS1_25lookback_scan_determinismE0ELb0ES3_N6thrust23THRUST_200600_302600_NS6detail15normal_iteratorINSB_10device_ptrIjEEEENSD_INSE_IS6_EEEESI_S6_NSB_4plusIvEENSB_8equal_toIvEES6_EE10hipError_tPvRmT2_T3_T4_T5_mT6_T7_P12ihipStream_tbENKUlT_T0_E_clISt17integral_constantIbLb0EES12_IbLb1EEEEDaSY_SZ_EUlSY_E_NS1_11comp_targetILNS1_3genE10ELNS1_11target_archE1201ELNS1_3gpuE5ELNS1_3repE0EEENS1_30default_config_static_selectorELNS0_4arch9wavefront6targetE0EEEvT1_.num_named_barrier, 0
	.set _ZN7rocprim17ROCPRIM_400000_NS6detail17trampoline_kernelINS0_14default_configENS1_27scan_by_key_config_selectorIj11FixedVectorIiLj1EEEEZZNS1_16scan_by_key_implILNS1_25lookback_scan_determinismE0ELb0ES3_N6thrust23THRUST_200600_302600_NS6detail15normal_iteratorINSB_10device_ptrIjEEEENSD_INSE_IS6_EEEESI_S6_NSB_4plusIvEENSB_8equal_toIvEES6_EE10hipError_tPvRmT2_T3_T4_T5_mT6_T7_P12ihipStream_tbENKUlT_T0_E_clISt17integral_constantIbLb0EES12_IbLb1EEEEDaSY_SZ_EUlSY_E_NS1_11comp_targetILNS1_3genE10ELNS1_11target_archE1201ELNS1_3gpuE5ELNS1_3repE0EEENS1_30default_config_static_selectorELNS0_4arch9wavefront6targetE0EEEvT1_.private_seg_size, 0
	.set _ZN7rocprim17ROCPRIM_400000_NS6detail17trampoline_kernelINS0_14default_configENS1_27scan_by_key_config_selectorIj11FixedVectorIiLj1EEEEZZNS1_16scan_by_key_implILNS1_25lookback_scan_determinismE0ELb0ES3_N6thrust23THRUST_200600_302600_NS6detail15normal_iteratorINSB_10device_ptrIjEEEENSD_INSE_IS6_EEEESI_S6_NSB_4plusIvEENSB_8equal_toIvEES6_EE10hipError_tPvRmT2_T3_T4_T5_mT6_T7_P12ihipStream_tbENKUlT_T0_E_clISt17integral_constantIbLb0EES12_IbLb1EEEEDaSY_SZ_EUlSY_E_NS1_11comp_targetILNS1_3genE10ELNS1_11target_archE1201ELNS1_3gpuE5ELNS1_3repE0EEENS1_30default_config_static_selectorELNS0_4arch9wavefront6targetE0EEEvT1_.uses_vcc, 0
	.set _ZN7rocprim17ROCPRIM_400000_NS6detail17trampoline_kernelINS0_14default_configENS1_27scan_by_key_config_selectorIj11FixedVectorIiLj1EEEEZZNS1_16scan_by_key_implILNS1_25lookback_scan_determinismE0ELb0ES3_N6thrust23THRUST_200600_302600_NS6detail15normal_iteratorINSB_10device_ptrIjEEEENSD_INSE_IS6_EEEESI_S6_NSB_4plusIvEENSB_8equal_toIvEES6_EE10hipError_tPvRmT2_T3_T4_T5_mT6_T7_P12ihipStream_tbENKUlT_T0_E_clISt17integral_constantIbLb0EES12_IbLb1EEEEDaSY_SZ_EUlSY_E_NS1_11comp_targetILNS1_3genE10ELNS1_11target_archE1201ELNS1_3gpuE5ELNS1_3repE0EEENS1_30default_config_static_selectorELNS0_4arch9wavefront6targetE0EEEvT1_.uses_flat_scratch, 0
	.set _ZN7rocprim17ROCPRIM_400000_NS6detail17trampoline_kernelINS0_14default_configENS1_27scan_by_key_config_selectorIj11FixedVectorIiLj1EEEEZZNS1_16scan_by_key_implILNS1_25lookback_scan_determinismE0ELb0ES3_N6thrust23THRUST_200600_302600_NS6detail15normal_iteratorINSB_10device_ptrIjEEEENSD_INSE_IS6_EEEESI_S6_NSB_4plusIvEENSB_8equal_toIvEES6_EE10hipError_tPvRmT2_T3_T4_T5_mT6_T7_P12ihipStream_tbENKUlT_T0_E_clISt17integral_constantIbLb0EES12_IbLb1EEEEDaSY_SZ_EUlSY_E_NS1_11comp_targetILNS1_3genE10ELNS1_11target_archE1201ELNS1_3gpuE5ELNS1_3repE0EEENS1_30default_config_static_selectorELNS0_4arch9wavefront6targetE0EEEvT1_.has_dyn_sized_stack, 0
	.set _ZN7rocprim17ROCPRIM_400000_NS6detail17trampoline_kernelINS0_14default_configENS1_27scan_by_key_config_selectorIj11FixedVectorIiLj1EEEEZZNS1_16scan_by_key_implILNS1_25lookback_scan_determinismE0ELb0ES3_N6thrust23THRUST_200600_302600_NS6detail15normal_iteratorINSB_10device_ptrIjEEEENSD_INSE_IS6_EEEESI_S6_NSB_4plusIvEENSB_8equal_toIvEES6_EE10hipError_tPvRmT2_T3_T4_T5_mT6_T7_P12ihipStream_tbENKUlT_T0_E_clISt17integral_constantIbLb0EES12_IbLb1EEEEDaSY_SZ_EUlSY_E_NS1_11comp_targetILNS1_3genE10ELNS1_11target_archE1201ELNS1_3gpuE5ELNS1_3repE0EEENS1_30default_config_static_selectorELNS0_4arch9wavefront6targetE0EEEvT1_.has_recursion, 0
	.set _ZN7rocprim17ROCPRIM_400000_NS6detail17trampoline_kernelINS0_14default_configENS1_27scan_by_key_config_selectorIj11FixedVectorIiLj1EEEEZZNS1_16scan_by_key_implILNS1_25lookback_scan_determinismE0ELb0ES3_N6thrust23THRUST_200600_302600_NS6detail15normal_iteratorINSB_10device_ptrIjEEEENSD_INSE_IS6_EEEESI_S6_NSB_4plusIvEENSB_8equal_toIvEES6_EE10hipError_tPvRmT2_T3_T4_T5_mT6_T7_P12ihipStream_tbENKUlT_T0_E_clISt17integral_constantIbLb0EES12_IbLb1EEEEDaSY_SZ_EUlSY_E_NS1_11comp_targetILNS1_3genE10ELNS1_11target_archE1201ELNS1_3gpuE5ELNS1_3repE0EEENS1_30default_config_static_selectorELNS0_4arch9wavefront6targetE0EEEvT1_.has_indirect_call, 0
	.section	.AMDGPU.csdata,"",@progbits
; Kernel info:
; codeLenInByte = 0
; TotalNumSgprs: 0
; NumVgprs: 0
; ScratchSize: 0
; MemoryBound: 0
; FloatMode: 240
; IeeeMode: 1
; LDSByteSize: 0 bytes/workgroup (compile time only)
; SGPRBlocks: 0
; VGPRBlocks: 0
; NumSGPRsForWavesPerEU: 1
; NumVGPRsForWavesPerEU: 1
; Occupancy: 16
; WaveLimiterHint : 0
; COMPUTE_PGM_RSRC2:SCRATCH_EN: 0
; COMPUTE_PGM_RSRC2:USER_SGPR: 6
; COMPUTE_PGM_RSRC2:TRAP_HANDLER: 0
; COMPUTE_PGM_RSRC2:TGID_X_EN: 1
; COMPUTE_PGM_RSRC2:TGID_Y_EN: 0
; COMPUTE_PGM_RSRC2:TGID_Z_EN: 0
; COMPUTE_PGM_RSRC2:TIDIG_COMP_CNT: 0
	.section	.text._ZN7rocprim17ROCPRIM_400000_NS6detail17trampoline_kernelINS0_14default_configENS1_27scan_by_key_config_selectorIj11FixedVectorIiLj1EEEEZZNS1_16scan_by_key_implILNS1_25lookback_scan_determinismE0ELb0ES3_N6thrust23THRUST_200600_302600_NS6detail15normal_iteratorINSB_10device_ptrIjEEEENSD_INSE_IS6_EEEESI_S6_NSB_4plusIvEENSB_8equal_toIvEES6_EE10hipError_tPvRmT2_T3_T4_T5_mT6_T7_P12ihipStream_tbENKUlT_T0_E_clISt17integral_constantIbLb0EES12_IbLb1EEEEDaSY_SZ_EUlSY_E_NS1_11comp_targetILNS1_3genE5ELNS1_11target_archE942ELNS1_3gpuE9ELNS1_3repE0EEENS1_30default_config_static_selectorELNS0_4arch9wavefront6targetE0EEEvT1_,"axG",@progbits,_ZN7rocprim17ROCPRIM_400000_NS6detail17trampoline_kernelINS0_14default_configENS1_27scan_by_key_config_selectorIj11FixedVectorIiLj1EEEEZZNS1_16scan_by_key_implILNS1_25lookback_scan_determinismE0ELb0ES3_N6thrust23THRUST_200600_302600_NS6detail15normal_iteratorINSB_10device_ptrIjEEEENSD_INSE_IS6_EEEESI_S6_NSB_4plusIvEENSB_8equal_toIvEES6_EE10hipError_tPvRmT2_T3_T4_T5_mT6_T7_P12ihipStream_tbENKUlT_T0_E_clISt17integral_constantIbLb0EES12_IbLb1EEEEDaSY_SZ_EUlSY_E_NS1_11comp_targetILNS1_3genE5ELNS1_11target_archE942ELNS1_3gpuE9ELNS1_3repE0EEENS1_30default_config_static_selectorELNS0_4arch9wavefront6targetE0EEEvT1_,comdat
	.protected	_ZN7rocprim17ROCPRIM_400000_NS6detail17trampoline_kernelINS0_14default_configENS1_27scan_by_key_config_selectorIj11FixedVectorIiLj1EEEEZZNS1_16scan_by_key_implILNS1_25lookback_scan_determinismE0ELb0ES3_N6thrust23THRUST_200600_302600_NS6detail15normal_iteratorINSB_10device_ptrIjEEEENSD_INSE_IS6_EEEESI_S6_NSB_4plusIvEENSB_8equal_toIvEES6_EE10hipError_tPvRmT2_T3_T4_T5_mT6_T7_P12ihipStream_tbENKUlT_T0_E_clISt17integral_constantIbLb0EES12_IbLb1EEEEDaSY_SZ_EUlSY_E_NS1_11comp_targetILNS1_3genE5ELNS1_11target_archE942ELNS1_3gpuE9ELNS1_3repE0EEENS1_30default_config_static_selectorELNS0_4arch9wavefront6targetE0EEEvT1_ ; -- Begin function _ZN7rocprim17ROCPRIM_400000_NS6detail17trampoline_kernelINS0_14default_configENS1_27scan_by_key_config_selectorIj11FixedVectorIiLj1EEEEZZNS1_16scan_by_key_implILNS1_25lookback_scan_determinismE0ELb0ES3_N6thrust23THRUST_200600_302600_NS6detail15normal_iteratorINSB_10device_ptrIjEEEENSD_INSE_IS6_EEEESI_S6_NSB_4plusIvEENSB_8equal_toIvEES6_EE10hipError_tPvRmT2_T3_T4_T5_mT6_T7_P12ihipStream_tbENKUlT_T0_E_clISt17integral_constantIbLb0EES12_IbLb1EEEEDaSY_SZ_EUlSY_E_NS1_11comp_targetILNS1_3genE5ELNS1_11target_archE942ELNS1_3gpuE9ELNS1_3repE0EEENS1_30default_config_static_selectorELNS0_4arch9wavefront6targetE0EEEvT1_
	.globl	_ZN7rocprim17ROCPRIM_400000_NS6detail17trampoline_kernelINS0_14default_configENS1_27scan_by_key_config_selectorIj11FixedVectorIiLj1EEEEZZNS1_16scan_by_key_implILNS1_25lookback_scan_determinismE0ELb0ES3_N6thrust23THRUST_200600_302600_NS6detail15normal_iteratorINSB_10device_ptrIjEEEENSD_INSE_IS6_EEEESI_S6_NSB_4plusIvEENSB_8equal_toIvEES6_EE10hipError_tPvRmT2_T3_T4_T5_mT6_T7_P12ihipStream_tbENKUlT_T0_E_clISt17integral_constantIbLb0EES12_IbLb1EEEEDaSY_SZ_EUlSY_E_NS1_11comp_targetILNS1_3genE5ELNS1_11target_archE942ELNS1_3gpuE9ELNS1_3repE0EEENS1_30default_config_static_selectorELNS0_4arch9wavefront6targetE0EEEvT1_
	.p2align	8
	.type	_ZN7rocprim17ROCPRIM_400000_NS6detail17trampoline_kernelINS0_14default_configENS1_27scan_by_key_config_selectorIj11FixedVectorIiLj1EEEEZZNS1_16scan_by_key_implILNS1_25lookback_scan_determinismE0ELb0ES3_N6thrust23THRUST_200600_302600_NS6detail15normal_iteratorINSB_10device_ptrIjEEEENSD_INSE_IS6_EEEESI_S6_NSB_4plusIvEENSB_8equal_toIvEES6_EE10hipError_tPvRmT2_T3_T4_T5_mT6_T7_P12ihipStream_tbENKUlT_T0_E_clISt17integral_constantIbLb0EES12_IbLb1EEEEDaSY_SZ_EUlSY_E_NS1_11comp_targetILNS1_3genE5ELNS1_11target_archE942ELNS1_3gpuE9ELNS1_3repE0EEENS1_30default_config_static_selectorELNS0_4arch9wavefront6targetE0EEEvT1_,@function
_ZN7rocprim17ROCPRIM_400000_NS6detail17trampoline_kernelINS0_14default_configENS1_27scan_by_key_config_selectorIj11FixedVectorIiLj1EEEEZZNS1_16scan_by_key_implILNS1_25lookback_scan_determinismE0ELb0ES3_N6thrust23THRUST_200600_302600_NS6detail15normal_iteratorINSB_10device_ptrIjEEEENSD_INSE_IS6_EEEESI_S6_NSB_4plusIvEENSB_8equal_toIvEES6_EE10hipError_tPvRmT2_T3_T4_T5_mT6_T7_P12ihipStream_tbENKUlT_T0_E_clISt17integral_constantIbLb0EES12_IbLb1EEEEDaSY_SZ_EUlSY_E_NS1_11comp_targetILNS1_3genE5ELNS1_11target_archE942ELNS1_3gpuE9ELNS1_3repE0EEENS1_30default_config_static_selectorELNS0_4arch9wavefront6targetE0EEEvT1_: ; @_ZN7rocprim17ROCPRIM_400000_NS6detail17trampoline_kernelINS0_14default_configENS1_27scan_by_key_config_selectorIj11FixedVectorIiLj1EEEEZZNS1_16scan_by_key_implILNS1_25lookback_scan_determinismE0ELb0ES3_N6thrust23THRUST_200600_302600_NS6detail15normal_iteratorINSB_10device_ptrIjEEEENSD_INSE_IS6_EEEESI_S6_NSB_4plusIvEENSB_8equal_toIvEES6_EE10hipError_tPvRmT2_T3_T4_T5_mT6_T7_P12ihipStream_tbENKUlT_T0_E_clISt17integral_constantIbLb0EES12_IbLb1EEEEDaSY_SZ_EUlSY_E_NS1_11comp_targetILNS1_3genE5ELNS1_11target_archE942ELNS1_3gpuE9ELNS1_3repE0EEENS1_30default_config_static_selectorELNS0_4arch9wavefront6targetE0EEEvT1_
; %bb.0:
	.section	.rodata,"a",@progbits
	.p2align	6, 0x0
	.amdhsa_kernel _ZN7rocprim17ROCPRIM_400000_NS6detail17trampoline_kernelINS0_14default_configENS1_27scan_by_key_config_selectorIj11FixedVectorIiLj1EEEEZZNS1_16scan_by_key_implILNS1_25lookback_scan_determinismE0ELb0ES3_N6thrust23THRUST_200600_302600_NS6detail15normal_iteratorINSB_10device_ptrIjEEEENSD_INSE_IS6_EEEESI_S6_NSB_4plusIvEENSB_8equal_toIvEES6_EE10hipError_tPvRmT2_T3_T4_T5_mT6_T7_P12ihipStream_tbENKUlT_T0_E_clISt17integral_constantIbLb0EES12_IbLb1EEEEDaSY_SZ_EUlSY_E_NS1_11comp_targetILNS1_3genE5ELNS1_11target_archE942ELNS1_3gpuE9ELNS1_3repE0EEENS1_30default_config_static_selectorELNS0_4arch9wavefront6targetE0EEEvT1_
		.amdhsa_group_segment_fixed_size 0
		.amdhsa_private_segment_fixed_size 0
		.amdhsa_kernarg_size 112
		.amdhsa_user_sgpr_count 6
		.amdhsa_user_sgpr_private_segment_buffer 1
		.amdhsa_user_sgpr_dispatch_ptr 0
		.amdhsa_user_sgpr_queue_ptr 0
		.amdhsa_user_sgpr_kernarg_segment_ptr 1
		.amdhsa_user_sgpr_dispatch_id 0
		.amdhsa_user_sgpr_flat_scratch_init 0
		.amdhsa_user_sgpr_private_segment_size 0
		.amdhsa_wavefront_size32 1
		.amdhsa_uses_dynamic_stack 0
		.amdhsa_system_sgpr_private_segment_wavefront_offset 0
		.amdhsa_system_sgpr_workgroup_id_x 1
		.amdhsa_system_sgpr_workgroup_id_y 0
		.amdhsa_system_sgpr_workgroup_id_z 0
		.amdhsa_system_sgpr_workgroup_info 0
		.amdhsa_system_vgpr_workitem_id 0
		.amdhsa_next_free_vgpr 1
		.amdhsa_next_free_sgpr 1
		.amdhsa_reserve_vcc 0
		.amdhsa_reserve_flat_scratch 0
		.amdhsa_float_round_mode_32 0
		.amdhsa_float_round_mode_16_64 0
		.amdhsa_float_denorm_mode_32 3
		.amdhsa_float_denorm_mode_16_64 3
		.amdhsa_dx10_clamp 1
		.amdhsa_ieee_mode 1
		.amdhsa_fp16_overflow 0
		.amdhsa_workgroup_processor_mode 1
		.amdhsa_memory_ordered 1
		.amdhsa_forward_progress 1
		.amdhsa_shared_vgpr_count 0
		.amdhsa_exception_fp_ieee_invalid_op 0
		.amdhsa_exception_fp_denorm_src 0
		.amdhsa_exception_fp_ieee_div_zero 0
		.amdhsa_exception_fp_ieee_overflow 0
		.amdhsa_exception_fp_ieee_underflow 0
		.amdhsa_exception_fp_ieee_inexact 0
		.amdhsa_exception_int_div_zero 0
	.end_amdhsa_kernel
	.section	.text._ZN7rocprim17ROCPRIM_400000_NS6detail17trampoline_kernelINS0_14default_configENS1_27scan_by_key_config_selectorIj11FixedVectorIiLj1EEEEZZNS1_16scan_by_key_implILNS1_25lookback_scan_determinismE0ELb0ES3_N6thrust23THRUST_200600_302600_NS6detail15normal_iteratorINSB_10device_ptrIjEEEENSD_INSE_IS6_EEEESI_S6_NSB_4plusIvEENSB_8equal_toIvEES6_EE10hipError_tPvRmT2_T3_T4_T5_mT6_T7_P12ihipStream_tbENKUlT_T0_E_clISt17integral_constantIbLb0EES12_IbLb1EEEEDaSY_SZ_EUlSY_E_NS1_11comp_targetILNS1_3genE5ELNS1_11target_archE942ELNS1_3gpuE9ELNS1_3repE0EEENS1_30default_config_static_selectorELNS0_4arch9wavefront6targetE0EEEvT1_,"axG",@progbits,_ZN7rocprim17ROCPRIM_400000_NS6detail17trampoline_kernelINS0_14default_configENS1_27scan_by_key_config_selectorIj11FixedVectorIiLj1EEEEZZNS1_16scan_by_key_implILNS1_25lookback_scan_determinismE0ELb0ES3_N6thrust23THRUST_200600_302600_NS6detail15normal_iteratorINSB_10device_ptrIjEEEENSD_INSE_IS6_EEEESI_S6_NSB_4plusIvEENSB_8equal_toIvEES6_EE10hipError_tPvRmT2_T3_T4_T5_mT6_T7_P12ihipStream_tbENKUlT_T0_E_clISt17integral_constantIbLb0EES12_IbLb1EEEEDaSY_SZ_EUlSY_E_NS1_11comp_targetILNS1_3genE5ELNS1_11target_archE942ELNS1_3gpuE9ELNS1_3repE0EEENS1_30default_config_static_selectorELNS0_4arch9wavefront6targetE0EEEvT1_,comdat
.Lfunc_end1904:
	.size	_ZN7rocprim17ROCPRIM_400000_NS6detail17trampoline_kernelINS0_14default_configENS1_27scan_by_key_config_selectorIj11FixedVectorIiLj1EEEEZZNS1_16scan_by_key_implILNS1_25lookback_scan_determinismE0ELb0ES3_N6thrust23THRUST_200600_302600_NS6detail15normal_iteratorINSB_10device_ptrIjEEEENSD_INSE_IS6_EEEESI_S6_NSB_4plusIvEENSB_8equal_toIvEES6_EE10hipError_tPvRmT2_T3_T4_T5_mT6_T7_P12ihipStream_tbENKUlT_T0_E_clISt17integral_constantIbLb0EES12_IbLb1EEEEDaSY_SZ_EUlSY_E_NS1_11comp_targetILNS1_3genE5ELNS1_11target_archE942ELNS1_3gpuE9ELNS1_3repE0EEENS1_30default_config_static_selectorELNS0_4arch9wavefront6targetE0EEEvT1_, .Lfunc_end1904-_ZN7rocprim17ROCPRIM_400000_NS6detail17trampoline_kernelINS0_14default_configENS1_27scan_by_key_config_selectorIj11FixedVectorIiLj1EEEEZZNS1_16scan_by_key_implILNS1_25lookback_scan_determinismE0ELb0ES3_N6thrust23THRUST_200600_302600_NS6detail15normal_iteratorINSB_10device_ptrIjEEEENSD_INSE_IS6_EEEESI_S6_NSB_4plusIvEENSB_8equal_toIvEES6_EE10hipError_tPvRmT2_T3_T4_T5_mT6_T7_P12ihipStream_tbENKUlT_T0_E_clISt17integral_constantIbLb0EES12_IbLb1EEEEDaSY_SZ_EUlSY_E_NS1_11comp_targetILNS1_3genE5ELNS1_11target_archE942ELNS1_3gpuE9ELNS1_3repE0EEENS1_30default_config_static_selectorELNS0_4arch9wavefront6targetE0EEEvT1_
                                        ; -- End function
	.set _ZN7rocprim17ROCPRIM_400000_NS6detail17trampoline_kernelINS0_14default_configENS1_27scan_by_key_config_selectorIj11FixedVectorIiLj1EEEEZZNS1_16scan_by_key_implILNS1_25lookback_scan_determinismE0ELb0ES3_N6thrust23THRUST_200600_302600_NS6detail15normal_iteratorINSB_10device_ptrIjEEEENSD_INSE_IS6_EEEESI_S6_NSB_4plusIvEENSB_8equal_toIvEES6_EE10hipError_tPvRmT2_T3_T4_T5_mT6_T7_P12ihipStream_tbENKUlT_T0_E_clISt17integral_constantIbLb0EES12_IbLb1EEEEDaSY_SZ_EUlSY_E_NS1_11comp_targetILNS1_3genE5ELNS1_11target_archE942ELNS1_3gpuE9ELNS1_3repE0EEENS1_30default_config_static_selectorELNS0_4arch9wavefront6targetE0EEEvT1_.num_vgpr, 0
	.set _ZN7rocprim17ROCPRIM_400000_NS6detail17trampoline_kernelINS0_14default_configENS1_27scan_by_key_config_selectorIj11FixedVectorIiLj1EEEEZZNS1_16scan_by_key_implILNS1_25lookback_scan_determinismE0ELb0ES3_N6thrust23THRUST_200600_302600_NS6detail15normal_iteratorINSB_10device_ptrIjEEEENSD_INSE_IS6_EEEESI_S6_NSB_4plusIvEENSB_8equal_toIvEES6_EE10hipError_tPvRmT2_T3_T4_T5_mT6_T7_P12ihipStream_tbENKUlT_T0_E_clISt17integral_constantIbLb0EES12_IbLb1EEEEDaSY_SZ_EUlSY_E_NS1_11comp_targetILNS1_3genE5ELNS1_11target_archE942ELNS1_3gpuE9ELNS1_3repE0EEENS1_30default_config_static_selectorELNS0_4arch9wavefront6targetE0EEEvT1_.num_agpr, 0
	.set _ZN7rocprim17ROCPRIM_400000_NS6detail17trampoline_kernelINS0_14default_configENS1_27scan_by_key_config_selectorIj11FixedVectorIiLj1EEEEZZNS1_16scan_by_key_implILNS1_25lookback_scan_determinismE0ELb0ES3_N6thrust23THRUST_200600_302600_NS6detail15normal_iteratorINSB_10device_ptrIjEEEENSD_INSE_IS6_EEEESI_S6_NSB_4plusIvEENSB_8equal_toIvEES6_EE10hipError_tPvRmT2_T3_T4_T5_mT6_T7_P12ihipStream_tbENKUlT_T0_E_clISt17integral_constantIbLb0EES12_IbLb1EEEEDaSY_SZ_EUlSY_E_NS1_11comp_targetILNS1_3genE5ELNS1_11target_archE942ELNS1_3gpuE9ELNS1_3repE0EEENS1_30default_config_static_selectorELNS0_4arch9wavefront6targetE0EEEvT1_.numbered_sgpr, 0
	.set _ZN7rocprim17ROCPRIM_400000_NS6detail17trampoline_kernelINS0_14default_configENS1_27scan_by_key_config_selectorIj11FixedVectorIiLj1EEEEZZNS1_16scan_by_key_implILNS1_25lookback_scan_determinismE0ELb0ES3_N6thrust23THRUST_200600_302600_NS6detail15normal_iteratorINSB_10device_ptrIjEEEENSD_INSE_IS6_EEEESI_S6_NSB_4plusIvEENSB_8equal_toIvEES6_EE10hipError_tPvRmT2_T3_T4_T5_mT6_T7_P12ihipStream_tbENKUlT_T0_E_clISt17integral_constantIbLb0EES12_IbLb1EEEEDaSY_SZ_EUlSY_E_NS1_11comp_targetILNS1_3genE5ELNS1_11target_archE942ELNS1_3gpuE9ELNS1_3repE0EEENS1_30default_config_static_selectorELNS0_4arch9wavefront6targetE0EEEvT1_.num_named_barrier, 0
	.set _ZN7rocprim17ROCPRIM_400000_NS6detail17trampoline_kernelINS0_14default_configENS1_27scan_by_key_config_selectorIj11FixedVectorIiLj1EEEEZZNS1_16scan_by_key_implILNS1_25lookback_scan_determinismE0ELb0ES3_N6thrust23THRUST_200600_302600_NS6detail15normal_iteratorINSB_10device_ptrIjEEEENSD_INSE_IS6_EEEESI_S6_NSB_4plusIvEENSB_8equal_toIvEES6_EE10hipError_tPvRmT2_T3_T4_T5_mT6_T7_P12ihipStream_tbENKUlT_T0_E_clISt17integral_constantIbLb0EES12_IbLb1EEEEDaSY_SZ_EUlSY_E_NS1_11comp_targetILNS1_3genE5ELNS1_11target_archE942ELNS1_3gpuE9ELNS1_3repE0EEENS1_30default_config_static_selectorELNS0_4arch9wavefront6targetE0EEEvT1_.private_seg_size, 0
	.set _ZN7rocprim17ROCPRIM_400000_NS6detail17trampoline_kernelINS0_14default_configENS1_27scan_by_key_config_selectorIj11FixedVectorIiLj1EEEEZZNS1_16scan_by_key_implILNS1_25lookback_scan_determinismE0ELb0ES3_N6thrust23THRUST_200600_302600_NS6detail15normal_iteratorINSB_10device_ptrIjEEEENSD_INSE_IS6_EEEESI_S6_NSB_4plusIvEENSB_8equal_toIvEES6_EE10hipError_tPvRmT2_T3_T4_T5_mT6_T7_P12ihipStream_tbENKUlT_T0_E_clISt17integral_constantIbLb0EES12_IbLb1EEEEDaSY_SZ_EUlSY_E_NS1_11comp_targetILNS1_3genE5ELNS1_11target_archE942ELNS1_3gpuE9ELNS1_3repE0EEENS1_30default_config_static_selectorELNS0_4arch9wavefront6targetE0EEEvT1_.uses_vcc, 0
	.set _ZN7rocprim17ROCPRIM_400000_NS6detail17trampoline_kernelINS0_14default_configENS1_27scan_by_key_config_selectorIj11FixedVectorIiLj1EEEEZZNS1_16scan_by_key_implILNS1_25lookback_scan_determinismE0ELb0ES3_N6thrust23THRUST_200600_302600_NS6detail15normal_iteratorINSB_10device_ptrIjEEEENSD_INSE_IS6_EEEESI_S6_NSB_4plusIvEENSB_8equal_toIvEES6_EE10hipError_tPvRmT2_T3_T4_T5_mT6_T7_P12ihipStream_tbENKUlT_T0_E_clISt17integral_constantIbLb0EES12_IbLb1EEEEDaSY_SZ_EUlSY_E_NS1_11comp_targetILNS1_3genE5ELNS1_11target_archE942ELNS1_3gpuE9ELNS1_3repE0EEENS1_30default_config_static_selectorELNS0_4arch9wavefront6targetE0EEEvT1_.uses_flat_scratch, 0
	.set _ZN7rocprim17ROCPRIM_400000_NS6detail17trampoline_kernelINS0_14default_configENS1_27scan_by_key_config_selectorIj11FixedVectorIiLj1EEEEZZNS1_16scan_by_key_implILNS1_25lookback_scan_determinismE0ELb0ES3_N6thrust23THRUST_200600_302600_NS6detail15normal_iteratorINSB_10device_ptrIjEEEENSD_INSE_IS6_EEEESI_S6_NSB_4plusIvEENSB_8equal_toIvEES6_EE10hipError_tPvRmT2_T3_T4_T5_mT6_T7_P12ihipStream_tbENKUlT_T0_E_clISt17integral_constantIbLb0EES12_IbLb1EEEEDaSY_SZ_EUlSY_E_NS1_11comp_targetILNS1_3genE5ELNS1_11target_archE942ELNS1_3gpuE9ELNS1_3repE0EEENS1_30default_config_static_selectorELNS0_4arch9wavefront6targetE0EEEvT1_.has_dyn_sized_stack, 0
	.set _ZN7rocprim17ROCPRIM_400000_NS6detail17trampoline_kernelINS0_14default_configENS1_27scan_by_key_config_selectorIj11FixedVectorIiLj1EEEEZZNS1_16scan_by_key_implILNS1_25lookback_scan_determinismE0ELb0ES3_N6thrust23THRUST_200600_302600_NS6detail15normal_iteratorINSB_10device_ptrIjEEEENSD_INSE_IS6_EEEESI_S6_NSB_4plusIvEENSB_8equal_toIvEES6_EE10hipError_tPvRmT2_T3_T4_T5_mT6_T7_P12ihipStream_tbENKUlT_T0_E_clISt17integral_constantIbLb0EES12_IbLb1EEEEDaSY_SZ_EUlSY_E_NS1_11comp_targetILNS1_3genE5ELNS1_11target_archE942ELNS1_3gpuE9ELNS1_3repE0EEENS1_30default_config_static_selectorELNS0_4arch9wavefront6targetE0EEEvT1_.has_recursion, 0
	.set _ZN7rocprim17ROCPRIM_400000_NS6detail17trampoline_kernelINS0_14default_configENS1_27scan_by_key_config_selectorIj11FixedVectorIiLj1EEEEZZNS1_16scan_by_key_implILNS1_25lookback_scan_determinismE0ELb0ES3_N6thrust23THRUST_200600_302600_NS6detail15normal_iteratorINSB_10device_ptrIjEEEENSD_INSE_IS6_EEEESI_S6_NSB_4plusIvEENSB_8equal_toIvEES6_EE10hipError_tPvRmT2_T3_T4_T5_mT6_T7_P12ihipStream_tbENKUlT_T0_E_clISt17integral_constantIbLb0EES12_IbLb1EEEEDaSY_SZ_EUlSY_E_NS1_11comp_targetILNS1_3genE5ELNS1_11target_archE942ELNS1_3gpuE9ELNS1_3repE0EEENS1_30default_config_static_selectorELNS0_4arch9wavefront6targetE0EEEvT1_.has_indirect_call, 0
	.section	.AMDGPU.csdata,"",@progbits
; Kernel info:
; codeLenInByte = 0
; TotalNumSgprs: 0
; NumVgprs: 0
; ScratchSize: 0
; MemoryBound: 0
; FloatMode: 240
; IeeeMode: 1
; LDSByteSize: 0 bytes/workgroup (compile time only)
; SGPRBlocks: 0
; VGPRBlocks: 0
; NumSGPRsForWavesPerEU: 1
; NumVGPRsForWavesPerEU: 1
; Occupancy: 16
; WaveLimiterHint : 0
; COMPUTE_PGM_RSRC2:SCRATCH_EN: 0
; COMPUTE_PGM_RSRC2:USER_SGPR: 6
; COMPUTE_PGM_RSRC2:TRAP_HANDLER: 0
; COMPUTE_PGM_RSRC2:TGID_X_EN: 1
; COMPUTE_PGM_RSRC2:TGID_Y_EN: 0
; COMPUTE_PGM_RSRC2:TGID_Z_EN: 0
; COMPUTE_PGM_RSRC2:TIDIG_COMP_CNT: 0
	.section	.text._ZN7rocprim17ROCPRIM_400000_NS6detail17trampoline_kernelINS0_14default_configENS1_27scan_by_key_config_selectorIj11FixedVectorIiLj1EEEEZZNS1_16scan_by_key_implILNS1_25lookback_scan_determinismE0ELb0ES3_N6thrust23THRUST_200600_302600_NS6detail15normal_iteratorINSB_10device_ptrIjEEEENSD_INSE_IS6_EEEESI_S6_NSB_4plusIvEENSB_8equal_toIvEES6_EE10hipError_tPvRmT2_T3_T4_T5_mT6_T7_P12ihipStream_tbENKUlT_T0_E_clISt17integral_constantIbLb0EES12_IbLb1EEEEDaSY_SZ_EUlSY_E_NS1_11comp_targetILNS1_3genE4ELNS1_11target_archE910ELNS1_3gpuE8ELNS1_3repE0EEENS1_30default_config_static_selectorELNS0_4arch9wavefront6targetE0EEEvT1_,"axG",@progbits,_ZN7rocprim17ROCPRIM_400000_NS6detail17trampoline_kernelINS0_14default_configENS1_27scan_by_key_config_selectorIj11FixedVectorIiLj1EEEEZZNS1_16scan_by_key_implILNS1_25lookback_scan_determinismE0ELb0ES3_N6thrust23THRUST_200600_302600_NS6detail15normal_iteratorINSB_10device_ptrIjEEEENSD_INSE_IS6_EEEESI_S6_NSB_4plusIvEENSB_8equal_toIvEES6_EE10hipError_tPvRmT2_T3_T4_T5_mT6_T7_P12ihipStream_tbENKUlT_T0_E_clISt17integral_constantIbLb0EES12_IbLb1EEEEDaSY_SZ_EUlSY_E_NS1_11comp_targetILNS1_3genE4ELNS1_11target_archE910ELNS1_3gpuE8ELNS1_3repE0EEENS1_30default_config_static_selectorELNS0_4arch9wavefront6targetE0EEEvT1_,comdat
	.protected	_ZN7rocprim17ROCPRIM_400000_NS6detail17trampoline_kernelINS0_14default_configENS1_27scan_by_key_config_selectorIj11FixedVectorIiLj1EEEEZZNS1_16scan_by_key_implILNS1_25lookback_scan_determinismE0ELb0ES3_N6thrust23THRUST_200600_302600_NS6detail15normal_iteratorINSB_10device_ptrIjEEEENSD_INSE_IS6_EEEESI_S6_NSB_4plusIvEENSB_8equal_toIvEES6_EE10hipError_tPvRmT2_T3_T4_T5_mT6_T7_P12ihipStream_tbENKUlT_T0_E_clISt17integral_constantIbLb0EES12_IbLb1EEEEDaSY_SZ_EUlSY_E_NS1_11comp_targetILNS1_3genE4ELNS1_11target_archE910ELNS1_3gpuE8ELNS1_3repE0EEENS1_30default_config_static_selectorELNS0_4arch9wavefront6targetE0EEEvT1_ ; -- Begin function _ZN7rocprim17ROCPRIM_400000_NS6detail17trampoline_kernelINS0_14default_configENS1_27scan_by_key_config_selectorIj11FixedVectorIiLj1EEEEZZNS1_16scan_by_key_implILNS1_25lookback_scan_determinismE0ELb0ES3_N6thrust23THRUST_200600_302600_NS6detail15normal_iteratorINSB_10device_ptrIjEEEENSD_INSE_IS6_EEEESI_S6_NSB_4plusIvEENSB_8equal_toIvEES6_EE10hipError_tPvRmT2_T3_T4_T5_mT6_T7_P12ihipStream_tbENKUlT_T0_E_clISt17integral_constantIbLb0EES12_IbLb1EEEEDaSY_SZ_EUlSY_E_NS1_11comp_targetILNS1_3genE4ELNS1_11target_archE910ELNS1_3gpuE8ELNS1_3repE0EEENS1_30default_config_static_selectorELNS0_4arch9wavefront6targetE0EEEvT1_
	.globl	_ZN7rocprim17ROCPRIM_400000_NS6detail17trampoline_kernelINS0_14default_configENS1_27scan_by_key_config_selectorIj11FixedVectorIiLj1EEEEZZNS1_16scan_by_key_implILNS1_25lookback_scan_determinismE0ELb0ES3_N6thrust23THRUST_200600_302600_NS6detail15normal_iteratorINSB_10device_ptrIjEEEENSD_INSE_IS6_EEEESI_S6_NSB_4plusIvEENSB_8equal_toIvEES6_EE10hipError_tPvRmT2_T3_T4_T5_mT6_T7_P12ihipStream_tbENKUlT_T0_E_clISt17integral_constantIbLb0EES12_IbLb1EEEEDaSY_SZ_EUlSY_E_NS1_11comp_targetILNS1_3genE4ELNS1_11target_archE910ELNS1_3gpuE8ELNS1_3repE0EEENS1_30default_config_static_selectorELNS0_4arch9wavefront6targetE0EEEvT1_
	.p2align	8
	.type	_ZN7rocprim17ROCPRIM_400000_NS6detail17trampoline_kernelINS0_14default_configENS1_27scan_by_key_config_selectorIj11FixedVectorIiLj1EEEEZZNS1_16scan_by_key_implILNS1_25lookback_scan_determinismE0ELb0ES3_N6thrust23THRUST_200600_302600_NS6detail15normal_iteratorINSB_10device_ptrIjEEEENSD_INSE_IS6_EEEESI_S6_NSB_4plusIvEENSB_8equal_toIvEES6_EE10hipError_tPvRmT2_T3_T4_T5_mT6_T7_P12ihipStream_tbENKUlT_T0_E_clISt17integral_constantIbLb0EES12_IbLb1EEEEDaSY_SZ_EUlSY_E_NS1_11comp_targetILNS1_3genE4ELNS1_11target_archE910ELNS1_3gpuE8ELNS1_3repE0EEENS1_30default_config_static_selectorELNS0_4arch9wavefront6targetE0EEEvT1_,@function
_ZN7rocprim17ROCPRIM_400000_NS6detail17trampoline_kernelINS0_14default_configENS1_27scan_by_key_config_selectorIj11FixedVectorIiLj1EEEEZZNS1_16scan_by_key_implILNS1_25lookback_scan_determinismE0ELb0ES3_N6thrust23THRUST_200600_302600_NS6detail15normal_iteratorINSB_10device_ptrIjEEEENSD_INSE_IS6_EEEESI_S6_NSB_4plusIvEENSB_8equal_toIvEES6_EE10hipError_tPvRmT2_T3_T4_T5_mT6_T7_P12ihipStream_tbENKUlT_T0_E_clISt17integral_constantIbLb0EES12_IbLb1EEEEDaSY_SZ_EUlSY_E_NS1_11comp_targetILNS1_3genE4ELNS1_11target_archE910ELNS1_3gpuE8ELNS1_3repE0EEENS1_30default_config_static_selectorELNS0_4arch9wavefront6targetE0EEEvT1_: ; @_ZN7rocprim17ROCPRIM_400000_NS6detail17trampoline_kernelINS0_14default_configENS1_27scan_by_key_config_selectorIj11FixedVectorIiLj1EEEEZZNS1_16scan_by_key_implILNS1_25lookback_scan_determinismE0ELb0ES3_N6thrust23THRUST_200600_302600_NS6detail15normal_iteratorINSB_10device_ptrIjEEEENSD_INSE_IS6_EEEESI_S6_NSB_4plusIvEENSB_8equal_toIvEES6_EE10hipError_tPvRmT2_T3_T4_T5_mT6_T7_P12ihipStream_tbENKUlT_T0_E_clISt17integral_constantIbLb0EES12_IbLb1EEEEDaSY_SZ_EUlSY_E_NS1_11comp_targetILNS1_3genE4ELNS1_11target_archE910ELNS1_3gpuE8ELNS1_3repE0EEENS1_30default_config_static_selectorELNS0_4arch9wavefront6targetE0EEEvT1_
; %bb.0:
	.section	.rodata,"a",@progbits
	.p2align	6, 0x0
	.amdhsa_kernel _ZN7rocprim17ROCPRIM_400000_NS6detail17trampoline_kernelINS0_14default_configENS1_27scan_by_key_config_selectorIj11FixedVectorIiLj1EEEEZZNS1_16scan_by_key_implILNS1_25lookback_scan_determinismE0ELb0ES3_N6thrust23THRUST_200600_302600_NS6detail15normal_iteratorINSB_10device_ptrIjEEEENSD_INSE_IS6_EEEESI_S6_NSB_4plusIvEENSB_8equal_toIvEES6_EE10hipError_tPvRmT2_T3_T4_T5_mT6_T7_P12ihipStream_tbENKUlT_T0_E_clISt17integral_constantIbLb0EES12_IbLb1EEEEDaSY_SZ_EUlSY_E_NS1_11comp_targetILNS1_3genE4ELNS1_11target_archE910ELNS1_3gpuE8ELNS1_3repE0EEENS1_30default_config_static_selectorELNS0_4arch9wavefront6targetE0EEEvT1_
		.amdhsa_group_segment_fixed_size 0
		.amdhsa_private_segment_fixed_size 0
		.amdhsa_kernarg_size 112
		.amdhsa_user_sgpr_count 6
		.amdhsa_user_sgpr_private_segment_buffer 1
		.amdhsa_user_sgpr_dispatch_ptr 0
		.amdhsa_user_sgpr_queue_ptr 0
		.amdhsa_user_sgpr_kernarg_segment_ptr 1
		.amdhsa_user_sgpr_dispatch_id 0
		.amdhsa_user_sgpr_flat_scratch_init 0
		.amdhsa_user_sgpr_private_segment_size 0
		.amdhsa_wavefront_size32 1
		.amdhsa_uses_dynamic_stack 0
		.amdhsa_system_sgpr_private_segment_wavefront_offset 0
		.amdhsa_system_sgpr_workgroup_id_x 1
		.amdhsa_system_sgpr_workgroup_id_y 0
		.amdhsa_system_sgpr_workgroup_id_z 0
		.amdhsa_system_sgpr_workgroup_info 0
		.amdhsa_system_vgpr_workitem_id 0
		.amdhsa_next_free_vgpr 1
		.amdhsa_next_free_sgpr 1
		.amdhsa_reserve_vcc 0
		.amdhsa_reserve_flat_scratch 0
		.amdhsa_float_round_mode_32 0
		.amdhsa_float_round_mode_16_64 0
		.amdhsa_float_denorm_mode_32 3
		.amdhsa_float_denorm_mode_16_64 3
		.amdhsa_dx10_clamp 1
		.amdhsa_ieee_mode 1
		.amdhsa_fp16_overflow 0
		.amdhsa_workgroup_processor_mode 1
		.amdhsa_memory_ordered 1
		.amdhsa_forward_progress 1
		.amdhsa_shared_vgpr_count 0
		.amdhsa_exception_fp_ieee_invalid_op 0
		.amdhsa_exception_fp_denorm_src 0
		.amdhsa_exception_fp_ieee_div_zero 0
		.amdhsa_exception_fp_ieee_overflow 0
		.amdhsa_exception_fp_ieee_underflow 0
		.amdhsa_exception_fp_ieee_inexact 0
		.amdhsa_exception_int_div_zero 0
	.end_amdhsa_kernel
	.section	.text._ZN7rocprim17ROCPRIM_400000_NS6detail17trampoline_kernelINS0_14default_configENS1_27scan_by_key_config_selectorIj11FixedVectorIiLj1EEEEZZNS1_16scan_by_key_implILNS1_25lookback_scan_determinismE0ELb0ES3_N6thrust23THRUST_200600_302600_NS6detail15normal_iteratorINSB_10device_ptrIjEEEENSD_INSE_IS6_EEEESI_S6_NSB_4plusIvEENSB_8equal_toIvEES6_EE10hipError_tPvRmT2_T3_T4_T5_mT6_T7_P12ihipStream_tbENKUlT_T0_E_clISt17integral_constantIbLb0EES12_IbLb1EEEEDaSY_SZ_EUlSY_E_NS1_11comp_targetILNS1_3genE4ELNS1_11target_archE910ELNS1_3gpuE8ELNS1_3repE0EEENS1_30default_config_static_selectorELNS0_4arch9wavefront6targetE0EEEvT1_,"axG",@progbits,_ZN7rocprim17ROCPRIM_400000_NS6detail17trampoline_kernelINS0_14default_configENS1_27scan_by_key_config_selectorIj11FixedVectorIiLj1EEEEZZNS1_16scan_by_key_implILNS1_25lookback_scan_determinismE0ELb0ES3_N6thrust23THRUST_200600_302600_NS6detail15normal_iteratorINSB_10device_ptrIjEEEENSD_INSE_IS6_EEEESI_S6_NSB_4plusIvEENSB_8equal_toIvEES6_EE10hipError_tPvRmT2_T3_T4_T5_mT6_T7_P12ihipStream_tbENKUlT_T0_E_clISt17integral_constantIbLb0EES12_IbLb1EEEEDaSY_SZ_EUlSY_E_NS1_11comp_targetILNS1_3genE4ELNS1_11target_archE910ELNS1_3gpuE8ELNS1_3repE0EEENS1_30default_config_static_selectorELNS0_4arch9wavefront6targetE0EEEvT1_,comdat
.Lfunc_end1905:
	.size	_ZN7rocprim17ROCPRIM_400000_NS6detail17trampoline_kernelINS0_14default_configENS1_27scan_by_key_config_selectorIj11FixedVectorIiLj1EEEEZZNS1_16scan_by_key_implILNS1_25lookback_scan_determinismE0ELb0ES3_N6thrust23THRUST_200600_302600_NS6detail15normal_iteratorINSB_10device_ptrIjEEEENSD_INSE_IS6_EEEESI_S6_NSB_4plusIvEENSB_8equal_toIvEES6_EE10hipError_tPvRmT2_T3_T4_T5_mT6_T7_P12ihipStream_tbENKUlT_T0_E_clISt17integral_constantIbLb0EES12_IbLb1EEEEDaSY_SZ_EUlSY_E_NS1_11comp_targetILNS1_3genE4ELNS1_11target_archE910ELNS1_3gpuE8ELNS1_3repE0EEENS1_30default_config_static_selectorELNS0_4arch9wavefront6targetE0EEEvT1_, .Lfunc_end1905-_ZN7rocprim17ROCPRIM_400000_NS6detail17trampoline_kernelINS0_14default_configENS1_27scan_by_key_config_selectorIj11FixedVectorIiLj1EEEEZZNS1_16scan_by_key_implILNS1_25lookback_scan_determinismE0ELb0ES3_N6thrust23THRUST_200600_302600_NS6detail15normal_iteratorINSB_10device_ptrIjEEEENSD_INSE_IS6_EEEESI_S6_NSB_4plusIvEENSB_8equal_toIvEES6_EE10hipError_tPvRmT2_T3_T4_T5_mT6_T7_P12ihipStream_tbENKUlT_T0_E_clISt17integral_constantIbLb0EES12_IbLb1EEEEDaSY_SZ_EUlSY_E_NS1_11comp_targetILNS1_3genE4ELNS1_11target_archE910ELNS1_3gpuE8ELNS1_3repE0EEENS1_30default_config_static_selectorELNS0_4arch9wavefront6targetE0EEEvT1_
                                        ; -- End function
	.set _ZN7rocprim17ROCPRIM_400000_NS6detail17trampoline_kernelINS0_14default_configENS1_27scan_by_key_config_selectorIj11FixedVectorIiLj1EEEEZZNS1_16scan_by_key_implILNS1_25lookback_scan_determinismE0ELb0ES3_N6thrust23THRUST_200600_302600_NS6detail15normal_iteratorINSB_10device_ptrIjEEEENSD_INSE_IS6_EEEESI_S6_NSB_4plusIvEENSB_8equal_toIvEES6_EE10hipError_tPvRmT2_T3_T4_T5_mT6_T7_P12ihipStream_tbENKUlT_T0_E_clISt17integral_constantIbLb0EES12_IbLb1EEEEDaSY_SZ_EUlSY_E_NS1_11comp_targetILNS1_3genE4ELNS1_11target_archE910ELNS1_3gpuE8ELNS1_3repE0EEENS1_30default_config_static_selectorELNS0_4arch9wavefront6targetE0EEEvT1_.num_vgpr, 0
	.set _ZN7rocprim17ROCPRIM_400000_NS6detail17trampoline_kernelINS0_14default_configENS1_27scan_by_key_config_selectorIj11FixedVectorIiLj1EEEEZZNS1_16scan_by_key_implILNS1_25lookback_scan_determinismE0ELb0ES3_N6thrust23THRUST_200600_302600_NS6detail15normal_iteratorINSB_10device_ptrIjEEEENSD_INSE_IS6_EEEESI_S6_NSB_4plusIvEENSB_8equal_toIvEES6_EE10hipError_tPvRmT2_T3_T4_T5_mT6_T7_P12ihipStream_tbENKUlT_T0_E_clISt17integral_constantIbLb0EES12_IbLb1EEEEDaSY_SZ_EUlSY_E_NS1_11comp_targetILNS1_3genE4ELNS1_11target_archE910ELNS1_3gpuE8ELNS1_3repE0EEENS1_30default_config_static_selectorELNS0_4arch9wavefront6targetE0EEEvT1_.num_agpr, 0
	.set _ZN7rocprim17ROCPRIM_400000_NS6detail17trampoline_kernelINS0_14default_configENS1_27scan_by_key_config_selectorIj11FixedVectorIiLj1EEEEZZNS1_16scan_by_key_implILNS1_25lookback_scan_determinismE0ELb0ES3_N6thrust23THRUST_200600_302600_NS6detail15normal_iteratorINSB_10device_ptrIjEEEENSD_INSE_IS6_EEEESI_S6_NSB_4plusIvEENSB_8equal_toIvEES6_EE10hipError_tPvRmT2_T3_T4_T5_mT6_T7_P12ihipStream_tbENKUlT_T0_E_clISt17integral_constantIbLb0EES12_IbLb1EEEEDaSY_SZ_EUlSY_E_NS1_11comp_targetILNS1_3genE4ELNS1_11target_archE910ELNS1_3gpuE8ELNS1_3repE0EEENS1_30default_config_static_selectorELNS0_4arch9wavefront6targetE0EEEvT1_.numbered_sgpr, 0
	.set _ZN7rocprim17ROCPRIM_400000_NS6detail17trampoline_kernelINS0_14default_configENS1_27scan_by_key_config_selectorIj11FixedVectorIiLj1EEEEZZNS1_16scan_by_key_implILNS1_25lookback_scan_determinismE0ELb0ES3_N6thrust23THRUST_200600_302600_NS6detail15normal_iteratorINSB_10device_ptrIjEEEENSD_INSE_IS6_EEEESI_S6_NSB_4plusIvEENSB_8equal_toIvEES6_EE10hipError_tPvRmT2_T3_T4_T5_mT6_T7_P12ihipStream_tbENKUlT_T0_E_clISt17integral_constantIbLb0EES12_IbLb1EEEEDaSY_SZ_EUlSY_E_NS1_11comp_targetILNS1_3genE4ELNS1_11target_archE910ELNS1_3gpuE8ELNS1_3repE0EEENS1_30default_config_static_selectorELNS0_4arch9wavefront6targetE0EEEvT1_.num_named_barrier, 0
	.set _ZN7rocprim17ROCPRIM_400000_NS6detail17trampoline_kernelINS0_14default_configENS1_27scan_by_key_config_selectorIj11FixedVectorIiLj1EEEEZZNS1_16scan_by_key_implILNS1_25lookback_scan_determinismE0ELb0ES3_N6thrust23THRUST_200600_302600_NS6detail15normal_iteratorINSB_10device_ptrIjEEEENSD_INSE_IS6_EEEESI_S6_NSB_4plusIvEENSB_8equal_toIvEES6_EE10hipError_tPvRmT2_T3_T4_T5_mT6_T7_P12ihipStream_tbENKUlT_T0_E_clISt17integral_constantIbLb0EES12_IbLb1EEEEDaSY_SZ_EUlSY_E_NS1_11comp_targetILNS1_3genE4ELNS1_11target_archE910ELNS1_3gpuE8ELNS1_3repE0EEENS1_30default_config_static_selectorELNS0_4arch9wavefront6targetE0EEEvT1_.private_seg_size, 0
	.set _ZN7rocprim17ROCPRIM_400000_NS6detail17trampoline_kernelINS0_14default_configENS1_27scan_by_key_config_selectorIj11FixedVectorIiLj1EEEEZZNS1_16scan_by_key_implILNS1_25lookback_scan_determinismE0ELb0ES3_N6thrust23THRUST_200600_302600_NS6detail15normal_iteratorINSB_10device_ptrIjEEEENSD_INSE_IS6_EEEESI_S6_NSB_4plusIvEENSB_8equal_toIvEES6_EE10hipError_tPvRmT2_T3_T4_T5_mT6_T7_P12ihipStream_tbENKUlT_T0_E_clISt17integral_constantIbLb0EES12_IbLb1EEEEDaSY_SZ_EUlSY_E_NS1_11comp_targetILNS1_3genE4ELNS1_11target_archE910ELNS1_3gpuE8ELNS1_3repE0EEENS1_30default_config_static_selectorELNS0_4arch9wavefront6targetE0EEEvT1_.uses_vcc, 0
	.set _ZN7rocprim17ROCPRIM_400000_NS6detail17trampoline_kernelINS0_14default_configENS1_27scan_by_key_config_selectorIj11FixedVectorIiLj1EEEEZZNS1_16scan_by_key_implILNS1_25lookback_scan_determinismE0ELb0ES3_N6thrust23THRUST_200600_302600_NS6detail15normal_iteratorINSB_10device_ptrIjEEEENSD_INSE_IS6_EEEESI_S6_NSB_4plusIvEENSB_8equal_toIvEES6_EE10hipError_tPvRmT2_T3_T4_T5_mT6_T7_P12ihipStream_tbENKUlT_T0_E_clISt17integral_constantIbLb0EES12_IbLb1EEEEDaSY_SZ_EUlSY_E_NS1_11comp_targetILNS1_3genE4ELNS1_11target_archE910ELNS1_3gpuE8ELNS1_3repE0EEENS1_30default_config_static_selectorELNS0_4arch9wavefront6targetE0EEEvT1_.uses_flat_scratch, 0
	.set _ZN7rocprim17ROCPRIM_400000_NS6detail17trampoline_kernelINS0_14default_configENS1_27scan_by_key_config_selectorIj11FixedVectorIiLj1EEEEZZNS1_16scan_by_key_implILNS1_25lookback_scan_determinismE0ELb0ES3_N6thrust23THRUST_200600_302600_NS6detail15normal_iteratorINSB_10device_ptrIjEEEENSD_INSE_IS6_EEEESI_S6_NSB_4plusIvEENSB_8equal_toIvEES6_EE10hipError_tPvRmT2_T3_T4_T5_mT6_T7_P12ihipStream_tbENKUlT_T0_E_clISt17integral_constantIbLb0EES12_IbLb1EEEEDaSY_SZ_EUlSY_E_NS1_11comp_targetILNS1_3genE4ELNS1_11target_archE910ELNS1_3gpuE8ELNS1_3repE0EEENS1_30default_config_static_selectorELNS0_4arch9wavefront6targetE0EEEvT1_.has_dyn_sized_stack, 0
	.set _ZN7rocprim17ROCPRIM_400000_NS6detail17trampoline_kernelINS0_14default_configENS1_27scan_by_key_config_selectorIj11FixedVectorIiLj1EEEEZZNS1_16scan_by_key_implILNS1_25lookback_scan_determinismE0ELb0ES3_N6thrust23THRUST_200600_302600_NS6detail15normal_iteratorINSB_10device_ptrIjEEEENSD_INSE_IS6_EEEESI_S6_NSB_4plusIvEENSB_8equal_toIvEES6_EE10hipError_tPvRmT2_T3_T4_T5_mT6_T7_P12ihipStream_tbENKUlT_T0_E_clISt17integral_constantIbLb0EES12_IbLb1EEEEDaSY_SZ_EUlSY_E_NS1_11comp_targetILNS1_3genE4ELNS1_11target_archE910ELNS1_3gpuE8ELNS1_3repE0EEENS1_30default_config_static_selectorELNS0_4arch9wavefront6targetE0EEEvT1_.has_recursion, 0
	.set _ZN7rocprim17ROCPRIM_400000_NS6detail17trampoline_kernelINS0_14default_configENS1_27scan_by_key_config_selectorIj11FixedVectorIiLj1EEEEZZNS1_16scan_by_key_implILNS1_25lookback_scan_determinismE0ELb0ES3_N6thrust23THRUST_200600_302600_NS6detail15normal_iteratorINSB_10device_ptrIjEEEENSD_INSE_IS6_EEEESI_S6_NSB_4plusIvEENSB_8equal_toIvEES6_EE10hipError_tPvRmT2_T3_T4_T5_mT6_T7_P12ihipStream_tbENKUlT_T0_E_clISt17integral_constantIbLb0EES12_IbLb1EEEEDaSY_SZ_EUlSY_E_NS1_11comp_targetILNS1_3genE4ELNS1_11target_archE910ELNS1_3gpuE8ELNS1_3repE0EEENS1_30default_config_static_selectorELNS0_4arch9wavefront6targetE0EEEvT1_.has_indirect_call, 0
	.section	.AMDGPU.csdata,"",@progbits
; Kernel info:
; codeLenInByte = 0
; TotalNumSgprs: 0
; NumVgprs: 0
; ScratchSize: 0
; MemoryBound: 0
; FloatMode: 240
; IeeeMode: 1
; LDSByteSize: 0 bytes/workgroup (compile time only)
; SGPRBlocks: 0
; VGPRBlocks: 0
; NumSGPRsForWavesPerEU: 1
; NumVGPRsForWavesPerEU: 1
; Occupancy: 16
; WaveLimiterHint : 0
; COMPUTE_PGM_RSRC2:SCRATCH_EN: 0
; COMPUTE_PGM_RSRC2:USER_SGPR: 6
; COMPUTE_PGM_RSRC2:TRAP_HANDLER: 0
; COMPUTE_PGM_RSRC2:TGID_X_EN: 1
; COMPUTE_PGM_RSRC2:TGID_Y_EN: 0
; COMPUTE_PGM_RSRC2:TGID_Z_EN: 0
; COMPUTE_PGM_RSRC2:TIDIG_COMP_CNT: 0
	.section	.text._ZN7rocprim17ROCPRIM_400000_NS6detail17trampoline_kernelINS0_14default_configENS1_27scan_by_key_config_selectorIj11FixedVectorIiLj1EEEEZZNS1_16scan_by_key_implILNS1_25lookback_scan_determinismE0ELb0ES3_N6thrust23THRUST_200600_302600_NS6detail15normal_iteratorINSB_10device_ptrIjEEEENSD_INSE_IS6_EEEESI_S6_NSB_4plusIvEENSB_8equal_toIvEES6_EE10hipError_tPvRmT2_T3_T4_T5_mT6_T7_P12ihipStream_tbENKUlT_T0_E_clISt17integral_constantIbLb0EES12_IbLb1EEEEDaSY_SZ_EUlSY_E_NS1_11comp_targetILNS1_3genE3ELNS1_11target_archE908ELNS1_3gpuE7ELNS1_3repE0EEENS1_30default_config_static_selectorELNS0_4arch9wavefront6targetE0EEEvT1_,"axG",@progbits,_ZN7rocprim17ROCPRIM_400000_NS6detail17trampoline_kernelINS0_14default_configENS1_27scan_by_key_config_selectorIj11FixedVectorIiLj1EEEEZZNS1_16scan_by_key_implILNS1_25lookback_scan_determinismE0ELb0ES3_N6thrust23THRUST_200600_302600_NS6detail15normal_iteratorINSB_10device_ptrIjEEEENSD_INSE_IS6_EEEESI_S6_NSB_4plusIvEENSB_8equal_toIvEES6_EE10hipError_tPvRmT2_T3_T4_T5_mT6_T7_P12ihipStream_tbENKUlT_T0_E_clISt17integral_constantIbLb0EES12_IbLb1EEEEDaSY_SZ_EUlSY_E_NS1_11comp_targetILNS1_3genE3ELNS1_11target_archE908ELNS1_3gpuE7ELNS1_3repE0EEENS1_30default_config_static_selectorELNS0_4arch9wavefront6targetE0EEEvT1_,comdat
	.protected	_ZN7rocprim17ROCPRIM_400000_NS6detail17trampoline_kernelINS0_14default_configENS1_27scan_by_key_config_selectorIj11FixedVectorIiLj1EEEEZZNS1_16scan_by_key_implILNS1_25lookback_scan_determinismE0ELb0ES3_N6thrust23THRUST_200600_302600_NS6detail15normal_iteratorINSB_10device_ptrIjEEEENSD_INSE_IS6_EEEESI_S6_NSB_4plusIvEENSB_8equal_toIvEES6_EE10hipError_tPvRmT2_T3_T4_T5_mT6_T7_P12ihipStream_tbENKUlT_T0_E_clISt17integral_constantIbLb0EES12_IbLb1EEEEDaSY_SZ_EUlSY_E_NS1_11comp_targetILNS1_3genE3ELNS1_11target_archE908ELNS1_3gpuE7ELNS1_3repE0EEENS1_30default_config_static_selectorELNS0_4arch9wavefront6targetE0EEEvT1_ ; -- Begin function _ZN7rocprim17ROCPRIM_400000_NS6detail17trampoline_kernelINS0_14default_configENS1_27scan_by_key_config_selectorIj11FixedVectorIiLj1EEEEZZNS1_16scan_by_key_implILNS1_25lookback_scan_determinismE0ELb0ES3_N6thrust23THRUST_200600_302600_NS6detail15normal_iteratorINSB_10device_ptrIjEEEENSD_INSE_IS6_EEEESI_S6_NSB_4plusIvEENSB_8equal_toIvEES6_EE10hipError_tPvRmT2_T3_T4_T5_mT6_T7_P12ihipStream_tbENKUlT_T0_E_clISt17integral_constantIbLb0EES12_IbLb1EEEEDaSY_SZ_EUlSY_E_NS1_11comp_targetILNS1_3genE3ELNS1_11target_archE908ELNS1_3gpuE7ELNS1_3repE0EEENS1_30default_config_static_selectorELNS0_4arch9wavefront6targetE0EEEvT1_
	.globl	_ZN7rocprim17ROCPRIM_400000_NS6detail17trampoline_kernelINS0_14default_configENS1_27scan_by_key_config_selectorIj11FixedVectorIiLj1EEEEZZNS1_16scan_by_key_implILNS1_25lookback_scan_determinismE0ELb0ES3_N6thrust23THRUST_200600_302600_NS6detail15normal_iteratorINSB_10device_ptrIjEEEENSD_INSE_IS6_EEEESI_S6_NSB_4plusIvEENSB_8equal_toIvEES6_EE10hipError_tPvRmT2_T3_T4_T5_mT6_T7_P12ihipStream_tbENKUlT_T0_E_clISt17integral_constantIbLb0EES12_IbLb1EEEEDaSY_SZ_EUlSY_E_NS1_11comp_targetILNS1_3genE3ELNS1_11target_archE908ELNS1_3gpuE7ELNS1_3repE0EEENS1_30default_config_static_selectorELNS0_4arch9wavefront6targetE0EEEvT1_
	.p2align	8
	.type	_ZN7rocprim17ROCPRIM_400000_NS6detail17trampoline_kernelINS0_14default_configENS1_27scan_by_key_config_selectorIj11FixedVectorIiLj1EEEEZZNS1_16scan_by_key_implILNS1_25lookback_scan_determinismE0ELb0ES3_N6thrust23THRUST_200600_302600_NS6detail15normal_iteratorINSB_10device_ptrIjEEEENSD_INSE_IS6_EEEESI_S6_NSB_4plusIvEENSB_8equal_toIvEES6_EE10hipError_tPvRmT2_T3_T4_T5_mT6_T7_P12ihipStream_tbENKUlT_T0_E_clISt17integral_constantIbLb0EES12_IbLb1EEEEDaSY_SZ_EUlSY_E_NS1_11comp_targetILNS1_3genE3ELNS1_11target_archE908ELNS1_3gpuE7ELNS1_3repE0EEENS1_30default_config_static_selectorELNS0_4arch9wavefront6targetE0EEEvT1_,@function
_ZN7rocprim17ROCPRIM_400000_NS6detail17trampoline_kernelINS0_14default_configENS1_27scan_by_key_config_selectorIj11FixedVectorIiLj1EEEEZZNS1_16scan_by_key_implILNS1_25lookback_scan_determinismE0ELb0ES3_N6thrust23THRUST_200600_302600_NS6detail15normal_iteratorINSB_10device_ptrIjEEEENSD_INSE_IS6_EEEESI_S6_NSB_4plusIvEENSB_8equal_toIvEES6_EE10hipError_tPvRmT2_T3_T4_T5_mT6_T7_P12ihipStream_tbENKUlT_T0_E_clISt17integral_constantIbLb0EES12_IbLb1EEEEDaSY_SZ_EUlSY_E_NS1_11comp_targetILNS1_3genE3ELNS1_11target_archE908ELNS1_3gpuE7ELNS1_3repE0EEENS1_30default_config_static_selectorELNS0_4arch9wavefront6targetE0EEEvT1_: ; @_ZN7rocprim17ROCPRIM_400000_NS6detail17trampoline_kernelINS0_14default_configENS1_27scan_by_key_config_selectorIj11FixedVectorIiLj1EEEEZZNS1_16scan_by_key_implILNS1_25lookback_scan_determinismE0ELb0ES3_N6thrust23THRUST_200600_302600_NS6detail15normal_iteratorINSB_10device_ptrIjEEEENSD_INSE_IS6_EEEESI_S6_NSB_4plusIvEENSB_8equal_toIvEES6_EE10hipError_tPvRmT2_T3_T4_T5_mT6_T7_P12ihipStream_tbENKUlT_T0_E_clISt17integral_constantIbLb0EES12_IbLb1EEEEDaSY_SZ_EUlSY_E_NS1_11comp_targetILNS1_3genE3ELNS1_11target_archE908ELNS1_3gpuE7ELNS1_3repE0EEENS1_30default_config_static_selectorELNS0_4arch9wavefront6targetE0EEEvT1_
; %bb.0:
	.section	.rodata,"a",@progbits
	.p2align	6, 0x0
	.amdhsa_kernel _ZN7rocprim17ROCPRIM_400000_NS6detail17trampoline_kernelINS0_14default_configENS1_27scan_by_key_config_selectorIj11FixedVectorIiLj1EEEEZZNS1_16scan_by_key_implILNS1_25lookback_scan_determinismE0ELb0ES3_N6thrust23THRUST_200600_302600_NS6detail15normal_iteratorINSB_10device_ptrIjEEEENSD_INSE_IS6_EEEESI_S6_NSB_4plusIvEENSB_8equal_toIvEES6_EE10hipError_tPvRmT2_T3_T4_T5_mT6_T7_P12ihipStream_tbENKUlT_T0_E_clISt17integral_constantIbLb0EES12_IbLb1EEEEDaSY_SZ_EUlSY_E_NS1_11comp_targetILNS1_3genE3ELNS1_11target_archE908ELNS1_3gpuE7ELNS1_3repE0EEENS1_30default_config_static_selectorELNS0_4arch9wavefront6targetE0EEEvT1_
		.amdhsa_group_segment_fixed_size 0
		.amdhsa_private_segment_fixed_size 0
		.amdhsa_kernarg_size 112
		.amdhsa_user_sgpr_count 6
		.amdhsa_user_sgpr_private_segment_buffer 1
		.amdhsa_user_sgpr_dispatch_ptr 0
		.amdhsa_user_sgpr_queue_ptr 0
		.amdhsa_user_sgpr_kernarg_segment_ptr 1
		.amdhsa_user_sgpr_dispatch_id 0
		.amdhsa_user_sgpr_flat_scratch_init 0
		.amdhsa_user_sgpr_private_segment_size 0
		.amdhsa_wavefront_size32 1
		.amdhsa_uses_dynamic_stack 0
		.amdhsa_system_sgpr_private_segment_wavefront_offset 0
		.amdhsa_system_sgpr_workgroup_id_x 1
		.amdhsa_system_sgpr_workgroup_id_y 0
		.amdhsa_system_sgpr_workgroup_id_z 0
		.amdhsa_system_sgpr_workgroup_info 0
		.amdhsa_system_vgpr_workitem_id 0
		.amdhsa_next_free_vgpr 1
		.amdhsa_next_free_sgpr 1
		.amdhsa_reserve_vcc 0
		.amdhsa_reserve_flat_scratch 0
		.amdhsa_float_round_mode_32 0
		.amdhsa_float_round_mode_16_64 0
		.amdhsa_float_denorm_mode_32 3
		.amdhsa_float_denorm_mode_16_64 3
		.amdhsa_dx10_clamp 1
		.amdhsa_ieee_mode 1
		.amdhsa_fp16_overflow 0
		.amdhsa_workgroup_processor_mode 1
		.amdhsa_memory_ordered 1
		.amdhsa_forward_progress 1
		.amdhsa_shared_vgpr_count 0
		.amdhsa_exception_fp_ieee_invalid_op 0
		.amdhsa_exception_fp_denorm_src 0
		.amdhsa_exception_fp_ieee_div_zero 0
		.amdhsa_exception_fp_ieee_overflow 0
		.amdhsa_exception_fp_ieee_underflow 0
		.amdhsa_exception_fp_ieee_inexact 0
		.amdhsa_exception_int_div_zero 0
	.end_amdhsa_kernel
	.section	.text._ZN7rocprim17ROCPRIM_400000_NS6detail17trampoline_kernelINS0_14default_configENS1_27scan_by_key_config_selectorIj11FixedVectorIiLj1EEEEZZNS1_16scan_by_key_implILNS1_25lookback_scan_determinismE0ELb0ES3_N6thrust23THRUST_200600_302600_NS6detail15normal_iteratorINSB_10device_ptrIjEEEENSD_INSE_IS6_EEEESI_S6_NSB_4plusIvEENSB_8equal_toIvEES6_EE10hipError_tPvRmT2_T3_T4_T5_mT6_T7_P12ihipStream_tbENKUlT_T0_E_clISt17integral_constantIbLb0EES12_IbLb1EEEEDaSY_SZ_EUlSY_E_NS1_11comp_targetILNS1_3genE3ELNS1_11target_archE908ELNS1_3gpuE7ELNS1_3repE0EEENS1_30default_config_static_selectorELNS0_4arch9wavefront6targetE0EEEvT1_,"axG",@progbits,_ZN7rocprim17ROCPRIM_400000_NS6detail17trampoline_kernelINS0_14default_configENS1_27scan_by_key_config_selectorIj11FixedVectorIiLj1EEEEZZNS1_16scan_by_key_implILNS1_25lookback_scan_determinismE0ELb0ES3_N6thrust23THRUST_200600_302600_NS6detail15normal_iteratorINSB_10device_ptrIjEEEENSD_INSE_IS6_EEEESI_S6_NSB_4plusIvEENSB_8equal_toIvEES6_EE10hipError_tPvRmT2_T3_T4_T5_mT6_T7_P12ihipStream_tbENKUlT_T0_E_clISt17integral_constantIbLb0EES12_IbLb1EEEEDaSY_SZ_EUlSY_E_NS1_11comp_targetILNS1_3genE3ELNS1_11target_archE908ELNS1_3gpuE7ELNS1_3repE0EEENS1_30default_config_static_selectorELNS0_4arch9wavefront6targetE0EEEvT1_,comdat
.Lfunc_end1906:
	.size	_ZN7rocprim17ROCPRIM_400000_NS6detail17trampoline_kernelINS0_14default_configENS1_27scan_by_key_config_selectorIj11FixedVectorIiLj1EEEEZZNS1_16scan_by_key_implILNS1_25lookback_scan_determinismE0ELb0ES3_N6thrust23THRUST_200600_302600_NS6detail15normal_iteratorINSB_10device_ptrIjEEEENSD_INSE_IS6_EEEESI_S6_NSB_4plusIvEENSB_8equal_toIvEES6_EE10hipError_tPvRmT2_T3_T4_T5_mT6_T7_P12ihipStream_tbENKUlT_T0_E_clISt17integral_constantIbLb0EES12_IbLb1EEEEDaSY_SZ_EUlSY_E_NS1_11comp_targetILNS1_3genE3ELNS1_11target_archE908ELNS1_3gpuE7ELNS1_3repE0EEENS1_30default_config_static_selectorELNS0_4arch9wavefront6targetE0EEEvT1_, .Lfunc_end1906-_ZN7rocprim17ROCPRIM_400000_NS6detail17trampoline_kernelINS0_14default_configENS1_27scan_by_key_config_selectorIj11FixedVectorIiLj1EEEEZZNS1_16scan_by_key_implILNS1_25lookback_scan_determinismE0ELb0ES3_N6thrust23THRUST_200600_302600_NS6detail15normal_iteratorINSB_10device_ptrIjEEEENSD_INSE_IS6_EEEESI_S6_NSB_4plusIvEENSB_8equal_toIvEES6_EE10hipError_tPvRmT2_T3_T4_T5_mT6_T7_P12ihipStream_tbENKUlT_T0_E_clISt17integral_constantIbLb0EES12_IbLb1EEEEDaSY_SZ_EUlSY_E_NS1_11comp_targetILNS1_3genE3ELNS1_11target_archE908ELNS1_3gpuE7ELNS1_3repE0EEENS1_30default_config_static_selectorELNS0_4arch9wavefront6targetE0EEEvT1_
                                        ; -- End function
	.set _ZN7rocprim17ROCPRIM_400000_NS6detail17trampoline_kernelINS0_14default_configENS1_27scan_by_key_config_selectorIj11FixedVectorIiLj1EEEEZZNS1_16scan_by_key_implILNS1_25lookback_scan_determinismE0ELb0ES3_N6thrust23THRUST_200600_302600_NS6detail15normal_iteratorINSB_10device_ptrIjEEEENSD_INSE_IS6_EEEESI_S6_NSB_4plusIvEENSB_8equal_toIvEES6_EE10hipError_tPvRmT2_T3_T4_T5_mT6_T7_P12ihipStream_tbENKUlT_T0_E_clISt17integral_constantIbLb0EES12_IbLb1EEEEDaSY_SZ_EUlSY_E_NS1_11comp_targetILNS1_3genE3ELNS1_11target_archE908ELNS1_3gpuE7ELNS1_3repE0EEENS1_30default_config_static_selectorELNS0_4arch9wavefront6targetE0EEEvT1_.num_vgpr, 0
	.set _ZN7rocprim17ROCPRIM_400000_NS6detail17trampoline_kernelINS0_14default_configENS1_27scan_by_key_config_selectorIj11FixedVectorIiLj1EEEEZZNS1_16scan_by_key_implILNS1_25lookback_scan_determinismE0ELb0ES3_N6thrust23THRUST_200600_302600_NS6detail15normal_iteratorINSB_10device_ptrIjEEEENSD_INSE_IS6_EEEESI_S6_NSB_4plusIvEENSB_8equal_toIvEES6_EE10hipError_tPvRmT2_T3_T4_T5_mT6_T7_P12ihipStream_tbENKUlT_T0_E_clISt17integral_constantIbLb0EES12_IbLb1EEEEDaSY_SZ_EUlSY_E_NS1_11comp_targetILNS1_3genE3ELNS1_11target_archE908ELNS1_3gpuE7ELNS1_3repE0EEENS1_30default_config_static_selectorELNS0_4arch9wavefront6targetE0EEEvT1_.num_agpr, 0
	.set _ZN7rocprim17ROCPRIM_400000_NS6detail17trampoline_kernelINS0_14default_configENS1_27scan_by_key_config_selectorIj11FixedVectorIiLj1EEEEZZNS1_16scan_by_key_implILNS1_25lookback_scan_determinismE0ELb0ES3_N6thrust23THRUST_200600_302600_NS6detail15normal_iteratorINSB_10device_ptrIjEEEENSD_INSE_IS6_EEEESI_S6_NSB_4plusIvEENSB_8equal_toIvEES6_EE10hipError_tPvRmT2_T3_T4_T5_mT6_T7_P12ihipStream_tbENKUlT_T0_E_clISt17integral_constantIbLb0EES12_IbLb1EEEEDaSY_SZ_EUlSY_E_NS1_11comp_targetILNS1_3genE3ELNS1_11target_archE908ELNS1_3gpuE7ELNS1_3repE0EEENS1_30default_config_static_selectorELNS0_4arch9wavefront6targetE0EEEvT1_.numbered_sgpr, 0
	.set _ZN7rocprim17ROCPRIM_400000_NS6detail17trampoline_kernelINS0_14default_configENS1_27scan_by_key_config_selectorIj11FixedVectorIiLj1EEEEZZNS1_16scan_by_key_implILNS1_25lookback_scan_determinismE0ELb0ES3_N6thrust23THRUST_200600_302600_NS6detail15normal_iteratorINSB_10device_ptrIjEEEENSD_INSE_IS6_EEEESI_S6_NSB_4plusIvEENSB_8equal_toIvEES6_EE10hipError_tPvRmT2_T3_T4_T5_mT6_T7_P12ihipStream_tbENKUlT_T0_E_clISt17integral_constantIbLb0EES12_IbLb1EEEEDaSY_SZ_EUlSY_E_NS1_11comp_targetILNS1_3genE3ELNS1_11target_archE908ELNS1_3gpuE7ELNS1_3repE0EEENS1_30default_config_static_selectorELNS0_4arch9wavefront6targetE0EEEvT1_.num_named_barrier, 0
	.set _ZN7rocprim17ROCPRIM_400000_NS6detail17trampoline_kernelINS0_14default_configENS1_27scan_by_key_config_selectorIj11FixedVectorIiLj1EEEEZZNS1_16scan_by_key_implILNS1_25lookback_scan_determinismE0ELb0ES3_N6thrust23THRUST_200600_302600_NS6detail15normal_iteratorINSB_10device_ptrIjEEEENSD_INSE_IS6_EEEESI_S6_NSB_4plusIvEENSB_8equal_toIvEES6_EE10hipError_tPvRmT2_T3_T4_T5_mT6_T7_P12ihipStream_tbENKUlT_T0_E_clISt17integral_constantIbLb0EES12_IbLb1EEEEDaSY_SZ_EUlSY_E_NS1_11comp_targetILNS1_3genE3ELNS1_11target_archE908ELNS1_3gpuE7ELNS1_3repE0EEENS1_30default_config_static_selectorELNS0_4arch9wavefront6targetE0EEEvT1_.private_seg_size, 0
	.set _ZN7rocprim17ROCPRIM_400000_NS6detail17trampoline_kernelINS0_14default_configENS1_27scan_by_key_config_selectorIj11FixedVectorIiLj1EEEEZZNS1_16scan_by_key_implILNS1_25lookback_scan_determinismE0ELb0ES3_N6thrust23THRUST_200600_302600_NS6detail15normal_iteratorINSB_10device_ptrIjEEEENSD_INSE_IS6_EEEESI_S6_NSB_4plusIvEENSB_8equal_toIvEES6_EE10hipError_tPvRmT2_T3_T4_T5_mT6_T7_P12ihipStream_tbENKUlT_T0_E_clISt17integral_constantIbLb0EES12_IbLb1EEEEDaSY_SZ_EUlSY_E_NS1_11comp_targetILNS1_3genE3ELNS1_11target_archE908ELNS1_3gpuE7ELNS1_3repE0EEENS1_30default_config_static_selectorELNS0_4arch9wavefront6targetE0EEEvT1_.uses_vcc, 0
	.set _ZN7rocprim17ROCPRIM_400000_NS6detail17trampoline_kernelINS0_14default_configENS1_27scan_by_key_config_selectorIj11FixedVectorIiLj1EEEEZZNS1_16scan_by_key_implILNS1_25lookback_scan_determinismE0ELb0ES3_N6thrust23THRUST_200600_302600_NS6detail15normal_iteratorINSB_10device_ptrIjEEEENSD_INSE_IS6_EEEESI_S6_NSB_4plusIvEENSB_8equal_toIvEES6_EE10hipError_tPvRmT2_T3_T4_T5_mT6_T7_P12ihipStream_tbENKUlT_T0_E_clISt17integral_constantIbLb0EES12_IbLb1EEEEDaSY_SZ_EUlSY_E_NS1_11comp_targetILNS1_3genE3ELNS1_11target_archE908ELNS1_3gpuE7ELNS1_3repE0EEENS1_30default_config_static_selectorELNS0_4arch9wavefront6targetE0EEEvT1_.uses_flat_scratch, 0
	.set _ZN7rocprim17ROCPRIM_400000_NS6detail17trampoline_kernelINS0_14default_configENS1_27scan_by_key_config_selectorIj11FixedVectorIiLj1EEEEZZNS1_16scan_by_key_implILNS1_25lookback_scan_determinismE0ELb0ES3_N6thrust23THRUST_200600_302600_NS6detail15normal_iteratorINSB_10device_ptrIjEEEENSD_INSE_IS6_EEEESI_S6_NSB_4plusIvEENSB_8equal_toIvEES6_EE10hipError_tPvRmT2_T3_T4_T5_mT6_T7_P12ihipStream_tbENKUlT_T0_E_clISt17integral_constantIbLb0EES12_IbLb1EEEEDaSY_SZ_EUlSY_E_NS1_11comp_targetILNS1_3genE3ELNS1_11target_archE908ELNS1_3gpuE7ELNS1_3repE0EEENS1_30default_config_static_selectorELNS0_4arch9wavefront6targetE0EEEvT1_.has_dyn_sized_stack, 0
	.set _ZN7rocprim17ROCPRIM_400000_NS6detail17trampoline_kernelINS0_14default_configENS1_27scan_by_key_config_selectorIj11FixedVectorIiLj1EEEEZZNS1_16scan_by_key_implILNS1_25lookback_scan_determinismE0ELb0ES3_N6thrust23THRUST_200600_302600_NS6detail15normal_iteratorINSB_10device_ptrIjEEEENSD_INSE_IS6_EEEESI_S6_NSB_4plusIvEENSB_8equal_toIvEES6_EE10hipError_tPvRmT2_T3_T4_T5_mT6_T7_P12ihipStream_tbENKUlT_T0_E_clISt17integral_constantIbLb0EES12_IbLb1EEEEDaSY_SZ_EUlSY_E_NS1_11comp_targetILNS1_3genE3ELNS1_11target_archE908ELNS1_3gpuE7ELNS1_3repE0EEENS1_30default_config_static_selectorELNS0_4arch9wavefront6targetE0EEEvT1_.has_recursion, 0
	.set _ZN7rocprim17ROCPRIM_400000_NS6detail17trampoline_kernelINS0_14default_configENS1_27scan_by_key_config_selectorIj11FixedVectorIiLj1EEEEZZNS1_16scan_by_key_implILNS1_25lookback_scan_determinismE0ELb0ES3_N6thrust23THRUST_200600_302600_NS6detail15normal_iteratorINSB_10device_ptrIjEEEENSD_INSE_IS6_EEEESI_S6_NSB_4plusIvEENSB_8equal_toIvEES6_EE10hipError_tPvRmT2_T3_T4_T5_mT6_T7_P12ihipStream_tbENKUlT_T0_E_clISt17integral_constantIbLb0EES12_IbLb1EEEEDaSY_SZ_EUlSY_E_NS1_11comp_targetILNS1_3genE3ELNS1_11target_archE908ELNS1_3gpuE7ELNS1_3repE0EEENS1_30default_config_static_selectorELNS0_4arch9wavefront6targetE0EEEvT1_.has_indirect_call, 0
	.section	.AMDGPU.csdata,"",@progbits
; Kernel info:
; codeLenInByte = 0
; TotalNumSgprs: 0
; NumVgprs: 0
; ScratchSize: 0
; MemoryBound: 0
; FloatMode: 240
; IeeeMode: 1
; LDSByteSize: 0 bytes/workgroup (compile time only)
; SGPRBlocks: 0
; VGPRBlocks: 0
; NumSGPRsForWavesPerEU: 1
; NumVGPRsForWavesPerEU: 1
; Occupancy: 16
; WaveLimiterHint : 0
; COMPUTE_PGM_RSRC2:SCRATCH_EN: 0
; COMPUTE_PGM_RSRC2:USER_SGPR: 6
; COMPUTE_PGM_RSRC2:TRAP_HANDLER: 0
; COMPUTE_PGM_RSRC2:TGID_X_EN: 1
; COMPUTE_PGM_RSRC2:TGID_Y_EN: 0
; COMPUTE_PGM_RSRC2:TGID_Z_EN: 0
; COMPUTE_PGM_RSRC2:TIDIG_COMP_CNT: 0
	.section	.text._ZN7rocprim17ROCPRIM_400000_NS6detail17trampoline_kernelINS0_14default_configENS1_27scan_by_key_config_selectorIj11FixedVectorIiLj1EEEEZZNS1_16scan_by_key_implILNS1_25lookback_scan_determinismE0ELb0ES3_N6thrust23THRUST_200600_302600_NS6detail15normal_iteratorINSB_10device_ptrIjEEEENSD_INSE_IS6_EEEESI_S6_NSB_4plusIvEENSB_8equal_toIvEES6_EE10hipError_tPvRmT2_T3_T4_T5_mT6_T7_P12ihipStream_tbENKUlT_T0_E_clISt17integral_constantIbLb0EES12_IbLb1EEEEDaSY_SZ_EUlSY_E_NS1_11comp_targetILNS1_3genE2ELNS1_11target_archE906ELNS1_3gpuE6ELNS1_3repE0EEENS1_30default_config_static_selectorELNS0_4arch9wavefront6targetE0EEEvT1_,"axG",@progbits,_ZN7rocprim17ROCPRIM_400000_NS6detail17trampoline_kernelINS0_14default_configENS1_27scan_by_key_config_selectorIj11FixedVectorIiLj1EEEEZZNS1_16scan_by_key_implILNS1_25lookback_scan_determinismE0ELb0ES3_N6thrust23THRUST_200600_302600_NS6detail15normal_iteratorINSB_10device_ptrIjEEEENSD_INSE_IS6_EEEESI_S6_NSB_4plusIvEENSB_8equal_toIvEES6_EE10hipError_tPvRmT2_T3_T4_T5_mT6_T7_P12ihipStream_tbENKUlT_T0_E_clISt17integral_constantIbLb0EES12_IbLb1EEEEDaSY_SZ_EUlSY_E_NS1_11comp_targetILNS1_3genE2ELNS1_11target_archE906ELNS1_3gpuE6ELNS1_3repE0EEENS1_30default_config_static_selectorELNS0_4arch9wavefront6targetE0EEEvT1_,comdat
	.protected	_ZN7rocprim17ROCPRIM_400000_NS6detail17trampoline_kernelINS0_14default_configENS1_27scan_by_key_config_selectorIj11FixedVectorIiLj1EEEEZZNS1_16scan_by_key_implILNS1_25lookback_scan_determinismE0ELb0ES3_N6thrust23THRUST_200600_302600_NS6detail15normal_iteratorINSB_10device_ptrIjEEEENSD_INSE_IS6_EEEESI_S6_NSB_4plusIvEENSB_8equal_toIvEES6_EE10hipError_tPvRmT2_T3_T4_T5_mT6_T7_P12ihipStream_tbENKUlT_T0_E_clISt17integral_constantIbLb0EES12_IbLb1EEEEDaSY_SZ_EUlSY_E_NS1_11comp_targetILNS1_3genE2ELNS1_11target_archE906ELNS1_3gpuE6ELNS1_3repE0EEENS1_30default_config_static_selectorELNS0_4arch9wavefront6targetE0EEEvT1_ ; -- Begin function _ZN7rocprim17ROCPRIM_400000_NS6detail17trampoline_kernelINS0_14default_configENS1_27scan_by_key_config_selectorIj11FixedVectorIiLj1EEEEZZNS1_16scan_by_key_implILNS1_25lookback_scan_determinismE0ELb0ES3_N6thrust23THRUST_200600_302600_NS6detail15normal_iteratorINSB_10device_ptrIjEEEENSD_INSE_IS6_EEEESI_S6_NSB_4plusIvEENSB_8equal_toIvEES6_EE10hipError_tPvRmT2_T3_T4_T5_mT6_T7_P12ihipStream_tbENKUlT_T0_E_clISt17integral_constantIbLb0EES12_IbLb1EEEEDaSY_SZ_EUlSY_E_NS1_11comp_targetILNS1_3genE2ELNS1_11target_archE906ELNS1_3gpuE6ELNS1_3repE0EEENS1_30default_config_static_selectorELNS0_4arch9wavefront6targetE0EEEvT1_
	.globl	_ZN7rocprim17ROCPRIM_400000_NS6detail17trampoline_kernelINS0_14default_configENS1_27scan_by_key_config_selectorIj11FixedVectorIiLj1EEEEZZNS1_16scan_by_key_implILNS1_25lookback_scan_determinismE0ELb0ES3_N6thrust23THRUST_200600_302600_NS6detail15normal_iteratorINSB_10device_ptrIjEEEENSD_INSE_IS6_EEEESI_S6_NSB_4plusIvEENSB_8equal_toIvEES6_EE10hipError_tPvRmT2_T3_T4_T5_mT6_T7_P12ihipStream_tbENKUlT_T0_E_clISt17integral_constantIbLb0EES12_IbLb1EEEEDaSY_SZ_EUlSY_E_NS1_11comp_targetILNS1_3genE2ELNS1_11target_archE906ELNS1_3gpuE6ELNS1_3repE0EEENS1_30default_config_static_selectorELNS0_4arch9wavefront6targetE0EEEvT1_
	.p2align	8
	.type	_ZN7rocprim17ROCPRIM_400000_NS6detail17trampoline_kernelINS0_14default_configENS1_27scan_by_key_config_selectorIj11FixedVectorIiLj1EEEEZZNS1_16scan_by_key_implILNS1_25lookback_scan_determinismE0ELb0ES3_N6thrust23THRUST_200600_302600_NS6detail15normal_iteratorINSB_10device_ptrIjEEEENSD_INSE_IS6_EEEESI_S6_NSB_4plusIvEENSB_8equal_toIvEES6_EE10hipError_tPvRmT2_T3_T4_T5_mT6_T7_P12ihipStream_tbENKUlT_T0_E_clISt17integral_constantIbLb0EES12_IbLb1EEEEDaSY_SZ_EUlSY_E_NS1_11comp_targetILNS1_3genE2ELNS1_11target_archE906ELNS1_3gpuE6ELNS1_3repE0EEENS1_30default_config_static_selectorELNS0_4arch9wavefront6targetE0EEEvT1_,@function
_ZN7rocprim17ROCPRIM_400000_NS6detail17trampoline_kernelINS0_14default_configENS1_27scan_by_key_config_selectorIj11FixedVectorIiLj1EEEEZZNS1_16scan_by_key_implILNS1_25lookback_scan_determinismE0ELb0ES3_N6thrust23THRUST_200600_302600_NS6detail15normal_iteratorINSB_10device_ptrIjEEEENSD_INSE_IS6_EEEESI_S6_NSB_4plusIvEENSB_8equal_toIvEES6_EE10hipError_tPvRmT2_T3_T4_T5_mT6_T7_P12ihipStream_tbENKUlT_T0_E_clISt17integral_constantIbLb0EES12_IbLb1EEEEDaSY_SZ_EUlSY_E_NS1_11comp_targetILNS1_3genE2ELNS1_11target_archE906ELNS1_3gpuE6ELNS1_3repE0EEENS1_30default_config_static_selectorELNS0_4arch9wavefront6targetE0EEEvT1_: ; @_ZN7rocprim17ROCPRIM_400000_NS6detail17trampoline_kernelINS0_14default_configENS1_27scan_by_key_config_selectorIj11FixedVectorIiLj1EEEEZZNS1_16scan_by_key_implILNS1_25lookback_scan_determinismE0ELb0ES3_N6thrust23THRUST_200600_302600_NS6detail15normal_iteratorINSB_10device_ptrIjEEEENSD_INSE_IS6_EEEESI_S6_NSB_4plusIvEENSB_8equal_toIvEES6_EE10hipError_tPvRmT2_T3_T4_T5_mT6_T7_P12ihipStream_tbENKUlT_T0_E_clISt17integral_constantIbLb0EES12_IbLb1EEEEDaSY_SZ_EUlSY_E_NS1_11comp_targetILNS1_3genE2ELNS1_11target_archE906ELNS1_3gpuE6ELNS1_3repE0EEENS1_30default_config_static_selectorELNS0_4arch9wavefront6targetE0EEEvT1_
; %bb.0:
	.section	.rodata,"a",@progbits
	.p2align	6, 0x0
	.amdhsa_kernel _ZN7rocprim17ROCPRIM_400000_NS6detail17trampoline_kernelINS0_14default_configENS1_27scan_by_key_config_selectorIj11FixedVectorIiLj1EEEEZZNS1_16scan_by_key_implILNS1_25lookback_scan_determinismE0ELb0ES3_N6thrust23THRUST_200600_302600_NS6detail15normal_iteratorINSB_10device_ptrIjEEEENSD_INSE_IS6_EEEESI_S6_NSB_4plusIvEENSB_8equal_toIvEES6_EE10hipError_tPvRmT2_T3_T4_T5_mT6_T7_P12ihipStream_tbENKUlT_T0_E_clISt17integral_constantIbLb0EES12_IbLb1EEEEDaSY_SZ_EUlSY_E_NS1_11comp_targetILNS1_3genE2ELNS1_11target_archE906ELNS1_3gpuE6ELNS1_3repE0EEENS1_30default_config_static_selectorELNS0_4arch9wavefront6targetE0EEEvT1_
		.amdhsa_group_segment_fixed_size 0
		.amdhsa_private_segment_fixed_size 0
		.amdhsa_kernarg_size 112
		.amdhsa_user_sgpr_count 6
		.amdhsa_user_sgpr_private_segment_buffer 1
		.amdhsa_user_sgpr_dispatch_ptr 0
		.amdhsa_user_sgpr_queue_ptr 0
		.amdhsa_user_sgpr_kernarg_segment_ptr 1
		.amdhsa_user_sgpr_dispatch_id 0
		.amdhsa_user_sgpr_flat_scratch_init 0
		.amdhsa_user_sgpr_private_segment_size 0
		.amdhsa_wavefront_size32 1
		.amdhsa_uses_dynamic_stack 0
		.amdhsa_system_sgpr_private_segment_wavefront_offset 0
		.amdhsa_system_sgpr_workgroup_id_x 1
		.amdhsa_system_sgpr_workgroup_id_y 0
		.amdhsa_system_sgpr_workgroup_id_z 0
		.amdhsa_system_sgpr_workgroup_info 0
		.amdhsa_system_vgpr_workitem_id 0
		.amdhsa_next_free_vgpr 1
		.amdhsa_next_free_sgpr 1
		.amdhsa_reserve_vcc 0
		.amdhsa_reserve_flat_scratch 0
		.amdhsa_float_round_mode_32 0
		.amdhsa_float_round_mode_16_64 0
		.amdhsa_float_denorm_mode_32 3
		.amdhsa_float_denorm_mode_16_64 3
		.amdhsa_dx10_clamp 1
		.amdhsa_ieee_mode 1
		.amdhsa_fp16_overflow 0
		.amdhsa_workgroup_processor_mode 1
		.amdhsa_memory_ordered 1
		.amdhsa_forward_progress 1
		.amdhsa_shared_vgpr_count 0
		.amdhsa_exception_fp_ieee_invalid_op 0
		.amdhsa_exception_fp_denorm_src 0
		.amdhsa_exception_fp_ieee_div_zero 0
		.amdhsa_exception_fp_ieee_overflow 0
		.amdhsa_exception_fp_ieee_underflow 0
		.amdhsa_exception_fp_ieee_inexact 0
		.amdhsa_exception_int_div_zero 0
	.end_amdhsa_kernel
	.section	.text._ZN7rocprim17ROCPRIM_400000_NS6detail17trampoline_kernelINS0_14default_configENS1_27scan_by_key_config_selectorIj11FixedVectorIiLj1EEEEZZNS1_16scan_by_key_implILNS1_25lookback_scan_determinismE0ELb0ES3_N6thrust23THRUST_200600_302600_NS6detail15normal_iteratorINSB_10device_ptrIjEEEENSD_INSE_IS6_EEEESI_S6_NSB_4plusIvEENSB_8equal_toIvEES6_EE10hipError_tPvRmT2_T3_T4_T5_mT6_T7_P12ihipStream_tbENKUlT_T0_E_clISt17integral_constantIbLb0EES12_IbLb1EEEEDaSY_SZ_EUlSY_E_NS1_11comp_targetILNS1_3genE2ELNS1_11target_archE906ELNS1_3gpuE6ELNS1_3repE0EEENS1_30default_config_static_selectorELNS0_4arch9wavefront6targetE0EEEvT1_,"axG",@progbits,_ZN7rocprim17ROCPRIM_400000_NS6detail17trampoline_kernelINS0_14default_configENS1_27scan_by_key_config_selectorIj11FixedVectorIiLj1EEEEZZNS1_16scan_by_key_implILNS1_25lookback_scan_determinismE0ELb0ES3_N6thrust23THRUST_200600_302600_NS6detail15normal_iteratorINSB_10device_ptrIjEEEENSD_INSE_IS6_EEEESI_S6_NSB_4plusIvEENSB_8equal_toIvEES6_EE10hipError_tPvRmT2_T3_T4_T5_mT6_T7_P12ihipStream_tbENKUlT_T0_E_clISt17integral_constantIbLb0EES12_IbLb1EEEEDaSY_SZ_EUlSY_E_NS1_11comp_targetILNS1_3genE2ELNS1_11target_archE906ELNS1_3gpuE6ELNS1_3repE0EEENS1_30default_config_static_selectorELNS0_4arch9wavefront6targetE0EEEvT1_,comdat
.Lfunc_end1907:
	.size	_ZN7rocprim17ROCPRIM_400000_NS6detail17trampoline_kernelINS0_14default_configENS1_27scan_by_key_config_selectorIj11FixedVectorIiLj1EEEEZZNS1_16scan_by_key_implILNS1_25lookback_scan_determinismE0ELb0ES3_N6thrust23THRUST_200600_302600_NS6detail15normal_iteratorINSB_10device_ptrIjEEEENSD_INSE_IS6_EEEESI_S6_NSB_4plusIvEENSB_8equal_toIvEES6_EE10hipError_tPvRmT2_T3_T4_T5_mT6_T7_P12ihipStream_tbENKUlT_T0_E_clISt17integral_constantIbLb0EES12_IbLb1EEEEDaSY_SZ_EUlSY_E_NS1_11comp_targetILNS1_3genE2ELNS1_11target_archE906ELNS1_3gpuE6ELNS1_3repE0EEENS1_30default_config_static_selectorELNS0_4arch9wavefront6targetE0EEEvT1_, .Lfunc_end1907-_ZN7rocprim17ROCPRIM_400000_NS6detail17trampoline_kernelINS0_14default_configENS1_27scan_by_key_config_selectorIj11FixedVectorIiLj1EEEEZZNS1_16scan_by_key_implILNS1_25lookback_scan_determinismE0ELb0ES3_N6thrust23THRUST_200600_302600_NS6detail15normal_iteratorINSB_10device_ptrIjEEEENSD_INSE_IS6_EEEESI_S6_NSB_4plusIvEENSB_8equal_toIvEES6_EE10hipError_tPvRmT2_T3_T4_T5_mT6_T7_P12ihipStream_tbENKUlT_T0_E_clISt17integral_constantIbLb0EES12_IbLb1EEEEDaSY_SZ_EUlSY_E_NS1_11comp_targetILNS1_3genE2ELNS1_11target_archE906ELNS1_3gpuE6ELNS1_3repE0EEENS1_30default_config_static_selectorELNS0_4arch9wavefront6targetE0EEEvT1_
                                        ; -- End function
	.set _ZN7rocprim17ROCPRIM_400000_NS6detail17trampoline_kernelINS0_14default_configENS1_27scan_by_key_config_selectorIj11FixedVectorIiLj1EEEEZZNS1_16scan_by_key_implILNS1_25lookback_scan_determinismE0ELb0ES3_N6thrust23THRUST_200600_302600_NS6detail15normal_iteratorINSB_10device_ptrIjEEEENSD_INSE_IS6_EEEESI_S6_NSB_4plusIvEENSB_8equal_toIvEES6_EE10hipError_tPvRmT2_T3_T4_T5_mT6_T7_P12ihipStream_tbENKUlT_T0_E_clISt17integral_constantIbLb0EES12_IbLb1EEEEDaSY_SZ_EUlSY_E_NS1_11comp_targetILNS1_3genE2ELNS1_11target_archE906ELNS1_3gpuE6ELNS1_3repE0EEENS1_30default_config_static_selectorELNS0_4arch9wavefront6targetE0EEEvT1_.num_vgpr, 0
	.set _ZN7rocprim17ROCPRIM_400000_NS6detail17trampoline_kernelINS0_14default_configENS1_27scan_by_key_config_selectorIj11FixedVectorIiLj1EEEEZZNS1_16scan_by_key_implILNS1_25lookback_scan_determinismE0ELb0ES3_N6thrust23THRUST_200600_302600_NS6detail15normal_iteratorINSB_10device_ptrIjEEEENSD_INSE_IS6_EEEESI_S6_NSB_4plusIvEENSB_8equal_toIvEES6_EE10hipError_tPvRmT2_T3_T4_T5_mT6_T7_P12ihipStream_tbENKUlT_T0_E_clISt17integral_constantIbLb0EES12_IbLb1EEEEDaSY_SZ_EUlSY_E_NS1_11comp_targetILNS1_3genE2ELNS1_11target_archE906ELNS1_3gpuE6ELNS1_3repE0EEENS1_30default_config_static_selectorELNS0_4arch9wavefront6targetE0EEEvT1_.num_agpr, 0
	.set _ZN7rocprim17ROCPRIM_400000_NS6detail17trampoline_kernelINS0_14default_configENS1_27scan_by_key_config_selectorIj11FixedVectorIiLj1EEEEZZNS1_16scan_by_key_implILNS1_25lookback_scan_determinismE0ELb0ES3_N6thrust23THRUST_200600_302600_NS6detail15normal_iteratorINSB_10device_ptrIjEEEENSD_INSE_IS6_EEEESI_S6_NSB_4plusIvEENSB_8equal_toIvEES6_EE10hipError_tPvRmT2_T3_T4_T5_mT6_T7_P12ihipStream_tbENKUlT_T0_E_clISt17integral_constantIbLb0EES12_IbLb1EEEEDaSY_SZ_EUlSY_E_NS1_11comp_targetILNS1_3genE2ELNS1_11target_archE906ELNS1_3gpuE6ELNS1_3repE0EEENS1_30default_config_static_selectorELNS0_4arch9wavefront6targetE0EEEvT1_.numbered_sgpr, 0
	.set _ZN7rocprim17ROCPRIM_400000_NS6detail17trampoline_kernelINS0_14default_configENS1_27scan_by_key_config_selectorIj11FixedVectorIiLj1EEEEZZNS1_16scan_by_key_implILNS1_25lookback_scan_determinismE0ELb0ES3_N6thrust23THRUST_200600_302600_NS6detail15normal_iteratorINSB_10device_ptrIjEEEENSD_INSE_IS6_EEEESI_S6_NSB_4plusIvEENSB_8equal_toIvEES6_EE10hipError_tPvRmT2_T3_T4_T5_mT6_T7_P12ihipStream_tbENKUlT_T0_E_clISt17integral_constantIbLb0EES12_IbLb1EEEEDaSY_SZ_EUlSY_E_NS1_11comp_targetILNS1_3genE2ELNS1_11target_archE906ELNS1_3gpuE6ELNS1_3repE0EEENS1_30default_config_static_selectorELNS0_4arch9wavefront6targetE0EEEvT1_.num_named_barrier, 0
	.set _ZN7rocprim17ROCPRIM_400000_NS6detail17trampoline_kernelINS0_14default_configENS1_27scan_by_key_config_selectorIj11FixedVectorIiLj1EEEEZZNS1_16scan_by_key_implILNS1_25lookback_scan_determinismE0ELb0ES3_N6thrust23THRUST_200600_302600_NS6detail15normal_iteratorINSB_10device_ptrIjEEEENSD_INSE_IS6_EEEESI_S6_NSB_4plusIvEENSB_8equal_toIvEES6_EE10hipError_tPvRmT2_T3_T4_T5_mT6_T7_P12ihipStream_tbENKUlT_T0_E_clISt17integral_constantIbLb0EES12_IbLb1EEEEDaSY_SZ_EUlSY_E_NS1_11comp_targetILNS1_3genE2ELNS1_11target_archE906ELNS1_3gpuE6ELNS1_3repE0EEENS1_30default_config_static_selectorELNS0_4arch9wavefront6targetE0EEEvT1_.private_seg_size, 0
	.set _ZN7rocprim17ROCPRIM_400000_NS6detail17trampoline_kernelINS0_14default_configENS1_27scan_by_key_config_selectorIj11FixedVectorIiLj1EEEEZZNS1_16scan_by_key_implILNS1_25lookback_scan_determinismE0ELb0ES3_N6thrust23THRUST_200600_302600_NS6detail15normal_iteratorINSB_10device_ptrIjEEEENSD_INSE_IS6_EEEESI_S6_NSB_4plusIvEENSB_8equal_toIvEES6_EE10hipError_tPvRmT2_T3_T4_T5_mT6_T7_P12ihipStream_tbENKUlT_T0_E_clISt17integral_constantIbLb0EES12_IbLb1EEEEDaSY_SZ_EUlSY_E_NS1_11comp_targetILNS1_3genE2ELNS1_11target_archE906ELNS1_3gpuE6ELNS1_3repE0EEENS1_30default_config_static_selectorELNS0_4arch9wavefront6targetE0EEEvT1_.uses_vcc, 0
	.set _ZN7rocprim17ROCPRIM_400000_NS6detail17trampoline_kernelINS0_14default_configENS1_27scan_by_key_config_selectorIj11FixedVectorIiLj1EEEEZZNS1_16scan_by_key_implILNS1_25lookback_scan_determinismE0ELb0ES3_N6thrust23THRUST_200600_302600_NS6detail15normal_iteratorINSB_10device_ptrIjEEEENSD_INSE_IS6_EEEESI_S6_NSB_4plusIvEENSB_8equal_toIvEES6_EE10hipError_tPvRmT2_T3_T4_T5_mT6_T7_P12ihipStream_tbENKUlT_T0_E_clISt17integral_constantIbLb0EES12_IbLb1EEEEDaSY_SZ_EUlSY_E_NS1_11comp_targetILNS1_3genE2ELNS1_11target_archE906ELNS1_3gpuE6ELNS1_3repE0EEENS1_30default_config_static_selectorELNS0_4arch9wavefront6targetE0EEEvT1_.uses_flat_scratch, 0
	.set _ZN7rocprim17ROCPRIM_400000_NS6detail17trampoline_kernelINS0_14default_configENS1_27scan_by_key_config_selectorIj11FixedVectorIiLj1EEEEZZNS1_16scan_by_key_implILNS1_25lookback_scan_determinismE0ELb0ES3_N6thrust23THRUST_200600_302600_NS6detail15normal_iteratorINSB_10device_ptrIjEEEENSD_INSE_IS6_EEEESI_S6_NSB_4plusIvEENSB_8equal_toIvEES6_EE10hipError_tPvRmT2_T3_T4_T5_mT6_T7_P12ihipStream_tbENKUlT_T0_E_clISt17integral_constantIbLb0EES12_IbLb1EEEEDaSY_SZ_EUlSY_E_NS1_11comp_targetILNS1_3genE2ELNS1_11target_archE906ELNS1_3gpuE6ELNS1_3repE0EEENS1_30default_config_static_selectorELNS0_4arch9wavefront6targetE0EEEvT1_.has_dyn_sized_stack, 0
	.set _ZN7rocprim17ROCPRIM_400000_NS6detail17trampoline_kernelINS0_14default_configENS1_27scan_by_key_config_selectorIj11FixedVectorIiLj1EEEEZZNS1_16scan_by_key_implILNS1_25lookback_scan_determinismE0ELb0ES3_N6thrust23THRUST_200600_302600_NS6detail15normal_iteratorINSB_10device_ptrIjEEEENSD_INSE_IS6_EEEESI_S6_NSB_4plusIvEENSB_8equal_toIvEES6_EE10hipError_tPvRmT2_T3_T4_T5_mT6_T7_P12ihipStream_tbENKUlT_T0_E_clISt17integral_constantIbLb0EES12_IbLb1EEEEDaSY_SZ_EUlSY_E_NS1_11comp_targetILNS1_3genE2ELNS1_11target_archE906ELNS1_3gpuE6ELNS1_3repE0EEENS1_30default_config_static_selectorELNS0_4arch9wavefront6targetE0EEEvT1_.has_recursion, 0
	.set _ZN7rocprim17ROCPRIM_400000_NS6detail17trampoline_kernelINS0_14default_configENS1_27scan_by_key_config_selectorIj11FixedVectorIiLj1EEEEZZNS1_16scan_by_key_implILNS1_25lookback_scan_determinismE0ELb0ES3_N6thrust23THRUST_200600_302600_NS6detail15normal_iteratorINSB_10device_ptrIjEEEENSD_INSE_IS6_EEEESI_S6_NSB_4plusIvEENSB_8equal_toIvEES6_EE10hipError_tPvRmT2_T3_T4_T5_mT6_T7_P12ihipStream_tbENKUlT_T0_E_clISt17integral_constantIbLb0EES12_IbLb1EEEEDaSY_SZ_EUlSY_E_NS1_11comp_targetILNS1_3genE2ELNS1_11target_archE906ELNS1_3gpuE6ELNS1_3repE0EEENS1_30default_config_static_selectorELNS0_4arch9wavefront6targetE0EEEvT1_.has_indirect_call, 0
	.section	.AMDGPU.csdata,"",@progbits
; Kernel info:
; codeLenInByte = 0
; TotalNumSgprs: 0
; NumVgprs: 0
; ScratchSize: 0
; MemoryBound: 0
; FloatMode: 240
; IeeeMode: 1
; LDSByteSize: 0 bytes/workgroup (compile time only)
; SGPRBlocks: 0
; VGPRBlocks: 0
; NumSGPRsForWavesPerEU: 1
; NumVGPRsForWavesPerEU: 1
; Occupancy: 16
; WaveLimiterHint : 0
; COMPUTE_PGM_RSRC2:SCRATCH_EN: 0
; COMPUTE_PGM_RSRC2:USER_SGPR: 6
; COMPUTE_PGM_RSRC2:TRAP_HANDLER: 0
; COMPUTE_PGM_RSRC2:TGID_X_EN: 1
; COMPUTE_PGM_RSRC2:TGID_Y_EN: 0
; COMPUTE_PGM_RSRC2:TGID_Z_EN: 0
; COMPUTE_PGM_RSRC2:TIDIG_COMP_CNT: 0
	.section	.text._ZN7rocprim17ROCPRIM_400000_NS6detail17trampoline_kernelINS0_14default_configENS1_27scan_by_key_config_selectorIj11FixedVectorIiLj1EEEEZZNS1_16scan_by_key_implILNS1_25lookback_scan_determinismE0ELb0ES3_N6thrust23THRUST_200600_302600_NS6detail15normal_iteratorINSB_10device_ptrIjEEEENSD_INSE_IS6_EEEESI_S6_NSB_4plusIvEENSB_8equal_toIvEES6_EE10hipError_tPvRmT2_T3_T4_T5_mT6_T7_P12ihipStream_tbENKUlT_T0_E_clISt17integral_constantIbLb0EES12_IbLb1EEEEDaSY_SZ_EUlSY_E_NS1_11comp_targetILNS1_3genE10ELNS1_11target_archE1200ELNS1_3gpuE4ELNS1_3repE0EEENS1_30default_config_static_selectorELNS0_4arch9wavefront6targetE0EEEvT1_,"axG",@progbits,_ZN7rocprim17ROCPRIM_400000_NS6detail17trampoline_kernelINS0_14default_configENS1_27scan_by_key_config_selectorIj11FixedVectorIiLj1EEEEZZNS1_16scan_by_key_implILNS1_25lookback_scan_determinismE0ELb0ES3_N6thrust23THRUST_200600_302600_NS6detail15normal_iteratorINSB_10device_ptrIjEEEENSD_INSE_IS6_EEEESI_S6_NSB_4plusIvEENSB_8equal_toIvEES6_EE10hipError_tPvRmT2_T3_T4_T5_mT6_T7_P12ihipStream_tbENKUlT_T0_E_clISt17integral_constantIbLb0EES12_IbLb1EEEEDaSY_SZ_EUlSY_E_NS1_11comp_targetILNS1_3genE10ELNS1_11target_archE1200ELNS1_3gpuE4ELNS1_3repE0EEENS1_30default_config_static_selectorELNS0_4arch9wavefront6targetE0EEEvT1_,comdat
	.protected	_ZN7rocprim17ROCPRIM_400000_NS6detail17trampoline_kernelINS0_14default_configENS1_27scan_by_key_config_selectorIj11FixedVectorIiLj1EEEEZZNS1_16scan_by_key_implILNS1_25lookback_scan_determinismE0ELb0ES3_N6thrust23THRUST_200600_302600_NS6detail15normal_iteratorINSB_10device_ptrIjEEEENSD_INSE_IS6_EEEESI_S6_NSB_4plusIvEENSB_8equal_toIvEES6_EE10hipError_tPvRmT2_T3_T4_T5_mT6_T7_P12ihipStream_tbENKUlT_T0_E_clISt17integral_constantIbLb0EES12_IbLb1EEEEDaSY_SZ_EUlSY_E_NS1_11comp_targetILNS1_3genE10ELNS1_11target_archE1200ELNS1_3gpuE4ELNS1_3repE0EEENS1_30default_config_static_selectorELNS0_4arch9wavefront6targetE0EEEvT1_ ; -- Begin function _ZN7rocprim17ROCPRIM_400000_NS6detail17trampoline_kernelINS0_14default_configENS1_27scan_by_key_config_selectorIj11FixedVectorIiLj1EEEEZZNS1_16scan_by_key_implILNS1_25lookback_scan_determinismE0ELb0ES3_N6thrust23THRUST_200600_302600_NS6detail15normal_iteratorINSB_10device_ptrIjEEEENSD_INSE_IS6_EEEESI_S6_NSB_4plusIvEENSB_8equal_toIvEES6_EE10hipError_tPvRmT2_T3_T4_T5_mT6_T7_P12ihipStream_tbENKUlT_T0_E_clISt17integral_constantIbLb0EES12_IbLb1EEEEDaSY_SZ_EUlSY_E_NS1_11comp_targetILNS1_3genE10ELNS1_11target_archE1200ELNS1_3gpuE4ELNS1_3repE0EEENS1_30default_config_static_selectorELNS0_4arch9wavefront6targetE0EEEvT1_
	.globl	_ZN7rocprim17ROCPRIM_400000_NS6detail17trampoline_kernelINS0_14default_configENS1_27scan_by_key_config_selectorIj11FixedVectorIiLj1EEEEZZNS1_16scan_by_key_implILNS1_25lookback_scan_determinismE0ELb0ES3_N6thrust23THRUST_200600_302600_NS6detail15normal_iteratorINSB_10device_ptrIjEEEENSD_INSE_IS6_EEEESI_S6_NSB_4plusIvEENSB_8equal_toIvEES6_EE10hipError_tPvRmT2_T3_T4_T5_mT6_T7_P12ihipStream_tbENKUlT_T0_E_clISt17integral_constantIbLb0EES12_IbLb1EEEEDaSY_SZ_EUlSY_E_NS1_11comp_targetILNS1_3genE10ELNS1_11target_archE1200ELNS1_3gpuE4ELNS1_3repE0EEENS1_30default_config_static_selectorELNS0_4arch9wavefront6targetE0EEEvT1_
	.p2align	8
	.type	_ZN7rocprim17ROCPRIM_400000_NS6detail17trampoline_kernelINS0_14default_configENS1_27scan_by_key_config_selectorIj11FixedVectorIiLj1EEEEZZNS1_16scan_by_key_implILNS1_25lookback_scan_determinismE0ELb0ES3_N6thrust23THRUST_200600_302600_NS6detail15normal_iteratorINSB_10device_ptrIjEEEENSD_INSE_IS6_EEEESI_S6_NSB_4plusIvEENSB_8equal_toIvEES6_EE10hipError_tPvRmT2_T3_T4_T5_mT6_T7_P12ihipStream_tbENKUlT_T0_E_clISt17integral_constantIbLb0EES12_IbLb1EEEEDaSY_SZ_EUlSY_E_NS1_11comp_targetILNS1_3genE10ELNS1_11target_archE1200ELNS1_3gpuE4ELNS1_3repE0EEENS1_30default_config_static_selectorELNS0_4arch9wavefront6targetE0EEEvT1_,@function
_ZN7rocprim17ROCPRIM_400000_NS6detail17trampoline_kernelINS0_14default_configENS1_27scan_by_key_config_selectorIj11FixedVectorIiLj1EEEEZZNS1_16scan_by_key_implILNS1_25lookback_scan_determinismE0ELb0ES3_N6thrust23THRUST_200600_302600_NS6detail15normal_iteratorINSB_10device_ptrIjEEEENSD_INSE_IS6_EEEESI_S6_NSB_4plusIvEENSB_8equal_toIvEES6_EE10hipError_tPvRmT2_T3_T4_T5_mT6_T7_P12ihipStream_tbENKUlT_T0_E_clISt17integral_constantIbLb0EES12_IbLb1EEEEDaSY_SZ_EUlSY_E_NS1_11comp_targetILNS1_3genE10ELNS1_11target_archE1200ELNS1_3gpuE4ELNS1_3repE0EEENS1_30default_config_static_selectorELNS0_4arch9wavefront6targetE0EEEvT1_: ; @_ZN7rocprim17ROCPRIM_400000_NS6detail17trampoline_kernelINS0_14default_configENS1_27scan_by_key_config_selectorIj11FixedVectorIiLj1EEEEZZNS1_16scan_by_key_implILNS1_25lookback_scan_determinismE0ELb0ES3_N6thrust23THRUST_200600_302600_NS6detail15normal_iteratorINSB_10device_ptrIjEEEENSD_INSE_IS6_EEEESI_S6_NSB_4plusIvEENSB_8equal_toIvEES6_EE10hipError_tPvRmT2_T3_T4_T5_mT6_T7_P12ihipStream_tbENKUlT_T0_E_clISt17integral_constantIbLb0EES12_IbLb1EEEEDaSY_SZ_EUlSY_E_NS1_11comp_targetILNS1_3genE10ELNS1_11target_archE1200ELNS1_3gpuE4ELNS1_3repE0EEENS1_30default_config_static_selectorELNS0_4arch9wavefront6targetE0EEEvT1_
; %bb.0:
	.section	.rodata,"a",@progbits
	.p2align	6, 0x0
	.amdhsa_kernel _ZN7rocprim17ROCPRIM_400000_NS6detail17trampoline_kernelINS0_14default_configENS1_27scan_by_key_config_selectorIj11FixedVectorIiLj1EEEEZZNS1_16scan_by_key_implILNS1_25lookback_scan_determinismE0ELb0ES3_N6thrust23THRUST_200600_302600_NS6detail15normal_iteratorINSB_10device_ptrIjEEEENSD_INSE_IS6_EEEESI_S6_NSB_4plusIvEENSB_8equal_toIvEES6_EE10hipError_tPvRmT2_T3_T4_T5_mT6_T7_P12ihipStream_tbENKUlT_T0_E_clISt17integral_constantIbLb0EES12_IbLb1EEEEDaSY_SZ_EUlSY_E_NS1_11comp_targetILNS1_3genE10ELNS1_11target_archE1200ELNS1_3gpuE4ELNS1_3repE0EEENS1_30default_config_static_selectorELNS0_4arch9wavefront6targetE0EEEvT1_
		.amdhsa_group_segment_fixed_size 0
		.amdhsa_private_segment_fixed_size 0
		.amdhsa_kernarg_size 112
		.amdhsa_user_sgpr_count 6
		.amdhsa_user_sgpr_private_segment_buffer 1
		.amdhsa_user_sgpr_dispatch_ptr 0
		.amdhsa_user_sgpr_queue_ptr 0
		.amdhsa_user_sgpr_kernarg_segment_ptr 1
		.amdhsa_user_sgpr_dispatch_id 0
		.amdhsa_user_sgpr_flat_scratch_init 0
		.amdhsa_user_sgpr_private_segment_size 0
		.amdhsa_wavefront_size32 1
		.amdhsa_uses_dynamic_stack 0
		.amdhsa_system_sgpr_private_segment_wavefront_offset 0
		.amdhsa_system_sgpr_workgroup_id_x 1
		.amdhsa_system_sgpr_workgroup_id_y 0
		.amdhsa_system_sgpr_workgroup_id_z 0
		.amdhsa_system_sgpr_workgroup_info 0
		.amdhsa_system_vgpr_workitem_id 0
		.amdhsa_next_free_vgpr 1
		.amdhsa_next_free_sgpr 1
		.amdhsa_reserve_vcc 0
		.amdhsa_reserve_flat_scratch 0
		.amdhsa_float_round_mode_32 0
		.amdhsa_float_round_mode_16_64 0
		.amdhsa_float_denorm_mode_32 3
		.amdhsa_float_denorm_mode_16_64 3
		.amdhsa_dx10_clamp 1
		.amdhsa_ieee_mode 1
		.amdhsa_fp16_overflow 0
		.amdhsa_workgroup_processor_mode 1
		.amdhsa_memory_ordered 1
		.amdhsa_forward_progress 1
		.amdhsa_shared_vgpr_count 0
		.amdhsa_exception_fp_ieee_invalid_op 0
		.amdhsa_exception_fp_denorm_src 0
		.amdhsa_exception_fp_ieee_div_zero 0
		.amdhsa_exception_fp_ieee_overflow 0
		.amdhsa_exception_fp_ieee_underflow 0
		.amdhsa_exception_fp_ieee_inexact 0
		.amdhsa_exception_int_div_zero 0
	.end_amdhsa_kernel
	.section	.text._ZN7rocprim17ROCPRIM_400000_NS6detail17trampoline_kernelINS0_14default_configENS1_27scan_by_key_config_selectorIj11FixedVectorIiLj1EEEEZZNS1_16scan_by_key_implILNS1_25lookback_scan_determinismE0ELb0ES3_N6thrust23THRUST_200600_302600_NS6detail15normal_iteratorINSB_10device_ptrIjEEEENSD_INSE_IS6_EEEESI_S6_NSB_4plusIvEENSB_8equal_toIvEES6_EE10hipError_tPvRmT2_T3_T4_T5_mT6_T7_P12ihipStream_tbENKUlT_T0_E_clISt17integral_constantIbLb0EES12_IbLb1EEEEDaSY_SZ_EUlSY_E_NS1_11comp_targetILNS1_3genE10ELNS1_11target_archE1200ELNS1_3gpuE4ELNS1_3repE0EEENS1_30default_config_static_selectorELNS0_4arch9wavefront6targetE0EEEvT1_,"axG",@progbits,_ZN7rocprim17ROCPRIM_400000_NS6detail17trampoline_kernelINS0_14default_configENS1_27scan_by_key_config_selectorIj11FixedVectorIiLj1EEEEZZNS1_16scan_by_key_implILNS1_25lookback_scan_determinismE0ELb0ES3_N6thrust23THRUST_200600_302600_NS6detail15normal_iteratorINSB_10device_ptrIjEEEENSD_INSE_IS6_EEEESI_S6_NSB_4plusIvEENSB_8equal_toIvEES6_EE10hipError_tPvRmT2_T3_T4_T5_mT6_T7_P12ihipStream_tbENKUlT_T0_E_clISt17integral_constantIbLb0EES12_IbLb1EEEEDaSY_SZ_EUlSY_E_NS1_11comp_targetILNS1_3genE10ELNS1_11target_archE1200ELNS1_3gpuE4ELNS1_3repE0EEENS1_30default_config_static_selectorELNS0_4arch9wavefront6targetE0EEEvT1_,comdat
.Lfunc_end1908:
	.size	_ZN7rocprim17ROCPRIM_400000_NS6detail17trampoline_kernelINS0_14default_configENS1_27scan_by_key_config_selectorIj11FixedVectorIiLj1EEEEZZNS1_16scan_by_key_implILNS1_25lookback_scan_determinismE0ELb0ES3_N6thrust23THRUST_200600_302600_NS6detail15normal_iteratorINSB_10device_ptrIjEEEENSD_INSE_IS6_EEEESI_S6_NSB_4plusIvEENSB_8equal_toIvEES6_EE10hipError_tPvRmT2_T3_T4_T5_mT6_T7_P12ihipStream_tbENKUlT_T0_E_clISt17integral_constantIbLb0EES12_IbLb1EEEEDaSY_SZ_EUlSY_E_NS1_11comp_targetILNS1_3genE10ELNS1_11target_archE1200ELNS1_3gpuE4ELNS1_3repE0EEENS1_30default_config_static_selectorELNS0_4arch9wavefront6targetE0EEEvT1_, .Lfunc_end1908-_ZN7rocprim17ROCPRIM_400000_NS6detail17trampoline_kernelINS0_14default_configENS1_27scan_by_key_config_selectorIj11FixedVectorIiLj1EEEEZZNS1_16scan_by_key_implILNS1_25lookback_scan_determinismE0ELb0ES3_N6thrust23THRUST_200600_302600_NS6detail15normal_iteratorINSB_10device_ptrIjEEEENSD_INSE_IS6_EEEESI_S6_NSB_4plusIvEENSB_8equal_toIvEES6_EE10hipError_tPvRmT2_T3_T4_T5_mT6_T7_P12ihipStream_tbENKUlT_T0_E_clISt17integral_constantIbLb0EES12_IbLb1EEEEDaSY_SZ_EUlSY_E_NS1_11comp_targetILNS1_3genE10ELNS1_11target_archE1200ELNS1_3gpuE4ELNS1_3repE0EEENS1_30default_config_static_selectorELNS0_4arch9wavefront6targetE0EEEvT1_
                                        ; -- End function
	.set _ZN7rocprim17ROCPRIM_400000_NS6detail17trampoline_kernelINS0_14default_configENS1_27scan_by_key_config_selectorIj11FixedVectorIiLj1EEEEZZNS1_16scan_by_key_implILNS1_25lookback_scan_determinismE0ELb0ES3_N6thrust23THRUST_200600_302600_NS6detail15normal_iteratorINSB_10device_ptrIjEEEENSD_INSE_IS6_EEEESI_S6_NSB_4plusIvEENSB_8equal_toIvEES6_EE10hipError_tPvRmT2_T3_T4_T5_mT6_T7_P12ihipStream_tbENKUlT_T0_E_clISt17integral_constantIbLb0EES12_IbLb1EEEEDaSY_SZ_EUlSY_E_NS1_11comp_targetILNS1_3genE10ELNS1_11target_archE1200ELNS1_3gpuE4ELNS1_3repE0EEENS1_30default_config_static_selectorELNS0_4arch9wavefront6targetE0EEEvT1_.num_vgpr, 0
	.set _ZN7rocprim17ROCPRIM_400000_NS6detail17trampoline_kernelINS0_14default_configENS1_27scan_by_key_config_selectorIj11FixedVectorIiLj1EEEEZZNS1_16scan_by_key_implILNS1_25lookback_scan_determinismE0ELb0ES3_N6thrust23THRUST_200600_302600_NS6detail15normal_iteratorINSB_10device_ptrIjEEEENSD_INSE_IS6_EEEESI_S6_NSB_4plusIvEENSB_8equal_toIvEES6_EE10hipError_tPvRmT2_T3_T4_T5_mT6_T7_P12ihipStream_tbENKUlT_T0_E_clISt17integral_constantIbLb0EES12_IbLb1EEEEDaSY_SZ_EUlSY_E_NS1_11comp_targetILNS1_3genE10ELNS1_11target_archE1200ELNS1_3gpuE4ELNS1_3repE0EEENS1_30default_config_static_selectorELNS0_4arch9wavefront6targetE0EEEvT1_.num_agpr, 0
	.set _ZN7rocprim17ROCPRIM_400000_NS6detail17trampoline_kernelINS0_14default_configENS1_27scan_by_key_config_selectorIj11FixedVectorIiLj1EEEEZZNS1_16scan_by_key_implILNS1_25lookback_scan_determinismE0ELb0ES3_N6thrust23THRUST_200600_302600_NS6detail15normal_iteratorINSB_10device_ptrIjEEEENSD_INSE_IS6_EEEESI_S6_NSB_4plusIvEENSB_8equal_toIvEES6_EE10hipError_tPvRmT2_T3_T4_T5_mT6_T7_P12ihipStream_tbENKUlT_T0_E_clISt17integral_constantIbLb0EES12_IbLb1EEEEDaSY_SZ_EUlSY_E_NS1_11comp_targetILNS1_3genE10ELNS1_11target_archE1200ELNS1_3gpuE4ELNS1_3repE0EEENS1_30default_config_static_selectorELNS0_4arch9wavefront6targetE0EEEvT1_.numbered_sgpr, 0
	.set _ZN7rocprim17ROCPRIM_400000_NS6detail17trampoline_kernelINS0_14default_configENS1_27scan_by_key_config_selectorIj11FixedVectorIiLj1EEEEZZNS1_16scan_by_key_implILNS1_25lookback_scan_determinismE0ELb0ES3_N6thrust23THRUST_200600_302600_NS6detail15normal_iteratorINSB_10device_ptrIjEEEENSD_INSE_IS6_EEEESI_S6_NSB_4plusIvEENSB_8equal_toIvEES6_EE10hipError_tPvRmT2_T3_T4_T5_mT6_T7_P12ihipStream_tbENKUlT_T0_E_clISt17integral_constantIbLb0EES12_IbLb1EEEEDaSY_SZ_EUlSY_E_NS1_11comp_targetILNS1_3genE10ELNS1_11target_archE1200ELNS1_3gpuE4ELNS1_3repE0EEENS1_30default_config_static_selectorELNS0_4arch9wavefront6targetE0EEEvT1_.num_named_barrier, 0
	.set _ZN7rocprim17ROCPRIM_400000_NS6detail17trampoline_kernelINS0_14default_configENS1_27scan_by_key_config_selectorIj11FixedVectorIiLj1EEEEZZNS1_16scan_by_key_implILNS1_25lookback_scan_determinismE0ELb0ES3_N6thrust23THRUST_200600_302600_NS6detail15normal_iteratorINSB_10device_ptrIjEEEENSD_INSE_IS6_EEEESI_S6_NSB_4plusIvEENSB_8equal_toIvEES6_EE10hipError_tPvRmT2_T3_T4_T5_mT6_T7_P12ihipStream_tbENKUlT_T0_E_clISt17integral_constantIbLb0EES12_IbLb1EEEEDaSY_SZ_EUlSY_E_NS1_11comp_targetILNS1_3genE10ELNS1_11target_archE1200ELNS1_3gpuE4ELNS1_3repE0EEENS1_30default_config_static_selectorELNS0_4arch9wavefront6targetE0EEEvT1_.private_seg_size, 0
	.set _ZN7rocprim17ROCPRIM_400000_NS6detail17trampoline_kernelINS0_14default_configENS1_27scan_by_key_config_selectorIj11FixedVectorIiLj1EEEEZZNS1_16scan_by_key_implILNS1_25lookback_scan_determinismE0ELb0ES3_N6thrust23THRUST_200600_302600_NS6detail15normal_iteratorINSB_10device_ptrIjEEEENSD_INSE_IS6_EEEESI_S6_NSB_4plusIvEENSB_8equal_toIvEES6_EE10hipError_tPvRmT2_T3_T4_T5_mT6_T7_P12ihipStream_tbENKUlT_T0_E_clISt17integral_constantIbLb0EES12_IbLb1EEEEDaSY_SZ_EUlSY_E_NS1_11comp_targetILNS1_3genE10ELNS1_11target_archE1200ELNS1_3gpuE4ELNS1_3repE0EEENS1_30default_config_static_selectorELNS0_4arch9wavefront6targetE0EEEvT1_.uses_vcc, 0
	.set _ZN7rocprim17ROCPRIM_400000_NS6detail17trampoline_kernelINS0_14default_configENS1_27scan_by_key_config_selectorIj11FixedVectorIiLj1EEEEZZNS1_16scan_by_key_implILNS1_25lookback_scan_determinismE0ELb0ES3_N6thrust23THRUST_200600_302600_NS6detail15normal_iteratorINSB_10device_ptrIjEEEENSD_INSE_IS6_EEEESI_S6_NSB_4plusIvEENSB_8equal_toIvEES6_EE10hipError_tPvRmT2_T3_T4_T5_mT6_T7_P12ihipStream_tbENKUlT_T0_E_clISt17integral_constantIbLb0EES12_IbLb1EEEEDaSY_SZ_EUlSY_E_NS1_11comp_targetILNS1_3genE10ELNS1_11target_archE1200ELNS1_3gpuE4ELNS1_3repE0EEENS1_30default_config_static_selectorELNS0_4arch9wavefront6targetE0EEEvT1_.uses_flat_scratch, 0
	.set _ZN7rocprim17ROCPRIM_400000_NS6detail17trampoline_kernelINS0_14default_configENS1_27scan_by_key_config_selectorIj11FixedVectorIiLj1EEEEZZNS1_16scan_by_key_implILNS1_25lookback_scan_determinismE0ELb0ES3_N6thrust23THRUST_200600_302600_NS6detail15normal_iteratorINSB_10device_ptrIjEEEENSD_INSE_IS6_EEEESI_S6_NSB_4plusIvEENSB_8equal_toIvEES6_EE10hipError_tPvRmT2_T3_T4_T5_mT6_T7_P12ihipStream_tbENKUlT_T0_E_clISt17integral_constantIbLb0EES12_IbLb1EEEEDaSY_SZ_EUlSY_E_NS1_11comp_targetILNS1_3genE10ELNS1_11target_archE1200ELNS1_3gpuE4ELNS1_3repE0EEENS1_30default_config_static_selectorELNS0_4arch9wavefront6targetE0EEEvT1_.has_dyn_sized_stack, 0
	.set _ZN7rocprim17ROCPRIM_400000_NS6detail17trampoline_kernelINS0_14default_configENS1_27scan_by_key_config_selectorIj11FixedVectorIiLj1EEEEZZNS1_16scan_by_key_implILNS1_25lookback_scan_determinismE0ELb0ES3_N6thrust23THRUST_200600_302600_NS6detail15normal_iteratorINSB_10device_ptrIjEEEENSD_INSE_IS6_EEEESI_S6_NSB_4plusIvEENSB_8equal_toIvEES6_EE10hipError_tPvRmT2_T3_T4_T5_mT6_T7_P12ihipStream_tbENKUlT_T0_E_clISt17integral_constantIbLb0EES12_IbLb1EEEEDaSY_SZ_EUlSY_E_NS1_11comp_targetILNS1_3genE10ELNS1_11target_archE1200ELNS1_3gpuE4ELNS1_3repE0EEENS1_30default_config_static_selectorELNS0_4arch9wavefront6targetE0EEEvT1_.has_recursion, 0
	.set _ZN7rocprim17ROCPRIM_400000_NS6detail17trampoline_kernelINS0_14default_configENS1_27scan_by_key_config_selectorIj11FixedVectorIiLj1EEEEZZNS1_16scan_by_key_implILNS1_25lookback_scan_determinismE0ELb0ES3_N6thrust23THRUST_200600_302600_NS6detail15normal_iteratorINSB_10device_ptrIjEEEENSD_INSE_IS6_EEEESI_S6_NSB_4plusIvEENSB_8equal_toIvEES6_EE10hipError_tPvRmT2_T3_T4_T5_mT6_T7_P12ihipStream_tbENKUlT_T0_E_clISt17integral_constantIbLb0EES12_IbLb1EEEEDaSY_SZ_EUlSY_E_NS1_11comp_targetILNS1_3genE10ELNS1_11target_archE1200ELNS1_3gpuE4ELNS1_3repE0EEENS1_30default_config_static_selectorELNS0_4arch9wavefront6targetE0EEEvT1_.has_indirect_call, 0
	.section	.AMDGPU.csdata,"",@progbits
; Kernel info:
; codeLenInByte = 0
; TotalNumSgprs: 0
; NumVgprs: 0
; ScratchSize: 0
; MemoryBound: 0
; FloatMode: 240
; IeeeMode: 1
; LDSByteSize: 0 bytes/workgroup (compile time only)
; SGPRBlocks: 0
; VGPRBlocks: 0
; NumSGPRsForWavesPerEU: 1
; NumVGPRsForWavesPerEU: 1
; Occupancy: 16
; WaveLimiterHint : 0
; COMPUTE_PGM_RSRC2:SCRATCH_EN: 0
; COMPUTE_PGM_RSRC2:USER_SGPR: 6
; COMPUTE_PGM_RSRC2:TRAP_HANDLER: 0
; COMPUTE_PGM_RSRC2:TGID_X_EN: 1
; COMPUTE_PGM_RSRC2:TGID_Y_EN: 0
; COMPUTE_PGM_RSRC2:TGID_Z_EN: 0
; COMPUTE_PGM_RSRC2:TIDIG_COMP_CNT: 0
	.section	.text._ZN7rocprim17ROCPRIM_400000_NS6detail17trampoline_kernelINS0_14default_configENS1_27scan_by_key_config_selectorIj11FixedVectorIiLj1EEEEZZNS1_16scan_by_key_implILNS1_25lookback_scan_determinismE0ELb0ES3_N6thrust23THRUST_200600_302600_NS6detail15normal_iteratorINSB_10device_ptrIjEEEENSD_INSE_IS6_EEEESI_S6_NSB_4plusIvEENSB_8equal_toIvEES6_EE10hipError_tPvRmT2_T3_T4_T5_mT6_T7_P12ihipStream_tbENKUlT_T0_E_clISt17integral_constantIbLb0EES12_IbLb1EEEEDaSY_SZ_EUlSY_E_NS1_11comp_targetILNS1_3genE9ELNS1_11target_archE1100ELNS1_3gpuE3ELNS1_3repE0EEENS1_30default_config_static_selectorELNS0_4arch9wavefront6targetE0EEEvT1_,"axG",@progbits,_ZN7rocprim17ROCPRIM_400000_NS6detail17trampoline_kernelINS0_14default_configENS1_27scan_by_key_config_selectorIj11FixedVectorIiLj1EEEEZZNS1_16scan_by_key_implILNS1_25lookback_scan_determinismE0ELb0ES3_N6thrust23THRUST_200600_302600_NS6detail15normal_iteratorINSB_10device_ptrIjEEEENSD_INSE_IS6_EEEESI_S6_NSB_4plusIvEENSB_8equal_toIvEES6_EE10hipError_tPvRmT2_T3_T4_T5_mT6_T7_P12ihipStream_tbENKUlT_T0_E_clISt17integral_constantIbLb0EES12_IbLb1EEEEDaSY_SZ_EUlSY_E_NS1_11comp_targetILNS1_3genE9ELNS1_11target_archE1100ELNS1_3gpuE3ELNS1_3repE0EEENS1_30default_config_static_selectorELNS0_4arch9wavefront6targetE0EEEvT1_,comdat
	.protected	_ZN7rocprim17ROCPRIM_400000_NS6detail17trampoline_kernelINS0_14default_configENS1_27scan_by_key_config_selectorIj11FixedVectorIiLj1EEEEZZNS1_16scan_by_key_implILNS1_25lookback_scan_determinismE0ELb0ES3_N6thrust23THRUST_200600_302600_NS6detail15normal_iteratorINSB_10device_ptrIjEEEENSD_INSE_IS6_EEEESI_S6_NSB_4plusIvEENSB_8equal_toIvEES6_EE10hipError_tPvRmT2_T3_T4_T5_mT6_T7_P12ihipStream_tbENKUlT_T0_E_clISt17integral_constantIbLb0EES12_IbLb1EEEEDaSY_SZ_EUlSY_E_NS1_11comp_targetILNS1_3genE9ELNS1_11target_archE1100ELNS1_3gpuE3ELNS1_3repE0EEENS1_30default_config_static_selectorELNS0_4arch9wavefront6targetE0EEEvT1_ ; -- Begin function _ZN7rocprim17ROCPRIM_400000_NS6detail17trampoline_kernelINS0_14default_configENS1_27scan_by_key_config_selectorIj11FixedVectorIiLj1EEEEZZNS1_16scan_by_key_implILNS1_25lookback_scan_determinismE0ELb0ES3_N6thrust23THRUST_200600_302600_NS6detail15normal_iteratorINSB_10device_ptrIjEEEENSD_INSE_IS6_EEEESI_S6_NSB_4plusIvEENSB_8equal_toIvEES6_EE10hipError_tPvRmT2_T3_T4_T5_mT6_T7_P12ihipStream_tbENKUlT_T0_E_clISt17integral_constantIbLb0EES12_IbLb1EEEEDaSY_SZ_EUlSY_E_NS1_11comp_targetILNS1_3genE9ELNS1_11target_archE1100ELNS1_3gpuE3ELNS1_3repE0EEENS1_30default_config_static_selectorELNS0_4arch9wavefront6targetE0EEEvT1_
	.globl	_ZN7rocprim17ROCPRIM_400000_NS6detail17trampoline_kernelINS0_14default_configENS1_27scan_by_key_config_selectorIj11FixedVectorIiLj1EEEEZZNS1_16scan_by_key_implILNS1_25lookback_scan_determinismE0ELb0ES3_N6thrust23THRUST_200600_302600_NS6detail15normal_iteratorINSB_10device_ptrIjEEEENSD_INSE_IS6_EEEESI_S6_NSB_4plusIvEENSB_8equal_toIvEES6_EE10hipError_tPvRmT2_T3_T4_T5_mT6_T7_P12ihipStream_tbENKUlT_T0_E_clISt17integral_constantIbLb0EES12_IbLb1EEEEDaSY_SZ_EUlSY_E_NS1_11comp_targetILNS1_3genE9ELNS1_11target_archE1100ELNS1_3gpuE3ELNS1_3repE0EEENS1_30default_config_static_selectorELNS0_4arch9wavefront6targetE0EEEvT1_
	.p2align	8
	.type	_ZN7rocprim17ROCPRIM_400000_NS6detail17trampoline_kernelINS0_14default_configENS1_27scan_by_key_config_selectorIj11FixedVectorIiLj1EEEEZZNS1_16scan_by_key_implILNS1_25lookback_scan_determinismE0ELb0ES3_N6thrust23THRUST_200600_302600_NS6detail15normal_iteratorINSB_10device_ptrIjEEEENSD_INSE_IS6_EEEESI_S6_NSB_4plusIvEENSB_8equal_toIvEES6_EE10hipError_tPvRmT2_T3_T4_T5_mT6_T7_P12ihipStream_tbENKUlT_T0_E_clISt17integral_constantIbLb0EES12_IbLb1EEEEDaSY_SZ_EUlSY_E_NS1_11comp_targetILNS1_3genE9ELNS1_11target_archE1100ELNS1_3gpuE3ELNS1_3repE0EEENS1_30default_config_static_selectorELNS0_4arch9wavefront6targetE0EEEvT1_,@function
_ZN7rocprim17ROCPRIM_400000_NS6detail17trampoline_kernelINS0_14default_configENS1_27scan_by_key_config_selectorIj11FixedVectorIiLj1EEEEZZNS1_16scan_by_key_implILNS1_25lookback_scan_determinismE0ELb0ES3_N6thrust23THRUST_200600_302600_NS6detail15normal_iteratorINSB_10device_ptrIjEEEENSD_INSE_IS6_EEEESI_S6_NSB_4plusIvEENSB_8equal_toIvEES6_EE10hipError_tPvRmT2_T3_T4_T5_mT6_T7_P12ihipStream_tbENKUlT_T0_E_clISt17integral_constantIbLb0EES12_IbLb1EEEEDaSY_SZ_EUlSY_E_NS1_11comp_targetILNS1_3genE9ELNS1_11target_archE1100ELNS1_3gpuE3ELNS1_3repE0EEENS1_30default_config_static_selectorELNS0_4arch9wavefront6targetE0EEEvT1_: ; @_ZN7rocprim17ROCPRIM_400000_NS6detail17trampoline_kernelINS0_14default_configENS1_27scan_by_key_config_selectorIj11FixedVectorIiLj1EEEEZZNS1_16scan_by_key_implILNS1_25lookback_scan_determinismE0ELb0ES3_N6thrust23THRUST_200600_302600_NS6detail15normal_iteratorINSB_10device_ptrIjEEEENSD_INSE_IS6_EEEESI_S6_NSB_4plusIvEENSB_8equal_toIvEES6_EE10hipError_tPvRmT2_T3_T4_T5_mT6_T7_P12ihipStream_tbENKUlT_T0_E_clISt17integral_constantIbLb0EES12_IbLb1EEEEDaSY_SZ_EUlSY_E_NS1_11comp_targetILNS1_3genE9ELNS1_11target_archE1100ELNS1_3gpuE3ELNS1_3repE0EEENS1_30default_config_static_selectorELNS0_4arch9wavefront6targetE0EEEvT1_
; %bb.0:
	.section	.rodata,"a",@progbits
	.p2align	6, 0x0
	.amdhsa_kernel _ZN7rocprim17ROCPRIM_400000_NS6detail17trampoline_kernelINS0_14default_configENS1_27scan_by_key_config_selectorIj11FixedVectorIiLj1EEEEZZNS1_16scan_by_key_implILNS1_25lookback_scan_determinismE0ELb0ES3_N6thrust23THRUST_200600_302600_NS6detail15normal_iteratorINSB_10device_ptrIjEEEENSD_INSE_IS6_EEEESI_S6_NSB_4plusIvEENSB_8equal_toIvEES6_EE10hipError_tPvRmT2_T3_T4_T5_mT6_T7_P12ihipStream_tbENKUlT_T0_E_clISt17integral_constantIbLb0EES12_IbLb1EEEEDaSY_SZ_EUlSY_E_NS1_11comp_targetILNS1_3genE9ELNS1_11target_archE1100ELNS1_3gpuE3ELNS1_3repE0EEENS1_30default_config_static_selectorELNS0_4arch9wavefront6targetE0EEEvT1_
		.amdhsa_group_segment_fixed_size 0
		.amdhsa_private_segment_fixed_size 0
		.amdhsa_kernarg_size 112
		.amdhsa_user_sgpr_count 6
		.amdhsa_user_sgpr_private_segment_buffer 1
		.amdhsa_user_sgpr_dispatch_ptr 0
		.amdhsa_user_sgpr_queue_ptr 0
		.amdhsa_user_sgpr_kernarg_segment_ptr 1
		.amdhsa_user_sgpr_dispatch_id 0
		.amdhsa_user_sgpr_flat_scratch_init 0
		.amdhsa_user_sgpr_private_segment_size 0
		.amdhsa_wavefront_size32 1
		.amdhsa_uses_dynamic_stack 0
		.amdhsa_system_sgpr_private_segment_wavefront_offset 0
		.amdhsa_system_sgpr_workgroup_id_x 1
		.amdhsa_system_sgpr_workgroup_id_y 0
		.amdhsa_system_sgpr_workgroup_id_z 0
		.amdhsa_system_sgpr_workgroup_info 0
		.amdhsa_system_vgpr_workitem_id 0
		.amdhsa_next_free_vgpr 1
		.amdhsa_next_free_sgpr 1
		.amdhsa_reserve_vcc 0
		.amdhsa_reserve_flat_scratch 0
		.amdhsa_float_round_mode_32 0
		.amdhsa_float_round_mode_16_64 0
		.amdhsa_float_denorm_mode_32 3
		.amdhsa_float_denorm_mode_16_64 3
		.amdhsa_dx10_clamp 1
		.amdhsa_ieee_mode 1
		.amdhsa_fp16_overflow 0
		.amdhsa_workgroup_processor_mode 1
		.amdhsa_memory_ordered 1
		.amdhsa_forward_progress 1
		.amdhsa_shared_vgpr_count 0
		.amdhsa_exception_fp_ieee_invalid_op 0
		.amdhsa_exception_fp_denorm_src 0
		.amdhsa_exception_fp_ieee_div_zero 0
		.amdhsa_exception_fp_ieee_overflow 0
		.amdhsa_exception_fp_ieee_underflow 0
		.amdhsa_exception_fp_ieee_inexact 0
		.amdhsa_exception_int_div_zero 0
	.end_amdhsa_kernel
	.section	.text._ZN7rocprim17ROCPRIM_400000_NS6detail17trampoline_kernelINS0_14default_configENS1_27scan_by_key_config_selectorIj11FixedVectorIiLj1EEEEZZNS1_16scan_by_key_implILNS1_25lookback_scan_determinismE0ELb0ES3_N6thrust23THRUST_200600_302600_NS6detail15normal_iteratorINSB_10device_ptrIjEEEENSD_INSE_IS6_EEEESI_S6_NSB_4plusIvEENSB_8equal_toIvEES6_EE10hipError_tPvRmT2_T3_T4_T5_mT6_T7_P12ihipStream_tbENKUlT_T0_E_clISt17integral_constantIbLb0EES12_IbLb1EEEEDaSY_SZ_EUlSY_E_NS1_11comp_targetILNS1_3genE9ELNS1_11target_archE1100ELNS1_3gpuE3ELNS1_3repE0EEENS1_30default_config_static_selectorELNS0_4arch9wavefront6targetE0EEEvT1_,"axG",@progbits,_ZN7rocprim17ROCPRIM_400000_NS6detail17trampoline_kernelINS0_14default_configENS1_27scan_by_key_config_selectorIj11FixedVectorIiLj1EEEEZZNS1_16scan_by_key_implILNS1_25lookback_scan_determinismE0ELb0ES3_N6thrust23THRUST_200600_302600_NS6detail15normal_iteratorINSB_10device_ptrIjEEEENSD_INSE_IS6_EEEESI_S6_NSB_4plusIvEENSB_8equal_toIvEES6_EE10hipError_tPvRmT2_T3_T4_T5_mT6_T7_P12ihipStream_tbENKUlT_T0_E_clISt17integral_constantIbLb0EES12_IbLb1EEEEDaSY_SZ_EUlSY_E_NS1_11comp_targetILNS1_3genE9ELNS1_11target_archE1100ELNS1_3gpuE3ELNS1_3repE0EEENS1_30default_config_static_selectorELNS0_4arch9wavefront6targetE0EEEvT1_,comdat
.Lfunc_end1909:
	.size	_ZN7rocprim17ROCPRIM_400000_NS6detail17trampoline_kernelINS0_14default_configENS1_27scan_by_key_config_selectorIj11FixedVectorIiLj1EEEEZZNS1_16scan_by_key_implILNS1_25lookback_scan_determinismE0ELb0ES3_N6thrust23THRUST_200600_302600_NS6detail15normal_iteratorINSB_10device_ptrIjEEEENSD_INSE_IS6_EEEESI_S6_NSB_4plusIvEENSB_8equal_toIvEES6_EE10hipError_tPvRmT2_T3_T4_T5_mT6_T7_P12ihipStream_tbENKUlT_T0_E_clISt17integral_constantIbLb0EES12_IbLb1EEEEDaSY_SZ_EUlSY_E_NS1_11comp_targetILNS1_3genE9ELNS1_11target_archE1100ELNS1_3gpuE3ELNS1_3repE0EEENS1_30default_config_static_selectorELNS0_4arch9wavefront6targetE0EEEvT1_, .Lfunc_end1909-_ZN7rocprim17ROCPRIM_400000_NS6detail17trampoline_kernelINS0_14default_configENS1_27scan_by_key_config_selectorIj11FixedVectorIiLj1EEEEZZNS1_16scan_by_key_implILNS1_25lookback_scan_determinismE0ELb0ES3_N6thrust23THRUST_200600_302600_NS6detail15normal_iteratorINSB_10device_ptrIjEEEENSD_INSE_IS6_EEEESI_S6_NSB_4plusIvEENSB_8equal_toIvEES6_EE10hipError_tPvRmT2_T3_T4_T5_mT6_T7_P12ihipStream_tbENKUlT_T0_E_clISt17integral_constantIbLb0EES12_IbLb1EEEEDaSY_SZ_EUlSY_E_NS1_11comp_targetILNS1_3genE9ELNS1_11target_archE1100ELNS1_3gpuE3ELNS1_3repE0EEENS1_30default_config_static_selectorELNS0_4arch9wavefront6targetE0EEEvT1_
                                        ; -- End function
	.set _ZN7rocprim17ROCPRIM_400000_NS6detail17trampoline_kernelINS0_14default_configENS1_27scan_by_key_config_selectorIj11FixedVectorIiLj1EEEEZZNS1_16scan_by_key_implILNS1_25lookback_scan_determinismE0ELb0ES3_N6thrust23THRUST_200600_302600_NS6detail15normal_iteratorINSB_10device_ptrIjEEEENSD_INSE_IS6_EEEESI_S6_NSB_4plusIvEENSB_8equal_toIvEES6_EE10hipError_tPvRmT2_T3_T4_T5_mT6_T7_P12ihipStream_tbENKUlT_T0_E_clISt17integral_constantIbLb0EES12_IbLb1EEEEDaSY_SZ_EUlSY_E_NS1_11comp_targetILNS1_3genE9ELNS1_11target_archE1100ELNS1_3gpuE3ELNS1_3repE0EEENS1_30default_config_static_selectorELNS0_4arch9wavefront6targetE0EEEvT1_.num_vgpr, 0
	.set _ZN7rocprim17ROCPRIM_400000_NS6detail17trampoline_kernelINS0_14default_configENS1_27scan_by_key_config_selectorIj11FixedVectorIiLj1EEEEZZNS1_16scan_by_key_implILNS1_25lookback_scan_determinismE0ELb0ES3_N6thrust23THRUST_200600_302600_NS6detail15normal_iteratorINSB_10device_ptrIjEEEENSD_INSE_IS6_EEEESI_S6_NSB_4plusIvEENSB_8equal_toIvEES6_EE10hipError_tPvRmT2_T3_T4_T5_mT6_T7_P12ihipStream_tbENKUlT_T0_E_clISt17integral_constantIbLb0EES12_IbLb1EEEEDaSY_SZ_EUlSY_E_NS1_11comp_targetILNS1_3genE9ELNS1_11target_archE1100ELNS1_3gpuE3ELNS1_3repE0EEENS1_30default_config_static_selectorELNS0_4arch9wavefront6targetE0EEEvT1_.num_agpr, 0
	.set _ZN7rocprim17ROCPRIM_400000_NS6detail17trampoline_kernelINS0_14default_configENS1_27scan_by_key_config_selectorIj11FixedVectorIiLj1EEEEZZNS1_16scan_by_key_implILNS1_25lookback_scan_determinismE0ELb0ES3_N6thrust23THRUST_200600_302600_NS6detail15normal_iteratorINSB_10device_ptrIjEEEENSD_INSE_IS6_EEEESI_S6_NSB_4plusIvEENSB_8equal_toIvEES6_EE10hipError_tPvRmT2_T3_T4_T5_mT6_T7_P12ihipStream_tbENKUlT_T0_E_clISt17integral_constantIbLb0EES12_IbLb1EEEEDaSY_SZ_EUlSY_E_NS1_11comp_targetILNS1_3genE9ELNS1_11target_archE1100ELNS1_3gpuE3ELNS1_3repE0EEENS1_30default_config_static_selectorELNS0_4arch9wavefront6targetE0EEEvT1_.numbered_sgpr, 0
	.set _ZN7rocprim17ROCPRIM_400000_NS6detail17trampoline_kernelINS0_14default_configENS1_27scan_by_key_config_selectorIj11FixedVectorIiLj1EEEEZZNS1_16scan_by_key_implILNS1_25lookback_scan_determinismE0ELb0ES3_N6thrust23THRUST_200600_302600_NS6detail15normal_iteratorINSB_10device_ptrIjEEEENSD_INSE_IS6_EEEESI_S6_NSB_4plusIvEENSB_8equal_toIvEES6_EE10hipError_tPvRmT2_T3_T4_T5_mT6_T7_P12ihipStream_tbENKUlT_T0_E_clISt17integral_constantIbLb0EES12_IbLb1EEEEDaSY_SZ_EUlSY_E_NS1_11comp_targetILNS1_3genE9ELNS1_11target_archE1100ELNS1_3gpuE3ELNS1_3repE0EEENS1_30default_config_static_selectorELNS0_4arch9wavefront6targetE0EEEvT1_.num_named_barrier, 0
	.set _ZN7rocprim17ROCPRIM_400000_NS6detail17trampoline_kernelINS0_14default_configENS1_27scan_by_key_config_selectorIj11FixedVectorIiLj1EEEEZZNS1_16scan_by_key_implILNS1_25lookback_scan_determinismE0ELb0ES3_N6thrust23THRUST_200600_302600_NS6detail15normal_iteratorINSB_10device_ptrIjEEEENSD_INSE_IS6_EEEESI_S6_NSB_4plusIvEENSB_8equal_toIvEES6_EE10hipError_tPvRmT2_T3_T4_T5_mT6_T7_P12ihipStream_tbENKUlT_T0_E_clISt17integral_constantIbLb0EES12_IbLb1EEEEDaSY_SZ_EUlSY_E_NS1_11comp_targetILNS1_3genE9ELNS1_11target_archE1100ELNS1_3gpuE3ELNS1_3repE0EEENS1_30default_config_static_selectorELNS0_4arch9wavefront6targetE0EEEvT1_.private_seg_size, 0
	.set _ZN7rocprim17ROCPRIM_400000_NS6detail17trampoline_kernelINS0_14default_configENS1_27scan_by_key_config_selectorIj11FixedVectorIiLj1EEEEZZNS1_16scan_by_key_implILNS1_25lookback_scan_determinismE0ELb0ES3_N6thrust23THRUST_200600_302600_NS6detail15normal_iteratorINSB_10device_ptrIjEEEENSD_INSE_IS6_EEEESI_S6_NSB_4plusIvEENSB_8equal_toIvEES6_EE10hipError_tPvRmT2_T3_T4_T5_mT6_T7_P12ihipStream_tbENKUlT_T0_E_clISt17integral_constantIbLb0EES12_IbLb1EEEEDaSY_SZ_EUlSY_E_NS1_11comp_targetILNS1_3genE9ELNS1_11target_archE1100ELNS1_3gpuE3ELNS1_3repE0EEENS1_30default_config_static_selectorELNS0_4arch9wavefront6targetE0EEEvT1_.uses_vcc, 0
	.set _ZN7rocprim17ROCPRIM_400000_NS6detail17trampoline_kernelINS0_14default_configENS1_27scan_by_key_config_selectorIj11FixedVectorIiLj1EEEEZZNS1_16scan_by_key_implILNS1_25lookback_scan_determinismE0ELb0ES3_N6thrust23THRUST_200600_302600_NS6detail15normal_iteratorINSB_10device_ptrIjEEEENSD_INSE_IS6_EEEESI_S6_NSB_4plusIvEENSB_8equal_toIvEES6_EE10hipError_tPvRmT2_T3_T4_T5_mT6_T7_P12ihipStream_tbENKUlT_T0_E_clISt17integral_constantIbLb0EES12_IbLb1EEEEDaSY_SZ_EUlSY_E_NS1_11comp_targetILNS1_3genE9ELNS1_11target_archE1100ELNS1_3gpuE3ELNS1_3repE0EEENS1_30default_config_static_selectorELNS0_4arch9wavefront6targetE0EEEvT1_.uses_flat_scratch, 0
	.set _ZN7rocprim17ROCPRIM_400000_NS6detail17trampoline_kernelINS0_14default_configENS1_27scan_by_key_config_selectorIj11FixedVectorIiLj1EEEEZZNS1_16scan_by_key_implILNS1_25lookback_scan_determinismE0ELb0ES3_N6thrust23THRUST_200600_302600_NS6detail15normal_iteratorINSB_10device_ptrIjEEEENSD_INSE_IS6_EEEESI_S6_NSB_4plusIvEENSB_8equal_toIvEES6_EE10hipError_tPvRmT2_T3_T4_T5_mT6_T7_P12ihipStream_tbENKUlT_T0_E_clISt17integral_constantIbLb0EES12_IbLb1EEEEDaSY_SZ_EUlSY_E_NS1_11comp_targetILNS1_3genE9ELNS1_11target_archE1100ELNS1_3gpuE3ELNS1_3repE0EEENS1_30default_config_static_selectorELNS0_4arch9wavefront6targetE0EEEvT1_.has_dyn_sized_stack, 0
	.set _ZN7rocprim17ROCPRIM_400000_NS6detail17trampoline_kernelINS0_14default_configENS1_27scan_by_key_config_selectorIj11FixedVectorIiLj1EEEEZZNS1_16scan_by_key_implILNS1_25lookback_scan_determinismE0ELb0ES3_N6thrust23THRUST_200600_302600_NS6detail15normal_iteratorINSB_10device_ptrIjEEEENSD_INSE_IS6_EEEESI_S6_NSB_4plusIvEENSB_8equal_toIvEES6_EE10hipError_tPvRmT2_T3_T4_T5_mT6_T7_P12ihipStream_tbENKUlT_T0_E_clISt17integral_constantIbLb0EES12_IbLb1EEEEDaSY_SZ_EUlSY_E_NS1_11comp_targetILNS1_3genE9ELNS1_11target_archE1100ELNS1_3gpuE3ELNS1_3repE0EEENS1_30default_config_static_selectorELNS0_4arch9wavefront6targetE0EEEvT1_.has_recursion, 0
	.set _ZN7rocprim17ROCPRIM_400000_NS6detail17trampoline_kernelINS0_14default_configENS1_27scan_by_key_config_selectorIj11FixedVectorIiLj1EEEEZZNS1_16scan_by_key_implILNS1_25lookback_scan_determinismE0ELb0ES3_N6thrust23THRUST_200600_302600_NS6detail15normal_iteratorINSB_10device_ptrIjEEEENSD_INSE_IS6_EEEESI_S6_NSB_4plusIvEENSB_8equal_toIvEES6_EE10hipError_tPvRmT2_T3_T4_T5_mT6_T7_P12ihipStream_tbENKUlT_T0_E_clISt17integral_constantIbLb0EES12_IbLb1EEEEDaSY_SZ_EUlSY_E_NS1_11comp_targetILNS1_3genE9ELNS1_11target_archE1100ELNS1_3gpuE3ELNS1_3repE0EEENS1_30default_config_static_selectorELNS0_4arch9wavefront6targetE0EEEvT1_.has_indirect_call, 0
	.section	.AMDGPU.csdata,"",@progbits
; Kernel info:
; codeLenInByte = 0
; TotalNumSgprs: 0
; NumVgprs: 0
; ScratchSize: 0
; MemoryBound: 0
; FloatMode: 240
; IeeeMode: 1
; LDSByteSize: 0 bytes/workgroup (compile time only)
; SGPRBlocks: 0
; VGPRBlocks: 0
; NumSGPRsForWavesPerEU: 1
; NumVGPRsForWavesPerEU: 1
; Occupancy: 16
; WaveLimiterHint : 0
; COMPUTE_PGM_RSRC2:SCRATCH_EN: 0
; COMPUTE_PGM_RSRC2:USER_SGPR: 6
; COMPUTE_PGM_RSRC2:TRAP_HANDLER: 0
; COMPUTE_PGM_RSRC2:TGID_X_EN: 1
; COMPUTE_PGM_RSRC2:TGID_Y_EN: 0
; COMPUTE_PGM_RSRC2:TGID_Z_EN: 0
; COMPUTE_PGM_RSRC2:TIDIG_COMP_CNT: 0
	.section	.text._ZN7rocprim17ROCPRIM_400000_NS6detail17trampoline_kernelINS0_14default_configENS1_27scan_by_key_config_selectorIj11FixedVectorIiLj1EEEEZZNS1_16scan_by_key_implILNS1_25lookback_scan_determinismE0ELb0ES3_N6thrust23THRUST_200600_302600_NS6detail15normal_iteratorINSB_10device_ptrIjEEEENSD_INSE_IS6_EEEESI_S6_NSB_4plusIvEENSB_8equal_toIvEES6_EE10hipError_tPvRmT2_T3_T4_T5_mT6_T7_P12ihipStream_tbENKUlT_T0_E_clISt17integral_constantIbLb0EES12_IbLb1EEEEDaSY_SZ_EUlSY_E_NS1_11comp_targetILNS1_3genE8ELNS1_11target_archE1030ELNS1_3gpuE2ELNS1_3repE0EEENS1_30default_config_static_selectorELNS0_4arch9wavefront6targetE0EEEvT1_,"axG",@progbits,_ZN7rocprim17ROCPRIM_400000_NS6detail17trampoline_kernelINS0_14default_configENS1_27scan_by_key_config_selectorIj11FixedVectorIiLj1EEEEZZNS1_16scan_by_key_implILNS1_25lookback_scan_determinismE0ELb0ES3_N6thrust23THRUST_200600_302600_NS6detail15normal_iteratorINSB_10device_ptrIjEEEENSD_INSE_IS6_EEEESI_S6_NSB_4plusIvEENSB_8equal_toIvEES6_EE10hipError_tPvRmT2_T3_T4_T5_mT6_T7_P12ihipStream_tbENKUlT_T0_E_clISt17integral_constantIbLb0EES12_IbLb1EEEEDaSY_SZ_EUlSY_E_NS1_11comp_targetILNS1_3genE8ELNS1_11target_archE1030ELNS1_3gpuE2ELNS1_3repE0EEENS1_30default_config_static_selectorELNS0_4arch9wavefront6targetE0EEEvT1_,comdat
	.protected	_ZN7rocprim17ROCPRIM_400000_NS6detail17trampoline_kernelINS0_14default_configENS1_27scan_by_key_config_selectorIj11FixedVectorIiLj1EEEEZZNS1_16scan_by_key_implILNS1_25lookback_scan_determinismE0ELb0ES3_N6thrust23THRUST_200600_302600_NS6detail15normal_iteratorINSB_10device_ptrIjEEEENSD_INSE_IS6_EEEESI_S6_NSB_4plusIvEENSB_8equal_toIvEES6_EE10hipError_tPvRmT2_T3_T4_T5_mT6_T7_P12ihipStream_tbENKUlT_T0_E_clISt17integral_constantIbLb0EES12_IbLb1EEEEDaSY_SZ_EUlSY_E_NS1_11comp_targetILNS1_3genE8ELNS1_11target_archE1030ELNS1_3gpuE2ELNS1_3repE0EEENS1_30default_config_static_selectorELNS0_4arch9wavefront6targetE0EEEvT1_ ; -- Begin function _ZN7rocprim17ROCPRIM_400000_NS6detail17trampoline_kernelINS0_14default_configENS1_27scan_by_key_config_selectorIj11FixedVectorIiLj1EEEEZZNS1_16scan_by_key_implILNS1_25lookback_scan_determinismE0ELb0ES3_N6thrust23THRUST_200600_302600_NS6detail15normal_iteratorINSB_10device_ptrIjEEEENSD_INSE_IS6_EEEESI_S6_NSB_4plusIvEENSB_8equal_toIvEES6_EE10hipError_tPvRmT2_T3_T4_T5_mT6_T7_P12ihipStream_tbENKUlT_T0_E_clISt17integral_constantIbLb0EES12_IbLb1EEEEDaSY_SZ_EUlSY_E_NS1_11comp_targetILNS1_3genE8ELNS1_11target_archE1030ELNS1_3gpuE2ELNS1_3repE0EEENS1_30default_config_static_selectorELNS0_4arch9wavefront6targetE0EEEvT1_
	.globl	_ZN7rocprim17ROCPRIM_400000_NS6detail17trampoline_kernelINS0_14default_configENS1_27scan_by_key_config_selectorIj11FixedVectorIiLj1EEEEZZNS1_16scan_by_key_implILNS1_25lookback_scan_determinismE0ELb0ES3_N6thrust23THRUST_200600_302600_NS6detail15normal_iteratorINSB_10device_ptrIjEEEENSD_INSE_IS6_EEEESI_S6_NSB_4plusIvEENSB_8equal_toIvEES6_EE10hipError_tPvRmT2_T3_T4_T5_mT6_T7_P12ihipStream_tbENKUlT_T0_E_clISt17integral_constantIbLb0EES12_IbLb1EEEEDaSY_SZ_EUlSY_E_NS1_11comp_targetILNS1_3genE8ELNS1_11target_archE1030ELNS1_3gpuE2ELNS1_3repE0EEENS1_30default_config_static_selectorELNS0_4arch9wavefront6targetE0EEEvT1_
	.p2align	8
	.type	_ZN7rocprim17ROCPRIM_400000_NS6detail17trampoline_kernelINS0_14default_configENS1_27scan_by_key_config_selectorIj11FixedVectorIiLj1EEEEZZNS1_16scan_by_key_implILNS1_25lookback_scan_determinismE0ELb0ES3_N6thrust23THRUST_200600_302600_NS6detail15normal_iteratorINSB_10device_ptrIjEEEENSD_INSE_IS6_EEEESI_S6_NSB_4plusIvEENSB_8equal_toIvEES6_EE10hipError_tPvRmT2_T3_T4_T5_mT6_T7_P12ihipStream_tbENKUlT_T0_E_clISt17integral_constantIbLb0EES12_IbLb1EEEEDaSY_SZ_EUlSY_E_NS1_11comp_targetILNS1_3genE8ELNS1_11target_archE1030ELNS1_3gpuE2ELNS1_3repE0EEENS1_30default_config_static_selectorELNS0_4arch9wavefront6targetE0EEEvT1_,@function
_ZN7rocprim17ROCPRIM_400000_NS6detail17trampoline_kernelINS0_14default_configENS1_27scan_by_key_config_selectorIj11FixedVectorIiLj1EEEEZZNS1_16scan_by_key_implILNS1_25lookback_scan_determinismE0ELb0ES3_N6thrust23THRUST_200600_302600_NS6detail15normal_iteratorINSB_10device_ptrIjEEEENSD_INSE_IS6_EEEESI_S6_NSB_4plusIvEENSB_8equal_toIvEES6_EE10hipError_tPvRmT2_T3_T4_T5_mT6_T7_P12ihipStream_tbENKUlT_T0_E_clISt17integral_constantIbLb0EES12_IbLb1EEEEDaSY_SZ_EUlSY_E_NS1_11comp_targetILNS1_3genE8ELNS1_11target_archE1030ELNS1_3gpuE2ELNS1_3repE0EEENS1_30default_config_static_selectorELNS0_4arch9wavefront6targetE0EEEvT1_: ; @_ZN7rocprim17ROCPRIM_400000_NS6detail17trampoline_kernelINS0_14default_configENS1_27scan_by_key_config_selectorIj11FixedVectorIiLj1EEEEZZNS1_16scan_by_key_implILNS1_25lookback_scan_determinismE0ELb0ES3_N6thrust23THRUST_200600_302600_NS6detail15normal_iteratorINSB_10device_ptrIjEEEENSD_INSE_IS6_EEEESI_S6_NSB_4plusIvEENSB_8equal_toIvEES6_EE10hipError_tPvRmT2_T3_T4_T5_mT6_T7_P12ihipStream_tbENKUlT_T0_E_clISt17integral_constantIbLb0EES12_IbLb1EEEEDaSY_SZ_EUlSY_E_NS1_11comp_targetILNS1_3genE8ELNS1_11target_archE1030ELNS1_3gpuE2ELNS1_3repE0EEENS1_30default_config_static_selectorELNS0_4arch9wavefront6targetE0EEEvT1_
; %bb.0:
	s_clause 0x1
	s_load_dwordx4 s[24:27], s[4:5], 0x28
	s_load_dwordx2 s[28:29], s[4:5], 0x38
	v_cmp_ne_u32_e64 s1, 0, v0
	v_cmp_eq_u32_e64 s0, 0, v0
	s_and_saveexec_b32 s2, s0
	s_cbranch_execz .LBB1910_4
; %bb.1:
	s_mov_b32 s6, exec_lo
	s_mov_b32 s3, exec_lo
	v_mbcnt_lo_u32_b32 v1, s6, 0
                                        ; implicit-def: $vgpr2
	v_cmpx_eq_u32_e32 0, v1
	s_cbranch_execz .LBB1910_3
; %bb.2:
	s_load_dwordx2 s[8:9], s[4:5], 0x68
	s_bcnt1_i32_b32 s6, s6
	v_mov_b32_e32 v2, 0
	v_mov_b32_e32 v3, s6
	s_waitcnt lgkmcnt(0)
	global_atomic_add v2, v2, v3, s[8:9] glc
.LBB1910_3:
	s_or_b32 exec_lo, exec_lo, s3
	s_waitcnt vmcnt(0)
	v_readfirstlane_b32 s3, v2
	v_mov_b32_e32 v2, 0
	v_add_nc_u32_e32 v1, s3, v1
	ds_write_b32 v2, v1
.LBB1910_4:
	s_or_b32 exec_lo, exec_lo, s2
	v_mov_b32_e32 v1, 0
	s_clause 0x2
	s_load_dwordx8 s[8:15], s[4:5], 0x0
	s_load_dword s30, s[4:5], 0x40
	s_load_dwordx8 s[16:23], s[4:5], 0x48
	s_waitcnt lgkmcnt(0)
	s_barrier
	buffer_gl0_inv
	ds_read_b32 v1, v1
	s_waitcnt lgkmcnt(0)
	s_barrier
	buffer_gl0_inv
	s_barrier
	buffer_gl0_inv
	s_lshl_b64 s[6:7], s[10:11], 2
	s_mul_i32 s2, s29, s30
	s_add_u32 s4, s8, s6
	s_addc_u32 s5, s9, s7
	s_mul_hi_u32 s3, s28, s30
	s_add_u32 s12, s12, s6
	v_readfirstlane_b32 s27, v1
	s_addc_u32 s13, s13, s7
	s_add_i32 s33, s3, s2
	s_cmp_lg_u64 s[20:21], 0
	s_mov_b32 s3, 0
	s_mul_i32 s2, s27, 0x300
	s_cselect_b32 s31, -1, 0
	s_lshl_b64 s[8:9], s[2:3], 2
	s_mul_i32 s2, s28, s30
	s_add_u32 s10, s4, s8
	s_addc_u32 s11, s5, s9
	s_add_u32 s5, s12, s8
	s_addc_u32 s30, s13, s9
	;; [unrolled: 2-line block ×3, first 2 shown]
	s_add_u32 s16, s16, -1
	s_addc_u32 s17, s17, -1
	s_mul_i32 s21, s16, 0xfffffd00
	v_cmp_ge_u64_e64 s20, s[12:13], s[16:17]
	s_and_b32 vcc_lo, exec_lo, s20
	s_cbranch_vccz .LBB1910_26
; %bb.5:
	v_mov_b32_e32 v1, s10
	v_mov_b32_e32 v2, s11
	s_add_i32 s33, s21, s26
	v_cmp_gt_u32_e64 s2, s33, v0
	flat_load_dword v1, v[1:2]
	s_waitcnt vmcnt(0) lgkmcnt(0)
	v_mov_b32_e32 v2, v1
	s_and_saveexec_b32 s3, s2
	s_cbranch_execz .LBB1910_7
; %bb.6:
	v_lshlrev_b32_e32 v2, 2, v0
	v_add_co_u32 v2, s4, s10, v2
	v_add_co_ci_u32_e64 v3, null, s11, 0, s4
	flat_load_dword v2, v[2:3]
.LBB1910_7:
	s_or_b32 exec_lo, exec_lo, s3
	v_or_b32_e32 v3, 0x100, v0
	v_cmp_gt_u32_e64 s3, s33, v3
	v_mov_b32_e32 v3, v1
	s_and_saveexec_b32 s4, s3
	s_cbranch_execz .LBB1910_9
; %bb.8:
	v_lshlrev_b32_e32 v3, 2, v0
	v_add_co_u32 v3, s16, s10, v3
	v_add_co_ci_u32_e64 v4, null, s11, 0, s16
	flat_load_dword v3, v[3:4] offset:1024
.LBB1910_9:
	s_or_b32 exec_lo, exec_lo, s4
	v_or_b32_e32 v4, 0x200, v0
	v_cmp_gt_u32_e64 s4, s33, v4
	v_lshlrev_b32_e32 v4, 2, v4
	s_and_saveexec_b32 s16, s4
	s_cbranch_execz .LBB1910_11
; %bb.10:
	v_add_co_u32 v5, s17, s10, v4
	v_add_co_ci_u32_e64 v6, null, s11, 0, s17
	flat_load_dword v1, v[5:6]
.LBB1910_11:
	s_or_b32 exec_lo, exec_lo, s16
	v_lshlrev_b32_e32 v6, 2, v0
	v_lshlrev_b32_e32 v8, 3, v0
	s_cmp_eq_u64 s[12:13], 0
	s_mov_b64 s[16:17], s[10:11]
	s_waitcnt vmcnt(0) lgkmcnt(0)
	ds_write2st64_b32 v6, v2, v3 offset1:4
	v_add_nc_u32_e32 v3, v6, v8
	ds_write_b32 v6, v1 offset:2048
	s_waitcnt lgkmcnt(0)
	s_barrier
	buffer_gl0_inv
	ds_read2_b32 v[1:2], v3 offset1:1
	ds_read_b32 v5, v3 offset:8
	s_cbranch_scc1 .LBB1910_15
; %bb.12:
	s_andn2_b32 vcc_lo, exec_lo, s31
	s_cbranch_vccnz .LBB1910_99
; %bb.13:
	s_lshl_b64 s[16:17], s[12:13], 2
	s_add_u32 s16, s22, s16
	s_addc_u32 s17, s23, s17
	s_add_u32 s16, s16, -4
	s_addc_u32 s17, s17, -1
	s_cbranch_execnz .LBB1910_15
.LBB1910_14:
	s_add_u32 s16, s10, -4
	s_addc_u32 s17, s11, -1
.LBB1910_15:
	v_mov_b32_e32 v9, s16
	v_mov_b32_e32 v10, s17
	flat_load_dword v7, v[9:10]
	v_sub_nc_u32_e32 v9, v3, v8
	s_waitcnt lgkmcnt(1)
	ds_write_b32 v9, v5 offset:3072
	s_waitcnt vmcnt(0) lgkmcnt(0)
	s_barrier
	buffer_gl0_inv
	s_and_saveexec_b32 s16, s1
; %bb.16:
	v_sub_nc_u32_e32 v7, 0, v8
	v_add_nc_u32_e32 v7, v3, v7
	ds_read_b32 v7, v7 offset:3068
; %bb.17:
	s_or_b32 exec_lo, exec_lo, s16
	v_mov_b32_e32 v9, 0
	v_mov_b32_e32 v10, 0
	s_waitcnt lgkmcnt(0)
	s_barrier
	buffer_gl0_inv
	s_and_saveexec_b32 s16, s2
	s_cbranch_execnz .LBB1910_97
; %bb.18:
	s_or_b32 exec_lo, exec_lo, s16
	s_and_saveexec_b32 s2, s3
	s_cbranch_execnz .LBB1910_98
.LBB1910_19:
	s_or_b32 exec_lo, exec_lo, s2
	v_mov_b32_e32 v11, 0
	s_and_saveexec_b32 s2, s4
	s_cbranch_execz .LBB1910_21
.LBB1910_20:
	v_add_co_u32 v11, s3, s5, v4
	v_add_co_ci_u32_e64 v12, null, s30, 0, s3
	flat_load_dword v11, v[11:12]
.LBB1910_21:
	s_or_b32 exec_lo, exec_lo, s2
	s_waitcnt vmcnt(0) lgkmcnt(0)
	ds_write2st64_b32 v6, v10, v9 offset1:4
	ds_write_b32 v6, v11 offset:2048
	v_mov_b32_e32 v9, 0
	v_mov_b32_e32 v11, 0
	v_mul_u32_u24_e32 v8, 3, v0
	v_mov_b32_e32 v10, 0
	v_mov_b32_e32 v12, 0
	s_mov_b32 s16, 0
	s_mov_b32 s3, 0
	s_mov_b32 s17, exec_lo
	s_waitcnt lgkmcnt(0)
	s_barrier
	buffer_gl0_inv
                                        ; implicit-def: $sgpr4
                                        ; implicit-def: $vgpr4
	v_cmpx_gt_u32_e64 s33, v8
	s_cbranch_execz .LBB1910_25
; %bb.22:
	ds_read_b32 v9, v3
	v_add_nc_u32_e32 v4, 1, v8
	v_cmp_ne_u32_e32 vcc_lo, v7, v1
	v_mov_b32_e32 v11, 0
	v_mov_b32_e32 v12, 0
	s_mov_b32 s2, 0
                                        ; implicit-def: $sgpr4
	v_cndmask_b32_e64 v10, 0, 1, vcc_lo
	v_cmp_gt_u32_e32 vcc_lo, s33, v4
                                        ; implicit-def: $vgpr4
	s_and_saveexec_b32 s3, vcc_lo
	s_xor_b32 s3, exec_lo, s3
	s_cbranch_execz .LBB1910_24
; %bb.23:
	ds_read2_b32 v[3:4], v3 offset0:1 offset1:2
	v_add_nc_u32_e32 v6, 2, v8
	v_cmp_ne_u32_e64 s2, v1, v2
	v_cmp_ne_u32_e64 s4, v2, v5
	v_cmp_gt_u32_e32 vcc_lo, s33, v6
	v_cndmask_b32_e64 v12, 0, 1, s2
	s_and_b32 s2, vcc_lo, exec_lo
	s_waitcnt lgkmcnt(0)
	v_mov_b32_e32 v11, v3
.LBB1910_24:
	s_or_b32 exec_lo, exec_lo, s3
	s_and_b32 s3, s2, exec_lo
.LBB1910_25:
	s_or_b32 exec_lo, exec_lo, s17
	v_lshlrev_b32_e32 v19, 2, v0
	v_lshlrev_b32_e32 v18, 3, v0
	s_and_b32 vcc_lo, exec_lo, s16
	s_cbranch_vccnz .LBB1910_27
	s_branch .LBB1910_35
.LBB1910_26:
                                        ; implicit-def: $sgpr4
                                        ; implicit-def: $vgpr4
                                        ; implicit-def: $vgpr9_vgpr10
                                        ; implicit-def: $vgpr11_vgpr12
	v_lshlrev_b32_e32 v19, 2, v0
	v_lshlrev_b32_e32 v18, 3, v0
	s_cbranch_execz .LBB1910_35
.LBB1910_27:
	v_add_co_u32 v1, s2, s10, v19
	v_add_co_ci_u32_e64 v2, null, s11, 0, s2
	s_cmp_eq_u64 s[12:13], 0
	v_add_co_u32 v3, vcc_lo, 0x800, v1
	v_add_co_ci_u32_e64 v4, null, 0, v2, vcc_lo
	s_clause 0x2
	flat_load_dword v5, v[1:2]
	flat_load_dword v1, v[1:2] offset:1024
	flat_load_dword v2, v[3:4]
	v_add_nc_u32_e32 v3, v19, v18
	s_waitcnt vmcnt(1) lgkmcnt(1)
	ds_write2st64_b32 v19, v5, v1 offset1:4
	s_waitcnt vmcnt(0) lgkmcnt(1)
	ds_write_b32 v19, v2 offset:2048
	s_waitcnt lgkmcnt(0)
	s_barrier
	buffer_gl0_inv
	ds_read2_b32 v[1:2], v3 offset1:1
	ds_read_b32 v5, v3 offset:8
	s_cbranch_scc1 .LBB1910_32
; %bb.28:
	s_andn2_b32 vcc_lo, exec_lo, s31
	s_cbranch_vccnz .LBB1910_100
; %bb.29:
	s_lshl_b64 s[2:3], s[12:13], 2
	s_add_u32 s2, s22, s2
	s_addc_u32 s3, s23, s3
	s_add_u32 s2, s2, -4
	s_addc_u32 s3, s3, -1
	s_cbranch_execnz .LBB1910_31
.LBB1910_30:
	s_add_u32 s2, s10, -4
	s_addc_u32 s3, s11, -1
.LBB1910_31:
	s_mov_b64 s[10:11], s[2:3]
.LBB1910_32:
	v_mov_b32_e32 v6, s10
	v_mov_b32_e32 v7, s11
	v_sub_nc_u32_e32 v4, v3, v18
	flat_load_dword v6, v[6:7]
	s_waitcnt lgkmcnt(1)
	ds_write_b32 v4, v5 offset:3072
	s_waitcnt vmcnt(0) lgkmcnt(0)
	s_barrier
	buffer_gl0_inv
	s_and_saveexec_b32 s2, s1
; %bb.33:
	v_sub_nc_u32_e32 v4, 0, v18
	v_add_nc_u32_e32 v4, v3, v4
	ds_read_b32 v6, v4 offset:3068
; %bb.34:
	s_or_b32 exec_lo, exec_lo, s2
	v_add_co_u32 v7, s2, s5, v19
	v_add_co_ci_u32_e64 v8, null, s30, 0, s2
	s_waitcnt lgkmcnt(0)
	v_add_co_u32 v9, vcc_lo, 0x800, v7
	v_add_co_ci_u32_e64 v10, null, 0, v8, vcc_lo
	s_barrier
	buffer_gl0_inv
	s_clause 0x2
	flat_load_dword v4, v[7:8]
	flat_load_dword v7, v[7:8] offset:1024
	flat_load_dword v8, v[9:10]
	v_cmp_ne_u32_e32 vcc_lo, v6, v1
	v_cmp_ne_u32_e64 s4, v2, v5
	s_mov_b32 s3, -1
	s_waitcnt vmcnt(1) lgkmcnt(1)
	ds_write2st64_b32 v19, v4, v7 offset1:4
	s_waitcnt vmcnt(0) lgkmcnt(1)
	ds_write_b32 v19, v8 offset:2048
	s_waitcnt lgkmcnt(0)
	s_barrier
	buffer_gl0_inv
	ds_read2_b32 v[7:8], v3 offset1:1
	ds_read_b32 v4, v3 offset:8
	v_cndmask_b32_e64 v10, 0, 1, vcc_lo
	v_cmp_ne_u32_e32 vcc_lo, v1, v2
	v_cndmask_b32_e64 v12, 0, 1, vcc_lo
	s_waitcnt lgkmcnt(1)
	v_mov_b32_e32 v9, v7
	v_mov_b32_e32 v11, v8
.LBB1910_35:
	v_mov_b32_e32 v13, 0
	v_mov_b32_e32 v14, 0
	s_and_saveexec_b32 s2, s3
	s_cbranch_execz .LBB1910_37
; %bb.36:
	v_cndmask_b32_e64 v14, 0, 1, s4
	s_waitcnt lgkmcnt(0)
	v_mov_b32_e32 v13, v4
.LBB1910_37:
	s_or_b32 exec_lo, exec_lo, s2
	v_or_b32_e32 v23, v12, v14
	v_mbcnt_lo_u32_b32 v20, -1, 0
	v_lshrrev_b32_e32 v21, 5, v0
	v_or_b32_e32 v22, 31, v0
	s_cmp_lg_u32 s27, 0
	s_mov_b32 s4, 0
	s_waitcnt lgkmcnt(0)
	s_barrier
	buffer_gl0_inv
	s_cbranch_scc0 .LBB1910_63
; %bb.38:
	v_and_b32_e32 v2, 0xff, v23
	v_mov_b32_e32 v1, 0
	s_mov_b32 s5, 1
	v_and_b32_e32 v8, 15, v20
	v_cmp_gt_u64_e64 s2, s[4:5], v[11:12]
	v_cmp_gt_u64_e64 s3, s[4:5], v[13:14]
	v_cmp_eq_u64_e32 vcc_lo, 0, v[1:2]
	v_cndmask_b32_e64 v3, 0, v9, s2
	v_cndmask_b32_e32 v2, 1, v10, vcc_lo
	v_add_nc_u32_e32 v3, v3, v11
	v_and_b32_e32 v4, 0xff, v2
	v_and_b32_e32 v6, 1, v2
	v_cndmask_b32_e64 v3, 0, v3, s3
	v_mov_b32_dpp v5, v4 row_shr:1 row_mask:0xf bank_mask:0xf
	v_cmp_eq_u32_e32 vcc_lo, 1, v6
	v_add_nc_u32_e32 v3, v3, v13
	v_and_b32_e32 v5, 1, v5
	v_mov_b32_dpp v7, v3 row_shr:1 row_mask:0xf bank_mask:0xf
	v_cndmask_b32_e64 v5, v5, 1, vcc_lo
	v_cmp_eq_u16_e32 vcc_lo, 0, v4
	v_cndmask_b32_e32 v6, 0, v7, vcc_lo
	v_cmp_eq_u32_e32 vcc_lo, 0, v8
	v_cndmask_b32_e32 v4, v5, v4, vcc_lo
	v_cndmask_b32_e32 v2, v5, v2, vcc_lo
	v_cndmask_b32_e64 v6, v6, 0, vcc_lo
	v_mov_b32_dpp v5, v4 row_shr:2 row_mask:0xf bank_mask:0xf
	v_and_b32_e32 v7, 1, v2
	v_add_nc_u32_e32 v3, v6, v3
	v_cmp_eq_u16_sdwa s4, v2, v1 src0_sel:BYTE_0 src1_sel:DWORD
	v_and_b32_e32 v5, 1, v5
	v_cmp_eq_u32_e32 vcc_lo, 1, v7
	v_cndmask_b32_e64 v5, v5, 1, vcc_lo
	v_cmp_lt_u32_e32 vcc_lo, 1, v8
	v_cndmask_b32_e32 v7, v2, v5, vcc_lo
	v_cndmask_b32_e32 v4, v4, v5, vcc_lo
	v_mov_b32_dpp v2, v3 row_shr:2 row_mask:0xf bank_mask:0xf
	s_and_b32 vcc_lo, vcc_lo, s4
	v_and_b32_e32 v6, 1, v7
	v_mov_b32_dpp v5, v4 row_shr:4 row_mask:0xf bank_mask:0xf
	v_cndmask_b32_e32 v2, 0, v2, vcc_lo
	v_cmp_eq_u16_sdwa s4, v7, v1 src0_sel:BYTE_0 src1_sel:DWORD
	v_cmp_eq_u32_e32 vcc_lo, 1, v6
	v_and_b32_e32 v5, 1, v5
	v_add_nc_u32_e32 v2, v2, v3
	v_cndmask_b32_e64 v5, v5, 1, vcc_lo
	v_cmp_lt_u32_e32 vcc_lo, 3, v8
	v_cndmask_b32_e32 v3, v7, v5, vcc_lo
	v_cndmask_b32_e32 v4, v4, v5, vcc_lo
	v_mov_b32_dpp v5, v2 row_shr:4 row_mask:0xf bank_mask:0xf
	s_and_b32 vcc_lo, vcc_lo, s4
	v_and_b32_e32 v7, 1, v3
	v_mov_b32_dpp v6, v4 row_shr:8 row_mask:0xf bank_mask:0xf
	v_cndmask_b32_e32 v5, 0, v5, vcc_lo
	v_cmp_eq_u16_sdwa s4, v3, v1 src0_sel:BYTE_0 src1_sel:DWORD
	v_cmp_eq_u32_e32 vcc_lo, 1, v7
	v_and_b32_e32 v6, 1, v6
	v_add_nc_u32_e32 v2, v5, v2
	v_bfe_i32 v7, v20, 4, 1
	v_cndmask_b32_e64 v5, v6, 1, vcc_lo
	v_cmp_lt_u32_e32 vcc_lo, 7, v8
	v_mov_b32_dpp v6, v2 row_shr:8 row_mask:0xf bank_mask:0xf
	s_and_b32 s4, vcc_lo, s4
	v_cndmask_b32_e32 v4, v4, v5, vcc_lo
	v_cndmask_b32_e64 v6, 0, v6, s4
	v_cndmask_b32_e32 v3, v3, v5, vcc_lo
	ds_swizzle_b32 v5, v4 offset:swizzle(BROADCAST,32,15)
	v_add_nc_u32_e32 v2, v6, v2
	v_and_b32_e32 v8, 1, v3
	v_cmp_eq_u16_sdwa vcc_lo, v3, v1 src0_sel:BYTE_0 src1_sel:DWORD
	v_and_b32_e32 v3, 16, v20
	ds_swizzle_b32 v6, v2 offset:swizzle(BROADCAST,32,15)
	v_cmp_eq_u32_e64 s4, 0, v3
	s_waitcnt lgkmcnt(1)
	v_and_b32_e32 v5, 1, v5
	s_waitcnt lgkmcnt(0)
	v_cndmask_b32_e32 v1, 0, v6, vcc_lo
	v_cmp_eq_u32_e32 vcc_lo, 1, v8
	v_and_b32_e32 v1, v7, v1
	v_cndmask_b32_e64 v5, v5, 1, vcc_lo
	v_add_nc_u32_e32 v3, v1, v2
	v_cndmask_b32_e64 v4, v5, v4, s4
	v_lshlrev_b32_e32 v5, 3, v21
	s_mov_b32 s4, exec_lo
	v_cmpx_eq_u32_e64 v0, v22
	s_cbranch_execz .LBB1910_40
; %bb.39:
	ds_write_b32 v5, v3
	ds_write_b8 v5, v4 offset:4
.LBB1910_40:
	s_or_b32 exec_lo, exec_lo, s4
	s_mov_b32 s4, exec_lo
	s_waitcnt lgkmcnt(0)
	s_barrier
	buffer_gl0_inv
	v_cmpx_gt_u32_e32 8, v0
	s_cbranch_execz .LBB1910_46
; %bb.41:
	ds_read_b64 v[1:2], v18
	v_and_b32_e32 v6, 7, v20
	s_mov_b32 s5, exec_lo
	s_waitcnt lgkmcnt(0)
	v_and_b32_e32 v7, 0xffffff00, v2
	v_mov_b32_dpp v15, v1 row_shr:1 row_mask:0xf bank_mask:0xf
	v_mov_b32_dpp v16, v2 row_shr:1 row_mask:0xf bank_mask:0xf
	v_mov_b32_e32 v8, v2
	v_cmpx_ne_u32_e32 0, v6
	s_cbranch_execz .LBB1910_43
; %bb.42:
	v_mov_b32_e32 v8, 0
	v_and_b32_e32 v17, 1, v2
	v_and_b32_e32 v16, 1, v16
	v_cmp_eq_u16_sdwa vcc_lo, v2, v8 src0_sel:BYTE_0 src1_sel:DWORD
	v_cndmask_b32_e32 v2, 0, v15, vcc_lo
	v_cmp_eq_u32_e32 vcc_lo, 1, v17
	v_add_nc_u32_e32 v1, v2, v1
	v_cndmask_b32_e64 v15, v16, 1, vcc_lo
	v_or_b32_sdwa v8, v7, v15 dst_sel:DWORD dst_unused:UNUSED_PAD src0_sel:DWORD src1_sel:WORD_0
	v_mov_b32_e32 v2, v15
.LBB1910_43:
	s_or_b32 exec_lo, exec_lo, s5
	v_mov_b32_dpp v15, v1 row_shr:2 row_mask:0xf bank_mask:0xf
	v_mov_b32_dpp v16, v8 row_shr:2 row_mask:0xf bank_mask:0xf
	s_mov_b32 s5, exec_lo
	v_cmpx_lt_u32_e32 1, v6
	s_cbranch_execz .LBB1910_45
; %bb.44:
	v_mov_b32_e32 v8, 0
	v_and_b32_e32 v17, 1, v2
	v_and_b32_e32 v16, 1, v16
	v_cmp_eq_u16_sdwa vcc_lo, v2, v8 src0_sel:BYTE_0 src1_sel:DWORD
	v_cndmask_b32_e32 v2, 0, v15, vcc_lo
	v_cmp_eq_u32_e32 vcc_lo, 1, v17
	v_add_nc_u32_e32 v1, v2, v1
	v_cndmask_b32_e64 v15, v16, 1, vcc_lo
	v_or_b32_sdwa v8, v7, v15 dst_sel:DWORD dst_unused:UNUSED_PAD src0_sel:DWORD src1_sel:WORD_0
	v_mov_b32_e32 v2, v15
.LBB1910_45:
	s_or_b32 exec_lo, exec_lo, s5
	v_mov_b32_dpp v7, v8 row_shr:4 row_mask:0xf bank_mask:0xf
	v_and_b32_e32 v15, 1, v2
	v_mov_b32_e32 v8, 0
	v_and_b32_e32 v7, 1, v7
	v_cmp_eq_u32_e32 vcc_lo, 1, v15
	v_cmp_eq_u16_sdwa s5, v2, v8 src0_sel:BYTE_0 src1_sel:DWORD
	v_cndmask_b32_e64 v7, v7, 1, vcc_lo
	v_cmp_lt_u32_e32 vcc_lo, 3, v6
	v_mov_b32_dpp v6, v1 row_shr:4 row_mask:0xf bank_mask:0xf
	v_cndmask_b32_e32 v2, v2, v7, vcc_lo
	s_and_b32 vcc_lo, vcc_lo, s5
	v_cndmask_b32_e32 v6, 0, v6, vcc_lo
	v_add_nc_u32_e32 v1, v6, v1
	ds_write_b32 v18, v1
	ds_write_b8 v18, v2 offset:4
.LBB1910_46:
	s_or_b32 exec_lo, exec_lo, s4
	v_mov_b32_e32 v24, 0
	v_mov_b32_e32 v25, 0
	s_mov_b32 s5, exec_lo
	v_cmp_gt_u32_e32 vcc_lo, 32, v0
	s_waitcnt lgkmcnt(0)
	s_barrier
	buffer_gl0_inv
	v_cmpx_lt_u32_e32 31, v0
	s_cbranch_execz .LBB1910_48
; %bb.47:
	v_add_nc_u32_e32 v1, -8, v5
	v_cmp_eq_u32_e64 s4, 0, v4
	v_and_b32_e32 v2, 1, v4
	ds_read_b32 v24, v1
	v_add_nc_u32_e32 v1, -4, v5
	ds_read_u8 v25, v1
	s_waitcnt lgkmcnt(1)
	v_cndmask_b32_e64 v1, 0, v24, s4
	v_cmp_eq_u32_e64 s4, 1, v2
	v_add_nc_u32_e32 v3, v1, v3
	s_waitcnt lgkmcnt(0)
	v_cndmask_b32_e64 v4, v25, 1, s4
.LBB1910_48:
	s_or_b32 exec_lo, exec_lo, s5
	v_sub_co_u32 v1, s4, v20, 1
	v_cmp_gt_i32_e64 s5, 0, v1
	v_cndmask_b32_e64 v1, v1, v20, s5
	v_lshlrev_b32_e32 v1, 2, v1
	ds_bpermute_b32 v26, v1, v3
	ds_bpermute_b32 v27, v1, v4
	s_and_saveexec_b32 s12, vcc_lo
	s_cbranch_execz .LBB1910_68
; %bb.49:
	v_mov_b32_e32 v4, 0
	ds_read_b64 v[1:2], v4 offset:56
	s_and_saveexec_b32 s5, s4
	s_cbranch_execz .LBB1910_51
; %bb.50:
	s_add_i32 s10, s27, 32
	s_mov_b32 s11, 0
	v_mov_b32_e32 v3, 1
	s_lshl_b64 s[10:11], s[10:11], 4
	s_add_u32 s10, s24, s10
	s_addc_u32 s11, s25, s11
	v_mov_b32_e32 v5, s10
	v_mov_b32_e32 v6, s11
	s_waitcnt lgkmcnt(0)
	;;#ASMSTART
	global_store_dwordx4 v[5:6], v[1:4] off	
s_waitcnt vmcnt(0)
	;;#ASMEND
.LBB1910_51:
	s_or_b32 exec_lo, exec_lo, s5
	v_xad_u32 v15, v20, -1, s27
	s_mov_b32 s10, 0
	v_add_nc_u32_e32 v3, 32, v15
	v_lshlrev_b64 v[5:6], 4, v[3:4]
	v_add_co_u32 v16, vcc_lo, s24, v5
	v_add_co_ci_u32_e64 v17, null, s25, v6, vcc_lo
	;;#ASMSTART
	global_load_dwordx4 v[5:8], v[16:17] off glc dlc	
s_waitcnt vmcnt(0)
	;;#ASMEND
	v_and_b32_e32 v6, 0xff, v6
	v_cmp_eq_u16_sdwa s11, v7, v4 src0_sel:BYTE_0 src1_sel:DWORD
	s_and_saveexec_b32 s5, s11
	s_cbranch_execz .LBB1910_55
; %bb.52:
	v_mov_b32_e32 v3, 0
.LBB1910_53:                            ; =>This Inner Loop Header: Depth=1
	;;#ASMSTART
	global_load_dwordx4 v[5:8], v[16:17] off glc dlc	
s_waitcnt vmcnt(0)
	;;#ASMEND
	v_cmp_ne_u16_sdwa s11, v7, v3 src0_sel:BYTE_0 src1_sel:DWORD
	s_or_b32 s10, s11, s10
	s_andn2_b32 exec_lo, exec_lo, s10
	s_cbranch_execnz .LBB1910_53
; %bb.54:
	s_or_b32 exec_lo, exec_lo, s10
	v_and_b32_e32 v6, 0xff, v6
.LBB1910_55:
	s_or_b32 exec_lo, exec_lo, s5
	v_cmp_ne_u32_e32 vcc_lo, 31, v20
	v_mov_b32_e32 v28, 2
	v_lshlrev_b32_e64 v29, v20, -1
	v_and_b32_e32 v8, 1, v6
	s_mov_b32 s10, 0
	v_add_co_ci_u32_e64 v3, null, 0, v20, vcc_lo
	v_cmp_eq_u16_sdwa s5, v7, v28 src0_sel:BYTE_0 src1_sel:DWORD
	v_cmp_eq_u32_e32 vcc_lo, 1, v8
	s_mov_b32 s11, 1
	v_lshlrev_b32_e32 v17, 2, v3
	v_add_nc_u32_e32 v37, 8, v20
	v_and_or_b32 v4, s5, v29, 0x80000000
	v_cmp_gt_u64_e64 s5, s[10:11], v[5:6]
	v_lshl_or_b32 v38, v20, 2, 64
	ds_bpermute_b32 v3, v17, v6
	ds_bpermute_b32 v16, v17, v5
	v_ffbl_b32_e32 v4, v4
	v_add_nc_u32_e32 v39, 16, v20
	s_waitcnt lgkmcnt(1)
	v_and_b32_e32 v3, 1, v3
	v_cndmask_b32_e64 v3, v3, 1, vcc_lo
	v_cmp_gt_u32_e32 vcc_lo, 30, v20
	v_and_b32_e32 v31, 0xffff, v3
	v_cndmask_b32_e64 v8, 0, 2, vcc_lo
	v_cmp_lt_u32_e32 vcc_lo, v20, v4
	v_add_lshl_u32 v30, v8, v20, 2
	v_cndmask_b32_e32 v8, v6, v31, vcc_lo
	v_cndmask_b32_e32 v3, v6, v3, vcc_lo
	s_and_b32 vcc_lo, vcc_lo, s5
	s_waitcnt lgkmcnt(0)
	v_cndmask_b32_e32 v6, 0, v16, vcc_lo
	ds_bpermute_b32 v31, v30, v8
	v_and_b32_e32 v16, 1, v3
	v_add_nc_u32_e32 v5, v6, v5
	v_cmp_eq_u32_e32 vcc_lo, 1, v16
	v_mov_b32_e32 v16, 0
	ds_bpermute_b32 v6, v30, v5
	v_cmp_eq_u16_sdwa s5, v3, v16 src0_sel:BYTE_0 src1_sel:DWORD
	s_waitcnt lgkmcnt(1)
	v_and_b32_e32 v32, 1, v31
	v_add_nc_u32_e32 v31, 2, v20
	v_cndmask_b32_e64 v33, v32, 1, vcc_lo
	v_cmp_gt_u32_e32 vcc_lo, 28, v20
	v_and_b32_e32 v34, 0xffff, v33
	v_cndmask_b32_e64 v32, 0, 4, vcc_lo
	v_cmp_gt_u32_e32 vcc_lo, v31, v4
	v_add_lshl_u32 v32, v32, v20, 2
	v_cndmask_b32_e32 v8, v34, v8, vcc_lo
	v_cndmask_b32_e32 v35, v33, v3, vcc_lo
	s_waitcnt lgkmcnt(0)
	v_cndmask_b32_e64 v3, 0, v6, s5
	v_add_nc_u32_e32 v33, 4, v20
	ds_bpermute_b32 v6, v32, v8
	v_and_b32_e32 v34, 1, v35
	v_cndmask_b32_e64 v3, v3, 0, vcc_lo
	v_cmp_eq_u16_sdwa s5, v35, v16 src0_sel:BYTE_0 src1_sel:DWORD
	v_cmp_eq_u32_e32 vcc_lo, 1, v34
	v_add_nc_u32_e32 v3, v3, v5
	ds_bpermute_b32 v5, v32, v3
	s_waitcnt lgkmcnt(1)
	v_and_b32_e32 v6, 1, v6
	v_cndmask_b32_e64 v6, v6, 1, vcc_lo
	v_cmp_gt_u32_e32 vcc_lo, 24, v20
	v_and_b32_e32 v36, 0xffff, v6
	v_cndmask_b32_e64 v34, 0, 8, vcc_lo
	v_cmp_gt_u32_e32 vcc_lo, v33, v4
	s_waitcnt lgkmcnt(0)
	v_cndmask_b32_e64 v5, 0, v5, s5
	v_add_lshl_u32 v34, v34, v20, 2
	v_cndmask_b32_e32 v8, v36, v8, vcc_lo
	v_cndmask_b32_e32 v6, v6, v35, vcc_lo
	v_cndmask_b32_e64 v5, v5, 0, vcc_lo
	ds_bpermute_b32 v35, v34, v8
	v_and_b32_e32 v36, 1, v6
	v_add_nc_u32_e32 v3, v5, v3
	v_cmp_eq_u32_e32 vcc_lo, 1, v36
	ds_bpermute_b32 v5, v34, v3
	s_waitcnt lgkmcnt(1)
	v_and_b32_e32 v35, 1, v35
	v_cndmask_b32_e64 v35, v35, 1, vcc_lo
	v_cmp_eq_u16_sdwa vcc_lo, v6, v16 src0_sel:BYTE_0 src1_sel:DWORD
	v_and_b32_e32 v36, 0xffff, v35
	s_waitcnt lgkmcnt(0)
	v_cndmask_b32_e32 v5, 0, v5, vcc_lo
	v_cmp_gt_u32_e32 vcc_lo, v37, v4
	v_cndmask_b32_e64 v5, v5, 0, vcc_lo
	v_cndmask_b32_e32 v8, v36, v8, vcc_lo
	v_cndmask_b32_e32 v6, v35, v6, vcc_lo
	v_add_nc_u32_e32 v3, v5, v3
	ds_bpermute_b32 v5, v38, v8
	v_and_b32_e32 v35, 1, v6
	v_cmp_eq_u16_sdwa vcc_lo, v6, v16 src0_sel:BYTE_0 src1_sel:DWORD
	ds_bpermute_b32 v8, v38, v3
	s_waitcnt lgkmcnt(1)
	v_and_b32_e32 v5, 1, v5
	s_waitcnt lgkmcnt(0)
	v_cndmask_b32_e32 v8, 0, v8, vcc_lo
	v_cmp_eq_u32_e32 vcc_lo, 1, v35
	v_cndmask_b32_e64 v5, v5, 1, vcc_lo
	v_cmp_gt_u32_e32 vcc_lo, v39, v4
	v_cndmask_b32_e32 v4, v5, v6, vcc_lo
	v_cndmask_b32_e64 v5, v8, 0, vcc_lo
	v_add_nc_u32_e32 v3, v5, v3
	s_branch .LBB1910_59
.LBB1910_56:                            ;   in Loop: Header=BB1910_59 Depth=1
	s_or_b32 exec_lo, exec_lo, s13
	v_and_b32_e32 v6, 0xff, v6
.LBB1910_57:                            ;   in Loop: Header=BB1910_59 Depth=1
	s_or_b32 exec_lo, exec_lo, s5
	ds_bpermute_b32 v3, v17, v6
	v_cmp_eq_u16_sdwa s5, v7, v28 src0_sel:BYTE_0 src1_sel:DWORD
	v_and_b32_e32 v4, 1, v6
	v_subrev_nc_u32_e32 v15, 32, v15
	v_and_or_b32 v8, s5, v29, 0x80000000
	v_cmp_eq_u32_e32 vcc_lo, 1, v4
	v_cmp_gt_u64_e64 s5, s[10:11], v[5:6]
	v_ffbl_b32_e32 v4, v8
	ds_bpermute_b32 v8, v17, v5
	s_waitcnt lgkmcnt(1)
	v_and_b32_e32 v3, 1, v3
	v_cndmask_b32_e64 v3, v3, 1, vcc_lo
	v_cmp_lt_u32_e32 vcc_lo, v20, v4
	v_and_b32_e32 v40, 0xffff, v3
	v_cndmask_b32_e32 v3, v6, v3, vcc_lo
	v_cndmask_b32_e32 v40, v6, v40, vcc_lo
	s_and_b32 vcc_lo, vcc_lo, s5
	v_cmp_eq_u16_sdwa s5, v3, v16 src0_sel:BYTE_0 src1_sel:DWORD
	s_waitcnt lgkmcnt(0)
	v_cndmask_b32_e32 v6, 0, v8, vcc_lo
	v_and_b32_e32 v8, 1, v3
	ds_bpermute_b32 v41, v30, v40
	v_add_nc_u32_e32 v5, v6, v5
	v_cmp_eq_u32_e32 vcc_lo, 1, v8
	ds_bpermute_b32 v6, v30, v5
	s_waitcnt lgkmcnt(1)
	v_and_b32_e32 v41, 1, v41
	v_cndmask_b32_e64 v8, v41, 1, vcc_lo
	v_cmp_gt_u32_e32 vcc_lo, v31, v4
	v_and_b32_e32 v41, 0xffff, v8
	v_cndmask_b32_e32 v8, v8, v3, vcc_lo
	s_waitcnt lgkmcnt(0)
	v_cndmask_b32_e64 v3, 0, v6, s5
	v_cndmask_b32_e32 v40, v41, v40, vcc_lo
	v_and_b32_e32 v41, 1, v8
	v_cndmask_b32_e64 v3, v3, 0, vcc_lo
	v_cmp_eq_u16_sdwa s5, v8, v16 src0_sel:BYTE_0 src1_sel:DWORD
	ds_bpermute_b32 v6, v32, v40
	v_cmp_eq_u32_e32 vcc_lo, 1, v41
	v_add_nc_u32_e32 v3, v3, v5
	ds_bpermute_b32 v5, v32, v3
	s_waitcnt lgkmcnt(1)
	v_and_b32_e32 v6, 1, v6
	v_cndmask_b32_e64 v6, v6, 1, vcc_lo
	v_cmp_gt_u32_e32 vcc_lo, v33, v4
	s_waitcnt lgkmcnt(0)
	v_cndmask_b32_e64 v5, 0, v5, s5
	s_mov_b32 s5, 0
	v_and_b32_e32 v41, 0xffff, v6
	v_cndmask_b32_e32 v6, v6, v8, vcc_lo
	v_cndmask_b32_e64 v5, v5, 0, vcc_lo
	v_cndmask_b32_e32 v8, v41, v40, vcc_lo
	v_and_b32_e32 v41, 1, v6
	v_add_nc_u32_e32 v3, v5, v3
	ds_bpermute_b32 v40, v34, v8
	v_cmp_eq_u32_e32 vcc_lo, 1, v41
	ds_bpermute_b32 v5, v34, v3
	s_waitcnt lgkmcnt(1)
	v_and_b32_e32 v40, 1, v40
	v_cndmask_b32_e64 v40, v40, 1, vcc_lo
	v_cmp_eq_u16_sdwa vcc_lo, v6, v16 src0_sel:BYTE_0 src1_sel:DWORD
	v_and_b32_e32 v41, 0xffff, v40
	s_waitcnt lgkmcnt(0)
	v_cndmask_b32_e32 v5, 0, v5, vcc_lo
	v_cmp_gt_u32_e32 vcc_lo, v37, v4
	v_cndmask_b32_e64 v5, v5, 0, vcc_lo
	v_cndmask_b32_e32 v8, v41, v8, vcc_lo
	v_cndmask_b32_e32 v6, v40, v6, vcc_lo
	v_add_nc_u32_e32 v3, v5, v3
	ds_bpermute_b32 v5, v38, v8
	v_and_b32_e32 v40, 1, v6
	ds_bpermute_b32 v8, v38, v3
	v_cmp_eq_u32_e32 vcc_lo, 1, v40
	s_waitcnt lgkmcnt(1)
	v_cndmask_b32_e64 v5, v5, 1, vcc_lo
	v_cmp_eq_u16_sdwa vcc_lo, v6, v16 src0_sel:BYTE_0 src1_sel:DWORD
	s_waitcnt lgkmcnt(0)
	v_cndmask_b32_e32 v8, 0, v8, vcc_lo
	v_cmp_gt_u32_e32 vcc_lo, v39, v4
	v_cndmask_b32_e32 v4, v5, v6, vcc_lo
	v_cndmask_b32_e64 v5, v8, 0, vcc_lo
	v_cmp_eq_u16_sdwa vcc_lo, v35, v16 src0_sel:BYTE_0 src1_sel:DWORD
	v_and_b32_e32 v4, 1, v4
	v_add_nc_u32_e32 v3, v5, v3
	v_and_b32_e32 v5, 1, v35
	v_cndmask_b32_e32 v3, 0, v3, vcc_lo
	v_cmp_eq_u32_e32 vcc_lo, 1, v5
	v_add_nc_u32_e32 v3, v3, v36
	v_cndmask_b32_e64 v4, v4, 1, vcc_lo
.LBB1910_58:                            ;   in Loop: Header=BB1910_59 Depth=1
	s_and_b32 vcc_lo, exec_lo, s5
	s_cbranch_vccnz .LBB1910_64
.LBB1910_59:                            ; =>This Loop Header: Depth=1
                                        ;     Child Loop BB1910_62 Depth 2
	v_cmp_ne_u16_sdwa s5, v7, v28 src0_sel:BYTE_0 src1_sel:DWORD
	v_mov_b32_e32 v35, v4
	v_mov_b32_e32 v36, v3
                                        ; implicit-def: $vgpr4
                                        ; implicit-def: $vgpr3
                                        ; implicit-def: $vgpr7
	s_cmp_lg_u32 s5, exec_lo
	s_mov_b32 s5, -1
	s_cbranch_scc1 .LBB1910_58
; %bb.60:                               ;   in Loop: Header=BB1910_59 Depth=1
	v_lshlrev_b64 v[3:4], 4, v[15:16]
	v_add_co_u32 v3, vcc_lo, s24, v3
	v_add_co_ci_u32_e64 v4, null, s25, v4, vcc_lo
	;;#ASMSTART
	global_load_dwordx4 v[5:8], v[3:4] off glc dlc	
s_waitcnt vmcnt(0)
	;;#ASMEND
	v_and_b32_e32 v6, 0xff, v6
	v_cmp_eq_u16_sdwa s13, v7, v16 src0_sel:BYTE_0 src1_sel:DWORD
	s_and_saveexec_b32 s5, s13
	s_cbranch_execz .LBB1910_57
; %bb.61:                               ;   in Loop: Header=BB1910_59 Depth=1
	s_mov_b32 s13, 0
.LBB1910_62:                            ;   Parent Loop BB1910_59 Depth=1
                                        ; =>  This Inner Loop Header: Depth=2
	;;#ASMSTART
	global_load_dwordx4 v[5:8], v[3:4] off glc dlc	
s_waitcnt vmcnt(0)
	;;#ASMEND
	v_cmp_ne_u16_sdwa s16, v7, v16 src0_sel:BYTE_0 src1_sel:DWORD
	s_or_b32 s13, s16, s13
	s_andn2_b32 exec_lo, exec_lo, s13
	s_cbranch_execnz .LBB1910_62
	s_branch .LBB1910_56
.LBB1910_63:
                                        ; implicit-def: $vgpr7
                                        ; implicit-def: $vgpr5
                                        ; implicit-def: $vgpr6
	s_cbranch_execnz .LBB1910_69
	s_branch .LBB1910_86
.LBB1910_64:
	s_and_saveexec_b32 s5, s4
	s_cbranch_execz .LBB1910_66
; %bb.65:
	v_mov_b32_e32 v4, 0
	v_and_b32_e32 v3, 1, v2
	s_mov_b32 s11, 0
	s_add_i32 s10, s27, 32
	v_and_b32_e32 v5, 1, v35
	v_cmp_eq_u32_sdwa vcc_lo, v2, v4 src0_sel:BYTE_0 src1_sel:DWORD
	s_lshl_b64 s[10:11], s[10:11], 4
	s_add_u32 s10, s24, s10
	s_addc_u32 s11, s25, s11
	v_cndmask_b32_e32 v2, 0, v36, vcc_lo
	v_cmp_eq_u32_e32 vcc_lo, 1, v3
	v_mov_b32_e32 v3, 2
	v_add_nc_u32_e32 v1, v2, v1
	v_cndmask_b32_e64 v2, v5, 1, vcc_lo
	v_mov_b32_e32 v5, s10
	v_mov_b32_e32 v6, s11
	;;#ASMSTART
	global_store_dwordx4 v[5:6], v[1:4] off	
s_waitcnt vmcnt(0)
	;;#ASMEND
.LBB1910_66:
	s_or_b32 exec_lo, exec_lo, s5
	s_and_b32 exec_lo, exec_lo, s0
	s_cbranch_execz .LBB1910_68
; %bb.67:
	v_mov_b32_e32 v1, 0
	ds_write_b32 v1, v36 offset:56
	ds_write_b8 v1, v35 offset:60
.LBB1910_68:
	s_or_b32 exec_lo, exec_lo, s12
	v_mov_b32_e32 v1, 0
	s_waitcnt lgkmcnt(0)
	v_cndmask_b32_e64 v2, v27, v25, s4
	v_and_b32_e32 v4, 1, v10
	s_barrier
	buffer_gl0_inv
	ds_read_b32 v3, v1 offset:56
	v_and_b32_e32 v2, 1, v2
	v_cmp_eq_u32_e32 vcc_lo, 1, v4
	v_cndmask_b32_e64 v5, v26, v24, s4
	s_mov_b32 s5, 1
	s_mov_b32 s4, 0
	v_cndmask_b32_e64 v2, v2, 1, vcc_lo
	v_cmp_gt_u64_e32 vcc_lo, s[4:5], v[9:10]
	v_cndmask_b32_e64 v2, v2, v10, s0
	v_cndmask_b32_e32 v4, 0, v5, vcc_lo
	v_cmp_eq_u16_sdwa vcc_lo, v2, v1 src0_sel:BYTE_0 src1_sel:DWORD
	v_cndmask_b32_e64 v4, v4, 0, s0
	s_waitcnt lgkmcnt(0)
	v_cndmask_b32_e32 v1, 0, v3, vcc_lo
	v_add3_u32 v7, v4, v9, v1
	v_cndmask_b32_e64 v1, 0, v7, s2
	v_add_nc_u32_e32 v5, v1, v11
	v_cndmask_b32_e64 v1, 0, v5, s3
	v_add_nc_u32_e32 v6, v1, v13
	s_branch .LBB1910_86
.LBB1910_69:
	s_cmp_lg_u64 s[28:29], 0
	s_cselect_b32 s2, -1, 0
	s_cmp_lg_u64 s[18:19], 0
	s_cselect_b32 s3, -1, 0
	s_and_b32 s2, s2, s3
	s_and_b32 s3, s0, s2
	s_and_saveexec_b32 s2, s3
	s_cbranch_execz .LBB1910_71
; %bb.70:
	v_mov_b32_e32 v1, 0
	s_mov_b32 s4, 0
	s_mov_b32 s5, 1
	s_clause 0x1
	global_load_dword v2, v1, s[18:19]
	global_load_ubyte v3, v1, s[18:19] offset:4
	v_cmp_gt_u64_e32 vcc_lo, s[4:5], v[9:10]
	s_waitcnt vmcnt(1)
	v_cndmask_b32_e32 v4, 0, v2, vcc_lo
	v_and_b32_e32 v2, 1, v10
	s_waitcnt vmcnt(0)
	v_and_b32_e32 v3, 1, v3
	v_add_nc_u32_e32 v9, v4, v9
	v_cmp_eq_u64_e32 vcc_lo, 0, v[1:2]
	v_cndmask_b32_e32 v10, 1, v3, vcc_lo
.LBB1910_71:
	s_or_b32 exec_lo, exec_lo, s2
	v_and_b32_e32 v2, 0xff, v23
	v_mov_b32_e32 v1, 0
	s_mov_b32 s4, 0
	s_mov_b32 s5, 1
	v_and_b32_e32 v7, 15, v20
	v_cmp_eq_u64_e32 vcc_lo, 0, v[1:2]
	v_cmp_eq_u32_e64 s3, 0, v7
	v_cndmask_b32_e32 v2, 1, v10, vcc_lo
	v_cmp_gt_u64_e32 vcc_lo, s[4:5], v[11:12]
	v_and_b32_e32 v3, 0xff, v2
	v_and_b32_e32 v6, 1, v2
	v_cndmask_b32_e32 v5, 0, v9, vcc_lo
	v_mov_b32_dpp v4, v3 row_shr:1 row_mask:0xf bank_mask:0xf
	v_cmp_eq_u32_e64 s2, 1, v6
	v_add_nc_u32_e32 v5, v5, v11
	v_and_b32_e32 v4, 1, v4
	v_cndmask_b32_e64 v4, v4, 1, s2
	v_cmp_gt_u64_e64 s2, s[4:5], v[13:14]
	v_cmp_eq_u16_e64 s4, 0, v3
	v_cndmask_b32_e64 v8, v4, v3, s3
	v_cndmask_b32_e64 v2, v4, v2, s3
	;; [unrolled: 1-line block ×3, first 2 shown]
	v_mov_b32_dpp v4, v8 row_shr:2 row_mask:0xf bank_mask:0xf
	v_and_b32_e32 v14, 1, v2
	v_add_nc_u32_e32 v6, v6, v13
	v_and_b32_e32 v4, 1, v4
	v_mov_b32_dpp v12, v6 row_shr:1 row_mask:0xf bank_mask:0xf
	v_cndmask_b32_e64 v3, 0, v12, s4
	v_cmp_eq_u32_e64 s4, 1, v14
	v_cndmask_b32_e64 v3, v3, 0, s3
	v_cndmask_b32_e64 v4, v4, 1, s4
	v_cmp_lt_u32_e64 s4, 1, v7
	v_cmp_eq_u16_sdwa s3, v2, v1 src0_sel:BYTE_0 src1_sel:DWORD
	v_add_nc_u32_e32 v3, v3, v6
	v_cndmask_b32_e64 v12, v2, v4, s4
	v_cndmask_b32_e64 v4, v8, v4, s4
	s_and_b32 s3, s4, s3
	v_mov_b32_dpp v2, v3 row_shr:2 row_mask:0xf bank_mask:0xf
	v_and_b32_e32 v14, 1, v12
	v_mov_b32_dpp v8, v4 row_shr:4 row_mask:0xf bank_mask:0xf
	v_cmp_eq_u16_sdwa s4, v12, v1 src0_sel:BYTE_0 src1_sel:DWORD
	v_cndmask_b32_e64 v2, 0, v2, s3
	v_cmp_eq_u32_e64 s3, 1, v14
	v_and_b32_e32 v8, 1, v8
	v_add_nc_u32_e32 v2, v2, v3
	v_cndmask_b32_e64 v8, v8, 1, s3
	v_cmp_lt_u32_e64 s3, 3, v7
	v_cndmask_b32_e64 v3, v12, v8, s3
	v_cndmask_b32_e64 v4, v4, v8, s3
	v_mov_b32_dpp v8, v2 row_shr:4 row_mask:0xf bank_mask:0xf
	s_and_b32 s3, s3, s4
	v_and_b32_e32 v14, 1, v3
	v_mov_b32_dpp v12, v4 row_shr:8 row_mask:0xf bank_mask:0xf
	v_cndmask_b32_e64 v8, 0, v8, s3
	v_cmp_eq_u16_sdwa s4, v3, v1 src0_sel:BYTE_0 src1_sel:DWORD
	v_cmp_eq_u32_e64 s3, 1, v14
	v_and_b32_e32 v12, 1, v12
	v_add_nc_u32_e32 v2, v8, v2
	v_cndmask_b32_e64 v8, v12, 1, s3
	v_cmp_lt_u32_e64 s3, 7, v7
	v_mov_b32_dpp v7, v2 row_shr:8 row_mask:0xf bank_mask:0xf
	v_bfe_i32 v12, v20, 4, 1
	s_and_b32 s4, s3, s4
	v_cndmask_b32_e64 v4, v4, v8, s3
	v_cndmask_b32_e64 v7, 0, v7, s4
	;; [unrolled: 1-line block ×3, first 2 shown]
	s_mov_b32 s4, exec_lo
	v_add_nc_u32_e32 v2, v7, v2
	ds_swizzle_b32 v7, v4 offset:swizzle(BROADCAST,32,15)
	v_and_b32_e32 v14, 1, v3
	v_cmp_eq_u16_sdwa s3, v3, v1 src0_sel:BYTE_0 src1_sel:DWORD
	v_and_b32_e32 v3, 16, v20
	ds_swizzle_b32 v8, v2 offset:swizzle(BROADCAST,32,15)
	s_waitcnt lgkmcnt(1)
	v_and_b32_e32 v7, 1, v7
	s_waitcnt lgkmcnt(0)
	v_cndmask_b32_e64 v1, 0, v8, s3
	v_cmp_eq_u32_e64 s3, 1, v14
	v_and_b32_e32 v1, v12, v1
	v_cndmask_b32_e64 v7, v7, 1, s3
	v_cmp_eq_u32_e64 s3, 0, v3
	v_add_nc_u32_e32 v3, v1, v2
	v_cndmask_b32_e64 v4, v7, v4, s3
	v_cmpx_eq_u32_e64 v0, v22
	s_cbranch_execz .LBB1910_73
; %bb.72:
	v_lshlrev_b32_e32 v1, 3, v21
	ds_write_b32 v1, v3
	ds_write_b8 v1, v4 offset:4
.LBB1910_73:
	s_or_b32 exec_lo, exec_lo, s4
	s_mov_b32 s4, exec_lo
	s_waitcnt lgkmcnt(0)
	s_barrier
	buffer_gl0_inv
	v_cmpx_gt_u32_e32 8, v0
	s_cbranch_execz .LBB1910_79
; %bb.74:
	ds_read_b64 v[1:2], v18
	v_and_b32_e32 v7, 7, v20
	s_mov_b32 s5, exec_lo
	s_waitcnt lgkmcnt(0)
	v_and_b32_e32 v8, 0xffffff00, v2
	v_mov_b32_dpp v14, v1 row_shr:1 row_mask:0xf bank_mask:0xf
	v_mov_b32_dpp v15, v2 row_shr:1 row_mask:0xf bank_mask:0xf
	v_mov_b32_e32 v12, v2
	v_cmpx_ne_u32_e32 0, v7
	s_cbranch_execz .LBB1910_76
; %bb.75:
	v_mov_b32_e32 v12, 0
	v_and_b32_e32 v16, 1, v2
	v_and_b32_e32 v15, 1, v15
	v_cmp_eq_u16_sdwa s3, v2, v12 src0_sel:BYTE_0 src1_sel:DWORD
	v_cndmask_b32_e64 v2, 0, v14, s3
	v_cmp_eq_u32_e64 s3, 1, v16
	v_add_nc_u32_e32 v1, v2, v1
	v_cndmask_b32_e64 v14, v15, 1, s3
	v_or_b32_sdwa v12, v8, v14 dst_sel:DWORD dst_unused:UNUSED_PAD src0_sel:DWORD src1_sel:WORD_0
	v_mov_b32_e32 v2, v14
.LBB1910_76:
	s_or_b32 exec_lo, exec_lo, s5
	v_mov_b32_dpp v14, v1 row_shr:2 row_mask:0xf bank_mask:0xf
	v_mov_b32_dpp v15, v12 row_shr:2 row_mask:0xf bank_mask:0xf
	s_mov_b32 s5, exec_lo
	v_cmpx_lt_u32_e32 1, v7
	s_cbranch_execz .LBB1910_78
; %bb.77:
	v_mov_b32_e32 v12, 0
	v_and_b32_e32 v16, 1, v2
	v_and_b32_e32 v15, 1, v15
	v_cmp_eq_u16_sdwa s3, v2, v12 src0_sel:BYTE_0 src1_sel:DWORD
	v_cndmask_b32_e64 v2, 0, v14, s3
	v_cmp_eq_u32_e64 s3, 1, v16
	v_add_nc_u32_e32 v1, v2, v1
	v_cndmask_b32_e64 v14, v15, 1, s3
	v_or_b32_sdwa v12, v8, v14 dst_sel:DWORD dst_unused:UNUSED_PAD src0_sel:DWORD src1_sel:WORD_0
	v_mov_b32_e32 v2, v14
.LBB1910_78:
	s_or_b32 exec_lo, exec_lo, s5
	v_mov_b32_dpp v8, v12 row_shr:4 row_mask:0xf bank_mask:0xf
	v_and_b32_e32 v14, 1, v2
	v_mov_b32_e32 v12, 0
	v_and_b32_e32 v8, 1, v8
	v_cmp_eq_u32_e64 s3, 1, v14
	v_cmp_eq_u16_sdwa s5, v2, v12 src0_sel:BYTE_0 src1_sel:DWORD
	v_cndmask_b32_e64 v8, v8, 1, s3
	v_cmp_lt_u32_e64 s3, 3, v7
	v_mov_b32_dpp v7, v1 row_shr:4 row_mask:0xf bank_mask:0xf
	v_cndmask_b32_e64 v2, v2, v8, s3
	s_and_b32 s3, s3, s5
	v_cndmask_b32_e64 v7, 0, v7, s3
	v_add_nc_u32_e32 v1, v7, v1
	ds_write_b32 v18, v1
	ds_write_b8 v18, v2 offset:4
.LBB1910_79:
	s_or_b32 exec_lo, exec_lo, s4
	v_mov_b32_e32 v1, 0
	s_mov_b32 s4, exec_lo
	s_waitcnt lgkmcnt(0)
	s_barrier
	buffer_gl0_inv
	v_cmpx_lt_u32_e32 31, v0
	s_cbranch_execz .LBB1910_81
; %bb.80:
	v_lshl_add_u32 v1, v21, 3, -8
	v_cmp_eq_u32_e64 s3, 0, v4
	ds_read_b32 v1, v1
	s_waitcnt lgkmcnt(0)
	v_cndmask_b32_e64 v2, 0, v1, s3
	v_add_nc_u32_e32 v3, v2, v3
.LBB1910_81:
	s_or_b32 exec_lo, exec_lo, s4
	v_add_nc_u32_e32 v2, -1, v20
	s_mov_b32 s4, 0
	v_cmp_gt_i32_e64 s3, 0, v2
	v_cndmask_b32_e64 v2, v2, v20, s3
	v_lshlrev_b32_e32 v2, 2, v2
	ds_bpermute_b32 v2, v2, v3
	s_and_saveexec_b32 s3, s1
	s_cbranch_execz .LBB1910_83
; %bb.82:
	v_cmp_eq_u32_e64 s1, 0, v20
	s_mov_b32 s5, 1
	;;#ASMSTART
	;;#ASMEND
	s_waitcnt lgkmcnt(0)
	v_cndmask_b32_e64 v1, v2, v1, s1
	v_cmp_gt_u64_e64 s1, s[4:5], v[9:10]
	v_cndmask_b32_e64 v1, 0, v1, s1
	v_add_nc_u32_e32 v9, v1, v9
	v_cndmask_b32_e32 v1, 0, v9, vcc_lo
	v_add_nc_u32_e32 v5, v1, v11
	v_cndmask_b32_e64 v1, 0, v5, s2
	v_add_nc_u32_e32 v6, v1, v13
.LBB1910_83:
	s_or_b32 exec_lo, exec_lo, s3
	s_and_saveexec_b32 s1, s0
	s_cbranch_execz .LBB1910_85
; %bb.84:
	v_mov_b32_e32 v4, 0
	s_add_u32 s2, s24, 0x200
	s_addc_u32 s3, s25, 0
	v_mov_b32_e32 v3, 2
	v_mov_b32_e32 v8, s3
	ds_read_b32 v1, v4 offset:56
	s_waitcnt lgkmcnt(1)
	ds_read_u8 v2, v4 offset:60
	v_mov_b32_e32 v7, s2
	s_waitcnt lgkmcnt(0)
	;;#ASMSTART
	global_store_dwordx4 v[7:8], v[1:4] off	
s_waitcnt vmcnt(0)
	;;#ASMEND
.LBB1910_85:
	s_or_b32 exec_lo, exec_lo, s1
	v_mov_b32_e32 v7, v9
.LBB1910_86:
	s_add_u32 s0, s14, s6
	s_addc_u32 s1, s15, s7
	s_add_u32 s2, s0, s8
	s_addc_u32 s3, s1, s9
	s_and_b32 vcc_lo, exec_lo, s20
	s_cbranch_vccz .LBB1910_92
; %bb.87:
	v_mul_u32_u24_e32 v1, 3, v0
	s_add_i32 s21, s21, s26
	s_waitcnt lgkmcnt(0)
	s_barrier
	buffer_gl0_inv
	v_add_nc_u32_e32 v2, 1, v1
	v_add_nc_u32_e32 v3, 2, v1
	v_cmp_gt_u32_e32 vcc_lo, s21, v1
	v_lshlrev_b32_e32 v8, 2, v1
	v_cmp_gt_u32_e64 s0, s21, v2
	v_cmp_gt_u32_e64 s1, s21, v3
	v_cndmask_b32_e32 v2, 0, v7, vcc_lo
	v_sub_nc_u32_e32 v4, v8, v18
	s_and_b32 vcc_lo, vcc_lo, s0
	v_cndmask_b32_e32 v1, 0, v5, vcc_lo
	s_and_b32 vcc_lo, vcc_lo, s1
	v_cndmask_b32_e32 v3, 0, v6, vcc_lo
	ds_write2_b32 v8, v2, v1 offset1:1
	ds_write_b32 v8, v3 offset:8
	s_waitcnt lgkmcnt(0)
	s_barrier
	buffer_gl0_inv
	ds_read2st64_b32 v[1:2], v4 offset0:4 offset1:8
	v_add_co_u32 v3, s0, s2, v19
	v_add_co_ci_u32_e64 v4, null, s3, 0, s0
	s_mov_b32 s0, exec_lo
	v_cmpx_gt_u32_e64 s21, v0
	s_cbranch_execz .LBB1910_89
; %bb.88:
	v_sub_nc_u32_e32 v9, 0, v18
	v_add_nc_u32_e32 v8, v8, v9
	ds_read_b32 v8, v8
	s_waitcnt lgkmcnt(0)
	flat_store_dword v[3:4], v8
.LBB1910_89:
	s_or_b32 exec_lo, exec_lo, s0
	v_or_b32_e32 v8, 0x100, v0
	s_mov_b32 s0, exec_lo
	v_cmpx_gt_u32_e64 s21, v8
	s_cbranch_execz .LBB1910_91
; %bb.90:
	s_waitcnt lgkmcnt(0)
	flat_store_dword v[3:4], v1 offset:1024
.LBB1910_91:
	s_or_b32 exec_lo, exec_lo, s0
	s_waitcnt lgkmcnt(0)
	v_or_b32_e32 v1, 0x200, v0
	v_cmp_gt_u32_e64 s0, s21, v1
	s_branch .LBB1910_94
.LBB1910_92:
	s_mov_b32 s0, 0
                                        ; implicit-def: $vgpr2
	s_cbranch_execz .LBB1910_94
; %bb.93:
	v_mul_u32_u24_e32 v1, 12, v0
	s_waitcnt lgkmcnt(0)
	s_waitcnt_vscnt null, 0x0
	s_barrier
	buffer_gl0_inv
	s_or_b32 s0, s0, exec_lo
	v_sub_nc_u32_e32 v2, v1, v18
	ds_write2_b32 v1, v7, v5 offset1:1
	ds_write_b32 v1, v6 offset:8
	s_waitcnt lgkmcnt(0)
	s_barrier
	buffer_gl0_inv
	ds_read2st64_b32 v[3:4], v2 offset1:4
	ds_read_b32 v2, v2 offset:2048
	v_lshlrev_b32_e32 v1, 2, v0
	v_add_co_u32 v5, s1, s2, v1
	v_add_co_ci_u32_e64 v6, null, s3, 0, s1
	s_waitcnt lgkmcnt(1)
	flat_store_dword v[5:6], v3
	flat_store_dword v[5:6], v4 offset:1024
.LBB1910_94:
	s_and_saveexec_b32 s1, s0
	s_cbranch_execnz .LBB1910_96
; %bb.95:
	s_endpgm
.LBB1910_96:
	v_lshlrev_b32_e32 v0, 2, v0
	v_add_co_u32 v0, s0, s2, v0
	v_add_co_ci_u32_e64 v1, null, s3, 0, s0
	v_add_co_u32 v0, vcc_lo, 0x800, v0
	v_add_co_ci_u32_e64 v1, null, 0, v1, vcc_lo
	s_waitcnt lgkmcnt(0)
	flat_store_dword v[0:1], v2
	s_endpgm
.LBB1910_97:
	v_add_co_u32 v10, s2, s5, v6
	v_add_co_ci_u32_e64 v11, null, s30, 0, s2
	flat_load_dword v10, v[10:11]
	s_or_b32 exec_lo, exec_lo, s16
	s_and_saveexec_b32 s2, s3
	s_cbranch_execz .LBB1910_19
.LBB1910_98:
	v_add_co_u32 v8, s3, s5, v6
	v_add_co_ci_u32_e64 v9, null, s30, 0, s3
	flat_load_dword v9, v[8:9] offset:1024
	s_or_b32 exec_lo, exec_lo, s2
	v_mov_b32_e32 v11, 0
	s_and_saveexec_b32 s2, s4
	s_cbranch_execnz .LBB1910_20
	s_branch .LBB1910_21
.LBB1910_99:
                                        ; implicit-def: $sgpr16_sgpr17
	s_branch .LBB1910_14
.LBB1910_100:
                                        ; implicit-def: $sgpr2_sgpr3
	s_branch .LBB1910_30
	.section	.rodata,"a",@progbits
	.p2align	6, 0x0
	.amdhsa_kernel _ZN7rocprim17ROCPRIM_400000_NS6detail17trampoline_kernelINS0_14default_configENS1_27scan_by_key_config_selectorIj11FixedVectorIiLj1EEEEZZNS1_16scan_by_key_implILNS1_25lookback_scan_determinismE0ELb0ES3_N6thrust23THRUST_200600_302600_NS6detail15normal_iteratorINSB_10device_ptrIjEEEENSD_INSE_IS6_EEEESI_S6_NSB_4plusIvEENSB_8equal_toIvEES6_EE10hipError_tPvRmT2_T3_T4_T5_mT6_T7_P12ihipStream_tbENKUlT_T0_E_clISt17integral_constantIbLb0EES12_IbLb1EEEEDaSY_SZ_EUlSY_E_NS1_11comp_targetILNS1_3genE8ELNS1_11target_archE1030ELNS1_3gpuE2ELNS1_3repE0EEENS1_30default_config_static_selectorELNS0_4arch9wavefront6targetE0EEEvT1_
		.amdhsa_group_segment_fixed_size 5120
		.amdhsa_private_segment_fixed_size 0
		.amdhsa_kernarg_size 112
		.amdhsa_user_sgpr_count 6
		.amdhsa_user_sgpr_private_segment_buffer 1
		.amdhsa_user_sgpr_dispatch_ptr 0
		.amdhsa_user_sgpr_queue_ptr 0
		.amdhsa_user_sgpr_kernarg_segment_ptr 1
		.amdhsa_user_sgpr_dispatch_id 0
		.amdhsa_user_sgpr_flat_scratch_init 0
		.amdhsa_user_sgpr_private_segment_size 0
		.amdhsa_wavefront_size32 1
		.amdhsa_uses_dynamic_stack 0
		.amdhsa_system_sgpr_private_segment_wavefront_offset 0
		.amdhsa_system_sgpr_workgroup_id_x 1
		.amdhsa_system_sgpr_workgroup_id_y 0
		.amdhsa_system_sgpr_workgroup_id_z 0
		.amdhsa_system_sgpr_workgroup_info 0
		.amdhsa_system_vgpr_workitem_id 0
		.amdhsa_next_free_vgpr 42
		.amdhsa_next_free_sgpr 34
		.amdhsa_reserve_vcc 1
		.amdhsa_reserve_flat_scratch 1
		.amdhsa_float_round_mode_32 0
		.amdhsa_float_round_mode_16_64 0
		.amdhsa_float_denorm_mode_32 3
		.amdhsa_float_denorm_mode_16_64 3
		.amdhsa_dx10_clamp 1
		.amdhsa_ieee_mode 1
		.amdhsa_fp16_overflow 0
		.amdhsa_workgroup_processor_mode 1
		.amdhsa_memory_ordered 1
		.amdhsa_forward_progress 1
		.amdhsa_shared_vgpr_count 0
		.amdhsa_exception_fp_ieee_invalid_op 0
		.amdhsa_exception_fp_denorm_src 0
		.amdhsa_exception_fp_ieee_div_zero 0
		.amdhsa_exception_fp_ieee_overflow 0
		.amdhsa_exception_fp_ieee_underflow 0
		.amdhsa_exception_fp_ieee_inexact 0
		.amdhsa_exception_int_div_zero 0
	.end_amdhsa_kernel
	.section	.text._ZN7rocprim17ROCPRIM_400000_NS6detail17trampoline_kernelINS0_14default_configENS1_27scan_by_key_config_selectorIj11FixedVectorIiLj1EEEEZZNS1_16scan_by_key_implILNS1_25lookback_scan_determinismE0ELb0ES3_N6thrust23THRUST_200600_302600_NS6detail15normal_iteratorINSB_10device_ptrIjEEEENSD_INSE_IS6_EEEESI_S6_NSB_4plusIvEENSB_8equal_toIvEES6_EE10hipError_tPvRmT2_T3_T4_T5_mT6_T7_P12ihipStream_tbENKUlT_T0_E_clISt17integral_constantIbLb0EES12_IbLb1EEEEDaSY_SZ_EUlSY_E_NS1_11comp_targetILNS1_3genE8ELNS1_11target_archE1030ELNS1_3gpuE2ELNS1_3repE0EEENS1_30default_config_static_selectorELNS0_4arch9wavefront6targetE0EEEvT1_,"axG",@progbits,_ZN7rocprim17ROCPRIM_400000_NS6detail17trampoline_kernelINS0_14default_configENS1_27scan_by_key_config_selectorIj11FixedVectorIiLj1EEEEZZNS1_16scan_by_key_implILNS1_25lookback_scan_determinismE0ELb0ES3_N6thrust23THRUST_200600_302600_NS6detail15normal_iteratorINSB_10device_ptrIjEEEENSD_INSE_IS6_EEEESI_S6_NSB_4plusIvEENSB_8equal_toIvEES6_EE10hipError_tPvRmT2_T3_T4_T5_mT6_T7_P12ihipStream_tbENKUlT_T0_E_clISt17integral_constantIbLb0EES12_IbLb1EEEEDaSY_SZ_EUlSY_E_NS1_11comp_targetILNS1_3genE8ELNS1_11target_archE1030ELNS1_3gpuE2ELNS1_3repE0EEENS1_30default_config_static_selectorELNS0_4arch9wavefront6targetE0EEEvT1_,comdat
.Lfunc_end1910:
	.size	_ZN7rocprim17ROCPRIM_400000_NS6detail17trampoline_kernelINS0_14default_configENS1_27scan_by_key_config_selectorIj11FixedVectorIiLj1EEEEZZNS1_16scan_by_key_implILNS1_25lookback_scan_determinismE0ELb0ES3_N6thrust23THRUST_200600_302600_NS6detail15normal_iteratorINSB_10device_ptrIjEEEENSD_INSE_IS6_EEEESI_S6_NSB_4plusIvEENSB_8equal_toIvEES6_EE10hipError_tPvRmT2_T3_T4_T5_mT6_T7_P12ihipStream_tbENKUlT_T0_E_clISt17integral_constantIbLb0EES12_IbLb1EEEEDaSY_SZ_EUlSY_E_NS1_11comp_targetILNS1_3genE8ELNS1_11target_archE1030ELNS1_3gpuE2ELNS1_3repE0EEENS1_30default_config_static_selectorELNS0_4arch9wavefront6targetE0EEEvT1_, .Lfunc_end1910-_ZN7rocprim17ROCPRIM_400000_NS6detail17trampoline_kernelINS0_14default_configENS1_27scan_by_key_config_selectorIj11FixedVectorIiLj1EEEEZZNS1_16scan_by_key_implILNS1_25lookback_scan_determinismE0ELb0ES3_N6thrust23THRUST_200600_302600_NS6detail15normal_iteratorINSB_10device_ptrIjEEEENSD_INSE_IS6_EEEESI_S6_NSB_4plusIvEENSB_8equal_toIvEES6_EE10hipError_tPvRmT2_T3_T4_T5_mT6_T7_P12ihipStream_tbENKUlT_T0_E_clISt17integral_constantIbLb0EES12_IbLb1EEEEDaSY_SZ_EUlSY_E_NS1_11comp_targetILNS1_3genE8ELNS1_11target_archE1030ELNS1_3gpuE2ELNS1_3repE0EEENS1_30default_config_static_selectorELNS0_4arch9wavefront6targetE0EEEvT1_
                                        ; -- End function
	.set _ZN7rocprim17ROCPRIM_400000_NS6detail17trampoline_kernelINS0_14default_configENS1_27scan_by_key_config_selectorIj11FixedVectorIiLj1EEEEZZNS1_16scan_by_key_implILNS1_25lookback_scan_determinismE0ELb0ES3_N6thrust23THRUST_200600_302600_NS6detail15normal_iteratorINSB_10device_ptrIjEEEENSD_INSE_IS6_EEEESI_S6_NSB_4plusIvEENSB_8equal_toIvEES6_EE10hipError_tPvRmT2_T3_T4_T5_mT6_T7_P12ihipStream_tbENKUlT_T0_E_clISt17integral_constantIbLb0EES12_IbLb1EEEEDaSY_SZ_EUlSY_E_NS1_11comp_targetILNS1_3genE8ELNS1_11target_archE1030ELNS1_3gpuE2ELNS1_3repE0EEENS1_30default_config_static_selectorELNS0_4arch9wavefront6targetE0EEEvT1_.num_vgpr, 42
	.set _ZN7rocprim17ROCPRIM_400000_NS6detail17trampoline_kernelINS0_14default_configENS1_27scan_by_key_config_selectorIj11FixedVectorIiLj1EEEEZZNS1_16scan_by_key_implILNS1_25lookback_scan_determinismE0ELb0ES3_N6thrust23THRUST_200600_302600_NS6detail15normal_iteratorINSB_10device_ptrIjEEEENSD_INSE_IS6_EEEESI_S6_NSB_4plusIvEENSB_8equal_toIvEES6_EE10hipError_tPvRmT2_T3_T4_T5_mT6_T7_P12ihipStream_tbENKUlT_T0_E_clISt17integral_constantIbLb0EES12_IbLb1EEEEDaSY_SZ_EUlSY_E_NS1_11comp_targetILNS1_3genE8ELNS1_11target_archE1030ELNS1_3gpuE2ELNS1_3repE0EEENS1_30default_config_static_selectorELNS0_4arch9wavefront6targetE0EEEvT1_.num_agpr, 0
	.set _ZN7rocprim17ROCPRIM_400000_NS6detail17trampoline_kernelINS0_14default_configENS1_27scan_by_key_config_selectorIj11FixedVectorIiLj1EEEEZZNS1_16scan_by_key_implILNS1_25lookback_scan_determinismE0ELb0ES3_N6thrust23THRUST_200600_302600_NS6detail15normal_iteratorINSB_10device_ptrIjEEEENSD_INSE_IS6_EEEESI_S6_NSB_4plusIvEENSB_8equal_toIvEES6_EE10hipError_tPvRmT2_T3_T4_T5_mT6_T7_P12ihipStream_tbENKUlT_T0_E_clISt17integral_constantIbLb0EES12_IbLb1EEEEDaSY_SZ_EUlSY_E_NS1_11comp_targetILNS1_3genE8ELNS1_11target_archE1030ELNS1_3gpuE2ELNS1_3repE0EEENS1_30default_config_static_selectorELNS0_4arch9wavefront6targetE0EEEvT1_.numbered_sgpr, 34
	.set _ZN7rocprim17ROCPRIM_400000_NS6detail17trampoline_kernelINS0_14default_configENS1_27scan_by_key_config_selectorIj11FixedVectorIiLj1EEEEZZNS1_16scan_by_key_implILNS1_25lookback_scan_determinismE0ELb0ES3_N6thrust23THRUST_200600_302600_NS6detail15normal_iteratorINSB_10device_ptrIjEEEENSD_INSE_IS6_EEEESI_S6_NSB_4plusIvEENSB_8equal_toIvEES6_EE10hipError_tPvRmT2_T3_T4_T5_mT6_T7_P12ihipStream_tbENKUlT_T0_E_clISt17integral_constantIbLb0EES12_IbLb1EEEEDaSY_SZ_EUlSY_E_NS1_11comp_targetILNS1_3genE8ELNS1_11target_archE1030ELNS1_3gpuE2ELNS1_3repE0EEENS1_30default_config_static_selectorELNS0_4arch9wavefront6targetE0EEEvT1_.num_named_barrier, 0
	.set _ZN7rocprim17ROCPRIM_400000_NS6detail17trampoline_kernelINS0_14default_configENS1_27scan_by_key_config_selectorIj11FixedVectorIiLj1EEEEZZNS1_16scan_by_key_implILNS1_25lookback_scan_determinismE0ELb0ES3_N6thrust23THRUST_200600_302600_NS6detail15normal_iteratorINSB_10device_ptrIjEEEENSD_INSE_IS6_EEEESI_S6_NSB_4plusIvEENSB_8equal_toIvEES6_EE10hipError_tPvRmT2_T3_T4_T5_mT6_T7_P12ihipStream_tbENKUlT_T0_E_clISt17integral_constantIbLb0EES12_IbLb1EEEEDaSY_SZ_EUlSY_E_NS1_11comp_targetILNS1_3genE8ELNS1_11target_archE1030ELNS1_3gpuE2ELNS1_3repE0EEENS1_30default_config_static_selectorELNS0_4arch9wavefront6targetE0EEEvT1_.private_seg_size, 0
	.set _ZN7rocprim17ROCPRIM_400000_NS6detail17trampoline_kernelINS0_14default_configENS1_27scan_by_key_config_selectorIj11FixedVectorIiLj1EEEEZZNS1_16scan_by_key_implILNS1_25lookback_scan_determinismE0ELb0ES3_N6thrust23THRUST_200600_302600_NS6detail15normal_iteratorINSB_10device_ptrIjEEEENSD_INSE_IS6_EEEESI_S6_NSB_4plusIvEENSB_8equal_toIvEES6_EE10hipError_tPvRmT2_T3_T4_T5_mT6_T7_P12ihipStream_tbENKUlT_T0_E_clISt17integral_constantIbLb0EES12_IbLb1EEEEDaSY_SZ_EUlSY_E_NS1_11comp_targetILNS1_3genE8ELNS1_11target_archE1030ELNS1_3gpuE2ELNS1_3repE0EEENS1_30default_config_static_selectorELNS0_4arch9wavefront6targetE0EEEvT1_.uses_vcc, 1
	.set _ZN7rocprim17ROCPRIM_400000_NS6detail17trampoline_kernelINS0_14default_configENS1_27scan_by_key_config_selectorIj11FixedVectorIiLj1EEEEZZNS1_16scan_by_key_implILNS1_25lookback_scan_determinismE0ELb0ES3_N6thrust23THRUST_200600_302600_NS6detail15normal_iteratorINSB_10device_ptrIjEEEENSD_INSE_IS6_EEEESI_S6_NSB_4plusIvEENSB_8equal_toIvEES6_EE10hipError_tPvRmT2_T3_T4_T5_mT6_T7_P12ihipStream_tbENKUlT_T0_E_clISt17integral_constantIbLb0EES12_IbLb1EEEEDaSY_SZ_EUlSY_E_NS1_11comp_targetILNS1_3genE8ELNS1_11target_archE1030ELNS1_3gpuE2ELNS1_3repE0EEENS1_30default_config_static_selectorELNS0_4arch9wavefront6targetE0EEEvT1_.uses_flat_scratch, 1
	.set _ZN7rocprim17ROCPRIM_400000_NS6detail17trampoline_kernelINS0_14default_configENS1_27scan_by_key_config_selectorIj11FixedVectorIiLj1EEEEZZNS1_16scan_by_key_implILNS1_25lookback_scan_determinismE0ELb0ES3_N6thrust23THRUST_200600_302600_NS6detail15normal_iteratorINSB_10device_ptrIjEEEENSD_INSE_IS6_EEEESI_S6_NSB_4plusIvEENSB_8equal_toIvEES6_EE10hipError_tPvRmT2_T3_T4_T5_mT6_T7_P12ihipStream_tbENKUlT_T0_E_clISt17integral_constantIbLb0EES12_IbLb1EEEEDaSY_SZ_EUlSY_E_NS1_11comp_targetILNS1_3genE8ELNS1_11target_archE1030ELNS1_3gpuE2ELNS1_3repE0EEENS1_30default_config_static_selectorELNS0_4arch9wavefront6targetE0EEEvT1_.has_dyn_sized_stack, 0
	.set _ZN7rocprim17ROCPRIM_400000_NS6detail17trampoline_kernelINS0_14default_configENS1_27scan_by_key_config_selectorIj11FixedVectorIiLj1EEEEZZNS1_16scan_by_key_implILNS1_25lookback_scan_determinismE0ELb0ES3_N6thrust23THRUST_200600_302600_NS6detail15normal_iteratorINSB_10device_ptrIjEEEENSD_INSE_IS6_EEEESI_S6_NSB_4plusIvEENSB_8equal_toIvEES6_EE10hipError_tPvRmT2_T3_T4_T5_mT6_T7_P12ihipStream_tbENKUlT_T0_E_clISt17integral_constantIbLb0EES12_IbLb1EEEEDaSY_SZ_EUlSY_E_NS1_11comp_targetILNS1_3genE8ELNS1_11target_archE1030ELNS1_3gpuE2ELNS1_3repE0EEENS1_30default_config_static_selectorELNS0_4arch9wavefront6targetE0EEEvT1_.has_recursion, 0
	.set _ZN7rocprim17ROCPRIM_400000_NS6detail17trampoline_kernelINS0_14default_configENS1_27scan_by_key_config_selectorIj11FixedVectorIiLj1EEEEZZNS1_16scan_by_key_implILNS1_25lookback_scan_determinismE0ELb0ES3_N6thrust23THRUST_200600_302600_NS6detail15normal_iteratorINSB_10device_ptrIjEEEENSD_INSE_IS6_EEEESI_S6_NSB_4plusIvEENSB_8equal_toIvEES6_EE10hipError_tPvRmT2_T3_T4_T5_mT6_T7_P12ihipStream_tbENKUlT_T0_E_clISt17integral_constantIbLb0EES12_IbLb1EEEEDaSY_SZ_EUlSY_E_NS1_11comp_targetILNS1_3genE8ELNS1_11target_archE1030ELNS1_3gpuE2ELNS1_3repE0EEENS1_30default_config_static_selectorELNS0_4arch9wavefront6targetE0EEEvT1_.has_indirect_call, 0
	.section	.AMDGPU.csdata,"",@progbits
; Kernel info:
; codeLenInByte = 6264
; TotalNumSgprs: 36
; NumVgprs: 42
; ScratchSize: 0
; MemoryBound: 0
; FloatMode: 240
; IeeeMode: 1
; LDSByteSize: 5120 bytes/workgroup (compile time only)
; SGPRBlocks: 0
; VGPRBlocks: 5
; NumSGPRsForWavesPerEU: 36
; NumVGPRsForWavesPerEU: 42
; Occupancy: 16
; WaveLimiterHint : 1
; COMPUTE_PGM_RSRC2:SCRATCH_EN: 0
; COMPUTE_PGM_RSRC2:USER_SGPR: 6
; COMPUTE_PGM_RSRC2:TRAP_HANDLER: 0
; COMPUTE_PGM_RSRC2:TGID_X_EN: 1
; COMPUTE_PGM_RSRC2:TGID_Y_EN: 0
; COMPUTE_PGM_RSRC2:TGID_Z_EN: 0
; COMPUTE_PGM_RSRC2:TIDIG_COMP_CNT: 0
	.section	.text._ZN7rocprim17ROCPRIM_400000_NS6detail17trampoline_kernelINS0_14default_configENS1_27scan_by_key_config_selectorIj11FixedVectorIiLj1EEEEZZNS1_16scan_by_key_implILNS1_25lookback_scan_determinismE0ELb1ES3_N6thrust23THRUST_200600_302600_NS6detail15normal_iteratorINSB_10device_ptrIjEEEENSD_INSE_IS6_EEEESI_S6_NSB_4plusIvEENSB_8equal_toIvEES6_EE10hipError_tPvRmT2_T3_T4_T5_mT6_T7_P12ihipStream_tbENKUlT_T0_E_clISt17integral_constantIbLb0EES13_EEDaSY_SZ_EUlSY_E_NS1_11comp_targetILNS1_3genE0ELNS1_11target_archE4294967295ELNS1_3gpuE0ELNS1_3repE0EEENS1_30default_config_static_selectorELNS0_4arch9wavefront6targetE0EEEvT1_,"axG",@progbits,_ZN7rocprim17ROCPRIM_400000_NS6detail17trampoline_kernelINS0_14default_configENS1_27scan_by_key_config_selectorIj11FixedVectorIiLj1EEEEZZNS1_16scan_by_key_implILNS1_25lookback_scan_determinismE0ELb1ES3_N6thrust23THRUST_200600_302600_NS6detail15normal_iteratorINSB_10device_ptrIjEEEENSD_INSE_IS6_EEEESI_S6_NSB_4plusIvEENSB_8equal_toIvEES6_EE10hipError_tPvRmT2_T3_T4_T5_mT6_T7_P12ihipStream_tbENKUlT_T0_E_clISt17integral_constantIbLb0EES13_EEDaSY_SZ_EUlSY_E_NS1_11comp_targetILNS1_3genE0ELNS1_11target_archE4294967295ELNS1_3gpuE0ELNS1_3repE0EEENS1_30default_config_static_selectorELNS0_4arch9wavefront6targetE0EEEvT1_,comdat
	.protected	_ZN7rocprim17ROCPRIM_400000_NS6detail17trampoline_kernelINS0_14default_configENS1_27scan_by_key_config_selectorIj11FixedVectorIiLj1EEEEZZNS1_16scan_by_key_implILNS1_25lookback_scan_determinismE0ELb1ES3_N6thrust23THRUST_200600_302600_NS6detail15normal_iteratorINSB_10device_ptrIjEEEENSD_INSE_IS6_EEEESI_S6_NSB_4plusIvEENSB_8equal_toIvEES6_EE10hipError_tPvRmT2_T3_T4_T5_mT6_T7_P12ihipStream_tbENKUlT_T0_E_clISt17integral_constantIbLb0EES13_EEDaSY_SZ_EUlSY_E_NS1_11comp_targetILNS1_3genE0ELNS1_11target_archE4294967295ELNS1_3gpuE0ELNS1_3repE0EEENS1_30default_config_static_selectorELNS0_4arch9wavefront6targetE0EEEvT1_ ; -- Begin function _ZN7rocprim17ROCPRIM_400000_NS6detail17trampoline_kernelINS0_14default_configENS1_27scan_by_key_config_selectorIj11FixedVectorIiLj1EEEEZZNS1_16scan_by_key_implILNS1_25lookback_scan_determinismE0ELb1ES3_N6thrust23THRUST_200600_302600_NS6detail15normal_iteratorINSB_10device_ptrIjEEEENSD_INSE_IS6_EEEESI_S6_NSB_4plusIvEENSB_8equal_toIvEES6_EE10hipError_tPvRmT2_T3_T4_T5_mT6_T7_P12ihipStream_tbENKUlT_T0_E_clISt17integral_constantIbLb0EES13_EEDaSY_SZ_EUlSY_E_NS1_11comp_targetILNS1_3genE0ELNS1_11target_archE4294967295ELNS1_3gpuE0ELNS1_3repE0EEENS1_30default_config_static_selectorELNS0_4arch9wavefront6targetE0EEEvT1_
	.globl	_ZN7rocprim17ROCPRIM_400000_NS6detail17trampoline_kernelINS0_14default_configENS1_27scan_by_key_config_selectorIj11FixedVectorIiLj1EEEEZZNS1_16scan_by_key_implILNS1_25lookback_scan_determinismE0ELb1ES3_N6thrust23THRUST_200600_302600_NS6detail15normal_iteratorINSB_10device_ptrIjEEEENSD_INSE_IS6_EEEESI_S6_NSB_4plusIvEENSB_8equal_toIvEES6_EE10hipError_tPvRmT2_T3_T4_T5_mT6_T7_P12ihipStream_tbENKUlT_T0_E_clISt17integral_constantIbLb0EES13_EEDaSY_SZ_EUlSY_E_NS1_11comp_targetILNS1_3genE0ELNS1_11target_archE4294967295ELNS1_3gpuE0ELNS1_3repE0EEENS1_30default_config_static_selectorELNS0_4arch9wavefront6targetE0EEEvT1_
	.p2align	8
	.type	_ZN7rocprim17ROCPRIM_400000_NS6detail17trampoline_kernelINS0_14default_configENS1_27scan_by_key_config_selectorIj11FixedVectorIiLj1EEEEZZNS1_16scan_by_key_implILNS1_25lookback_scan_determinismE0ELb1ES3_N6thrust23THRUST_200600_302600_NS6detail15normal_iteratorINSB_10device_ptrIjEEEENSD_INSE_IS6_EEEESI_S6_NSB_4plusIvEENSB_8equal_toIvEES6_EE10hipError_tPvRmT2_T3_T4_T5_mT6_T7_P12ihipStream_tbENKUlT_T0_E_clISt17integral_constantIbLb0EES13_EEDaSY_SZ_EUlSY_E_NS1_11comp_targetILNS1_3genE0ELNS1_11target_archE4294967295ELNS1_3gpuE0ELNS1_3repE0EEENS1_30default_config_static_selectorELNS0_4arch9wavefront6targetE0EEEvT1_,@function
_ZN7rocprim17ROCPRIM_400000_NS6detail17trampoline_kernelINS0_14default_configENS1_27scan_by_key_config_selectorIj11FixedVectorIiLj1EEEEZZNS1_16scan_by_key_implILNS1_25lookback_scan_determinismE0ELb1ES3_N6thrust23THRUST_200600_302600_NS6detail15normal_iteratorINSB_10device_ptrIjEEEENSD_INSE_IS6_EEEESI_S6_NSB_4plusIvEENSB_8equal_toIvEES6_EE10hipError_tPvRmT2_T3_T4_T5_mT6_T7_P12ihipStream_tbENKUlT_T0_E_clISt17integral_constantIbLb0EES13_EEDaSY_SZ_EUlSY_E_NS1_11comp_targetILNS1_3genE0ELNS1_11target_archE4294967295ELNS1_3gpuE0ELNS1_3repE0EEENS1_30default_config_static_selectorELNS0_4arch9wavefront6targetE0EEEvT1_: ; @_ZN7rocprim17ROCPRIM_400000_NS6detail17trampoline_kernelINS0_14default_configENS1_27scan_by_key_config_selectorIj11FixedVectorIiLj1EEEEZZNS1_16scan_by_key_implILNS1_25lookback_scan_determinismE0ELb1ES3_N6thrust23THRUST_200600_302600_NS6detail15normal_iteratorINSB_10device_ptrIjEEEENSD_INSE_IS6_EEEESI_S6_NSB_4plusIvEENSB_8equal_toIvEES6_EE10hipError_tPvRmT2_T3_T4_T5_mT6_T7_P12ihipStream_tbENKUlT_T0_E_clISt17integral_constantIbLb0EES13_EEDaSY_SZ_EUlSY_E_NS1_11comp_targetILNS1_3genE0ELNS1_11target_archE4294967295ELNS1_3gpuE0ELNS1_3repE0EEENS1_30default_config_static_selectorELNS0_4arch9wavefront6targetE0EEEvT1_
; %bb.0:
	.section	.rodata,"a",@progbits
	.p2align	6, 0x0
	.amdhsa_kernel _ZN7rocprim17ROCPRIM_400000_NS6detail17trampoline_kernelINS0_14default_configENS1_27scan_by_key_config_selectorIj11FixedVectorIiLj1EEEEZZNS1_16scan_by_key_implILNS1_25lookback_scan_determinismE0ELb1ES3_N6thrust23THRUST_200600_302600_NS6detail15normal_iteratorINSB_10device_ptrIjEEEENSD_INSE_IS6_EEEESI_S6_NSB_4plusIvEENSB_8equal_toIvEES6_EE10hipError_tPvRmT2_T3_T4_T5_mT6_T7_P12ihipStream_tbENKUlT_T0_E_clISt17integral_constantIbLb0EES13_EEDaSY_SZ_EUlSY_E_NS1_11comp_targetILNS1_3genE0ELNS1_11target_archE4294967295ELNS1_3gpuE0ELNS1_3repE0EEENS1_30default_config_static_selectorELNS0_4arch9wavefront6targetE0EEEvT1_
		.amdhsa_group_segment_fixed_size 0
		.amdhsa_private_segment_fixed_size 0
		.amdhsa_kernarg_size 112
		.amdhsa_user_sgpr_count 6
		.amdhsa_user_sgpr_private_segment_buffer 1
		.amdhsa_user_sgpr_dispatch_ptr 0
		.amdhsa_user_sgpr_queue_ptr 0
		.amdhsa_user_sgpr_kernarg_segment_ptr 1
		.amdhsa_user_sgpr_dispatch_id 0
		.amdhsa_user_sgpr_flat_scratch_init 0
		.amdhsa_user_sgpr_private_segment_size 0
		.amdhsa_wavefront_size32 1
		.amdhsa_uses_dynamic_stack 0
		.amdhsa_system_sgpr_private_segment_wavefront_offset 0
		.amdhsa_system_sgpr_workgroup_id_x 1
		.amdhsa_system_sgpr_workgroup_id_y 0
		.amdhsa_system_sgpr_workgroup_id_z 0
		.amdhsa_system_sgpr_workgroup_info 0
		.amdhsa_system_vgpr_workitem_id 0
		.amdhsa_next_free_vgpr 1
		.amdhsa_next_free_sgpr 1
		.amdhsa_reserve_vcc 0
		.amdhsa_reserve_flat_scratch 0
		.amdhsa_float_round_mode_32 0
		.amdhsa_float_round_mode_16_64 0
		.amdhsa_float_denorm_mode_32 3
		.amdhsa_float_denorm_mode_16_64 3
		.amdhsa_dx10_clamp 1
		.amdhsa_ieee_mode 1
		.amdhsa_fp16_overflow 0
		.amdhsa_workgroup_processor_mode 1
		.amdhsa_memory_ordered 1
		.amdhsa_forward_progress 1
		.amdhsa_shared_vgpr_count 0
		.amdhsa_exception_fp_ieee_invalid_op 0
		.amdhsa_exception_fp_denorm_src 0
		.amdhsa_exception_fp_ieee_div_zero 0
		.amdhsa_exception_fp_ieee_overflow 0
		.amdhsa_exception_fp_ieee_underflow 0
		.amdhsa_exception_fp_ieee_inexact 0
		.amdhsa_exception_int_div_zero 0
	.end_amdhsa_kernel
	.section	.text._ZN7rocprim17ROCPRIM_400000_NS6detail17trampoline_kernelINS0_14default_configENS1_27scan_by_key_config_selectorIj11FixedVectorIiLj1EEEEZZNS1_16scan_by_key_implILNS1_25lookback_scan_determinismE0ELb1ES3_N6thrust23THRUST_200600_302600_NS6detail15normal_iteratorINSB_10device_ptrIjEEEENSD_INSE_IS6_EEEESI_S6_NSB_4plusIvEENSB_8equal_toIvEES6_EE10hipError_tPvRmT2_T3_T4_T5_mT6_T7_P12ihipStream_tbENKUlT_T0_E_clISt17integral_constantIbLb0EES13_EEDaSY_SZ_EUlSY_E_NS1_11comp_targetILNS1_3genE0ELNS1_11target_archE4294967295ELNS1_3gpuE0ELNS1_3repE0EEENS1_30default_config_static_selectorELNS0_4arch9wavefront6targetE0EEEvT1_,"axG",@progbits,_ZN7rocprim17ROCPRIM_400000_NS6detail17trampoline_kernelINS0_14default_configENS1_27scan_by_key_config_selectorIj11FixedVectorIiLj1EEEEZZNS1_16scan_by_key_implILNS1_25lookback_scan_determinismE0ELb1ES3_N6thrust23THRUST_200600_302600_NS6detail15normal_iteratorINSB_10device_ptrIjEEEENSD_INSE_IS6_EEEESI_S6_NSB_4plusIvEENSB_8equal_toIvEES6_EE10hipError_tPvRmT2_T3_T4_T5_mT6_T7_P12ihipStream_tbENKUlT_T0_E_clISt17integral_constantIbLb0EES13_EEDaSY_SZ_EUlSY_E_NS1_11comp_targetILNS1_3genE0ELNS1_11target_archE4294967295ELNS1_3gpuE0ELNS1_3repE0EEENS1_30default_config_static_selectorELNS0_4arch9wavefront6targetE0EEEvT1_,comdat
.Lfunc_end1911:
	.size	_ZN7rocprim17ROCPRIM_400000_NS6detail17trampoline_kernelINS0_14default_configENS1_27scan_by_key_config_selectorIj11FixedVectorIiLj1EEEEZZNS1_16scan_by_key_implILNS1_25lookback_scan_determinismE0ELb1ES3_N6thrust23THRUST_200600_302600_NS6detail15normal_iteratorINSB_10device_ptrIjEEEENSD_INSE_IS6_EEEESI_S6_NSB_4plusIvEENSB_8equal_toIvEES6_EE10hipError_tPvRmT2_T3_T4_T5_mT6_T7_P12ihipStream_tbENKUlT_T0_E_clISt17integral_constantIbLb0EES13_EEDaSY_SZ_EUlSY_E_NS1_11comp_targetILNS1_3genE0ELNS1_11target_archE4294967295ELNS1_3gpuE0ELNS1_3repE0EEENS1_30default_config_static_selectorELNS0_4arch9wavefront6targetE0EEEvT1_, .Lfunc_end1911-_ZN7rocprim17ROCPRIM_400000_NS6detail17trampoline_kernelINS0_14default_configENS1_27scan_by_key_config_selectorIj11FixedVectorIiLj1EEEEZZNS1_16scan_by_key_implILNS1_25lookback_scan_determinismE0ELb1ES3_N6thrust23THRUST_200600_302600_NS6detail15normal_iteratorINSB_10device_ptrIjEEEENSD_INSE_IS6_EEEESI_S6_NSB_4plusIvEENSB_8equal_toIvEES6_EE10hipError_tPvRmT2_T3_T4_T5_mT6_T7_P12ihipStream_tbENKUlT_T0_E_clISt17integral_constantIbLb0EES13_EEDaSY_SZ_EUlSY_E_NS1_11comp_targetILNS1_3genE0ELNS1_11target_archE4294967295ELNS1_3gpuE0ELNS1_3repE0EEENS1_30default_config_static_selectorELNS0_4arch9wavefront6targetE0EEEvT1_
                                        ; -- End function
	.set _ZN7rocprim17ROCPRIM_400000_NS6detail17trampoline_kernelINS0_14default_configENS1_27scan_by_key_config_selectorIj11FixedVectorIiLj1EEEEZZNS1_16scan_by_key_implILNS1_25lookback_scan_determinismE0ELb1ES3_N6thrust23THRUST_200600_302600_NS6detail15normal_iteratorINSB_10device_ptrIjEEEENSD_INSE_IS6_EEEESI_S6_NSB_4plusIvEENSB_8equal_toIvEES6_EE10hipError_tPvRmT2_T3_T4_T5_mT6_T7_P12ihipStream_tbENKUlT_T0_E_clISt17integral_constantIbLb0EES13_EEDaSY_SZ_EUlSY_E_NS1_11comp_targetILNS1_3genE0ELNS1_11target_archE4294967295ELNS1_3gpuE0ELNS1_3repE0EEENS1_30default_config_static_selectorELNS0_4arch9wavefront6targetE0EEEvT1_.num_vgpr, 0
	.set _ZN7rocprim17ROCPRIM_400000_NS6detail17trampoline_kernelINS0_14default_configENS1_27scan_by_key_config_selectorIj11FixedVectorIiLj1EEEEZZNS1_16scan_by_key_implILNS1_25lookback_scan_determinismE0ELb1ES3_N6thrust23THRUST_200600_302600_NS6detail15normal_iteratorINSB_10device_ptrIjEEEENSD_INSE_IS6_EEEESI_S6_NSB_4plusIvEENSB_8equal_toIvEES6_EE10hipError_tPvRmT2_T3_T4_T5_mT6_T7_P12ihipStream_tbENKUlT_T0_E_clISt17integral_constantIbLb0EES13_EEDaSY_SZ_EUlSY_E_NS1_11comp_targetILNS1_3genE0ELNS1_11target_archE4294967295ELNS1_3gpuE0ELNS1_3repE0EEENS1_30default_config_static_selectorELNS0_4arch9wavefront6targetE0EEEvT1_.num_agpr, 0
	.set _ZN7rocprim17ROCPRIM_400000_NS6detail17trampoline_kernelINS0_14default_configENS1_27scan_by_key_config_selectorIj11FixedVectorIiLj1EEEEZZNS1_16scan_by_key_implILNS1_25lookback_scan_determinismE0ELb1ES3_N6thrust23THRUST_200600_302600_NS6detail15normal_iteratorINSB_10device_ptrIjEEEENSD_INSE_IS6_EEEESI_S6_NSB_4plusIvEENSB_8equal_toIvEES6_EE10hipError_tPvRmT2_T3_T4_T5_mT6_T7_P12ihipStream_tbENKUlT_T0_E_clISt17integral_constantIbLb0EES13_EEDaSY_SZ_EUlSY_E_NS1_11comp_targetILNS1_3genE0ELNS1_11target_archE4294967295ELNS1_3gpuE0ELNS1_3repE0EEENS1_30default_config_static_selectorELNS0_4arch9wavefront6targetE0EEEvT1_.numbered_sgpr, 0
	.set _ZN7rocprim17ROCPRIM_400000_NS6detail17trampoline_kernelINS0_14default_configENS1_27scan_by_key_config_selectorIj11FixedVectorIiLj1EEEEZZNS1_16scan_by_key_implILNS1_25lookback_scan_determinismE0ELb1ES3_N6thrust23THRUST_200600_302600_NS6detail15normal_iteratorINSB_10device_ptrIjEEEENSD_INSE_IS6_EEEESI_S6_NSB_4plusIvEENSB_8equal_toIvEES6_EE10hipError_tPvRmT2_T3_T4_T5_mT6_T7_P12ihipStream_tbENKUlT_T0_E_clISt17integral_constantIbLb0EES13_EEDaSY_SZ_EUlSY_E_NS1_11comp_targetILNS1_3genE0ELNS1_11target_archE4294967295ELNS1_3gpuE0ELNS1_3repE0EEENS1_30default_config_static_selectorELNS0_4arch9wavefront6targetE0EEEvT1_.num_named_barrier, 0
	.set _ZN7rocprim17ROCPRIM_400000_NS6detail17trampoline_kernelINS0_14default_configENS1_27scan_by_key_config_selectorIj11FixedVectorIiLj1EEEEZZNS1_16scan_by_key_implILNS1_25lookback_scan_determinismE0ELb1ES3_N6thrust23THRUST_200600_302600_NS6detail15normal_iteratorINSB_10device_ptrIjEEEENSD_INSE_IS6_EEEESI_S6_NSB_4plusIvEENSB_8equal_toIvEES6_EE10hipError_tPvRmT2_T3_T4_T5_mT6_T7_P12ihipStream_tbENKUlT_T0_E_clISt17integral_constantIbLb0EES13_EEDaSY_SZ_EUlSY_E_NS1_11comp_targetILNS1_3genE0ELNS1_11target_archE4294967295ELNS1_3gpuE0ELNS1_3repE0EEENS1_30default_config_static_selectorELNS0_4arch9wavefront6targetE0EEEvT1_.private_seg_size, 0
	.set _ZN7rocprim17ROCPRIM_400000_NS6detail17trampoline_kernelINS0_14default_configENS1_27scan_by_key_config_selectorIj11FixedVectorIiLj1EEEEZZNS1_16scan_by_key_implILNS1_25lookback_scan_determinismE0ELb1ES3_N6thrust23THRUST_200600_302600_NS6detail15normal_iteratorINSB_10device_ptrIjEEEENSD_INSE_IS6_EEEESI_S6_NSB_4plusIvEENSB_8equal_toIvEES6_EE10hipError_tPvRmT2_T3_T4_T5_mT6_T7_P12ihipStream_tbENKUlT_T0_E_clISt17integral_constantIbLb0EES13_EEDaSY_SZ_EUlSY_E_NS1_11comp_targetILNS1_3genE0ELNS1_11target_archE4294967295ELNS1_3gpuE0ELNS1_3repE0EEENS1_30default_config_static_selectorELNS0_4arch9wavefront6targetE0EEEvT1_.uses_vcc, 0
	.set _ZN7rocprim17ROCPRIM_400000_NS6detail17trampoline_kernelINS0_14default_configENS1_27scan_by_key_config_selectorIj11FixedVectorIiLj1EEEEZZNS1_16scan_by_key_implILNS1_25lookback_scan_determinismE0ELb1ES3_N6thrust23THRUST_200600_302600_NS6detail15normal_iteratorINSB_10device_ptrIjEEEENSD_INSE_IS6_EEEESI_S6_NSB_4plusIvEENSB_8equal_toIvEES6_EE10hipError_tPvRmT2_T3_T4_T5_mT6_T7_P12ihipStream_tbENKUlT_T0_E_clISt17integral_constantIbLb0EES13_EEDaSY_SZ_EUlSY_E_NS1_11comp_targetILNS1_3genE0ELNS1_11target_archE4294967295ELNS1_3gpuE0ELNS1_3repE0EEENS1_30default_config_static_selectorELNS0_4arch9wavefront6targetE0EEEvT1_.uses_flat_scratch, 0
	.set _ZN7rocprim17ROCPRIM_400000_NS6detail17trampoline_kernelINS0_14default_configENS1_27scan_by_key_config_selectorIj11FixedVectorIiLj1EEEEZZNS1_16scan_by_key_implILNS1_25lookback_scan_determinismE0ELb1ES3_N6thrust23THRUST_200600_302600_NS6detail15normal_iteratorINSB_10device_ptrIjEEEENSD_INSE_IS6_EEEESI_S6_NSB_4plusIvEENSB_8equal_toIvEES6_EE10hipError_tPvRmT2_T3_T4_T5_mT6_T7_P12ihipStream_tbENKUlT_T0_E_clISt17integral_constantIbLb0EES13_EEDaSY_SZ_EUlSY_E_NS1_11comp_targetILNS1_3genE0ELNS1_11target_archE4294967295ELNS1_3gpuE0ELNS1_3repE0EEENS1_30default_config_static_selectorELNS0_4arch9wavefront6targetE0EEEvT1_.has_dyn_sized_stack, 0
	.set _ZN7rocprim17ROCPRIM_400000_NS6detail17trampoline_kernelINS0_14default_configENS1_27scan_by_key_config_selectorIj11FixedVectorIiLj1EEEEZZNS1_16scan_by_key_implILNS1_25lookback_scan_determinismE0ELb1ES3_N6thrust23THRUST_200600_302600_NS6detail15normal_iteratorINSB_10device_ptrIjEEEENSD_INSE_IS6_EEEESI_S6_NSB_4plusIvEENSB_8equal_toIvEES6_EE10hipError_tPvRmT2_T3_T4_T5_mT6_T7_P12ihipStream_tbENKUlT_T0_E_clISt17integral_constantIbLb0EES13_EEDaSY_SZ_EUlSY_E_NS1_11comp_targetILNS1_3genE0ELNS1_11target_archE4294967295ELNS1_3gpuE0ELNS1_3repE0EEENS1_30default_config_static_selectorELNS0_4arch9wavefront6targetE0EEEvT1_.has_recursion, 0
	.set _ZN7rocprim17ROCPRIM_400000_NS6detail17trampoline_kernelINS0_14default_configENS1_27scan_by_key_config_selectorIj11FixedVectorIiLj1EEEEZZNS1_16scan_by_key_implILNS1_25lookback_scan_determinismE0ELb1ES3_N6thrust23THRUST_200600_302600_NS6detail15normal_iteratorINSB_10device_ptrIjEEEENSD_INSE_IS6_EEEESI_S6_NSB_4plusIvEENSB_8equal_toIvEES6_EE10hipError_tPvRmT2_T3_T4_T5_mT6_T7_P12ihipStream_tbENKUlT_T0_E_clISt17integral_constantIbLb0EES13_EEDaSY_SZ_EUlSY_E_NS1_11comp_targetILNS1_3genE0ELNS1_11target_archE4294967295ELNS1_3gpuE0ELNS1_3repE0EEENS1_30default_config_static_selectorELNS0_4arch9wavefront6targetE0EEEvT1_.has_indirect_call, 0
	.section	.AMDGPU.csdata,"",@progbits
; Kernel info:
; codeLenInByte = 0
; TotalNumSgprs: 0
; NumVgprs: 0
; ScratchSize: 0
; MemoryBound: 0
; FloatMode: 240
; IeeeMode: 1
; LDSByteSize: 0 bytes/workgroup (compile time only)
; SGPRBlocks: 0
; VGPRBlocks: 0
; NumSGPRsForWavesPerEU: 1
; NumVGPRsForWavesPerEU: 1
; Occupancy: 16
; WaveLimiterHint : 0
; COMPUTE_PGM_RSRC2:SCRATCH_EN: 0
; COMPUTE_PGM_RSRC2:USER_SGPR: 6
; COMPUTE_PGM_RSRC2:TRAP_HANDLER: 0
; COMPUTE_PGM_RSRC2:TGID_X_EN: 1
; COMPUTE_PGM_RSRC2:TGID_Y_EN: 0
; COMPUTE_PGM_RSRC2:TGID_Z_EN: 0
; COMPUTE_PGM_RSRC2:TIDIG_COMP_CNT: 0
	.section	.text._ZN7rocprim17ROCPRIM_400000_NS6detail17trampoline_kernelINS0_14default_configENS1_27scan_by_key_config_selectorIj11FixedVectorIiLj1EEEEZZNS1_16scan_by_key_implILNS1_25lookback_scan_determinismE0ELb1ES3_N6thrust23THRUST_200600_302600_NS6detail15normal_iteratorINSB_10device_ptrIjEEEENSD_INSE_IS6_EEEESI_S6_NSB_4plusIvEENSB_8equal_toIvEES6_EE10hipError_tPvRmT2_T3_T4_T5_mT6_T7_P12ihipStream_tbENKUlT_T0_E_clISt17integral_constantIbLb0EES13_EEDaSY_SZ_EUlSY_E_NS1_11comp_targetILNS1_3genE10ELNS1_11target_archE1201ELNS1_3gpuE5ELNS1_3repE0EEENS1_30default_config_static_selectorELNS0_4arch9wavefront6targetE0EEEvT1_,"axG",@progbits,_ZN7rocprim17ROCPRIM_400000_NS6detail17trampoline_kernelINS0_14default_configENS1_27scan_by_key_config_selectorIj11FixedVectorIiLj1EEEEZZNS1_16scan_by_key_implILNS1_25lookback_scan_determinismE0ELb1ES3_N6thrust23THRUST_200600_302600_NS6detail15normal_iteratorINSB_10device_ptrIjEEEENSD_INSE_IS6_EEEESI_S6_NSB_4plusIvEENSB_8equal_toIvEES6_EE10hipError_tPvRmT2_T3_T4_T5_mT6_T7_P12ihipStream_tbENKUlT_T0_E_clISt17integral_constantIbLb0EES13_EEDaSY_SZ_EUlSY_E_NS1_11comp_targetILNS1_3genE10ELNS1_11target_archE1201ELNS1_3gpuE5ELNS1_3repE0EEENS1_30default_config_static_selectorELNS0_4arch9wavefront6targetE0EEEvT1_,comdat
	.protected	_ZN7rocprim17ROCPRIM_400000_NS6detail17trampoline_kernelINS0_14default_configENS1_27scan_by_key_config_selectorIj11FixedVectorIiLj1EEEEZZNS1_16scan_by_key_implILNS1_25lookback_scan_determinismE0ELb1ES3_N6thrust23THRUST_200600_302600_NS6detail15normal_iteratorINSB_10device_ptrIjEEEENSD_INSE_IS6_EEEESI_S6_NSB_4plusIvEENSB_8equal_toIvEES6_EE10hipError_tPvRmT2_T3_T4_T5_mT6_T7_P12ihipStream_tbENKUlT_T0_E_clISt17integral_constantIbLb0EES13_EEDaSY_SZ_EUlSY_E_NS1_11comp_targetILNS1_3genE10ELNS1_11target_archE1201ELNS1_3gpuE5ELNS1_3repE0EEENS1_30default_config_static_selectorELNS0_4arch9wavefront6targetE0EEEvT1_ ; -- Begin function _ZN7rocprim17ROCPRIM_400000_NS6detail17trampoline_kernelINS0_14default_configENS1_27scan_by_key_config_selectorIj11FixedVectorIiLj1EEEEZZNS1_16scan_by_key_implILNS1_25lookback_scan_determinismE0ELb1ES3_N6thrust23THRUST_200600_302600_NS6detail15normal_iteratorINSB_10device_ptrIjEEEENSD_INSE_IS6_EEEESI_S6_NSB_4plusIvEENSB_8equal_toIvEES6_EE10hipError_tPvRmT2_T3_T4_T5_mT6_T7_P12ihipStream_tbENKUlT_T0_E_clISt17integral_constantIbLb0EES13_EEDaSY_SZ_EUlSY_E_NS1_11comp_targetILNS1_3genE10ELNS1_11target_archE1201ELNS1_3gpuE5ELNS1_3repE0EEENS1_30default_config_static_selectorELNS0_4arch9wavefront6targetE0EEEvT1_
	.globl	_ZN7rocprim17ROCPRIM_400000_NS6detail17trampoline_kernelINS0_14default_configENS1_27scan_by_key_config_selectorIj11FixedVectorIiLj1EEEEZZNS1_16scan_by_key_implILNS1_25lookback_scan_determinismE0ELb1ES3_N6thrust23THRUST_200600_302600_NS6detail15normal_iteratorINSB_10device_ptrIjEEEENSD_INSE_IS6_EEEESI_S6_NSB_4plusIvEENSB_8equal_toIvEES6_EE10hipError_tPvRmT2_T3_T4_T5_mT6_T7_P12ihipStream_tbENKUlT_T0_E_clISt17integral_constantIbLb0EES13_EEDaSY_SZ_EUlSY_E_NS1_11comp_targetILNS1_3genE10ELNS1_11target_archE1201ELNS1_3gpuE5ELNS1_3repE0EEENS1_30default_config_static_selectorELNS0_4arch9wavefront6targetE0EEEvT1_
	.p2align	8
	.type	_ZN7rocprim17ROCPRIM_400000_NS6detail17trampoline_kernelINS0_14default_configENS1_27scan_by_key_config_selectorIj11FixedVectorIiLj1EEEEZZNS1_16scan_by_key_implILNS1_25lookback_scan_determinismE0ELb1ES3_N6thrust23THRUST_200600_302600_NS6detail15normal_iteratorINSB_10device_ptrIjEEEENSD_INSE_IS6_EEEESI_S6_NSB_4plusIvEENSB_8equal_toIvEES6_EE10hipError_tPvRmT2_T3_T4_T5_mT6_T7_P12ihipStream_tbENKUlT_T0_E_clISt17integral_constantIbLb0EES13_EEDaSY_SZ_EUlSY_E_NS1_11comp_targetILNS1_3genE10ELNS1_11target_archE1201ELNS1_3gpuE5ELNS1_3repE0EEENS1_30default_config_static_selectorELNS0_4arch9wavefront6targetE0EEEvT1_,@function
_ZN7rocprim17ROCPRIM_400000_NS6detail17trampoline_kernelINS0_14default_configENS1_27scan_by_key_config_selectorIj11FixedVectorIiLj1EEEEZZNS1_16scan_by_key_implILNS1_25lookback_scan_determinismE0ELb1ES3_N6thrust23THRUST_200600_302600_NS6detail15normal_iteratorINSB_10device_ptrIjEEEENSD_INSE_IS6_EEEESI_S6_NSB_4plusIvEENSB_8equal_toIvEES6_EE10hipError_tPvRmT2_T3_T4_T5_mT6_T7_P12ihipStream_tbENKUlT_T0_E_clISt17integral_constantIbLb0EES13_EEDaSY_SZ_EUlSY_E_NS1_11comp_targetILNS1_3genE10ELNS1_11target_archE1201ELNS1_3gpuE5ELNS1_3repE0EEENS1_30default_config_static_selectorELNS0_4arch9wavefront6targetE0EEEvT1_: ; @_ZN7rocprim17ROCPRIM_400000_NS6detail17trampoline_kernelINS0_14default_configENS1_27scan_by_key_config_selectorIj11FixedVectorIiLj1EEEEZZNS1_16scan_by_key_implILNS1_25lookback_scan_determinismE0ELb1ES3_N6thrust23THRUST_200600_302600_NS6detail15normal_iteratorINSB_10device_ptrIjEEEENSD_INSE_IS6_EEEESI_S6_NSB_4plusIvEENSB_8equal_toIvEES6_EE10hipError_tPvRmT2_T3_T4_T5_mT6_T7_P12ihipStream_tbENKUlT_T0_E_clISt17integral_constantIbLb0EES13_EEDaSY_SZ_EUlSY_E_NS1_11comp_targetILNS1_3genE10ELNS1_11target_archE1201ELNS1_3gpuE5ELNS1_3repE0EEENS1_30default_config_static_selectorELNS0_4arch9wavefront6targetE0EEEvT1_
; %bb.0:
	.section	.rodata,"a",@progbits
	.p2align	6, 0x0
	.amdhsa_kernel _ZN7rocprim17ROCPRIM_400000_NS6detail17trampoline_kernelINS0_14default_configENS1_27scan_by_key_config_selectorIj11FixedVectorIiLj1EEEEZZNS1_16scan_by_key_implILNS1_25lookback_scan_determinismE0ELb1ES3_N6thrust23THRUST_200600_302600_NS6detail15normal_iteratorINSB_10device_ptrIjEEEENSD_INSE_IS6_EEEESI_S6_NSB_4plusIvEENSB_8equal_toIvEES6_EE10hipError_tPvRmT2_T3_T4_T5_mT6_T7_P12ihipStream_tbENKUlT_T0_E_clISt17integral_constantIbLb0EES13_EEDaSY_SZ_EUlSY_E_NS1_11comp_targetILNS1_3genE10ELNS1_11target_archE1201ELNS1_3gpuE5ELNS1_3repE0EEENS1_30default_config_static_selectorELNS0_4arch9wavefront6targetE0EEEvT1_
		.amdhsa_group_segment_fixed_size 0
		.amdhsa_private_segment_fixed_size 0
		.amdhsa_kernarg_size 112
		.amdhsa_user_sgpr_count 6
		.amdhsa_user_sgpr_private_segment_buffer 1
		.amdhsa_user_sgpr_dispatch_ptr 0
		.amdhsa_user_sgpr_queue_ptr 0
		.amdhsa_user_sgpr_kernarg_segment_ptr 1
		.amdhsa_user_sgpr_dispatch_id 0
		.amdhsa_user_sgpr_flat_scratch_init 0
		.amdhsa_user_sgpr_private_segment_size 0
		.amdhsa_wavefront_size32 1
		.amdhsa_uses_dynamic_stack 0
		.amdhsa_system_sgpr_private_segment_wavefront_offset 0
		.amdhsa_system_sgpr_workgroup_id_x 1
		.amdhsa_system_sgpr_workgroup_id_y 0
		.amdhsa_system_sgpr_workgroup_id_z 0
		.amdhsa_system_sgpr_workgroup_info 0
		.amdhsa_system_vgpr_workitem_id 0
		.amdhsa_next_free_vgpr 1
		.amdhsa_next_free_sgpr 1
		.amdhsa_reserve_vcc 0
		.amdhsa_reserve_flat_scratch 0
		.amdhsa_float_round_mode_32 0
		.amdhsa_float_round_mode_16_64 0
		.amdhsa_float_denorm_mode_32 3
		.amdhsa_float_denorm_mode_16_64 3
		.amdhsa_dx10_clamp 1
		.amdhsa_ieee_mode 1
		.amdhsa_fp16_overflow 0
		.amdhsa_workgroup_processor_mode 1
		.amdhsa_memory_ordered 1
		.amdhsa_forward_progress 1
		.amdhsa_shared_vgpr_count 0
		.amdhsa_exception_fp_ieee_invalid_op 0
		.amdhsa_exception_fp_denorm_src 0
		.amdhsa_exception_fp_ieee_div_zero 0
		.amdhsa_exception_fp_ieee_overflow 0
		.amdhsa_exception_fp_ieee_underflow 0
		.amdhsa_exception_fp_ieee_inexact 0
		.amdhsa_exception_int_div_zero 0
	.end_amdhsa_kernel
	.section	.text._ZN7rocprim17ROCPRIM_400000_NS6detail17trampoline_kernelINS0_14default_configENS1_27scan_by_key_config_selectorIj11FixedVectorIiLj1EEEEZZNS1_16scan_by_key_implILNS1_25lookback_scan_determinismE0ELb1ES3_N6thrust23THRUST_200600_302600_NS6detail15normal_iteratorINSB_10device_ptrIjEEEENSD_INSE_IS6_EEEESI_S6_NSB_4plusIvEENSB_8equal_toIvEES6_EE10hipError_tPvRmT2_T3_T4_T5_mT6_T7_P12ihipStream_tbENKUlT_T0_E_clISt17integral_constantIbLb0EES13_EEDaSY_SZ_EUlSY_E_NS1_11comp_targetILNS1_3genE10ELNS1_11target_archE1201ELNS1_3gpuE5ELNS1_3repE0EEENS1_30default_config_static_selectorELNS0_4arch9wavefront6targetE0EEEvT1_,"axG",@progbits,_ZN7rocprim17ROCPRIM_400000_NS6detail17trampoline_kernelINS0_14default_configENS1_27scan_by_key_config_selectorIj11FixedVectorIiLj1EEEEZZNS1_16scan_by_key_implILNS1_25lookback_scan_determinismE0ELb1ES3_N6thrust23THRUST_200600_302600_NS6detail15normal_iteratorINSB_10device_ptrIjEEEENSD_INSE_IS6_EEEESI_S6_NSB_4plusIvEENSB_8equal_toIvEES6_EE10hipError_tPvRmT2_T3_T4_T5_mT6_T7_P12ihipStream_tbENKUlT_T0_E_clISt17integral_constantIbLb0EES13_EEDaSY_SZ_EUlSY_E_NS1_11comp_targetILNS1_3genE10ELNS1_11target_archE1201ELNS1_3gpuE5ELNS1_3repE0EEENS1_30default_config_static_selectorELNS0_4arch9wavefront6targetE0EEEvT1_,comdat
.Lfunc_end1912:
	.size	_ZN7rocprim17ROCPRIM_400000_NS6detail17trampoline_kernelINS0_14default_configENS1_27scan_by_key_config_selectorIj11FixedVectorIiLj1EEEEZZNS1_16scan_by_key_implILNS1_25lookback_scan_determinismE0ELb1ES3_N6thrust23THRUST_200600_302600_NS6detail15normal_iteratorINSB_10device_ptrIjEEEENSD_INSE_IS6_EEEESI_S6_NSB_4plusIvEENSB_8equal_toIvEES6_EE10hipError_tPvRmT2_T3_T4_T5_mT6_T7_P12ihipStream_tbENKUlT_T0_E_clISt17integral_constantIbLb0EES13_EEDaSY_SZ_EUlSY_E_NS1_11comp_targetILNS1_3genE10ELNS1_11target_archE1201ELNS1_3gpuE5ELNS1_3repE0EEENS1_30default_config_static_selectorELNS0_4arch9wavefront6targetE0EEEvT1_, .Lfunc_end1912-_ZN7rocprim17ROCPRIM_400000_NS6detail17trampoline_kernelINS0_14default_configENS1_27scan_by_key_config_selectorIj11FixedVectorIiLj1EEEEZZNS1_16scan_by_key_implILNS1_25lookback_scan_determinismE0ELb1ES3_N6thrust23THRUST_200600_302600_NS6detail15normal_iteratorINSB_10device_ptrIjEEEENSD_INSE_IS6_EEEESI_S6_NSB_4plusIvEENSB_8equal_toIvEES6_EE10hipError_tPvRmT2_T3_T4_T5_mT6_T7_P12ihipStream_tbENKUlT_T0_E_clISt17integral_constantIbLb0EES13_EEDaSY_SZ_EUlSY_E_NS1_11comp_targetILNS1_3genE10ELNS1_11target_archE1201ELNS1_3gpuE5ELNS1_3repE0EEENS1_30default_config_static_selectorELNS0_4arch9wavefront6targetE0EEEvT1_
                                        ; -- End function
	.set _ZN7rocprim17ROCPRIM_400000_NS6detail17trampoline_kernelINS0_14default_configENS1_27scan_by_key_config_selectorIj11FixedVectorIiLj1EEEEZZNS1_16scan_by_key_implILNS1_25lookback_scan_determinismE0ELb1ES3_N6thrust23THRUST_200600_302600_NS6detail15normal_iteratorINSB_10device_ptrIjEEEENSD_INSE_IS6_EEEESI_S6_NSB_4plusIvEENSB_8equal_toIvEES6_EE10hipError_tPvRmT2_T3_T4_T5_mT6_T7_P12ihipStream_tbENKUlT_T0_E_clISt17integral_constantIbLb0EES13_EEDaSY_SZ_EUlSY_E_NS1_11comp_targetILNS1_3genE10ELNS1_11target_archE1201ELNS1_3gpuE5ELNS1_3repE0EEENS1_30default_config_static_selectorELNS0_4arch9wavefront6targetE0EEEvT1_.num_vgpr, 0
	.set _ZN7rocprim17ROCPRIM_400000_NS6detail17trampoline_kernelINS0_14default_configENS1_27scan_by_key_config_selectorIj11FixedVectorIiLj1EEEEZZNS1_16scan_by_key_implILNS1_25lookback_scan_determinismE0ELb1ES3_N6thrust23THRUST_200600_302600_NS6detail15normal_iteratorINSB_10device_ptrIjEEEENSD_INSE_IS6_EEEESI_S6_NSB_4plusIvEENSB_8equal_toIvEES6_EE10hipError_tPvRmT2_T3_T4_T5_mT6_T7_P12ihipStream_tbENKUlT_T0_E_clISt17integral_constantIbLb0EES13_EEDaSY_SZ_EUlSY_E_NS1_11comp_targetILNS1_3genE10ELNS1_11target_archE1201ELNS1_3gpuE5ELNS1_3repE0EEENS1_30default_config_static_selectorELNS0_4arch9wavefront6targetE0EEEvT1_.num_agpr, 0
	.set _ZN7rocprim17ROCPRIM_400000_NS6detail17trampoline_kernelINS0_14default_configENS1_27scan_by_key_config_selectorIj11FixedVectorIiLj1EEEEZZNS1_16scan_by_key_implILNS1_25lookback_scan_determinismE0ELb1ES3_N6thrust23THRUST_200600_302600_NS6detail15normal_iteratorINSB_10device_ptrIjEEEENSD_INSE_IS6_EEEESI_S6_NSB_4plusIvEENSB_8equal_toIvEES6_EE10hipError_tPvRmT2_T3_T4_T5_mT6_T7_P12ihipStream_tbENKUlT_T0_E_clISt17integral_constantIbLb0EES13_EEDaSY_SZ_EUlSY_E_NS1_11comp_targetILNS1_3genE10ELNS1_11target_archE1201ELNS1_3gpuE5ELNS1_3repE0EEENS1_30default_config_static_selectorELNS0_4arch9wavefront6targetE0EEEvT1_.numbered_sgpr, 0
	.set _ZN7rocprim17ROCPRIM_400000_NS6detail17trampoline_kernelINS0_14default_configENS1_27scan_by_key_config_selectorIj11FixedVectorIiLj1EEEEZZNS1_16scan_by_key_implILNS1_25lookback_scan_determinismE0ELb1ES3_N6thrust23THRUST_200600_302600_NS6detail15normal_iteratorINSB_10device_ptrIjEEEENSD_INSE_IS6_EEEESI_S6_NSB_4plusIvEENSB_8equal_toIvEES6_EE10hipError_tPvRmT2_T3_T4_T5_mT6_T7_P12ihipStream_tbENKUlT_T0_E_clISt17integral_constantIbLb0EES13_EEDaSY_SZ_EUlSY_E_NS1_11comp_targetILNS1_3genE10ELNS1_11target_archE1201ELNS1_3gpuE5ELNS1_3repE0EEENS1_30default_config_static_selectorELNS0_4arch9wavefront6targetE0EEEvT1_.num_named_barrier, 0
	.set _ZN7rocprim17ROCPRIM_400000_NS6detail17trampoline_kernelINS0_14default_configENS1_27scan_by_key_config_selectorIj11FixedVectorIiLj1EEEEZZNS1_16scan_by_key_implILNS1_25lookback_scan_determinismE0ELb1ES3_N6thrust23THRUST_200600_302600_NS6detail15normal_iteratorINSB_10device_ptrIjEEEENSD_INSE_IS6_EEEESI_S6_NSB_4plusIvEENSB_8equal_toIvEES6_EE10hipError_tPvRmT2_T3_T4_T5_mT6_T7_P12ihipStream_tbENKUlT_T0_E_clISt17integral_constantIbLb0EES13_EEDaSY_SZ_EUlSY_E_NS1_11comp_targetILNS1_3genE10ELNS1_11target_archE1201ELNS1_3gpuE5ELNS1_3repE0EEENS1_30default_config_static_selectorELNS0_4arch9wavefront6targetE0EEEvT1_.private_seg_size, 0
	.set _ZN7rocprim17ROCPRIM_400000_NS6detail17trampoline_kernelINS0_14default_configENS1_27scan_by_key_config_selectorIj11FixedVectorIiLj1EEEEZZNS1_16scan_by_key_implILNS1_25lookback_scan_determinismE0ELb1ES3_N6thrust23THRUST_200600_302600_NS6detail15normal_iteratorINSB_10device_ptrIjEEEENSD_INSE_IS6_EEEESI_S6_NSB_4plusIvEENSB_8equal_toIvEES6_EE10hipError_tPvRmT2_T3_T4_T5_mT6_T7_P12ihipStream_tbENKUlT_T0_E_clISt17integral_constantIbLb0EES13_EEDaSY_SZ_EUlSY_E_NS1_11comp_targetILNS1_3genE10ELNS1_11target_archE1201ELNS1_3gpuE5ELNS1_3repE0EEENS1_30default_config_static_selectorELNS0_4arch9wavefront6targetE0EEEvT1_.uses_vcc, 0
	.set _ZN7rocprim17ROCPRIM_400000_NS6detail17trampoline_kernelINS0_14default_configENS1_27scan_by_key_config_selectorIj11FixedVectorIiLj1EEEEZZNS1_16scan_by_key_implILNS1_25lookback_scan_determinismE0ELb1ES3_N6thrust23THRUST_200600_302600_NS6detail15normal_iteratorINSB_10device_ptrIjEEEENSD_INSE_IS6_EEEESI_S6_NSB_4plusIvEENSB_8equal_toIvEES6_EE10hipError_tPvRmT2_T3_T4_T5_mT6_T7_P12ihipStream_tbENKUlT_T0_E_clISt17integral_constantIbLb0EES13_EEDaSY_SZ_EUlSY_E_NS1_11comp_targetILNS1_3genE10ELNS1_11target_archE1201ELNS1_3gpuE5ELNS1_3repE0EEENS1_30default_config_static_selectorELNS0_4arch9wavefront6targetE0EEEvT1_.uses_flat_scratch, 0
	.set _ZN7rocprim17ROCPRIM_400000_NS6detail17trampoline_kernelINS0_14default_configENS1_27scan_by_key_config_selectorIj11FixedVectorIiLj1EEEEZZNS1_16scan_by_key_implILNS1_25lookback_scan_determinismE0ELb1ES3_N6thrust23THRUST_200600_302600_NS6detail15normal_iteratorINSB_10device_ptrIjEEEENSD_INSE_IS6_EEEESI_S6_NSB_4plusIvEENSB_8equal_toIvEES6_EE10hipError_tPvRmT2_T3_T4_T5_mT6_T7_P12ihipStream_tbENKUlT_T0_E_clISt17integral_constantIbLb0EES13_EEDaSY_SZ_EUlSY_E_NS1_11comp_targetILNS1_3genE10ELNS1_11target_archE1201ELNS1_3gpuE5ELNS1_3repE0EEENS1_30default_config_static_selectorELNS0_4arch9wavefront6targetE0EEEvT1_.has_dyn_sized_stack, 0
	.set _ZN7rocprim17ROCPRIM_400000_NS6detail17trampoline_kernelINS0_14default_configENS1_27scan_by_key_config_selectorIj11FixedVectorIiLj1EEEEZZNS1_16scan_by_key_implILNS1_25lookback_scan_determinismE0ELb1ES3_N6thrust23THRUST_200600_302600_NS6detail15normal_iteratorINSB_10device_ptrIjEEEENSD_INSE_IS6_EEEESI_S6_NSB_4plusIvEENSB_8equal_toIvEES6_EE10hipError_tPvRmT2_T3_T4_T5_mT6_T7_P12ihipStream_tbENKUlT_T0_E_clISt17integral_constantIbLb0EES13_EEDaSY_SZ_EUlSY_E_NS1_11comp_targetILNS1_3genE10ELNS1_11target_archE1201ELNS1_3gpuE5ELNS1_3repE0EEENS1_30default_config_static_selectorELNS0_4arch9wavefront6targetE0EEEvT1_.has_recursion, 0
	.set _ZN7rocprim17ROCPRIM_400000_NS6detail17trampoline_kernelINS0_14default_configENS1_27scan_by_key_config_selectorIj11FixedVectorIiLj1EEEEZZNS1_16scan_by_key_implILNS1_25lookback_scan_determinismE0ELb1ES3_N6thrust23THRUST_200600_302600_NS6detail15normal_iteratorINSB_10device_ptrIjEEEENSD_INSE_IS6_EEEESI_S6_NSB_4plusIvEENSB_8equal_toIvEES6_EE10hipError_tPvRmT2_T3_T4_T5_mT6_T7_P12ihipStream_tbENKUlT_T0_E_clISt17integral_constantIbLb0EES13_EEDaSY_SZ_EUlSY_E_NS1_11comp_targetILNS1_3genE10ELNS1_11target_archE1201ELNS1_3gpuE5ELNS1_3repE0EEENS1_30default_config_static_selectorELNS0_4arch9wavefront6targetE0EEEvT1_.has_indirect_call, 0
	.section	.AMDGPU.csdata,"",@progbits
; Kernel info:
; codeLenInByte = 0
; TotalNumSgprs: 0
; NumVgprs: 0
; ScratchSize: 0
; MemoryBound: 0
; FloatMode: 240
; IeeeMode: 1
; LDSByteSize: 0 bytes/workgroup (compile time only)
; SGPRBlocks: 0
; VGPRBlocks: 0
; NumSGPRsForWavesPerEU: 1
; NumVGPRsForWavesPerEU: 1
; Occupancy: 16
; WaveLimiterHint : 0
; COMPUTE_PGM_RSRC2:SCRATCH_EN: 0
; COMPUTE_PGM_RSRC2:USER_SGPR: 6
; COMPUTE_PGM_RSRC2:TRAP_HANDLER: 0
; COMPUTE_PGM_RSRC2:TGID_X_EN: 1
; COMPUTE_PGM_RSRC2:TGID_Y_EN: 0
; COMPUTE_PGM_RSRC2:TGID_Z_EN: 0
; COMPUTE_PGM_RSRC2:TIDIG_COMP_CNT: 0
	.section	.text._ZN7rocprim17ROCPRIM_400000_NS6detail17trampoline_kernelINS0_14default_configENS1_27scan_by_key_config_selectorIj11FixedVectorIiLj1EEEEZZNS1_16scan_by_key_implILNS1_25lookback_scan_determinismE0ELb1ES3_N6thrust23THRUST_200600_302600_NS6detail15normal_iteratorINSB_10device_ptrIjEEEENSD_INSE_IS6_EEEESI_S6_NSB_4plusIvEENSB_8equal_toIvEES6_EE10hipError_tPvRmT2_T3_T4_T5_mT6_T7_P12ihipStream_tbENKUlT_T0_E_clISt17integral_constantIbLb0EES13_EEDaSY_SZ_EUlSY_E_NS1_11comp_targetILNS1_3genE5ELNS1_11target_archE942ELNS1_3gpuE9ELNS1_3repE0EEENS1_30default_config_static_selectorELNS0_4arch9wavefront6targetE0EEEvT1_,"axG",@progbits,_ZN7rocprim17ROCPRIM_400000_NS6detail17trampoline_kernelINS0_14default_configENS1_27scan_by_key_config_selectorIj11FixedVectorIiLj1EEEEZZNS1_16scan_by_key_implILNS1_25lookback_scan_determinismE0ELb1ES3_N6thrust23THRUST_200600_302600_NS6detail15normal_iteratorINSB_10device_ptrIjEEEENSD_INSE_IS6_EEEESI_S6_NSB_4plusIvEENSB_8equal_toIvEES6_EE10hipError_tPvRmT2_T3_T4_T5_mT6_T7_P12ihipStream_tbENKUlT_T0_E_clISt17integral_constantIbLb0EES13_EEDaSY_SZ_EUlSY_E_NS1_11comp_targetILNS1_3genE5ELNS1_11target_archE942ELNS1_3gpuE9ELNS1_3repE0EEENS1_30default_config_static_selectorELNS0_4arch9wavefront6targetE0EEEvT1_,comdat
	.protected	_ZN7rocprim17ROCPRIM_400000_NS6detail17trampoline_kernelINS0_14default_configENS1_27scan_by_key_config_selectorIj11FixedVectorIiLj1EEEEZZNS1_16scan_by_key_implILNS1_25lookback_scan_determinismE0ELb1ES3_N6thrust23THRUST_200600_302600_NS6detail15normal_iteratorINSB_10device_ptrIjEEEENSD_INSE_IS6_EEEESI_S6_NSB_4plusIvEENSB_8equal_toIvEES6_EE10hipError_tPvRmT2_T3_T4_T5_mT6_T7_P12ihipStream_tbENKUlT_T0_E_clISt17integral_constantIbLb0EES13_EEDaSY_SZ_EUlSY_E_NS1_11comp_targetILNS1_3genE5ELNS1_11target_archE942ELNS1_3gpuE9ELNS1_3repE0EEENS1_30default_config_static_selectorELNS0_4arch9wavefront6targetE0EEEvT1_ ; -- Begin function _ZN7rocprim17ROCPRIM_400000_NS6detail17trampoline_kernelINS0_14default_configENS1_27scan_by_key_config_selectorIj11FixedVectorIiLj1EEEEZZNS1_16scan_by_key_implILNS1_25lookback_scan_determinismE0ELb1ES3_N6thrust23THRUST_200600_302600_NS6detail15normal_iteratorINSB_10device_ptrIjEEEENSD_INSE_IS6_EEEESI_S6_NSB_4plusIvEENSB_8equal_toIvEES6_EE10hipError_tPvRmT2_T3_T4_T5_mT6_T7_P12ihipStream_tbENKUlT_T0_E_clISt17integral_constantIbLb0EES13_EEDaSY_SZ_EUlSY_E_NS1_11comp_targetILNS1_3genE5ELNS1_11target_archE942ELNS1_3gpuE9ELNS1_3repE0EEENS1_30default_config_static_selectorELNS0_4arch9wavefront6targetE0EEEvT1_
	.globl	_ZN7rocprim17ROCPRIM_400000_NS6detail17trampoline_kernelINS0_14default_configENS1_27scan_by_key_config_selectorIj11FixedVectorIiLj1EEEEZZNS1_16scan_by_key_implILNS1_25lookback_scan_determinismE0ELb1ES3_N6thrust23THRUST_200600_302600_NS6detail15normal_iteratorINSB_10device_ptrIjEEEENSD_INSE_IS6_EEEESI_S6_NSB_4plusIvEENSB_8equal_toIvEES6_EE10hipError_tPvRmT2_T3_T4_T5_mT6_T7_P12ihipStream_tbENKUlT_T0_E_clISt17integral_constantIbLb0EES13_EEDaSY_SZ_EUlSY_E_NS1_11comp_targetILNS1_3genE5ELNS1_11target_archE942ELNS1_3gpuE9ELNS1_3repE0EEENS1_30default_config_static_selectorELNS0_4arch9wavefront6targetE0EEEvT1_
	.p2align	8
	.type	_ZN7rocprim17ROCPRIM_400000_NS6detail17trampoline_kernelINS0_14default_configENS1_27scan_by_key_config_selectorIj11FixedVectorIiLj1EEEEZZNS1_16scan_by_key_implILNS1_25lookback_scan_determinismE0ELb1ES3_N6thrust23THRUST_200600_302600_NS6detail15normal_iteratorINSB_10device_ptrIjEEEENSD_INSE_IS6_EEEESI_S6_NSB_4plusIvEENSB_8equal_toIvEES6_EE10hipError_tPvRmT2_T3_T4_T5_mT6_T7_P12ihipStream_tbENKUlT_T0_E_clISt17integral_constantIbLb0EES13_EEDaSY_SZ_EUlSY_E_NS1_11comp_targetILNS1_3genE5ELNS1_11target_archE942ELNS1_3gpuE9ELNS1_3repE0EEENS1_30default_config_static_selectorELNS0_4arch9wavefront6targetE0EEEvT1_,@function
_ZN7rocprim17ROCPRIM_400000_NS6detail17trampoline_kernelINS0_14default_configENS1_27scan_by_key_config_selectorIj11FixedVectorIiLj1EEEEZZNS1_16scan_by_key_implILNS1_25lookback_scan_determinismE0ELb1ES3_N6thrust23THRUST_200600_302600_NS6detail15normal_iteratorINSB_10device_ptrIjEEEENSD_INSE_IS6_EEEESI_S6_NSB_4plusIvEENSB_8equal_toIvEES6_EE10hipError_tPvRmT2_T3_T4_T5_mT6_T7_P12ihipStream_tbENKUlT_T0_E_clISt17integral_constantIbLb0EES13_EEDaSY_SZ_EUlSY_E_NS1_11comp_targetILNS1_3genE5ELNS1_11target_archE942ELNS1_3gpuE9ELNS1_3repE0EEENS1_30default_config_static_selectorELNS0_4arch9wavefront6targetE0EEEvT1_: ; @_ZN7rocprim17ROCPRIM_400000_NS6detail17trampoline_kernelINS0_14default_configENS1_27scan_by_key_config_selectorIj11FixedVectorIiLj1EEEEZZNS1_16scan_by_key_implILNS1_25lookback_scan_determinismE0ELb1ES3_N6thrust23THRUST_200600_302600_NS6detail15normal_iteratorINSB_10device_ptrIjEEEENSD_INSE_IS6_EEEESI_S6_NSB_4plusIvEENSB_8equal_toIvEES6_EE10hipError_tPvRmT2_T3_T4_T5_mT6_T7_P12ihipStream_tbENKUlT_T0_E_clISt17integral_constantIbLb0EES13_EEDaSY_SZ_EUlSY_E_NS1_11comp_targetILNS1_3genE5ELNS1_11target_archE942ELNS1_3gpuE9ELNS1_3repE0EEENS1_30default_config_static_selectorELNS0_4arch9wavefront6targetE0EEEvT1_
; %bb.0:
	.section	.rodata,"a",@progbits
	.p2align	6, 0x0
	.amdhsa_kernel _ZN7rocprim17ROCPRIM_400000_NS6detail17trampoline_kernelINS0_14default_configENS1_27scan_by_key_config_selectorIj11FixedVectorIiLj1EEEEZZNS1_16scan_by_key_implILNS1_25lookback_scan_determinismE0ELb1ES3_N6thrust23THRUST_200600_302600_NS6detail15normal_iteratorINSB_10device_ptrIjEEEENSD_INSE_IS6_EEEESI_S6_NSB_4plusIvEENSB_8equal_toIvEES6_EE10hipError_tPvRmT2_T3_T4_T5_mT6_T7_P12ihipStream_tbENKUlT_T0_E_clISt17integral_constantIbLb0EES13_EEDaSY_SZ_EUlSY_E_NS1_11comp_targetILNS1_3genE5ELNS1_11target_archE942ELNS1_3gpuE9ELNS1_3repE0EEENS1_30default_config_static_selectorELNS0_4arch9wavefront6targetE0EEEvT1_
		.amdhsa_group_segment_fixed_size 0
		.amdhsa_private_segment_fixed_size 0
		.amdhsa_kernarg_size 112
		.amdhsa_user_sgpr_count 6
		.amdhsa_user_sgpr_private_segment_buffer 1
		.amdhsa_user_sgpr_dispatch_ptr 0
		.amdhsa_user_sgpr_queue_ptr 0
		.amdhsa_user_sgpr_kernarg_segment_ptr 1
		.amdhsa_user_sgpr_dispatch_id 0
		.amdhsa_user_sgpr_flat_scratch_init 0
		.amdhsa_user_sgpr_private_segment_size 0
		.amdhsa_wavefront_size32 1
		.amdhsa_uses_dynamic_stack 0
		.amdhsa_system_sgpr_private_segment_wavefront_offset 0
		.amdhsa_system_sgpr_workgroup_id_x 1
		.amdhsa_system_sgpr_workgroup_id_y 0
		.amdhsa_system_sgpr_workgroup_id_z 0
		.amdhsa_system_sgpr_workgroup_info 0
		.amdhsa_system_vgpr_workitem_id 0
		.amdhsa_next_free_vgpr 1
		.amdhsa_next_free_sgpr 1
		.amdhsa_reserve_vcc 0
		.amdhsa_reserve_flat_scratch 0
		.amdhsa_float_round_mode_32 0
		.amdhsa_float_round_mode_16_64 0
		.amdhsa_float_denorm_mode_32 3
		.amdhsa_float_denorm_mode_16_64 3
		.amdhsa_dx10_clamp 1
		.amdhsa_ieee_mode 1
		.amdhsa_fp16_overflow 0
		.amdhsa_workgroup_processor_mode 1
		.amdhsa_memory_ordered 1
		.amdhsa_forward_progress 1
		.amdhsa_shared_vgpr_count 0
		.amdhsa_exception_fp_ieee_invalid_op 0
		.amdhsa_exception_fp_denorm_src 0
		.amdhsa_exception_fp_ieee_div_zero 0
		.amdhsa_exception_fp_ieee_overflow 0
		.amdhsa_exception_fp_ieee_underflow 0
		.amdhsa_exception_fp_ieee_inexact 0
		.amdhsa_exception_int_div_zero 0
	.end_amdhsa_kernel
	.section	.text._ZN7rocprim17ROCPRIM_400000_NS6detail17trampoline_kernelINS0_14default_configENS1_27scan_by_key_config_selectorIj11FixedVectorIiLj1EEEEZZNS1_16scan_by_key_implILNS1_25lookback_scan_determinismE0ELb1ES3_N6thrust23THRUST_200600_302600_NS6detail15normal_iteratorINSB_10device_ptrIjEEEENSD_INSE_IS6_EEEESI_S6_NSB_4plusIvEENSB_8equal_toIvEES6_EE10hipError_tPvRmT2_T3_T4_T5_mT6_T7_P12ihipStream_tbENKUlT_T0_E_clISt17integral_constantIbLb0EES13_EEDaSY_SZ_EUlSY_E_NS1_11comp_targetILNS1_3genE5ELNS1_11target_archE942ELNS1_3gpuE9ELNS1_3repE0EEENS1_30default_config_static_selectorELNS0_4arch9wavefront6targetE0EEEvT1_,"axG",@progbits,_ZN7rocprim17ROCPRIM_400000_NS6detail17trampoline_kernelINS0_14default_configENS1_27scan_by_key_config_selectorIj11FixedVectorIiLj1EEEEZZNS1_16scan_by_key_implILNS1_25lookback_scan_determinismE0ELb1ES3_N6thrust23THRUST_200600_302600_NS6detail15normal_iteratorINSB_10device_ptrIjEEEENSD_INSE_IS6_EEEESI_S6_NSB_4plusIvEENSB_8equal_toIvEES6_EE10hipError_tPvRmT2_T3_T4_T5_mT6_T7_P12ihipStream_tbENKUlT_T0_E_clISt17integral_constantIbLb0EES13_EEDaSY_SZ_EUlSY_E_NS1_11comp_targetILNS1_3genE5ELNS1_11target_archE942ELNS1_3gpuE9ELNS1_3repE0EEENS1_30default_config_static_selectorELNS0_4arch9wavefront6targetE0EEEvT1_,comdat
.Lfunc_end1913:
	.size	_ZN7rocprim17ROCPRIM_400000_NS6detail17trampoline_kernelINS0_14default_configENS1_27scan_by_key_config_selectorIj11FixedVectorIiLj1EEEEZZNS1_16scan_by_key_implILNS1_25lookback_scan_determinismE0ELb1ES3_N6thrust23THRUST_200600_302600_NS6detail15normal_iteratorINSB_10device_ptrIjEEEENSD_INSE_IS6_EEEESI_S6_NSB_4plusIvEENSB_8equal_toIvEES6_EE10hipError_tPvRmT2_T3_T4_T5_mT6_T7_P12ihipStream_tbENKUlT_T0_E_clISt17integral_constantIbLb0EES13_EEDaSY_SZ_EUlSY_E_NS1_11comp_targetILNS1_3genE5ELNS1_11target_archE942ELNS1_3gpuE9ELNS1_3repE0EEENS1_30default_config_static_selectorELNS0_4arch9wavefront6targetE0EEEvT1_, .Lfunc_end1913-_ZN7rocprim17ROCPRIM_400000_NS6detail17trampoline_kernelINS0_14default_configENS1_27scan_by_key_config_selectorIj11FixedVectorIiLj1EEEEZZNS1_16scan_by_key_implILNS1_25lookback_scan_determinismE0ELb1ES3_N6thrust23THRUST_200600_302600_NS6detail15normal_iteratorINSB_10device_ptrIjEEEENSD_INSE_IS6_EEEESI_S6_NSB_4plusIvEENSB_8equal_toIvEES6_EE10hipError_tPvRmT2_T3_T4_T5_mT6_T7_P12ihipStream_tbENKUlT_T0_E_clISt17integral_constantIbLb0EES13_EEDaSY_SZ_EUlSY_E_NS1_11comp_targetILNS1_3genE5ELNS1_11target_archE942ELNS1_3gpuE9ELNS1_3repE0EEENS1_30default_config_static_selectorELNS0_4arch9wavefront6targetE0EEEvT1_
                                        ; -- End function
	.set _ZN7rocprim17ROCPRIM_400000_NS6detail17trampoline_kernelINS0_14default_configENS1_27scan_by_key_config_selectorIj11FixedVectorIiLj1EEEEZZNS1_16scan_by_key_implILNS1_25lookback_scan_determinismE0ELb1ES3_N6thrust23THRUST_200600_302600_NS6detail15normal_iteratorINSB_10device_ptrIjEEEENSD_INSE_IS6_EEEESI_S6_NSB_4plusIvEENSB_8equal_toIvEES6_EE10hipError_tPvRmT2_T3_T4_T5_mT6_T7_P12ihipStream_tbENKUlT_T0_E_clISt17integral_constantIbLb0EES13_EEDaSY_SZ_EUlSY_E_NS1_11comp_targetILNS1_3genE5ELNS1_11target_archE942ELNS1_3gpuE9ELNS1_3repE0EEENS1_30default_config_static_selectorELNS0_4arch9wavefront6targetE0EEEvT1_.num_vgpr, 0
	.set _ZN7rocprim17ROCPRIM_400000_NS6detail17trampoline_kernelINS0_14default_configENS1_27scan_by_key_config_selectorIj11FixedVectorIiLj1EEEEZZNS1_16scan_by_key_implILNS1_25lookback_scan_determinismE0ELb1ES3_N6thrust23THRUST_200600_302600_NS6detail15normal_iteratorINSB_10device_ptrIjEEEENSD_INSE_IS6_EEEESI_S6_NSB_4plusIvEENSB_8equal_toIvEES6_EE10hipError_tPvRmT2_T3_T4_T5_mT6_T7_P12ihipStream_tbENKUlT_T0_E_clISt17integral_constantIbLb0EES13_EEDaSY_SZ_EUlSY_E_NS1_11comp_targetILNS1_3genE5ELNS1_11target_archE942ELNS1_3gpuE9ELNS1_3repE0EEENS1_30default_config_static_selectorELNS0_4arch9wavefront6targetE0EEEvT1_.num_agpr, 0
	.set _ZN7rocprim17ROCPRIM_400000_NS6detail17trampoline_kernelINS0_14default_configENS1_27scan_by_key_config_selectorIj11FixedVectorIiLj1EEEEZZNS1_16scan_by_key_implILNS1_25lookback_scan_determinismE0ELb1ES3_N6thrust23THRUST_200600_302600_NS6detail15normal_iteratorINSB_10device_ptrIjEEEENSD_INSE_IS6_EEEESI_S6_NSB_4plusIvEENSB_8equal_toIvEES6_EE10hipError_tPvRmT2_T3_T4_T5_mT6_T7_P12ihipStream_tbENKUlT_T0_E_clISt17integral_constantIbLb0EES13_EEDaSY_SZ_EUlSY_E_NS1_11comp_targetILNS1_3genE5ELNS1_11target_archE942ELNS1_3gpuE9ELNS1_3repE0EEENS1_30default_config_static_selectorELNS0_4arch9wavefront6targetE0EEEvT1_.numbered_sgpr, 0
	.set _ZN7rocprim17ROCPRIM_400000_NS6detail17trampoline_kernelINS0_14default_configENS1_27scan_by_key_config_selectorIj11FixedVectorIiLj1EEEEZZNS1_16scan_by_key_implILNS1_25lookback_scan_determinismE0ELb1ES3_N6thrust23THRUST_200600_302600_NS6detail15normal_iteratorINSB_10device_ptrIjEEEENSD_INSE_IS6_EEEESI_S6_NSB_4plusIvEENSB_8equal_toIvEES6_EE10hipError_tPvRmT2_T3_T4_T5_mT6_T7_P12ihipStream_tbENKUlT_T0_E_clISt17integral_constantIbLb0EES13_EEDaSY_SZ_EUlSY_E_NS1_11comp_targetILNS1_3genE5ELNS1_11target_archE942ELNS1_3gpuE9ELNS1_3repE0EEENS1_30default_config_static_selectorELNS0_4arch9wavefront6targetE0EEEvT1_.num_named_barrier, 0
	.set _ZN7rocprim17ROCPRIM_400000_NS6detail17trampoline_kernelINS0_14default_configENS1_27scan_by_key_config_selectorIj11FixedVectorIiLj1EEEEZZNS1_16scan_by_key_implILNS1_25lookback_scan_determinismE0ELb1ES3_N6thrust23THRUST_200600_302600_NS6detail15normal_iteratorINSB_10device_ptrIjEEEENSD_INSE_IS6_EEEESI_S6_NSB_4plusIvEENSB_8equal_toIvEES6_EE10hipError_tPvRmT2_T3_T4_T5_mT6_T7_P12ihipStream_tbENKUlT_T0_E_clISt17integral_constantIbLb0EES13_EEDaSY_SZ_EUlSY_E_NS1_11comp_targetILNS1_3genE5ELNS1_11target_archE942ELNS1_3gpuE9ELNS1_3repE0EEENS1_30default_config_static_selectorELNS0_4arch9wavefront6targetE0EEEvT1_.private_seg_size, 0
	.set _ZN7rocprim17ROCPRIM_400000_NS6detail17trampoline_kernelINS0_14default_configENS1_27scan_by_key_config_selectorIj11FixedVectorIiLj1EEEEZZNS1_16scan_by_key_implILNS1_25lookback_scan_determinismE0ELb1ES3_N6thrust23THRUST_200600_302600_NS6detail15normal_iteratorINSB_10device_ptrIjEEEENSD_INSE_IS6_EEEESI_S6_NSB_4plusIvEENSB_8equal_toIvEES6_EE10hipError_tPvRmT2_T3_T4_T5_mT6_T7_P12ihipStream_tbENKUlT_T0_E_clISt17integral_constantIbLb0EES13_EEDaSY_SZ_EUlSY_E_NS1_11comp_targetILNS1_3genE5ELNS1_11target_archE942ELNS1_3gpuE9ELNS1_3repE0EEENS1_30default_config_static_selectorELNS0_4arch9wavefront6targetE0EEEvT1_.uses_vcc, 0
	.set _ZN7rocprim17ROCPRIM_400000_NS6detail17trampoline_kernelINS0_14default_configENS1_27scan_by_key_config_selectorIj11FixedVectorIiLj1EEEEZZNS1_16scan_by_key_implILNS1_25lookback_scan_determinismE0ELb1ES3_N6thrust23THRUST_200600_302600_NS6detail15normal_iteratorINSB_10device_ptrIjEEEENSD_INSE_IS6_EEEESI_S6_NSB_4plusIvEENSB_8equal_toIvEES6_EE10hipError_tPvRmT2_T3_T4_T5_mT6_T7_P12ihipStream_tbENKUlT_T0_E_clISt17integral_constantIbLb0EES13_EEDaSY_SZ_EUlSY_E_NS1_11comp_targetILNS1_3genE5ELNS1_11target_archE942ELNS1_3gpuE9ELNS1_3repE0EEENS1_30default_config_static_selectorELNS0_4arch9wavefront6targetE0EEEvT1_.uses_flat_scratch, 0
	.set _ZN7rocprim17ROCPRIM_400000_NS6detail17trampoline_kernelINS0_14default_configENS1_27scan_by_key_config_selectorIj11FixedVectorIiLj1EEEEZZNS1_16scan_by_key_implILNS1_25lookback_scan_determinismE0ELb1ES3_N6thrust23THRUST_200600_302600_NS6detail15normal_iteratorINSB_10device_ptrIjEEEENSD_INSE_IS6_EEEESI_S6_NSB_4plusIvEENSB_8equal_toIvEES6_EE10hipError_tPvRmT2_T3_T4_T5_mT6_T7_P12ihipStream_tbENKUlT_T0_E_clISt17integral_constantIbLb0EES13_EEDaSY_SZ_EUlSY_E_NS1_11comp_targetILNS1_3genE5ELNS1_11target_archE942ELNS1_3gpuE9ELNS1_3repE0EEENS1_30default_config_static_selectorELNS0_4arch9wavefront6targetE0EEEvT1_.has_dyn_sized_stack, 0
	.set _ZN7rocprim17ROCPRIM_400000_NS6detail17trampoline_kernelINS0_14default_configENS1_27scan_by_key_config_selectorIj11FixedVectorIiLj1EEEEZZNS1_16scan_by_key_implILNS1_25lookback_scan_determinismE0ELb1ES3_N6thrust23THRUST_200600_302600_NS6detail15normal_iteratorINSB_10device_ptrIjEEEENSD_INSE_IS6_EEEESI_S6_NSB_4plusIvEENSB_8equal_toIvEES6_EE10hipError_tPvRmT2_T3_T4_T5_mT6_T7_P12ihipStream_tbENKUlT_T0_E_clISt17integral_constantIbLb0EES13_EEDaSY_SZ_EUlSY_E_NS1_11comp_targetILNS1_3genE5ELNS1_11target_archE942ELNS1_3gpuE9ELNS1_3repE0EEENS1_30default_config_static_selectorELNS0_4arch9wavefront6targetE0EEEvT1_.has_recursion, 0
	.set _ZN7rocprim17ROCPRIM_400000_NS6detail17trampoline_kernelINS0_14default_configENS1_27scan_by_key_config_selectorIj11FixedVectorIiLj1EEEEZZNS1_16scan_by_key_implILNS1_25lookback_scan_determinismE0ELb1ES3_N6thrust23THRUST_200600_302600_NS6detail15normal_iteratorINSB_10device_ptrIjEEEENSD_INSE_IS6_EEEESI_S6_NSB_4plusIvEENSB_8equal_toIvEES6_EE10hipError_tPvRmT2_T3_T4_T5_mT6_T7_P12ihipStream_tbENKUlT_T0_E_clISt17integral_constantIbLb0EES13_EEDaSY_SZ_EUlSY_E_NS1_11comp_targetILNS1_3genE5ELNS1_11target_archE942ELNS1_3gpuE9ELNS1_3repE0EEENS1_30default_config_static_selectorELNS0_4arch9wavefront6targetE0EEEvT1_.has_indirect_call, 0
	.section	.AMDGPU.csdata,"",@progbits
; Kernel info:
; codeLenInByte = 0
; TotalNumSgprs: 0
; NumVgprs: 0
; ScratchSize: 0
; MemoryBound: 0
; FloatMode: 240
; IeeeMode: 1
; LDSByteSize: 0 bytes/workgroup (compile time only)
; SGPRBlocks: 0
; VGPRBlocks: 0
; NumSGPRsForWavesPerEU: 1
; NumVGPRsForWavesPerEU: 1
; Occupancy: 16
; WaveLimiterHint : 0
; COMPUTE_PGM_RSRC2:SCRATCH_EN: 0
; COMPUTE_PGM_RSRC2:USER_SGPR: 6
; COMPUTE_PGM_RSRC2:TRAP_HANDLER: 0
; COMPUTE_PGM_RSRC2:TGID_X_EN: 1
; COMPUTE_PGM_RSRC2:TGID_Y_EN: 0
; COMPUTE_PGM_RSRC2:TGID_Z_EN: 0
; COMPUTE_PGM_RSRC2:TIDIG_COMP_CNT: 0
	.section	.text._ZN7rocprim17ROCPRIM_400000_NS6detail17trampoline_kernelINS0_14default_configENS1_27scan_by_key_config_selectorIj11FixedVectorIiLj1EEEEZZNS1_16scan_by_key_implILNS1_25lookback_scan_determinismE0ELb1ES3_N6thrust23THRUST_200600_302600_NS6detail15normal_iteratorINSB_10device_ptrIjEEEENSD_INSE_IS6_EEEESI_S6_NSB_4plusIvEENSB_8equal_toIvEES6_EE10hipError_tPvRmT2_T3_T4_T5_mT6_T7_P12ihipStream_tbENKUlT_T0_E_clISt17integral_constantIbLb0EES13_EEDaSY_SZ_EUlSY_E_NS1_11comp_targetILNS1_3genE4ELNS1_11target_archE910ELNS1_3gpuE8ELNS1_3repE0EEENS1_30default_config_static_selectorELNS0_4arch9wavefront6targetE0EEEvT1_,"axG",@progbits,_ZN7rocprim17ROCPRIM_400000_NS6detail17trampoline_kernelINS0_14default_configENS1_27scan_by_key_config_selectorIj11FixedVectorIiLj1EEEEZZNS1_16scan_by_key_implILNS1_25lookback_scan_determinismE0ELb1ES3_N6thrust23THRUST_200600_302600_NS6detail15normal_iteratorINSB_10device_ptrIjEEEENSD_INSE_IS6_EEEESI_S6_NSB_4plusIvEENSB_8equal_toIvEES6_EE10hipError_tPvRmT2_T3_T4_T5_mT6_T7_P12ihipStream_tbENKUlT_T0_E_clISt17integral_constantIbLb0EES13_EEDaSY_SZ_EUlSY_E_NS1_11comp_targetILNS1_3genE4ELNS1_11target_archE910ELNS1_3gpuE8ELNS1_3repE0EEENS1_30default_config_static_selectorELNS0_4arch9wavefront6targetE0EEEvT1_,comdat
	.protected	_ZN7rocprim17ROCPRIM_400000_NS6detail17trampoline_kernelINS0_14default_configENS1_27scan_by_key_config_selectorIj11FixedVectorIiLj1EEEEZZNS1_16scan_by_key_implILNS1_25lookback_scan_determinismE0ELb1ES3_N6thrust23THRUST_200600_302600_NS6detail15normal_iteratorINSB_10device_ptrIjEEEENSD_INSE_IS6_EEEESI_S6_NSB_4plusIvEENSB_8equal_toIvEES6_EE10hipError_tPvRmT2_T3_T4_T5_mT6_T7_P12ihipStream_tbENKUlT_T0_E_clISt17integral_constantIbLb0EES13_EEDaSY_SZ_EUlSY_E_NS1_11comp_targetILNS1_3genE4ELNS1_11target_archE910ELNS1_3gpuE8ELNS1_3repE0EEENS1_30default_config_static_selectorELNS0_4arch9wavefront6targetE0EEEvT1_ ; -- Begin function _ZN7rocprim17ROCPRIM_400000_NS6detail17trampoline_kernelINS0_14default_configENS1_27scan_by_key_config_selectorIj11FixedVectorIiLj1EEEEZZNS1_16scan_by_key_implILNS1_25lookback_scan_determinismE0ELb1ES3_N6thrust23THRUST_200600_302600_NS6detail15normal_iteratorINSB_10device_ptrIjEEEENSD_INSE_IS6_EEEESI_S6_NSB_4plusIvEENSB_8equal_toIvEES6_EE10hipError_tPvRmT2_T3_T4_T5_mT6_T7_P12ihipStream_tbENKUlT_T0_E_clISt17integral_constantIbLb0EES13_EEDaSY_SZ_EUlSY_E_NS1_11comp_targetILNS1_3genE4ELNS1_11target_archE910ELNS1_3gpuE8ELNS1_3repE0EEENS1_30default_config_static_selectorELNS0_4arch9wavefront6targetE0EEEvT1_
	.globl	_ZN7rocprim17ROCPRIM_400000_NS6detail17trampoline_kernelINS0_14default_configENS1_27scan_by_key_config_selectorIj11FixedVectorIiLj1EEEEZZNS1_16scan_by_key_implILNS1_25lookback_scan_determinismE0ELb1ES3_N6thrust23THRUST_200600_302600_NS6detail15normal_iteratorINSB_10device_ptrIjEEEENSD_INSE_IS6_EEEESI_S6_NSB_4plusIvEENSB_8equal_toIvEES6_EE10hipError_tPvRmT2_T3_T4_T5_mT6_T7_P12ihipStream_tbENKUlT_T0_E_clISt17integral_constantIbLb0EES13_EEDaSY_SZ_EUlSY_E_NS1_11comp_targetILNS1_3genE4ELNS1_11target_archE910ELNS1_3gpuE8ELNS1_3repE0EEENS1_30default_config_static_selectorELNS0_4arch9wavefront6targetE0EEEvT1_
	.p2align	8
	.type	_ZN7rocprim17ROCPRIM_400000_NS6detail17trampoline_kernelINS0_14default_configENS1_27scan_by_key_config_selectorIj11FixedVectorIiLj1EEEEZZNS1_16scan_by_key_implILNS1_25lookback_scan_determinismE0ELb1ES3_N6thrust23THRUST_200600_302600_NS6detail15normal_iteratorINSB_10device_ptrIjEEEENSD_INSE_IS6_EEEESI_S6_NSB_4plusIvEENSB_8equal_toIvEES6_EE10hipError_tPvRmT2_T3_T4_T5_mT6_T7_P12ihipStream_tbENKUlT_T0_E_clISt17integral_constantIbLb0EES13_EEDaSY_SZ_EUlSY_E_NS1_11comp_targetILNS1_3genE4ELNS1_11target_archE910ELNS1_3gpuE8ELNS1_3repE0EEENS1_30default_config_static_selectorELNS0_4arch9wavefront6targetE0EEEvT1_,@function
_ZN7rocprim17ROCPRIM_400000_NS6detail17trampoline_kernelINS0_14default_configENS1_27scan_by_key_config_selectorIj11FixedVectorIiLj1EEEEZZNS1_16scan_by_key_implILNS1_25lookback_scan_determinismE0ELb1ES3_N6thrust23THRUST_200600_302600_NS6detail15normal_iteratorINSB_10device_ptrIjEEEENSD_INSE_IS6_EEEESI_S6_NSB_4plusIvEENSB_8equal_toIvEES6_EE10hipError_tPvRmT2_T3_T4_T5_mT6_T7_P12ihipStream_tbENKUlT_T0_E_clISt17integral_constantIbLb0EES13_EEDaSY_SZ_EUlSY_E_NS1_11comp_targetILNS1_3genE4ELNS1_11target_archE910ELNS1_3gpuE8ELNS1_3repE0EEENS1_30default_config_static_selectorELNS0_4arch9wavefront6targetE0EEEvT1_: ; @_ZN7rocprim17ROCPRIM_400000_NS6detail17trampoline_kernelINS0_14default_configENS1_27scan_by_key_config_selectorIj11FixedVectorIiLj1EEEEZZNS1_16scan_by_key_implILNS1_25lookback_scan_determinismE0ELb1ES3_N6thrust23THRUST_200600_302600_NS6detail15normal_iteratorINSB_10device_ptrIjEEEENSD_INSE_IS6_EEEESI_S6_NSB_4plusIvEENSB_8equal_toIvEES6_EE10hipError_tPvRmT2_T3_T4_T5_mT6_T7_P12ihipStream_tbENKUlT_T0_E_clISt17integral_constantIbLb0EES13_EEDaSY_SZ_EUlSY_E_NS1_11comp_targetILNS1_3genE4ELNS1_11target_archE910ELNS1_3gpuE8ELNS1_3repE0EEENS1_30default_config_static_selectorELNS0_4arch9wavefront6targetE0EEEvT1_
; %bb.0:
	.section	.rodata,"a",@progbits
	.p2align	6, 0x0
	.amdhsa_kernel _ZN7rocprim17ROCPRIM_400000_NS6detail17trampoline_kernelINS0_14default_configENS1_27scan_by_key_config_selectorIj11FixedVectorIiLj1EEEEZZNS1_16scan_by_key_implILNS1_25lookback_scan_determinismE0ELb1ES3_N6thrust23THRUST_200600_302600_NS6detail15normal_iteratorINSB_10device_ptrIjEEEENSD_INSE_IS6_EEEESI_S6_NSB_4plusIvEENSB_8equal_toIvEES6_EE10hipError_tPvRmT2_T3_T4_T5_mT6_T7_P12ihipStream_tbENKUlT_T0_E_clISt17integral_constantIbLb0EES13_EEDaSY_SZ_EUlSY_E_NS1_11comp_targetILNS1_3genE4ELNS1_11target_archE910ELNS1_3gpuE8ELNS1_3repE0EEENS1_30default_config_static_selectorELNS0_4arch9wavefront6targetE0EEEvT1_
		.amdhsa_group_segment_fixed_size 0
		.amdhsa_private_segment_fixed_size 0
		.amdhsa_kernarg_size 112
		.amdhsa_user_sgpr_count 6
		.amdhsa_user_sgpr_private_segment_buffer 1
		.amdhsa_user_sgpr_dispatch_ptr 0
		.amdhsa_user_sgpr_queue_ptr 0
		.amdhsa_user_sgpr_kernarg_segment_ptr 1
		.amdhsa_user_sgpr_dispatch_id 0
		.amdhsa_user_sgpr_flat_scratch_init 0
		.amdhsa_user_sgpr_private_segment_size 0
		.amdhsa_wavefront_size32 1
		.amdhsa_uses_dynamic_stack 0
		.amdhsa_system_sgpr_private_segment_wavefront_offset 0
		.amdhsa_system_sgpr_workgroup_id_x 1
		.amdhsa_system_sgpr_workgroup_id_y 0
		.amdhsa_system_sgpr_workgroup_id_z 0
		.amdhsa_system_sgpr_workgroup_info 0
		.amdhsa_system_vgpr_workitem_id 0
		.amdhsa_next_free_vgpr 1
		.amdhsa_next_free_sgpr 1
		.amdhsa_reserve_vcc 0
		.amdhsa_reserve_flat_scratch 0
		.amdhsa_float_round_mode_32 0
		.amdhsa_float_round_mode_16_64 0
		.amdhsa_float_denorm_mode_32 3
		.amdhsa_float_denorm_mode_16_64 3
		.amdhsa_dx10_clamp 1
		.amdhsa_ieee_mode 1
		.amdhsa_fp16_overflow 0
		.amdhsa_workgroup_processor_mode 1
		.amdhsa_memory_ordered 1
		.amdhsa_forward_progress 1
		.amdhsa_shared_vgpr_count 0
		.amdhsa_exception_fp_ieee_invalid_op 0
		.amdhsa_exception_fp_denorm_src 0
		.amdhsa_exception_fp_ieee_div_zero 0
		.amdhsa_exception_fp_ieee_overflow 0
		.amdhsa_exception_fp_ieee_underflow 0
		.amdhsa_exception_fp_ieee_inexact 0
		.amdhsa_exception_int_div_zero 0
	.end_amdhsa_kernel
	.section	.text._ZN7rocprim17ROCPRIM_400000_NS6detail17trampoline_kernelINS0_14default_configENS1_27scan_by_key_config_selectorIj11FixedVectorIiLj1EEEEZZNS1_16scan_by_key_implILNS1_25lookback_scan_determinismE0ELb1ES3_N6thrust23THRUST_200600_302600_NS6detail15normal_iteratorINSB_10device_ptrIjEEEENSD_INSE_IS6_EEEESI_S6_NSB_4plusIvEENSB_8equal_toIvEES6_EE10hipError_tPvRmT2_T3_T4_T5_mT6_T7_P12ihipStream_tbENKUlT_T0_E_clISt17integral_constantIbLb0EES13_EEDaSY_SZ_EUlSY_E_NS1_11comp_targetILNS1_3genE4ELNS1_11target_archE910ELNS1_3gpuE8ELNS1_3repE0EEENS1_30default_config_static_selectorELNS0_4arch9wavefront6targetE0EEEvT1_,"axG",@progbits,_ZN7rocprim17ROCPRIM_400000_NS6detail17trampoline_kernelINS0_14default_configENS1_27scan_by_key_config_selectorIj11FixedVectorIiLj1EEEEZZNS1_16scan_by_key_implILNS1_25lookback_scan_determinismE0ELb1ES3_N6thrust23THRUST_200600_302600_NS6detail15normal_iteratorINSB_10device_ptrIjEEEENSD_INSE_IS6_EEEESI_S6_NSB_4plusIvEENSB_8equal_toIvEES6_EE10hipError_tPvRmT2_T3_T4_T5_mT6_T7_P12ihipStream_tbENKUlT_T0_E_clISt17integral_constantIbLb0EES13_EEDaSY_SZ_EUlSY_E_NS1_11comp_targetILNS1_3genE4ELNS1_11target_archE910ELNS1_3gpuE8ELNS1_3repE0EEENS1_30default_config_static_selectorELNS0_4arch9wavefront6targetE0EEEvT1_,comdat
.Lfunc_end1914:
	.size	_ZN7rocprim17ROCPRIM_400000_NS6detail17trampoline_kernelINS0_14default_configENS1_27scan_by_key_config_selectorIj11FixedVectorIiLj1EEEEZZNS1_16scan_by_key_implILNS1_25lookback_scan_determinismE0ELb1ES3_N6thrust23THRUST_200600_302600_NS6detail15normal_iteratorINSB_10device_ptrIjEEEENSD_INSE_IS6_EEEESI_S6_NSB_4plusIvEENSB_8equal_toIvEES6_EE10hipError_tPvRmT2_T3_T4_T5_mT6_T7_P12ihipStream_tbENKUlT_T0_E_clISt17integral_constantIbLb0EES13_EEDaSY_SZ_EUlSY_E_NS1_11comp_targetILNS1_3genE4ELNS1_11target_archE910ELNS1_3gpuE8ELNS1_3repE0EEENS1_30default_config_static_selectorELNS0_4arch9wavefront6targetE0EEEvT1_, .Lfunc_end1914-_ZN7rocprim17ROCPRIM_400000_NS6detail17trampoline_kernelINS0_14default_configENS1_27scan_by_key_config_selectorIj11FixedVectorIiLj1EEEEZZNS1_16scan_by_key_implILNS1_25lookback_scan_determinismE0ELb1ES3_N6thrust23THRUST_200600_302600_NS6detail15normal_iteratorINSB_10device_ptrIjEEEENSD_INSE_IS6_EEEESI_S6_NSB_4plusIvEENSB_8equal_toIvEES6_EE10hipError_tPvRmT2_T3_T4_T5_mT6_T7_P12ihipStream_tbENKUlT_T0_E_clISt17integral_constantIbLb0EES13_EEDaSY_SZ_EUlSY_E_NS1_11comp_targetILNS1_3genE4ELNS1_11target_archE910ELNS1_3gpuE8ELNS1_3repE0EEENS1_30default_config_static_selectorELNS0_4arch9wavefront6targetE0EEEvT1_
                                        ; -- End function
	.set _ZN7rocprim17ROCPRIM_400000_NS6detail17trampoline_kernelINS0_14default_configENS1_27scan_by_key_config_selectorIj11FixedVectorIiLj1EEEEZZNS1_16scan_by_key_implILNS1_25lookback_scan_determinismE0ELb1ES3_N6thrust23THRUST_200600_302600_NS6detail15normal_iteratorINSB_10device_ptrIjEEEENSD_INSE_IS6_EEEESI_S6_NSB_4plusIvEENSB_8equal_toIvEES6_EE10hipError_tPvRmT2_T3_T4_T5_mT6_T7_P12ihipStream_tbENKUlT_T0_E_clISt17integral_constantIbLb0EES13_EEDaSY_SZ_EUlSY_E_NS1_11comp_targetILNS1_3genE4ELNS1_11target_archE910ELNS1_3gpuE8ELNS1_3repE0EEENS1_30default_config_static_selectorELNS0_4arch9wavefront6targetE0EEEvT1_.num_vgpr, 0
	.set _ZN7rocprim17ROCPRIM_400000_NS6detail17trampoline_kernelINS0_14default_configENS1_27scan_by_key_config_selectorIj11FixedVectorIiLj1EEEEZZNS1_16scan_by_key_implILNS1_25lookback_scan_determinismE0ELb1ES3_N6thrust23THRUST_200600_302600_NS6detail15normal_iteratorINSB_10device_ptrIjEEEENSD_INSE_IS6_EEEESI_S6_NSB_4plusIvEENSB_8equal_toIvEES6_EE10hipError_tPvRmT2_T3_T4_T5_mT6_T7_P12ihipStream_tbENKUlT_T0_E_clISt17integral_constantIbLb0EES13_EEDaSY_SZ_EUlSY_E_NS1_11comp_targetILNS1_3genE4ELNS1_11target_archE910ELNS1_3gpuE8ELNS1_3repE0EEENS1_30default_config_static_selectorELNS0_4arch9wavefront6targetE0EEEvT1_.num_agpr, 0
	.set _ZN7rocprim17ROCPRIM_400000_NS6detail17trampoline_kernelINS0_14default_configENS1_27scan_by_key_config_selectorIj11FixedVectorIiLj1EEEEZZNS1_16scan_by_key_implILNS1_25lookback_scan_determinismE0ELb1ES3_N6thrust23THRUST_200600_302600_NS6detail15normal_iteratorINSB_10device_ptrIjEEEENSD_INSE_IS6_EEEESI_S6_NSB_4plusIvEENSB_8equal_toIvEES6_EE10hipError_tPvRmT2_T3_T4_T5_mT6_T7_P12ihipStream_tbENKUlT_T0_E_clISt17integral_constantIbLb0EES13_EEDaSY_SZ_EUlSY_E_NS1_11comp_targetILNS1_3genE4ELNS1_11target_archE910ELNS1_3gpuE8ELNS1_3repE0EEENS1_30default_config_static_selectorELNS0_4arch9wavefront6targetE0EEEvT1_.numbered_sgpr, 0
	.set _ZN7rocprim17ROCPRIM_400000_NS6detail17trampoline_kernelINS0_14default_configENS1_27scan_by_key_config_selectorIj11FixedVectorIiLj1EEEEZZNS1_16scan_by_key_implILNS1_25lookback_scan_determinismE0ELb1ES3_N6thrust23THRUST_200600_302600_NS6detail15normal_iteratorINSB_10device_ptrIjEEEENSD_INSE_IS6_EEEESI_S6_NSB_4plusIvEENSB_8equal_toIvEES6_EE10hipError_tPvRmT2_T3_T4_T5_mT6_T7_P12ihipStream_tbENKUlT_T0_E_clISt17integral_constantIbLb0EES13_EEDaSY_SZ_EUlSY_E_NS1_11comp_targetILNS1_3genE4ELNS1_11target_archE910ELNS1_3gpuE8ELNS1_3repE0EEENS1_30default_config_static_selectorELNS0_4arch9wavefront6targetE0EEEvT1_.num_named_barrier, 0
	.set _ZN7rocprim17ROCPRIM_400000_NS6detail17trampoline_kernelINS0_14default_configENS1_27scan_by_key_config_selectorIj11FixedVectorIiLj1EEEEZZNS1_16scan_by_key_implILNS1_25lookback_scan_determinismE0ELb1ES3_N6thrust23THRUST_200600_302600_NS6detail15normal_iteratorINSB_10device_ptrIjEEEENSD_INSE_IS6_EEEESI_S6_NSB_4plusIvEENSB_8equal_toIvEES6_EE10hipError_tPvRmT2_T3_T4_T5_mT6_T7_P12ihipStream_tbENKUlT_T0_E_clISt17integral_constantIbLb0EES13_EEDaSY_SZ_EUlSY_E_NS1_11comp_targetILNS1_3genE4ELNS1_11target_archE910ELNS1_3gpuE8ELNS1_3repE0EEENS1_30default_config_static_selectorELNS0_4arch9wavefront6targetE0EEEvT1_.private_seg_size, 0
	.set _ZN7rocprim17ROCPRIM_400000_NS6detail17trampoline_kernelINS0_14default_configENS1_27scan_by_key_config_selectorIj11FixedVectorIiLj1EEEEZZNS1_16scan_by_key_implILNS1_25lookback_scan_determinismE0ELb1ES3_N6thrust23THRUST_200600_302600_NS6detail15normal_iteratorINSB_10device_ptrIjEEEENSD_INSE_IS6_EEEESI_S6_NSB_4plusIvEENSB_8equal_toIvEES6_EE10hipError_tPvRmT2_T3_T4_T5_mT6_T7_P12ihipStream_tbENKUlT_T0_E_clISt17integral_constantIbLb0EES13_EEDaSY_SZ_EUlSY_E_NS1_11comp_targetILNS1_3genE4ELNS1_11target_archE910ELNS1_3gpuE8ELNS1_3repE0EEENS1_30default_config_static_selectorELNS0_4arch9wavefront6targetE0EEEvT1_.uses_vcc, 0
	.set _ZN7rocprim17ROCPRIM_400000_NS6detail17trampoline_kernelINS0_14default_configENS1_27scan_by_key_config_selectorIj11FixedVectorIiLj1EEEEZZNS1_16scan_by_key_implILNS1_25lookback_scan_determinismE0ELb1ES3_N6thrust23THRUST_200600_302600_NS6detail15normal_iteratorINSB_10device_ptrIjEEEENSD_INSE_IS6_EEEESI_S6_NSB_4plusIvEENSB_8equal_toIvEES6_EE10hipError_tPvRmT2_T3_T4_T5_mT6_T7_P12ihipStream_tbENKUlT_T0_E_clISt17integral_constantIbLb0EES13_EEDaSY_SZ_EUlSY_E_NS1_11comp_targetILNS1_3genE4ELNS1_11target_archE910ELNS1_3gpuE8ELNS1_3repE0EEENS1_30default_config_static_selectorELNS0_4arch9wavefront6targetE0EEEvT1_.uses_flat_scratch, 0
	.set _ZN7rocprim17ROCPRIM_400000_NS6detail17trampoline_kernelINS0_14default_configENS1_27scan_by_key_config_selectorIj11FixedVectorIiLj1EEEEZZNS1_16scan_by_key_implILNS1_25lookback_scan_determinismE0ELb1ES3_N6thrust23THRUST_200600_302600_NS6detail15normal_iteratorINSB_10device_ptrIjEEEENSD_INSE_IS6_EEEESI_S6_NSB_4plusIvEENSB_8equal_toIvEES6_EE10hipError_tPvRmT2_T3_T4_T5_mT6_T7_P12ihipStream_tbENKUlT_T0_E_clISt17integral_constantIbLb0EES13_EEDaSY_SZ_EUlSY_E_NS1_11comp_targetILNS1_3genE4ELNS1_11target_archE910ELNS1_3gpuE8ELNS1_3repE0EEENS1_30default_config_static_selectorELNS0_4arch9wavefront6targetE0EEEvT1_.has_dyn_sized_stack, 0
	.set _ZN7rocprim17ROCPRIM_400000_NS6detail17trampoline_kernelINS0_14default_configENS1_27scan_by_key_config_selectorIj11FixedVectorIiLj1EEEEZZNS1_16scan_by_key_implILNS1_25lookback_scan_determinismE0ELb1ES3_N6thrust23THRUST_200600_302600_NS6detail15normal_iteratorINSB_10device_ptrIjEEEENSD_INSE_IS6_EEEESI_S6_NSB_4plusIvEENSB_8equal_toIvEES6_EE10hipError_tPvRmT2_T3_T4_T5_mT6_T7_P12ihipStream_tbENKUlT_T0_E_clISt17integral_constantIbLb0EES13_EEDaSY_SZ_EUlSY_E_NS1_11comp_targetILNS1_3genE4ELNS1_11target_archE910ELNS1_3gpuE8ELNS1_3repE0EEENS1_30default_config_static_selectorELNS0_4arch9wavefront6targetE0EEEvT1_.has_recursion, 0
	.set _ZN7rocprim17ROCPRIM_400000_NS6detail17trampoline_kernelINS0_14default_configENS1_27scan_by_key_config_selectorIj11FixedVectorIiLj1EEEEZZNS1_16scan_by_key_implILNS1_25lookback_scan_determinismE0ELb1ES3_N6thrust23THRUST_200600_302600_NS6detail15normal_iteratorINSB_10device_ptrIjEEEENSD_INSE_IS6_EEEESI_S6_NSB_4plusIvEENSB_8equal_toIvEES6_EE10hipError_tPvRmT2_T3_T4_T5_mT6_T7_P12ihipStream_tbENKUlT_T0_E_clISt17integral_constantIbLb0EES13_EEDaSY_SZ_EUlSY_E_NS1_11comp_targetILNS1_3genE4ELNS1_11target_archE910ELNS1_3gpuE8ELNS1_3repE0EEENS1_30default_config_static_selectorELNS0_4arch9wavefront6targetE0EEEvT1_.has_indirect_call, 0
	.section	.AMDGPU.csdata,"",@progbits
; Kernel info:
; codeLenInByte = 0
; TotalNumSgprs: 0
; NumVgprs: 0
; ScratchSize: 0
; MemoryBound: 0
; FloatMode: 240
; IeeeMode: 1
; LDSByteSize: 0 bytes/workgroup (compile time only)
; SGPRBlocks: 0
; VGPRBlocks: 0
; NumSGPRsForWavesPerEU: 1
; NumVGPRsForWavesPerEU: 1
; Occupancy: 16
; WaveLimiterHint : 0
; COMPUTE_PGM_RSRC2:SCRATCH_EN: 0
; COMPUTE_PGM_RSRC2:USER_SGPR: 6
; COMPUTE_PGM_RSRC2:TRAP_HANDLER: 0
; COMPUTE_PGM_RSRC2:TGID_X_EN: 1
; COMPUTE_PGM_RSRC2:TGID_Y_EN: 0
; COMPUTE_PGM_RSRC2:TGID_Z_EN: 0
; COMPUTE_PGM_RSRC2:TIDIG_COMP_CNT: 0
	.section	.text._ZN7rocprim17ROCPRIM_400000_NS6detail17trampoline_kernelINS0_14default_configENS1_27scan_by_key_config_selectorIj11FixedVectorIiLj1EEEEZZNS1_16scan_by_key_implILNS1_25lookback_scan_determinismE0ELb1ES3_N6thrust23THRUST_200600_302600_NS6detail15normal_iteratorINSB_10device_ptrIjEEEENSD_INSE_IS6_EEEESI_S6_NSB_4plusIvEENSB_8equal_toIvEES6_EE10hipError_tPvRmT2_T3_T4_T5_mT6_T7_P12ihipStream_tbENKUlT_T0_E_clISt17integral_constantIbLb0EES13_EEDaSY_SZ_EUlSY_E_NS1_11comp_targetILNS1_3genE3ELNS1_11target_archE908ELNS1_3gpuE7ELNS1_3repE0EEENS1_30default_config_static_selectorELNS0_4arch9wavefront6targetE0EEEvT1_,"axG",@progbits,_ZN7rocprim17ROCPRIM_400000_NS6detail17trampoline_kernelINS0_14default_configENS1_27scan_by_key_config_selectorIj11FixedVectorIiLj1EEEEZZNS1_16scan_by_key_implILNS1_25lookback_scan_determinismE0ELb1ES3_N6thrust23THRUST_200600_302600_NS6detail15normal_iteratorINSB_10device_ptrIjEEEENSD_INSE_IS6_EEEESI_S6_NSB_4plusIvEENSB_8equal_toIvEES6_EE10hipError_tPvRmT2_T3_T4_T5_mT6_T7_P12ihipStream_tbENKUlT_T0_E_clISt17integral_constantIbLb0EES13_EEDaSY_SZ_EUlSY_E_NS1_11comp_targetILNS1_3genE3ELNS1_11target_archE908ELNS1_3gpuE7ELNS1_3repE0EEENS1_30default_config_static_selectorELNS0_4arch9wavefront6targetE0EEEvT1_,comdat
	.protected	_ZN7rocprim17ROCPRIM_400000_NS6detail17trampoline_kernelINS0_14default_configENS1_27scan_by_key_config_selectorIj11FixedVectorIiLj1EEEEZZNS1_16scan_by_key_implILNS1_25lookback_scan_determinismE0ELb1ES3_N6thrust23THRUST_200600_302600_NS6detail15normal_iteratorINSB_10device_ptrIjEEEENSD_INSE_IS6_EEEESI_S6_NSB_4plusIvEENSB_8equal_toIvEES6_EE10hipError_tPvRmT2_T3_T4_T5_mT6_T7_P12ihipStream_tbENKUlT_T0_E_clISt17integral_constantIbLb0EES13_EEDaSY_SZ_EUlSY_E_NS1_11comp_targetILNS1_3genE3ELNS1_11target_archE908ELNS1_3gpuE7ELNS1_3repE0EEENS1_30default_config_static_selectorELNS0_4arch9wavefront6targetE0EEEvT1_ ; -- Begin function _ZN7rocprim17ROCPRIM_400000_NS6detail17trampoline_kernelINS0_14default_configENS1_27scan_by_key_config_selectorIj11FixedVectorIiLj1EEEEZZNS1_16scan_by_key_implILNS1_25lookback_scan_determinismE0ELb1ES3_N6thrust23THRUST_200600_302600_NS6detail15normal_iteratorINSB_10device_ptrIjEEEENSD_INSE_IS6_EEEESI_S6_NSB_4plusIvEENSB_8equal_toIvEES6_EE10hipError_tPvRmT2_T3_T4_T5_mT6_T7_P12ihipStream_tbENKUlT_T0_E_clISt17integral_constantIbLb0EES13_EEDaSY_SZ_EUlSY_E_NS1_11comp_targetILNS1_3genE3ELNS1_11target_archE908ELNS1_3gpuE7ELNS1_3repE0EEENS1_30default_config_static_selectorELNS0_4arch9wavefront6targetE0EEEvT1_
	.globl	_ZN7rocprim17ROCPRIM_400000_NS6detail17trampoline_kernelINS0_14default_configENS1_27scan_by_key_config_selectorIj11FixedVectorIiLj1EEEEZZNS1_16scan_by_key_implILNS1_25lookback_scan_determinismE0ELb1ES3_N6thrust23THRUST_200600_302600_NS6detail15normal_iteratorINSB_10device_ptrIjEEEENSD_INSE_IS6_EEEESI_S6_NSB_4plusIvEENSB_8equal_toIvEES6_EE10hipError_tPvRmT2_T3_T4_T5_mT6_T7_P12ihipStream_tbENKUlT_T0_E_clISt17integral_constantIbLb0EES13_EEDaSY_SZ_EUlSY_E_NS1_11comp_targetILNS1_3genE3ELNS1_11target_archE908ELNS1_3gpuE7ELNS1_3repE0EEENS1_30default_config_static_selectorELNS0_4arch9wavefront6targetE0EEEvT1_
	.p2align	8
	.type	_ZN7rocprim17ROCPRIM_400000_NS6detail17trampoline_kernelINS0_14default_configENS1_27scan_by_key_config_selectorIj11FixedVectorIiLj1EEEEZZNS1_16scan_by_key_implILNS1_25lookback_scan_determinismE0ELb1ES3_N6thrust23THRUST_200600_302600_NS6detail15normal_iteratorINSB_10device_ptrIjEEEENSD_INSE_IS6_EEEESI_S6_NSB_4plusIvEENSB_8equal_toIvEES6_EE10hipError_tPvRmT2_T3_T4_T5_mT6_T7_P12ihipStream_tbENKUlT_T0_E_clISt17integral_constantIbLb0EES13_EEDaSY_SZ_EUlSY_E_NS1_11comp_targetILNS1_3genE3ELNS1_11target_archE908ELNS1_3gpuE7ELNS1_3repE0EEENS1_30default_config_static_selectorELNS0_4arch9wavefront6targetE0EEEvT1_,@function
_ZN7rocprim17ROCPRIM_400000_NS6detail17trampoline_kernelINS0_14default_configENS1_27scan_by_key_config_selectorIj11FixedVectorIiLj1EEEEZZNS1_16scan_by_key_implILNS1_25lookback_scan_determinismE0ELb1ES3_N6thrust23THRUST_200600_302600_NS6detail15normal_iteratorINSB_10device_ptrIjEEEENSD_INSE_IS6_EEEESI_S6_NSB_4plusIvEENSB_8equal_toIvEES6_EE10hipError_tPvRmT2_T3_T4_T5_mT6_T7_P12ihipStream_tbENKUlT_T0_E_clISt17integral_constantIbLb0EES13_EEDaSY_SZ_EUlSY_E_NS1_11comp_targetILNS1_3genE3ELNS1_11target_archE908ELNS1_3gpuE7ELNS1_3repE0EEENS1_30default_config_static_selectorELNS0_4arch9wavefront6targetE0EEEvT1_: ; @_ZN7rocprim17ROCPRIM_400000_NS6detail17trampoline_kernelINS0_14default_configENS1_27scan_by_key_config_selectorIj11FixedVectorIiLj1EEEEZZNS1_16scan_by_key_implILNS1_25lookback_scan_determinismE0ELb1ES3_N6thrust23THRUST_200600_302600_NS6detail15normal_iteratorINSB_10device_ptrIjEEEENSD_INSE_IS6_EEEESI_S6_NSB_4plusIvEENSB_8equal_toIvEES6_EE10hipError_tPvRmT2_T3_T4_T5_mT6_T7_P12ihipStream_tbENKUlT_T0_E_clISt17integral_constantIbLb0EES13_EEDaSY_SZ_EUlSY_E_NS1_11comp_targetILNS1_3genE3ELNS1_11target_archE908ELNS1_3gpuE7ELNS1_3repE0EEENS1_30default_config_static_selectorELNS0_4arch9wavefront6targetE0EEEvT1_
; %bb.0:
	.section	.rodata,"a",@progbits
	.p2align	6, 0x0
	.amdhsa_kernel _ZN7rocprim17ROCPRIM_400000_NS6detail17trampoline_kernelINS0_14default_configENS1_27scan_by_key_config_selectorIj11FixedVectorIiLj1EEEEZZNS1_16scan_by_key_implILNS1_25lookback_scan_determinismE0ELb1ES3_N6thrust23THRUST_200600_302600_NS6detail15normal_iteratorINSB_10device_ptrIjEEEENSD_INSE_IS6_EEEESI_S6_NSB_4plusIvEENSB_8equal_toIvEES6_EE10hipError_tPvRmT2_T3_T4_T5_mT6_T7_P12ihipStream_tbENKUlT_T0_E_clISt17integral_constantIbLb0EES13_EEDaSY_SZ_EUlSY_E_NS1_11comp_targetILNS1_3genE3ELNS1_11target_archE908ELNS1_3gpuE7ELNS1_3repE0EEENS1_30default_config_static_selectorELNS0_4arch9wavefront6targetE0EEEvT1_
		.amdhsa_group_segment_fixed_size 0
		.amdhsa_private_segment_fixed_size 0
		.amdhsa_kernarg_size 112
		.amdhsa_user_sgpr_count 6
		.amdhsa_user_sgpr_private_segment_buffer 1
		.amdhsa_user_sgpr_dispatch_ptr 0
		.amdhsa_user_sgpr_queue_ptr 0
		.amdhsa_user_sgpr_kernarg_segment_ptr 1
		.amdhsa_user_sgpr_dispatch_id 0
		.amdhsa_user_sgpr_flat_scratch_init 0
		.amdhsa_user_sgpr_private_segment_size 0
		.amdhsa_wavefront_size32 1
		.amdhsa_uses_dynamic_stack 0
		.amdhsa_system_sgpr_private_segment_wavefront_offset 0
		.amdhsa_system_sgpr_workgroup_id_x 1
		.amdhsa_system_sgpr_workgroup_id_y 0
		.amdhsa_system_sgpr_workgroup_id_z 0
		.amdhsa_system_sgpr_workgroup_info 0
		.amdhsa_system_vgpr_workitem_id 0
		.amdhsa_next_free_vgpr 1
		.amdhsa_next_free_sgpr 1
		.amdhsa_reserve_vcc 0
		.amdhsa_reserve_flat_scratch 0
		.amdhsa_float_round_mode_32 0
		.amdhsa_float_round_mode_16_64 0
		.amdhsa_float_denorm_mode_32 3
		.amdhsa_float_denorm_mode_16_64 3
		.amdhsa_dx10_clamp 1
		.amdhsa_ieee_mode 1
		.amdhsa_fp16_overflow 0
		.amdhsa_workgroup_processor_mode 1
		.amdhsa_memory_ordered 1
		.amdhsa_forward_progress 1
		.amdhsa_shared_vgpr_count 0
		.amdhsa_exception_fp_ieee_invalid_op 0
		.amdhsa_exception_fp_denorm_src 0
		.amdhsa_exception_fp_ieee_div_zero 0
		.amdhsa_exception_fp_ieee_overflow 0
		.amdhsa_exception_fp_ieee_underflow 0
		.amdhsa_exception_fp_ieee_inexact 0
		.amdhsa_exception_int_div_zero 0
	.end_amdhsa_kernel
	.section	.text._ZN7rocprim17ROCPRIM_400000_NS6detail17trampoline_kernelINS0_14default_configENS1_27scan_by_key_config_selectorIj11FixedVectorIiLj1EEEEZZNS1_16scan_by_key_implILNS1_25lookback_scan_determinismE0ELb1ES3_N6thrust23THRUST_200600_302600_NS6detail15normal_iteratorINSB_10device_ptrIjEEEENSD_INSE_IS6_EEEESI_S6_NSB_4plusIvEENSB_8equal_toIvEES6_EE10hipError_tPvRmT2_T3_T4_T5_mT6_T7_P12ihipStream_tbENKUlT_T0_E_clISt17integral_constantIbLb0EES13_EEDaSY_SZ_EUlSY_E_NS1_11comp_targetILNS1_3genE3ELNS1_11target_archE908ELNS1_3gpuE7ELNS1_3repE0EEENS1_30default_config_static_selectorELNS0_4arch9wavefront6targetE0EEEvT1_,"axG",@progbits,_ZN7rocprim17ROCPRIM_400000_NS6detail17trampoline_kernelINS0_14default_configENS1_27scan_by_key_config_selectorIj11FixedVectorIiLj1EEEEZZNS1_16scan_by_key_implILNS1_25lookback_scan_determinismE0ELb1ES3_N6thrust23THRUST_200600_302600_NS6detail15normal_iteratorINSB_10device_ptrIjEEEENSD_INSE_IS6_EEEESI_S6_NSB_4plusIvEENSB_8equal_toIvEES6_EE10hipError_tPvRmT2_T3_T4_T5_mT6_T7_P12ihipStream_tbENKUlT_T0_E_clISt17integral_constantIbLb0EES13_EEDaSY_SZ_EUlSY_E_NS1_11comp_targetILNS1_3genE3ELNS1_11target_archE908ELNS1_3gpuE7ELNS1_3repE0EEENS1_30default_config_static_selectorELNS0_4arch9wavefront6targetE0EEEvT1_,comdat
.Lfunc_end1915:
	.size	_ZN7rocprim17ROCPRIM_400000_NS6detail17trampoline_kernelINS0_14default_configENS1_27scan_by_key_config_selectorIj11FixedVectorIiLj1EEEEZZNS1_16scan_by_key_implILNS1_25lookback_scan_determinismE0ELb1ES3_N6thrust23THRUST_200600_302600_NS6detail15normal_iteratorINSB_10device_ptrIjEEEENSD_INSE_IS6_EEEESI_S6_NSB_4plusIvEENSB_8equal_toIvEES6_EE10hipError_tPvRmT2_T3_T4_T5_mT6_T7_P12ihipStream_tbENKUlT_T0_E_clISt17integral_constantIbLb0EES13_EEDaSY_SZ_EUlSY_E_NS1_11comp_targetILNS1_3genE3ELNS1_11target_archE908ELNS1_3gpuE7ELNS1_3repE0EEENS1_30default_config_static_selectorELNS0_4arch9wavefront6targetE0EEEvT1_, .Lfunc_end1915-_ZN7rocprim17ROCPRIM_400000_NS6detail17trampoline_kernelINS0_14default_configENS1_27scan_by_key_config_selectorIj11FixedVectorIiLj1EEEEZZNS1_16scan_by_key_implILNS1_25lookback_scan_determinismE0ELb1ES3_N6thrust23THRUST_200600_302600_NS6detail15normal_iteratorINSB_10device_ptrIjEEEENSD_INSE_IS6_EEEESI_S6_NSB_4plusIvEENSB_8equal_toIvEES6_EE10hipError_tPvRmT2_T3_T4_T5_mT6_T7_P12ihipStream_tbENKUlT_T0_E_clISt17integral_constantIbLb0EES13_EEDaSY_SZ_EUlSY_E_NS1_11comp_targetILNS1_3genE3ELNS1_11target_archE908ELNS1_3gpuE7ELNS1_3repE0EEENS1_30default_config_static_selectorELNS0_4arch9wavefront6targetE0EEEvT1_
                                        ; -- End function
	.set _ZN7rocprim17ROCPRIM_400000_NS6detail17trampoline_kernelINS0_14default_configENS1_27scan_by_key_config_selectorIj11FixedVectorIiLj1EEEEZZNS1_16scan_by_key_implILNS1_25lookback_scan_determinismE0ELb1ES3_N6thrust23THRUST_200600_302600_NS6detail15normal_iteratorINSB_10device_ptrIjEEEENSD_INSE_IS6_EEEESI_S6_NSB_4plusIvEENSB_8equal_toIvEES6_EE10hipError_tPvRmT2_T3_T4_T5_mT6_T7_P12ihipStream_tbENKUlT_T0_E_clISt17integral_constantIbLb0EES13_EEDaSY_SZ_EUlSY_E_NS1_11comp_targetILNS1_3genE3ELNS1_11target_archE908ELNS1_3gpuE7ELNS1_3repE0EEENS1_30default_config_static_selectorELNS0_4arch9wavefront6targetE0EEEvT1_.num_vgpr, 0
	.set _ZN7rocprim17ROCPRIM_400000_NS6detail17trampoline_kernelINS0_14default_configENS1_27scan_by_key_config_selectorIj11FixedVectorIiLj1EEEEZZNS1_16scan_by_key_implILNS1_25lookback_scan_determinismE0ELb1ES3_N6thrust23THRUST_200600_302600_NS6detail15normal_iteratorINSB_10device_ptrIjEEEENSD_INSE_IS6_EEEESI_S6_NSB_4plusIvEENSB_8equal_toIvEES6_EE10hipError_tPvRmT2_T3_T4_T5_mT6_T7_P12ihipStream_tbENKUlT_T0_E_clISt17integral_constantIbLb0EES13_EEDaSY_SZ_EUlSY_E_NS1_11comp_targetILNS1_3genE3ELNS1_11target_archE908ELNS1_3gpuE7ELNS1_3repE0EEENS1_30default_config_static_selectorELNS0_4arch9wavefront6targetE0EEEvT1_.num_agpr, 0
	.set _ZN7rocprim17ROCPRIM_400000_NS6detail17trampoline_kernelINS0_14default_configENS1_27scan_by_key_config_selectorIj11FixedVectorIiLj1EEEEZZNS1_16scan_by_key_implILNS1_25lookback_scan_determinismE0ELb1ES3_N6thrust23THRUST_200600_302600_NS6detail15normal_iteratorINSB_10device_ptrIjEEEENSD_INSE_IS6_EEEESI_S6_NSB_4plusIvEENSB_8equal_toIvEES6_EE10hipError_tPvRmT2_T3_T4_T5_mT6_T7_P12ihipStream_tbENKUlT_T0_E_clISt17integral_constantIbLb0EES13_EEDaSY_SZ_EUlSY_E_NS1_11comp_targetILNS1_3genE3ELNS1_11target_archE908ELNS1_3gpuE7ELNS1_3repE0EEENS1_30default_config_static_selectorELNS0_4arch9wavefront6targetE0EEEvT1_.numbered_sgpr, 0
	.set _ZN7rocprim17ROCPRIM_400000_NS6detail17trampoline_kernelINS0_14default_configENS1_27scan_by_key_config_selectorIj11FixedVectorIiLj1EEEEZZNS1_16scan_by_key_implILNS1_25lookback_scan_determinismE0ELb1ES3_N6thrust23THRUST_200600_302600_NS6detail15normal_iteratorINSB_10device_ptrIjEEEENSD_INSE_IS6_EEEESI_S6_NSB_4plusIvEENSB_8equal_toIvEES6_EE10hipError_tPvRmT2_T3_T4_T5_mT6_T7_P12ihipStream_tbENKUlT_T0_E_clISt17integral_constantIbLb0EES13_EEDaSY_SZ_EUlSY_E_NS1_11comp_targetILNS1_3genE3ELNS1_11target_archE908ELNS1_3gpuE7ELNS1_3repE0EEENS1_30default_config_static_selectorELNS0_4arch9wavefront6targetE0EEEvT1_.num_named_barrier, 0
	.set _ZN7rocprim17ROCPRIM_400000_NS6detail17trampoline_kernelINS0_14default_configENS1_27scan_by_key_config_selectorIj11FixedVectorIiLj1EEEEZZNS1_16scan_by_key_implILNS1_25lookback_scan_determinismE0ELb1ES3_N6thrust23THRUST_200600_302600_NS6detail15normal_iteratorINSB_10device_ptrIjEEEENSD_INSE_IS6_EEEESI_S6_NSB_4plusIvEENSB_8equal_toIvEES6_EE10hipError_tPvRmT2_T3_T4_T5_mT6_T7_P12ihipStream_tbENKUlT_T0_E_clISt17integral_constantIbLb0EES13_EEDaSY_SZ_EUlSY_E_NS1_11comp_targetILNS1_3genE3ELNS1_11target_archE908ELNS1_3gpuE7ELNS1_3repE0EEENS1_30default_config_static_selectorELNS0_4arch9wavefront6targetE0EEEvT1_.private_seg_size, 0
	.set _ZN7rocprim17ROCPRIM_400000_NS6detail17trampoline_kernelINS0_14default_configENS1_27scan_by_key_config_selectorIj11FixedVectorIiLj1EEEEZZNS1_16scan_by_key_implILNS1_25lookback_scan_determinismE0ELb1ES3_N6thrust23THRUST_200600_302600_NS6detail15normal_iteratorINSB_10device_ptrIjEEEENSD_INSE_IS6_EEEESI_S6_NSB_4plusIvEENSB_8equal_toIvEES6_EE10hipError_tPvRmT2_T3_T4_T5_mT6_T7_P12ihipStream_tbENKUlT_T0_E_clISt17integral_constantIbLb0EES13_EEDaSY_SZ_EUlSY_E_NS1_11comp_targetILNS1_3genE3ELNS1_11target_archE908ELNS1_3gpuE7ELNS1_3repE0EEENS1_30default_config_static_selectorELNS0_4arch9wavefront6targetE0EEEvT1_.uses_vcc, 0
	.set _ZN7rocprim17ROCPRIM_400000_NS6detail17trampoline_kernelINS0_14default_configENS1_27scan_by_key_config_selectorIj11FixedVectorIiLj1EEEEZZNS1_16scan_by_key_implILNS1_25lookback_scan_determinismE0ELb1ES3_N6thrust23THRUST_200600_302600_NS6detail15normal_iteratorINSB_10device_ptrIjEEEENSD_INSE_IS6_EEEESI_S6_NSB_4plusIvEENSB_8equal_toIvEES6_EE10hipError_tPvRmT2_T3_T4_T5_mT6_T7_P12ihipStream_tbENKUlT_T0_E_clISt17integral_constantIbLb0EES13_EEDaSY_SZ_EUlSY_E_NS1_11comp_targetILNS1_3genE3ELNS1_11target_archE908ELNS1_3gpuE7ELNS1_3repE0EEENS1_30default_config_static_selectorELNS0_4arch9wavefront6targetE0EEEvT1_.uses_flat_scratch, 0
	.set _ZN7rocprim17ROCPRIM_400000_NS6detail17trampoline_kernelINS0_14default_configENS1_27scan_by_key_config_selectorIj11FixedVectorIiLj1EEEEZZNS1_16scan_by_key_implILNS1_25lookback_scan_determinismE0ELb1ES3_N6thrust23THRUST_200600_302600_NS6detail15normal_iteratorINSB_10device_ptrIjEEEENSD_INSE_IS6_EEEESI_S6_NSB_4plusIvEENSB_8equal_toIvEES6_EE10hipError_tPvRmT2_T3_T4_T5_mT6_T7_P12ihipStream_tbENKUlT_T0_E_clISt17integral_constantIbLb0EES13_EEDaSY_SZ_EUlSY_E_NS1_11comp_targetILNS1_3genE3ELNS1_11target_archE908ELNS1_3gpuE7ELNS1_3repE0EEENS1_30default_config_static_selectorELNS0_4arch9wavefront6targetE0EEEvT1_.has_dyn_sized_stack, 0
	.set _ZN7rocprim17ROCPRIM_400000_NS6detail17trampoline_kernelINS0_14default_configENS1_27scan_by_key_config_selectorIj11FixedVectorIiLj1EEEEZZNS1_16scan_by_key_implILNS1_25lookback_scan_determinismE0ELb1ES3_N6thrust23THRUST_200600_302600_NS6detail15normal_iteratorINSB_10device_ptrIjEEEENSD_INSE_IS6_EEEESI_S6_NSB_4plusIvEENSB_8equal_toIvEES6_EE10hipError_tPvRmT2_T3_T4_T5_mT6_T7_P12ihipStream_tbENKUlT_T0_E_clISt17integral_constantIbLb0EES13_EEDaSY_SZ_EUlSY_E_NS1_11comp_targetILNS1_3genE3ELNS1_11target_archE908ELNS1_3gpuE7ELNS1_3repE0EEENS1_30default_config_static_selectorELNS0_4arch9wavefront6targetE0EEEvT1_.has_recursion, 0
	.set _ZN7rocprim17ROCPRIM_400000_NS6detail17trampoline_kernelINS0_14default_configENS1_27scan_by_key_config_selectorIj11FixedVectorIiLj1EEEEZZNS1_16scan_by_key_implILNS1_25lookback_scan_determinismE0ELb1ES3_N6thrust23THRUST_200600_302600_NS6detail15normal_iteratorINSB_10device_ptrIjEEEENSD_INSE_IS6_EEEESI_S6_NSB_4plusIvEENSB_8equal_toIvEES6_EE10hipError_tPvRmT2_T3_T4_T5_mT6_T7_P12ihipStream_tbENKUlT_T0_E_clISt17integral_constantIbLb0EES13_EEDaSY_SZ_EUlSY_E_NS1_11comp_targetILNS1_3genE3ELNS1_11target_archE908ELNS1_3gpuE7ELNS1_3repE0EEENS1_30default_config_static_selectorELNS0_4arch9wavefront6targetE0EEEvT1_.has_indirect_call, 0
	.section	.AMDGPU.csdata,"",@progbits
; Kernel info:
; codeLenInByte = 0
; TotalNumSgprs: 0
; NumVgprs: 0
; ScratchSize: 0
; MemoryBound: 0
; FloatMode: 240
; IeeeMode: 1
; LDSByteSize: 0 bytes/workgroup (compile time only)
; SGPRBlocks: 0
; VGPRBlocks: 0
; NumSGPRsForWavesPerEU: 1
; NumVGPRsForWavesPerEU: 1
; Occupancy: 16
; WaveLimiterHint : 0
; COMPUTE_PGM_RSRC2:SCRATCH_EN: 0
; COMPUTE_PGM_RSRC2:USER_SGPR: 6
; COMPUTE_PGM_RSRC2:TRAP_HANDLER: 0
; COMPUTE_PGM_RSRC2:TGID_X_EN: 1
; COMPUTE_PGM_RSRC2:TGID_Y_EN: 0
; COMPUTE_PGM_RSRC2:TGID_Z_EN: 0
; COMPUTE_PGM_RSRC2:TIDIG_COMP_CNT: 0
	.section	.text._ZN7rocprim17ROCPRIM_400000_NS6detail17trampoline_kernelINS0_14default_configENS1_27scan_by_key_config_selectorIj11FixedVectorIiLj1EEEEZZNS1_16scan_by_key_implILNS1_25lookback_scan_determinismE0ELb1ES3_N6thrust23THRUST_200600_302600_NS6detail15normal_iteratorINSB_10device_ptrIjEEEENSD_INSE_IS6_EEEESI_S6_NSB_4plusIvEENSB_8equal_toIvEES6_EE10hipError_tPvRmT2_T3_T4_T5_mT6_T7_P12ihipStream_tbENKUlT_T0_E_clISt17integral_constantIbLb0EES13_EEDaSY_SZ_EUlSY_E_NS1_11comp_targetILNS1_3genE2ELNS1_11target_archE906ELNS1_3gpuE6ELNS1_3repE0EEENS1_30default_config_static_selectorELNS0_4arch9wavefront6targetE0EEEvT1_,"axG",@progbits,_ZN7rocprim17ROCPRIM_400000_NS6detail17trampoline_kernelINS0_14default_configENS1_27scan_by_key_config_selectorIj11FixedVectorIiLj1EEEEZZNS1_16scan_by_key_implILNS1_25lookback_scan_determinismE0ELb1ES3_N6thrust23THRUST_200600_302600_NS6detail15normal_iteratorINSB_10device_ptrIjEEEENSD_INSE_IS6_EEEESI_S6_NSB_4plusIvEENSB_8equal_toIvEES6_EE10hipError_tPvRmT2_T3_T4_T5_mT6_T7_P12ihipStream_tbENKUlT_T0_E_clISt17integral_constantIbLb0EES13_EEDaSY_SZ_EUlSY_E_NS1_11comp_targetILNS1_3genE2ELNS1_11target_archE906ELNS1_3gpuE6ELNS1_3repE0EEENS1_30default_config_static_selectorELNS0_4arch9wavefront6targetE0EEEvT1_,comdat
	.protected	_ZN7rocprim17ROCPRIM_400000_NS6detail17trampoline_kernelINS0_14default_configENS1_27scan_by_key_config_selectorIj11FixedVectorIiLj1EEEEZZNS1_16scan_by_key_implILNS1_25lookback_scan_determinismE0ELb1ES3_N6thrust23THRUST_200600_302600_NS6detail15normal_iteratorINSB_10device_ptrIjEEEENSD_INSE_IS6_EEEESI_S6_NSB_4plusIvEENSB_8equal_toIvEES6_EE10hipError_tPvRmT2_T3_T4_T5_mT6_T7_P12ihipStream_tbENKUlT_T0_E_clISt17integral_constantIbLb0EES13_EEDaSY_SZ_EUlSY_E_NS1_11comp_targetILNS1_3genE2ELNS1_11target_archE906ELNS1_3gpuE6ELNS1_3repE0EEENS1_30default_config_static_selectorELNS0_4arch9wavefront6targetE0EEEvT1_ ; -- Begin function _ZN7rocprim17ROCPRIM_400000_NS6detail17trampoline_kernelINS0_14default_configENS1_27scan_by_key_config_selectorIj11FixedVectorIiLj1EEEEZZNS1_16scan_by_key_implILNS1_25lookback_scan_determinismE0ELb1ES3_N6thrust23THRUST_200600_302600_NS6detail15normal_iteratorINSB_10device_ptrIjEEEENSD_INSE_IS6_EEEESI_S6_NSB_4plusIvEENSB_8equal_toIvEES6_EE10hipError_tPvRmT2_T3_T4_T5_mT6_T7_P12ihipStream_tbENKUlT_T0_E_clISt17integral_constantIbLb0EES13_EEDaSY_SZ_EUlSY_E_NS1_11comp_targetILNS1_3genE2ELNS1_11target_archE906ELNS1_3gpuE6ELNS1_3repE0EEENS1_30default_config_static_selectorELNS0_4arch9wavefront6targetE0EEEvT1_
	.globl	_ZN7rocprim17ROCPRIM_400000_NS6detail17trampoline_kernelINS0_14default_configENS1_27scan_by_key_config_selectorIj11FixedVectorIiLj1EEEEZZNS1_16scan_by_key_implILNS1_25lookback_scan_determinismE0ELb1ES3_N6thrust23THRUST_200600_302600_NS6detail15normal_iteratorINSB_10device_ptrIjEEEENSD_INSE_IS6_EEEESI_S6_NSB_4plusIvEENSB_8equal_toIvEES6_EE10hipError_tPvRmT2_T3_T4_T5_mT6_T7_P12ihipStream_tbENKUlT_T0_E_clISt17integral_constantIbLb0EES13_EEDaSY_SZ_EUlSY_E_NS1_11comp_targetILNS1_3genE2ELNS1_11target_archE906ELNS1_3gpuE6ELNS1_3repE0EEENS1_30default_config_static_selectorELNS0_4arch9wavefront6targetE0EEEvT1_
	.p2align	8
	.type	_ZN7rocprim17ROCPRIM_400000_NS6detail17trampoline_kernelINS0_14default_configENS1_27scan_by_key_config_selectorIj11FixedVectorIiLj1EEEEZZNS1_16scan_by_key_implILNS1_25lookback_scan_determinismE0ELb1ES3_N6thrust23THRUST_200600_302600_NS6detail15normal_iteratorINSB_10device_ptrIjEEEENSD_INSE_IS6_EEEESI_S6_NSB_4plusIvEENSB_8equal_toIvEES6_EE10hipError_tPvRmT2_T3_T4_T5_mT6_T7_P12ihipStream_tbENKUlT_T0_E_clISt17integral_constantIbLb0EES13_EEDaSY_SZ_EUlSY_E_NS1_11comp_targetILNS1_3genE2ELNS1_11target_archE906ELNS1_3gpuE6ELNS1_3repE0EEENS1_30default_config_static_selectorELNS0_4arch9wavefront6targetE0EEEvT1_,@function
_ZN7rocprim17ROCPRIM_400000_NS6detail17trampoline_kernelINS0_14default_configENS1_27scan_by_key_config_selectorIj11FixedVectorIiLj1EEEEZZNS1_16scan_by_key_implILNS1_25lookback_scan_determinismE0ELb1ES3_N6thrust23THRUST_200600_302600_NS6detail15normal_iteratorINSB_10device_ptrIjEEEENSD_INSE_IS6_EEEESI_S6_NSB_4plusIvEENSB_8equal_toIvEES6_EE10hipError_tPvRmT2_T3_T4_T5_mT6_T7_P12ihipStream_tbENKUlT_T0_E_clISt17integral_constantIbLb0EES13_EEDaSY_SZ_EUlSY_E_NS1_11comp_targetILNS1_3genE2ELNS1_11target_archE906ELNS1_3gpuE6ELNS1_3repE0EEENS1_30default_config_static_selectorELNS0_4arch9wavefront6targetE0EEEvT1_: ; @_ZN7rocprim17ROCPRIM_400000_NS6detail17trampoline_kernelINS0_14default_configENS1_27scan_by_key_config_selectorIj11FixedVectorIiLj1EEEEZZNS1_16scan_by_key_implILNS1_25lookback_scan_determinismE0ELb1ES3_N6thrust23THRUST_200600_302600_NS6detail15normal_iteratorINSB_10device_ptrIjEEEENSD_INSE_IS6_EEEESI_S6_NSB_4plusIvEENSB_8equal_toIvEES6_EE10hipError_tPvRmT2_T3_T4_T5_mT6_T7_P12ihipStream_tbENKUlT_T0_E_clISt17integral_constantIbLb0EES13_EEDaSY_SZ_EUlSY_E_NS1_11comp_targetILNS1_3genE2ELNS1_11target_archE906ELNS1_3gpuE6ELNS1_3repE0EEENS1_30default_config_static_selectorELNS0_4arch9wavefront6targetE0EEEvT1_
; %bb.0:
	.section	.rodata,"a",@progbits
	.p2align	6, 0x0
	.amdhsa_kernel _ZN7rocprim17ROCPRIM_400000_NS6detail17trampoline_kernelINS0_14default_configENS1_27scan_by_key_config_selectorIj11FixedVectorIiLj1EEEEZZNS1_16scan_by_key_implILNS1_25lookback_scan_determinismE0ELb1ES3_N6thrust23THRUST_200600_302600_NS6detail15normal_iteratorINSB_10device_ptrIjEEEENSD_INSE_IS6_EEEESI_S6_NSB_4plusIvEENSB_8equal_toIvEES6_EE10hipError_tPvRmT2_T3_T4_T5_mT6_T7_P12ihipStream_tbENKUlT_T0_E_clISt17integral_constantIbLb0EES13_EEDaSY_SZ_EUlSY_E_NS1_11comp_targetILNS1_3genE2ELNS1_11target_archE906ELNS1_3gpuE6ELNS1_3repE0EEENS1_30default_config_static_selectorELNS0_4arch9wavefront6targetE0EEEvT1_
		.amdhsa_group_segment_fixed_size 0
		.amdhsa_private_segment_fixed_size 0
		.amdhsa_kernarg_size 112
		.amdhsa_user_sgpr_count 6
		.amdhsa_user_sgpr_private_segment_buffer 1
		.amdhsa_user_sgpr_dispatch_ptr 0
		.amdhsa_user_sgpr_queue_ptr 0
		.amdhsa_user_sgpr_kernarg_segment_ptr 1
		.amdhsa_user_sgpr_dispatch_id 0
		.amdhsa_user_sgpr_flat_scratch_init 0
		.amdhsa_user_sgpr_private_segment_size 0
		.amdhsa_wavefront_size32 1
		.amdhsa_uses_dynamic_stack 0
		.amdhsa_system_sgpr_private_segment_wavefront_offset 0
		.amdhsa_system_sgpr_workgroup_id_x 1
		.amdhsa_system_sgpr_workgroup_id_y 0
		.amdhsa_system_sgpr_workgroup_id_z 0
		.amdhsa_system_sgpr_workgroup_info 0
		.amdhsa_system_vgpr_workitem_id 0
		.amdhsa_next_free_vgpr 1
		.amdhsa_next_free_sgpr 1
		.amdhsa_reserve_vcc 0
		.amdhsa_reserve_flat_scratch 0
		.amdhsa_float_round_mode_32 0
		.amdhsa_float_round_mode_16_64 0
		.amdhsa_float_denorm_mode_32 3
		.amdhsa_float_denorm_mode_16_64 3
		.amdhsa_dx10_clamp 1
		.amdhsa_ieee_mode 1
		.amdhsa_fp16_overflow 0
		.amdhsa_workgroup_processor_mode 1
		.amdhsa_memory_ordered 1
		.amdhsa_forward_progress 1
		.amdhsa_shared_vgpr_count 0
		.amdhsa_exception_fp_ieee_invalid_op 0
		.amdhsa_exception_fp_denorm_src 0
		.amdhsa_exception_fp_ieee_div_zero 0
		.amdhsa_exception_fp_ieee_overflow 0
		.amdhsa_exception_fp_ieee_underflow 0
		.amdhsa_exception_fp_ieee_inexact 0
		.amdhsa_exception_int_div_zero 0
	.end_amdhsa_kernel
	.section	.text._ZN7rocprim17ROCPRIM_400000_NS6detail17trampoline_kernelINS0_14default_configENS1_27scan_by_key_config_selectorIj11FixedVectorIiLj1EEEEZZNS1_16scan_by_key_implILNS1_25lookback_scan_determinismE0ELb1ES3_N6thrust23THRUST_200600_302600_NS6detail15normal_iteratorINSB_10device_ptrIjEEEENSD_INSE_IS6_EEEESI_S6_NSB_4plusIvEENSB_8equal_toIvEES6_EE10hipError_tPvRmT2_T3_T4_T5_mT6_T7_P12ihipStream_tbENKUlT_T0_E_clISt17integral_constantIbLb0EES13_EEDaSY_SZ_EUlSY_E_NS1_11comp_targetILNS1_3genE2ELNS1_11target_archE906ELNS1_3gpuE6ELNS1_3repE0EEENS1_30default_config_static_selectorELNS0_4arch9wavefront6targetE0EEEvT1_,"axG",@progbits,_ZN7rocprim17ROCPRIM_400000_NS6detail17trampoline_kernelINS0_14default_configENS1_27scan_by_key_config_selectorIj11FixedVectorIiLj1EEEEZZNS1_16scan_by_key_implILNS1_25lookback_scan_determinismE0ELb1ES3_N6thrust23THRUST_200600_302600_NS6detail15normal_iteratorINSB_10device_ptrIjEEEENSD_INSE_IS6_EEEESI_S6_NSB_4plusIvEENSB_8equal_toIvEES6_EE10hipError_tPvRmT2_T3_T4_T5_mT6_T7_P12ihipStream_tbENKUlT_T0_E_clISt17integral_constantIbLb0EES13_EEDaSY_SZ_EUlSY_E_NS1_11comp_targetILNS1_3genE2ELNS1_11target_archE906ELNS1_3gpuE6ELNS1_3repE0EEENS1_30default_config_static_selectorELNS0_4arch9wavefront6targetE0EEEvT1_,comdat
.Lfunc_end1916:
	.size	_ZN7rocprim17ROCPRIM_400000_NS6detail17trampoline_kernelINS0_14default_configENS1_27scan_by_key_config_selectorIj11FixedVectorIiLj1EEEEZZNS1_16scan_by_key_implILNS1_25lookback_scan_determinismE0ELb1ES3_N6thrust23THRUST_200600_302600_NS6detail15normal_iteratorINSB_10device_ptrIjEEEENSD_INSE_IS6_EEEESI_S6_NSB_4plusIvEENSB_8equal_toIvEES6_EE10hipError_tPvRmT2_T3_T4_T5_mT6_T7_P12ihipStream_tbENKUlT_T0_E_clISt17integral_constantIbLb0EES13_EEDaSY_SZ_EUlSY_E_NS1_11comp_targetILNS1_3genE2ELNS1_11target_archE906ELNS1_3gpuE6ELNS1_3repE0EEENS1_30default_config_static_selectorELNS0_4arch9wavefront6targetE0EEEvT1_, .Lfunc_end1916-_ZN7rocprim17ROCPRIM_400000_NS6detail17trampoline_kernelINS0_14default_configENS1_27scan_by_key_config_selectorIj11FixedVectorIiLj1EEEEZZNS1_16scan_by_key_implILNS1_25lookback_scan_determinismE0ELb1ES3_N6thrust23THRUST_200600_302600_NS6detail15normal_iteratorINSB_10device_ptrIjEEEENSD_INSE_IS6_EEEESI_S6_NSB_4plusIvEENSB_8equal_toIvEES6_EE10hipError_tPvRmT2_T3_T4_T5_mT6_T7_P12ihipStream_tbENKUlT_T0_E_clISt17integral_constantIbLb0EES13_EEDaSY_SZ_EUlSY_E_NS1_11comp_targetILNS1_3genE2ELNS1_11target_archE906ELNS1_3gpuE6ELNS1_3repE0EEENS1_30default_config_static_selectorELNS0_4arch9wavefront6targetE0EEEvT1_
                                        ; -- End function
	.set _ZN7rocprim17ROCPRIM_400000_NS6detail17trampoline_kernelINS0_14default_configENS1_27scan_by_key_config_selectorIj11FixedVectorIiLj1EEEEZZNS1_16scan_by_key_implILNS1_25lookback_scan_determinismE0ELb1ES3_N6thrust23THRUST_200600_302600_NS6detail15normal_iteratorINSB_10device_ptrIjEEEENSD_INSE_IS6_EEEESI_S6_NSB_4plusIvEENSB_8equal_toIvEES6_EE10hipError_tPvRmT2_T3_T4_T5_mT6_T7_P12ihipStream_tbENKUlT_T0_E_clISt17integral_constantIbLb0EES13_EEDaSY_SZ_EUlSY_E_NS1_11comp_targetILNS1_3genE2ELNS1_11target_archE906ELNS1_3gpuE6ELNS1_3repE0EEENS1_30default_config_static_selectorELNS0_4arch9wavefront6targetE0EEEvT1_.num_vgpr, 0
	.set _ZN7rocprim17ROCPRIM_400000_NS6detail17trampoline_kernelINS0_14default_configENS1_27scan_by_key_config_selectorIj11FixedVectorIiLj1EEEEZZNS1_16scan_by_key_implILNS1_25lookback_scan_determinismE0ELb1ES3_N6thrust23THRUST_200600_302600_NS6detail15normal_iteratorINSB_10device_ptrIjEEEENSD_INSE_IS6_EEEESI_S6_NSB_4plusIvEENSB_8equal_toIvEES6_EE10hipError_tPvRmT2_T3_T4_T5_mT6_T7_P12ihipStream_tbENKUlT_T0_E_clISt17integral_constantIbLb0EES13_EEDaSY_SZ_EUlSY_E_NS1_11comp_targetILNS1_3genE2ELNS1_11target_archE906ELNS1_3gpuE6ELNS1_3repE0EEENS1_30default_config_static_selectorELNS0_4arch9wavefront6targetE0EEEvT1_.num_agpr, 0
	.set _ZN7rocprim17ROCPRIM_400000_NS6detail17trampoline_kernelINS0_14default_configENS1_27scan_by_key_config_selectorIj11FixedVectorIiLj1EEEEZZNS1_16scan_by_key_implILNS1_25lookback_scan_determinismE0ELb1ES3_N6thrust23THRUST_200600_302600_NS6detail15normal_iteratorINSB_10device_ptrIjEEEENSD_INSE_IS6_EEEESI_S6_NSB_4plusIvEENSB_8equal_toIvEES6_EE10hipError_tPvRmT2_T3_T4_T5_mT6_T7_P12ihipStream_tbENKUlT_T0_E_clISt17integral_constantIbLb0EES13_EEDaSY_SZ_EUlSY_E_NS1_11comp_targetILNS1_3genE2ELNS1_11target_archE906ELNS1_3gpuE6ELNS1_3repE0EEENS1_30default_config_static_selectorELNS0_4arch9wavefront6targetE0EEEvT1_.numbered_sgpr, 0
	.set _ZN7rocprim17ROCPRIM_400000_NS6detail17trampoline_kernelINS0_14default_configENS1_27scan_by_key_config_selectorIj11FixedVectorIiLj1EEEEZZNS1_16scan_by_key_implILNS1_25lookback_scan_determinismE0ELb1ES3_N6thrust23THRUST_200600_302600_NS6detail15normal_iteratorINSB_10device_ptrIjEEEENSD_INSE_IS6_EEEESI_S6_NSB_4plusIvEENSB_8equal_toIvEES6_EE10hipError_tPvRmT2_T3_T4_T5_mT6_T7_P12ihipStream_tbENKUlT_T0_E_clISt17integral_constantIbLb0EES13_EEDaSY_SZ_EUlSY_E_NS1_11comp_targetILNS1_3genE2ELNS1_11target_archE906ELNS1_3gpuE6ELNS1_3repE0EEENS1_30default_config_static_selectorELNS0_4arch9wavefront6targetE0EEEvT1_.num_named_barrier, 0
	.set _ZN7rocprim17ROCPRIM_400000_NS6detail17trampoline_kernelINS0_14default_configENS1_27scan_by_key_config_selectorIj11FixedVectorIiLj1EEEEZZNS1_16scan_by_key_implILNS1_25lookback_scan_determinismE0ELb1ES3_N6thrust23THRUST_200600_302600_NS6detail15normal_iteratorINSB_10device_ptrIjEEEENSD_INSE_IS6_EEEESI_S6_NSB_4plusIvEENSB_8equal_toIvEES6_EE10hipError_tPvRmT2_T3_T4_T5_mT6_T7_P12ihipStream_tbENKUlT_T0_E_clISt17integral_constantIbLb0EES13_EEDaSY_SZ_EUlSY_E_NS1_11comp_targetILNS1_3genE2ELNS1_11target_archE906ELNS1_3gpuE6ELNS1_3repE0EEENS1_30default_config_static_selectorELNS0_4arch9wavefront6targetE0EEEvT1_.private_seg_size, 0
	.set _ZN7rocprim17ROCPRIM_400000_NS6detail17trampoline_kernelINS0_14default_configENS1_27scan_by_key_config_selectorIj11FixedVectorIiLj1EEEEZZNS1_16scan_by_key_implILNS1_25lookback_scan_determinismE0ELb1ES3_N6thrust23THRUST_200600_302600_NS6detail15normal_iteratorINSB_10device_ptrIjEEEENSD_INSE_IS6_EEEESI_S6_NSB_4plusIvEENSB_8equal_toIvEES6_EE10hipError_tPvRmT2_T3_T4_T5_mT6_T7_P12ihipStream_tbENKUlT_T0_E_clISt17integral_constantIbLb0EES13_EEDaSY_SZ_EUlSY_E_NS1_11comp_targetILNS1_3genE2ELNS1_11target_archE906ELNS1_3gpuE6ELNS1_3repE0EEENS1_30default_config_static_selectorELNS0_4arch9wavefront6targetE0EEEvT1_.uses_vcc, 0
	.set _ZN7rocprim17ROCPRIM_400000_NS6detail17trampoline_kernelINS0_14default_configENS1_27scan_by_key_config_selectorIj11FixedVectorIiLj1EEEEZZNS1_16scan_by_key_implILNS1_25lookback_scan_determinismE0ELb1ES3_N6thrust23THRUST_200600_302600_NS6detail15normal_iteratorINSB_10device_ptrIjEEEENSD_INSE_IS6_EEEESI_S6_NSB_4plusIvEENSB_8equal_toIvEES6_EE10hipError_tPvRmT2_T3_T4_T5_mT6_T7_P12ihipStream_tbENKUlT_T0_E_clISt17integral_constantIbLb0EES13_EEDaSY_SZ_EUlSY_E_NS1_11comp_targetILNS1_3genE2ELNS1_11target_archE906ELNS1_3gpuE6ELNS1_3repE0EEENS1_30default_config_static_selectorELNS0_4arch9wavefront6targetE0EEEvT1_.uses_flat_scratch, 0
	.set _ZN7rocprim17ROCPRIM_400000_NS6detail17trampoline_kernelINS0_14default_configENS1_27scan_by_key_config_selectorIj11FixedVectorIiLj1EEEEZZNS1_16scan_by_key_implILNS1_25lookback_scan_determinismE0ELb1ES3_N6thrust23THRUST_200600_302600_NS6detail15normal_iteratorINSB_10device_ptrIjEEEENSD_INSE_IS6_EEEESI_S6_NSB_4plusIvEENSB_8equal_toIvEES6_EE10hipError_tPvRmT2_T3_T4_T5_mT6_T7_P12ihipStream_tbENKUlT_T0_E_clISt17integral_constantIbLb0EES13_EEDaSY_SZ_EUlSY_E_NS1_11comp_targetILNS1_3genE2ELNS1_11target_archE906ELNS1_3gpuE6ELNS1_3repE0EEENS1_30default_config_static_selectorELNS0_4arch9wavefront6targetE0EEEvT1_.has_dyn_sized_stack, 0
	.set _ZN7rocprim17ROCPRIM_400000_NS6detail17trampoline_kernelINS0_14default_configENS1_27scan_by_key_config_selectorIj11FixedVectorIiLj1EEEEZZNS1_16scan_by_key_implILNS1_25lookback_scan_determinismE0ELb1ES3_N6thrust23THRUST_200600_302600_NS6detail15normal_iteratorINSB_10device_ptrIjEEEENSD_INSE_IS6_EEEESI_S6_NSB_4plusIvEENSB_8equal_toIvEES6_EE10hipError_tPvRmT2_T3_T4_T5_mT6_T7_P12ihipStream_tbENKUlT_T0_E_clISt17integral_constantIbLb0EES13_EEDaSY_SZ_EUlSY_E_NS1_11comp_targetILNS1_3genE2ELNS1_11target_archE906ELNS1_3gpuE6ELNS1_3repE0EEENS1_30default_config_static_selectorELNS0_4arch9wavefront6targetE0EEEvT1_.has_recursion, 0
	.set _ZN7rocprim17ROCPRIM_400000_NS6detail17trampoline_kernelINS0_14default_configENS1_27scan_by_key_config_selectorIj11FixedVectorIiLj1EEEEZZNS1_16scan_by_key_implILNS1_25lookback_scan_determinismE0ELb1ES3_N6thrust23THRUST_200600_302600_NS6detail15normal_iteratorINSB_10device_ptrIjEEEENSD_INSE_IS6_EEEESI_S6_NSB_4plusIvEENSB_8equal_toIvEES6_EE10hipError_tPvRmT2_T3_T4_T5_mT6_T7_P12ihipStream_tbENKUlT_T0_E_clISt17integral_constantIbLb0EES13_EEDaSY_SZ_EUlSY_E_NS1_11comp_targetILNS1_3genE2ELNS1_11target_archE906ELNS1_3gpuE6ELNS1_3repE0EEENS1_30default_config_static_selectorELNS0_4arch9wavefront6targetE0EEEvT1_.has_indirect_call, 0
	.section	.AMDGPU.csdata,"",@progbits
; Kernel info:
; codeLenInByte = 0
; TotalNumSgprs: 0
; NumVgprs: 0
; ScratchSize: 0
; MemoryBound: 0
; FloatMode: 240
; IeeeMode: 1
; LDSByteSize: 0 bytes/workgroup (compile time only)
; SGPRBlocks: 0
; VGPRBlocks: 0
; NumSGPRsForWavesPerEU: 1
; NumVGPRsForWavesPerEU: 1
; Occupancy: 16
; WaveLimiterHint : 0
; COMPUTE_PGM_RSRC2:SCRATCH_EN: 0
; COMPUTE_PGM_RSRC2:USER_SGPR: 6
; COMPUTE_PGM_RSRC2:TRAP_HANDLER: 0
; COMPUTE_PGM_RSRC2:TGID_X_EN: 1
; COMPUTE_PGM_RSRC2:TGID_Y_EN: 0
; COMPUTE_PGM_RSRC2:TGID_Z_EN: 0
; COMPUTE_PGM_RSRC2:TIDIG_COMP_CNT: 0
	.section	.text._ZN7rocprim17ROCPRIM_400000_NS6detail17trampoline_kernelINS0_14default_configENS1_27scan_by_key_config_selectorIj11FixedVectorIiLj1EEEEZZNS1_16scan_by_key_implILNS1_25lookback_scan_determinismE0ELb1ES3_N6thrust23THRUST_200600_302600_NS6detail15normal_iteratorINSB_10device_ptrIjEEEENSD_INSE_IS6_EEEESI_S6_NSB_4plusIvEENSB_8equal_toIvEES6_EE10hipError_tPvRmT2_T3_T4_T5_mT6_T7_P12ihipStream_tbENKUlT_T0_E_clISt17integral_constantIbLb0EES13_EEDaSY_SZ_EUlSY_E_NS1_11comp_targetILNS1_3genE10ELNS1_11target_archE1200ELNS1_3gpuE4ELNS1_3repE0EEENS1_30default_config_static_selectorELNS0_4arch9wavefront6targetE0EEEvT1_,"axG",@progbits,_ZN7rocprim17ROCPRIM_400000_NS6detail17trampoline_kernelINS0_14default_configENS1_27scan_by_key_config_selectorIj11FixedVectorIiLj1EEEEZZNS1_16scan_by_key_implILNS1_25lookback_scan_determinismE0ELb1ES3_N6thrust23THRUST_200600_302600_NS6detail15normal_iteratorINSB_10device_ptrIjEEEENSD_INSE_IS6_EEEESI_S6_NSB_4plusIvEENSB_8equal_toIvEES6_EE10hipError_tPvRmT2_T3_T4_T5_mT6_T7_P12ihipStream_tbENKUlT_T0_E_clISt17integral_constantIbLb0EES13_EEDaSY_SZ_EUlSY_E_NS1_11comp_targetILNS1_3genE10ELNS1_11target_archE1200ELNS1_3gpuE4ELNS1_3repE0EEENS1_30default_config_static_selectorELNS0_4arch9wavefront6targetE0EEEvT1_,comdat
	.protected	_ZN7rocprim17ROCPRIM_400000_NS6detail17trampoline_kernelINS0_14default_configENS1_27scan_by_key_config_selectorIj11FixedVectorIiLj1EEEEZZNS1_16scan_by_key_implILNS1_25lookback_scan_determinismE0ELb1ES3_N6thrust23THRUST_200600_302600_NS6detail15normal_iteratorINSB_10device_ptrIjEEEENSD_INSE_IS6_EEEESI_S6_NSB_4plusIvEENSB_8equal_toIvEES6_EE10hipError_tPvRmT2_T3_T4_T5_mT6_T7_P12ihipStream_tbENKUlT_T0_E_clISt17integral_constantIbLb0EES13_EEDaSY_SZ_EUlSY_E_NS1_11comp_targetILNS1_3genE10ELNS1_11target_archE1200ELNS1_3gpuE4ELNS1_3repE0EEENS1_30default_config_static_selectorELNS0_4arch9wavefront6targetE0EEEvT1_ ; -- Begin function _ZN7rocprim17ROCPRIM_400000_NS6detail17trampoline_kernelINS0_14default_configENS1_27scan_by_key_config_selectorIj11FixedVectorIiLj1EEEEZZNS1_16scan_by_key_implILNS1_25lookback_scan_determinismE0ELb1ES3_N6thrust23THRUST_200600_302600_NS6detail15normal_iteratorINSB_10device_ptrIjEEEENSD_INSE_IS6_EEEESI_S6_NSB_4plusIvEENSB_8equal_toIvEES6_EE10hipError_tPvRmT2_T3_T4_T5_mT6_T7_P12ihipStream_tbENKUlT_T0_E_clISt17integral_constantIbLb0EES13_EEDaSY_SZ_EUlSY_E_NS1_11comp_targetILNS1_3genE10ELNS1_11target_archE1200ELNS1_3gpuE4ELNS1_3repE0EEENS1_30default_config_static_selectorELNS0_4arch9wavefront6targetE0EEEvT1_
	.globl	_ZN7rocprim17ROCPRIM_400000_NS6detail17trampoline_kernelINS0_14default_configENS1_27scan_by_key_config_selectorIj11FixedVectorIiLj1EEEEZZNS1_16scan_by_key_implILNS1_25lookback_scan_determinismE0ELb1ES3_N6thrust23THRUST_200600_302600_NS6detail15normal_iteratorINSB_10device_ptrIjEEEENSD_INSE_IS6_EEEESI_S6_NSB_4plusIvEENSB_8equal_toIvEES6_EE10hipError_tPvRmT2_T3_T4_T5_mT6_T7_P12ihipStream_tbENKUlT_T0_E_clISt17integral_constantIbLb0EES13_EEDaSY_SZ_EUlSY_E_NS1_11comp_targetILNS1_3genE10ELNS1_11target_archE1200ELNS1_3gpuE4ELNS1_3repE0EEENS1_30default_config_static_selectorELNS0_4arch9wavefront6targetE0EEEvT1_
	.p2align	8
	.type	_ZN7rocprim17ROCPRIM_400000_NS6detail17trampoline_kernelINS0_14default_configENS1_27scan_by_key_config_selectorIj11FixedVectorIiLj1EEEEZZNS1_16scan_by_key_implILNS1_25lookback_scan_determinismE0ELb1ES3_N6thrust23THRUST_200600_302600_NS6detail15normal_iteratorINSB_10device_ptrIjEEEENSD_INSE_IS6_EEEESI_S6_NSB_4plusIvEENSB_8equal_toIvEES6_EE10hipError_tPvRmT2_T3_T4_T5_mT6_T7_P12ihipStream_tbENKUlT_T0_E_clISt17integral_constantIbLb0EES13_EEDaSY_SZ_EUlSY_E_NS1_11comp_targetILNS1_3genE10ELNS1_11target_archE1200ELNS1_3gpuE4ELNS1_3repE0EEENS1_30default_config_static_selectorELNS0_4arch9wavefront6targetE0EEEvT1_,@function
_ZN7rocprim17ROCPRIM_400000_NS6detail17trampoline_kernelINS0_14default_configENS1_27scan_by_key_config_selectorIj11FixedVectorIiLj1EEEEZZNS1_16scan_by_key_implILNS1_25lookback_scan_determinismE0ELb1ES3_N6thrust23THRUST_200600_302600_NS6detail15normal_iteratorINSB_10device_ptrIjEEEENSD_INSE_IS6_EEEESI_S6_NSB_4plusIvEENSB_8equal_toIvEES6_EE10hipError_tPvRmT2_T3_T4_T5_mT6_T7_P12ihipStream_tbENKUlT_T0_E_clISt17integral_constantIbLb0EES13_EEDaSY_SZ_EUlSY_E_NS1_11comp_targetILNS1_3genE10ELNS1_11target_archE1200ELNS1_3gpuE4ELNS1_3repE0EEENS1_30default_config_static_selectorELNS0_4arch9wavefront6targetE0EEEvT1_: ; @_ZN7rocprim17ROCPRIM_400000_NS6detail17trampoline_kernelINS0_14default_configENS1_27scan_by_key_config_selectorIj11FixedVectorIiLj1EEEEZZNS1_16scan_by_key_implILNS1_25lookback_scan_determinismE0ELb1ES3_N6thrust23THRUST_200600_302600_NS6detail15normal_iteratorINSB_10device_ptrIjEEEENSD_INSE_IS6_EEEESI_S6_NSB_4plusIvEENSB_8equal_toIvEES6_EE10hipError_tPvRmT2_T3_T4_T5_mT6_T7_P12ihipStream_tbENKUlT_T0_E_clISt17integral_constantIbLb0EES13_EEDaSY_SZ_EUlSY_E_NS1_11comp_targetILNS1_3genE10ELNS1_11target_archE1200ELNS1_3gpuE4ELNS1_3repE0EEENS1_30default_config_static_selectorELNS0_4arch9wavefront6targetE0EEEvT1_
; %bb.0:
	.section	.rodata,"a",@progbits
	.p2align	6, 0x0
	.amdhsa_kernel _ZN7rocprim17ROCPRIM_400000_NS6detail17trampoline_kernelINS0_14default_configENS1_27scan_by_key_config_selectorIj11FixedVectorIiLj1EEEEZZNS1_16scan_by_key_implILNS1_25lookback_scan_determinismE0ELb1ES3_N6thrust23THRUST_200600_302600_NS6detail15normal_iteratorINSB_10device_ptrIjEEEENSD_INSE_IS6_EEEESI_S6_NSB_4plusIvEENSB_8equal_toIvEES6_EE10hipError_tPvRmT2_T3_T4_T5_mT6_T7_P12ihipStream_tbENKUlT_T0_E_clISt17integral_constantIbLb0EES13_EEDaSY_SZ_EUlSY_E_NS1_11comp_targetILNS1_3genE10ELNS1_11target_archE1200ELNS1_3gpuE4ELNS1_3repE0EEENS1_30default_config_static_selectorELNS0_4arch9wavefront6targetE0EEEvT1_
		.amdhsa_group_segment_fixed_size 0
		.amdhsa_private_segment_fixed_size 0
		.amdhsa_kernarg_size 112
		.amdhsa_user_sgpr_count 6
		.amdhsa_user_sgpr_private_segment_buffer 1
		.amdhsa_user_sgpr_dispatch_ptr 0
		.amdhsa_user_sgpr_queue_ptr 0
		.amdhsa_user_sgpr_kernarg_segment_ptr 1
		.amdhsa_user_sgpr_dispatch_id 0
		.amdhsa_user_sgpr_flat_scratch_init 0
		.amdhsa_user_sgpr_private_segment_size 0
		.amdhsa_wavefront_size32 1
		.amdhsa_uses_dynamic_stack 0
		.amdhsa_system_sgpr_private_segment_wavefront_offset 0
		.amdhsa_system_sgpr_workgroup_id_x 1
		.amdhsa_system_sgpr_workgroup_id_y 0
		.amdhsa_system_sgpr_workgroup_id_z 0
		.amdhsa_system_sgpr_workgroup_info 0
		.amdhsa_system_vgpr_workitem_id 0
		.amdhsa_next_free_vgpr 1
		.amdhsa_next_free_sgpr 1
		.amdhsa_reserve_vcc 0
		.amdhsa_reserve_flat_scratch 0
		.amdhsa_float_round_mode_32 0
		.amdhsa_float_round_mode_16_64 0
		.amdhsa_float_denorm_mode_32 3
		.amdhsa_float_denorm_mode_16_64 3
		.amdhsa_dx10_clamp 1
		.amdhsa_ieee_mode 1
		.amdhsa_fp16_overflow 0
		.amdhsa_workgroup_processor_mode 1
		.amdhsa_memory_ordered 1
		.amdhsa_forward_progress 1
		.amdhsa_shared_vgpr_count 0
		.amdhsa_exception_fp_ieee_invalid_op 0
		.amdhsa_exception_fp_denorm_src 0
		.amdhsa_exception_fp_ieee_div_zero 0
		.amdhsa_exception_fp_ieee_overflow 0
		.amdhsa_exception_fp_ieee_underflow 0
		.amdhsa_exception_fp_ieee_inexact 0
		.amdhsa_exception_int_div_zero 0
	.end_amdhsa_kernel
	.section	.text._ZN7rocprim17ROCPRIM_400000_NS6detail17trampoline_kernelINS0_14default_configENS1_27scan_by_key_config_selectorIj11FixedVectorIiLj1EEEEZZNS1_16scan_by_key_implILNS1_25lookback_scan_determinismE0ELb1ES3_N6thrust23THRUST_200600_302600_NS6detail15normal_iteratorINSB_10device_ptrIjEEEENSD_INSE_IS6_EEEESI_S6_NSB_4plusIvEENSB_8equal_toIvEES6_EE10hipError_tPvRmT2_T3_T4_T5_mT6_T7_P12ihipStream_tbENKUlT_T0_E_clISt17integral_constantIbLb0EES13_EEDaSY_SZ_EUlSY_E_NS1_11comp_targetILNS1_3genE10ELNS1_11target_archE1200ELNS1_3gpuE4ELNS1_3repE0EEENS1_30default_config_static_selectorELNS0_4arch9wavefront6targetE0EEEvT1_,"axG",@progbits,_ZN7rocprim17ROCPRIM_400000_NS6detail17trampoline_kernelINS0_14default_configENS1_27scan_by_key_config_selectorIj11FixedVectorIiLj1EEEEZZNS1_16scan_by_key_implILNS1_25lookback_scan_determinismE0ELb1ES3_N6thrust23THRUST_200600_302600_NS6detail15normal_iteratorINSB_10device_ptrIjEEEENSD_INSE_IS6_EEEESI_S6_NSB_4plusIvEENSB_8equal_toIvEES6_EE10hipError_tPvRmT2_T3_T4_T5_mT6_T7_P12ihipStream_tbENKUlT_T0_E_clISt17integral_constantIbLb0EES13_EEDaSY_SZ_EUlSY_E_NS1_11comp_targetILNS1_3genE10ELNS1_11target_archE1200ELNS1_3gpuE4ELNS1_3repE0EEENS1_30default_config_static_selectorELNS0_4arch9wavefront6targetE0EEEvT1_,comdat
.Lfunc_end1917:
	.size	_ZN7rocprim17ROCPRIM_400000_NS6detail17trampoline_kernelINS0_14default_configENS1_27scan_by_key_config_selectorIj11FixedVectorIiLj1EEEEZZNS1_16scan_by_key_implILNS1_25lookback_scan_determinismE0ELb1ES3_N6thrust23THRUST_200600_302600_NS6detail15normal_iteratorINSB_10device_ptrIjEEEENSD_INSE_IS6_EEEESI_S6_NSB_4plusIvEENSB_8equal_toIvEES6_EE10hipError_tPvRmT2_T3_T4_T5_mT6_T7_P12ihipStream_tbENKUlT_T0_E_clISt17integral_constantIbLb0EES13_EEDaSY_SZ_EUlSY_E_NS1_11comp_targetILNS1_3genE10ELNS1_11target_archE1200ELNS1_3gpuE4ELNS1_3repE0EEENS1_30default_config_static_selectorELNS0_4arch9wavefront6targetE0EEEvT1_, .Lfunc_end1917-_ZN7rocprim17ROCPRIM_400000_NS6detail17trampoline_kernelINS0_14default_configENS1_27scan_by_key_config_selectorIj11FixedVectorIiLj1EEEEZZNS1_16scan_by_key_implILNS1_25lookback_scan_determinismE0ELb1ES3_N6thrust23THRUST_200600_302600_NS6detail15normal_iteratorINSB_10device_ptrIjEEEENSD_INSE_IS6_EEEESI_S6_NSB_4plusIvEENSB_8equal_toIvEES6_EE10hipError_tPvRmT2_T3_T4_T5_mT6_T7_P12ihipStream_tbENKUlT_T0_E_clISt17integral_constantIbLb0EES13_EEDaSY_SZ_EUlSY_E_NS1_11comp_targetILNS1_3genE10ELNS1_11target_archE1200ELNS1_3gpuE4ELNS1_3repE0EEENS1_30default_config_static_selectorELNS0_4arch9wavefront6targetE0EEEvT1_
                                        ; -- End function
	.set _ZN7rocprim17ROCPRIM_400000_NS6detail17trampoline_kernelINS0_14default_configENS1_27scan_by_key_config_selectorIj11FixedVectorIiLj1EEEEZZNS1_16scan_by_key_implILNS1_25lookback_scan_determinismE0ELb1ES3_N6thrust23THRUST_200600_302600_NS6detail15normal_iteratorINSB_10device_ptrIjEEEENSD_INSE_IS6_EEEESI_S6_NSB_4plusIvEENSB_8equal_toIvEES6_EE10hipError_tPvRmT2_T3_T4_T5_mT6_T7_P12ihipStream_tbENKUlT_T0_E_clISt17integral_constantIbLb0EES13_EEDaSY_SZ_EUlSY_E_NS1_11comp_targetILNS1_3genE10ELNS1_11target_archE1200ELNS1_3gpuE4ELNS1_3repE0EEENS1_30default_config_static_selectorELNS0_4arch9wavefront6targetE0EEEvT1_.num_vgpr, 0
	.set _ZN7rocprim17ROCPRIM_400000_NS6detail17trampoline_kernelINS0_14default_configENS1_27scan_by_key_config_selectorIj11FixedVectorIiLj1EEEEZZNS1_16scan_by_key_implILNS1_25lookback_scan_determinismE0ELb1ES3_N6thrust23THRUST_200600_302600_NS6detail15normal_iteratorINSB_10device_ptrIjEEEENSD_INSE_IS6_EEEESI_S6_NSB_4plusIvEENSB_8equal_toIvEES6_EE10hipError_tPvRmT2_T3_T4_T5_mT6_T7_P12ihipStream_tbENKUlT_T0_E_clISt17integral_constantIbLb0EES13_EEDaSY_SZ_EUlSY_E_NS1_11comp_targetILNS1_3genE10ELNS1_11target_archE1200ELNS1_3gpuE4ELNS1_3repE0EEENS1_30default_config_static_selectorELNS0_4arch9wavefront6targetE0EEEvT1_.num_agpr, 0
	.set _ZN7rocprim17ROCPRIM_400000_NS6detail17trampoline_kernelINS0_14default_configENS1_27scan_by_key_config_selectorIj11FixedVectorIiLj1EEEEZZNS1_16scan_by_key_implILNS1_25lookback_scan_determinismE0ELb1ES3_N6thrust23THRUST_200600_302600_NS6detail15normal_iteratorINSB_10device_ptrIjEEEENSD_INSE_IS6_EEEESI_S6_NSB_4plusIvEENSB_8equal_toIvEES6_EE10hipError_tPvRmT2_T3_T4_T5_mT6_T7_P12ihipStream_tbENKUlT_T0_E_clISt17integral_constantIbLb0EES13_EEDaSY_SZ_EUlSY_E_NS1_11comp_targetILNS1_3genE10ELNS1_11target_archE1200ELNS1_3gpuE4ELNS1_3repE0EEENS1_30default_config_static_selectorELNS0_4arch9wavefront6targetE0EEEvT1_.numbered_sgpr, 0
	.set _ZN7rocprim17ROCPRIM_400000_NS6detail17trampoline_kernelINS0_14default_configENS1_27scan_by_key_config_selectorIj11FixedVectorIiLj1EEEEZZNS1_16scan_by_key_implILNS1_25lookback_scan_determinismE0ELb1ES3_N6thrust23THRUST_200600_302600_NS6detail15normal_iteratorINSB_10device_ptrIjEEEENSD_INSE_IS6_EEEESI_S6_NSB_4plusIvEENSB_8equal_toIvEES6_EE10hipError_tPvRmT2_T3_T4_T5_mT6_T7_P12ihipStream_tbENKUlT_T0_E_clISt17integral_constantIbLb0EES13_EEDaSY_SZ_EUlSY_E_NS1_11comp_targetILNS1_3genE10ELNS1_11target_archE1200ELNS1_3gpuE4ELNS1_3repE0EEENS1_30default_config_static_selectorELNS0_4arch9wavefront6targetE0EEEvT1_.num_named_barrier, 0
	.set _ZN7rocprim17ROCPRIM_400000_NS6detail17trampoline_kernelINS0_14default_configENS1_27scan_by_key_config_selectorIj11FixedVectorIiLj1EEEEZZNS1_16scan_by_key_implILNS1_25lookback_scan_determinismE0ELb1ES3_N6thrust23THRUST_200600_302600_NS6detail15normal_iteratorINSB_10device_ptrIjEEEENSD_INSE_IS6_EEEESI_S6_NSB_4plusIvEENSB_8equal_toIvEES6_EE10hipError_tPvRmT2_T3_T4_T5_mT6_T7_P12ihipStream_tbENKUlT_T0_E_clISt17integral_constantIbLb0EES13_EEDaSY_SZ_EUlSY_E_NS1_11comp_targetILNS1_3genE10ELNS1_11target_archE1200ELNS1_3gpuE4ELNS1_3repE0EEENS1_30default_config_static_selectorELNS0_4arch9wavefront6targetE0EEEvT1_.private_seg_size, 0
	.set _ZN7rocprim17ROCPRIM_400000_NS6detail17trampoline_kernelINS0_14default_configENS1_27scan_by_key_config_selectorIj11FixedVectorIiLj1EEEEZZNS1_16scan_by_key_implILNS1_25lookback_scan_determinismE0ELb1ES3_N6thrust23THRUST_200600_302600_NS6detail15normal_iteratorINSB_10device_ptrIjEEEENSD_INSE_IS6_EEEESI_S6_NSB_4plusIvEENSB_8equal_toIvEES6_EE10hipError_tPvRmT2_T3_T4_T5_mT6_T7_P12ihipStream_tbENKUlT_T0_E_clISt17integral_constantIbLb0EES13_EEDaSY_SZ_EUlSY_E_NS1_11comp_targetILNS1_3genE10ELNS1_11target_archE1200ELNS1_3gpuE4ELNS1_3repE0EEENS1_30default_config_static_selectorELNS0_4arch9wavefront6targetE0EEEvT1_.uses_vcc, 0
	.set _ZN7rocprim17ROCPRIM_400000_NS6detail17trampoline_kernelINS0_14default_configENS1_27scan_by_key_config_selectorIj11FixedVectorIiLj1EEEEZZNS1_16scan_by_key_implILNS1_25lookback_scan_determinismE0ELb1ES3_N6thrust23THRUST_200600_302600_NS6detail15normal_iteratorINSB_10device_ptrIjEEEENSD_INSE_IS6_EEEESI_S6_NSB_4plusIvEENSB_8equal_toIvEES6_EE10hipError_tPvRmT2_T3_T4_T5_mT6_T7_P12ihipStream_tbENKUlT_T0_E_clISt17integral_constantIbLb0EES13_EEDaSY_SZ_EUlSY_E_NS1_11comp_targetILNS1_3genE10ELNS1_11target_archE1200ELNS1_3gpuE4ELNS1_3repE0EEENS1_30default_config_static_selectorELNS0_4arch9wavefront6targetE0EEEvT1_.uses_flat_scratch, 0
	.set _ZN7rocprim17ROCPRIM_400000_NS6detail17trampoline_kernelINS0_14default_configENS1_27scan_by_key_config_selectorIj11FixedVectorIiLj1EEEEZZNS1_16scan_by_key_implILNS1_25lookback_scan_determinismE0ELb1ES3_N6thrust23THRUST_200600_302600_NS6detail15normal_iteratorINSB_10device_ptrIjEEEENSD_INSE_IS6_EEEESI_S6_NSB_4plusIvEENSB_8equal_toIvEES6_EE10hipError_tPvRmT2_T3_T4_T5_mT6_T7_P12ihipStream_tbENKUlT_T0_E_clISt17integral_constantIbLb0EES13_EEDaSY_SZ_EUlSY_E_NS1_11comp_targetILNS1_3genE10ELNS1_11target_archE1200ELNS1_3gpuE4ELNS1_3repE0EEENS1_30default_config_static_selectorELNS0_4arch9wavefront6targetE0EEEvT1_.has_dyn_sized_stack, 0
	.set _ZN7rocprim17ROCPRIM_400000_NS6detail17trampoline_kernelINS0_14default_configENS1_27scan_by_key_config_selectorIj11FixedVectorIiLj1EEEEZZNS1_16scan_by_key_implILNS1_25lookback_scan_determinismE0ELb1ES3_N6thrust23THRUST_200600_302600_NS6detail15normal_iteratorINSB_10device_ptrIjEEEENSD_INSE_IS6_EEEESI_S6_NSB_4plusIvEENSB_8equal_toIvEES6_EE10hipError_tPvRmT2_T3_T4_T5_mT6_T7_P12ihipStream_tbENKUlT_T0_E_clISt17integral_constantIbLb0EES13_EEDaSY_SZ_EUlSY_E_NS1_11comp_targetILNS1_3genE10ELNS1_11target_archE1200ELNS1_3gpuE4ELNS1_3repE0EEENS1_30default_config_static_selectorELNS0_4arch9wavefront6targetE0EEEvT1_.has_recursion, 0
	.set _ZN7rocprim17ROCPRIM_400000_NS6detail17trampoline_kernelINS0_14default_configENS1_27scan_by_key_config_selectorIj11FixedVectorIiLj1EEEEZZNS1_16scan_by_key_implILNS1_25lookback_scan_determinismE0ELb1ES3_N6thrust23THRUST_200600_302600_NS6detail15normal_iteratorINSB_10device_ptrIjEEEENSD_INSE_IS6_EEEESI_S6_NSB_4plusIvEENSB_8equal_toIvEES6_EE10hipError_tPvRmT2_T3_T4_T5_mT6_T7_P12ihipStream_tbENKUlT_T0_E_clISt17integral_constantIbLb0EES13_EEDaSY_SZ_EUlSY_E_NS1_11comp_targetILNS1_3genE10ELNS1_11target_archE1200ELNS1_3gpuE4ELNS1_3repE0EEENS1_30default_config_static_selectorELNS0_4arch9wavefront6targetE0EEEvT1_.has_indirect_call, 0
	.section	.AMDGPU.csdata,"",@progbits
; Kernel info:
; codeLenInByte = 0
; TotalNumSgprs: 0
; NumVgprs: 0
; ScratchSize: 0
; MemoryBound: 0
; FloatMode: 240
; IeeeMode: 1
; LDSByteSize: 0 bytes/workgroup (compile time only)
; SGPRBlocks: 0
; VGPRBlocks: 0
; NumSGPRsForWavesPerEU: 1
; NumVGPRsForWavesPerEU: 1
; Occupancy: 16
; WaveLimiterHint : 0
; COMPUTE_PGM_RSRC2:SCRATCH_EN: 0
; COMPUTE_PGM_RSRC2:USER_SGPR: 6
; COMPUTE_PGM_RSRC2:TRAP_HANDLER: 0
; COMPUTE_PGM_RSRC2:TGID_X_EN: 1
; COMPUTE_PGM_RSRC2:TGID_Y_EN: 0
; COMPUTE_PGM_RSRC2:TGID_Z_EN: 0
; COMPUTE_PGM_RSRC2:TIDIG_COMP_CNT: 0
	.section	.text._ZN7rocprim17ROCPRIM_400000_NS6detail17trampoline_kernelINS0_14default_configENS1_27scan_by_key_config_selectorIj11FixedVectorIiLj1EEEEZZNS1_16scan_by_key_implILNS1_25lookback_scan_determinismE0ELb1ES3_N6thrust23THRUST_200600_302600_NS6detail15normal_iteratorINSB_10device_ptrIjEEEENSD_INSE_IS6_EEEESI_S6_NSB_4plusIvEENSB_8equal_toIvEES6_EE10hipError_tPvRmT2_T3_T4_T5_mT6_T7_P12ihipStream_tbENKUlT_T0_E_clISt17integral_constantIbLb0EES13_EEDaSY_SZ_EUlSY_E_NS1_11comp_targetILNS1_3genE9ELNS1_11target_archE1100ELNS1_3gpuE3ELNS1_3repE0EEENS1_30default_config_static_selectorELNS0_4arch9wavefront6targetE0EEEvT1_,"axG",@progbits,_ZN7rocprim17ROCPRIM_400000_NS6detail17trampoline_kernelINS0_14default_configENS1_27scan_by_key_config_selectorIj11FixedVectorIiLj1EEEEZZNS1_16scan_by_key_implILNS1_25lookback_scan_determinismE0ELb1ES3_N6thrust23THRUST_200600_302600_NS6detail15normal_iteratorINSB_10device_ptrIjEEEENSD_INSE_IS6_EEEESI_S6_NSB_4plusIvEENSB_8equal_toIvEES6_EE10hipError_tPvRmT2_T3_T4_T5_mT6_T7_P12ihipStream_tbENKUlT_T0_E_clISt17integral_constantIbLb0EES13_EEDaSY_SZ_EUlSY_E_NS1_11comp_targetILNS1_3genE9ELNS1_11target_archE1100ELNS1_3gpuE3ELNS1_3repE0EEENS1_30default_config_static_selectorELNS0_4arch9wavefront6targetE0EEEvT1_,comdat
	.protected	_ZN7rocprim17ROCPRIM_400000_NS6detail17trampoline_kernelINS0_14default_configENS1_27scan_by_key_config_selectorIj11FixedVectorIiLj1EEEEZZNS1_16scan_by_key_implILNS1_25lookback_scan_determinismE0ELb1ES3_N6thrust23THRUST_200600_302600_NS6detail15normal_iteratorINSB_10device_ptrIjEEEENSD_INSE_IS6_EEEESI_S6_NSB_4plusIvEENSB_8equal_toIvEES6_EE10hipError_tPvRmT2_T3_T4_T5_mT6_T7_P12ihipStream_tbENKUlT_T0_E_clISt17integral_constantIbLb0EES13_EEDaSY_SZ_EUlSY_E_NS1_11comp_targetILNS1_3genE9ELNS1_11target_archE1100ELNS1_3gpuE3ELNS1_3repE0EEENS1_30default_config_static_selectorELNS0_4arch9wavefront6targetE0EEEvT1_ ; -- Begin function _ZN7rocprim17ROCPRIM_400000_NS6detail17trampoline_kernelINS0_14default_configENS1_27scan_by_key_config_selectorIj11FixedVectorIiLj1EEEEZZNS1_16scan_by_key_implILNS1_25lookback_scan_determinismE0ELb1ES3_N6thrust23THRUST_200600_302600_NS6detail15normal_iteratorINSB_10device_ptrIjEEEENSD_INSE_IS6_EEEESI_S6_NSB_4plusIvEENSB_8equal_toIvEES6_EE10hipError_tPvRmT2_T3_T4_T5_mT6_T7_P12ihipStream_tbENKUlT_T0_E_clISt17integral_constantIbLb0EES13_EEDaSY_SZ_EUlSY_E_NS1_11comp_targetILNS1_3genE9ELNS1_11target_archE1100ELNS1_3gpuE3ELNS1_3repE0EEENS1_30default_config_static_selectorELNS0_4arch9wavefront6targetE0EEEvT1_
	.globl	_ZN7rocprim17ROCPRIM_400000_NS6detail17trampoline_kernelINS0_14default_configENS1_27scan_by_key_config_selectorIj11FixedVectorIiLj1EEEEZZNS1_16scan_by_key_implILNS1_25lookback_scan_determinismE0ELb1ES3_N6thrust23THRUST_200600_302600_NS6detail15normal_iteratorINSB_10device_ptrIjEEEENSD_INSE_IS6_EEEESI_S6_NSB_4plusIvEENSB_8equal_toIvEES6_EE10hipError_tPvRmT2_T3_T4_T5_mT6_T7_P12ihipStream_tbENKUlT_T0_E_clISt17integral_constantIbLb0EES13_EEDaSY_SZ_EUlSY_E_NS1_11comp_targetILNS1_3genE9ELNS1_11target_archE1100ELNS1_3gpuE3ELNS1_3repE0EEENS1_30default_config_static_selectorELNS0_4arch9wavefront6targetE0EEEvT1_
	.p2align	8
	.type	_ZN7rocprim17ROCPRIM_400000_NS6detail17trampoline_kernelINS0_14default_configENS1_27scan_by_key_config_selectorIj11FixedVectorIiLj1EEEEZZNS1_16scan_by_key_implILNS1_25lookback_scan_determinismE0ELb1ES3_N6thrust23THRUST_200600_302600_NS6detail15normal_iteratorINSB_10device_ptrIjEEEENSD_INSE_IS6_EEEESI_S6_NSB_4plusIvEENSB_8equal_toIvEES6_EE10hipError_tPvRmT2_T3_T4_T5_mT6_T7_P12ihipStream_tbENKUlT_T0_E_clISt17integral_constantIbLb0EES13_EEDaSY_SZ_EUlSY_E_NS1_11comp_targetILNS1_3genE9ELNS1_11target_archE1100ELNS1_3gpuE3ELNS1_3repE0EEENS1_30default_config_static_selectorELNS0_4arch9wavefront6targetE0EEEvT1_,@function
_ZN7rocprim17ROCPRIM_400000_NS6detail17trampoline_kernelINS0_14default_configENS1_27scan_by_key_config_selectorIj11FixedVectorIiLj1EEEEZZNS1_16scan_by_key_implILNS1_25lookback_scan_determinismE0ELb1ES3_N6thrust23THRUST_200600_302600_NS6detail15normal_iteratorINSB_10device_ptrIjEEEENSD_INSE_IS6_EEEESI_S6_NSB_4plusIvEENSB_8equal_toIvEES6_EE10hipError_tPvRmT2_T3_T4_T5_mT6_T7_P12ihipStream_tbENKUlT_T0_E_clISt17integral_constantIbLb0EES13_EEDaSY_SZ_EUlSY_E_NS1_11comp_targetILNS1_3genE9ELNS1_11target_archE1100ELNS1_3gpuE3ELNS1_3repE0EEENS1_30default_config_static_selectorELNS0_4arch9wavefront6targetE0EEEvT1_: ; @_ZN7rocprim17ROCPRIM_400000_NS6detail17trampoline_kernelINS0_14default_configENS1_27scan_by_key_config_selectorIj11FixedVectorIiLj1EEEEZZNS1_16scan_by_key_implILNS1_25lookback_scan_determinismE0ELb1ES3_N6thrust23THRUST_200600_302600_NS6detail15normal_iteratorINSB_10device_ptrIjEEEENSD_INSE_IS6_EEEESI_S6_NSB_4plusIvEENSB_8equal_toIvEES6_EE10hipError_tPvRmT2_T3_T4_T5_mT6_T7_P12ihipStream_tbENKUlT_T0_E_clISt17integral_constantIbLb0EES13_EEDaSY_SZ_EUlSY_E_NS1_11comp_targetILNS1_3genE9ELNS1_11target_archE1100ELNS1_3gpuE3ELNS1_3repE0EEENS1_30default_config_static_selectorELNS0_4arch9wavefront6targetE0EEEvT1_
; %bb.0:
	.section	.rodata,"a",@progbits
	.p2align	6, 0x0
	.amdhsa_kernel _ZN7rocprim17ROCPRIM_400000_NS6detail17trampoline_kernelINS0_14default_configENS1_27scan_by_key_config_selectorIj11FixedVectorIiLj1EEEEZZNS1_16scan_by_key_implILNS1_25lookback_scan_determinismE0ELb1ES3_N6thrust23THRUST_200600_302600_NS6detail15normal_iteratorINSB_10device_ptrIjEEEENSD_INSE_IS6_EEEESI_S6_NSB_4plusIvEENSB_8equal_toIvEES6_EE10hipError_tPvRmT2_T3_T4_T5_mT6_T7_P12ihipStream_tbENKUlT_T0_E_clISt17integral_constantIbLb0EES13_EEDaSY_SZ_EUlSY_E_NS1_11comp_targetILNS1_3genE9ELNS1_11target_archE1100ELNS1_3gpuE3ELNS1_3repE0EEENS1_30default_config_static_selectorELNS0_4arch9wavefront6targetE0EEEvT1_
		.amdhsa_group_segment_fixed_size 0
		.amdhsa_private_segment_fixed_size 0
		.amdhsa_kernarg_size 112
		.amdhsa_user_sgpr_count 6
		.amdhsa_user_sgpr_private_segment_buffer 1
		.amdhsa_user_sgpr_dispatch_ptr 0
		.amdhsa_user_sgpr_queue_ptr 0
		.amdhsa_user_sgpr_kernarg_segment_ptr 1
		.amdhsa_user_sgpr_dispatch_id 0
		.amdhsa_user_sgpr_flat_scratch_init 0
		.amdhsa_user_sgpr_private_segment_size 0
		.amdhsa_wavefront_size32 1
		.amdhsa_uses_dynamic_stack 0
		.amdhsa_system_sgpr_private_segment_wavefront_offset 0
		.amdhsa_system_sgpr_workgroup_id_x 1
		.amdhsa_system_sgpr_workgroup_id_y 0
		.amdhsa_system_sgpr_workgroup_id_z 0
		.amdhsa_system_sgpr_workgroup_info 0
		.amdhsa_system_vgpr_workitem_id 0
		.amdhsa_next_free_vgpr 1
		.amdhsa_next_free_sgpr 1
		.amdhsa_reserve_vcc 0
		.amdhsa_reserve_flat_scratch 0
		.amdhsa_float_round_mode_32 0
		.amdhsa_float_round_mode_16_64 0
		.amdhsa_float_denorm_mode_32 3
		.amdhsa_float_denorm_mode_16_64 3
		.amdhsa_dx10_clamp 1
		.amdhsa_ieee_mode 1
		.amdhsa_fp16_overflow 0
		.amdhsa_workgroup_processor_mode 1
		.amdhsa_memory_ordered 1
		.amdhsa_forward_progress 1
		.amdhsa_shared_vgpr_count 0
		.amdhsa_exception_fp_ieee_invalid_op 0
		.amdhsa_exception_fp_denorm_src 0
		.amdhsa_exception_fp_ieee_div_zero 0
		.amdhsa_exception_fp_ieee_overflow 0
		.amdhsa_exception_fp_ieee_underflow 0
		.amdhsa_exception_fp_ieee_inexact 0
		.amdhsa_exception_int_div_zero 0
	.end_amdhsa_kernel
	.section	.text._ZN7rocprim17ROCPRIM_400000_NS6detail17trampoline_kernelINS0_14default_configENS1_27scan_by_key_config_selectorIj11FixedVectorIiLj1EEEEZZNS1_16scan_by_key_implILNS1_25lookback_scan_determinismE0ELb1ES3_N6thrust23THRUST_200600_302600_NS6detail15normal_iteratorINSB_10device_ptrIjEEEENSD_INSE_IS6_EEEESI_S6_NSB_4plusIvEENSB_8equal_toIvEES6_EE10hipError_tPvRmT2_T3_T4_T5_mT6_T7_P12ihipStream_tbENKUlT_T0_E_clISt17integral_constantIbLb0EES13_EEDaSY_SZ_EUlSY_E_NS1_11comp_targetILNS1_3genE9ELNS1_11target_archE1100ELNS1_3gpuE3ELNS1_3repE0EEENS1_30default_config_static_selectorELNS0_4arch9wavefront6targetE0EEEvT1_,"axG",@progbits,_ZN7rocprim17ROCPRIM_400000_NS6detail17trampoline_kernelINS0_14default_configENS1_27scan_by_key_config_selectorIj11FixedVectorIiLj1EEEEZZNS1_16scan_by_key_implILNS1_25lookback_scan_determinismE0ELb1ES3_N6thrust23THRUST_200600_302600_NS6detail15normal_iteratorINSB_10device_ptrIjEEEENSD_INSE_IS6_EEEESI_S6_NSB_4plusIvEENSB_8equal_toIvEES6_EE10hipError_tPvRmT2_T3_T4_T5_mT6_T7_P12ihipStream_tbENKUlT_T0_E_clISt17integral_constantIbLb0EES13_EEDaSY_SZ_EUlSY_E_NS1_11comp_targetILNS1_3genE9ELNS1_11target_archE1100ELNS1_3gpuE3ELNS1_3repE0EEENS1_30default_config_static_selectorELNS0_4arch9wavefront6targetE0EEEvT1_,comdat
.Lfunc_end1918:
	.size	_ZN7rocprim17ROCPRIM_400000_NS6detail17trampoline_kernelINS0_14default_configENS1_27scan_by_key_config_selectorIj11FixedVectorIiLj1EEEEZZNS1_16scan_by_key_implILNS1_25lookback_scan_determinismE0ELb1ES3_N6thrust23THRUST_200600_302600_NS6detail15normal_iteratorINSB_10device_ptrIjEEEENSD_INSE_IS6_EEEESI_S6_NSB_4plusIvEENSB_8equal_toIvEES6_EE10hipError_tPvRmT2_T3_T4_T5_mT6_T7_P12ihipStream_tbENKUlT_T0_E_clISt17integral_constantIbLb0EES13_EEDaSY_SZ_EUlSY_E_NS1_11comp_targetILNS1_3genE9ELNS1_11target_archE1100ELNS1_3gpuE3ELNS1_3repE0EEENS1_30default_config_static_selectorELNS0_4arch9wavefront6targetE0EEEvT1_, .Lfunc_end1918-_ZN7rocprim17ROCPRIM_400000_NS6detail17trampoline_kernelINS0_14default_configENS1_27scan_by_key_config_selectorIj11FixedVectorIiLj1EEEEZZNS1_16scan_by_key_implILNS1_25lookback_scan_determinismE0ELb1ES3_N6thrust23THRUST_200600_302600_NS6detail15normal_iteratorINSB_10device_ptrIjEEEENSD_INSE_IS6_EEEESI_S6_NSB_4plusIvEENSB_8equal_toIvEES6_EE10hipError_tPvRmT2_T3_T4_T5_mT6_T7_P12ihipStream_tbENKUlT_T0_E_clISt17integral_constantIbLb0EES13_EEDaSY_SZ_EUlSY_E_NS1_11comp_targetILNS1_3genE9ELNS1_11target_archE1100ELNS1_3gpuE3ELNS1_3repE0EEENS1_30default_config_static_selectorELNS0_4arch9wavefront6targetE0EEEvT1_
                                        ; -- End function
	.set _ZN7rocprim17ROCPRIM_400000_NS6detail17trampoline_kernelINS0_14default_configENS1_27scan_by_key_config_selectorIj11FixedVectorIiLj1EEEEZZNS1_16scan_by_key_implILNS1_25lookback_scan_determinismE0ELb1ES3_N6thrust23THRUST_200600_302600_NS6detail15normal_iteratorINSB_10device_ptrIjEEEENSD_INSE_IS6_EEEESI_S6_NSB_4plusIvEENSB_8equal_toIvEES6_EE10hipError_tPvRmT2_T3_T4_T5_mT6_T7_P12ihipStream_tbENKUlT_T0_E_clISt17integral_constantIbLb0EES13_EEDaSY_SZ_EUlSY_E_NS1_11comp_targetILNS1_3genE9ELNS1_11target_archE1100ELNS1_3gpuE3ELNS1_3repE0EEENS1_30default_config_static_selectorELNS0_4arch9wavefront6targetE0EEEvT1_.num_vgpr, 0
	.set _ZN7rocprim17ROCPRIM_400000_NS6detail17trampoline_kernelINS0_14default_configENS1_27scan_by_key_config_selectorIj11FixedVectorIiLj1EEEEZZNS1_16scan_by_key_implILNS1_25lookback_scan_determinismE0ELb1ES3_N6thrust23THRUST_200600_302600_NS6detail15normal_iteratorINSB_10device_ptrIjEEEENSD_INSE_IS6_EEEESI_S6_NSB_4plusIvEENSB_8equal_toIvEES6_EE10hipError_tPvRmT2_T3_T4_T5_mT6_T7_P12ihipStream_tbENKUlT_T0_E_clISt17integral_constantIbLb0EES13_EEDaSY_SZ_EUlSY_E_NS1_11comp_targetILNS1_3genE9ELNS1_11target_archE1100ELNS1_3gpuE3ELNS1_3repE0EEENS1_30default_config_static_selectorELNS0_4arch9wavefront6targetE0EEEvT1_.num_agpr, 0
	.set _ZN7rocprim17ROCPRIM_400000_NS6detail17trampoline_kernelINS0_14default_configENS1_27scan_by_key_config_selectorIj11FixedVectorIiLj1EEEEZZNS1_16scan_by_key_implILNS1_25lookback_scan_determinismE0ELb1ES3_N6thrust23THRUST_200600_302600_NS6detail15normal_iteratorINSB_10device_ptrIjEEEENSD_INSE_IS6_EEEESI_S6_NSB_4plusIvEENSB_8equal_toIvEES6_EE10hipError_tPvRmT2_T3_T4_T5_mT6_T7_P12ihipStream_tbENKUlT_T0_E_clISt17integral_constantIbLb0EES13_EEDaSY_SZ_EUlSY_E_NS1_11comp_targetILNS1_3genE9ELNS1_11target_archE1100ELNS1_3gpuE3ELNS1_3repE0EEENS1_30default_config_static_selectorELNS0_4arch9wavefront6targetE0EEEvT1_.numbered_sgpr, 0
	.set _ZN7rocprim17ROCPRIM_400000_NS6detail17trampoline_kernelINS0_14default_configENS1_27scan_by_key_config_selectorIj11FixedVectorIiLj1EEEEZZNS1_16scan_by_key_implILNS1_25lookback_scan_determinismE0ELb1ES3_N6thrust23THRUST_200600_302600_NS6detail15normal_iteratorINSB_10device_ptrIjEEEENSD_INSE_IS6_EEEESI_S6_NSB_4plusIvEENSB_8equal_toIvEES6_EE10hipError_tPvRmT2_T3_T4_T5_mT6_T7_P12ihipStream_tbENKUlT_T0_E_clISt17integral_constantIbLb0EES13_EEDaSY_SZ_EUlSY_E_NS1_11comp_targetILNS1_3genE9ELNS1_11target_archE1100ELNS1_3gpuE3ELNS1_3repE0EEENS1_30default_config_static_selectorELNS0_4arch9wavefront6targetE0EEEvT1_.num_named_barrier, 0
	.set _ZN7rocprim17ROCPRIM_400000_NS6detail17trampoline_kernelINS0_14default_configENS1_27scan_by_key_config_selectorIj11FixedVectorIiLj1EEEEZZNS1_16scan_by_key_implILNS1_25lookback_scan_determinismE0ELb1ES3_N6thrust23THRUST_200600_302600_NS6detail15normal_iteratorINSB_10device_ptrIjEEEENSD_INSE_IS6_EEEESI_S6_NSB_4plusIvEENSB_8equal_toIvEES6_EE10hipError_tPvRmT2_T3_T4_T5_mT6_T7_P12ihipStream_tbENKUlT_T0_E_clISt17integral_constantIbLb0EES13_EEDaSY_SZ_EUlSY_E_NS1_11comp_targetILNS1_3genE9ELNS1_11target_archE1100ELNS1_3gpuE3ELNS1_3repE0EEENS1_30default_config_static_selectorELNS0_4arch9wavefront6targetE0EEEvT1_.private_seg_size, 0
	.set _ZN7rocprim17ROCPRIM_400000_NS6detail17trampoline_kernelINS0_14default_configENS1_27scan_by_key_config_selectorIj11FixedVectorIiLj1EEEEZZNS1_16scan_by_key_implILNS1_25lookback_scan_determinismE0ELb1ES3_N6thrust23THRUST_200600_302600_NS6detail15normal_iteratorINSB_10device_ptrIjEEEENSD_INSE_IS6_EEEESI_S6_NSB_4plusIvEENSB_8equal_toIvEES6_EE10hipError_tPvRmT2_T3_T4_T5_mT6_T7_P12ihipStream_tbENKUlT_T0_E_clISt17integral_constantIbLb0EES13_EEDaSY_SZ_EUlSY_E_NS1_11comp_targetILNS1_3genE9ELNS1_11target_archE1100ELNS1_3gpuE3ELNS1_3repE0EEENS1_30default_config_static_selectorELNS0_4arch9wavefront6targetE0EEEvT1_.uses_vcc, 0
	.set _ZN7rocprim17ROCPRIM_400000_NS6detail17trampoline_kernelINS0_14default_configENS1_27scan_by_key_config_selectorIj11FixedVectorIiLj1EEEEZZNS1_16scan_by_key_implILNS1_25lookback_scan_determinismE0ELb1ES3_N6thrust23THRUST_200600_302600_NS6detail15normal_iteratorINSB_10device_ptrIjEEEENSD_INSE_IS6_EEEESI_S6_NSB_4plusIvEENSB_8equal_toIvEES6_EE10hipError_tPvRmT2_T3_T4_T5_mT6_T7_P12ihipStream_tbENKUlT_T0_E_clISt17integral_constantIbLb0EES13_EEDaSY_SZ_EUlSY_E_NS1_11comp_targetILNS1_3genE9ELNS1_11target_archE1100ELNS1_3gpuE3ELNS1_3repE0EEENS1_30default_config_static_selectorELNS0_4arch9wavefront6targetE0EEEvT1_.uses_flat_scratch, 0
	.set _ZN7rocprim17ROCPRIM_400000_NS6detail17trampoline_kernelINS0_14default_configENS1_27scan_by_key_config_selectorIj11FixedVectorIiLj1EEEEZZNS1_16scan_by_key_implILNS1_25lookback_scan_determinismE0ELb1ES3_N6thrust23THRUST_200600_302600_NS6detail15normal_iteratorINSB_10device_ptrIjEEEENSD_INSE_IS6_EEEESI_S6_NSB_4plusIvEENSB_8equal_toIvEES6_EE10hipError_tPvRmT2_T3_T4_T5_mT6_T7_P12ihipStream_tbENKUlT_T0_E_clISt17integral_constantIbLb0EES13_EEDaSY_SZ_EUlSY_E_NS1_11comp_targetILNS1_3genE9ELNS1_11target_archE1100ELNS1_3gpuE3ELNS1_3repE0EEENS1_30default_config_static_selectorELNS0_4arch9wavefront6targetE0EEEvT1_.has_dyn_sized_stack, 0
	.set _ZN7rocprim17ROCPRIM_400000_NS6detail17trampoline_kernelINS0_14default_configENS1_27scan_by_key_config_selectorIj11FixedVectorIiLj1EEEEZZNS1_16scan_by_key_implILNS1_25lookback_scan_determinismE0ELb1ES3_N6thrust23THRUST_200600_302600_NS6detail15normal_iteratorINSB_10device_ptrIjEEEENSD_INSE_IS6_EEEESI_S6_NSB_4plusIvEENSB_8equal_toIvEES6_EE10hipError_tPvRmT2_T3_T4_T5_mT6_T7_P12ihipStream_tbENKUlT_T0_E_clISt17integral_constantIbLb0EES13_EEDaSY_SZ_EUlSY_E_NS1_11comp_targetILNS1_3genE9ELNS1_11target_archE1100ELNS1_3gpuE3ELNS1_3repE0EEENS1_30default_config_static_selectorELNS0_4arch9wavefront6targetE0EEEvT1_.has_recursion, 0
	.set _ZN7rocprim17ROCPRIM_400000_NS6detail17trampoline_kernelINS0_14default_configENS1_27scan_by_key_config_selectorIj11FixedVectorIiLj1EEEEZZNS1_16scan_by_key_implILNS1_25lookback_scan_determinismE0ELb1ES3_N6thrust23THRUST_200600_302600_NS6detail15normal_iteratorINSB_10device_ptrIjEEEENSD_INSE_IS6_EEEESI_S6_NSB_4plusIvEENSB_8equal_toIvEES6_EE10hipError_tPvRmT2_T3_T4_T5_mT6_T7_P12ihipStream_tbENKUlT_T0_E_clISt17integral_constantIbLb0EES13_EEDaSY_SZ_EUlSY_E_NS1_11comp_targetILNS1_3genE9ELNS1_11target_archE1100ELNS1_3gpuE3ELNS1_3repE0EEENS1_30default_config_static_selectorELNS0_4arch9wavefront6targetE0EEEvT1_.has_indirect_call, 0
	.section	.AMDGPU.csdata,"",@progbits
; Kernel info:
; codeLenInByte = 0
; TotalNumSgprs: 0
; NumVgprs: 0
; ScratchSize: 0
; MemoryBound: 0
; FloatMode: 240
; IeeeMode: 1
; LDSByteSize: 0 bytes/workgroup (compile time only)
; SGPRBlocks: 0
; VGPRBlocks: 0
; NumSGPRsForWavesPerEU: 1
; NumVGPRsForWavesPerEU: 1
; Occupancy: 16
; WaveLimiterHint : 0
; COMPUTE_PGM_RSRC2:SCRATCH_EN: 0
; COMPUTE_PGM_RSRC2:USER_SGPR: 6
; COMPUTE_PGM_RSRC2:TRAP_HANDLER: 0
; COMPUTE_PGM_RSRC2:TGID_X_EN: 1
; COMPUTE_PGM_RSRC2:TGID_Y_EN: 0
; COMPUTE_PGM_RSRC2:TGID_Z_EN: 0
; COMPUTE_PGM_RSRC2:TIDIG_COMP_CNT: 0
	.section	.text._ZN7rocprim17ROCPRIM_400000_NS6detail17trampoline_kernelINS0_14default_configENS1_27scan_by_key_config_selectorIj11FixedVectorIiLj1EEEEZZNS1_16scan_by_key_implILNS1_25lookback_scan_determinismE0ELb1ES3_N6thrust23THRUST_200600_302600_NS6detail15normal_iteratorINSB_10device_ptrIjEEEENSD_INSE_IS6_EEEESI_S6_NSB_4plusIvEENSB_8equal_toIvEES6_EE10hipError_tPvRmT2_T3_T4_T5_mT6_T7_P12ihipStream_tbENKUlT_T0_E_clISt17integral_constantIbLb0EES13_EEDaSY_SZ_EUlSY_E_NS1_11comp_targetILNS1_3genE8ELNS1_11target_archE1030ELNS1_3gpuE2ELNS1_3repE0EEENS1_30default_config_static_selectorELNS0_4arch9wavefront6targetE0EEEvT1_,"axG",@progbits,_ZN7rocprim17ROCPRIM_400000_NS6detail17trampoline_kernelINS0_14default_configENS1_27scan_by_key_config_selectorIj11FixedVectorIiLj1EEEEZZNS1_16scan_by_key_implILNS1_25lookback_scan_determinismE0ELb1ES3_N6thrust23THRUST_200600_302600_NS6detail15normal_iteratorINSB_10device_ptrIjEEEENSD_INSE_IS6_EEEESI_S6_NSB_4plusIvEENSB_8equal_toIvEES6_EE10hipError_tPvRmT2_T3_T4_T5_mT6_T7_P12ihipStream_tbENKUlT_T0_E_clISt17integral_constantIbLb0EES13_EEDaSY_SZ_EUlSY_E_NS1_11comp_targetILNS1_3genE8ELNS1_11target_archE1030ELNS1_3gpuE2ELNS1_3repE0EEENS1_30default_config_static_selectorELNS0_4arch9wavefront6targetE0EEEvT1_,comdat
	.protected	_ZN7rocprim17ROCPRIM_400000_NS6detail17trampoline_kernelINS0_14default_configENS1_27scan_by_key_config_selectorIj11FixedVectorIiLj1EEEEZZNS1_16scan_by_key_implILNS1_25lookback_scan_determinismE0ELb1ES3_N6thrust23THRUST_200600_302600_NS6detail15normal_iteratorINSB_10device_ptrIjEEEENSD_INSE_IS6_EEEESI_S6_NSB_4plusIvEENSB_8equal_toIvEES6_EE10hipError_tPvRmT2_T3_T4_T5_mT6_T7_P12ihipStream_tbENKUlT_T0_E_clISt17integral_constantIbLb0EES13_EEDaSY_SZ_EUlSY_E_NS1_11comp_targetILNS1_3genE8ELNS1_11target_archE1030ELNS1_3gpuE2ELNS1_3repE0EEENS1_30default_config_static_selectorELNS0_4arch9wavefront6targetE0EEEvT1_ ; -- Begin function _ZN7rocprim17ROCPRIM_400000_NS6detail17trampoline_kernelINS0_14default_configENS1_27scan_by_key_config_selectorIj11FixedVectorIiLj1EEEEZZNS1_16scan_by_key_implILNS1_25lookback_scan_determinismE0ELb1ES3_N6thrust23THRUST_200600_302600_NS6detail15normal_iteratorINSB_10device_ptrIjEEEENSD_INSE_IS6_EEEESI_S6_NSB_4plusIvEENSB_8equal_toIvEES6_EE10hipError_tPvRmT2_T3_T4_T5_mT6_T7_P12ihipStream_tbENKUlT_T0_E_clISt17integral_constantIbLb0EES13_EEDaSY_SZ_EUlSY_E_NS1_11comp_targetILNS1_3genE8ELNS1_11target_archE1030ELNS1_3gpuE2ELNS1_3repE0EEENS1_30default_config_static_selectorELNS0_4arch9wavefront6targetE0EEEvT1_
	.globl	_ZN7rocprim17ROCPRIM_400000_NS6detail17trampoline_kernelINS0_14default_configENS1_27scan_by_key_config_selectorIj11FixedVectorIiLj1EEEEZZNS1_16scan_by_key_implILNS1_25lookback_scan_determinismE0ELb1ES3_N6thrust23THRUST_200600_302600_NS6detail15normal_iteratorINSB_10device_ptrIjEEEENSD_INSE_IS6_EEEESI_S6_NSB_4plusIvEENSB_8equal_toIvEES6_EE10hipError_tPvRmT2_T3_T4_T5_mT6_T7_P12ihipStream_tbENKUlT_T0_E_clISt17integral_constantIbLb0EES13_EEDaSY_SZ_EUlSY_E_NS1_11comp_targetILNS1_3genE8ELNS1_11target_archE1030ELNS1_3gpuE2ELNS1_3repE0EEENS1_30default_config_static_selectorELNS0_4arch9wavefront6targetE0EEEvT1_
	.p2align	8
	.type	_ZN7rocprim17ROCPRIM_400000_NS6detail17trampoline_kernelINS0_14default_configENS1_27scan_by_key_config_selectorIj11FixedVectorIiLj1EEEEZZNS1_16scan_by_key_implILNS1_25lookback_scan_determinismE0ELb1ES3_N6thrust23THRUST_200600_302600_NS6detail15normal_iteratorINSB_10device_ptrIjEEEENSD_INSE_IS6_EEEESI_S6_NSB_4plusIvEENSB_8equal_toIvEES6_EE10hipError_tPvRmT2_T3_T4_T5_mT6_T7_P12ihipStream_tbENKUlT_T0_E_clISt17integral_constantIbLb0EES13_EEDaSY_SZ_EUlSY_E_NS1_11comp_targetILNS1_3genE8ELNS1_11target_archE1030ELNS1_3gpuE2ELNS1_3repE0EEENS1_30default_config_static_selectorELNS0_4arch9wavefront6targetE0EEEvT1_,@function
_ZN7rocprim17ROCPRIM_400000_NS6detail17trampoline_kernelINS0_14default_configENS1_27scan_by_key_config_selectorIj11FixedVectorIiLj1EEEEZZNS1_16scan_by_key_implILNS1_25lookback_scan_determinismE0ELb1ES3_N6thrust23THRUST_200600_302600_NS6detail15normal_iteratorINSB_10device_ptrIjEEEENSD_INSE_IS6_EEEESI_S6_NSB_4plusIvEENSB_8equal_toIvEES6_EE10hipError_tPvRmT2_T3_T4_T5_mT6_T7_P12ihipStream_tbENKUlT_T0_E_clISt17integral_constantIbLb0EES13_EEDaSY_SZ_EUlSY_E_NS1_11comp_targetILNS1_3genE8ELNS1_11target_archE1030ELNS1_3gpuE2ELNS1_3repE0EEENS1_30default_config_static_selectorELNS0_4arch9wavefront6targetE0EEEvT1_: ; @_ZN7rocprim17ROCPRIM_400000_NS6detail17trampoline_kernelINS0_14default_configENS1_27scan_by_key_config_selectorIj11FixedVectorIiLj1EEEEZZNS1_16scan_by_key_implILNS1_25lookback_scan_determinismE0ELb1ES3_N6thrust23THRUST_200600_302600_NS6detail15normal_iteratorINSB_10device_ptrIjEEEENSD_INSE_IS6_EEEESI_S6_NSB_4plusIvEENSB_8equal_toIvEES6_EE10hipError_tPvRmT2_T3_T4_T5_mT6_T7_P12ihipStream_tbENKUlT_T0_E_clISt17integral_constantIbLb0EES13_EEDaSY_SZ_EUlSY_E_NS1_11comp_targetILNS1_3genE8ELNS1_11target_archE1030ELNS1_3gpuE2ELNS1_3repE0EEENS1_30default_config_static_selectorELNS0_4arch9wavefront6targetE0EEEvT1_
; %bb.0:
	s_clause 0x5
	s_load_dwordx8 s[8:15], s[4:5], 0x0
	s_load_dwordx2 s[24:25], s[4:5], 0x38
	s_load_dword s2, s[4:5], 0x40
	s_load_dwordx4 s[20:23], s[4:5], 0x48
	s_load_dword s26, s[4:5], 0x20
	s_load_dwordx4 s[16:19], s[4:5], 0x28
	s_mov_b32 s1, 0
	s_mul_i32 s0, s6, 0x300
	s_waitcnt lgkmcnt(0)
	s_barrier
	buffer_gl0_inv
	s_lshl_b64 s[4:5], s[10:11], 2
	s_add_u32 s10, s8, s4
	s_addc_u32 s11, s9, s5
	s_mul_i32 s3, s25, s2
	s_mul_hi_u32 s7, s24, s2
	s_add_u32 s12, s12, s4
	s_addc_u32 s13, s13, s5
	s_lshl_b64 s[8:9], s[0:1], 2
	s_add_i32 s7, s7, s3
	s_add_u32 s10, s10, s8
	s_addc_u32 s11, s11, s9
	s_mul_i32 s0, s24, s2
	s_add_u32 s3, s12, s8
	s_addc_u32 s13, s13, s9
	s_add_u32 s28, s0, s6
	s_addc_u32 s29, s7, 0
	s_add_u32 s20, s20, -1
	s_addc_u32 s21, s21, -1
	s_mul_i32 s7, s20, 0xfffffd00
	v_cmp_ge_u64_e64 s12, s[28:29], s[20:21]
	s_and_b32 vcc_lo, exec_lo, s12
	s_cbranch_vccz .LBB1919_22
; %bb.1:
	v_mov_b32_e32 v1, s10
	v_mov_b32_e32 v2, s11
	s_add_i32 s19, s7, s18
	v_cmp_gt_u32_e32 vcc_lo, s19, v0
	flat_load_dword v3, v[1:2]
	s_waitcnt vmcnt(0) lgkmcnt(0)
	v_mov_b32_e32 v4, v3
	s_and_saveexec_b32 s0, vcc_lo
	s_cbranch_execz .LBB1919_3
; %bb.2:
	v_lshlrev_b32_e32 v1, 2, v0
	v_add_co_u32 v1, s1, s10, v1
	v_add_co_ci_u32_e64 v2, null, s11, 0, s1
	flat_load_dword v4, v[1:2]
.LBB1919_3:
	s_or_b32 exec_lo, exec_lo, s0
	v_or_b32_e32 v1, 0x100, v0
	v_mov_b32_e32 v5, v3
	v_cmp_gt_u32_e64 s0, s19, v1
	s_and_saveexec_b32 s1, s0
	s_cbranch_execz .LBB1919_5
; %bb.4:
	v_lshlrev_b32_e32 v1, 2, v0
	v_add_co_u32 v1, s2, s10, v1
	v_add_co_ci_u32_e64 v2, null, s11, 0, s2
	flat_load_dword v5, v[1:2] offset:1024
.LBB1919_5:
	s_or_b32 exec_lo, exec_lo, s1
	v_or_b32_e32 v1, 0x200, v0
	v_cmp_gt_u32_e64 s1, s19, v1
	v_lshlrev_b32_e32 v1, 2, v1
	s_and_saveexec_b32 s2, s1
	s_cbranch_execz .LBB1919_7
; %bb.6:
	v_add_co_u32 v2, s20, s10, v1
	v_add_co_ci_u32_e64 v3, null, s11, 0, s20
	flat_load_dword v3, v[2:3]
.LBB1919_7:
	s_or_b32 exec_lo, exec_lo, s2
	v_mov_b32_e32 v6, s10
	v_lshlrev_b32_e32 v2, 2, v0
	v_mov_b32_e32 v7, s11
	s_mov_b32 s20, exec_lo
	s_waitcnt vmcnt(0) lgkmcnt(0)
	ds_write2st64_b32 v2, v4, v5 offset1:4
	ds_write_b32 v2, v3 offset:2048
	s_waitcnt lgkmcnt(0)
	s_barrier
	buffer_gl0_inv
	flat_load_dword v7, v[6:7]
	v_lshlrev_b32_e32 v5, 3, v0
	v_add_nc_u32_e32 v6, v2, v5
	ds_read_b32 v8, v6
	ds_read2_b32 v[3:4], v6 offset0:1 offset1:2
	s_waitcnt lgkmcnt(1)
	ds_write_b32 v2, v8 offset:4096
	s_waitcnt vmcnt(0) lgkmcnt(0)
	s_barrier
	buffer_gl0_inv
	v_cmpx_ne_u32_e32 0xff, v0
; %bb.8:
	v_sub_nc_u32_e32 v5, 0, v5
	v_add_nc_u32_e32 v5, v6, v5
	ds_read_b32 v7, v5 offset:4100
; %bb.9:
	s_or_b32 exec_lo, exec_lo, s20
	v_mov_b32_e32 v5, 0
	v_mov_b32_e32 v9, 0
	s_waitcnt lgkmcnt(0)
	s_barrier
	buffer_gl0_inv
	s_and_saveexec_b32 s2, vcc_lo
	s_cbranch_execz .LBB1919_11
; %bb.10:
	v_add_co_u32 v9, s20, s3, v2
	v_add_co_ci_u32_e64 v10, null, s13, 0, s20
	flat_load_dword v9, v[9:10]
.LBB1919_11:
	s_or_b32 exec_lo, exec_lo, s2
	s_and_saveexec_b32 s2, s0
	s_cbranch_execz .LBB1919_13
; %bb.12:
	v_add_co_u32 v10, s0, s3, v2
	v_add_co_ci_u32_e64 v11, null, s13, 0, s0
	flat_load_dword v5, v[10:11] offset:1024
.LBB1919_13:
	s_or_b32 exec_lo, exec_lo, s2
	v_mul_u32_u24_e32 v13, 3, v0
	v_mov_b32_e32 v10, 0
	s_and_saveexec_b32 s0, s1
	s_cbranch_execz .LBB1919_15
; %bb.14:
	v_add_co_u32 v10, s1, s3, v1
	v_add_co_ci_u32_e64 v11, null, s13, 0, s1
	flat_load_dword v10, v[10:11]
.LBB1919_15:
	s_or_b32 exec_lo, exec_lo, s0
	s_waitcnt vmcnt(0) lgkmcnt(0)
	ds_write2st64_b32 v2, v9, v5 offset1:4
	ds_write_b32 v2, v10 offset:2048
	v_mov_b32_e32 v9, 0
	v_mov_b32_e32 v1, 0
	v_mov_b32_e32 v11, 0
	v_mov_b32_e32 v10, 0
	v_mov_b32_e32 v2, 0
	v_mov_b32_e32 v12, 0
	s_mov_b32 s2, 0
	s_mov_b32 s1, 0
	s_mov_b32 s20, exec_lo
	s_waitcnt lgkmcnt(0)
	s_barrier
	buffer_gl0_inv
                                        ; implicit-def: $sgpr0
                                        ; implicit-def: $vgpr5
	v_cmpx_gt_u32_e64 s19, v13
	s_cbranch_execz .LBB1919_21
; %bb.16:
	ds_read_b32 v5, v6
	v_cmp_ne_u32_e32 vcc_lo, v8, v3
	v_mov_b32_e32 v1, 0
	v_add_nc_u32_e32 v11, 1, v13
	v_mov_b32_e32 v2, 0
	s_mov_b32 s21, 0
	v_cndmask_b32_e64 v10, 0, 1, vcc_lo
	v_cmp_eq_u32_e32 vcc_lo, v8, v3
	s_mov_b32 s1, exec_lo
                                        ; implicit-def: $sgpr0
	s_waitcnt lgkmcnt(0)
	v_cndmask_b32_e32 v9, s26, v5, vcc_lo
                                        ; implicit-def: $vgpr5
	v_cmpx_gt_u32_e64 s19, v11
	s_cbranch_execz .LBB1919_20
; %bb.17:
	ds_read2_b32 v[5:6], v6 offset0:1 offset1:2
	v_cmp_ne_u32_e32 vcc_lo, v3, v4
	v_add_nc_u32_e32 v8, 2, v13
                                        ; implicit-def: $sgpr0
	v_cndmask_b32_e64 v2, 0, 1, vcc_lo
	v_cmp_eq_u32_e32 vcc_lo, v3, v4
	s_waitcnt lgkmcnt(0)
	v_cndmask_b32_e32 v1, s26, v5, vcc_lo
	v_cmp_gt_u32_e32 vcc_lo, s19, v8
	s_mov_b32 s19, 0
                                        ; implicit-def: $vgpr5
	s_and_saveexec_b32 s21, vcc_lo
	s_xor_b32 s21, exec_lo, s21
; %bb.18:
	v_cmp_ne_u32_e64 s0, v4, v7
	s_mov_b32 s19, exec_lo
	v_cndmask_b32_e64 v5, v6, s26, s0
; %bb.19:
	s_or_b32 exec_lo, exec_lo, s21
	s_and_b32 s21, s19, exec_lo
.LBB1919_20:
	s_or_b32 exec_lo, exec_lo, s1
	v_mov_b32_e32 v12, v2
	v_mov_b32_e32 v11, v1
	s_and_b32 s1, s21, exec_lo
.LBB1919_21:
	s_or_b32 exec_lo, exec_lo, s20
	v_lshlrev_b32_e32 v19, 2, v0
	v_lshlrev_b32_e32 v18, 3, v0
	s_and_b32 vcc_lo, exec_lo, s2
	s_cbranch_vccnz .LBB1919_23
	s_branch .LBB1919_28
.LBB1919_22:
                                        ; implicit-def: $sgpr0
                                        ; implicit-def: $vgpr9_vgpr10
                                        ; implicit-def: $vgpr1_vgpr2
                                        ; implicit-def: $vgpr5
                                        ; implicit-def: $vgpr11_vgpr12
	v_lshlrev_b32_e32 v19, 2, v0
	v_lshlrev_b32_e32 v18, 3, v0
	s_cbranch_execz .LBB1919_28
.LBB1919_23:
	v_add_co_u32 v1, s0, s10, v19
	v_add_co_ci_u32_e64 v2, null, s11, 0, s0
	v_add_co_u32 v3, vcc_lo, 0x800, v1
	v_add_co_ci_u32_e64 v4, null, 0, v2, vcc_lo
	s_clause 0x2
	flat_load_dword v5, v[1:2]
	flat_load_dword v6, v[1:2] offset:1024
	flat_load_dword v3, v[3:4]
	v_add_co_u32 v1, s0, 0x800, s10
	v_add_co_ci_u32_e64 v2, null, 0, s11, s0
	s_mov_b32 s0, exec_lo
	s_waitcnt vmcnt(1) lgkmcnt(1)
	ds_write2st64_b32 v19, v5, v6 offset1:4
	s_waitcnt vmcnt(0) lgkmcnt(1)
	ds_write_b32 v19, v3 offset:2048
	s_waitcnt lgkmcnt(0)
	s_barrier
	buffer_gl0_inv
	flat_load_dword v6, v[1:2] offset:1024
	v_add_nc_u32_e32 v1, v19, v18
	ds_read_b32 v7, v1
	ds_read2_b32 v[2:3], v1 offset0:1 offset1:2
	s_waitcnt lgkmcnt(1)
	ds_write_b32 v19, v7 offset:4096
	s_waitcnt vmcnt(0) lgkmcnt(0)
	s_barrier
	buffer_gl0_inv
	v_cmpx_ne_u32_e32 0xff, v0
; %bb.24:
	v_sub_nc_u32_e32 v4, 0, v18
	v_add_nc_u32_e32 v4, v1, v4
	ds_read_b32 v6, v4 offset:4100
; %bb.25:
	s_or_b32 exec_lo, exec_lo, s0
	v_add_co_u32 v4, s0, s3, v19
	v_add_co_ci_u32_e64 v5, null, s13, 0, s0
	s_waitcnt lgkmcnt(0)
	v_add_co_u32 v8, vcc_lo, 0x800, v4
	v_add_co_ci_u32_e64 v9, null, 0, v5, vcc_lo
	s_barrier
	buffer_gl0_inv
	s_clause 0x2
	flat_load_dword v10, v[4:5]
	flat_load_dword v4, v[4:5] offset:1024
	flat_load_dword v5, v[8:9]
	v_cmp_eq_u32_e32 vcc_lo, v7, v2
	v_mov_b32_e32 v9, 0
	v_mov_b32_e32 v7, s26
	s_waitcnt vmcnt(1) lgkmcnt(1)
	ds_write2st64_b32 v19, v10, v4 offset1:4
	s_waitcnt vmcnt(0) lgkmcnt(1)
	ds_write_b32 v19, v5 offset:2048
	s_waitcnt lgkmcnt(0)
	s_barrier
	buffer_gl0_inv
	ds_read2_b32 v[4:5], v1 offset0:1 offset1:2
	v_mov_b32_e32 v10, 1
	s_and_saveexec_b32 s0, vcc_lo
; %bb.26:
	ds_read_b32 v7, v1
	v_mov_b32_e32 v9, 0
	v_mov_b32_e32 v10, 0
; %bb.27:
	s_or_b32 exec_lo, exec_lo, s0
	v_cmp_eq_u32_e32 vcc_lo, v2, v3
	v_cmp_ne_u32_e64 s0, v3, v6
	s_waitcnt lgkmcnt(0)
	v_or_b32_e32 v9, v9, v7
	s_mov_b32 s1, -1
	v_cndmask_b32_e32 v1, s26, v4, vcc_lo
	v_cmp_ne_u32_e32 vcc_lo, v2, v3
	v_cndmask_b32_e64 v5, v5, s26, s0
	v_cndmask_b32_e64 v2, 0, 1, vcc_lo
	v_mov_b32_e32 v12, v2
	v_mov_b32_e32 v11, v1
.LBB1919_28:
	v_mov_b32_e32 v13, 0
	v_mov_b32_e32 v14, 0
	s_and_saveexec_b32 s2, s1
; %bb.29:
	v_cndmask_b32_e64 v6, 0, 1, s0
	v_mov_b32_e32 v12, v2
	v_mov_b32_e32 v11, v1
	;; [unrolled: 1-line block ×4, first 2 shown]
; %bb.30:
	s_or_b32 exec_lo, exec_lo, s2
	v_or_b32_e32 v23, v12, v14
	v_mbcnt_lo_u32_b32 v20, -1, 0
	v_lshrrev_b32_e32 v21, 5, v0
	v_or_b32_e32 v22, 31, v0
	s_cmp_lg_u32 s6, 0
	s_mov_b32 s2, 0
	s_barrier
	buffer_gl0_inv
	s_cbranch_scc0 .LBB1919_56
; %bb.31:
	v_and_b32_e32 v2, 0xff, v23
	v_mov_b32_e32 v1, 0
	s_mov_b32 s3, 1
	v_cmp_gt_u64_e64 s0, s[2:3], v[11:12]
	v_cmp_eq_u64_e32 vcc_lo, 0, v[1:2]
	v_cndmask_b32_e64 v3, 0, v9, s0
	v_cndmask_b32_e32 v2, 1, v10, vcc_lo
	v_cmp_gt_u64_e32 vcc_lo, s[2:3], v[13:14]
	v_add_nc_u32_e32 v3, v3, v11
	v_and_b32_e32 v4, 0xff, v2
	v_and_b32_e32 v6, 1, v2
	v_cndmask_b32_e32 v3, 0, v3, vcc_lo
	v_mov_b32_dpp v5, v4 row_shr:1 row_mask:0xf bank_mask:0xf
	v_cmp_eq_u32_e32 vcc_lo, 1, v6
	v_and_b32_e32 v6, 15, v20
	v_add_nc_u32_e32 v3, v3, v13
	v_and_b32_e32 v5, 1, v5
	v_mov_b32_dpp v7, v3 row_shr:1 row_mask:0xf bank_mask:0xf
	v_cndmask_b32_e64 v5, v5, 1, vcc_lo
	v_cmp_eq_u16_e32 vcc_lo, 0, v4
	v_and_b32_e32 v8, 0xffff, v5
	v_cndmask_b32_e32 v7, 0, v7, vcc_lo
	v_cmp_eq_u32_e32 vcc_lo, 0, v6
	v_cndmask_b32_e32 v4, v8, v4, vcc_lo
	v_cndmask_b32_e32 v2, v5, v2, vcc_lo
	v_cndmask_b32_e64 v7, v7, 0, vcc_lo
	v_mov_b32_dpp v5, v4 row_shr:2 row_mask:0xf bank_mask:0xf
	v_and_b32_e32 v8, 1, v2
	v_add_nc_u32_e32 v3, v7, v3
	v_cmp_eq_u16_sdwa s2, v2, v1 src0_sel:BYTE_0 src1_sel:DWORD
	v_and_b32_e32 v5, 1, v5
	v_cmp_eq_u32_e32 vcc_lo, 1, v8
	v_cndmask_b32_e64 v5, v5, 1, vcc_lo
	v_cmp_lt_u32_e32 vcc_lo, 1, v6
	v_and_b32_e32 v8, 0xffff, v5
	v_cndmask_b32_e32 v5, v2, v5, vcc_lo
	v_mov_b32_dpp v2, v3 row_shr:2 row_mask:0xf bank_mask:0xf
	v_cndmask_b32_e32 v4, v4, v8, vcc_lo
	v_and_b32_e32 v7, 1, v5
	s_and_b32 vcc_lo, vcc_lo, s2
	v_cndmask_b32_e32 v2, 0, v2, vcc_lo
	v_mov_b32_dpp v8, v4 row_shr:4 row_mask:0xf bank_mask:0xf
	v_cmp_eq_u32_e64 s1, 1, v7
	v_cmp_lt_u32_e32 vcc_lo, 3, v6
	v_add_nc_u32_e32 v2, v2, v3
	v_and_b32_e32 v8, 1, v8
	v_cndmask_b32_e64 v7, v8, 1, s1
	v_cmp_eq_u16_sdwa s1, v5, v1 src0_sel:BYTE_0 src1_sel:DWORD
	v_and_b32_e32 v8, 0xffff, v7
	v_cndmask_b32_e32 v3, v5, v7, vcc_lo
	v_mov_b32_dpp v5, v2 row_shr:4 row_mask:0xf bank_mask:0xf
	v_cndmask_b32_e32 v4, v4, v8, vcc_lo
	s_and_b32 vcc_lo, vcc_lo, s1
	v_and_b32_e32 v8, 1, v3
	v_cndmask_b32_e32 v5, 0, v5, vcc_lo
	v_cmp_eq_u16_sdwa s1, v3, v1 src0_sel:BYTE_0 src1_sel:DWORD
	v_mov_b32_dpp v7, v4 row_shr:8 row_mask:0xf bank_mask:0xf
	v_cmp_eq_u32_e32 vcc_lo, 1, v8
	v_add_nc_u32_e32 v2, v5, v2
	v_and_b32_e32 v7, 1, v7
	v_cndmask_b32_e64 v5, v7, 1, vcc_lo
	v_cmp_lt_u32_e32 vcc_lo, 7, v6
	v_mov_b32_dpp v6, v2 row_shr:8 row_mask:0xf bank_mask:0xf
	s_and_b32 s1, vcc_lo, s1
	v_cndmask_b32_e32 v7, v3, v5, vcc_lo
	v_cndmask_b32_e64 v3, 0, v6, s1
	v_and_b32_e32 v5, 0xffff, v5
	v_and_b32_e32 v6, 16, v20
	v_add_nc_u32_e32 v2, v3, v2
	v_cndmask_b32_e32 v3, v4, v5, vcc_lo
	v_cmp_eq_u16_sdwa vcc_lo, v7, v1 src0_sel:BYTE_0 src1_sel:DWORD
	v_bfe_i32 v5, v20, 4, 1
	v_cmp_eq_u32_e64 s1, 0, v6
	ds_swizzle_b32 v4, v2 offset:swizzle(BROADCAST,32,15)
	ds_swizzle_b32 v3, v3 offset:swizzle(BROADCAST,32,15)
	s_waitcnt lgkmcnt(1)
	v_cndmask_b32_e32 v1, 0, v4, vcc_lo
	v_and_b32_e32 v4, 1, v7
	s_waitcnt lgkmcnt(0)
	v_and_b32_e32 v3, 1, v3
	v_and_b32_e32 v1, v5, v1
	v_cmp_eq_u32_e32 vcc_lo, 1, v4
	v_lshlrev_b32_e32 v5, 3, v21
	v_cndmask_b32_e64 v4, v3, 1, vcc_lo
	v_add_nc_u32_e32 v3, v1, v2
	v_cndmask_b32_e64 v4, v4, v7, s1
	s_mov_b32 s1, exec_lo
	v_cmpx_eq_u32_e64 v0, v22
	s_cbranch_execz .LBB1919_33
; %bb.32:
	ds_write_b32 v5, v3
	ds_write_b8 v5, v4 offset:4
.LBB1919_33:
	s_or_b32 exec_lo, exec_lo, s1
	s_mov_b32 s1, exec_lo
	s_waitcnt lgkmcnt(0)
	s_barrier
	buffer_gl0_inv
	v_cmpx_gt_u32_e32 8, v0
	s_cbranch_execz .LBB1919_39
; %bb.34:
	ds_read_b64 v[1:2], v18
	v_and_b32_e32 v6, 7, v20
	s_mov_b32 s2, exec_lo
	s_waitcnt lgkmcnt(0)
	v_and_b32_e32 v7, 0xffffff00, v2
	v_mov_b32_dpp v15, v1 row_shr:1 row_mask:0xf bank_mask:0xf
	v_mov_b32_dpp v16, v2 row_shr:1 row_mask:0xf bank_mask:0xf
	v_mov_b32_e32 v8, v2
	v_cmpx_ne_u32_e32 0, v6
	s_cbranch_execz .LBB1919_36
; %bb.35:
	v_mov_b32_e32 v8, 0
	v_and_b32_e32 v17, 1, v2
	v_and_b32_e32 v16, 1, v16
	v_cmp_eq_u16_sdwa vcc_lo, v2, v8 src0_sel:BYTE_0 src1_sel:DWORD
	v_cndmask_b32_e32 v2, 0, v15, vcc_lo
	v_cmp_eq_u32_e32 vcc_lo, 1, v17
	v_add_nc_u32_e32 v1, v2, v1
	v_cndmask_b32_e64 v15, v16, 1, vcc_lo
	v_or_b32_sdwa v8, v7, v15 dst_sel:DWORD dst_unused:UNUSED_PAD src0_sel:DWORD src1_sel:WORD_0
	v_mov_b32_e32 v2, v15
.LBB1919_36:
	s_or_b32 exec_lo, exec_lo, s2
	v_mov_b32_dpp v15, v1 row_shr:2 row_mask:0xf bank_mask:0xf
	v_mov_b32_dpp v16, v8 row_shr:2 row_mask:0xf bank_mask:0xf
	s_mov_b32 s2, exec_lo
	v_cmpx_lt_u32_e32 1, v6
	s_cbranch_execz .LBB1919_38
; %bb.37:
	v_mov_b32_e32 v8, 0
	v_and_b32_e32 v17, 1, v2
	v_and_b32_e32 v16, 1, v16
	v_cmp_eq_u16_sdwa vcc_lo, v2, v8 src0_sel:BYTE_0 src1_sel:DWORD
	v_cndmask_b32_e32 v2, 0, v15, vcc_lo
	v_cmp_eq_u32_e32 vcc_lo, 1, v17
	v_add_nc_u32_e32 v1, v2, v1
	v_cndmask_b32_e64 v15, v16, 1, vcc_lo
	v_or_b32_sdwa v8, v7, v15 dst_sel:DWORD dst_unused:UNUSED_PAD src0_sel:DWORD src1_sel:WORD_0
	v_mov_b32_e32 v2, v15
.LBB1919_38:
	s_or_b32 exec_lo, exec_lo, s2
	v_mov_b32_dpp v7, v8 row_shr:4 row_mask:0xf bank_mask:0xf
	v_and_b32_e32 v15, 1, v2
	v_mov_b32_e32 v8, 0
	v_and_b32_e32 v7, 1, v7
	v_cmp_eq_u32_e32 vcc_lo, 1, v15
	v_cmp_eq_u16_sdwa s2, v2, v8 src0_sel:BYTE_0 src1_sel:DWORD
	v_cndmask_b32_e64 v7, v7, 1, vcc_lo
	v_cmp_lt_u32_e32 vcc_lo, 3, v6
	v_mov_b32_dpp v6, v1 row_shr:4 row_mask:0xf bank_mask:0xf
	v_cndmask_b32_e32 v2, v2, v7, vcc_lo
	s_and_b32 vcc_lo, vcc_lo, s2
	v_cndmask_b32_e32 v6, 0, v6, vcc_lo
	v_add_nc_u32_e32 v1, v6, v1
	ds_write_b32 v18, v1
	ds_write_b8 v18, v2 offset:4
.LBB1919_39:
	s_or_b32 exec_lo, exec_lo, s1
	v_mov_b32_e32 v25, 0
	v_mov_b32_e32 v24, 0
	s_mov_b32 s2, exec_lo
	v_cmp_gt_u32_e32 vcc_lo, 32, v0
	s_waitcnt lgkmcnt(0)
	s_barrier
	buffer_gl0_inv
	v_cmpx_lt_u32_e32 31, v0
	s_cbranch_execz .LBB1919_41
; %bb.40:
	v_add_nc_u32_e32 v1, -8, v5
	v_and_b32_e32 v2, 1, v4
	ds_read_b32 v24, v1
	v_add_nc_u32_e32 v1, -4, v5
	ds_read_u8 v25, v1
	v_mov_b32_e32 v1, 0
	v_cmp_eq_u16_sdwa s1, v4, v1 src0_sel:BYTE_0 src1_sel:DWORD
	s_waitcnt lgkmcnt(1)
	v_cndmask_b32_e64 v1, 0, v24, s1
	v_cmp_eq_u32_e64 s1, 1, v2
	v_add_nc_u32_e32 v3, v1, v3
	s_waitcnt lgkmcnt(0)
	v_cndmask_b32_e64 v4, v25, 1, s1
.LBB1919_41:
	s_or_b32 exec_lo, exec_lo, s2
	v_sub_co_u32 v1, s1, v20, 1
	v_and_b32_e32 v2, 0xff, v4
	v_cmp_gt_i32_e64 s2, 0, v1
	v_cndmask_b32_e64 v1, v1, v20, s2
	v_lshlrev_b32_e32 v1, 2, v1
	ds_bpermute_b32 v26, v1, v3
	ds_bpermute_b32 v27, v1, v2
	s_and_saveexec_b32 s3, vcc_lo
	s_cbranch_execz .LBB1919_61
; %bb.42:
	v_mov_b32_e32 v4, 0
	ds_read_b64 v[1:2], v4 offset:56
	s_and_saveexec_b32 s2, s1
	s_cbranch_execz .LBB1919_44
; %bb.43:
	s_add_i32 s10, s6, 32
	s_mov_b32 s11, 0
	v_mov_b32_e32 v3, 1
	s_lshl_b64 s[10:11], s[10:11], 4
	s_add_u32 s10, s16, s10
	s_addc_u32 s11, s17, s11
	v_mov_b32_e32 v5, s10
	v_mov_b32_e32 v6, s11
	s_waitcnt lgkmcnt(0)
	;;#ASMSTART
	global_store_dwordx4 v[5:6], v[1:4] off	
s_waitcnt vmcnt(0)
	;;#ASMEND
.LBB1919_44:
	s_or_b32 exec_lo, exec_lo, s2
	v_xad_u32 v15, v20, -1, s6
	s_mov_b32 s10, 0
	v_add_nc_u32_e32 v3, 32, v15
	v_lshlrev_b64 v[5:6], 4, v[3:4]
	v_add_co_u32 v16, vcc_lo, s16, v5
	v_add_co_ci_u32_e64 v17, null, s17, v6, vcc_lo
	;;#ASMSTART
	global_load_dwordx4 v[5:8], v[16:17] off glc dlc	
s_waitcnt vmcnt(0)
	;;#ASMEND
	v_and_b32_e32 v6, 0xff, v6
	v_cmp_eq_u16_sdwa s11, v7, v4 src0_sel:BYTE_0 src1_sel:DWORD
	s_and_saveexec_b32 s2, s11
	s_cbranch_execz .LBB1919_48
; %bb.45:
	v_mov_b32_e32 v3, 0
.LBB1919_46:                            ; =>This Inner Loop Header: Depth=1
	;;#ASMSTART
	global_load_dwordx4 v[5:8], v[16:17] off glc dlc	
s_waitcnt vmcnt(0)
	;;#ASMEND
	v_cmp_ne_u16_sdwa s11, v7, v3 src0_sel:BYTE_0 src1_sel:DWORD
	s_or_b32 s10, s11, s10
	s_andn2_b32 exec_lo, exec_lo, s10
	s_cbranch_execnz .LBB1919_46
; %bb.47:
	s_or_b32 exec_lo, exec_lo, s10
	v_and_b32_e32 v6, 0xff, v6
.LBB1919_48:
	s_or_b32 exec_lo, exec_lo, s2
	v_cmp_ne_u32_e32 vcc_lo, 31, v20
	v_mov_b32_e32 v28, 2
	v_lshlrev_b32_e64 v29, v20, -1
	v_and_b32_e32 v8, 1, v6
	s_mov_b32 s10, 0
	v_add_co_ci_u32_e64 v3, null, 0, v20, vcc_lo
	v_cmp_eq_u16_sdwa s2, v7, v28 src0_sel:BYTE_0 src1_sel:DWORD
	v_cmp_eq_u32_e32 vcc_lo, 1, v8
	s_mov_b32 s11, 1
	v_lshlrev_b32_e32 v17, 2, v3
	v_add_nc_u32_e32 v37, 8, v20
	v_and_or_b32 v4, s2, v29, 0x80000000
	v_cmp_gt_u64_e64 s2, s[10:11], v[5:6]
	v_lshl_or_b32 v38, v20, 2, 64
	ds_bpermute_b32 v3, v17, v6
	ds_bpermute_b32 v16, v17, v5
	v_ffbl_b32_e32 v4, v4
	v_add_nc_u32_e32 v39, 16, v20
	s_waitcnt lgkmcnt(1)
	v_and_b32_e32 v3, 1, v3
	v_cndmask_b32_e64 v3, v3, 1, vcc_lo
	v_cmp_gt_u32_e32 vcc_lo, 30, v20
	v_and_b32_e32 v31, 0xffff, v3
	v_cndmask_b32_e64 v8, 0, 2, vcc_lo
	v_cmp_lt_u32_e32 vcc_lo, v20, v4
	v_add_lshl_u32 v30, v8, v20, 2
	v_cndmask_b32_e32 v8, v6, v31, vcc_lo
	v_cndmask_b32_e32 v3, v6, v3, vcc_lo
	s_and_b32 vcc_lo, vcc_lo, s2
	s_waitcnt lgkmcnt(0)
	v_cndmask_b32_e32 v6, 0, v16, vcc_lo
	ds_bpermute_b32 v31, v30, v8
	v_and_b32_e32 v16, 1, v3
	v_add_nc_u32_e32 v5, v6, v5
	v_cmp_eq_u32_e32 vcc_lo, 1, v16
	v_mov_b32_e32 v16, 0
	ds_bpermute_b32 v6, v30, v5
	v_cmp_eq_u16_sdwa s2, v3, v16 src0_sel:BYTE_0 src1_sel:DWORD
	s_waitcnt lgkmcnt(1)
	v_and_b32_e32 v32, 1, v31
	v_add_nc_u32_e32 v31, 2, v20
	v_cndmask_b32_e64 v33, v32, 1, vcc_lo
	v_cmp_gt_u32_e32 vcc_lo, 28, v20
	v_and_b32_e32 v34, 0xffff, v33
	v_cndmask_b32_e64 v32, 0, 4, vcc_lo
	v_cmp_gt_u32_e32 vcc_lo, v31, v4
	v_add_lshl_u32 v32, v32, v20, 2
	v_cndmask_b32_e32 v8, v34, v8, vcc_lo
	v_cndmask_b32_e32 v35, v33, v3, vcc_lo
	s_waitcnt lgkmcnt(0)
	v_cndmask_b32_e64 v3, 0, v6, s2
	v_add_nc_u32_e32 v33, 4, v20
	ds_bpermute_b32 v6, v32, v8
	v_and_b32_e32 v34, 1, v35
	v_cndmask_b32_e64 v3, v3, 0, vcc_lo
	v_cmp_eq_u16_sdwa s2, v35, v16 src0_sel:BYTE_0 src1_sel:DWORD
	v_cmp_eq_u32_e32 vcc_lo, 1, v34
	v_add_nc_u32_e32 v3, v3, v5
	ds_bpermute_b32 v5, v32, v3
	s_waitcnt lgkmcnt(1)
	v_and_b32_e32 v6, 1, v6
	v_cndmask_b32_e64 v6, v6, 1, vcc_lo
	v_cmp_gt_u32_e32 vcc_lo, 24, v20
	v_and_b32_e32 v36, 0xffff, v6
	v_cndmask_b32_e64 v34, 0, 8, vcc_lo
	v_cmp_gt_u32_e32 vcc_lo, v33, v4
	s_waitcnt lgkmcnt(0)
	v_cndmask_b32_e64 v5, 0, v5, s2
	v_add_lshl_u32 v34, v34, v20, 2
	v_cndmask_b32_e32 v8, v36, v8, vcc_lo
	v_cndmask_b32_e32 v6, v6, v35, vcc_lo
	v_cndmask_b32_e64 v5, v5, 0, vcc_lo
	ds_bpermute_b32 v35, v34, v8
	v_and_b32_e32 v36, 1, v6
	v_add_nc_u32_e32 v3, v5, v3
	v_cmp_eq_u32_e32 vcc_lo, 1, v36
	ds_bpermute_b32 v5, v34, v3
	s_waitcnt lgkmcnt(1)
	v_and_b32_e32 v35, 1, v35
	v_cndmask_b32_e64 v35, v35, 1, vcc_lo
	v_cmp_eq_u16_sdwa vcc_lo, v6, v16 src0_sel:BYTE_0 src1_sel:DWORD
	v_and_b32_e32 v36, 0xffff, v35
	s_waitcnt lgkmcnt(0)
	v_cndmask_b32_e32 v5, 0, v5, vcc_lo
	v_cmp_gt_u32_e32 vcc_lo, v37, v4
	v_cndmask_b32_e64 v5, v5, 0, vcc_lo
	v_cndmask_b32_e32 v8, v36, v8, vcc_lo
	v_cndmask_b32_e32 v6, v35, v6, vcc_lo
	v_add_nc_u32_e32 v3, v5, v3
	ds_bpermute_b32 v5, v38, v8
	v_and_b32_e32 v35, 1, v6
	v_cmp_eq_u16_sdwa vcc_lo, v6, v16 src0_sel:BYTE_0 src1_sel:DWORD
	ds_bpermute_b32 v8, v38, v3
	s_waitcnt lgkmcnt(1)
	v_and_b32_e32 v5, 1, v5
	s_waitcnt lgkmcnt(0)
	v_cndmask_b32_e32 v8, 0, v8, vcc_lo
	v_cmp_eq_u32_e32 vcc_lo, 1, v35
	v_cndmask_b32_e64 v5, v5, 1, vcc_lo
	v_cmp_gt_u32_e32 vcc_lo, v39, v4
	v_cndmask_b32_e32 v4, v5, v6, vcc_lo
	v_cndmask_b32_e64 v5, v8, 0, vcc_lo
	v_add_nc_u32_e32 v3, v5, v3
	s_branch .LBB1919_52
.LBB1919_49:                            ;   in Loop: Header=BB1919_52 Depth=1
	s_or_b32 exec_lo, exec_lo, s13
	v_and_b32_e32 v6, 0xff, v6
.LBB1919_50:                            ;   in Loop: Header=BB1919_52 Depth=1
	s_or_b32 exec_lo, exec_lo, s2
	ds_bpermute_b32 v3, v17, v6
	v_cmp_eq_u16_sdwa s2, v7, v28 src0_sel:BYTE_0 src1_sel:DWORD
	v_and_b32_e32 v4, 1, v6
	v_subrev_nc_u32_e32 v15, 32, v15
	v_and_or_b32 v8, s2, v29, 0x80000000
	v_cmp_eq_u32_e32 vcc_lo, 1, v4
	v_cmp_gt_u64_e64 s2, s[10:11], v[5:6]
	v_ffbl_b32_e32 v4, v8
	ds_bpermute_b32 v8, v17, v5
	s_waitcnt lgkmcnt(1)
	v_and_b32_e32 v3, 1, v3
	v_cndmask_b32_e64 v3, v3, 1, vcc_lo
	v_cmp_lt_u32_e32 vcc_lo, v20, v4
	v_and_b32_e32 v40, 0xffff, v3
	v_cndmask_b32_e32 v3, v6, v3, vcc_lo
	v_cndmask_b32_e32 v40, v6, v40, vcc_lo
	s_and_b32 vcc_lo, vcc_lo, s2
	v_cmp_eq_u16_sdwa s2, v3, v16 src0_sel:BYTE_0 src1_sel:DWORD
	s_waitcnt lgkmcnt(0)
	v_cndmask_b32_e32 v6, 0, v8, vcc_lo
	v_and_b32_e32 v8, 1, v3
	ds_bpermute_b32 v41, v30, v40
	v_add_nc_u32_e32 v5, v6, v5
	v_cmp_eq_u32_e32 vcc_lo, 1, v8
	ds_bpermute_b32 v6, v30, v5
	s_waitcnt lgkmcnt(1)
	v_and_b32_e32 v41, 1, v41
	v_cndmask_b32_e64 v8, v41, 1, vcc_lo
	v_cmp_gt_u32_e32 vcc_lo, v31, v4
	v_and_b32_e32 v41, 0xffff, v8
	v_cndmask_b32_e32 v8, v8, v3, vcc_lo
	s_waitcnt lgkmcnt(0)
	v_cndmask_b32_e64 v3, 0, v6, s2
	v_cndmask_b32_e32 v40, v41, v40, vcc_lo
	v_and_b32_e32 v41, 1, v8
	v_cndmask_b32_e64 v3, v3, 0, vcc_lo
	v_cmp_eq_u16_sdwa s2, v8, v16 src0_sel:BYTE_0 src1_sel:DWORD
	ds_bpermute_b32 v6, v32, v40
	v_cmp_eq_u32_e32 vcc_lo, 1, v41
	v_add_nc_u32_e32 v3, v3, v5
	ds_bpermute_b32 v5, v32, v3
	s_waitcnt lgkmcnt(1)
	v_and_b32_e32 v6, 1, v6
	v_cndmask_b32_e64 v6, v6, 1, vcc_lo
	v_cmp_gt_u32_e32 vcc_lo, v33, v4
	s_waitcnt lgkmcnt(0)
	v_cndmask_b32_e64 v5, 0, v5, s2
	s_mov_b32 s2, 0
	v_and_b32_e32 v41, 0xffff, v6
	v_cndmask_b32_e32 v6, v6, v8, vcc_lo
	v_cndmask_b32_e64 v5, v5, 0, vcc_lo
	v_cndmask_b32_e32 v8, v41, v40, vcc_lo
	v_and_b32_e32 v41, 1, v6
	v_add_nc_u32_e32 v3, v5, v3
	ds_bpermute_b32 v40, v34, v8
	v_cmp_eq_u32_e32 vcc_lo, 1, v41
	ds_bpermute_b32 v5, v34, v3
	s_waitcnt lgkmcnt(1)
	v_and_b32_e32 v40, 1, v40
	v_cndmask_b32_e64 v40, v40, 1, vcc_lo
	v_cmp_eq_u16_sdwa vcc_lo, v6, v16 src0_sel:BYTE_0 src1_sel:DWORD
	v_and_b32_e32 v41, 0xffff, v40
	s_waitcnt lgkmcnt(0)
	v_cndmask_b32_e32 v5, 0, v5, vcc_lo
	v_cmp_gt_u32_e32 vcc_lo, v37, v4
	v_cndmask_b32_e64 v5, v5, 0, vcc_lo
	v_cndmask_b32_e32 v8, v41, v8, vcc_lo
	v_cndmask_b32_e32 v6, v40, v6, vcc_lo
	v_add_nc_u32_e32 v3, v5, v3
	ds_bpermute_b32 v5, v38, v8
	v_and_b32_e32 v40, 1, v6
	ds_bpermute_b32 v8, v38, v3
	v_cmp_eq_u32_e32 vcc_lo, 1, v40
	s_waitcnt lgkmcnt(1)
	v_cndmask_b32_e64 v5, v5, 1, vcc_lo
	v_cmp_eq_u16_sdwa vcc_lo, v6, v16 src0_sel:BYTE_0 src1_sel:DWORD
	s_waitcnt lgkmcnt(0)
	v_cndmask_b32_e32 v8, 0, v8, vcc_lo
	v_cmp_gt_u32_e32 vcc_lo, v39, v4
	v_cndmask_b32_e32 v4, v5, v6, vcc_lo
	v_cndmask_b32_e64 v5, v8, 0, vcc_lo
	v_cmp_eq_u16_sdwa vcc_lo, v35, v16 src0_sel:BYTE_0 src1_sel:DWORD
	v_and_b32_e32 v4, 1, v4
	v_add_nc_u32_e32 v3, v5, v3
	v_and_b32_e32 v5, 1, v35
	v_cndmask_b32_e32 v3, 0, v3, vcc_lo
	v_cmp_eq_u32_e32 vcc_lo, 1, v5
	v_add_nc_u32_e32 v3, v3, v36
	v_cndmask_b32_e64 v4, v4, 1, vcc_lo
.LBB1919_51:                            ;   in Loop: Header=BB1919_52 Depth=1
	s_and_b32 vcc_lo, exec_lo, s2
	s_cbranch_vccnz .LBB1919_57
.LBB1919_52:                            ; =>This Loop Header: Depth=1
                                        ;     Child Loop BB1919_55 Depth 2
	v_cmp_ne_u16_sdwa s2, v7, v28 src0_sel:BYTE_0 src1_sel:DWORD
	v_mov_b32_e32 v35, v4
	v_mov_b32_e32 v36, v3
                                        ; implicit-def: $vgpr4
                                        ; implicit-def: $vgpr3
                                        ; implicit-def: $vgpr7
	s_cmp_lg_u32 s2, exec_lo
	s_mov_b32 s2, -1
	s_cbranch_scc1 .LBB1919_51
; %bb.53:                               ;   in Loop: Header=BB1919_52 Depth=1
	v_lshlrev_b64 v[3:4], 4, v[15:16]
	v_add_co_u32 v3, vcc_lo, s16, v3
	v_add_co_ci_u32_e64 v4, null, s17, v4, vcc_lo
	;;#ASMSTART
	global_load_dwordx4 v[5:8], v[3:4] off glc dlc	
s_waitcnt vmcnt(0)
	;;#ASMEND
	v_and_b32_e32 v6, 0xff, v6
	v_cmp_eq_u16_sdwa s13, v7, v16 src0_sel:BYTE_0 src1_sel:DWORD
	s_and_saveexec_b32 s2, s13
	s_cbranch_execz .LBB1919_50
; %bb.54:                               ;   in Loop: Header=BB1919_52 Depth=1
	s_mov_b32 s13, 0
.LBB1919_55:                            ;   Parent Loop BB1919_52 Depth=1
                                        ; =>  This Inner Loop Header: Depth=2
	;;#ASMSTART
	global_load_dwordx4 v[5:8], v[3:4] off glc dlc	
s_waitcnt vmcnt(0)
	;;#ASMEND
	v_cmp_ne_u16_sdwa s19, v7, v16 src0_sel:BYTE_0 src1_sel:DWORD
	s_or_b32 s13, s19, s13
	s_andn2_b32 exec_lo, exec_lo, s13
	s_cbranch_execnz .LBB1919_55
	s_branch .LBB1919_49
.LBB1919_56:
                                        ; implicit-def: $vgpr6
                                        ; implicit-def: $vgpr5
                                        ; implicit-def: $vgpr7
	s_cbranch_execnz .LBB1919_62
	s_branch .LBB1919_77
.LBB1919_57:
	s_and_saveexec_b32 s2, s1
	s_cbranch_execz .LBB1919_59
; %bb.58:
	v_mov_b32_e32 v4, 0
	v_and_b32_e32 v3, 1, v2
	s_mov_b32 s11, 0
	s_add_i32 s10, s6, 32
	v_and_b32_e32 v5, 1, v35
	v_cmp_eq_u32_sdwa vcc_lo, v2, v4 src0_sel:BYTE_0 src1_sel:DWORD
	s_lshl_b64 s[10:11], s[10:11], 4
	s_add_u32 s10, s16, s10
	s_addc_u32 s11, s17, s11
	v_cndmask_b32_e32 v2, 0, v36, vcc_lo
	v_cmp_eq_u32_e32 vcc_lo, 1, v3
	v_mov_b32_e32 v3, 2
	v_add_nc_u32_e32 v1, v2, v1
	v_cndmask_b32_e64 v2, v5, 1, vcc_lo
	v_mov_b32_e32 v5, s10
	v_mov_b32_e32 v6, s11
	;;#ASMSTART
	global_store_dwordx4 v[5:6], v[1:4] off	
s_waitcnt vmcnt(0)
	;;#ASMEND
.LBB1919_59:
	s_or_b32 exec_lo, exec_lo, s2
	v_cmp_eq_u32_e32 vcc_lo, 0, v0
	s_and_b32 exec_lo, exec_lo, vcc_lo
	s_cbranch_execz .LBB1919_61
; %bb.60:
	v_mov_b32_e32 v1, 0
	ds_write_b32 v1, v36 offset:56
	ds_write_b8 v1, v35 offset:60
.LBB1919_61:
	s_or_b32 exec_lo, exec_lo, s3
	v_mov_b32_e32 v1, 0
	s_waitcnt lgkmcnt(0)
	s_barrier
	buffer_gl0_inv
	v_cndmask_b32_e64 v2, v27, v25, s1
	ds_read_b32 v3, v1 offset:56
	v_cndmask_b32_e64 v4, v26, v24, s1
	v_cmp_eq_u16_sdwa vcc_lo, v2, v1 src0_sel:BYTE_0 src1_sel:DWORD
	s_waitcnt lgkmcnt(0)
	v_cndmask_b32_e32 v2, 0, v3, vcc_lo
	v_cmp_eq_u32_e32 vcc_lo, 0, v0
	v_add_nc_u32_e32 v4, v2, v4
	v_and_b32_e32 v2, 0xff, v10
	v_cndmask_b32_e32 v6, v4, v3, vcc_lo
	v_cmp_eq_u64_e32 vcc_lo, 0, v[1:2]
	v_cndmask_b32_e32 v1, 0, v6, vcc_lo
	v_add_nc_u32_e32 v5, v1, v9
	v_cndmask_b32_e64 v1, 0, v5, s0
	v_add_nc_u32_e32 v7, v1, v11
	s_branch .LBB1919_77
.LBB1919_62:
	s_cmp_eq_u64 s[24:25], 0
	v_mov_b32_e32 v3, s26
	s_cselect_b32 s0, -1, 0
	s_cmp_eq_u64 s[22:23], 0
	s_cselect_b32 s1, -1, 0
	s_or_b32 s0, s0, s1
	s_and_b32 vcc_lo, exec_lo, s0
	s_cbranch_vccnz .LBB1919_64
; %bb.63:
	v_mov_b32_e32 v1, 0
	global_load_dword v3, v1, s[22:23]
.LBB1919_64:
	v_and_b32_e32 v2, 0xff, v23
	v_mov_b32_e32 v1, 0
	s_mov_b32 s2, 0
	s_mov_b32 s3, 1
	v_cmp_gt_u64_e32 vcc_lo, s[2:3], v[11:12]
	v_cmp_eq_u64_e64 s0, 0, v[1:2]
	v_cndmask_b32_e32 v4, 0, v9, vcc_lo
	v_cndmask_b32_e64 v2, 1, v10, s0
	v_cmp_gt_u64_e64 s0, s[2:3], v[13:14]
	v_add_nc_u32_e32 v4, v4, v11
	v_and_b32_e32 v5, 0xff, v2
	v_and_b32_e32 v7, 1, v2
	v_cndmask_b32_e64 v4, 0, v4, s0
	v_mov_b32_dpp v6, v5 row_shr:1 row_mask:0xf bank_mask:0xf
	v_cmp_eq_u32_e64 s0, 1, v7
	v_and_b32_e32 v7, 15, v20
	v_add_nc_u32_e32 v4, v4, v13
	v_and_b32_e32 v6, 1, v6
	v_mov_b32_dpp v8, v4 row_shr:1 row_mask:0xf bank_mask:0xf
	v_cndmask_b32_e64 v6, v6, 1, s0
	v_cmp_eq_u16_e64 s0, 0, v5
	v_and_b32_e32 v12, 0xffff, v6
	v_cndmask_b32_e64 v8, 0, v8, s0
	v_cmp_eq_u32_e64 s0, 0, v7
	v_cndmask_b32_e64 v5, v12, v5, s0
	v_cndmask_b32_e64 v2, v6, v2, s0
	;; [unrolled: 1-line block ×3, first 2 shown]
	v_mov_b32_dpp v6, v5 row_shr:2 row_mask:0xf bank_mask:0xf
	v_and_b32_e32 v12, 1, v2
	v_add_nc_u32_e32 v4, v8, v4
	v_cmp_eq_u16_sdwa s2, v2, v1 src0_sel:BYTE_0 src1_sel:DWORD
	v_and_b32_e32 v6, 1, v6
	v_cmp_eq_u32_e64 s0, 1, v12
	v_cndmask_b32_e64 v6, v6, 1, s0
	v_cmp_lt_u32_e64 s0, 1, v7
	v_and_b32_e32 v12, 0xffff, v6
	v_cndmask_b32_e64 v6, v2, v6, s0
	v_mov_b32_dpp v2, v4 row_shr:2 row_mask:0xf bank_mask:0xf
	v_cndmask_b32_e64 v5, v5, v12, s0
	v_and_b32_e32 v8, 1, v6
	s_and_b32 s0, s0, s2
	v_cndmask_b32_e64 v2, 0, v2, s0
	v_mov_b32_dpp v12, v5 row_shr:4 row_mask:0xf bank_mask:0xf
	v_cmp_eq_u32_e64 s1, 1, v8
	v_cmp_lt_u32_e64 s0, 3, v7
	v_add_nc_u32_e32 v2, v2, v4
	v_and_b32_e32 v12, 1, v12
	v_cndmask_b32_e64 v8, v12, 1, s1
	v_cmp_eq_u16_sdwa s1, v6, v1 src0_sel:BYTE_0 src1_sel:DWORD
	v_and_b32_e32 v12, 0xffff, v8
	v_cndmask_b32_e64 v4, v6, v8, s0
	v_mov_b32_dpp v6, v2 row_shr:4 row_mask:0xf bank_mask:0xf
	v_cndmask_b32_e64 v5, v5, v12, s0
	s_and_b32 s0, s0, s1
	v_and_b32_e32 v12, 1, v4
	v_cndmask_b32_e64 v6, 0, v6, s0
	v_cmp_eq_u16_sdwa s1, v4, v1 src0_sel:BYTE_0 src1_sel:DWORD
	v_mov_b32_dpp v8, v5 row_shr:8 row_mask:0xf bank_mask:0xf
	v_cmp_eq_u32_e64 s0, 1, v12
	v_add_nc_u32_e32 v2, v6, v2
	v_and_b32_e32 v8, 1, v8
	v_cndmask_b32_e64 v6, v8, 1, s0
	v_cmp_lt_u32_e64 s0, 7, v7
	v_mov_b32_dpp v7, v2 row_shr:8 row_mask:0xf bank_mask:0xf
	s_and_b32 s1, s0, s1
	v_cndmask_b32_e64 v8, v4, v6, s0
	v_cndmask_b32_e64 v4, 0, v7, s1
	v_and_b32_e32 v6, 0xffff, v6
	v_and_b32_e32 v7, 16, v20
	v_add_nc_u32_e32 v2, v4, v2
	v_cndmask_b32_e64 v4, v5, v6, s0
	v_cmp_eq_u16_sdwa s0, v8, v1 src0_sel:BYTE_0 src1_sel:DWORD
	v_bfe_i32 v6, v20, 4, 1
	v_cmp_eq_u32_e64 s1, 0, v7
	ds_swizzle_b32 v5, v2 offset:swizzle(BROADCAST,32,15)
	ds_swizzle_b32 v4, v4 offset:swizzle(BROADCAST,32,15)
	s_waitcnt lgkmcnt(1)
	v_cndmask_b32_e64 v1, 0, v5, s0
	v_and_b32_e32 v5, 1, v8
	s_waitcnt lgkmcnt(0)
	v_and_b32_e32 v4, 1, v4
	v_and_b32_e32 v1, v6, v1
	v_cmp_eq_u32_e64 s0, 1, v5
	v_lshlrev_b32_e32 v6, 3, v21
	v_cndmask_b32_e64 v5, v4, 1, s0
	v_add_nc_u32_e32 v4, v1, v2
	v_cndmask_b32_e64 v5, v5, v8, s1
	s_mov_b32 s1, exec_lo
	v_cmpx_eq_u32_e64 v0, v22
	s_cbranch_execz .LBB1919_66
; %bb.65:
	ds_write_b32 v6, v4
	ds_write_b8 v6, v5 offset:4
.LBB1919_66:
	s_or_b32 exec_lo, exec_lo, s1
	s_mov_b32 s1, exec_lo
	s_waitcnt vmcnt(0) lgkmcnt(0)
	s_barrier
	buffer_gl0_inv
	v_cmpx_gt_u32_e32 8, v0
	s_cbranch_execz .LBB1919_72
; %bb.67:
	ds_read_b64 v[1:2], v18
	v_and_b32_e32 v7, 7, v20
	s_mov_b32 s2, exec_lo
	s_waitcnt lgkmcnt(0)
	v_and_b32_e32 v8, 0xffffff00, v2
	v_mov_b32_dpp v13, v1 row_shr:1 row_mask:0xf bank_mask:0xf
	v_mov_b32_dpp v14, v2 row_shr:1 row_mask:0xf bank_mask:0xf
	v_mov_b32_e32 v12, v2
	v_cmpx_ne_u32_e32 0, v7
	s_cbranch_execz .LBB1919_69
; %bb.68:
	v_mov_b32_e32 v12, 0
	v_and_b32_e32 v15, 1, v2
	v_and_b32_e32 v14, 1, v14
	v_cmp_eq_u16_sdwa s0, v2, v12 src0_sel:BYTE_0 src1_sel:DWORD
	v_cndmask_b32_e64 v2, 0, v13, s0
	v_cmp_eq_u32_e64 s0, 1, v15
	v_add_nc_u32_e32 v1, v2, v1
	v_cndmask_b32_e64 v13, v14, 1, s0
	v_or_b32_sdwa v12, v8, v13 dst_sel:DWORD dst_unused:UNUSED_PAD src0_sel:DWORD src1_sel:WORD_0
	v_mov_b32_e32 v2, v13
.LBB1919_69:
	s_or_b32 exec_lo, exec_lo, s2
	v_mov_b32_dpp v13, v1 row_shr:2 row_mask:0xf bank_mask:0xf
	v_mov_b32_dpp v14, v12 row_shr:2 row_mask:0xf bank_mask:0xf
	s_mov_b32 s2, exec_lo
	v_cmpx_lt_u32_e32 1, v7
	s_cbranch_execz .LBB1919_71
; %bb.70:
	v_mov_b32_e32 v12, 0
	v_and_b32_e32 v15, 1, v2
	v_and_b32_e32 v14, 1, v14
	v_cmp_eq_u16_sdwa s0, v2, v12 src0_sel:BYTE_0 src1_sel:DWORD
	v_cndmask_b32_e64 v2, 0, v13, s0
	v_cmp_eq_u32_e64 s0, 1, v15
	v_add_nc_u32_e32 v1, v2, v1
	v_cndmask_b32_e64 v13, v14, 1, s0
	v_or_b32_sdwa v12, v8, v13 dst_sel:DWORD dst_unused:UNUSED_PAD src0_sel:DWORD src1_sel:WORD_0
	v_mov_b32_e32 v2, v13
.LBB1919_71:
	s_or_b32 exec_lo, exec_lo, s2
	v_mov_b32_dpp v8, v12 row_shr:4 row_mask:0xf bank_mask:0xf
	v_and_b32_e32 v13, 1, v2
	v_mov_b32_e32 v12, 0
	v_and_b32_e32 v8, 1, v8
	v_cmp_eq_u32_e64 s0, 1, v13
	v_cmp_eq_u16_sdwa s2, v2, v12 src0_sel:BYTE_0 src1_sel:DWORD
	v_cndmask_b32_e64 v8, v8, 1, s0
	v_cmp_lt_u32_e64 s0, 3, v7
	v_mov_b32_dpp v7, v1 row_shr:4 row_mask:0xf bank_mask:0xf
	v_cndmask_b32_e64 v2, v2, v8, s0
	s_and_b32 s0, s0, s2
	v_cndmask_b32_e64 v7, 0, v7, s0
	v_add_nc_u32_e32 v1, v7, v1
	ds_write_b32 v18, v1
	ds_write_b8 v18, v2 offset:4
.LBB1919_72:
	s_or_b32 exec_lo, exec_lo, s1
	v_mov_b32_e32 v2, v3
	s_mov_b32 s1, exec_lo
	s_waitcnt lgkmcnt(0)
	s_barrier
	buffer_gl0_inv
	v_cmpx_lt_u32_e32 31, v0
	s_cbranch_execz .LBB1919_74
; %bb.73:
	v_add_nc_u32_e32 v1, -4, v6
	v_add_nc_u32_e32 v2, -8, v6
	ds_read_u8 v1, v1
	ds_read_b32 v2, v2
	s_waitcnt lgkmcnt(1)
	v_cmp_eq_u16_e64 s0, 0, v1
	v_cndmask_b32_e64 v1, 0, v3, s0
	s_waitcnt lgkmcnt(0)
	v_add_nc_u32_e32 v2, v1, v2
.LBB1919_74:
	s_or_b32 exec_lo, exec_lo, s1
	v_mov_b32_e32 v1, 0
	v_sub_co_u32 v6, s0, v20, 1
	v_cmp_eq_u16_sdwa s1, v5, v1 src0_sel:BYTE_0 src1_sel:DWORD
	v_cndmask_b32_e64 v5, 0, v2, s1
	v_cmp_gt_i32_e64 s1, 0, v6
	v_add_nc_u32_e32 v4, v5, v4
	v_cndmask_b32_e64 v6, v6, v20, s1
	v_lshlrev_b32_e32 v5, 2, v6
	ds_bpermute_b32 v4, v5, v4
	s_waitcnt lgkmcnt(0)
	v_cndmask_b32_e64 v6, v4, v2, s0
	v_and_b32_e32 v2, 0xff, v10
	v_cmp_eq_u32_e64 s0, 0, v0
	v_cmp_eq_u64_e64 s1, 0, v[1:2]
	v_cndmask_b32_e64 v4, v6, v3, s0
	v_cndmask_b32_e64 v2, 0, v4, s1
	v_add_nc_u32_e32 v5, v2, v9
	v_cndmask_b32_e32 v2, 0, v5, vcc_lo
	s_and_saveexec_b32 s1, s0
	s_cbranch_execz .LBB1919_76
; %bb.75:
	ds_read_u8 v4, v1 offset:60
	ds_read_b32 v6, v1 offset:56
	v_mov_b32_e32 v9, v1
	s_add_u32 s2, s16, 0x200
	s_addc_u32 s3, s17, 0
	v_mov_b32_e32 v10, v1
	v_mov_b32_e32 v13, s3
	;; [unrolled: 1-line block ×3, first 2 shown]
	s_waitcnt lgkmcnt(1)
	v_and_b32_e32 v8, 0xffff, v4
	v_cmp_eq_u64_e32 vcc_lo, 0, v[8:9]
	v_mov_b32_e32 v9, 2
	v_cndmask_b32_e32 v4, 0, v3, vcc_lo
	s_waitcnt lgkmcnt(0)
	v_add_nc_u32_e32 v7, v4, v6
	v_mov_b32_e32 v6, v3
	;;#ASMSTART
	global_store_dwordx4 v[12:13], v[7:10] off	
s_waitcnt vmcnt(0)
	;;#ASMEND
.LBB1919_76:
	s_or_b32 exec_lo, exec_lo, s1
	v_add_nc_u32_e32 v7, v2, v11
.LBB1919_77:
	s_add_u32 s0, s14, s4
	s_addc_u32 s1, s15, s5
	s_add_u32 s2, s0, s8
	s_addc_u32 s3, s1, s9
	s_and_b32 vcc_lo, exec_lo, s12
	s_cbranch_vccz .LBB1919_83
; %bb.78:
	v_mul_u32_u24_e32 v1, 3, v0
	s_add_i32 s7, s7, s18
	s_barrier
	buffer_gl0_inv
	v_add_nc_u32_e32 v2, 1, v1
	v_add_nc_u32_e32 v3, 2, v1
	v_cmp_gt_u32_e32 vcc_lo, s7, v1
	v_lshlrev_b32_e32 v8, 2, v1
	v_cmp_gt_u32_e64 s0, s7, v2
	v_cmp_gt_u32_e64 s1, s7, v3
	v_cndmask_b32_e32 v2, 0, v6, vcc_lo
	v_sub_nc_u32_e32 v4, v8, v18
	s_and_b32 vcc_lo, vcc_lo, s0
	v_cndmask_b32_e32 v1, 0, v5, vcc_lo
	s_and_b32 vcc_lo, vcc_lo, s1
	v_cndmask_b32_e32 v3, 0, v7, vcc_lo
	ds_write2_b32 v8, v2, v1 offset1:1
	ds_write_b32 v8, v3 offset:8
	s_waitcnt lgkmcnt(0)
	s_barrier
	buffer_gl0_inv
	ds_read2st64_b32 v[1:2], v4 offset0:4 offset1:8
	v_add_co_u32 v3, s0, s2, v19
	v_add_co_ci_u32_e64 v4, null, s3, 0, s0
	s_mov_b32 s0, exec_lo
	v_cmpx_gt_u32_e64 s7, v0
	s_cbranch_execz .LBB1919_80
; %bb.79:
	v_sub_nc_u32_e32 v9, 0, v18
	v_add_nc_u32_e32 v8, v8, v9
	ds_read_b32 v8, v8
	s_waitcnt lgkmcnt(0)
	flat_store_dword v[3:4], v8
.LBB1919_80:
	s_or_b32 exec_lo, exec_lo, s0
	v_or_b32_e32 v8, 0x100, v0
	s_mov_b32 s0, exec_lo
	v_cmpx_gt_u32_e64 s7, v8
	s_cbranch_execz .LBB1919_82
; %bb.81:
	s_waitcnt lgkmcnt(0)
	flat_store_dword v[3:4], v1 offset:1024
.LBB1919_82:
	s_or_b32 exec_lo, exec_lo, s0
	s_waitcnt lgkmcnt(0)
	v_or_b32_e32 v1, 0x200, v0
	v_cmp_gt_u32_e64 s0, s7, v1
	s_branch .LBB1919_85
.LBB1919_83:
	s_mov_b32 s0, 0
                                        ; implicit-def: $vgpr2
	s_cbranch_execz .LBB1919_85
; %bb.84:
	v_mul_u32_u24_e32 v1, 12, v0
	s_waitcnt_vscnt null, 0x0
	s_barrier
	buffer_gl0_inv
	s_or_b32 s0, s0, exec_lo
	v_sub_nc_u32_e32 v2, v1, v18
	ds_write2_b32 v1, v6, v5 offset1:1
	ds_write_b32 v1, v7 offset:8
	s_waitcnt lgkmcnt(0)
	s_barrier
	buffer_gl0_inv
	ds_read2st64_b32 v[3:4], v2 offset1:4
	ds_read_b32 v2, v2 offset:2048
	v_lshlrev_b32_e32 v1, 2, v0
	v_add_co_u32 v5, s1, s2, v1
	v_add_co_ci_u32_e64 v6, null, s3, 0, s1
	s_waitcnt lgkmcnt(1)
	flat_store_dword v[5:6], v3
	flat_store_dword v[5:6], v4 offset:1024
.LBB1919_85:
	s_and_saveexec_b32 s1, s0
	s_cbranch_execnz .LBB1919_87
; %bb.86:
	s_endpgm
.LBB1919_87:
	v_lshlrev_b32_e32 v0, 2, v0
	v_add_co_u32 v0, s0, s2, v0
	v_add_co_ci_u32_e64 v1, null, s3, 0, s0
	v_add_co_u32 v0, vcc_lo, 0x800, v0
	v_add_co_ci_u32_e64 v1, null, 0, v1, vcc_lo
	s_waitcnt lgkmcnt(2)
	flat_store_dword v[0:1], v2
	s_endpgm
	.section	.rodata,"a",@progbits
	.p2align	6, 0x0
	.amdhsa_kernel _ZN7rocprim17ROCPRIM_400000_NS6detail17trampoline_kernelINS0_14default_configENS1_27scan_by_key_config_selectorIj11FixedVectorIiLj1EEEEZZNS1_16scan_by_key_implILNS1_25lookback_scan_determinismE0ELb1ES3_N6thrust23THRUST_200600_302600_NS6detail15normal_iteratorINSB_10device_ptrIjEEEENSD_INSE_IS6_EEEESI_S6_NSB_4plusIvEENSB_8equal_toIvEES6_EE10hipError_tPvRmT2_T3_T4_T5_mT6_T7_P12ihipStream_tbENKUlT_T0_E_clISt17integral_constantIbLb0EES13_EEDaSY_SZ_EUlSY_E_NS1_11comp_targetILNS1_3genE8ELNS1_11target_archE1030ELNS1_3gpuE2ELNS1_3repE0EEENS1_30default_config_static_selectorELNS0_4arch9wavefront6targetE0EEEvT1_
		.amdhsa_group_segment_fixed_size 5120
		.amdhsa_private_segment_fixed_size 0
		.amdhsa_kernarg_size 112
		.amdhsa_user_sgpr_count 6
		.amdhsa_user_sgpr_private_segment_buffer 1
		.amdhsa_user_sgpr_dispatch_ptr 0
		.amdhsa_user_sgpr_queue_ptr 0
		.amdhsa_user_sgpr_kernarg_segment_ptr 1
		.amdhsa_user_sgpr_dispatch_id 0
		.amdhsa_user_sgpr_flat_scratch_init 0
		.amdhsa_user_sgpr_private_segment_size 0
		.amdhsa_wavefront_size32 1
		.amdhsa_uses_dynamic_stack 0
		.amdhsa_system_sgpr_private_segment_wavefront_offset 0
		.amdhsa_system_sgpr_workgroup_id_x 1
		.amdhsa_system_sgpr_workgroup_id_y 0
		.amdhsa_system_sgpr_workgroup_id_z 0
		.amdhsa_system_sgpr_workgroup_info 0
		.amdhsa_system_vgpr_workitem_id 0
		.amdhsa_next_free_vgpr 42
		.amdhsa_next_free_sgpr 30
		.amdhsa_reserve_vcc 1
		.amdhsa_reserve_flat_scratch 1
		.amdhsa_float_round_mode_32 0
		.amdhsa_float_round_mode_16_64 0
		.amdhsa_float_denorm_mode_32 3
		.amdhsa_float_denorm_mode_16_64 3
		.amdhsa_dx10_clamp 1
		.amdhsa_ieee_mode 1
		.amdhsa_fp16_overflow 0
		.amdhsa_workgroup_processor_mode 1
		.amdhsa_memory_ordered 1
		.amdhsa_forward_progress 1
		.amdhsa_shared_vgpr_count 0
		.amdhsa_exception_fp_ieee_invalid_op 0
		.amdhsa_exception_fp_denorm_src 0
		.amdhsa_exception_fp_ieee_div_zero 0
		.amdhsa_exception_fp_ieee_overflow 0
		.amdhsa_exception_fp_ieee_underflow 0
		.amdhsa_exception_fp_ieee_inexact 0
		.amdhsa_exception_int_div_zero 0
	.end_amdhsa_kernel
	.section	.text._ZN7rocprim17ROCPRIM_400000_NS6detail17trampoline_kernelINS0_14default_configENS1_27scan_by_key_config_selectorIj11FixedVectorIiLj1EEEEZZNS1_16scan_by_key_implILNS1_25lookback_scan_determinismE0ELb1ES3_N6thrust23THRUST_200600_302600_NS6detail15normal_iteratorINSB_10device_ptrIjEEEENSD_INSE_IS6_EEEESI_S6_NSB_4plusIvEENSB_8equal_toIvEES6_EE10hipError_tPvRmT2_T3_T4_T5_mT6_T7_P12ihipStream_tbENKUlT_T0_E_clISt17integral_constantIbLb0EES13_EEDaSY_SZ_EUlSY_E_NS1_11comp_targetILNS1_3genE8ELNS1_11target_archE1030ELNS1_3gpuE2ELNS1_3repE0EEENS1_30default_config_static_selectorELNS0_4arch9wavefront6targetE0EEEvT1_,"axG",@progbits,_ZN7rocprim17ROCPRIM_400000_NS6detail17trampoline_kernelINS0_14default_configENS1_27scan_by_key_config_selectorIj11FixedVectorIiLj1EEEEZZNS1_16scan_by_key_implILNS1_25lookback_scan_determinismE0ELb1ES3_N6thrust23THRUST_200600_302600_NS6detail15normal_iteratorINSB_10device_ptrIjEEEENSD_INSE_IS6_EEEESI_S6_NSB_4plusIvEENSB_8equal_toIvEES6_EE10hipError_tPvRmT2_T3_T4_T5_mT6_T7_P12ihipStream_tbENKUlT_T0_E_clISt17integral_constantIbLb0EES13_EEDaSY_SZ_EUlSY_E_NS1_11comp_targetILNS1_3genE8ELNS1_11target_archE1030ELNS1_3gpuE2ELNS1_3repE0EEENS1_30default_config_static_selectorELNS0_4arch9wavefront6targetE0EEEvT1_,comdat
.Lfunc_end1919:
	.size	_ZN7rocprim17ROCPRIM_400000_NS6detail17trampoline_kernelINS0_14default_configENS1_27scan_by_key_config_selectorIj11FixedVectorIiLj1EEEEZZNS1_16scan_by_key_implILNS1_25lookback_scan_determinismE0ELb1ES3_N6thrust23THRUST_200600_302600_NS6detail15normal_iteratorINSB_10device_ptrIjEEEENSD_INSE_IS6_EEEESI_S6_NSB_4plusIvEENSB_8equal_toIvEES6_EE10hipError_tPvRmT2_T3_T4_T5_mT6_T7_P12ihipStream_tbENKUlT_T0_E_clISt17integral_constantIbLb0EES13_EEDaSY_SZ_EUlSY_E_NS1_11comp_targetILNS1_3genE8ELNS1_11target_archE1030ELNS1_3gpuE2ELNS1_3repE0EEENS1_30default_config_static_selectorELNS0_4arch9wavefront6targetE0EEEvT1_, .Lfunc_end1919-_ZN7rocprim17ROCPRIM_400000_NS6detail17trampoline_kernelINS0_14default_configENS1_27scan_by_key_config_selectorIj11FixedVectorIiLj1EEEEZZNS1_16scan_by_key_implILNS1_25lookback_scan_determinismE0ELb1ES3_N6thrust23THRUST_200600_302600_NS6detail15normal_iteratorINSB_10device_ptrIjEEEENSD_INSE_IS6_EEEESI_S6_NSB_4plusIvEENSB_8equal_toIvEES6_EE10hipError_tPvRmT2_T3_T4_T5_mT6_T7_P12ihipStream_tbENKUlT_T0_E_clISt17integral_constantIbLb0EES13_EEDaSY_SZ_EUlSY_E_NS1_11comp_targetILNS1_3genE8ELNS1_11target_archE1030ELNS1_3gpuE2ELNS1_3repE0EEENS1_30default_config_static_selectorELNS0_4arch9wavefront6targetE0EEEvT1_
                                        ; -- End function
	.set _ZN7rocprim17ROCPRIM_400000_NS6detail17trampoline_kernelINS0_14default_configENS1_27scan_by_key_config_selectorIj11FixedVectorIiLj1EEEEZZNS1_16scan_by_key_implILNS1_25lookback_scan_determinismE0ELb1ES3_N6thrust23THRUST_200600_302600_NS6detail15normal_iteratorINSB_10device_ptrIjEEEENSD_INSE_IS6_EEEESI_S6_NSB_4plusIvEENSB_8equal_toIvEES6_EE10hipError_tPvRmT2_T3_T4_T5_mT6_T7_P12ihipStream_tbENKUlT_T0_E_clISt17integral_constantIbLb0EES13_EEDaSY_SZ_EUlSY_E_NS1_11comp_targetILNS1_3genE8ELNS1_11target_archE1030ELNS1_3gpuE2ELNS1_3repE0EEENS1_30default_config_static_selectorELNS0_4arch9wavefront6targetE0EEEvT1_.num_vgpr, 42
	.set _ZN7rocprim17ROCPRIM_400000_NS6detail17trampoline_kernelINS0_14default_configENS1_27scan_by_key_config_selectorIj11FixedVectorIiLj1EEEEZZNS1_16scan_by_key_implILNS1_25lookback_scan_determinismE0ELb1ES3_N6thrust23THRUST_200600_302600_NS6detail15normal_iteratorINSB_10device_ptrIjEEEENSD_INSE_IS6_EEEESI_S6_NSB_4plusIvEENSB_8equal_toIvEES6_EE10hipError_tPvRmT2_T3_T4_T5_mT6_T7_P12ihipStream_tbENKUlT_T0_E_clISt17integral_constantIbLb0EES13_EEDaSY_SZ_EUlSY_E_NS1_11comp_targetILNS1_3genE8ELNS1_11target_archE1030ELNS1_3gpuE2ELNS1_3repE0EEENS1_30default_config_static_selectorELNS0_4arch9wavefront6targetE0EEEvT1_.num_agpr, 0
	.set _ZN7rocprim17ROCPRIM_400000_NS6detail17trampoline_kernelINS0_14default_configENS1_27scan_by_key_config_selectorIj11FixedVectorIiLj1EEEEZZNS1_16scan_by_key_implILNS1_25lookback_scan_determinismE0ELb1ES3_N6thrust23THRUST_200600_302600_NS6detail15normal_iteratorINSB_10device_ptrIjEEEENSD_INSE_IS6_EEEESI_S6_NSB_4plusIvEENSB_8equal_toIvEES6_EE10hipError_tPvRmT2_T3_T4_T5_mT6_T7_P12ihipStream_tbENKUlT_T0_E_clISt17integral_constantIbLb0EES13_EEDaSY_SZ_EUlSY_E_NS1_11comp_targetILNS1_3genE8ELNS1_11target_archE1030ELNS1_3gpuE2ELNS1_3repE0EEENS1_30default_config_static_selectorELNS0_4arch9wavefront6targetE0EEEvT1_.numbered_sgpr, 30
	.set _ZN7rocprim17ROCPRIM_400000_NS6detail17trampoline_kernelINS0_14default_configENS1_27scan_by_key_config_selectorIj11FixedVectorIiLj1EEEEZZNS1_16scan_by_key_implILNS1_25lookback_scan_determinismE0ELb1ES3_N6thrust23THRUST_200600_302600_NS6detail15normal_iteratorINSB_10device_ptrIjEEEENSD_INSE_IS6_EEEESI_S6_NSB_4plusIvEENSB_8equal_toIvEES6_EE10hipError_tPvRmT2_T3_T4_T5_mT6_T7_P12ihipStream_tbENKUlT_T0_E_clISt17integral_constantIbLb0EES13_EEDaSY_SZ_EUlSY_E_NS1_11comp_targetILNS1_3genE8ELNS1_11target_archE1030ELNS1_3gpuE2ELNS1_3repE0EEENS1_30default_config_static_selectorELNS0_4arch9wavefront6targetE0EEEvT1_.num_named_barrier, 0
	.set _ZN7rocprim17ROCPRIM_400000_NS6detail17trampoline_kernelINS0_14default_configENS1_27scan_by_key_config_selectorIj11FixedVectorIiLj1EEEEZZNS1_16scan_by_key_implILNS1_25lookback_scan_determinismE0ELb1ES3_N6thrust23THRUST_200600_302600_NS6detail15normal_iteratorINSB_10device_ptrIjEEEENSD_INSE_IS6_EEEESI_S6_NSB_4plusIvEENSB_8equal_toIvEES6_EE10hipError_tPvRmT2_T3_T4_T5_mT6_T7_P12ihipStream_tbENKUlT_T0_E_clISt17integral_constantIbLb0EES13_EEDaSY_SZ_EUlSY_E_NS1_11comp_targetILNS1_3genE8ELNS1_11target_archE1030ELNS1_3gpuE2ELNS1_3repE0EEENS1_30default_config_static_selectorELNS0_4arch9wavefront6targetE0EEEvT1_.private_seg_size, 0
	.set _ZN7rocprim17ROCPRIM_400000_NS6detail17trampoline_kernelINS0_14default_configENS1_27scan_by_key_config_selectorIj11FixedVectorIiLj1EEEEZZNS1_16scan_by_key_implILNS1_25lookback_scan_determinismE0ELb1ES3_N6thrust23THRUST_200600_302600_NS6detail15normal_iteratorINSB_10device_ptrIjEEEENSD_INSE_IS6_EEEESI_S6_NSB_4plusIvEENSB_8equal_toIvEES6_EE10hipError_tPvRmT2_T3_T4_T5_mT6_T7_P12ihipStream_tbENKUlT_T0_E_clISt17integral_constantIbLb0EES13_EEDaSY_SZ_EUlSY_E_NS1_11comp_targetILNS1_3genE8ELNS1_11target_archE1030ELNS1_3gpuE2ELNS1_3repE0EEENS1_30default_config_static_selectorELNS0_4arch9wavefront6targetE0EEEvT1_.uses_vcc, 1
	.set _ZN7rocprim17ROCPRIM_400000_NS6detail17trampoline_kernelINS0_14default_configENS1_27scan_by_key_config_selectorIj11FixedVectorIiLj1EEEEZZNS1_16scan_by_key_implILNS1_25lookback_scan_determinismE0ELb1ES3_N6thrust23THRUST_200600_302600_NS6detail15normal_iteratorINSB_10device_ptrIjEEEENSD_INSE_IS6_EEEESI_S6_NSB_4plusIvEENSB_8equal_toIvEES6_EE10hipError_tPvRmT2_T3_T4_T5_mT6_T7_P12ihipStream_tbENKUlT_T0_E_clISt17integral_constantIbLb0EES13_EEDaSY_SZ_EUlSY_E_NS1_11comp_targetILNS1_3genE8ELNS1_11target_archE1030ELNS1_3gpuE2ELNS1_3repE0EEENS1_30default_config_static_selectorELNS0_4arch9wavefront6targetE0EEEvT1_.uses_flat_scratch, 1
	.set _ZN7rocprim17ROCPRIM_400000_NS6detail17trampoline_kernelINS0_14default_configENS1_27scan_by_key_config_selectorIj11FixedVectorIiLj1EEEEZZNS1_16scan_by_key_implILNS1_25lookback_scan_determinismE0ELb1ES3_N6thrust23THRUST_200600_302600_NS6detail15normal_iteratorINSB_10device_ptrIjEEEENSD_INSE_IS6_EEEESI_S6_NSB_4plusIvEENSB_8equal_toIvEES6_EE10hipError_tPvRmT2_T3_T4_T5_mT6_T7_P12ihipStream_tbENKUlT_T0_E_clISt17integral_constantIbLb0EES13_EEDaSY_SZ_EUlSY_E_NS1_11comp_targetILNS1_3genE8ELNS1_11target_archE1030ELNS1_3gpuE2ELNS1_3repE0EEENS1_30default_config_static_selectorELNS0_4arch9wavefront6targetE0EEEvT1_.has_dyn_sized_stack, 0
	.set _ZN7rocprim17ROCPRIM_400000_NS6detail17trampoline_kernelINS0_14default_configENS1_27scan_by_key_config_selectorIj11FixedVectorIiLj1EEEEZZNS1_16scan_by_key_implILNS1_25lookback_scan_determinismE0ELb1ES3_N6thrust23THRUST_200600_302600_NS6detail15normal_iteratorINSB_10device_ptrIjEEEENSD_INSE_IS6_EEEESI_S6_NSB_4plusIvEENSB_8equal_toIvEES6_EE10hipError_tPvRmT2_T3_T4_T5_mT6_T7_P12ihipStream_tbENKUlT_T0_E_clISt17integral_constantIbLb0EES13_EEDaSY_SZ_EUlSY_E_NS1_11comp_targetILNS1_3genE8ELNS1_11target_archE1030ELNS1_3gpuE2ELNS1_3repE0EEENS1_30default_config_static_selectorELNS0_4arch9wavefront6targetE0EEEvT1_.has_recursion, 0
	.set _ZN7rocprim17ROCPRIM_400000_NS6detail17trampoline_kernelINS0_14default_configENS1_27scan_by_key_config_selectorIj11FixedVectorIiLj1EEEEZZNS1_16scan_by_key_implILNS1_25lookback_scan_determinismE0ELb1ES3_N6thrust23THRUST_200600_302600_NS6detail15normal_iteratorINSB_10device_ptrIjEEEENSD_INSE_IS6_EEEESI_S6_NSB_4plusIvEENSB_8equal_toIvEES6_EE10hipError_tPvRmT2_T3_T4_T5_mT6_T7_P12ihipStream_tbENKUlT_T0_E_clISt17integral_constantIbLb0EES13_EEDaSY_SZ_EUlSY_E_NS1_11comp_targetILNS1_3genE8ELNS1_11target_archE1030ELNS1_3gpuE2ELNS1_3repE0EEENS1_30default_config_static_selectorELNS0_4arch9wavefront6targetE0EEEvT1_.has_indirect_call, 0
	.section	.AMDGPU.csdata,"",@progbits
; Kernel info:
; codeLenInByte = 6096
; TotalNumSgprs: 32
; NumVgprs: 42
; ScratchSize: 0
; MemoryBound: 0
; FloatMode: 240
; IeeeMode: 1
; LDSByteSize: 5120 bytes/workgroup (compile time only)
; SGPRBlocks: 0
; VGPRBlocks: 5
; NumSGPRsForWavesPerEU: 32
; NumVGPRsForWavesPerEU: 42
; Occupancy: 16
; WaveLimiterHint : 1
; COMPUTE_PGM_RSRC2:SCRATCH_EN: 0
; COMPUTE_PGM_RSRC2:USER_SGPR: 6
; COMPUTE_PGM_RSRC2:TRAP_HANDLER: 0
; COMPUTE_PGM_RSRC2:TGID_X_EN: 1
; COMPUTE_PGM_RSRC2:TGID_Y_EN: 0
; COMPUTE_PGM_RSRC2:TGID_Z_EN: 0
; COMPUTE_PGM_RSRC2:TIDIG_COMP_CNT: 0
	.section	.text._ZN7rocprim17ROCPRIM_400000_NS6detail17trampoline_kernelINS0_14default_configENS1_27scan_by_key_config_selectorIj11FixedVectorIiLj1EEEEZZNS1_16scan_by_key_implILNS1_25lookback_scan_determinismE0ELb1ES3_N6thrust23THRUST_200600_302600_NS6detail15normal_iteratorINSB_10device_ptrIjEEEENSD_INSE_IS6_EEEESI_S6_NSB_4plusIvEENSB_8equal_toIvEES6_EE10hipError_tPvRmT2_T3_T4_T5_mT6_T7_P12ihipStream_tbENKUlT_T0_E_clISt17integral_constantIbLb1EES13_EEDaSY_SZ_EUlSY_E_NS1_11comp_targetILNS1_3genE0ELNS1_11target_archE4294967295ELNS1_3gpuE0ELNS1_3repE0EEENS1_30default_config_static_selectorELNS0_4arch9wavefront6targetE0EEEvT1_,"axG",@progbits,_ZN7rocprim17ROCPRIM_400000_NS6detail17trampoline_kernelINS0_14default_configENS1_27scan_by_key_config_selectorIj11FixedVectorIiLj1EEEEZZNS1_16scan_by_key_implILNS1_25lookback_scan_determinismE0ELb1ES3_N6thrust23THRUST_200600_302600_NS6detail15normal_iteratorINSB_10device_ptrIjEEEENSD_INSE_IS6_EEEESI_S6_NSB_4plusIvEENSB_8equal_toIvEES6_EE10hipError_tPvRmT2_T3_T4_T5_mT6_T7_P12ihipStream_tbENKUlT_T0_E_clISt17integral_constantIbLb1EES13_EEDaSY_SZ_EUlSY_E_NS1_11comp_targetILNS1_3genE0ELNS1_11target_archE4294967295ELNS1_3gpuE0ELNS1_3repE0EEENS1_30default_config_static_selectorELNS0_4arch9wavefront6targetE0EEEvT1_,comdat
	.protected	_ZN7rocprim17ROCPRIM_400000_NS6detail17trampoline_kernelINS0_14default_configENS1_27scan_by_key_config_selectorIj11FixedVectorIiLj1EEEEZZNS1_16scan_by_key_implILNS1_25lookback_scan_determinismE0ELb1ES3_N6thrust23THRUST_200600_302600_NS6detail15normal_iteratorINSB_10device_ptrIjEEEENSD_INSE_IS6_EEEESI_S6_NSB_4plusIvEENSB_8equal_toIvEES6_EE10hipError_tPvRmT2_T3_T4_T5_mT6_T7_P12ihipStream_tbENKUlT_T0_E_clISt17integral_constantIbLb1EES13_EEDaSY_SZ_EUlSY_E_NS1_11comp_targetILNS1_3genE0ELNS1_11target_archE4294967295ELNS1_3gpuE0ELNS1_3repE0EEENS1_30default_config_static_selectorELNS0_4arch9wavefront6targetE0EEEvT1_ ; -- Begin function _ZN7rocprim17ROCPRIM_400000_NS6detail17trampoline_kernelINS0_14default_configENS1_27scan_by_key_config_selectorIj11FixedVectorIiLj1EEEEZZNS1_16scan_by_key_implILNS1_25lookback_scan_determinismE0ELb1ES3_N6thrust23THRUST_200600_302600_NS6detail15normal_iteratorINSB_10device_ptrIjEEEENSD_INSE_IS6_EEEESI_S6_NSB_4plusIvEENSB_8equal_toIvEES6_EE10hipError_tPvRmT2_T3_T4_T5_mT6_T7_P12ihipStream_tbENKUlT_T0_E_clISt17integral_constantIbLb1EES13_EEDaSY_SZ_EUlSY_E_NS1_11comp_targetILNS1_3genE0ELNS1_11target_archE4294967295ELNS1_3gpuE0ELNS1_3repE0EEENS1_30default_config_static_selectorELNS0_4arch9wavefront6targetE0EEEvT1_
	.globl	_ZN7rocprim17ROCPRIM_400000_NS6detail17trampoline_kernelINS0_14default_configENS1_27scan_by_key_config_selectorIj11FixedVectorIiLj1EEEEZZNS1_16scan_by_key_implILNS1_25lookback_scan_determinismE0ELb1ES3_N6thrust23THRUST_200600_302600_NS6detail15normal_iteratorINSB_10device_ptrIjEEEENSD_INSE_IS6_EEEESI_S6_NSB_4plusIvEENSB_8equal_toIvEES6_EE10hipError_tPvRmT2_T3_T4_T5_mT6_T7_P12ihipStream_tbENKUlT_T0_E_clISt17integral_constantIbLb1EES13_EEDaSY_SZ_EUlSY_E_NS1_11comp_targetILNS1_3genE0ELNS1_11target_archE4294967295ELNS1_3gpuE0ELNS1_3repE0EEENS1_30default_config_static_selectorELNS0_4arch9wavefront6targetE0EEEvT1_
	.p2align	8
	.type	_ZN7rocprim17ROCPRIM_400000_NS6detail17trampoline_kernelINS0_14default_configENS1_27scan_by_key_config_selectorIj11FixedVectorIiLj1EEEEZZNS1_16scan_by_key_implILNS1_25lookback_scan_determinismE0ELb1ES3_N6thrust23THRUST_200600_302600_NS6detail15normal_iteratorINSB_10device_ptrIjEEEENSD_INSE_IS6_EEEESI_S6_NSB_4plusIvEENSB_8equal_toIvEES6_EE10hipError_tPvRmT2_T3_T4_T5_mT6_T7_P12ihipStream_tbENKUlT_T0_E_clISt17integral_constantIbLb1EES13_EEDaSY_SZ_EUlSY_E_NS1_11comp_targetILNS1_3genE0ELNS1_11target_archE4294967295ELNS1_3gpuE0ELNS1_3repE0EEENS1_30default_config_static_selectorELNS0_4arch9wavefront6targetE0EEEvT1_,@function
_ZN7rocprim17ROCPRIM_400000_NS6detail17trampoline_kernelINS0_14default_configENS1_27scan_by_key_config_selectorIj11FixedVectorIiLj1EEEEZZNS1_16scan_by_key_implILNS1_25lookback_scan_determinismE0ELb1ES3_N6thrust23THRUST_200600_302600_NS6detail15normal_iteratorINSB_10device_ptrIjEEEENSD_INSE_IS6_EEEESI_S6_NSB_4plusIvEENSB_8equal_toIvEES6_EE10hipError_tPvRmT2_T3_T4_T5_mT6_T7_P12ihipStream_tbENKUlT_T0_E_clISt17integral_constantIbLb1EES13_EEDaSY_SZ_EUlSY_E_NS1_11comp_targetILNS1_3genE0ELNS1_11target_archE4294967295ELNS1_3gpuE0ELNS1_3repE0EEENS1_30default_config_static_selectorELNS0_4arch9wavefront6targetE0EEEvT1_: ; @_ZN7rocprim17ROCPRIM_400000_NS6detail17trampoline_kernelINS0_14default_configENS1_27scan_by_key_config_selectorIj11FixedVectorIiLj1EEEEZZNS1_16scan_by_key_implILNS1_25lookback_scan_determinismE0ELb1ES3_N6thrust23THRUST_200600_302600_NS6detail15normal_iteratorINSB_10device_ptrIjEEEENSD_INSE_IS6_EEEESI_S6_NSB_4plusIvEENSB_8equal_toIvEES6_EE10hipError_tPvRmT2_T3_T4_T5_mT6_T7_P12ihipStream_tbENKUlT_T0_E_clISt17integral_constantIbLb1EES13_EEDaSY_SZ_EUlSY_E_NS1_11comp_targetILNS1_3genE0ELNS1_11target_archE4294967295ELNS1_3gpuE0ELNS1_3repE0EEENS1_30default_config_static_selectorELNS0_4arch9wavefront6targetE0EEEvT1_
; %bb.0:
	.section	.rodata,"a",@progbits
	.p2align	6, 0x0
	.amdhsa_kernel _ZN7rocprim17ROCPRIM_400000_NS6detail17trampoline_kernelINS0_14default_configENS1_27scan_by_key_config_selectorIj11FixedVectorIiLj1EEEEZZNS1_16scan_by_key_implILNS1_25lookback_scan_determinismE0ELb1ES3_N6thrust23THRUST_200600_302600_NS6detail15normal_iteratorINSB_10device_ptrIjEEEENSD_INSE_IS6_EEEESI_S6_NSB_4plusIvEENSB_8equal_toIvEES6_EE10hipError_tPvRmT2_T3_T4_T5_mT6_T7_P12ihipStream_tbENKUlT_T0_E_clISt17integral_constantIbLb1EES13_EEDaSY_SZ_EUlSY_E_NS1_11comp_targetILNS1_3genE0ELNS1_11target_archE4294967295ELNS1_3gpuE0ELNS1_3repE0EEENS1_30default_config_static_selectorELNS0_4arch9wavefront6targetE0EEEvT1_
		.amdhsa_group_segment_fixed_size 0
		.amdhsa_private_segment_fixed_size 0
		.amdhsa_kernarg_size 112
		.amdhsa_user_sgpr_count 6
		.amdhsa_user_sgpr_private_segment_buffer 1
		.amdhsa_user_sgpr_dispatch_ptr 0
		.amdhsa_user_sgpr_queue_ptr 0
		.amdhsa_user_sgpr_kernarg_segment_ptr 1
		.amdhsa_user_sgpr_dispatch_id 0
		.amdhsa_user_sgpr_flat_scratch_init 0
		.amdhsa_user_sgpr_private_segment_size 0
		.amdhsa_wavefront_size32 1
		.amdhsa_uses_dynamic_stack 0
		.amdhsa_system_sgpr_private_segment_wavefront_offset 0
		.amdhsa_system_sgpr_workgroup_id_x 1
		.amdhsa_system_sgpr_workgroup_id_y 0
		.amdhsa_system_sgpr_workgroup_id_z 0
		.amdhsa_system_sgpr_workgroup_info 0
		.amdhsa_system_vgpr_workitem_id 0
		.amdhsa_next_free_vgpr 1
		.amdhsa_next_free_sgpr 1
		.amdhsa_reserve_vcc 0
		.amdhsa_reserve_flat_scratch 0
		.amdhsa_float_round_mode_32 0
		.amdhsa_float_round_mode_16_64 0
		.amdhsa_float_denorm_mode_32 3
		.amdhsa_float_denorm_mode_16_64 3
		.amdhsa_dx10_clamp 1
		.amdhsa_ieee_mode 1
		.amdhsa_fp16_overflow 0
		.amdhsa_workgroup_processor_mode 1
		.amdhsa_memory_ordered 1
		.amdhsa_forward_progress 1
		.amdhsa_shared_vgpr_count 0
		.amdhsa_exception_fp_ieee_invalid_op 0
		.amdhsa_exception_fp_denorm_src 0
		.amdhsa_exception_fp_ieee_div_zero 0
		.amdhsa_exception_fp_ieee_overflow 0
		.amdhsa_exception_fp_ieee_underflow 0
		.amdhsa_exception_fp_ieee_inexact 0
		.amdhsa_exception_int_div_zero 0
	.end_amdhsa_kernel
	.section	.text._ZN7rocprim17ROCPRIM_400000_NS6detail17trampoline_kernelINS0_14default_configENS1_27scan_by_key_config_selectorIj11FixedVectorIiLj1EEEEZZNS1_16scan_by_key_implILNS1_25lookback_scan_determinismE0ELb1ES3_N6thrust23THRUST_200600_302600_NS6detail15normal_iteratorINSB_10device_ptrIjEEEENSD_INSE_IS6_EEEESI_S6_NSB_4plusIvEENSB_8equal_toIvEES6_EE10hipError_tPvRmT2_T3_T4_T5_mT6_T7_P12ihipStream_tbENKUlT_T0_E_clISt17integral_constantIbLb1EES13_EEDaSY_SZ_EUlSY_E_NS1_11comp_targetILNS1_3genE0ELNS1_11target_archE4294967295ELNS1_3gpuE0ELNS1_3repE0EEENS1_30default_config_static_selectorELNS0_4arch9wavefront6targetE0EEEvT1_,"axG",@progbits,_ZN7rocprim17ROCPRIM_400000_NS6detail17trampoline_kernelINS0_14default_configENS1_27scan_by_key_config_selectorIj11FixedVectorIiLj1EEEEZZNS1_16scan_by_key_implILNS1_25lookback_scan_determinismE0ELb1ES3_N6thrust23THRUST_200600_302600_NS6detail15normal_iteratorINSB_10device_ptrIjEEEENSD_INSE_IS6_EEEESI_S6_NSB_4plusIvEENSB_8equal_toIvEES6_EE10hipError_tPvRmT2_T3_T4_T5_mT6_T7_P12ihipStream_tbENKUlT_T0_E_clISt17integral_constantIbLb1EES13_EEDaSY_SZ_EUlSY_E_NS1_11comp_targetILNS1_3genE0ELNS1_11target_archE4294967295ELNS1_3gpuE0ELNS1_3repE0EEENS1_30default_config_static_selectorELNS0_4arch9wavefront6targetE0EEEvT1_,comdat
.Lfunc_end1920:
	.size	_ZN7rocprim17ROCPRIM_400000_NS6detail17trampoline_kernelINS0_14default_configENS1_27scan_by_key_config_selectorIj11FixedVectorIiLj1EEEEZZNS1_16scan_by_key_implILNS1_25lookback_scan_determinismE0ELb1ES3_N6thrust23THRUST_200600_302600_NS6detail15normal_iteratorINSB_10device_ptrIjEEEENSD_INSE_IS6_EEEESI_S6_NSB_4plusIvEENSB_8equal_toIvEES6_EE10hipError_tPvRmT2_T3_T4_T5_mT6_T7_P12ihipStream_tbENKUlT_T0_E_clISt17integral_constantIbLb1EES13_EEDaSY_SZ_EUlSY_E_NS1_11comp_targetILNS1_3genE0ELNS1_11target_archE4294967295ELNS1_3gpuE0ELNS1_3repE0EEENS1_30default_config_static_selectorELNS0_4arch9wavefront6targetE0EEEvT1_, .Lfunc_end1920-_ZN7rocprim17ROCPRIM_400000_NS6detail17trampoline_kernelINS0_14default_configENS1_27scan_by_key_config_selectorIj11FixedVectorIiLj1EEEEZZNS1_16scan_by_key_implILNS1_25lookback_scan_determinismE0ELb1ES3_N6thrust23THRUST_200600_302600_NS6detail15normal_iteratorINSB_10device_ptrIjEEEENSD_INSE_IS6_EEEESI_S6_NSB_4plusIvEENSB_8equal_toIvEES6_EE10hipError_tPvRmT2_T3_T4_T5_mT6_T7_P12ihipStream_tbENKUlT_T0_E_clISt17integral_constantIbLb1EES13_EEDaSY_SZ_EUlSY_E_NS1_11comp_targetILNS1_3genE0ELNS1_11target_archE4294967295ELNS1_3gpuE0ELNS1_3repE0EEENS1_30default_config_static_selectorELNS0_4arch9wavefront6targetE0EEEvT1_
                                        ; -- End function
	.set _ZN7rocprim17ROCPRIM_400000_NS6detail17trampoline_kernelINS0_14default_configENS1_27scan_by_key_config_selectorIj11FixedVectorIiLj1EEEEZZNS1_16scan_by_key_implILNS1_25lookback_scan_determinismE0ELb1ES3_N6thrust23THRUST_200600_302600_NS6detail15normal_iteratorINSB_10device_ptrIjEEEENSD_INSE_IS6_EEEESI_S6_NSB_4plusIvEENSB_8equal_toIvEES6_EE10hipError_tPvRmT2_T3_T4_T5_mT6_T7_P12ihipStream_tbENKUlT_T0_E_clISt17integral_constantIbLb1EES13_EEDaSY_SZ_EUlSY_E_NS1_11comp_targetILNS1_3genE0ELNS1_11target_archE4294967295ELNS1_3gpuE0ELNS1_3repE0EEENS1_30default_config_static_selectorELNS0_4arch9wavefront6targetE0EEEvT1_.num_vgpr, 0
	.set _ZN7rocprim17ROCPRIM_400000_NS6detail17trampoline_kernelINS0_14default_configENS1_27scan_by_key_config_selectorIj11FixedVectorIiLj1EEEEZZNS1_16scan_by_key_implILNS1_25lookback_scan_determinismE0ELb1ES3_N6thrust23THRUST_200600_302600_NS6detail15normal_iteratorINSB_10device_ptrIjEEEENSD_INSE_IS6_EEEESI_S6_NSB_4plusIvEENSB_8equal_toIvEES6_EE10hipError_tPvRmT2_T3_T4_T5_mT6_T7_P12ihipStream_tbENKUlT_T0_E_clISt17integral_constantIbLb1EES13_EEDaSY_SZ_EUlSY_E_NS1_11comp_targetILNS1_3genE0ELNS1_11target_archE4294967295ELNS1_3gpuE0ELNS1_3repE0EEENS1_30default_config_static_selectorELNS0_4arch9wavefront6targetE0EEEvT1_.num_agpr, 0
	.set _ZN7rocprim17ROCPRIM_400000_NS6detail17trampoline_kernelINS0_14default_configENS1_27scan_by_key_config_selectorIj11FixedVectorIiLj1EEEEZZNS1_16scan_by_key_implILNS1_25lookback_scan_determinismE0ELb1ES3_N6thrust23THRUST_200600_302600_NS6detail15normal_iteratorINSB_10device_ptrIjEEEENSD_INSE_IS6_EEEESI_S6_NSB_4plusIvEENSB_8equal_toIvEES6_EE10hipError_tPvRmT2_T3_T4_T5_mT6_T7_P12ihipStream_tbENKUlT_T0_E_clISt17integral_constantIbLb1EES13_EEDaSY_SZ_EUlSY_E_NS1_11comp_targetILNS1_3genE0ELNS1_11target_archE4294967295ELNS1_3gpuE0ELNS1_3repE0EEENS1_30default_config_static_selectorELNS0_4arch9wavefront6targetE0EEEvT1_.numbered_sgpr, 0
	.set _ZN7rocprim17ROCPRIM_400000_NS6detail17trampoline_kernelINS0_14default_configENS1_27scan_by_key_config_selectorIj11FixedVectorIiLj1EEEEZZNS1_16scan_by_key_implILNS1_25lookback_scan_determinismE0ELb1ES3_N6thrust23THRUST_200600_302600_NS6detail15normal_iteratorINSB_10device_ptrIjEEEENSD_INSE_IS6_EEEESI_S6_NSB_4plusIvEENSB_8equal_toIvEES6_EE10hipError_tPvRmT2_T3_T4_T5_mT6_T7_P12ihipStream_tbENKUlT_T0_E_clISt17integral_constantIbLb1EES13_EEDaSY_SZ_EUlSY_E_NS1_11comp_targetILNS1_3genE0ELNS1_11target_archE4294967295ELNS1_3gpuE0ELNS1_3repE0EEENS1_30default_config_static_selectorELNS0_4arch9wavefront6targetE0EEEvT1_.num_named_barrier, 0
	.set _ZN7rocprim17ROCPRIM_400000_NS6detail17trampoline_kernelINS0_14default_configENS1_27scan_by_key_config_selectorIj11FixedVectorIiLj1EEEEZZNS1_16scan_by_key_implILNS1_25lookback_scan_determinismE0ELb1ES3_N6thrust23THRUST_200600_302600_NS6detail15normal_iteratorINSB_10device_ptrIjEEEENSD_INSE_IS6_EEEESI_S6_NSB_4plusIvEENSB_8equal_toIvEES6_EE10hipError_tPvRmT2_T3_T4_T5_mT6_T7_P12ihipStream_tbENKUlT_T0_E_clISt17integral_constantIbLb1EES13_EEDaSY_SZ_EUlSY_E_NS1_11comp_targetILNS1_3genE0ELNS1_11target_archE4294967295ELNS1_3gpuE0ELNS1_3repE0EEENS1_30default_config_static_selectorELNS0_4arch9wavefront6targetE0EEEvT1_.private_seg_size, 0
	.set _ZN7rocprim17ROCPRIM_400000_NS6detail17trampoline_kernelINS0_14default_configENS1_27scan_by_key_config_selectorIj11FixedVectorIiLj1EEEEZZNS1_16scan_by_key_implILNS1_25lookback_scan_determinismE0ELb1ES3_N6thrust23THRUST_200600_302600_NS6detail15normal_iteratorINSB_10device_ptrIjEEEENSD_INSE_IS6_EEEESI_S6_NSB_4plusIvEENSB_8equal_toIvEES6_EE10hipError_tPvRmT2_T3_T4_T5_mT6_T7_P12ihipStream_tbENKUlT_T0_E_clISt17integral_constantIbLb1EES13_EEDaSY_SZ_EUlSY_E_NS1_11comp_targetILNS1_3genE0ELNS1_11target_archE4294967295ELNS1_3gpuE0ELNS1_3repE0EEENS1_30default_config_static_selectorELNS0_4arch9wavefront6targetE0EEEvT1_.uses_vcc, 0
	.set _ZN7rocprim17ROCPRIM_400000_NS6detail17trampoline_kernelINS0_14default_configENS1_27scan_by_key_config_selectorIj11FixedVectorIiLj1EEEEZZNS1_16scan_by_key_implILNS1_25lookback_scan_determinismE0ELb1ES3_N6thrust23THRUST_200600_302600_NS6detail15normal_iteratorINSB_10device_ptrIjEEEENSD_INSE_IS6_EEEESI_S6_NSB_4plusIvEENSB_8equal_toIvEES6_EE10hipError_tPvRmT2_T3_T4_T5_mT6_T7_P12ihipStream_tbENKUlT_T0_E_clISt17integral_constantIbLb1EES13_EEDaSY_SZ_EUlSY_E_NS1_11comp_targetILNS1_3genE0ELNS1_11target_archE4294967295ELNS1_3gpuE0ELNS1_3repE0EEENS1_30default_config_static_selectorELNS0_4arch9wavefront6targetE0EEEvT1_.uses_flat_scratch, 0
	.set _ZN7rocprim17ROCPRIM_400000_NS6detail17trampoline_kernelINS0_14default_configENS1_27scan_by_key_config_selectorIj11FixedVectorIiLj1EEEEZZNS1_16scan_by_key_implILNS1_25lookback_scan_determinismE0ELb1ES3_N6thrust23THRUST_200600_302600_NS6detail15normal_iteratorINSB_10device_ptrIjEEEENSD_INSE_IS6_EEEESI_S6_NSB_4plusIvEENSB_8equal_toIvEES6_EE10hipError_tPvRmT2_T3_T4_T5_mT6_T7_P12ihipStream_tbENKUlT_T0_E_clISt17integral_constantIbLb1EES13_EEDaSY_SZ_EUlSY_E_NS1_11comp_targetILNS1_3genE0ELNS1_11target_archE4294967295ELNS1_3gpuE0ELNS1_3repE0EEENS1_30default_config_static_selectorELNS0_4arch9wavefront6targetE0EEEvT1_.has_dyn_sized_stack, 0
	.set _ZN7rocprim17ROCPRIM_400000_NS6detail17trampoline_kernelINS0_14default_configENS1_27scan_by_key_config_selectorIj11FixedVectorIiLj1EEEEZZNS1_16scan_by_key_implILNS1_25lookback_scan_determinismE0ELb1ES3_N6thrust23THRUST_200600_302600_NS6detail15normal_iteratorINSB_10device_ptrIjEEEENSD_INSE_IS6_EEEESI_S6_NSB_4plusIvEENSB_8equal_toIvEES6_EE10hipError_tPvRmT2_T3_T4_T5_mT6_T7_P12ihipStream_tbENKUlT_T0_E_clISt17integral_constantIbLb1EES13_EEDaSY_SZ_EUlSY_E_NS1_11comp_targetILNS1_3genE0ELNS1_11target_archE4294967295ELNS1_3gpuE0ELNS1_3repE0EEENS1_30default_config_static_selectorELNS0_4arch9wavefront6targetE0EEEvT1_.has_recursion, 0
	.set _ZN7rocprim17ROCPRIM_400000_NS6detail17trampoline_kernelINS0_14default_configENS1_27scan_by_key_config_selectorIj11FixedVectorIiLj1EEEEZZNS1_16scan_by_key_implILNS1_25lookback_scan_determinismE0ELb1ES3_N6thrust23THRUST_200600_302600_NS6detail15normal_iteratorINSB_10device_ptrIjEEEENSD_INSE_IS6_EEEESI_S6_NSB_4plusIvEENSB_8equal_toIvEES6_EE10hipError_tPvRmT2_T3_T4_T5_mT6_T7_P12ihipStream_tbENKUlT_T0_E_clISt17integral_constantIbLb1EES13_EEDaSY_SZ_EUlSY_E_NS1_11comp_targetILNS1_3genE0ELNS1_11target_archE4294967295ELNS1_3gpuE0ELNS1_3repE0EEENS1_30default_config_static_selectorELNS0_4arch9wavefront6targetE0EEEvT1_.has_indirect_call, 0
	.section	.AMDGPU.csdata,"",@progbits
; Kernel info:
; codeLenInByte = 0
; TotalNumSgprs: 0
; NumVgprs: 0
; ScratchSize: 0
; MemoryBound: 0
; FloatMode: 240
; IeeeMode: 1
; LDSByteSize: 0 bytes/workgroup (compile time only)
; SGPRBlocks: 0
; VGPRBlocks: 0
; NumSGPRsForWavesPerEU: 1
; NumVGPRsForWavesPerEU: 1
; Occupancy: 16
; WaveLimiterHint : 0
; COMPUTE_PGM_RSRC2:SCRATCH_EN: 0
; COMPUTE_PGM_RSRC2:USER_SGPR: 6
; COMPUTE_PGM_RSRC2:TRAP_HANDLER: 0
; COMPUTE_PGM_RSRC2:TGID_X_EN: 1
; COMPUTE_PGM_RSRC2:TGID_Y_EN: 0
; COMPUTE_PGM_RSRC2:TGID_Z_EN: 0
; COMPUTE_PGM_RSRC2:TIDIG_COMP_CNT: 0
	.section	.text._ZN7rocprim17ROCPRIM_400000_NS6detail17trampoline_kernelINS0_14default_configENS1_27scan_by_key_config_selectorIj11FixedVectorIiLj1EEEEZZNS1_16scan_by_key_implILNS1_25lookback_scan_determinismE0ELb1ES3_N6thrust23THRUST_200600_302600_NS6detail15normal_iteratorINSB_10device_ptrIjEEEENSD_INSE_IS6_EEEESI_S6_NSB_4plusIvEENSB_8equal_toIvEES6_EE10hipError_tPvRmT2_T3_T4_T5_mT6_T7_P12ihipStream_tbENKUlT_T0_E_clISt17integral_constantIbLb1EES13_EEDaSY_SZ_EUlSY_E_NS1_11comp_targetILNS1_3genE10ELNS1_11target_archE1201ELNS1_3gpuE5ELNS1_3repE0EEENS1_30default_config_static_selectorELNS0_4arch9wavefront6targetE0EEEvT1_,"axG",@progbits,_ZN7rocprim17ROCPRIM_400000_NS6detail17trampoline_kernelINS0_14default_configENS1_27scan_by_key_config_selectorIj11FixedVectorIiLj1EEEEZZNS1_16scan_by_key_implILNS1_25lookback_scan_determinismE0ELb1ES3_N6thrust23THRUST_200600_302600_NS6detail15normal_iteratorINSB_10device_ptrIjEEEENSD_INSE_IS6_EEEESI_S6_NSB_4plusIvEENSB_8equal_toIvEES6_EE10hipError_tPvRmT2_T3_T4_T5_mT6_T7_P12ihipStream_tbENKUlT_T0_E_clISt17integral_constantIbLb1EES13_EEDaSY_SZ_EUlSY_E_NS1_11comp_targetILNS1_3genE10ELNS1_11target_archE1201ELNS1_3gpuE5ELNS1_3repE0EEENS1_30default_config_static_selectorELNS0_4arch9wavefront6targetE0EEEvT1_,comdat
	.protected	_ZN7rocprim17ROCPRIM_400000_NS6detail17trampoline_kernelINS0_14default_configENS1_27scan_by_key_config_selectorIj11FixedVectorIiLj1EEEEZZNS1_16scan_by_key_implILNS1_25lookback_scan_determinismE0ELb1ES3_N6thrust23THRUST_200600_302600_NS6detail15normal_iteratorINSB_10device_ptrIjEEEENSD_INSE_IS6_EEEESI_S6_NSB_4plusIvEENSB_8equal_toIvEES6_EE10hipError_tPvRmT2_T3_T4_T5_mT6_T7_P12ihipStream_tbENKUlT_T0_E_clISt17integral_constantIbLb1EES13_EEDaSY_SZ_EUlSY_E_NS1_11comp_targetILNS1_3genE10ELNS1_11target_archE1201ELNS1_3gpuE5ELNS1_3repE0EEENS1_30default_config_static_selectorELNS0_4arch9wavefront6targetE0EEEvT1_ ; -- Begin function _ZN7rocprim17ROCPRIM_400000_NS6detail17trampoline_kernelINS0_14default_configENS1_27scan_by_key_config_selectorIj11FixedVectorIiLj1EEEEZZNS1_16scan_by_key_implILNS1_25lookback_scan_determinismE0ELb1ES3_N6thrust23THRUST_200600_302600_NS6detail15normal_iteratorINSB_10device_ptrIjEEEENSD_INSE_IS6_EEEESI_S6_NSB_4plusIvEENSB_8equal_toIvEES6_EE10hipError_tPvRmT2_T3_T4_T5_mT6_T7_P12ihipStream_tbENKUlT_T0_E_clISt17integral_constantIbLb1EES13_EEDaSY_SZ_EUlSY_E_NS1_11comp_targetILNS1_3genE10ELNS1_11target_archE1201ELNS1_3gpuE5ELNS1_3repE0EEENS1_30default_config_static_selectorELNS0_4arch9wavefront6targetE0EEEvT1_
	.globl	_ZN7rocprim17ROCPRIM_400000_NS6detail17trampoline_kernelINS0_14default_configENS1_27scan_by_key_config_selectorIj11FixedVectorIiLj1EEEEZZNS1_16scan_by_key_implILNS1_25lookback_scan_determinismE0ELb1ES3_N6thrust23THRUST_200600_302600_NS6detail15normal_iteratorINSB_10device_ptrIjEEEENSD_INSE_IS6_EEEESI_S6_NSB_4plusIvEENSB_8equal_toIvEES6_EE10hipError_tPvRmT2_T3_T4_T5_mT6_T7_P12ihipStream_tbENKUlT_T0_E_clISt17integral_constantIbLb1EES13_EEDaSY_SZ_EUlSY_E_NS1_11comp_targetILNS1_3genE10ELNS1_11target_archE1201ELNS1_3gpuE5ELNS1_3repE0EEENS1_30default_config_static_selectorELNS0_4arch9wavefront6targetE0EEEvT1_
	.p2align	8
	.type	_ZN7rocprim17ROCPRIM_400000_NS6detail17trampoline_kernelINS0_14default_configENS1_27scan_by_key_config_selectorIj11FixedVectorIiLj1EEEEZZNS1_16scan_by_key_implILNS1_25lookback_scan_determinismE0ELb1ES3_N6thrust23THRUST_200600_302600_NS6detail15normal_iteratorINSB_10device_ptrIjEEEENSD_INSE_IS6_EEEESI_S6_NSB_4plusIvEENSB_8equal_toIvEES6_EE10hipError_tPvRmT2_T3_T4_T5_mT6_T7_P12ihipStream_tbENKUlT_T0_E_clISt17integral_constantIbLb1EES13_EEDaSY_SZ_EUlSY_E_NS1_11comp_targetILNS1_3genE10ELNS1_11target_archE1201ELNS1_3gpuE5ELNS1_3repE0EEENS1_30default_config_static_selectorELNS0_4arch9wavefront6targetE0EEEvT1_,@function
_ZN7rocprim17ROCPRIM_400000_NS6detail17trampoline_kernelINS0_14default_configENS1_27scan_by_key_config_selectorIj11FixedVectorIiLj1EEEEZZNS1_16scan_by_key_implILNS1_25lookback_scan_determinismE0ELb1ES3_N6thrust23THRUST_200600_302600_NS6detail15normal_iteratorINSB_10device_ptrIjEEEENSD_INSE_IS6_EEEESI_S6_NSB_4plusIvEENSB_8equal_toIvEES6_EE10hipError_tPvRmT2_T3_T4_T5_mT6_T7_P12ihipStream_tbENKUlT_T0_E_clISt17integral_constantIbLb1EES13_EEDaSY_SZ_EUlSY_E_NS1_11comp_targetILNS1_3genE10ELNS1_11target_archE1201ELNS1_3gpuE5ELNS1_3repE0EEENS1_30default_config_static_selectorELNS0_4arch9wavefront6targetE0EEEvT1_: ; @_ZN7rocprim17ROCPRIM_400000_NS6detail17trampoline_kernelINS0_14default_configENS1_27scan_by_key_config_selectorIj11FixedVectorIiLj1EEEEZZNS1_16scan_by_key_implILNS1_25lookback_scan_determinismE0ELb1ES3_N6thrust23THRUST_200600_302600_NS6detail15normal_iteratorINSB_10device_ptrIjEEEENSD_INSE_IS6_EEEESI_S6_NSB_4plusIvEENSB_8equal_toIvEES6_EE10hipError_tPvRmT2_T3_T4_T5_mT6_T7_P12ihipStream_tbENKUlT_T0_E_clISt17integral_constantIbLb1EES13_EEDaSY_SZ_EUlSY_E_NS1_11comp_targetILNS1_3genE10ELNS1_11target_archE1201ELNS1_3gpuE5ELNS1_3repE0EEENS1_30default_config_static_selectorELNS0_4arch9wavefront6targetE0EEEvT1_
; %bb.0:
	.section	.rodata,"a",@progbits
	.p2align	6, 0x0
	.amdhsa_kernel _ZN7rocprim17ROCPRIM_400000_NS6detail17trampoline_kernelINS0_14default_configENS1_27scan_by_key_config_selectorIj11FixedVectorIiLj1EEEEZZNS1_16scan_by_key_implILNS1_25lookback_scan_determinismE0ELb1ES3_N6thrust23THRUST_200600_302600_NS6detail15normal_iteratorINSB_10device_ptrIjEEEENSD_INSE_IS6_EEEESI_S6_NSB_4plusIvEENSB_8equal_toIvEES6_EE10hipError_tPvRmT2_T3_T4_T5_mT6_T7_P12ihipStream_tbENKUlT_T0_E_clISt17integral_constantIbLb1EES13_EEDaSY_SZ_EUlSY_E_NS1_11comp_targetILNS1_3genE10ELNS1_11target_archE1201ELNS1_3gpuE5ELNS1_3repE0EEENS1_30default_config_static_selectorELNS0_4arch9wavefront6targetE0EEEvT1_
		.amdhsa_group_segment_fixed_size 0
		.amdhsa_private_segment_fixed_size 0
		.amdhsa_kernarg_size 112
		.amdhsa_user_sgpr_count 6
		.amdhsa_user_sgpr_private_segment_buffer 1
		.amdhsa_user_sgpr_dispatch_ptr 0
		.amdhsa_user_sgpr_queue_ptr 0
		.amdhsa_user_sgpr_kernarg_segment_ptr 1
		.amdhsa_user_sgpr_dispatch_id 0
		.amdhsa_user_sgpr_flat_scratch_init 0
		.amdhsa_user_sgpr_private_segment_size 0
		.amdhsa_wavefront_size32 1
		.amdhsa_uses_dynamic_stack 0
		.amdhsa_system_sgpr_private_segment_wavefront_offset 0
		.amdhsa_system_sgpr_workgroup_id_x 1
		.amdhsa_system_sgpr_workgroup_id_y 0
		.amdhsa_system_sgpr_workgroup_id_z 0
		.amdhsa_system_sgpr_workgroup_info 0
		.amdhsa_system_vgpr_workitem_id 0
		.amdhsa_next_free_vgpr 1
		.amdhsa_next_free_sgpr 1
		.amdhsa_reserve_vcc 0
		.amdhsa_reserve_flat_scratch 0
		.amdhsa_float_round_mode_32 0
		.amdhsa_float_round_mode_16_64 0
		.amdhsa_float_denorm_mode_32 3
		.amdhsa_float_denorm_mode_16_64 3
		.amdhsa_dx10_clamp 1
		.amdhsa_ieee_mode 1
		.amdhsa_fp16_overflow 0
		.amdhsa_workgroup_processor_mode 1
		.amdhsa_memory_ordered 1
		.amdhsa_forward_progress 1
		.amdhsa_shared_vgpr_count 0
		.amdhsa_exception_fp_ieee_invalid_op 0
		.amdhsa_exception_fp_denorm_src 0
		.amdhsa_exception_fp_ieee_div_zero 0
		.amdhsa_exception_fp_ieee_overflow 0
		.amdhsa_exception_fp_ieee_underflow 0
		.amdhsa_exception_fp_ieee_inexact 0
		.amdhsa_exception_int_div_zero 0
	.end_amdhsa_kernel
	.section	.text._ZN7rocprim17ROCPRIM_400000_NS6detail17trampoline_kernelINS0_14default_configENS1_27scan_by_key_config_selectorIj11FixedVectorIiLj1EEEEZZNS1_16scan_by_key_implILNS1_25lookback_scan_determinismE0ELb1ES3_N6thrust23THRUST_200600_302600_NS6detail15normal_iteratorINSB_10device_ptrIjEEEENSD_INSE_IS6_EEEESI_S6_NSB_4plusIvEENSB_8equal_toIvEES6_EE10hipError_tPvRmT2_T3_T4_T5_mT6_T7_P12ihipStream_tbENKUlT_T0_E_clISt17integral_constantIbLb1EES13_EEDaSY_SZ_EUlSY_E_NS1_11comp_targetILNS1_3genE10ELNS1_11target_archE1201ELNS1_3gpuE5ELNS1_3repE0EEENS1_30default_config_static_selectorELNS0_4arch9wavefront6targetE0EEEvT1_,"axG",@progbits,_ZN7rocprim17ROCPRIM_400000_NS6detail17trampoline_kernelINS0_14default_configENS1_27scan_by_key_config_selectorIj11FixedVectorIiLj1EEEEZZNS1_16scan_by_key_implILNS1_25lookback_scan_determinismE0ELb1ES3_N6thrust23THRUST_200600_302600_NS6detail15normal_iteratorINSB_10device_ptrIjEEEENSD_INSE_IS6_EEEESI_S6_NSB_4plusIvEENSB_8equal_toIvEES6_EE10hipError_tPvRmT2_T3_T4_T5_mT6_T7_P12ihipStream_tbENKUlT_T0_E_clISt17integral_constantIbLb1EES13_EEDaSY_SZ_EUlSY_E_NS1_11comp_targetILNS1_3genE10ELNS1_11target_archE1201ELNS1_3gpuE5ELNS1_3repE0EEENS1_30default_config_static_selectorELNS0_4arch9wavefront6targetE0EEEvT1_,comdat
.Lfunc_end1921:
	.size	_ZN7rocprim17ROCPRIM_400000_NS6detail17trampoline_kernelINS0_14default_configENS1_27scan_by_key_config_selectorIj11FixedVectorIiLj1EEEEZZNS1_16scan_by_key_implILNS1_25lookback_scan_determinismE0ELb1ES3_N6thrust23THRUST_200600_302600_NS6detail15normal_iteratorINSB_10device_ptrIjEEEENSD_INSE_IS6_EEEESI_S6_NSB_4plusIvEENSB_8equal_toIvEES6_EE10hipError_tPvRmT2_T3_T4_T5_mT6_T7_P12ihipStream_tbENKUlT_T0_E_clISt17integral_constantIbLb1EES13_EEDaSY_SZ_EUlSY_E_NS1_11comp_targetILNS1_3genE10ELNS1_11target_archE1201ELNS1_3gpuE5ELNS1_3repE0EEENS1_30default_config_static_selectorELNS0_4arch9wavefront6targetE0EEEvT1_, .Lfunc_end1921-_ZN7rocprim17ROCPRIM_400000_NS6detail17trampoline_kernelINS0_14default_configENS1_27scan_by_key_config_selectorIj11FixedVectorIiLj1EEEEZZNS1_16scan_by_key_implILNS1_25lookback_scan_determinismE0ELb1ES3_N6thrust23THRUST_200600_302600_NS6detail15normal_iteratorINSB_10device_ptrIjEEEENSD_INSE_IS6_EEEESI_S6_NSB_4plusIvEENSB_8equal_toIvEES6_EE10hipError_tPvRmT2_T3_T4_T5_mT6_T7_P12ihipStream_tbENKUlT_T0_E_clISt17integral_constantIbLb1EES13_EEDaSY_SZ_EUlSY_E_NS1_11comp_targetILNS1_3genE10ELNS1_11target_archE1201ELNS1_3gpuE5ELNS1_3repE0EEENS1_30default_config_static_selectorELNS0_4arch9wavefront6targetE0EEEvT1_
                                        ; -- End function
	.set _ZN7rocprim17ROCPRIM_400000_NS6detail17trampoline_kernelINS0_14default_configENS1_27scan_by_key_config_selectorIj11FixedVectorIiLj1EEEEZZNS1_16scan_by_key_implILNS1_25lookback_scan_determinismE0ELb1ES3_N6thrust23THRUST_200600_302600_NS6detail15normal_iteratorINSB_10device_ptrIjEEEENSD_INSE_IS6_EEEESI_S6_NSB_4plusIvEENSB_8equal_toIvEES6_EE10hipError_tPvRmT2_T3_T4_T5_mT6_T7_P12ihipStream_tbENKUlT_T0_E_clISt17integral_constantIbLb1EES13_EEDaSY_SZ_EUlSY_E_NS1_11comp_targetILNS1_3genE10ELNS1_11target_archE1201ELNS1_3gpuE5ELNS1_3repE0EEENS1_30default_config_static_selectorELNS0_4arch9wavefront6targetE0EEEvT1_.num_vgpr, 0
	.set _ZN7rocprim17ROCPRIM_400000_NS6detail17trampoline_kernelINS0_14default_configENS1_27scan_by_key_config_selectorIj11FixedVectorIiLj1EEEEZZNS1_16scan_by_key_implILNS1_25lookback_scan_determinismE0ELb1ES3_N6thrust23THRUST_200600_302600_NS6detail15normal_iteratorINSB_10device_ptrIjEEEENSD_INSE_IS6_EEEESI_S6_NSB_4plusIvEENSB_8equal_toIvEES6_EE10hipError_tPvRmT2_T3_T4_T5_mT6_T7_P12ihipStream_tbENKUlT_T0_E_clISt17integral_constantIbLb1EES13_EEDaSY_SZ_EUlSY_E_NS1_11comp_targetILNS1_3genE10ELNS1_11target_archE1201ELNS1_3gpuE5ELNS1_3repE0EEENS1_30default_config_static_selectorELNS0_4arch9wavefront6targetE0EEEvT1_.num_agpr, 0
	.set _ZN7rocprim17ROCPRIM_400000_NS6detail17trampoline_kernelINS0_14default_configENS1_27scan_by_key_config_selectorIj11FixedVectorIiLj1EEEEZZNS1_16scan_by_key_implILNS1_25lookback_scan_determinismE0ELb1ES3_N6thrust23THRUST_200600_302600_NS6detail15normal_iteratorINSB_10device_ptrIjEEEENSD_INSE_IS6_EEEESI_S6_NSB_4plusIvEENSB_8equal_toIvEES6_EE10hipError_tPvRmT2_T3_T4_T5_mT6_T7_P12ihipStream_tbENKUlT_T0_E_clISt17integral_constantIbLb1EES13_EEDaSY_SZ_EUlSY_E_NS1_11comp_targetILNS1_3genE10ELNS1_11target_archE1201ELNS1_3gpuE5ELNS1_3repE0EEENS1_30default_config_static_selectorELNS0_4arch9wavefront6targetE0EEEvT1_.numbered_sgpr, 0
	.set _ZN7rocprim17ROCPRIM_400000_NS6detail17trampoline_kernelINS0_14default_configENS1_27scan_by_key_config_selectorIj11FixedVectorIiLj1EEEEZZNS1_16scan_by_key_implILNS1_25lookback_scan_determinismE0ELb1ES3_N6thrust23THRUST_200600_302600_NS6detail15normal_iteratorINSB_10device_ptrIjEEEENSD_INSE_IS6_EEEESI_S6_NSB_4plusIvEENSB_8equal_toIvEES6_EE10hipError_tPvRmT2_T3_T4_T5_mT6_T7_P12ihipStream_tbENKUlT_T0_E_clISt17integral_constantIbLb1EES13_EEDaSY_SZ_EUlSY_E_NS1_11comp_targetILNS1_3genE10ELNS1_11target_archE1201ELNS1_3gpuE5ELNS1_3repE0EEENS1_30default_config_static_selectorELNS0_4arch9wavefront6targetE0EEEvT1_.num_named_barrier, 0
	.set _ZN7rocprim17ROCPRIM_400000_NS6detail17trampoline_kernelINS0_14default_configENS1_27scan_by_key_config_selectorIj11FixedVectorIiLj1EEEEZZNS1_16scan_by_key_implILNS1_25lookback_scan_determinismE0ELb1ES3_N6thrust23THRUST_200600_302600_NS6detail15normal_iteratorINSB_10device_ptrIjEEEENSD_INSE_IS6_EEEESI_S6_NSB_4plusIvEENSB_8equal_toIvEES6_EE10hipError_tPvRmT2_T3_T4_T5_mT6_T7_P12ihipStream_tbENKUlT_T0_E_clISt17integral_constantIbLb1EES13_EEDaSY_SZ_EUlSY_E_NS1_11comp_targetILNS1_3genE10ELNS1_11target_archE1201ELNS1_3gpuE5ELNS1_3repE0EEENS1_30default_config_static_selectorELNS0_4arch9wavefront6targetE0EEEvT1_.private_seg_size, 0
	.set _ZN7rocprim17ROCPRIM_400000_NS6detail17trampoline_kernelINS0_14default_configENS1_27scan_by_key_config_selectorIj11FixedVectorIiLj1EEEEZZNS1_16scan_by_key_implILNS1_25lookback_scan_determinismE0ELb1ES3_N6thrust23THRUST_200600_302600_NS6detail15normal_iteratorINSB_10device_ptrIjEEEENSD_INSE_IS6_EEEESI_S6_NSB_4plusIvEENSB_8equal_toIvEES6_EE10hipError_tPvRmT2_T3_T4_T5_mT6_T7_P12ihipStream_tbENKUlT_T0_E_clISt17integral_constantIbLb1EES13_EEDaSY_SZ_EUlSY_E_NS1_11comp_targetILNS1_3genE10ELNS1_11target_archE1201ELNS1_3gpuE5ELNS1_3repE0EEENS1_30default_config_static_selectorELNS0_4arch9wavefront6targetE0EEEvT1_.uses_vcc, 0
	.set _ZN7rocprim17ROCPRIM_400000_NS6detail17trampoline_kernelINS0_14default_configENS1_27scan_by_key_config_selectorIj11FixedVectorIiLj1EEEEZZNS1_16scan_by_key_implILNS1_25lookback_scan_determinismE0ELb1ES3_N6thrust23THRUST_200600_302600_NS6detail15normal_iteratorINSB_10device_ptrIjEEEENSD_INSE_IS6_EEEESI_S6_NSB_4plusIvEENSB_8equal_toIvEES6_EE10hipError_tPvRmT2_T3_T4_T5_mT6_T7_P12ihipStream_tbENKUlT_T0_E_clISt17integral_constantIbLb1EES13_EEDaSY_SZ_EUlSY_E_NS1_11comp_targetILNS1_3genE10ELNS1_11target_archE1201ELNS1_3gpuE5ELNS1_3repE0EEENS1_30default_config_static_selectorELNS0_4arch9wavefront6targetE0EEEvT1_.uses_flat_scratch, 0
	.set _ZN7rocprim17ROCPRIM_400000_NS6detail17trampoline_kernelINS0_14default_configENS1_27scan_by_key_config_selectorIj11FixedVectorIiLj1EEEEZZNS1_16scan_by_key_implILNS1_25lookback_scan_determinismE0ELb1ES3_N6thrust23THRUST_200600_302600_NS6detail15normal_iteratorINSB_10device_ptrIjEEEENSD_INSE_IS6_EEEESI_S6_NSB_4plusIvEENSB_8equal_toIvEES6_EE10hipError_tPvRmT2_T3_T4_T5_mT6_T7_P12ihipStream_tbENKUlT_T0_E_clISt17integral_constantIbLb1EES13_EEDaSY_SZ_EUlSY_E_NS1_11comp_targetILNS1_3genE10ELNS1_11target_archE1201ELNS1_3gpuE5ELNS1_3repE0EEENS1_30default_config_static_selectorELNS0_4arch9wavefront6targetE0EEEvT1_.has_dyn_sized_stack, 0
	.set _ZN7rocprim17ROCPRIM_400000_NS6detail17trampoline_kernelINS0_14default_configENS1_27scan_by_key_config_selectorIj11FixedVectorIiLj1EEEEZZNS1_16scan_by_key_implILNS1_25lookback_scan_determinismE0ELb1ES3_N6thrust23THRUST_200600_302600_NS6detail15normal_iteratorINSB_10device_ptrIjEEEENSD_INSE_IS6_EEEESI_S6_NSB_4plusIvEENSB_8equal_toIvEES6_EE10hipError_tPvRmT2_T3_T4_T5_mT6_T7_P12ihipStream_tbENKUlT_T0_E_clISt17integral_constantIbLb1EES13_EEDaSY_SZ_EUlSY_E_NS1_11comp_targetILNS1_3genE10ELNS1_11target_archE1201ELNS1_3gpuE5ELNS1_3repE0EEENS1_30default_config_static_selectorELNS0_4arch9wavefront6targetE0EEEvT1_.has_recursion, 0
	.set _ZN7rocprim17ROCPRIM_400000_NS6detail17trampoline_kernelINS0_14default_configENS1_27scan_by_key_config_selectorIj11FixedVectorIiLj1EEEEZZNS1_16scan_by_key_implILNS1_25lookback_scan_determinismE0ELb1ES3_N6thrust23THRUST_200600_302600_NS6detail15normal_iteratorINSB_10device_ptrIjEEEENSD_INSE_IS6_EEEESI_S6_NSB_4plusIvEENSB_8equal_toIvEES6_EE10hipError_tPvRmT2_T3_T4_T5_mT6_T7_P12ihipStream_tbENKUlT_T0_E_clISt17integral_constantIbLb1EES13_EEDaSY_SZ_EUlSY_E_NS1_11comp_targetILNS1_3genE10ELNS1_11target_archE1201ELNS1_3gpuE5ELNS1_3repE0EEENS1_30default_config_static_selectorELNS0_4arch9wavefront6targetE0EEEvT1_.has_indirect_call, 0
	.section	.AMDGPU.csdata,"",@progbits
; Kernel info:
; codeLenInByte = 0
; TotalNumSgprs: 0
; NumVgprs: 0
; ScratchSize: 0
; MemoryBound: 0
; FloatMode: 240
; IeeeMode: 1
; LDSByteSize: 0 bytes/workgroup (compile time only)
; SGPRBlocks: 0
; VGPRBlocks: 0
; NumSGPRsForWavesPerEU: 1
; NumVGPRsForWavesPerEU: 1
; Occupancy: 16
; WaveLimiterHint : 0
; COMPUTE_PGM_RSRC2:SCRATCH_EN: 0
; COMPUTE_PGM_RSRC2:USER_SGPR: 6
; COMPUTE_PGM_RSRC2:TRAP_HANDLER: 0
; COMPUTE_PGM_RSRC2:TGID_X_EN: 1
; COMPUTE_PGM_RSRC2:TGID_Y_EN: 0
; COMPUTE_PGM_RSRC2:TGID_Z_EN: 0
; COMPUTE_PGM_RSRC2:TIDIG_COMP_CNT: 0
	.section	.text._ZN7rocprim17ROCPRIM_400000_NS6detail17trampoline_kernelINS0_14default_configENS1_27scan_by_key_config_selectorIj11FixedVectorIiLj1EEEEZZNS1_16scan_by_key_implILNS1_25lookback_scan_determinismE0ELb1ES3_N6thrust23THRUST_200600_302600_NS6detail15normal_iteratorINSB_10device_ptrIjEEEENSD_INSE_IS6_EEEESI_S6_NSB_4plusIvEENSB_8equal_toIvEES6_EE10hipError_tPvRmT2_T3_T4_T5_mT6_T7_P12ihipStream_tbENKUlT_T0_E_clISt17integral_constantIbLb1EES13_EEDaSY_SZ_EUlSY_E_NS1_11comp_targetILNS1_3genE5ELNS1_11target_archE942ELNS1_3gpuE9ELNS1_3repE0EEENS1_30default_config_static_selectorELNS0_4arch9wavefront6targetE0EEEvT1_,"axG",@progbits,_ZN7rocprim17ROCPRIM_400000_NS6detail17trampoline_kernelINS0_14default_configENS1_27scan_by_key_config_selectorIj11FixedVectorIiLj1EEEEZZNS1_16scan_by_key_implILNS1_25lookback_scan_determinismE0ELb1ES3_N6thrust23THRUST_200600_302600_NS6detail15normal_iteratorINSB_10device_ptrIjEEEENSD_INSE_IS6_EEEESI_S6_NSB_4plusIvEENSB_8equal_toIvEES6_EE10hipError_tPvRmT2_T3_T4_T5_mT6_T7_P12ihipStream_tbENKUlT_T0_E_clISt17integral_constantIbLb1EES13_EEDaSY_SZ_EUlSY_E_NS1_11comp_targetILNS1_3genE5ELNS1_11target_archE942ELNS1_3gpuE9ELNS1_3repE0EEENS1_30default_config_static_selectorELNS0_4arch9wavefront6targetE0EEEvT1_,comdat
	.protected	_ZN7rocprim17ROCPRIM_400000_NS6detail17trampoline_kernelINS0_14default_configENS1_27scan_by_key_config_selectorIj11FixedVectorIiLj1EEEEZZNS1_16scan_by_key_implILNS1_25lookback_scan_determinismE0ELb1ES3_N6thrust23THRUST_200600_302600_NS6detail15normal_iteratorINSB_10device_ptrIjEEEENSD_INSE_IS6_EEEESI_S6_NSB_4plusIvEENSB_8equal_toIvEES6_EE10hipError_tPvRmT2_T3_T4_T5_mT6_T7_P12ihipStream_tbENKUlT_T0_E_clISt17integral_constantIbLb1EES13_EEDaSY_SZ_EUlSY_E_NS1_11comp_targetILNS1_3genE5ELNS1_11target_archE942ELNS1_3gpuE9ELNS1_3repE0EEENS1_30default_config_static_selectorELNS0_4arch9wavefront6targetE0EEEvT1_ ; -- Begin function _ZN7rocprim17ROCPRIM_400000_NS6detail17trampoline_kernelINS0_14default_configENS1_27scan_by_key_config_selectorIj11FixedVectorIiLj1EEEEZZNS1_16scan_by_key_implILNS1_25lookback_scan_determinismE0ELb1ES3_N6thrust23THRUST_200600_302600_NS6detail15normal_iteratorINSB_10device_ptrIjEEEENSD_INSE_IS6_EEEESI_S6_NSB_4plusIvEENSB_8equal_toIvEES6_EE10hipError_tPvRmT2_T3_T4_T5_mT6_T7_P12ihipStream_tbENKUlT_T0_E_clISt17integral_constantIbLb1EES13_EEDaSY_SZ_EUlSY_E_NS1_11comp_targetILNS1_3genE5ELNS1_11target_archE942ELNS1_3gpuE9ELNS1_3repE0EEENS1_30default_config_static_selectorELNS0_4arch9wavefront6targetE0EEEvT1_
	.globl	_ZN7rocprim17ROCPRIM_400000_NS6detail17trampoline_kernelINS0_14default_configENS1_27scan_by_key_config_selectorIj11FixedVectorIiLj1EEEEZZNS1_16scan_by_key_implILNS1_25lookback_scan_determinismE0ELb1ES3_N6thrust23THRUST_200600_302600_NS6detail15normal_iteratorINSB_10device_ptrIjEEEENSD_INSE_IS6_EEEESI_S6_NSB_4plusIvEENSB_8equal_toIvEES6_EE10hipError_tPvRmT2_T3_T4_T5_mT6_T7_P12ihipStream_tbENKUlT_T0_E_clISt17integral_constantIbLb1EES13_EEDaSY_SZ_EUlSY_E_NS1_11comp_targetILNS1_3genE5ELNS1_11target_archE942ELNS1_3gpuE9ELNS1_3repE0EEENS1_30default_config_static_selectorELNS0_4arch9wavefront6targetE0EEEvT1_
	.p2align	8
	.type	_ZN7rocprim17ROCPRIM_400000_NS6detail17trampoline_kernelINS0_14default_configENS1_27scan_by_key_config_selectorIj11FixedVectorIiLj1EEEEZZNS1_16scan_by_key_implILNS1_25lookback_scan_determinismE0ELb1ES3_N6thrust23THRUST_200600_302600_NS6detail15normal_iteratorINSB_10device_ptrIjEEEENSD_INSE_IS6_EEEESI_S6_NSB_4plusIvEENSB_8equal_toIvEES6_EE10hipError_tPvRmT2_T3_T4_T5_mT6_T7_P12ihipStream_tbENKUlT_T0_E_clISt17integral_constantIbLb1EES13_EEDaSY_SZ_EUlSY_E_NS1_11comp_targetILNS1_3genE5ELNS1_11target_archE942ELNS1_3gpuE9ELNS1_3repE0EEENS1_30default_config_static_selectorELNS0_4arch9wavefront6targetE0EEEvT1_,@function
_ZN7rocprim17ROCPRIM_400000_NS6detail17trampoline_kernelINS0_14default_configENS1_27scan_by_key_config_selectorIj11FixedVectorIiLj1EEEEZZNS1_16scan_by_key_implILNS1_25lookback_scan_determinismE0ELb1ES3_N6thrust23THRUST_200600_302600_NS6detail15normal_iteratorINSB_10device_ptrIjEEEENSD_INSE_IS6_EEEESI_S6_NSB_4plusIvEENSB_8equal_toIvEES6_EE10hipError_tPvRmT2_T3_T4_T5_mT6_T7_P12ihipStream_tbENKUlT_T0_E_clISt17integral_constantIbLb1EES13_EEDaSY_SZ_EUlSY_E_NS1_11comp_targetILNS1_3genE5ELNS1_11target_archE942ELNS1_3gpuE9ELNS1_3repE0EEENS1_30default_config_static_selectorELNS0_4arch9wavefront6targetE0EEEvT1_: ; @_ZN7rocprim17ROCPRIM_400000_NS6detail17trampoline_kernelINS0_14default_configENS1_27scan_by_key_config_selectorIj11FixedVectorIiLj1EEEEZZNS1_16scan_by_key_implILNS1_25lookback_scan_determinismE0ELb1ES3_N6thrust23THRUST_200600_302600_NS6detail15normal_iteratorINSB_10device_ptrIjEEEENSD_INSE_IS6_EEEESI_S6_NSB_4plusIvEENSB_8equal_toIvEES6_EE10hipError_tPvRmT2_T3_T4_T5_mT6_T7_P12ihipStream_tbENKUlT_T0_E_clISt17integral_constantIbLb1EES13_EEDaSY_SZ_EUlSY_E_NS1_11comp_targetILNS1_3genE5ELNS1_11target_archE942ELNS1_3gpuE9ELNS1_3repE0EEENS1_30default_config_static_selectorELNS0_4arch9wavefront6targetE0EEEvT1_
; %bb.0:
	.section	.rodata,"a",@progbits
	.p2align	6, 0x0
	.amdhsa_kernel _ZN7rocprim17ROCPRIM_400000_NS6detail17trampoline_kernelINS0_14default_configENS1_27scan_by_key_config_selectorIj11FixedVectorIiLj1EEEEZZNS1_16scan_by_key_implILNS1_25lookback_scan_determinismE0ELb1ES3_N6thrust23THRUST_200600_302600_NS6detail15normal_iteratorINSB_10device_ptrIjEEEENSD_INSE_IS6_EEEESI_S6_NSB_4plusIvEENSB_8equal_toIvEES6_EE10hipError_tPvRmT2_T3_T4_T5_mT6_T7_P12ihipStream_tbENKUlT_T0_E_clISt17integral_constantIbLb1EES13_EEDaSY_SZ_EUlSY_E_NS1_11comp_targetILNS1_3genE5ELNS1_11target_archE942ELNS1_3gpuE9ELNS1_3repE0EEENS1_30default_config_static_selectorELNS0_4arch9wavefront6targetE0EEEvT1_
		.amdhsa_group_segment_fixed_size 0
		.amdhsa_private_segment_fixed_size 0
		.amdhsa_kernarg_size 112
		.amdhsa_user_sgpr_count 6
		.amdhsa_user_sgpr_private_segment_buffer 1
		.amdhsa_user_sgpr_dispatch_ptr 0
		.amdhsa_user_sgpr_queue_ptr 0
		.amdhsa_user_sgpr_kernarg_segment_ptr 1
		.amdhsa_user_sgpr_dispatch_id 0
		.amdhsa_user_sgpr_flat_scratch_init 0
		.amdhsa_user_sgpr_private_segment_size 0
		.amdhsa_wavefront_size32 1
		.amdhsa_uses_dynamic_stack 0
		.amdhsa_system_sgpr_private_segment_wavefront_offset 0
		.amdhsa_system_sgpr_workgroup_id_x 1
		.amdhsa_system_sgpr_workgroup_id_y 0
		.amdhsa_system_sgpr_workgroup_id_z 0
		.amdhsa_system_sgpr_workgroup_info 0
		.amdhsa_system_vgpr_workitem_id 0
		.amdhsa_next_free_vgpr 1
		.amdhsa_next_free_sgpr 1
		.amdhsa_reserve_vcc 0
		.amdhsa_reserve_flat_scratch 0
		.amdhsa_float_round_mode_32 0
		.amdhsa_float_round_mode_16_64 0
		.amdhsa_float_denorm_mode_32 3
		.amdhsa_float_denorm_mode_16_64 3
		.amdhsa_dx10_clamp 1
		.amdhsa_ieee_mode 1
		.amdhsa_fp16_overflow 0
		.amdhsa_workgroup_processor_mode 1
		.amdhsa_memory_ordered 1
		.amdhsa_forward_progress 1
		.amdhsa_shared_vgpr_count 0
		.amdhsa_exception_fp_ieee_invalid_op 0
		.amdhsa_exception_fp_denorm_src 0
		.amdhsa_exception_fp_ieee_div_zero 0
		.amdhsa_exception_fp_ieee_overflow 0
		.amdhsa_exception_fp_ieee_underflow 0
		.amdhsa_exception_fp_ieee_inexact 0
		.amdhsa_exception_int_div_zero 0
	.end_amdhsa_kernel
	.section	.text._ZN7rocprim17ROCPRIM_400000_NS6detail17trampoline_kernelINS0_14default_configENS1_27scan_by_key_config_selectorIj11FixedVectorIiLj1EEEEZZNS1_16scan_by_key_implILNS1_25lookback_scan_determinismE0ELb1ES3_N6thrust23THRUST_200600_302600_NS6detail15normal_iteratorINSB_10device_ptrIjEEEENSD_INSE_IS6_EEEESI_S6_NSB_4plusIvEENSB_8equal_toIvEES6_EE10hipError_tPvRmT2_T3_T4_T5_mT6_T7_P12ihipStream_tbENKUlT_T0_E_clISt17integral_constantIbLb1EES13_EEDaSY_SZ_EUlSY_E_NS1_11comp_targetILNS1_3genE5ELNS1_11target_archE942ELNS1_3gpuE9ELNS1_3repE0EEENS1_30default_config_static_selectorELNS0_4arch9wavefront6targetE0EEEvT1_,"axG",@progbits,_ZN7rocprim17ROCPRIM_400000_NS6detail17trampoline_kernelINS0_14default_configENS1_27scan_by_key_config_selectorIj11FixedVectorIiLj1EEEEZZNS1_16scan_by_key_implILNS1_25lookback_scan_determinismE0ELb1ES3_N6thrust23THRUST_200600_302600_NS6detail15normal_iteratorINSB_10device_ptrIjEEEENSD_INSE_IS6_EEEESI_S6_NSB_4plusIvEENSB_8equal_toIvEES6_EE10hipError_tPvRmT2_T3_T4_T5_mT6_T7_P12ihipStream_tbENKUlT_T0_E_clISt17integral_constantIbLb1EES13_EEDaSY_SZ_EUlSY_E_NS1_11comp_targetILNS1_3genE5ELNS1_11target_archE942ELNS1_3gpuE9ELNS1_3repE0EEENS1_30default_config_static_selectorELNS0_4arch9wavefront6targetE0EEEvT1_,comdat
.Lfunc_end1922:
	.size	_ZN7rocprim17ROCPRIM_400000_NS6detail17trampoline_kernelINS0_14default_configENS1_27scan_by_key_config_selectorIj11FixedVectorIiLj1EEEEZZNS1_16scan_by_key_implILNS1_25lookback_scan_determinismE0ELb1ES3_N6thrust23THRUST_200600_302600_NS6detail15normal_iteratorINSB_10device_ptrIjEEEENSD_INSE_IS6_EEEESI_S6_NSB_4plusIvEENSB_8equal_toIvEES6_EE10hipError_tPvRmT2_T3_T4_T5_mT6_T7_P12ihipStream_tbENKUlT_T0_E_clISt17integral_constantIbLb1EES13_EEDaSY_SZ_EUlSY_E_NS1_11comp_targetILNS1_3genE5ELNS1_11target_archE942ELNS1_3gpuE9ELNS1_3repE0EEENS1_30default_config_static_selectorELNS0_4arch9wavefront6targetE0EEEvT1_, .Lfunc_end1922-_ZN7rocprim17ROCPRIM_400000_NS6detail17trampoline_kernelINS0_14default_configENS1_27scan_by_key_config_selectorIj11FixedVectorIiLj1EEEEZZNS1_16scan_by_key_implILNS1_25lookback_scan_determinismE0ELb1ES3_N6thrust23THRUST_200600_302600_NS6detail15normal_iteratorINSB_10device_ptrIjEEEENSD_INSE_IS6_EEEESI_S6_NSB_4plusIvEENSB_8equal_toIvEES6_EE10hipError_tPvRmT2_T3_T4_T5_mT6_T7_P12ihipStream_tbENKUlT_T0_E_clISt17integral_constantIbLb1EES13_EEDaSY_SZ_EUlSY_E_NS1_11comp_targetILNS1_3genE5ELNS1_11target_archE942ELNS1_3gpuE9ELNS1_3repE0EEENS1_30default_config_static_selectorELNS0_4arch9wavefront6targetE0EEEvT1_
                                        ; -- End function
	.set _ZN7rocprim17ROCPRIM_400000_NS6detail17trampoline_kernelINS0_14default_configENS1_27scan_by_key_config_selectorIj11FixedVectorIiLj1EEEEZZNS1_16scan_by_key_implILNS1_25lookback_scan_determinismE0ELb1ES3_N6thrust23THRUST_200600_302600_NS6detail15normal_iteratorINSB_10device_ptrIjEEEENSD_INSE_IS6_EEEESI_S6_NSB_4plusIvEENSB_8equal_toIvEES6_EE10hipError_tPvRmT2_T3_T4_T5_mT6_T7_P12ihipStream_tbENKUlT_T0_E_clISt17integral_constantIbLb1EES13_EEDaSY_SZ_EUlSY_E_NS1_11comp_targetILNS1_3genE5ELNS1_11target_archE942ELNS1_3gpuE9ELNS1_3repE0EEENS1_30default_config_static_selectorELNS0_4arch9wavefront6targetE0EEEvT1_.num_vgpr, 0
	.set _ZN7rocprim17ROCPRIM_400000_NS6detail17trampoline_kernelINS0_14default_configENS1_27scan_by_key_config_selectorIj11FixedVectorIiLj1EEEEZZNS1_16scan_by_key_implILNS1_25lookback_scan_determinismE0ELb1ES3_N6thrust23THRUST_200600_302600_NS6detail15normal_iteratorINSB_10device_ptrIjEEEENSD_INSE_IS6_EEEESI_S6_NSB_4plusIvEENSB_8equal_toIvEES6_EE10hipError_tPvRmT2_T3_T4_T5_mT6_T7_P12ihipStream_tbENKUlT_T0_E_clISt17integral_constantIbLb1EES13_EEDaSY_SZ_EUlSY_E_NS1_11comp_targetILNS1_3genE5ELNS1_11target_archE942ELNS1_3gpuE9ELNS1_3repE0EEENS1_30default_config_static_selectorELNS0_4arch9wavefront6targetE0EEEvT1_.num_agpr, 0
	.set _ZN7rocprim17ROCPRIM_400000_NS6detail17trampoline_kernelINS0_14default_configENS1_27scan_by_key_config_selectorIj11FixedVectorIiLj1EEEEZZNS1_16scan_by_key_implILNS1_25lookback_scan_determinismE0ELb1ES3_N6thrust23THRUST_200600_302600_NS6detail15normal_iteratorINSB_10device_ptrIjEEEENSD_INSE_IS6_EEEESI_S6_NSB_4plusIvEENSB_8equal_toIvEES6_EE10hipError_tPvRmT2_T3_T4_T5_mT6_T7_P12ihipStream_tbENKUlT_T0_E_clISt17integral_constantIbLb1EES13_EEDaSY_SZ_EUlSY_E_NS1_11comp_targetILNS1_3genE5ELNS1_11target_archE942ELNS1_3gpuE9ELNS1_3repE0EEENS1_30default_config_static_selectorELNS0_4arch9wavefront6targetE0EEEvT1_.numbered_sgpr, 0
	.set _ZN7rocprim17ROCPRIM_400000_NS6detail17trampoline_kernelINS0_14default_configENS1_27scan_by_key_config_selectorIj11FixedVectorIiLj1EEEEZZNS1_16scan_by_key_implILNS1_25lookback_scan_determinismE0ELb1ES3_N6thrust23THRUST_200600_302600_NS6detail15normal_iteratorINSB_10device_ptrIjEEEENSD_INSE_IS6_EEEESI_S6_NSB_4plusIvEENSB_8equal_toIvEES6_EE10hipError_tPvRmT2_T3_T4_T5_mT6_T7_P12ihipStream_tbENKUlT_T0_E_clISt17integral_constantIbLb1EES13_EEDaSY_SZ_EUlSY_E_NS1_11comp_targetILNS1_3genE5ELNS1_11target_archE942ELNS1_3gpuE9ELNS1_3repE0EEENS1_30default_config_static_selectorELNS0_4arch9wavefront6targetE0EEEvT1_.num_named_barrier, 0
	.set _ZN7rocprim17ROCPRIM_400000_NS6detail17trampoline_kernelINS0_14default_configENS1_27scan_by_key_config_selectorIj11FixedVectorIiLj1EEEEZZNS1_16scan_by_key_implILNS1_25lookback_scan_determinismE0ELb1ES3_N6thrust23THRUST_200600_302600_NS6detail15normal_iteratorINSB_10device_ptrIjEEEENSD_INSE_IS6_EEEESI_S6_NSB_4plusIvEENSB_8equal_toIvEES6_EE10hipError_tPvRmT2_T3_T4_T5_mT6_T7_P12ihipStream_tbENKUlT_T0_E_clISt17integral_constantIbLb1EES13_EEDaSY_SZ_EUlSY_E_NS1_11comp_targetILNS1_3genE5ELNS1_11target_archE942ELNS1_3gpuE9ELNS1_3repE0EEENS1_30default_config_static_selectorELNS0_4arch9wavefront6targetE0EEEvT1_.private_seg_size, 0
	.set _ZN7rocprim17ROCPRIM_400000_NS6detail17trampoline_kernelINS0_14default_configENS1_27scan_by_key_config_selectorIj11FixedVectorIiLj1EEEEZZNS1_16scan_by_key_implILNS1_25lookback_scan_determinismE0ELb1ES3_N6thrust23THRUST_200600_302600_NS6detail15normal_iteratorINSB_10device_ptrIjEEEENSD_INSE_IS6_EEEESI_S6_NSB_4plusIvEENSB_8equal_toIvEES6_EE10hipError_tPvRmT2_T3_T4_T5_mT6_T7_P12ihipStream_tbENKUlT_T0_E_clISt17integral_constantIbLb1EES13_EEDaSY_SZ_EUlSY_E_NS1_11comp_targetILNS1_3genE5ELNS1_11target_archE942ELNS1_3gpuE9ELNS1_3repE0EEENS1_30default_config_static_selectorELNS0_4arch9wavefront6targetE0EEEvT1_.uses_vcc, 0
	.set _ZN7rocprim17ROCPRIM_400000_NS6detail17trampoline_kernelINS0_14default_configENS1_27scan_by_key_config_selectorIj11FixedVectorIiLj1EEEEZZNS1_16scan_by_key_implILNS1_25lookback_scan_determinismE0ELb1ES3_N6thrust23THRUST_200600_302600_NS6detail15normal_iteratorINSB_10device_ptrIjEEEENSD_INSE_IS6_EEEESI_S6_NSB_4plusIvEENSB_8equal_toIvEES6_EE10hipError_tPvRmT2_T3_T4_T5_mT6_T7_P12ihipStream_tbENKUlT_T0_E_clISt17integral_constantIbLb1EES13_EEDaSY_SZ_EUlSY_E_NS1_11comp_targetILNS1_3genE5ELNS1_11target_archE942ELNS1_3gpuE9ELNS1_3repE0EEENS1_30default_config_static_selectorELNS0_4arch9wavefront6targetE0EEEvT1_.uses_flat_scratch, 0
	.set _ZN7rocprim17ROCPRIM_400000_NS6detail17trampoline_kernelINS0_14default_configENS1_27scan_by_key_config_selectorIj11FixedVectorIiLj1EEEEZZNS1_16scan_by_key_implILNS1_25lookback_scan_determinismE0ELb1ES3_N6thrust23THRUST_200600_302600_NS6detail15normal_iteratorINSB_10device_ptrIjEEEENSD_INSE_IS6_EEEESI_S6_NSB_4plusIvEENSB_8equal_toIvEES6_EE10hipError_tPvRmT2_T3_T4_T5_mT6_T7_P12ihipStream_tbENKUlT_T0_E_clISt17integral_constantIbLb1EES13_EEDaSY_SZ_EUlSY_E_NS1_11comp_targetILNS1_3genE5ELNS1_11target_archE942ELNS1_3gpuE9ELNS1_3repE0EEENS1_30default_config_static_selectorELNS0_4arch9wavefront6targetE0EEEvT1_.has_dyn_sized_stack, 0
	.set _ZN7rocprim17ROCPRIM_400000_NS6detail17trampoline_kernelINS0_14default_configENS1_27scan_by_key_config_selectorIj11FixedVectorIiLj1EEEEZZNS1_16scan_by_key_implILNS1_25lookback_scan_determinismE0ELb1ES3_N6thrust23THRUST_200600_302600_NS6detail15normal_iteratorINSB_10device_ptrIjEEEENSD_INSE_IS6_EEEESI_S6_NSB_4plusIvEENSB_8equal_toIvEES6_EE10hipError_tPvRmT2_T3_T4_T5_mT6_T7_P12ihipStream_tbENKUlT_T0_E_clISt17integral_constantIbLb1EES13_EEDaSY_SZ_EUlSY_E_NS1_11comp_targetILNS1_3genE5ELNS1_11target_archE942ELNS1_3gpuE9ELNS1_3repE0EEENS1_30default_config_static_selectorELNS0_4arch9wavefront6targetE0EEEvT1_.has_recursion, 0
	.set _ZN7rocprim17ROCPRIM_400000_NS6detail17trampoline_kernelINS0_14default_configENS1_27scan_by_key_config_selectorIj11FixedVectorIiLj1EEEEZZNS1_16scan_by_key_implILNS1_25lookback_scan_determinismE0ELb1ES3_N6thrust23THRUST_200600_302600_NS6detail15normal_iteratorINSB_10device_ptrIjEEEENSD_INSE_IS6_EEEESI_S6_NSB_4plusIvEENSB_8equal_toIvEES6_EE10hipError_tPvRmT2_T3_T4_T5_mT6_T7_P12ihipStream_tbENKUlT_T0_E_clISt17integral_constantIbLb1EES13_EEDaSY_SZ_EUlSY_E_NS1_11comp_targetILNS1_3genE5ELNS1_11target_archE942ELNS1_3gpuE9ELNS1_3repE0EEENS1_30default_config_static_selectorELNS0_4arch9wavefront6targetE0EEEvT1_.has_indirect_call, 0
	.section	.AMDGPU.csdata,"",@progbits
; Kernel info:
; codeLenInByte = 0
; TotalNumSgprs: 0
; NumVgprs: 0
; ScratchSize: 0
; MemoryBound: 0
; FloatMode: 240
; IeeeMode: 1
; LDSByteSize: 0 bytes/workgroup (compile time only)
; SGPRBlocks: 0
; VGPRBlocks: 0
; NumSGPRsForWavesPerEU: 1
; NumVGPRsForWavesPerEU: 1
; Occupancy: 16
; WaveLimiterHint : 0
; COMPUTE_PGM_RSRC2:SCRATCH_EN: 0
; COMPUTE_PGM_RSRC2:USER_SGPR: 6
; COMPUTE_PGM_RSRC2:TRAP_HANDLER: 0
; COMPUTE_PGM_RSRC2:TGID_X_EN: 1
; COMPUTE_PGM_RSRC2:TGID_Y_EN: 0
; COMPUTE_PGM_RSRC2:TGID_Z_EN: 0
; COMPUTE_PGM_RSRC2:TIDIG_COMP_CNT: 0
	.section	.text._ZN7rocprim17ROCPRIM_400000_NS6detail17trampoline_kernelINS0_14default_configENS1_27scan_by_key_config_selectorIj11FixedVectorIiLj1EEEEZZNS1_16scan_by_key_implILNS1_25lookback_scan_determinismE0ELb1ES3_N6thrust23THRUST_200600_302600_NS6detail15normal_iteratorINSB_10device_ptrIjEEEENSD_INSE_IS6_EEEESI_S6_NSB_4plusIvEENSB_8equal_toIvEES6_EE10hipError_tPvRmT2_T3_T4_T5_mT6_T7_P12ihipStream_tbENKUlT_T0_E_clISt17integral_constantIbLb1EES13_EEDaSY_SZ_EUlSY_E_NS1_11comp_targetILNS1_3genE4ELNS1_11target_archE910ELNS1_3gpuE8ELNS1_3repE0EEENS1_30default_config_static_selectorELNS0_4arch9wavefront6targetE0EEEvT1_,"axG",@progbits,_ZN7rocprim17ROCPRIM_400000_NS6detail17trampoline_kernelINS0_14default_configENS1_27scan_by_key_config_selectorIj11FixedVectorIiLj1EEEEZZNS1_16scan_by_key_implILNS1_25lookback_scan_determinismE0ELb1ES3_N6thrust23THRUST_200600_302600_NS6detail15normal_iteratorINSB_10device_ptrIjEEEENSD_INSE_IS6_EEEESI_S6_NSB_4plusIvEENSB_8equal_toIvEES6_EE10hipError_tPvRmT2_T3_T4_T5_mT6_T7_P12ihipStream_tbENKUlT_T0_E_clISt17integral_constantIbLb1EES13_EEDaSY_SZ_EUlSY_E_NS1_11comp_targetILNS1_3genE4ELNS1_11target_archE910ELNS1_3gpuE8ELNS1_3repE0EEENS1_30default_config_static_selectorELNS0_4arch9wavefront6targetE0EEEvT1_,comdat
	.protected	_ZN7rocprim17ROCPRIM_400000_NS6detail17trampoline_kernelINS0_14default_configENS1_27scan_by_key_config_selectorIj11FixedVectorIiLj1EEEEZZNS1_16scan_by_key_implILNS1_25lookback_scan_determinismE0ELb1ES3_N6thrust23THRUST_200600_302600_NS6detail15normal_iteratorINSB_10device_ptrIjEEEENSD_INSE_IS6_EEEESI_S6_NSB_4plusIvEENSB_8equal_toIvEES6_EE10hipError_tPvRmT2_T3_T4_T5_mT6_T7_P12ihipStream_tbENKUlT_T0_E_clISt17integral_constantIbLb1EES13_EEDaSY_SZ_EUlSY_E_NS1_11comp_targetILNS1_3genE4ELNS1_11target_archE910ELNS1_3gpuE8ELNS1_3repE0EEENS1_30default_config_static_selectorELNS0_4arch9wavefront6targetE0EEEvT1_ ; -- Begin function _ZN7rocprim17ROCPRIM_400000_NS6detail17trampoline_kernelINS0_14default_configENS1_27scan_by_key_config_selectorIj11FixedVectorIiLj1EEEEZZNS1_16scan_by_key_implILNS1_25lookback_scan_determinismE0ELb1ES3_N6thrust23THRUST_200600_302600_NS6detail15normal_iteratorINSB_10device_ptrIjEEEENSD_INSE_IS6_EEEESI_S6_NSB_4plusIvEENSB_8equal_toIvEES6_EE10hipError_tPvRmT2_T3_T4_T5_mT6_T7_P12ihipStream_tbENKUlT_T0_E_clISt17integral_constantIbLb1EES13_EEDaSY_SZ_EUlSY_E_NS1_11comp_targetILNS1_3genE4ELNS1_11target_archE910ELNS1_3gpuE8ELNS1_3repE0EEENS1_30default_config_static_selectorELNS0_4arch9wavefront6targetE0EEEvT1_
	.globl	_ZN7rocprim17ROCPRIM_400000_NS6detail17trampoline_kernelINS0_14default_configENS1_27scan_by_key_config_selectorIj11FixedVectorIiLj1EEEEZZNS1_16scan_by_key_implILNS1_25lookback_scan_determinismE0ELb1ES3_N6thrust23THRUST_200600_302600_NS6detail15normal_iteratorINSB_10device_ptrIjEEEENSD_INSE_IS6_EEEESI_S6_NSB_4plusIvEENSB_8equal_toIvEES6_EE10hipError_tPvRmT2_T3_T4_T5_mT6_T7_P12ihipStream_tbENKUlT_T0_E_clISt17integral_constantIbLb1EES13_EEDaSY_SZ_EUlSY_E_NS1_11comp_targetILNS1_3genE4ELNS1_11target_archE910ELNS1_3gpuE8ELNS1_3repE0EEENS1_30default_config_static_selectorELNS0_4arch9wavefront6targetE0EEEvT1_
	.p2align	8
	.type	_ZN7rocprim17ROCPRIM_400000_NS6detail17trampoline_kernelINS0_14default_configENS1_27scan_by_key_config_selectorIj11FixedVectorIiLj1EEEEZZNS1_16scan_by_key_implILNS1_25lookback_scan_determinismE0ELb1ES3_N6thrust23THRUST_200600_302600_NS6detail15normal_iteratorINSB_10device_ptrIjEEEENSD_INSE_IS6_EEEESI_S6_NSB_4plusIvEENSB_8equal_toIvEES6_EE10hipError_tPvRmT2_T3_T4_T5_mT6_T7_P12ihipStream_tbENKUlT_T0_E_clISt17integral_constantIbLb1EES13_EEDaSY_SZ_EUlSY_E_NS1_11comp_targetILNS1_3genE4ELNS1_11target_archE910ELNS1_3gpuE8ELNS1_3repE0EEENS1_30default_config_static_selectorELNS0_4arch9wavefront6targetE0EEEvT1_,@function
_ZN7rocprim17ROCPRIM_400000_NS6detail17trampoline_kernelINS0_14default_configENS1_27scan_by_key_config_selectorIj11FixedVectorIiLj1EEEEZZNS1_16scan_by_key_implILNS1_25lookback_scan_determinismE0ELb1ES3_N6thrust23THRUST_200600_302600_NS6detail15normal_iteratorINSB_10device_ptrIjEEEENSD_INSE_IS6_EEEESI_S6_NSB_4plusIvEENSB_8equal_toIvEES6_EE10hipError_tPvRmT2_T3_T4_T5_mT6_T7_P12ihipStream_tbENKUlT_T0_E_clISt17integral_constantIbLb1EES13_EEDaSY_SZ_EUlSY_E_NS1_11comp_targetILNS1_3genE4ELNS1_11target_archE910ELNS1_3gpuE8ELNS1_3repE0EEENS1_30default_config_static_selectorELNS0_4arch9wavefront6targetE0EEEvT1_: ; @_ZN7rocprim17ROCPRIM_400000_NS6detail17trampoline_kernelINS0_14default_configENS1_27scan_by_key_config_selectorIj11FixedVectorIiLj1EEEEZZNS1_16scan_by_key_implILNS1_25lookback_scan_determinismE0ELb1ES3_N6thrust23THRUST_200600_302600_NS6detail15normal_iteratorINSB_10device_ptrIjEEEENSD_INSE_IS6_EEEESI_S6_NSB_4plusIvEENSB_8equal_toIvEES6_EE10hipError_tPvRmT2_T3_T4_T5_mT6_T7_P12ihipStream_tbENKUlT_T0_E_clISt17integral_constantIbLb1EES13_EEDaSY_SZ_EUlSY_E_NS1_11comp_targetILNS1_3genE4ELNS1_11target_archE910ELNS1_3gpuE8ELNS1_3repE0EEENS1_30default_config_static_selectorELNS0_4arch9wavefront6targetE0EEEvT1_
; %bb.0:
	.section	.rodata,"a",@progbits
	.p2align	6, 0x0
	.amdhsa_kernel _ZN7rocprim17ROCPRIM_400000_NS6detail17trampoline_kernelINS0_14default_configENS1_27scan_by_key_config_selectorIj11FixedVectorIiLj1EEEEZZNS1_16scan_by_key_implILNS1_25lookback_scan_determinismE0ELb1ES3_N6thrust23THRUST_200600_302600_NS6detail15normal_iteratorINSB_10device_ptrIjEEEENSD_INSE_IS6_EEEESI_S6_NSB_4plusIvEENSB_8equal_toIvEES6_EE10hipError_tPvRmT2_T3_T4_T5_mT6_T7_P12ihipStream_tbENKUlT_T0_E_clISt17integral_constantIbLb1EES13_EEDaSY_SZ_EUlSY_E_NS1_11comp_targetILNS1_3genE4ELNS1_11target_archE910ELNS1_3gpuE8ELNS1_3repE0EEENS1_30default_config_static_selectorELNS0_4arch9wavefront6targetE0EEEvT1_
		.amdhsa_group_segment_fixed_size 0
		.amdhsa_private_segment_fixed_size 0
		.amdhsa_kernarg_size 112
		.amdhsa_user_sgpr_count 6
		.amdhsa_user_sgpr_private_segment_buffer 1
		.amdhsa_user_sgpr_dispatch_ptr 0
		.amdhsa_user_sgpr_queue_ptr 0
		.amdhsa_user_sgpr_kernarg_segment_ptr 1
		.amdhsa_user_sgpr_dispatch_id 0
		.amdhsa_user_sgpr_flat_scratch_init 0
		.amdhsa_user_sgpr_private_segment_size 0
		.amdhsa_wavefront_size32 1
		.amdhsa_uses_dynamic_stack 0
		.amdhsa_system_sgpr_private_segment_wavefront_offset 0
		.amdhsa_system_sgpr_workgroup_id_x 1
		.amdhsa_system_sgpr_workgroup_id_y 0
		.amdhsa_system_sgpr_workgroup_id_z 0
		.amdhsa_system_sgpr_workgroup_info 0
		.amdhsa_system_vgpr_workitem_id 0
		.amdhsa_next_free_vgpr 1
		.amdhsa_next_free_sgpr 1
		.amdhsa_reserve_vcc 0
		.amdhsa_reserve_flat_scratch 0
		.amdhsa_float_round_mode_32 0
		.amdhsa_float_round_mode_16_64 0
		.amdhsa_float_denorm_mode_32 3
		.amdhsa_float_denorm_mode_16_64 3
		.amdhsa_dx10_clamp 1
		.amdhsa_ieee_mode 1
		.amdhsa_fp16_overflow 0
		.amdhsa_workgroup_processor_mode 1
		.amdhsa_memory_ordered 1
		.amdhsa_forward_progress 1
		.amdhsa_shared_vgpr_count 0
		.amdhsa_exception_fp_ieee_invalid_op 0
		.amdhsa_exception_fp_denorm_src 0
		.amdhsa_exception_fp_ieee_div_zero 0
		.amdhsa_exception_fp_ieee_overflow 0
		.amdhsa_exception_fp_ieee_underflow 0
		.amdhsa_exception_fp_ieee_inexact 0
		.amdhsa_exception_int_div_zero 0
	.end_amdhsa_kernel
	.section	.text._ZN7rocprim17ROCPRIM_400000_NS6detail17trampoline_kernelINS0_14default_configENS1_27scan_by_key_config_selectorIj11FixedVectorIiLj1EEEEZZNS1_16scan_by_key_implILNS1_25lookback_scan_determinismE0ELb1ES3_N6thrust23THRUST_200600_302600_NS6detail15normal_iteratorINSB_10device_ptrIjEEEENSD_INSE_IS6_EEEESI_S6_NSB_4plusIvEENSB_8equal_toIvEES6_EE10hipError_tPvRmT2_T3_T4_T5_mT6_T7_P12ihipStream_tbENKUlT_T0_E_clISt17integral_constantIbLb1EES13_EEDaSY_SZ_EUlSY_E_NS1_11comp_targetILNS1_3genE4ELNS1_11target_archE910ELNS1_3gpuE8ELNS1_3repE0EEENS1_30default_config_static_selectorELNS0_4arch9wavefront6targetE0EEEvT1_,"axG",@progbits,_ZN7rocprim17ROCPRIM_400000_NS6detail17trampoline_kernelINS0_14default_configENS1_27scan_by_key_config_selectorIj11FixedVectorIiLj1EEEEZZNS1_16scan_by_key_implILNS1_25lookback_scan_determinismE0ELb1ES3_N6thrust23THRUST_200600_302600_NS6detail15normal_iteratorINSB_10device_ptrIjEEEENSD_INSE_IS6_EEEESI_S6_NSB_4plusIvEENSB_8equal_toIvEES6_EE10hipError_tPvRmT2_T3_T4_T5_mT6_T7_P12ihipStream_tbENKUlT_T0_E_clISt17integral_constantIbLb1EES13_EEDaSY_SZ_EUlSY_E_NS1_11comp_targetILNS1_3genE4ELNS1_11target_archE910ELNS1_3gpuE8ELNS1_3repE0EEENS1_30default_config_static_selectorELNS0_4arch9wavefront6targetE0EEEvT1_,comdat
.Lfunc_end1923:
	.size	_ZN7rocprim17ROCPRIM_400000_NS6detail17trampoline_kernelINS0_14default_configENS1_27scan_by_key_config_selectorIj11FixedVectorIiLj1EEEEZZNS1_16scan_by_key_implILNS1_25lookback_scan_determinismE0ELb1ES3_N6thrust23THRUST_200600_302600_NS6detail15normal_iteratorINSB_10device_ptrIjEEEENSD_INSE_IS6_EEEESI_S6_NSB_4plusIvEENSB_8equal_toIvEES6_EE10hipError_tPvRmT2_T3_T4_T5_mT6_T7_P12ihipStream_tbENKUlT_T0_E_clISt17integral_constantIbLb1EES13_EEDaSY_SZ_EUlSY_E_NS1_11comp_targetILNS1_3genE4ELNS1_11target_archE910ELNS1_3gpuE8ELNS1_3repE0EEENS1_30default_config_static_selectorELNS0_4arch9wavefront6targetE0EEEvT1_, .Lfunc_end1923-_ZN7rocprim17ROCPRIM_400000_NS6detail17trampoline_kernelINS0_14default_configENS1_27scan_by_key_config_selectorIj11FixedVectorIiLj1EEEEZZNS1_16scan_by_key_implILNS1_25lookback_scan_determinismE0ELb1ES3_N6thrust23THRUST_200600_302600_NS6detail15normal_iteratorINSB_10device_ptrIjEEEENSD_INSE_IS6_EEEESI_S6_NSB_4plusIvEENSB_8equal_toIvEES6_EE10hipError_tPvRmT2_T3_T4_T5_mT6_T7_P12ihipStream_tbENKUlT_T0_E_clISt17integral_constantIbLb1EES13_EEDaSY_SZ_EUlSY_E_NS1_11comp_targetILNS1_3genE4ELNS1_11target_archE910ELNS1_3gpuE8ELNS1_3repE0EEENS1_30default_config_static_selectorELNS0_4arch9wavefront6targetE0EEEvT1_
                                        ; -- End function
	.set _ZN7rocprim17ROCPRIM_400000_NS6detail17trampoline_kernelINS0_14default_configENS1_27scan_by_key_config_selectorIj11FixedVectorIiLj1EEEEZZNS1_16scan_by_key_implILNS1_25lookback_scan_determinismE0ELb1ES3_N6thrust23THRUST_200600_302600_NS6detail15normal_iteratorINSB_10device_ptrIjEEEENSD_INSE_IS6_EEEESI_S6_NSB_4plusIvEENSB_8equal_toIvEES6_EE10hipError_tPvRmT2_T3_T4_T5_mT6_T7_P12ihipStream_tbENKUlT_T0_E_clISt17integral_constantIbLb1EES13_EEDaSY_SZ_EUlSY_E_NS1_11comp_targetILNS1_3genE4ELNS1_11target_archE910ELNS1_3gpuE8ELNS1_3repE0EEENS1_30default_config_static_selectorELNS0_4arch9wavefront6targetE0EEEvT1_.num_vgpr, 0
	.set _ZN7rocprim17ROCPRIM_400000_NS6detail17trampoline_kernelINS0_14default_configENS1_27scan_by_key_config_selectorIj11FixedVectorIiLj1EEEEZZNS1_16scan_by_key_implILNS1_25lookback_scan_determinismE0ELb1ES3_N6thrust23THRUST_200600_302600_NS6detail15normal_iteratorINSB_10device_ptrIjEEEENSD_INSE_IS6_EEEESI_S6_NSB_4plusIvEENSB_8equal_toIvEES6_EE10hipError_tPvRmT2_T3_T4_T5_mT6_T7_P12ihipStream_tbENKUlT_T0_E_clISt17integral_constantIbLb1EES13_EEDaSY_SZ_EUlSY_E_NS1_11comp_targetILNS1_3genE4ELNS1_11target_archE910ELNS1_3gpuE8ELNS1_3repE0EEENS1_30default_config_static_selectorELNS0_4arch9wavefront6targetE0EEEvT1_.num_agpr, 0
	.set _ZN7rocprim17ROCPRIM_400000_NS6detail17trampoline_kernelINS0_14default_configENS1_27scan_by_key_config_selectorIj11FixedVectorIiLj1EEEEZZNS1_16scan_by_key_implILNS1_25lookback_scan_determinismE0ELb1ES3_N6thrust23THRUST_200600_302600_NS6detail15normal_iteratorINSB_10device_ptrIjEEEENSD_INSE_IS6_EEEESI_S6_NSB_4plusIvEENSB_8equal_toIvEES6_EE10hipError_tPvRmT2_T3_T4_T5_mT6_T7_P12ihipStream_tbENKUlT_T0_E_clISt17integral_constantIbLb1EES13_EEDaSY_SZ_EUlSY_E_NS1_11comp_targetILNS1_3genE4ELNS1_11target_archE910ELNS1_3gpuE8ELNS1_3repE0EEENS1_30default_config_static_selectorELNS0_4arch9wavefront6targetE0EEEvT1_.numbered_sgpr, 0
	.set _ZN7rocprim17ROCPRIM_400000_NS6detail17trampoline_kernelINS0_14default_configENS1_27scan_by_key_config_selectorIj11FixedVectorIiLj1EEEEZZNS1_16scan_by_key_implILNS1_25lookback_scan_determinismE0ELb1ES3_N6thrust23THRUST_200600_302600_NS6detail15normal_iteratorINSB_10device_ptrIjEEEENSD_INSE_IS6_EEEESI_S6_NSB_4plusIvEENSB_8equal_toIvEES6_EE10hipError_tPvRmT2_T3_T4_T5_mT6_T7_P12ihipStream_tbENKUlT_T0_E_clISt17integral_constantIbLb1EES13_EEDaSY_SZ_EUlSY_E_NS1_11comp_targetILNS1_3genE4ELNS1_11target_archE910ELNS1_3gpuE8ELNS1_3repE0EEENS1_30default_config_static_selectorELNS0_4arch9wavefront6targetE0EEEvT1_.num_named_barrier, 0
	.set _ZN7rocprim17ROCPRIM_400000_NS6detail17trampoline_kernelINS0_14default_configENS1_27scan_by_key_config_selectorIj11FixedVectorIiLj1EEEEZZNS1_16scan_by_key_implILNS1_25lookback_scan_determinismE0ELb1ES3_N6thrust23THRUST_200600_302600_NS6detail15normal_iteratorINSB_10device_ptrIjEEEENSD_INSE_IS6_EEEESI_S6_NSB_4plusIvEENSB_8equal_toIvEES6_EE10hipError_tPvRmT2_T3_T4_T5_mT6_T7_P12ihipStream_tbENKUlT_T0_E_clISt17integral_constantIbLb1EES13_EEDaSY_SZ_EUlSY_E_NS1_11comp_targetILNS1_3genE4ELNS1_11target_archE910ELNS1_3gpuE8ELNS1_3repE0EEENS1_30default_config_static_selectorELNS0_4arch9wavefront6targetE0EEEvT1_.private_seg_size, 0
	.set _ZN7rocprim17ROCPRIM_400000_NS6detail17trampoline_kernelINS0_14default_configENS1_27scan_by_key_config_selectorIj11FixedVectorIiLj1EEEEZZNS1_16scan_by_key_implILNS1_25lookback_scan_determinismE0ELb1ES3_N6thrust23THRUST_200600_302600_NS6detail15normal_iteratorINSB_10device_ptrIjEEEENSD_INSE_IS6_EEEESI_S6_NSB_4plusIvEENSB_8equal_toIvEES6_EE10hipError_tPvRmT2_T3_T4_T5_mT6_T7_P12ihipStream_tbENKUlT_T0_E_clISt17integral_constantIbLb1EES13_EEDaSY_SZ_EUlSY_E_NS1_11comp_targetILNS1_3genE4ELNS1_11target_archE910ELNS1_3gpuE8ELNS1_3repE0EEENS1_30default_config_static_selectorELNS0_4arch9wavefront6targetE0EEEvT1_.uses_vcc, 0
	.set _ZN7rocprim17ROCPRIM_400000_NS6detail17trampoline_kernelINS0_14default_configENS1_27scan_by_key_config_selectorIj11FixedVectorIiLj1EEEEZZNS1_16scan_by_key_implILNS1_25lookback_scan_determinismE0ELb1ES3_N6thrust23THRUST_200600_302600_NS6detail15normal_iteratorINSB_10device_ptrIjEEEENSD_INSE_IS6_EEEESI_S6_NSB_4plusIvEENSB_8equal_toIvEES6_EE10hipError_tPvRmT2_T3_T4_T5_mT6_T7_P12ihipStream_tbENKUlT_T0_E_clISt17integral_constantIbLb1EES13_EEDaSY_SZ_EUlSY_E_NS1_11comp_targetILNS1_3genE4ELNS1_11target_archE910ELNS1_3gpuE8ELNS1_3repE0EEENS1_30default_config_static_selectorELNS0_4arch9wavefront6targetE0EEEvT1_.uses_flat_scratch, 0
	.set _ZN7rocprim17ROCPRIM_400000_NS6detail17trampoline_kernelINS0_14default_configENS1_27scan_by_key_config_selectorIj11FixedVectorIiLj1EEEEZZNS1_16scan_by_key_implILNS1_25lookback_scan_determinismE0ELb1ES3_N6thrust23THRUST_200600_302600_NS6detail15normal_iteratorINSB_10device_ptrIjEEEENSD_INSE_IS6_EEEESI_S6_NSB_4plusIvEENSB_8equal_toIvEES6_EE10hipError_tPvRmT2_T3_T4_T5_mT6_T7_P12ihipStream_tbENKUlT_T0_E_clISt17integral_constantIbLb1EES13_EEDaSY_SZ_EUlSY_E_NS1_11comp_targetILNS1_3genE4ELNS1_11target_archE910ELNS1_3gpuE8ELNS1_3repE0EEENS1_30default_config_static_selectorELNS0_4arch9wavefront6targetE0EEEvT1_.has_dyn_sized_stack, 0
	.set _ZN7rocprim17ROCPRIM_400000_NS6detail17trampoline_kernelINS0_14default_configENS1_27scan_by_key_config_selectorIj11FixedVectorIiLj1EEEEZZNS1_16scan_by_key_implILNS1_25lookback_scan_determinismE0ELb1ES3_N6thrust23THRUST_200600_302600_NS6detail15normal_iteratorINSB_10device_ptrIjEEEENSD_INSE_IS6_EEEESI_S6_NSB_4plusIvEENSB_8equal_toIvEES6_EE10hipError_tPvRmT2_T3_T4_T5_mT6_T7_P12ihipStream_tbENKUlT_T0_E_clISt17integral_constantIbLb1EES13_EEDaSY_SZ_EUlSY_E_NS1_11comp_targetILNS1_3genE4ELNS1_11target_archE910ELNS1_3gpuE8ELNS1_3repE0EEENS1_30default_config_static_selectorELNS0_4arch9wavefront6targetE0EEEvT1_.has_recursion, 0
	.set _ZN7rocprim17ROCPRIM_400000_NS6detail17trampoline_kernelINS0_14default_configENS1_27scan_by_key_config_selectorIj11FixedVectorIiLj1EEEEZZNS1_16scan_by_key_implILNS1_25lookback_scan_determinismE0ELb1ES3_N6thrust23THRUST_200600_302600_NS6detail15normal_iteratorINSB_10device_ptrIjEEEENSD_INSE_IS6_EEEESI_S6_NSB_4plusIvEENSB_8equal_toIvEES6_EE10hipError_tPvRmT2_T3_T4_T5_mT6_T7_P12ihipStream_tbENKUlT_T0_E_clISt17integral_constantIbLb1EES13_EEDaSY_SZ_EUlSY_E_NS1_11comp_targetILNS1_3genE4ELNS1_11target_archE910ELNS1_3gpuE8ELNS1_3repE0EEENS1_30default_config_static_selectorELNS0_4arch9wavefront6targetE0EEEvT1_.has_indirect_call, 0
	.section	.AMDGPU.csdata,"",@progbits
; Kernel info:
; codeLenInByte = 0
; TotalNumSgprs: 0
; NumVgprs: 0
; ScratchSize: 0
; MemoryBound: 0
; FloatMode: 240
; IeeeMode: 1
; LDSByteSize: 0 bytes/workgroup (compile time only)
; SGPRBlocks: 0
; VGPRBlocks: 0
; NumSGPRsForWavesPerEU: 1
; NumVGPRsForWavesPerEU: 1
; Occupancy: 16
; WaveLimiterHint : 0
; COMPUTE_PGM_RSRC2:SCRATCH_EN: 0
; COMPUTE_PGM_RSRC2:USER_SGPR: 6
; COMPUTE_PGM_RSRC2:TRAP_HANDLER: 0
; COMPUTE_PGM_RSRC2:TGID_X_EN: 1
; COMPUTE_PGM_RSRC2:TGID_Y_EN: 0
; COMPUTE_PGM_RSRC2:TGID_Z_EN: 0
; COMPUTE_PGM_RSRC2:TIDIG_COMP_CNT: 0
	.section	.text._ZN7rocprim17ROCPRIM_400000_NS6detail17trampoline_kernelINS0_14default_configENS1_27scan_by_key_config_selectorIj11FixedVectorIiLj1EEEEZZNS1_16scan_by_key_implILNS1_25lookback_scan_determinismE0ELb1ES3_N6thrust23THRUST_200600_302600_NS6detail15normal_iteratorINSB_10device_ptrIjEEEENSD_INSE_IS6_EEEESI_S6_NSB_4plusIvEENSB_8equal_toIvEES6_EE10hipError_tPvRmT2_T3_T4_T5_mT6_T7_P12ihipStream_tbENKUlT_T0_E_clISt17integral_constantIbLb1EES13_EEDaSY_SZ_EUlSY_E_NS1_11comp_targetILNS1_3genE3ELNS1_11target_archE908ELNS1_3gpuE7ELNS1_3repE0EEENS1_30default_config_static_selectorELNS0_4arch9wavefront6targetE0EEEvT1_,"axG",@progbits,_ZN7rocprim17ROCPRIM_400000_NS6detail17trampoline_kernelINS0_14default_configENS1_27scan_by_key_config_selectorIj11FixedVectorIiLj1EEEEZZNS1_16scan_by_key_implILNS1_25lookback_scan_determinismE0ELb1ES3_N6thrust23THRUST_200600_302600_NS6detail15normal_iteratorINSB_10device_ptrIjEEEENSD_INSE_IS6_EEEESI_S6_NSB_4plusIvEENSB_8equal_toIvEES6_EE10hipError_tPvRmT2_T3_T4_T5_mT6_T7_P12ihipStream_tbENKUlT_T0_E_clISt17integral_constantIbLb1EES13_EEDaSY_SZ_EUlSY_E_NS1_11comp_targetILNS1_3genE3ELNS1_11target_archE908ELNS1_3gpuE7ELNS1_3repE0EEENS1_30default_config_static_selectorELNS0_4arch9wavefront6targetE0EEEvT1_,comdat
	.protected	_ZN7rocprim17ROCPRIM_400000_NS6detail17trampoline_kernelINS0_14default_configENS1_27scan_by_key_config_selectorIj11FixedVectorIiLj1EEEEZZNS1_16scan_by_key_implILNS1_25lookback_scan_determinismE0ELb1ES3_N6thrust23THRUST_200600_302600_NS6detail15normal_iteratorINSB_10device_ptrIjEEEENSD_INSE_IS6_EEEESI_S6_NSB_4plusIvEENSB_8equal_toIvEES6_EE10hipError_tPvRmT2_T3_T4_T5_mT6_T7_P12ihipStream_tbENKUlT_T0_E_clISt17integral_constantIbLb1EES13_EEDaSY_SZ_EUlSY_E_NS1_11comp_targetILNS1_3genE3ELNS1_11target_archE908ELNS1_3gpuE7ELNS1_3repE0EEENS1_30default_config_static_selectorELNS0_4arch9wavefront6targetE0EEEvT1_ ; -- Begin function _ZN7rocprim17ROCPRIM_400000_NS6detail17trampoline_kernelINS0_14default_configENS1_27scan_by_key_config_selectorIj11FixedVectorIiLj1EEEEZZNS1_16scan_by_key_implILNS1_25lookback_scan_determinismE0ELb1ES3_N6thrust23THRUST_200600_302600_NS6detail15normal_iteratorINSB_10device_ptrIjEEEENSD_INSE_IS6_EEEESI_S6_NSB_4plusIvEENSB_8equal_toIvEES6_EE10hipError_tPvRmT2_T3_T4_T5_mT6_T7_P12ihipStream_tbENKUlT_T0_E_clISt17integral_constantIbLb1EES13_EEDaSY_SZ_EUlSY_E_NS1_11comp_targetILNS1_3genE3ELNS1_11target_archE908ELNS1_3gpuE7ELNS1_3repE0EEENS1_30default_config_static_selectorELNS0_4arch9wavefront6targetE0EEEvT1_
	.globl	_ZN7rocprim17ROCPRIM_400000_NS6detail17trampoline_kernelINS0_14default_configENS1_27scan_by_key_config_selectorIj11FixedVectorIiLj1EEEEZZNS1_16scan_by_key_implILNS1_25lookback_scan_determinismE0ELb1ES3_N6thrust23THRUST_200600_302600_NS6detail15normal_iteratorINSB_10device_ptrIjEEEENSD_INSE_IS6_EEEESI_S6_NSB_4plusIvEENSB_8equal_toIvEES6_EE10hipError_tPvRmT2_T3_T4_T5_mT6_T7_P12ihipStream_tbENKUlT_T0_E_clISt17integral_constantIbLb1EES13_EEDaSY_SZ_EUlSY_E_NS1_11comp_targetILNS1_3genE3ELNS1_11target_archE908ELNS1_3gpuE7ELNS1_3repE0EEENS1_30default_config_static_selectorELNS0_4arch9wavefront6targetE0EEEvT1_
	.p2align	8
	.type	_ZN7rocprim17ROCPRIM_400000_NS6detail17trampoline_kernelINS0_14default_configENS1_27scan_by_key_config_selectorIj11FixedVectorIiLj1EEEEZZNS1_16scan_by_key_implILNS1_25lookback_scan_determinismE0ELb1ES3_N6thrust23THRUST_200600_302600_NS6detail15normal_iteratorINSB_10device_ptrIjEEEENSD_INSE_IS6_EEEESI_S6_NSB_4plusIvEENSB_8equal_toIvEES6_EE10hipError_tPvRmT2_T3_T4_T5_mT6_T7_P12ihipStream_tbENKUlT_T0_E_clISt17integral_constantIbLb1EES13_EEDaSY_SZ_EUlSY_E_NS1_11comp_targetILNS1_3genE3ELNS1_11target_archE908ELNS1_3gpuE7ELNS1_3repE0EEENS1_30default_config_static_selectorELNS0_4arch9wavefront6targetE0EEEvT1_,@function
_ZN7rocprim17ROCPRIM_400000_NS6detail17trampoline_kernelINS0_14default_configENS1_27scan_by_key_config_selectorIj11FixedVectorIiLj1EEEEZZNS1_16scan_by_key_implILNS1_25lookback_scan_determinismE0ELb1ES3_N6thrust23THRUST_200600_302600_NS6detail15normal_iteratorINSB_10device_ptrIjEEEENSD_INSE_IS6_EEEESI_S6_NSB_4plusIvEENSB_8equal_toIvEES6_EE10hipError_tPvRmT2_T3_T4_T5_mT6_T7_P12ihipStream_tbENKUlT_T0_E_clISt17integral_constantIbLb1EES13_EEDaSY_SZ_EUlSY_E_NS1_11comp_targetILNS1_3genE3ELNS1_11target_archE908ELNS1_3gpuE7ELNS1_3repE0EEENS1_30default_config_static_selectorELNS0_4arch9wavefront6targetE0EEEvT1_: ; @_ZN7rocprim17ROCPRIM_400000_NS6detail17trampoline_kernelINS0_14default_configENS1_27scan_by_key_config_selectorIj11FixedVectorIiLj1EEEEZZNS1_16scan_by_key_implILNS1_25lookback_scan_determinismE0ELb1ES3_N6thrust23THRUST_200600_302600_NS6detail15normal_iteratorINSB_10device_ptrIjEEEENSD_INSE_IS6_EEEESI_S6_NSB_4plusIvEENSB_8equal_toIvEES6_EE10hipError_tPvRmT2_T3_T4_T5_mT6_T7_P12ihipStream_tbENKUlT_T0_E_clISt17integral_constantIbLb1EES13_EEDaSY_SZ_EUlSY_E_NS1_11comp_targetILNS1_3genE3ELNS1_11target_archE908ELNS1_3gpuE7ELNS1_3repE0EEENS1_30default_config_static_selectorELNS0_4arch9wavefront6targetE0EEEvT1_
; %bb.0:
	.section	.rodata,"a",@progbits
	.p2align	6, 0x0
	.amdhsa_kernel _ZN7rocprim17ROCPRIM_400000_NS6detail17trampoline_kernelINS0_14default_configENS1_27scan_by_key_config_selectorIj11FixedVectorIiLj1EEEEZZNS1_16scan_by_key_implILNS1_25lookback_scan_determinismE0ELb1ES3_N6thrust23THRUST_200600_302600_NS6detail15normal_iteratorINSB_10device_ptrIjEEEENSD_INSE_IS6_EEEESI_S6_NSB_4plusIvEENSB_8equal_toIvEES6_EE10hipError_tPvRmT2_T3_T4_T5_mT6_T7_P12ihipStream_tbENKUlT_T0_E_clISt17integral_constantIbLb1EES13_EEDaSY_SZ_EUlSY_E_NS1_11comp_targetILNS1_3genE3ELNS1_11target_archE908ELNS1_3gpuE7ELNS1_3repE0EEENS1_30default_config_static_selectorELNS0_4arch9wavefront6targetE0EEEvT1_
		.amdhsa_group_segment_fixed_size 0
		.amdhsa_private_segment_fixed_size 0
		.amdhsa_kernarg_size 112
		.amdhsa_user_sgpr_count 6
		.amdhsa_user_sgpr_private_segment_buffer 1
		.amdhsa_user_sgpr_dispatch_ptr 0
		.amdhsa_user_sgpr_queue_ptr 0
		.amdhsa_user_sgpr_kernarg_segment_ptr 1
		.amdhsa_user_sgpr_dispatch_id 0
		.amdhsa_user_sgpr_flat_scratch_init 0
		.amdhsa_user_sgpr_private_segment_size 0
		.amdhsa_wavefront_size32 1
		.amdhsa_uses_dynamic_stack 0
		.amdhsa_system_sgpr_private_segment_wavefront_offset 0
		.amdhsa_system_sgpr_workgroup_id_x 1
		.amdhsa_system_sgpr_workgroup_id_y 0
		.amdhsa_system_sgpr_workgroup_id_z 0
		.amdhsa_system_sgpr_workgroup_info 0
		.amdhsa_system_vgpr_workitem_id 0
		.amdhsa_next_free_vgpr 1
		.amdhsa_next_free_sgpr 1
		.amdhsa_reserve_vcc 0
		.amdhsa_reserve_flat_scratch 0
		.amdhsa_float_round_mode_32 0
		.amdhsa_float_round_mode_16_64 0
		.amdhsa_float_denorm_mode_32 3
		.amdhsa_float_denorm_mode_16_64 3
		.amdhsa_dx10_clamp 1
		.amdhsa_ieee_mode 1
		.amdhsa_fp16_overflow 0
		.amdhsa_workgroup_processor_mode 1
		.amdhsa_memory_ordered 1
		.amdhsa_forward_progress 1
		.amdhsa_shared_vgpr_count 0
		.amdhsa_exception_fp_ieee_invalid_op 0
		.amdhsa_exception_fp_denorm_src 0
		.amdhsa_exception_fp_ieee_div_zero 0
		.amdhsa_exception_fp_ieee_overflow 0
		.amdhsa_exception_fp_ieee_underflow 0
		.amdhsa_exception_fp_ieee_inexact 0
		.amdhsa_exception_int_div_zero 0
	.end_amdhsa_kernel
	.section	.text._ZN7rocprim17ROCPRIM_400000_NS6detail17trampoline_kernelINS0_14default_configENS1_27scan_by_key_config_selectorIj11FixedVectorIiLj1EEEEZZNS1_16scan_by_key_implILNS1_25lookback_scan_determinismE0ELb1ES3_N6thrust23THRUST_200600_302600_NS6detail15normal_iteratorINSB_10device_ptrIjEEEENSD_INSE_IS6_EEEESI_S6_NSB_4plusIvEENSB_8equal_toIvEES6_EE10hipError_tPvRmT2_T3_T4_T5_mT6_T7_P12ihipStream_tbENKUlT_T0_E_clISt17integral_constantIbLb1EES13_EEDaSY_SZ_EUlSY_E_NS1_11comp_targetILNS1_3genE3ELNS1_11target_archE908ELNS1_3gpuE7ELNS1_3repE0EEENS1_30default_config_static_selectorELNS0_4arch9wavefront6targetE0EEEvT1_,"axG",@progbits,_ZN7rocprim17ROCPRIM_400000_NS6detail17trampoline_kernelINS0_14default_configENS1_27scan_by_key_config_selectorIj11FixedVectorIiLj1EEEEZZNS1_16scan_by_key_implILNS1_25lookback_scan_determinismE0ELb1ES3_N6thrust23THRUST_200600_302600_NS6detail15normal_iteratorINSB_10device_ptrIjEEEENSD_INSE_IS6_EEEESI_S6_NSB_4plusIvEENSB_8equal_toIvEES6_EE10hipError_tPvRmT2_T3_T4_T5_mT6_T7_P12ihipStream_tbENKUlT_T0_E_clISt17integral_constantIbLb1EES13_EEDaSY_SZ_EUlSY_E_NS1_11comp_targetILNS1_3genE3ELNS1_11target_archE908ELNS1_3gpuE7ELNS1_3repE0EEENS1_30default_config_static_selectorELNS0_4arch9wavefront6targetE0EEEvT1_,comdat
.Lfunc_end1924:
	.size	_ZN7rocprim17ROCPRIM_400000_NS6detail17trampoline_kernelINS0_14default_configENS1_27scan_by_key_config_selectorIj11FixedVectorIiLj1EEEEZZNS1_16scan_by_key_implILNS1_25lookback_scan_determinismE0ELb1ES3_N6thrust23THRUST_200600_302600_NS6detail15normal_iteratorINSB_10device_ptrIjEEEENSD_INSE_IS6_EEEESI_S6_NSB_4plusIvEENSB_8equal_toIvEES6_EE10hipError_tPvRmT2_T3_T4_T5_mT6_T7_P12ihipStream_tbENKUlT_T0_E_clISt17integral_constantIbLb1EES13_EEDaSY_SZ_EUlSY_E_NS1_11comp_targetILNS1_3genE3ELNS1_11target_archE908ELNS1_3gpuE7ELNS1_3repE0EEENS1_30default_config_static_selectorELNS0_4arch9wavefront6targetE0EEEvT1_, .Lfunc_end1924-_ZN7rocprim17ROCPRIM_400000_NS6detail17trampoline_kernelINS0_14default_configENS1_27scan_by_key_config_selectorIj11FixedVectorIiLj1EEEEZZNS1_16scan_by_key_implILNS1_25lookback_scan_determinismE0ELb1ES3_N6thrust23THRUST_200600_302600_NS6detail15normal_iteratorINSB_10device_ptrIjEEEENSD_INSE_IS6_EEEESI_S6_NSB_4plusIvEENSB_8equal_toIvEES6_EE10hipError_tPvRmT2_T3_T4_T5_mT6_T7_P12ihipStream_tbENKUlT_T0_E_clISt17integral_constantIbLb1EES13_EEDaSY_SZ_EUlSY_E_NS1_11comp_targetILNS1_3genE3ELNS1_11target_archE908ELNS1_3gpuE7ELNS1_3repE0EEENS1_30default_config_static_selectorELNS0_4arch9wavefront6targetE0EEEvT1_
                                        ; -- End function
	.set _ZN7rocprim17ROCPRIM_400000_NS6detail17trampoline_kernelINS0_14default_configENS1_27scan_by_key_config_selectorIj11FixedVectorIiLj1EEEEZZNS1_16scan_by_key_implILNS1_25lookback_scan_determinismE0ELb1ES3_N6thrust23THRUST_200600_302600_NS6detail15normal_iteratorINSB_10device_ptrIjEEEENSD_INSE_IS6_EEEESI_S6_NSB_4plusIvEENSB_8equal_toIvEES6_EE10hipError_tPvRmT2_T3_T4_T5_mT6_T7_P12ihipStream_tbENKUlT_T0_E_clISt17integral_constantIbLb1EES13_EEDaSY_SZ_EUlSY_E_NS1_11comp_targetILNS1_3genE3ELNS1_11target_archE908ELNS1_3gpuE7ELNS1_3repE0EEENS1_30default_config_static_selectorELNS0_4arch9wavefront6targetE0EEEvT1_.num_vgpr, 0
	.set _ZN7rocprim17ROCPRIM_400000_NS6detail17trampoline_kernelINS0_14default_configENS1_27scan_by_key_config_selectorIj11FixedVectorIiLj1EEEEZZNS1_16scan_by_key_implILNS1_25lookback_scan_determinismE0ELb1ES3_N6thrust23THRUST_200600_302600_NS6detail15normal_iteratorINSB_10device_ptrIjEEEENSD_INSE_IS6_EEEESI_S6_NSB_4plusIvEENSB_8equal_toIvEES6_EE10hipError_tPvRmT2_T3_T4_T5_mT6_T7_P12ihipStream_tbENKUlT_T0_E_clISt17integral_constantIbLb1EES13_EEDaSY_SZ_EUlSY_E_NS1_11comp_targetILNS1_3genE3ELNS1_11target_archE908ELNS1_3gpuE7ELNS1_3repE0EEENS1_30default_config_static_selectorELNS0_4arch9wavefront6targetE0EEEvT1_.num_agpr, 0
	.set _ZN7rocprim17ROCPRIM_400000_NS6detail17trampoline_kernelINS0_14default_configENS1_27scan_by_key_config_selectorIj11FixedVectorIiLj1EEEEZZNS1_16scan_by_key_implILNS1_25lookback_scan_determinismE0ELb1ES3_N6thrust23THRUST_200600_302600_NS6detail15normal_iteratorINSB_10device_ptrIjEEEENSD_INSE_IS6_EEEESI_S6_NSB_4plusIvEENSB_8equal_toIvEES6_EE10hipError_tPvRmT2_T3_T4_T5_mT6_T7_P12ihipStream_tbENKUlT_T0_E_clISt17integral_constantIbLb1EES13_EEDaSY_SZ_EUlSY_E_NS1_11comp_targetILNS1_3genE3ELNS1_11target_archE908ELNS1_3gpuE7ELNS1_3repE0EEENS1_30default_config_static_selectorELNS0_4arch9wavefront6targetE0EEEvT1_.numbered_sgpr, 0
	.set _ZN7rocprim17ROCPRIM_400000_NS6detail17trampoline_kernelINS0_14default_configENS1_27scan_by_key_config_selectorIj11FixedVectorIiLj1EEEEZZNS1_16scan_by_key_implILNS1_25lookback_scan_determinismE0ELb1ES3_N6thrust23THRUST_200600_302600_NS6detail15normal_iteratorINSB_10device_ptrIjEEEENSD_INSE_IS6_EEEESI_S6_NSB_4plusIvEENSB_8equal_toIvEES6_EE10hipError_tPvRmT2_T3_T4_T5_mT6_T7_P12ihipStream_tbENKUlT_T0_E_clISt17integral_constantIbLb1EES13_EEDaSY_SZ_EUlSY_E_NS1_11comp_targetILNS1_3genE3ELNS1_11target_archE908ELNS1_3gpuE7ELNS1_3repE0EEENS1_30default_config_static_selectorELNS0_4arch9wavefront6targetE0EEEvT1_.num_named_barrier, 0
	.set _ZN7rocprim17ROCPRIM_400000_NS6detail17trampoline_kernelINS0_14default_configENS1_27scan_by_key_config_selectorIj11FixedVectorIiLj1EEEEZZNS1_16scan_by_key_implILNS1_25lookback_scan_determinismE0ELb1ES3_N6thrust23THRUST_200600_302600_NS6detail15normal_iteratorINSB_10device_ptrIjEEEENSD_INSE_IS6_EEEESI_S6_NSB_4plusIvEENSB_8equal_toIvEES6_EE10hipError_tPvRmT2_T3_T4_T5_mT6_T7_P12ihipStream_tbENKUlT_T0_E_clISt17integral_constantIbLb1EES13_EEDaSY_SZ_EUlSY_E_NS1_11comp_targetILNS1_3genE3ELNS1_11target_archE908ELNS1_3gpuE7ELNS1_3repE0EEENS1_30default_config_static_selectorELNS0_4arch9wavefront6targetE0EEEvT1_.private_seg_size, 0
	.set _ZN7rocprim17ROCPRIM_400000_NS6detail17trampoline_kernelINS0_14default_configENS1_27scan_by_key_config_selectorIj11FixedVectorIiLj1EEEEZZNS1_16scan_by_key_implILNS1_25lookback_scan_determinismE0ELb1ES3_N6thrust23THRUST_200600_302600_NS6detail15normal_iteratorINSB_10device_ptrIjEEEENSD_INSE_IS6_EEEESI_S6_NSB_4plusIvEENSB_8equal_toIvEES6_EE10hipError_tPvRmT2_T3_T4_T5_mT6_T7_P12ihipStream_tbENKUlT_T0_E_clISt17integral_constantIbLb1EES13_EEDaSY_SZ_EUlSY_E_NS1_11comp_targetILNS1_3genE3ELNS1_11target_archE908ELNS1_3gpuE7ELNS1_3repE0EEENS1_30default_config_static_selectorELNS0_4arch9wavefront6targetE0EEEvT1_.uses_vcc, 0
	.set _ZN7rocprim17ROCPRIM_400000_NS6detail17trampoline_kernelINS0_14default_configENS1_27scan_by_key_config_selectorIj11FixedVectorIiLj1EEEEZZNS1_16scan_by_key_implILNS1_25lookback_scan_determinismE0ELb1ES3_N6thrust23THRUST_200600_302600_NS6detail15normal_iteratorINSB_10device_ptrIjEEEENSD_INSE_IS6_EEEESI_S6_NSB_4plusIvEENSB_8equal_toIvEES6_EE10hipError_tPvRmT2_T3_T4_T5_mT6_T7_P12ihipStream_tbENKUlT_T0_E_clISt17integral_constantIbLb1EES13_EEDaSY_SZ_EUlSY_E_NS1_11comp_targetILNS1_3genE3ELNS1_11target_archE908ELNS1_3gpuE7ELNS1_3repE0EEENS1_30default_config_static_selectorELNS0_4arch9wavefront6targetE0EEEvT1_.uses_flat_scratch, 0
	.set _ZN7rocprim17ROCPRIM_400000_NS6detail17trampoline_kernelINS0_14default_configENS1_27scan_by_key_config_selectorIj11FixedVectorIiLj1EEEEZZNS1_16scan_by_key_implILNS1_25lookback_scan_determinismE0ELb1ES3_N6thrust23THRUST_200600_302600_NS6detail15normal_iteratorINSB_10device_ptrIjEEEENSD_INSE_IS6_EEEESI_S6_NSB_4plusIvEENSB_8equal_toIvEES6_EE10hipError_tPvRmT2_T3_T4_T5_mT6_T7_P12ihipStream_tbENKUlT_T0_E_clISt17integral_constantIbLb1EES13_EEDaSY_SZ_EUlSY_E_NS1_11comp_targetILNS1_3genE3ELNS1_11target_archE908ELNS1_3gpuE7ELNS1_3repE0EEENS1_30default_config_static_selectorELNS0_4arch9wavefront6targetE0EEEvT1_.has_dyn_sized_stack, 0
	.set _ZN7rocprim17ROCPRIM_400000_NS6detail17trampoline_kernelINS0_14default_configENS1_27scan_by_key_config_selectorIj11FixedVectorIiLj1EEEEZZNS1_16scan_by_key_implILNS1_25lookback_scan_determinismE0ELb1ES3_N6thrust23THRUST_200600_302600_NS6detail15normal_iteratorINSB_10device_ptrIjEEEENSD_INSE_IS6_EEEESI_S6_NSB_4plusIvEENSB_8equal_toIvEES6_EE10hipError_tPvRmT2_T3_T4_T5_mT6_T7_P12ihipStream_tbENKUlT_T0_E_clISt17integral_constantIbLb1EES13_EEDaSY_SZ_EUlSY_E_NS1_11comp_targetILNS1_3genE3ELNS1_11target_archE908ELNS1_3gpuE7ELNS1_3repE0EEENS1_30default_config_static_selectorELNS0_4arch9wavefront6targetE0EEEvT1_.has_recursion, 0
	.set _ZN7rocprim17ROCPRIM_400000_NS6detail17trampoline_kernelINS0_14default_configENS1_27scan_by_key_config_selectorIj11FixedVectorIiLj1EEEEZZNS1_16scan_by_key_implILNS1_25lookback_scan_determinismE0ELb1ES3_N6thrust23THRUST_200600_302600_NS6detail15normal_iteratorINSB_10device_ptrIjEEEENSD_INSE_IS6_EEEESI_S6_NSB_4plusIvEENSB_8equal_toIvEES6_EE10hipError_tPvRmT2_T3_T4_T5_mT6_T7_P12ihipStream_tbENKUlT_T0_E_clISt17integral_constantIbLb1EES13_EEDaSY_SZ_EUlSY_E_NS1_11comp_targetILNS1_3genE3ELNS1_11target_archE908ELNS1_3gpuE7ELNS1_3repE0EEENS1_30default_config_static_selectorELNS0_4arch9wavefront6targetE0EEEvT1_.has_indirect_call, 0
	.section	.AMDGPU.csdata,"",@progbits
; Kernel info:
; codeLenInByte = 0
; TotalNumSgprs: 0
; NumVgprs: 0
; ScratchSize: 0
; MemoryBound: 0
; FloatMode: 240
; IeeeMode: 1
; LDSByteSize: 0 bytes/workgroup (compile time only)
; SGPRBlocks: 0
; VGPRBlocks: 0
; NumSGPRsForWavesPerEU: 1
; NumVGPRsForWavesPerEU: 1
; Occupancy: 16
; WaveLimiterHint : 0
; COMPUTE_PGM_RSRC2:SCRATCH_EN: 0
; COMPUTE_PGM_RSRC2:USER_SGPR: 6
; COMPUTE_PGM_RSRC2:TRAP_HANDLER: 0
; COMPUTE_PGM_RSRC2:TGID_X_EN: 1
; COMPUTE_PGM_RSRC2:TGID_Y_EN: 0
; COMPUTE_PGM_RSRC2:TGID_Z_EN: 0
; COMPUTE_PGM_RSRC2:TIDIG_COMP_CNT: 0
	.section	.text._ZN7rocprim17ROCPRIM_400000_NS6detail17trampoline_kernelINS0_14default_configENS1_27scan_by_key_config_selectorIj11FixedVectorIiLj1EEEEZZNS1_16scan_by_key_implILNS1_25lookback_scan_determinismE0ELb1ES3_N6thrust23THRUST_200600_302600_NS6detail15normal_iteratorINSB_10device_ptrIjEEEENSD_INSE_IS6_EEEESI_S6_NSB_4plusIvEENSB_8equal_toIvEES6_EE10hipError_tPvRmT2_T3_T4_T5_mT6_T7_P12ihipStream_tbENKUlT_T0_E_clISt17integral_constantIbLb1EES13_EEDaSY_SZ_EUlSY_E_NS1_11comp_targetILNS1_3genE2ELNS1_11target_archE906ELNS1_3gpuE6ELNS1_3repE0EEENS1_30default_config_static_selectorELNS0_4arch9wavefront6targetE0EEEvT1_,"axG",@progbits,_ZN7rocprim17ROCPRIM_400000_NS6detail17trampoline_kernelINS0_14default_configENS1_27scan_by_key_config_selectorIj11FixedVectorIiLj1EEEEZZNS1_16scan_by_key_implILNS1_25lookback_scan_determinismE0ELb1ES3_N6thrust23THRUST_200600_302600_NS6detail15normal_iteratorINSB_10device_ptrIjEEEENSD_INSE_IS6_EEEESI_S6_NSB_4plusIvEENSB_8equal_toIvEES6_EE10hipError_tPvRmT2_T3_T4_T5_mT6_T7_P12ihipStream_tbENKUlT_T0_E_clISt17integral_constantIbLb1EES13_EEDaSY_SZ_EUlSY_E_NS1_11comp_targetILNS1_3genE2ELNS1_11target_archE906ELNS1_3gpuE6ELNS1_3repE0EEENS1_30default_config_static_selectorELNS0_4arch9wavefront6targetE0EEEvT1_,comdat
	.protected	_ZN7rocprim17ROCPRIM_400000_NS6detail17trampoline_kernelINS0_14default_configENS1_27scan_by_key_config_selectorIj11FixedVectorIiLj1EEEEZZNS1_16scan_by_key_implILNS1_25lookback_scan_determinismE0ELb1ES3_N6thrust23THRUST_200600_302600_NS6detail15normal_iteratorINSB_10device_ptrIjEEEENSD_INSE_IS6_EEEESI_S6_NSB_4plusIvEENSB_8equal_toIvEES6_EE10hipError_tPvRmT2_T3_T4_T5_mT6_T7_P12ihipStream_tbENKUlT_T0_E_clISt17integral_constantIbLb1EES13_EEDaSY_SZ_EUlSY_E_NS1_11comp_targetILNS1_3genE2ELNS1_11target_archE906ELNS1_3gpuE6ELNS1_3repE0EEENS1_30default_config_static_selectorELNS0_4arch9wavefront6targetE0EEEvT1_ ; -- Begin function _ZN7rocprim17ROCPRIM_400000_NS6detail17trampoline_kernelINS0_14default_configENS1_27scan_by_key_config_selectorIj11FixedVectorIiLj1EEEEZZNS1_16scan_by_key_implILNS1_25lookback_scan_determinismE0ELb1ES3_N6thrust23THRUST_200600_302600_NS6detail15normal_iteratorINSB_10device_ptrIjEEEENSD_INSE_IS6_EEEESI_S6_NSB_4plusIvEENSB_8equal_toIvEES6_EE10hipError_tPvRmT2_T3_T4_T5_mT6_T7_P12ihipStream_tbENKUlT_T0_E_clISt17integral_constantIbLb1EES13_EEDaSY_SZ_EUlSY_E_NS1_11comp_targetILNS1_3genE2ELNS1_11target_archE906ELNS1_3gpuE6ELNS1_3repE0EEENS1_30default_config_static_selectorELNS0_4arch9wavefront6targetE0EEEvT1_
	.globl	_ZN7rocprim17ROCPRIM_400000_NS6detail17trampoline_kernelINS0_14default_configENS1_27scan_by_key_config_selectorIj11FixedVectorIiLj1EEEEZZNS1_16scan_by_key_implILNS1_25lookback_scan_determinismE0ELb1ES3_N6thrust23THRUST_200600_302600_NS6detail15normal_iteratorINSB_10device_ptrIjEEEENSD_INSE_IS6_EEEESI_S6_NSB_4plusIvEENSB_8equal_toIvEES6_EE10hipError_tPvRmT2_T3_T4_T5_mT6_T7_P12ihipStream_tbENKUlT_T0_E_clISt17integral_constantIbLb1EES13_EEDaSY_SZ_EUlSY_E_NS1_11comp_targetILNS1_3genE2ELNS1_11target_archE906ELNS1_3gpuE6ELNS1_3repE0EEENS1_30default_config_static_selectorELNS0_4arch9wavefront6targetE0EEEvT1_
	.p2align	8
	.type	_ZN7rocprim17ROCPRIM_400000_NS6detail17trampoline_kernelINS0_14default_configENS1_27scan_by_key_config_selectorIj11FixedVectorIiLj1EEEEZZNS1_16scan_by_key_implILNS1_25lookback_scan_determinismE0ELb1ES3_N6thrust23THRUST_200600_302600_NS6detail15normal_iteratorINSB_10device_ptrIjEEEENSD_INSE_IS6_EEEESI_S6_NSB_4plusIvEENSB_8equal_toIvEES6_EE10hipError_tPvRmT2_T3_T4_T5_mT6_T7_P12ihipStream_tbENKUlT_T0_E_clISt17integral_constantIbLb1EES13_EEDaSY_SZ_EUlSY_E_NS1_11comp_targetILNS1_3genE2ELNS1_11target_archE906ELNS1_3gpuE6ELNS1_3repE0EEENS1_30default_config_static_selectorELNS0_4arch9wavefront6targetE0EEEvT1_,@function
_ZN7rocprim17ROCPRIM_400000_NS6detail17trampoline_kernelINS0_14default_configENS1_27scan_by_key_config_selectorIj11FixedVectorIiLj1EEEEZZNS1_16scan_by_key_implILNS1_25lookback_scan_determinismE0ELb1ES3_N6thrust23THRUST_200600_302600_NS6detail15normal_iteratorINSB_10device_ptrIjEEEENSD_INSE_IS6_EEEESI_S6_NSB_4plusIvEENSB_8equal_toIvEES6_EE10hipError_tPvRmT2_T3_T4_T5_mT6_T7_P12ihipStream_tbENKUlT_T0_E_clISt17integral_constantIbLb1EES13_EEDaSY_SZ_EUlSY_E_NS1_11comp_targetILNS1_3genE2ELNS1_11target_archE906ELNS1_3gpuE6ELNS1_3repE0EEENS1_30default_config_static_selectorELNS0_4arch9wavefront6targetE0EEEvT1_: ; @_ZN7rocprim17ROCPRIM_400000_NS6detail17trampoline_kernelINS0_14default_configENS1_27scan_by_key_config_selectorIj11FixedVectorIiLj1EEEEZZNS1_16scan_by_key_implILNS1_25lookback_scan_determinismE0ELb1ES3_N6thrust23THRUST_200600_302600_NS6detail15normal_iteratorINSB_10device_ptrIjEEEENSD_INSE_IS6_EEEESI_S6_NSB_4plusIvEENSB_8equal_toIvEES6_EE10hipError_tPvRmT2_T3_T4_T5_mT6_T7_P12ihipStream_tbENKUlT_T0_E_clISt17integral_constantIbLb1EES13_EEDaSY_SZ_EUlSY_E_NS1_11comp_targetILNS1_3genE2ELNS1_11target_archE906ELNS1_3gpuE6ELNS1_3repE0EEENS1_30default_config_static_selectorELNS0_4arch9wavefront6targetE0EEEvT1_
; %bb.0:
	.section	.rodata,"a",@progbits
	.p2align	6, 0x0
	.amdhsa_kernel _ZN7rocprim17ROCPRIM_400000_NS6detail17trampoline_kernelINS0_14default_configENS1_27scan_by_key_config_selectorIj11FixedVectorIiLj1EEEEZZNS1_16scan_by_key_implILNS1_25lookback_scan_determinismE0ELb1ES3_N6thrust23THRUST_200600_302600_NS6detail15normal_iteratorINSB_10device_ptrIjEEEENSD_INSE_IS6_EEEESI_S6_NSB_4plusIvEENSB_8equal_toIvEES6_EE10hipError_tPvRmT2_T3_T4_T5_mT6_T7_P12ihipStream_tbENKUlT_T0_E_clISt17integral_constantIbLb1EES13_EEDaSY_SZ_EUlSY_E_NS1_11comp_targetILNS1_3genE2ELNS1_11target_archE906ELNS1_3gpuE6ELNS1_3repE0EEENS1_30default_config_static_selectorELNS0_4arch9wavefront6targetE0EEEvT1_
		.amdhsa_group_segment_fixed_size 0
		.amdhsa_private_segment_fixed_size 0
		.amdhsa_kernarg_size 112
		.amdhsa_user_sgpr_count 6
		.amdhsa_user_sgpr_private_segment_buffer 1
		.amdhsa_user_sgpr_dispatch_ptr 0
		.amdhsa_user_sgpr_queue_ptr 0
		.amdhsa_user_sgpr_kernarg_segment_ptr 1
		.amdhsa_user_sgpr_dispatch_id 0
		.amdhsa_user_sgpr_flat_scratch_init 0
		.amdhsa_user_sgpr_private_segment_size 0
		.amdhsa_wavefront_size32 1
		.amdhsa_uses_dynamic_stack 0
		.amdhsa_system_sgpr_private_segment_wavefront_offset 0
		.amdhsa_system_sgpr_workgroup_id_x 1
		.amdhsa_system_sgpr_workgroup_id_y 0
		.amdhsa_system_sgpr_workgroup_id_z 0
		.amdhsa_system_sgpr_workgroup_info 0
		.amdhsa_system_vgpr_workitem_id 0
		.amdhsa_next_free_vgpr 1
		.amdhsa_next_free_sgpr 1
		.amdhsa_reserve_vcc 0
		.amdhsa_reserve_flat_scratch 0
		.amdhsa_float_round_mode_32 0
		.amdhsa_float_round_mode_16_64 0
		.amdhsa_float_denorm_mode_32 3
		.amdhsa_float_denorm_mode_16_64 3
		.amdhsa_dx10_clamp 1
		.amdhsa_ieee_mode 1
		.amdhsa_fp16_overflow 0
		.amdhsa_workgroup_processor_mode 1
		.amdhsa_memory_ordered 1
		.amdhsa_forward_progress 1
		.amdhsa_shared_vgpr_count 0
		.amdhsa_exception_fp_ieee_invalid_op 0
		.amdhsa_exception_fp_denorm_src 0
		.amdhsa_exception_fp_ieee_div_zero 0
		.amdhsa_exception_fp_ieee_overflow 0
		.amdhsa_exception_fp_ieee_underflow 0
		.amdhsa_exception_fp_ieee_inexact 0
		.amdhsa_exception_int_div_zero 0
	.end_amdhsa_kernel
	.section	.text._ZN7rocprim17ROCPRIM_400000_NS6detail17trampoline_kernelINS0_14default_configENS1_27scan_by_key_config_selectorIj11FixedVectorIiLj1EEEEZZNS1_16scan_by_key_implILNS1_25lookback_scan_determinismE0ELb1ES3_N6thrust23THRUST_200600_302600_NS6detail15normal_iteratorINSB_10device_ptrIjEEEENSD_INSE_IS6_EEEESI_S6_NSB_4plusIvEENSB_8equal_toIvEES6_EE10hipError_tPvRmT2_T3_T4_T5_mT6_T7_P12ihipStream_tbENKUlT_T0_E_clISt17integral_constantIbLb1EES13_EEDaSY_SZ_EUlSY_E_NS1_11comp_targetILNS1_3genE2ELNS1_11target_archE906ELNS1_3gpuE6ELNS1_3repE0EEENS1_30default_config_static_selectorELNS0_4arch9wavefront6targetE0EEEvT1_,"axG",@progbits,_ZN7rocprim17ROCPRIM_400000_NS6detail17trampoline_kernelINS0_14default_configENS1_27scan_by_key_config_selectorIj11FixedVectorIiLj1EEEEZZNS1_16scan_by_key_implILNS1_25lookback_scan_determinismE0ELb1ES3_N6thrust23THRUST_200600_302600_NS6detail15normal_iteratorINSB_10device_ptrIjEEEENSD_INSE_IS6_EEEESI_S6_NSB_4plusIvEENSB_8equal_toIvEES6_EE10hipError_tPvRmT2_T3_T4_T5_mT6_T7_P12ihipStream_tbENKUlT_T0_E_clISt17integral_constantIbLb1EES13_EEDaSY_SZ_EUlSY_E_NS1_11comp_targetILNS1_3genE2ELNS1_11target_archE906ELNS1_3gpuE6ELNS1_3repE0EEENS1_30default_config_static_selectorELNS0_4arch9wavefront6targetE0EEEvT1_,comdat
.Lfunc_end1925:
	.size	_ZN7rocprim17ROCPRIM_400000_NS6detail17trampoline_kernelINS0_14default_configENS1_27scan_by_key_config_selectorIj11FixedVectorIiLj1EEEEZZNS1_16scan_by_key_implILNS1_25lookback_scan_determinismE0ELb1ES3_N6thrust23THRUST_200600_302600_NS6detail15normal_iteratorINSB_10device_ptrIjEEEENSD_INSE_IS6_EEEESI_S6_NSB_4plusIvEENSB_8equal_toIvEES6_EE10hipError_tPvRmT2_T3_T4_T5_mT6_T7_P12ihipStream_tbENKUlT_T0_E_clISt17integral_constantIbLb1EES13_EEDaSY_SZ_EUlSY_E_NS1_11comp_targetILNS1_3genE2ELNS1_11target_archE906ELNS1_3gpuE6ELNS1_3repE0EEENS1_30default_config_static_selectorELNS0_4arch9wavefront6targetE0EEEvT1_, .Lfunc_end1925-_ZN7rocprim17ROCPRIM_400000_NS6detail17trampoline_kernelINS0_14default_configENS1_27scan_by_key_config_selectorIj11FixedVectorIiLj1EEEEZZNS1_16scan_by_key_implILNS1_25lookback_scan_determinismE0ELb1ES3_N6thrust23THRUST_200600_302600_NS6detail15normal_iteratorINSB_10device_ptrIjEEEENSD_INSE_IS6_EEEESI_S6_NSB_4plusIvEENSB_8equal_toIvEES6_EE10hipError_tPvRmT2_T3_T4_T5_mT6_T7_P12ihipStream_tbENKUlT_T0_E_clISt17integral_constantIbLb1EES13_EEDaSY_SZ_EUlSY_E_NS1_11comp_targetILNS1_3genE2ELNS1_11target_archE906ELNS1_3gpuE6ELNS1_3repE0EEENS1_30default_config_static_selectorELNS0_4arch9wavefront6targetE0EEEvT1_
                                        ; -- End function
	.set _ZN7rocprim17ROCPRIM_400000_NS6detail17trampoline_kernelINS0_14default_configENS1_27scan_by_key_config_selectorIj11FixedVectorIiLj1EEEEZZNS1_16scan_by_key_implILNS1_25lookback_scan_determinismE0ELb1ES3_N6thrust23THRUST_200600_302600_NS6detail15normal_iteratorINSB_10device_ptrIjEEEENSD_INSE_IS6_EEEESI_S6_NSB_4plusIvEENSB_8equal_toIvEES6_EE10hipError_tPvRmT2_T3_T4_T5_mT6_T7_P12ihipStream_tbENKUlT_T0_E_clISt17integral_constantIbLb1EES13_EEDaSY_SZ_EUlSY_E_NS1_11comp_targetILNS1_3genE2ELNS1_11target_archE906ELNS1_3gpuE6ELNS1_3repE0EEENS1_30default_config_static_selectorELNS0_4arch9wavefront6targetE0EEEvT1_.num_vgpr, 0
	.set _ZN7rocprim17ROCPRIM_400000_NS6detail17trampoline_kernelINS0_14default_configENS1_27scan_by_key_config_selectorIj11FixedVectorIiLj1EEEEZZNS1_16scan_by_key_implILNS1_25lookback_scan_determinismE0ELb1ES3_N6thrust23THRUST_200600_302600_NS6detail15normal_iteratorINSB_10device_ptrIjEEEENSD_INSE_IS6_EEEESI_S6_NSB_4plusIvEENSB_8equal_toIvEES6_EE10hipError_tPvRmT2_T3_T4_T5_mT6_T7_P12ihipStream_tbENKUlT_T0_E_clISt17integral_constantIbLb1EES13_EEDaSY_SZ_EUlSY_E_NS1_11comp_targetILNS1_3genE2ELNS1_11target_archE906ELNS1_3gpuE6ELNS1_3repE0EEENS1_30default_config_static_selectorELNS0_4arch9wavefront6targetE0EEEvT1_.num_agpr, 0
	.set _ZN7rocprim17ROCPRIM_400000_NS6detail17trampoline_kernelINS0_14default_configENS1_27scan_by_key_config_selectorIj11FixedVectorIiLj1EEEEZZNS1_16scan_by_key_implILNS1_25lookback_scan_determinismE0ELb1ES3_N6thrust23THRUST_200600_302600_NS6detail15normal_iteratorINSB_10device_ptrIjEEEENSD_INSE_IS6_EEEESI_S6_NSB_4plusIvEENSB_8equal_toIvEES6_EE10hipError_tPvRmT2_T3_T4_T5_mT6_T7_P12ihipStream_tbENKUlT_T0_E_clISt17integral_constantIbLb1EES13_EEDaSY_SZ_EUlSY_E_NS1_11comp_targetILNS1_3genE2ELNS1_11target_archE906ELNS1_3gpuE6ELNS1_3repE0EEENS1_30default_config_static_selectorELNS0_4arch9wavefront6targetE0EEEvT1_.numbered_sgpr, 0
	.set _ZN7rocprim17ROCPRIM_400000_NS6detail17trampoline_kernelINS0_14default_configENS1_27scan_by_key_config_selectorIj11FixedVectorIiLj1EEEEZZNS1_16scan_by_key_implILNS1_25lookback_scan_determinismE0ELb1ES3_N6thrust23THRUST_200600_302600_NS6detail15normal_iteratorINSB_10device_ptrIjEEEENSD_INSE_IS6_EEEESI_S6_NSB_4plusIvEENSB_8equal_toIvEES6_EE10hipError_tPvRmT2_T3_T4_T5_mT6_T7_P12ihipStream_tbENKUlT_T0_E_clISt17integral_constantIbLb1EES13_EEDaSY_SZ_EUlSY_E_NS1_11comp_targetILNS1_3genE2ELNS1_11target_archE906ELNS1_3gpuE6ELNS1_3repE0EEENS1_30default_config_static_selectorELNS0_4arch9wavefront6targetE0EEEvT1_.num_named_barrier, 0
	.set _ZN7rocprim17ROCPRIM_400000_NS6detail17trampoline_kernelINS0_14default_configENS1_27scan_by_key_config_selectorIj11FixedVectorIiLj1EEEEZZNS1_16scan_by_key_implILNS1_25lookback_scan_determinismE0ELb1ES3_N6thrust23THRUST_200600_302600_NS6detail15normal_iteratorINSB_10device_ptrIjEEEENSD_INSE_IS6_EEEESI_S6_NSB_4plusIvEENSB_8equal_toIvEES6_EE10hipError_tPvRmT2_T3_T4_T5_mT6_T7_P12ihipStream_tbENKUlT_T0_E_clISt17integral_constantIbLb1EES13_EEDaSY_SZ_EUlSY_E_NS1_11comp_targetILNS1_3genE2ELNS1_11target_archE906ELNS1_3gpuE6ELNS1_3repE0EEENS1_30default_config_static_selectorELNS0_4arch9wavefront6targetE0EEEvT1_.private_seg_size, 0
	.set _ZN7rocprim17ROCPRIM_400000_NS6detail17trampoline_kernelINS0_14default_configENS1_27scan_by_key_config_selectorIj11FixedVectorIiLj1EEEEZZNS1_16scan_by_key_implILNS1_25lookback_scan_determinismE0ELb1ES3_N6thrust23THRUST_200600_302600_NS6detail15normal_iteratorINSB_10device_ptrIjEEEENSD_INSE_IS6_EEEESI_S6_NSB_4plusIvEENSB_8equal_toIvEES6_EE10hipError_tPvRmT2_T3_T4_T5_mT6_T7_P12ihipStream_tbENKUlT_T0_E_clISt17integral_constantIbLb1EES13_EEDaSY_SZ_EUlSY_E_NS1_11comp_targetILNS1_3genE2ELNS1_11target_archE906ELNS1_3gpuE6ELNS1_3repE0EEENS1_30default_config_static_selectorELNS0_4arch9wavefront6targetE0EEEvT1_.uses_vcc, 0
	.set _ZN7rocprim17ROCPRIM_400000_NS6detail17trampoline_kernelINS0_14default_configENS1_27scan_by_key_config_selectorIj11FixedVectorIiLj1EEEEZZNS1_16scan_by_key_implILNS1_25lookback_scan_determinismE0ELb1ES3_N6thrust23THRUST_200600_302600_NS6detail15normal_iteratorINSB_10device_ptrIjEEEENSD_INSE_IS6_EEEESI_S6_NSB_4plusIvEENSB_8equal_toIvEES6_EE10hipError_tPvRmT2_T3_T4_T5_mT6_T7_P12ihipStream_tbENKUlT_T0_E_clISt17integral_constantIbLb1EES13_EEDaSY_SZ_EUlSY_E_NS1_11comp_targetILNS1_3genE2ELNS1_11target_archE906ELNS1_3gpuE6ELNS1_3repE0EEENS1_30default_config_static_selectorELNS0_4arch9wavefront6targetE0EEEvT1_.uses_flat_scratch, 0
	.set _ZN7rocprim17ROCPRIM_400000_NS6detail17trampoline_kernelINS0_14default_configENS1_27scan_by_key_config_selectorIj11FixedVectorIiLj1EEEEZZNS1_16scan_by_key_implILNS1_25lookback_scan_determinismE0ELb1ES3_N6thrust23THRUST_200600_302600_NS6detail15normal_iteratorINSB_10device_ptrIjEEEENSD_INSE_IS6_EEEESI_S6_NSB_4plusIvEENSB_8equal_toIvEES6_EE10hipError_tPvRmT2_T3_T4_T5_mT6_T7_P12ihipStream_tbENKUlT_T0_E_clISt17integral_constantIbLb1EES13_EEDaSY_SZ_EUlSY_E_NS1_11comp_targetILNS1_3genE2ELNS1_11target_archE906ELNS1_3gpuE6ELNS1_3repE0EEENS1_30default_config_static_selectorELNS0_4arch9wavefront6targetE0EEEvT1_.has_dyn_sized_stack, 0
	.set _ZN7rocprim17ROCPRIM_400000_NS6detail17trampoline_kernelINS0_14default_configENS1_27scan_by_key_config_selectorIj11FixedVectorIiLj1EEEEZZNS1_16scan_by_key_implILNS1_25lookback_scan_determinismE0ELb1ES3_N6thrust23THRUST_200600_302600_NS6detail15normal_iteratorINSB_10device_ptrIjEEEENSD_INSE_IS6_EEEESI_S6_NSB_4plusIvEENSB_8equal_toIvEES6_EE10hipError_tPvRmT2_T3_T4_T5_mT6_T7_P12ihipStream_tbENKUlT_T0_E_clISt17integral_constantIbLb1EES13_EEDaSY_SZ_EUlSY_E_NS1_11comp_targetILNS1_3genE2ELNS1_11target_archE906ELNS1_3gpuE6ELNS1_3repE0EEENS1_30default_config_static_selectorELNS0_4arch9wavefront6targetE0EEEvT1_.has_recursion, 0
	.set _ZN7rocprim17ROCPRIM_400000_NS6detail17trampoline_kernelINS0_14default_configENS1_27scan_by_key_config_selectorIj11FixedVectorIiLj1EEEEZZNS1_16scan_by_key_implILNS1_25lookback_scan_determinismE0ELb1ES3_N6thrust23THRUST_200600_302600_NS6detail15normal_iteratorINSB_10device_ptrIjEEEENSD_INSE_IS6_EEEESI_S6_NSB_4plusIvEENSB_8equal_toIvEES6_EE10hipError_tPvRmT2_T3_T4_T5_mT6_T7_P12ihipStream_tbENKUlT_T0_E_clISt17integral_constantIbLb1EES13_EEDaSY_SZ_EUlSY_E_NS1_11comp_targetILNS1_3genE2ELNS1_11target_archE906ELNS1_3gpuE6ELNS1_3repE0EEENS1_30default_config_static_selectorELNS0_4arch9wavefront6targetE0EEEvT1_.has_indirect_call, 0
	.section	.AMDGPU.csdata,"",@progbits
; Kernel info:
; codeLenInByte = 0
; TotalNumSgprs: 0
; NumVgprs: 0
; ScratchSize: 0
; MemoryBound: 0
; FloatMode: 240
; IeeeMode: 1
; LDSByteSize: 0 bytes/workgroup (compile time only)
; SGPRBlocks: 0
; VGPRBlocks: 0
; NumSGPRsForWavesPerEU: 1
; NumVGPRsForWavesPerEU: 1
; Occupancy: 16
; WaveLimiterHint : 0
; COMPUTE_PGM_RSRC2:SCRATCH_EN: 0
; COMPUTE_PGM_RSRC2:USER_SGPR: 6
; COMPUTE_PGM_RSRC2:TRAP_HANDLER: 0
; COMPUTE_PGM_RSRC2:TGID_X_EN: 1
; COMPUTE_PGM_RSRC2:TGID_Y_EN: 0
; COMPUTE_PGM_RSRC2:TGID_Z_EN: 0
; COMPUTE_PGM_RSRC2:TIDIG_COMP_CNT: 0
	.section	.text._ZN7rocprim17ROCPRIM_400000_NS6detail17trampoline_kernelINS0_14default_configENS1_27scan_by_key_config_selectorIj11FixedVectorIiLj1EEEEZZNS1_16scan_by_key_implILNS1_25lookback_scan_determinismE0ELb1ES3_N6thrust23THRUST_200600_302600_NS6detail15normal_iteratorINSB_10device_ptrIjEEEENSD_INSE_IS6_EEEESI_S6_NSB_4plusIvEENSB_8equal_toIvEES6_EE10hipError_tPvRmT2_T3_T4_T5_mT6_T7_P12ihipStream_tbENKUlT_T0_E_clISt17integral_constantIbLb1EES13_EEDaSY_SZ_EUlSY_E_NS1_11comp_targetILNS1_3genE10ELNS1_11target_archE1200ELNS1_3gpuE4ELNS1_3repE0EEENS1_30default_config_static_selectorELNS0_4arch9wavefront6targetE0EEEvT1_,"axG",@progbits,_ZN7rocprim17ROCPRIM_400000_NS6detail17trampoline_kernelINS0_14default_configENS1_27scan_by_key_config_selectorIj11FixedVectorIiLj1EEEEZZNS1_16scan_by_key_implILNS1_25lookback_scan_determinismE0ELb1ES3_N6thrust23THRUST_200600_302600_NS6detail15normal_iteratorINSB_10device_ptrIjEEEENSD_INSE_IS6_EEEESI_S6_NSB_4plusIvEENSB_8equal_toIvEES6_EE10hipError_tPvRmT2_T3_T4_T5_mT6_T7_P12ihipStream_tbENKUlT_T0_E_clISt17integral_constantIbLb1EES13_EEDaSY_SZ_EUlSY_E_NS1_11comp_targetILNS1_3genE10ELNS1_11target_archE1200ELNS1_3gpuE4ELNS1_3repE0EEENS1_30default_config_static_selectorELNS0_4arch9wavefront6targetE0EEEvT1_,comdat
	.protected	_ZN7rocprim17ROCPRIM_400000_NS6detail17trampoline_kernelINS0_14default_configENS1_27scan_by_key_config_selectorIj11FixedVectorIiLj1EEEEZZNS1_16scan_by_key_implILNS1_25lookback_scan_determinismE0ELb1ES3_N6thrust23THRUST_200600_302600_NS6detail15normal_iteratorINSB_10device_ptrIjEEEENSD_INSE_IS6_EEEESI_S6_NSB_4plusIvEENSB_8equal_toIvEES6_EE10hipError_tPvRmT2_T3_T4_T5_mT6_T7_P12ihipStream_tbENKUlT_T0_E_clISt17integral_constantIbLb1EES13_EEDaSY_SZ_EUlSY_E_NS1_11comp_targetILNS1_3genE10ELNS1_11target_archE1200ELNS1_3gpuE4ELNS1_3repE0EEENS1_30default_config_static_selectorELNS0_4arch9wavefront6targetE0EEEvT1_ ; -- Begin function _ZN7rocprim17ROCPRIM_400000_NS6detail17trampoline_kernelINS0_14default_configENS1_27scan_by_key_config_selectorIj11FixedVectorIiLj1EEEEZZNS1_16scan_by_key_implILNS1_25lookback_scan_determinismE0ELb1ES3_N6thrust23THRUST_200600_302600_NS6detail15normal_iteratorINSB_10device_ptrIjEEEENSD_INSE_IS6_EEEESI_S6_NSB_4plusIvEENSB_8equal_toIvEES6_EE10hipError_tPvRmT2_T3_T4_T5_mT6_T7_P12ihipStream_tbENKUlT_T0_E_clISt17integral_constantIbLb1EES13_EEDaSY_SZ_EUlSY_E_NS1_11comp_targetILNS1_3genE10ELNS1_11target_archE1200ELNS1_3gpuE4ELNS1_3repE0EEENS1_30default_config_static_selectorELNS0_4arch9wavefront6targetE0EEEvT1_
	.globl	_ZN7rocprim17ROCPRIM_400000_NS6detail17trampoline_kernelINS0_14default_configENS1_27scan_by_key_config_selectorIj11FixedVectorIiLj1EEEEZZNS1_16scan_by_key_implILNS1_25lookback_scan_determinismE0ELb1ES3_N6thrust23THRUST_200600_302600_NS6detail15normal_iteratorINSB_10device_ptrIjEEEENSD_INSE_IS6_EEEESI_S6_NSB_4plusIvEENSB_8equal_toIvEES6_EE10hipError_tPvRmT2_T3_T4_T5_mT6_T7_P12ihipStream_tbENKUlT_T0_E_clISt17integral_constantIbLb1EES13_EEDaSY_SZ_EUlSY_E_NS1_11comp_targetILNS1_3genE10ELNS1_11target_archE1200ELNS1_3gpuE4ELNS1_3repE0EEENS1_30default_config_static_selectorELNS0_4arch9wavefront6targetE0EEEvT1_
	.p2align	8
	.type	_ZN7rocprim17ROCPRIM_400000_NS6detail17trampoline_kernelINS0_14default_configENS1_27scan_by_key_config_selectorIj11FixedVectorIiLj1EEEEZZNS1_16scan_by_key_implILNS1_25lookback_scan_determinismE0ELb1ES3_N6thrust23THRUST_200600_302600_NS6detail15normal_iteratorINSB_10device_ptrIjEEEENSD_INSE_IS6_EEEESI_S6_NSB_4plusIvEENSB_8equal_toIvEES6_EE10hipError_tPvRmT2_T3_T4_T5_mT6_T7_P12ihipStream_tbENKUlT_T0_E_clISt17integral_constantIbLb1EES13_EEDaSY_SZ_EUlSY_E_NS1_11comp_targetILNS1_3genE10ELNS1_11target_archE1200ELNS1_3gpuE4ELNS1_3repE0EEENS1_30default_config_static_selectorELNS0_4arch9wavefront6targetE0EEEvT1_,@function
_ZN7rocprim17ROCPRIM_400000_NS6detail17trampoline_kernelINS0_14default_configENS1_27scan_by_key_config_selectorIj11FixedVectorIiLj1EEEEZZNS1_16scan_by_key_implILNS1_25lookback_scan_determinismE0ELb1ES3_N6thrust23THRUST_200600_302600_NS6detail15normal_iteratorINSB_10device_ptrIjEEEENSD_INSE_IS6_EEEESI_S6_NSB_4plusIvEENSB_8equal_toIvEES6_EE10hipError_tPvRmT2_T3_T4_T5_mT6_T7_P12ihipStream_tbENKUlT_T0_E_clISt17integral_constantIbLb1EES13_EEDaSY_SZ_EUlSY_E_NS1_11comp_targetILNS1_3genE10ELNS1_11target_archE1200ELNS1_3gpuE4ELNS1_3repE0EEENS1_30default_config_static_selectorELNS0_4arch9wavefront6targetE0EEEvT1_: ; @_ZN7rocprim17ROCPRIM_400000_NS6detail17trampoline_kernelINS0_14default_configENS1_27scan_by_key_config_selectorIj11FixedVectorIiLj1EEEEZZNS1_16scan_by_key_implILNS1_25lookback_scan_determinismE0ELb1ES3_N6thrust23THRUST_200600_302600_NS6detail15normal_iteratorINSB_10device_ptrIjEEEENSD_INSE_IS6_EEEESI_S6_NSB_4plusIvEENSB_8equal_toIvEES6_EE10hipError_tPvRmT2_T3_T4_T5_mT6_T7_P12ihipStream_tbENKUlT_T0_E_clISt17integral_constantIbLb1EES13_EEDaSY_SZ_EUlSY_E_NS1_11comp_targetILNS1_3genE10ELNS1_11target_archE1200ELNS1_3gpuE4ELNS1_3repE0EEENS1_30default_config_static_selectorELNS0_4arch9wavefront6targetE0EEEvT1_
; %bb.0:
	.section	.rodata,"a",@progbits
	.p2align	6, 0x0
	.amdhsa_kernel _ZN7rocprim17ROCPRIM_400000_NS6detail17trampoline_kernelINS0_14default_configENS1_27scan_by_key_config_selectorIj11FixedVectorIiLj1EEEEZZNS1_16scan_by_key_implILNS1_25lookback_scan_determinismE0ELb1ES3_N6thrust23THRUST_200600_302600_NS6detail15normal_iteratorINSB_10device_ptrIjEEEENSD_INSE_IS6_EEEESI_S6_NSB_4plusIvEENSB_8equal_toIvEES6_EE10hipError_tPvRmT2_T3_T4_T5_mT6_T7_P12ihipStream_tbENKUlT_T0_E_clISt17integral_constantIbLb1EES13_EEDaSY_SZ_EUlSY_E_NS1_11comp_targetILNS1_3genE10ELNS1_11target_archE1200ELNS1_3gpuE4ELNS1_3repE0EEENS1_30default_config_static_selectorELNS0_4arch9wavefront6targetE0EEEvT1_
		.amdhsa_group_segment_fixed_size 0
		.amdhsa_private_segment_fixed_size 0
		.amdhsa_kernarg_size 112
		.amdhsa_user_sgpr_count 6
		.amdhsa_user_sgpr_private_segment_buffer 1
		.amdhsa_user_sgpr_dispatch_ptr 0
		.amdhsa_user_sgpr_queue_ptr 0
		.amdhsa_user_sgpr_kernarg_segment_ptr 1
		.amdhsa_user_sgpr_dispatch_id 0
		.amdhsa_user_sgpr_flat_scratch_init 0
		.amdhsa_user_sgpr_private_segment_size 0
		.amdhsa_wavefront_size32 1
		.amdhsa_uses_dynamic_stack 0
		.amdhsa_system_sgpr_private_segment_wavefront_offset 0
		.amdhsa_system_sgpr_workgroup_id_x 1
		.amdhsa_system_sgpr_workgroup_id_y 0
		.amdhsa_system_sgpr_workgroup_id_z 0
		.amdhsa_system_sgpr_workgroup_info 0
		.amdhsa_system_vgpr_workitem_id 0
		.amdhsa_next_free_vgpr 1
		.amdhsa_next_free_sgpr 1
		.amdhsa_reserve_vcc 0
		.amdhsa_reserve_flat_scratch 0
		.amdhsa_float_round_mode_32 0
		.amdhsa_float_round_mode_16_64 0
		.amdhsa_float_denorm_mode_32 3
		.amdhsa_float_denorm_mode_16_64 3
		.amdhsa_dx10_clamp 1
		.amdhsa_ieee_mode 1
		.amdhsa_fp16_overflow 0
		.amdhsa_workgroup_processor_mode 1
		.amdhsa_memory_ordered 1
		.amdhsa_forward_progress 1
		.amdhsa_shared_vgpr_count 0
		.amdhsa_exception_fp_ieee_invalid_op 0
		.amdhsa_exception_fp_denorm_src 0
		.amdhsa_exception_fp_ieee_div_zero 0
		.amdhsa_exception_fp_ieee_overflow 0
		.amdhsa_exception_fp_ieee_underflow 0
		.amdhsa_exception_fp_ieee_inexact 0
		.amdhsa_exception_int_div_zero 0
	.end_amdhsa_kernel
	.section	.text._ZN7rocprim17ROCPRIM_400000_NS6detail17trampoline_kernelINS0_14default_configENS1_27scan_by_key_config_selectorIj11FixedVectorIiLj1EEEEZZNS1_16scan_by_key_implILNS1_25lookback_scan_determinismE0ELb1ES3_N6thrust23THRUST_200600_302600_NS6detail15normal_iteratorINSB_10device_ptrIjEEEENSD_INSE_IS6_EEEESI_S6_NSB_4plusIvEENSB_8equal_toIvEES6_EE10hipError_tPvRmT2_T3_T4_T5_mT6_T7_P12ihipStream_tbENKUlT_T0_E_clISt17integral_constantIbLb1EES13_EEDaSY_SZ_EUlSY_E_NS1_11comp_targetILNS1_3genE10ELNS1_11target_archE1200ELNS1_3gpuE4ELNS1_3repE0EEENS1_30default_config_static_selectorELNS0_4arch9wavefront6targetE0EEEvT1_,"axG",@progbits,_ZN7rocprim17ROCPRIM_400000_NS6detail17trampoline_kernelINS0_14default_configENS1_27scan_by_key_config_selectorIj11FixedVectorIiLj1EEEEZZNS1_16scan_by_key_implILNS1_25lookback_scan_determinismE0ELb1ES3_N6thrust23THRUST_200600_302600_NS6detail15normal_iteratorINSB_10device_ptrIjEEEENSD_INSE_IS6_EEEESI_S6_NSB_4plusIvEENSB_8equal_toIvEES6_EE10hipError_tPvRmT2_T3_T4_T5_mT6_T7_P12ihipStream_tbENKUlT_T0_E_clISt17integral_constantIbLb1EES13_EEDaSY_SZ_EUlSY_E_NS1_11comp_targetILNS1_3genE10ELNS1_11target_archE1200ELNS1_3gpuE4ELNS1_3repE0EEENS1_30default_config_static_selectorELNS0_4arch9wavefront6targetE0EEEvT1_,comdat
.Lfunc_end1926:
	.size	_ZN7rocprim17ROCPRIM_400000_NS6detail17trampoline_kernelINS0_14default_configENS1_27scan_by_key_config_selectorIj11FixedVectorIiLj1EEEEZZNS1_16scan_by_key_implILNS1_25lookback_scan_determinismE0ELb1ES3_N6thrust23THRUST_200600_302600_NS6detail15normal_iteratorINSB_10device_ptrIjEEEENSD_INSE_IS6_EEEESI_S6_NSB_4plusIvEENSB_8equal_toIvEES6_EE10hipError_tPvRmT2_T3_T4_T5_mT6_T7_P12ihipStream_tbENKUlT_T0_E_clISt17integral_constantIbLb1EES13_EEDaSY_SZ_EUlSY_E_NS1_11comp_targetILNS1_3genE10ELNS1_11target_archE1200ELNS1_3gpuE4ELNS1_3repE0EEENS1_30default_config_static_selectorELNS0_4arch9wavefront6targetE0EEEvT1_, .Lfunc_end1926-_ZN7rocprim17ROCPRIM_400000_NS6detail17trampoline_kernelINS0_14default_configENS1_27scan_by_key_config_selectorIj11FixedVectorIiLj1EEEEZZNS1_16scan_by_key_implILNS1_25lookback_scan_determinismE0ELb1ES3_N6thrust23THRUST_200600_302600_NS6detail15normal_iteratorINSB_10device_ptrIjEEEENSD_INSE_IS6_EEEESI_S6_NSB_4plusIvEENSB_8equal_toIvEES6_EE10hipError_tPvRmT2_T3_T4_T5_mT6_T7_P12ihipStream_tbENKUlT_T0_E_clISt17integral_constantIbLb1EES13_EEDaSY_SZ_EUlSY_E_NS1_11comp_targetILNS1_3genE10ELNS1_11target_archE1200ELNS1_3gpuE4ELNS1_3repE0EEENS1_30default_config_static_selectorELNS0_4arch9wavefront6targetE0EEEvT1_
                                        ; -- End function
	.set _ZN7rocprim17ROCPRIM_400000_NS6detail17trampoline_kernelINS0_14default_configENS1_27scan_by_key_config_selectorIj11FixedVectorIiLj1EEEEZZNS1_16scan_by_key_implILNS1_25lookback_scan_determinismE0ELb1ES3_N6thrust23THRUST_200600_302600_NS6detail15normal_iteratorINSB_10device_ptrIjEEEENSD_INSE_IS6_EEEESI_S6_NSB_4plusIvEENSB_8equal_toIvEES6_EE10hipError_tPvRmT2_T3_T4_T5_mT6_T7_P12ihipStream_tbENKUlT_T0_E_clISt17integral_constantIbLb1EES13_EEDaSY_SZ_EUlSY_E_NS1_11comp_targetILNS1_3genE10ELNS1_11target_archE1200ELNS1_3gpuE4ELNS1_3repE0EEENS1_30default_config_static_selectorELNS0_4arch9wavefront6targetE0EEEvT1_.num_vgpr, 0
	.set _ZN7rocprim17ROCPRIM_400000_NS6detail17trampoline_kernelINS0_14default_configENS1_27scan_by_key_config_selectorIj11FixedVectorIiLj1EEEEZZNS1_16scan_by_key_implILNS1_25lookback_scan_determinismE0ELb1ES3_N6thrust23THRUST_200600_302600_NS6detail15normal_iteratorINSB_10device_ptrIjEEEENSD_INSE_IS6_EEEESI_S6_NSB_4plusIvEENSB_8equal_toIvEES6_EE10hipError_tPvRmT2_T3_T4_T5_mT6_T7_P12ihipStream_tbENKUlT_T0_E_clISt17integral_constantIbLb1EES13_EEDaSY_SZ_EUlSY_E_NS1_11comp_targetILNS1_3genE10ELNS1_11target_archE1200ELNS1_3gpuE4ELNS1_3repE0EEENS1_30default_config_static_selectorELNS0_4arch9wavefront6targetE0EEEvT1_.num_agpr, 0
	.set _ZN7rocprim17ROCPRIM_400000_NS6detail17trampoline_kernelINS0_14default_configENS1_27scan_by_key_config_selectorIj11FixedVectorIiLj1EEEEZZNS1_16scan_by_key_implILNS1_25lookback_scan_determinismE0ELb1ES3_N6thrust23THRUST_200600_302600_NS6detail15normal_iteratorINSB_10device_ptrIjEEEENSD_INSE_IS6_EEEESI_S6_NSB_4plusIvEENSB_8equal_toIvEES6_EE10hipError_tPvRmT2_T3_T4_T5_mT6_T7_P12ihipStream_tbENKUlT_T0_E_clISt17integral_constantIbLb1EES13_EEDaSY_SZ_EUlSY_E_NS1_11comp_targetILNS1_3genE10ELNS1_11target_archE1200ELNS1_3gpuE4ELNS1_3repE0EEENS1_30default_config_static_selectorELNS0_4arch9wavefront6targetE0EEEvT1_.numbered_sgpr, 0
	.set _ZN7rocprim17ROCPRIM_400000_NS6detail17trampoline_kernelINS0_14default_configENS1_27scan_by_key_config_selectorIj11FixedVectorIiLj1EEEEZZNS1_16scan_by_key_implILNS1_25lookback_scan_determinismE0ELb1ES3_N6thrust23THRUST_200600_302600_NS6detail15normal_iteratorINSB_10device_ptrIjEEEENSD_INSE_IS6_EEEESI_S6_NSB_4plusIvEENSB_8equal_toIvEES6_EE10hipError_tPvRmT2_T3_T4_T5_mT6_T7_P12ihipStream_tbENKUlT_T0_E_clISt17integral_constantIbLb1EES13_EEDaSY_SZ_EUlSY_E_NS1_11comp_targetILNS1_3genE10ELNS1_11target_archE1200ELNS1_3gpuE4ELNS1_3repE0EEENS1_30default_config_static_selectorELNS0_4arch9wavefront6targetE0EEEvT1_.num_named_barrier, 0
	.set _ZN7rocprim17ROCPRIM_400000_NS6detail17trampoline_kernelINS0_14default_configENS1_27scan_by_key_config_selectorIj11FixedVectorIiLj1EEEEZZNS1_16scan_by_key_implILNS1_25lookback_scan_determinismE0ELb1ES3_N6thrust23THRUST_200600_302600_NS6detail15normal_iteratorINSB_10device_ptrIjEEEENSD_INSE_IS6_EEEESI_S6_NSB_4plusIvEENSB_8equal_toIvEES6_EE10hipError_tPvRmT2_T3_T4_T5_mT6_T7_P12ihipStream_tbENKUlT_T0_E_clISt17integral_constantIbLb1EES13_EEDaSY_SZ_EUlSY_E_NS1_11comp_targetILNS1_3genE10ELNS1_11target_archE1200ELNS1_3gpuE4ELNS1_3repE0EEENS1_30default_config_static_selectorELNS0_4arch9wavefront6targetE0EEEvT1_.private_seg_size, 0
	.set _ZN7rocprim17ROCPRIM_400000_NS6detail17trampoline_kernelINS0_14default_configENS1_27scan_by_key_config_selectorIj11FixedVectorIiLj1EEEEZZNS1_16scan_by_key_implILNS1_25lookback_scan_determinismE0ELb1ES3_N6thrust23THRUST_200600_302600_NS6detail15normal_iteratorINSB_10device_ptrIjEEEENSD_INSE_IS6_EEEESI_S6_NSB_4plusIvEENSB_8equal_toIvEES6_EE10hipError_tPvRmT2_T3_T4_T5_mT6_T7_P12ihipStream_tbENKUlT_T0_E_clISt17integral_constantIbLb1EES13_EEDaSY_SZ_EUlSY_E_NS1_11comp_targetILNS1_3genE10ELNS1_11target_archE1200ELNS1_3gpuE4ELNS1_3repE0EEENS1_30default_config_static_selectorELNS0_4arch9wavefront6targetE0EEEvT1_.uses_vcc, 0
	.set _ZN7rocprim17ROCPRIM_400000_NS6detail17trampoline_kernelINS0_14default_configENS1_27scan_by_key_config_selectorIj11FixedVectorIiLj1EEEEZZNS1_16scan_by_key_implILNS1_25lookback_scan_determinismE0ELb1ES3_N6thrust23THRUST_200600_302600_NS6detail15normal_iteratorINSB_10device_ptrIjEEEENSD_INSE_IS6_EEEESI_S6_NSB_4plusIvEENSB_8equal_toIvEES6_EE10hipError_tPvRmT2_T3_T4_T5_mT6_T7_P12ihipStream_tbENKUlT_T0_E_clISt17integral_constantIbLb1EES13_EEDaSY_SZ_EUlSY_E_NS1_11comp_targetILNS1_3genE10ELNS1_11target_archE1200ELNS1_3gpuE4ELNS1_3repE0EEENS1_30default_config_static_selectorELNS0_4arch9wavefront6targetE0EEEvT1_.uses_flat_scratch, 0
	.set _ZN7rocprim17ROCPRIM_400000_NS6detail17trampoline_kernelINS0_14default_configENS1_27scan_by_key_config_selectorIj11FixedVectorIiLj1EEEEZZNS1_16scan_by_key_implILNS1_25lookback_scan_determinismE0ELb1ES3_N6thrust23THRUST_200600_302600_NS6detail15normal_iteratorINSB_10device_ptrIjEEEENSD_INSE_IS6_EEEESI_S6_NSB_4plusIvEENSB_8equal_toIvEES6_EE10hipError_tPvRmT2_T3_T4_T5_mT6_T7_P12ihipStream_tbENKUlT_T0_E_clISt17integral_constantIbLb1EES13_EEDaSY_SZ_EUlSY_E_NS1_11comp_targetILNS1_3genE10ELNS1_11target_archE1200ELNS1_3gpuE4ELNS1_3repE0EEENS1_30default_config_static_selectorELNS0_4arch9wavefront6targetE0EEEvT1_.has_dyn_sized_stack, 0
	.set _ZN7rocprim17ROCPRIM_400000_NS6detail17trampoline_kernelINS0_14default_configENS1_27scan_by_key_config_selectorIj11FixedVectorIiLj1EEEEZZNS1_16scan_by_key_implILNS1_25lookback_scan_determinismE0ELb1ES3_N6thrust23THRUST_200600_302600_NS6detail15normal_iteratorINSB_10device_ptrIjEEEENSD_INSE_IS6_EEEESI_S6_NSB_4plusIvEENSB_8equal_toIvEES6_EE10hipError_tPvRmT2_T3_T4_T5_mT6_T7_P12ihipStream_tbENKUlT_T0_E_clISt17integral_constantIbLb1EES13_EEDaSY_SZ_EUlSY_E_NS1_11comp_targetILNS1_3genE10ELNS1_11target_archE1200ELNS1_3gpuE4ELNS1_3repE0EEENS1_30default_config_static_selectorELNS0_4arch9wavefront6targetE0EEEvT1_.has_recursion, 0
	.set _ZN7rocprim17ROCPRIM_400000_NS6detail17trampoline_kernelINS0_14default_configENS1_27scan_by_key_config_selectorIj11FixedVectorIiLj1EEEEZZNS1_16scan_by_key_implILNS1_25lookback_scan_determinismE0ELb1ES3_N6thrust23THRUST_200600_302600_NS6detail15normal_iteratorINSB_10device_ptrIjEEEENSD_INSE_IS6_EEEESI_S6_NSB_4plusIvEENSB_8equal_toIvEES6_EE10hipError_tPvRmT2_T3_T4_T5_mT6_T7_P12ihipStream_tbENKUlT_T0_E_clISt17integral_constantIbLb1EES13_EEDaSY_SZ_EUlSY_E_NS1_11comp_targetILNS1_3genE10ELNS1_11target_archE1200ELNS1_3gpuE4ELNS1_3repE0EEENS1_30default_config_static_selectorELNS0_4arch9wavefront6targetE0EEEvT1_.has_indirect_call, 0
	.section	.AMDGPU.csdata,"",@progbits
; Kernel info:
; codeLenInByte = 0
; TotalNumSgprs: 0
; NumVgprs: 0
; ScratchSize: 0
; MemoryBound: 0
; FloatMode: 240
; IeeeMode: 1
; LDSByteSize: 0 bytes/workgroup (compile time only)
; SGPRBlocks: 0
; VGPRBlocks: 0
; NumSGPRsForWavesPerEU: 1
; NumVGPRsForWavesPerEU: 1
; Occupancy: 16
; WaveLimiterHint : 0
; COMPUTE_PGM_RSRC2:SCRATCH_EN: 0
; COMPUTE_PGM_RSRC2:USER_SGPR: 6
; COMPUTE_PGM_RSRC2:TRAP_HANDLER: 0
; COMPUTE_PGM_RSRC2:TGID_X_EN: 1
; COMPUTE_PGM_RSRC2:TGID_Y_EN: 0
; COMPUTE_PGM_RSRC2:TGID_Z_EN: 0
; COMPUTE_PGM_RSRC2:TIDIG_COMP_CNT: 0
	.section	.text._ZN7rocprim17ROCPRIM_400000_NS6detail17trampoline_kernelINS0_14default_configENS1_27scan_by_key_config_selectorIj11FixedVectorIiLj1EEEEZZNS1_16scan_by_key_implILNS1_25lookback_scan_determinismE0ELb1ES3_N6thrust23THRUST_200600_302600_NS6detail15normal_iteratorINSB_10device_ptrIjEEEENSD_INSE_IS6_EEEESI_S6_NSB_4plusIvEENSB_8equal_toIvEES6_EE10hipError_tPvRmT2_T3_T4_T5_mT6_T7_P12ihipStream_tbENKUlT_T0_E_clISt17integral_constantIbLb1EES13_EEDaSY_SZ_EUlSY_E_NS1_11comp_targetILNS1_3genE9ELNS1_11target_archE1100ELNS1_3gpuE3ELNS1_3repE0EEENS1_30default_config_static_selectorELNS0_4arch9wavefront6targetE0EEEvT1_,"axG",@progbits,_ZN7rocprim17ROCPRIM_400000_NS6detail17trampoline_kernelINS0_14default_configENS1_27scan_by_key_config_selectorIj11FixedVectorIiLj1EEEEZZNS1_16scan_by_key_implILNS1_25lookback_scan_determinismE0ELb1ES3_N6thrust23THRUST_200600_302600_NS6detail15normal_iteratorINSB_10device_ptrIjEEEENSD_INSE_IS6_EEEESI_S6_NSB_4plusIvEENSB_8equal_toIvEES6_EE10hipError_tPvRmT2_T3_T4_T5_mT6_T7_P12ihipStream_tbENKUlT_T0_E_clISt17integral_constantIbLb1EES13_EEDaSY_SZ_EUlSY_E_NS1_11comp_targetILNS1_3genE9ELNS1_11target_archE1100ELNS1_3gpuE3ELNS1_3repE0EEENS1_30default_config_static_selectorELNS0_4arch9wavefront6targetE0EEEvT1_,comdat
	.protected	_ZN7rocprim17ROCPRIM_400000_NS6detail17trampoline_kernelINS0_14default_configENS1_27scan_by_key_config_selectorIj11FixedVectorIiLj1EEEEZZNS1_16scan_by_key_implILNS1_25lookback_scan_determinismE0ELb1ES3_N6thrust23THRUST_200600_302600_NS6detail15normal_iteratorINSB_10device_ptrIjEEEENSD_INSE_IS6_EEEESI_S6_NSB_4plusIvEENSB_8equal_toIvEES6_EE10hipError_tPvRmT2_T3_T4_T5_mT6_T7_P12ihipStream_tbENKUlT_T0_E_clISt17integral_constantIbLb1EES13_EEDaSY_SZ_EUlSY_E_NS1_11comp_targetILNS1_3genE9ELNS1_11target_archE1100ELNS1_3gpuE3ELNS1_3repE0EEENS1_30default_config_static_selectorELNS0_4arch9wavefront6targetE0EEEvT1_ ; -- Begin function _ZN7rocprim17ROCPRIM_400000_NS6detail17trampoline_kernelINS0_14default_configENS1_27scan_by_key_config_selectorIj11FixedVectorIiLj1EEEEZZNS1_16scan_by_key_implILNS1_25lookback_scan_determinismE0ELb1ES3_N6thrust23THRUST_200600_302600_NS6detail15normal_iteratorINSB_10device_ptrIjEEEENSD_INSE_IS6_EEEESI_S6_NSB_4plusIvEENSB_8equal_toIvEES6_EE10hipError_tPvRmT2_T3_T4_T5_mT6_T7_P12ihipStream_tbENKUlT_T0_E_clISt17integral_constantIbLb1EES13_EEDaSY_SZ_EUlSY_E_NS1_11comp_targetILNS1_3genE9ELNS1_11target_archE1100ELNS1_3gpuE3ELNS1_3repE0EEENS1_30default_config_static_selectorELNS0_4arch9wavefront6targetE0EEEvT1_
	.globl	_ZN7rocprim17ROCPRIM_400000_NS6detail17trampoline_kernelINS0_14default_configENS1_27scan_by_key_config_selectorIj11FixedVectorIiLj1EEEEZZNS1_16scan_by_key_implILNS1_25lookback_scan_determinismE0ELb1ES3_N6thrust23THRUST_200600_302600_NS6detail15normal_iteratorINSB_10device_ptrIjEEEENSD_INSE_IS6_EEEESI_S6_NSB_4plusIvEENSB_8equal_toIvEES6_EE10hipError_tPvRmT2_T3_T4_T5_mT6_T7_P12ihipStream_tbENKUlT_T0_E_clISt17integral_constantIbLb1EES13_EEDaSY_SZ_EUlSY_E_NS1_11comp_targetILNS1_3genE9ELNS1_11target_archE1100ELNS1_3gpuE3ELNS1_3repE0EEENS1_30default_config_static_selectorELNS0_4arch9wavefront6targetE0EEEvT1_
	.p2align	8
	.type	_ZN7rocprim17ROCPRIM_400000_NS6detail17trampoline_kernelINS0_14default_configENS1_27scan_by_key_config_selectorIj11FixedVectorIiLj1EEEEZZNS1_16scan_by_key_implILNS1_25lookback_scan_determinismE0ELb1ES3_N6thrust23THRUST_200600_302600_NS6detail15normal_iteratorINSB_10device_ptrIjEEEENSD_INSE_IS6_EEEESI_S6_NSB_4plusIvEENSB_8equal_toIvEES6_EE10hipError_tPvRmT2_T3_T4_T5_mT6_T7_P12ihipStream_tbENKUlT_T0_E_clISt17integral_constantIbLb1EES13_EEDaSY_SZ_EUlSY_E_NS1_11comp_targetILNS1_3genE9ELNS1_11target_archE1100ELNS1_3gpuE3ELNS1_3repE0EEENS1_30default_config_static_selectorELNS0_4arch9wavefront6targetE0EEEvT1_,@function
_ZN7rocprim17ROCPRIM_400000_NS6detail17trampoline_kernelINS0_14default_configENS1_27scan_by_key_config_selectorIj11FixedVectorIiLj1EEEEZZNS1_16scan_by_key_implILNS1_25lookback_scan_determinismE0ELb1ES3_N6thrust23THRUST_200600_302600_NS6detail15normal_iteratorINSB_10device_ptrIjEEEENSD_INSE_IS6_EEEESI_S6_NSB_4plusIvEENSB_8equal_toIvEES6_EE10hipError_tPvRmT2_T3_T4_T5_mT6_T7_P12ihipStream_tbENKUlT_T0_E_clISt17integral_constantIbLb1EES13_EEDaSY_SZ_EUlSY_E_NS1_11comp_targetILNS1_3genE9ELNS1_11target_archE1100ELNS1_3gpuE3ELNS1_3repE0EEENS1_30default_config_static_selectorELNS0_4arch9wavefront6targetE0EEEvT1_: ; @_ZN7rocprim17ROCPRIM_400000_NS6detail17trampoline_kernelINS0_14default_configENS1_27scan_by_key_config_selectorIj11FixedVectorIiLj1EEEEZZNS1_16scan_by_key_implILNS1_25lookback_scan_determinismE0ELb1ES3_N6thrust23THRUST_200600_302600_NS6detail15normal_iteratorINSB_10device_ptrIjEEEENSD_INSE_IS6_EEEESI_S6_NSB_4plusIvEENSB_8equal_toIvEES6_EE10hipError_tPvRmT2_T3_T4_T5_mT6_T7_P12ihipStream_tbENKUlT_T0_E_clISt17integral_constantIbLb1EES13_EEDaSY_SZ_EUlSY_E_NS1_11comp_targetILNS1_3genE9ELNS1_11target_archE1100ELNS1_3gpuE3ELNS1_3repE0EEENS1_30default_config_static_selectorELNS0_4arch9wavefront6targetE0EEEvT1_
; %bb.0:
	.section	.rodata,"a",@progbits
	.p2align	6, 0x0
	.amdhsa_kernel _ZN7rocprim17ROCPRIM_400000_NS6detail17trampoline_kernelINS0_14default_configENS1_27scan_by_key_config_selectorIj11FixedVectorIiLj1EEEEZZNS1_16scan_by_key_implILNS1_25lookback_scan_determinismE0ELb1ES3_N6thrust23THRUST_200600_302600_NS6detail15normal_iteratorINSB_10device_ptrIjEEEENSD_INSE_IS6_EEEESI_S6_NSB_4plusIvEENSB_8equal_toIvEES6_EE10hipError_tPvRmT2_T3_T4_T5_mT6_T7_P12ihipStream_tbENKUlT_T0_E_clISt17integral_constantIbLb1EES13_EEDaSY_SZ_EUlSY_E_NS1_11comp_targetILNS1_3genE9ELNS1_11target_archE1100ELNS1_3gpuE3ELNS1_3repE0EEENS1_30default_config_static_selectorELNS0_4arch9wavefront6targetE0EEEvT1_
		.amdhsa_group_segment_fixed_size 0
		.amdhsa_private_segment_fixed_size 0
		.amdhsa_kernarg_size 112
		.amdhsa_user_sgpr_count 6
		.amdhsa_user_sgpr_private_segment_buffer 1
		.amdhsa_user_sgpr_dispatch_ptr 0
		.amdhsa_user_sgpr_queue_ptr 0
		.amdhsa_user_sgpr_kernarg_segment_ptr 1
		.amdhsa_user_sgpr_dispatch_id 0
		.amdhsa_user_sgpr_flat_scratch_init 0
		.amdhsa_user_sgpr_private_segment_size 0
		.amdhsa_wavefront_size32 1
		.amdhsa_uses_dynamic_stack 0
		.amdhsa_system_sgpr_private_segment_wavefront_offset 0
		.amdhsa_system_sgpr_workgroup_id_x 1
		.amdhsa_system_sgpr_workgroup_id_y 0
		.amdhsa_system_sgpr_workgroup_id_z 0
		.amdhsa_system_sgpr_workgroup_info 0
		.amdhsa_system_vgpr_workitem_id 0
		.amdhsa_next_free_vgpr 1
		.amdhsa_next_free_sgpr 1
		.amdhsa_reserve_vcc 0
		.amdhsa_reserve_flat_scratch 0
		.amdhsa_float_round_mode_32 0
		.amdhsa_float_round_mode_16_64 0
		.amdhsa_float_denorm_mode_32 3
		.amdhsa_float_denorm_mode_16_64 3
		.amdhsa_dx10_clamp 1
		.amdhsa_ieee_mode 1
		.amdhsa_fp16_overflow 0
		.amdhsa_workgroup_processor_mode 1
		.amdhsa_memory_ordered 1
		.amdhsa_forward_progress 1
		.amdhsa_shared_vgpr_count 0
		.amdhsa_exception_fp_ieee_invalid_op 0
		.amdhsa_exception_fp_denorm_src 0
		.amdhsa_exception_fp_ieee_div_zero 0
		.amdhsa_exception_fp_ieee_overflow 0
		.amdhsa_exception_fp_ieee_underflow 0
		.amdhsa_exception_fp_ieee_inexact 0
		.amdhsa_exception_int_div_zero 0
	.end_amdhsa_kernel
	.section	.text._ZN7rocprim17ROCPRIM_400000_NS6detail17trampoline_kernelINS0_14default_configENS1_27scan_by_key_config_selectorIj11FixedVectorIiLj1EEEEZZNS1_16scan_by_key_implILNS1_25lookback_scan_determinismE0ELb1ES3_N6thrust23THRUST_200600_302600_NS6detail15normal_iteratorINSB_10device_ptrIjEEEENSD_INSE_IS6_EEEESI_S6_NSB_4plusIvEENSB_8equal_toIvEES6_EE10hipError_tPvRmT2_T3_T4_T5_mT6_T7_P12ihipStream_tbENKUlT_T0_E_clISt17integral_constantIbLb1EES13_EEDaSY_SZ_EUlSY_E_NS1_11comp_targetILNS1_3genE9ELNS1_11target_archE1100ELNS1_3gpuE3ELNS1_3repE0EEENS1_30default_config_static_selectorELNS0_4arch9wavefront6targetE0EEEvT1_,"axG",@progbits,_ZN7rocprim17ROCPRIM_400000_NS6detail17trampoline_kernelINS0_14default_configENS1_27scan_by_key_config_selectorIj11FixedVectorIiLj1EEEEZZNS1_16scan_by_key_implILNS1_25lookback_scan_determinismE0ELb1ES3_N6thrust23THRUST_200600_302600_NS6detail15normal_iteratorINSB_10device_ptrIjEEEENSD_INSE_IS6_EEEESI_S6_NSB_4plusIvEENSB_8equal_toIvEES6_EE10hipError_tPvRmT2_T3_T4_T5_mT6_T7_P12ihipStream_tbENKUlT_T0_E_clISt17integral_constantIbLb1EES13_EEDaSY_SZ_EUlSY_E_NS1_11comp_targetILNS1_3genE9ELNS1_11target_archE1100ELNS1_3gpuE3ELNS1_3repE0EEENS1_30default_config_static_selectorELNS0_4arch9wavefront6targetE0EEEvT1_,comdat
.Lfunc_end1927:
	.size	_ZN7rocprim17ROCPRIM_400000_NS6detail17trampoline_kernelINS0_14default_configENS1_27scan_by_key_config_selectorIj11FixedVectorIiLj1EEEEZZNS1_16scan_by_key_implILNS1_25lookback_scan_determinismE0ELb1ES3_N6thrust23THRUST_200600_302600_NS6detail15normal_iteratorINSB_10device_ptrIjEEEENSD_INSE_IS6_EEEESI_S6_NSB_4plusIvEENSB_8equal_toIvEES6_EE10hipError_tPvRmT2_T3_T4_T5_mT6_T7_P12ihipStream_tbENKUlT_T0_E_clISt17integral_constantIbLb1EES13_EEDaSY_SZ_EUlSY_E_NS1_11comp_targetILNS1_3genE9ELNS1_11target_archE1100ELNS1_3gpuE3ELNS1_3repE0EEENS1_30default_config_static_selectorELNS0_4arch9wavefront6targetE0EEEvT1_, .Lfunc_end1927-_ZN7rocprim17ROCPRIM_400000_NS6detail17trampoline_kernelINS0_14default_configENS1_27scan_by_key_config_selectorIj11FixedVectorIiLj1EEEEZZNS1_16scan_by_key_implILNS1_25lookback_scan_determinismE0ELb1ES3_N6thrust23THRUST_200600_302600_NS6detail15normal_iteratorINSB_10device_ptrIjEEEENSD_INSE_IS6_EEEESI_S6_NSB_4plusIvEENSB_8equal_toIvEES6_EE10hipError_tPvRmT2_T3_T4_T5_mT6_T7_P12ihipStream_tbENKUlT_T0_E_clISt17integral_constantIbLb1EES13_EEDaSY_SZ_EUlSY_E_NS1_11comp_targetILNS1_3genE9ELNS1_11target_archE1100ELNS1_3gpuE3ELNS1_3repE0EEENS1_30default_config_static_selectorELNS0_4arch9wavefront6targetE0EEEvT1_
                                        ; -- End function
	.set _ZN7rocprim17ROCPRIM_400000_NS6detail17trampoline_kernelINS0_14default_configENS1_27scan_by_key_config_selectorIj11FixedVectorIiLj1EEEEZZNS1_16scan_by_key_implILNS1_25lookback_scan_determinismE0ELb1ES3_N6thrust23THRUST_200600_302600_NS6detail15normal_iteratorINSB_10device_ptrIjEEEENSD_INSE_IS6_EEEESI_S6_NSB_4plusIvEENSB_8equal_toIvEES6_EE10hipError_tPvRmT2_T3_T4_T5_mT6_T7_P12ihipStream_tbENKUlT_T0_E_clISt17integral_constantIbLb1EES13_EEDaSY_SZ_EUlSY_E_NS1_11comp_targetILNS1_3genE9ELNS1_11target_archE1100ELNS1_3gpuE3ELNS1_3repE0EEENS1_30default_config_static_selectorELNS0_4arch9wavefront6targetE0EEEvT1_.num_vgpr, 0
	.set _ZN7rocprim17ROCPRIM_400000_NS6detail17trampoline_kernelINS0_14default_configENS1_27scan_by_key_config_selectorIj11FixedVectorIiLj1EEEEZZNS1_16scan_by_key_implILNS1_25lookback_scan_determinismE0ELb1ES3_N6thrust23THRUST_200600_302600_NS6detail15normal_iteratorINSB_10device_ptrIjEEEENSD_INSE_IS6_EEEESI_S6_NSB_4plusIvEENSB_8equal_toIvEES6_EE10hipError_tPvRmT2_T3_T4_T5_mT6_T7_P12ihipStream_tbENKUlT_T0_E_clISt17integral_constantIbLb1EES13_EEDaSY_SZ_EUlSY_E_NS1_11comp_targetILNS1_3genE9ELNS1_11target_archE1100ELNS1_3gpuE3ELNS1_3repE0EEENS1_30default_config_static_selectorELNS0_4arch9wavefront6targetE0EEEvT1_.num_agpr, 0
	.set _ZN7rocprim17ROCPRIM_400000_NS6detail17trampoline_kernelINS0_14default_configENS1_27scan_by_key_config_selectorIj11FixedVectorIiLj1EEEEZZNS1_16scan_by_key_implILNS1_25lookback_scan_determinismE0ELb1ES3_N6thrust23THRUST_200600_302600_NS6detail15normal_iteratorINSB_10device_ptrIjEEEENSD_INSE_IS6_EEEESI_S6_NSB_4plusIvEENSB_8equal_toIvEES6_EE10hipError_tPvRmT2_T3_T4_T5_mT6_T7_P12ihipStream_tbENKUlT_T0_E_clISt17integral_constantIbLb1EES13_EEDaSY_SZ_EUlSY_E_NS1_11comp_targetILNS1_3genE9ELNS1_11target_archE1100ELNS1_3gpuE3ELNS1_3repE0EEENS1_30default_config_static_selectorELNS0_4arch9wavefront6targetE0EEEvT1_.numbered_sgpr, 0
	.set _ZN7rocprim17ROCPRIM_400000_NS6detail17trampoline_kernelINS0_14default_configENS1_27scan_by_key_config_selectorIj11FixedVectorIiLj1EEEEZZNS1_16scan_by_key_implILNS1_25lookback_scan_determinismE0ELb1ES3_N6thrust23THRUST_200600_302600_NS6detail15normal_iteratorINSB_10device_ptrIjEEEENSD_INSE_IS6_EEEESI_S6_NSB_4plusIvEENSB_8equal_toIvEES6_EE10hipError_tPvRmT2_T3_T4_T5_mT6_T7_P12ihipStream_tbENKUlT_T0_E_clISt17integral_constantIbLb1EES13_EEDaSY_SZ_EUlSY_E_NS1_11comp_targetILNS1_3genE9ELNS1_11target_archE1100ELNS1_3gpuE3ELNS1_3repE0EEENS1_30default_config_static_selectorELNS0_4arch9wavefront6targetE0EEEvT1_.num_named_barrier, 0
	.set _ZN7rocprim17ROCPRIM_400000_NS6detail17trampoline_kernelINS0_14default_configENS1_27scan_by_key_config_selectorIj11FixedVectorIiLj1EEEEZZNS1_16scan_by_key_implILNS1_25lookback_scan_determinismE0ELb1ES3_N6thrust23THRUST_200600_302600_NS6detail15normal_iteratorINSB_10device_ptrIjEEEENSD_INSE_IS6_EEEESI_S6_NSB_4plusIvEENSB_8equal_toIvEES6_EE10hipError_tPvRmT2_T3_T4_T5_mT6_T7_P12ihipStream_tbENKUlT_T0_E_clISt17integral_constantIbLb1EES13_EEDaSY_SZ_EUlSY_E_NS1_11comp_targetILNS1_3genE9ELNS1_11target_archE1100ELNS1_3gpuE3ELNS1_3repE0EEENS1_30default_config_static_selectorELNS0_4arch9wavefront6targetE0EEEvT1_.private_seg_size, 0
	.set _ZN7rocprim17ROCPRIM_400000_NS6detail17trampoline_kernelINS0_14default_configENS1_27scan_by_key_config_selectorIj11FixedVectorIiLj1EEEEZZNS1_16scan_by_key_implILNS1_25lookback_scan_determinismE0ELb1ES3_N6thrust23THRUST_200600_302600_NS6detail15normal_iteratorINSB_10device_ptrIjEEEENSD_INSE_IS6_EEEESI_S6_NSB_4plusIvEENSB_8equal_toIvEES6_EE10hipError_tPvRmT2_T3_T4_T5_mT6_T7_P12ihipStream_tbENKUlT_T0_E_clISt17integral_constantIbLb1EES13_EEDaSY_SZ_EUlSY_E_NS1_11comp_targetILNS1_3genE9ELNS1_11target_archE1100ELNS1_3gpuE3ELNS1_3repE0EEENS1_30default_config_static_selectorELNS0_4arch9wavefront6targetE0EEEvT1_.uses_vcc, 0
	.set _ZN7rocprim17ROCPRIM_400000_NS6detail17trampoline_kernelINS0_14default_configENS1_27scan_by_key_config_selectorIj11FixedVectorIiLj1EEEEZZNS1_16scan_by_key_implILNS1_25lookback_scan_determinismE0ELb1ES3_N6thrust23THRUST_200600_302600_NS6detail15normal_iteratorINSB_10device_ptrIjEEEENSD_INSE_IS6_EEEESI_S6_NSB_4plusIvEENSB_8equal_toIvEES6_EE10hipError_tPvRmT2_T3_T4_T5_mT6_T7_P12ihipStream_tbENKUlT_T0_E_clISt17integral_constantIbLb1EES13_EEDaSY_SZ_EUlSY_E_NS1_11comp_targetILNS1_3genE9ELNS1_11target_archE1100ELNS1_3gpuE3ELNS1_3repE0EEENS1_30default_config_static_selectorELNS0_4arch9wavefront6targetE0EEEvT1_.uses_flat_scratch, 0
	.set _ZN7rocprim17ROCPRIM_400000_NS6detail17trampoline_kernelINS0_14default_configENS1_27scan_by_key_config_selectorIj11FixedVectorIiLj1EEEEZZNS1_16scan_by_key_implILNS1_25lookback_scan_determinismE0ELb1ES3_N6thrust23THRUST_200600_302600_NS6detail15normal_iteratorINSB_10device_ptrIjEEEENSD_INSE_IS6_EEEESI_S6_NSB_4plusIvEENSB_8equal_toIvEES6_EE10hipError_tPvRmT2_T3_T4_T5_mT6_T7_P12ihipStream_tbENKUlT_T0_E_clISt17integral_constantIbLb1EES13_EEDaSY_SZ_EUlSY_E_NS1_11comp_targetILNS1_3genE9ELNS1_11target_archE1100ELNS1_3gpuE3ELNS1_3repE0EEENS1_30default_config_static_selectorELNS0_4arch9wavefront6targetE0EEEvT1_.has_dyn_sized_stack, 0
	.set _ZN7rocprim17ROCPRIM_400000_NS6detail17trampoline_kernelINS0_14default_configENS1_27scan_by_key_config_selectorIj11FixedVectorIiLj1EEEEZZNS1_16scan_by_key_implILNS1_25lookback_scan_determinismE0ELb1ES3_N6thrust23THRUST_200600_302600_NS6detail15normal_iteratorINSB_10device_ptrIjEEEENSD_INSE_IS6_EEEESI_S6_NSB_4plusIvEENSB_8equal_toIvEES6_EE10hipError_tPvRmT2_T3_T4_T5_mT6_T7_P12ihipStream_tbENKUlT_T0_E_clISt17integral_constantIbLb1EES13_EEDaSY_SZ_EUlSY_E_NS1_11comp_targetILNS1_3genE9ELNS1_11target_archE1100ELNS1_3gpuE3ELNS1_3repE0EEENS1_30default_config_static_selectorELNS0_4arch9wavefront6targetE0EEEvT1_.has_recursion, 0
	.set _ZN7rocprim17ROCPRIM_400000_NS6detail17trampoline_kernelINS0_14default_configENS1_27scan_by_key_config_selectorIj11FixedVectorIiLj1EEEEZZNS1_16scan_by_key_implILNS1_25lookback_scan_determinismE0ELb1ES3_N6thrust23THRUST_200600_302600_NS6detail15normal_iteratorINSB_10device_ptrIjEEEENSD_INSE_IS6_EEEESI_S6_NSB_4plusIvEENSB_8equal_toIvEES6_EE10hipError_tPvRmT2_T3_T4_T5_mT6_T7_P12ihipStream_tbENKUlT_T0_E_clISt17integral_constantIbLb1EES13_EEDaSY_SZ_EUlSY_E_NS1_11comp_targetILNS1_3genE9ELNS1_11target_archE1100ELNS1_3gpuE3ELNS1_3repE0EEENS1_30default_config_static_selectorELNS0_4arch9wavefront6targetE0EEEvT1_.has_indirect_call, 0
	.section	.AMDGPU.csdata,"",@progbits
; Kernel info:
; codeLenInByte = 0
; TotalNumSgprs: 0
; NumVgprs: 0
; ScratchSize: 0
; MemoryBound: 0
; FloatMode: 240
; IeeeMode: 1
; LDSByteSize: 0 bytes/workgroup (compile time only)
; SGPRBlocks: 0
; VGPRBlocks: 0
; NumSGPRsForWavesPerEU: 1
; NumVGPRsForWavesPerEU: 1
; Occupancy: 16
; WaveLimiterHint : 0
; COMPUTE_PGM_RSRC2:SCRATCH_EN: 0
; COMPUTE_PGM_RSRC2:USER_SGPR: 6
; COMPUTE_PGM_RSRC2:TRAP_HANDLER: 0
; COMPUTE_PGM_RSRC2:TGID_X_EN: 1
; COMPUTE_PGM_RSRC2:TGID_Y_EN: 0
; COMPUTE_PGM_RSRC2:TGID_Z_EN: 0
; COMPUTE_PGM_RSRC2:TIDIG_COMP_CNT: 0
	.section	.text._ZN7rocprim17ROCPRIM_400000_NS6detail17trampoline_kernelINS0_14default_configENS1_27scan_by_key_config_selectorIj11FixedVectorIiLj1EEEEZZNS1_16scan_by_key_implILNS1_25lookback_scan_determinismE0ELb1ES3_N6thrust23THRUST_200600_302600_NS6detail15normal_iteratorINSB_10device_ptrIjEEEENSD_INSE_IS6_EEEESI_S6_NSB_4plusIvEENSB_8equal_toIvEES6_EE10hipError_tPvRmT2_T3_T4_T5_mT6_T7_P12ihipStream_tbENKUlT_T0_E_clISt17integral_constantIbLb1EES13_EEDaSY_SZ_EUlSY_E_NS1_11comp_targetILNS1_3genE8ELNS1_11target_archE1030ELNS1_3gpuE2ELNS1_3repE0EEENS1_30default_config_static_selectorELNS0_4arch9wavefront6targetE0EEEvT1_,"axG",@progbits,_ZN7rocprim17ROCPRIM_400000_NS6detail17trampoline_kernelINS0_14default_configENS1_27scan_by_key_config_selectorIj11FixedVectorIiLj1EEEEZZNS1_16scan_by_key_implILNS1_25lookback_scan_determinismE0ELb1ES3_N6thrust23THRUST_200600_302600_NS6detail15normal_iteratorINSB_10device_ptrIjEEEENSD_INSE_IS6_EEEESI_S6_NSB_4plusIvEENSB_8equal_toIvEES6_EE10hipError_tPvRmT2_T3_T4_T5_mT6_T7_P12ihipStream_tbENKUlT_T0_E_clISt17integral_constantIbLb1EES13_EEDaSY_SZ_EUlSY_E_NS1_11comp_targetILNS1_3genE8ELNS1_11target_archE1030ELNS1_3gpuE2ELNS1_3repE0EEENS1_30default_config_static_selectorELNS0_4arch9wavefront6targetE0EEEvT1_,comdat
	.protected	_ZN7rocprim17ROCPRIM_400000_NS6detail17trampoline_kernelINS0_14default_configENS1_27scan_by_key_config_selectorIj11FixedVectorIiLj1EEEEZZNS1_16scan_by_key_implILNS1_25lookback_scan_determinismE0ELb1ES3_N6thrust23THRUST_200600_302600_NS6detail15normal_iteratorINSB_10device_ptrIjEEEENSD_INSE_IS6_EEEESI_S6_NSB_4plusIvEENSB_8equal_toIvEES6_EE10hipError_tPvRmT2_T3_T4_T5_mT6_T7_P12ihipStream_tbENKUlT_T0_E_clISt17integral_constantIbLb1EES13_EEDaSY_SZ_EUlSY_E_NS1_11comp_targetILNS1_3genE8ELNS1_11target_archE1030ELNS1_3gpuE2ELNS1_3repE0EEENS1_30default_config_static_selectorELNS0_4arch9wavefront6targetE0EEEvT1_ ; -- Begin function _ZN7rocprim17ROCPRIM_400000_NS6detail17trampoline_kernelINS0_14default_configENS1_27scan_by_key_config_selectorIj11FixedVectorIiLj1EEEEZZNS1_16scan_by_key_implILNS1_25lookback_scan_determinismE0ELb1ES3_N6thrust23THRUST_200600_302600_NS6detail15normal_iteratorINSB_10device_ptrIjEEEENSD_INSE_IS6_EEEESI_S6_NSB_4plusIvEENSB_8equal_toIvEES6_EE10hipError_tPvRmT2_T3_T4_T5_mT6_T7_P12ihipStream_tbENKUlT_T0_E_clISt17integral_constantIbLb1EES13_EEDaSY_SZ_EUlSY_E_NS1_11comp_targetILNS1_3genE8ELNS1_11target_archE1030ELNS1_3gpuE2ELNS1_3repE0EEENS1_30default_config_static_selectorELNS0_4arch9wavefront6targetE0EEEvT1_
	.globl	_ZN7rocprim17ROCPRIM_400000_NS6detail17trampoline_kernelINS0_14default_configENS1_27scan_by_key_config_selectorIj11FixedVectorIiLj1EEEEZZNS1_16scan_by_key_implILNS1_25lookback_scan_determinismE0ELb1ES3_N6thrust23THRUST_200600_302600_NS6detail15normal_iteratorINSB_10device_ptrIjEEEENSD_INSE_IS6_EEEESI_S6_NSB_4plusIvEENSB_8equal_toIvEES6_EE10hipError_tPvRmT2_T3_T4_T5_mT6_T7_P12ihipStream_tbENKUlT_T0_E_clISt17integral_constantIbLb1EES13_EEDaSY_SZ_EUlSY_E_NS1_11comp_targetILNS1_3genE8ELNS1_11target_archE1030ELNS1_3gpuE2ELNS1_3repE0EEENS1_30default_config_static_selectorELNS0_4arch9wavefront6targetE0EEEvT1_
	.p2align	8
	.type	_ZN7rocprim17ROCPRIM_400000_NS6detail17trampoline_kernelINS0_14default_configENS1_27scan_by_key_config_selectorIj11FixedVectorIiLj1EEEEZZNS1_16scan_by_key_implILNS1_25lookback_scan_determinismE0ELb1ES3_N6thrust23THRUST_200600_302600_NS6detail15normal_iteratorINSB_10device_ptrIjEEEENSD_INSE_IS6_EEEESI_S6_NSB_4plusIvEENSB_8equal_toIvEES6_EE10hipError_tPvRmT2_T3_T4_T5_mT6_T7_P12ihipStream_tbENKUlT_T0_E_clISt17integral_constantIbLb1EES13_EEDaSY_SZ_EUlSY_E_NS1_11comp_targetILNS1_3genE8ELNS1_11target_archE1030ELNS1_3gpuE2ELNS1_3repE0EEENS1_30default_config_static_selectorELNS0_4arch9wavefront6targetE0EEEvT1_,@function
_ZN7rocprim17ROCPRIM_400000_NS6detail17trampoline_kernelINS0_14default_configENS1_27scan_by_key_config_selectorIj11FixedVectorIiLj1EEEEZZNS1_16scan_by_key_implILNS1_25lookback_scan_determinismE0ELb1ES3_N6thrust23THRUST_200600_302600_NS6detail15normal_iteratorINSB_10device_ptrIjEEEENSD_INSE_IS6_EEEESI_S6_NSB_4plusIvEENSB_8equal_toIvEES6_EE10hipError_tPvRmT2_T3_T4_T5_mT6_T7_P12ihipStream_tbENKUlT_T0_E_clISt17integral_constantIbLb1EES13_EEDaSY_SZ_EUlSY_E_NS1_11comp_targetILNS1_3genE8ELNS1_11target_archE1030ELNS1_3gpuE2ELNS1_3repE0EEENS1_30default_config_static_selectorELNS0_4arch9wavefront6targetE0EEEvT1_: ; @_ZN7rocprim17ROCPRIM_400000_NS6detail17trampoline_kernelINS0_14default_configENS1_27scan_by_key_config_selectorIj11FixedVectorIiLj1EEEEZZNS1_16scan_by_key_implILNS1_25lookback_scan_determinismE0ELb1ES3_N6thrust23THRUST_200600_302600_NS6detail15normal_iteratorINSB_10device_ptrIjEEEENSD_INSE_IS6_EEEESI_S6_NSB_4plusIvEENSB_8equal_toIvEES6_EE10hipError_tPvRmT2_T3_T4_T5_mT6_T7_P12ihipStream_tbENKUlT_T0_E_clISt17integral_constantIbLb1EES13_EEDaSY_SZ_EUlSY_E_NS1_11comp_targetILNS1_3genE8ELNS1_11target_archE1030ELNS1_3gpuE2ELNS1_3repE0EEENS1_30default_config_static_selectorELNS0_4arch9wavefront6targetE0EEEvT1_
; %bb.0:
	s_endpgm
	.section	.rodata,"a",@progbits
	.p2align	6, 0x0
	.amdhsa_kernel _ZN7rocprim17ROCPRIM_400000_NS6detail17trampoline_kernelINS0_14default_configENS1_27scan_by_key_config_selectorIj11FixedVectorIiLj1EEEEZZNS1_16scan_by_key_implILNS1_25lookback_scan_determinismE0ELb1ES3_N6thrust23THRUST_200600_302600_NS6detail15normal_iteratorINSB_10device_ptrIjEEEENSD_INSE_IS6_EEEESI_S6_NSB_4plusIvEENSB_8equal_toIvEES6_EE10hipError_tPvRmT2_T3_T4_T5_mT6_T7_P12ihipStream_tbENKUlT_T0_E_clISt17integral_constantIbLb1EES13_EEDaSY_SZ_EUlSY_E_NS1_11comp_targetILNS1_3genE8ELNS1_11target_archE1030ELNS1_3gpuE2ELNS1_3repE0EEENS1_30default_config_static_selectorELNS0_4arch9wavefront6targetE0EEEvT1_
		.amdhsa_group_segment_fixed_size 0
		.amdhsa_private_segment_fixed_size 0
		.amdhsa_kernarg_size 112
		.amdhsa_user_sgpr_count 6
		.amdhsa_user_sgpr_private_segment_buffer 1
		.amdhsa_user_sgpr_dispatch_ptr 0
		.amdhsa_user_sgpr_queue_ptr 0
		.amdhsa_user_sgpr_kernarg_segment_ptr 1
		.amdhsa_user_sgpr_dispatch_id 0
		.amdhsa_user_sgpr_flat_scratch_init 0
		.amdhsa_user_sgpr_private_segment_size 0
		.amdhsa_wavefront_size32 1
		.amdhsa_uses_dynamic_stack 0
		.amdhsa_system_sgpr_private_segment_wavefront_offset 0
		.amdhsa_system_sgpr_workgroup_id_x 1
		.amdhsa_system_sgpr_workgroup_id_y 0
		.amdhsa_system_sgpr_workgroup_id_z 0
		.amdhsa_system_sgpr_workgroup_info 0
		.amdhsa_system_vgpr_workitem_id 0
		.amdhsa_next_free_vgpr 1
		.amdhsa_next_free_sgpr 1
		.amdhsa_reserve_vcc 0
		.amdhsa_reserve_flat_scratch 0
		.amdhsa_float_round_mode_32 0
		.amdhsa_float_round_mode_16_64 0
		.amdhsa_float_denorm_mode_32 3
		.amdhsa_float_denorm_mode_16_64 3
		.amdhsa_dx10_clamp 1
		.amdhsa_ieee_mode 1
		.amdhsa_fp16_overflow 0
		.amdhsa_workgroup_processor_mode 1
		.amdhsa_memory_ordered 1
		.amdhsa_forward_progress 1
		.amdhsa_shared_vgpr_count 0
		.amdhsa_exception_fp_ieee_invalid_op 0
		.amdhsa_exception_fp_denorm_src 0
		.amdhsa_exception_fp_ieee_div_zero 0
		.amdhsa_exception_fp_ieee_overflow 0
		.amdhsa_exception_fp_ieee_underflow 0
		.amdhsa_exception_fp_ieee_inexact 0
		.amdhsa_exception_int_div_zero 0
	.end_amdhsa_kernel
	.section	.text._ZN7rocprim17ROCPRIM_400000_NS6detail17trampoline_kernelINS0_14default_configENS1_27scan_by_key_config_selectorIj11FixedVectorIiLj1EEEEZZNS1_16scan_by_key_implILNS1_25lookback_scan_determinismE0ELb1ES3_N6thrust23THRUST_200600_302600_NS6detail15normal_iteratorINSB_10device_ptrIjEEEENSD_INSE_IS6_EEEESI_S6_NSB_4plusIvEENSB_8equal_toIvEES6_EE10hipError_tPvRmT2_T3_T4_T5_mT6_T7_P12ihipStream_tbENKUlT_T0_E_clISt17integral_constantIbLb1EES13_EEDaSY_SZ_EUlSY_E_NS1_11comp_targetILNS1_3genE8ELNS1_11target_archE1030ELNS1_3gpuE2ELNS1_3repE0EEENS1_30default_config_static_selectorELNS0_4arch9wavefront6targetE0EEEvT1_,"axG",@progbits,_ZN7rocprim17ROCPRIM_400000_NS6detail17trampoline_kernelINS0_14default_configENS1_27scan_by_key_config_selectorIj11FixedVectorIiLj1EEEEZZNS1_16scan_by_key_implILNS1_25lookback_scan_determinismE0ELb1ES3_N6thrust23THRUST_200600_302600_NS6detail15normal_iteratorINSB_10device_ptrIjEEEENSD_INSE_IS6_EEEESI_S6_NSB_4plusIvEENSB_8equal_toIvEES6_EE10hipError_tPvRmT2_T3_T4_T5_mT6_T7_P12ihipStream_tbENKUlT_T0_E_clISt17integral_constantIbLb1EES13_EEDaSY_SZ_EUlSY_E_NS1_11comp_targetILNS1_3genE8ELNS1_11target_archE1030ELNS1_3gpuE2ELNS1_3repE0EEENS1_30default_config_static_selectorELNS0_4arch9wavefront6targetE0EEEvT1_,comdat
.Lfunc_end1928:
	.size	_ZN7rocprim17ROCPRIM_400000_NS6detail17trampoline_kernelINS0_14default_configENS1_27scan_by_key_config_selectorIj11FixedVectorIiLj1EEEEZZNS1_16scan_by_key_implILNS1_25lookback_scan_determinismE0ELb1ES3_N6thrust23THRUST_200600_302600_NS6detail15normal_iteratorINSB_10device_ptrIjEEEENSD_INSE_IS6_EEEESI_S6_NSB_4plusIvEENSB_8equal_toIvEES6_EE10hipError_tPvRmT2_T3_T4_T5_mT6_T7_P12ihipStream_tbENKUlT_T0_E_clISt17integral_constantIbLb1EES13_EEDaSY_SZ_EUlSY_E_NS1_11comp_targetILNS1_3genE8ELNS1_11target_archE1030ELNS1_3gpuE2ELNS1_3repE0EEENS1_30default_config_static_selectorELNS0_4arch9wavefront6targetE0EEEvT1_, .Lfunc_end1928-_ZN7rocprim17ROCPRIM_400000_NS6detail17trampoline_kernelINS0_14default_configENS1_27scan_by_key_config_selectorIj11FixedVectorIiLj1EEEEZZNS1_16scan_by_key_implILNS1_25lookback_scan_determinismE0ELb1ES3_N6thrust23THRUST_200600_302600_NS6detail15normal_iteratorINSB_10device_ptrIjEEEENSD_INSE_IS6_EEEESI_S6_NSB_4plusIvEENSB_8equal_toIvEES6_EE10hipError_tPvRmT2_T3_T4_T5_mT6_T7_P12ihipStream_tbENKUlT_T0_E_clISt17integral_constantIbLb1EES13_EEDaSY_SZ_EUlSY_E_NS1_11comp_targetILNS1_3genE8ELNS1_11target_archE1030ELNS1_3gpuE2ELNS1_3repE0EEENS1_30default_config_static_selectorELNS0_4arch9wavefront6targetE0EEEvT1_
                                        ; -- End function
	.set _ZN7rocprim17ROCPRIM_400000_NS6detail17trampoline_kernelINS0_14default_configENS1_27scan_by_key_config_selectorIj11FixedVectorIiLj1EEEEZZNS1_16scan_by_key_implILNS1_25lookback_scan_determinismE0ELb1ES3_N6thrust23THRUST_200600_302600_NS6detail15normal_iteratorINSB_10device_ptrIjEEEENSD_INSE_IS6_EEEESI_S6_NSB_4plusIvEENSB_8equal_toIvEES6_EE10hipError_tPvRmT2_T3_T4_T5_mT6_T7_P12ihipStream_tbENKUlT_T0_E_clISt17integral_constantIbLb1EES13_EEDaSY_SZ_EUlSY_E_NS1_11comp_targetILNS1_3genE8ELNS1_11target_archE1030ELNS1_3gpuE2ELNS1_3repE0EEENS1_30default_config_static_selectorELNS0_4arch9wavefront6targetE0EEEvT1_.num_vgpr, 0
	.set _ZN7rocprim17ROCPRIM_400000_NS6detail17trampoline_kernelINS0_14default_configENS1_27scan_by_key_config_selectorIj11FixedVectorIiLj1EEEEZZNS1_16scan_by_key_implILNS1_25lookback_scan_determinismE0ELb1ES3_N6thrust23THRUST_200600_302600_NS6detail15normal_iteratorINSB_10device_ptrIjEEEENSD_INSE_IS6_EEEESI_S6_NSB_4plusIvEENSB_8equal_toIvEES6_EE10hipError_tPvRmT2_T3_T4_T5_mT6_T7_P12ihipStream_tbENKUlT_T0_E_clISt17integral_constantIbLb1EES13_EEDaSY_SZ_EUlSY_E_NS1_11comp_targetILNS1_3genE8ELNS1_11target_archE1030ELNS1_3gpuE2ELNS1_3repE0EEENS1_30default_config_static_selectorELNS0_4arch9wavefront6targetE0EEEvT1_.num_agpr, 0
	.set _ZN7rocprim17ROCPRIM_400000_NS6detail17trampoline_kernelINS0_14default_configENS1_27scan_by_key_config_selectorIj11FixedVectorIiLj1EEEEZZNS1_16scan_by_key_implILNS1_25lookback_scan_determinismE0ELb1ES3_N6thrust23THRUST_200600_302600_NS6detail15normal_iteratorINSB_10device_ptrIjEEEENSD_INSE_IS6_EEEESI_S6_NSB_4plusIvEENSB_8equal_toIvEES6_EE10hipError_tPvRmT2_T3_T4_T5_mT6_T7_P12ihipStream_tbENKUlT_T0_E_clISt17integral_constantIbLb1EES13_EEDaSY_SZ_EUlSY_E_NS1_11comp_targetILNS1_3genE8ELNS1_11target_archE1030ELNS1_3gpuE2ELNS1_3repE0EEENS1_30default_config_static_selectorELNS0_4arch9wavefront6targetE0EEEvT1_.numbered_sgpr, 0
	.set _ZN7rocprim17ROCPRIM_400000_NS6detail17trampoline_kernelINS0_14default_configENS1_27scan_by_key_config_selectorIj11FixedVectorIiLj1EEEEZZNS1_16scan_by_key_implILNS1_25lookback_scan_determinismE0ELb1ES3_N6thrust23THRUST_200600_302600_NS6detail15normal_iteratorINSB_10device_ptrIjEEEENSD_INSE_IS6_EEEESI_S6_NSB_4plusIvEENSB_8equal_toIvEES6_EE10hipError_tPvRmT2_T3_T4_T5_mT6_T7_P12ihipStream_tbENKUlT_T0_E_clISt17integral_constantIbLb1EES13_EEDaSY_SZ_EUlSY_E_NS1_11comp_targetILNS1_3genE8ELNS1_11target_archE1030ELNS1_3gpuE2ELNS1_3repE0EEENS1_30default_config_static_selectorELNS0_4arch9wavefront6targetE0EEEvT1_.num_named_barrier, 0
	.set _ZN7rocprim17ROCPRIM_400000_NS6detail17trampoline_kernelINS0_14default_configENS1_27scan_by_key_config_selectorIj11FixedVectorIiLj1EEEEZZNS1_16scan_by_key_implILNS1_25lookback_scan_determinismE0ELb1ES3_N6thrust23THRUST_200600_302600_NS6detail15normal_iteratorINSB_10device_ptrIjEEEENSD_INSE_IS6_EEEESI_S6_NSB_4plusIvEENSB_8equal_toIvEES6_EE10hipError_tPvRmT2_T3_T4_T5_mT6_T7_P12ihipStream_tbENKUlT_T0_E_clISt17integral_constantIbLb1EES13_EEDaSY_SZ_EUlSY_E_NS1_11comp_targetILNS1_3genE8ELNS1_11target_archE1030ELNS1_3gpuE2ELNS1_3repE0EEENS1_30default_config_static_selectorELNS0_4arch9wavefront6targetE0EEEvT1_.private_seg_size, 0
	.set _ZN7rocprim17ROCPRIM_400000_NS6detail17trampoline_kernelINS0_14default_configENS1_27scan_by_key_config_selectorIj11FixedVectorIiLj1EEEEZZNS1_16scan_by_key_implILNS1_25lookback_scan_determinismE0ELb1ES3_N6thrust23THRUST_200600_302600_NS6detail15normal_iteratorINSB_10device_ptrIjEEEENSD_INSE_IS6_EEEESI_S6_NSB_4plusIvEENSB_8equal_toIvEES6_EE10hipError_tPvRmT2_T3_T4_T5_mT6_T7_P12ihipStream_tbENKUlT_T0_E_clISt17integral_constantIbLb1EES13_EEDaSY_SZ_EUlSY_E_NS1_11comp_targetILNS1_3genE8ELNS1_11target_archE1030ELNS1_3gpuE2ELNS1_3repE0EEENS1_30default_config_static_selectorELNS0_4arch9wavefront6targetE0EEEvT1_.uses_vcc, 0
	.set _ZN7rocprim17ROCPRIM_400000_NS6detail17trampoline_kernelINS0_14default_configENS1_27scan_by_key_config_selectorIj11FixedVectorIiLj1EEEEZZNS1_16scan_by_key_implILNS1_25lookback_scan_determinismE0ELb1ES3_N6thrust23THRUST_200600_302600_NS6detail15normal_iteratorINSB_10device_ptrIjEEEENSD_INSE_IS6_EEEESI_S6_NSB_4plusIvEENSB_8equal_toIvEES6_EE10hipError_tPvRmT2_T3_T4_T5_mT6_T7_P12ihipStream_tbENKUlT_T0_E_clISt17integral_constantIbLb1EES13_EEDaSY_SZ_EUlSY_E_NS1_11comp_targetILNS1_3genE8ELNS1_11target_archE1030ELNS1_3gpuE2ELNS1_3repE0EEENS1_30default_config_static_selectorELNS0_4arch9wavefront6targetE0EEEvT1_.uses_flat_scratch, 0
	.set _ZN7rocprim17ROCPRIM_400000_NS6detail17trampoline_kernelINS0_14default_configENS1_27scan_by_key_config_selectorIj11FixedVectorIiLj1EEEEZZNS1_16scan_by_key_implILNS1_25lookback_scan_determinismE0ELb1ES3_N6thrust23THRUST_200600_302600_NS6detail15normal_iteratorINSB_10device_ptrIjEEEENSD_INSE_IS6_EEEESI_S6_NSB_4plusIvEENSB_8equal_toIvEES6_EE10hipError_tPvRmT2_T3_T4_T5_mT6_T7_P12ihipStream_tbENKUlT_T0_E_clISt17integral_constantIbLb1EES13_EEDaSY_SZ_EUlSY_E_NS1_11comp_targetILNS1_3genE8ELNS1_11target_archE1030ELNS1_3gpuE2ELNS1_3repE0EEENS1_30default_config_static_selectorELNS0_4arch9wavefront6targetE0EEEvT1_.has_dyn_sized_stack, 0
	.set _ZN7rocprim17ROCPRIM_400000_NS6detail17trampoline_kernelINS0_14default_configENS1_27scan_by_key_config_selectorIj11FixedVectorIiLj1EEEEZZNS1_16scan_by_key_implILNS1_25lookback_scan_determinismE0ELb1ES3_N6thrust23THRUST_200600_302600_NS6detail15normal_iteratorINSB_10device_ptrIjEEEENSD_INSE_IS6_EEEESI_S6_NSB_4plusIvEENSB_8equal_toIvEES6_EE10hipError_tPvRmT2_T3_T4_T5_mT6_T7_P12ihipStream_tbENKUlT_T0_E_clISt17integral_constantIbLb1EES13_EEDaSY_SZ_EUlSY_E_NS1_11comp_targetILNS1_3genE8ELNS1_11target_archE1030ELNS1_3gpuE2ELNS1_3repE0EEENS1_30default_config_static_selectorELNS0_4arch9wavefront6targetE0EEEvT1_.has_recursion, 0
	.set _ZN7rocprim17ROCPRIM_400000_NS6detail17trampoline_kernelINS0_14default_configENS1_27scan_by_key_config_selectorIj11FixedVectorIiLj1EEEEZZNS1_16scan_by_key_implILNS1_25lookback_scan_determinismE0ELb1ES3_N6thrust23THRUST_200600_302600_NS6detail15normal_iteratorINSB_10device_ptrIjEEEENSD_INSE_IS6_EEEESI_S6_NSB_4plusIvEENSB_8equal_toIvEES6_EE10hipError_tPvRmT2_T3_T4_T5_mT6_T7_P12ihipStream_tbENKUlT_T0_E_clISt17integral_constantIbLb1EES13_EEDaSY_SZ_EUlSY_E_NS1_11comp_targetILNS1_3genE8ELNS1_11target_archE1030ELNS1_3gpuE2ELNS1_3repE0EEENS1_30default_config_static_selectorELNS0_4arch9wavefront6targetE0EEEvT1_.has_indirect_call, 0
	.section	.AMDGPU.csdata,"",@progbits
; Kernel info:
; codeLenInByte = 4
; TotalNumSgprs: 0
; NumVgprs: 0
; ScratchSize: 0
; MemoryBound: 0
; FloatMode: 240
; IeeeMode: 1
; LDSByteSize: 0 bytes/workgroup (compile time only)
; SGPRBlocks: 0
; VGPRBlocks: 0
; NumSGPRsForWavesPerEU: 1
; NumVGPRsForWavesPerEU: 1
; Occupancy: 16
; WaveLimiterHint : 0
; COMPUTE_PGM_RSRC2:SCRATCH_EN: 0
; COMPUTE_PGM_RSRC2:USER_SGPR: 6
; COMPUTE_PGM_RSRC2:TRAP_HANDLER: 0
; COMPUTE_PGM_RSRC2:TGID_X_EN: 1
; COMPUTE_PGM_RSRC2:TGID_Y_EN: 0
; COMPUTE_PGM_RSRC2:TGID_Z_EN: 0
; COMPUTE_PGM_RSRC2:TIDIG_COMP_CNT: 0
	.section	.text._ZN7rocprim17ROCPRIM_400000_NS6detail17trampoline_kernelINS0_14default_configENS1_27scan_by_key_config_selectorIj11FixedVectorIiLj1EEEEZZNS1_16scan_by_key_implILNS1_25lookback_scan_determinismE0ELb1ES3_N6thrust23THRUST_200600_302600_NS6detail15normal_iteratorINSB_10device_ptrIjEEEENSD_INSE_IS6_EEEESI_S6_NSB_4plusIvEENSB_8equal_toIvEES6_EE10hipError_tPvRmT2_T3_T4_T5_mT6_T7_P12ihipStream_tbENKUlT_T0_E_clISt17integral_constantIbLb1EES12_IbLb0EEEEDaSY_SZ_EUlSY_E_NS1_11comp_targetILNS1_3genE0ELNS1_11target_archE4294967295ELNS1_3gpuE0ELNS1_3repE0EEENS1_30default_config_static_selectorELNS0_4arch9wavefront6targetE0EEEvT1_,"axG",@progbits,_ZN7rocprim17ROCPRIM_400000_NS6detail17trampoline_kernelINS0_14default_configENS1_27scan_by_key_config_selectorIj11FixedVectorIiLj1EEEEZZNS1_16scan_by_key_implILNS1_25lookback_scan_determinismE0ELb1ES3_N6thrust23THRUST_200600_302600_NS6detail15normal_iteratorINSB_10device_ptrIjEEEENSD_INSE_IS6_EEEESI_S6_NSB_4plusIvEENSB_8equal_toIvEES6_EE10hipError_tPvRmT2_T3_T4_T5_mT6_T7_P12ihipStream_tbENKUlT_T0_E_clISt17integral_constantIbLb1EES12_IbLb0EEEEDaSY_SZ_EUlSY_E_NS1_11comp_targetILNS1_3genE0ELNS1_11target_archE4294967295ELNS1_3gpuE0ELNS1_3repE0EEENS1_30default_config_static_selectorELNS0_4arch9wavefront6targetE0EEEvT1_,comdat
	.protected	_ZN7rocprim17ROCPRIM_400000_NS6detail17trampoline_kernelINS0_14default_configENS1_27scan_by_key_config_selectorIj11FixedVectorIiLj1EEEEZZNS1_16scan_by_key_implILNS1_25lookback_scan_determinismE0ELb1ES3_N6thrust23THRUST_200600_302600_NS6detail15normal_iteratorINSB_10device_ptrIjEEEENSD_INSE_IS6_EEEESI_S6_NSB_4plusIvEENSB_8equal_toIvEES6_EE10hipError_tPvRmT2_T3_T4_T5_mT6_T7_P12ihipStream_tbENKUlT_T0_E_clISt17integral_constantIbLb1EES12_IbLb0EEEEDaSY_SZ_EUlSY_E_NS1_11comp_targetILNS1_3genE0ELNS1_11target_archE4294967295ELNS1_3gpuE0ELNS1_3repE0EEENS1_30default_config_static_selectorELNS0_4arch9wavefront6targetE0EEEvT1_ ; -- Begin function _ZN7rocprim17ROCPRIM_400000_NS6detail17trampoline_kernelINS0_14default_configENS1_27scan_by_key_config_selectorIj11FixedVectorIiLj1EEEEZZNS1_16scan_by_key_implILNS1_25lookback_scan_determinismE0ELb1ES3_N6thrust23THRUST_200600_302600_NS6detail15normal_iteratorINSB_10device_ptrIjEEEENSD_INSE_IS6_EEEESI_S6_NSB_4plusIvEENSB_8equal_toIvEES6_EE10hipError_tPvRmT2_T3_T4_T5_mT6_T7_P12ihipStream_tbENKUlT_T0_E_clISt17integral_constantIbLb1EES12_IbLb0EEEEDaSY_SZ_EUlSY_E_NS1_11comp_targetILNS1_3genE0ELNS1_11target_archE4294967295ELNS1_3gpuE0ELNS1_3repE0EEENS1_30default_config_static_selectorELNS0_4arch9wavefront6targetE0EEEvT1_
	.globl	_ZN7rocprim17ROCPRIM_400000_NS6detail17trampoline_kernelINS0_14default_configENS1_27scan_by_key_config_selectorIj11FixedVectorIiLj1EEEEZZNS1_16scan_by_key_implILNS1_25lookback_scan_determinismE0ELb1ES3_N6thrust23THRUST_200600_302600_NS6detail15normal_iteratorINSB_10device_ptrIjEEEENSD_INSE_IS6_EEEESI_S6_NSB_4plusIvEENSB_8equal_toIvEES6_EE10hipError_tPvRmT2_T3_T4_T5_mT6_T7_P12ihipStream_tbENKUlT_T0_E_clISt17integral_constantIbLb1EES12_IbLb0EEEEDaSY_SZ_EUlSY_E_NS1_11comp_targetILNS1_3genE0ELNS1_11target_archE4294967295ELNS1_3gpuE0ELNS1_3repE0EEENS1_30default_config_static_selectorELNS0_4arch9wavefront6targetE0EEEvT1_
	.p2align	8
	.type	_ZN7rocprim17ROCPRIM_400000_NS6detail17trampoline_kernelINS0_14default_configENS1_27scan_by_key_config_selectorIj11FixedVectorIiLj1EEEEZZNS1_16scan_by_key_implILNS1_25lookback_scan_determinismE0ELb1ES3_N6thrust23THRUST_200600_302600_NS6detail15normal_iteratorINSB_10device_ptrIjEEEENSD_INSE_IS6_EEEESI_S6_NSB_4plusIvEENSB_8equal_toIvEES6_EE10hipError_tPvRmT2_T3_T4_T5_mT6_T7_P12ihipStream_tbENKUlT_T0_E_clISt17integral_constantIbLb1EES12_IbLb0EEEEDaSY_SZ_EUlSY_E_NS1_11comp_targetILNS1_3genE0ELNS1_11target_archE4294967295ELNS1_3gpuE0ELNS1_3repE0EEENS1_30default_config_static_selectorELNS0_4arch9wavefront6targetE0EEEvT1_,@function
_ZN7rocprim17ROCPRIM_400000_NS6detail17trampoline_kernelINS0_14default_configENS1_27scan_by_key_config_selectorIj11FixedVectorIiLj1EEEEZZNS1_16scan_by_key_implILNS1_25lookback_scan_determinismE0ELb1ES3_N6thrust23THRUST_200600_302600_NS6detail15normal_iteratorINSB_10device_ptrIjEEEENSD_INSE_IS6_EEEESI_S6_NSB_4plusIvEENSB_8equal_toIvEES6_EE10hipError_tPvRmT2_T3_T4_T5_mT6_T7_P12ihipStream_tbENKUlT_T0_E_clISt17integral_constantIbLb1EES12_IbLb0EEEEDaSY_SZ_EUlSY_E_NS1_11comp_targetILNS1_3genE0ELNS1_11target_archE4294967295ELNS1_3gpuE0ELNS1_3repE0EEENS1_30default_config_static_selectorELNS0_4arch9wavefront6targetE0EEEvT1_: ; @_ZN7rocprim17ROCPRIM_400000_NS6detail17trampoline_kernelINS0_14default_configENS1_27scan_by_key_config_selectorIj11FixedVectorIiLj1EEEEZZNS1_16scan_by_key_implILNS1_25lookback_scan_determinismE0ELb1ES3_N6thrust23THRUST_200600_302600_NS6detail15normal_iteratorINSB_10device_ptrIjEEEENSD_INSE_IS6_EEEESI_S6_NSB_4plusIvEENSB_8equal_toIvEES6_EE10hipError_tPvRmT2_T3_T4_T5_mT6_T7_P12ihipStream_tbENKUlT_T0_E_clISt17integral_constantIbLb1EES12_IbLb0EEEEDaSY_SZ_EUlSY_E_NS1_11comp_targetILNS1_3genE0ELNS1_11target_archE4294967295ELNS1_3gpuE0ELNS1_3repE0EEENS1_30default_config_static_selectorELNS0_4arch9wavefront6targetE0EEEvT1_
; %bb.0:
	.section	.rodata,"a",@progbits
	.p2align	6, 0x0
	.amdhsa_kernel _ZN7rocprim17ROCPRIM_400000_NS6detail17trampoline_kernelINS0_14default_configENS1_27scan_by_key_config_selectorIj11FixedVectorIiLj1EEEEZZNS1_16scan_by_key_implILNS1_25lookback_scan_determinismE0ELb1ES3_N6thrust23THRUST_200600_302600_NS6detail15normal_iteratorINSB_10device_ptrIjEEEENSD_INSE_IS6_EEEESI_S6_NSB_4plusIvEENSB_8equal_toIvEES6_EE10hipError_tPvRmT2_T3_T4_T5_mT6_T7_P12ihipStream_tbENKUlT_T0_E_clISt17integral_constantIbLb1EES12_IbLb0EEEEDaSY_SZ_EUlSY_E_NS1_11comp_targetILNS1_3genE0ELNS1_11target_archE4294967295ELNS1_3gpuE0ELNS1_3repE0EEENS1_30default_config_static_selectorELNS0_4arch9wavefront6targetE0EEEvT1_
		.amdhsa_group_segment_fixed_size 0
		.amdhsa_private_segment_fixed_size 0
		.amdhsa_kernarg_size 112
		.amdhsa_user_sgpr_count 6
		.amdhsa_user_sgpr_private_segment_buffer 1
		.amdhsa_user_sgpr_dispatch_ptr 0
		.amdhsa_user_sgpr_queue_ptr 0
		.amdhsa_user_sgpr_kernarg_segment_ptr 1
		.amdhsa_user_sgpr_dispatch_id 0
		.amdhsa_user_sgpr_flat_scratch_init 0
		.amdhsa_user_sgpr_private_segment_size 0
		.amdhsa_wavefront_size32 1
		.amdhsa_uses_dynamic_stack 0
		.amdhsa_system_sgpr_private_segment_wavefront_offset 0
		.amdhsa_system_sgpr_workgroup_id_x 1
		.amdhsa_system_sgpr_workgroup_id_y 0
		.amdhsa_system_sgpr_workgroup_id_z 0
		.amdhsa_system_sgpr_workgroup_info 0
		.amdhsa_system_vgpr_workitem_id 0
		.amdhsa_next_free_vgpr 1
		.amdhsa_next_free_sgpr 1
		.amdhsa_reserve_vcc 0
		.amdhsa_reserve_flat_scratch 0
		.amdhsa_float_round_mode_32 0
		.amdhsa_float_round_mode_16_64 0
		.amdhsa_float_denorm_mode_32 3
		.amdhsa_float_denorm_mode_16_64 3
		.amdhsa_dx10_clamp 1
		.amdhsa_ieee_mode 1
		.amdhsa_fp16_overflow 0
		.amdhsa_workgroup_processor_mode 1
		.amdhsa_memory_ordered 1
		.amdhsa_forward_progress 1
		.amdhsa_shared_vgpr_count 0
		.amdhsa_exception_fp_ieee_invalid_op 0
		.amdhsa_exception_fp_denorm_src 0
		.amdhsa_exception_fp_ieee_div_zero 0
		.amdhsa_exception_fp_ieee_overflow 0
		.amdhsa_exception_fp_ieee_underflow 0
		.amdhsa_exception_fp_ieee_inexact 0
		.amdhsa_exception_int_div_zero 0
	.end_amdhsa_kernel
	.section	.text._ZN7rocprim17ROCPRIM_400000_NS6detail17trampoline_kernelINS0_14default_configENS1_27scan_by_key_config_selectorIj11FixedVectorIiLj1EEEEZZNS1_16scan_by_key_implILNS1_25lookback_scan_determinismE0ELb1ES3_N6thrust23THRUST_200600_302600_NS6detail15normal_iteratorINSB_10device_ptrIjEEEENSD_INSE_IS6_EEEESI_S6_NSB_4plusIvEENSB_8equal_toIvEES6_EE10hipError_tPvRmT2_T3_T4_T5_mT6_T7_P12ihipStream_tbENKUlT_T0_E_clISt17integral_constantIbLb1EES12_IbLb0EEEEDaSY_SZ_EUlSY_E_NS1_11comp_targetILNS1_3genE0ELNS1_11target_archE4294967295ELNS1_3gpuE0ELNS1_3repE0EEENS1_30default_config_static_selectorELNS0_4arch9wavefront6targetE0EEEvT1_,"axG",@progbits,_ZN7rocprim17ROCPRIM_400000_NS6detail17trampoline_kernelINS0_14default_configENS1_27scan_by_key_config_selectorIj11FixedVectorIiLj1EEEEZZNS1_16scan_by_key_implILNS1_25lookback_scan_determinismE0ELb1ES3_N6thrust23THRUST_200600_302600_NS6detail15normal_iteratorINSB_10device_ptrIjEEEENSD_INSE_IS6_EEEESI_S6_NSB_4plusIvEENSB_8equal_toIvEES6_EE10hipError_tPvRmT2_T3_T4_T5_mT6_T7_P12ihipStream_tbENKUlT_T0_E_clISt17integral_constantIbLb1EES12_IbLb0EEEEDaSY_SZ_EUlSY_E_NS1_11comp_targetILNS1_3genE0ELNS1_11target_archE4294967295ELNS1_3gpuE0ELNS1_3repE0EEENS1_30default_config_static_selectorELNS0_4arch9wavefront6targetE0EEEvT1_,comdat
.Lfunc_end1929:
	.size	_ZN7rocprim17ROCPRIM_400000_NS6detail17trampoline_kernelINS0_14default_configENS1_27scan_by_key_config_selectorIj11FixedVectorIiLj1EEEEZZNS1_16scan_by_key_implILNS1_25lookback_scan_determinismE0ELb1ES3_N6thrust23THRUST_200600_302600_NS6detail15normal_iteratorINSB_10device_ptrIjEEEENSD_INSE_IS6_EEEESI_S6_NSB_4plusIvEENSB_8equal_toIvEES6_EE10hipError_tPvRmT2_T3_T4_T5_mT6_T7_P12ihipStream_tbENKUlT_T0_E_clISt17integral_constantIbLb1EES12_IbLb0EEEEDaSY_SZ_EUlSY_E_NS1_11comp_targetILNS1_3genE0ELNS1_11target_archE4294967295ELNS1_3gpuE0ELNS1_3repE0EEENS1_30default_config_static_selectorELNS0_4arch9wavefront6targetE0EEEvT1_, .Lfunc_end1929-_ZN7rocprim17ROCPRIM_400000_NS6detail17trampoline_kernelINS0_14default_configENS1_27scan_by_key_config_selectorIj11FixedVectorIiLj1EEEEZZNS1_16scan_by_key_implILNS1_25lookback_scan_determinismE0ELb1ES3_N6thrust23THRUST_200600_302600_NS6detail15normal_iteratorINSB_10device_ptrIjEEEENSD_INSE_IS6_EEEESI_S6_NSB_4plusIvEENSB_8equal_toIvEES6_EE10hipError_tPvRmT2_T3_T4_T5_mT6_T7_P12ihipStream_tbENKUlT_T0_E_clISt17integral_constantIbLb1EES12_IbLb0EEEEDaSY_SZ_EUlSY_E_NS1_11comp_targetILNS1_3genE0ELNS1_11target_archE4294967295ELNS1_3gpuE0ELNS1_3repE0EEENS1_30default_config_static_selectorELNS0_4arch9wavefront6targetE0EEEvT1_
                                        ; -- End function
	.set _ZN7rocprim17ROCPRIM_400000_NS6detail17trampoline_kernelINS0_14default_configENS1_27scan_by_key_config_selectorIj11FixedVectorIiLj1EEEEZZNS1_16scan_by_key_implILNS1_25lookback_scan_determinismE0ELb1ES3_N6thrust23THRUST_200600_302600_NS6detail15normal_iteratorINSB_10device_ptrIjEEEENSD_INSE_IS6_EEEESI_S6_NSB_4plusIvEENSB_8equal_toIvEES6_EE10hipError_tPvRmT2_T3_T4_T5_mT6_T7_P12ihipStream_tbENKUlT_T0_E_clISt17integral_constantIbLb1EES12_IbLb0EEEEDaSY_SZ_EUlSY_E_NS1_11comp_targetILNS1_3genE0ELNS1_11target_archE4294967295ELNS1_3gpuE0ELNS1_3repE0EEENS1_30default_config_static_selectorELNS0_4arch9wavefront6targetE0EEEvT1_.num_vgpr, 0
	.set _ZN7rocprim17ROCPRIM_400000_NS6detail17trampoline_kernelINS0_14default_configENS1_27scan_by_key_config_selectorIj11FixedVectorIiLj1EEEEZZNS1_16scan_by_key_implILNS1_25lookback_scan_determinismE0ELb1ES3_N6thrust23THRUST_200600_302600_NS6detail15normal_iteratorINSB_10device_ptrIjEEEENSD_INSE_IS6_EEEESI_S6_NSB_4plusIvEENSB_8equal_toIvEES6_EE10hipError_tPvRmT2_T3_T4_T5_mT6_T7_P12ihipStream_tbENKUlT_T0_E_clISt17integral_constantIbLb1EES12_IbLb0EEEEDaSY_SZ_EUlSY_E_NS1_11comp_targetILNS1_3genE0ELNS1_11target_archE4294967295ELNS1_3gpuE0ELNS1_3repE0EEENS1_30default_config_static_selectorELNS0_4arch9wavefront6targetE0EEEvT1_.num_agpr, 0
	.set _ZN7rocprim17ROCPRIM_400000_NS6detail17trampoline_kernelINS0_14default_configENS1_27scan_by_key_config_selectorIj11FixedVectorIiLj1EEEEZZNS1_16scan_by_key_implILNS1_25lookback_scan_determinismE0ELb1ES3_N6thrust23THRUST_200600_302600_NS6detail15normal_iteratorINSB_10device_ptrIjEEEENSD_INSE_IS6_EEEESI_S6_NSB_4plusIvEENSB_8equal_toIvEES6_EE10hipError_tPvRmT2_T3_T4_T5_mT6_T7_P12ihipStream_tbENKUlT_T0_E_clISt17integral_constantIbLb1EES12_IbLb0EEEEDaSY_SZ_EUlSY_E_NS1_11comp_targetILNS1_3genE0ELNS1_11target_archE4294967295ELNS1_3gpuE0ELNS1_3repE0EEENS1_30default_config_static_selectorELNS0_4arch9wavefront6targetE0EEEvT1_.numbered_sgpr, 0
	.set _ZN7rocprim17ROCPRIM_400000_NS6detail17trampoline_kernelINS0_14default_configENS1_27scan_by_key_config_selectorIj11FixedVectorIiLj1EEEEZZNS1_16scan_by_key_implILNS1_25lookback_scan_determinismE0ELb1ES3_N6thrust23THRUST_200600_302600_NS6detail15normal_iteratorINSB_10device_ptrIjEEEENSD_INSE_IS6_EEEESI_S6_NSB_4plusIvEENSB_8equal_toIvEES6_EE10hipError_tPvRmT2_T3_T4_T5_mT6_T7_P12ihipStream_tbENKUlT_T0_E_clISt17integral_constantIbLb1EES12_IbLb0EEEEDaSY_SZ_EUlSY_E_NS1_11comp_targetILNS1_3genE0ELNS1_11target_archE4294967295ELNS1_3gpuE0ELNS1_3repE0EEENS1_30default_config_static_selectorELNS0_4arch9wavefront6targetE0EEEvT1_.num_named_barrier, 0
	.set _ZN7rocprim17ROCPRIM_400000_NS6detail17trampoline_kernelINS0_14default_configENS1_27scan_by_key_config_selectorIj11FixedVectorIiLj1EEEEZZNS1_16scan_by_key_implILNS1_25lookback_scan_determinismE0ELb1ES3_N6thrust23THRUST_200600_302600_NS6detail15normal_iteratorINSB_10device_ptrIjEEEENSD_INSE_IS6_EEEESI_S6_NSB_4plusIvEENSB_8equal_toIvEES6_EE10hipError_tPvRmT2_T3_T4_T5_mT6_T7_P12ihipStream_tbENKUlT_T0_E_clISt17integral_constantIbLb1EES12_IbLb0EEEEDaSY_SZ_EUlSY_E_NS1_11comp_targetILNS1_3genE0ELNS1_11target_archE4294967295ELNS1_3gpuE0ELNS1_3repE0EEENS1_30default_config_static_selectorELNS0_4arch9wavefront6targetE0EEEvT1_.private_seg_size, 0
	.set _ZN7rocprim17ROCPRIM_400000_NS6detail17trampoline_kernelINS0_14default_configENS1_27scan_by_key_config_selectorIj11FixedVectorIiLj1EEEEZZNS1_16scan_by_key_implILNS1_25lookback_scan_determinismE0ELb1ES3_N6thrust23THRUST_200600_302600_NS6detail15normal_iteratorINSB_10device_ptrIjEEEENSD_INSE_IS6_EEEESI_S6_NSB_4plusIvEENSB_8equal_toIvEES6_EE10hipError_tPvRmT2_T3_T4_T5_mT6_T7_P12ihipStream_tbENKUlT_T0_E_clISt17integral_constantIbLb1EES12_IbLb0EEEEDaSY_SZ_EUlSY_E_NS1_11comp_targetILNS1_3genE0ELNS1_11target_archE4294967295ELNS1_3gpuE0ELNS1_3repE0EEENS1_30default_config_static_selectorELNS0_4arch9wavefront6targetE0EEEvT1_.uses_vcc, 0
	.set _ZN7rocprim17ROCPRIM_400000_NS6detail17trampoline_kernelINS0_14default_configENS1_27scan_by_key_config_selectorIj11FixedVectorIiLj1EEEEZZNS1_16scan_by_key_implILNS1_25lookback_scan_determinismE0ELb1ES3_N6thrust23THRUST_200600_302600_NS6detail15normal_iteratorINSB_10device_ptrIjEEEENSD_INSE_IS6_EEEESI_S6_NSB_4plusIvEENSB_8equal_toIvEES6_EE10hipError_tPvRmT2_T3_T4_T5_mT6_T7_P12ihipStream_tbENKUlT_T0_E_clISt17integral_constantIbLb1EES12_IbLb0EEEEDaSY_SZ_EUlSY_E_NS1_11comp_targetILNS1_3genE0ELNS1_11target_archE4294967295ELNS1_3gpuE0ELNS1_3repE0EEENS1_30default_config_static_selectorELNS0_4arch9wavefront6targetE0EEEvT1_.uses_flat_scratch, 0
	.set _ZN7rocprim17ROCPRIM_400000_NS6detail17trampoline_kernelINS0_14default_configENS1_27scan_by_key_config_selectorIj11FixedVectorIiLj1EEEEZZNS1_16scan_by_key_implILNS1_25lookback_scan_determinismE0ELb1ES3_N6thrust23THRUST_200600_302600_NS6detail15normal_iteratorINSB_10device_ptrIjEEEENSD_INSE_IS6_EEEESI_S6_NSB_4plusIvEENSB_8equal_toIvEES6_EE10hipError_tPvRmT2_T3_T4_T5_mT6_T7_P12ihipStream_tbENKUlT_T0_E_clISt17integral_constantIbLb1EES12_IbLb0EEEEDaSY_SZ_EUlSY_E_NS1_11comp_targetILNS1_3genE0ELNS1_11target_archE4294967295ELNS1_3gpuE0ELNS1_3repE0EEENS1_30default_config_static_selectorELNS0_4arch9wavefront6targetE0EEEvT1_.has_dyn_sized_stack, 0
	.set _ZN7rocprim17ROCPRIM_400000_NS6detail17trampoline_kernelINS0_14default_configENS1_27scan_by_key_config_selectorIj11FixedVectorIiLj1EEEEZZNS1_16scan_by_key_implILNS1_25lookback_scan_determinismE0ELb1ES3_N6thrust23THRUST_200600_302600_NS6detail15normal_iteratorINSB_10device_ptrIjEEEENSD_INSE_IS6_EEEESI_S6_NSB_4plusIvEENSB_8equal_toIvEES6_EE10hipError_tPvRmT2_T3_T4_T5_mT6_T7_P12ihipStream_tbENKUlT_T0_E_clISt17integral_constantIbLb1EES12_IbLb0EEEEDaSY_SZ_EUlSY_E_NS1_11comp_targetILNS1_3genE0ELNS1_11target_archE4294967295ELNS1_3gpuE0ELNS1_3repE0EEENS1_30default_config_static_selectorELNS0_4arch9wavefront6targetE0EEEvT1_.has_recursion, 0
	.set _ZN7rocprim17ROCPRIM_400000_NS6detail17trampoline_kernelINS0_14default_configENS1_27scan_by_key_config_selectorIj11FixedVectorIiLj1EEEEZZNS1_16scan_by_key_implILNS1_25lookback_scan_determinismE0ELb1ES3_N6thrust23THRUST_200600_302600_NS6detail15normal_iteratorINSB_10device_ptrIjEEEENSD_INSE_IS6_EEEESI_S6_NSB_4plusIvEENSB_8equal_toIvEES6_EE10hipError_tPvRmT2_T3_T4_T5_mT6_T7_P12ihipStream_tbENKUlT_T0_E_clISt17integral_constantIbLb1EES12_IbLb0EEEEDaSY_SZ_EUlSY_E_NS1_11comp_targetILNS1_3genE0ELNS1_11target_archE4294967295ELNS1_3gpuE0ELNS1_3repE0EEENS1_30default_config_static_selectorELNS0_4arch9wavefront6targetE0EEEvT1_.has_indirect_call, 0
	.section	.AMDGPU.csdata,"",@progbits
; Kernel info:
; codeLenInByte = 0
; TotalNumSgprs: 0
; NumVgprs: 0
; ScratchSize: 0
; MemoryBound: 0
; FloatMode: 240
; IeeeMode: 1
; LDSByteSize: 0 bytes/workgroup (compile time only)
; SGPRBlocks: 0
; VGPRBlocks: 0
; NumSGPRsForWavesPerEU: 1
; NumVGPRsForWavesPerEU: 1
; Occupancy: 16
; WaveLimiterHint : 0
; COMPUTE_PGM_RSRC2:SCRATCH_EN: 0
; COMPUTE_PGM_RSRC2:USER_SGPR: 6
; COMPUTE_PGM_RSRC2:TRAP_HANDLER: 0
; COMPUTE_PGM_RSRC2:TGID_X_EN: 1
; COMPUTE_PGM_RSRC2:TGID_Y_EN: 0
; COMPUTE_PGM_RSRC2:TGID_Z_EN: 0
; COMPUTE_PGM_RSRC2:TIDIG_COMP_CNT: 0
	.section	.text._ZN7rocprim17ROCPRIM_400000_NS6detail17trampoline_kernelINS0_14default_configENS1_27scan_by_key_config_selectorIj11FixedVectorIiLj1EEEEZZNS1_16scan_by_key_implILNS1_25lookback_scan_determinismE0ELb1ES3_N6thrust23THRUST_200600_302600_NS6detail15normal_iteratorINSB_10device_ptrIjEEEENSD_INSE_IS6_EEEESI_S6_NSB_4plusIvEENSB_8equal_toIvEES6_EE10hipError_tPvRmT2_T3_T4_T5_mT6_T7_P12ihipStream_tbENKUlT_T0_E_clISt17integral_constantIbLb1EES12_IbLb0EEEEDaSY_SZ_EUlSY_E_NS1_11comp_targetILNS1_3genE10ELNS1_11target_archE1201ELNS1_3gpuE5ELNS1_3repE0EEENS1_30default_config_static_selectorELNS0_4arch9wavefront6targetE0EEEvT1_,"axG",@progbits,_ZN7rocprim17ROCPRIM_400000_NS6detail17trampoline_kernelINS0_14default_configENS1_27scan_by_key_config_selectorIj11FixedVectorIiLj1EEEEZZNS1_16scan_by_key_implILNS1_25lookback_scan_determinismE0ELb1ES3_N6thrust23THRUST_200600_302600_NS6detail15normal_iteratorINSB_10device_ptrIjEEEENSD_INSE_IS6_EEEESI_S6_NSB_4plusIvEENSB_8equal_toIvEES6_EE10hipError_tPvRmT2_T3_T4_T5_mT6_T7_P12ihipStream_tbENKUlT_T0_E_clISt17integral_constantIbLb1EES12_IbLb0EEEEDaSY_SZ_EUlSY_E_NS1_11comp_targetILNS1_3genE10ELNS1_11target_archE1201ELNS1_3gpuE5ELNS1_3repE0EEENS1_30default_config_static_selectorELNS0_4arch9wavefront6targetE0EEEvT1_,comdat
	.protected	_ZN7rocprim17ROCPRIM_400000_NS6detail17trampoline_kernelINS0_14default_configENS1_27scan_by_key_config_selectorIj11FixedVectorIiLj1EEEEZZNS1_16scan_by_key_implILNS1_25lookback_scan_determinismE0ELb1ES3_N6thrust23THRUST_200600_302600_NS6detail15normal_iteratorINSB_10device_ptrIjEEEENSD_INSE_IS6_EEEESI_S6_NSB_4plusIvEENSB_8equal_toIvEES6_EE10hipError_tPvRmT2_T3_T4_T5_mT6_T7_P12ihipStream_tbENKUlT_T0_E_clISt17integral_constantIbLb1EES12_IbLb0EEEEDaSY_SZ_EUlSY_E_NS1_11comp_targetILNS1_3genE10ELNS1_11target_archE1201ELNS1_3gpuE5ELNS1_3repE0EEENS1_30default_config_static_selectorELNS0_4arch9wavefront6targetE0EEEvT1_ ; -- Begin function _ZN7rocprim17ROCPRIM_400000_NS6detail17trampoline_kernelINS0_14default_configENS1_27scan_by_key_config_selectorIj11FixedVectorIiLj1EEEEZZNS1_16scan_by_key_implILNS1_25lookback_scan_determinismE0ELb1ES3_N6thrust23THRUST_200600_302600_NS6detail15normal_iteratorINSB_10device_ptrIjEEEENSD_INSE_IS6_EEEESI_S6_NSB_4plusIvEENSB_8equal_toIvEES6_EE10hipError_tPvRmT2_T3_T4_T5_mT6_T7_P12ihipStream_tbENKUlT_T0_E_clISt17integral_constantIbLb1EES12_IbLb0EEEEDaSY_SZ_EUlSY_E_NS1_11comp_targetILNS1_3genE10ELNS1_11target_archE1201ELNS1_3gpuE5ELNS1_3repE0EEENS1_30default_config_static_selectorELNS0_4arch9wavefront6targetE0EEEvT1_
	.globl	_ZN7rocprim17ROCPRIM_400000_NS6detail17trampoline_kernelINS0_14default_configENS1_27scan_by_key_config_selectorIj11FixedVectorIiLj1EEEEZZNS1_16scan_by_key_implILNS1_25lookback_scan_determinismE0ELb1ES3_N6thrust23THRUST_200600_302600_NS6detail15normal_iteratorINSB_10device_ptrIjEEEENSD_INSE_IS6_EEEESI_S6_NSB_4plusIvEENSB_8equal_toIvEES6_EE10hipError_tPvRmT2_T3_T4_T5_mT6_T7_P12ihipStream_tbENKUlT_T0_E_clISt17integral_constantIbLb1EES12_IbLb0EEEEDaSY_SZ_EUlSY_E_NS1_11comp_targetILNS1_3genE10ELNS1_11target_archE1201ELNS1_3gpuE5ELNS1_3repE0EEENS1_30default_config_static_selectorELNS0_4arch9wavefront6targetE0EEEvT1_
	.p2align	8
	.type	_ZN7rocprim17ROCPRIM_400000_NS6detail17trampoline_kernelINS0_14default_configENS1_27scan_by_key_config_selectorIj11FixedVectorIiLj1EEEEZZNS1_16scan_by_key_implILNS1_25lookback_scan_determinismE0ELb1ES3_N6thrust23THRUST_200600_302600_NS6detail15normal_iteratorINSB_10device_ptrIjEEEENSD_INSE_IS6_EEEESI_S6_NSB_4plusIvEENSB_8equal_toIvEES6_EE10hipError_tPvRmT2_T3_T4_T5_mT6_T7_P12ihipStream_tbENKUlT_T0_E_clISt17integral_constantIbLb1EES12_IbLb0EEEEDaSY_SZ_EUlSY_E_NS1_11comp_targetILNS1_3genE10ELNS1_11target_archE1201ELNS1_3gpuE5ELNS1_3repE0EEENS1_30default_config_static_selectorELNS0_4arch9wavefront6targetE0EEEvT1_,@function
_ZN7rocprim17ROCPRIM_400000_NS6detail17trampoline_kernelINS0_14default_configENS1_27scan_by_key_config_selectorIj11FixedVectorIiLj1EEEEZZNS1_16scan_by_key_implILNS1_25lookback_scan_determinismE0ELb1ES3_N6thrust23THRUST_200600_302600_NS6detail15normal_iteratorINSB_10device_ptrIjEEEENSD_INSE_IS6_EEEESI_S6_NSB_4plusIvEENSB_8equal_toIvEES6_EE10hipError_tPvRmT2_T3_T4_T5_mT6_T7_P12ihipStream_tbENKUlT_T0_E_clISt17integral_constantIbLb1EES12_IbLb0EEEEDaSY_SZ_EUlSY_E_NS1_11comp_targetILNS1_3genE10ELNS1_11target_archE1201ELNS1_3gpuE5ELNS1_3repE0EEENS1_30default_config_static_selectorELNS0_4arch9wavefront6targetE0EEEvT1_: ; @_ZN7rocprim17ROCPRIM_400000_NS6detail17trampoline_kernelINS0_14default_configENS1_27scan_by_key_config_selectorIj11FixedVectorIiLj1EEEEZZNS1_16scan_by_key_implILNS1_25lookback_scan_determinismE0ELb1ES3_N6thrust23THRUST_200600_302600_NS6detail15normal_iteratorINSB_10device_ptrIjEEEENSD_INSE_IS6_EEEESI_S6_NSB_4plusIvEENSB_8equal_toIvEES6_EE10hipError_tPvRmT2_T3_T4_T5_mT6_T7_P12ihipStream_tbENKUlT_T0_E_clISt17integral_constantIbLb1EES12_IbLb0EEEEDaSY_SZ_EUlSY_E_NS1_11comp_targetILNS1_3genE10ELNS1_11target_archE1201ELNS1_3gpuE5ELNS1_3repE0EEENS1_30default_config_static_selectorELNS0_4arch9wavefront6targetE0EEEvT1_
; %bb.0:
	.section	.rodata,"a",@progbits
	.p2align	6, 0x0
	.amdhsa_kernel _ZN7rocprim17ROCPRIM_400000_NS6detail17trampoline_kernelINS0_14default_configENS1_27scan_by_key_config_selectorIj11FixedVectorIiLj1EEEEZZNS1_16scan_by_key_implILNS1_25lookback_scan_determinismE0ELb1ES3_N6thrust23THRUST_200600_302600_NS6detail15normal_iteratorINSB_10device_ptrIjEEEENSD_INSE_IS6_EEEESI_S6_NSB_4plusIvEENSB_8equal_toIvEES6_EE10hipError_tPvRmT2_T3_T4_T5_mT6_T7_P12ihipStream_tbENKUlT_T0_E_clISt17integral_constantIbLb1EES12_IbLb0EEEEDaSY_SZ_EUlSY_E_NS1_11comp_targetILNS1_3genE10ELNS1_11target_archE1201ELNS1_3gpuE5ELNS1_3repE0EEENS1_30default_config_static_selectorELNS0_4arch9wavefront6targetE0EEEvT1_
		.amdhsa_group_segment_fixed_size 0
		.amdhsa_private_segment_fixed_size 0
		.amdhsa_kernarg_size 112
		.amdhsa_user_sgpr_count 6
		.amdhsa_user_sgpr_private_segment_buffer 1
		.amdhsa_user_sgpr_dispatch_ptr 0
		.amdhsa_user_sgpr_queue_ptr 0
		.amdhsa_user_sgpr_kernarg_segment_ptr 1
		.amdhsa_user_sgpr_dispatch_id 0
		.amdhsa_user_sgpr_flat_scratch_init 0
		.amdhsa_user_sgpr_private_segment_size 0
		.amdhsa_wavefront_size32 1
		.amdhsa_uses_dynamic_stack 0
		.amdhsa_system_sgpr_private_segment_wavefront_offset 0
		.amdhsa_system_sgpr_workgroup_id_x 1
		.amdhsa_system_sgpr_workgroup_id_y 0
		.amdhsa_system_sgpr_workgroup_id_z 0
		.amdhsa_system_sgpr_workgroup_info 0
		.amdhsa_system_vgpr_workitem_id 0
		.amdhsa_next_free_vgpr 1
		.amdhsa_next_free_sgpr 1
		.amdhsa_reserve_vcc 0
		.amdhsa_reserve_flat_scratch 0
		.amdhsa_float_round_mode_32 0
		.amdhsa_float_round_mode_16_64 0
		.amdhsa_float_denorm_mode_32 3
		.amdhsa_float_denorm_mode_16_64 3
		.amdhsa_dx10_clamp 1
		.amdhsa_ieee_mode 1
		.amdhsa_fp16_overflow 0
		.amdhsa_workgroup_processor_mode 1
		.amdhsa_memory_ordered 1
		.amdhsa_forward_progress 1
		.amdhsa_shared_vgpr_count 0
		.amdhsa_exception_fp_ieee_invalid_op 0
		.amdhsa_exception_fp_denorm_src 0
		.amdhsa_exception_fp_ieee_div_zero 0
		.amdhsa_exception_fp_ieee_overflow 0
		.amdhsa_exception_fp_ieee_underflow 0
		.amdhsa_exception_fp_ieee_inexact 0
		.amdhsa_exception_int_div_zero 0
	.end_amdhsa_kernel
	.section	.text._ZN7rocprim17ROCPRIM_400000_NS6detail17trampoline_kernelINS0_14default_configENS1_27scan_by_key_config_selectorIj11FixedVectorIiLj1EEEEZZNS1_16scan_by_key_implILNS1_25lookback_scan_determinismE0ELb1ES3_N6thrust23THRUST_200600_302600_NS6detail15normal_iteratorINSB_10device_ptrIjEEEENSD_INSE_IS6_EEEESI_S6_NSB_4plusIvEENSB_8equal_toIvEES6_EE10hipError_tPvRmT2_T3_T4_T5_mT6_T7_P12ihipStream_tbENKUlT_T0_E_clISt17integral_constantIbLb1EES12_IbLb0EEEEDaSY_SZ_EUlSY_E_NS1_11comp_targetILNS1_3genE10ELNS1_11target_archE1201ELNS1_3gpuE5ELNS1_3repE0EEENS1_30default_config_static_selectorELNS0_4arch9wavefront6targetE0EEEvT1_,"axG",@progbits,_ZN7rocprim17ROCPRIM_400000_NS6detail17trampoline_kernelINS0_14default_configENS1_27scan_by_key_config_selectorIj11FixedVectorIiLj1EEEEZZNS1_16scan_by_key_implILNS1_25lookback_scan_determinismE0ELb1ES3_N6thrust23THRUST_200600_302600_NS6detail15normal_iteratorINSB_10device_ptrIjEEEENSD_INSE_IS6_EEEESI_S6_NSB_4plusIvEENSB_8equal_toIvEES6_EE10hipError_tPvRmT2_T3_T4_T5_mT6_T7_P12ihipStream_tbENKUlT_T0_E_clISt17integral_constantIbLb1EES12_IbLb0EEEEDaSY_SZ_EUlSY_E_NS1_11comp_targetILNS1_3genE10ELNS1_11target_archE1201ELNS1_3gpuE5ELNS1_3repE0EEENS1_30default_config_static_selectorELNS0_4arch9wavefront6targetE0EEEvT1_,comdat
.Lfunc_end1930:
	.size	_ZN7rocprim17ROCPRIM_400000_NS6detail17trampoline_kernelINS0_14default_configENS1_27scan_by_key_config_selectorIj11FixedVectorIiLj1EEEEZZNS1_16scan_by_key_implILNS1_25lookback_scan_determinismE0ELb1ES3_N6thrust23THRUST_200600_302600_NS6detail15normal_iteratorINSB_10device_ptrIjEEEENSD_INSE_IS6_EEEESI_S6_NSB_4plusIvEENSB_8equal_toIvEES6_EE10hipError_tPvRmT2_T3_T4_T5_mT6_T7_P12ihipStream_tbENKUlT_T0_E_clISt17integral_constantIbLb1EES12_IbLb0EEEEDaSY_SZ_EUlSY_E_NS1_11comp_targetILNS1_3genE10ELNS1_11target_archE1201ELNS1_3gpuE5ELNS1_3repE0EEENS1_30default_config_static_selectorELNS0_4arch9wavefront6targetE0EEEvT1_, .Lfunc_end1930-_ZN7rocprim17ROCPRIM_400000_NS6detail17trampoline_kernelINS0_14default_configENS1_27scan_by_key_config_selectorIj11FixedVectorIiLj1EEEEZZNS1_16scan_by_key_implILNS1_25lookback_scan_determinismE0ELb1ES3_N6thrust23THRUST_200600_302600_NS6detail15normal_iteratorINSB_10device_ptrIjEEEENSD_INSE_IS6_EEEESI_S6_NSB_4plusIvEENSB_8equal_toIvEES6_EE10hipError_tPvRmT2_T3_T4_T5_mT6_T7_P12ihipStream_tbENKUlT_T0_E_clISt17integral_constantIbLb1EES12_IbLb0EEEEDaSY_SZ_EUlSY_E_NS1_11comp_targetILNS1_3genE10ELNS1_11target_archE1201ELNS1_3gpuE5ELNS1_3repE0EEENS1_30default_config_static_selectorELNS0_4arch9wavefront6targetE0EEEvT1_
                                        ; -- End function
	.set _ZN7rocprim17ROCPRIM_400000_NS6detail17trampoline_kernelINS0_14default_configENS1_27scan_by_key_config_selectorIj11FixedVectorIiLj1EEEEZZNS1_16scan_by_key_implILNS1_25lookback_scan_determinismE0ELb1ES3_N6thrust23THRUST_200600_302600_NS6detail15normal_iteratorINSB_10device_ptrIjEEEENSD_INSE_IS6_EEEESI_S6_NSB_4plusIvEENSB_8equal_toIvEES6_EE10hipError_tPvRmT2_T3_T4_T5_mT6_T7_P12ihipStream_tbENKUlT_T0_E_clISt17integral_constantIbLb1EES12_IbLb0EEEEDaSY_SZ_EUlSY_E_NS1_11comp_targetILNS1_3genE10ELNS1_11target_archE1201ELNS1_3gpuE5ELNS1_3repE0EEENS1_30default_config_static_selectorELNS0_4arch9wavefront6targetE0EEEvT1_.num_vgpr, 0
	.set _ZN7rocprim17ROCPRIM_400000_NS6detail17trampoline_kernelINS0_14default_configENS1_27scan_by_key_config_selectorIj11FixedVectorIiLj1EEEEZZNS1_16scan_by_key_implILNS1_25lookback_scan_determinismE0ELb1ES3_N6thrust23THRUST_200600_302600_NS6detail15normal_iteratorINSB_10device_ptrIjEEEENSD_INSE_IS6_EEEESI_S6_NSB_4plusIvEENSB_8equal_toIvEES6_EE10hipError_tPvRmT2_T3_T4_T5_mT6_T7_P12ihipStream_tbENKUlT_T0_E_clISt17integral_constantIbLb1EES12_IbLb0EEEEDaSY_SZ_EUlSY_E_NS1_11comp_targetILNS1_3genE10ELNS1_11target_archE1201ELNS1_3gpuE5ELNS1_3repE0EEENS1_30default_config_static_selectorELNS0_4arch9wavefront6targetE0EEEvT1_.num_agpr, 0
	.set _ZN7rocprim17ROCPRIM_400000_NS6detail17trampoline_kernelINS0_14default_configENS1_27scan_by_key_config_selectorIj11FixedVectorIiLj1EEEEZZNS1_16scan_by_key_implILNS1_25lookback_scan_determinismE0ELb1ES3_N6thrust23THRUST_200600_302600_NS6detail15normal_iteratorINSB_10device_ptrIjEEEENSD_INSE_IS6_EEEESI_S6_NSB_4plusIvEENSB_8equal_toIvEES6_EE10hipError_tPvRmT2_T3_T4_T5_mT6_T7_P12ihipStream_tbENKUlT_T0_E_clISt17integral_constantIbLb1EES12_IbLb0EEEEDaSY_SZ_EUlSY_E_NS1_11comp_targetILNS1_3genE10ELNS1_11target_archE1201ELNS1_3gpuE5ELNS1_3repE0EEENS1_30default_config_static_selectorELNS0_4arch9wavefront6targetE0EEEvT1_.numbered_sgpr, 0
	.set _ZN7rocprim17ROCPRIM_400000_NS6detail17trampoline_kernelINS0_14default_configENS1_27scan_by_key_config_selectorIj11FixedVectorIiLj1EEEEZZNS1_16scan_by_key_implILNS1_25lookback_scan_determinismE0ELb1ES3_N6thrust23THRUST_200600_302600_NS6detail15normal_iteratorINSB_10device_ptrIjEEEENSD_INSE_IS6_EEEESI_S6_NSB_4plusIvEENSB_8equal_toIvEES6_EE10hipError_tPvRmT2_T3_T4_T5_mT6_T7_P12ihipStream_tbENKUlT_T0_E_clISt17integral_constantIbLb1EES12_IbLb0EEEEDaSY_SZ_EUlSY_E_NS1_11comp_targetILNS1_3genE10ELNS1_11target_archE1201ELNS1_3gpuE5ELNS1_3repE0EEENS1_30default_config_static_selectorELNS0_4arch9wavefront6targetE0EEEvT1_.num_named_barrier, 0
	.set _ZN7rocprim17ROCPRIM_400000_NS6detail17trampoline_kernelINS0_14default_configENS1_27scan_by_key_config_selectorIj11FixedVectorIiLj1EEEEZZNS1_16scan_by_key_implILNS1_25lookback_scan_determinismE0ELb1ES3_N6thrust23THRUST_200600_302600_NS6detail15normal_iteratorINSB_10device_ptrIjEEEENSD_INSE_IS6_EEEESI_S6_NSB_4plusIvEENSB_8equal_toIvEES6_EE10hipError_tPvRmT2_T3_T4_T5_mT6_T7_P12ihipStream_tbENKUlT_T0_E_clISt17integral_constantIbLb1EES12_IbLb0EEEEDaSY_SZ_EUlSY_E_NS1_11comp_targetILNS1_3genE10ELNS1_11target_archE1201ELNS1_3gpuE5ELNS1_3repE0EEENS1_30default_config_static_selectorELNS0_4arch9wavefront6targetE0EEEvT1_.private_seg_size, 0
	.set _ZN7rocprim17ROCPRIM_400000_NS6detail17trampoline_kernelINS0_14default_configENS1_27scan_by_key_config_selectorIj11FixedVectorIiLj1EEEEZZNS1_16scan_by_key_implILNS1_25lookback_scan_determinismE0ELb1ES3_N6thrust23THRUST_200600_302600_NS6detail15normal_iteratorINSB_10device_ptrIjEEEENSD_INSE_IS6_EEEESI_S6_NSB_4plusIvEENSB_8equal_toIvEES6_EE10hipError_tPvRmT2_T3_T4_T5_mT6_T7_P12ihipStream_tbENKUlT_T0_E_clISt17integral_constantIbLb1EES12_IbLb0EEEEDaSY_SZ_EUlSY_E_NS1_11comp_targetILNS1_3genE10ELNS1_11target_archE1201ELNS1_3gpuE5ELNS1_3repE0EEENS1_30default_config_static_selectorELNS0_4arch9wavefront6targetE0EEEvT1_.uses_vcc, 0
	.set _ZN7rocprim17ROCPRIM_400000_NS6detail17trampoline_kernelINS0_14default_configENS1_27scan_by_key_config_selectorIj11FixedVectorIiLj1EEEEZZNS1_16scan_by_key_implILNS1_25lookback_scan_determinismE0ELb1ES3_N6thrust23THRUST_200600_302600_NS6detail15normal_iteratorINSB_10device_ptrIjEEEENSD_INSE_IS6_EEEESI_S6_NSB_4plusIvEENSB_8equal_toIvEES6_EE10hipError_tPvRmT2_T3_T4_T5_mT6_T7_P12ihipStream_tbENKUlT_T0_E_clISt17integral_constantIbLb1EES12_IbLb0EEEEDaSY_SZ_EUlSY_E_NS1_11comp_targetILNS1_3genE10ELNS1_11target_archE1201ELNS1_3gpuE5ELNS1_3repE0EEENS1_30default_config_static_selectorELNS0_4arch9wavefront6targetE0EEEvT1_.uses_flat_scratch, 0
	.set _ZN7rocprim17ROCPRIM_400000_NS6detail17trampoline_kernelINS0_14default_configENS1_27scan_by_key_config_selectorIj11FixedVectorIiLj1EEEEZZNS1_16scan_by_key_implILNS1_25lookback_scan_determinismE0ELb1ES3_N6thrust23THRUST_200600_302600_NS6detail15normal_iteratorINSB_10device_ptrIjEEEENSD_INSE_IS6_EEEESI_S6_NSB_4plusIvEENSB_8equal_toIvEES6_EE10hipError_tPvRmT2_T3_T4_T5_mT6_T7_P12ihipStream_tbENKUlT_T0_E_clISt17integral_constantIbLb1EES12_IbLb0EEEEDaSY_SZ_EUlSY_E_NS1_11comp_targetILNS1_3genE10ELNS1_11target_archE1201ELNS1_3gpuE5ELNS1_3repE0EEENS1_30default_config_static_selectorELNS0_4arch9wavefront6targetE0EEEvT1_.has_dyn_sized_stack, 0
	.set _ZN7rocprim17ROCPRIM_400000_NS6detail17trampoline_kernelINS0_14default_configENS1_27scan_by_key_config_selectorIj11FixedVectorIiLj1EEEEZZNS1_16scan_by_key_implILNS1_25lookback_scan_determinismE0ELb1ES3_N6thrust23THRUST_200600_302600_NS6detail15normal_iteratorINSB_10device_ptrIjEEEENSD_INSE_IS6_EEEESI_S6_NSB_4plusIvEENSB_8equal_toIvEES6_EE10hipError_tPvRmT2_T3_T4_T5_mT6_T7_P12ihipStream_tbENKUlT_T0_E_clISt17integral_constantIbLb1EES12_IbLb0EEEEDaSY_SZ_EUlSY_E_NS1_11comp_targetILNS1_3genE10ELNS1_11target_archE1201ELNS1_3gpuE5ELNS1_3repE0EEENS1_30default_config_static_selectorELNS0_4arch9wavefront6targetE0EEEvT1_.has_recursion, 0
	.set _ZN7rocprim17ROCPRIM_400000_NS6detail17trampoline_kernelINS0_14default_configENS1_27scan_by_key_config_selectorIj11FixedVectorIiLj1EEEEZZNS1_16scan_by_key_implILNS1_25lookback_scan_determinismE0ELb1ES3_N6thrust23THRUST_200600_302600_NS6detail15normal_iteratorINSB_10device_ptrIjEEEENSD_INSE_IS6_EEEESI_S6_NSB_4plusIvEENSB_8equal_toIvEES6_EE10hipError_tPvRmT2_T3_T4_T5_mT6_T7_P12ihipStream_tbENKUlT_T0_E_clISt17integral_constantIbLb1EES12_IbLb0EEEEDaSY_SZ_EUlSY_E_NS1_11comp_targetILNS1_3genE10ELNS1_11target_archE1201ELNS1_3gpuE5ELNS1_3repE0EEENS1_30default_config_static_selectorELNS0_4arch9wavefront6targetE0EEEvT1_.has_indirect_call, 0
	.section	.AMDGPU.csdata,"",@progbits
; Kernel info:
; codeLenInByte = 0
; TotalNumSgprs: 0
; NumVgprs: 0
; ScratchSize: 0
; MemoryBound: 0
; FloatMode: 240
; IeeeMode: 1
; LDSByteSize: 0 bytes/workgroup (compile time only)
; SGPRBlocks: 0
; VGPRBlocks: 0
; NumSGPRsForWavesPerEU: 1
; NumVGPRsForWavesPerEU: 1
; Occupancy: 16
; WaveLimiterHint : 0
; COMPUTE_PGM_RSRC2:SCRATCH_EN: 0
; COMPUTE_PGM_RSRC2:USER_SGPR: 6
; COMPUTE_PGM_RSRC2:TRAP_HANDLER: 0
; COMPUTE_PGM_RSRC2:TGID_X_EN: 1
; COMPUTE_PGM_RSRC2:TGID_Y_EN: 0
; COMPUTE_PGM_RSRC2:TGID_Z_EN: 0
; COMPUTE_PGM_RSRC2:TIDIG_COMP_CNT: 0
	.section	.text._ZN7rocprim17ROCPRIM_400000_NS6detail17trampoline_kernelINS0_14default_configENS1_27scan_by_key_config_selectorIj11FixedVectorIiLj1EEEEZZNS1_16scan_by_key_implILNS1_25lookback_scan_determinismE0ELb1ES3_N6thrust23THRUST_200600_302600_NS6detail15normal_iteratorINSB_10device_ptrIjEEEENSD_INSE_IS6_EEEESI_S6_NSB_4plusIvEENSB_8equal_toIvEES6_EE10hipError_tPvRmT2_T3_T4_T5_mT6_T7_P12ihipStream_tbENKUlT_T0_E_clISt17integral_constantIbLb1EES12_IbLb0EEEEDaSY_SZ_EUlSY_E_NS1_11comp_targetILNS1_3genE5ELNS1_11target_archE942ELNS1_3gpuE9ELNS1_3repE0EEENS1_30default_config_static_selectorELNS0_4arch9wavefront6targetE0EEEvT1_,"axG",@progbits,_ZN7rocprim17ROCPRIM_400000_NS6detail17trampoline_kernelINS0_14default_configENS1_27scan_by_key_config_selectorIj11FixedVectorIiLj1EEEEZZNS1_16scan_by_key_implILNS1_25lookback_scan_determinismE0ELb1ES3_N6thrust23THRUST_200600_302600_NS6detail15normal_iteratorINSB_10device_ptrIjEEEENSD_INSE_IS6_EEEESI_S6_NSB_4plusIvEENSB_8equal_toIvEES6_EE10hipError_tPvRmT2_T3_T4_T5_mT6_T7_P12ihipStream_tbENKUlT_T0_E_clISt17integral_constantIbLb1EES12_IbLb0EEEEDaSY_SZ_EUlSY_E_NS1_11comp_targetILNS1_3genE5ELNS1_11target_archE942ELNS1_3gpuE9ELNS1_3repE0EEENS1_30default_config_static_selectorELNS0_4arch9wavefront6targetE0EEEvT1_,comdat
	.protected	_ZN7rocprim17ROCPRIM_400000_NS6detail17trampoline_kernelINS0_14default_configENS1_27scan_by_key_config_selectorIj11FixedVectorIiLj1EEEEZZNS1_16scan_by_key_implILNS1_25lookback_scan_determinismE0ELb1ES3_N6thrust23THRUST_200600_302600_NS6detail15normal_iteratorINSB_10device_ptrIjEEEENSD_INSE_IS6_EEEESI_S6_NSB_4plusIvEENSB_8equal_toIvEES6_EE10hipError_tPvRmT2_T3_T4_T5_mT6_T7_P12ihipStream_tbENKUlT_T0_E_clISt17integral_constantIbLb1EES12_IbLb0EEEEDaSY_SZ_EUlSY_E_NS1_11comp_targetILNS1_3genE5ELNS1_11target_archE942ELNS1_3gpuE9ELNS1_3repE0EEENS1_30default_config_static_selectorELNS0_4arch9wavefront6targetE0EEEvT1_ ; -- Begin function _ZN7rocprim17ROCPRIM_400000_NS6detail17trampoline_kernelINS0_14default_configENS1_27scan_by_key_config_selectorIj11FixedVectorIiLj1EEEEZZNS1_16scan_by_key_implILNS1_25lookback_scan_determinismE0ELb1ES3_N6thrust23THRUST_200600_302600_NS6detail15normal_iteratorINSB_10device_ptrIjEEEENSD_INSE_IS6_EEEESI_S6_NSB_4plusIvEENSB_8equal_toIvEES6_EE10hipError_tPvRmT2_T3_T4_T5_mT6_T7_P12ihipStream_tbENKUlT_T0_E_clISt17integral_constantIbLb1EES12_IbLb0EEEEDaSY_SZ_EUlSY_E_NS1_11comp_targetILNS1_3genE5ELNS1_11target_archE942ELNS1_3gpuE9ELNS1_3repE0EEENS1_30default_config_static_selectorELNS0_4arch9wavefront6targetE0EEEvT1_
	.globl	_ZN7rocprim17ROCPRIM_400000_NS6detail17trampoline_kernelINS0_14default_configENS1_27scan_by_key_config_selectorIj11FixedVectorIiLj1EEEEZZNS1_16scan_by_key_implILNS1_25lookback_scan_determinismE0ELb1ES3_N6thrust23THRUST_200600_302600_NS6detail15normal_iteratorINSB_10device_ptrIjEEEENSD_INSE_IS6_EEEESI_S6_NSB_4plusIvEENSB_8equal_toIvEES6_EE10hipError_tPvRmT2_T3_T4_T5_mT6_T7_P12ihipStream_tbENKUlT_T0_E_clISt17integral_constantIbLb1EES12_IbLb0EEEEDaSY_SZ_EUlSY_E_NS1_11comp_targetILNS1_3genE5ELNS1_11target_archE942ELNS1_3gpuE9ELNS1_3repE0EEENS1_30default_config_static_selectorELNS0_4arch9wavefront6targetE0EEEvT1_
	.p2align	8
	.type	_ZN7rocprim17ROCPRIM_400000_NS6detail17trampoline_kernelINS0_14default_configENS1_27scan_by_key_config_selectorIj11FixedVectorIiLj1EEEEZZNS1_16scan_by_key_implILNS1_25lookback_scan_determinismE0ELb1ES3_N6thrust23THRUST_200600_302600_NS6detail15normal_iteratorINSB_10device_ptrIjEEEENSD_INSE_IS6_EEEESI_S6_NSB_4plusIvEENSB_8equal_toIvEES6_EE10hipError_tPvRmT2_T3_T4_T5_mT6_T7_P12ihipStream_tbENKUlT_T0_E_clISt17integral_constantIbLb1EES12_IbLb0EEEEDaSY_SZ_EUlSY_E_NS1_11comp_targetILNS1_3genE5ELNS1_11target_archE942ELNS1_3gpuE9ELNS1_3repE0EEENS1_30default_config_static_selectorELNS0_4arch9wavefront6targetE0EEEvT1_,@function
_ZN7rocprim17ROCPRIM_400000_NS6detail17trampoline_kernelINS0_14default_configENS1_27scan_by_key_config_selectorIj11FixedVectorIiLj1EEEEZZNS1_16scan_by_key_implILNS1_25lookback_scan_determinismE0ELb1ES3_N6thrust23THRUST_200600_302600_NS6detail15normal_iteratorINSB_10device_ptrIjEEEENSD_INSE_IS6_EEEESI_S6_NSB_4plusIvEENSB_8equal_toIvEES6_EE10hipError_tPvRmT2_T3_T4_T5_mT6_T7_P12ihipStream_tbENKUlT_T0_E_clISt17integral_constantIbLb1EES12_IbLb0EEEEDaSY_SZ_EUlSY_E_NS1_11comp_targetILNS1_3genE5ELNS1_11target_archE942ELNS1_3gpuE9ELNS1_3repE0EEENS1_30default_config_static_selectorELNS0_4arch9wavefront6targetE0EEEvT1_: ; @_ZN7rocprim17ROCPRIM_400000_NS6detail17trampoline_kernelINS0_14default_configENS1_27scan_by_key_config_selectorIj11FixedVectorIiLj1EEEEZZNS1_16scan_by_key_implILNS1_25lookback_scan_determinismE0ELb1ES3_N6thrust23THRUST_200600_302600_NS6detail15normal_iteratorINSB_10device_ptrIjEEEENSD_INSE_IS6_EEEESI_S6_NSB_4plusIvEENSB_8equal_toIvEES6_EE10hipError_tPvRmT2_T3_T4_T5_mT6_T7_P12ihipStream_tbENKUlT_T0_E_clISt17integral_constantIbLb1EES12_IbLb0EEEEDaSY_SZ_EUlSY_E_NS1_11comp_targetILNS1_3genE5ELNS1_11target_archE942ELNS1_3gpuE9ELNS1_3repE0EEENS1_30default_config_static_selectorELNS0_4arch9wavefront6targetE0EEEvT1_
; %bb.0:
	.section	.rodata,"a",@progbits
	.p2align	6, 0x0
	.amdhsa_kernel _ZN7rocprim17ROCPRIM_400000_NS6detail17trampoline_kernelINS0_14default_configENS1_27scan_by_key_config_selectorIj11FixedVectorIiLj1EEEEZZNS1_16scan_by_key_implILNS1_25lookback_scan_determinismE0ELb1ES3_N6thrust23THRUST_200600_302600_NS6detail15normal_iteratorINSB_10device_ptrIjEEEENSD_INSE_IS6_EEEESI_S6_NSB_4plusIvEENSB_8equal_toIvEES6_EE10hipError_tPvRmT2_T3_T4_T5_mT6_T7_P12ihipStream_tbENKUlT_T0_E_clISt17integral_constantIbLb1EES12_IbLb0EEEEDaSY_SZ_EUlSY_E_NS1_11comp_targetILNS1_3genE5ELNS1_11target_archE942ELNS1_3gpuE9ELNS1_3repE0EEENS1_30default_config_static_selectorELNS0_4arch9wavefront6targetE0EEEvT1_
		.amdhsa_group_segment_fixed_size 0
		.amdhsa_private_segment_fixed_size 0
		.amdhsa_kernarg_size 112
		.amdhsa_user_sgpr_count 6
		.amdhsa_user_sgpr_private_segment_buffer 1
		.amdhsa_user_sgpr_dispatch_ptr 0
		.amdhsa_user_sgpr_queue_ptr 0
		.amdhsa_user_sgpr_kernarg_segment_ptr 1
		.amdhsa_user_sgpr_dispatch_id 0
		.amdhsa_user_sgpr_flat_scratch_init 0
		.amdhsa_user_sgpr_private_segment_size 0
		.amdhsa_wavefront_size32 1
		.amdhsa_uses_dynamic_stack 0
		.amdhsa_system_sgpr_private_segment_wavefront_offset 0
		.amdhsa_system_sgpr_workgroup_id_x 1
		.amdhsa_system_sgpr_workgroup_id_y 0
		.amdhsa_system_sgpr_workgroup_id_z 0
		.amdhsa_system_sgpr_workgroup_info 0
		.amdhsa_system_vgpr_workitem_id 0
		.amdhsa_next_free_vgpr 1
		.amdhsa_next_free_sgpr 1
		.amdhsa_reserve_vcc 0
		.amdhsa_reserve_flat_scratch 0
		.amdhsa_float_round_mode_32 0
		.amdhsa_float_round_mode_16_64 0
		.amdhsa_float_denorm_mode_32 3
		.amdhsa_float_denorm_mode_16_64 3
		.amdhsa_dx10_clamp 1
		.amdhsa_ieee_mode 1
		.amdhsa_fp16_overflow 0
		.amdhsa_workgroup_processor_mode 1
		.amdhsa_memory_ordered 1
		.amdhsa_forward_progress 1
		.amdhsa_shared_vgpr_count 0
		.amdhsa_exception_fp_ieee_invalid_op 0
		.amdhsa_exception_fp_denorm_src 0
		.amdhsa_exception_fp_ieee_div_zero 0
		.amdhsa_exception_fp_ieee_overflow 0
		.amdhsa_exception_fp_ieee_underflow 0
		.amdhsa_exception_fp_ieee_inexact 0
		.amdhsa_exception_int_div_zero 0
	.end_amdhsa_kernel
	.section	.text._ZN7rocprim17ROCPRIM_400000_NS6detail17trampoline_kernelINS0_14default_configENS1_27scan_by_key_config_selectorIj11FixedVectorIiLj1EEEEZZNS1_16scan_by_key_implILNS1_25lookback_scan_determinismE0ELb1ES3_N6thrust23THRUST_200600_302600_NS6detail15normal_iteratorINSB_10device_ptrIjEEEENSD_INSE_IS6_EEEESI_S6_NSB_4plusIvEENSB_8equal_toIvEES6_EE10hipError_tPvRmT2_T3_T4_T5_mT6_T7_P12ihipStream_tbENKUlT_T0_E_clISt17integral_constantIbLb1EES12_IbLb0EEEEDaSY_SZ_EUlSY_E_NS1_11comp_targetILNS1_3genE5ELNS1_11target_archE942ELNS1_3gpuE9ELNS1_3repE0EEENS1_30default_config_static_selectorELNS0_4arch9wavefront6targetE0EEEvT1_,"axG",@progbits,_ZN7rocprim17ROCPRIM_400000_NS6detail17trampoline_kernelINS0_14default_configENS1_27scan_by_key_config_selectorIj11FixedVectorIiLj1EEEEZZNS1_16scan_by_key_implILNS1_25lookback_scan_determinismE0ELb1ES3_N6thrust23THRUST_200600_302600_NS6detail15normal_iteratorINSB_10device_ptrIjEEEENSD_INSE_IS6_EEEESI_S6_NSB_4plusIvEENSB_8equal_toIvEES6_EE10hipError_tPvRmT2_T3_T4_T5_mT6_T7_P12ihipStream_tbENKUlT_T0_E_clISt17integral_constantIbLb1EES12_IbLb0EEEEDaSY_SZ_EUlSY_E_NS1_11comp_targetILNS1_3genE5ELNS1_11target_archE942ELNS1_3gpuE9ELNS1_3repE0EEENS1_30default_config_static_selectorELNS0_4arch9wavefront6targetE0EEEvT1_,comdat
.Lfunc_end1931:
	.size	_ZN7rocprim17ROCPRIM_400000_NS6detail17trampoline_kernelINS0_14default_configENS1_27scan_by_key_config_selectorIj11FixedVectorIiLj1EEEEZZNS1_16scan_by_key_implILNS1_25lookback_scan_determinismE0ELb1ES3_N6thrust23THRUST_200600_302600_NS6detail15normal_iteratorINSB_10device_ptrIjEEEENSD_INSE_IS6_EEEESI_S6_NSB_4plusIvEENSB_8equal_toIvEES6_EE10hipError_tPvRmT2_T3_T4_T5_mT6_T7_P12ihipStream_tbENKUlT_T0_E_clISt17integral_constantIbLb1EES12_IbLb0EEEEDaSY_SZ_EUlSY_E_NS1_11comp_targetILNS1_3genE5ELNS1_11target_archE942ELNS1_3gpuE9ELNS1_3repE0EEENS1_30default_config_static_selectorELNS0_4arch9wavefront6targetE0EEEvT1_, .Lfunc_end1931-_ZN7rocprim17ROCPRIM_400000_NS6detail17trampoline_kernelINS0_14default_configENS1_27scan_by_key_config_selectorIj11FixedVectorIiLj1EEEEZZNS1_16scan_by_key_implILNS1_25lookback_scan_determinismE0ELb1ES3_N6thrust23THRUST_200600_302600_NS6detail15normal_iteratorINSB_10device_ptrIjEEEENSD_INSE_IS6_EEEESI_S6_NSB_4plusIvEENSB_8equal_toIvEES6_EE10hipError_tPvRmT2_T3_T4_T5_mT6_T7_P12ihipStream_tbENKUlT_T0_E_clISt17integral_constantIbLb1EES12_IbLb0EEEEDaSY_SZ_EUlSY_E_NS1_11comp_targetILNS1_3genE5ELNS1_11target_archE942ELNS1_3gpuE9ELNS1_3repE0EEENS1_30default_config_static_selectorELNS0_4arch9wavefront6targetE0EEEvT1_
                                        ; -- End function
	.set _ZN7rocprim17ROCPRIM_400000_NS6detail17trampoline_kernelINS0_14default_configENS1_27scan_by_key_config_selectorIj11FixedVectorIiLj1EEEEZZNS1_16scan_by_key_implILNS1_25lookback_scan_determinismE0ELb1ES3_N6thrust23THRUST_200600_302600_NS6detail15normal_iteratorINSB_10device_ptrIjEEEENSD_INSE_IS6_EEEESI_S6_NSB_4plusIvEENSB_8equal_toIvEES6_EE10hipError_tPvRmT2_T3_T4_T5_mT6_T7_P12ihipStream_tbENKUlT_T0_E_clISt17integral_constantIbLb1EES12_IbLb0EEEEDaSY_SZ_EUlSY_E_NS1_11comp_targetILNS1_3genE5ELNS1_11target_archE942ELNS1_3gpuE9ELNS1_3repE0EEENS1_30default_config_static_selectorELNS0_4arch9wavefront6targetE0EEEvT1_.num_vgpr, 0
	.set _ZN7rocprim17ROCPRIM_400000_NS6detail17trampoline_kernelINS0_14default_configENS1_27scan_by_key_config_selectorIj11FixedVectorIiLj1EEEEZZNS1_16scan_by_key_implILNS1_25lookback_scan_determinismE0ELb1ES3_N6thrust23THRUST_200600_302600_NS6detail15normal_iteratorINSB_10device_ptrIjEEEENSD_INSE_IS6_EEEESI_S6_NSB_4plusIvEENSB_8equal_toIvEES6_EE10hipError_tPvRmT2_T3_T4_T5_mT6_T7_P12ihipStream_tbENKUlT_T0_E_clISt17integral_constantIbLb1EES12_IbLb0EEEEDaSY_SZ_EUlSY_E_NS1_11comp_targetILNS1_3genE5ELNS1_11target_archE942ELNS1_3gpuE9ELNS1_3repE0EEENS1_30default_config_static_selectorELNS0_4arch9wavefront6targetE0EEEvT1_.num_agpr, 0
	.set _ZN7rocprim17ROCPRIM_400000_NS6detail17trampoline_kernelINS0_14default_configENS1_27scan_by_key_config_selectorIj11FixedVectorIiLj1EEEEZZNS1_16scan_by_key_implILNS1_25lookback_scan_determinismE0ELb1ES3_N6thrust23THRUST_200600_302600_NS6detail15normal_iteratorINSB_10device_ptrIjEEEENSD_INSE_IS6_EEEESI_S6_NSB_4plusIvEENSB_8equal_toIvEES6_EE10hipError_tPvRmT2_T3_T4_T5_mT6_T7_P12ihipStream_tbENKUlT_T0_E_clISt17integral_constantIbLb1EES12_IbLb0EEEEDaSY_SZ_EUlSY_E_NS1_11comp_targetILNS1_3genE5ELNS1_11target_archE942ELNS1_3gpuE9ELNS1_3repE0EEENS1_30default_config_static_selectorELNS0_4arch9wavefront6targetE0EEEvT1_.numbered_sgpr, 0
	.set _ZN7rocprim17ROCPRIM_400000_NS6detail17trampoline_kernelINS0_14default_configENS1_27scan_by_key_config_selectorIj11FixedVectorIiLj1EEEEZZNS1_16scan_by_key_implILNS1_25lookback_scan_determinismE0ELb1ES3_N6thrust23THRUST_200600_302600_NS6detail15normal_iteratorINSB_10device_ptrIjEEEENSD_INSE_IS6_EEEESI_S6_NSB_4plusIvEENSB_8equal_toIvEES6_EE10hipError_tPvRmT2_T3_T4_T5_mT6_T7_P12ihipStream_tbENKUlT_T0_E_clISt17integral_constantIbLb1EES12_IbLb0EEEEDaSY_SZ_EUlSY_E_NS1_11comp_targetILNS1_3genE5ELNS1_11target_archE942ELNS1_3gpuE9ELNS1_3repE0EEENS1_30default_config_static_selectorELNS0_4arch9wavefront6targetE0EEEvT1_.num_named_barrier, 0
	.set _ZN7rocprim17ROCPRIM_400000_NS6detail17trampoline_kernelINS0_14default_configENS1_27scan_by_key_config_selectorIj11FixedVectorIiLj1EEEEZZNS1_16scan_by_key_implILNS1_25lookback_scan_determinismE0ELb1ES3_N6thrust23THRUST_200600_302600_NS6detail15normal_iteratorINSB_10device_ptrIjEEEENSD_INSE_IS6_EEEESI_S6_NSB_4plusIvEENSB_8equal_toIvEES6_EE10hipError_tPvRmT2_T3_T4_T5_mT6_T7_P12ihipStream_tbENKUlT_T0_E_clISt17integral_constantIbLb1EES12_IbLb0EEEEDaSY_SZ_EUlSY_E_NS1_11comp_targetILNS1_3genE5ELNS1_11target_archE942ELNS1_3gpuE9ELNS1_3repE0EEENS1_30default_config_static_selectorELNS0_4arch9wavefront6targetE0EEEvT1_.private_seg_size, 0
	.set _ZN7rocprim17ROCPRIM_400000_NS6detail17trampoline_kernelINS0_14default_configENS1_27scan_by_key_config_selectorIj11FixedVectorIiLj1EEEEZZNS1_16scan_by_key_implILNS1_25lookback_scan_determinismE0ELb1ES3_N6thrust23THRUST_200600_302600_NS6detail15normal_iteratorINSB_10device_ptrIjEEEENSD_INSE_IS6_EEEESI_S6_NSB_4plusIvEENSB_8equal_toIvEES6_EE10hipError_tPvRmT2_T3_T4_T5_mT6_T7_P12ihipStream_tbENKUlT_T0_E_clISt17integral_constantIbLb1EES12_IbLb0EEEEDaSY_SZ_EUlSY_E_NS1_11comp_targetILNS1_3genE5ELNS1_11target_archE942ELNS1_3gpuE9ELNS1_3repE0EEENS1_30default_config_static_selectorELNS0_4arch9wavefront6targetE0EEEvT1_.uses_vcc, 0
	.set _ZN7rocprim17ROCPRIM_400000_NS6detail17trampoline_kernelINS0_14default_configENS1_27scan_by_key_config_selectorIj11FixedVectorIiLj1EEEEZZNS1_16scan_by_key_implILNS1_25lookback_scan_determinismE0ELb1ES3_N6thrust23THRUST_200600_302600_NS6detail15normal_iteratorINSB_10device_ptrIjEEEENSD_INSE_IS6_EEEESI_S6_NSB_4plusIvEENSB_8equal_toIvEES6_EE10hipError_tPvRmT2_T3_T4_T5_mT6_T7_P12ihipStream_tbENKUlT_T0_E_clISt17integral_constantIbLb1EES12_IbLb0EEEEDaSY_SZ_EUlSY_E_NS1_11comp_targetILNS1_3genE5ELNS1_11target_archE942ELNS1_3gpuE9ELNS1_3repE0EEENS1_30default_config_static_selectorELNS0_4arch9wavefront6targetE0EEEvT1_.uses_flat_scratch, 0
	.set _ZN7rocprim17ROCPRIM_400000_NS6detail17trampoline_kernelINS0_14default_configENS1_27scan_by_key_config_selectorIj11FixedVectorIiLj1EEEEZZNS1_16scan_by_key_implILNS1_25lookback_scan_determinismE0ELb1ES3_N6thrust23THRUST_200600_302600_NS6detail15normal_iteratorINSB_10device_ptrIjEEEENSD_INSE_IS6_EEEESI_S6_NSB_4plusIvEENSB_8equal_toIvEES6_EE10hipError_tPvRmT2_T3_T4_T5_mT6_T7_P12ihipStream_tbENKUlT_T0_E_clISt17integral_constantIbLb1EES12_IbLb0EEEEDaSY_SZ_EUlSY_E_NS1_11comp_targetILNS1_3genE5ELNS1_11target_archE942ELNS1_3gpuE9ELNS1_3repE0EEENS1_30default_config_static_selectorELNS0_4arch9wavefront6targetE0EEEvT1_.has_dyn_sized_stack, 0
	.set _ZN7rocprim17ROCPRIM_400000_NS6detail17trampoline_kernelINS0_14default_configENS1_27scan_by_key_config_selectorIj11FixedVectorIiLj1EEEEZZNS1_16scan_by_key_implILNS1_25lookback_scan_determinismE0ELb1ES3_N6thrust23THRUST_200600_302600_NS6detail15normal_iteratorINSB_10device_ptrIjEEEENSD_INSE_IS6_EEEESI_S6_NSB_4plusIvEENSB_8equal_toIvEES6_EE10hipError_tPvRmT2_T3_T4_T5_mT6_T7_P12ihipStream_tbENKUlT_T0_E_clISt17integral_constantIbLb1EES12_IbLb0EEEEDaSY_SZ_EUlSY_E_NS1_11comp_targetILNS1_3genE5ELNS1_11target_archE942ELNS1_3gpuE9ELNS1_3repE0EEENS1_30default_config_static_selectorELNS0_4arch9wavefront6targetE0EEEvT1_.has_recursion, 0
	.set _ZN7rocprim17ROCPRIM_400000_NS6detail17trampoline_kernelINS0_14default_configENS1_27scan_by_key_config_selectorIj11FixedVectorIiLj1EEEEZZNS1_16scan_by_key_implILNS1_25lookback_scan_determinismE0ELb1ES3_N6thrust23THRUST_200600_302600_NS6detail15normal_iteratorINSB_10device_ptrIjEEEENSD_INSE_IS6_EEEESI_S6_NSB_4plusIvEENSB_8equal_toIvEES6_EE10hipError_tPvRmT2_T3_T4_T5_mT6_T7_P12ihipStream_tbENKUlT_T0_E_clISt17integral_constantIbLb1EES12_IbLb0EEEEDaSY_SZ_EUlSY_E_NS1_11comp_targetILNS1_3genE5ELNS1_11target_archE942ELNS1_3gpuE9ELNS1_3repE0EEENS1_30default_config_static_selectorELNS0_4arch9wavefront6targetE0EEEvT1_.has_indirect_call, 0
	.section	.AMDGPU.csdata,"",@progbits
; Kernel info:
; codeLenInByte = 0
; TotalNumSgprs: 0
; NumVgprs: 0
; ScratchSize: 0
; MemoryBound: 0
; FloatMode: 240
; IeeeMode: 1
; LDSByteSize: 0 bytes/workgroup (compile time only)
; SGPRBlocks: 0
; VGPRBlocks: 0
; NumSGPRsForWavesPerEU: 1
; NumVGPRsForWavesPerEU: 1
; Occupancy: 16
; WaveLimiterHint : 0
; COMPUTE_PGM_RSRC2:SCRATCH_EN: 0
; COMPUTE_PGM_RSRC2:USER_SGPR: 6
; COMPUTE_PGM_RSRC2:TRAP_HANDLER: 0
; COMPUTE_PGM_RSRC2:TGID_X_EN: 1
; COMPUTE_PGM_RSRC2:TGID_Y_EN: 0
; COMPUTE_PGM_RSRC2:TGID_Z_EN: 0
; COMPUTE_PGM_RSRC2:TIDIG_COMP_CNT: 0
	.section	.text._ZN7rocprim17ROCPRIM_400000_NS6detail17trampoline_kernelINS0_14default_configENS1_27scan_by_key_config_selectorIj11FixedVectorIiLj1EEEEZZNS1_16scan_by_key_implILNS1_25lookback_scan_determinismE0ELb1ES3_N6thrust23THRUST_200600_302600_NS6detail15normal_iteratorINSB_10device_ptrIjEEEENSD_INSE_IS6_EEEESI_S6_NSB_4plusIvEENSB_8equal_toIvEES6_EE10hipError_tPvRmT2_T3_T4_T5_mT6_T7_P12ihipStream_tbENKUlT_T0_E_clISt17integral_constantIbLb1EES12_IbLb0EEEEDaSY_SZ_EUlSY_E_NS1_11comp_targetILNS1_3genE4ELNS1_11target_archE910ELNS1_3gpuE8ELNS1_3repE0EEENS1_30default_config_static_selectorELNS0_4arch9wavefront6targetE0EEEvT1_,"axG",@progbits,_ZN7rocprim17ROCPRIM_400000_NS6detail17trampoline_kernelINS0_14default_configENS1_27scan_by_key_config_selectorIj11FixedVectorIiLj1EEEEZZNS1_16scan_by_key_implILNS1_25lookback_scan_determinismE0ELb1ES3_N6thrust23THRUST_200600_302600_NS6detail15normal_iteratorINSB_10device_ptrIjEEEENSD_INSE_IS6_EEEESI_S6_NSB_4plusIvEENSB_8equal_toIvEES6_EE10hipError_tPvRmT2_T3_T4_T5_mT6_T7_P12ihipStream_tbENKUlT_T0_E_clISt17integral_constantIbLb1EES12_IbLb0EEEEDaSY_SZ_EUlSY_E_NS1_11comp_targetILNS1_3genE4ELNS1_11target_archE910ELNS1_3gpuE8ELNS1_3repE0EEENS1_30default_config_static_selectorELNS0_4arch9wavefront6targetE0EEEvT1_,comdat
	.protected	_ZN7rocprim17ROCPRIM_400000_NS6detail17trampoline_kernelINS0_14default_configENS1_27scan_by_key_config_selectorIj11FixedVectorIiLj1EEEEZZNS1_16scan_by_key_implILNS1_25lookback_scan_determinismE0ELb1ES3_N6thrust23THRUST_200600_302600_NS6detail15normal_iteratorINSB_10device_ptrIjEEEENSD_INSE_IS6_EEEESI_S6_NSB_4plusIvEENSB_8equal_toIvEES6_EE10hipError_tPvRmT2_T3_T4_T5_mT6_T7_P12ihipStream_tbENKUlT_T0_E_clISt17integral_constantIbLb1EES12_IbLb0EEEEDaSY_SZ_EUlSY_E_NS1_11comp_targetILNS1_3genE4ELNS1_11target_archE910ELNS1_3gpuE8ELNS1_3repE0EEENS1_30default_config_static_selectorELNS0_4arch9wavefront6targetE0EEEvT1_ ; -- Begin function _ZN7rocprim17ROCPRIM_400000_NS6detail17trampoline_kernelINS0_14default_configENS1_27scan_by_key_config_selectorIj11FixedVectorIiLj1EEEEZZNS1_16scan_by_key_implILNS1_25lookback_scan_determinismE0ELb1ES3_N6thrust23THRUST_200600_302600_NS6detail15normal_iteratorINSB_10device_ptrIjEEEENSD_INSE_IS6_EEEESI_S6_NSB_4plusIvEENSB_8equal_toIvEES6_EE10hipError_tPvRmT2_T3_T4_T5_mT6_T7_P12ihipStream_tbENKUlT_T0_E_clISt17integral_constantIbLb1EES12_IbLb0EEEEDaSY_SZ_EUlSY_E_NS1_11comp_targetILNS1_3genE4ELNS1_11target_archE910ELNS1_3gpuE8ELNS1_3repE0EEENS1_30default_config_static_selectorELNS0_4arch9wavefront6targetE0EEEvT1_
	.globl	_ZN7rocprim17ROCPRIM_400000_NS6detail17trampoline_kernelINS0_14default_configENS1_27scan_by_key_config_selectorIj11FixedVectorIiLj1EEEEZZNS1_16scan_by_key_implILNS1_25lookback_scan_determinismE0ELb1ES3_N6thrust23THRUST_200600_302600_NS6detail15normal_iteratorINSB_10device_ptrIjEEEENSD_INSE_IS6_EEEESI_S6_NSB_4plusIvEENSB_8equal_toIvEES6_EE10hipError_tPvRmT2_T3_T4_T5_mT6_T7_P12ihipStream_tbENKUlT_T0_E_clISt17integral_constantIbLb1EES12_IbLb0EEEEDaSY_SZ_EUlSY_E_NS1_11comp_targetILNS1_3genE4ELNS1_11target_archE910ELNS1_3gpuE8ELNS1_3repE0EEENS1_30default_config_static_selectorELNS0_4arch9wavefront6targetE0EEEvT1_
	.p2align	8
	.type	_ZN7rocprim17ROCPRIM_400000_NS6detail17trampoline_kernelINS0_14default_configENS1_27scan_by_key_config_selectorIj11FixedVectorIiLj1EEEEZZNS1_16scan_by_key_implILNS1_25lookback_scan_determinismE0ELb1ES3_N6thrust23THRUST_200600_302600_NS6detail15normal_iteratorINSB_10device_ptrIjEEEENSD_INSE_IS6_EEEESI_S6_NSB_4plusIvEENSB_8equal_toIvEES6_EE10hipError_tPvRmT2_T3_T4_T5_mT6_T7_P12ihipStream_tbENKUlT_T0_E_clISt17integral_constantIbLb1EES12_IbLb0EEEEDaSY_SZ_EUlSY_E_NS1_11comp_targetILNS1_3genE4ELNS1_11target_archE910ELNS1_3gpuE8ELNS1_3repE0EEENS1_30default_config_static_selectorELNS0_4arch9wavefront6targetE0EEEvT1_,@function
_ZN7rocprim17ROCPRIM_400000_NS6detail17trampoline_kernelINS0_14default_configENS1_27scan_by_key_config_selectorIj11FixedVectorIiLj1EEEEZZNS1_16scan_by_key_implILNS1_25lookback_scan_determinismE0ELb1ES3_N6thrust23THRUST_200600_302600_NS6detail15normal_iteratorINSB_10device_ptrIjEEEENSD_INSE_IS6_EEEESI_S6_NSB_4plusIvEENSB_8equal_toIvEES6_EE10hipError_tPvRmT2_T3_T4_T5_mT6_T7_P12ihipStream_tbENKUlT_T0_E_clISt17integral_constantIbLb1EES12_IbLb0EEEEDaSY_SZ_EUlSY_E_NS1_11comp_targetILNS1_3genE4ELNS1_11target_archE910ELNS1_3gpuE8ELNS1_3repE0EEENS1_30default_config_static_selectorELNS0_4arch9wavefront6targetE0EEEvT1_: ; @_ZN7rocprim17ROCPRIM_400000_NS6detail17trampoline_kernelINS0_14default_configENS1_27scan_by_key_config_selectorIj11FixedVectorIiLj1EEEEZZNS1_16scan_by_key_implILNS1_25lookback_scan_determinismE0ELb1ES3_N6thrust23THRUST_200600_302600_NS6detail15normal_iteratorINSB_10device_ptrIjEEEENSD_INSE_IS6_EEEESI_S6_NSB_4plusIvEENSB_8equal_toIvEES6_EE10hipError_tPvRmT2_T3_T4_T5_mT6_T7_P12ihipStream_tbENKUlT_T0_E_clISt17integral_constantIbLb1EES12_IbLb0EEEEDaSY_SZ_EUlSY_E_NS1_11comp_targetILNS1_3genE4ELNS1_11target_archE910ELNS1_3gpuE8ELNS1_3repE0EEENS1_30default_config_static_selectorELNS0_4arch9wavefront6targetE0EEEvT1_
; %bb.0:
	.section	.rodata,"a",@progbits
	.p2align	6, 0x0
	.amdhsa_kernel _ZN7rocprim17ROCPRIM_400000_NS6detail17trampoline_kernelINS0_14default_configENS1_27scan_by_key_config_selectorIj11FixedVectorIiLj1EEEEZZNS1_16scan_by_key_implILNS1_25lookback_scan_determinismE0ELb1ES3_N6thrust23THRUST_200600_302600_NS6detail15normal_iteratorINSB_10device_ptrIjEEEENSD_INSE_IS6_EEEESI_S6_NSB_4plusIvEENSB_8equal_toIvEES6_EE10hipError_tPvRmT2_T3_T4_T5_mT6_T7_P12ihipStream_tbENKUlT_T0_E_clISt17integral_constantIbLb1EES12_IbLb0EEEEDaSY_SZ_EUlSY_E_NS1_11comp_targetILNS1_3genE4ELNS1_11target_archE910ELNS1_3gpuE8ELNS1_3repE0EEENS1_30default_config_static_selectorELNS0_4arch9wavefront6targetE0EEEvT1_
		.amdhsa_group_segment_fixed_size 0
		.amdhsa_private_segment_fixed_size 0
		.amdhsa_kernarg_size 112
		.amdhsa_user_sgpr_count 6
		.amdhsa_user_sgpr_private_segment_buffer 1
		.amdhsa_user_sgpr_dispatch_ptr 0
		.amdhsa_user_sgpr_queue_ptr 0
		.amdhsa_user_sgpr_kernarg_segment_ptr 1
		.amdhsa_user_sgpr_dispatch_id 0
		.amdhsa_user_sgpr_flat_scratch_init 0
		.amdhsa_user_sgpr_private_segment_size 0
		.amdhsa_wavefront_size32 1
		.amdhsa_uses_dynamic_stack 0
		.amdhsa_system_sgpr_private_segment_wavefront_offset 0
		.amdhsa_system_sgpr_workgroup_id_x 1
		.amdhsa_system_sgpr_workgroup_id_y 0
		.amdhsa_system_sgpr_workgroup_id_z 0
		.amdhsa_system_sgpr_workgroup_info 0
		.amdhsa_system_vgpr_workitem_id 0
		.amdhsa_next_free_vgpr 1
		.amdhsa_next_free_sgpr 1
		.amdhsa_reserve_vcc 0
		.amdhsa_reserve_flat_scratch 0
		.amdhsa_float_round_mode_32 0
		.amdhsa_float_round_mode_16_64 0
		.amdhsa_float_denorm_mode_32 3
		.amdhsa_float_denorm_mode_16_64 3
		.amdhsa_dx10_clamp 1
		.amdhsa_ieee_mode 1
		.amdhsa_fp16_overflow 0
		.amdhsa_workgroup_processor_mode 1
		.amdhsa_memory_ordered 1
		.amdhsa_forward_progress 1
		.amdhsa_shared_vgpr_count 0
		.amdhsa_exception_fp_ieee_invalid_op 0
		.amdhsa_exception_fp_denorm_src 0
		.amdhsa_exception_fp_ieee_div_zero 0
		.amdhsa_exception_fp_ieee_overflow 0
		.amdhsa_exception_fp_ieee_underflow 0
		.amdhsa_exception_fp_ieee_inexact 0
		.amdhsa_exception_int_div_zero 0
	.end_amdhsa_kernel
	.section	.text._ZN7rocprim17ROCPRIM_400000_NS6detail17trampoline_kernelINS0_14default_configENS1_27scan_by_key_config_selectorIj11FixedVectorIiLj1EEEEZZNS1_16scan_by_key_implILNS1_25lookback_scan_determinismE0ELb1ES3_N6thrust23THRUST_200600_302600_NS6detail15normal_iteratorINSB_10device_ptrIjEEEENSD_INSE_IS6_EEEESI_S6_NSB_4plusIvEENSB_8equal_toIvEES6_EE10hipError_tPvRmT2_T3_T4_T5_mT6_T7_P12ihipStream_tbENKUlT_T0_E_clISt17integral_constantIbLb1EES12_IbLb0EEEEDaSY_SZ_EUlSY_E_NS1_11comp_targetILNS1_3genE4ELNS1_11target_archE910ELNS1_3gpuE8ELNS1_3repE0EEENS1_30default_config_static_selectorELNS0_4arch9wavefront6targetE0EEEvT1_,"axG",@progbits,_ZN7rocprim17ROCPRIM_400000_NS6detail17trampoline_kernelINS0_14default_configENS1_27scan_by_key_config_selectorIj11FixedVectorIiLj1EEEEZZNS1_16scan_by_key_implILNS1_25lookback_scan_determinismE0ELb1ES3_N6thrust23THRUST_200600_302600_NS6detail15normal_iteratorINSB_10device_ptrIjEEEENSD_INSE_IS6_EEEESI_S6_NSB_4plusIvEENSB_8equal_toIvEES6_EE10hipError_tPvRmT2_T3_T4_T5_mT6_T7_P12ihipStream_tbENKUlT_T0_E_clISt17integral_constantIbLb1EES12_IbLb0EEEEDaSY_SZ_EUlSY_E_NS1_11comp_targetILNS1_3genE4ELNS1_11target_archE910ELNS1_3gpuE8ELNS1_3repE0EEENS1_30default_config_static_selectorELNS0_4arch9wavefront6targetE0EEEvT1_,comdat
.Lfunc_end1932:
	.size	_ZN7rocprim17ROCPRIM_400000_NS6detail17trampoline_kernelINS0_14default_configENS1_27scan_by_key_config_selectorIj11FixedVectorIiLj1EEEEZZNS1_16scan_by_key_implILNS1_25lookback_scan_determinismE0ELb1ES3_N6thrust23THRUST_200600_302600_NS6detail15normal_iteratorINSB_10device_ptrIjEEEENSD_INSE_IS6_EEEESI_S6_NSB_4plusIvEENSB_8equal_toIvEES6_EE10hipError_tPvRmT2_T3_T4_T5_mT6_T7_P12ihipStream_tbENKUlT_T0_E_clISt17integral_constantIbLb1EES12_IbLb0EEEEDaSY_SZ_EUlSY_E_NS1_11comp_targetILNS1_3genE4ELNS1_11target_archE910ELNS1_3gpuE8ELNS1_3repE0EEENS1_30default_config_static_selectorELNS0_4arch9wavefront6targetE0EEEvT1_, .Lfunc_end1932-_ZN7rocprim17ROCPRIM_400000_NS6detail17trampoline_kernelINS0_14default_configENS1_27scan_by_key_config_selectorIj11FixedVectorIiLj1EEEEZZNS1_16scan_by_key_implILNS1_25lookback_scan_determinismE0ELb1ES3_N6thrust23THRUST_200600_302600_NS6detail15normal_iteratorINSB_10device_ptrIjEEEENSD_INSE_IS6_EEEESI_S6_NSB_4plusIvEENSB_8equal_toIvEES6_EE10hipError_tPvRmT2_T3_T4_T5_mT6_T7_P12ihipStream_tbENKUlT_T0_E_clISt17integral_constantIbLb1EES12_IbLb0EEEEDaSY_SZ_EUlSY_E_NS1_11comp_targetILNS1_3genE4ELNS1_11target_archE910ELNS1_3gpuE8ELNS1_3repE0EEENS1_30default_config_static_selectorELNS0_4arch9wavefront6targetE0EEEvT1_
                                        ; -- End function
	.set _ZN7rocprim17ROCPRIM_400000_NS6detail17trampoline_kernelINS0_14default_configENS1_27scan_by_key_config_selectorIj11FixedVectorIiLj1EEEEZZNS1_16scan_by_key_implILNS1_25lookback_scan_determinismE0ELb1ES3_N6thrust23THRUST_200600_302600_NS6detail15normal_iteratorINSB_10device_ptrIjEEEENSD_INSE_IS6_EEEESI_S6_NSB_4plusIvEENSB_8equal_toIvEES6_EE10hipError_tPvRmT2_T3_T4_T5_mT6_T7_P12ihipStream_tbENKUlT_T0_E_clISt17integral_constantIbLb1EES12_IbLb0EEEEDaSY_SZ_EUlSY_E_NS1_11comp_targetILNS1_3genE4ELNS1_11target_archE910ELNS1_3gpuE8ELNS1_3repE0EEENS1_30default_config_static_selectorELNS0_4arch9wavefront6targetE0EEEvT1_.num_vgpr, 0
	.set _ZN7rocprim17ROCPRIM_400000_NS6detail17trampoline_kernelINS0_14default_configENS1_27scan_by_key_config_selectorIj11FixedVectorIiLj1EEEEZZNS1_16scan_by_key_implILNS1_25lookback_scan_determinismE0ELb1ES3_N6thrust23THRUST_200600_302600_NS6detail15normal_iteratorINSB_10device_ptrIjEEEENSD_INSE_IS6_EEEESI_S6_NSB_4plusIvEENSB_8equal_toIvEES6_EE10hipError_tPvRmT2_T3_T4_T5_mT6_T7_P12ihipStream_tbENKUlT_T0_E_clISt17integral_constantIbLb1EES12_IbLb0EEEEDaSY_SZ_EUlSY_E_NS1_11comp_targetILNS1_3genE4ELNS1_11target_archE910ELNS1_3gpuE8ELNS1_3repE0EEENS1_30default_config_static_selectorELNS0_4arch9wavefront6targetE0EEEvT1_.num_agpr, 0
	.set _ZN7rocprim17ROCPRIM_400000_NS6detail17trampoline_kernelINS0_14default_configENS1_27scan_by_key_config_selectorIj11FixedVectorIiLj1EEEEZZNS1_16scan_by_key_implILNS1_25lookback_scan_determinismE0ELb1ES3_N6thrust23THRUST_200600_302600_NS6detail15normal_iteratorINSB_10device_ptrIjEEEENSD_INSE_IS6_EEEESI_S6_NSB_4plusIvEENSB_8equal_toIvEES6_EE10hipError_tPvRmT2_T3_T4_T5_mT6_T7_P12ihipStream_tbENKUlT_T0_E_clISt17integral_constantIbLb1EES12_IbLb0EEEEDaSY_SZ_EUlSY_E_NS1_11comp_targetILNS1_3genE4ELNS1_11target_archE910ELNS1_3gpuE8ELNS1_3repE0EEENS1_30default_config_static_selectorELNS0_4arch9wavefront6targetE0EEEvT1_.numbered_sgpr, 0
	.set _ZN7rocprim17ROCPRIM_400000_NS6detail17trampoline_kernelINS0_14default_configENS1_27scan_by_key_config_selectorIj11FixedVectorIiLj1EEEEZZNS1_16scan_by_key_implILNS1_25lookback_scan_determinismE0ELb1ES3_N6thrust23THRUST_200600_302600_NS6detail15normal_iteratorINSB_10device_ptrIjEEEENSD_INSE_IS6_EEEESI_S6_NSB_4plusIvEENSB_8equal_toIvEES6_EE10hipError_tPvRmT2_T3_T4_T5_mT6_T7_P12ihipStream_tbENKUlT_T0_E_clISt17integral_constantIbLb1EES12_IbLb0EEEEDaSY_SZ_EUlSY_E_NS1_11comp_targetILNS1_3genE4ELNS1_11target_archE910ELNS1_3gpuE8ELNS1_3repE0EEENS1_30default_config_static_selectorELNS0_4arch9wavefront6targetE0EEEvT1_.num_named_barrier, 0
	.set _ZN7rocprim17ROCPRIM_400000_NS6detail17trampoline_kernelINS0_14default_configENS1_27scan_by_key_config_selectorIj11FixedVectorIiLj1EEEEZZNS1_16scan_by_key_implILNS1_25lookback_scan_determinismE0ELb1ES3_N6thrust23THRUST_200600_302600_NS6detail15normal_iteratorINSB_10device_ptrIjEEEENSD_INSE_IS6_EEEESI_S6_NSB_4plusIvEENSB_8equal_toIvEES6_EE10hipError_tPvRmT2_T3_T4_T5_mT6_T7_P12ihipStream_tbENKUlT_T0_E_clISt17integral_constantIbLb1EES12_IbLb0EEEEDaSY_SZ_EUlSY_E_NS1_11comp_targetILNS1_3genE4ELNS1_11target_archE910ELNS1_3gpuE8ELNS1_3repE0EEENS1_30default_config_static_selectorELNS0_4arch9wavefront6targetE0EEEvT1_.private_seg_size, 0
	.set _ZN7rocprim17ROCPRIM_400000_NS6detail17trampoline_kernelINS0_14default_configENS1_27scan_by_key_config_selectorIj11FixedVectorIiLj1EEEEZZNS1_16scan_by_key_implILNS1_25lookback_scan_determinismE0ELb1ES3_N6thrust23THRUST_200600_302600_NS6detail15normal_iteratorINSB_10device_ptrIjEEEENSD_INSE_IS6_EEEESI_S6_NSB_4plusIvEENSB_8equal_toIvEES6_EE10hipError_tPvRmT2_T3_T4_T5_mT6_T7_P12ihipStream_tbENKUlT_T0_E_clISt17integral_constantIbLb1EES12_IbLb0EEEEDaSY_SZ_EUlSY_E_NS1_11comp_targetILNS1_3genE4ELNS1_11target_archE910ELNS1_3gpuE8ELNS1_3repE0EEENS1_30default_config_static_selectorELNS0_4arch9wavefront6targetE0EEEvT1_.uses_vcc, 0
	.set _ZN7rocprim17ROCPRIM_400000_NS6detail17trampoline_kernelINS0_14default_configENS1_27scan_by_key_config_selectorIj11FixedVectorIiLj1EEEEZZNS1_16scan_by_key_implILNS1_25lookback_scan_determinismE0ELb1ES3_N6thrust23THRUST_200600_302600_NS6detail15normal_iteratorINSB_10device_ptrIjEEEENSD_INSE_IS6_EEEESI_S6_NSB_4plusIvEENSB_8equal_toIvEES6_EE10hipError_tPvRmT2_T3_T4_T5_mT6_T7_P12ihipStream_tbENKUlT_T0_E_clISt17integral_constantIbLb1EES12_IbLb0EEEEDaSY_SZ_EUlSY_E_NS1_11comp_targetILNS1_3genE4ELNS1_11target_archE910ELNS1_3gpuE8ELNS1_3repE0EEENS1_30default_config_static_selectorELNS0_4arch9wavefront6targetE0EEEvT1_.uses_flat_scratch, 0
	.set _ZN7rocprim17ROCPRIM_400000_NS6detail17trampoline_kernelINS0_14default_configENS1_27scan_by_key_config_selectorIj11FixedVectorIiLj1EEEEZZNS1_16scan_by_key_implILNS1_25lookback_scan_determinismE0ELb1ES3_N6thrust23THRUST_200600_302600_NS6detail15normal_iteratorINSB_10device_ptrIjEEEENSD_INSE_IS6_EEEESI_S6_NSB_4plusIvEENSB_8equal_toIvEES6_EE10hipError_tPvRmT2_T3_T4_T5_mT6_T7_P12ihipStream_tbENKUlT_T0_E_clISt17integral_constantIbLb1EES12_IbLb0EEEEDaSY_SZ_EUlSY_E_NS1_11comp_targetILNS1_3genE4ELNS1_11target_archE910ELNS1_3gpuE8ELNS1_3repE0EEENS1_30default_config_static_selectorELNS0_4arch9wavefront6targetE0EEEvT1_.has_dyn_sized_stack, 0
	.set _ZN7rocprim17ROCPRIM_400000_NS6detail17trampoline_kernelINS0_14default_configENS1_27scan_by_key_config_selectorIj11FixedVectorIiLj1EEEEZZNS1_16scan_by_key_implILNS1_25lookback_scan_determinismE0ELb1ES3_N6thrust23THRUST_200600_302600_NS6detail15normal_iteratorINSB_10device_ptrIjEEEENSD_INSE_IS6_EEEESI_S6_NSB_4plusIvEENSB_8equal_toIvEES6_EE10hipError_tPvRmT2_T3_T4_T5_mT6_T7_P12ihipStream_tbENKUlT_T0_E_clISt17integral_constantIbLb1EES12_IbLb0EEEEDaSY_SZ_EUlSY_E_NS1_11comp_targetILNS1_3genE4ELNS1_11target_archE910ELNS1_3gpuE8ELNS1_3repE0EEENS1_30default_config_static_selectorELNS0_4arch9wavefront6targetE0EEEvT1_.has_recursion, 0
	.set _ZN7rocprim17ROCPRIM_400000_NS6detail17trampoline_kernelINS0_14default_configENS1_27scan_by_key_config_selectorIj11FixedVectorIiLj1EEEEZZNS1_16scan_by_key_implILNS1_25lookback_scan_determinismE0ELb1ES3_N6thrust23THRUST_200600_302600_NS6detail15normal_iteratorINSB_10device_ptrIjEEEENSD_INSE_IS6_EEEESI_S6_NSB_4plusIvEENSB_8equal_toIvEES6_EE10hipError_tPvRmT2_T3_T4_T5_mT6_T7_P12ihipStream_tbENKUlT_T0_E_clISt17integral_constantIbLb1EES12_IbLb0EEEEDaSY_SZ_EUlSY_E_NS1_11comp_targetILNS1_3genE4ELNS1_11target_archE910ELNS1_3gpuE8ELNS1_3repE0EEENS1_30default_config_static_selectorELNS0_4arch9wavefront6targetE0EEEvT1_.has_indirect_call, 0
	.section	.AMDGPU.csdata,"",@progbits
; Kernel info:
; codeLenInByte = 0
; TotalNumSgprs: 0
; NumVgprs: 0
; ScratchSize: 0
; MemoryBound: 0
; FloatMode: 240
; IeeeMode: 1
; LDSByteSize: 0 bytes/workgroup (compile time only)
; SGPRBlocks: 0
; VGPRBlocks: 0
; NumSGPRsForWavesPerEU: 1
; NumVGPRsForWavesPerEU: 1
; Occupancy: 16
; WaveLimiterHint : 0
; COMPUTE_PGM_RSRC2:SCRATCH_EN: 0
; COMPUTE_PGM_RSRC2:USER_SGPR: 6
; COMPUTE_PGM_RSRC2:TRAP_HANDLER: 0
; COMPUTE_PGM_RSRC2:TGID_X_EN: 1
; COMPUTE_PGM_RSRC2:TGID_Y_EN: 0
; COMPUTE_PGM_RSRC2:TGID_Z_EN: 0
; COMPUTE_PGM_RSRC2:TIDIG_COMP_CNT: 0
	.section	.text._ZN7rocprim17ROCPRIM_400000_NS6detail17trampoline_kernelINS0_14default_configENS1_27scan_by_key_config_selectorIj11FixedVectorIiLj1EEEEZZNS1_16scan_by_key_implILNS1_25lookback_scan_determinismE0ELb1ES3_N6thrust23THRUST_200600_302600_NS6detail15normal_iteratorINSB_10device_ptrIjEEEENSD_INSE_IS6_EEEESI_S6_NSB_4plusIvEENSB_8equal_toIvEES6_EE10hipError_tPvRmT2_T3_T4_T5_mT6_T7_P12ihipStream_tbENKUlT_T0_E_clISt17integral_constantIbLb1EES12_IbLb0EEEEDaSY_SZ_EUlSY_E_NS1_11comp_targetILNS1_3genE3ELNS1_11target_archE908ELNS1_3gpuE7ELNS1_3repE0EEENS1_30default_config_static_selectorELNS0_4arch9wavefront6targetE0EEEvT1_,"axG",@progbits,_ZN7rocprim17ROCPRIM_400000_NS6detail17trampoline_kernelINS0_14default_configENS1_27scan_by_key_config_selectorIj11FixedVectorIiLj1EEEEZZNS1_16scan_by_key_implILNS1_25lookback_scan_determinismE0ELb1ES3_N6thrust23THRUST_200600_302600_NS6detail15normal_iteratorINSB_10device_ptrIjEEEENSD_INSE_IS6_EEEESI_S6_NSB_4plusIvEENSB_8equal_toIvEES6_EE10hipError_tPvRmT2_T3_T4_T5_mT6_T7_P12ihipStream_tbENKUlT_T0_E_clISt17integral_constantIbLb1EES12_IbLb0EEEEDaSY_SZ_EUlSY_E_NS1_11comp_targetILNS1_3genE3ELNS1_11target_archE908ELNS1_3gpuE7ELNS1_3repE0EEENS1_30default_config_static_selectorELNS0_4arch9wavefront6targetE0EEEvT1_,comdat
	.protected	_ZN7rocprim17ROCPRIM_400000_NS6detail17trampoline_kernelINS0_14default_configENS1_27scan_by_key_config_selectorIj11FixedVectorIiLj1EEEEZZNS1_16scan_by_key_implILNS1_25lookback_scan_determinismE0ELb1ES3_N6thrust23THRUST_200600_302600_NS6detail15normal_iteratorINSB_10device_ptrIjEEEENSD_INSE_IS6_EEEESI_S6_NSB_4plusIvEENSB_8equal_toIvEES6_EE10hipError_tPvRmT2_T3_T4_T5_mT6_T7_P12ihipStream_tbENKUlT_T0_E_clISt17integral_constantIbLb1EES12_IbLb0EEEEDaSY_SZ_EUlSY_E_NS1_11comp_targetILNS1_3genE3ELNS1_11target_archE908ELNS1_3gpuE7ELNS1_3repE0EEENS1_30default_config_static_selectorELNS0_4arch9wavefront6targetE0EEEvT1_ ; -- Begin function _ZN7rocprim17ROCPRIM_400000_NS6detail17trampoline_kernelINS0_14default_configENS1_27scan_by_key_config_selectorIj11FixedVectorIiLj1EEEEZZNS1_16scan_by_key_implILNS1_25lookback_scan_determinismE0ELb1ES3_N6thrust23THRUST_200600_302600_NS6detail15normal_iteratorINSB_10device_ptrIjEEEENSD_INSE_IS6_EEEESI_S6_NSB_4plusIvEENSB_8equal_toIvEES6_EE10hipError_tPvRmT2_T3_T4_T5_mT6_T7_P12ihipStream_tbENKUlT_T0_E_clISt17integral_constantIbLb1EES12_IbLb0EEEEDaSY_SZ_EUlSY_E_NS1_11comp_targetILNS1_3genE3ELNS1_11target_archE908ELNS1_3gpuE7ELNS1_3repE0EEENS1_30default_config_static_selectorELNS0_4arch9wavefront6targetE0EEEvT1_
	.globl	_ZN7rocprim17ROCPRIM_400000_NS6detail17trampoline_kernelINS0_14default_configENS1_27scan_by_key_config_selectorIj11FixedVectorIiLj1EEEEZZNS1_16scan_by_key_implILNS1_25lookback_scan_determinismE0ELb1ES3_N6thrust23THRUST_200600_302600_NS6detail15normal_iteratorINSB_10device_ptrIjEEEENSD_INSE_IS6_EEEESI_S6_NSB_4plusIvEENSB_8equal_toIvEES6_EE10hipError_tPvRmT2_T3_T4_T5_mT6_T7_P12ihipStream_tbENKUlT_T0_E_clISt17integral_constantIbLb1EES12_IbLb0EEEEDaSY_SZ_EUlSY_E_NS1_11comp_targetILNS1_3genE3ELNS1_11target_archE908ELNS1_3gpuE7ELNS1_3repE0EEENS1_30default_config_static_selectorELNS0_4arch9wavefront6targetE0EEEvT1_
	.p2align	8
	.type	_ZN7rocprim17ROCPRIM_400000_NS6detail17trampoline_kernelINS0_14default_configENS1_27scan_by_key_config_selectorIj11FixedVectorIiLj1EEEEZZNS1_16scan_by_key_implILNS1_25lookback_scan_determinismE0ELb1ES3_N6thrust23THRUST_200600_302600_NS6detail15normal_iteratorINSB_10device_ptrIjEEEENSD_INSE_IS6_EEEESI_S6_NSB_4plusIvEENSB_8equal_toIvEES6_EE10hipError_tPvRmT2_T3_T4_T5_mT6_T7_P12ihipStream_tbENKUlT_T0_E_clISt17integral_constantIbLb1EES12_IbLb0EEEEDaSY_SZ_EUlSY_E_NS1_11comp_targetILNS1_3genE3ELNS1_11target_archE908ELNS1_3gpuE7ELNS1_3repE0EEENS1_30default_config_static_selectorELNS0_4arch9wavefront6targetE0EEEvT1_,@function
_ZN7rocprim17ROCPRIM_400000_NS6detail17trampoline_kernelINS0_14default_configENS1_27scan_by_key_config_selectorIj11FixedVectorIiLj1EEEEZZNS1_16scan_by_key_implILNS1_25lookback_scan_determinismE0ELb1ES3_N6thrust23THRUST_200600_302600_NS6detail15normal_iteratorINSB_10device_ptrIjEEEENSD_INSE_IS6_EEEESI_S6_NSB_4plusIvEENSB_8equal_toIvEES6_EE10hipError_tPvRmT2_T3_T4_T5_mT6_T7_P12ihipStream_tbENKUlT_T0_E_clISt17integral_constantIbLb1EES12_IbLb0EEEEDaSY_SZ_EUlSY_E_NS1_11comp_targetILNS1_3genE3ELNS1_11target_archE908ELNS1_3gpuE7ELNS1_3repE0EEENS1_30default_config_static_selectorELNS0_4arch9wavefront6targetE0EEEvT1_: ; @_ZN7rocprim17ROCPRIM_400000_NS6detail17trampoline_kernelINS0_14default_configENS1_27scan_by_key_config_selectorIj11FixedVectorIiLj1EEEEZZNS1_16scan_by_key_implILNS1_25lookback_scan_determinismE0ELb1ES3_N6thrust23THRUST_200600_302600_NS6detail15normal_iteratorINSB_10device_ptrIjEEEENSD_INSE_IS6_EEEESI_S6_NSB_4plusIvEENSB_8equal_toIvEES6_EE10hipError_tPvRmT2_T3_T4_T5_mT6_T7_P12ihipStream_tbENKUlT_T0_E_clISt17integral_constantIbLb1EES12_IbLb0EEEEDaSY_SZ_EUlSY_E_NS1_11comp_targetILNS1_3genE3ELNS1_11target_archE908ELNS1_3gpuE7ELNS1_3repE0EEENS1_30default_config_static_selectorELNS0_4arch9wavefront6targetE0EEEvT1_
; %bb.0:
	.section	.rodata,"a",@progbits
	.p2align	6, 0x0
	.amdhsa_kernel _ZN7rocprim17ROCPRIM_400000_NS6detail17trampoline_kernelINS0_14default_configENS1_27scan_by_key_config_selectorIj11FixedVectorIiLj1EEEEZZNS1_16scan_by_key_implILNS1_25lookback_scan_determinismE0ELb1ES3_N6thrust23THRUST_200600_302600_NS6detail15normal_iteratorINSB_10device_ptrIjEEEENSD_INSE_IS6_EEEESI_S6_NSB_4plusIvEENSB_8equal_toIvEES6_EE10hipError_tPvRmT2_T3_T4_T5_mT6_T7_P12ihipStream_tbENKUlT_T0_E_clISt17integral_constantIbLb1EES12_IbLb0EEEEDaSY_SZ_EUlSY_E_NS1_11comp_targetILNS1_3genE3ELNS1_11target_archE908ELNS1_3gpuE7ELNS1_3repE0EEENS1_30default_config_static_selectorELNS0_4arch9wavefront6targetE0EEEvT1_
		.amdhsa_group_segment_fixed_size 0
		.amdhsa_private_segment_fixed_size 0
		.amdhsa_kernarg_size 112
		.amdhsa_user_sgpr_count 6
		.amdhsa_user_sgpr_private_segment_buffer 1
		.amdhsa_user_sgpr_dispatch_ptr 0
		.amdhsa_user_sgpr_queue_ptr 0
		.amdhsa_user_sgpr_kernarg_segment_ptr 1
		.amdhsa_user_sgpr_dispatch_id 0
		.amdhsa_user_sgpr_flat_scratch_init 0
		.amdhsa_user_sgpr_private_segment_size 0
		.amdhsa_wavefront_size32 1
		.amdhsa_uses_dynamic_stack 0
		.amdhsa_system_sgpr_private_segment_wavefront_offset 0
		.amdhsa_system_sgpr_workgroup_id_x 1
		.amdhsa_system_sgpr_workgroup_id_y 0
		.amdhsa_system_sgpr_workgroup_id_z 0
		.amdhsa_system_sgpr_workgroup_info 0
		.amdhsa_system_vgpr_workitem_id 0
		.amdhsa_next_free_vgpr 1
		.amdhsa_next_free_sgpr 1
		.amdhsa_reserve_vcc 0
		.amdhsa_reserve_flat_scratch 0
		.amdhsa_float_round_mode_32 0
		.amdhsa_float_round_mode_16_64 0
		.amdhsa_float_denorm_mode_32 3
		.amdhsa_float_denorm_mode_16_64 3
		.amdhsa_dx10_clamp 1
		.amdhsa_ieee_mode 1
		.amdhsa_fp16_overflow 0
		.amdhsa_workgroup_processor_mode 1
		.amdhsa_memory_ordered 1
		.amdhsa_forward_progress 1
		.amdhsa_shared_vgpr_count 0
		.amdhsa_exception_fp_ieee_invalid_op 0
		.amdhsa_exception_fp_denorm_src 0
		.amdhsa_exception_fp_ieee_div_zero 0
		.amdhsa_exception_fp_ieee_overflow 0
		.amdhsa_exception_fp_ieee_underflow 0
		.amdhsa_exception_fp_ieee_inexact 0
		.amdhsa_exception_int_div_zero 0
	.end_amdhsa_kernel
	.section	.text._ZN7rocprim17ROCPRIM_400000_NS6detail17trampoline_kernelINS0_14default_configENS1_27scan_by_key_config_selectorIj11FixedVectorIiLj1EEEEZZNS1_16scan_by_key_implILNS1_25lookback_scan_determinismE0ELb1ES3_N6thrust23THRUST_200600_302600_NS6detail15normal_iteratorINSB_10device_ptrIjEEEENSD_INSE_IS6_EEEESI_S6_NSB_4plusIvEENSB_8equal_toIvEES6_EE10hipError_tPvRmT2_T3_T4_T5_mT6_T7_P12ihipStream_tbENKUlT_T0_E_clISt17integral_constantIbLb1EES12_IbLb0EEEEDaSY_SZ_EUlSY_E_NS1_11comp_targetILNS1_3genE3ELNS1_11target_archE908ELNS1_3gpuE7ELNS1_3repE0EEENS1_30default_config_static_selectorELNS0_4arch9wavefront6targetE0EEEvT1_,"axG",@progbits,_ZN7rocprim17ROCPRIM_400000_NS6detail17trampoline_kernelINS0_14default_configENS1_27scan_by_key_config_selectorIj11FixedVectorIiLj1EEEEZZNS1_16scan_by_key_implILNS1_25lookback_scan_determinismE0ELb1ES3_N6thrust23THRUST_200600_302600_NS6detail15normal_iteratorINSB_10device_ptrIjEEEENSD_INSE_IS6_EEEESI_S6_NSB_4plusIvEENSB_8equal_toIvEES6_EE10hipError_tPvRmT2_T3_T4_T5_mT6_T7_P12ihipStream_tbENKUlT_T0_E_clISt17integral_constantIbLb1EES12_IbLb0EEEEDaSY_SZ_EUlSY_E_NS1_11comp_targetILNS1_3genE3ELNS1_11target_archE908ELNS1_3gpuE7ELNS1_3repE0EEENS1_30default_config_static_selectorELNS0_4arch9wavefront6targetE0EEEvT1_,comdat
.Lfunc_end1933:
	.size	_ZN7rocprim17ROCPRIM_400000_NS6detail17trampoline_kernelINS0_14default_configENS1_27scan_by_key_config_selectorIj11FixedVectorIiLj1EEEEZZNS1_16scan_by_key_implILNS1_25lookback_scan_determinismE0ELb1ES3_N6thrust23THRUST_200600_302600_NS6detail15normal_iteratorINSB_10device_ptrIjEEEENSD_INSE_IS6_EEEESI_S6_NSB_4plusIvEENSB_8equal_toIvEES6_EE10hipError_tPvRmT2_T3_T4_T5_mT6_T7_P12ihipStream_tbENKUlT_T0_E_clISt17integral_constantIbLb1EES12_IbLb0EEEEDaSY_SZ_EUlSY_E_NS1_11comp_targetILNS1_3genE3ELNS1_11target_archE908ELNS1_3gpuE7ELNS1_3repE0EEENS1_30default_config_static_selectorELNS0_4arch9wavefront6targetE0EEEvT1_, .Lfunc_end1933-_ZN7rocprim17ROCPRIM_400000_NS6detail17trampoline_kernelINS0_14default_configENS1_27scan_by_key_config_selectorIj11FixedVectorIiLj1EEEEZZNS1_16scan_by_key_implILNS1_25lookback_scan_determinismE0ELb1ES3_N6thrust23THRUST_200600_302600_NS6detail15normal_iteratorINSB_10device_ptrIjEEEENSD_INSE_IS6_EEEESI_S6_NSB_4plusIvEENSB_8equal_toIvEES6_EE10hipError_tPvRmT2_T3_T4_T5_mT6_T7_P12ihipStream_tbENKUlT_T0_E_clISt17integral_constantIbLb1EES12_IbLb0EEEEDaSY_SZ_EUlSY_E_NS1_11comp_targetILNS1_3genE3ELNS1_11target_archE908ELNS1_3gpuE7ELNS1_3repE0EEENS1_30default_config_static_selectorELNS0_4arch9wavefront6targetE0EEEvT1_
                                        ; -- End function
	.set _ZN7rocprim17ROCPRIM_400000_NS6detail17trampoline_kernelINS0_14default_configENS1_27scan_by_key_config_selectorIj11FixedVectorIiLj1EEEEZZNS1_16scan_by_key_implILNS1_25lookback_scan_determinismE0ELb1ES3_N6thrust23THRUST_200600_302600_NS6detail15normal_iteratorINSB_10device_ptrIjEEEENSD_INSE_IS6_EEEESI_S6_NSB_4plusIvEENSB_8equal_toIvEES6_EE10hipError_tPvRmT2_T3_T4_T5_mT6_T7_P12ihipStream_tbENKUlT_T0_E_clISt17integral_constantIbLb1EES12_IbLb0EEEEDaSY_SZ_EUlSY_E_NS1_11comp_targetILNS1_3genE3ELNS1_11target_archE908ELNS1_3gpuE7ELNS1_3repE0EEENS1_30default_config_static_selectorELNS0_4arch9wavefront6targetE0EEEvT1_.num_vgpr, 0
	.set _ZN7rocprim17ROCPRIM_400000_NS6detail17trampoline_kernelINS0_14default_configENS1_27scan_by_key_config_selectorIj11FixedVectorIiLj1EEEEZZNS1_16scan_by_key_implILNS1_25lookback_scan_determinismE0ELb1ES3_N6thrust23THRUST_200600_302600_NS6detail15normal_iteratorINSB_10device_ptrIjEEEENSD_INSE_IS6_EEEESI_S6_NSB_4plusIvEENSB_8equal_toIvEES6_EE10hipError_tPvRmT2_T3_T4_T5_mT6_T7_P12ihipStream_tbENKUlT_T0_E_clISt17integral_constantIbLb1EES12_IbLb0EEEEDaSY_SZ_EUlSY_E_NS1_11comp_targetILNS1_3genE3ELNS1_11target_archE908ELNS1_3gpuE7ELNS1_3repE0EEENS1_30default_config_static_selectorELNS0_4arch9wavefront6targetE0EEEvT1_.num_agpr, 0
	.set _ZN7rocprim17ROCPRIM_400000_NS6detail17trampoline_kernelINS0_14default_configENS1_27scan_by_key_config_selectorIj11FixedVectorIiLj1EEEEZZNS1_16scan_by_key_implILNS1_25lookback_scan_determinismE0ELb1ES3_N6thrust23THRUST_200600_302600_NS6detail15normal_iteratorINSB_10device_ptrIjEEEENSD_INSE_IS6_EEEESI_S6_NSB_4plusIvEENSB_8equal_toIvEES6_EE10hipError_tPvRmT2_T3_T4_T5_mT6_T7_P12ihipStream_tbENKUlT_T0_E_clISt17integral_constantIbLb1EES12_IbLb0EEEEDaSY_SZ_EUlSY_E_NS1_11comp_targetILNS1_3genE3ELNS1_11target_archE908ELNS1_3gpuE7ELNS1_3repE0EEENS1_30default_config_static_selectorELNS0_4arch9wavefront6targetE0EEEvT1_.numbered_sgpr, 0
	.set _ZN7rocprim17ROCPRIM_400000_NS6detail17trampoline_kernelINS0_14default_configENS1_27scan_by_key_config_selectorIj11FixedVectorIiLj1EEEEZZNS1_16scan_by_key_implILNS1_25lookback_scan_determinismE0ELb1ES3_N6thrust23THRUST_200600_302600_NS6detail15normal_iteratorINSB_10device_ptrIjEEEENSD_INSE_IS6_EEEESI_S6_NSB_4plusIvEENSB_8equal_toIvEES6_EE10hipError_tPvRmT2_T3_T4_T5_mT6_T7_P12ihipStream_tbENKUlT_T0_E_clISt17integral_constantIbLb1EES12_IbLb0EEEEDaSY_SZ_EUlSY_E_NS1_11comp_targetILNS1_3genE3ELNS1_11target_archE908ELNS1_3gpuE7ELNS1_3repE0EEENS1_30default_config_static_selectorELNS0_4arch9wavefront6targetE0EEEvT1_.num_named_barrier, 0
	.set _ZN7rocprim17ROCPRIM_400000_NS6detail17trampoline_kernelINS0_14default_configENS1_27scan_by_key_config_selectorIj11FixedVectorIiLj1EEEEZZNS1_16scan_by_key_implILNS1_25lookback_scan_determinismE0ELb1ES3_N6thrust23THRUST_200600_302600_NS6detail15normal_iteratorINSB_10device_ptrIjEEEENSD_INSE_IS6_EEEESI_S6_NSB_4plusIvEENSB_8equal_toIvEES6_EE10hipError_tPvRmT2_T3_T4_T5_mT6_T7_P12ihipStream_tbENKUlT_T0_E_clISt17integral_constantIbLb1EES12_IbLb0EEEEDaSY_SZ_EUlSY_E_NS1_11comp_targetILNS1_3genE3ELNS1_11target_archE908ELNS1_3gpuE7ELNS1_3repE0EEENS1_30default_config_static_selectorELNS0_4arch9wavefront6targetE0EEEvT1_.private_seg_size, 0
	.set _ZN7rocprim17ROCPRIM_400000_NS6detail17trampoline_kernelINS0_14default_configENS1_27scan_by_key_config_selectorIj11FixedVectorIiLj1EEEEZZNS1_16scan_by_key_implILNS1_25lookback_scan_determinismE0ELb1ES3_N6thrust23THRUST_200600_302600_NS6detail15normal_iteratorINSB_10device_ptrIjEEEENSD_INSE_IS6_EEEESI_S6_NSB_4plusIvEENSB_8equal_toIvEES6_EE10hipError_tPvRmT2_T3_T4_T5_mT6_T7_P12ihipStream_tbENKUlT_T0_E_clISt17integral_constantIbLb1EES12_IbLb0EEEEDaSY_SZ_EUlSY_E_NS1_11comp_targetILNS1_3genE3ELNS1_11target_archE908ELNS1_3gpuE7ELNS1_3repE0EEENS1_30default_config_static_selectorELNS0_4arch9wavefront6targetE0EEEvT1_.uses_vcc, 0
	.set _ZN7rocprim17ROCPRIM_400000_NS6detail17trampoline_kernelINS0_14default_configENS1_27scan_by_key_config_selectorIj11FixedVectorIiLj1EEEEZZNS1_16scan_by_key_implILNS1_25lookback_scan_determinismE0ELb1ES3_N6thrust23THRUST_200600_302600_NS6detail15normal_iteratorINSB_10device_ptrIjEEEENSD_INSE_IS6_EEEESI_S6_NSB_4plusIvEENSB_8equal_toIvEES6_EE10hipError_tPvRmT2_T3_T4_T5_mT6_T7_P12ihipStream_tbENKUlT_T0_E_clISt17integral_constantIbLb1EES12_IbLb0EEEEDaSY_SZ_EUlSY_E_NS1_11comp_targetILNS1_3genE3ELNS1_11target_archE908ELNS1_3gpuE7ELNS1_3repE0EEENS1_30default_config_static_selectorELNS0_4arch9wavefront6targetE0EEEvT1_.uses_flat_scratch, 0
	.set _ZN7rocprim17ROCPRIM_400000_NS6detail17trampoline_kernelINS0_14default_configENS1_27scan_by_key_config_selectorIj11FixedVectorIiLj1EEEEZZNS1_16scan_by_key_implILNS1_25lookback_scan_determinismE0ELb1ES3_N6thrust23THRUST_200600_302600_NS6detail15normal_iteratorINSB_10device_ptrIjEEEENSD_INSE_IS6_EEEESI_S6_NSB_4plusIvEENSB_8equal_toIvEES6_EE10hipError_tPvRmT2_T3_T4_T5_mT6_T7_P12ihipStream_tbENKUlT_T0_E_clISt17integral_constantIbLb1EES12_IbLb0EEEEDaSY_SZ_EUlSY_E_NS1_11comp_targetILNS1_3genE3ELNS1_11target_archE908ELNS1_3gpuE7ELNS1_3repE0EEENS1_30default_config_static_selectorELNS0_4arch9wavefront6targetE0EEEvT1_.has_dyn_sized_stack, 0
	.set _ZN7rocprim17ROCPRIM_400000_NS6detail17trampoline_kernelINS0_14default_configENS1_27scan_by_key_config_selectorIj11FixedVectorIiLj1EEEEZZNS1_16scan_by_key_implILNS1_25lookback_scan_determinismE0ELb1ES3_N6thrust23THRUST_200600_302600_NS6detail15normal_iteratorINSB_10device_ptrIjEEEENSD_INSE_IS6_EEEESI_S6_NSB_4plusIvEENSB_8equal_toIvEES6_EE10hipError_tPvRmT2_T3_T4_T5_mT6_T7_P12ihipStream_tbENKUlT_T0_E_clISt17integral_constantIbLb1EES12_IbLb0EEEEDaSY_SZ_EUlSY_E_NS1_11comp_targetILNS1_3genE3ELNS1_11target_archE908ELNS1_3gpuE7ELNS1_3repE0EEENS1_30default_config_static_selectorELNS0_4arch9wavefront6targetE0EEEvT1_.has_recursion, 0
	.set _ZN7rocprim17ROCPRIM_400000_NS6detail17trampoline_kernelINS0_14default_configENS1_27scan_by_key_config_selectorIj11FixedVectorIiLj1EEEEZZNS1_16scan_by_key_implILNS1_25lookback_scan_determinismE0ELb1ES3_N6thrust23THRUST_200600_302600_NS6detail15normal_iteratorINSB_10device_ptrIjEEEENSD_INSE_IS6_EEEESI_S6_NSB_4plusIvEENSB_8equal_toIvEES6_EE10hipError_tPvRmT2_T3_T4_T5_mT6_T7_P12ihipStream_tbENKUlT_T0_E_clISt17integral_constantIbLb1EES12_IbLb0EEEEDaSY_SZ_EUlSY_E_NS1_11comp_targetILNS1_3genE3ELNS1_11target_archE908ELNS1_3gpuE7ELNS1_3repE0EEENS1_30default_config_static_selectorELNS0_4arch9wavefront6targetE0EEEvT1_.has_indirect_call, 0
	.section	.AMDGPU.csdata,"",@progbits
; Kernel info:
; codeLenInByte = 0
; TotalNumSgprs: 0
; NumVgprs: 0
; ScratchSize: 0
; MemoryBound: 0
; FloatMode: 240
; IeeeMode: 1
; LDSByteSize: 0 bytes/workgroup (compile time only)
; SGPRBlocks: 0
; VGPRBlocks: 0
; NumSGPRsForWavesPerEU: 1
; NumVGPRsForWavesPerEU: 1
; Occupancy: 16
; WaveLimiterHint : 0
; COMPUTE_PGM_RSRC2:SCRATCH_EN: 0
; COMPUTE_PGM_RSRC2:USER_SGPR: 6
; COMPUTE_PGM_RSRC2:TRAP_HANDLER: 0
; COMPUTE_PGM_RSRC2:TGID_X_EN: 1
; COMPUTE_PGM_RSRC2:TGID_Y_EN: 0
; COMPUTE_PGM_RSRC2:TGID_Z_EN: 0
; COMPUTE_PGM_RSRC2:TIDIG_COMP_CNT: 0
	.section	.text._ZN7rocprim17ROCPRIM_400000_NS6detail17trampoline_kernelINS0_14default_configENS1_27scan_by_key_config_selectorIj11FixedVectorIiLj1EEEEZZNS1_16scan_by_key_implILNS1_25lookback_scan_determinismE0ELb1ES3_N6thrust23THRUST_200600_302600_NS6detail15normal_iteratorINSB_10device_ptrIjEEEENSD_INSE_IS6_EEEESI_S6_NSB_4plusIvEENSB_8equal_toIvEES6_EE10hipError_tPvRmT2_T3_T4_T5_mT6_T7_P12ihipStream_tbENKUlT_T0_E_clISt17integral_constantIbLb1EES12_IbLb0EEEEDaSY_SZ_EUlSY_E_NS1_11comp_targetILNS1_3genE2ELNS1_11target_archE906ELNS1_3gpuE6ELNS1_3repE0EEENS1_30default_config_static_selectorELNS0_4arch9wavefront6targetE0EEEvT1_,"axG",@progbits,_ZN7rocprim17ROCPRIM_400000_NS6detail17trampoline_kernelINS0_14default_configENS1_27scan_by_key_config_selectorIj11FixedVectorIiLj1EEEEZZNS1_16scan_by_key_implILNS1_25lookback_scan_determinismE0ELb1ES3_N6thrust23THRUST_200600_302600_NS6detail15normal_iteratorINSB_10device_ptrIjEEEENSD_INSE_IS6_EEEESI_S6_NSB_4plusIvEENSB_8equal_toIvEES6_EE10hipError_tPvRmT2_T3_T4_T5_mT6_T7_P12ihipStream_tbENKUlT_T0_E_clISt17integral_constantIbLb1EES12_IbLb0EEEEDaSY_SZ_EUlSY_E_NS1_11comp_targetILNS1_3genE2ELNS1_11target_archE906ELNS1_3gpuE6ELNS1_3repE0EEENS1_30default_config_static_selectorELNS0_4arch9wavefront6targetE0EEEvT1_,comdat
	.protected	_ZN7rocprim17ROCPRIM_400000_NS6detail17trampoline_kernelINS0_14default_configENS1_27scan_by_key_config_selectorIj11FixedVectorIiLj1EEEEZZNS1_16scan_by_key_implILNS1_25lookback_scan_determinismE0ELb1ES3_N6thrust23THRUST_200600_302600_NS6detail15normal_iteratorINSB_10device_ptrIjEEEENSD_INSE_IS6_EEEESI_S6_NSB_4plusIvEENSB_8equal_toIvEES6_EE10hipError_tPvRmT2_T3_T4_T5_mT6_T7_P12ihipStream_tbENKUlT_T0_E_clISt17integral_constantIbLb1EES12_IbLb0EEEEDaSY_SZ_EUlSY_E_NS1_11comp_targetILNS1_3genE2ELNS1_11target_archE906ELNS1_3gpuE6ELNS1_3repE0EEENS1_30default_config_static_selectorELNS0_4arch9wavefront6targetE0EEEvT1_ ; -- Begin function _ZN7rocprim17ROCPRIM_400000_NS6detail17trampoline_kernelINS0_14default_configENS1_27scan_by_key_config_selectorIj11FixedVectorIiLj1EEEEZZNS1_16scan_by_key_implILNS1_25lookback_scan_determinismE0ELb1ES3_N6thrust23THRUST_200600_302600_NS6detail15normal_iteratorINSB_10device_ptrIjEEEENSD_INSE_IS6_EEEESI_S6_NSB_4plusIvEENSB_8equal_toIvEES6_EE10hipError_tPvRmT2_T3_T4_T5_mT6_T7_P12ihipStream_tbENKUlT_T0_E_clISt17integral_constantIbLb1EES12_IbLb0EEEEDaSY_SZ_EUlSY_E_NS1_11comp_targetILNS1_3genE2ELNS1_11target_archE906ELNS1_3gpuE6ELNS1_3repE0EEENS1_30default_config_static_selectorELNS0_4arch9wavefront6targetE0EEEvT1_
	.globl	_ZN7rocprim17ROCPRIM_400000_NS6detail17trampoline_kernelINS0_14default_configENS1_27scan_by_key_config_selectorIj11FixedVectorIiLj1EEEEZZNS1_16scan_by_key_implILNS1_25lookback_scan_determinismE0ELb1ES3_N6thrust23THRUST_200600_302600_NS6detail15normal_iteratorINSB_10device_ptrIjEEEENSD_INSE_IS6_EEEESI_S6_NSB_4plusIvEENSB_8equal_toIvEES6_EE10hipError_tPvRmT2_T3_T4_T5_mT6_T7_P12ihipStream_tbENKUlT_T0_E_clISt17integral_constantIbLb1EES12_IbLb0EEEEDaSY_SZ_EUlSY_E_NS1_11comp_targetILNS1_3genE2ELNS1_11target_archE906ELNS1_3gpuE6ELNS1_3repE0EEENS1_30default_config_static_selectorELNS0_4arch9wavefront6targetE0EEEvT1_
	.p2align	8
	.type	_ZN7rocprim17ROCPRIM_400000_NS6detail17trampoline_kernelINS0_14default_configENS1_27scan_by_key_config_selectorIj11FixedVectorIiLj1EEEEZZNS1_16scan_by_key_implILNS1_25lookback_scan_determinismE0ELb1ES3_N6thrust23THRUST_200600_302600_NS6detail15normal_iteratorINSB_10device_ptrIjEEEENSD_INSE_IS6_EEEESI_S6_NSB_4plusIvEENSB_8equal_toIvEES6_EE10hipError_tPvRmT2_T3_T4_T5_mT6_T7_P12ihipStream_tbENKUlT_T0_E_clISt17integral_constantIbLb1EES12_IbLb0EEEEDaSY_SZ_EUlSY_E_NS1_11comp_targetILNS1_3genE2ELNS1_11target_archE906ELNS1_3gpuE6ELNS1_3repE0EEENS1_30default_config_static_selectorELNS0_4arch9wavefront6targetE0EEEvT1_,@function
_ZN7rocprim17ROCPRIM_400000_NS6detail17trampoline_kernelINS0_14default_configENS1_27scan_by_key_config_selectorIj11FixedVectorIiLj1EEEEZZNS1_16scan_by_key_implILNS1_25lookback_scan_determinismE0ELb1ES3_N6thrust23THRUST_200600_302600_NS6detail15normal_iteratorINSB_10device_ptrIjEEEENSD_INSE_IS6_EEEESI_S6_NSB_4plusIvEENSB_8equal_toIvEES6_EE10hipError_tPvRmT2_T3_T4_T5_mT6_T7_P12ihipStream_tbENKUlT_T0_E_clISt17integral_constantIbLb1EES12_IbLb0EEEEDaSY_SZ_EUlSY_E_NS1_11comp_targetILNS1_3genE2ELNS1_11target_archE906ELNS1_3gpuE6ELNS1_3repE0EEENS1_30default_config_static_selectorELNS0_4arch9wavefront6targetE0EEEvT1_: ; @_ZN7rocprim17ROCPRIM_400000_NS6detail17trampoline_kernelINS0_14default_configENS1_27scan_by_key_config_selectorIj11FixedVectorIiLj1EEEEZZNS1_16scan_by_key_implILNS1_25lookback_scan_determinismE0ELb1ES3_N6thrust23THRUST_200600_302600_NS6detail15normal_iteratorINSB_10device_ptrIjEEEENSD_INSE_IS6_EEEESI_S6_NSB_4plusIvEENSB_8equal_toIvEES6_EE10hipError_tPvRmT2_T3_T4_T5_mT6_T7_P12ihipStream_tbENKUlT_T0_E_clISt17integral_constantIbLb1EES12_IbLb0EEEEDaSY_SZ_EUlSY_E_NS1_11comp_targetILNS1_3genE2ELNS1_11target_archE906ELNS1_3gpuE6ELNS1_3repE0EEENS1_30default_config_static_selectorELNS0_4arch9wavefront6targetE0EEEvT1_
; %bb.0:
	.section	.rodata,"a",@progbits
	.p2align	6, 0x0
	.amdhsa_kernel _ZN7rocprim17ROCPRIM_400000_NS6detail17trampoline_kernelINS0_14default_configENS1_27scan_by_key_config_selectorIj11FixedVectorIiLj1EEEEZZNS1_16scan_by_key_implILNS1_25lookback_scan_determinismE0ELb1ES3_N6thrust23THRUST_200600_302600_NS6detail15normal_iteratorINSB_10device_ptrIjEEEENSD_INSE_IS6_EEEESI_S6_NSB_4plusIvEENSB_8equal_toIvEES6_EE10hipError_tPvRmT2_T3_T4_T5_mT6_T7_P12ihipStream_tbENKUlT_T0_E_clISt17integral_constantIbLb1EES12_IbLb0EEEEDaSY_SZ_EUlSY_E_NS1_11comp_targetILNS1_3genE2ELNS1_11target_archE906ELNS1_3gpuE6ELNS1_3repE0EEENS1_30default_config_static_selectorELNS0_4arch9wavefront6targetE0EEEvT1_
		.amdhsa_group_segment_fixed_size 0
		.amdhsa_private_segment_fixed_size 0
		.amdhsa_kernarg_size 112
		.amdhsa_user_sgpr_count 6
		.amdhsa_user_sgpr_private_segment_buffer 1
		.amdhsa_user_sgpr_dispatch_ptr 0
		.amdhsa_user_sgpr_queue_ptr 0
		.amdhsa_user_sgpr_kernarg_segment_ptr 1
		.amdhsa_user_sgpr_dispatch_id 0
		.amdhsa_user_sgpr_flat_scratch_init 0
		.amdhsa_user_sgpr_private_segment_size 0
		.amdhsa_wavefront_size32 1
		.amdhsa_uses_dynamic_stack 0
		.amdhsa_system_sgpr_private_segment_wavefront_offset 0
		.amdhsa_system_sgpr_workgroup_id_x 1
		.amdhsa_system_sgpr_workgroup_id_y 0
		.amdhsa_system_sgpr_workgroup_id_z 0
		.amdhsa_system_sgpr_workgroup_info 0
		.amdhsa_system_vgpr_workitem_id 0
		.amdhsa_next_free_vgpr 1
		.amdhsa_next_free_sgpr 1
		.amdhsa_reserve_vcc 0
		.amdhsa_reserve_flat_scratch 0
		.amdhsa_float_round_mode_32 0
		.amdhsa_float_round_mode_16_64 0
		.amdhsa_float_denorm_mode_32 3
		.amdhsa_float_denorm_mode_16_64 3
		.amdhsa_dx10_clamp 1
		.amdhsa_ieee_mode 1
		.amdhsa_fp16_overflow 0
		.amdhsa_workgroup_processor_mode 1
		.amdhsa_memory_ordered 1
		.amdhsa_forward_progress 1
		.amdhsa_shared_vgpr_count 0
		.amdhsa_exception_fp_ieee_invalid_op 0
		.amdhsa_exception_fp_denorm_src 0
		.amdhsa_exception_fp_ieee_div_zero 0
		.amdhsa_exception_fp_ieee_overflow 0
		.amdhsa_exception_fp_ieee_underflow 0
		.amdhsa_exception_fp_ieee_inexact 0
		.amdhsa_exception_int_div_zero 0
	.end_amdhsa_kernel
	.section	.text._ZN7rocprim17ROCPRIM_400000_NS6detail17trampoline_kernelINS0_14default_configENS1_27scan_by_key_config_selectorIj11FixedVectorIiLj1EEEEZZNS1_16scan_by_key_implILNS1_25lookback_scan_determinismE0ELb1ES3_N6thrust23THRUST_200600_302600_NS6detail15normal_iteratorINSB_10device_ptrIjEEEENSD_INSE_IS6_EEEESI_S6_NSB_4plusIvEENSB_8equal_toIvEES6_EE10hipError_tPvRmT2_T3_T4_T5_mT6_T7_P12ihipStream_tbENKUlT_T0_E_clISt17integral_constantIbLb1EES12_IbLb0EEEEDaSY_SZ_EUlSY_E_NS1_11comp_targetILNS1_3genE2ELNS1_11target_archE906ELNS1_3gpuE6ELNS1_3repE0EEENS1_30default_config_static_selectorELNS0_4arch9wavefront6targetE0EEEvT1_,"axG",@progbits,_ZN7rocprim17ROCPRIM_400000_NS6detail17trampoline_kernelINS0_14default_configENS1_27scan_by_key_config_selectorIj11FixedVectorIiLj1EEEEZZNS1_16scan_by_key_implILNS1_25lookback_scan_determinismE0ELb1ES3_N6thrust23THRUST_200600_302600_NS6detail15normal_iteratorINSB_10device_ptrIjEEEENSD_INSE_IS6_EEEESI_S6_NSB_4plusIvEENSB_8equal_toIvEES6_EE10hipError_tPvRmT2_T3_T4_T5_mT6_T7_P12ihipStream_tbENKUlT_T0_E_clISt17integral_constantIbLb1EES12_IbLb0EEEEDaSY_SZ_EUlSY_E_NS1_11comp_targetILNS1_3genE2ELNS1_11target_archE906ELNS1_3gpuE6ELNS1_3repE0EEENS1_30default_config_static_selectorELNS0_4arch9wavefront6targetE0EEEvT1_,comdat
.Lfunc_end1934:
	.size	_ZN7rocprim17ROCPRIM_400000_NS6detail17trampoline_kernelINS0_14default_configENS1_27scan_by_key_config_selectorIj11FixedVectorIiLj1EEEEZZNS1_16scan_by_key_implILNS1_25lookback_scan_determinismE0ELb1ES3_N6thrust23THRUST_200600_302600_NS6detail15normal_iteratorINSB_10device_ptrIjEEEENSD_INSE_IS6_EEEESI_S6_NSB_4plusIvEENSB_8equal_toIvEES6_EE10hipError_tPvRmT2_T3_T4_T5_mT6_T7_P12ihipStream_tbENKUlT_T0_E_clISt17integral_constantIbLb1EES12_IbLb0EEEEDaSY_SZ_EUlSY_E_NS1_11comp_targetILNS1_3genE2ELNS1_11target_archE906ELNS1_3gpuE6ELNS1_3repE0EEENS1_30default_config_static_selectorELNS0_4arch9wavefront6targetE0EEEvT1_, .Lfunc_end1934-_ZN7rocprim17ROCPRIM_400000_NS6detail17trampoline_kernelINS0_14default_configENS1_27scan_by_key_config_selectorIj11FixedVectorIiLj1EEEEZZNS1_16scan_by_key_implILNS1_25lookback_scan_determinismE0ELb1ES3_N6thrust23THRUST_200600_302600_NS6detail15normal_iteratorINSB_10device_ptrIjEEEENSD_INSE_IS6_EEEESI_S6_NSB_4plusIvEENSB_8equal_toIvEES6_EE10hipError_tPvRmT2_T3_T4_T5_mT6_T7_P12ihipStream_tbENKUlT_T0_E_clISt17integral_constantIbLb1EES12_IbLb0EEEEDaSY_SZ_EUlSY_E_NS1_11comp_targetILNS1_3genE2ELNS1_11target_archE906ELNS1_3gpuE6ELNS1_3repE0EEENS1_30default_config_static_selectorELNS0_4arch9wavefront6targetE0EEEvT1_
                                        ; -- End function
	.set _ZN7rocprim17ROCPRIM_400000_NS6detail17trampoline_kernelINS0_14default_configENS1_27scan_by_key_config_selectorIj11FixedVectorIiLj1EEEEZZNS1_16scan_by_key_implILNS1_25lookback_scan_determinismE0ELb1ES3_N6thrust23THRUST_200600_302600_NS6detail15normal_iteratorINSB_10device_ptrIjEEEENSD_INSE_IS6_EEEESI_S6_NSB_4plusIvEENSB_8equal_toIvEES6_EE10hipError_tPvRmT2_T3_T4_T5_mT6_T7_P12ihipStream_tbENKUlT_T0_E_clISt17integral_constantIbLb1EES12_IbLb0EEEEDaSY_SZ_EUlSY_E_NS1_11comp_targetILNS1_3genE2ELNS1_11target_archE906ELNS1_3gpuE6ELNS1_3repE0EEENS1_30default_config_static_selectorELNS0_4arch9wavefront6targetE0EEEvT1_.num_vgpr, 0
	.set _ZN7rocprim17ROCPRIM_400000_NS6detail17trampoline_kernelINS0_14default_configENS1_27scan_by_key_config_selectorIj11FixedVectorIiLj1EEEEZZNS1_16scan_by_key_implILNS1_25lookback_scan_determinismE0ELb1ES3_N6thrust23THRUST_200600_302600_NS6detail15normal_iteratorINSB_10device_ptrIjEEEENSD_INSE_IS6_EEEESI_S6_NSB_4plusIvEENSB_8equal_toIvEES6_EE10hipError_tPvRmT2_T3_T4_T5_mT6_T7_P12ihipStream_tbENKUlT_T0_E_clISt17integral_constantIbLb1EES12_IbLb0EEEEDaSY_SZ_EUlSY_E_NS1_11comp_targetILNS1_3genE2ELNS1_11target_archE906ELNS1_3gpuE6ELNS1_3repE0EEENS1_30default_config_static_selectorELNS0_4arch9wavefront6targetE0EEEvT1_.num_agpr, 0
	.set _ZN7rocprim17ROCPRIM_400000_NS6detail17trampoline_kernelINS0_14default_configENS1_27scan_by_key_config_selectorIj11FixedVectorIiLj1EEEEZZNS1_16scan_by_key_implILNS1_25lookback_scan_determinismE0ELb1ES3_N6thrust23THRUST_200600_302600_NS6detail15normal_iteratorINSB_10device_ptrIjEEEENSD_INSE_IS6_EEEESI_S6_NSB_4plusIvEENSB_8equal_toIvEES6_EE10hipError_tPvRmT2_T3_T4_T5_mT6_T7_P12ihipStream_tbENKUlT_T0_E_clISt17integral_constantIbLb1EES12_IbLb0EEEEDaSY_SZ_EUlSY_E_NS1_11comp_targetILNS1_3genE2ELNS1_11target_archE906ELNS1_3gpuE6ELNS1_3repE0EEENS1_30default_config_static_selectorELNS0_4arch9wavefront6targetE0EEEvT1_.numbered_sgpr, 0
	.set _ZN7rocprim17ROCPRIM_400000_NS6detail17trampoline_kernelINS0_14default_configENS1_27scan_by_key_config_selectorIj11FixedVectorIiLj1EEEEZZNS1_16scan_by_key_implILNS1_25lookback_scan_determinismE0ELb1ES3_N6thrust23THRUST_200600_302600_NS6detail15normal_iteratorINSB_10device_ptrIjEEEENSD_INSE_IS6_EEEESI_S6_NSB_4plusIvEENSB_8equal_toIvEES6_EE10hipError_tPvRmT2_T3_T4_T5_mT6_T7_P12ihipStream_tbENKUlT_T0_E_clISt17integral_constantIbLb1EES12_IbLb0EEEEDaSY_SZ_EUlSY_E_NS1_11comp_targetILNS1_3genE2ELNS1_11target_archE906ELNS1_3gpuE6ELNS1_3repE0EEENS1_30default_config_static_selectorELNS0_4arch9wavefront6targetE0EEEvT1_.num_named_barrier, 0
	.set _ZN7rocprim17ROCPRIM_400000_NS6detail17trampoline_kernelINS0_14default_configENS1_27scan_by_key_config_selectorIj11FixedVectorIiLj1EEEEZZNS1_16scan_by_key_implILNS1_25lookback_scan_determinismE0ELb1ES3_N6thrust23THRUST_200600_302600_NS6detail15normal_iteratorINSB_10device_ptrIjEEEENSD_INSE_IS6_EEEESI_S6_NSB_4plusIvEENSB_8equal_toIvEES6_EE10hipError_tPvRmT2_T3_T4_T5_mT6_T7_P12ihipStream_tbENKUlT_T0_E_clISt17integral_constantIbLb1EES12_IbLb0EEEEDaSY_SZ_EUlSY_E_NS1_11comp_targetILNS1_3genE2ELNS1_11target_archE906ELNS1_3gpuE6ELNS1_3repE0EEENS1_30default_config_static_selectorELNS0_4arch9wavefront6targetE0EEEvT1_.private_seg_size, 0
	.set _ZN7rocprim17ROCPRIM_400000_NS6detail17trampoline_kernelINS0_14default_configENS1_27scan_by_key_config_selectorIj11FixedVectorIiLj1EEEEZZNS1_16scan_by_key_implILNS1_25lookback_scan_determinismE0ELb1ES3_N6thrust23THRUST_200600_302600_NS6detail15normal_iteratorINSB_10device_ptrIjEEEENSD_INSE_IS6_EEEESI_S6_NSB_4plusIvEENSB_8equal_toIvEES6_EE10hipError_tPvRmT2_T3_T4_T5_mT6_T7_P12ihipStream_tbENKUlT_T0_E_clISt17integral_constantIbLb1EES12_IbLb0EEEEDaSY_SZ_EUlSY_E_NS1_11comp_targetILNS1_3genE2ELNS1_11target_archE906ELNS1_3gpuE6ELNS1_3repE0EEENS1_30default_config_static_selectorELNS0_4arch9wavefront6targetE0EEEvT1_.uses_vcc, 0
	.set _ZN7rocprim17ROCPRIM_400000_NS6detail17trampoline_kernelINS0_14default_configENS1_27scan_by_key_config_selectorIj11FixedVectorIiLj1EEEEZZNS1_16scan_by_key_implILNS1_25lookback_scan_determinismE0ELb1ES3_N6thrust23THRUST_200600_302600_NS6detail15normal_iteratorINSB_10device_ptrIjEEEENSD_INSE_IS6_EEEESI_S6_NSB_4plusIvEENSB_8equal_toIvEES6_EE10hipError_tPvRmT2_T3_T4_T5_mT6_T7_P12ihipStream_tbENKUlT_T0_E_clISt17integral_constantIbLb1EES12_IbLb0EEEEDaSY_SZ_EUlSY_E_NS1_11comp_targetILNS1_3genE2ELNS1_11target_archE906ELNS1_3gpuE6ELNS1_3repE0EEENS1_30default_config_static_selectorELNS0_4arch9wavefront6targetE0EEEvT1_.uses_flat_scratch, 0
	.set _ZN7rocprim17ROCPRIM_400000_NS6detail17trampoline_kernelINS0_14default_configENS1_27scan_by_key_config_selectorIj11FixedVectorIiLj1EEEEZZNS1_16scan_by_key_implILNS1_25lookback_scan_determinismE0ELb1ES3_N6thrust23THRUST_200600_302600_NS6detail15normal_iteratorINSB_10device_ptrIjEEEENSD_INSE_IS6_EEEESI_S6_NSB_4plusIvEENSB_8equal_toIvEES6_EE10hipError_tPvRmT2_T3_T4_T5_mT6_T7_P12ihipStream_tbENKUlT_T0_E_clISt17integral_constantIbLb1EES12_IbLb0EEEEDaSY_SZ_EUlSY_E_NS1_11comp_targetILNS1_3genE2ELNS1_11target_archE906ELNS1_3gpuE6ELNS1_3repE0EEENS1_30default_config_static_selectorELNS0_4arch9wavefront6targetE0EEEvT1_.has_dyn_sized_stack, 0
	.set _ZN7rocprim17ROCPRIM_400000_NS6detail17trampoline_kernelINS0_14default_configENS1_27scan_by_key_config_selectorIj11FixedVectorIiLj1EEEEZZNS1_16scan_by_key_implILNS1_25lookback_scan_determinismE0ELb1ES3_N6thrust23THRUST_200600_302600_NS6detail15normal_iteratorINSB_10device_ptrIjEEEENSD_INSE_IS6_EEEESI_S6_NSB_4plusIvEENSB_8equal_toIvEES6_EE10hipError_tPvRmT2_T3_T4_T5_mT6_T7_P12ihipStream_tbENKUlT_T0_E_clISt17integral_constantIbLb1EES12_IbLb0EEEEDaSY_SZ_EUlSY_E_NS1_11comp_targetILNS1_3genE2ELNS1_11target_archE906ELNS1_3gpuE6ELNS1_3repE0EEENS1_30default_config_static_selectorELNS0_4arch9wavefront6targetE0EEEvT1_.has_recursion, 0
	.set _ZN7rocprim17ROCPRIM_400000_NS6detail17trampoline_kernelINS0_14default_configENS1_27scan_by_key_config_selectorIj11FixedVectorIiLj1EEEEZZNS1_16scan_by_key_implILNS1_25lookback_scan_determinismE0ELb1ES3_N6thrust23THRUST_200600_302600_NS6detail15normal_iteratorINSB_10device_ptrIjEEEENSD_INSE_IS6_EEEESI_S6_NSB_4plusIvEENSB_8equal_toIvEES6_EE10hipError_tPvRmT2_T3_T4_T5_mT6_T7_P12ihipStream_tbENKUlT_T0_E_clISt17integral_constantIbLb1EES12_IbLb0EEEEDaSY_SZ_EUlSY_E_NS1_11comp_targetILNS1_3genE2ELNS1_11target_archE906ELNS1_3gpuE6ELNS1_3repE0EEENS1_30default_config_static_selectorELNS0_4arch9wavefront6targetE0EEEvT1_.has_indirect_call, 0
	.section	.AMDGPU.csdata,"",@progbits
; Kernel info:
; codeLenInByte = 0
; TotalNumSgprs: 0
; NumVgprs: 0
; ScratchSize: 0
; MemoryBound: 0
; FloatMode: 240
; IeeeMode: 1
; LDSByteSize: 0 bytes/workgroup (compile time only)
; SGPRBlocks: 0
; VGPRBlocks: 0
; NumSGPRsForWavesPerEU: 1
; NumVGPRsForWavesPerEU: 1
; Occupancy: 16
; WaveLimiterHint : 0
; COMPUTE_PGM_RSRC2:SCRATCH_EN: 0
; COMPUTE_PGM_RSRC2:USER_SGPR: 6
; COMPUTE_PGM_RSRC2:TRAP_HANDLER: 0
; COMPUTE_PGM_RSRC2:TGID_X_EN: 1
; COMPUTE_PGM_RSRC2:TGID_Y_EN: 0
; COMPUTE_PGM_RSRC2:TGID_Z_EN: 0
; COMPUTE_PGM_RSRC2:TIDIG_COMP_CNT: 0
	.section	.text._ZN7rocprim17ROCPRIM_400000_NS6detail17trampoline_kernelINS0_14default_configENS1_27scan_by_key_config_selectorIj11FixedVectorIiLj1EEEEZZNS1_16scan_by_key_implILNS1_25lookback_scan_determinismE0ELb1ES3_N6thrust23THRUST_200600_302600_NS6detail15normal_iteratorINSB_10device_ptrIjEEEENSD_INSE_IS6_EEEESI_S6_NSB_4plusIvEENSB_8equal_toIvEES6_EE10hipError_tPvRmT2_T3_T4_T5_mT6_T7_P12ihipStream_tbENKUlT_T0_E_clISt17integral_constantIbLb1EES12_IbLb0EEEEDaSY_SZ_EUlSY_E_NS1_11comp_targetILNS1_3genE10ELNS1_11target_archE1200ELNS1_3gpuE4ELNS1_3repE0EEENS1_30default_config_static_selectorELNS0_4arch9wavefront6targetE0EEEvT1_,"axG",@progbits,_ZN7rocprim17ROCPRIM_400000_NS6detail17trampoline_kernelINS0_14default_configENS1_27scan_by_key_config_selectorIj11FixedVectorIiLj1EEEEZZNS1_16scan_by_key_implILNS1_25lookback_scan_determinismE0ELb1ES3_N6thrust23THRUST_200600_302600_NS6detail15normal_iteratorINSB_10device_ptrIjEEEENSD_INSE_IS6_EEEESI_S6_NSB_4plusIvEENSB_8equal_toIvEES6_EE10hipError_tPvRmT2_T3_T4_T5_mT6_T7_P12ihipStream_tbENKUlT_T0_E_clISt17integral_constantIbLb1EES12_IbLb0EEEEDaSY_SZ_EUlSY_E_NS1_11comp_targetILNS1_3genE10ELNS1_11target_archE1200ELNS1_3gpuE4ELNS1_3repE0EEENS1_30default_config_static_selectorELNS0_4arch9wavefront6targetE0EEEvT1_,comdat
	.protected	_ZN7rocprim17ROCPRIM_400000_NS6detail17trampoline_kernelINS0_14default_configENS1_27scan_by_key_config_selectorIj11FixedVectorIiLj1EEEEZZNS1_16scan_by_key_implILNS1_25lookback_scan_determinismE0ELb1ES3_N6thrust23THRUST_200600_302600_NS6detail15normal_iteratorINSB_10device_ptrIjEEEENSD_INSE_IS6_EEEESI_S6_NSB_4plusIvEENSB_8equal_toIvEES6_EE10hipError_tPvRmT2_T3_T4_T5_mT6_T7_P12ihipStream_tbENKUlT_T0_E_clISt17integral_constantIbLb1EES12_IbLb0EEEEDaSY_SZ_EUlSY_E_NS1_11comp_targetILNS1_3genE10ELNS1_11target_archE1200ELNS1_3gpuE4ELNS1_3repE0EEENS1_30default_config_static_selectorELNS0_4arch9wavefront6targetE0EEEvT1_ ; -- Begin function _ZN7rocprim17ROCPRIM_400000_NS6detail17trampoline_kernelINS0_14default_configENS1_27scan_by_key_config_selectorIj11FixedVectorIiLj1EEEEZZNS1_16scan_by_key_implILNS1_25lookback_scan_determinismE0ELb1ES3_N6thrust23THRUST_200600_302600_NS6detail15normal_iteratorINSB_10device_ptrIjEEEENSD_INSE_IS6_EEEESI_S6_NSB_4plusIvEENSB_8equal_toIvEES6_EE10hipError_tPvRmT2_T3_T4_T5_mT6_T7_P12ihipStream_tbENKUlT_T0_E_clISt17integral_constantIbLb1EES12_IbLb0EEEEDaSY_SZ_EUlSY_E_NS1_11comp_targetILNS1_3genE10ELNS1_11target_archE1200ELNS1_3gpuE4ELNS1_3repE0EEENS1_30default_config_static_selectorELNS0_4arch9wavefront6targetE0EEEvT1_
	.globl	_ZN7rocprim17ROCPRIM_400000_NS6detail17trampoline_kernelINS0_14default_configENS1_27scan_by_key_config_selectorIj11FixedVectorIiLj1EEEEZZNS1_16scan_by_key_implILNS1_25lookback_scan_determinismE0ELb1ES3_N6thrust23THRUST_200600_302600_NS6detail15normal_iteratorINSB_10device_ptrIjEEEENSD_INSE_IS6_EEEESI_S6_NSB_4plusIvEENSB_8equal_toIvEES6_EE10hipError_tPvRmT2_T3_T4_T5_mT6_T7_P12ihipStream_tbENKUlT_T0_E_clISt17integral_constantIbLb1EES12_IbLb0EEEEDaSY_SZ_EUlSY_E_NS1_11comp_targetILNS1_3genE10ELNS1_11target_archE1200ELNS1_3gpuE4ELNS1_3repE0EEENS1_30default_config_static_selectorELNS0_4arch9wavefront6targetE0EEEvT1_
	.p2align	8
	.type	_ZN7rocprim17ROCPRIM_400000_NS6detail17trampoline_kernelINS0_14default_configENS1_27scan_by_key_config_selectorIj11FixedVectorIiLj1EEEEZZNS1_16scan_by_key_implILNS1_25lookback_scan_determinismE0ELb1ES3_N6thrust23THRUST_200600_302600_NS6detail15normal_iteratorINSB_10device_ptrIjEEEENSD_INSE_IS6_EEEESI_S6_NSB_4plusIvEENSB_8equal_toIvEES6_EE10hipError_tPvRmT2_T3_T4_T5_mT6_T7_P12ihipStream_tbENKUlT_T0_E_clISt17integral_constantIbLb1EES12_IbLb0EEEEDaSY_SZ_EUlSY_E_NS1_11comp_targetILNS1_3genE10ELNS1_11target_archE1200ELNS1_3gpuE4ELNS1_3repE0EEENS1_30default_config_static_selectorELNS0_4arch9wavefront6targetE0EEEvT1_,@function
_ZN7rocprim17ROCPRIM_400000_NS6detail17trampoline_kernelINS0_14default_configENS1_27scan_by_key_config_selectorIj11FixedVectorIiLj1EEEEZZNS1_16scan_by_key_implILNS1_25lookback_scan_determinismE0ELb1ES3_N6thrust23THRUST_200600_302600_NS6detail15normal_iteratorINSB_10device_ptrIjEEEENSD_INSE_IS6_EEEESI_S6_NSB_4plusIvEENSB_8equal_toIvEES6_EE10hipError_tPvRmT2_T3_T4_T5_mT6_T7_P12ihipStream_tbENKUlT_T0_E_clISt17integral_constantIbLb1EES12_IbLb0EEEEDaSY_SZ_EUlSY_E_NS1_11comp_targetILNS1_3genE10ELNS1_11target_archE1200ELNS1_3gpuE4ELNS1_3repE0EEENS1_30default_config_static_selectorELNS0_4arch9wavefront6targetE0EEEvT1_: ; @_ZN7rocprim17ROCPRIM_400000_NS6detail17trampoline_kernelINS0_14default_configENS1_27scan_by_key_config_selectorIj11FixedVectorIiLj1EEEEZZNS1_16scan_by_key_implILNS1_25lookback_scan_determinismE0ELb1ES3_N6thrust23THRUST_200600_302600_NS6detail15normal_iteratorINSB_10device_ptrIjEEEENSD_INSE_IS6_EEEESI_S6_NSB_4plusIvEENSB_8equal_toIvEES6_EE10hipError_tPvRmT2_T3_T4_T5_mT6_T7_P12ihipStream_tbENKUlT_T0_E_clISt17integral_constantIbLb1EES12_IbLb0EEEEDaSY_SZ_EUlSY_E_NS1_11comp_targetILNS1_3genE10ELNS1_11target_archE1200ELNS1_3gpuE4ELNS1_3repE0EEENS1_30default_config_static_selectorELNS0_4arch9wavefront6targetE0EEEvT1_
; %bb.0:
	.section	.rodata,"a",@progbits
	.p2align	6, 0x0
	.amdhsa_kernel _ZN7rocprim17ROCPRIM_400000_NS6detail17trampoline_kernelINS0_14default_configENS1_27scan_by_key_config_selectorIj11FixedVectorIiLj1EEEEZZNS1_16scan_by_key_implILNS1_25lookback_scan_determinismE0ELb1ES3_N6thrust23THRUST_200600_302600_NS6detail15normal_iteratorINSB_10device_ptrIjEEEENSD_INSE_IS6_EEEESI_S6_NSB_4plusIvEENSB_8equal_toIvEES6_EE10hipError_tPvRmT2_T3_T4_T5_mT6_T7_P12ihipStream_tbENKUlT_T0_E_clISt17integral_constantIbLb1EES12_IbLb0EEEEDaSY_SZ_EUlSY_E_NS1_11comp_targetILNS1_3genE10ELNS1_11target_archE1200ELNS1_3gpuE4ELNS1_3repE0EEENS1_30default_config_static_selectorELNS0_4arch9wavefront6targetE0EEEvT1_
		.amdhsa_group_segment_fixed_size 0
		.amdhsa_private_segment_fixed_size 0
		.amdhsa_kernarg_size 112
		.amdhsa_user_sgpr_count 6
		.amdhsa_user_sgpr_private_segment_buffer 1
		.amdhsa_user_sgpr_dispatch_ptr 0
		.amdhsa_user_sgpr_queue_ptr 0
		.amdhsa_user_sgpr_kernarg_segment_ptr 1
		.amdhsa_user_sgpr_dispatch_id 0
		.amdhsa_user_sgpr_flat_scratch_init 0
		.amdhsa_user_sgpr_private_segment_size 0
		.amdhsa_wavefront_size32 1
		.amdhsa_uses_dynamic_stack 0
		.amdhsa_system_sgpr_private_segment_wavefront_offset 0
		.amdhsa_system_sgpr_workgroup_id_x 1
		.amdhsa_system_sgpr_workgroup_id_y 0
		.amdhsa_system_sgpr_workgroup_id_z 0
		.amdhsa_system_sgpr_workgroup_info 0
		.amdhsa_system_vgpr_workitem_id 0
		.amdhsa_next_free_vgpr 1
		.amdhsa_next_free_sgpr 1
		.amdhsa_reserve_vcc 0
		.amdhsa_reserve_flat_scratch 0
		.amdhsa_float_round_mode_32 0
		.amdhsa_float_round_mode_16_64 0
		.amdhsa_float_denorm_mode_32 3
		.amdhsa_float_denorm_mode_16_64 3
		.amdhsa_dx10_clamp 1
		.amdhsa_ieee_mode 1
		.amdhsa_fp16_overflow 0
		.amdhsa_workgroup_processor_mode 1
		.amdhsa_memory_ordered 1
		.amdhsa_forward_progress 1
		.amdhsa_shared_vgpr_count 0
		.amdhsa_exception_fp_ieee_invalid_op 0
		.amdhsa_exception_fp_denorm_src 0
		.amdhsa_exception_fp_ieee_div_zero 0
		.amdhsa_exception_fp_ieee_overflow 0
		.amdhsa_exception_fp_ieee_underflow 0
		.amdhsa_exception_fp_ieee_inexact 0
		.amdhsa_exception_int_div_zero 0
	.end_amdhsa_kernel
	.section	.text._ZN7rocprim17ROCPRIM_400000_NS6detail17trampoline_kernelINS0_14default_configENS1_27scan_by_key_config_selectorIj11FixedVectorIiLj1EEEEZZNS1_16scan_by_key_implILNS1_25lookback_scan_determinismE0ELb1ES3_N6thrust23THRUST_200600_302600_NS6detail15normal_iteratorINSB_10device_ptrIjEEEENSD_INSE_IS6_EEEESI_S6_NSB_4plusIvEENSB_8equal_toIvEES6_EE10hipError_tPvRmT2_T3_T4_T5_mT6_T7_P12ihipStream_tbENKUlT_T0_E_clISt17integral_constantIbLb1EES12_IbLb0EEEEDaSY_SZ_EUlSY_E_NS1_11comp_targetILNS1_3genE10ELNS1_11target_archE1200ELNS1_3gpuE4ELNS1_3repE0EEENS1_30default_config_static_selectorELNS0_4arch9wavefront6targetE0EEEvT1_,"axG",@progbits,_ZN7rocprim17ROCPRIM_400000_NS6detail17trampoline_kernelINS0_14default_configENS1_27scan_by_key_config_selectorIj11FixedVectorIiLj1EEEEZZNS1_16scan_by_key_implILNS1_25lookback_scan_determinismE0ELb1ES3_N6thrust23THRUST_200600_302600_NS6detail15normal_iteratorINSB_10device_ptrIjEEEENSD_INSE_IS6_EEEESI_S6_NSB_4plusIvEENSB_8equal_toIvEES6_EE10hipError_tPvRmT2_T3_T4_T5_mT6_T7_P12ihipStream_tbENKUlT_T0_E_clISt17integral_constantIbLb1EES12_IbLb0EEEEDaSY_SZ_EUlSY_E_NS1_11comp_targetILNS1_3genE10ELNS1_11target_archE1200ELNS1_3gpuE4ELNS1_3repE0EEENS1_30default_config_static_selectorELNS0_4arch9wavefront6targetE0EEEvT1_,comdat
.Lfunc_end1935:
	.size	_ZN7rocprim17ROCPRIM_400000_NS6detail17trampoline_kernelINS0_14default_configENS1_27scan_by_key_config_selectorIj11FixedVectorIiLj1EEEEZZNS1_16scan_by_key_implILNS1_25lookback_scan_determinismE0ELb1ES3_N6thrust23THRUST_200600_302600_NS6detail15normal_iteratorINSB_10device_ptrIjEEEENSD_INSE_IS6_EEEESI_S6_NSB_4plusIvEENSB_8equal_toIvEES6_EE10hipError_tPvRmT2_T3_T4_T5_mT6_T7_P12ihipStream_tbENKUlT_T0_E_clISt17integral_constantIbLb1EES12_IbLb0EEEEDaSY_SZ_EUlSY_E_NS1_11comp_targetILNS1_3genE10ELNS1_11target_archE1200ELNS1_3gpuE4ELNS1_3repE0EEENS1_30default_config_static_selectorELNS0_4arch9wavefront6targetE0EEEvT1_, .Lfunc_end1935-_ZN7rocprim17ROCPRIM_400000_NS6detail17trampoline_kernelINS0_14default_configENS1_27scan_by_key_config_selectorIj11FixedVectorIiLj1EEEEZZNS1_16scan_by_key_implILNS1_25lookback_scan_determinismE0ELb1ES3_N6thrust23THRUST_200600_302600_NS6detail15normal_iteratorINSB_10device_ptrIjEEEENSD_INSE_IS6_EEEESI_S6_NSB_4plusIvEENSB_8equal_toIvEES6_EE10hipError_tPvRmT2_T3_T4_T5_mT6_T7_P12ihipStream_tbENKUlT_T0_E_clISt17integral_constantIbLb1EES12_IbLb0EEEEDaSY_SZ_EUlSY_E_NS1_11comp_targetILNS1_3genE10ELNS1_11target_archE1200ELNS1_3gpuE4ELNS1_3repE0EEENS1_30default_config_static_selectorELNS0_4arch9wavefront6targetE0EEEvT1_
                                        ; -- End function
	.set _ZN7rocprim17ROCPRIM_400000_NS6detail17trampoline_kernelINS0_14default_configENS1_27scan_by_key_config_selectorIj11FixedVectorIiLj1EEEEZZNS1_16scan_by_key_implILNS1_25lookback_scan_determinismE0ELb1ES3_N6thrust23THRUST_200600_302600_NS6detail15normal_iteratorINSB_10device_ptrIjEEEENSD_INSE_IS6_EEEESI_S6_NSB_4plusIvEENSB_8equal_toIvEES6_EE10hipError_tPvRmT2_T3_T4_T5_mT6_T7_P12ihipStream_tbENKUlT_T0_E_clISt17integral_constantIbLb1EES12_IbLb0EEEEDaSY_SZ_EUlSY_E_NS1_11comp_targetILNS1_3genE10ELNS1_11target_archE1200ELNS1_3gpuE4ELNS1_3repE0EEENS1_30default_config_static_selectorELNS0_4arch9wavefront6targetE0EEEvT1_.num_vgpr, 0
	.set _ZN7rocprim17ROCPRIM_400000_NS6detail17trampoline_kernelINS0_14default_configENS1_27scan_by_key_config_selectorIj11FixedVectorIiLj1EEEEZZNS1_16scan_by_key_implILNS1_25lookback_scan_determinismE0ELb1ES3_N6thrust23THRUST_200600_302600_NS6detail15normal_iteratorINSB_10device_ptrIjEEEENSD_INSE_IS6_EEEESI_S6_NSB_4plusIvEENSB_8equal_toIvEES6_EE10hipError_tPvRmT2_T3_T4_T5_mT6_T7_P12ihipStream_tbENKUlT_T0_E_clISt17integral_constantIbLb1EES12_IbLb0EEEEDaSY_SZ_EUlSY_E_NS1_11comp_targetILNS1_3genE10ELNS1_11target_archE1200ELNS1_3gpuE4ELNS1_3repE0EEENS1_30default_config_static_selectorELNS0_4arch9wavefront6targetE0EEEvT1_.num_agpr, 0
	.set _ZN7rocprim17ROCPRIM_400000_NS6detail17trampoline_kernelINS0_14default_configENS1_27scan_by_key_config_selectorIj11FixedVectorIiLj1EEEEZZNS1_16scan_by_key_implILNS1_25lookback_scan_determinismE0ELb1ES3_N6thrust23THRUST_200600_302600_NS6detail15normal_iteratorINSB_10device_ptrIjEEEENSD_INSE_IS6_EEEESI_S6_NSB_4plusIvEENSB_8equal_toIvEES6_EE10hipError_tPvRmT2_T3_T4_T5_mT6_T7_P12ihipStream_tbENKUlT_T0_E_clISt17integral_constantIbLb1EES12_IbLb0EEEEDaSY_SZ_EUlSY_E_NS1_11comp_targetILNS1_3genE10ELNS1_11target_archE1200ELNS1_3gpuE4ELNS1_3repE0EEENS1_30default_config_static_selectorELNS0_4arch9wavefront6targetE0EEEvT1_.numbered_sgpr, 0
	.set _ZN7rocprim17ROCPRIM_400000_NS6detail17trampoline_kernelINS0_14default_configENS1_27scan_by_key_config_selectorIj11FixedVectorIiLj1EEEEZZNS1_16scan_by_key_implILNS1_25lookback_scan_determinismE0ELb1ES3_N6thrust23THRUST_200600_302600_NS6detail15normal_iteratorINSB_10device_ptrIjEEEENSD_INSE_IS6_EEEESI_S6_NSB_4plusIvEENSB_8equal_toIvEES6_EE10hipError_tPvRmT2_T3_T4_T5_mT6_T7_P12ihipStream_tbENKUlT_T0_E_clISt17integral_constantIbLb1EES12_IbLb0EEEEDaSY_SZ_EUlSY_E_NS1_11comp_targetILNS1_3genE10ELNS1_11target_archE1200ELNS1_3gpuE4ELNS1_3repE0EEENS1_30default_config_static_selectorELNS0_4arch9wavefront6targetE0EEEvT1_.num_named_barrier, 0
	.set _ZN7rocprim17ROCPRIM_400000_NS6detail17trampoline_kernelINS0_14default_configENS1_27scan_by_key_config_selectorIj11FixedVectorIiLj1EEEEZZNS1_16scan_by_key_implILNS1_25lookback_scan_determinismE0ELb1ES3_N6thrust23THRUST_200600_302600_NS6detail15normal_iteratorINSB_10device_ptrIjEEEENSD_INSE_IS6_EEEESI_S6_NSB_4plusIvEENSB_8equal_toIvEES6_EE10hipError_tPvRmT2_T3_T4_T5_mT6_T7_P12ihipStream_tbENKUlT_T0_E_clISt17integral_constantIbLb1EES12_IbLb0EEEEDaSY_SZ_EUlSY_E_NS1_11comp_targetILNS1_3genE10ELNS1_11target_archE1200ELNS1_3gpuE4ELNS1_3repE0EEENS1_30default_config_static_selectorELNS0_4arch9wavefront6targetE0EEEvT1_.private_seg_size, 0
	.set _ZN7rocprim17ROCPRIM_400000_NS6detail17trampoline_kernelINS0_14default_configENS1_27scan_by_key_config_selectorIj11FixedVectorIiLj1EEEEZZNS1_16scan_by_key_implILNS1_25lookback_scan_determinismE0ELb1ES3_N6thrust23THRUST_200600_302600_NS6detail15normal_iteratorINSB_10device_ptrIjEEEENSD_INSE_IS6_EEEESI_S6_NSB_4plusIvEENSB_8equal_toIvEES6_EE10hipError_tPvRmT2_T3_T4_T5_mT6_T7_P12ihipStream_tbENKUlT_T0_E_clISt17integral_constantIbLb1EES12_IbLb0EEEEDaSY_SZ_EUlSY_E_NS1_11comp_targetILNS1_3genE10ELNS1_11target_archE1200ELNS1_3gpuE4ELNS1_3repE0EEENS1_30default_config_static_selectorELNS0_4arch9wavefront6targetE0EEEvT1_.uses_vcc, 0
	.set _ZN7rocprim17ROCPRIM_400000_NS6detail17trampoline_kernelINS0_14default_configENS1_27scan_by_key_config_selectorIj11FixedVectorIiLj1EEEEZZNS1_16scan_by_key_implILNS1_25lookback_scan_determinismE0ELb1ES3_N6thrust23THRUST_200600_302600_NS6detail15normal_iteratorINSB_10device_ptrIjEEEENSD_INSE_IS6_EEEESI_S6_NSB_4plusIvEENSB_8equal_toIvEES6_EE10hipError_tPvRmT2_T3_T4_T5_mT6_T7_P12ihipStream_tbENKUlT_T0_E_clISt17integral_constantIbLb1EES12_IbLb0EEEEDaSY_SZ_EUlSY_E_NS1_11comp_targetILNS1_3genE10ELNS1_11target_archE1200ELNS1_3gpuE4ELNS1_3repE0EEENS1_30default_config_static_selectorELNS0_4arch9wavefront6targetE0EEEvT1_.uses_flat_scratch, 0
	.set _ZN7rocprim17ROCPRIM_400000_NS6detail17trampoline_kernelINS0_14default_configENS1_27scan_by_key_config_selectorIj11FixedVectorIiLj1EEEEZZNS1_16scan_by_key_implILNS1_25lookback_scan_determinismE0ELb1ES3_N6thrust23THRUST_200600_302600_NS6detail15normal_iteratorINSB_10device_ptrIjEEEENSD_INSE_IS6_EEEESI_S6_NSB_4plusIvEENSB_8equal_toIvEES6_EE10hipError_tPvRmT2_T3_T4_T5_mT6_T7_P12ihipStream_tbENKUlT_T0_E_clISt17integral_constantIbLb1EES12_IbLb0EEEEDaSY_SZ_EUlSY_E_NS1_11comp_targetILNS1_3genE10ELNS1_11target_archE1200ELNS1_3gpuE4ELNS1_3repE0EEENS1_30default_config_static_selectorELNS0_4arch9wavefront6targetE0EEEvT1_.has_dyn_sized_stack, 0
	.set _ZN7rocprim17ROCPRIM_400000_NS6detail17trampoline_kernelINS0_14default_configENS1_27scan_by_key_config_selectorIj11FixedVectorIiLj1EEEEZZNS1_16scan_by_key_implILNS1_25lookback_scan_determinismE0ELb1ES3_N6thrust23THRUST_200600_302600_NS6detail15normal_iteratorINSB_10device_ptrIjEEEENSD_INSE_IS6_EEEESI_S6_NSB_4plusIvEENSB_8equal_toIvEES6_EE10hipError_tPvRmT2_T3_T4_T5_mT6_T7_P12ihipStream_tbENKUlT_T0_E_clISt17integral_constantIbLb1EES12_IbLb0EEEEDaSY_SZ_EUlSY_E_NS1_11comp_targetILNS1_3genE10ELNS1_11target_archE1200ELNS1_3gpuE4ELNS1_3repE0EEENS1_30default_config_static_selectorELNS0_4arch9wavefront6targetE0EEEvT1_.has_recursion, 0
	.set _ZN7rocprim17ROCPRIM_400000_NS6detail17trampoline_kernelINS0_14default_configENS1_27scan_by_key_config_selectorIj11FixedVectorIiLj1EEEEZZNS1_16scan_by_key_implILNS1_25lookback_scan_determinismE0ELb1ES3_N6thrust23THRUST_200600_302600_NS6detail15normal_iteratorINSB_10device_ptrIjEEEENSD_INSE_IS6_EEEESI_S6_NSB_4plusIvEENSB_8equal_toIvEES6_EE10hipError_tPvRmT2_T3_T4_T5_mT6_T7_P12ihipStream_tbENKUlT_T0_E_clISt17integral_constantIbLb1EES12_IbLb0EEEEDaSY_SZ_EUlSY_E_NS1_11comp_targetILNS1_3genE10ELNS1_11target_archE1200ELNS1_3gpuE4ELNS1_3repE0EEENS1_30default_config_static_selectorELNS0_4arch9wavefront6targetE0EEEvT1_.has_indirect_call, 0
	.section	.AMDGPU.csdata,"",@progbits
; Kernel info:
; codeLenInByte = 0
; TotalNumSgprs: 0
; NumVgprs: 0
; ScratchSize: 0
; MemoryBound: 0
; FloatMode: 240
; IeeeMode: 1
; LDSByteSize: 0 bytes/workgroup (compile time only)
; SGPRBlocks: 0
; VGPRBlocks: 0
; NumSGPRsForWavesPerEU: 1
; NumVGPRsForWavesPerEU: 1
; Occupancy: 16
; WaveLimiterHint : 0
; COMPUTE_PGM_RSRC2:SCRATCH_EN: 0
; COMPUTE_PGM_RSRC2:USER_SGPR: 6
; COMPUTE_PGM_RSRC2:TRAP_HANDLER: 0
; COMPUTE_PGM_RSRC2:TGID_X_EN: 1
; COMPUTE_PGM_RSRC2:TGID_Y_EN: 0
; COMPUTE_PGM_RSRC2:TGID_Z_EN: 0
; COMPUTE_PGM_RSRC2:TIDIG_COMP_CNT: 0
	.section	.text._ZN7rocprim17ROCPRIM_400000_NS6detail17trampoline_kernelINS0_14default_configENS1_27scan_by_key_config_selectorIj11FixedVectorIiLj1EEEEZZNS1_16scan_by_key_implILNS1_25lookback_scan_determinismE0ELb1ES3_N6thrust23THRUST_200600_302600_NS6detail15normal_iteratorINSB_10device_ptrIjEEEENSD_INSE_IS6_EEEESI_S6_NSB_4plusIvEENSB_8equal_toIvEES6_EE10hipError_tPvRmT2_T3_T4_T5_mT6_T7_P12ihipStream_tbENKUlT_T0_E_clISt17integral_constantIbLb1EES12_IbLb0EEEEDaSY_SZ_EUlSY_E_NS1_11comp_targetILNS1_3genE9ELNS1_11target_archE1100ELNS1_3gpuE3ELNS1_3repE0EEENS1_30default_config_static_selectorELNS0_4arch9wavefront6targetE0EEEvT1_,"axG",@progbits,_ZN7rocprim17ROCPRIM_400000_NS6detail17trampoline_kernelINS0_14default_configENS1_27scan_by_key_config_selectorIj11FixedVectorIiLj1EEEEZZNS1_16scan_by_key_implILNS1_25lookback_scan_determinismE0ELb1ES3_N6thrust23THRUST_200600_302600_NS6detail15normal_iteratorINSB_10device_ptrIjEEEENSD_INSE_IS6_EEEESI_S6_NSB_4plusIvEENSB_8equal_toIvEES6_EE10hipError_tPvRmT2_T3_T4_T5_mT6_T7_P12ihipStream_tbENKUlT_T0_E_clISt17integral_constantIbLb1EES12_IbLb0EEEEDaSY_SZ_EUlSY_E_NS1_11comp_targetILNS1_3genE9ELNS1_11target_archE1100ELNS1_3gpuE3ELNS1_3repE0EEENS1_30default_config_static_selectorELNS0_4arch9wavefront6targetE0EEEvT1_,comdat
	.protected	_ZN7rocprim17ROCPRIM_400000_NS6detail17trampoline_kernelINS0_14default_configENS1_27scan_by_key_config_selectorIj11FixedVectorIiLj1EEEEZZNS1_16scan_by_key_implILNS1_25lookback_scan_determinismE0ELb1ES3_N6thrust23THRUST_200600_302600_NS6detail15normal_iteratorINSB_10device_ptrIjEEEENSD_INSE_IS6_EEEESI_S6_NSB_4plusIvEENSB_8equal_toIvEES6_EE10hipError_tPvRmT2_T3_T4_T5_mT6_T7_P12ihipStream_tbENKUlT_T0_E_clISt17integral_constantIbLb1EES12_IbLb0EEEEDaSY_SZ_EUlSY_E_NS1_11comp_targetILNS1_3genE9ELNS1_11target_archE1100ELNS1_3gpuE3ELNS1_3repE0EEENS1_30default_config_static_selectorELNS0_4arch9wavefront6targetE0EEEvT1_ ; -- Begin function _ZN7rocprim17ROCPRIM_400000_NS6detail17trampoline_kernelINS0_14default_configENS1_27scan_by_key_config_selectorIj11FixedVectorIiLj1EEEEZZNS1_16scan_by_key_implILNS1_25lookback_scan_determinismE0ELb1ES3_N6thrust23THRUST_200600_302600_NS6detail15normal_iteratorINSB_10device_ptrIjEEEENSD_INSE_IS6_EEEESI_S6_NSB_4plusIvEENSB_8equal_toIvEES6_EE10hipError_tPvRmT2_T3_T4_T5_mT6_T7_P12ihipStream_tbENKUlT_T0_E_clISt17integral_constantIbLb1EES12_IbLb0EEEEDaSY_SZ_EUlSY_E_NS1_11comp_targetILNS1_3genE9ELNS1_11target_archE1100ELNS1_3gpuE3ELNS1_3repE0EEENS1_30default_config_static_selectorELNS0_4arch9wavefront6targetE0EEEvT1_
	.globl	_ZN7rocprim17ROCPRIM_400000_NS6detail17trampoline_kernelINS0_14default_configENS1_27scan_by_key_config_selectorIj11FixedVectorIiLj1EEEEZZNS1_16scan_by_key_implILNS1_25lookback_scan_determinismE0ELb1ES3_N6thrust23THRUST_200600_302600_NS6detail15normal_iteratorINSB_10device_ptrIjEEEENSD_INSE_IS6_EEEESI_S6_NSB_4plusIvEENSB_8equal_toIvEES6_EE10hipError_tPvRmT2_T3_T4_T5_mT6_T7_P12ihipStream_tbENKUlT_T0_E_clISt17integral_constantIbLb1EES12_IbLb0EEEEDaSY_SZ_EUlSY_E_NS1_11comp_targetILNS1_3genE9ELNS1_11target_archE1100ELNS1_3gpuE3ELNS1_3repE0EEENS1_30default_config_static_selectorELNS0_4arch9wavefront6targetE0EEEvT1_
	.p2align	8
	.type	_ZN7rocprim17ROCPRIM_400000_NS6detail17trampoline_kernelINS0_14default_configENS1_27scan_by_key_config_selectorIj11FixedVectorIiLj1EEEEZZNS1_16scan_by_key_implILNS1_25lookback_scan_determinismE0ELb1ES3_N6thrust23THRUST_200600_302600_NS6detail15normal_iteratorINSB_10device_ptrIjEEEENSD_INSE_IS6_EEEESI_S6_NSB_4plusIvEENSB_8equal_toIvEES6_EE10hipError_tPvRmT2_T3_T4_T5_mT6_T7_P12ihipStream_tbENKUlT_T0_E_clISt17integral_constantIbLb1EES12_IbLb0EEEEDaSY_SZ_EUlSY_E_NS1_11comp_targetILNS1_3genE9ELNS1_11target_archE1100ELNS1_3gpuE3ELNS1_3repE0EEENS1_30default_config_static_selectorELNS0_4arch9wavefront6targetE0EEEvT1_,@function
_ZN7rocprim17ROCPRIM_400000_NS6detail17trampoline_kernelINS0_14default_configENS1_27scan_by_key_config_selectorIj11FixedVectorIiLj1EEEEZZNS1_16scan_by_key_implILNS1_25lookback_scan_determinismE0ELb1ES3_N6thrust23THRUST_200600_302600_NS6detail15normal_iteratorINSB_10device_ptrIjEEEENSD_INSE_IS6_EEEESI_S6_NSB_4plusIvEENSB_8equal_toIvEES6_EE10hipError_tPvRmT2_T3_T4_T5_mT6_T7_P12ihipStream_tbENKUlT_T0_E_clISt17integral_constantIbLb1EES12_IbLb0EEEEDaSY_SZ_EUlSY_E_NS1_11comp_targetILNS1_3genE9ELNS1_11target_archE1100ELNS1_3gpuE3ELNS1_3repE0EEENS1_30default_config_static_selectorELNS0_4arch9wavefront6targetE0EEEvT1_: ; @_ZN7rocprim17ROCPRIM_400000_NS6detail17trampoline_kernelINS0_14default_configENS1_27scan_by_key_config_selectorIj11FixedVectorIiLj1EEEEZZNS1_16scan_by_key_implILNS1_25lookback_scan_determinismE0ELb1ES3_N6thrust23THRUST_200600_302600_NS6detail15normal_iteratorINSB_10device_ptrIjEEEENSD_INSE_IS6_EEEESI_S6_NSB_4plusIvEENSB_8equal_toIvEES6_EE10hipError_tPvRmT2_T3_T4_T5_mT6_T7_P12ihipStream_tbENKUlT_T0_E_clISt17integral_constantIbLb1EES12_IbLb0EEEEDaSY_SZ_EUlSY_E_NS1_11comp_targetILNS1_3genE9ELNS1_11target_archE1100ELNS1_3gpuE3ELNS1_3repE0EEENS1_30default_config_static_selectorELNS0_4arch9wavefront6targetE0EEEvT1_
; %bb.0:
	.section	.rodata,"a",@progbits
	.p2align	6, 0x0
	.amdhsa_kernel _ZN7rocprim17ROCPRIM_400000_NS6detail17trampoline_kernelINS0_14default_configENS1_27scan_by_key_config_selectorIj11FixedVectorIiLj1EEEEZZNS1_16scan_by_key_implILNS1_25lookback_scan_determinismE0ELb1ES3_N6thrust23THRUST_200600_302600_NS6detail15normal_iteratorINSB_10device_ptrIjEEEENSD_INSE_IS6_EEEESI_S6_NSB_4plusIvEENSB_8equal_toIvEES6_EE10hipError_tPvRmT2_T3_T4_T5_mT6_T7_P12ihipStream_tbENKUlT_T0_E_clISt17integral_constantIbLb1EES12_IbLb0EEEEDaSY_SZ_EUlSY_E_NS1_11comp_targetILNS1_3genE9ELNS1_11target_archE1100ELNS1_3gpuE3ELNS1_3repE0EEENS1_30default_config_static_selectorELNS0_4arch9wavefront6targetE0EEEvT1_
		.amdhsa_group_segment_fixed_size 0
		.amdhsa_private_segment_fixed_size 0
		.amdhsa_kernarg_size 112
		.amdhsa_user_sgpr_count 6
		.amdhsa_user_sgpr_private_segment_buffer 1
		.amdhsa_user_sgpr_dispatch_ptr 0
		.amdhsa_user_sgpr_queue_ptr 0
		.amdhsa_user_sgpr_kernarg_segment_ptr 1
		.amdhsa_user_sgpr_dispatch_id 0
		.amdhsa_user_sgpr_flat_scratch_init 0
		.amdhsa_user_sgpr_private_segment_size 0
		.amdhsa_wavefront_size32 1
		.amdhsa_uses_dynamic_stack 0
		.amdhsa_system_sgpr_private_segment_wavefront_offset 0
		.amdhsa_system_sgpr_workgroup_id_x 1
		.amdhsa_system_sgpr_workgroup_id_y 0
		.amdhsa_system_sgpr_workgroup_id_z 0
		.amdhsa_system_sgpr_workgroup_info 0
		.amdhsa_system_vgpr_workitem_id 0
		.amdhsa_next_free_vgpr 1
		.amdhsa_next_free_sgpr 1
		.amdhsa_reserve_vcc 0
		.amdhsa_reserve_flat_scratch 0
		.amdhsa_float_round_mode_32 0
		.amdhsa_float_round_mode_16_64 0
		.amdhsa_float_denorm_mode_32 3
		.amdhsa_float_denorm_mode_16_64 3
		.amdhsa_dx10_clamp 1
		.amdhsa_ieee_mode 1
		.amdhsa_fp16_overflow 0
		.amdhsa_workgroup_processor_mode 1
		.amdhsa_memory_ordered 1
		.amdhsa_forward_progress 1
		.amdhsa_shared_vgpr_count 0
		.amdhsa_exception_fp_ieee_invalid_op 0
		.amdhsa_exception_fp_denorm_src 0
		.amdhsa_exception_fp_ieee_div_zero 0
		.amdhsa_exception_fp_ieee_overflow 0
		.amdhsa_exception_fp_ieee_underflow 0
		.amdhsa_exception_fp_ieee_inexact 0
		.amdhsa_exception_int_div_zero 0
	.end_amdhsa_kernel
	.section	.text._ZN7rocprim17ROCPRIM_400000_NS6detail17trampoline_kernelINS0_14default_configENS1_27scan_by_key_config_selectorIj11FixedVectorIiLj1EEEEZZNS1_16scan_by_key_implILNS1_25lookback_scan_determinismE0ELb1ES3_N6thrust23THRUST_200600_302600_NS6detail15normal_iteratorINSB_10device_ptrIjEEEENSD_INSE_IS6_EEEESI_S6_NSB_4plusIvEENSB_8equal_toIvEES6_EE10hipError_tPvRmT2_T3_T4_T5_mT6_T7_P12ihipStream_tbENKUlT_T0_E_clISt17integral_constantIbLb1EES12_IbLb0EEEEDaSY_SZ_EUlSY_E_NS1_11comp_targetILNS1_3genE9ELNS1_11target_archE1100ELNS1_3gpuE3ELNS1_3repE0EEENS1_30default_config_static_selectorELNS0_4arch9wavefront6targetE0EEEvT1_,"axG",@progbits,_ZN7rocprim17ROCPRIM_400000_NS6detail17trampoline_kernelINS0_14default_configENS1_27scan_by_key_config_selectorIj11FixedVectorIiLj1EEEEZZNS1_16scan_by_key_implILNS1_25lookback_scan_determinismE0ELb1ES3_N6thrust23THRUST_200600_302600_NS6detail15normal_iteratorINSB_10device_ptrIjEEEENSD_INSE_IS6_EEEESI_S6_NSB_4plusIvEENSB_8equal_toIvEES6_EE10hipError_tPvRmT2_T3_T4_T5_mT6_T7_P12ihipStream_tbENKUlT_T0_E_clISt17integral_constantIbLb1EES12_IbLb0EEEEDaSY_SZ_EUlSY_E_NS1_11comp_targetILNS1_3genE9ELNS1_11target_archE1100ELNS1_3gpuE3ELNS1_3repE0EEENS1_30default_config_static_selectorELNS0_4arch9wavefront6targetE0EEEvT1_,comdat
.Lfunc_end1936:
	.size	_ZN7rocprim17ROCPRIM_400000_NS6detail17trampoline_kernelINS0_14default_configENS1_27scan_by_key_config_selectorIj11FixedVectorIiLj1EEEEZZNS1_16scan_by_key_implILNS1_25lookback_scan_determinismE0ELb1ES3_N6thrust23THRUST_200600_302600_NS6detail15normal_iteratorINSB_10device_ptrIjEEEENSD_INSE_IS6_EEEESI_S6_NSB_4plusIvEENSB_8equal_toIvEES6_EE10hipError_tPvRmT2_T3_T4_T5_mT6_T7_P12ihipStream_tbENKUlT_T0_E_clISt17integral_constantIbLb1EES12_IbLb0EEEEDaSY_SZ_EUlSY_E_NS1_11comp_targetILNS1_3genE9ELNS1_11target_archE1100ELNS1_3gpuE3ELNS1_3repE0EEENS1_30default_config_static_selectorELNS0_4arch9wavefront6targetE0EEEvT1_, .Lfunc_end1936-_ZN7rocprim17ROCPRIM_400000_NS6detail17trampoline_kernelINS0_14default_configENS1_27scan_by_key_config_selectorIj11FixedVectorIiLj1EEEEZZNS1_16scan_by_key_implILNS1_25lookback_scan_determinismE0ELb1ES3_N6thrust23THRUST_200600_302600_NS6detail15normal_iteratorINSB_10device_ptrIjEEEENSD_INSE_IS6_EEEESI_S6_NSB_4plusIvEENSB_8equal_toIvEES6_EE10hipError_tPvRmT2_T3_T4_T5_mT6_T7_P12ihipStream_tbENKUlT_T0_E_clISt17integral_constantIbLb1EES12_IbLb0EEEEDaSY_SZ_EUlSY_E_NS1_11comp_targetILNS1_3genE9ELNS1_11target_archE1100ELNS1_3gpuE3ELNS1_3repE0EEENS1_30default_config_static_selectorELNS0_4arch9wavefront6targetE0EEEvT1_
                                        ; -- End function
	.set _ZN7rocprim17ROCPRIM_400000_NS6detail17trampoline_kernelINS0_14default_configENS1_27scan_by_key_config_selectorIj11FixedVectorIiLj1EEEEZZNS1_16scan_by_key_implILNS1_25lookback_scan_determinismE0ELb1ES3_N6thrust23THRUST_200600_302600_NS6detail15normal_iteratorINSB_10device_ptrIjEEEENSD_INSE_IS6_EEEESI_S6_NSB_4plusIvEENSB_8equal_toIvEES6_EE10hipError_tPvRmT2_T3_T4_T5_mT6_T7_P12ihipStream_tbENKUlT_T0_E_clISt17integral_constantIbLb1EES12_IbLb0EEEEDaSY_SZ_EUlSY_E_NS1_11comp_targetILNS1_3genE9ELNS1_11target_archE1100ELNS1_3gpuE3ELNS1_3repE0EEENS1_30default_config_static_selectorELNS0_4arch9wavefront6targetE0EEEvT1_.num_vgpr, 0
	.set _ZN7rocprim17ROCPRIM_400000_NS6detail17trampoline_kernelINS0_14default_configENS1_27scan_by_key_config_selectorIj11FixedVectorIiLj1EEEEZZNS1_16scan_by_key_implILNS1_25lookback_scan_determinismE0ELb1ES3_N6thrust23THRUST_200600_302600_NS6detail15normal_iteratorINSB_10device_ptrIjEEEENSD_INSE_IS6_EEEESI_S6_NSB_4plusIvEENSB_8equal_toIvEES6_EE10hipError_tPvRmT2_T3_T4_T5_mT6_T7_P12ihipStream_tbENKUlT_T0_E_clISt17integral_constantIbLb1EES12_IbLb0EEEEDaSY_SZ_EUlSY_E_NS1_11comp_targetILNS1_3genE9ELNS1_11target_archE1100ELNS1_3gpuE3ELNS1_3repE0EEENS1_30default_config_static_selectorELNS0_4arch9wavefront6targetE0EEEvT1_.num_agpr, 0
	.set _ZN7rocprim17ROCPRIM_400000_NS6detail17trampoline_kernelINS0_14default_configENS1_27scan_by_key_config_selectorIj11FixedVectorIiLj1EEEEZZNS1_16scan_by_key_implILNS1_25lookback_scan_determinismE0ELb1ES3_N6thrust23THRUST_200600_302600_NS6detail15normal_iteratorINSB_10device_ptrIjEEEENSD_INSE_IS6_EEEESI_S6_NSB_4plusIvEENSB_8equal_toIvEES6_EE10hipError_tPvRmT2_T3_T4_T5_mT6_T7_P12ihipStream_tbENKUlT_T0_E_clISt17integral_constantIbLb1EES12_IbLb0EEEEDaSY_SZ_EUlSY_E_NS1_11comp_targetILNS1_3genE9ELNS1_11target_archE1100ELNS1_3gpuE3ELNS1_3repE0EEENS1_30default_config_static_selectorELNS0_4arch9wavefront6targetE0EEEvT1_.numbered_sgpr, 0
	.set _ZN7rocprim17ROCPRIM_400000_NS6detail17trampoline_kernelINS0_14default_configENS1_27scan_by_key_config_selectorIj11FixedVectorIiLj1EEEEZZNS1_16scan_by_key_implILNS1_25lookback_scan_determinismE0ELb1ES3_N6thrust23THRUST_200600_302600_NS6detail15normal_iteratorINSB_10device_ptrIjEEEENSD_INSE_IS6_EEEESI_S6_NSB_4plusIvEENSB_8equal_toIvEES6_EE10hipError_tPvRmT2_T3_T4_T5_mT6_T7_P12ihipStream_tbENKUlT_T0_E_clISt17integral_constantIbLb1EES12_IbLb0EEEEDaSY_SZ_EUlSY_E_NS1_11comp_targetILNS1_3genE9ELNS1_11target_archE1100ELNS1_3gpuE3ELNS1_3repE0EEENS1_30default_config_static_selectorELNS0_4arch9wavefront6targetE0EEEvT1_.num_named_barrier, 0
	.set _ZN7rocprim17ROCPRIM_400000_NS6detail17trampoline_kernelINS0_14default_configENS1_27scan_by_key_config_selectorIj11FixedVectorIiLj1EEEEZZNS1_16scan_by_key_implILNS1_25lookback_scan_determinismE0ELb1ES3_N6thrust23THRUST_200600_302600_NS6detail15normal_iteratorINSB_10device_ptrIjEEEENSD_INSE_IS6_EEEESI_S6_NSB_4plusIvEENSB_8equal_toIvEES6_EE10hipError_tPvRmT2_T3_T4_T5_mT6_T7_P12ihipStream_tbENKUlT_T0_E_clISt17integral_constantIbLb1EES12_IbLb0EEEEDaSY_SZ_EUlSY_E_NS1_11comp_targetILNS1_3genE9ELNS1_11target_archE1100ELNS1_3gpuE3ELNS1_3repE0EEENS1_30default_config_static_selectorELNS0_4arch9wavefront6targetE0EEEvT1_.private_seg_size, 0
	.set _ZN7rocprim17ROCPRIM_400000_NS6detail17trampoline_kernelINS0_14default_configENS1_27scan_by_key_config_selectorIj11FixedVectorIiLj1EEEEZZNS1_16scan_by_key_implILNS1_25lookback_scan_determinismE0ELb1ES3_N6thrust23THRUST_200600_302600_NS6detail15normal_iteratorINSB_10device_ptrIjEEEENSD_INSE_IS6_EEEESI_S6_NSB_4plusIvEENSB_8equal_toIvEES6_EE10hipError_tPvRmT2_T3_T4_T5_mT6_T7_P12ihipStream_tbENKUlT_T0_E_clISt17integral_constantIbLb1EES12_IbLb0EEEEDaSY_SZ_EUlSY_E_NS1_11comp_targetILNS1_3genE9ELNS1_11target_archE1100ELNS1_3gpuE3ELNS1_3repE0EEENS1_30default_config_static_selectorELNS0_4arch9wavefront6targetE0EEEvT1_.uses_vcc, 0
	.set _ZN7rocprim17ROCPRIM_400000_NS6detail17trampoline_kernelINS0_14default_configENS1_27scan_by_key_config_selectorIj11FixedVectorIiLj1EEEEZZNS1_16scan_by_key_implILNS1_25lookback_scan_determinismE0ELb1ES3_N6thrust23THRUST_200600_302600_NS6detail15normal_iteratorINSB_10device_ptrIjEEEENSD_INSE_IS6_EEEESI_S6_NSB_4plusIvEENSB_8equal_toIvEES6_EE10hipError_tPvRmT2_T3_T4_T5_mT6_T7_P12ihipStream_tbENKUlT_T0_E_clISt17integral_constantIbLb1EES12_IbLb0EEEEDaSY_SZ_EUlSY_E_NS1_11comp_targetILNS1_3genE9ELNS1_11target_archE1100ELNS1_3gpuE3ELNS1_3repE0EEENS1_30default_config_static_selectorELNS0_4arch9wavefront6targetE0EEEvT1_.uses_flat_scratch, 0
	.set _ZN7rocprim17ROCPRIM_400000_NS6detail17trampoline_kernelINS0_14default_configENS1_27scan_by_key_config_selectorIj11FixedVectorIiLj1EEEEZZNS1_16scan_by_key_implILNS1_25lookback_scan_determinismE0ELb1ES3_N6thrust23THRUST_200600_302600_NS6detail15normal_iteratorINSB_10device_ptrIjEEEENSD_INSE_IS6_EEEESI_S6_NSB_4plusIvEENSB_8equal_toIvEES6_EE10hipError_tPvRmT2_T3_T4_T5_mT6_T7_P12ihipStream_tbENKUlT_T0_E_clISt17integral_constantIbLb1EES12_IbLb0EEEEDaSY_SZ_EUlSY_E_NS1_11comp_targetILNS1_3genE9ELNS1_11target_archE1100ELNS1_3gpuE3ELNS1_3repE0EEENS1_30default_config_static_selectorELNS0_4arch9wavefront6targetE0EEEvT1_.has_dyn_sized_stack, 0
	.set _ZN7rocprim17ROCPRIM_400000_NS6detail17trampoline_kernelINS0_14default_configENS1_27scan_by_key_config_selectorIj11FixedVectorIiLj1EEEEZZNS1_16scan_by_key_implILNS1_25lookback_scan_determinismE0ELb1ES3_N6thrust23THRUST_200600_302600_NS6detail15normal_iteratorINSB_10device_ptrIjEEEENSD_INSE_IS6_EEEESI_S6_NSB_4plusIvEENSB_8equal_toIvEES6_EE10hipError_tPvRmT2_T3_T4_T5_mT6_T7_P12ihipStream_tbENKUlT_T0_E_clISt17integral_constantIbLb1EES12_IbLb0EEEEDaSY_SZ_EUlSY_E_NS1_11comp_targetILNS1_3genE9ELNS1_11target_archE1100ELNS1_3gpuE3ELNS1_3repE0EEENS1_30default_config_static_selectorELNS0_4arch9wavefront6targetE0EEEvT1_.has_recursion, 0
	.set _ZN7rocprim17ROCPRIM_400000_NS6detail17trampoline_kernelINS0_14default_configENS1_27scan_by_key_config_selectorIj11FixedVectorIiLj1EEEEZZNS1_16scan_by_key_implILNS1_25lookback_scan_determinismE0ELb1ES3_N6thrust23THRUST_200600_302600_NS6detail15normal_iteratorINSB_10device_ptrIjEEEENSD_INSE_IS6_EEEESI_S6_NSB_4plusIvEENSB_8equal_toIvEES6_EE10hipError_tPvRmT2_T3_T4_T5_mT6_T7_P12ihipStream_tbENKUlT_T0_E_clISt17integral_constantIbLb1EES12_IbLb0EEEEDaSY_SZ_EUlSY_E_NS1_11comp_targetILNS1_3genE9ELNS1_11target_archE1100ELNS1_3gpuE3ELNS1_3repE0EEENS1_30default_config_static_selectorELNS0_4arch9wavefront6targetE0EEEvT1_.has_indirect_call, 0
	.section	.AMDGPU.csdata,"",@progbits
; Kernel info:
; codeLenInByte = 0
; TotalNumSgprs: 0
; NumVgprs: 0
; ScratchSize: 0
; MemoryBound: 0
; FloatMode: 240
; IeeeMode: 1
; LDSByteSize: 0 bytes/workgroup (compile time only)
; SGPRBlocks: 0
; VGPRBlocks: 0
; NumSGPRsForWavesPerEU: 1
; NumVGPRsForWavesPerEU: 1
; Occupancy: 16
; WaveLimiterHint : 0
; COMPUTE_PGM_RSRC2:SCRATCH_EN: 0
; COMPUTE_PGM_RSRC2:USER_SGPR: 6
; COMPUTE_PGM_RSRC2:TRAP_HANDLER: 0
; COMPUTE_PGM_RSRC2:TGID_X_EN: 1
; COMPUTE_PGM_RSRC2:TGID_Y_EN: 0
; COMPUTE_PGM_RSRC2:TGID_Z_EN: 0
; COMPUTE_PGM_RSRC2:TIDIG_COMP_CNT: 0
	.section	.text._ZN7rocprim17ROCPRIM_400000_NS6detail17trampoline_kernelINS0_14default_configENS1_27scan_by_key_config_selectorIj11FixedVectorIiLj1EEEEZZNS1_16scan_by_key_implILNS1_25lookback_scan_determinismE0ELb1ES3_N6thrust23THRUST_200600_302600_NS6detail15normal_iteratorINSB_10device_ptrIjEEEENSD_INSE_IS6_EEEESI_S6_NSB_4plusIvEENSB_8equal_toIvEES6_EE10hipError_tPvRmT2_T3_T4_T5_mT6_T7_P12ihipStream_tbENKUlT_T0_E_clISt17integral_constantIbLb1EES12_IbLb0EEEEDaSY_SZ_EUlSY_E_NS1_11comp_targetILNS1_3genE8ELNS1_11target_archE1030ELNS1_3gpuE2ELNS1_3repE0EEENS1_30default_config_static_selectorELNS0_4arch9wavefront6targetE0EEEvT1_,"axG",@progbits,_ZN7rocprim17ROCPRIM_400000_NS6detail17trampoline_kernelINS0_14default_configENS1_27scan_by_key_config_selectorIj11FixedVectorIiLj1EEEEZZNS1_16scan_by_key_implILNS1_25lookback_scan_determinismE0ELb1ES3_N6thrust23THRUST_200600_302600_NS6detail15normal_iteratorINSB_10device_ptrIjEEEENSD_INSE_IS6_EEEESI_S6_NSB_4plusIvEENSB_8equal_toIvEES6_EE10hipError_tPvRmT2_T3_T4_T5_mT6_T7_P12ihipStream_tbENKUlT_T0_E_clISt17integral_constantIbLb1EES12_IbLb0EEEEDaSY_SZ_EUlSY_E_NS1_11comp_targetILNS1_3genE8ELNS1_11target_archE1030ELNS1_3gpuE2ELNS1_3repE0EEENS1_30default_config_static_selectorELNS0_4arch9wavefront6targetE0EEEvT1_,comdat
	.protected	_ZN7rocprim17ROCPRIM_400000_NS6detail17trampoline_kernelINS0_14default_configENS1_27scan_by_key_config_selectorIj11FixedVectorIiLj1EEEEZZNS1_16scan_by_key_implILNS1_25lookback_scan_determinismE0ELb1ES3_N6thrust23THRUST_200600_302600_NS6detail15normal_iteratorINSB_10device_ptrIjEEEENSD_INSE_IS6_EEEESI_S6_NSB_4plusIvEENSB_8equal_toIvEES6_EE10hipError_tPvRmT2_T3_T4_T5_mT6_T7_P12ihipStream_tbENKUlT_T0_E_clISt17integral_constantIbLb1EES12_IbLb0EEEEDaSY_SZ_EUlSY_E_NS1_11comp_targetILNS1_3genE8ELNS1_11target_archE1030ELNS1_3gpuE2ELNS1_3repE0EEENS1_30default_config_static_selectorELNS0_4arch9wavefront6targetE0EEEvT1_ ; -- Begin function _ZN7rocprim17ROCPRIM_400000_NS6detail17trampoline_kernelINS0_14default_configENS1_27scan_by_key_config_selectorIj11FixedVectorIiLj1EEEEZZNS1_16scan_by_key_implILNS1_25lookback_scan_determinismE0ELb1ES3_N6thrust23THRUST_200600_302600_NS6detail15normal_iteratorINSB_10device_ptrIjEEEENSD_INSE_IS6_EEEESI_S6_NSB_4plusIvEENSB_8equal_toIvEES6_EE10hipError_tPvRmT2_T3_T4_T5_mT6_T7_P12ihipStream_tbENKUlT_T0_E_clISt17integral_constantIbLb1EES12_IbLb0EEEEDaSY_SZ_EUlSY_E_NS1_11comp_targetILNS1_3genE8ELNS1_11target_archE1030ELNS1_3gpuE2ELNS1_3repE0EEENS1_30default_config_static_selectorELNS0_4arch9wavefront6targetE0EEEvT1_
	.globl	_ZN7rocprim17ROCPRIM_400000_NS6detail17trampoline_kernelINS0_14default_configENS1_27scan_by_key_config_selectorIj11FixedVectorIiLj1EEEEZZNS1_16scan_by_key_implILNS1_25lookback_scan_determinismE0ELb1ES3_N6thrust23THRUST_200600_302600_NS6detail15normal_iteratorINSB_10device_ptrIjEEEENSD_INSE_IS6_EEEESI_S6_NSB_4plusIvEENSB_8equal_toIvEES6_EE10hipError_tPvRmT2_T3_T4_T5_mT6_T7_P12ihipStream_tbENKUlT_T0_E_clISt17integral_constantIbLb1EES12_IbLb0EEEEDaSY_SZ_EUlSY_E_NS1_11comp_targetILNS1_3genE8ELNS1_11target_archE1030ELNS1_3gpuE2ELNS1_3repE0EEENS1_30default_config_static_selectorELNS0_4arch9wavefront6targetE0EEEvT1_
	.p2align	8
	.type	_ZN7rocprim17ROCPRIM_400000_NS6detail17trampoline_kernelINS0_14default_configENS1_27scan_by_key_config_selectorIj11FixedVectorIiLj1EEEEZZNS1_16scan_by_key_implILNS1_25lookback_scan_determinismE0ELb1ES3_N6thrust23THRUST_200600_302600_NS6detail15normal_iteratorINSB_10device_ptrIjEEEENSD_INSE_IS6_EEEESI_S6_NSB_4plusIvEENSB_8equal_toIvEES6_EE10hipError_tPvRmT2_T3_T4_T5_mT6_T7_P12ihipStream_tbENKUlT_T0_E_clISt17integral_constantIbLb1EES12_IbLb0EEEEDaSY_SZ_EUlSY_E_NS1_11comp_targetILNS1_3genE8ELNS1_11target_archE1030ELNS1_3gpuE2ELNS1_3repE0EEENS1_30default_config_static_selectorELNS0_4arch9wavefront6targetE0EEEvT1_,@function
_ZN7rocprim17ROCPRIM_400000_NS6detail17trampoline_kernelINS0_14default_configENS1_27scan_by_key_config_selectorIj11FixedVectorIiLj1EEEEZZNS1_16scan_by_key_implILNS1_25lookback_scan_determinismE0ELb1ES3_N6thrust23THRUST_200600_302600_NS6detail15normal_iteratorINSB_10device_ptrIjEEEENSD_INSE_IS6_EEEESI_S6_NSB_4plusIvEENSB_8equal_toIvEES6_EE10hipError_tPvRmT2_T3_T4_T5_mT6_T7_P12ihipStream_tbENKUlT_T0_E_clISt17integral_constantIbLb1EES12_IbLb0EEEEDaSY_SZ_EUlSY_E_NS1_11comp_targetILNS1_3genE8ELNS1_11target_archE1030ELNS1_3gpuE2ELNS1_3repE0EEENS1_30default_config_static_selectorELNS0_4arch9wavefront6targetE0EEEvT1_: ; @_ZN7rocprim17ROCPRIM_400000_NS6detail17trampoline_kernelINS0_14default_configENS1_27scan_by_key_config_selectorIj11FixedVectorIiLj1EEEEZZNS1_16scan_by_key_implILNS1_25lookback_scan_determinismE0ELb1ES3_N6thrust23THRUST_200600_302600_NS6detail15normal_iteratorINSB_10device_ptrIjEEEENSD_INSE_IS6_EEEESI_S6_NSB_4plusIvEENSB_8equal_toIvEES6_EE10hipError_tPvRmT2_T3_T4_T5_mT6_T7_P12ihipStream_tbENKUlT_T0_E_clISt17integral_constantIbLb1EES12_IbLb0EEEEDaSY_SZ_EUlSY_E_NS1_11comp_targetILNS1_3genE8ELNS1_11target_archE1030ELNS1_3gpuE2ELNS1_3repE0EEENS1_30default_config_static_selectorELNS0_4arch9wavefront6targetE0EEEvT1_
; %bb.0:
	s_endpgm
	.section	.rodata,"a",@progbits
	.p2align	6, 0x0
	.amdhsa_kernel _ZN7rocprim17ROCPRIM_400000_NS6detail17trampoline_kernelINS0_14default_configENS1_27scan_by_key_config_selectorIj11FixedVectorIiLj1EEEEZZNS1_16scan_by_key_implILNS1_25lookback_scan_determinismE0ELb1ES3_N6thrust23THRUST_200600_302600_NS6detail15normal_iteratorINSB_10device_ptrIjEEEENSD_INSE_IS6_EEEESI_S6_NSB_4plusIvEENSB_8equal_toIvEES6_EE10hipError_tPvRmT2_T3_T4_T5_mT6_T7_P12ihipStream_tbENKUlT_T0_E_clISt17integral_constantIbLb1EES12_IbLb0EEEEDaSY_SZ_EUlSY_E_NS1_11comp_targetILNS1_3genE8ELNS1_11target_archE1030ELNS1_3gpuE2ELNS1_3repE0EEENS1_30default_config_static_selectorELNS0_4arch9wavefront6targetE0EEEvT1_
		.amdhsa_group_segment_fixed_size 0
		.amdhsa_private_segment_fixed_size 0
		.amdhsa_kernarg_size 112
		.amdhsa_user_sgpr_count 6
		.amdhsa_user_sgpr_private_segment_buffer 1
		.amdhsa_user_sgpr_dispatch_ptr 0
		.amdhsa_user_sgpr_queue_ptr 0
		.amdhsa_user_sgpr_kernarg_segment_ptr 1
		.amdhsa_user_sgpr_dispatch_id 0
		.amdhsa_user_sgpr_flat_scratch_init 0
		.amdhsa_user_sgpr_private_segment_size 0
		.amdhsa_wavefront_size32 1
		.amdhsa_uses_dynamic_stack 0
		.amdhsa_system_sgpr_private_segment_wavefront_offset 0
		.amdhsa_system_sgpr_workgroup_id_x 1
		.amdhsa_system_sgpr_workgroup_id_y 0
		.amdhsa_system_sgpr_workgroup_id_z 0
		.amdhsa_system_sgpr_workgroup_info 0
		.amdhsa_system_vgpr_workitem_id 0
		.amdhsa_next_free_vgpr 1
		.amdhsa_next_free_sgpr 1
		.amdhsa_reserve_vcc 0
		.amdhsa_reserve_flat_scratch 0
		.amdhsa_float_round_mode_32 0
		.amdhsa_float_round_mode_16_64 0
		.amdhsa_float_denorm_mode_32 3
		.amdhsa_float_denorm_mode_16_64 3
		.amdhsa_dx10_clamp 1
		.amdhsa_ieee_mode 1
		.amdhsa_fp16_overflow 0
		.amdhsa_workgroup_processor_mode 1
		.amdhsa_memory_ordered 1
		.amdhsa_forward_progress 1
		.amdhsa_shared_vgpr_count 0
		.amdhsa_exception_fp_ieee_invalid_op 0
		.amdhsa_exception_fp_denorm_src 0
		.amdhsa_exception_fp_ieee_div_zero 0
		.amdhsa_exception_fp_ieee_overflow 0
		.amdhsa_exception_fp_ieee_underflow 0
		.amdhsa_exception_fp_ieee_inexact 0
		.amdhsa_exception_int_div_zero 0
	.end_amdhsa_kernel
	.section	.text._ZN7rocprim17ROCPRIM_400000_NS6detail17trampoline_kernelINS0_14default_configENS1_27scan_by_key_config_selectorIj11FixedVectorIiLj1EEEEZZNS1_16scan_by_key_implILNS1_25lookback_scan_determinismE0ELb1ES3_N6thrust23THRUST_200600_302600_NS6detail15normal_iteratorINSB_10device_ptrIjEEEENSD_INSE_IS6_EEEESI_S6_NSB_4plusIvEENSB_8equal_toIvEES6_EE10hipError_tPvRmT2_T3_T4_T5_mT6_T7_P12ihipStream_tbENKUlT_T0_E_clISt17integral_constantIbLb1EES12_IbLb0EEEEDaSY_SZ_EUlSY_E_NS1_11comp_targetILNS1_3genE8ELNS1_11target_archE1030ELNS1_3gpuE2ELNS1_3repE0EEENS1_30default_config_static_selectorELNS0_4arch9wavefront6targetE0EEEvT1_,"axG",@progbits,_ZN7rocprim17ROCPRIM_400000_NS6detail17trampoline_kernelINS0_14default_configENS1_27scan_by_key_config_selectorIj11FixedVectorIiLj1EEEEZZNS1_16scan_by_key_implILNS1_25lookback_scan_determinismE0ELb1ES3_N6thrust23THRUST_200600_302600_NS6detail15normal_iteratorINSB_10device_ptrIjEEEENSD_INSE_IS6_EEEESI_S6_NSB_4plusIvEENSB_8equal_toIvEES6_EE10hipError_tPvRmT2_T3_T4_T5_mT6_T7_P12ihipStream_tbENKUlT_T0_E_clISt17integral_constantIbLb1EES12_IbLb0EEEEDaSY_SZ_EUlSY_E_NS1_11comp_targetILNS1_3genE8ELNS1_11target_archE1030ELNS1_3gpuE2ELNS1_3repE0EEENS1_30default_config_static_selectorELNS0_4arch9wavefront6targetE0EEEvT1_,comdat
.Lfunc_end1937:
	.size	_ZN7rocprim17ROCPRIM_400000_NS6detail17trampoline_kernelINS0_14default_configENS1_27scan_by_key_config_selectorIj11FixedVectorIiLj1EEEEZZNS1_16scan_by_key_implILNS1_25lookback_scan_determinismE0ELb1ES3_N6thrust23THRUST_200600_302600_NS6detail15normal_iteratorINSB_10device_ptrIjEEEENSD_INSE_IS6_EEEESI_S6_NSB_4plusIvEENSB_8equal_toIvEES6_EE10hipError_tPvRmT2_T3_T4_T5_mT6_T7_P12ihipStream_tbENKUlT_T0_E_clISt17integral_constantIbLb1EES12_IbLb0EEEEDaSY_SZ_EUlSY_E_NS1_11comp_targetILNS1_3genE8ELNS1_11target_archE1030ELNS1_3gpuE2ELNS1_3repE0EEENS1_30default_config_static_selectorELNS0_4arch9wavefront6targetE0EEEvT1_, .Lfunc_end1937-_ZN7rocprim17ROCPRIM_400000_NS6detail17trampoline_kernelINS0_14default_configENS1_27scan_by_key_config_selectorIj11FixedVectorIiLj1EEEEZZNS1_16scan_by_key_implILNS1_25lookback_scan_determinismE0ELb1ES3_N6thrust23THRUST_200600_302600_NS6detail15normal_iteratorINSB_10device_ptrIjEEEENSD_INSE_IS6_EEEESI_S6_NSB_4plusIvEENSB_8equal_toIvEES6_EE10hipError_tPvRmT2_T3_T4_T5_mT6_T7_P12ihipStream_tbENKUlT_T0_E_clISt17integral_constantIbLb1EES12_IbLb0EEEEDaSY_SZ_EUlSY_E_NS1_11comp_targetILNS1_3genE8ELNS1_11target_archE1030ELNS1_3gpuE2ELNS1_3repE0EEENS1_30default_config_static_selectorELNS0_4arch9wavefront6targetE0EEEvT1_
                                        ; -- End function
	.set _ZN7rocprim17ROCPRIM_400000_NS6detail17trampoline_kernelINS0_14default_configENS1_27scan_by_key_config_selectorIj11FixedVectorIiLj1EEEEZZNS1_16scan_by_key_implILNS1_25lookback_scan_determinismE0ELb1ES3_N6thrust23THRUST_200600_302600_NS6detail15normal_iteratorINSB_10device_ptrIjEEEENSD_INSE_IS6_EEEESI_S6_NSB_4plusIvEENSB_8equal_toIvEES6_EE10hipError_tPvRmT2_T3_T4_T5_mT6_T7_P12ihipStream_tbENKUlT_T0_E_clISt17integral_constantIbLb1EES12_IbLb0EEEEDaSY_SZ_EUlSY_E_NS1_11comp_targetILNS1_3genE8ELNS1_11target_archE1030ELNS1_3gpuE2ELNS1_3repE0EEENS1_30default_config_static_selectorELNS0_4arch9wavefront6targetE0EEEvT1_.num_vgpr, 0
	.set _ZN7rocprim17ROCPRIM_400000_NS6detail17trampoline_kernelINS0_14default_configENS1_27scan_by_key_config_selectorIj11FixedVectorIiLj1EEEEZZNS1_16scan_by_key_implILNS1_25lookback_scan_determinismE0ELb1ES3_N6thrust23THRUST_200600_302600_NS6detail15normal_iteratorINSB_10device_ptrIjEEEENSD_INSE_IS6_EEEESI_S6_NSB_4plusIvEENSB_8equal_toIvEES6_EE10hipError_tPvRmT2_T3_T4_T5_mT6_T7_P12ihipStream_tbENKUlT_T0_E_clISt17integral_constantIbLb1EES12_IbLb0EEEEDaSY_SZ_EUlSY_E_NS1_11comp_targetILNS1_3genE8ELNS1_11target_archE1030ELNS1_3gpuE2ELNS1_3repE0EEENS1_30default_config_static_selectorELNS0_4arch9wavefront6targetE0EEEvT1_.num_agpr, 0
	.set _ZN7rocprim17ROCPRIM_400000_NS6detail17trampoline_kernelINS0_14default_configENS1_27scan_by_key_config_selectorIj11FixedVectorIiLj1EEEEZZNS1_16scan_by_key_implILNS1_25lookback_scan_determinismE0ELb1ES3_N6thrust23THRUST_200600_302600_NS6detail15normal_iteratorINSB_10device_ptrIjEEEENSD_INSE_IS6_EEEESI_S6_NSB_4plusIvEENSB_8equal_toIvEES6_EE10hipError_tPvRmT2_T3_T4_T5_mT6_T7_P12ihipStream_tbENKUlT_T0_E_clISt17integral_constantIbLb1EES12_IbLb0EEEEDaSY_SZ_EUlSY_E_NS1_11comp_targetILNS1_3genE8ELNS1_11target_archE1030ELNS1_3gpuE2ELNS1_3repE0EEENS1_30default_config_static_selectorELNS0_4arch9wavefront6targetE0EEEvT1_.numbered_sgpr, 0
	.set _ZN7rocprim17ROCPRIM_400000_NS6detail17trampoline_kernelINS0_14default_configENS1_27scan_by_key_config_selectorIj11FixedVectorIiLj1EEEEZZNS1_16scan_by_key_implILNS1_25lookback_scan_determinismE0ELb1ES3_N6thrust23THRUST_200600_302600_NS6detail15normal_iteratorINSB_10device_ptrIjEEEENSD_INSE_IS6_EEEESI_S6_NSB_4plusIvEENSB_8equal_toIvEES6_EE10hipError_tPvRmT2_T3_T4_T5_mT6_T7_P12ihipStream_tbENKUlT_T0_E_clISt17integral_constantIbLb1EES12_IbLb0EEEEDaSY_SZ_EUlSY_E_NS1_11comp_targetILNS1_3genE8ELNS1_11target_archE1030ELNS1_3gpuE2ELNS1_3repE0EEENS1_30default_config_static_selectorELNS0_4arch9wavefront6targetE0EEEvT1_.num_named_barrier, 0
	.set _ZN7rocprim17ROCPRIM_400000_NS6detail17trampoline_kernelINS0_14default_configENS1_27scan_by_key_config_selectorIj11FixedVectorIiLj1EEEEZZNS1_16scan_by_key_implILNS1_25lookback_scan_determinismE0ELb1ES3_N6thrust23THRUST_200600_302600_NS6detail15normal_iteratorINSB_10device_ptrIjEEEENSD_INSE_IS6_EEEESI_S6_NSB_4plusIvEENSB_8equal_toIvEES6_EE10hipError_tPvRmT2_T3_T4_T5_mT6_T7_P12ihipStream_tbENKUlT_T0_E_clISt17integral_constantIbLb1EES12_IbLb0EEEEDaSY_SZ_EUlSY_E_NS1_11comp_targetILNS1_3genE8ELNS1_11target_archE1030ELNS1_3gpuE2ELNS1_3repE0EEENS1_30default_config_static_selectorELNS0_4arch9wavefront6targetE0EEEvT1_.private_seg_size, 0
	.set _ZN7rocprim17ROCPRIM_400000_NS6detail17trampoline_kernelINS0_14default_configENS1_27scan_by_key_config_selectorIj11FixedVectorIiLj1EEEEZZNS1_16scan_by_key_implILNS1_25lookback_scan_determinismE0ELb1ES3_N6thrust23THRUST_200600_302600_NS6detail15normal_iteratorINSB_10device_ptrIjEEEENSD_INSE_IS6_EEEESI_S6_NSB_4plusIvEENSB_8equal_toIvEES6_EE10hipError_tPvRmT2_T3_T4_T5_mT6_T7_P12ihipStream_tbENKUlT_T0_E_clISt17integral_constantIbLb1EES12_IbLb0EEEEDaSY_SZ_EUlSY_E_NS1_11comp_targetILNS1_3genE8ELNS1_11target_archE1030ELNS1_3gpuE2ELNS1_3repE0EEENS1_30default_config_static_selectorELNS0_4arch9wavefront6targetE0EEEvT1_.uses_vcc, 0
	.set _ZN7rocprim17ROCPRIM_400000_NS6detail17trampoline_kernelINS0_14default_configENS1_27scan_by_key_config_selectorIj11FixedVectorIiLj1EEEEZZNS1_16scan_by_key_implILNS1_25lookback_scan_determinismE0ELb1ES3_N6thrust23THRUST_200600_302600_NS6detail15normal_iteratorINSB_10device_ptrIjEEEENSD_INSE_IS6_EEEESI_S6_NSB_4plusIvEENSB_8equal_toIvEES6_EE10hipError_tPvRmT2_T3_T4_T5_mT6_T7_P12ihipStream_tbENKUlT_T0_E_clISt17integral_constantIbLb1EES12_IbLb0EEEEDaSY_SZ_EUlSY_E_NS1_11comp_targetILNS1_3genE8ELNS1_11target_archE1030ELNS1_3gpuE2ELNS1_3repE0EEENS1_30default_config_static_selectorELNS0_4arch9wavefront6targetE0EEEvT1_.uses_flat_scratch, 0
	.set _ZN7rocprim17ROCPRIM_400000_NS6detail17trampoline_kernelINS0_14default_configENS1_27scan_by_key_config_selectorIj11FixedVectorIiLj1EEEEZZNS1_16scan_by_key_implILNS1_25lookback_scan_determinismE0ELb1ES3_N6thrust23THRUST_200600_302600_NS6detail15normal_iteratorINSB_10device_ptrIjEEEENSD_INSE_IS6_EEEESI_S6_NSB_4plusIvEENSB_8equal_toIvEES6_EE10hipError_tPvRmT2_T3_T4_T5_mT6_T7_P12ihipStream_tbENKUlT_T0_E_clISt17integral_constantIbLb1EES12_IbLb0EEEEDaSY_SZ_EUlSY_E_NS1_11comp_targetILNS1_3genE8ELNS1_11target_archE1030ELNS1_3gpuE2ELNS1_3repE0EEENS1_30default_config_static_selectorELNS0_4arch9wavefront6targetE0EEEvT1_.has_dyn_sized_stack, 0
	.set _ZN7rocprim17ROCPRIM_400000_NS6detail17trampoline_kernelINS0_14default_configENS1_27scan_by_key_config_selectorIj11FixedVectorIiLj1EEEEZZNS1_16scan_by_key_implILNS1_25lookback_scan_determinismE0ELb1ES3_N6thrust23THRUST_200600_302600_NS6detail15normal_iteratorINSB_10device_ptrIjEEEENSD_INSE_IS6_EEEESI_S6_NSB_4plusIvEENSB_8equal_toIvEES6_EE10hipError_tPvRmT2_T3_T4_T5_mT6_T7_P12ihipStream_tbENKUlT_T0_E_clISt17integral_constantIbLb1EES12_IbLb0EEEEDaSY_SZ_EUlSY_E_NS1_11comp_targetILNS1_3genE8ELNS1_11target_archE1030ELNS1_3gpuE2ELNS1_3repE0EEENS1_30default_config_static_selectorELNS0_4arch9wavefront6targetE0EEEvT1_.has_recursion, 0
	.set _ZN7rocprim17ROCPRIM_400000_NS6detail17trampoline_kernelINS0_14default_configENS1_27scan_by_key_config_selectorIj11FixedVectorIiLj1EEEEZZNS1_16scan_by_key_implILNS1_25lookback_scan_determinismE0ELb1ES3_N6thrust23THRUST_200600_302600_NS6detail15normal_iteratorINSB_10device_ptrIjEEEENSD_INSE_IS6_EEEESI_S6_NSB_4plusIvEENSB_8equal_toIvEES6_EE10hipError_tPvRmT2_T3_T4_T5_mT6_T7_P12ihipStream_tbENKUlT_T0_E_clISt17integral_constantIbLb1EES12_IbLb0EEEEDaSY_SZ_EUlSY_E_NS1_11comp_targetILNS1_3genE8ELNS1_11target_archE1030ELNS1_3gpuE2ELNS1_3repE0EEENS1_30default_config_static_selectorELNS0_4arch9wavefront6targetE0EEEvT1_.has_indirect_call, 0
	.section	.AMDGPU.csdata,"",@progbits
; Kernel info:
; codeLenInByte = 4
; TotalNumSgprs: 0
; NumVgprs: 0
; ScratchSize: 0
; MemoryBound: 0
; FloatMode: 240
; IeeeMode: 1
; LDSByteSize: 0 bytes/workgroup (compile time only)
; SGPRBlocks: 0
; VGPRBlocks: 0
; NumSGPRsForWavesPerEU: 1
; NumVGPRsForWavesPerEU: 1
; Occupancy: 16
; WaveLimiterHint : 0
; COMPUTE_PGM_RSRC2:SCRATCH_EN: 0
; COMPUTE_PGM_RSRC2:USER_SGPR: 6
; COMPUTE_PGM_RSRC2:TRAP_HANDLER: 0
; COMPUTE_PGM_RSRC2:TGID_X_EN: 1
; COMPUTE_PGM_RSRC2:TGID_Y_EN: 0
; COMPUTE_PGM_RSRC2:TGID_Z_EN: 0
; COMPUTE_PGM_RSRC2:TIDIG_COMP_CNT: 0
	.section	.text._ZN7rocprim17ROCPRIM_400000_NS6detail17trampoline_kernelINS0_14default_configENS1_27scan_by_key_config_selectorIj11FixedVectorIiLj1EEEEZZNS1_16scan_by_key_implILNS1_25lookback_scan_determinismE0ELb1ES3_N6thrust23THRUST_200600_302600_NS6detail15normal_iteratorINSB_10device_ptrIjEEEENSD_INSE_IS6_EEEESI_S6_NSB_4plusIvEENSB_8equal_toIvEES6_EE10hipError_tPvRmT2_T3_T4_T5_mT6_T7_P12ihipStream_tbENKUlT_T0_E_clISt17integral_constantIbLb0EES12_IbLb1EEEEDaSY_SZ_EUlSY_E_NS1_11comp_targetILNS1_3genE0ELNS1_11target_archE4294967295ELNS1_3gpuE0ELNS1_3repE0EEENS1_30default_config_static_selectorELNS0_4arch9wavefront6targetE0EEEvT1_,"axG",@progbits,_ZN7rocprim17ROCPRIM_400000_NS6detail17trampoline_kernelINS0_14default_configENS1_27scan_by_key_config_selectorIj11FixedVectorIiLj1EEEEZZNS1_16scan_by_key_implILNS1_25lookback_scan_determinismE0ELb1ES3_N6thrust23THRUST_200600_302600_NS6detail15normal_iteratorINSB_10device_ptrIjEEEENSD_INSE_IS6_EEEESI_S6_NSB_4plusIvEENSB_8equal_toIvEES6_EE10hipError_tPvRmT2_T3_T4_T5_mT6_T7_P12ihipStream_tbENKUlT_T0_E_clISt17integral_constantIbLb0EES12_IbLb1EEEEDaSY_SZ_EUlSY_E_NS1_11comp_targetILNS1_3genE0ELNS1_11target_archE4294967295ELNS1_3gpuE0ELNS1_3repE0EEENS1_30default_config_static_selectorELNS0_4arch9wavefront6targetE0EEEvT1_,comdat
	.protected	_ZN7rocprim17ROCPRIM_400000_NS6detail17trampoline_kernelINS0_14default_configENS1_27scan_by_key_config_selectorIj11FixedVectorIiLj1EEEEZZNS1_16scan_by_key_implILNS1_25lookback_scan_determinismE0ELb1ES3_N6thrust23THRUST_200600_302600_NS6detail15normal_iteratorINSB_10device_ptrIjEEEENSD_INSE_IS6_EEEESI_S6_NSB_4plusIvEENSB_8equal_toIvEES6_EE10hipError_tPvRmT2_T3_T4_T5_mT6_T7_P12ihipStream_tbENKUlT_T0_E_clISt17integral_constantIbLb0EES12_IbLb1EEEEDaSY_SZ_EUlSY_E_NS1_11comp_targetILNS1_3genE0ELNS1_11target_archE4294967295ELNS1_3gpuE0ELNS1_3repE0EEENS1_30default_config_static_selectorELNS0_4arch9wavefront6targetE0EEEvT1_ ; -- Begin function _ZN7rocprim17ROCPRIM_400000_NS6detail17trampoline_kernelINS0_14default_configENS1_27scan_by_key_config_selectorIj11FixedVectorIiLj1EEEEZZNS1_16scan_by_key_implILNS1_25lookback_scan_determinismE0ELb1ES3_N6thrust23THRUST_200600_302600_NS6detail15normal_iteratorINSB_10device_ptrIjEEEENSD_INSE_IS6_EEEESI_S6_NSB_4plusIvEENSB_8equal_toIvEES6_EE10hipError_tPvRmT2_T3_T4_T5_mT6_T7_P12ihipStream_tbENKUlT_T0_E_clISt17integral_constantIbLb0EES12_IbLb1EEEEDaSY_SZ_EUlSY_E_NS1_11comp_targetILNS1_3genE0ELNS1_11target_archE4294967295ELNS1_3gpuE0ELNS1_3repE0EEENS1_30default_config_static_selectorELNS0_4arch9wavefront6targetE0EEEvT1_
	.globl	_ZN7rocprim17ROCPRIM_400000_NS6detail17trampoline_kernelINS0_14default_configENS1_27scan_by_key_config_selectorIj11FixedVectorIiLj1EEEEZZNS1_16scan_by_key_implILNS1_25lookback_scan_determinismE0ELb1ES3_N6thrust23THRUST_200600_302600_NS6detail15normal_iteratorINSB_10device_ptrIjEEEENSD_INSE_IS6_EEEESI_S6_NSB_4plusIvEENSB_8equal_toIvEES6_EE10hipError_tPvRmT2_T3_T4_T5_mT6_T7_P12ihipStream_tbENKUlT_T0_E_clISt17integral_constantIbLb0EES12_IbLb1EEEEDaSY_SZ_EUlSY_E_NS1_11comp_targetILNS1_3genE0ELNS1_11target_archE4294967295ELNS1_3gpuE0ELNS1_3repE0EEENS1_30default_config_static_selectorELNS0_4arch9wavefront6targetE0EEEvT1_
	.p2align	8
	.type	_ZN7rocprim17ROCPRIM_400000_NS6detail17trampoline_kernelINS0_14default_configENS1_27scan_by_key_config_selectorIj11FixedVectorIiLj1EEEEZZNS1_16scan_by_key_implILNS1_25lookback_scan_determinismE0ELb1ES3_N6thrust23THRUST_200600_302600_NS6detail15normal_iteratorINSB_10device_ptrIjEEEENSD_INSE_IS6_EEEESI_S6_NSB_4plusIvEENSB_8equal_toIvEES6_EE10hipError_tPvRmT2_T3_T4_T5_mT6_T7_P12ihipStream_tbENKUlT_T0_E_clISt17integral_constantIbLb0EES12_IbLb1EEEEDaSY_SZ_EUlSY_E_NS1_11comp_targetILNS1_3genE0ELNS1_11target_archE4294967295ELNS1_3gpuE0ELNS1_3repE0EEENS1_30default_config_static_selectorELNS0_4arch9wavefront6targetE0EEEvT1_,@function
_ZN7rocprim17ROCPRIM_400000_NS6detail17trampoline_kernelINS0_14default_configENS1_27scan_by_key_config_selectorIj11FixedVectorIiLj1EEEEZZNS1_16scan_by_key_implILNS1_25lookback_scan_determinismE0ELb1ES3_N6thrust23THRUST_200600_302600_NS6detail15normal_iteratorINSB_10device_ptrIjEEEENSD_INSE_IS6_EEEESI_S6_NSB_4plusIvEENSB_8equal_toIvEES6_EE10hipError_tPvRmT2_T3_T4_T5_mT6_T7_P12ihipStream_tbENKUlT_T0_E_clISt17integral_constantIbLb0EES12_IbLb1EEEEDaSY_SZ_EUlSY_E_NS1_11comp_targetILNS1_3genE0ELNS1_11target_archE4294967295ELNS1_3gpuE0ELNS1_3repE0EEENS1_30default_config_static_selectorELNS0_4arch9wavefront6targetE0EEEvT1_: ; @_ZN7rocprim17ROCPRIM_400000_NS6detail17trampoline_kernelINS0_14default_configENS1_27scan_by_key_config_selectorIj11FixedVectorIiLj1EEEEZZNS1_16scan_by_key_implILNS1_25lookback_scan_determinismE0ELb1ES3_N6thrust23THRUST_200600_302600_NS6detail15normal_iteratorINSB_10device_ptrIjEEEENSD_INSE_IS6_EEEESI_S6_NSB_4plusIvEENSB_8equal_toIvEES6_EE10hipError_tPvRmT2_T3_T4_T5_mT6_T7_P12ihipStream_tbENKUlT_T0_E_clISt17integral_constantIbLb0EES12_IbLb1EEEEDaSY_SZ_EUlSY_E_NS1_11comp_targetILNS1_3genE0ELNS1_11target_archE4294967295ELNS1_3gpuE0ELNS1_3repE0EEENS1_30default_config_static_selectorELNS0_4arch9wavefront6targetE0EEEvT1_
; %bb.0:
	.section	.rodata,"a",@progbits
	.p2align	6, 0x0
	.amdhsa_kernel _ZN7rocprim17ROCPRIM_400000_NS6detail17trampoline_kernelINS0_14default_configENS1_27scan_by_key_config_selectorIj11FixedVectorIiLj1EEEEZZNS1_16scan_by_key_implILNS1_25lookback_scan_determinismE0ELb1ES3_N6thrust23THRUST_200600_302600_NS6detail15normal_iteratorINSB_10device_ptrIjEEEENSD_INSE_IS6_EEEESI_S6_NSB_4plusIvEENSB_8equal_toIvEES6_EE10hipError_tPvRmT2_T3_T4_T5_mT6_T7_P12ihipStream_tbENKUlT_T0_E_clISt17integral_constantIbLb0EES12_IbLb1EEEEDaSY_SZ_EUlSY_E_NS1_11comp_targetILNS1_3genE0ELNS1_11target_archE4294967295ELNS1_3gpuE0ELNS1_3repE0EEENS1_30default_config_static_selectorELNS0_4arch9wavefront6targetE0EEEvT1_
		.amdhsa_group_segment_fixed_size 0
		.amdhsa_private_segment_fixed_size 0
		.amdhsa_kernarg_size 112
		.amdhsa_user_sgpr_count 6
		.amdhsa_user_sgpr_private_segment_buffer 1
		.amdhsa_user_sgpr_dispatch_ptr 0
		.amdhsa_user_sgpr_queue_ptr 0
		.amdhsa_user_sgpr_kernarg_segment_ptr 1
		.amdhsa_user_sgpr_dispatch_id 0
		.amdhsa_user_sgpr_flat_scratch_init 0
		.amdhsa_user_sgpr_private_segment_size 0
		.amdhsa_wavefront_size32 1
		.amdhsa_uses_dynamic_stack 0
		.amdhsa_system_sgpr_private_segment_wavefront_offset 0
		.amdhsa_system_sgpr_workgroup_id_x 1
		.amdhsa_system_sgpr_workgroup_id_y 0
		.amdhsa_system_sgpr_workgroup_id_z 0
		.amdhsa_system_sgpr_workgroup_info 0
		.amdhsa_system_vgpr_workitem_id 0
		.amdhsa_next_free_vgpr 1
		.amdhsa_next_free_sgpr 1
		.amdhsa_reserve_vcc 0
		.amdhsa_reserve_flat_scratch 0
		.amdhsa_float_round_mode_32 0
		.amdhsa_float_round_mode_16_64 0
		.amdhsa_float_denorm_mode_32 3
		.amdhsa_float_denorm_mode_16_64 3
		.amdhsa_dx10_clamp 1
		.amdhsa_ieee_mode 1
		.amdhsa_fp16_overflow 0
		.amdhsa_workgroup_processor_mode 1
		.amdhsa_memory_ordered 1
		.amdhsa_forward_progress 1
		.amdhsa_shared_vgpr_count 0
		.amdhsa_exception_fp_ieee_invalid_op 0
		.amdhsa_exception_fp_denorm_src 0
		.amdhsa_exception_fp_ieee_div_zero 0
		.amdhsa_exception_fp_ieee_overflow 0
		.amdhsa_exception_fp_ieee_underflow 0
		.amdhsa_exception_fp_ieee_inexact 0
		.amdhsa_exception_int_div_zero 0
	.end_amdhsa_kernel
	.section	.text._ZN7rocprim17ROCPRIM_400000_NS6detail17trampoline_kernelINS0_14default_configENS1_27scan_by_key_config_selectorIj11FixedVectorIiLj1EEEEZZNS1_16scan_by_key_implILNS1_25lookback_scan_determinismE0ELb1ES3_N6thrust23THRUST_200600_302600_NS6detail15normal_iteratorINSB_10device_ptrIjEEEENSD_INSE_IS6_EEEESI_S6_NSB_4plusIvEENSB_8equal_toIvEES6_EE10hipError_tPvRmT2_T3_T4_T5_mT6_T7_P12ihipStream_tbENKUlT_T0_E_clISt17integral_constantIbLb0EES12_IbLb1EEEEDaSY_SZ_EUlSY_E_NS1_11comp_targetILNS1_3genE0ELNS1_11target_archE4294967295ELNS1_3gpuE0ELNS1_3repE0EEENS1_30default_config_static_selectorELNS0_4arch9wavefront6targetE0EEEvT1_,"axG",@progbits,_ZN7rocprim17ROCPRIM_400000_NS6detail17trampoline_kernelINS0_14default_configENS1_27scan_by_key_config_selectorIj11FixedVectorIiLj1EEEEZZNS1_16scan_by_key_implILNS1_25lookback_scan_determinismE0ELb1ES3_N6thrust23THRUST_200600_302600_NS6detail15normal_iteratorINSB_10device_ptrIjEEEENSD_INSE_IS6_EEEESI_S6_NSB_4plusIvEENSB_8equal_toIvEES6_EE10hipError_tPvRmT2_T3_T4_T5_mT6_T7_P12ihipStream_tbENKUlT_T0_E_clISt17integral_constantIbLb0EES12_IbLb1EEEEDaSY_SZ_EUlSY_E_NS1_11comp_targetILNS1_3genE0ELNS1_11target_archE4294967295ELNS1_3gpuE0ELNS1_3repE0EEENS1_30default_config_static_selectorELNS0_4arch9wavefront6targetE0EEEvT1_,comdat
.Lfunc_end1938:
	.size	_ZN7rocprim17ROCPRIM_400000_NS6detail17trampoline_kernelINS0_14default_configENS1_27scan_by_key_config_selectorIj11FixedVectorIiLj1EEEEZZNS1_16scan_by_key_implILNS1_25lookback_scan_determinismE0ELb1ES3_N6thrust23THRUST_200600_302600_NS6detail15normal_iteratorINSB_10device_ptrIjEEEENSD_INSE_IS6_EEEESI_S6_NSB_4plusIvEENSB_8equal_toIvEES6_EE10hipError_tPvRmT2_T3_T4_T5_mT6_T7_P12ihipStream_tbENKUlT_T0_E_clISt17integral_constantIbLb0EES12_IbLb1EEEEDaSY_SZ_EUlSY_E_NS1_11comp_targetILNS1_3genE0ELNS1_11target_archE4294967295ELNS1_3gpuE0ELNS1_3repE0EEENS1_30default_config_static_selectorELNS0_4arch9wavefront6targetE0EEEvT1_, .Lfunc_end1938-_ZN7rocprim17ROCPRIM_400000_NS6detail17trampoline_kernelINS0_14default_configENS1_27scan_by_key_config_selectorIj11FixedVectorIiLj1EEEEZZNS1_16scan_by_key_implILNS1_25lookback_scan_determinismE0ELb1ES3_N6thrust23THRUST_200600_302600_NS6detail15normal_iteratorINSB_10device_ptrIjEEEENSD_INSE_IS6_EEEESI_S6_NSB_4plusIvEENSB_8equal_toIvEES6_EE10hipError_tPvRmT2_T3_T4_T5_mT6_T7_P12ihipStream_tbENKUlT_T0_E_clISt17integral_constantIbLb0EES12_IbLb1EEEEDaSY_SZ_EUlSY_E_NS1_11comp_targetILNS1_3genE0ELNS1_11target_archE4294967295ELNS1_3gpuE0ELNS1_3repE0EEENS1_30default_config_static_selectorELNS0_4arch9wavefront6targetE0EEEvT1_
                                        ; -- End function
	.set _ZN7rocprim17ROCPRIM_400000_NS6detail17trampoline_kernelINS0_14default_configENS1_27scan_by_key_config_selectorIj11FixedVectorIiLj1EEEEZZNS1_16scan_by_key_implILNS1_25lookback_scan_determinismE0ELb1ES3_N6thrust23THRUST_200600_302600_NS6detail15normal_iteratorINSB_10device_ptrIjEEEENSD_INSE_IS6_EEEESI_S6_NSB_4plusIvEENSB_8equal_toIvEES6_EE10hipError_tPvRmT2_T3_T4_T5_mT6_T7_P12ihipStream_tbENKUlT_T0_E_clISt17integral_constantIbLb0EES12_IbLb1EEEEDaSY_SZ_EUlSY_E_NS1_11comp_targetILNS1_3genE0ELNS1_11target_archE4294967295ELNS1_3gpuE0ELNS1_3repE0EEENS1_30default_config_static_selectorELNS0_4arch9wavefront6targetE0EEEvT1_.num_vgpr, 0
	.set _ZN7rocprim17ROCPRIM_400000_NS6detail17trampoline_kernelINS0_14default_configENS1_27scan_by_key_config_selectorIj11FixedVectorIiLj1EEEEZZNS1_16scan_by_key_implILNS1_25lookback_scan_determinismE0ELb1ES3_N6thrust23THRUST_200600_302600_NS6detail15normal_iteratorINSB_10device_ptrIjEEEENSD_INSE_IS6_EEEESI_S6_NSB_4plusIvEENSB_8equal_toIvEES6_EE10hipError_tPvRmT2_T3_T4_T5_mT6_T7_P12ihipStream_tbENKUlT_T0_E_clISt17integral_constantIbLb0EES12_IbLb1EEEEDaSY_SZ_EUlSY_E_NS1_11comp_targetILNS1_3genE0ELNS1_11target_archE4294967295ELNS1_3gpuE0ELNS1_3repE0EEENS1_30default_config_static_selectorELNS0_4arch9wavefront6targetE0EEEvT1_.num_agpr, 0
	.set _ZN7rocprim17ROCPRIM_400000_NS6detail17trampoline_kernelINS0_14default_configENS1_27scan_by_key_config_selectorIj11FixedVectorIiLj1EEEEZZNS1_16scan_by_key_implILNS1_25lookback_scan_determinismE0ELb1ES3_N6thrust23THRUST_200600_302600_NS6detail15normal_iteratorINSB_10device_ptrIjEEEENSD_INSE_IS6_EEEESI_S6_NSB_4plusIvEENSB_8equal_toIvEES6_EE10hipError_tPvRmT2_T3_T4_T5_mT6_T7_P12ihipStream_tbENKUlT_T0_E_clISt17integral_constantIbLb0EES12_IbLb1EEEEDaSY_SZ_EUlSY_E_NS1_11comp_targetILNS1_3genE0ELNS1_11target_archE4294967295ELNS1_3gpuE0ELNS1_3repE0EEENS1_30default_config_static_selectorELNS0_4arch9wavefront6targetE0EEEvT1_.numbered_sgpr, 0
	.set _ZN7rocprim17ROCPRIM_400000_NS6detail17trampoline_kernelINS0_14default_configENS1_27scan_by_key_config_selectorIj11FixedVectorIiLj1EEEEZZNS1_16scan_by_key_implILNS1_25lookback_scan_determinismE0ELb1ES3_N6thrust23THRUST_200600_302600_NS6detail15normal_iteratorINSB_10device_ptrIjEEEENSD_INSE_IS6_EEEESI_S6_NSB_4plusIvEENSB_8equal_toIvEES6_EE10hipError_tPvRmT2_T3_T4_T5_mT6_T7_P12ihipStream_tbENKUlT_T0_E_clISt17integral_constantIbLb0EES12_IbLb1EEEEDaSY_SZ_EUlSY_E_NS1_11comp_targetILNS1_3genE0ELNS1_11target_archE4294967295ELNS1_3gpuE0ELNS1_3repE0EEENS1_30default_config_static_selectorELNS0_4arch9wavefront6targetE0EEEvT1_.num_named_barrier, 0
	.set _ZN7rocprim17ROCPRIM_400000_NS6detail17trampoline_kernelINS0_14default_configENS1_27scan_by_key_config_selectorIj11FixedVectorIiLj1EEEEZZNS1_16scan_by_key_implILNS1_25lookback_scan_determinismE0ELb1ES3_N6thrust23THRUST_200600_302600_NS6detail15normal_iteratorINSB_10device_ptrIjEEEENSD_INSE_IS6_EEEESI_S6_NSB_4plusIvEENSB_8equal_toIvEES6_EE10hipError_tPvRmT2_T3_T4_T5_mT6_T7_P12ihipStream_tbENKUlT_T0_E_clISt17integral_constantIbLb0EES12_IbLb1EEEEDaSY_SZ_EUlSY_E_NS1_11comp_targetILNS1_3genE0ELNS1_11target_archE4294967295ELNS1_3gpuE0ELNS1_3repE0EEENS1_30default_config_static_selectorELNS0_4arch9wavefront6targetE0EEEvT1_.private_seg_size, 0
	.set _ZN7rocprim17ROCPRIM_400000_NS6detail17trampoline_kernelINS0_14default_configENS1_27scan_by_key_config_selectorIj11FixedVectorIiLj1EEEEZZNS1_16scan_by_key_implILNS1_25lookback_scan_determinismE0ELb1ES3_N6thrust23THRUST_200600_302600_NS6detail15normal_iteratorINSB_10device_ptrIjEEEENSD_INSE_IS6_EEEESI_S6_NSB_4plusIvEENSB_8equal_toIvEES6_EE10hipError_tPvRmT2_T3_T4_T5_mT6_T7_P12ihipStream_tbENKUlT_T0_E_clISt17integral_constantIbLb0EES12_IbLb1EEEEDaSY_SZ_EUlSY_E_NS1_11comp_targetILNS1_3genE0ELNS1_11target_archE4294967295ELNS1_3gpuE0ELNS1_3repE0EEENS1_30default_config_static_selectorELNS0_4arch9wavefront6targetE0EEEvT1_.uses_vcc, 0
	.set _ZN7rocprim17ROCPRIM_400000_NS6detail17trampoline_kernelINS0_14default_configENS1_27scan_by_key_config_selectorIj11FixedVectorIiLj1EEEEZZNS1_16scan_by_key_implILNS1_25lookback_scan_determinismE0ELb1ES3_N6thrust23THRUST_200600_302600_NS6detail15normal_iteratorINSB_10device_ptrIjEEEENSD_INSE_IS6_EEEESI_S6_NSB_4plusIvEENSB_8equal_toIvEES6_EE10hipError_tPvRmT2_T3_T4_T5_mT6_T7_P12ihipStream_tbENKUlT_T0_E_clISt17integral_constantIbLb0EES12_IbLb1EEEEDaSY_SZ_EUlSY_E_NS1_11comp_targetILNS1_3genE0ELNS1_11target_archE4294967295ELNS1_3gpuE0ELNS1_3repE0EEENS1_30default_config_static_selectorELNS0_4arch9wavefront6targetE0EEEvT1_.uses_flat_scratch, 0
	.set _ZN7rocprim17ROCPRIM_400000_NS6detail17trampoline_kernelINS0_14default_configENS1_27scan_by_key_config_selectorIj11FixedVectorIiLj1EEEEZZNS1_16scan_by_key_implILNS1_25lookback_scan_determinismE0ELb1ES3_N6thrust23THRUST_200600_302600_NS6detail15normal_iteratorINSB_10device_ptrIjEEEENSD_INSE_IS6_EEEESI_S6_NSB_4plusIvEENSB_8equal_toIvEES6_EE10hipError_tPvRmT2_T3_T4_T5_mT6_T7_P12ihipStream_tbENKUlT_T0_E_clISt17integral_constantIbLb0EES12_IbLb1EEEEDaSY_SZ_EUlSY_E_NS1_11comp_targetILNS1_3genE0ELNS1_11target_archE4294967295ELNS1_3gpuE0ELNS1_3repE0EEENS1_30default_config_static_selectorELNS0_4arch9wavefront6targetE0EEEvT1_.has_dyn_sized_stack, 0
	.set _ZN7rocprim17ROCPRIM_400000_NS6detail17trampoline_kernelINS0_14default_configENS1_27scan_by_key_config_selectorIj11FixedVectorIiLj1EEEEZZNS1_16scan_by_key_implILNS1_25lookback_scan_determinismE0ELb1ES3_N6thrust23THRUST_200600_302600_NS6detail15normal_iteratorINSB_10device_ptrIjEEEENSD_INSE_IS6_EEEESI_S6_NSB_4plusIvEENSB_8equal_toIvEES6_EE10hipError_tPvRmT2_T3_T4_T5_mT6_T7_P12ihipStream_tbENKUlT_T0_E_clISt17integral_constantIbLb0EES12_IbLb1EEEEDaSY_SZ_EUlSY_E_NS1_11comp_targetILNS1_3genE0ELNS1_11target_archE4294967295ELNS1_3gpuE0ELNS1_3repE0EEENS1_30default_config_static_selectorELNS0_4arch9wavefront6targetE0EEEvT1_.has_recursion, 0
	.set _ZN7rocprim17ROCPRIM_400000_NS6detail17trampoline_kernelINS0_14default_configENS1_27scan_by_key_config_selectorIj11FixedVectorIiLj1EEEEZZNS1_16scan_by_key_implILNS1_25lookback_scan_determinismE0ELb1ES3_N6thrust23THRUST_200600_302600_NS6detail15normal_iteratorINSB_10device_ptrIjEEEENSD_INSE_IS6_EEEESI_S6_NSB_4plusIvEENSB_8equal_toIvEES6_EE10hipError_tPvRmT2_T3_T4_T5_mT6_T7_P12ihipStream_tbENKUlT_T0_E_clISt17integral_constantIbLb0EES12_IbLb1EEEEDaSY_SZ_EUlSY_E_NS1_11comp_targetILNS1_3genE0ELNS1_11target_archE4294967295ELNS1_3gpuE0ELNS1_3repE0EEENS1_30default_config_static_selectorELNS0_4arch9wavefront6targetE0EEEvT1_.has_indirect_call, 0
	.section	.AMDGPU.csdata,"",@progbits
; Kernel info:
; codeLenInByte = 0
; TotalNumSgprs: 0
; NumVgprs: 0
; ScratchSize: 0
; MemoryBound: 0
; FloatMode: 240
; IeeeMode: 1
; LDSByteSize: 0 bytes/workgroup (compile time only)
; SGPRBlocks: 0
; VGPRBlocks: 0
; NumSGPRsForWavesPerEU: 1
; NumVGPRsForWavesPerEU: 1
; Occupancy: 16
; WaveLimiterHint : 0
; COMPUTE_PGM_RSRC2:SCRATCH_EN: 0
; COMPUTE_PGM_RSRC2:USER_SGPR: 6
; COMPUTE_PGM_RSRC2:TRAP_HANDLER: 0
; COMPUTE_PGM_RSRC2:TGID_X_EN: 1
; COMPUTE_PGM_RSRC2:TGID_Y_EN: 0
; COMPUTE_PGM_RSRC2:TGID_Z_EN: 0
; COMPUTE_PGM_RSRC2:TIDIG_COMP_CNT: 0
	.section	.text._ZN7rocprim17ROCPRIM_400000_NS6detail17trampoline_kernelINS0_14default_configENS1_27scan_by_key_config_selectorIj11FixedVectorIiLj1EEEEZZNS1_16scan_by_key_implILNS1_25lookback_scan_determinismE0ELb1ES3_N6thrust23THRUST_200600_302600_NS6detail15normal_iteratorINSB_10device_ptrIjEEEENSD_INSE_IS6_EEEESI_S6_NSB_4plusIvEENSB_8equal_toIvEES6_EE10hipError_tPvRmT2_T3_T4_T5_mT6_T7_P12ihipStream_tbENKUlT_T0_E_clISt17integral_constantIbLb0EES12_IbLb1EEEEDaSY_SZ_EUlSY_E_NS1_11comp_targetILNS1_3genE10ELNS1_11target_archE1201ELNS1_3gpuE5ELNS1_3repE0EEENS1_30default_config_static_selectorELNS0_4arch9wavefront6targetE0EEEvT1_,"axG",@progbits,_ZN7rocprim17ROCPRIM_400000_NS6detail17trampoline_kernelINS0_14default_configENS1_27scan_by_key_config_selectorIj11FixedVectorIiLj1EEEEZZNS1_16scan_by_key_implILNS1_25lookback_scan_determinismE0ELb1ES3_N6thrust23THRUST_200600_302600_NS6detail15normal_iteratorINSB_10device_ptrIjEEEENSD_INSE_IS6_EEEESI_S6_NSB_4plusIvEENSB_8equal_toIvEES6_EE10hipError_tPvRmT2_T3_T4_T5_mT6_T7_P12ihipStream_tbENKUlT_T0_E_clISt17integral_constantIbLb0EES12_IbLb1EEEEDaSY_SZ_EUlSY_E_NS1_11comp_targetILNS1_3genE10ELNS1_11target_archE1201ELNS1_3gpuE5ELNS1_3repE0EEENS1_30default_config_static_selectorELNS0_4arch9wavefront6targetE0EEEvT1_,comdat
	.protected	_ZN7rocprim17ROCPRIM_400000_NS6detail17trampoline_kernelINS0_14default_configENS1_27scan_by_key_config_selectorIj11FixedVectorIiLj1EEEEZZNS1_16scan_by_key_implILNS1_25lookback_scan_determinismE0ELb1ES3_N6thrust23THRUST_200600_302600_NS6detail15normal_iteratorINSB_10device_ptrIjEEEENSD_INSE_IS6_EEEESI_S6_NSB_4plusIvEENSB_8equal_toIvEES6_EE10hipError_tPvRmT2_T3_T4_T5_mT6_T7_P12ihipStream_tbENKUlT_T0_E_clISt17integral_constantIbLb0EES12_IbLb1EEEEDaSY_SZ_EUlSY_E_NS1_11comp_targetILNS1_3genE10ELNS1_11target_archE1201ELNS1_3gpuE5ELNS1_3repE0EEENS1_30default_config_static_selectorELNS0_4arch9wavefront6targetE0EEEvT1_ ; -- Begin function _ZN7rocprim17ROCPRIM_400000_NS6detail17trampoline_kernelINS0_14default_configENS1_27scan_by_key_config_selectorIj11FixedVectorIiLj1EEEEZZNS1_16scan_by_key_implILNS1_25lookback_scan_determinismE0ELb1ES3_N6thrust23THRUST_200600_302600_NS6detail15normal_iteratorINSB_10device_ptrIjEEEENSD_INSE_IS6_EEEESI_S6_NSB_4plusIvEENSB_8equal_toIvEES6_EE10hipError_tPvRmT2_T3_T4_T5_mT6_T7_P12ihipStream_tbENKUlT_T0_E_clISt17integral_constantIbLb0EES12_IbLb1EEEEDaSY_SZ_EUlSY_E_NS1_11comp_targetILNS1_3genE10ELNS1_11target_archE1201ELNS1_3gpuE5ELNS1_3repE0EEENS1_30default_config_static_selectorELNS0_4arch9wavefront6targetE0EEEvT1_
	.globl	_ZN7rocprim17ROCPRIM_400000_NS6detail17trampoline_kernelINS0_14default_configENS1_27scan_by_key_config_selectorIj11FixedVectorIiLj1EEEEZZNS1_16scan_by_key_implILNS1_25lookback_scan_determinismE0ELb1ES3_N6thrust23THRUST_200600_302600_NS6detail15normal_iteratorINSB_10device_ptrIjEEEENSD_INSE_IS6_EEEESI_S6_NSB_4plusIvEENSB_8equal_toIvEES6_EE10hipError_tPvRmT2_T3_T4_T5_mT6_T7_P12ihipStream_tbENKUlT_T0_E_clISt17integral_constantIbLb0EES12_IbLb1EEEEDaSY_SZ_EUlSY_E_NS1_11comp_targetILNS1_3genE10ELNS1_11target_archE1201ELNS1_3gpuE5ELNS1_3repE0EEENS1_30default_config_static_selectorELNS0_4arch9wavefront6targetE0EEEvT1_
	.p2align	8
	.type	_ZN7rocprim17ROCPRIM_400000_NS6detail17trampoline_kernelINS0_14default_configENS1_27scan_by_key_config_selectorIj11FixedVectorIiLj1EEEEZZNS1_16scan_by_key_implILNS1_25lookback_scan_determinismE0ELb1ES3_N6thrust23THRUST_200600_302600_NS6detail15normal_iteratorINSB_10device_ptrIjEEEENSD_INSE_IS6_EEEESI_S6_NSB_4plusIvEENSB_8equal_toIvEES6_EE10hipError_tPvRmT2_T3_T4_T5_mT6_T7_P12ihipStream_tbENKUlT_T0_E_clISt17integral_constantIbLb0EES12_IbLb1EEEEDaSY_SZ_EUlSY_E_NS1_11comp_targetILNS1_3genE10ELNS1_11target_archE1201ELNS1_3gpuE5ELNS1_3repE0EEENS1_30default_config_static_selectorELNS0_4arch9wavefront6targetE0EEEvT1_,@function
_ZN7rocprim17ROCPRIM_400000_NS6detail17trampoline_kernelINS0_14default_configENS1_27scan_by_key_config_selectorIj11FixedVectorIiLj1EEEEZZNS1_16scan_by_key_implILNS1_25lookback_scan_determinismE0ELb1ES3_N6thrust23THRUST_200600_302600_NS6detail15normal_iteratorINSB_10device_ptrIjEEEENSD_INSE_IS6_EEEESI_S6_NSB_4plusIvEENSB_8equal_toIvEES6_EE10hipError_tPvRmT2_T3_T4_T5_mT6_T7_P12ihipStream_tbENKUlT_T0_E_clISt17integral_constantIbLb0EES12_IbLb1EEEEDaSY_SZ_EUlSY_E_NS1_11comp_targetILNS1_3genE10ELNS1_11target_archE1201ELNS1_3gpuE5ELNS1_3repE0EEENS1_30default_config_static_selectorELNS0_4arch9wavefront6targetE0EEEvT1_: ; @_ZN7rocprim17ROCPRIM_400000_NS6detail17trampoline_kernelINS0_14default_configENS1_27scan_by_key_config_selectorIj11FixedVectorIiLj1EEEEZZNS1_16scan_by_key_implILNS1_25lookback_scan_determinismE0ELb1ES3_N6thrust23THRUST_200600_302600_NS6detail15normal_iteratorINSB_10device_ptrIjEEEENSD_INSE_IS6_EEEESI_S6_NSB_4plusIvEENSB_8equal_toIvEES6_EE10hipError_tPvRmT2_T3_T4_T5_mT6_T7_P12ihipStream_tbENKUlT_T0_E_clISt17integral_constantIbLb0EES12_IbLb1EEEEDaSY_SZ_EUlSY_E_NS1_11comp_targetILNS1_3genE10ELNS1_11target_archE1201ELNS1_3gpuE5ELNS1_3repE0EEENS1_30default_config_static_selectorELNS0_4arch9wavefront6targetE0EEEvT1_
; %bb.0:
	.section	.rodata,"a",@progbits
	.p2align	6, 0x0
	.amdhsa_kernel _ZN7rocprim17ROCPRIM_400000_NS6detail17trampoline_kernelINS0_14default_configENS1_27scan_by_key_config_selectorIj11FixedVectorIiLj1EEEEZZNS1_16scan_by_key_implILNS1_25lookback_scan_determinismE0ELb1ES3_N6thrust23THRUST_200600_302600_NS6detail15normal_iteratorINSB_10device_ptrIjEEEENSD_INSE_IS6_EEEESI_S6_NSB_4plusIvEENSB_8equal_toIvEES6_EE10hipError_tPvRmT2_T3_T4_T5_mT6_T7_P12ihipStream_tbENKUlT_T0_E_clISt17integral_constantIbLb0EES12_IbLb1EEEEDaSY_SZ_EUlSY_E_NS1_11comp_targetILNS1_3genE10ELNS1_11target_archE1201ELNS1_3gpuE5ELNS1_3repE0EEENS1_30default_config_static_selectorELNS0_4arch9wavefront6targetE0EEEvT1_
		.amdhsa_group_segment_fixed_size 0
		.amdhsa_private_segment_fixed_size 0
		.amdhsa_kernarg_size 112
		.amdhsa_user_sgpr_count 6
		.amdhsa_user_sgpr_private_segment_buffer 1
		.amdhsa_user_sgpr_dispatch_ptr 0
		.amdhsa_user_sgpr_queue_ptr 0
		.amdhsa_user_sgpr_kernarg_segment_ptr 1
		.amdhsa_user_sgpr_dispatch_id 0
		.amdhsa_user_sgpr_flat_scratch_init 0
		.amdhsa_user_sgpr_private_segment_size 0
		.amdhsa_wavefront_size32 1
		.amdhsa_uses_dynamic_stack 0
		.amdhsa_system_sgpr_private_segment_wavefront_offset 0
		.amdhsa_system_sgpr_workgroup_id_x 1
		.amdhsa_system_sgpr_workgroup_id_y 0
		.amdhsa_system_sgpr_workgroup_id_z 0
		.amdhsa_system_sgpr_workgroup_info 0
		.amdhsa_system_vgpr_workitem_id 0
		.amdhsa_next_free_vgpr 1
		.amdhsa_next_free_sgpr 1
		.amdhsa_reserve_vcc 0
		.amdhsa_reserve_flat_scratch 0
		.amdhsa_float_round_mode_32 0
		.amdhsa_float_round_mode_16_64 0
		.amdhsa_float_denorm_mode_32 3
		.amdhsa_float_denorm_mode_16_64 3
		.amdhsa_dx10_clamp 1
		.amdhsa_ieee_mode 1
		.amdhsa_fp16_overflow 0
		.amdhsa_workgroup_processor_mode 1
		.amdhsa_memory_ordered 1
		.amdhsa_forward_progress 1
		.amdhsa_shared_vgpr_count 0
		.amdhsa_exception_fp_ieee_invalid_op 0
		.amdhsa_exception_fp_denorm_src 0
		.amdhsa_exception_fp_ieee_div_zero 0
		.amdhsa_exception_fp_ieee_overflow 0
		.amdhsa_exception_fp_ieee_underflow 0
		.amdhsa_exception_fp_ieee_inexact 0
		.amdhsa_exception_int_div_zero 0
	.end_amdhsa_kernel
	.section	.text._ZN7rocprim17ROCPRIM_400000_NS6detail17trampoline_kernelINS0_14default_configENS1_27scan_by_key_config_selectorIj11FixedVectorIiLj1EEEEZZNS1_16scan_by_key_implILNS1_25lookback_scan_determinismE0ELb1ES3_N6thrust23THRUST_200600_302600_NS6detail15normal_iteratorINSB_10device_ptrIjEEEENSD_INSE_IS6_EEEESI_S6_NSB_4plusIvEENSB_8equal_toIvEES6_EE10hipError_tPvRmT2_T3_T4_T5_mT6_T7_P12ihipStream_tbENKUlT_T0_E_clISt17integral_constantIbLb0EES12_IbLb1EEEEDaSY_SZ_EUlSY_E_NS1_11comp_targetILNS1_3genE10ELNS1_11target_archE1201ELNS1_3gpuE5ELNS1_3repE0EEENS1_30default_config_static_selectorELNS0_4arch9wavefront6targetE0EEEvT1_,"axG",@progbits,_ZN7rocprim17ROCPRIM_400000_NS6detail17trampoline_kernelINS0_14default_configENS1_27scan_by_key_config_selectorIj11FixedVectorIiLj1EEEEZZNS1_16scan_by_key_implILNS1_25lookback_scan_determinismE0ELb1ES3_N6thrust23THRUST_200600_302600_NS6detail15normal_iteratorINSB_10device_ptrIjEEEENSD_INSE_IS6_EEEESI_S6_NSB_4plusIvEENSB_8equal_toIvEES6_EE10hipError_tPvRmT2_T3_T4_T5_mT6_T7_P12ihipStream_tbENKUlT_T0_E_clISt17integral_constantIbLb0EES12_IbLb1EEEEDaSY_SZ_EUlSY_E_NS1_11comp_targetILNS1_3genE10ELNS1_11target_archE1201ELNS1_3gpuE5ELNS1_3repE0EEENS1_30default_config_static_selectorELNS0_4arch9wavefront6targetE0EEEvT1_,comdat
.Lfunc_end1939:
	.size	_ZN7rocprim17ROCPRIM_400000_NS6detail17trampoline_kernelINS0_14default_configENS1_27scan_by_key_config_selectorIj11FixedVectorIiLj1EEEEZZNS1_16scan_by_key_implILNS1_25lookback_scan_determinismE0ELb1ES3_N6thrust23THRUST_200600_302600_NS6detail15normal_iteratorINSB_10device_ptrIjEEEENSD_INSE_IS6_EEEESI_S6_NSB_4plusIvEENSB_8equal_toIvEES6_EE10hipError_tPvRmT2_T3_T4_T5_mT6_T7_P12ihipStream_tbENKUlT_T0_E_clISt17integral_constantIbLb0EES12_IbLb1EEEEDaSY_SZ_EUlSY_E_NS1_11comp_targetILNS1_3genE10ELNS1_11target_archE1201ELNS1_3gpuE5ELNS1_3repE0EEENS1_30default_config_static_selectorELNS0_4arch9wavefront6targetE0EEEvT1_, .Lfunc_end1939-_ZN7rocprim17ROCPRIM_400000_NS6detail17trampoline_kernelINS0_14default_configENS1_27scan_by_key_config_selectorIj11FixedVectorIiLj1EEEEZZNS1_16scan_by_key_implILNS1_25lookback_scan_determinismE0ELb1ES3_N6thrust23THRUST_200600_302600_NS6detail15normal_iteratorINSB_10device_ptrIjEEEENSD_INSE_IS6_EEEESI_S6_NSB_4plusIvEENSB_8equal_toIvEES6_EE10hipError_tPvRmT2_T3_T4_T5_mT6_T7_P12ihipStream_tbENKUlT_T0_E_clISt17integral_constantIbLb0EES12_IbLb1EEEEDaSY_SZ_EUlSY_E_NS1_11comp_targetILNS1_3genE10ELNS1_11target_archE1201ELNS1_3gpuE5ELNS1_3repE0EEENS1_30default_config_static_selectorELNS0_4arch9wavefront6targetE0EEEvT1_
                                        ; -- End function
	.set _ZN7rocprim17ROCPRIM_400000_NS6detail17trampoline_kernelINS0_14default_configENS1_27scan_by_key_config_selectorIj11FixedVectorIiLj1EEEEZZNS1_16scan_by_key_implILNS1_25lookback_scan_determinismE0ELb1ES3_N6thrust23THRUST_200600_302600_NS6detail15normal_iteratorINSB_10device_ptrIjEEEENSD_INSE_IS6_EEEESI_S6_NSB_4plusIvEENSB_8equal_toIvEES6_EE10hipError_tPvRmT2_T3_T4_T5_mT6_T7_P12ihipStream_tbENKUlT_T0_E_clISt17integral_constantIbLb0EES12_IbLb1EEEEDaSY_SZ_EUlSY_E_NS1_11comp_targetILNS1_3genE10ELNS1_11target_archE1201ELNS1_3gpuE5ELNS1_3repE0EEENS1_30default_config_static_selectorELNS0_4arch9wavefront6targetE0EEEvT1_.num_vgpr, 0
	.set _ZN7rocprim17ROCPRIM_400000_NS6detail17trampoline_kernelINS0_14default_configENS1_27scan_by_key_config_selectorIj11FixedVectorIiLj1EEEEZZNS1_16scan_by_key_implILNS1_25lookback_scan_determinismE0ELb1ES3_N6thrust23THRUST_200600_302600_NS6detail15normal_iteratorINSB_10device_ptrIjEEEENSD_INSE_IS6_EEEESI_S6_NSB_4plusIvEENSB_8equal_toIvEES6_EE10hipError_tPvRmT2_T3_T4_T5_mT6_T7_P12ihipStream_tbENKUlT_T0_E_clISt17integral_constantIbLb0EES12_IbLb1EEEEDaSY_SZ_EUlSY_E_NS1_11comp_targetILNS1_3genE10ELNS1_11target_archE1201ELNS1_3gpuE5ELNS1_3repE0EEENS1_30default_config_static_selectorELNS0_4arch9wavefront6targetE0EEEvT1_.num_agpr, 0
	.set _ZN7rocprim17ROCPRIM_400000_NS6detail17trampoline_kernelINS0_14default_configENS1_27scan_by_key_config_selectorIj11FixedVectorIiLj1EEEEZZNS1_16scan_by_key_implILNS1_25lookback_scan_determinismE0ELb1ES3_N6thrust23THRUST_200600_302600_NS6detail15normal_iteratorINSB_10device_ptrIjEEEENSD_INSE_IS6_EEEESI_S6_NSB_4plusIvEENSB_8equal_toIvEES6_EE10hipError_tPvRmT2_T3_T4_T5_mT6_T7_P12ihipStream_tbENKUlT_T0_E_clISt17integral_constantIbLb0EES12_IbLb1EEEEDaSY_SZ_EUlSY_E_NS1_11comp_targetILNS1_3genE10ELNS1_11target_archE1201ELNS1_3gpuE5ELNS1_3repE0EEENS1_30default_config_static_selectorELNS0_4arch9wavefront6targetE0EEEvT1_.numbered_sgpr, 0
	.set _ZN7rocprim17ROCPRIM_400000_NS6detail17trampoline_kernelINS0_14default_configENS1_27scan_by_key_config_selectorIj11FixedVectorIiLj1EEEEZZNS1_16scan_by_key_implILNS1_25lookback_scan_determinismE0ELb1ES3_N6thrust23THRUST_200600_302600_NS6detail15normal_iteratorINSB_10device_ptrIjEEEENSD_INSE_IS6_EEEESI_S6_NSB_4plusIvEENSB_8equal_toIvEES6_EE10hipError_tPvRmT2_T3_T4_T5_mT6_T7_P12ihipStream_tbENKUlT_T0_E_clISt17integral_constantIbLb0EES12_IbLb1EEEEDaSY_SZ_EUlSY_E_NS1_11comp_targetILNS1_3genE10ELNS1_11target_archE1201ELNS1_3gpuE5ELNS1_3repE0EEENS1_30default_config_static_selectorELNS0_4arch9wavefront6targetE0EEEvT1_.num_named_barrier, 0
	.set _ZN7rocprim17ROCPRIM_400000_NS6detail17trampoline_kernelINS0_14default_configENS1_27scan_by_key_config_selectorIj11FixedVectorIiLj1EEEEZZNS1_16scan_by_key_implILNS1_25lookback_scan_determinismE0ELb1ES3_N6thrust23THRUST_200600_302600_NS6detail15normal_iteratorINSB_10device_ptrIjEEEENSD_INSE_IS6_EEEESI_S6_NSB_4plusIvEENSB_8equal_toIvEES6_EE10hipError_tPvRmT2_T3_T4_T5_mT6_T7_P12ihipStream_tbENKUlT_T0_E_clISt17integral_constantIbLb0EES12_IbLb1EEEEDaSY_SZ_EUlSY_E_NS1_11comp_targetILNS1_3genE10ELNS1_11target_archE1201ELNS1_3gpuE5ELNS1_3repE0EEENS1_30default_config_static_selectorELNS0_4arch9wavefront6targetE0EEEvT1_.private_seg_size, 0
	.set _ZN7rocprim17ROCPRIM_400000_NS6detail17trampoline_kernelINS0_14default_configENS1_27scan_by_key_config_selectorIj11FixedVectorIiLj1EEEEZZNS1_16scan_by_key_implILNS1_25lookback_scan_determinismE0ELb1ES3_N6thrust23THRUST_200600_302600_NS6detail15normal_iteratorINSB_10device_ptrIjEEEENSD_INSE_IS6_EEEESI_S6_NSB_4plusIvEENSB_8equal_toIvEES6_EE10hipError_tPvRmT2_T3_T4_T5_mT6_T7_P12ihipStream_tbENKUlT_T0_E_clISt17integral_constantIbLb0EES12_IbLb1EEEEDaSY_SZ_EUlSY_E_NS1_11comp_targetILNS1_3genE10ELNS1_11target_archE1201ELNS1_3gpuE5ELNS1_3repE0EEENS1_30default_config_static_selectorELNS0_4arch9wavefront6targetE0EEEvT1_.uses_vcc, 0
	.set _ZN7rocprim17ROCPRIM_400000_NS6detail17trampoline_kernelINS0_14default_configENS1_27scan_by_key_config_selectorIj11FixedVectorIiLj1EEEEZZNS1_16scan_by_key_implILNS1_25lookback_scan_determinismE0ELb1ES3_N6thrust23THRUST_200600_302600_NS6detail15normal_iteratorINSB_10device_ptrIjEEEENSD_INSE_IS6_EEEESI_S6_NSB_4plusIvEENSB_8equal_toIvEES6_EE10hipError_tPvRmT2_T3_T4_T5_mT6_T7_P12ihipStream_tbENKUlT_T0_E_clISt17integral_constantIbLb0EES12_IbLb1EEEEDaSY_SZ_EUlSY_E_NS1_11comp_targetILNS1_3genE10ELNS1_11target_archE1201ELNS1_3gpuE5ELNS1_3repE0EEENS1_30default_config_static_selectorELNS0_4arch9wavefront6targetE0EEEvT1_.uses_flat_scratch, 0
	.set _ZN7rocprim17ROCPRIM_400000_NS6detail17trampoline_kernelINS0_14default_configENS1_27scan_by_key_config_selectorIj11FixedVectorIiLj1EEEEZZNS1_16scan_by_key_implILNS1_25lookback_scan_determinismE0ELb1ES3_N6thrust23THRUST_200600_302600_NS6detail15normal_iteratorINSB_10device_ptrIjEEEENSD_INSE_IS6_EEEESI_S6_NSB_4plusIvEENSB_8equal_toIvEES6_EE10hipError_tPvRmT2_T3_T4_T5_mT6_T7_P12ihipStream_tbENKUlT_T0_E_clISt17integral_constantIbLb0EES12_IbLb1EEEEDaSY_SZ_EUlSY_E_NS1_11comp_targetILNS1_3genE10ELNS1_11target_archE1201ELNS1_3gpuE5ELNS1_3repE0EEENS1_30default_config_static_selectorELNS0_4arch9wavefront6targetE0EEEvT1_.has_dyn_sized_stack, 0
	.set _ZN7rocprim17ROCPRIM_400000_NS6detail17trampoline_kernelINS0_14default_configENS1_27scan_by_key_config_selectorIj11FixedVectorIiLj1EEEEZZNS1_16scan_by_key_implILNS1_25lookback_scan_determinismE0ELb1ES3_N6thrust23THRUST_200600_302600_NS6detail15normal_iteratorINSB_10device_ptrIjEEEENSD_INSE_IS6_EEEESI_S6_NSB_4plusIvEENSB_8equal_toIvEES6_EE10hipError_tPvRmT2_T3_T4_T5_mT6_T7_P12ihipStream_tbENKUlT_T0_E_clISt17integral_constantIbLb0EES12_IbLb1EEEEDaSY_SZ_EUlSY_E_NS1_11comp_targetILNS1_3genE10ELNS1_11target_archE1201ELNS1_3gpuE5ELNS1_3repE0EEENS1_30default_config_static_selectorELNS0_4arch9wavefront6targetE0EEEvT1_.has_recursion, 0
	.set _ZN7rocprim17ROCPRIM_400000_NS6detail17trampoline_kernelINS0_14default_configENS1_27scan_by_key_config_selectorIj11FixedVectorIiLj1EEEEZZNS1_16scan_by_key_implILNS1_25lookback_scan_determinismE0ELb1ES3_N6thrust23THRUST_200600_302600_NS6detail15normal_iteratorINSB_10device_ptrIjEEEENSD_INSE_IS6_EEEESI_S6_NSB_4plusIvEENSB_8equal_toIvEES6_EE10hipError_tPvRmT2_T3_T4_T5_mT6_T7_P12ihipStream_tbENKUlT_T0_E_clISt17integral_constantIbLb0EES12_IbLb1EEEEDaSY_SZ_EUlSY_E_NS1_11comp_targetILNS1_3genE10ELNS1_11target_archE1201ELNS1_3gpuE5ELNS1_3repE0EEENS1_30default_config_static_selectorELNS0_4arch9wavefront6targetE0EEEvT1_.has_indirect_call, 0
	.section	.AMDGPU.csdata,"",@progbits
; Kernel info:
; codeLenInByte = 0
; TotalNumSgprs: 0
; NumVgprs: 0
; ScratchSize: 0
; MemoryBound: 0
; FloatMode: 240
; IeeeMode: 1
; LDSByteSize: 0 bytes/workgroup (compile time only)
; SGPRBlocks: 0
; VGPRBlocks: 0
; NumSGPRsForWavesPerEU: 1
; NumVGPRsForWavesPerEU: 1
; Occupancy: 16
; WaveLimiterHint : 0
; COMPUTE_PGM_RSRC2:SCRATCH_EN: 0
; COMPUTE_PGM_RSRC2:USER_SGPR: 6
; COMPUTE_PGM_RSRC2:TRAP_HANDLER: 0
; COMPUTE_PGM_RSRC2:TGID_X_EN: 1
; COMPUTE_PGM_RSRC2:TGID_Y_EN: 0
; COMPUTE_PGM_RSRC2:TGID_Z_EN: 0
; COMPUTE_PGM_RSRC2:TIDIG_COMP_CNT: 0
	.section	.text._ZN7rocprim17ROCPRIM_400000_NS6detail17trampoline_kernelINS0_14default_configENS1_27scan_by_key_config_selectorIj11FixedVectorIiLj1EEEEZZNS1_16scan_by_key_implILNS1_25lookback_scan_determinismE0ELb1ES3_N6thrust23THRUST_200600_302600_NS6detail15normal_iteratorINSB_10device_ptrIjEEEENSD_INSE_IS6_EEEESI_S6_NSB_4plusIvEENSB_8equal_toIvEES6_EE10hipError_tPvRmT2_T3_T4_T5_mT6_T7_P12ihipStream_tbENKUlT_T0_E_clISt17integral_constantIbLb0EES12_IbLb1EEEEDaSY_SZ_EUlSY_E_NS1_11comp_targetILNS1_3genE5ELNS1_11target_archE942ELNS1_3gpuE9ELNS1_3repE0EEENS1_30default_config_static_selectorELNS0_4arch9wavefront6targetE0EEEvT1_,"axG",@progbits,_ZN7rocprim17ROCPRIM_400000_NS6detail17trampoline_kernelINS0_14default_configENS1_27scan_by_key_config_selectorIj11FixedVectorIiLj1EEEEZZNS1_16scan_by_key_implILNS1_25lookback_scan_determinismE0ELb1ES3_N6thrust23THRUST_200600_302600_NS6detail15normal_iteratorINSB_10device_ptrIjEEEENSD_INSE_IS6_EEEESI_S6_NSB_4plusIvEENSB_8equal_toIvEES6_EE10hipError_tPvRmT2_T3_T4_T5_mT6_T7_P12ihipStream_tbENKUlT_T0_E_clISt17integral_constantIbLb0EES12_IbLb1EEEEDaSY_SZ_EUlSY_E_NS1_11comp_targetILNS1_3genE5ELNS1_11target_archE942ELNS1_3gpuE9ELNS1_3repE0EEENS1_30default_config_static_selectorELNS0_4arch9wavefront6targetE0EEEvT1_,comdat
	.protected	_ZN7rocprim17ROCPRIM_400000_NS6detail17trampoline_kernelINS0_14default_configENS1_27scan_by_key_config_selectorIj11FixedVectorIiLj1EEEEZZNS1_16scan_by_key_implILNS1_25lookback_scan_determinismE0ELb1ES3_N6thrust23THRUST_200600_302600_NS6detail15normal_iteratorINSB_10device_ptrIjEEEENSD_INSE_IS6_EEEESI_S6_NSB_4plusIvEENSB_8equal_toIvEES6_EE10hipError_tPvRmT2_T3_T4_T5_mT6_T7_P12ihipStream_tbENKUlT_T0_E_clISt17integral_constantIbLb0EES12_IbLb1EEEEDaSY_SZ_EUlSY_E_NS1_11comp_targetILNS1_3genE5ELNS1_11target_archE942ELNS1_3gpuE9ELNS1_3repE0EEENS1_30default_config_static_selectorELNS0_4arch9wavefront6targetE0EEEvT1_ ; -- Begin function _ZN7rocprim17ROCPRIM_400000_NS6detail17trampoline_kernelINS0_14default_configENS1_27scan_by_key_config_selectorIj11FixedVectorIiLj1EEEEZZNS1_16scan_by_key_implILNS1_25lookback_scan_determinismE0ELb1ES3_N6thrust23THRUST_200600_302600_NS6detail15normal_iteratorINSB_10device_ptrIjEEEENSD_INSE_IS6_EEEESI_S6_NSB_4plusIvEENSB_8equal_toIvEES6_EE10hipError_tPvRmT2_T3_T4_T5_mT6_T7_P12ihipStream_tbENKUlT_T0_E_clISt17integral_constantIbLb0EES12_IbLb1EEEEDaSY_SZ_EUlSY_E_NS1_11comp_targetILNS1_3genE5ELNS1_11target_archE942ELNS1_3gpuE9ELNS1_3repE0EEENS1_30default_config_static_selectorELNS0_4arch9wavefront6targetE0EEEvT1_
	.globl	_ZN7rocprim17ROCPRIM_400000_NS6detail17trampoline_kernelINS0_14default_configENS1_27scan_by_key_config_selectorIj11FixedVectorIiLj1EEEEZZNS1_16scan_by_key_implILNS1_25lookback_scan_determinismE0ELb1ES3_N6thrust23THRUST_200600_302600_NS6detail15normal_iteratorINSB_10device_ptrIjEEEENSD_INSE_IS6_EEEESI_S6_NSB_4plusIvEENSB_8equal_toIvEES6_EE10hipError_tPvRmT2_T3_T4_T5_mT6_T7_P12ihipStream_tbENKUlT_T0_E_clISt17integral_constantIbLb0EES12_IbLb1EEEEDaSY_SZ_EUlSY_E_NS1_11comp_targetILNS1_3genE5ELNS1_11target_archE942ELNS1_3gpuE9ELNS1_3repE0EEENS1_30default_config_static_selectorELNS0_4arch9wavefront6targetE0EEEvT1_
	.p2align	8
	.type	_ZN7rocprim17ROCPRIM_400000_NS6detail17trampoline_kernelINS0_14default_configENS1_27scan_by_key_config_selectorIj11FixedVectorIiLj1EEEEZZNS1_16scan_by_key_implILNS1_25lookback_scan_determinismE0ELb1ES3_N6thrust23THRUST_200600_302600_NS6detail15normal_iteratorINSB_10device_ptrIjEEEENSD_INSE_IS6_EEEESI_S6_NSB_4plusIvEENSB_8equal_toIvEES6_EE10hipError_tPvRmT2_T3_T4_T5_mT6_T7_P12ihipStream_tbENKUlT_T0_E_clISt17integral_constantIbLb0EES12_IbLb1EEEEDaSY_SZ_EUlSY_E_NS1_11comp_targetILNS1_3genE5ELNS1_11target_archE942ELNS1_3gpuE9ELNS1_3repE0EEENS1_30default_config_static_selectorELNS0_4arch9wavefront6targetE0EEEvT1_,@function
_ZN7rocprim17ROCPRIM_400000_NS6detail17trampoline_kernelINS0_14default_configENS1_27scan_by_key_config_selectorIj11FixedVectorIiLj1EEEEZZNS1_16scan_by_key_implILNS1_25lookback_scan_determinismE0ELb1ES3_N6thrust23THRUST_200600_302600_NS6detail15normal_iteratorINSB_10device_ptrIjEEEENSD_INSE_IS6_EEEESI_S6_NSB_4plusIvEENSB_8equal_toIvEES6_EE10hipError_tPvRmT2_T3_T4_T5_mT6_T7_P12ihipStream_tbENKUlT_T0_E_clISt17integral_constantIbLb0EES12_IbLb1EEEEDaSY_SZ_EUlSY_E_NS1_11comp_targetILNS1_3genE5ELNS1_11target_archE942ELNS1_3gpuE9ELNS1_3repE0EEENS1_30default_config_static_selectorELNS0_4arch9wavefront6targetE0EEEvT1_: ; @_ZN7rocprim17ROCPRIM_400000_NS6detail17trampoline_kernelINS0_14default_configENS1_27scan_by_key_config_selectorIj11FixedVectorIiLj1EEEEZZNS1_16scan_by_key_implILNS1_25lookback_scan_determinismE0ELb1ES3_N6thrust23THRUST_200600_302600_NS6detail15normal_iteratorINSB_10device_ptrIjEEEENSD_INSE_IS6_EEEESI_S6_NSB_4plusIvEENSB_8equal_toIvEES6_EE10hipError_tPvRmT2_T3_T4_T5_mT6_T7_P12ihipStream_tbENKUlT_T0_E_clISt17integral_constantIbLb0EES12_IbLb1EEEEDaSY_SZ_EUlSY_E_NS1_11comp_targetILNS1_3genE5ELNS1_11target_archE942ELNS1_3gpuE9ELNS1_3repE0EEENS1_30default_config_static_selectorELNS0_4arch9wavefront6targetE0EEEvT1_
; %bb.0:
	.section	.rodata,"a",@progbits
	.p2align	6, 0x0
	.amdhsa_kernel _ZN7rocprim17ROCPRIM_400000_NS6detail17trampoline_kernelINS0_14default_configENS1_27scan_by_key_config_selectorIj11FixedVectorIiLj1EEEEZZNS1_16scan_by_key_implILNS1_25lookback_scan_determinismE0ELb1ES3_N6thrust23THRUST_200600_302600_NS6detail15normal_iteratorINSB_10device_ptrIjEEEENSD_INSE_IS6_EEEESI_S6_NSB_4plusIvEENSB_8equal_toIvEES6_EE10hipError_tPvRmT2_T3_T4_T5_mT6_T7_P12ihipStream_tbENKUlT_T0_E_clISt17integral_constantIbLb0EES12_IbLb1EEEEDaSY_SZ_EUlSY_E_NS1_11comp_targetILNS1_3genE5ELNS1_11target_archE942ELNS1_3gpuE9ELNS1_3repE0EEENS1_30default_config_static_selectorELNS0_4arch9wavefront6targetE0EEEvT1_
		.amdhsa_group_segment_fixed_size 0
		.amdhsa_private_segment_fixed_size 0
		.amdhsa_kernarg_size 112
		.amdhsa_user_sgpr_count 6
		.amdhsa_user_sgpr_private_segment_buffer 1
		.amdhsa_user_sgpr_dispatch_ptr 0
		.amdhsa_user_sgpr_queue_ptr 0
		.amdhsa_user_sgpr_kernarg_segment_ptr 1
		.amdhsa_user_sgpr_dispatch_id 0
		.amdhsa_user_sgpr_flat_scratch_init 0
		.amdhsa_user_sgpr_private_segment_size 0
		.amdhsa_wavefront_size32 1
		.amdhsa_uses_dynamic_stack 0
		.amdhsa_system_sgpr_private_segment_wavefront_offset 0
		.amdhsa_system_sgpr_workgroup_id_x 1
		.amdhsa_system_sgpr_workgroup_id_y 0
		.amdhsa_system_sgpr_workgroup_id_z 0
		.amdhsa_system_sgpr_workgroup_info 0
		.amdhsa_system_vgpr_workitem_id 0
		.amdhsa_next_free_vgpr 1
		.amdhsa_next_free_sgpr 1
		.amdhsa_reserve_vcc 0
		.amdhsa_reserve_flat_scratch 0
		.amdhsa_float_round_mode_32 0
		.amdhsa_float_round_mode_16_64 0
		.amdhsa_float_denorm_mode_32 3
		.amdhsa_float_denorm_mode_16_64 3
		.amdhsa_dx10_clamp 1
		.amdhsa_ieee_mode 1
		.amdhsa_fp16_overflow 0
		.amdhsa_workgroup_processor_mode 1
		.amdhsa_memory_ordered 1
		.amdhsa_forward_progress 1
		.amdhsa_shared_vgpr_count 0
		.amdhsa_exception_fp_ieee_invalid_op 0
		.amdhsa_exception_fp_denorm_src 0
		.amdhsa_exception_fp_ieee_div_zero 0
		.amdhsa_exception_fp_ieee_overflow 0
		.amdhsa_exception_fp_ieee_underflow 0
		.amdhsa_exception_fp_ieee_inexact 0
		.amdhsa_exception_int_div_zero 0
	.end_amdhsa_kernel
	.section	.text._ZN7rocprim17ROCPRIM_400000_NS6detail17trampoline_kernelINS0_14default_configENS1_27scan_by_key_config_selectorIj11FixedVectorIiLj1EEEEZZNS1_16scan_by_key_implILNS1_25lookback_scan_determinismE0ELb1ES3_N6thrust23THRUST_200600_302600_NS6detail15normal_iteratorINSB_10device_ptrIjEEEENSD_INSE_IS6_EEEESI_S6_NSB_4plusIvEENSB_8equal_toIvEES6_EE10hipError_tPvRmT2_T3_T4_T5_mT6_T7_P12ihipStream_tbENKUlT_T0_E_clISt17integral_constantIbLb0EES12_IbLb1EEEEDaSY_SZ_EUlSY_E_NS1_11comp_targetILNS1_3genE5ELNS1_11target_archE942ELNS1_3gpuE9ELNS1_3repE0EEENS1_30default_config_static_selectorELNS0_4arch9wavefront6targetE0EEEvT1_,"axG",@progbits,_ZN7rocprim17ROCPRIM_400000_NS6detail17trampoline_kernelINS0_14default_configENS1_27scan_by_key_config_selectorIj11FixedVectorIiLj1EEEEZZNS1_16scan_by_key_implILNS1_25lookback_scan_determinismE0ELb1ES3_N6thrust23THRUST_200600_302600_NS6detail15normal_iteratorINSB_10device_ptrIjEEEENSD_INSE_IS6_EEEESI_S6_NSB_4plusIvEENSB_8equal_toIvEES6_EE10hipError_tPvRmT2_T3_T4_T5_mT6_T7_P12ihipStream_tbENKUlT_T0_E_clISt17integral_constantIbLb0EES12_IbLb1EEEEDaSY_SZ_EUlSY_E_NS1_11comp_targetILNS1_3genE5ELNS1_11target_archE942ELNS1_3gpuE9ELNS1_3repE0EEENS1_30default_config_static_selectorELNS0_4arch9wavefront6targetE0EEEvT1_,comdat
.Lfunc_end1940:
	.size	_ZN7rocprim17ROCPRIM_400000_NS6detail17trampoline_kernelINS0_14default_configENS1_27scan_by_key_config_selectorIj11FixedVectorIiLj1EEEEZZNS1_16scan_by_key_implILNS1_25lookback_scan_determinismE0ELb1ES3_N6thrust23THRUST_200600_302600_NS6detail15normal_iteratorINSB_10device_ptrIjEEEENSD_INSE_IS6_EEEESI_S6_NSB_4plusIvEENSB_8equal_toIvEES6_EE10hipError_tPvRmT2_T3_T4_T5_mT6_T7_P12ihipStream_tbENKUlT_T0_E_clISt17integral_constantIbLb0EES12_IbLb1EEEEDaSY_SZ_EUlSY_E_NS1_11comp_targetILNS1_3genE5ELNS1_11target_archE942ELNS1_3gpuE9ELNS1_3repE0EEENS1_30default_config_static_selectorELNS0_4arch9wavefront6targetE0EEEvT1_, .Lfunc_end1940-_ZN7rocprim17ROCPRIM_400000_NS6detail17trampoline_kernelINS0_14default_configENS1_27scan_by_key_config_selectorIj11FixedVectorIiLj1EEEEZZNS1_16scan_by_key_implILNS1_25lookback_scan_determinismE0ELb1ES3_N6thrust23THRUST_200600_302600_NS6detail15normal_iteratorINSB_10device_ptrIjEEEENSD_INSE_IS6_EEEESI_S6_NSB_4plusIvEENSB_8equal_toIvEES6_EE10hipError_tPvRmT2_T3_T4_T5_mT6_T7_P12ihipStream_tbENKUlT_T0_E_clISt17integral_constantIbLb0EES12_IbLb1EEEEDaSY_SZ_EUlSY_E_NS1_11comp_targetILNS1_3genE5ELNS1_11target_archE942ELNS1_3gpuE9ELNS1_3repE0EEENS1_30default_config_static_selectorELNS0_4arch9wavefront6targetE0EEEvT1_
                                        ; -- End function
	.set _ZN7rocprim17ROCPRIM_400000_NS6detail17trampoline_kernelINS0_14default_configENS1_27scan_by_key_config_selectorIj11FixedVectorIiLj1EEEEZZNS1_16scan_by_key_implILNS1_25lookback_scan_determinismE0ELb1ES3_N6thrust23THRUST_200600_302600_NS6detail15normal_iteratorINSB_10device_ptrIjEEEENSD_INSE_IS6_EEEESI_S6_NSB_4plusIvEENSB_8equal_toIvEES6_EE10hipError_tPvRmT2_T3_T4_T5_mT6_T7_P12ihipStream_tbENKUlT_T0_E_clISt17integral_constantIbLb0EES12_IbLb1EEEEDaSY_SZ_EUlSY_E_NS1_11comp_targetILNS1_3genE5ELNS1_11target_archE942ELNS1_3gpuE9ELNS1_3repE0EEENS1_30default_config_static_selectorELNS0_4arch9wavefront6targetE0EEEvT1_.num_vgpr, 0
	.set _ZN7rocprim17ROCPRIM_400000_NS6detail17trampoline_kernelINS0_14default_configENS1_27scan_by_key_config_selectorIj11FixedVectorIiLj1EEEEZZNS1_16scan_by_key_implILNS1_25lookback_scan_determinismE0ELb1ES3_N6thrust23THRUST_200600_302600_NS6detail15normal_iteratorINSB_10device_ptrIjEEEENSD_INSE_IS6_EEEESI_S6_NSB_4plusIvEENSB_8equal_toIvEES6_EE10hipError_tPvRmT2_T3_T4_T5_mT6_T7_P12ihipStream_tbENKUlT_T0_E_clISt17integral_constantIbLb0EES12_IbLb1EEEEDaSY_SZ_EUlSY_E_NS1_11comp_targetILNS1_3genE5ELNS1_11target_archE942ELNS1_3gpuE9ELNS1_3repE0EEENS1_30default_config_static_selectorELNS0_4arch9wavefront6targetE0EEEvT1_.num_agpr, 0
	.set _ZN7rocprim17ROCPRIM_400000_NS6detail17trampoline_kernelINS0_14default_configENS1_27scan_by_key_config_selectorIj11FixedVectorIiLj1EEEEZZNS1_16scan_by_key_implILNS1_25lookback_scan_determinismE0ELb1ES3_N6thrust23THRUST_200600_302600_NS6detail15normal_iteratorINSB_10device_ptrIjEEEENSD_INSE_IS6_EEEESI_S6_NSB_4plusIvEENSB_8equal_toIvEES6_EE10hipError_tPvRmT2_T3_T4_T5_mT6_T7_P12ihipStream_tbENKUlT_T0_E_clISt17integral_constantIbLb0EES12_IbLb1EEEEDaSY_SZ_EUlSY_E_NS1_11comp_targetILNS1_3genE5ELNS1_11target_archE942ELNS1_3gpuE9ELNS1_3repE0EEENS1_30default_config_static_selectorELNS0_4arch9wavefront6targetE0EEEvT1_.numbered_sgpr, 0
	.set _ZN7rocprim17ROCPRIM_400000_NS6detail17trampoline_kernelINS0_14default_configENS1_27scan_by_key_config_selectorIj11FixedVectorIiLj1EEEEZZNS1_16scan_by_key_implILNS1_25lookback_scan_determinismE0ELb1ES3_N6thrust23THRUST_200600_302600_NS6detail15normal_iteratorINSB_10device_ptrIjEEEENSD_INSE_IS6_EEEESI_S6_NSB_4plusIvEENSB_8equal_toIvEES6_EE10hipError_tPvRmT2_T3_T4_T5_mT6_T7_P12ihipStream_tbENKUlT_T0_E_clISt17integral_constantIbLb0EES12_IbLb1EEEEDaSY_SZ_EUlSY_E_NS1_11comp_targetILNS1_3genE5ELNS1_11target_archE942ELNS1_3gpuE9ELNS1_3repE0EEENS1_30default_config_static_selectorELNS0_4arch9wavefront6targetE0EEEvT1_.num_named_barrier, 0
	.set _ZN7rocprim17ROCPRIM_400000_NS6detail17trampoline_kernelINS0_14default_configENS1_27scan_by_key_config_selectorIj11FixedVectorIiLj1EEEEZZNS1_16scan_by_key_implILNS1_25lookback_scan_determinismE0ELb1ES3_N6thrust23THRUST_200600_302600_NS6detail15normal_iteratorINSB_10device_ptrIjEEEENSD_INSE_IS6_EEEESI_S6_NSB_4plusIvEENSB_8equal_toIvEES6_EE10hipError_tPvRmT2_T3_T4_T5_mT6_T7_P12ihipStream_tbENKUlT_T0_E_clISt17integral_constantIbLb0EES12_IbLb1EEEEDaSY_SZ_EUlSY_E_NS1_11comp_targetILNS1_3genE5ELNS1_11target_archE942ELNS1_3gpuE9ELNS1_3repE0EEENS1_30default_config_static_selectorELNS0_4arch9wavefront6targetE0EEEvT1_.private_seg_size, 0
	.set _ZN7rocprim17ROCPRIM_400000_NS6detail17trampoline_kernelINS0_14default_configENS1_27scan_by_key_config_selectorIj11FixedVectorIiLj1EEEEZZNS1_16scan_by_key_implILNS1_25lookback_scan_determinismE0ELb1ES3_N6thrust23THRUST_200600_302600_NS6detail15normal_iteratorINSB_10device_ptrIjEEEENSD_INSE_IS6_EEEESI_S6_NSB_4plusIvEENSB_8equal_toIvEES6_EE10hipError_tPvRmT2_T3_T4_T5_mT6_T7_P12ihipStream_tbENKUlT_T0_E_clISt17integral_constantIbLb0EES12_IbLb1EEEEDaSY_SZ_EUlSY_E_NS1_11comp_targetILNS1_3genE5ELNS1_11target_archE942ELNS1_3gpuE9ELNS1_3repE0EEENS1_30default_config_static_selectorELNS0_4arch9wavefront6targetE0EEEvT1_.uses_vcc, 0
	.set _ZN7rocprim17ROCPRIM_400000_NS6detail17trampoline_kernelINS0_14default_configENS1_27scan_by_key_config_selectorIj11FixedVectorIiLj1EEEEZZNS1_16scan_by_key_implILNS1_25lookback_scan_determinismE0ELb1ES3_N6thrust23THRUST_200600_302600_NS6detail15normal_iteratorINSB_10device_ptrIjEEEENSD_INSE_IS6_EEEESI_S6_NSB_4plusIvEENSB_8equal_toIvEES6_EE10hipError_tPvRmT2_T3_T4_T5_mT6_T7_P12ihipStream_tbENKUlT_T0_E_clISt17integral_constantIbLb0EES12_IbLb1EEEEDaSY_SZ_EUlSY_E_NS1_11comp_targetILNS1_3genE5ELNS1_11target_archE942ELNS1_3gpuE9ELNS1_3repE0EEENS1_30default_config_static_selectorELNS0_4arch9wavefront6targetE0EEEvT1_.uses_flat_scratch, 0
	.set _ZN7rocprim17ROCPRIM_400000_NS6detail17trampoline_kernelINS0_14default_configENS1_27scan_by_key_config_selectorIj11FixedVectorIiLj1EEEEZZNS1_16scan_by_key_implILNS1_25lookback_scan_determinismE0ELb1ES3_N6thrust23THRUST_200600_302600_NS6detail15normal_iteratorINSB_10device_ptrIjEEEENSD_INSE_IS6_EEEESI_S6_NSB_4plusIvEENSB_8equal_toIvEES6_EE10hipError_tPvRmT2_T3_T4_T5_mT6_T7_P12ihipStream_tbENKUlT_T0_E_clISt17integral_constantIbLb0EES12_IbLb1EEEEDaSY_SZ_EUlSY_E_NS1_11comp_targetILNS1_3genE5ELNS1_11target_archE942ELNS1_3gpuE9ELNS1_3repE0EEENS1_30default_config_static_selectorELNS0_4arch9wavefront6targetE0EEEvT1_.has_dyn_sized_stack, 0
	.set _ZN7rocprim17ROCPRIM_400000_NS6detail17trampoline_kernelINS0_14default_configENS1_27scan_by_key_config_selectorIj11FixedVectorIiLj1EEEEZZNS1_16scan_by_key_implILNS1_25lookback_scan_determinismE0ELb1ES3_N6thrust23THRUST_200600_302600_NS6detail15normal_iteratorINSB_10device_ptrIjEEEENSD_INSE_IS6_EEEESI_S6_NSB_4plusIvEENSB_8equal_toIvEES6_EE10hipError_tPvRmT2_T3_T4_T5_mT6_T7_P12ihipStream_tbENKUlT_T0_E_clISt17integral_constantIbLb0EES12_IbLb1EEEEDaSY_SZ_EUlSY_E_NS1_11comp_targetILNS1_3genE5ELNS1_11target_archE942ELNS1_3gpuE9ELNS1_3repE0EEENS1_30default_config_static_selectorELNS0_4arch9wavefront6targetE0EEEvT1_.has_recursion, 0
	.set _ZN7rocprim17ROCPRIM_400000_NS6detail17trampoline_kernelINS0_14default_configENS1_27scan_by_key_config_selectorIj11FixedVectorIiLj1EEEEZZNS1_16scan_by_key_implILNS1_25lookback_scan_determinismE0ELb1ES3_N6thrust23THRUST_200600_302600_NS6detail15normal_iteratorINSB_10device_ptrIjEEEENSD_INSE_IS6_EEEESI_S6_NSB_4plusIvEENSB_8equal_toIvEES6_EE10hipError_tPvRmT2_T3_T4_T5_mT6_T7_P12ihipStream_tbENKUlT_T0_E_clISt17integral_constantIbLb0EES12_IbLb1EEEEDaSY_SZ_EUlSY_E_NS1_11comp_targetILNS1_3genE5ELNS1_11target_archE942ELNS1_3gpuE9ELNS1_3repE0EEENS1_30default_config_static_selectorELNS0_4arch9wavefront6targetE0EEEvT1_.has_indirect_call, 0
	.section	.AMDGPU.csdata,"",@progbits
; Kernel info:
; codeLenInByte = 0
; TotalNumSgprs: 0
; NumVgprs: 0
; ScratchSize: 0
; MemoryBound: 0
; FloatMode: 240
; IeeeMode: 1
; LDSByteSize: 0 bytes/workgroup (compile time only)
; SGPRBlocks: 0
; VGPRBlocks: 0
; NumSGPRsForWavesPerEU: 1
; NumVGPRsForWavesPerEU: 1
; Occupancy: 16
; WaveLimiterHint : 0
; COMPUTE_PGM_RSRC2:SCRATCH_EN: 0
; COMPUTE_PGM_RSRC2:USER_SGPR: 6
; COMPUTE_PGM_RSRC2:TRAP_HANDLER: 0
; COMPUTE_PGM_RSRC2:TGID_X_EN: 1
; COMPUTE_PGM_RSRC2:TGID_Y_EN: 0
; COMPUTE_PGM_RSRC2:TGID_Z_EN: 0
; COMPUTE_PGM_RSRC2:TIDIG_COMP_CNT: 0
	.section	.text._ZN7rocprim17ROCPRIM_400000_NS6detail17trampoline_kernelINS0_14default_configENS1_27scan_by_key_config_selectorIj11FixedVectorIiLj1EEEEZZNS1_16scan_by_key_implILNS1_25lookback_scan_determinismE0ELb1ES3_N6thrust23THRUST_200600_302600_NS6detail15normal_iteratorINSB_10device_ptrIjEEEENSD_INSE_IS6_EEEESI_S6_NSB_4plusIvEENSB_8equal_toIvEES6_EE10hipError_tPvRmT2_T3_T4_T5_mT6_T7_P12ihipStream_tbENKUlT_T0_E_clISt17integral_constantIbLb0EES12_IbLb1EEEEDaSY_SZ_EUlSY_E_NS1_11comp_targetILNS1_3genE4ELNS1_11target_archE910ELNS1_3gpuE8ELNS1_3repE0EEENS1_30default_config_static_selectorELNS0_4arch9wavefront6targetE0EEEvT1_,"axG",@progbits,_ZN7rocprim17ROCPRIM_400000_NS6detail17trampoline_kernelINS0_14default_configENS1_27scan_by_key_config_selectorIj11FixedVectorIiLj1EEEEZZNS1_16scan_by_key_implILNS1_25lookback_scan_determinismE0ELb1ES3_N6thrust23THRUST_200600_302600_NS6detail15normal_iteratorINSB_10device_ptrIjEEEENSD_INSE_IS6_EEEESI_S6_NSB_4plusIvEENSB_8equal_toIvEES6_EE10hipError_tPvRmT2_T3_T4_T5_mT6_T7_P12ihipStream_tbENKUlT_T0_E_clISt17integral_constantIbLb0EES12_IbLb1EEEEDaSY_SZ_EUlSY_E_NS1_11comp_targetILNS1_3genE4ELNS1_11target_archE910ELNS1_3gpuE8ELNS1_3repE0EEENS1_30default_config_static_selectorELNS0_4arch9wavefront6targetE0EEEvT1_,comdat
	.protected	_ZN7rocprim17ROCPRIM_400000_NS6detail17trampoline_kernelINS0_14default_configENS1_27scan_by_key_config_selectorIj11FixedVectorIiLj1EEEEZZNS1_16scan_by_key_implILNS1_25lookback_scan_determinismE0ELb1ES3_N6thrust23THRUST_200600_302600_NS6detail15normal_iteratorINSB_10device_ptrIjEEEENSD_INSE_IS6_EEEESI_S6_NSB_4plusIvEENSB_8equal_toIvEES6_EE10hipError_tPvRmT2_T3_T4_T5_mT6_T7_P12ihipStream_tbENKUlT_T0_E_clISt17integral_constantIbLb0EES12_IbLb1EEEEDaSY_SZ_EUlSY_E_NS1_11comp_targetILNS1_3genE4ELNS1_11target_archE910ELNS1_3gpuE8ELNS1_3repE0EEENS1_30default_config_static_selectorELNS0_4arch9wavefront6targetE0EEEvT1_ ; -- Begin function _ZN7rocprim17ROCPRIM_400000_NS6detail17trampoline_kernelINS0_14default_configENS1_27scan_by_key_config_selectorIj11FixedVectorIiLj1EEEEZZNS1_16scan_by_key_implILNS1_25lookback_scan_determinismE0ELb1ES3_N6thrust23THRUST_200600_302600_NS6detail15normal_iteratorINSB_10device_ptrIjEEEENSD_INSE_IS6_EEEESI_S6_NSB_4plusIvEENSB_8equal_toIvEES6_EE10hipError_tPvRmT2_T3_T4_T5_mT6_T7_P12ihipStream_tbENKUlT_T0_E_clISt17integral_constantIbLb0EES12_IbLb1EEEEDaSY_SZ_EUlSY_E_NS1_11comp_targetILNS1_3genE4ELNS1_11target_archE910ELNS1_3gpuE8ELNS1_3repE0EEENS1_30default_config_static_selectorELNS0_4arch9wavefront6targetE0EEEvT1_
	.globl	_ZN7rocprim17ROCPRIM_400000_NS6detail17trampoline_kernelINS0_14default_configENS1_27scan_by_key_config_selectorIj11FixedVectorIiLj1EEEEZZNS1_16scan_by_key_implILNS1_25lookback_scan_determinismE0ELb1ES3_N6thrust23THRUST_200600_302600_NS6detail15normal_iteratorINSB_10device_ptrIjEEEENSD_INSE_IS6_EEEESI_S6_NSB_4plusIvEENSB_8equal_toIvEES6_EE10hipError_tPvRmT2_T3_T4_T5_mT6_T7_P12ihipStream_tbENKUlT_T0_E_clISt17integral_constantIbLb0EES12_IbLb1EEEEDaSY_SZ_EUlSY_E_NS1_11comp_targetILNS1_3genE4ELNS1_11target_archE910ELNS1_3gpuE8ELNS1_3repE0EEENS1_30default_config_static_selectorELNS0_4arch9wavefront6targetE0EEEvT1_
	.p2align	8
	.type	_ZN7rocprim17ROCPRIM_400000_NS6detail17trampoline_kernelINS0_14default_configENS1_27scan_by_key_config_selectorIj11FixedVectorIiLj1EEEEZZNS1_16scan_by_key_implILNS1_25lookback_scan_determinismE0ELb1ES3_N6thrust23THRUST_200600_302600_NS6detail15normal_iteratorINSB_10device_ptrIjEEEENSD_INSE_IS6_EEEESI_S6_NSB_4plusIvEENSB_8equal_toIvEES6_EE10hipError_tPvRmT2_T3_T4_T5_mT6_T7_P12ihipStream_tbENKUlT_T0_E_clISt17integral_constantIbLb0EES12_IbLb1EEEEDaSY_SZ_EUlSY_E_NS1_11comp_targetILNS1_3genE4ELNS1_11target_archE910ELNS1_3gpuE8ELNS1_3repE0EEENS1_30default_config_static_selectorELNS0_4arch9wavefront6targetE0EEEvT1_,@function
_ZN7rocprim17ROCPRIM_400000_NS6detail17trampoline_kernelINS0_14default_configENS1_27scan_by_key_config_selectorIj11FixedVectorIiLj1EEEEZZNS1_16scan_by_key_implILNS1_25lookback_scan_determinismE0ELb1ES3_N6thrust23THRUST_200600_302600_NS6detail15normal_iteratorINSB_10device_ptrIjEEEENSD_INSE_IS6_EEEESI_S6_NSB_4plusIvEENSB_8equal_toIvEES6_EE10hipError_tPvRmT2_T3_T4_T5_mT6_T7_P12ihipStream_tbENKUlT_T0_E_clISt17integral_constantIbLb0EES12_IbLb1EEEEDaSY_SZ_EUlSY_E_NS1_11comp_targetILNS1_3genE4ELNS1_11target_archE910ELNS1_3gpuE8ELNS1_3repE0EEENS1_30default_config_static_selectorELNS0_4arch9wavefront6targetE0EEEvT1_: ; @_ZN7rocprim17ROCPRIM_400000_NS6detail17trampoline_kernelINS0_14default_configENS1_27scan_by_key_config_selectorIj11FixedVectorIiLj1EEEEZZNS1_16scan_by_key_implILNS1_25lookback_scan_determinismE0ELb1ES3_N6thrust23THRUST_200600_302600_NS6detail15normal_iteratorINSB_10device_ptrIjEEEENSD_INSE_IS6_EEEESI_S6_NSB_4plusIvEENSB_8equal_toIvEES6_EE10hipError_tPvRmT2_T3_T4_T5_mT6_T7_P12ihipStream_tbENKUlT_T0_E_clISt17integral_constantIbLb0EES12_IbLb1EEEEDaSY_SZ_EUlSY_E_NS1_11comp_targetILNS1_3genE4ELNS1_11target_archE910ELNS1_3gpuE8ELNS1_3repE0EEENS1_30default_config_static_selectorELNS0_4arch9wavefront6targetE0EEEvT1_
; %bb.0:
	.section	.rodata,"a",@progbits
	.p2align	6, 0x0
	.amdhsa_kernel _ZN7rocprim17ROCPRIM_400000_NS6detail17trampoline_kernelINS0_14default_configENS1_27scan_by_key_config_selectorIj11FixedVectorIiLj1EEEEZZNS1_16scan_by_key_implILNS1_25lookback_scan_determinismE0ELb1ES3_N6thrust23THRUST_200600_302600_NS6detail15normal_iteratorINSB_10device_ptrIjEEEENSD_INSE_IS6_EEEESI_S6_NSB_4plusIvEENSB_8equal_toIvEES6_EE10hipError_tPvRmT2_T3_T4_T5_mT6_T7_P12ihipStream_tbENKUlT_T0_E_clISt17integral_constantIbLb0EES12_IbLb1EEEEDaSY_SZ_EUlSY_E_NS1_11comp_targetILNS1_3genE4ELNS1_11target_archE910ELNS1_3gpuE8ELNS1_3repE0EEENS1_30default_config_static_selectorELNS0_4arch9wavefront6targetE0EEEvT1_
		.amdhsa_group_segment_fixed_size 0
		.amdhsa_private_segment_fixed_size 0
		.amdhsa_kernarg_size 112
		.amdhsa_user_sgpr_count 6
		.amdhsa_user_sgpr_private_segment_buffer 1
		.amdhsa_user_sgpr_dispatch_ptr 0
		.amdhsa_user_sgpr_queue_ptr 0
		.amdhsa_user_sgpr_kernarg_segment_ptr 1
		.amdhsa_user_sgpr_dispatch_id 0
		.amdhsa_user_sgpr_flat_scratch_init 0
		.amdhsa_user_sgpr_private_segment_size 0
		.amdhsa_wavefront_size32 1
		.amdhsa_uses_dynamic_stack 0
		.amdhsa_system_sgpr_private_segment_wavefront_offset 0
		.amdhsa_system_sgpr_workgroup_id_x 1
		.amdhsa_system_sgpr_workgroup_id_y 0
		.amdhsa_system_sgpr_workgroup_id_z 0
		.amdhsa_system_sgpr_workgroup_info 0
		.amdhsa_system_vgpr_workitem_id 0
		.amdhsa_next_free_vgpr 1
		.amdhsa_next_free_sgpr 1
		.amdhsa_reserve_vcc 0
		.amdhsa_reserve_flat_scratch 0
		.amdhsa_float_round_mode_32 0
		.amdhsa_float_round_mode_16_64 0
		.amdhsa_float_denorm_mode_32 3
		.amdhsa_float_denorm_mode_16_64 3
		.amdhsa_dx10_clamp 1
		.amdhsa_ieee_mode 1
		.amdhsa_fp16_overflow 0
		.amdhsa_workgroup_processor_mode 1
		.amdhsa_memory_ordered 1
		.amdhsa_forward_progress 1
		.amdhsa_shared_vgpr_count 0
		.amdhsa_exception_fp_ieee_invalid_op 0
		.amdhsa_exception_fp_denorm_src 0
		.amdhsa_exception_fp_ieee_div_zero 0
		.amdhsa_exception_fp_ieee_overflow 0
		.amdhsa_exception_fp_ieee_underflow 0
		.amdhsa_exception_fp_ieee_inexact 0
		.amdhsa_exception_int_div_zero 0
	.end_amdhsa_kernel
	.section	.text._ZN7rocprim17ROCPRIM_400000_NS6detail17trampoline_kernelINS0_14default_configENS1_27scan_by_key_config_selectorIj11FixedVectorIiLj1EEEEZZNS1_16scan_by_key_implILNS1_25lookback_scan_determinismE0ELb1ES3_N6thrust23THRUST_200600_302600_NS6detail15normal_iteratorINSB_10device_ptrIjEEEENSD_INSE_IS6_EEEESI_S6_NSB_4plusIvEENSB_8equal_toIvEES6_EE10hipError_tPvRmT2_T3_T4_T5_mT6_T7_P12ihipStream_tbENKUlT_T0_E_clISt17integral_constantIbLb0EES12_IbLb1EEEEDaSY_SZ_EUlSY_E_NS1_11comp_targetILNS1_3genE4ELNS1_11target_archE910ELNS1_3gpuE8ELNS1_3repE0EEENS1_30default_config_static_selectorELNS0_4arch9wavefront6targetE0EEEvT1_,"axG",@progbits,_ZN7rocprim17ROCPRIM_400000_NS6detail17trampoline_kernelINS0_14default_configENS1_27scan_by_key_config_selectorIj11FixedVectorIiLj1EEEEZZNS1_16scan_by_key_implILNS1_25lookback_scan_determinismE0ELb1ES3_N6thrust23THRUST_200600_302600_NS6detail15normal_iteratorINSB_10device_ptrIjEEEENSD_INSE_IS6_EEEESI_S6_NSB_4plusIvEENSB_8equal_toIvEES6_EE10hipError_tPvRmT2_T3_T4_T5_mT6_T7_P12ihipStream_tbENKUlT_T0_E_clISt17integral_constantIbLb0EES12_IbLb1EEEEDaSY_SZ_EUlSY_E_NS1_11comp_targetILNS1_3genE4ELNS1_11target_archE910ELNS1_3gpuE8ELNS1_3repE0EEENS1_30default_config_static_selectorELNS0_4arch9wavefront6targetE0EEEvT1_,comdat
.Lfunc_end1941:
	.size	_ZN7rocprim17ROCPRIM_400000_NS6detail17trampoline_kernelINS0_14default_configENS1_27scan_by_key_config_selectorIj11FixedVectorIiLj1EEEEZZNS1_16scan_by_key_implILNS1_25lookback_scan_determinismE0ELb1ES3_N6thrust23THRUST_200600_302600_NS6detail15normal_iteratorINSB_10device_ptrIjEEEENSD_INSE_IS6_EEEESI_S6_NSB_4plusIvEENSB_8equal_toIvEES6_EE10hipError_tPvRmT2_T3_T4_T5_mT6_T7_P12ihipStream_tbENKUlT_T0_E_clISt17integral_constantIbLb0EES12_IbLb1EEEEDaSY_SZ_EUlSY_E_NS1_11comp_targetILNS1_3genE4ELNS1_11target_archE910ELNS1_3gpuE8ELNS1_3repE0EEENS1_30default_config_static_selectorELNS0_4arch9wavefront6targetE0EEEvT1_, .Lfunc_end1941-_ZN7rocprim17ROCPRIM_400000_NS6detail17trampoline_kernelINS0_14default_configENS1_27scan_by_key_config_selectorIj11FixedVectorIiLj1EEEEZZNS1_16scan_by_key_implILNS1_25lookback_scan_determinismE0ELb1ES3_N6thrust23THRUST_200600_302600_NS6detail15normal_iteratorINSB_10device_ptrIjEEEENSD_INSE_IS6_EEEESI_S6_NSB_4plusIvEENSB_8equal_toIvEES6_EE10hipError_tPvRmT2_T3_T4_T5_mT6_T7_P12ihipStream_tbENKUlT_T0_E_clISt17integral_constantIbLb0EES12_IbLb1EEEEDaSY_SZ_EUlSY_E_NS1_11comp_targetILNS1_3genE4ELNS1_11target_archE910ELNS1_3gpuE8ELNS1_3repE0EEENS1_30default_config_static_selectorELNS0_4arch9wavefront6targetE0EEEvT1_
                                        ; -- End function
	.set _ZN7rocprim17ROCPRIM_400000_NS6detail17trampoline_kernelINS0_14default_configENS1_27scan_by_key_config_selectorIj11FixedVectorIiLj1EEEEZZNS1_16scan_by_key_implILNS1_25lookback_scan_determinismE0ELb1ES3_N6thrust23THRUST_200600_302600_NS6detail15normal_iteratorINSB_10device_ptrIjEEEENSD_INSE_IS6_EEEESI_S6_NSB_4plusIvEENSB_8equal_toIvEES6_EE10hipError_tPvRmT2_T3_T4_T5_mT6_T7_P12ihipStream_tbENKUlT_T0_E_clISt17integral_constantIbLb0EES12_IbLb1EEEEDaSY_SZ_EUlSY_E_NS1_11comp_targetILNS1_3genE4ELNS1_11target_archE910ELNS1_3gpuE8ELNS1_3repE0EEENS1_30default_config_static_selectorELNS0_4arch9wavefront6targetE0EEEvT1_.num_vgpr, 0
	.set _ZN7rocprim17ROCPRIM_400000_NS6detail17trampoline_kernelINS0_14default_configENS1_27scan_by_key_config_selectorIj11FixedVectorIiLj1EEEEZZNS1_16scan_by_key_implILNS1_25lookback_scan_determinismE0ELb1ES3_N6thrust23THRUST_200600_302600_NS6detail15normal_iteratorINSB_10device_ptrIjEEEENSD_INSE_IS6_EEEESI_S6_NSB_4plusIvEENSB_8equal_toIvEES6_EE10hipError_tPvRmT2_T3_T4_T5_mT6_T7_P12ihipStream_tbENKUlT_T0_E_clISt17integral_constantIbLb0EES12_IbLb1EEEEDaSY_SZ_EUlSY_E_NS1_11comp_targetILNS1_3genE4ELNS1_11target_archE910ELNS1_3gpuE8ELNS1_3repE0EEENS1_30default_config_static_selectorELNS0_4arch9wavefront6targetE0EEEvT1_.num_agpr, 0
	.set _ZN7rocprim17ROCPRIM_400000_NS6detail17trampoline_kernelINS0_14default_configENS1_27scan_by_key_config_selectorIj11FixedVectorIiLj1EEEEZZNS1_16scan_by_key_implILNS1_25lookback_scan_determinismE0ELb1ES3_N6thrust23THRUST_200600_302600_NS6detail15normal_iteratorINSB_10device_ptrIjEEEENSD_INSE_IS6_EEEESI_S6_NSB_4plusIvEENSB_8equal_toIvEES6_EE10hipError_tPvRmT2_T3_T4_T5_mT6_T7_P12ihipStream_tbENKUlT_T0_E_clISt17integral_constantIbLb0EES12_IbLb1EEEEDaSY_SZ_EUlSY_E_NS1_11comp_targetILNS1_3genE4ELNS1_11target_archE910ELNS1_3gpuE8ELNS1_3repE0EEENS1_30default_config_static_selectorELNS0_4arch9wavefront6targetE0EEEvT1_.numbered_sgpr, 0
	.set _ZN7rocprim17ROCPRIM_400000_NS6detail17trampoline_kernelINS0_14default_configENS1_27scan_by_key_config_selectorIj11FixedVectorIiLj1EEEEZZNS1_16scan_by_key_implILNS1_25lookback_scan_determinismE0ELb1ES3_N6thrust23THRUST_200600_302600_NS6detail15normal_iteratorINSB_10device_ptrIjEEEENSD_INSE_IS6_EEEESI_S6_NSB_4plusIvEENSB_8equal_toIvEES6_EE10hipError_tPvRmT2_T3_T4_T5_mT6_T7_P12ihipStream_tbENKUlT_T0_E_clISt17integral_constantIbLb0EES12_IbLb1EEEEDaSY_SZ_EUlSY_E_NS1_11comp_targetILNS1_3genE4ELNS1_11target_archE910ELNS1_3gpuE8ELNS1_3repE0EEENS1_30default_config_static_selectorELNS0_4arch9wavefront6targetE0EEEvT1_.num_named_barrier, 0
	.set _ZN7rocprim17ROCPRIM_400000_NS6detail17trampoline_kernelINS0_14default_configENS1_27scan_by_key_config_selectorIj11FixedVectorIiLj1EEEEZZNS1_16scan_by_key_implILNS1_25lookback_scan_determinismE0ELb1ES3_N6thrust23THRUST_200600_302600_NS6detail15normal_iteratorINSB_10device_ptrIjEEEENSD_INSE_IS6_EEEESI_S6_NSB_4plusIvEENSB_8equal_toIvEES6_EE10hipError_tPvRmT2_T3_T4_T5_mT6_T7_P12ihipStream_tbENKUlT_T0_E_clISt17integral_constantIbLb0EES12_IbLb1EEEEDaSY_SZ_EUlSY_E_NS1_11comp_targetILNS1_3genE4ELNS1_11target_archE910ELNS1_3gpuE8ELNS1_3repE0EEENS1_30default_config_static_selectorELNS0_4arch9wavefront6targetE0EEEvT1_.private_seg_size, 0
	.set _ZN7rocprim17ROCPRIM_400000_NS6detail17trampoline_kernelINS0_14default_configENS1_27scan_by_key_config_selectorIj11FixedVectorIiLj1EEEEZZNS1_16scan_by_key_implILNS1_25lookback_scan_determinismE0ELb1ES3_N6thrust23THRUST_200600_302600_NS6detail15normal_iteratorINSB_10device_ptrIjEEEENSD_INSE_IS6_EEEESI_S6_NSB_4plusIvEENSB_8equal_toIvEES6_EE10hipError_tPvRmT2_T3_T4_T5_mT6_T7_P12ihipStream_tbENKUlT_T0_E_clISt17integral_constantIbLb0EES12_IbLb1EEEEDaSY_SZ_EUlSY_E_NS1_11comp_targetILNS1_3genE4ELNS1_11target_archE910ELNS1_3gpuE8ELNS1_3repE0EEENS1_30default_config_static_selectorELNS0_4arch9wavefront6targetE0EEEvT1_.uses_vcc, 0
	.set _ZN7rocprim17ROCPRIM_400000_NS6detail17trampoline_kernelINS0_14default_configENS1_27scan_by_key_config_selectorIj11FixedVectorIiLj1EEEEZZNS1_16scan_by_key_implILNS1_25lookback_scan_determinismE0ELb1ES3_N6thrust23THRUST_200600_302600_NS6detail15normal_iteratorINSB_10device_ptrIjEEEENSD_INSE_IS6_EEEESI_S6_NSB_4plusIvEENSB_8equal_toIvEES6_EE10hipError_tPvRmT2_T3_T4_T5_mT6_T7_P12ihipStream_tbENKUlT_T0_E_clISt17integral_constantIbLb0EES12_IbLb1EEEEDaSY_SZ_EUlSY_E_NS1_11comp_targetILNS1_3genE4ELNS1_11target_archE910ELNS1_3gpuE8ELNS1_3repE0EEENS1_30default_config_static_selectorELNS0_4arch9wavefront6targetE0EEEvT1_.uses_flat_scratch, 0
	.set _ZN7rocprim17ROCPRIM_400000_NS6detail17trampoline_kernelINS0_14default_configENS1_27scan_by_key_config_selectorIj11FixedVectorIiLj1EEEEZZNS1_16scan_by_key_implILNS1_25lookback_scan_determinismE0ELb1ES3_N6thrust23THRUST_200600_302600_NS6detail15normal_iteratorINSB_10device_ptrIjEEEENSD_INSE_IS6_EEEESI_S6_NSB_4plusIvEENSB_8equal_toIvEES6_EE10hipError_tPvRmT2_T3_T4_T5_mT6_T7_P12ihipStream_tbENKUlT_T0_E_clISt17integral_constantIbLb0EES12_IbLb1EEEEDaSY_SZ_EUlSY_E_NS1_11comp_targetILNS1_3genE4ELNS1_11target_archE910ELNS1_3gpuE8ELNS1_3repE0EEENS1_30default_config_static_selectorELNS0_4arch9wavefront6targetE0EEEvT1_.has_dyn_sized_stack, 0
	.set _ZN7rocprim17ROCPRIM_400000_NS6detail17trampoline_kernelINS0_14default_configENS1_27scan_by_key_config_selectorIj11FixedVectorIiLj1EEEEZZNS1_16scan_by_key_implILNS1_25lookback_scan_determinismE0ELb1ES3_N6thrust23THRUST_200600_302600_NS6detail15normal_iteratorINSB_10device_ptrIjEEEENSD_INSE_IS6_EEEESI_S6_NSB_4plusIvEENSB_8equal_toIvEES6_EE10hipError_tPvRmT2_T3_T4_T5_mT6_T7_P12ihipStream_tbENKUlT_T0_E_clISt17integral_constantIbLb0EES12_IbLb1EEEEDaSY_SZ_EUlSY_E_NS1_11comp_targetILNS1_3genE4ELNS1_11target_archE910ELNS1_3gpuE8ELNS1_3repE0EEENS1_30default_config_static_selectorELNS0_4arch9wavefront6targetE0EEEvT1_.has_recursion, 0
	.set _ZN7rocprim17ROCPRIM_400000_NS6detail17trampoline_kernelINS0_14default_configENS1_27scan_by_key_config_selectorIj11FixedVectorIiLj1EEEEZZNS1_16scan_by_key_implILNS1_25lookback_scan_determinismE0ELb1ES3_N6thrust23THRUST_200600_302600_NS6detail15normal_iteratorINSB_10device_ptrIjEEEENSD_INSE_IS6_EEEESI_S6_NSB_4plusIvEENSB_8equal_toIvEES6_EE10hipError_tPvRmT2_T3_T4_T5_mT6_T7_P12ihipStream_tbENKUlT_T0_E_clISt17integral_constantIbLb0EES12_IbLb1EEEEDaSY_SZ_EUlSY_E_NS1_11comp_targetILNS1_3genE4ELNS1_11target_archE910ELNS1_3gpuE8ELNS1_3repE0EEENS1_30default_config_static_selectorELNS0_4arch9wavefront6targetE0EEEvT1_.has_indirect_call, 0
	.section	.AMDGPU.csdata,"",@progbits
; Kernel info:
; codeLenInByte = 0
; TotalNumSgprs: 0
; NumVgprs: 0
; ScratchSize: 0
; MemoryBound: 0
; FloatMode: 240
; IeeeMode: 1
; LDSByteSize: 0 bytes/workgroup (compile time only)
; SGPRBlocks: 0
; VGPRBlocks: 0
; NumSGPRsForWavesPerEU: 1
; NumVGPRsForWavesPerEU: 1
; Occupancy: 16
; WaveLimiterHint : 0
; COMPUTE_PGM_RSRC2:SCRATCH_EN: 0
; COMPUTE_PGM_RSRC2:USER_SGPR: 6
; COMPUTE_PGM_RSRC2:TRAP_HANDLER: 0
; COMPUTE_PGM_RSRC2:TGID_X_EN: 1
; COMPUTE_PGM_RSRC2:TGID_Y_EN: 0
; COMPUTE_PGM_RSRC2:TGID_Z_EN: 0
; COMPUTE_PGM_RSRC2:TIDIG_COMP_CNT: 0
	.section	.text._ZN7rocprim17ROCPRIM_400000_NS6detail17trampoline_kernelINS0_14default_configENS1_27scan_by_key_config_selectorIj11FixedVectorIiLj1EEEEZZNS1_16scan_by_key_implILNS1_25lookback_scan_determinismE0ELb1ES3_N6thrust23THRUST_200600_302600_NS6detail15normal_iteratorINSB_10device_ptrIjEEEENSD_INSE_IS6_EEEESI_S6_NSB_4plusIvEENSB_8equal_toIvEES6_EE10hipError_tPvRmT2_T3_T4_T5_mT6_T7_P12ihipStream_tbENKUlT_T0_E_clISt17integral_constantIbLb0EES12_IbLb1EEEEDaSY_SZ_EUlSY_E_NS1_11comp_targetILNS1_3genE3ELNS1_11target_archE908ELNS1_3gpuE7ELNS1_3repE0EEENS1_30default_config_static_selectorELNS0_4arch9wavefront6targetE0EEEvT1_,"axG",@progbits,_ZN7rocprim17ROCPRIM_400000_NS6detail17trampoline_kernelINS0_14default_configENS1_27scan_by_key_config_selectorIj11FixedVectorIiLj1EEEEZZNS1_16scan_by_key_implILNS1_25lookback_scan_determinismE0ELb1ES3_N6thrust23THRUST_200600_302600_NS6detail15normal_iteratorINSB_10device_ptrIjEEEENSD_INSE_IS6_EEEESI_S6_NSB_4plusIvEENSB_8equal_toIvEES6_EE10hipError_tPvRmT2_T3_T4_T5_mT6_T7_P12ihipStream_tbENKUlT_T0_E_clISt17integral_constantIbLb0EES12_IbLb1EEEEDaSY_SZ_EUlSY_E_NS1_11comp_targetILNS1_3genE3ELNS1_11target_archE908ELNS1_3gpuE7ELNS1_3repE0EEENS1_30default_config_static_selectorELNS0_4arch9wavefront6targetE0EEEvT1_,comdat
	.protected	_ZN7rocprim17ROCPRIM_400000_NS6detail17trampoline_kernelINS0_14default_configENS1_27scan_by_key_config_selectorIj11FixedVectorIiLj1EEEEZZNS1_16scan_by_key_implILNS1_25lookback_scan_determinismE0ELb1ES3_N6thrust23THRUST_200600_302600_NS6detail15normal_iteratorINSB_10device_ptrIjEEEENSD_INSE_IS6_EEEESI_S6_NSB_4plusIvEENSB_8equal_toIvEES6_EE10hipError_tPvRmT2_T3_T4_T5_mT6_T7_P12ihipStream_tbENKUlT_T0_E_clISt17integral_constantIbLb0EES12_IbLb1EEEEDaSY_SZ_EUlSY_E_NS1_11comp_targetILNS1_3genE3ELNS1_11target_archE908ELNS1_3gpuE7ELNS1_3repE0EEENS1_30default_config_static_selectorELNS0_4arch9wavefront6targetE0EEEvT1_ ; -- Begin function _ZN7rocprim17ROCPRIM_400000_NS6detail17trampoline_kernelINS0_14default_configENS1_27scan_by_key_config_selectorIj11FixedVectorIiLj1EEEEZZNS1_16scan_by_key_implILNS1_25lookback_scan_determinismE0ELb1ES3_N6thrust23THRUST_200600_302600_NS6detail15normal_iteratorINSB_10device_ptrIjEEEENSD_INSE_IS6_EEEESI_S6_NSB_4plusIvEENSB_8equal_toIvEES6_EE10hipError_tPvRmT2_T3_T4_T5_mT6_T7_P12ihipStream_tbENKUlT_T0_E_clISt17integral_constantIbLb0EES12_IbLb1EEEEDaSY_SZ_EUlSY_E_NS1_11comp_targetILNS1_3genE3ELNS1_11target_archE908ELNS1_3gpuE7ELNS1_3repE0EEENS1_30default_config_static_selectorELNS0_4arch9wavefront6targetE0EEEvT1_
	.globl	_ZN7rocprim17ROCPRIM_400000_NS6detail17trampoline_kernelINS0_14default_configENS1_27scan_by_key_config_selectorIj11FixedVectorIiLj1EEEEZZNS1_16scan_by_key_implILNS1_25lookback_scan_determinismE0ELb1ES3_N6thrust23THRUST_200600_302600_NS6detail15normal_iteratorINSB_10device_ptrIjEEEENSD_INSE_IS6_EEEESI_S6_NSB_4plusIvEENSB_8equal_toIvEES6_EE10hipError_tPvRmT2_T3_T4_T5_mT6_T7_P12ihipStream_tbENKUlT_T0_E_clISt17integral_constantIbLb0EES12_IbLb1EEEEDaSY_SZ_EUlSY_E_NS1_11comp_targetILNS1_3genE3ELNS1_11target_archE908ELNS1_3gpuE7ELNS1_3repE0EEENS1_30default_config_static_selectorELNS0_4arch9wavefront6targetE0EEEvT1_
	.p2align	8
	.type	_ZN7rocprim17ROCPRIM_400000_NS6detail17trampoline_kernelINS0_14default_configENS1_27scan_by_key_config_selectorIj11FixedVectorIiLj1EEEEZZNS1_16scan_by_key_implILNS1_25lookback_scan_determinismE0ELb1ES3_N6thrust23THRUST_200600_302600_NS6detail15normal_iteratorINSB_10device_ptrIjEEEENSD_INSE_IS6_EEEESI_S6_NSB_4plusIvEENSB_8equal_toIvEES6_EE10hipError_tPvRmT2_T3_T4_T5_mT6_T7_P12ihipStream_tbENKUlT_T0_E_clISt17integral_constantIbLb0EES12_IbLb1EEEEDaSY_SZ_EUlSY_E_NS1_11comp_targetILNS1_3genE3ELNS1_11target_archE908ELNS1_3gpuE7ELNS1_3repE0EEENS1_30default_config_static_selectorELNS0_4arch9wavefront6targetE0EEEvT1_,@function
_ZN7rocprim17ROCPRIM_400000_NS6detail17trampoline_kernelINS0_14default_configENS1_27scan_by_key_config_selectorIj11FixedVectorIiLj1EEEEZZNS1_16scan_by_key_implILNS1_25lookback_scan_determinismE0ELb1ES3_N6thrust23THRUST_200600_302600_NS6detail15normal_iteratorINSB_10device_ptrIjEEEENSD_INSE_IS6_EEEESI_S6_NSB_4plusIvEENSB_8equal_toIvEES6_EE10hipError_tPvRmT2_T3_T4_T5_mT6_T7_P12ihipStream_tbENKUlT_T0_E_clISt17integral_constantIbLb0EES12_IbLb1EEEEDaSY_SZ_EUlSY_E_NS1_11comp_targetILNS1_3genE3ELNS1_11target_archE908ELNS1_3gpuE7ELNS1_3repE0EEENS1_30default_config_static_selectorELNS0_4arch9wavefront6targetE0EEEvT1_: ; @_ZN7rocprim17ROCPRIM_400000_NS6detail17trampoline_kernelINS0_14default_configENS1_27scan_by_key_config_selectorIj11FixedVectorIiLj1EEEEZZNS1_16scan_by_key_implILNS1_25lookback_scan_determinismE0ELb1ES3_N6thrust23THRUST_200600_302600_NS6detail15normal_iteratorINSB_10device_ptrIjEEEENSD_INSE_IS6_EEEESI_S6_NSB_4plusIvEENSB_8equal_toIvEES6_EE10hipError_tPvRmT2_T3_T4_T5_mT6_T7_P12ihipStream_tbENKUlT_T0_E_clISt17integral_constantIbLb0EES12_IbLb1EEEEDaSY_SZ_EUlSY_E_NS1_11comp_targetILNS1_3genE3ELNS1_11target_archE908ELNS1_3gpuE7ELNS1_3repE0EEENS1_30default_config_static_selectorELNS0_4arch9wavefront6targetE0EEEvT1_
; %bb.0:
	.section	.rodata,"a",@progbits
	.p2align	6, 0x0
	.amdhsa_kernel _ZN7rocprim17ROCPRIM_400000_NS6detail17trampoline_kernelINS0_14default_configENS1_27scan_by_key_config_selectorIj11FixedVectorIiLj1EEEEZZNS1_16scan_by_key_implILNS1_25lookback_scan_determinismE0ELb1ES3_N6thrust23THRUST_200600_302600_NS6detail15normal_iteratorINSB_10device_ptrIjEEEENSD_INSE_IS6_EEEESI_S6_NSB_4plusIvEENSB_8equal_toIvEES6_EE10hipError_tPvRmT2_T3_T4_T5_mT6_T7_P12ihipStream_tbENKUlT_T0_E_clISt17integral_constantIbLb0EES12_IbLb1EEEEDaSY_SZ_EUlSY_E_NS1_11comp_targetILNS1_3genE3ELNS1_11target_archE908ELNS1_3gpuE7ELNS1_3repE0EEENS1_30default_config_static_selectorELNS0_4arch9wavefront6targetE0EEEvT1_
		.amdhsa_group_segment_fixed_size 0
		.amdhsa_private_segment_fixed_size 0
		.amdhsa_kernarg_size 112
		.amdhsa_user_sgpr_count 6
		.amdhsa_user_sgpr_private_segment_buffer 1
		.amdhsa_user_sgpr_dispatch_ptr 0
		.amdhsa_user_sgpr_queue_ptr 0
		.amdhsa_user_sgpr_kernarg_segment_ptr 1
		.amdhsa_user_sgpr_dispatch_id 0
		.amdhsa_user_sgpr_flat_scratch_init 0
		.amdhsa_user_sgpr_private_segment_size 0
		.amdhsa_wavefront_size32 1
		.amdhsa_uses_dynamic_stack 0
		.amdhsa_system_sgpr_private_segment_wavefront_offset 0
		.amdhsa_system_sgpr_workgroup_id_x 1
		.amdhsa_system_sgpr_workgroup_id_y 0
		.amdhsa_system_sgpr_workgroup_id_z 0
		.amdhsa_system_sgpr_workgroup_info 0
		.amdhsa_system_vgpr_workitem_id 0
		.amdhsa_next_free_vgpr 1
		.amdhsa_next_free_sgpr 1
		.amdhsa_reserve_vcc 0
		.amdhsa_reserve_flat_scratch 0
		.amdhsa_float_round_mode_32 0
		.amdhsa_float_round_mode_16_64 0
		.amdhsa_float_denorm_mode_32 3
		.amdhsa_float_denorm_mode_16_64 3
		.amdhsa_dx10_clamp 1
		.amdhsa_ieee_mode 1
		.amdhsa_fp16_overflow 0
		.amdhsa_workgroup_processor_mode 1
		.amdhsa_memory_ordered 1
		.amdhsa_forward_progress 1
		.amdhsa_shared_vgpr_count 0
		.amdhsa_exception_fp_ieee_invalid_op 0
		.amdhsa_exception_fp_denorm_src 0
		.amdhsa_exception_fp_ieee_div_zero 0
		.amdhsa_exception_fp_ieee_overflow 0
		.amdhsa_exception_fp_ieee_underflow 0
		.amdhsa_exception_fp_ieee_inexact 0
		.amdhsa_exception_int_div_zero 0
	.end_amdhsa_kernel
	.section	.text._ZN7rocprim17ROCPRIM_400000_NS6detail17trampoline_kernelINS0_14default_configENS1_27scan_by_key_config_selectorIj11FixedVectorIiLj1EEEEZZNS1_16scan_by_key_implILNS1_25lookback_scan_determinismE0ELb1ES3_N6thrust23THRUST_200600_302600_NS6detail15normal_iteratorINSB_10device_ptrIjEEEENSD_INSE_IS6_EEEESI_S6_NSB_4plusIvEENSB_8equal_toIvEES6_EE10hipError_tPvRmT2_T3_T4_T5_mT6_T7_P12ihipStream_tbENKUlT_T0_E_clISt17integral_constantIbLb0EES12_IbLb1EEEEDaSY_SZ_EUlSY_E_NS1_11comp_targetILNS1_3genE3ELNS1_11target_archE908ELNS1_3gpuE7ELNS1_3repE0EEENS1_30default_config_static_selectorELNS0_4arch9wavefront6targetE0EEEvT1_,"axG",@progbits,_ZN7rocprim17ROCPRIM_400000_NS6detail17trampoline_kernelINS0_14default_configENS1_27scan_by_key_config_selectorIj11FixedVectorIiLj1EEEEZZNS1_16scan_by_key_implILNS1_25lookback_scan_determinismE0ELb1ES3_N6thrust23THRUST_200600_302600_NS6detail15normal_iteratorINSB_10device_ptrIjEEEENSD_INSE_IS6_EEEESI_S6_NSB_4plusIvEENSB_8equal_toIvEES6_EE10hipError_tPvRmT2_T3_T4_T5_mT6_T7_P12ihipStream_tbENKUlT_T0_E_clISt17integral_constantIbLb0EES12_IbLb1EEEEDaSY_SZ_EUlSY_E_NS1_11comp_targetILNS1_3genE3ELNS1_11target_archE908ELNS1_3gpuE7ELNS1_3repE0EEENS1_30default_config_static_selectorELNS0_4arch9wavefront6targetE0EEEvT1_,comdat
.Lfunc_end1942:
	.size	_ZN7rocprim17ROCPRIM_400000_NS6detail17trampoline_kernelINS0_14default_configENS1_27scan_by_key_config_selectorIj11FixedVectorIiLj1EEEEZZNS1_16scan_by_key_implILNS1_25lookback_scan_determinismE0ELb1ES3_N6thrust23THRUST_200600_302600_NS6detail15normal_iteratorINSB_10device_ptrIjEEEENSD_INSE_IS6_EEEESI_S6_NSB_4plusIvEENSB_8equal_toIvEES6_EE10hipError_tPvRmT2_T3_T4_T5_mT6_T7_P12ihipStream_tbENKUlT_T0_E_clISt17integral_constantIbLb0EES12_IbLb1EEEEDaSY_SZ_EUlSY_E_NS1_11comp_targetILNS1_3genE3ELNS1_11target_archE908ELNS1_3gpuE7ELNS1_3repE0EEENS1_30default_config_static_selectorELNS0_4arch9wavefront6targetE0EEEvT1_, .Lfunc_end1942-_ZN7rocprim17ROCPRIM_400000_NS6detail17trampoline_kernelINS0_14default_configENS1_27scan_by_key_config_selectorIj11FixedVectorIiLj1EEEEZZNS1_16scan_by_key_implILNS1_25lookback_scan_determinismE0ELb1ES3_N6thrust23THRUST_200600_302600_NS6detail15normal_iteratorINSB_10device_ptrIjEEEENSD_INSE_IS6_EEEESI_S6_NSB_4plusIvEENSB_8equal_toIvEES6_EE10hipError_tPvRmT2_T3_T4_T5_mT6_T7_P12ihipStream_tbENKUlT_T0_E_clISt17integral_constantIbLb0EES12_IbLb1EEEEDaSY_SZ_EUlSY_E_NS1_11comp_targetILNS1_3genE3ELNS1_11target_archE908ELNS1_3gpuE7ELNS1_3repE0EEENS1_30default_config_static_selectorELNS0_4arch9wavefront6targetE0EEEvT1_
                                        ; -- End function
	.set _ZN7rocprim17ROCPRIM_400000_NS6detail17trampoline_kernelINS0_14default_configENS1_27scan_by_key_config_selectorIj11FixedVectorIiLj1EEEEZZNS1_16scan_by_key_implILNS1_25lookback_scan_determinismE0ELb1ES3_N6thrust23THRUST_200600_302600_NS6detail15normal_iteratorINSB_10device_ptrIjEEEENSD_INSE_IS6_EEEESI_S6_NSB_4plusIvEENSB_8equal_toIvEES6_EE10hipError_tPvRmT2_T3_T4_T5_mT6_T7_P12ihipStream_tbENKUlT_T0_E_clISt17integral_constantIbLb0EES12_IbLb1EEEEDaSY_SZ_EUlSY_E_NS1_11comp_targetILNS1_3genE3ELNS1_11target_archE908ELNS1_3gpuE7ELNS1_3repE0EEENS1_30default_config_static_selectorELNS0_4arch9wavefront6targetE0EEEvT1_.num_vgpr, 0
	.set _ZN7rocprim17ROCPRIM_400000_NS6detail17trampoline_kernelINS0_14default_configENS1_27scan_by_key_config_selectorIj11FixedVectorIiLj1EEEEZZNS1_16scan_by_key_implILNS1_25lookback_scan_determinismE0ELb1ES3_N6thrust23THRUST_200600_302600_NS6detail15normal_iteratorINSB_10device_ptrIjEEEENSD_INSE_IS6_EEEESI_S6_NSB_4plusIvEENSB_8equal_toIvEES6_EE10hipError_tPvRmT2_T3_T4_T5_mT6_T7_P12ihipStream_tbENKUlT_T0_E_clISt17integral_constantIbLb0EES12_IbLb1EEEEDaSY_SZ_EUlSY_E_NS1_11comp_targetILNS1_3genE3ELNS1_11target_archE908ELNS1_3gpuE7ELNS1_3repE0EEENS1_30default_config_static_selectorELNS0_4arch9wavefront6targetE0EEEvT1_.num_agpr, 0
	.set _ZN7rocprim17ROCPRIM_400000_NS6detail17trampoline_kernelINS0_14default_configENS1_27scan_by_key_config_selectorIj11FixedVectorIiLj1EEEEZZNS1_16scan_by_key_implILNS1_25lookback_scan_determinismE0ELb1ES3_N6thrust23THRUST_200600_302600_NS6detail15normal_iteratorINSB_10device_ptrIjEEEENSD_INSE_IS6_EEEESI_S6_NSB_4plusIvEENSB_8equal_toIvEES6_EE10hipError_tPvRmT2_T3_T4_T5_mT6_T7_P12ihipStream_tbENKUlT_T0_E_clISt17integral_constantIbLb0EES12_IbLb1EEEEDaSY_SZ_EUlSY_E_NS1_11comp_targetILNS1_3genE3ELNS1_11target_archE908ELNS1_3gpuE7ELNS1_3repE0EEENS1_30default_config_static_selectorELNS0_4arch9wavefront6targetE0EEEvT1_.numbered_sgpr, 0
	.set _ZN7rocprim17ROCPRIM_400000_NS6detail17trampoline_kernelINS0_14default_configENS1_27scan_by_key_config_selectorIj11FixedVectorIiLj1EEEEZZNS1_16scan_by_key_implILNS1_25lookback_scan_determinismE0ELb1ES3_N6thrust23THRUST_200600_302600_NS6detail15normal_iteratorINSB_10device_ptrIjEEEENSD_INSE_IS6_EEEESI_S6_NSB_4plusIvEENSB_8equal_toIvEES6_EE10hipError_tPvRmT2_T3_T4_T5_mT6_T7_P12ihipStream_tbENKUlT_T0_E_clISt17integral_constantIbLb0EES12_IbLb1EEEEDaSY_SZ_EUlSY_E_NS1_11comp_targetILNS1_3genE3ELNS1_11target_archE908ELNS1_3gpuE7ELNS1_3repE0EEENS1_30default_config_static_selectorELNS0_4arch9wavefront6targetE0EEEvT1_.num_named_barrier, 0
	.set _ZN7rocprim17ROCPRIM_400000_NS6detail17trampoline_kernelINS0_14default_configENS1_27scan_by_key_config_selectorIj11FixedVectorIiLj1EEEEZZNS1_16scan_by_key_implILNS1_25lookback_scan_determinismE0ELb1ES3_N6thrust23THRUST_200600_302600_NS6detail15normal_iteratorINSB_10device_ptrIjEEEENSD_INSE_IS6_EEEESI_S6_NSB_4plusIvEENSB_8equal_toIvEES6_EE10hipError_tPvRmT2_T3_T4_T5_mT6_T7_P12ihipStream_tbENKUlT_T0_E_clISt17integral_constantIbLb0EES12_IbLb1EEEEDaSY_SZ_EUlSY_E_NS1_11comp_targetILNS1_3genE3ELNS1_11target_archE908ELNS1_3gpuE7ELNS1_3repE0EEENS1_30default_config_static_selectorELNS0_4arch9wavefront6targetE0EEEvT1_.private_seg_size, 0
	.set _ZN7rocprim17ROCPRIM_400000_NS6detail17trampoline_kernelINS0_14default_configENS1_27scan_by_key_config_selectorIj11FixedVectorIiLj1EEEEZZNS1_16scan_by_key_implILNS1_25lookback_scan_determinismE0ELb1ES3_N6thrust23THRUST_200600_302600_NS6detail15normal_iteratorINSB_10device_ptrIjEEEENSD_INSE_IS6_EEEESI_S6_NSB_4plusIvEENSB_8equal_toIvEES6_EE10hipError_tPvRmT2_T3_T4_T5_mT6_T7_P12ihipStream_tbENKUlT_T0_E_clISt17integral_constantIbLb0EES12_IbLb1EEEEDaSY_SZ_EUlSY_E_NS1_11comp_targetILNS1_3genE3ELNS1_11target_archE908ELNS1_3gpuE7ELNS1_3repE0EEENS1_30default_config_static_selectorELNS0_4arch9wavefront6targetE0EEEvT1_.uses_vcc, 0
	.set _ZN7rocprim17ROCPRIM_400000_NS6detail17trampoline_kernelINS0_14default_configENS1_27scan_by_key_config_selectorIj11FixedVectorIiLj1EEEEZZNS1_16scan_by_key_implILNS1_25lookback_scan_determinismE0ELb1ES3_N6thrust23THRUST_200600_302600_NS6detail15normal_iteratorINSB_10device_ptrIjEEEENSD_INSE_IS6_EEEESI_S6_NSB_4plusIvEENSB_8equal_toIvEES6_EE10hipError_tPvRmT2_T3_T4_T5_mT6_T7_P12ihipStream_tbENKUlT_T0_E_clISt17integral_constantIbLb0EES12_IbLb1EEEEDaSY_SZ_EUlSY_E_NS1_11comp_targetILNS1_3genE3ELNS1_11target_archE908ELNS1_3gpuE7ELNS1_3repE0EEENS1_30default_config_static_selectorELNS0_4arch9wavefront6targetE0EEEvT1_.uses_flat_scratch, 0
	.set _ZN7rocprim17ROCPRIM_400000_NS6detail17trampoline_kernelINS0_14default_configENS1_27scan_by_key_config_selectorIj11FixedVectorIiLj1EEEEZZNS1_16scan_by_key_implILNS1_25lookback_scan_determinismE0ELb1ES3_N6thrust23THRUST_200600_302600_NS6detail15normal_iteratorINSB_10device_ptrIjEEEENSD_INSE_IS6_EEEESI_S6_NSB_4plusIvEENSB_8equal_toIvEES6_EE10hipError_tPvRmT2_T3_T4_T5_mT6_T7_P12ihipStream_tbENKUlT_T0_E_clISt17integral_constantIbLb0EES12_IbLb1EEEEDaSY_SZ_EUlSY_E_NS1_11comp_targetILNS1_3genE3ELNS1_11target_archE908ELNS1_3gpuE7ELNS1_3repE0EEENS1_30default_config_static_selectorELNS0_4arch9wavefront6targetE0EEEvT1_.has_dyn_sized_stack, 0
	.set _ZN7rocprim17ROCPRIM_400000_NS6detail17trampoline_kernelINS0_14default_configENS1_27scan_by_key_config_selectorIj11FixedVectorIiLj1EEEEZZNS1_16scan_by_key_implILNS1_25lookback_scan_determinismE0ELb1ES3_N6thrust23THRUST_200600_302600_NS6detail15normal_iteratorINSB_10device_ptrIjEEEENSD_INSE_IS6_EEEESI_S6_NSB_4plusIvEENSB_8equal_toIvEES6_EE10hipError_tPvRmT2_T3_T4_T5_mT6_T7_P12ihipStream_tbENKUlT_T0_E_clISt17integral_constantIbLb0EES12_IbLb1EEEEDaSY_SZ_EUlSY_E_NS1_11comp_targetILNS1_3genE3ELNS1_11target_archE908ELNS1_3gpuE7ELNS1_3repE0EEENS1_30default_config_static_selectorELNS0_4arch9wavefront6targetE0EEEvT1_.has_recursion, 0
	.set _ZN7rocprim17ROCPRIM_400000_NS6detail17trampoline_kernelINS0_14default_configENS1_27scan_by_key_config_selectorIj11FixedVectorIiLj1EEEEZZNS1_16scan_by_key_implILNS1_25lookback_scan_determinismE0ELb1ES3_N6thrust23THRUST_200600_302600_NS6detail15normal_iteratorINSB_10device_ptrIjEEEENSD_INSE_IS6_EEEESI_S6_NSB_4plusIvEENSB_8equal_toIvEES6_EE10hipError_tPvRmT2_T3_T4_T5_mT6_T7_P12ihipStream_tbENKUlT_T0_E_clISt17integral_constantIbLb0EES12_IbLb1EEEEDaSY_SZ_EUlSY_E_NS1_11comp_targetILNS1_3genE3ELNS1_11target_archE908ELNS1_3gpuE7ELNS1_3repE0EEENS1_30default_config_static_selectorELNS0_4arch9wavefront6targetE0EEEvT1_.has_indirect_call, 0
	.section	.AMDGPU.csdata,"",@progbits
; Kernel info:
; codeLenInByte = 0
; TotalNumSgprs: 0
; NumVgprs: 0
; ScratchSize: 0
; MemoryBound: 0
; FloatMode: 240
; IeeeMode: 1
; LDSByteSize: 0 bytes/workgroup (compile time only)
; SGPRBlocks: 0
; VGPRBlocks: 0
; NumSGPRsForWavesPerEU: 1
; NumVGPRsForWavesPerEU: 1
; Occupancy: 16
; WaveLimiterHint : 0
; COMPUTE_PGM_RSRC2:SCRATCH_EN: 0
; COMPUTE_PGM_RSRC2:USER_SGPR: 6
; COMPUTE_PGM_RSRC2:TRAP_HANDLER: 0
; COMPUTE_PGM_RSRC2:TGID_X_EN: 1
; COMPUTE_PGM_RSRC2:TGID_Y_EN: 0
; COMPUTE_PGM_RSRC2:TGID_Z_EN: 0
; COMPUTE_PGM_RSRC2:TIDIG_COMP_CNT: 0
	.section	.text._ZN7rocprim17ROCPRIM_400000_NS6detail17trampoline_kernelINS0_14default_configENS1_27scan_by_key_config_selectorIj11FixedVectorIiLj1EEEEZZNS1_16scan_by_key_implILNS1_25lookback_scan_determinismE0ELb1ES3_N6thrust23THRUST_200600_302600_NS6detail15normal_iteratorINSB_10device_ptrIjEEEENSD_INSE_IS6_EEEESI_S6_NSB_4plusIvEENSB_8equal_toIvEES6_EE10hipError_tPvRmT2_T3_T4_T5_mT6_T7_P12ihipStream_tbENKUlT_T0_E_clISt17integral_constantIbLb0EES12_IbLb1EEEEDaSY_SZ_EUlSY_E_NS1_11comp_targetILNS1_3genE2ELNS1_11target_archE906ELNS1_3gpuE6ELNS1_3repE0EEENS1_30default_config_static_selectorELNS0_4arch9wavefront6targetE0EEEvT1_,"axG",@progbits,_ZN7rocprim17ROCPRIM_400000_NS6detail17trampoline_kernelINS0_14default_configENS1_27scan_by_key_config_selectorIj11FixedVectorIiLj1EEEEZZNS1_16scan_by_key_implILNS1_25lookback_scan_determinismE0ELb1ES3_N6thrust23THRUST_200600_302600_NS6detail15normal_iteratorINSB_10device_ptrIjEEEENSD_INSE_IS6_EEEESI_S6_NSB_4plusIvEENSB_8equal_toIvEES6_EE10hipError_tPvRmT2_T3_T4_T5_mT6_T7_P12ihipStream_tbENKUlT_T0_E_clISt17integral_constantIbLb0EES12_IbLb1EEEEDaSY_SZ_EUlSY_E_NS1_11comp_targetILNS1_3genE2ELNS1_11target_archE906ELNS1_3gpuE6ELNS1_3repE0EEENS1_30default_config_static_selectorELNS0_4arch9wavefront6targetE0EEEvT1_,comdat
	.protected	_ZN7rocprim17ROCPRIM_400000_NS6detail17trampoline_kernelINS0_14default_configENS1_27scan_by_key_config_selectorIj11FixedVectorIiLj1EEEEZZNS1_16scan_by_key_implILNS1_25lookback_scan_determinismE0ELb1ES3_N6thrust23THRUST_200600_302600_NS6detail15normal_iteratorINSB_10device_ptrIjEEEENSD_INSE_IS6_EEEESI_S6_NSB_4plusIvEENSB_8equal_toIvEES6_EE10hipError_tPvRmT2_T3_T4_T5_mT6_T7_P12ihipStream_tbENKUlT_T0_E_clISt17integral_constantIbLb0EES12_IbLb1EEEEDaSY_SZ_EUlSY_E_NS1_11comp_targetILNS1_3genE2ELNS1_11target_archE906ELNS1_3gpuE6ELNS1_3repE0EEENS1_30default_config_static_selectorELNS0_4arch9wavefront6targetE0EEEvT1_ ; -- Begin function _ZN7rocprim17ROCPRIM_400000_NS6detail17trampoline_kernelINS0_14default_configENS1_27scan_by_key_config_selectorIj11FixedVectorIiLj1EEEEZZNS1_16scan_by_key_implILNS1_25lookback_scan_determinismE0ELb1ES3_N6thrust23THRUST_200600_302600_NS6detail15normal_iteratorINSB_10device_ptrIjEEEENSD_INSE_IS6_EEEESI_S6_NSB_4plusIvEENSB_8equal_toIvEES6_EE10hipError_tPvRmT2_T3_T4_T5_mT6_T7_P12ihipStream_tbENKUlT_T0_E_clISt17integral_constantIbLb0EES12_IbLb1EEEEDaSY_SZ_EUlSY_E_NS1_11comp_targetILNS1_3genE2ELNS1_11target_archE906ELNS1_3gpuE6ELNS1_3repE0EEENS1_30default_config_static_selectorELNS0_4arch9wavefront6targetE0EEEvT1_
	.globl	_ZN7rocprim17ROCPRIM_400000_NS6detail17trampoline_kernelINS0_14default_configENS1_27scan_by_key_config_selectorIj11FixedVectorIiLj1EEEEZZNS1_16scan_by_key_implILNS1_25lookback_scan_determinismE0ELb1ES3_N6thrust23THRUST_200600_302600_NS6detail15normal_iteratorINSB_10device_ptrIjEEEENSD_INSE_IS6_EEEESI_S6_NSB_4plusIvEENSB_8equal_toIvEES6_EE10hipError_tPvRmT2_T3_T4_T5_mT6_T7_P12ihipStream_tbENKUlT_T0_E_clISt17integral_constantIbLb0EES12_IbLb1EEEEDaSY_SZ_EUlSY_E_NS1_11comp_targetILNS1_3genE2ELNS1_11target_archE906ELNS1_3gpuE6ELNS1_3repE0EEENS1_30default_config_static_selectorELNS0_4arch9wavefront6targetE0EEEvT1_
	.p2align	8
	.type	_ZN7rocprim17ROCPRIM_400000_NS6detail17trampoline_kernelINS0_14default_configENS1_27scan_by_key_config_selectorIj11FixedVectorIiLj1EEEEZZNS1_16scan_by_key_implILNS1_25lookback_scan_determinismE0ELb1ES3_N6thrust23THRUST_200600_302600_NS6detail15normal_iteratorINSB_10device_ptrIjEEEENSD_INSE_IS6_EEEESI_S6_NSB_4plusIvEENSB_8equal_toIvEES6_EE10hipError_tPvRmT2_T3_T4_T5_mT6_T7_P12ihipStream_tbENKUlT_T0_E_clISt17integral_constantIbLb0EES12_IbLb1EEEEDaSY_SZ_EUlSY_E_NS1_11comp_targetILNS1_3genE2ELNS1_11target_archE906ELNS1_3gpuE6ELNS1_3repE0EEENS1_30default_config_static_selectorELNS0_4arch9wavefront6targetE0EEEvT1_,@function
_ZN7rocprim17ROCPRIM_400000_NS6detail17trampoline_kernelINS0_14default_configENS1_27scan_by_key_config_selectorIj11FixedVectorIiLj1EEEEZZNS1_16scan_by_key_implILNS1_25lookback_scan_determinismE0ELb1ES3_N6thrust23THRUST_200600_302600_NS6detail15normal_iteratorINSB_10device_ptrIjEEEENSD_INSE_IS6_EEEESI_S6_NSB_4plusIvEENSB_8equal_toIvEES6_EE10hipError_tPvRmT2_T3_T4_T5_mT6_T7_P12ihipStream_tbENKUlT_T0_E_clISt17integral_constantIbLb0EES12_IbLb1EEEEDaSY_SZ_EUlSY_E_NS1_11comp_targetILNS1_3genE2ELNS1_11target_archE906ELNS1_3gpuE6ELNS1_3repE0EEENS1_30default_config_static_selectorELNS0_4arch9wavefront6targetE0EEEvT1_: ; @_ZN7rocprim17ROCPRIM_400000_NS6detail17trampoline_kernelINS0_14default_configENS1_27scan_by_key_config_selectorIj11FixedVectorIiLj1EEEEZZNS1_16scan_by_key_implILNS1_25lookback_scan_determinismE0ELb1ES3_N6thrust23THRUST_200600_302600_NS6detail15normal_iteratorINSB_10device_ptrIjEEEENSD_INSE_IS6_EEEESI_S6_NSB_4plusIvEENSB_8equal_toIvEES6_EE10hipError_tPvRmT2_T3_T4_T5_mT6_T7_P12ihipStream_tbENKUlT_T0_E_clISt17integral_constantIbLb0EES12_IbLb1EEEEDaSY_SZ_EUlSY_E_NS1_11comp_targetILNS1_3genE2ELNS1_11target_archE906ELNS1_3gpuE6ELNS1_3repE0EEENS1_30default_config_static_selectorELNS0_4arch9wavefront6targetE0EEEvT1_
; %bb.0:
	.section	.rodata,"a",@progbits
	.p2align	6, 0x0
	.amdhsa_kernel _ZN7rocprim17ROCPRIM_400000_NS6detail17trampoline_kernelINS0_14default_configENS1_27scan_by_key_config_selectorIj11FixedVectorIiLj1EEEEZZNS1_16scan_by_key_implILNS1_25lookback_scan_determinismE0ELb1ES3_N6thrust23THRUST_200600_302600_NS6detail15normal_iteratorINSB_10device_ptrIjEEEENSD_INSE_IS6_EEEESI_S6_NSB_4plusIvEENSB_8equal_toIvEES6_EE10hipError_tPvRmT2_T3_T4_T5_mT6_T7_P12ihipStream_tbENKUlT_T0_E_clISt17integral_constantIbLb0EES12_IbLb1EEEEDaSY_SZ_EUlSY_E_NS1_11comp_targetILNS1_3genE2ELNS1_11target_archE906ELNS1_3gpuE6ELNS1_3repE0EEENS1_30default_config_static_selectorELNS0_4arch9wavefront6targetE0EEEvT1_
		.amdhsa_group_segment_fixed_size 0
		.amdhsa_private_segment_fixed_size 0
		.amdhsa_kernarg_size 112
		.amdhsa_user_sgpr_count 6
		.amdhsa_user_sgpr_private_segment_buffer 1
		.amdhsa_user_sgpr_dispatch_ptr 0
		.amdhsa_user_sgpr_queue_ptr 0
		.amdhsa_user_sgpr_kernarg_segment_ptr 1
		.amdhsa_user_sgpr_dispatch_id 0
		.amdhsa_user_sgpr_flat_scratch_init 0
		.amdhsa_user_sgpr_private_segment_size 0
		.amdhsa_wavefront_size32 1
		.amdhsa_uses_dynamic_stack 0
		.amdhsa_system_sgpr_private_segment_wavefront_offset 0
		.amdhsa_system_sgpr_workgroup_id_x 1
		.amdhsa_system_sgpr_workgroup_id_y 0
		.amdhsa_system_sgpr_workgroup_id_z 0
		.amdhsa_system_sgpr_workgroup_info 0
		.amdhsa_system_vgpr_workitem_id 0
		.amdhsa_next_free_vgpr 1
		.amdhsa_next_free_sgpr 1
		.amdhsa_reserve_vcc 0
		.amdhsa_reserve_flat_scratch 0
		.amdhsa_float_round_mode_32 0
		.amdhsa_float_round_mode_16_64 0
		.amdhsa_float_denorm_mode_32 3
		.amdhsa_float_denorm_mode_16_64 3
		.amdhsa_dx10_clamp 1
		.amdhsa_ieee_mode 1
		.amdhsa_fp16_overflow 0
		.amdhsa_workgroup_processor_mode 1
		.amdhsa_memory_ordered 1
		.amdhsa_forward_progress 1
		.amdhsa_shared_vgpr_count 0
		.amdhsa_exception_fp_ieee_invalid_op 0
		.amdhsa_exception_fp_denorm_src 0
		.amdhsa_exception_fp_ieee_div_zero 0
		.amdhsa_exception_fp_ieee_overflow 0
		.amdhsa_exception_fp_ieee_underflow 0
		.amdhsa_exception_fp_ieee_inexact 0
		.amdhsa_exception_int_div_zero 0
	.end_amdhsa_kernel
	.section	.text._ZN7rocprim17ROCPRIM_400000_NS6detail17trampoline_kernelINS0_14default_configENS1_27scan_by_key_config_selectorIj11FixedVectorIiLj1EEEEZZNS1_16scan_by_key_implILNS1_25lookback_scan_determinismE0ELb1ES3_N6thrust23THRUST_200600_302600_NS6detail15normal_iteratorINSB_10device_ptrIjEEEENSD_INSE_IS6_EEEESI_S6_NSB_4plusIvEENSB_8equal_toIvEES6_EE10hipError_tPvRmT2_T3_T4_T5_mT6_T7_P12ihipStream_tbENKUlT_T0_E_clISt17integral_constantIbLb0EES12_IbLb1EEEEDaSY_SZ_EUlSY_E_NS1_11comp_targetILNS1_3genE2ELNS1_11target_archE906ELNS1_3gpuE6ELNS1_3repE0EEENS1_30default_config_static_selectorELNS0_4arch9wavefront6targetE0EEEvT1_,"axG",@progbits,_ZN7rocprim17ROCPRIM_400000_NS6detail17trampoline_kernelINS0_14default_configENS1_27scan_by_key_config_selectorIj11FixedVectorIiLj1EEEEZZNS1_16scan_by_key_implILNS1_25lookback_scan_determinismE0ELb1ES3_N6thrust23THRUST_200600_302600_NS6detail15normal_iteratorINSB_10device_ptrIjEEEENSD_INSE_IS6_EEEESI_S6_NSB_4plusIvEENSB_8equal_toIvEES6_EE10hipError_tPvRmT2_T3_T4_T5_mT6_T7_P12ihipStream_tbENKUlT_T0_E_clISt17integral_constantIbLb0EES12_IbLb1EEEEDaSY_SZ_EUlSY_E_NS1_11comp_targetILNS1_3genE2ELNS1_11target_archE906ELNS1_3gpuE6ELNS1_3repE0EEENS1_30default_config_static_selectorELNS0_4arch9wavefront6targetE0EEEvT1_,comdat
.Lfunc_end1943:
	.size	_ZN7rocprim17ROCPRIM_400000_NS6detail17trampoline_kernelINS0_14default_configENS1_27scan_by_key_config_selectorIj11FixedVectorIiLj1EEEEZZNS1_16scan_by_key_implILNS1_25lookback_scan_determinismE0ELb1ES3_N6thrust23THRUST_200600_302600_NS6detail15normal_iteratorINSB_10device_ptrIjEEEENSD_INSE_IS6_EEEESI_S6_NSB_4plusIvEENSB_8equal_toIvEES6_EE10hipError_tPvRmT2_T3_T4_T5_mT6_T7_P12ihipStream_tbENKUlT_T0_E_clISt17integral_constantIbLb0EES12_IbLb1EEEEDaSY_SZ_EUlSY_E_NS1_11comp_targetILNS1_3genE2ELNS1_11target_archE906ELNS1_3gpuE6ELNS1_3repE0EEENS1_30default_config_static_selectorELNS0_4arch9wavefront6targetE0EEEvT1_, .Lfunc_end1943-_ZN7rocprim17ROCPRIM_400000_NS6detail17trampoline_kernelINS0_14default_configENS1_27scan_by_key_config_selectorIj11FixedVectorIiLj1EEEEZZNS1_16scan_by_key_implILNS1_25lookback_scan_determinismE0ELb1ES3_N6thrust23THRUST_200600_302600_NS6detail15normal_iteratorINSB_10device_ptrIjEEEENSD_INSE_IS6_EEEESI_S6_NSB_4plusIvEENSB_8equal_toIvEES6_EE10hipError_tPvRmT2_T3_T4_T5_mT6_T7_P12ihipStream_tbENKUlT_T0_E_clISt17integral_constantIbLb0EES12_IbLb1EEEEDaSY_SZ_EUlSY_E_NS1_11comp_targetILNS1_3genE2ELNS1_11target_archE906ELNS1_3gpuE6ELNS1_3repE0EEENS1_30default_config_static_selectorELNS0_4arch9wavefront6targetE0EEEvT1_
                                        ; -- End function
	.set _ZN7rocprim17ROCPRIM_400000_NS6detail17trampoline_kernelINS0_14default_configENS1_27scan_by_key_config_selectorIj11FixedVectorIiLj1EEEEZZNS1_16scan_by_key_implILNS1_25lookback_scan_determinismE0ELb1ES3_N6thrust23THRUST_200600_302600_NS6detail15normal_iteratorINSB_10device_ptrIjEEEENSD_INSE_IS6_EEEESI_S6_NSB_4plusIvEENSB_8equal_toIvEES6_EE10hipError_tPvRmT2_T3_T4_T5_mT6_T7_P12ihipStream_tbENKUlT_T0_E_clISt17integral_constantIbLb0EES12_IbLb1EEEEDaSY_SZ_EUlSY_E_NS1_11comp_targetILNS1_3genE2ELNS1_11target_archE906ELNS1_3gpuE6ELNS1_3repE0EEENS1_30default_config_static_selectorELNS0_4arch9wavefront6targetE0EEEvT1_.num_vgpr, 0
	.set _ZN7rocprim17ROCPRIM_400000_NS6detail17trampoline_kernelINS0_14default_configENS1_27scan_by_key_config_selectorIj11FixedVectorIiLj1EEEEZZNS1_16scan_by_key_implILNS1_25lookback_scan_determinismE0ELb1ES3_N6thrust23THRUST_200600_302600_NS6detail15normal_iteratorINSB_10device_ptrIjEEEENSD_INSE_IS6_EEEESI_S6_NSB_4plusIvEENSB_8equal_toIvEES6_EE10hipError_tPvRmT2_T3_T4_T5_mT6_T7_P12ihipStream_tbENKUlT_T0_E_clISt17integral_constantIbLb0EES12_IbLb1EEEEDaSY_SZ_EUlSY_E_NS1_11comp_targetILNS1_3genE2ELNS1_11target_archE906ELNS1_3gpuE6ELNS1_3repE0EEENS1_30default_config_static_selectorELNS0_4arch9wavefront6targetE0EEEvT1_.num_agpr, 0
	.set _ZN7rocprim17ROCPRIM_400000_NS6detail17trampoline_kernelINS0_14default_configENS1_27scan_by_key_config_selectorIj11FixedVectorIiLj1EEEEZZNS1_16scan_by_key_implILNS1_25lookback_scan_determinismE0ELb1ES3_N6thrust23THRUST_200600_302600_NS6detail15normal_iteratorINSB_10device_ptrIjEEEENSD_INSE_IS6_EEEESI_S6_NSB_4plusIvEENSB_8equal_toIvEES6_EE10hipError_tPvRmT2_T3_T4_T5_mT6_T7_P12ihipStream_tbENKUlT_T0_E_clISt17integral_constantIbLb0EES12_IbLb1EEEEDaSY_SZ_EUlSY_E_NS1_11comp_targetILNS1_3genE2ELNS1_11target_archE906ELNS1_3gpuE6ELNS1_3repE0EEENS1_30default_config_static_selectorELNS0_4arch9wavefront6targetE0EEEvT1_.numbered_sgpr, 0
	.set _ZN7rocprim17ROCPRIM_400000_NS6detail17trampoline_kernelINS0_14default_configENS1_27scan_by_key_config_selectorIj11FixedVectorIiLj1EEEEZZNS1_16scan_by_key_implILNS1_25lookback_scan_determinismE0ELb1ES3_N6thrust23THRUST_200600_302600_NS6detail15normal_iteratorINSB_10device_ptrIjEEEENSD_INSE_IS6_EEEESI_S6_NSB_4plusIvEENSB_8equal_toIvEES6_EE10hipError_tPvRmT2_T3_T4_T5_mT6_T7_P12ihipStream_tbENKUlT_T0_E_clISt17integral_constantIbLb0EES12_IbLb1EEEEDaSY_SZ_EUlSY_E_NS1_11comp_targetILNS1_3genE2ELNS1_11target_archE906ELNS1_3gpuE6ELNS1_3repE0EEENS1_30default_config_static_selectorELNS0_4arch9wavefront6targetE0EEEvT1_.num_named_barrier, 0
	.set _ZN7rocprim17ROCPRIM_400000_NS6detail17trampoline_kernelINS0_14default_configENS1_27scan_by_key_config_selectorIj11FixedVectorIiLj1EEEEZZNS1_16scan_by_key_implILNS1_25lookback_scan_determinismE0ELb1ES3_N6thrust23THRUST_200600_302600_NS6detail15normal_iteratorINSB_10device_ptrIjEEEENSD_INSE_IS6_EEEESI_S6_NSB_4plusIvEENSB_8equal_toIvEES6_EE10hipError_tPvRmT2_T3_T4_T5_mT6_T7_P12ihipStream_tbENKUlT_T0_E_clISt17integral_constantIbLb0EES12_IbLb1EEEEDaSY_SZ_EUlSY_E_NS1_11comp_targetILNS1_3genE2ELNS1_11target_archE906ELNS1_3gpuE6ELNS1_3repE0EEENS1_30default_config_static_selectorELNS0_4arch9wavefront6targetE0EEEvT1_.private_seg_size, 0
	.set _ZN7rocprim17ROCPRIM_400000_NS6detail17trampoline_kernelINS0_14default_configENS1_27scan_by_key_config_selectorIj11FixedVectorIiLj1EEEEZZNS1_16scan_by_key_implILNS1_25lookback_scan_determinismE0ELb1ES3_N6thrust23THRUST_200600_302600_NS6detail15normal_iteratorINSB_10device_ptrIjEEEENSD_INSE_IS6_EEEESI_S6_NSB_4plusIvEENSB_8equal_toIvEES6_EE10hipError_tPvRmT2_T3_T4_T5_mT6_T7_P12ihipStream_tbENKUlT_T0_E_clISt17integral_constantIbLb0EES12_IbLb1EEEEDaSY_SZ_EUlSY_E_NS1_11comp_targetILNS1_3genE2ELNS1_11target_archE906ELNS1_3gpuE6ELNS1_3repE0EEENS1_30default_config_static_selectorELNS0_4arch9wavefront6targetE0EEEvT1_.uses_vcc, 0
	.set _ZN7rocprim17ROCPRIM_400000_NS6detail17trampoline_kernelINS0_14default_configENS1_27scan_by_key_config_selectorIj11FixedVectorIiLj1EEEEZZNS1_16scan_by_key_implILNS1_25lookback_scan_determinismE0ELb1ES3_N6thrust23THRUST_200600_302600_NS6detail15normal_iteratorINSB_10device_ptrIjEEEENSD_INSE_IS6_EEEESI_S6_NSB_4plusIvEENSB_8equal_toIvEES6_EE10hipError_tPvRmT2_T3_T4_T5_mT6_T7_P12ihipStream_tbENKUlT_T0_E_clISt17integral_constantIbLb0EES12_IbLb1EEEEDaSY_SZ_EUlSY_E_NS1_11comp_targetILNS1_3genE2ELNS1_11target_archE906ELNS1_3gpuE6ELNS1_3repE0EEENS1_30default_config_static_selectorELNS0_4arch9wavefront6targetE0EEEvT1_.uses_flat_scratch, 0
	.set _ZN7rocprim17ROCPRIM_400000_NS6detail17trampoline_kernelINS0_14default_configENS1_27scan_by_key_config_selectorIj11FixedVectorIiLj1EEEEZZNS1_16scan_by_key_implILNS1_25lookback_scan_determinismE0ELb1ES3_N6thrust23THRUST_200600_302600_NS6detail15normal_iteratorINSB_10device_ptrIjEEEENSD_INSE_IS6_EEEESI_S6_NSB_4plusIvEENSB_8equal_toIvEES6_EE10hipError_tPvRmT2_T3_T4_T5_mT6_T7_P12ihipStream_tbENKUlT_T0_E_clISt17integral_constantIbLb0EES12_IbLb1EEEEDaSY_SZ_EUlSY_E_NS1_11comp_targetILNS1_3genE2ELNS1_11target_archE906ELNS1_3gpuE6ELNS1_3repE0EEENS1_30default_config_static_selectorELNS0_4arch9wavefront6targetE0EEEvT1_.has_dyn_sized_stack, 0
	.set _ZN7rocprim17ROCPRIM_400000_NS6detail17trampoline_kernelINS0_14default_configENS1_27scan_by_key_config_selectorIj11FixedVectorIiLj1EEEEZZNS1_16scan_by_key_implILNS1_25lookback_scan_determinismE0ELb1ES3_N6thrust23THRUST_200600_302600_NS6detail15normal_iteratorINSB_10device_ptrIjEEEENSD_INSE_IS6_EEEESI_S6_NSB_4plusIvEENSB_8equal_toIvEES6_EE10hipError_tPvRmT2_T3_T4_T5_mT6_T7_P12ihipStream_tbENKUlT_T0_E_clISt17integral_constantIbLb0EES12_IbLb1EEEEDaSY_SZ_EUlSY_E_NS1_11comp_targetILNS1_3genE2ELNS1_11target_archE906ELNS1_3gpuE6ELNS1_3repE0EEENS1_30default_config_static_selectorELNS0_4arch9wavefront6targetE0EEEvT1_.has_recursion, 0
	.set _ZN7rocprim17ROCPRIM_400000_NS6detail17trampoline_kernelINS0_14default_configENS1_27scan_by_key_config_selectorIj11FixedVectorIiLj1EEEEZZNS1_16scan_by_key_implILNS1_25lookback_scan_determinismE0ELb1ES3_N6thrust23THRUST_200600_302600_NS6detail15normal_iteratorINSB_10device_ptrIjEEEENSD_INSE_IS6_EEEESI_S6_NSB_4plusIvEENSB_8equal_toIvEES6_EE10hipError_tPvRmT2_T3_T4_T5_mT6_T7_P12ihipStream_tbENKUlT_T0_E_clISt17integral_constantIbLb0EES12_IbLb1EEEEDaSY_SZ_EUlSY_E_NS1_11comp_targetILNS1_3genE2ELNS1_11target_archE906ELNS1_3gpuE6ELNS1_3repE0EEENS1_30default_config_static_selectorELNS0_4arch9wavefront6targetE0EEEvT1_.has_indirect_call, 0
	.section	.AMDGPU.csdata,"",@progbits
; Kernel info:
; codeLenInByte = 0
; TotalNumSgprs: 0
; NumVgprs: 0
; ScratchSize: 0
; MemoryBound: 0
; FloatMode: 240
; IeeeMode: 1
; LDSByteSize: 0 bytes/workgroup (compile time only)
; SGPRBlocks: 0
; VGPRBlocks: 0
; NumSGPRsForWavesPerEU: 1
; NumVGPRsForWavesPerEU: 1
; Occupancy: 16
; WaveLimiterHint : 0
; COMPUTE_PGM_RSRC2:SCRATCH_EN: 0
; COMPUTE_PGM_RSRC2:USER_SGPR: 6
; COMPUTE_PGM_RSRC2:TRAP_HANDLER: 0
; COMPUTE_PGM_RSRC2:TGID_X_EN: 1
; COMPUTE_PGM_RSRC2:TGID_Y_EN: 0
; COMPUTE_PGM_RSRC2:TGID_Z_EN: 0
; COMPUTE_PGM_RSRC2:TIDIG_COMP_CNT: 0
	.section	.text._ZN7rocprim17ROCPRIM_400000_NS6detail17trampoline_kernelINS0_14default_configENS1_27scan_by_key_config_selectorIj11FixedVectorIiLj1EEEEZZNS1_16scan_by_key_implILNS1_25lookback_scan_determinismE0ELb1ES3_N6thrust23THRUST_200600_302600_NS6detail15normal_iteratorINSB_10device_ptrIjEEEENSD_INSE_IS6_EEEESI_S6_NSB_4plusIvEENSB_8equal_toIvEES6_EE10hipError_tPvRmT2_T3_T4_T5_mT6_T7_P12ihipStream_tbENKUlT_T0_E_clISt17integral_constantIbLb0EES12_IbLb1EEEEDaSY_SZ_EUlSY_E_NS1_11comp_targetILNS1_3genE10ELNS1_11target_archE1200ELNS1_3gpuE4ELNS1_3repE0EEENS1_30default_config_static_selectorELNS0_4arch9wavefront6targetE0EEEvT1_,"axG",@progbits,_ZN7rocprim17ROCPRIM_400000_NS6detail17trampoline_kernelINS0_14default_configENS1_27scan_by_key_config_selectorIj11FixedVectorIiLj1EEEEZZNS1_16scan_by_key_implILNS1_25lookback_scan_determinismE0ELb1ES3_N6thrust23THRUST_200600_302600_NS6detail15normal_iteratorINSB_10device_ptrIjEEEENSD_INSE_IS6_EEEESI_S6_NSB_4plusIvEENSB_8equal_toIvEES6_EE10hipError_tPvRmT2_T3_T4_T5_mT6_T7_P12ihipStream_tbENKUlT_T0_E_clISt17integral_constantIbLb0EES12_IbLb1EEEEDaSY_SZ_EUlSY_E_NS1_11comp_targetILNS1_3genE10ELNS1_11target_archE1200ELNS1_3gpuE4ELNS1_3repE0EEENS1_30default_config_static_selectorELNS0_4arch9wavefront6targetE0EEEvT1_,comdat
	.protected	_ZN7rocprim17ROCPRIM_400000_NS6detail17trampoline_kernelINS0_14default_configENS1_27scan_by_key_config_selectorIj11FixedVectorIiLj1EEEEZZNS1_16scan_by_key_implILNS1_25lookback_scan_determinismE0ELb1ES3_N6thrust23THRUST_200600_302600_NS6detail15normal_iteratorINSB_10device_ptrIjEEEENSD_INSE_IS6_EEEESI_S6_NSB_4plusIvEENSB_8equal_toIvEES6_EE10hipError_tPvRmT2_T3_T4_T5_mT6_T7_P12ihipStream_tbENKUlT_T0_E_clISt17integral_constantIbLb0EES12_IbLb1EEEEDaSY_SZ_EUlSY_E_NS1_11comp_targetILNS1_3genE10ELNS1_11target_archE1200ELNS1_3gpuE4ELNS1_3repE0EEENS1_30default_config_static_selectorELNS0_4arch9wavefront6targetE0EEEvT1_ ; -- Begin function _ZN7rocprim17ROCPRIM_400000_NS6detail17trampoline_kernelINS0_14default_configENS1_27scan_by_key_config_selectorIj11FixedVectorIiLj1EEEEZZNS1_16scan_by_key_implILNS1_25lookback_scan_determinismE0ELb1ES3_N6thrust23THRUST_200600_302600_NS6detail15normal_iteratorINSB_10device_ptrIjEEEENSD_INSE_IS6_EEEESI_S6_NSB_4plusIvEENSB_8equal_toIvEES6_EE10hipError_tPvRmT2_T3_T4_T5_mT6_T7_P12ihipStream_tbENKUlT_T0_E_clISt17integral_constantIbLb0EES12_IbLb1EEEEDaSY_SZ_EUlSY_E_NS1_11comp_targetILNS1_3genE10ELNS1_11target_archE1200ELNS1_3gpuE4ELNS1_3repE0EEENS1_30default_config_static_selectorELNS0_4arch9wavefront6targetE0EEEvT1_
	.globl	_ZN7rocprim17ROCPRIM_400000_NS6detail17trampoline_kernelINS0_14default_configENS1_27scan_by_key_config_selectorIj11FixedVectorIiLj1EEEEZZNS1_16scan_by_key_implILNS1_25lookback_scan_determinismE0ELb1ES3_N6thrust23THRUST_200600_302600_NS6detail15normal_iteratorINSB_10device_ptrIjEEEENSD_INSE_IS6_EEEESI_S6_NSB_4plusIvEENSB_8equal_toIvEES6_EE10hipError_tPvRmT2_T3_T4_T5_mT6_T7_P12ihipStream_tbENKUlT_T0_E_clISt17integral_constantIbLb0EES12_IbLb1EEEEDaSY_SZ_EUlSY_E_NS1_11comp_targetILNS1_3genE10ELNS1_11target_archE1200ELNS1_3gpuE4ELNS1_3repE0EEENS1_30default_config_static_selectorELNS0_4arch9wavefront6targetE0EEEvT1_
	.p2align	8
	.type	_ZN7rocprim17ROCPRIM_400000_NS6detail17trampoline_kernelINS0_14default_configENS1_27scan_by_key_config_selectorIj11FixedVectorIiLj1EEEEZZNS1_16scan_by_key_implILNS1_25lookback_scan_determinismE0ELb1ES3_N6thrust23THRUST_200600_302600_NS6detail15normal_iteratorINSB_10device_ptrIjEEEENSD_INSE_IS6_EEEESI_S6_NSB_4plusIvEENSB_8equal_toIvEES6_EE10hipError_tPvRmT2_T3_T4_T5_mT6_T7_P12ihipStream_tbENKUlT_T0_E_clISt17integral_constantIbLb0EES12_IbLb1EEEEDaSY_SZ_EUlSY_E_NS1_11comp_targetILNS1_3genE10ELNS1_11target_archE1200ELNS1_3gpuE4ELNS1_3repE0EEENS1_30default_config_static_selectorELNS0_4arch9wavefront6targetE0EEEvT1_,@function
_ZN7rocprim17ROCPRIM_400000_NS6detail17trampoline_kernelINS0_14default_configENS1_27scan_by_key_config_selectorIj11FixedVectorIiLj1EEEEZZNS1_16scan_by_key_implILNS1_25lookback_scan_determinismE0ELb1ES3_N6thrust23THRUST_200600_302600_NS6detail15normal_iteratorINSB_10device_ptrIjEEEENSD_INSE_IS6_EEEESI_S6_NSB_4plusIvEENSB_8equal_toIvEES6_EE10hipError_tPvRmT2_T3_T4_T5_mT6_T7_P12ihipStream_tbENKUlT_T0_E_clISt17integral_constantIbLb0EES12_IbLb1EEEEDaSY_SZ_EUlSY_E_NS1_11comp_targetILNS1_3genE10ELNS1_11target_archE1200ELNS1_3gpuE4ELNS1_3repE0EEENS1_30default_config_static_selectorELNS0_4arch9wavefront6targetE0EEEvT1_: ; @_ZN7rocprim17ROCPRIM_400000_NS6detail17trampoline_kernelINS0_14default_configENS1_27scan_by_key_config_selectorIj11FixedVectorIiLj1EEEEZZNS1_16scan_by_key_implILNS1_25lookback_scan_determinismE0ELb1ES3_N6thrust23THRUST_200600_302600_NS6detail15normal_iteratorINSB_10device_ptrIjEEEENSD_INSE_IS6_EEEESI_S6_NSB_4plusIvEENSB_8equal_toIvEES6_EE10hipError_tPvRmT2_T3_T4_T5_mT6_T7_P12ihipStream_tbENKUlT_T0_E_clISt17integral_constantIbLb0EES12_IbLb1EEEEDaSY_SZ_EUlSY_E_NS1_11comp_targetILNS1_3genE10ELNS1_11target_archE1200ELNS1_3gpuE4ELNS1_3repE0EEENS1_30default_config_static_selectorELNS0_4arch9wavefront6targetE0EEEvT1_
; %bb.0:
	.section	.rodata,"a",@progbits
	.p2align	6, 0x0
	.amdhsa_kernel _ZN7rocprim17ROCPRIM_400000_NS6detail17trampoline_kernelINS0_14default_configENS1_27scan_by_key_config_selectorIj11FixedVectorIiLj1EEEEZZNS1_16scan_by_key_implILNS1_25lookback_scan_determinismE0ELb1ES3_N6thrust23THRUST_200600_302600_NS6detail15normal_iteratorINSB_10device_ptrIjEEEENSD_INSE_IS6_EEEESI_S6_NSB_4plusIvEENSB_8equal_toIvEES6_EE10hipError_tPvRmT2_T3_T4_T5_mT6_T7_P12ihipStream_tbENKUlT_T0_E_clISt17integral_constantIbLb0EES12_IbLb1EEEEDaSY_SZ_EUlSY_E_NS1_11comp_targetILNS1_3genE10ELNS1_11target_archE1200ELNS1_3gpuE4ELNS1_3repE0EEENS1_30default_config_static_selectorELNS0_4arch9wavefront6targetE0EEEvT1_
		.amdhsa_group_segment_fixed_size 0
		.amdhsa_private_segment_fixed_size 0
		.amdhsa_kernarg_size 112
		.amdhsa_user_sgpr_count 6
		.amdhsa_user_sgpr_private_segment_buffer 1
		.amdhsa_user_sgpr_dispatch_ptr 0
		.amdhsa_user_sgpr_queue_ptr 0
		.amdhsa_user_sgpr_kernarg_segment_ptr 1
		.amdhsa_user_sgpr_dispatch_id 0
		.amdhsa_user_sgpr_flat_scratch_init 0
		.amdhsa_user_sgpr_private_segment_size 0
		.amdhsa_wavefront_size32 1
		.amdhsa_uses_dynamic_stack 0
		.amdhsa_system_sgpr_private_segment_wavefront_offset 0
		.amdhsa_system_sgpr_workgroup_id_x 1
		.amdhsa_system_sgpr_workgroup_id_y 0
		.amdhsa_system_sgpr_workgroup_id_z 0
		.amdhsa_system_sgpr_workgroup_info 0
		.amdhsa_system_vgpr_workitem_id 0
		.amdhsa_next_free_vgpr 1
		.amdhsa_next_free_sgpr 1
		.amdhsa_reserve_vcc 0
		.amdhsa_reserve_flat_scratch 0
		.amdhsa_float_round_mode_32 0
		.amdhsa_float_round_mode_16_64 0
		.amdhsa_float_denorm_mode_32 3
		.amdhsa_float_denorm_mode_16_64 3
		.amdhsa_dx10_clamp 1
		.amdhsa_ieee_mode 1
		.amdhsa_fp16_overflow 0
		.amdhsa_workgroup_processor_mode 1
		.amdhsa_memory_ordered 1
		.amdhsa_forward_progress 1
		.amdhsa_shared_vgpr_count 0
		.amdhsa_exception_fp_ieee_invalid_op 0
		.amdhsa_exception_fp_denorm_src 0
		.amdhsa_exception_fp_ieee_div_zero 0
		.amdhsa_exception_fp_ieee_overflow 0
		.amdhsa_exception_fp_ieee_underflow 0
		.amdhsa_exception_fp_ieee_inexact 0
		.amdhsa_exception_int_div_zero 0
	.end_amdhsa_kernel
	.section	.text._ZN7rocprim17ROCPRIM_400000_NS6detail17trampoline_kernelINS0_14default_configENS1_27scan_by_key_config_selectorIj11FixedVectorIiLj1EEEEZZNS1_16scan_by_key_implILNS1_25lookback_scan_determinismE0ELb1ES3_N6thrust23THRUST_200600_302600_NS6detail15normal_iteratorINSB_10device_ptrIjEEEENSD_INSE_IS6_EEEESI_S6_NSB_4plusIvEENSB_8equal_toIvEES6_EE10hipError_tPvRmT2_T3_T4_T5_mT6_T7_P12ihipStream_tbENKUlT_T0_E_clISt17integral_constantIbLb0EES12_IbLb1EEEEDaSY_SZ_EUlSY_E_NS1_11comp_targetILNS1_3genE10ELNS1_11target_archE1200ELNS1_3gpuE4ELNS1_3repE0EEENS1_30default_config_static_selectorELNS0_4arch9wavefront6targetE0EEEvT1_,"axG",@progbits,_ZN7rocprim17ROCPRIM_400000_NS6detail17trampoline_kernelINS0_14default_configENS1_27scan_by_key_config_selectorIj11FixedVectorIiLj1EEEEZZNS1_16scan_by_key_implILNS1_25lookback_scan_determinismE0ELb1ES3_N6thrust23THRUST_200600_302600_NS6detail15normal_iteratorINSB_10device_ptrIjEEEENSD_INSE_IS6_EEEESI_S6_NSB_4plusIvEENSB_8equal_toIvEES6_EE10hipError_tPvRmT2_T3_T4_T5_mT6_T7_P12ihipStream_tbENKUlT_T0_E_clISt17integral_constantIbLb0EES12_IbLb1EEEEDaSY_SZ_EUlSY_E_NS1_11comp_targetILNS1_3genE10ELNS1_11target_archE1200ELNS1_3gpuE4ELNS1_3repE0EEENS1_30default_config_static_selectorELNS0_4arch9wavefront6targetE0EEEvT1_,comdat
.Lfunc_end1944:
	.size	_ZN7rocprim17ROCPRIM_400000_NS6detail17trampoline_kernelINS0_14default_configENS1_27scan_by_key_config_selectorIj11FixedVectorIiLj1EEEEZZNS1_16scan_by_key_implILNS1_25lookback_scan_determinismE0ELb1ES3_N6thrust23THRUST_200600_302600_NS6detail15normal_iteratorINSB_10device_ptrIjEEEENSD_INSE_IS6_EEEESI_S6_NSB_4plusIvEENSB_8equal_toIvEES6_EE10hipError_tPvRmT2_T3_T4_T5_mT6_T7_P12ihipStream_tbENKUlT_T0_E_clISt17integral_constantIbLb0EES12_IbLb1EEEEDaSY_SZ_EUlSY_E_NS1_11comp_targetILNS1_3genE10ELNS1_11target_archE1200ELNS1_3gpuE4ELNS1_3repE0EEENS1_30default_config_static_selectorELNS0_4arch9wavefront6targetE0EEEvT1_, .Lfunc_end1944-_ZN7rocprim17ROCPRIM_400000_NS6detail17trampoline_kernelINS0_14default_configENS1_27scan_by_key_config_selectorIj11FixedVectorIiLj1EEEEZZNS1_16scan_by_key_implILNS1_25lookback_scan_determinismE0ELb1ES3_N6thrust23THRUST_200600_302600_NS6detail15normal_iteratorINSB_10device_ptrIjEEEENSD_INSE_IS6_EEEESI_S6_NSB_4plusIvEENSB_8equal_toIvEES6_EE10hipError_tPvRmT2_T3_T4_T5_mT6_T7_P12ihipStream_tbENKUlT_T0_E_clISt17integral_constantIbLb0EES12_IbLb1EEEEDaSY_SZ_EUlSY_E_NS1_11comp_targetILNS1_3genE10ELNS1_11target_archE1200ELNS1_3gpuE4ELNS1_3repE0EEENS1_30default_config_static_selectorELNS0_4arch9wavefront6targetE0EEEvT1_
                                        ; -- End function
	.set _ZN7rocprim17ROCPRIM_400000_NS6detail17trampoline_kernelINS0_14default_configENS1_27scan_by_key_config_selectorIj11FixedVectorIiLj1EEEEZZNS1_16scan_by_key_implILNS1_25lookback_scan_determinismE0ELb1ES3_N6thrust23THRUST_200600_302600_NS6detail15normal_iteratorINSB_10device_ptrIjEEEENSD_INSE_IS6_EEEESI_S6_NSB_4plusIvEENSB_8equal_toIvEES6_EE10hipError_tPvRmT2_T3_T4_T5_mT6_T7_P12ihipStream_tbENKUlT_T0_E_clISt17integral_constantIbLb0EES12_IbLb1EEEEDaSY_SZ_EUlSY_E_NS1_11comp_targetILNS1_3genE10ELNS1_11target_archE1200ELNS1_3gpuE4ELNS1_3repE0EEENS1_30default_config_static_selectorELNS0_4arch9wavefront6targetE0EEEvT1_.num_vgpr, 0
	.set _ZN7rocprim17ROCPRIM_400000_NS6detail17trampoline_kernelINS0_14default_configENS1_27scan_by_key_config_selectorIj11FixedVectorIiLj1EEEEZZNS1_16scan_by_key_implILNS1_25lookback_scan_determinismE0ELb1ES3_N6thrust23THRUST_200600_302600_NS6detail15normal_iteratorINSB_10device_ptrIjEEEENSD_INSE_IS6_EEEESI_S6_NSB_4plusIvEENSB_8equal_toIvEES6_EE10hipError_tPvRmT2_T3_T4_T5_mT6_T7_P12ihipStream_tbENKUlT_T0_E_clISt17integral_constantIbLb0EES12_IbLb1EEEEDaSY_SZ_EUlSY_E_NS1_11comp_targetILNS1_3genE10ELNS1_11target_archE1200ELNS1_3gpuE4ELNS1_3repE0EEENS1_30default_config_static_selectorELNS0_4arch9wavefront6targetE0EEEvT1_.num_agpr, 0
	.set _ZN7rocprim17ROCPRIM_400000_NS6detail17trampoline_kernelINS0_14default_configENS1_27scan_by_key_config_selectorIj11FixedVectorIiLj1EEEEZZNS1_16scan_by_key_implILNS1_25lookback_scan_determinismE0ELb1ES3_N6thrust23THRUST_200600_302600_NS6detail15normal_iteratorINSB_10device_ptrIjEEEENSD_INSE_IS6_EEEESI_S6_NSB_4plusIvEENSB_8equal_toIvEES6_EE10hipError_tPvRmT2_T3_T4_T5_mT6_T7_P12ihipStream_tbENKUlT_T0_E_clISt17integral_constantIbLb0EES12_IbLb1EEEEDaSY_SZ_EUlSY_E_NS1_11comp_targetILNS1_3genE10ELNS1_11target_archE1200ELNS1_3gpuE4ELNS1_3repE0EEENS1_30default_config_static_selectorELNS0_4arch9wavefront6targetE0EEEvT1_.numbered_sgpr, 0
	.set _ZN7rocprim17ROCPRIM_400000_NS6detail17trampoline_kernelINS0_14default_configENS1_27scan_by_key_config_selectorIj11FixedVectorIiLj1EEEEZZNS1_16scan_by_key_implILNS1_25lookback_scan_determinismE0ELb1ES3_N6thrust23THRUST_200600_302600_NS6detail15normal_iteratorINSB_10device_ptrIjEEEENSD_INSE_IS6_EEEESI_S6_NSB_4plusIvEENSB_8equal_toIvEES6_EE10hipError_tPvRmT2_T3_T4_T5_mT6_T7_P12ihipStream_tbENKUlT_T0_E_clISt17integral_constantIbLb0EES12_IbLb1EEEEDaSY_SZ_EUlSY_E_NS1_11comp_targetILNS1_3genE10ELNS1_11target_archE1200ELNS1_3gpuE4ELNS1_3repE0EEENS1_30default_config_static_selectorELNS0_4arch9wavefront6targetE0EEEvT1_.num_named_barrier, 0
	.set _ZN7rocprim17ROCPRIM_400000_NS6detail17trampoline_kernelINS0_14default_configENS1_27scan_by_key_config_selectorIj11FixedVectorIiLj1EEEEZZNS1_16scan_by_key_implILNS1_25lookback_scan_determinismE0ELb1ES3_N6thrust23THRUST_200600_302600_NS6detail15normal_iteratorINSB_10device_ptrIjEEEENSD_INSE_IS6_EEEESI_S6_NSB_4plusIvEENSB_8equal_toIvEES6_EE10hipError_tPvRmT2_T3_T4_T5_mT6_T7_P12ihipStream_tbENKUlT_T0_E_clISt17integral_constantIbLb0EES12_IbLb1EEEEDaSY_SZ_EUlSY_E_NS1_11comp_targetILNS1_3genE10ELNS1_11target_archE1200ELNS1_3gpuE4ELNS1_3repE0EEENS1_30default_config_static_selectorELNS0_4arch9wavefront6targetE0EEEvT1_.private_seg_size, 0
	.set _ZN7rocprim17ROCPRIM_400000_NS6detail17trampoline_kernelINS0_14default_configENS1_27scan_by_key_config_selectorIj11FixedVectorIiLj1EEEEZZNS1_16scan_by_key_implILNS1_25lookback_scan_determinismE0ELb1ES3_N6thrust23THRUST_200600_302600_NS6detail15normal_iteratorINSB_10device_ptrIjEEEENSD_INSE_IS6_EEEESI_S6_NSB_4plusIvEENSB_8equal_toIvEES6_EE10hipError_tPvRmT2_T3_T4_T5_mT6_T7_P12ihipStream_tbENKUlT_T0_E_clISt17integral_constantIbLb0EES12_IbLb1EEEEDaSY_SZ_EUlSY_E_NS1_11comp_targetILNS1_3genE10ELNS1_11target_archE1200ELNS1_3gpuE4ELNS1_3repE0EEENS1_30default_config_static_selectorELNS0_4arch9wavefront6targetE0EEEvT1_.uses_vcc, 0
	.set _ZN7rocprim17ROCPRIM_400000_NS6detail17trampoline_kernelINS0_14default_configENS1_27scan_by_key_config_selectorIj11FixedVectorIiLj1EEEEZZNS1_16scan_by_key_implILNS1_25lookback_scan_determinismE0ELb1ES3_N6thrust23THRUST_200600_302600_NS6detail15normal_iteratorINSB_10device_ptrIjEEEENSD_INSE_IS6_EEEESI_S6_NSB_4plusIvEENSB_8equal_toIvEES6_EE10hipError_tPvRmT2_T3_T4_T5_mT6_T7_P12ihipStream_tbENKUlT_T0_E_clISt17integral_constantIbLb0EES12_IbLb1EEEEDaSY_SZ_EUlSY_E_NS1_11comp_targetILNS1_3genE10ELNS1_11target_archE1200ELNS1_3gpuE4ELNS1_3repE0EEENS1_30default_config_static_selectorELNS0_4arch9wavefront6targetE0EEEvT1_.uses_flat_scratch, 0
	.set _ZN7rocprim17ROCPRIM_400000_NS6detail17trampoline_kernelINS0_14default_configENS1_27scan_by_key_config_selectorIj11FixedVectorIiLj1EEEEZZNS1_16scan_by_key_implILNS1_25lookback_scan_determinismE0ELb1ES3_N6thrust23THRUST_200600_302600_NS6detail15normal_iteratorINSB_10device_ptrIjEEEENSD_INSE_IS6_EEEESI_S6_NSB_4plusIvEENSB_8equal_toIvEES6_EE10hipError_tPvRmT2_T3_T4_T5_mT6_T7_P12ihipStream_tbENKUlT_T0_E_clISt17integral_constantIbLb0EES12_IbLb1EEEEDaSY_SZ_EUlSY_E_NS1_11comp_targetILNS1_3genE10ELNS1_11target_archE1200ELNS1_3gpuE4ELNS1_3repE0EEENS1_30default_config_static_selectorELNS0_4arch9wavefront6targetE0EEEvT1_.has_dyn_sized_stack, 0
	.set _ZN7rocprim17ROCPRIM_400000_NS6detail17trampoline_kernelINS0_14default_configENS1_27scan_by_key_config_selectorIj11FixedVectorIiLj1EEEEZZNS1_16scan_by_key_implILNS1_25lookback_scan_determinismE0ELb1ES3_N6thrust23THRUST_200600_302600_NS6detail15normal_iteratorINSB_10device_ptrIjEEEENSD_INSE_IS6_EEEESI_S6_NSB_4plusIvEENSB_8equal_toIvEES6_EE10hipError_tPvRmT2_T3_T4_T5_mT6_T7_P12ihipStream_tbENKUlT_T0_E_clISt17integral_constantIbLb0EES12_IbLb1EEEEDaSY_SZ_EUlSY_E_NS1_11comp_targetILNS1_3genE10ELNS1_11target_archE1200ELNS1_3gpuE4ELNS1_3repE0EEENS1_30default_config_static_selectorELNS0_4arch9wavefront6targetE0EEEvT1_.has_recursion, 0
	.set _ZN7rocprim17ROCPRIM_400000_NS6detail17trampoline_kernelINS0_14default_configENS1_27scan_by_key_config_selectorIj11FixedVectorIiLj1EEEEZZNS1_16scan_by_key_implILNS1_25lookback_scan_determinismE0ELb1ES3_N6thrust23THRUST_200600_302600_NS6detail15normal_iteratorINSB_10device_ptrIjEEEENSD_INSE_IS6_EEEESI_S6_NSB_4plusIvEENSB_8equal_toIvEES6_EE10hipError_tPvRmT2_T3_T4_T5_mT6_T7_P12ihipStream_tbENKUlT_T0_E_clISt17integral_constantIbLb0EES12_IbLb1EEEEDaSY_SZ_EUlSY_E_NS1_11comp_targetILNS1_3genE10ELNS1_11target_archE1200ELNS1_3gpuE4ELNS1_3repE0EEENS1_30default_config_static_selectorELNS0_4arch9wavefront6targetE0EEEvT1_.has_indirect_call, 0
	.section	.AMDGPU.csdata,"",@progbits
; Kernel info:
; codeLenInByte = 0
; TotalNumSgprs: 0
; NumVgprs: 0
; ScratchSize: 0
; MemoryBound: 0
; FloatMode: 240
; IeeeMode: 1
; LDSByteSize: 0 bytes/workgroup (compile time only)
; SGPRBlocks: 0
; VGPRBlocks: 0
; NumSGPRsForWavesPerEU: 1
; NumVGPRsForWavesPerEU: 1
; Occupancy: 16
; WaveLimiterHint : 0
; COMPUTE_PGM_RSRC2:SCRATCH_EN: 0
; COMPUTE_PGM_RSRC2:USER_SGPR: 6
; COMPUTE_PGM_RSRC2:TRAP_HANDLER: 0
; COMPUTE_PGM_RSRC2:TGID_X_EN: 1
; COMPUTE_PGM_RSRC2:TGID_Y_EN: 0
; COMPUTE_PGM_RSRC2:TGID_Z_EN: 0
; COMPUTE_PGM_RSRC2:TIDIG_COMP_CNT: 0
	.section	.text._ZN7rocprim17ROCPRIM_400000_NS6detail17trampoline_kernelINS0_14default_configENS1_27scan_by_key_config_selectorIj11FixedVectorIiLj1EEEEZZNS1_16scan_by_key_implILNS1_25lookback_scan_determinismE0ELb1ES3_N6thrust23THRUST_200600_302600_NS6detail15normal_iteratorINSB_10device_ptrIjEEEENSD_INSE_IS6_EEEESI_S6_NSB_4plusIvEENSB_8equal_toIvEES6_EE10hipError_tPvRmT2_T3_T4_T5_mT6_T7_P12ihipStream_tbENKUlT_T0_E_clISt17integral_constantIbLb0EES12_IbLb1EEEEDaSY_SZ_EUlSY_E_NS1_11comp_targetILNS1_3genE9ELNS1_11target_archE1100ELNS1_3gpuE3ELNS1_3repE0EEENS1_30default_config_static_selectorELNS0_4arch9wavefront6targetE0EEEvT1_,"axG",@progbits,_ZN7rocprim17ROCPRIM_400000_NS6detail17trampoline_kernelINS0_14default_configENS1_27scan_by_key_config_selectorIj11FixedVectorIiLj1EEEEZZNS1_16scan_by_key_implILNS1_25lookback_scan_determinismE0ELb1ES3_N6thrust23THRUST_200600_302600_NS6detail15normal_iteratorINSB_10device_ptrIjEEEENSD_INSE_IS6_EEEESI_S6_NSB_4plusIvEENSB_8equal_toIvEES6_EE10hipError_tPvRmT2_T3_T4_T5_mT6_T7_P12ihipStream_tbENKUlT_T0_E_clISt17integral_constantIbLb0EES12_IbLb1EEEEDaSY_SZ_EUlSY_E_NS1_11comp_targetILNS1_3genE9ELNS1_11target_archE1100ELNS1_3gpuE3ELNS1_3repE0EEENS1_30default_config_static_selectorELNS0_4arch9wavefront6targetE0EEEvT1_,comdat
	.protected	_ZN7rocprim17ROCPRIM_400000_NS6detail17trampoline_kernelINS0_14default_configENS1_27scan_by_key_config_selectorIj11FixedVectorIiLj1EEEEZZNS1_16scan_by_key_implILNS1_25lookback_scan_determinismE0ELb1ES3_N6thrust23THRUST_200600_302600_NS6detail15normal_iteratorINSB_10device_ptrIjEEEENSD_INSE_IS6_EEEESI_S6_NSB_4plusIvEENSB_8equal_toIvEES6_EE10hipError_tPvRmT2_T3_T4_T5_mT6_T7_P12ihipStream_tbENKUlT_T0_E_clISt17integral_constantIbLb0EES12_IbLb1EEEEDaSY_SZ_EUlSY_E_NS1_11comp_targetILNS1_3genE9ELNS1_11target_archE1100ELNS1_3gpuE3ELNS1_3repE0EEENS1_30default_config_static_selectorELNS0_4arch9wavefront6targetE0EEEvT1_ ; -- Begin function _ZN7rocprim17ROCPRIM_400000_NS6detail17trampoline_kernelINS0_14default_configENS1_27scan_by_key_config_selectorIj11FixedVectorIiLj1EEEEZZNS1_16scan_by_key_implILNS1_25lookback_scan_determinismE0ELb1ES3_N6thrust23THRUST_200600_302600_NS6detail15normal_iteratorINSB_10device_ptrIjEEEENSD_INSE_IS6_EEEESI_S6_NSB_4plusIvEENSB_8equal_toIvEES6_EE10hipError_tPvRmT2_T3_T4_T5_mT6_T7_P12ihipStream_tbENKUlT_T0_E_clISt17integral_constantIbLb0EES12_IbLb1EEEEDaSY_SZ_EUlSY_E_NS1_11comp_targetILNS1_3genE9ELNS1_11target_archE1100ELNS1_3gpuE3ELNS1_3repE0EEENS1_30default_config_static_selectorELNS0_4arch9wavefront6targetE0EEEvT1_
	.globl	_ZN7rocprim17ROCPRIM_400000_NS6detail17trampoline_kernelINS0_14default_configENS1_27scan_by_key_config_selectorIj11FixedVectorIiLj1EEEEZZNS1_16scan_by_key_implILNS1_25lookback_scan_determinismE0ELb1ES3_N6thrust23THRUST_200600_302600_NS6detail15normal_iteratorINSB_10device_ptrIjEEEENSD_INSE_IS6_EEEESI_S6_NSB_4plusIvEENSB_8equal_toIvEES6_EE10hipError_tPvRmT2_T3_T4_T5_mT6_T7_P12ihipStream_tbENKUlT_T0_E_clISt17integral_constantIbLb0EES12_IbLb1EEEEDaSY_SZ_EUlSY_E_NS1_11comp_targetILNS1_3genE9ELNS1_11target_archE1100ELNS1_3gpuE3ELNS1_3repE0EEENS1_30default_config_static_selectorELNS0_4arch9wavefront6targetE0EEEvT1_
	.p2align	8
	.type	_ZN7rocprim17ROCPRIM_400000_NS6detail17trampoline_kernelINS0_14default_configENS1_27scan_by_key_config_selectorIj11FixedVectorIiLj1EEEEZZNS1_16scan_by_key_implILNS1_25lookback_scan_determinismE0ELb1ES3_N6thrust23THRUST_200600_302600_NS6detail15normal_iteratorINSB_10device_ptrIjEEEENSD_INSE_IS6_EEEESI_S6_NSB_4plusIvEENSB_8equal_toIvEES6_EE10hipError_tPvRmT2_T3_T4_T5_mT6_T7_P12ihipStream_tbENKUlT_T0_E_clISt17integral_constantIbLb0EES12_IbLb1EEEEDaSY_SZ_EUlSY_E_NS1_11comp_targetILNS1_3genE9ELNS1_11target_archE1100ELNS1_3gpuE3ELNS1_3repE0EEENS1_30default_config_static_selectorELNS0_4arch9wavefront6targetE0EEEvT1_,@function
_ZN7rocprim17ROCPRIM_400000_NS6detail17trampoline_kernelINS0_14default_configENS1_27scan_by_key_config_selectorIj11FixedVectorIiLj1EEEEZZNS1_16scan_by_key_implILNS1_25lookback_scan_determinismE0ELb1ES3_N6thrust23THRUST_200600_302600_NS6detail15normal_iteratorINSB_10device_ptrIjEEEENSD_INSE_IS6_EEEESI_S6_NSB_4plusIvEENSB_8equal_toIvEES6_EE10hipError_tPvRmT2_T3_T4_T5_mT6_T7_P12ihipStream_tbENKUlT_T0_E_clISt17integral_constantIbLb0EES12_IbLb1EEEEDaSY_SZ_EUlSY_E_NS1_11comp_targetILNS1_3genE9ELNS1_11target_archE1100ELNS1_3gpuE3ELNS1_3repE0EEENS1_30default_config_static_selectorELNS0_4arch9wavefront6targetE0EEEvT1_: ; @_ZN7rocprim17ROCPRIM_400000_NS6detail17trampoline_kernelINS0_14default_configENS1_27scan_by_key_config_selectorIj11FixedVectorIiLj1EEEEZZNS1_16scan_by_key_implILNS1_25lookback_scan_determinismE0ELb1ES3_N6thrust23THRUST_200600_302600_NS6detail15normal_iteratorINSB_10device_ptrIjEEEENSD_INSE_IS6_EEEESI_S6_NSB_4plusIvEENSB_8equal_toIvEES6_EE10hipError_tPvRmT2_T3_T4_T5_mT6_T7_P12ihipStream_tbENKUlT_T0_E_clISt17integral_constantIbLb0EES12_IbLb1EEEEDaSY_SZ_EUlSY_E_NS1_11comp_targetILNS1_3genE9ELNS1_11target_archE1100ELNS1_3gpuE3ELNS1_3repE0EEENS1_30default_config_static_selectorELNS0_4arch9wavefront6targetE0EEEvT1_
; %bb.0:
	.section	.rodata,"a",@progbits
	.p2align	6, 0x0
	.amdhsa_kernel _ZN7rocprim17ROCPRIM_400000_NS6detail17trampoline_kernelINS0_14default_configENS1_27scan_by_key_config_selectorIj11FixedVectorIiLj1EEEEZZNS1_16scan_by_key_implILNS1_25lookback_scan_determinismE0ELb1ES3_N6thrust23THRUST_200600_302600_NS6detail15normal_iteratorINSB_10device_ptrIjEEEENSD_INSE_IS6_EEEESI_S6_NSB_4plusIvEENSB_8equal_toIvEES6_EE10hipError_tPvRmT2_T3_T4_T5_mT6_T7_P12ihipStream_tbENKUlT_T0_E_clISt17integral_constantIbLb0EES12_IbLb1EEEEDaSY_SZ_EUlSY_E_NS1_11comp_targetILNS1_3genE9ELNS1_11target_archE1100ELNS1_3gpuE3ELNS1_3repE0EEENS1_30default_config_static_selectorELNS0_4arch9wavefront6targetE0EEEvT1_
		.amdhsa_group_segment_fixed_size 0
		.amdhsa_private_segment_fixed_size 0
		.amdhsa_kernarg_size 112
		.amdhsa_user_sgpr_count 6
		.amdhsa_user_sgpr_private_segment_buffer 1
		.amdhsa_user_sgpr_dispatch_ptr 0
		.amdhsa_user_sgpr_queue_ptr 0
		.amdhsa_user_sgpr_kernarg_segment_ptr 1
		.amdhsa_user_sgpr_dispatch_id 0
		.amdhsa_user_sgpr_flat_scratch_init 0
		.amdhsa_user_sgpr_private_segment_size 0
		.amdhsa_wavefront_size32 1
		.amdhsa_uses_dynamic_stack 0
		.amdhsa_system_sgpr_private_segment_wavefront_offset 0
		.amdhsa_system_sgpr_workgroup_id_x 1
		.amdhsa_system_sgpr_workgroup_id_y 0
		.amdhsa_system_sgpr_workgroup_id_z 0
		.amdhsa_system_sgpr_workgroup_info 0
		.amdhsa_system_vgpr_workitem_id 0
		.amdhsa_next_free_vgpr 1
		.amdhsa_next_free_sgpr 1
		.amdhsa_reserve_vcc 0
		.amdhsa_reserve_flat_scratch 0
		.amdhsa_float_round_mode_32 0
		.amdhsa_float_round_mode_16_64 0
		.amdhsa_float_denorm_mode_32 3
		.amdhsa_float_denorm_mode_16_64 3
		.amdhsa_dx10_clamp 1
		.amdhsa_ieee_mode 1
		.amdhsa_fp16_overflow 0
		.amdhsa_workgroup_processor_mode 1
		.amdhsa_memory_ordered 1
		.amdhsa_forward_progress 1
		.amdhsa_shared_vgpr_count 0
		.amdhsa_exception_fp_ieee_invalid_op 0
		.amdhsa_exception_fp_denorm_src 0
		.amdhsa_exception_fp_ieee_div_zero 0
		.amdhsa_exception_fp_ieee_overflow 0
		.amdhsa_exception_fp_ieee_underflow 0
		.amdhsa_exception_fp_ieee_inexact 0
		.amdhsa_exception_int_div_zero 0
	.end_amdhsa_kernel
	.section	.text._ZN7rocprim17ROCPRIM_400000_NS6detail17trampoline_kernelINS0_14default_configENS1_27scan_by_key_config_selectorIj11FixedVectorIiLj1EEEEZZNS1_16scan_by_key_implILNS1_25lookback_scan_determinismE0ELb1ES3_N6thrust23THRUST_200600_302600_NS6detail15normal_iteratorINSB_10device_ptrIjEEEENSD_INSE_IS6_EEEESI_S6_NSB_4plusIvEENSB_8equal_toIvEES6_EE10hipError_tPvRmT2_T3_T4_T5_mT6_T7_P12ihipStream_tbENKUlT_T0_E_clISt17integral_constantIbLb0EES12_IbLb1EEEEDaSY_SZ_EUlSY_E_NS1_11comp_targetILNS1_3genE9ELNS1_11target_archE1100ELNS1_3gpuE3ELNS1_3repE0EEENS1_30default_config_static_selectorELNS0_4arch9wavefront6targetE0EEEvT1_,"axG",@progbits,_ZN7rocprim17ROCPRIM_400000_NS6detail17trampoline_kernelINS0_14default_configENS1_27scan_by_key_config_selectorIj11FixedVectorIiLj1EEEEZZNS1_16scan_by_key_implILNS1_25lookback_scan_determinismE0ELb1ES3_N6thrust23THRUST_200600_302600_NS6detail15normal_iteratorINSB_10device_ptrIjEEEENSD_INSE_IS6_EEEESI_S6_NSB_4plusIvEENSB_8equal_toIvEES6_EE10hipError_tPvRmT2_T3_T4_T5_mT6_T7_P12ihipStream_tbENKUlT_T0_E_clISt17integral_constantIbLb0EES12_IbLb1EEEEDaSY_SZ_EUlSY_E_NS1_11comp_targetILNS1_3genE9ELNS1_11target_archE1100ELNS1_3gpuE3ELNS1_3repE0EEENS1_30default_config_static_selectorELNS0_4arch9wavefront6targetE0EEEvT1_,comdat
.Lfunc_end1945:
	.size	_ZN7rocprim17ROCPRIM_400000_NS6detail17trampoline_kernelINS0_14default_configENS1_27scan_by_key_config_selectorIj11FixedVectorIiLj1EEEEZZNS1_16scan_by_key_implILNS1_25lookback_scan_determinismE0ELb1ES3_N6thrust23THRUST_200600_302600_NS6detail15normal_iteratorINSB_10device_ptrIjEEEENSD_INSE_IS6_EEEESI_S6_NSB_4plusIvEENSB_8equal_toIvEES6_EE10hipError_tPvRmT2_T3_T4_T5_mT6_T7_P12ihipStream_tbENKUlT_T0_E_clISt17integral_constantIbLb0EES12_IbLb1EEEEDaSY_SZ_EUlSY_E_NS1_11comp_targetILNS1_3genE9ELNS1_11target_archE1100ELNS1_3gpuE3ELNS1_3repE0EEENS1_30default_config_static_selectorELNS0_4arch9wavefront6targetE0EEEvT1_, .Lfunc_end1945-_ZN7rocprim17ROCPRIM_400000_NS6detail17trampoline_kernelINS0_14default_configENS1_27scan_by_key_config_selectorIj11FixedVectorIiLj1EEEEZZNS1_16scan_by_key_implILNS1_25lookback_scan_determinismE0ELb1ES3_N6thrust23THRUST_200600_302600_NS6detail15normal_iteratorINSB_10device_ptrIjEEEENSD_INSE_IS6_EEEESI_S6_NSB_4plusIvEENSB_8equal_toIvEES6_EE10hipError_tPvRmT2_T3_T4_T5_mT6_T7_P12ihipStream_tbENKUlT_T0_E_clISt17integral_constantIbLb0EES12_IbLb1EEEEDaSY_SZ_EUlSY_E_NS1_11comp_targetILNS1_3genE9ELNS1_11target_archE1100ELNS1_3gpuE3ELNS1_3repE0EEENS1_30default_config_static_selectorELNS0_4arch9wavefront6targetE0EEEvT1_
                                        ; -- End function
	.set _ZN7rocprim17ROCPRIM_400000_NS6detail17trampoline_kernelINS0_14default_configENS1_27scan_by_key_config_selectorIj11FixedVectorIiLj1EEEEZZNS1_16scan_by_key_implILNS1_25lookback_scan_determinismE0ELb1ES3_N6thrust23THRUST_200600_302600_NS6detail15normal_iteratorINSB_10device_ptrIjEEEENSD_INSE_IS6_EEEESI_S6_NSB_4plusIvEENSB_8equal_toIvEES6_EE10hipError_tPvRmT2_T3_T4_T5_mT6_T7_P12ihipStream_tbENKUlT_T0_E_clISt17integral_constantIbLb0EES12_IbLb1EEEEDaSY_SZ_EUlSY_E_NS1_11comp_targetILNS1_3genE9ELNS1_11target_archE1100ELNS1_3gpuE3ELNS1_3repE0EEENS1_30default_config_static_selectorELNS0_4arch9wavefront6targetE0EEEvT1_.num_vgpr, 0
	.set _ZN7rocprim17ROCPRIM_400000_NS6detail17trampoline_kernelINS0_14default_configENS1_27scan_by_key_config_selectorIj11FixedVectorIiLj1EEEEZZNS1_16scan_by_key_implILNS1_25lookback_scan_determinismE0ELb1ES3_N6thrust23THRUST_200600_302600_NS6detail15normal_iteratorINSB_10device_ptrIjEEEENSD_INSE_IS6_EEEESI_S6_NSB_4plusIvEENSB_8equal_toIvEES6_EE10hipError_tPvRmT2_T3_T4_T5_mT6_T7_P12ihipStream_tbENKUlT_T0_E_clISt17integral_constantIbLb0EES12_IbLb1EEEEDaSY_SZ_EUlSY_E_NS1_11comp_targetILNS1_3genE9ELNS1_11target_archE1100ELNS1_3gpuE3ELNS1_3repE0EEENS1_30default_config_static_selectorELNS0_4arch9wavefront6targetE0EEEvT1_.num_agpr, 0
	.set _ZN7rocprim17ROCPRIM_400000_NS6detail17trampoline_kernelINS0_14default_configENS1_27scan_by_key_config_selectorIj11FixedVectorIiLj1EEEEZZNS1_16scan_by_key_implILNS1_25lookback_scan_determinismE0ELb1ES3_N6thrust23THRUST_200600_302600_NS6detail15normal_iteratorINSB_10device_ptrIjEEEENSD_INSE_IS6_EEEESI_S6_NSB_4plusIvEENSB_8equal_toIvEES6_EE10hipError_tPvRmT2_T3_T4_T5_mT6_T7_P12ihipStream_tbENKUlT_T0_E_clISt17integral_constantIbLb0EES12_IbLb1EEEEDaSY_SZ_EUlSY_E_NS1_11comp_targetILNS1_3genE9ELNS1_11target_archE1100ELNS1_3gpuE3ELNS1_3repE0EEENS1_30default_config_static_selectorELNS0_4arch9wavefront6targetE0EEEvT1_.numbered_sgpr, 0
	.set _ZN7rocprim17ROCPRIM_400000_NS6detail17trampoline_kernelINS0_14default_configENS1_27scan_by_key_config_selectorIj11FixedVectorIiLj1EEEEZZNS1_16scan_by_key_implILNS1_25lookback_scan_determinismE0ELb1ES3_N6thrust23THRUST_200600_302600_NS6detail15normal_iteratorINSB_10device_ptrIjEEEENSD_INSE_IS6_EEEESI_S6_NSB_4plusIvEENSB_8equal_toIvEES6_EE10hipError_tPvRmT2_T3_T4_T5_mT6_T7_P12ihipStream_tbENKUlT_T0_E_clISt17integral_constantIbLb0EES12_IbLb1EEEEDaSY_SZ_EUlSY_E_NS1_11comp_targetILNS1_3genE9ELNS1_11target_archE1100ELNS1_3gpuE3ELNS1_3repE0EEENS1_30default_config_static_selectorELNS0_4arch9wavefront6targetE0EEEvT1_.num_named_barrier, 0
	.set _ZN7rocprim17ROCPRIM_400000_NS6detail17trampoline_kernelINS0_14default_configENS1_27scan_by_key_config_selectorIj11FixedVectorIiLj1EEEEZZNS1_16scan_by_key_implILNS1_25lookback_scan_determinismE0ELb1ES3_N6thrust23THRUST_200600_302600_NS6detail15normal_iteratorINSB_10device_ptrIjEEEENSD_INSE_IS6_EEEESI_S6_NSB_4plusIvEENSB_8equal_toIvEES6_EE10hipError_tPvRmT2_T3_T4_T5_mT6_T7_P12ihipStream_tbENKUlT_T0_E_clISt17integral_constantIbLb0EES12_IbLb1EEEEDaSY_SZ_EUlSY_E_NS1_11comp_targetILNS1_3genE9ELNS1_11target_archE1100ELNS1_3gpuE3ELNS1_3repE0EEENS1_30default_config_static_selectorELNS0_4arch9wavefront6targetE0EEEvT1_.private_seg_size, 0
	.set _ZN7rocprim17ROCPRIM_400000_NS6detail17trampoline_kernelINS0_14default_configENS1_27scan_by_key_config_selectorIj11FixedVectorIiLj1EEEEZZNS1_16scan_by_key_implILNS1_25lookback_scan_determinismE0ELb1ES3_N6thrust23THRUST_200600_302600_NS6detail15normal_iteratorINSB_10device_ptrIjEEEENSD_INSE_IS6_EEEESI_S6_NSB_4plusIvEENSB_8equal_toIvEES6_EE10hipError_tPvRmT2_T3_T4_T5_mT6_T7_P12ihipStream_tbENKUlT_T0_E_clISt17integral_constantIbLb0EES12_IbLb1EEEEDaSY_SZ_EUlSY_E_NS1_11comp_targetILNS1_3genE9ELNS1_11target_archE1100ELNS1_3gpuE3ELNS1_3repE0EEENS1_30default_config_static_selectorELNS0_4arch9wavefront6targetE0EEEvT1_.uses_vcc, 0
	.set _ZN7rocprim17ROCPRIM_400000_NS6detail17trampoline_kernelINS0_14default_configENS1_27scan_by_key_config_selectorIj11FixedVectorIiLj1EEEEZZNS1_16scan_by_key_implILNS1_25lookback_scan_determinismE0ELb1ES3_N6thrust23THRUST_200600_302600_NS6detail15normal_iteratorINSB_10device_ptrIjEEEENSD_INSE_IS6_EEEESI_S6_NSB_4plusIvEENSB_8equal_toIvEES6_EE10hipError_tPvRmT2_T3_T4_T5_mT6_T7_P12ihipStream_tbENKUlT_T0_E_clISt17integral_constantIbLb0EES12_IbLb1EEEEDaSY_SZ_EUlSY_E_NS1_11comp_targetILNS1_3genE9ELNS1_11target_archE1100ELNS1_3gpuE3ELNS1_3repE0EEENS1_30default_config_static_selectorELNS0_4arch9wavefront6targetE0EEEvT1_.uses_flat_scratch, 0
	.set _ZN7rocprim17ROCPRIM_400000_NS6detail17trampoline_kernelINS0_14default_configENS1_27scan_by_key_config_selectorIj11FixedVectorIiLj1EEEEZZNS1_16scan_by_key_implILNS1_25lookback_scan_determinismE0ELb1ES3_N6thrust23THRUST_200600_302600_NS6detail15normal_iteratorINSB_10device_ptrIjEEEENSD_INSE_IS6_EEEESI_S6_NSB_4plusIvEENSB_8equal_toIvEES6_EE10hipError_tPvRmT2_T3_T4_T5_mT6_T7_P12ihipStream_tbENKUlT_T0_E_clISt17integral_constantIbLb0EES12_IbLb1EEEEDaSY_SZ_EUlSY_E_NS1_11comp_targetILNS1_3genE9ELNS1_11target_archE1100ELNS1_3gpuE3ELNS1_3repE0EEENS1_30default_config_static_selectorELNS0_4arch9wavefront6targetE0EEEvT1_.has_dyn_sized_stack, 0
	.set _ZN7rocprim17ROCPRIM_400000_NS6detail17trampoline_kernelINS0_14default_configENS1_27scan_by_key_config_selectorIj11FixedVectorIiLj1EEEEZZNS1_16scan_by_key_implILNS1_25lookback_scan_determinismE0ELb1ES3_N6thrust23THRUST_200600_302600_NS6detail15normal_iteratorINSB_10device_ptrIjEEEENSD_INSE_IS6_EEEESI_S6_NSB_4plusIvEENSB_8equal_toIvEES6_EE10hipError_tPvRmT2_T3_T4_T5_mT6_T7_P12ihipStream_tbENKUlT_T0_E_clISt17integral_constantIbLb0EES12_IbLb1EEEEDaSY_SZ_EUlSY_E_NS1_11comp_targetILNS1_3genE9ELNS1_11target_archE1100ELNS1_3gpuE3ELNS1_3repE0EEENS1_30default_config_static_selectorELNS0_4arch9wavefront6targetE0EEEvT1_.has_recursion, 0
	.set _ZN7rocprim17ROCPRIM_400000_NS6detail17trampoline_kernelINS0_14default_configENS1_27scan_by_key_config_selectorIj11FixedVectorIiLj1EEEEZZNS1_16scan_by_key_implILNS1_25lookback_scan_determinismE0ELb1ES3_N6thrust23THRUST_200600_302600_NS6detail15normal_iteratorINSB_10device_ptrIjEEEENSD_INSE_IS6_EEEESI_S6_NSB_4plusIvEENSB_8equal_toIvEES6_EE10hipError_tPvRmT2_T3_T4_T5_mT6_T7_P12ihipStream_tbENKUlT_T0_E_clISt17integral_constantIbLb0EES12_IbLb1EEEEDaSY_SZ_EUlSY_E_NS1_11comp_targetILNS1_3genE9ELNS1_11target_archE1100ELNS1_3gpuE3ELNS1_3repE0EEENS1_30default_config_static_selectorELNS0_4arch9wavefront6targetE0EEEvT1_.has_indirect_call, 0
	.section	.AMDGPU.csdata,"",@progbits
; Kernel info:
; codeLenInByte = 0
; TotalNumSgprs: 0
; NumVgprs: 0
; ScratchSize: 0
; MemoryBound: 0
; FloatMode: 240
; IeeeMode: 1
; LDSByteSize: 0 bytes/workgroup (compile time only)
; SGPRBlocks: 0
; VGPRBlocks: 0
; NumSGPRsForWavesPerEU: 1
; NumVGPRsForWavesPerEU: 1
; Occupancy: 16
; WaveLimiterHint : 0
; COMPUTE_PGM_RSRC2:SCRATCH_EN: 0
; COMPUTE_PGM_RSRC2:USER_SGPR: 6
; COMPUTE_PGM_RSRC2:TRAP_HANDLER: 0
; COMPUTE_PGM_RSRC2:TGID_X_EN: 1
; COMPUTE_PGM_RSRC2:TGID_Y_EN: 0
; COMPUTE_PGM_RSRC2:TGID_Z_EN: 0
; COMPUTE_PGM_RSRC2:TIDIG_COMP_CNT: 0
	.section	.text._ZN7rocprim17ROCPRIM_400000_NS6detail17trampoline_kernelINS0_14default_configENS1_27scan_by_key_config_selectorIj11FixedVectorIiLj1EEEEZZNS1_16scan_by_key_implILNS1_25lookback_scan_determinismE0ELb1ES3_N6thrust23THRUST_200600_302600_NS6detail15normal_iteratorINSB_10device_ptrIjEEEENSD_INSE_IS6_EEEESI_S6_NSB_4plusIvEENSB_8equal_toIvEES6_EE10hipError_tPvRmT2_T3_T4_T5_mT6_T7_P12ihipStream_tbENKUlT_T0_E_clISt17integral_constantIbLb0EES12_IbLb1EEEEDaSY_SZ_EUlSY_E_NS1_11comp_targetILNS1_3genE8ELNS1_11target_archE1030ELNS1_3gpuE2ELNS1_3repE0EEENS1_30default_config_static_selectorELNS0_4arch9wavefront6targetE0EEEvT1_,"axG",@progbits,_ZN7rocprim17ROCPRIM_400000_NS6detail17trampoline_kernelINS0_14default_configENS1_27scan_by_key_config_selectorIj11FixedVectorIiLj1EEEEZZNS1_16scan_by_key_implILNS1_25lookback_scan_determinismE0ELb1ES3_N6thrust23THRUST_200600_302600_NS6detail15normal_iteratorINSB_10device_ptrIjEEEENSD_INSE_IS6_EEEESI_S6_NSB_4plusIvEENSB_8equal_toIvEES6_EE10hipError_tPvRmT2_T3_T4_T5_mT6_T7_P12ihipStream_tbENKUlT_T0_E_clISt17integral_constantIbLb0EES12_IbLb1EEEEDaSY_SZ_EUlSY_E_NS1_11comp_targetILNS1_3genE8ELNS1_11target_archE1030ELNS1_3gpuE2ELNS1_3repE0EEENS1_30default_config_static_selectorELNS0_4arch9wavefront6targetE0EEEvT1_,comdat
	.protected	_ZN7rocprim17ROCPRIM_400000_NS6detail17trampoline_kernelINS0_14default_configENS1_27scan_by_key_config_selectorIj11FixedVectorIiLj1EEEEZZNS1_16scan_by_key_implILNS1_25lookback_scan_determinismE0ELb1ES3_N6thrust23THRUST_200600_302600_NS6detail15normal_iteratorINSB_10device_ptrIjEEEENSD_INSE_IS6_EEEESI_S6_NSB_4plusIvEENSB_8equal_toIvEES6_EE10hipError_tPvRmT2_T3_T4_T5_mT6_T7_P12ihipStream_tbENKUlT_T0_E_clISt17integral_constantIbLb0EES12_IbLb1EEEEDaSY_SZ_EUlSY_E_NS1_11comp_targetILNS1_3genE8ELNS1_11target_archE1030ELNS1_3gpuE2ELNS1_3repE0EEENS1_30default_config_static_selectorELNS0_4arch9wavefront6targetE0EEEvT1_ ; -- Begin function _ZN7rocprim17ROCPRIM_400000_NS6detail17trampoline_kernelINS0_14default_configENS1_27scan_by_key_config_selectorIj11FixedVectorIiLj1EEEEZZNS1_16scan_by_key_implILNS1_25lookback_scan_determinismE0ELb1ES3_N6thrust23THRUST_200600_302600_NS6detail15normal_iteratorINSB_10device_ptrIjEEEENSD_INSE_IS6_EEEESI_S6_NSB_4plusIvEENSB_8equal_toIvEES6_EE10hipError_tPvRmT2_T3_T4_T5_mT6_T7_P12ihipStream_tbENKUlT_T0_E_clISt17integral_constantIbLb0EES12_IbLb1EEEEDaSY_SZ_EUlSY_E_NS1_11comp_targetILNS1_3genE8ELNS1_11target_archE1030ELNS1_3gpuE2ELNS1_3repE0EEENS1_30default_config_static_selectorELNS0_4arch9wavefront6targetE0EEEvT1_
	.globl	_ZN7rocprim17ROCPRIM_400000_NS6detail17trampoline_kernelINS0_14default_configENS1_27scan_by_key_config_selectorIj11FixedVectorIiLj1EEEEZZNS1_16scan_by_key_implILNS1_25lookback_scan_determinismE0ELb1ES3_N6thrust23THRUST_200600_302600_NS6detail15normal_iteratorINSB_10device_ptrIjEEEENSD_INSE_IS6_EEEESI_S6_NSB_4plusIvEENSB_8equal_toIvEES6_EE10hipError_tPvRmT2_T3_T4_T5_mT6_T7_P12ihipStream_tbENKUlT_T0_E_clISt17integral_constantIbLb0EES12_IbLb1EEEEDaSY_SZ_EUlSY_E_NS1_11comp_targetILNS1_3genE8ELNS1_11target_archE1030ELNS1_3gpuE2ELNS1_3repE0EEENS1_30default_config_static_selectorELNS0_4arch9wavefront6targetE0EEEvT1_
	.p2align	8
	.type	_ZN7rocprim17ROCPRIM_400000_NS6detail17trampoline_kernelINS0_14default_configENS1_27scan_by_key_config_selectorIj11FixedVectorIiLj1EEEEZZNS1_16scan_by_key_implILNS1_25lookback_scan_determinismE0ELb1ES3_N6thrust23THRUST_200600_302600_NS6detail15normal_iteratorINSB_10device_ptrIjEEEENSD_INSE_IS6_EEEESI_S6_NSB_4plusIvEENSB_8equal_toIvEES6_EE10hipError_tPvRmT2_T3_T4_T5_mT6_T7_P12ihipStream_tbENKUlT_T0_E_clISt17integral_constantIbLb0EES12_IbLb1EEEEDaSY_SZ_EUlSY_E_NS1_11comp_targetILNS1_3genE8ELNS1_11target_archE1030ELNS1_3gpuE2ELNS1_3repE0EEENS1_30default_config_static_selectorELNS0_4arch9wavefront6targetE0EEEvT1_,@function
_ZN7rocprim17ROCPRIM_400000_NS6detail17trampoline_kernelINS0_14default_configENS1_27scan_by_key_config_selectorIj11FixedVectorIiLj1EEEEZZNS1_16scan_by_key_implILNS1_25lookback_scan_determinismE0ELb1ES3_N6thrust23THRUST_200600_302600_NS6detail15normal_iteratorINSB_10device_ptrIjEEEENSD_INSE_IS6_EEEESI_S6_NSB_4plusIvEENSB_8equal_toIvEES6_EE10hipError_tPvRmT2_T3_T4_T5_mT6_T7_P12ihipStream_tbENKUlT_T0_E_clISt17integral_constantIbLb0EES12_IbLb1EEEEDaSY_SZ_EUlSY_E_NS1_11comp_targetILNS1_3genE8ELNS1_11target_archE1030ELNS1_3gpuE2ELNS1_3repE0EEENS1_30default_config_static_selectorELNS0_4arch9wavefront6targetE0EEEvT1_: ; @_ZN7rocprim17ROCPRIM_400000_NS6detail17trampoline_kernelINS0_14default_configENS1_27scan_by_key_config_selectorIj11FixedVectorIiLj1EEEEZZNS1_16scan_by_key_implILNS1_25lookback_scan_determinismE0ELb1ES3_N6thrust23THRUST_200600_302600_NS6detail15normal_iteratorINSB_10device_ptrIjEEEENSD_INSE_IS6_EEEESI_S6_NSB_4plusIvEENSB_8equal_toIvEES6_EE10hipError_tPvRmT2_T3_T4_T5_mT6_T7_P12ihipStream_tbENKUlT_T0_E_clISt17integral_constantIbLb0EES12_IbLb1EEEEDaSY_SZ_EUlSY_E_NS1_11comp_targetILNS1_3genE8ELNS1_11target_archE1030ELNS1_3gpuE2ELNS1_3repE0EEENS1_30default_config_static_selectorELNS0_4arch9wavefront6targetE0EEEvT1_
; %bb.0:
	s_clause 0x2
	s_load_dword s22, s[4:5], 0x20
	s_load_dwordx4 s[16:19], s[4:5], 0x28
	s_load_dwordx2 s[20:21], s[4:5], 0x38
	v_cmp_eq_u32_e64 s0, 0, v0
	s_and_saveexec_b32 s1, s0
	s_cbranch_execz .LBB1946_4
; %bb.1:
	s_mov_b32 s3, exec_lo
	s_mov_b32 s2, exec_lo
	v_mbcnt_lo_u32_b32 v1, s3, 0
                                        ; implicit-def: $vgpr2
	v_cmpx_eq_u32_e32 0, v1
	s_cbranch_execz .LBB1946_3
; %bb.2:
	s_load_dwordx2 s[6:7], s[4:5], 0x68
	s_bcnt1_i32_b32 s3, s3
	v_mov_b32_e32 v2, 0
	v_mov_b32_e32 v3, s3
	s_waitcnt lgkmcnt(0)
	global_atomic_add v2, v2, v3, s[6:7] glc
.LBB1946_3:
	s_or_b32 exec_lo, exec_lo, s2
	s_waitcnt vmcnt(0)
	v_readfirstlane_b32 s2, v2
	v_mov_b32_e32 v2, 0
	v_add_nc_u32_e32 v1, s2, v1
	ds_write_b32 v2, v1
.LBB1946_4:
	s_or_b32 exec_lo, exec_lo, s1
	v_mov_b32_e32 v2, 0
	s_clause 0x2
	s_load_dwordx8 s[8:15], s[4:5], 0x0
	s_load_dword s1, s[4:5], 0x40
	s_load_dwordx4 s[4:7], s[4:5], 0x48
	s_waitcnt lgkmcnt(0)
	s_barrier
	buffer_gl0_inv
	ds_read_b32 v5, v2
	s_waitcnt lgkmcnt(0)
	s_barrier
	buffer_gl0_inv
	s_barrier
	buffer_gl0_inv
	s_lshl_b64 s[10:11], s[10:11], 2
	s_mul_i32 s2, s21, s1
	s_add_u32 s8, s8, s10
	s_mul_hi_u32 s3, s20, s1
	s_mul_i32 s1, s20, s1
	s_addc_u32 s9, s9, s11
	v_mul_lo_u32 v1, 0x300, v5
	s_add_u32 s12, s12, s10
	s_addc_u32 s19, s13, s11
	s_add_i32 s3, s3, s2
	v_add_co_u32 v3, s1, s1, v5
	v_add_co_ci_u32_e64 v4, null, s3, 0, s1
	v_lshlrev_b64 v[9:10], 2, v[1:2]
	s_add_u32 s2, s4, -1
	s_addc_u32 s3, s5, -1
	v_readfirstlane_b32 s13, v5
	v_cmp_le_u64_e64 s1, s[2:3], v[3:4]
	v_add_co_u32 v1, vcc_lo, s8, v9
	v_add_co_ci_u32_e64 v2, null, s9, v10, vcc_lo
	v_add_co_u32 v15, vcc_lo, s12, v9
	v_add_co_ci_u32_e64 v16, null, s19, v10, vcc_lo
	s_and_b32 vcc_lo, exec_lo, s1
	s_mul_i32 s12, s2, 0xfffffd00
	s_cbranch_vccz .LBB1946_26
; %bb.5:
	flat_load_dword v5, v[1:2]
	s_add_i32 s5, s12, s18
	v_cmp_gt_u32_e32 vcc_lo, s5, v0
	s_waitcnt vmcnt(0) lgkmcnt(0)
	v_mov_b32_e32 v6, v5
	s_and_saveexec_b32 s3, vcc_lo
	s_cbranch_execz .LBB1946_7
; %bb.6:
	v_lshlrev_b32_e32 v3, 2, v0
	v_add_co_u32 v3, s2, v1, v3
	v_add_co_ci_u32_e64 v4, null, 0, v2, s2
	flat_load_dword v6, v[3:4]
.LBB1946_7:
	s_or_b32 exec_lo, exec_lo, s3
	v_or_b32_e32 v3, 0x100, v0
	v_mov_b32_e32 v7, v5
	v_cmp_gt_u32_e64 s2, s5, v3
	s_and_saveexec_b32 s4, s2
	s_cbranch_execz .LBB1946_9
; %bb.8:
	v_lshlrev_b32_e32 v3, 2, v0
	v_add_co_u32 v3, s3, v1, v3
	v_add_co_ci_u32_e64 v4, null, 0, v2, s3
	flat_load_dword v7, v[3:4] offset:1024
.LBB1946_9:
	s_or_b32 exec_lo, exec_lo, s4
	v_or_b32_e32 v3, 0x200, v0
	v_cmp_gt_u32_e64 s3, s5, v3
	v_lshlrev_b32_e32 v3, 2, v3
	s_and_saveexec_b32 s8, s3
	s_cbranch_execz .LBB1946_11
; %bb.10:
	v_add_co_u32 v4, s4, v1, v3
	v_add_co_ci_u32_e64 v5, null, 0, v2, s4
	flat_load_dword v5, v[4:5]
.LBB1946_11:
	s_or_b32 exec_lo, exec_lo, s8
	v_lshlrev_b32_e32 v4, 2, v0
	s_mov_b32 s8, exec_lo
	s_waitcnt vmcnt(0) lgkmcnt(0)
	ds_write2st64_b32 v4, v6, v7 offset1:4
	ds_write_b32 v4, v5 offset:2048
	s_waitcnt lgkmcnt(0)
	s_barrier
	buffer_gl0_inv
	flat_load_dword v17, v[1:2]
	v_lshlrev_b32_e32 v7, 3, v0
	v_add_nc_u32_e32 v8, v4, v7
	ds_read_b32 v18, v8
	ds_read2_b32 v[5:6], v8 offset0:1 offset1:2
	s_waitcnt lgkmcnt(1)
	ds_write_b32 v4, v18 offset:4096
	s_waitcnt vmcnt(0) lgkmcnt(0)
	s_barrier
	buffer_gl0_inv
	v_cmpx_ne_u32_e32 0xff, v0
; %bb.12:
	v_sub_nc_u32_e32 v7, 0, v7
	v_add_nc_u32_e32 v7, v8, v7
	ds_read_b32 v17, v7 offset:4100
; %bb.13:
	s_or_b32 exec_lo, exec_lo, s8
	v_mov_b32_e32 v7, 0
	v_mov_b32_e32 v11, 0
	s_waitcnt lgkmcnt(0)
	s_barrier
	buffer_gl0_inv
	s_and_saveexec_b32 s4, vcc_lo
	s_cbranch_execz .LBB1946_15
; %bb.14:
	v_add_co_u32 v11, vcc_lo, v15, v4
	v_add_co_ci_u32_e64 v12, null, 0, v16, vcc_lo
	flat_load_dword v11, v[11:12]
.LBB1946_15:
	s_or_b32 exec_lo, exec_lo, s4
	s_and_saveexec_b32 s4, s2
	s_cbranch_execz .LBB1946_17
; %bb.16:
	v_add_co_u32 v12, vcc_lo, v15, v4
	v_add_co_ci_u32_e64 v13, null, 0, v16, vcc_lo
	flat_load_dword v7, v[12:13] offset:1024
.LBB1946_17:
	s_or_b32 exec_lo, exec_lo, s4
	v_mul_u32_u24_e32 v19, 3, v0
	v_mov_b32_e32 v12, 0
	s_and_saveexec_b32 s2, s3
	s_cbranch_execz .LBB1946_19
; %bb.18:
	v_add_co_u32 v12, vcc_lo, v15, v3
	v_add_co_ci_u32_e64 v13, null, 0, v16, vcc_lo
	flat_load_dword v12, v[12:13]
.LBB1946_19:
	s_or_b32 exec_lo, exec_lo, s2
	s_waitcnt vmcnt(0) lgkmcnt(0)
	ds_write2st64_b32 v4, v11, v7 offset1:4
	ds_write_b32 v4, v12 offset:2048
	v_mov_b32_e32 v11, 0
	v_mov_b32_e32 v3, 0
	;; [unrolled: 1-line block ×6, first 2 shown]
	s_mov_b32 s3, 0
	s_mov_b32 s8, 0
	s_mov_b32 s4, exec_lo
	s_waitcnt lgkmcnt(0)
	s_barrier
	buffer_gl0_inv
                                        ; implicit-def: $sgpr2
                                        ; implicit-def: $vgpr7
	v_cmpx_gt_u32_e64 s5, v19
	s_cbranch_execz .LBB1946_25
; %bb.20:
	ds_read_b32 v7, v8
	v_cmp_ne_u32_e32 vcc_lo, v18, v5
	v_mov_b32_e32 v3, 0
	v_add_nc_u32_e32 v13, 1, v19
	v_mov_b32_e32 v4, 0
	s_mov_b32 s9, 0
	v_cndmask_b32_e64 v12, 0, 1, vcc_lo
	v_cmp_eq_u32_e32 vcc_lo, v18, v5
	s_mov_b32 s8, exec_lo
                                        ; implicit-def: $sgpr2
	s_waitcnt lgkmcnt(0)
	v_cndmask_b32_e32 v11, s22, v7, vcc_lo
                                        ; implicit-def: $vgpr7
	v_cmpx_gt_u32_e64 s5, v13
	s_cbranch_execz .LBB1946_24
; %bb.21:
	ds_read2_b32 v[7:8], v8 offset0:1 offset1:2
	v_cmp_ne_u32_e32 vcc_lo, v5, v6
	v_add_nc_u32_e32 v13, 2, v19
                                        ; implicit-def: $sgpr2
	v_cndmask_b32_e64 v4, 0, 1, vcc_lo
	v_cmp_eq_u32_e32 vcc_lo, v5, v6
	s_waitcnt lgkmcnt(0)
	v_cndmask_b32_e32 v3, s22, v7, vcc_lo
	v_cmp_gt_u32_e32 vcc_lo, s5, v13
	s_mov_b32 s5, 0
                                        ; implicit-def: $vgpr7
	s_and_saveexec_b32 s9, vcc_lo
	s_xor_b32 s9, exec_lo, s9
; %bb.22:
	v_cmp_ne_u32_e64 s2, v6, v17
	s_mov_b32 s5, exec_lo
	v_cndmask_b32_e64 v7, v8, s22, s2
; %bb.23:
	s_or_b32 exec_lo, exec_lo, s9
	s_and_b32 s9, s5, exec_lo
.LBB1946_24:
	s_or_b32 exec_lo, exec_lo, s8
	v_mov_b32_e32 v14, v4
	v_mov_b32_e32 v13, v3
	s_and_b32 s8, s9, exec_lo
.LBB1946_25:
	s_or_b32 exec_lo, exec_lo, s4
	v_lshlrev_b32_e32 v21, 2, v0
	v_lshlrev_b32_e32 v20, 3, v0
	s_and_b32 vcc_lo, exec_lo, s3
	s_cbranch_vccnz .LBB1946_27
	s_branch .LBB1946_32
.LBB1946_26:
	s_mov_b32 s8, 0
                                        ; implicit-def: $sgpr2
                                        ; implicit-def: $vgpr11_vgpr12
                                        ; implicit-def: $vgpr3_vgpr4
                                        ; implicit-def: $vgpr7
                                        ; implicit-def: $vgpr13_vgpr14
	v_lshlrev_b32_e32 v21, 2, v0
	v_lshlrev_b32_e32 v20, 3, v0
	s_cbranch_execz .LBB1946_32
.LBB1946_27:
	v_add_co_u32 v3, vcc_lo, v1, v21
	v_add_co_ci_u32_e64 v4, null, 0, v2, vcc_lo
	s_mov_b32 s2, exec_lo
	v_add_co_u32 v5, vcc_lo, 0x800, v3
	v_add_co_ci_u32_e64 v6, null, 0, v4, vcc_lo
	v_add_co_u32 v1, vcc_lo, 0x800, v1
	s_clause 0x2
	flat_load_dword v7, v[3:4]
	flat_load_dword v3, v[3:4] offset:1024
	flat_load_dword v4, v[5:6]
	v_add_co_ci_u32_e64 v2, null, 0, v2, vcc_lo
	s_waitcnt vmcnt(1) lgkmcnt(1)
	ds_write2st64_b32 v21, v7, v3 offset1:4
	s_waitcnt vmcnt(0) lgkmcnt(1)
	ds_write_b32 v21, v4 offset:2048
	s_waitcnt lgkmcnt(0)
	s_barrier
	buffer_gl0_inv
	flat_load_dword v6, v[1:2] offset:1024
	v_add_nc_u32_e32 v3, v21, v20
	ds_read_b32 v7, v3
	ds_read2_b32 v[1:2], v3 offset0:1 offset1:2
	s_waitcnt lgkmcnt(1)
	ds_write_b32 v21, v7 offset:4096
	s_waitcnt vmcnt(0) lgkmcnt(0)
	s_barrier
	buffer_gl0_inv
	v_cmpx_ne_u32_e32 0xff, v0
; %bb.28:
	v_sub_nc_u32_e32 v4, 0, v20
	v_add_nc_u32_e32 v4, v3, v4
	ds_read_b32 v6, v4 offset:4100
; %bb.29:
	s_or_b32 exec_lo, exec_lo, s2
	v_add_co_u32 v4, vcc_lo, v15, v21
	v_add_co_ci_u32_e64 v5, null, 0, v16, vcc_lo
	s_waitcnt lgkmcnt(0)
	v_add_co_u32 v11, vcc_lo, 0x800, v4
	v_add_co_ci_u32_e64 v12, null, 0, v5, vcc_lo
	s_barrier
	buffer_gl0_inv
	s_clause 0x2
	flat_load_dword v8, v[4:5]
	flat_load_dword v4, v[4:5] offset:1024
	flat_load_dword v5, v[11:12]
	v_cmp_eq_u32_e32 vcc_lo, v7, v1
	v_mov_b32_e32 v11, 0
	v_mov_b32_e32 v12, 1
	;; [unrolled: 1-line block ×3, first 2 shown]
	s_waitcnt vmcnt(1) lgkmcnt(1)
	ds_write2st64_b32 v21, v8, v4 offset1:4
	s_waitcnt vmcnt(0) lgkmcnt(1)
	ds_write_b32 v21, v5 offset:2048
	s_waitcnt lgkmcnt(0)
	s_barrier
	buffer_gl0_inv
	ds_read2_b32 v[4:5], v3 offset0:1 offset1:2
	s_and_saveexec_b32 s2, vcc_lo
; %bb.30:
	ds_read_b32 v7, v3
	v_mov_b32_e32 v11, 0
	v_mov_b32_e32 v12, 0
; %bb.31:
	s_or_b32 exec_lo, exec_lo, s2
	v_cmp_eq_u32_e32 vcc_lo, v1, v2
	v_cmp_ne_u32_e64 s2, v2, v6
	s_waitcnt lgkmcnt(0)
	v_or_b32_e32 v11, v11, v7
	s_mov_b32 s8, -1
	v_cndmask_b32_e32 v3, s22, v4, vcc_lo
	v_cmp_ne_u32_e32 vcc_lo, v1, v2
	v_cndmask_b32_e64 v7, v5, s22, s2
	v_cndmask_b32_e64 v4, 0, 1, vcc_lo
	v_mov_b32_e32 v14, v4
	v_mov_b32_e32 v13, v3
.LBB1946_32:
	v_mov_b32_e32 v15, 0
	v_mov_b32_e32 v16, 0
	s_and_saveexec_b32 s3, s8
; %bb.33:
	v_cndmask_b32_e64 v8, 0, 1, s2
	v_mov_b32_e32 v14, v4
	v_mov_b32_e32 v13, v3
	;; [unrolled: 1-line block ×4, first 2 shown]
; %bb.34:
	s_or_b32 exec_lo, exec_lo, s3
	v_or_b32_e32 v25, v14, v16
	v_mbcnt_lo_u32_b32 v22, -1, 0
	v_lshrrev_b32_e32 v23, 5, v0
	v_or_b32_e32 v24, 31, v0
	s_cmp_lg_u32 s13, 0
	s_mov_b32 s4, 0
	s_barrier
	buffer_gl0_inv
	s_cbranch_scc0 .LBB1946_60
; %bb.35:
	v_and_b32_e32 v2, 0xff, v25
	v_mov_b32_e32 v1, 0
	s_mov_b32 s5, 1
	v_cmp_gt_u64_e64 s2, s[4:5], v[13:14]
	v_cmp_eq_u64_e32 vcc_lo, 0, v[1:2]
	v_cndmask_b32_e64 v3, 0, v11, s2
	v_cndmask_b32_e32 v2, 1, v12, vcc_lo
	v_cmp_gt_u64_e32 vcc_lo, s[4:5], v[15:16]
	v_add_nc_u32_e32 v3, v3, v13
	v_and_b32_e32 v4, 0xff, v2
	v_and_b32_e32 v6, 1, v2
	v_cndmask_b32_e32 v3, 0, v3, vcc_lo
	v_mov_b32_dpp v5, v4 row_shr:1 row_mask:0xf bank_mask:0xf
	v_cmp_eq_u32_e32 vcc_lo, 1, v6
	v_and_b32_e32 v6, 15, v22
	v_add_nc_u32_e32 v3, v3, v15
	v_and_b32_e32 v5, 1, v5
	v_mov_b32_dpp v7, v3 row_shr:1 row_mask:0xf bank_mask:0xf
	v_cndmask_b32_e64 v5, v5, 1, vcc_lo
	v_cmp_eq_u16_e32 vcc_lo, 0, v4
	v_and_b32_e32 v8, 0xffff, v5
	v_cndmask_b32_e32 v7, 0, v7, vcc_lo
	v_cmp_eq_u32_e32 vcc_lo, 0, v6
	v_cndmask_b32_e32 v4, v8, v4, vcc_lo
	v_cndmask_b32_e32 v2, v5, v2, vcc_lo
	v_cndmask_b32_e64 v7, v7, 0, vcc_lo
	v_mov_b32_dpp v5, v4 row_shr:2 row_mask:0xf bank_mask:0xf
	v_and_b32_e32 v8, 1, v2
	v_add_nc_u32_e32 v3, v7, v3
	v_cmp_eq_u16_sdwa s4, v2, v1 src0_sel:BYTE_0 src1_sel:DWORD
	v_and_b32_e32 v5, 1, v5
	v_cmp_eq_u32_e32 vcc_lo, 1, v8
	v_cndmask_b32_e64 v5, v5, 1, vcc_lo
	v_cmp_lt_u32_e32 vcc_lo, 1, v6
	v_and_b32_e32 v8, 0xffff, v5
	v_cndmask_b32_e32 v5, v2, v5, vcc_lo
	v_mov_b32_dpp v2, v3 row_shr:2 row_mask:0xf bank_mask:0xf
	v_cndmask_b32_e32 v4, v4, v8, vcc_lo
	v_and_b32_e32 v7, 1, v5
	s_and_b32 vcc_lo, vcc_lo, s4
	v_cndmask_b32_e32 v2, 0, v2, vcc_lo
	v_mov_b32_dpp v8, v4 row_shr:4 row_mask:0xf bank_mask:0xf
	v_cmp_eq_u32_e64 s3, 1, v7
	v_cmp_lt_u32_e32 vcc_lo, 3, v6
	v_add_nc_u32_e32 v2, v2, v3
	v_and_b32_e32 v8, 1, v8
	v_cndmask_b32_e64 v7, v8, 1, s3
	v_cmp_eq_u16_sdwa s3, v5, v1 src0_sel:BYTE_0 src1_sel:DWORD
	v_and_b32_e32 v8, 0xffff, v7
	v_cndmask_b32_e32 v3, v5, v7, vcc_lo
	v_mov_b32_dpp v5, v2 row_shr:4 row_mask:0xf bank_mask:0xf
	v_cndmask_b32_e32 v4, v4, v8, vcc_lo
	s_and_b32 vcc_lo, vcc_lo, s3
	v_and_b32_e32 v8, 1, v3
	v_cndmask_b32_e32 v5, 0, v5, vcc_lo
	v_cmp_eq_u16_sdwa s3, v3, v1 src0_sel:BYTE_0 src1_sel:DWORD
	v_mov_b32_dpp v7, v4 row_shr:8 row_mask:0xf bank_mask:0xf
	v_cmp_eq_u32_e32 vcc_lo, 1, v8
	v_add_nc_u32_e32 v2, v5, v2
	v_and_b32_e32 v7, 1, v7
	v_cndmask_b32_e64 v5, v7, 1, vcc_lo
	v_cmp_lt_u32_e32 vcc_lo, 7, v6
	v_mov_b32_dpp v6, v2 row_shr:8 row_mask:0xf bank_mask:0xf
	s_and_b32 s3, vcc_lo, s3
	v_cndmask_b32_e32 v7, v3, v5, vcc_lo
	v_cndmask_b32_e64 v3, 0, v6, s3
	v_and_b32_e32 v5, 0xffff, v5
	v_and_b32_e32 v6, 16, v22
	v_add_nc_u32_e32 v2, v3, v2
	v_cndmask_b32_e32 v3, v4, v5, vcc_lo
	v_cmp_eq_u16_sdwa vcc_lo, v7, v1 src0_sel:BYTE_0 src1_sel:DWORD
	v_bfe_i32 v5, v22, 4, 1
	v_cmp_eq_u32_e64 s3, 0, v6
	ds_swizzle_b32 v4, v2 offset:swizzle(BROADCAST,32,15)
	ds_swizzle_b32 v3, v3 offset:swizzle(BROADCAST,32,15)
	s_waitcnt lgkmcnt(1)
	v_cndmask_b32_e32 v1, 0, v4, vcc_lo
	v_and_b32_e32 v4, 1, v7
	s_waitcnt lgkmcnt(0)
	v_and_b32_e32 v3, 1, v3
	v_and_b32_e32 v1, v5, v1
	v_cmp_eq_u32_e32 vcc_lo, 1, v4
	v_lshlrev_b32_e32 v5, 3, v23
	v_cndmask_b32_e64 v4, v3, 1, vcc_lo
	v_add_nc_u32_e32 v3, v1, v2
	v_cndmask_b32_e64 v4, v4, v7, s3
	s_mov_b32 s3, exec_lo
	v_cmpx_eq_u32_e64 v0, v24
	s_cbranch_execz .LBB1946_37
; %bb.36:
	ds_write_b32 v5, v3
	ds_write_b8 v5, v4 offset:4
.LBB1946_37:
	s_or_b32 exec_lo, exec_lo, s3
	s_mov_b32 s3, exec_lo
	s_waitcnt lgkmcnt(0)
	s_barrier
	buffer_gl0_inv
	v_cmpx_gt_u32_e32 8, v0
	s_cbranch_execz .LBB1946_43
; %bb.38:
	ds_read_b64 v[1:2], v20
	v_and_b32_e32 v6, 7, v22
	s_mov_b32 s4, exec_lo
	s_waitcnt lgkmcnt(0)
	v_and_b32_e32 v7, 0xffffff00, v2
	v_mov_b32_dpp v17, v1 row_shr:1 row_mask:0xf bank_mask:0xf
	v_mov_b32_dpp v18, v2 row_shr:1 row_mask:0xf bank_mask:0xf
	v_mov_b32_e32 v8, v2
	v_cmpx_ne_u32_e32 0, v6
	s_cbranch_execz .LBB1946_40
; %bb.39:
	v_mov_b32_e32 v8, 0
	v_and_b32_e32 v19, 1, v2
	v_and_b32_e32 v18, 1, v18
	v_cmp_eq_u16_sdwa vcc_lo, v2, v8 src0_sel:BYTE_0 src1_sel:DWORD
	v_cndmask_b32_e32 v2, 0, v17, vcc_lo
	v_cmp_eq_u32_e32 vcc_lo, 1, v19
	v_add_nc_u32_e32 v1, v2, v1
	v_cndmask_b32_e64 v17, v18, 1, vcc_lo
	v_or_b32_sdwa v8, v7, v17 dst_sel:DWORD dst_unused:UNUSED_PAD src0_sel:DWORD src1_sel:WORD_0
	v_mov_b32_e32 v2, v17
.LBB1946_40:
	s_or_b32 exec_lo, exec_lo, s4
	v_mov_b32_dpp v17, v1 row_shr:2 row_mask:0xf bank_mask:0xf
	v_mov_b32_dpp v18, v8 row_shr:2 row_mask:0xf bank_mask:0xf
	s_mov_b32 s4, exec_lo
	v_cmpx_lt_u32_e32 1, v6
	s_cbranch_execz .LBB1946_42
; %bb.41:
	v_mov_b32_e32 v8, 0
	v_and_b32_e32 v19, 1, v2
	v_and_b32_e32 v18, 1, v18
	v_cmp_eq_u16_sdwa vcc_lo, v2, v8 src0_sel:BYTE_0 src1_sel:DWORD
	v_cndmask_b32_e32 v2, 0, v17, vcc_lo
	v_cmp_eq_u32_e32 vcc_lo, 1, v19
	v_add_nc_u32_e32 v1, v2, v1
	v_cndmask_b32_e64 v17, v18, 1, vcc_lo
	v_or_b32_sdwa v8, v7, v17 dst_sel:DWORD dst_unused:UNUSED_PAD src0_sel:DWORD src1_sel:WORD_0
	v_mov_b32_e32 v2, v17
.LBB1946_42:
	s_or_b32 exec_lo, exec_lo, s4
	v_mov_b32_dpp v7, v8 row_shr:4 row_mask:0xf bank_mask:0xf
	v_and_b32_e32 v17, 1, v2
	v_mov_b32_e32 v8, 0
	v_and_b32_e32 v7, 1, v7
	v_cmp_eq_u32_e32 vcc_lo, 1, v17
	v_cmp_eq_u16_sdwa s4, v2, v8 src0_sel:BYTE_0 src1_sel:DWORD
	v_cndmask_b32_e64 v7, v7, 1, vcc_lo
	v_cmp_lt_u32_e32 vcc_lo, 3, v6
	v_mov_b32_dpp v6, v1 row_shr:4 row_mask:0xf bank_mask:0xf
	v_cndmask_b32_e32 v2, v2, v7, vcc_lo
	s_and_b32 vcc_lo, vcc_lo, s4
	v_cndmask_b32_e32 v6, 0, v6, vcc_lo
	v_add_nc_u32_e32 v1, v6, v1
	ds_write_b32 v20, v1
	ds_write_b8 v20, v2 offset:4
.LBB1946_43:
	s_or_b32 exec_lo, exec_lo, s3
	v_mov_b32_e32 v27, 0
	v_mov_b32_e32 v26, 0
	s_mov_b32 s4, exec_lo
	v_cmp_gt_u32_e32 vcc_lo, 32, v0
	s_waitcnt lgkmcnt(0)
	s_barrier
	buffer_gl0_inv
	v_cmpx_lt_u32_e32 31, v0
	s_cbranch_execz .LBB1946_45
; %bb.44:
	v_add_nc_u32_e32 v1, -8, v5
	v_and_b32_e32 v2, 1, v4
	ds_read_b32 v26, v1
	v_add_nc_u32_e32 v1, -4, v5
	ds_read_u8 v27, v1
	v_mov_b32_e32 v1, 0
	v_cmp_eq_u16_sdwa s3, v4, v1 src0_sel:BYTE_0 src1_sel:DWORD
	s_waitcnt lgkmcnt(1)
	v_cndmask_b32_e64 v1, 0, v26, s3
	v_cmp_eq_u32_e64 s3, 1, v2
	v_add_nc_u32_e32 v3, v1, v3
	s_waitcnt lgkmcnt(0)
	v_cndmask_b32_e64 v4, v27, 1, s3
.LBB1946_45:
	s_or_b32 exec_lo, exec_lo, s4
	v_sub_co_u32 v1, s3, v22, 1
	v_and_b32_e32 v2, 0xff, v4
	v_cmp_gt_i32_e64 s4, 0, v1
	v_cndmask_b32_e64 v1, v1, v22, s4
	v_lshlrev_b32_e32 v1, 2, v1
	ds_bpermute_b32 v28, v1, v3
	ds_bpermute_b32 v29, v1, v2
	s_and_saveexec_b32 s5, vcc_lo
	s_cbranch_execz .LBB1946_65
; %bb.46:
	v_mov_b32_e32 v4, 0
	ds_read_b64 v[1:2], v4 offset:56
	s_and_saveexec_b32 s4, s3
	s_cbranch_execz .LBB1946_48
; %bb.47:
	s_add_i32 s8, s13, 32
	s_mov_b32 s9, 0
	v_mov_b32_e32 v3, 1
	s_lshl_b64 s[8:9], s[8:9], 4
	s_add_u32 s8, s16, s8
	s_addc_u32 s9, s17, s9
	v_mov_b32_e32 v5, s8
	v_mov_b32_e32 v6, s9
	s_waitcnt lgkmcnt(0)
	;;#ASMSTART
	global_store_dwordx4 v[5:6], v[1:4] off	
s_waitcnt vmcnt(0)
	;;#ASMEND
.LBB1946_48:
	s_or_b32 exec_lo, exec_lo, s4
	v_xad_u32 v17, v22, -1, s13
	s_mov_b32 s8, 0
	v_add_nc_u32_e32 v3, 32, v17
	v_lshlrev_b64 v[5:6], 4, v[3:4]
	v_add_co_u32 v18, vcc_lo, s16, v5
	v_add_co_ci_u32_e64 v19, null, s17, v6, vcc_lo
	;;#ASMSTART
	global_load_dwordx4 v[5:8], v[18:19] off glc dlc	
s_waitcnt vmcnt(0)
	;;#ASMEND
	v_and_b32_e32 v6, 0xff, v6
	v_cmp_eq_u16_sdwa s9, v7, v4 src0_sel:BYTE_0 src1_sel:DWORD
	s_and_saveexec_b32 s4, s9
	s_cbranch_execz .LBB1946_52
; %bb.49:
	v_mov_b32_e32 v3, 0
.LBB1946_50:                            ; =>This Inner Loop Header: Depth=1
	;;#ASMSTART
	global_load_dwordx4 v[5:8], v[18:19] off glc dlc	
s_waitcnt vmcnt(0)
	;;#ASMEND
	v_cmp_ne_u16_sdwa s9, v7, v3 src0_sel:BYTE_0 src1_sel:DWORD
	s_or_b32 s8, s9, s8
	s_andn2_b32 exec_lo, exec_lo, s8
	s_cbranch_execnz .LBB1946_50
; %bb.51:
	s_or_b32 exec_lo, exec_lo, s8
	v_and_b32_e32 v6, 0xff, v6
.LBB1946_52:
	s_or_b32 exec_lo, exec_lo, s4
	v_cmp_ne_u32_e32 vcc_lo, 31, v22
	v_mov_b32_e32 v30, 2
	v_lshlrev_b32_e64 v31, v22, -1
	v_and_b32_e32 v8, 1, v6
	s_mov_b32 s8, 0
	v_add_co_ci_u32_e64 v3, null, 0, v22, vcc_lo
	v_cmp_eq_u16_sdwa s4, v7, v30 src0_sel:BYTE_0 src1_sel:DWORD
	v_cmp_eq_u32_e32 vcc_lo, 1, v8
	s_mov_b32 s9, 1
	v_lshlrev_b32_e32 v19, 2, v3
	v_add_nc_u32_e32 v39, 8, v22
	v_and_or_b32 v4, s4, v31, 0x80000000
	v_cmp_gt_u64_e64 s4, s[8:9], v[5:6]
	v_lshl_or_b32 v40, v22, 2, 64
	ds_bpermute_b32 v3, v19, v6
	ds_bpermute_b32 v18, v19, v5
	v_ffbl_b32_e32 v4, v4
	v_add_nc_u32_e32 v41, 16, v22
	s_waitcnt lgkmcnt(1)
	v_and_b32_e32 v3, 1, v3
	v_cndmask_b32_e64 v3, v3, 1, vcc_lo
	v_cmp_gt_u32_e32 vcc_lo, 30, v22
	v_and_b32_e32 v33, 0xffff, v3
	v_cndmask_b32_e64 v8, 0, 2, vcc_lo
	v_cmp_lt_u32_e32 vcc_lo, v22, v4
	v_add_lshl_u32 v32, v8, v22, 2
	v_cndmask_b32_e32 v8, v6, v33, vcc_lo
	v_cndmask_b32_e32 v3, v6, v3, vcc_lo
	s_and_b32 vcc_lo, vcc_lo, s4
	s_waitcnt lgkmcnt(0)
	v_cndmask_b32_e32 v6, 0, v18, vcc_lo
	ds_bpermute_b32 v33, v32, v8
	v_and_b32_e32 v18, 1, v3
	v_add_nc_u32_e32 v5, v6, v5
	v_cmp_eq_u32_e32 vcc_lo, 1, v18
	v_mov_b32_e32 v18, 0
	ds_bpermute_b32 v6, v32, v5
	v_cmp_eq_u16_sdwa s4, v3, v18 src0_sel:BYTE_0 src1_sel:DWORD
	s_waitcnt lgkmcnt(1)
	v_and_b32_e32 v34, 1, v33
	v_add_nc_u32_e32 v33, 2, v22
	v_cndmask_b32_e64 v35, v34, 1, vcc_lo
	v_cmp_gt_u32_e32 vcc_lo, 28, v22
	v_and_b32_e32 v36, 0xffff, v35
	v_cndmask_b32_e64 v34, 0, 4, vcc_lo
	v_cmp_gt_u32_e32 vcc_lo, v33, v4
	v_add_lshl_u32 v34, v34, v22, 2
	v_cndmask_b32_e32 v8, v36, v8, vcc_lo
	v_cndmask_b32_e32 v37, v35, v3, vcc_lo
	s_waitcnt lgkmcnt(0)
	v_cndmask_b32_e64 v3, 0, v6, s4
	v_add_nc_u32_e32 v35, 4, v22
	ds_bpermute_b32 v6, v34, v8
	v_and_b32_e32 v36, 1, v37
	v_cndmask_b32_e64 v3, v3, 0, vcc_lo
	v_cmp_eq_u16_sdwa s4, v37, v18 src0_sel:BYTE_0 src1_sel:DWORD
	v_cmp_eq_u32_e32 vcc_lo, 1, v36
	v_add_nc_u32_e32 v3, v3, v5
	ds_bpermute_b32 v5, v34, v3
	s_waitcnt lgkmcnt(1)
	v_and_b32_e32 v6, 1, v6
	v_cndmask_b32_e64 v6, v6, 1, vcc_lo
	v_cmp_gt_u32_e32 vcc_lo, 24, v22
	v_and_b32_e32 v38, 0xffff, v6
	v_cndmask_b32_e64 v36, 0, 8, vcc_lo
	v_cmp_gt_u32_e32 vcc_lo, v35, v4
	s_waitcnt lgkmcnt(0)
	v_cndmask_b32_e64 v5, 0, v5, s4
	v_add_lshl_u32 v36, v36, v22, 2
	v_cndmask_b32_e32 v8, v38, v8, vcc_lo
	v_cndmask_b32_e32 v6, v6, v37, vcc_lo
	v_cndmask_b32_e64 v5, v5, 0, vcc_lo
	ds_bpermute_b32 v37, v36, v8
	v_and_b32_e32 v38, 1, v6
	v_add_nc_u32_e32 v3, v5, v3
	v_cmp_eq_u32_e32 vcc_lo, 1, v38
	ds_bpermute_b32 v5, v36, v3
	s_waitcnt lgkmcnt(1)
	v_and_b32_e32 v37, 1, v37
	v_cndmask_b32_e64 v37, v37, 1, vcc_lo
	v_cmp_eq_u16_sdwa vcc_lo, v6, v18 src0_sel:BYTE_0 src1_sel:DWORD
	v_and_b32_e32 v38, 0xffff, v37
	s_waitcnt lgkmcnt(0)
	v_cndmask_b32_e32 v5, 0, v5, vcc_lo
	v_cmp_gt_u32_e32 vcc_lo, v39, v4
	v_cndmask_b32_e64 v5, v5, 0, vcc_lo
	v_cndmask_b32_e32 v8, v38, v8, vcc_lo
	v_cndmask_b32_e32 v6, v37, v6, vcc_lo
	v_add_nc_u32_e32 v3, v5, v3
	ds_bpermute_b32 v5, v40, v8
	v_and_b32_e32 v37, 1, v6
	v_cmp_eq_u16_sdwa vcc_lo, v6, v18 src0_sel:BYTE_0 src1_sel:DWORD
	ds_bpermute_b32 v8, v40, v3
	s_waitcnt lgkmcnt(1)
	v_and_b32_e32 v5, 1, v5
	s_waitcnt lgkmcnt(0)
	v_cndmask_b32_e32 v8, 0, v8, vcc_lo
	v_cmp_eq_u32_e32 vcc_lo, 1, v37
	v_cndmask_b32_e64 v5, v5, 1, vcc_lo
	v_cmp_gt_u32_e32 vcc_lo, v41, v4
	v_cndmask_b32_e32 v4, v5, v6, vcc_lo
	v_cndmask_b32_e64 v5, v8, 0, vcc_lo
	v_add_nc_u32_e32 v3, v5, v3
	s_branch .LBB1946_56
.LBB1946_53:                            ;   in Loop: Header=BB1946_56 Depth=1
	s_or_b32 exec_lo, exec_lo, s19
	v_and_b32_e32 v6, 0xff, v6
.LBB1946_54:                            ;   in Loop: Header=BB1946_56 Depth=1
	s_or_b32 exec_lo, exec_lo, s4
	ds_bpermute_b32 v3, v19, v6
	v_cmp_eq_u16_sdwa s4, v7, v30 src0_sel:BYTE_0 src1_sel:DWORD
	v_and_b32_e32 v4, 1, v6
	v_subrev_nc_u32_e32 v17, 32, v17
	v_and_or_b32 v8, s4, v31, 0x80000000
	v_cmp_eq_u32_e32 vcc_lo, 1, v4
	v_cmp_gt_u64_e64 s4, s[8:9], v[5:6]
	v_ffbl_b32_e32 v4, v8
	ds_bpermute_b32 v8, v19, v5
	s_waitcnt lgkmcnt(1)
	v_and_b32_e32 v3, 1, v3
	v_cndmask_b32_e64 v3, v3, 1, vcc_lo
	v_cmp_lt_u32_e32 vcc_lo, v22, v4
	v_and_b32_e32 v42, 0xffff, v3
	v_cndmask_b32_e32 v3, v6, v3, vcc_lo
	v_cndmask_b32_e32 v42, v6, v42, vcc_lo
	s_and_b32 vcc_lo, vcc_lo, s4
	v_cmp_eq_u16_sdwa s4, v3, v18 src0_sel:BYTE_0 src1_sel:DWORD
	s_waitcnt lgkmcnt(0)
	v_cndmask_b32_e32 v6, 0, v8, vcc_lo
	v_and_b32_e32 v8, 1, v3
	ds_bpermute_b32 v43, v32, v42
	v_add_nc_u32_e32 v5, v6, v5
	v_cmp_eq_u32_e32 vcc_lo, 1, v8
	ds_bpermute_b32 v6, v32, v5
	s_waitcnt lgkmcnt(1)
	v_and_b32_e32 v43, 1, v43
	v_cndmask_b32_e64 v8, v43, 1, vcc_lo
	v_cmp_gt_u32_e32 vcc_lo, v33, v4
	v_and_b32_e32 v43, 0xffff, v8
	v_cndmask_b32_e32 v8, v8, v3, vcc_lo
	s_waitcnt lgkmcnt(0)
	v_cndmask_b32_e64 v3, 0, v6, s4
	v_cndmask_b32_e32 v42, v43, v42, vcc_lo
	v_and_b32_e32 v43, 1, v8
	v_cndmask_b32_e64 v3, v3, 0, vcc_lo
	v_cmp_eq_u16_sdwa s4, v8, v18 src0_sel:BYTE_0 src1_sel:DWORD
	ds_bpermute_b32 v6, v34, v42
	v_cmp_eq_u32_e32 vcc_lo, 1, v43
	v_add_nc_u32_e32 v3, v3, v5
	ds_bpermute_b32 v5, v34, v3
	s_waitcnt lgkmcnt(1)
	v_and_b32_e32 v6, 1, v6
	v_cndmask_b32_e64 v6, v6, 1, vcc_lo
	v_cmp_gt_u32_e32 vcc_lo, v35, v4
	s_waitcnt lgkmcnt(0)
	v_cndmask_b32_e64 v5, 0, v5, s4
	s_mov_b32 s4, 0
	v_and_b32_e32 v43, 0xffff, v6
	v_cndmask_b32_e32 v6, v6, v8, vcc_lo
	v_cndmask_b32_e64 v5, v5, 0, vcc_lo
	v_cndmask_b32_e32 v8, v43, v42, vcc_lo
	v_and_b32_e32 v43, 1, v6
	v_add_nc_u32_e32 v3, v5, v3
	ds_bpermute_b32 v42, v36, v8
	v_cmp_eq_u32_e32 vcc_lo, 1, v43
	ds_bpermute_b32 v5, v36, v3
	s_waitcnt lgkmcnt(1)
	v_and_b32_e32 v42, 1, v42
	v_cndmask_b32_e64 v42, v42, 1, vcc_lo
	v_cmp_eq_u16_sdwa vcc_lo, v6, v18 src0_sel:BYTE_0 src1_sel:DWORD
	v_and_b32_e32 v43, 0xffff, v42
	s_waitcnt lgkmcnt(0)
	v_cndmask_b32_e32 v5, 0, v5, vcc_lo
	v_cmp_gt_u32_e32 vcc_lo, v39, v4
	v_cndmask_b32_e64 v5, v5, 0, vcc_lo
	v_cndmask_b32_e32 v8, v43, v8, vcc_lo
	v_cndmask_b32_e32 v6, v42, v6, vcc_lo
	v_add_nc_u32_e32 v3, v5, v3
	ds_bpermute_b32 v5, v40, v8
	v_and_b32_e32 v42, 1, v6
	ds_bpermute_b32 v8, v40, v3
	v_cmp_eq_u32_e32 vcc_lo, 1, v42
	s_waitcnt lgkmcnt(1)
	v_cndmask_b32_e64 v5, v5, 1, vcc_lo
	v_cmp_eq_u16_sdwa vcc_lo, v6, v18 src0_sel:BYTE_0 src1_sel:DWORD
	s_waitcnt lgkmcnt(0)
	v_cndmask_b32_e32 v8, 0, v8, vcc_lo
	v_cmp_gt_u32_e32 vcc_lo, v41, v4
	v_cndmask_b32_e32 v4, v5, v6, vcc_lo
	v_cndmask_b32_e64 v5, v8, 0, vcc_lo
	v_cmp_eq_u16_sdwa vcc_lo, v37, v18 src0_sel:BYTE_0 src1_sel:DWORD
	v_and_b32_e32 v4, 1, v4
	v_add_nc_u32_e32 v3, v5, v3
	v_and_b32_e32 v5, 1, v37
	v_cndmask_b32_e32 v3, 0, v3, vcc_lo
	v_cmp_eq_u32_e32 vcc_lo, 1, v5
	v_add_nc_u32_e32 v3, v3, v38
	v_cndmask_b32_e64 v4, v4, 1, vcc_lo
.LBB1946_55:                            ;   in Loop: Header=BB1946_56 Depth=1
	s_and_b32 vcc_lo, exec_lo, s4
	s_cbranch_vccnz .LBB1946_61
.LBB1946_56:                            ; =>This Loop Header: Depth=1
                                        ;     Child Loop BB1946_59 Depth 2
	v_cmp_ne_u16_sdwa s4, v7, v30 src0_sel:BYTE_0 src1_sel:DWORD
	v_mov_b32_e32 v37, v4
	v_mov_b32_e32 v38, v3
                                        ; implicit-def: $vgpr4
                                        ; implicit-def: $vgpr3
                                        ; implicit-def: $vgpr7
	s_cmp_lg_u32 s4, exec_lo
	s_mov_b32 s4, -1
	s_cbranch_scc1 .LBB1946_55
; %bb.57:                               ;   in Loop: Header=BB1946_56 Depth=1
	v_lshlrev_b64 v[3:4], 4, v[17:18]
	v_add_co_u32 v3, vcc_lo, s16, v3
	v_add_co_ci_u32_e64 v4, null, s17, v4, vcc_lo
	;;#ASMSTART
	global_load_dwordx4 v[5:8], v[3:4] off glc dlc	
s_waitcnt vmcnt(0)
	;;#ASMEND
	v_and_b32_e32 v6, 0xff, v6
	v_cmp_eq_u16_sdwa s19, v7, v18 src0_sel:BYTE_0 src1_sel:DWORD
	s_and_saveexec_b32 s4, s19
	s_cbranch_execz .LBB1946_54
; %bb.58:                               ;   in Loop: Header=BB1946_56 Depth=1
	s_mov_b32 s19, 0
.LBB1946_59:                            ;   Parent Loop BB1946_56 Depth=1
                                        ; =>  This Inner Loop Header: Depth=2
	;;#ASMSTART
	global_load_dwordx4 v[5:8], v[3:4] off glc dlc	
s_waitcnt vmcnt(0)
	;;#ASMEND
	v_cmp_ne_u16_sdwa s23, v7, v18 src0_sel:BYTE_0 src1_sel:DWORD
	s_or_b32 s19, s23, s19
	s_andn2_b32 exec_lo, exec_lo, s19
	s_cbranch_execnz .LBB1946_59
	s_branch .LBB1946_53
.LBB1946_60:
                                        ; implicit-def: $vgpr6
                                        ; implicit-def: $vgpr5
                                        ; implicit-def: $vgpr7
	s_cbranch_execnz .LBB1946_66
	s_branch .LBB1946_81
.LBB1946_61:
	s_and_saveexec_b32 s4, s3
	s_cbranch_execz .LBB1946_63
; %bb.62:
	v_mov_b32_e32 v4, 0
	v_and_b32_e32 v3, 1, v2
	s_mov_b32 s9, 0
	s_add_i32 s8, s13, 32
	v_and_b32_e32 v5, 1, v37
	v_cmp_eq_u32_sdwa vcc_lo, v2, v4 src0_sel:BYTE_0 src1_sel:DWORD
	s_lshl_b64 s[8:9], s[8:9], 4
	s_add_u32 s8, s16, s8
	s_addc_u32 s9, s17, s9
	v_cndmask_b32_e32 v2, 0, v38, vcc_lo
	v_cmp_eq_u32_e32 vcc_lo, 1, v3
	v_mov_b32_e32 v3, 2
	v_add_nc_u32_e32 v1, v2, v1
	v_cndmask_b32_e64 v2, v5, 1, vcc_lo
	v_mov_b32_e32 v5, s8
	v_mov_b32_e32 v6, s9
	;;#ASMSTART
	global_store_dwordx4 v[5:6], v[1:4] off	
s_waitcnt vmcnt(0)
	;;#ASMEND
.LBB1946_63:
	s_or_b32 exec_lo, exec_lo, s4
	s_and_b32 exec_lo, exec_lo, s0
	s_cbranch_execz .LBB1946_65
; %bb.64:
	v_mov_b32_e32 v1, 0
	ds_write_b32 v1, v38 offset:56
	ds_write_b8 v1, v37 offset:60
.LBB1946_65:
	s_or_b32 exec_lo, exec_lo, s5
	v_mov_b32_e32 v1, 0
	s_waitcnt lgkmcnt(0)
	s_barrier
	buffer_gl0_inv
	v_cndmask_b32_e64 v2, v29, v27, s3
	ds_read_b32 v3, v1 offset:56
	v_cndmask_b32_e64 v4, v28, v26, s3
	v_cmp_eq_u16_sdwa vcc_lo, v2, v1 src0_sel:BYTE_0 src1_sel:DWORD
	s_waitcnt lgkmcnt(0)
	v_cndmask_b32_e32 v2, 0, v3, vcc_lo
	v_add_nc_u32_e32 v4, v2, v4
	v_and_b32_e32 v2, 0xff, v12
	v_cndmask_b32_e64 v6, v4, v3, s0
	v_cmp_eq_u64_e32 vcc_lo, 0, v[1:2]
	v_cndmask_b32_e32 v1, 0, v6, vcc_lo
	v_add_nc_u32_e32 v5, v1, v11
	v_cndmask_b32_e64 v1, 0, v5, s2
	v_add_nc_u32_e32 v7, v1, v13
	s_branch .LBB1946_81
.LBB1946_66:
	s_cmp_eq_u64 s[20:21], 0
	v_mov_b32_e32 v3, s22
	s_cselect_b32 s2, -1, 0
	s_cmp_eq_u64 s[6:7], 0
	s_cselect_b32 s3, -1, 0
	s_or_b32 s2, s2, s3
	s_and_b32 vcc_lo, exec_lo, s2
	s_cbranch_vccnz .LBB1946_68
; %bb.67:
	v_mov_b32_e32 v1, 0
	global_load_dword v3, v1, s[6:7]
.LBB1946_68:
	v_and_b32_e32 v2, 0xff, v25
	v_mov_b32_e32 v1, 0
	s_mov_b32 s4, 0
	s_mov_b32 s5, 1
	v_cmp_gt_u64_e32 vcc_lo, s[4:5], v[13:14]
	v_cmp_eq_u64_e64 s2, 0, v[1:2]
	v_cndmask_b32_e32 v4, 0, v11, vcc_lo
	v_cndmask_b32_e64 v2, 1, v12, s2
	v_cmp_gt_u64_e64 s2, s[4:5], v[15:16]
	v_add_nc_u32_e32 v4, v4, v13
	v_and_b32_e32 v5, 0xff, v2
	v_and_b32_e32 v7, 1, v2
	v_cndmask_b32_e64 v4, 0, v4, s2
	v_mov_b32_dpp v6, v5 row_shr:1 row_mask:0xf bank_mask:0xf
	v_cmp_eq_u32_e64 s2, 1, v7
	v_and_b32_e32 v7, 15, v22
	v_add_nc_u32_e32 v4, v4, v15
	v_and_b32_e32 v6, 1, v6
	v_mov_b32_dpp v8, v4 row_shr:1 row_mask:0xf bank_mask:0xf
	v_cndmask_b32_e64 v6, v6, 1, s2
	v_cmp_eq_u16_e64 s2, 0, v5
	v_and_b32_e32 v14, 0xffff, v6
	v_cndmask_b32_e64 v8, 0, v8, s2
	v_cmp_eq_u32_e64 s2, 0, v7
	v_cndmask_b32_e64 v5, v14, v5, s2
	v_cndmask_b32_e64 v2, v6, v2, s2
	;; [unrolled: 1-line block ×3, first 2 shown]
	v_mov_b32_dpp v6, v5 row_shr:2 row_mask:0xf bank_mask:0xf
	v_and_b32_e32 v14, 1, v2
	v_add_nc_u32_e32 v4, v8, v4
	v_cmp_eq_u16_sdwa s4, v2, v1 src0_sel:BYTE_0 src1_sel:DWORD
	v_and_b32_e32 v6, 1, v6
	v_cmp_eq_u32_e64 s2, 1, v14
	v_cndmask_b32_e64 v6, v6, 1, s2
	v_cmp_lt_u32_e64 s2, 1, v7
	v_and_b32_e32 v14, 0xffff, v6
	v_cndmask_b32_e64 v6, v2, v6, s2
	v_mov_b32_dpp v2, v4 row_shr:2 row_mask:0xf bank_mask:0xf
	v_cndmask_b32_e64 v5, v5, v14, s2
	v_and_b32_e32 v8, 1, v6
	s_and_b32 s2, s2, s4
	v_cndmask_b32_e64 v2, 0, v2, s2
	v_mov_b32_dpp v14, v5 row_shr:4 row_mask:0xf bank_mask:0xf
	v_cmp_eq_u32_e64 s3, 1, v8
	v_cmp_lt_u32_e64 s2, 3, v7
	v_add_nc_u32_e32 v2, v2, v4
	v_and_b32_e32 v14, 1, v14
	v_cndmask_b32_e64 v8, v14, 1, s3
	v_cmp_eq_u16_sdwa s3, v6, v1 src0_sel:BYTE_0 src1_sel:DWORD
	v_and_b32_e32 v14, 0xffff, v8
	v_cndmask_b32_e64 v4, v6, v8, s2
	v_mov_b32_dpp v6, v2 row_shr:4 row_mask:0xf bank_mask:0xf
	v_cndmask_b32_e64 v5, v5, v14, s2
	s_and_b32 s2, s2, s3
	v_and_b32_e32 v14, 1, v4
	v_cndmask_b32_e64 v6, 0, v6, s2
	v_cmp_eq_u16_sdwa s3, v4, v1 src0_sel:BYTE_0 src1_sel:DWORD
	v_mov_b32_dpp v8, v5 row_shr:8 row_mask:0xf bank_mask:0xf
	v_cmp_eq_u32_e64 s2, 1, v14
	v_add_nc_u32_e32 v2, v6, v2
	v_and_b32_e32 v8, 1, v8
	v_cndmask_b32_e64 v6, v8, 1, s2
	v_cmp_lt_u32_e64 s2, 7, v7
	v_mov_b32_dpp v7, v2 row_shr:8 row_mask:0xf bank_mask:0xf
	s_and_b32 s3, s2, s3
	v_cndmask_b32_e64 v8, v4, v6, s2
	v_cndmask_b32_e64 v4, 0, v7, s3
	v_and_b32_e32 v6, 0xffff, v6
	v_and_b32_e32 v7, 16, v22
	v_add_nc_u32_e32 v2, v4, v2
	v_cndmask_b32_e64 v4, v5, v6, s2
	v_cmp_eq_u16_sdwa s2, v8, v1 src0_sel:BYTE_0 src1_sel:DWORD
	v_bfe_i32 v6, v22, 4, 1
	v_cmp_eq_u32_e64 s3, 0, v7
	ds_swizzle_b32 v5, v2 offset:swizzle(BROADCAST,32,15)
	ds_swizzle_b32 v4, v4 offset:swizzle(BROADCAST,32,15)
	s_waitcnt lgkmcnt(1)
	v_cndmask_b32_e64 v1, 0, v5, s2
	v_and_b32_e32 v5, 1, v8
	s_waitcnt lgkmcnt(0)
	v_and_b32_e32 v4, 1, v4
	v_and_b32_e32 v1, v6, v1
	v_cmp_eq_u32_e64 s2, 1, v5
	v_lshlrev_b32_e32 v6, 3, v23
	v_cndmask_b32_e64 v5, v4, 1, s2
	v_add_nc_u32_e32 v4, v1, v2
	v_cndmask_b32_e64 v5, v5, v8, s3
	s_mov_b32 s3, exec_lo
	v_cmpx_eq_u32_e64 v0, v24
	s_cbranch_execz .LBB1946_70
; %bb.69:
	ds_write_b32 v6, v4
	ds_write_b8 v6, v5 offset:4
.LBB1946_70:
	s_or_b32 exec_lo, exec_lo, s3
	s_mov_b32 s3, exec_lo
	s_waitcnt vmcnt(0) lgkmcnt(0)
	s_barrier
	buffer_gl0_inv
	v_cmpx_gt_u32_e32 8, v0
	s_cbranch_execz .LBB1946_76
; %bb.71:
	ds_read_b64 v[1:2], v20
	v_and_b32_e32 v7, 7, v22
	s_mov_b32 s4, exec_lo
	s_waitcnt lgkmcnt(0)
	v_and_b32_e32 v8, 0xffffff00, v2
	v_mov_b32_dpp v15, v1 row_shr:1 row_mask:0xf bank_mask:0xf
	v_mov_b32_dpp v16, v2 row_shr:1 row_mask:0xf bank_mask:0xf
	v_mov_b32_e32 v14, v2
	v_cmpx_ne_u32_e32 0, v7
	s_cbranch_execz .LBB1946_73
; %bb.72:
	v_mov_b32_e32 v14, 0
	v_and_b32_e32 v17, 1, v2
	v_and_b32_e32 v16, 1, v16
	v_cmp_eq_u16_sdwa s2, v2, v14 src0_sel:BYTE_0 src1_sel:DWORD
	v_cndmask_b32_e64 v2, 0, v15, s2
	v_cmp_eq_u32_e64 s2, 1, v17
	v_add_nc_u32_e32 v1, v2, v1
	v_cndmask_b32_e64 v15, v16, 1, s2
	v_or_b32_sdwa v14, v8, v15 dst_sel:DWORD dst_unused:UNUSED_PAD src0_sel:DWORD src1_sel:WORD_0
	v_mov_b32_e32 v2, v15
.LBB1946_73:
	s_or_b32 exec_lo, exec_lo, s4
	v_mov_b32_dpp v15, v1 row_shr:2 row_mask:0xf bank_mask:0xf
	v_mov_b32_dpp v16, v14 row_shr:2 row_mask:0xf bank_mask:0xf
	s_mov_b32 s4, exec_lo
	v_cmpx_lt_u32_e32 1, v7
	s_cbranch_execz .LBB1946_75
; %bb.74:
	v_mov_b32_e32 v14, 0
	v_and_b32_e32 v17, 1, v2
	v_and_b32_e32 v16, 1, v16
	v_cmp_eq_u16_sdwa s2, v2, v14 src0_sel:BYTE_0 src1_sel:DWORD
	v_cndmask_b32_e64 v2, 0, v15, s2
	v_cmp_eq_u32_e64 s2, 1, v17
	v_add_nc_u32_e32 v1, v2, v1
	v_cndmask_b32_e64 v15, v16, 1, s2
	v_or_b32_sdwa v14, v8, v15 dst_sel:DWORD dst_unused:UNUSED_PAD src0_sel:DWORD src1_sel:WORD_0
	v_mov_b32_e32 v2, v15
.LBB1946_75:
	s_or_b32 exec_lo, exec_lo, s4
	v_mov_b32_dpp v8, v14 row_shr:4 row_mask:0xf bank_mask:0xf
	v_and_b32_e32 v15, 1, v2
	v_mov_b32_e32 v14, 0
	v_and_b32_e32 v8, 1, v8
	v_cmp_eq_u32_e64 s2, 1, v15
	v_cmp_eq_u16_sdwa s4, v2, v14 src0_sel:BYTE_0 src1_sel:DWORD
	v_cndmask_b32_e64 v8, v8, 1, s2
	v_cmp_lt_u32_e64 s2, 3, v7
	v_mov_b32_dpp v7, v1 row_shr:4 row_mask:0xf bank_mask:0xf
	v_cndmask_b32_e64 v2, v2, v8, s2
	s_and_b32 s2, s2, s4
	v_cndmask_b32_e64 v7, 0, v7, s2
	v_add_nc_u32_e32 v1, v7, v1
	ds_write_b32 v20, v1
	ds_write_b8 v20, v2 offset:4
.LBB1946_76:
	s_or_b32 exec_lo, exec_lo, s3
	v_mov_b32_e32 v2, v3
	s_mov_b32 s3, exec_lo
	s_waitcnt lgkmcnt(0)
	s_barrier
	buffer_gl0_inv
	v_cmpx_lt_u32_e32 31, v0
	s_cbranch_execz .LBB1946_78
; %bb.77:
	v_add_nc_u32_e32 v1, -4, v6
	v_add_nc_u32_e32 v2, -8, v6
	ds_read_u8 v1, v1
	ds_read_b32 v2, v2
	s_waitcnt lgkmcnt(1)
	v_cmp_eq_u16_e64 s2, 0, v1
	v_cndmask_b32_e64 v1, 0, v3, s2
	s_waitcnt lgkmcnt(0)
	v_add_nc_u32_e32 v2, v1, v2
.LBB1946_78:
	s_or_b32 exec_lo, exec_lo, s3
	v_mov_b32_e32 v1, 0
	v_sub_co_u32 v6, s2, v22, 1
	v_cmp_eq_u16_sdwa s3, v5, v1 src0_sel:BYTE_0 src1_sel:DWORD
	v_cndmask_b32_e64 v5, 0, v2, s3
	v_cmp_gt_i32_e64 s3, 0, v6
	v_add_nc_u32_e32 v4, v5, v4
	v_cndmask_b32_e64 v6, v6, v22, s3
	v_lshlrev_b32_e32 v5, 2, v6
	ds_bpermute_b32 v4, v5, v4
	s_waitcnt lgkmcnt(0)
	v_cndmask_b32_e64 v6, v4, v2, s2
	v_and_b32_e32 v2, 0xff, v12
	v_cndmask_b32_e64 v4, v6, v3, s0
	v_cmp_eq_u64_e64 s2, 0, v[1:2]
	v_cndmask_b32_e64 v2, 0, v4, s2
	v_add_nc_u32_e32 v5, v2, v11
	v_cndmask_b32_e32 v2, 0, v5, vcc_lo
	s_and_saveexec_b32 s2, s0
	s_cbranch_execz .LBB1946_80
; %bb.79:
	ds_read_u8 v4, v1 offset:60
	ds_read_b32 v6, v1 offset:56
	v_mov_b32_e32 v16, v1
	s_add_u32 s4, s16, 0x200
	s_addc_u32 s5, s17, 0
	v_mov_b32_e32 v17, v1
	v_mov_b32_e32 v8, s5
	;; [unrolled: 1-line block ×3, first 2 shown]
	s_waitcnt lgkmcnt(1)
	v_and_b32_e32 v15, 0xffff, v4
	v_cmp_eq_u64_e32 vcc_lo, 0, v[15:16]
	v_mov_b32_e32 v16, 2
	v_cndmask_b32_e32 v4, 0, v3, vcc_lo
	s_waitcnt lgkmcnt(0)
	v_add_nc_u32_e32 v14, v4, v6
	v_mov_b32_e32 v6, v3
	;;#ASMSTART
	global_store_dwordx4 v[7:8], v[14:17] off	
s_waitcnt vmcnt(0)
	;;#ASMEND
.LBB1946_80:
	s_or_b32 exec_lo, exec_lo, s2
	v_add_nc_u32_e32 v7, v2, v13
.LBB1946_81:
	s_add_u32 s0, s14, s10
	s_addc_u32 s2, s15, s11
	v_add_co_u32 v8, vcc_lo, s0, v9
	v_add_co_ci_u32_e64 v9, null, s2, v10, vcc_lo
	s_and_b32 vcc_lo, exec_lo, s1
	s_cbranch_vccz .LBB1946_87
; %bb.82:
	v_mul_u32_u24_e32 v1, 3, v0
	s_add_i32 s12, s12, s18
	s_barrier
	buffer_gl0_inv
	v_add_nc_u32_e32 v2, 1, v1
	v_add_nc_u32_e32 v3, 2, v1
	v_cmp_gt_u32_e32 vcc_lo, s12, v1
	v_lshlrev_b32_e32 v10, 2, v1
	v_cmp_gt_u32_e64 s0, s12, v2
	v_cmp_gt_u32_e64 s1, s12, v3
	v_cndmask_b32_e32 v2, 0, v6, vcc_lo
	v_sub_nc_u32_e32 v4, v10, v20
	s_and_b32 vcc_lo, vcc_lo, s0
	s_mov_b32 s0, exec_lo
	v_cndmask_b32_e32 v1, 0, v5, vcc_lo
	s_and_b32 vcc_lo, vcc_lo, s1
	v_cndmask_b32_e32 v3, 0, v7, vcc_lo
	ds_write2_b32 v10, v2, v1 offset1:1
	ds_write_b32 v10, v3 offset:8
	s_waitcnt lgkmcnt(0)
	s_barrier
	buffer_gl0_inv
	ds_read2st64_b32 v[1:2], v4 offset0:4 offset1:8
	v_add_co_u32 v3, vcc_lo, v8, v21
	v_add_co_ci_u32_e64 v4, null, 0, v9, vcc_lo
	v_cmpx_gt_u32_e64 s12, v0
	s_cbranch_execz .LBB1946_84
; %bb.83:
	v_sub_nc_u32_e32 v11, 0, v20
	v_add_nc_u32_e32 v10, v10, v11
	ds_read_b32 v10, v10
	s_waitcnt lgkmcnt(0)
	flat_store_dword v[3:4], v10
.LBB1946_84:
	s_or_b32 exec_lo, exec_lo, s0
	v_or_b32_e32 v10, 0x100, v0
	s_mov_b32 s0, exec_lo
	v_cmpx_gt_u32_e64 s12, v10
	s_cbranch_execz .LBB1946_86
; %bb.85:
	s_waitcnt lgkmcnt(0)
	flat_store_dword v[3:4], v1 offset:1024
.LBB1946_86:
	s_or_b32 exec_lo, exec_lo, s0
	s_waitcnt lgkmcnt(0)
	v_or_b32_e32 v1, 0x200, v0
	v_cmp_gt_u32_e64 s0, s12, v1
	s_branch .LBB1946_89
.LBB1946_87:
	s_mov_b32 s0, 0
                                        ; implicit-def: $vgpr2
	s_cbranch_execz .LBB1946_89
; %bb.88:
	v_mul_u32_u24_e32 v1, 12, v0
	s_waitcnt_vscnt null, 0x0
	s_barrier
	buffer_gl0_inv
	s_or_b32 s0, s0, exec_lo
	v_sub_nc_u32_e32 v2, v1, v20
	ds_write2_b32 v1, v6, v5 offset1:1
	ds_write_b32 v1, v7 offset:8
	s_waitcnt lgkmcnt(0)
	s_barrier
	buffer_gl0_inv
	ds_read2st64_b32 v[3:4], v2 offset1:4
	ds_read_b32 v2, v2 offset:2048
	v_lshlrev_b32_e32 v1, 2, v0
	v_add_co_u32 v5, vcc_lo, v8, v1
	v_add_co_ci_u32_e64 v6, null, 0, v9, vcc_lo
	s_waitcnt lgkmcnt(1)
	flat_store_dword v[5:6], v3
	flat_store_dword v[5:6], v4 offset:1024
.LBB1946_89:
	s_and_saveexec_b32 s1, s0
	s_cbranch_execnz .LBB1946_91
; %bb.90:
	s_endpgm
.LBB1946_91:
	v_lshlrev_b32_e32 v0, 2, v0
	v_add_co_u32 v0, vcc_lo, v8, v0
	v_add_co_ci_u32_e64 v1, null, 0, v9, vcc_lo
	v_add_co_u32 v0, vcc_lo, 0x800, v0
	v_add_co_ci_u32_e64 v1, null, 0, v1, vcc_lo
	s_waitcnt lgkmcnt(2)
	flat_store_dword v[0:1], v2
	s_endpgm
	.section	.rodata,"a",@progbits
	.p2align	6, 0x0
	.amdhsa_kernel _ZN7rocprim17ROCPRIM_400000_NS6detail17trampoline_kernelINS0_14default_configENS1_27scan_by_key_config_selectorIj11FixedVectorIiLj1EEEEZZNS1_16scan_by_key_implILNS1_25lookback_scan_determinismE0ELb1ES3_N6thrust23THRUST_200600_302600_NS6detail15normal_iteratorINSB_10device_ptrIjEEEENSD_INSE_IS6_EEEESI_S6_NSB_4plusIvEENSB_8equal_toIvEES6_EE10hipError_tPvRmT2_T3_T4_T5_mT6_T7_P12ihipStream_tbENKUlT_T0_E_clISt17integral_constantIbLb0EES12_IbLb1EEEEDaSY_SZ_EUlSY_E_NS1_11comp_targetILNS1_3genE8ELNS1_11target_archE1030ELNS1_3gpuE2ELNS1_3repE0EEENS1_30default_config_static_selectorELNS0_4arch9wavefront6targetE0EEEvT1_
		.amdhsa_group_segment_fixed_size 5120
		.amdhsa_private_segment_fixed_size 0
		.amdhsa_kernarg_size 112
		.amdhsa_user_sgpr_count 6
		.amdhsa_user_sgpr_private_segment_buffer 1
		.amdhsa_user_sgpr_dispatch_ptr 0
		.amdhsa_user_sgpr_queue_ptr 0
		.amdhsa_user_sgpr_kernarg_segment_ptr 1
		.amdhsa_user_sgpr_dispatch_id 0
		.amdhsa_user_sgpr_flat_scratch_init 0
		.amdhsa_user_sgpr_private_segment_size 0
		.amdhsa_wavefront_size32 1
		.amdhsa_uses_dynamic_stack 0
		.amdhsa_system_sgpr_private_segment_wavefront_offset 0
		.amdhsa_system_sgpr_workgroup_id_x 1
		.amdhsa_system_sgpr_workgroup_id_y 0
		.amdhsa_system_sgpr_workgroup_id_z 0
		.amdhsa_system_sgpr_workgroup_info 0
		.amdhsa_system_vgpr_workitem_id 0
		.amdhsa_next_free_vgpr 44
		.amdhsa_next_free_sgpr 24
		.amdhsa_reserve_vcc 1
		.amdhsa_reserve_flat_scratch 1
		.amdhsa_float_round_mode_32 0
		.amdhsa_float_round_mode_16_64 0
		.amdhsa_float_denorm_mode_32 3
		.amdhsa_float_denorm_mode_16_64 3
		.amdhsa_dx10_clamp 1
		.amdhsa_ieee_mode 1
		.amdhsa_fp16_overflow 0
		.amdhsa_workgroup_processor_mode 1
		.amdhsa_memory_ordered 1
		.amdhsa_forward_progress 1
		.amdhsa_shared_vgpr_count 0
		.amdhsa_exception_fp_ieee_invalid_op 0
		.amdhsa_exception_fp_denorm_src 0
		.amdhsa_exception_fp_ieee_div_zero 0
		.amdhsa_exception_fp_ieee_overflow 0
		.amdhsa_exception_fp_ieee_underflow 0
		.amdhsa_exception_fp_ieee_inexact 0
		.amdhsa_exception_int_div_zero 0
	.end_amdhsa_kernel
	.section	.text._ZN7rocprim17ROCPRIM_400000_NS6detail17trampoline_kernelINS0_14default_configENS1_27scan_by_key_config_selectorIj11FixedVectorIiLj1EEEEZZNS1_16scan_by_key_implILNS1_25lookback_scan_determinismE0ELb1ES3_N6thrust23THRUST_200600_302600_NS6detail15normal_iteratorINSB_10device_ptrIjEEEENSD_INSE_IS6_EEEESI_S6_NSB_4plusIvEENSB_8equal_toIvEES6_EE10hipError_tPvRmT2_T3_T4_T5_mT6_T7_P12ihipStream_tbENKUlT_T0_E_clISt17integral_constantIbLb0EES12_IbLb1EEEEDaSY_SZ_EUlSY_E_NS1_11comp_targetILNS1_3genE8ELNS1_11target_archE1030ELNS1_3gpuE2ELNS1_3repE0EEENS1_30default_config_static_selectorELNS0_4arch9wavefront6targetE0EEEvT1_,"axG",@progbits,_ZN7rocprim17ROCPRIM_400000_NS6detail17trampoline_kernelINS0_14default_configENS1_27scan_by_key_config_selectorIj11FixedVectorIiLj1EEEEZZNS1_16scan_by_key_implILNS1_25lookback_scan_determinismE0ELb1ES3_N6thrust23THRUST_200600_302600_NS6detail15normal_iteratorINSB_10device_ptrIjEEEENSD_INSE_IS6_EEEESI_S6_NSB_4plusIvEENSB_8equal_toIvEES6_EE10hipError_tPvRmT2_T3_T4_T5_mT6_T7_P12ihipStream_tbENKUlT_T0_E_clISt17integral_constantIbLb0EES12_IbLb1EEEEDaSY_SZ_EUlSY_E_NS1_11comp_targetILNS1_3genE8ELNS1_11target_archE1030ELNS1_3gpuE2ELNS1_3repE0EEENS1_30default_config_static_selectorELNS0_4arch9wavefront6targetE0EEEvT1_,comdat
.Lfunc_end1946:
	.size	_ZN7rocprim17ROCPRIM_400000_NS6detail17trampoline_kernelINS0_14default_configENS1_27scan_by_key_config_selectorIj11FixedVectorIiLj1EEEEZZNS1_16scan_by_key_implILNS1_25lookback_scan_determinismE0ELb1ES3_N6thrust23THRUST_200600_302600_NS6detail15normal_iteratorINSB_10device_ptrIjEEEENSD_INSE_IS6_EEEESI_S6_NSB_4plusIvEENSB_8equal_toIvEES6_EE10hipError_tPvRmT2_T3_T4_T5_mT6_T7_P12ihipStream_tbENKUlT_T0_E_clISt17integral_constantIbLb0EES12_IbLb1EEEEDaSY_SZ_EUlSY_E_NS1_11comp_targetILNS1_3genE8ELNS1_11target_archE1030ELNS1_3gpuE2ELNS1_3repE0EEENS1_30default_config_static_selectorELNS0_4arch9wavefront6targetE0EEEvT1_, .Lfunc_end1946-_ZN7rocprim17ROCPRIM_400000_NS6detail17trampoline_kernelINS0_14default_configENS1_27scan_by_key_config_selectorIj11FixedVectorIiLj1EEEEZZNS1_16scan_by_key_implILNS1_25lookback_scan_determinismE0ELb1ES3_N6thrust23THRUST_200600_302600_NS6detail15normal_iteratorINSB_10device_ptrIjEEEENSD_INSE_IS6_EEEESI_S6_NSB_4plusIvEENSB_8equal_toIvEES6_EE10hipError_tPvRmT2_T3_T4_T5_mT6_T7_P12ihipStream_tbENKUlT_T0_E_clISt17integral_constantIbLb0EES12_IbLb1EEEEDaSY_SZ_EUlSY_E_NS1_11comp_targetILNS1_3genE8ELNS1_11target_archE1030ELNS1_3gpuE2ELNS1_3repE0EEENS1_30default_config_static_selectorELNS0_4arch9wavefront6targetE0EEEvT1_
                                        ; -- End function
	.set _ZN7rocprim17ROCPRIM_400000_NS6detail17trampoline_kernelINS0_14default_configENS1_27scan_by_key_config_selectorIj11FixedVectorIiLj1EEEEZZNS1_16scan_by_key_implILNS1_25lookback_scan_determinismE0ELb1ES3_N6thrust23THRUST_200600_302600_NS6detail15normal_iteratorINSB_10device_ptrIjEEEENSD_INSE_IS6_EEEESI_S6_NSB_4plusIvEENSB_8equal_toIvEES6_EE10hipError_tPvRmT2_T3_T4_T5_mT6_T7_P12ihipStream_tbENKUlT_T0_E_clISt17integral_constantIbLb0EES12_IbLb1EEEEDaSY_SZ_EUlSY_E_NS1_11comp_targetILNS1_3genE8ELNS1_11target_archE1030ELNS1_3gpuE2ELNS1_3repE0EEENS1_30default_config_static_selectorELNS0_4arch9wavefront6targetE0EEEvT1_.num_vgpr, 44
	.set _ZN7rocprim17ROCPRIM_400000_NS6detail17trampoline_kernelINS0_14default_configENS1_27scan_by_key_config_selectorIj11FixedVectorIiLj1EEEEZZNS1_16scan_by_key_implILNS1_25lookback_scan_determinismE0ELb1ES3_N6thrust23THRUST_200600_302600_NS6detail15normal_iteratorINSB_10device_ptrIjEEEENSD_INSE_IS6_EEEESI_S6_NSB_4plusIvEENSB_8equal_toIvEES6_EE10hipError_tPvRmT2_T3_T4_T5_mT6_T7_P12ihipStream_tbENKUlT_T0_E_clISt17integral_constantIbLb0EES12_IbLb1EEEEDaSY_SZ_EUlSY_E_NS1_11comp_targetILNS1_3genE8ELNS1_11target_archE1030ELNS1_3gpuE2ELNS1_3repE0EEENS1_30default_config_static_selectorELNS0_4arch9wavefront6targetE0EEEvT1_.num_agpr, 0
	.set _ZN7rocprim17ROCPRIM_400000_NS6detail17trampoline_kernelINS0_14default_configENS1_27scan_by_key_config_selectorIj11FixedVectorIiLj1EEEEZZNS1_16scan_by_key_implILNS1_25lookback_scan_determinismE0ELb1ES3_N6thrust23THRUST_200600_302600_NS6detail15normal_iteratorINSB_10device_ptrIjEEEENSD_INSE_IS6_EEEESI_S6_NSB_4plusIvEENSB_8equal_toIvEES6_EE10hipError_tPvRmT2_T3_T4_T5_mT6_T7_P12ihipStream_tbENKUlT_T0_E_clISt17integral_constantIbLb0EES12_IbLb1EEEEDaSY_SZ_EUlSY_E_NS1_11comp_targetILNS1_3genE8ELNS1_11target_archE1030ELNS1_3gpuE2ELNS1_3repE0EEENS1_30default_config_static_selectorELNS0_4arch9wavefront6targetE0EEEvT1_.numbered_sgpr, 24
	.set _ZN7rocprim17ROCPRIM_400000_NS6detail17trampoline_kernelINS0_14default_configENS1_27scan_by_key_config_selectorIj11FixedVectorIiLj1EEEEZZNS1_16scan_by_key_implILNS1_25lookback_scan_determinismE0ELb1ES3_N6thrust23THRUST_200600_302600_NS6detail15normal_iteratorINSB_10device_ptrIjEEEENSD_INSE_IS6_EEEESI_S6_NSB_4plusIvEENSB_8equal_toIvEES6_EE10hipError_tPvRmT2_T3_T4_T5_mT6_T7_P12ihipStream_tbENKUlT_T0_E_clISt17integral_constantIbLb0EES12_IbLb1EEEEDaSY_SZ_EUlSY_E_NS1_11comp_targetILNS1_3genE8ELNS1_11target_archE1030ELNS1_3gpuE2ELNS1_3repE0EEENS1_30default_config_static_selectorELNS0_4arch9wavefront6targetE0EEEvT1_.num_named_barrier, 0
	.set _ZN7rocprim17ROCPRIM_400000_NS6detail17trampoline_kernelINS0_14default_configENS1_27scan_by_key_config_selectorIj11FixedVectorIiLj1EEEEZZNS1_16scan_by_key_implILNS1_25lookback_scan_determinismE0ELb1ES3_N6thrust23THRUST_200600_302600_NS6detail15normal_iteratorINSB_10device_ptrIjEEEENSD_INSE_IS6_EEEESI_S6_NSB_4plusIvEENSB_8equal_toIvEES6_EE10hipError_tPvRmT2_T3_T4_T5_mT6_T7_P12ihipStream_tbENKUlT_T0_E_clISt17integral_constantIbLb0EES12_IbLb1EEEEDaSY_SZ_EUlSY_E_NS1_11comp_targetILNS1_3genE8ELNS1_11target_archE1030ELNS1_3gpuE2ELNS1_3repE0EEENS1_30default_config_static_selectorELNS0_4arch9wavefront6targetE0EEEvT1_.private_seg_size, 0
	.set _ZN7rocprim17ROCPRIM_400000_NS6detail17trampoline_kernelINS0_14default_configENS1_27scan_by_key_config_selectorIj11FixedVectorIiLj1EEEEZZNS1_16scan_by_key_implILNS1_25lookback_scan_determinismE0ELb1ES3_N6thrust23THRUST_200600_302600_NS6detail15normal_iteratorINSB_10device_ptrIjEEEENSD_INSE_IS6_EEEESI_S6_NSB_4plusIvEENSB_8equal_toIvEES6_EE10hipError_tPvRmT2_T3_T4_T5_mT6_T7_P12ihipStream_tbENKUlT_T0_E_clISt17integral_constantIbLb0EES12_IbLb1EEEEDaSY_SZ_EUlSY_E_NS1_11comp_targetILNS1_3genE8ELNS1_11target_archE1030ELNS1_3gpuE2ELNS1_3repE0EEENS1_30default_config_static_selectorELNS0_4arch9wavefront6targetE0EEEvT1_.uses_vcc, 1
	.set _ZN7rocprim17ROCPRIM_400000_NS6detail17trampoline_kernelINS0_14default_configENS1_27scan_by_key_config_selectorIj11FixedVectorIiLj1EEEEZZNS1_16scan_by_key_implILNS1_25lookback_scan_determinismE0ELb1ES3_N6thrust23THRUST_200600_302600_NS6detail15normal_iteratorINSB_10device_ptrIjEEEENSD_INSE_IS6_EEEESI_S6_NSB_4plusIvEENSB_8equal_toIvEES6_EE10hipError_tPvRmT2_T3_T4_T5_mT6_T7_P12ihipStream_tbENKUlT_T0_E_clISt17integral_constantIbLb0EES12_IbLb1EEEEDaSY_SZ_EUlSY_E_NS1_11comp_targetILNS1_3genE8ELNS1_11target_archE1030ELNS1_3gpuE2ELNS1_3repE0EEENS1_30default_config_static_selectorELNS0_4arch9wavefront6targetE0EEEvT1_.uses_flat_scratch, 1
	.set _ZN7rocprim17ROCPRIM_400000_NS6detail17trampoline_kernelINS0_14default_configENS1_27scan_by_key_config_selectorIj11FixedVectorIiLj1EEEEZZNS1_16scan_by_key_implILNS1_25lookback_scan_determinismE0ELb1ES3_N6thrust23THRUST_200600_302600_NS6detail15normal_iteratorINSB_10device_ptrIjEEEENSD_INSE_IS6_EEEESI_S6_NSB_4plusIvEENSB_8equal_toIvEES6_EE10hipError_tPvRmT2_T3_T4_T5_mT6_T7_P12ihipStream_tbENKUlT_T0_E_clISt17integral_constantIbLb0EES12_IbLb1EEEEDaSY_SZ_EUlSY_E_NS1_11comp_targetILNS1_3genE8ELNS1_11target_archE1030ELNS1_3gpuE2ELNS1_3repE0EEENS1_30default_config_static_selectorELNS0_4arch9wavefront6targetE0EEEvT1_.has_dyn_sized_stack, 0
	.set _ZN7rocprim17ROCPRIM_400000_NS6detail17trampoline_kernelINS0_14default_configENS1_27scan_by_key_config_selectorIj11FixedVectorIiLj1EEEEZZNS1_16scan_by_key_implILNS1_25lookback_scan_determinismE0ELb1ES3_N6thrust23THRUST_200600_302600_NS6detail15normal_iteratorINSB_10device_ptrIjEEEENSD_INSE_IS6_EEEESI_S6_NSB_4plusIvEENSB_8equal_toIvEES6_EE10hipError_tPvRmT2_T3_T4_T5_mT6_T7_P12ihipStream_tbENKUlT_T0_E_clISt17integral_constantIbLb0EES12_IbLb1EEEEDaSY_SZ_EUlSY_E_NS1_11comp_targetILNS1_3genE8ELNS1_11target_archE1030ELNS1_3gpuE2ELNS1_3repE0EEENS1_30default_config_static_selectorELNS0_4arch9wavefront6targetE0EEEvT1_.has_recursion, 0
	.set _ZN7rocprim17ROCPRIM_400000_NS6detail17trampoline_kernelINS0_14default_configENS1_27scan_by_key_config_selectorIj11FixedVectorIiLj1EEEEZZNS1_16scan_by_key_implILNS1_25lookback_scan_determinismE0ELb1ES3_N6thrust23THRUST_200600_302600_NS6detail15normal_iteratorINSB_10device_ptrIjEEEENSD_INSE_IS6_EEEESI_S6_NSB_4plusIvEENSB_8equal_toIvEES6_EE10hipError_tPvRmT2_T3_T4_T5_mT6_T7_P12ihipStream_tbENKUlT_T0_E_clISt17integral_constantIbLb0EES12_IbLb1EEEEDaSY_SZ_EUlSY_E_NS1_11comp_targetILNS1_3genE8ELNS1_11target_archE1030ELNS1_3gpuE2ELNS1_3repE0EEENS1_30default_config_static_selectorELNS0_4arch9wavefront6targetE0EEEvT1_.has_indirect_call, 0
	.section	.AMDGPU.csdata,"",@progbits
; Kernel info:
; codeLenInByte = 6260
; TotalNumSgprs: 26
; NumVgprs: 44
; ScratchSize: 0
; MemoryBound: 0
; FloatMode: 240
; IeeeMode: 1
; LDSByteSize: 5120 bytes/workgroup (compile time only)
; SGPRBlocks: 0
; VGPRBlocks: 5
; NumSGPRsForWavesPerEU: 26
; NumVGPRsForWavesPerEU: 44
; Occupancy: 16
; WaveLimiterHint : 1
; COMPUTE_PGM_RSRC2:SCRATCH_EN: 0
; COMPUTE_PGM_RSRC2:USER_SGPR: 6
; COMPUTE_PGM_RSRC2:TRAP_HANDLER: 0
; COMPUTE_PGM_RSRC2:TGID_X_EN: 1
; COMPUTE_PGM_RSRC2:TGID_Y_EN: 0
; COMPUTE_PGM_RSRC2:TGID_Z_EN: 0
; COMPUTE_PGM_RSRC2:TIDIG_COMP_CNT: 0
	.section	.text._ZN6thrust23THRUST_200600_302600_NS11hip_rocprim14__parallel_for6kernelILj256ENS1_10for_each_fINS0_10device_ptrI11FixedVectorIiLj2EEEENS0_6detail16wrapped_functionINS9_23allocator_traits_detail5gozerEvEEEElLj1EEEvT0_T1_SG_,"axG",@progbits,_ZN6thrust23THRUST_200600_302600_NS11hip_rocprim14__parallel_for6kernelILj256ENS1_10for_each_fINS0_10device_ptrI11FixedVectorIiLj2EEEENS0_6detail16wrapped_functionINS9_23allocator_traits_detail5gozerEvEEEElLj1EEEvT0_T1_SG_,comdat
	.protected	_ZN6thrust23THRUST_200600_302600_NS11hip_rocprim14__parallel_for6kernelILj256ENS1_10for_each_fINS0_10device_ptrI11FixedVectorIiLj2EEEENS0_6detail16wrapped_functionINS9_23allocator_traits_detail5gozerEvEEEElLj1EEEvT0_T1_SG_ ; -- Begin function _ZN6thrust23THRUST_200600_302600_NS11hip_rocprim14__parallel_for6kernelILj256ENS1_10for_each_fINS0_10device_ptrI11FixedVectorIiLj2EEEENS0_6detail16wrapped_functionINS9_23allocator_traits_detail5gozerEvEEEElLj1EEEvT0_T1_SG_
	.globl	_ZN6thrust23THRUST_200600_302600_NS11hip_rocprim14__parallel_for6kernelILj256ENS1_10for_each_fINS0_10device_ptrI11FixedVectorIiLj2EEEENS0_6detail16wrapped_functionINS9_23allocator_traits_detail5gozerEvEEEElLj1EEEvT0_T1_SG_
	.p2align	8
	.type	_ZN6thrust23THRUST_200600_302600_NS11hip_rocprim14__parallel_for6kernelILj256ENS1_10for_each_fINS0_10device_ptrI11FixedVectorIiLj2EEEENS0_6detail16wrapped_functionINS9_23allocator_traits_detail5gozerEvEEEElLj1EEEvT0_T1_SG_,@function
_ZN6thrust23THRUST_200600_302600_NS11hip_rocprim14__parallel_for6kernelILj256ENS1_10for_each_fINS0_10device_ptrI11FixedVectorIiLj2EEEENS0_6detail16wrapped_functionINS9_23allocator_traits_detail5gozerEvEEEElLj1EEEvT0_T1_SG_: ; @_ZN6thrust23THRUST_200600_302600_NS11hip_rocprim14__parallel_for6kernelILj256ENS1_10for_each_fINS0_10device_ptrI11FixedVectorIiLj2EEEENS0_6detail16wrapped_functionINS9_23allocator_traits_detail5gozerEvEEEElLj1EEEvT0_T1_SG_
; %bb.0:
	s_endpgm
	.section	.rodata,"a",@progbits
	.p2align	6, 0x0
	.amdhsa_kernel _ZN6thrust23THRUST_200600_302600_NS11hip_rocprim14__parallel_for6kernelILj256ENS1_10for_each_fINS0_10device_ptrI11FixedVectorIiLj2EEEENS0_6detail16wrapped_functionINS9_23allocator_traits_detail5gozerEvEEEElLj1EEEvT0_T1_SG_
		.amdhsa_group_segment_fixed_size 0
		.amdhsa_private_segment_fixed_size 0
		.amdhsa_kernarg_size 32
		.amdhsa_user_sgpr_count 6
		.amdhsa_user_sgpr_private_segment_buffer 1
		.amdhsa_user_sgpr_dispatch_ptr 0
		.amdhsa_user_sgpr_queue_ptr 0
		.amdhsa_user_sgpr_kernarg_segment_ptr 1
		.amdhsa_user_sgpr_dispatch_id 0
		.amdhsa_user_sgpr_flat_scratch_init 0
		.amdhsa_user_sgpr_private_segment_size 0
		.amdhsa_wavefront_size32 1
		.amdhsa_uses_dynamic_stack 0
		.amdhsa_system_sgpr_private_segment_wavefront_offset 0
		.amdhsa_system_sgpr_workgroup_id_x 1
		.amdhsa_system_sgpr_workgroup_id_y 0
		.amdhsa_system_sgpr_workgroup_id_z 0
		.amdhsa_system_sgpr_workgroup_info 0
		.amdhsa_system_vgpr_workitem_id 0
		.amdhsa_next_free_vgpr 1
		.amdhsa_next_free_sgpr 1
		.amdhsa_reserve_vcc 0
		.amdhsa_reserve_flat_scratch 0
		.amdhsa_float_round_mode_32 0
		.amdhsa_float_round_mode_16_64 0
		.amdhsa_float_denorm_mode_32 3
		.amdhsa_float_denorm_mode_16_64 3
		.amdhsa_dx10_clamp 1
		.amdhsa_ieee_mode 1
		.amdhsa_fp16_overflow 0
		.amdhsa_workgroup_processor_mode 1
		.amdhsa_memory_ordered 1
		.amdhsa_forward_progress 1
		.amdhsa_shared_vgpr_count 0
		.amdhsa_exception_fp_ieee_invalid_op 0
		.amdhsa_exception_fp_denorm_src 0
		.amdhsa_exception_fp_ieee_div_zero 0
		.amdhsa_exception_fp_ieee_overflow 0
		.amdhsa_exception_fp_ieee_underflow 0
		.amdhsa_exception_fp_ieee_inexact 0
		.amdhsa_exception_int_div_zero 0
	.end_amdhsa_kernel
	.section	.text._ZN6thrust23THRUST_200600_302600_NS11hip_rocprim14__parallel_for6kernelILj256ENS1_10for_each_fINS0_10device_ptrI11FixedVectorIiLj2EEEENS0_6detail16wrapped_functionINS9_23allocator_traits_detail5gozerEvEEEElLj1EEEvT0_T1_SG_,"axG",@progbits,_ZN6thrust23THRUST_200600_302600_NS11hip_rocprim14__parallel_for6kernelILj256ENS1_10for_each_fINS0_10device_ptrI11FixedVectorIiLj2EEEENS0_6detail16wrapped_functionINS9_23allocator_traits_detail5gozerEvEEEElLj1EEEvT0_T1_SG_,comdat
.Lfunc_end1947:
	.size	_ZN6thrust23THRUST_200600_302600_NS11hip_rocprim14__parallel_for6kernelILj256ENS1_10for_each_fINS0_10device_ptrI11FixedVectorIiLj2EEEENS0_6detail16wrapped_functionINS9_23allocator_traits_detail5gozerEvEEEElLj1EEEvT0_T1_SG_, .Lfunc_end1947-_ZN6thrust23THRUST_200600_302600_NS11hip_rocprim14__parallel_for6kernelILj256ENS1_10for_each_fINS0_10device_ptrI11FixedVectorIiLj2EEEENS0_6detail16wrapped_functionINS9_23allocator_traits_detail5gozerEvEEEElLj1EEEvT0_T1_SG_
                                        ; -- End function
	.set _ZN6thrust23THRUST_200600_302600_NS11hip_rocprim14__parallel_for6kernelILj256ENS1_10for_each_fINS0_10device_ptrI11FixedVectorIiLj2EEEENS0_6detail16wrapped_functionINS9_23allocator_traits_detail5gozerEvEEEElLj1EEEvT0_T1_SG_.num_vgpr, 0
	.set _ZN6thrust23THRUST_200600_302600_NS11hip_rocprim14__parallel_for6kernelILj256ENS1_10for_each_fINS0_10device_ptrI11FixedVectorIiLj2EEEENS0_6detail16wrapped_functionINS9_23allocator_traits_detail5gozerEvEEEElLj1EEEvT0_T1_SG_.num_agpr, 0
	.set _ZN6thrust23THRUST_200600_302600_NS11hip_rocprim14__parallel_for6kernelILj256ENS1_10for_each_fINS0_10device_ptrI11FixedVectorIiLj2EEEENS0_6detail16wrapped_functionINS9_23allocator_traits_detail5gozerEvEEEElLj1EEEvT0_T1_SG_.numbered_sgpr, 0
	.set _ZN6thrust23THRUST_200600_302600_NS11hip_rocprim14__parallel_for6kernelILj256ENS1_10for_each_fINS0_10device_ptrI11FixedVectorIiLj2EEEENS0_6detail16wrapped_functionINS9_23allocator_traits_detail5gozerEvEEEElLj1EEEvT0_T1_SG_.num_named_barrier, 0
	.set _ZN6thrust23THRUST_200600_302600_NS11hip_rocprim14__parallel_for6kernelILj256ENS1_10for_each_fINS0_10device_ptrI11FixedVectorIiLj2EEEENS0_6detail16wrapped_functionINS9_23allocator_traits_detail5gozerEvEEEElLj1EEEvT0_T1_SG_.private_seg_size, 0
	.set _ZN6thrust23THRUST_200600_302600_NS11hip_rocprim14__parallel_for6kernelILj256ENS1_10for_each_fINS0_10device_ptrI11FixedVectorIiLj2EEEENS0_6detail16wrapped_functionINS9_23allocator_traits_detail5gozerEvEEEElLj1EEEvT0_T1_SG_.uses_vcc, 0
	.set _ZN6thrust23THRUST_200600_302600_NS11hip_rocprim14__parallel_for6kernelILj256ENS1_10for_each_fINS0_10device_ptrI11FixedVectorIiLj2EEEENS0_6detail16wrapped_functionINS9_23allocator_traits_detail5gozerEvEEEElLj1EEEvT0_T1_SG_.uses_flat_scratch, 0
	.set _ZN6thrust23THRUST_200600_302600_NS11hip_rocprim14__parallel_for6kernelILj256ENS1_10for_each_fINS0_10device_ptrI11FixedVectorIiLj2EEEENS0_6detail16wrapped_functionINS9_23allocator_traits_detail5gozerEvEEEElLj1EEEvT0_T1_SG_.has_dyn_sized_stack, 0
	.set _ZN6thrust23THRUST_200600_302600_NS11hip_rocprim14__parallel_for6kernelILj256ENS1_10for_each_fINS0_10device_ptrI11FixedVectorIiLj2EEEENS0_6detail16wrapped_functionINS9_23allocator_traits_detail5gozerEvEEEElLj1EEEvT0_T1_SG_.has_recursion, 0
	.set _ZN6thrust23THRUST_200600_302600_NS11hip_rocprim14__parallel_for6kernelILj256ENS1_10for_each_fINS0_10device_ptrI11FixedVectorIiLj2EEEENS0_6detail16wrapped_functionINS9_23allocator_traits_detail5gozerEvEEEElLj1EEEvT0_T1_SG_.has_indirect_call, 0
	.section	.AMDGPU.csdata,"",@progbits
; Kernel info:
; codeLenInByte = 4
; TotalNumSgprs: 0
; NumVgprs: 0
; ScratchSize: 0
; MemoryBound: 0
; FloatMode: 240
; IeeeMode: 1
; LDSByteSize: 0 bytes/workgroup (compile time only)
; SGPRBlocks: 0
; VGPRBlocks: 0
; NumSGPRsForWavesPerEU: 1
; NumVGPRsForWavesPerEU: 1
; Occupancy: 16
; WaveLimiterHint : 0
; COMPUTE_PGM_RSRC2:SCRATCH_EN: 0
; COMPUTE_PGM_RSRC2:USER_SGPR: 6
; COMPUTE_PGM_RSRC2:TRAP_HANDLER: 0
; COMPUTE_PGM_RSRC2:TGID_X_EN: 1
; COMPUTE_PGM_RSRC2:TGID_Y_EN: 0
; COMPUTE_PGM_RSRC2:TGID_Z_EN: 0
; COMPUTE_PGM_RSRC2:TIDIG_COMP_CNT: 0
	.section	.text._ZN6thrust23THRUST_200600_302600_NS11hip_rocprim14__parallel_for6kernelILj256ENS1_10for_each_fINS0_10device_ptrI11FixedVectorIiLj2EEEENS0_6detail16wrapped_functionINS9_23allocator_traits_detail24construct1_via_allocatorINS0_16device_allocatorIS7_EEEEvEEEEmLj1EEEvT0_T1_SJ_,"axG",@progbits,_ZN6thrust23THRUST_200600_302600_NS11hip_rocprim14__parallel_for6kernelILj256ENS1_10for_each_fINS0_10device_ptrI11FixedVectorIiLj2EEEENS0_6detail16wrapped_functionINS9_23allocator_traits_detail24construct1_via_allocatorINS0_16device_allocatorIS7_EEEEvEEEEmLj1EEEvT0_T1_SJ_,comdat
	.protected	_ZN6thrust23THRUST_200600_302600_NS11hip_rocprim14__parallel_for6kernelILj256ENS1_10for_each_fINS0_10device_ptrI11FixedVectorIiLj2EEEENS0_6detail16wrapped_functionINS9_23allocator_traits_detail24construct1_via_allocatorINS0_16device_allocatorIS7_EEEEvEEEEmLj1EEEvT0_T1_SJ_ ; -- Begin function _ZN6thrust23THRUST_200600_302600_NS11hip_rocprim14__parallel_for6kernelILj256ENS1_10for_each_fINS0_10device_ptrI11FixedVectorIiLj2EEEENS0_6detail16wrapped_functionINS9_23allocator_traits_detail24construct1_via_allocatorINS0_16device_allocatorIS7_EEEEvEEEEmLj1EEEvT0_T1_SJ_
	.globl	_ZN6thrust23THRUST_200600_302600_NS11hip_rocprim14__parallel_for6kernelILj256ENS1_10for_each_fINS0_10device_ptrI11FixedVectorIiLj2EEEENS0_6detail16wrapped_functionINS9_23allocator_traits_detail24construct1_via_allocatorINS0_16device_allocatorIS7_EEEEvEEEEmLj1EEEvT0_T1_SJ_
	.p2align	8
	.type	_ZN6thrust23THRUST_200600_302600_NS11hip_rocprim14__parallel_for6kernelILj256ENS1_10for_each_fINS0_10device_ptrI11FixedVectorIiLj2EEEENS0_6detail16wrapped_functionINS9_23allocator_traits_detail24construct1_via_allocatorINS0_16device_allocatorIS7_EEEEvEEEEmLj1EEEvT0_T1_SJ_,@function
_ZN6thrust23THRUST_200600_302600_NS11hip_rocprim14__parallel_for6kernelILj256ENS1_10for_each_fINS0_10device_ptrI11FixedVectorIiLj2EEEENS0_6detail16wrapped_functionINS9_23allocator_traits_detail24construct1_via_allocatorINS0_16device_allocatorIS7_EEEEvEEEEmLj1EEEvT0_T1_SJ_: ; @_ZN6thrust23THRUST_200600_302600_NS11hip_rocprim14__parallel_for6kernelILj256ENS1_10for_each_fINS0_10device_ptrI11FixedVectorIiLj2EEEENS0_6detail16wrapped_functionINS9_23allocator_traits_detail24construct1_via_allocatorINS0_16device_allocatorIS7_EEEEvEEEEmLj1EEEvT0_T1_SJ_
; %bb.0:
	s_clause 0x1
	s_load_dwordx4 s[8:11], s[4:5], 0x10
	s_load_dwordx2 s[0:1], s[4:5], 0x0
	s_lshl_b32 s2, s6, 8
	v_lshlrev_b32_e32 v2, 3, v0
	s_waitcnt lgkmcnt(0)
	s_add_u32 s2, s10, s2
	s_addc_u32 s3, s11, 0
	s_sub_u32 s4, s8, s2
	s_subb_u32 s5, s9, s3
	v_cmp_lt_u64_e64 s5, 0xff, s[4:5]
	s_and_b32 vcc_lo, exec_lo, s5
	s_mov_b32 s5, 0
	s_cbranch_vccnz .LBB1948_2
; %bb.1:
	s_lshl_b64 s[6:7], s[2:3], 3
	v_cmp_gt_u32_e32 vcc_lo, s4, v0
	s_add_u32 s4, s0, s6
	s_addc_u32 s5, s1, s7
	v_add_co_u32 v0, s4, s4, v2
	v_add_co_ci_u32_e64 v1, null, s5, 0, s4
	s_and_b32 s5, vcc_lo, exec_lo
	s_cbranch_execz .LBB1948_3
	s_branch .LBB1948_4
.LBB1948_2:
                                        ; implicit-def: $vgpr0_vgpr1
.LBB1948_3:
	s_lshl_b64 s[2:3], s[2:3], 3
	s_add_u32 s0, s0, s2
	s_addc_u32 s1, s1, s3
	v_add_co_u32 v0, s0, s0, v2
	v_add_co_ci_u32_e64 v1, null, s1, 0, s0
	s_or_b32 s5, s5, exec_lo
.LBB1948_4:
	s_and_saveexec_b32 s0, s5
	s_cbranch_execnz .LBB1948_6
; %bb.5:
	s_endpgm
.LBB1948_6:
	v_mov_b32_e32 v2, 0
	v_mov_b32_e32 v3, v2
	flat_store_dwordx2 v[0:1], v[2:3]
	s_endpgm
	.section	.rodata,"a",@progbits
	.p2align	6, 0x0
	.amdhsa_kernel _ZN6thrust23THRUST_200600_302600_NS11hip_rocprim14__parallel_for6kernelILj256ENS1_10for_each_fINS0_10device_ptrI11FixedVectorIiLj2EEEENS0_6detail16wrapped_functionINS9_23allocator_traits_detail24construct1_via_allocatorINS0_16device_allocatorIS7_EEEEvEEEEmLj1EEEvT0_T1_SJ_
		.amdhsa_group_segment_fixed_size 0
		.amdhsa_private_segment_fixed_size 0
		.amdhsa_kernarg_size 32
		.amdhsa_user_sgpr_count 6
		.amdhsa_user_sgpr_private_segment_buffer 1
		.amdhsa_user_sgpr_dispatch_ptr 0
		.amdhsa_user_sgpr_queue_ptr 0
		.amdhsa_user_sgpr_kernarg_segment_ptr 1
		.amdhsa_user_sgpr_dispatch_id 0
		.amdhsa_user_sgpr_flat_scratch_init 0
		.amdhsa_user_sgpr_private_segment_size 0
		.amdhsa_wavefront_size32 1
		.amdhsa_uses_dynamic_stack 0
		.amdhsa_system_sgpr_private_segment_wavefront_offset 0
		.amdhsa_system_sgpr_workgroup_id_x 1
		.amdhsa_system_sgpr_workgroup_id_y 0
		.amdhsa_system_sgpr_workgroup_id_z 0
		.amdhsa_system_sgpr_workgroup_info 0
		.amdhsa_system_vgpr_workitem_id 0
		.amdhsa_next_free_vgpr 4
		.amdhsa_next_free_sgpr 12
		.amdhsa_reserve_vcc 1
		.amdhsa_reserve_flat_scratch 0
		.amdhsa_float_round_mode_32 0
		.amdhsa_float_round_mode_16_64 0
		.amdhsa_float_denorm_mode_32 3
		.amdhsa_float_denorm_mode_16_64 3
		.amdhsa_dx10_clamp 1
		.amdhsa_ieee_mode 1
		.amdhsa_fp16_overflow 0
		.amdhsa_workgroup_processor_mode 1
		.amdhsa_memory_ordered 1
		.amdhsa_forward_progress 1
		.amdhsa_shared_vgpr_count 0
		.amdhsa_exception_fp_ieee_invalid_op 0
		.amdhsa_exception_fp_denorm_src 0
		.amdhsa_exception_fp_ieee_div_zero 0
		.amdhsa_exception_fp_ieee_overflow 0
		.amdhsa_exception_fp_ieee_underflow 0
		.amdhsa_exception_fp_ieee_inexact 0
		.amdhsa_exception_int_div_zero 0
	.end_amdhsa_kernel
	.section	.text._ZN6thrust23THRUST_200600_302600_NS11hip_rocprim14__parallel_for6kernelILj256ENS1_10for_each_fINS0_10device_ptrI11FixedVectorIiLj2EEEENS0_6detail16wrapped_functionINS9_23allocator_traits_detail24construct1_via_allocatorINS0_16device_allocatorIS7_EEEEvEEEEmLj1EEEvT0_T1_SJ_,"axG",@progbits,_ZN6thrust23THRUST_200600_302600_NS11hip_rocprim14__parallel_for6kernelILj256ENS1_10for_each_fINS0_10device_ptrI11FixedVectorIiLj2EEEENS0_6detail16wrapped_functionINS9_23allocator_traits_detail24construct1_via_allocatorINS0_16device_allocatorIS7_EEEEvEEEEmLj1EEEvT0_T1_SJ_,comdat
.Lfunc_end1948:
	.size	_ZN6thrust23THRUST_200600_302600_NS11hip_rocprim14__parallel_for6kernelILj256ENS1_10for_each_fINS0_10device_ptrI11FixedVectorIiLj2EEEENS0_6detail16wrapped_functionINS9_23allocator_traits_detail24construct1_via_allocatorINS0_16device_allocatorIS7_EEEEvEEEEmLj1EEEvT0_T1_SJ_, .Lfunc_end1948-_ZN6thrust23THRUST_200600_302600_NS11hip_rocprim14__parallel_for6kernelILj256ENS1_10for_each_fINS0_10device_ptrI11FixedVectorIiLj2EEEENS0_6detail16wrapped_functionINS9_23allocator_traits_detail24construct1_via_allocatorINS0_16device_allocatorIS7_EEEEvEEEEmLj1EEEvT0_T1_SJ_
                                        ; -- End function
	.set _ZN6thrust23THRUST_200600_302600_NS11hip_rocprim14__parallel_for6kernelILj256ENS1_10for_each_fINS0_10device_ptrI11FixedVectorIiLj2EEEENS0_6detail16wrapped_functionINS9_23allocator_traits_detail24construct1_via_allocatorINS0_16device_allocatorIS7_EEEEvEEEEmLj1EEEvT0_T1_SJ_.num_vgpr, 4
	.set _ZN6thrust23THRUST_200600_302600_NS11hip_rocprim14__parallel_for6kernelILj256ENS1_10for_each_fINS0_10device_ptrI11FixedVectorIiLj2EEEENS0_6detail16wrapped_functionINS9_23allocator_traits_detail24construct1_via_allocatorINS0_16device_allocatorIS7_EEEEvEEEEmLj1EEEvT0_T1_SJ_.num_agpr, 0
	.set _ZN6thrust23THRUST_200600_302600_NS11hip_rocprim14__parallel_for6kernelILj256ENS1_10for_each_fINS0_10device_ptrI11FixedVectorIiLj2EEEENS0_6detail16wrapped_functionINS9_23allocator_traits_detail24construct1_via_allocatorINS0_16device_allocatorIS7_EEEEvEEEEmLj1EEEvT0_T1_SJ_.numbered_sgpr, 12
	.set _ZN6thrust23THRUST_200600_302600_NS11hip_rocprim14__parallel_for6kernelILj256ENS1_10for_each_fINS0_10device_ptrI11FixedVectorIiLj2EEEENS0_6detail16wrapped_functionINS9_23allocator_traits_detail24construct1_via_allocatorINS0_16device_allocatorIS7_EEEEvEEEEmLj1EEEvT0_T1_SJ_.num_named_barrier, 0
	.set _ZN6thrust23THRUST_200600_302600_NS11hip_rocprim14__parallel_for6kernelILj256ENS1_10for_each_fINS0_10device_ptrI11FixedVectorIiLj2EEEENS0_6detail16wrapped_functionINS9_23allocator_traits_detail24construct1_via_allocatorINS0_16device_allocatorIS7_EEEEvEEEEmLj1EEEvT0_T1_SJ_.private_seg_size, 0
	.set _ZN6thrust23THRUST_200600_302600_NS11hip_rocprim14__parallel_for6kernelILj256ENS1_10for_each_fINS0_10device_ptrI11FixedVectorIiLj2EEEENS0_6detail16wrapped_functionINS9_23allocator_traits_detail24construct1_via_allocatorINS0_16device_allocatorIS7_EEEEvEEEEmLj1EEEvT0_T1_SJ_.uses_vcc, 1
	.set _ZN6thrust23THRUST_200600_302600_NS11hip_rocprim14__parallel_for6kernelILj256ENS1_10for_each_fINS0_10device_ptrI11FixedVectorIiLj2EEEENS0_6detail16wrapped_functionINS9_23allocator_traits_detail24construct1_via_allocatorINS0_16device_allocatorIS7_EEEEvEEEEmLj1EEEvT0_T1_SJ_.uses_flat_scratch, 0
	.set _ZN6thrust23THRUST_200600_302600_NS11hip_rocprim14__parallel_for6kernelILj256ENS1_10for_each_fINS0_10device_ptrI11FixedVectorIiLj2EEEENS0_6detail16wrapped_functionINS9_23allocator_traits_detail24construct1_via_allocatorINS0_16device_allocatorIS7_EEEEvEEEEmLj1EEEvT0_T1_SJ_.has_dyn_sized_stack, 0
	.set _ZN6thrust23THRUST_200600_302600_NS11hip_rocprim14__parallel_for6kernelILj256ENS1_10for_each_fINS0_10device_ptrI11FixedVectorIiLj2EEEENS0_6detail16wrapped_functionINS9_23allocator_traits_detail24construct1_via_allocatorINS0_16device_allocatorIS7_EEEEvEEEEmLj1EEEvT0_T1_SJ_.has_recursion, 0
	.set _ZN6thrust23THRUST_200600_302600_NS11hip_rocprim14__parallel_for6kernelILj256ENS1_10for_each_fINS0_10device_ptrI11FixedVectorIiLj2EEEENS0_6detail16wrapped_functionINS9_23allocator_traits_detail24construct1_via_allocatorINS0_16device_allocatorIS7_EEEEvEEEEmLj1EEEvT0_T1_SJ_.has_indirect_call, 0
	.section	.AMDGPU.csdata,"",@progbits
; Kernel info:
; codeLenInByte = 180
; TotalNumSgprs: 14
; NumVgprs: 4
; ScratchSize: 0
; MemoryBound: 0
; FloatMode: 240
; IeeeMode: 1
; LDSByteSize: 0 bytes/workgroup (compile time only)
; SGPRBlocks: 0
; VGPRBlocks: 0
; NumSGPRsForWavesPerEU: 14
; NumVGPRsForWavesPerEU: 4
; Occupancy: 16
; WaveLimiterHint : 0
; COMPUTE_PGM_RSRC2:SCRATCH_EN: 0
; COMPUTE_PGM_RSRC2:USER_SGPR: 6
; COMPUTE_PGM_RSRC2:TRAP_HANDLER: 0
; COMPUTE_PGM_RSRC2:TGID_X_EN: 1
; COMPUTE_PGM_RSRC2:TGID_Y_EN: 0
; COMPUTE_PGM_RSRC2:TGID_Z_EN: 0
; COMPUTE_PGM_RSRC2:TIDIG_COMP_CNT: 0
	.section	.text._ZN7rocprim17ROCPRIM_400000_NS6detail30init_device_scan_by_key_kernelINS1_19lookback_scan_stateINS0_5tupleIJ11FixedVectorIiLj2EEbEEELb0ELb1EEEN6thrust23THRUST_200600_302600_NS6detail15normal_iteratorINSA_10device_ptrIjEEEEjNS1_16block_id_wrapperIjLb0EEEEEvT_jjPNSI_10value_typeET0_PNSt15iterator_traitsISL_E10value_typeEmT1_T2_,"axG",@progbits,_ZN7rocprim17ROCPRIM_400000_NS6detail30init_device_scan_by_key_kernelINS1_19lookback_scan_stateINS0_5tupleIJ11FixedVectorIiLj2EEbEEELb0ELb1EEEN6thrust23THRUST_200600_302600_NS6detail15normal_iteratorINSA_10device_ptrIjEEEEjNS1_16block_id_wrapperIjLb0EEEEEvT_jjPNSI_10value_typeET0_PNSt15iterator_traitsISL_E10value_typeEmT1_T2_,comdat
	.protected	_ZN7rocprim17ROCPRIM_400000_NS6detail30init_device_scan_by_key_kernelINS1_19lookback_scan_stateINS0_5tupleIJ11FixedVectorIiLj2EEbEEELb0ELb1EEEN6thrust23THRUST_200600_302600_NS6detail15normal_iteratorINSA_10device_ptrIjEEEEjNS1_16block_id_wrapperIjLb0EEEEEvT_jjPNSI_10value_typeET0_PNSt15iterator_traitsISL_E10value_typeEmT1_T2_ ; -- Begin function _ZN7rocprim17ROCPRIM_400000_NS6detail30init_device_scan_by_key_kernelINS1_19lookback_scan_stateINS0_5tupleIJ11FixedVectorIiLj2EEbEEELb0ELb1EEEN6thrust23THRUST_200600_302600_NS6detail15normal_iteratorINSA_10device_ptrIjEEEEjNS1_16block_id_wrapperIjLb0EEEEEvT_jjPNSI_10value_typeET0_PNSt15iterator_traitsISL_E10value_typeEmT1_T2_
	.globl	_ZN7rocprim17ROCPRIM_400000_NS6detail30init_device_scan_by_key_kernelINS1_19lookback_scan_stateINS0_5tupleIJ11FixedVectorIiLj2EEbEEELb0ELb1EEEN6thrust23THRUST_200600_302600_NS6detail15normal_iteratorINSA_10device_ptrIjEEEEjNS1_16block_id_wrapperIjLb0EEEEEvT_jjPNSI_10value_typeET0_PNSt15iterator_traitsISL_E10value_typeEmT1_T2_
	.p2align	8
	.type	_ZN7rocprim17ROCPRIM_400000_NS6detail30init_device_scan_by_key_kernelINS1_19lookback_scan_stateINS0_5tupleIJ11FixedVectorIiLj2EEbEEELb0ELb1EEEN6thrust23THRUST_200600_302600_NS6detail15normal_iteratorINSA_10device_ptrIjEEEEjNS1_16block_id_wrapperIjLb0EEEEEvT_jjPNSI_10value_typeET0_PNSt15iterator_traitsISL_E10value_typeEmT1_T2_,@function
_ZN7rocprim17ROCPRIM_400000_NS6detail30init_device_scan_by_key_kernelINS1_19lookback_scan_stateINS0_5tupleIJ11FixedVectorIiLj2EEbEEELb0ELb1EEEN6thrust23THRUST_200600_302600_NS6detail15normal_iteratorINSA_10device_ptrIjEEEEjNS1_16block_id_wrapperIjLb0EEEEEvT_jjPNSI_10value_typeET0_PNSt15iterator_traitsISL_E10value_typeEmT1_T2_: ; @_ZN7rocprim17ROCPRIM_400000_NS6detail30init_device_scan_by_key_kernelINS1_19lookback_scan_stateINS0_5tupleIJ11FixedVectorIiLj2EEbEEELb0ELb1EEEN6thrust23THRUST_200600_302600_NS6detail15normal_iteratorINSA_10device_ptrIjEEEEjNS1_16block_id_wrapperIjLb0EEEEEvT_jjPNSI_10value_typeET0_PNSt15iterator_traitsISL_E10value_typeEmT1_T2_
; %bb.0:
	s_clause 0x2
	s_load_dword s0, s[4:5], 0x44
	s_load_dwordx8 s[8:15], s[4:5], 0x0
	s_load_dword s7, s[4:5], 0x38
	s_waitcnt lgkmcnt(0)
	s_and_b32 s16, s0, 0xffff
	s_cmp_eq_u64 s[12:13], 0
	v_mad_u64_u32 v[4:5], null, s6, s16, v[0:1]
	s_cbranch_scc1 .LBB1949_8
; %bb.1:
	s_cmp_lt_u32 s11, s10
	s_mov_b32 s1, 0
	s_cselect_b32 s0, s11, 0
	s_mov_b32 s2, exec_lo
	v_cmpx_eq_u32_e64 s0, v4
	s_cbranch_execz .LBB1949_7
; %bb.2:
	s_add_i32 s0, s11, 32
	v_mov_b32_e32 v5, 0
	s_lshl_b64 s[0:1], s[0:1], 4
	s_mov_b32 s3, exec_lo
	s_add_u32 s0, s8, s0
	s_addc_u32 s1, s9, s1
	v_mov_b32_e32 v0, s0
	v_mov_b32_e32 v1, s1
	;;#ASMSTART
	global_load_dwordx4 v[0:3], v[0:1] off glc dlc	
s_waitcnt vmcnt(0)
	;;#ASMEND
	v_and_b32_e32 v6, 0xff, v3
	v_cmpx_eq_u64_e32 0, v[5:6]
	s_cbranch_execz .LBB1949_6
; %bb.3:
	v_mov_b32_e32 v8, s1
	v_mov_b32_e32 v7, s0
	s_mov_b32 s0, 0
.LBB1949_4:                             ; =>This Inner Loop Header: Depth=1
	;;#ASMSTART
	global_load_dwordx4 v[0:3], v[7:8] off glc dlc	
s_waitcnt vmcnt(0)
	;;#ASMEND
	v_and_b32_e32 v6, 0xff, v3
	v_cmp_ne_u64_e32 vcc_lo, 0, v[5:6]
	s_or_b32 s0, vcc_lo, s0
	s_andn2_b32 exec_lo, exec_lo, s0
	s_cbranch_execnz .LBB1949_4
; %bb.5:
	s_or_b32 exec_lo, exec_lo, s0
.LBB1949_6:
	s_or_b32 exec_lo, exec_lo, s3
	v_mov_b32_e32 v3, 0
	global_store_dwordx2 v3, v[0:1], s[12:13]
	global_store_byte v3, v2, s[12:13] offset:8
.LBB1949_7:
	s_or_b32 exec_lo, exec_lo, s2
.LBB1949_8:
	s_mov_b32 s0, exec_lo
	v_cmpx_gt_u32_e64 s10, v4
	s_cbranch_execz .LBB1949_10
; %bb.9:
	v_add_nc_u32_e32 v0, 32, v4
	v_mov_b32_e32 v1, 0
	v_lshlrev_b64 v[5:6], 4, v[0:1]
	v_mov_b32_e32 v0, v1
	v_mov_b32_e32 v2, v1
	;; [unrolled: 1-line block ×3, first 2 shown]
	v_add_co_u32 v5, vcc_lo, s8, v5
	v_add_co_ci_u32_e64 v6, null, s9, v6, vcc_lo
	global_store_dwordx4 v[5:6], v[0:3], off
.LBB1949_10:
	s_or_b32 exec_lo, exec_lo, s0
	v_mov_b32_e32 v5, 0
	s_mov_b32 s0, exec_lo
	v_cmpx_lt_u32_e32 31, v4
	s_xor_b32 s0, exec_lo, s0
	s_andn2_saveexec_b32 s0, s0
	s_cbranch_execz .LBB1949_12
; %bb.11:
	v_lshlrev_b64 v[1:2], 4, v[4:5]
	v_mov_b32_e32 v0, 0
	v_mov_b32_e32 v3, 0xff
	v_add_co_u32 v6, vcc_lo, s8, v1
	v_add_co_ci_u32_e64 v7, null, s9, v2, vcc_lo
	v_mov_b32_e32 v1, v0
	v_mov_b32_e32 v2, v0
	global_store_dwordx4 v[6:7], v[0:3], off
.LBB1949_12:
	s_or_b32 exec_lo, exec_lo, s0
	s_load_dwordx2 s[2:3], s[4:5], 0x28
	s_mov_b32 s0, exec_lo
	s_waitcnt lgkmcnt(0)
	v_cmpx_gt_u64_e64 s[2:3], v[4:5]
	s_cbranch_execz .LBB1949_15
; %bb.13:
	s_clause 0x1
	s_load_dword s6, s[4:5], 0x30
	s_load_dwordx2 s[8:9], s[4:5], 0x20
	s_mov_b32 s1, 0
	v_lshlrev_b64 v[2:3], 2, v[4:5]
	s_mul_i32 s4, s7, s16
	s_waitcnt lgkmcnt(0)
	v_mad_u64_u32 v[0:1], null, v4, s6, 0
	s_add_i32 s0, s6, -1
	s_mul_hi_u32 s7, s6, s4
	s_lshl_b64 s[10:11], s[0:1], 2
	s_mul_i32 s6, s6, s4
	s_add_u32 s0, s14, s10
	s_addc_u32 s5, s15, s11
	v_lshlrev_b64 v[0:1], 2, v[0:1]
	s_lshl_b64 s[6:7], s[6:7], 2
	v_add_co_u32 v0, vcc_lo, s0, v0
	v_add_co_ci_u32_e64 v1, null, s5, v1, vcc_lo
	v_add_co_u32 v2, vcc_lo, s8, v2
	v_add_co_ci_u32_e64 v3, null, s9, v3, vcc_lo
	s_mov_b32 s5, s1
	s_lshl_b64 s[8:9], s[4:5], 2
	.p2align	6
.LBB1949_14:                            ; =>This Inner Loop Header: Depth=1
	global_load_dword v6, v[0:1], off
	v_add_co_u32 v4, vcc_lo, v4, s4
	v_add_co_ci_u32_e64 v5, null, 0, v5, vcc_lo
	v_add_co_u32 v0, vcc_lo, v0, s6
	v_add_co_ci_u32_e64 v1, null, s7, v1, vcc_lo
	v_cmp_le_u64_e32 vcc_lo, s[2:3], v[4:5]
	s_or_b32 s1, vcc_lo, s1
	s_waitcnt vmcnt(0)
	global_store_dword v[2:3], v6, off
	v_add_co_u32 v2, s0, v2, s8
	v_add_co_ci_u32_e64 v3, null, s9, v3, s0
	s_andn2_b32 exec_lo, exec_lo, s1
	s_cbranch_execnz .LBB1949_14
.LBB1949_15:
	s_endpgm
	.section	.rodata,"a",@progbits
	.p2align	6, 0x0
	.amdhsa_kernel _ZN7rocprim17ROCPRIM_400000_NS6detail30init_device_scan_by_key_kernelINS1_19lookback_scan_stateINS0_5tupleIJ11FixedVectorIiLj2EEbEEELb0ELb1EEEN6thrust23THRUST_200600_302600_NS6detail15normal_iteratorINSA_10device_ptrIjEEEEjNS1_16block_id_wrapperIjLb0EEEEEvT_jjPNSI_10value_typeET0_PNSt15iterator_traitsISL_E10value_typeEmT1_T2_
		.amdhsa_group_segment_fixed_size 0
		.amdhsa_private_segment_fixed_size 0
		.amdhsa_kernarg_size 312
		.amdhsa_user_sgpr_count 6
		.amdhsa_user_sgpr_private_segment_buffer 1
		.amdhsa_user_sgpr_dispatch_ptr 0
		.amdhsa_user_sgpr_queue_ptr 0
		.amdhsa_user_sgpr_kernarg_segment_ptr 1
		.amdhsa_user_sgpr_dispatch_id 0
		.amdhsa_user_sgpr_flat_scratch_init 0
		.amdhsa_user_sgpr_private_segment_size 0
		.amdhsa_wavefront_size32 1
		.amdhsa_uses_dynamic_stack 0
		.amdhsa_system_sgpr_private_segment_wavefront_offset 0
		.amdhsa_system_sgpr_workgroup_id_x 1
		.amdhsa_system_sgpr_workgroup_id_y 0
		.amdhsa_system_sgpr_workgroup_id_z 0
		.amdhsa_system_sgpr_workgroup_info 0
		.amdhsa_system_vgpr_workitem_id 0
		.amdhsa_next_free_vgpr 9
		.amdhsa_next_free_sgpr 17
		.amdhsa_reserve_vcc 1
		.amdhsa_reserve_flat_scratch 0
		.amdhsa_float_round_mode_32 0
		.amdhsa_float_round_mode_16_64 0
		.amdhsa_float_denorm_mode_32 3
		.amdhsa_float_denorm_mode_16_64 3
		.amdhsa_dx10_clamp 1
		.amdhsa_ieee_mode 1
		.amdhsa_fp16_overflow 0
		.amdhsa_workgroup_processor_mode 1
		.amdhsa_memory_ordered 1
		.amdhsa_forward_progress 1
		.amdhsa_shared_vgpr_count 0
		.amdhsa_exception_fp_ieee_invalid_op 0
		.amdhsa_exception_fp_denorm_src 0
		.amdhsa_exception_fp_ieee_div_zero 0
		.amdhsa_exception_fp_ieee_overflow 0
		.amdhsa_exception_fp_ieee_underflow 0
		.amdhsa_exception_fp_ieee_inexact 0
		.amdhsa_exception_int_div_zero 0
	.end_amdhsa_kernel
	.section	.text._ZN7rocprim17ROCPRIM_400000_NS6detail30init_device_scan_by_key_kernelINS1_19lookback_scan_stateINS0_5tupleIJ11FixedVectorIiLj2EEbEEELb0ELb1EEEN6thrust23THRUST_200600_302600_NS6detail15normal_iteratorINSA_10device_ptrIjEEEEjNS1_16block_id_wrapperIjLb0EEEEEvT_jjPNSI_10value_typeET0_PNSt15iterator_traitsISL_E10value_typeEmT1_T2_,"axG",@progbits,_ZN7rocprim17ROCPRIM_400000_NS6detail30init_device_scan_by_key_kernelINS1_19lookback_scan_stateINS0_5tupleIJ11FixedVectorIiLj2EEbEEELb0ELb1EEEN6thrust23THRUST_200600_302600_NS6detail15normal_iteratorINSA_10device_ptrIjEEEEjNS1_16block_id_wrapperIjLb0EEEEEvT_jjPNSI_10value_typeET0_PNSt15iterator_traitsISL_E10value_typeEmT1_T2_,comdat
.Lfunc_end1949:
	.size	_ZN7rocprim17ROCPRIM_400000_NS6detail30init_device_scan_by_key_kernelINS1_19lookback_scan_stateINS0_5tupleIJ11FixedVectorIiLj2EEbEEELb0ELb1EEEN6thrust23THRUST_200600_302600_NS6detail15normal_iteratorINSA_10device_ptrIjEEEEjNS1_16block_id_wrapperIjLb0EEEEEvT_jjPNSI_10value_typeET0_PNSt15iterator_traitsISL_E10value_typeEmT1_T2_, .Lfunc_end1949-_ZN7rocprim17ROCPRIM_400000_NS6detail30init_device_scan_by_key_kernelINS1_19lookback_scan_stateINS0_5tupleIJ11FixedVectorIiLj2EEbEEELb0ELb1EEEN6thrust23THRUST_200600_302600_NS6detail15normal_iteratorINSA_10device_ptrIjEEEEjNS1_16block_id_wrapperIjLb0EEEEEvT_jjPNSI_10value_typeET0_PNSt15iterator_traitsISL_E10value_typeEmT1_T2_
                                        ; -- End function
	.set _ZN7rocprim17ROCPRIM_400000_NS6detail30init_device_scan_by_key_kernelINS1_19lookback_scan_stateINS0_5tupleIJ11FixedVectorIiLj2EEbEEELb0ELb1EEEN6thrust23THRUST_200600_302600_NS6detail15normal_iteratorINSA_10device_ptrIjEEEEjNS1_16block_id_wrapperIjLb0EEEEEvT_jjPNSI_10value_typeET0_PNSt15iterator_traitsISL_E10value_typeEmT1_T2_.num_vgpr, 9
	.set _ZN7rocprim17ROCPRIM_400000_NS6detail30init_device_scan_by_key_kernelINS1_19lookback_scan_stateINS0_5tupleIJ11FixedVectorIiLj2EEbEEELb0ELb1EEEN6thrust23THRUST_200600_302600_NS6detail15normal_iteratorINSA_10device_ptrIjEEEEjNS1_16block_id_wrapperIjLb0EEEEEvT_jjPNSI_10value_typeET0_PNSt15iterator_traitsISL_E10value_typeEmT1_T2_.num_agpr, 0
	.set _ZN7rocprim17ROCPRIM_400000_NS6detail30init_device_scan_by_key_kernelINS1_19lookback_scan_stateINS0_5tupleIJ11FixedVectorIiLj2EEbEEELb0ELb1EEEN6thrust23THRUST_200600_302600_NS6detail15normal_iteratorINSA_10device_ptrIjEEEEjNS1_16block_id_wrapperIjLb0EEEEEvT_jjPNSI_10value_typeET0_PNSt15iterator_traitsISL_E10value_typeEmT1_T2_.numbered_sgpr, 17
	.set _ZN7rocprim17ROCPRIM_400000_NS6detail30init_device_scan_by_key_kernelINS1_19lookback_scan_stateINS0_5tupleIJ11FixedVectorIiLj2EEbEEELb0ELb1EEEN6thrust23THRUST_200600_302600_NS6detail15normal_iteratorINSA_10device_ptrIjEEEEjNS1_16block_id_wrapperIjLb0EEEEEvT_jjPNSI_10value_typeET0_PNSt15iterator_traitsISL_E10value_typeEmT1_T2_.num_named_barrier, 0
	.set _ZN7rocprim17ROCPRIM_400000_NS6detail30init_device_scan_by_key_kernelINS1_19lookback_scan_stateINS0_5tupleIJ11FixedVectorIiLj2EEbEEELb0ELb1EEEN6thrust23THRUST_200600_302600_NS6detail15normal_iteratorINSA_10device_ptrIjEEEEjNS1_16block_id_wrapperIjLb0EEEEEvT_jjPNSI_10value_typeET0_PNSt15iterator_traitsISL_E10value_typeEmT1_T2_.private_seg_size, 0
	.set _ZN7rocprim17ROCPRIM_400000_NS6detail30init_device_scan_by_key_kernelINS1_19lookback_scan_stateINS0_5tupleIJ11FixedVectorIiLj2EEbEEELb0ELb1EEEN6thrust23THRUST_200600_302600_NS6detail15normal_iteratorINSA_10device_ptrIjEEEEjNS1_16block_id_wrapperIjLb0EEEEEvT_jjPNSI_10value_typeET0_PNSt15iterator_traitsISL_E10value_typeEmT1_T2_.uses_vcc, 1
	.set _ZN7rocprim17ROCPRIM_400000_NS6detail30init_device_scan_by_key_kernelINS1_19lookback_scan_stateINS0_5tupleIJ11FixedVectorIiLj2EEbEEELb0ELb1EEEN6thrust23THRUST_200600_302600_NS6detail15normal_iteratorINSA_10device_ptrIjEEEEjNS1_16block_id_wrapperIjLb0EEEEEvT_jjPNSI_10value_typeET0_PNSt15iterator_traitsISL_E10value_typeEmT1_T2_.uses_flat_scratch, 0
	.set _ZN7rocprim17ROCPRIM_400000_NS6detail30init_device_scan_by_key_kernelINS1_19lookback_scan_stateINS0_5tupleIJ11FixedVectorIiLj2EEbEEELb0ELb1EEEN6thrust23THRUST_200600_302600_NS6detail15normal_iteratorINSA_10device_ptrIjEEEEjNS1_16block_id_wrapperIjLb0EEEEEvT_jjPNSI_10value_typeET0_PNSt15iterator_traitsISL_E10value_typeEmT1_T2_.has_dyn_sized_stack, 0
	.set _ZN7rocprim17ROCPRIM_400000_NS6detail30init_device_scan_by_key_kernelINS1_19lookback_scan_stateINS0_5tupleIJ11FixedVectorIiLj2EEbEEELb0ELb1EEEN6thrust23THRUST_200600_302600_NS6detail15normal_iteratorINSA_10device_ptrIjEEEEjNS1_16block_id_wrapperIjLb0EEEEEvT_jjPNSI_10value_typeET0_PNSt15iterator_traitsISL_E10value_typeEmT1_T2_.has_recursion, 0
	.set _ZN7rocprim17ROCPRIM_400000_NS6detail30init_device_scan_by_key_kernelINS1_19lookback_scan_stateINS0_5tupleIJ11FixedVectorIiLj2EEbEEELb0ELb1EEEN6thrust23THRUST_200600_302600_NS6detail15normal_iteratorINSA_10device_ptrIjEEEEjNS1_16block_id_wrapperIjLb0EEEEEvT_jjPNSI_10value_typeET0_PNSt15iterator_traitsISL_E10value_typeEmT1_T2_.has_indirect_call, 0
	.section	.AMDGPU.csdata,"",@progbits
; Kernel info:
; codeLenInByte = 728
; TotalNumSgprs: 19
; NumVgprs: 9
; ScratchSize: 0
; MemoryBound: 0
; FloatMode: 240
; IeeeMode: 1
; LDSByteSize: 0 bytes/workgroup (compile time only)
; SGPRBlocks: 0
; VGPRBlocks: 1
; NumSGPRsForWavesPerEU: 19
; NumVGPRsForWavesPerEU: 9
; Occupancy: 16
; WaveLimiterHint : 0
; COMPUTE_PGM_RSRC2:SCRATCH_EN: 0
; COMPUTE_PGM_RSRC2:USER_SGPR: 6
; COMPUTE_PGM_RSRC2:TRAP_HANDLER: 0
; COMPUTE_PGM_RSRC2:TGID_X_EN: 1
; COMPUTE_PGM_RSRC2:TGID_Y_EN: 0
; COMPUTE_PGM_RSRC2:TGID_Z_EN: 0
; COMPUTE_PGM_RSRC2:TIDIG_COMP_CNT: 0
	.section	.text._ZN7rocprim17ROCPRIM_400000_NS6detail30init_device_scan_by_key_kernelINS1_19lookback_scan_stateINS0_5tupleIJ11FixedVectorIiLj2EEbEEELb0ELb1EEENS1_16block_id_wrapperIjLb0EEEEEvT_jjPNSB_10value_typeET0_,"axG",@progbits,_ZN7rocprim17ROCPRIM_400000_NS6detail30init_device_scan_by_key_kernelINS1_19lookback_scan_stateINS0_5tupleIJ11FixedVectorIiLj2EEbEEELb0ELb1EEENS1_16block_id_wrapperIjLb0EEEEEvT_jjPNSB_10value_typeET0_,comdat
	.protected	_ZN7rocprim17ROCPRIM_400000_NS6detail30init_device_scan_by_key_kernelINS1_19lookback_scan_stateINS0_5tupleIJ11FixedVectorIiLj2EEbEEELb0ELb1EEENS1_16block_id_wrapperIjLb0EEEEEvT_jjPNSB_10value_typeET0_ ; -- Begin function _ZN7rocprim17ROCPRIM_400000_NS6detail30init_device_scan_by_key_kernelINS1_19lookback_scan_stateINS0_5tupleIJ11FixedVectorIiLj2EEbEEELb0ELb1EEENS1_16block_id_wrapperIjLb0EEEEEvT_jjPNSB_10value_typeET0_
	.globl	_ZN7rocprim17ROCPRIM_400000_NS6detail30init_device_scan_by_key_kernelINS1_19lookback_scan_stateINS0_5tupleIJ11FixedVectorIiLj2EEbEEELb0ELb1EEENS1_16block_id_wrapperIjLb0EEEEEvT_jjPNSB_10value_typeET0_
	.p2align	8
	.type	_ZN7rocprim17ROCPRIM_400000_NS6detail30init_device_scan_by_key_kernelINS1_19lookback_scan_stateINS0_5tupleIJ11FixedVectorIiLj2EEbEEELb0ELb1EEENS1_16block_id_wrapperIjLb0EEEEEvT_jjPNSB_10value_typeET0_,@function
_ZN7rocprim17ROCPRIM_400000_NS6detail30init_device_scan_by_key_kernelINS1_19lookback_scan_stateINS0_5tupleIJ11FixedVectorIiLj2EEbEEELb0ELb1EEENS1_16block_id_wrapperIjLb0EEEEEvT_jjPNSB_10value_typeET0_: ; @_ZN7rocprim17ROCPRIM_400000_NS6detail30init_device_scan_by_key_kernelINS1_19lookback_scan_stateINS0_5tupleIJ11FixedVectorIiLj2EEbEEELb0ELb1EEENS1_16block_id_wrapperIjLb0EEEEEvT_jjPNSB_10value_typeET0_
; %bb.0:
	s_clause 0x2
	s_load_dword s7, s[4:5], 0x2c
	s_load_dwordx2 s[8:9], s[4:5], 0x10
	s_load_dwordx4 s[0:3], s[4:5], 0x0
	s_waitcnt lgkmcnt(0)
	s_and_b32 s4, s7, 0xffff
	s_cmp_eq_u64 s[8:9], 0
	v_mad_u64_u32 v[0:1], null, s6, s4, v[0:1]
	s_cbranch_scc1 .LBB1950_8
; %bb.1:
	s_cmp_lt_u32 s3, s2
	s_mov_b32 s5, 0
	s_cselect_b32 s4, s3, 0
	s_mov_b32 s6, exec_lo
	v_cmpx_eq_u32_e64 s4, v0
	s_cbranch_execz .LBB1950_7
; %bb.2:
	s_add_i32 s4, s3, 32
	v_mov_b32_e32 v5, 0
	s_lshl_b64 s[4:5], s[4:5], 4
	s_mov_b32 s3, exec_lo
	s_add_u32 s4, s0, s4
	s_addc_u32 s5, s1, s5
	v_mov_b32_e32 v1, s4
	v_mov_b32_e32 v2, s5
	;;#ASMSTART
	global_load_dwordx4 v[1:4], v[1:2] off glc dlc	
s_waitcnt vmcnt(0)
	;;#ASMEND
	v_and_b32_e32 v6, 0xff, v4
	v_cmpx_eq_u64_e32 0, v[5:6]
	s_cbranch_execz .LBB1950_6
; %bb.3:
	v_mov_b32_e32 v8, s5
	v_mov_b32_e32 v7, s4
	s_mov_b32 s4, 0
.LBB1950_4:                             ; =>This Inner Loop Header: Depth=1
	;;#ASMSTART
	global_load_dwordx4 v[1:4], v[7:8] off glc dlc	
s_waitcnt vmcnt(0)
	;;#ASMEND
	v_and_b32_e32 v6, 0xff, v4
	v_cmp_ne_u64_e32 vcc_lo, 0, v[5:6]
	s_or_b32 s4, vcc_lo, s4
	s_andn2_b32 exec_lo, exec_lo, s4
	s_cbranch_execnz .LBB1950_4
; %bb.5:
	s_or_b32 exec_lo, exec_lo, s4
.LBB1950_6:
	s_or_b32 exec_lo, exec_lo, s3
	v_mov_b32_e32 v4, 0
	global_store_dwordx2 v4, v[1:2], s[8:9]
	global_store_byte v4, v3, s[8:9] offset:8
.LBB1950_7:
	s_or_b32 exec_lo, exec_lo, s6
.LBB1950_8:
	v_cmp_gt_u32_e32 vcc_lo, s2, v0
	s_and_saveexec_b32 s2, vcc_lo
	s_cbranch_execz .LBB1950_10
; %bb.9:
	v_add_nc_u32_e32 v1, 32, v0
	v_mov_b32_e32 v2, 0
	v_lshlrev_b64 v[4:5], 4, v[1:2]
	v_mov_b32_e32 v1, v2
	v_mov_b32_e32 v3, v2
	v_add_co_u32 v6, vcc_lo, s0, v4
	v_add_co_ci_u32_e64 v7, null, s1, v5, vcc_lo
	v_mov_b32_e32 v4, v2
	global_store_dwordx4 v[6:7], v[1:4], off
.LBB1950_10:
	s_or_b32 exec_lo, exec_lo, s2
	s_mov_b32 s2, exec_lo
	v_cmpx_gt_u32_e32 32, v0
	s_cbranch_execz .LBB1950_12
; %bb.11:
	v_mov_b32_e32 v1, 0
	v_mov_b32_e32 v3, 0xff
	v_lshlrev_b64 v[4:5], 4, v[0:1]
	v_mov_b32_e32 v0, v1
	v_mov_b32_e32 v2, v1
	v_add_co_u32 v4, vcc_lo, s0, v4
	v_add_co_ci_u32_e64 v5, null, s1, v5, vcc_lo
	global_store_dwordx4 v[4:5], v[0:3], off
.LBB1950_12:
	s_endpgm
	.section	.rodata,"a",@progbits
	.p2align	6, 0x0
	.amdhsa_kernel _ZN7rocprim17ROCPRIM_400000_NS6detail30init_device_scan_by_key_kernelINS1_19lookback_scan_stateINS0_5tupleIJ11FixedVectorIiLj2EEbEEELb0ELb1EEENS1_16block_id_wrapperIjLb0EEEEEvT_jjPNSB_10value_typeET0_
		.amdhsa_group_segment_fixed_size 0
		.amdhsa_private_segment_fixed_size 0
		.amdhsa_kernarg_size 288
		.amdhsa_user_sgpr_count 6
		.amdhsa_user_sgpr_private_segment_buffer 1
		.amdhsa_user_sgpr_dispatch_ptr 0
		.amdhsa_user_sgpr_queue_ptr 0
		.amdhsa_user_sgpr_kernarg_segment_ptr 1
		.amdhsa_user_sgpr_dispatch_id 0
		.amdhsa_user_sgpr_flat_scratch_init 0
		.amdhsa_user_sgpr_private_segment_size 0
		.amdhsa_wavefront_size32 1
		.amdhsa_uses_dynamic_stack 0
		.amdhsa_system_sgpr_private_segment_wavefront_offset 0
		.amdhsa_system_sgpr_workgroup_id_x 1
		.amdhsa_system_sgpr_workgroup_id_y 0
		.amdhsa_system_sgpr_workgroup_id_z 0
		.amdhsa_system_sgpr_workgroup_info 0
		.amdhsa_system_vgpr_workitem_id 0
		.amdhsa_next_free_vgpr 9
		.amdhsa_next_free_sgpr 10
		.amdhsa_reserve_vcc 1
		.amdhsa_reserve_flat_scratch 0
		.amdhsa_float_round_mode_32 0
		.amdhsa_float_round_mode_16_64 0
		.amdhsa_float_denorm_mode_32 3
		.amdhsa_float_denorm_mode_16_64 3
		.amdhsa_dx10_clamp 1
		.amdhsa_ieee_mode 1
		.amdhsa_fp16_overflow 0
		.amdhsa_workgroup_processor_mode 1
		.amdhsa_memory_ordered 1
		.amdhsa_forward_progress 1
		.amdhsa_shared_vgpr_count 0
		.amdhsa_exception_fp_ieee_invalid_op 0
		.amdhsa_exception_fp_denorm_src 0
		.amdhsa_exception_fp_ieee_div_zero 0
		.amdhsa_exception_fp_ieee_overflow 0
		.amdhsa_exception_fp_ieee_underflow 0
		.amdhsa_exception_fp_ieee_inexact 0
		.amdhsa_exception_int_div_zero 0
	.end_amdhsa_kernel
	.section	.text._ZN7rocprim17ROCPRIM_400000_NS6detail30init_device_scan_by_key_kernelINS1_19lookback_scan_stateINS0_5tupleIJ11FixedVectorIiLj2EEbEEELb0ELb1EEENS1_16block_id_wrapperIjLb0EEEEEvT_jjPNSB_10value_typeET0_,"axG",@progbits,_ZN7rocprim17ROCPRIM_400000_NS6detail30init_device_scan_by_key_kernelINS1_19lookback_scan_stateINS0_5tupleIJ11FixedVectorIiLj2EEbEEELb0ELb1EEENS1_16block_id_wrapperIjLb0EEEEEvT_jjPNSB_10value_typeET0_,comdat
.Lfunc_end1950:
	.size	_ZN7rocprim17ROCPRIM_400000_NS6detail30init_device_scan_by_key_kernelINS1_19lookback_scan_stateINS0_5tupleIJ11FixedVectorIiLj2EEbEEELb0ELb1EEENS1_16block_id_wrapperIjLb0EEEEEvT_jjPNSB_10value_typeET0_, .Lfunc_end1950-_ZN7rocprim17ROCPRIM_400000_NS6detail30init_device_scan_by_key_kernelINS1_19lookback_scan_stateINS0_5tupleIJ11FixedVectorIiLj2EEbEEELb0ELb1EEENS1_16block_id_wrapperIjLb0EEEEEvT_jjPNSB_10value_typeET0_
                                        ; -- End function
	.set _ZN7rocprim17ROCPRIM_400000_NS6detail30init_device_scan_by_key_kernelINS1_19lookback_scan_stateINS0_5tupleIJ11FixedVectorIiLj2EEbEEELb0ELb1EEENS1_16block_id_wrapperIjLb0EEEEEvT_jjPNSB_10value_typeET0_.num_vgpr, 9
	.set _ZN7rocprim17ROCPRIM_400000_NS6detail30init_device_scan_by_key_kernelINS1_19lookback_scan_stateINS0_5tupleIJ11FixedVectorIiLj2EEbEEELb0ELb1EEENS1_16block_id_wrapperIjLb0EEEEEvT_jjPNSB_10value_typeET0_.num_agpr, 0
	.set _ZN7rocprim17ROCPRIM_400000_NS6detail30init_device_scan_by_key_kernelINS1_19lookback_scan_stateINS0_5tupleIJ11FixedVectorIiLj2EEbEEELb0ELb1EEENS1_16block_id_wrapperIjLb0EEEEEvT_jjPNSB_10value_typeET0_.numbered_sgpr, 10
	.set _ZN7rocprim17ROCPRIM_400000_NS6detail30init_device_scan_by_key_kernelINS1_19lookback_scan_stateINS0_5tupleIJ11FixedVectorIiLj2EEbEEELb0ELb1EEENS1_16block_id_wrapperIjLb0EEEEEvT_jjPNSB_10value_typeET0_.num_named_barrier, 0
	.set _ZN7rocprim17ROCPRIM_400000_NS6detail30init_device_scan_by_key_kernelINS1_19lookback_scan_stateINS0_5tupleIJ11FixedVectorIiLj2EEbEEELb0ELb1EEENS1_16block_id_wrapperIjLb0EEEEEvT_jjPNSB_10value_typeET0_.private_seg_size, 0
	.set _ZN7rocprim17ROCPRIM_400000_NS6detail30init_device_scan_by_key_kernelINS1_19lookback_scan_stateINS0_5tupleIJ11FixedVectorIiLj2EEbEEELb0ELb1EEENS1_16block_id_wrapperIjLb0EEEEEvT_jjPNSB_10value_typeET0_.uses_vcc, 1
	.set _ZN7rocprim17ROCPRIM_400000_NS6detail30init_device_scan_by_key_kernelINS1_19lookback_scan_stateINS0_5tupleIJ11FixedVectorIiLj2EEbEEELb0ELb1EEENS1_16block_id_wrapperIjLb0EEEEEvT_jjPNSB_10value_typeET0_.uses_flat_scratch, 0
	.set _ZN7rocprim17ROCPRIM_400000_NS6detail30init_device_scan_by_key_kernelINS1_19lookback_scan_stateINS0_5tupleIJ11FixedVectorIiLj2EEbEEELb0ELb1EEENS1_16block_id_wrapperIjLb0EEEEEvT_jjPNSB_10value_typeET0_.has_dyn_sized_stack, 0
	.set _ZN7rocprim17ROCPRIM_400000_NS6detail30init_device_scan_by_key_kernelINS1_19lookback_scan_stateINS0_5tupleIJ11FixedVectorIiLj2EEbEEELb0ELb1EEENS1_16block_id_wrapperIjLb0EEEEEvT_jjPNSB_10value_typeET0_.has_recursion, 0
	.set _ZN7rocprim17ROCPRIM_400000_NS6detail30init_device_scan_by_key_kernelINS1_19lookback_scan_stateINS0_5tupleIJ11FixedVectorIiLj2EEbEEELb0ELb1EEENS1_16block_id_wrapperIjLb0EEEEEvT_jjPNSB_10value_typeET0_.has_indirect_call, 0
	.section	.AMDGPU.csdata,"",@progbits
; Kernel info:
; codeLenInByte = 416
; TotalNumSgprs: 12
; NumVgprs: 9
; ScratchSize: 0
; MemoryBound: 0
; FloatMode: 240
; IeeeMode: 1
; LDSByteSize: 0 bytes/workgroup (compile time only)
; SGPRBlocks: 0
; VGPRBlocks: 1
; NumSGPRsForWavesPerEU: 12
; NumVGPRsForWavesPerEU: 9
; Occupancy: 16
; WaveLimiterHint : 0
; COMPUTE_PGM_RSRC2:SCRATCH_EN: 0
; COMPUTE_PGM_RSRC2:USER_SGPR: 6
; COMPUTE_PGM_RSRC2:TRAP_HANDLER: 0
; COMPUTE_PGM_RSRC2:TGID_X_EN: 1
; COMPUTE_PGM_RSRC2:TGID_Y_EN: 0
; COMPUTE_PGM_RSRC2:TGID_Z_EN: 0
; COMPUTE_PGM_RSRC2:TIDIG_COMP_CNT: 0
	.section	.text._ZN7rocprim17ROCPRIM_400000_NS6detail17trampoline_kernelINS0_14default_configENS1_27scan_by_key_config_selectorIj11FixedVectorIiLj2EEEEZZNS1_16scan_by_key_implILNS1_25lookback_scan_determinismE0ELb0ES3_N6thrust23THRUST_200600_302600_NS6detail15normal_iteratorINSB_10device_ptrIjEEEENSD_INSE_IS6_EEEESI_S6_NSB_4plusIvEENSB_8equal_toIvEES6_EE10hipError_tPvRmT2_T3_T4_T5_mT6_T7_P12ihipStream_tbENKUlT_T0_E_clISt17integral_constantIbLb0EES13_EEDaSY_SZ_EUlSY_E_NS1_11comp_targetILNS1_3genE0ELNS1_11target_archE4294967295ELNS1_3gpuE0ELNS1_3repE0EEENS1_30default_config_static_selectorELNS0_4arch9wavefront6targetE0EEEvT1_,"axG",@progbits,_ZN7rocprim17ROCPRIM_400000_NS6detail17trampoline_kernelINS0_14default_configENS1_27scan_by_key_config_selectorIj11FixedVectorIiLj2EEEEZZNS1_16scan_by_key_implILNS1_25lookback_scan_determinismE0ELb0ES3_N6thrust23THRUST_200600_302600_NS6detail15normal_iteratorINSB_10device_ptrIjEEEENSD_INSE_IS6_EEEESI_S6_NSB_4plusIvEENSB_8equal_toIvEES6_EE10hipError_tPvRmT2_T3_T4_T5_mT6_T7_P12ihipStream_tbENKUlT_T0_E_clISt17integral_constantIbLb0EES13_EEDaSY_SZ_EUlSY_E_NS1_11comp_targetILNS1_3genE0ELNS1_11target_archE4294967295ELNS1_3gpuE0ELNS1_3repE0EEENS1_30default_config_static_selectorELNS0_4arch9wavefront6targetE0EEEvT1_,comdat
	.protected	_ZN7rocprim17ROCPRIM_400000_NS6detail17trampoline_kernelINS0_14default_configENS1_27scan_by_key_config_selectorIj11FixedVectorIiLj2EEEEZZNS1_16scan_by_key_implILNS1_25lookback_scan_determinismE0ELb0ES3_N6thrust23THRUST_200600_302600_NS6detail15normal_iteratorINSB_10device_ptrIjEEEENSD_INSE_IS6_EEEESI_S6_NSB_4plusIvEENSB_8equal_toIvEES6_EE10hipError_tPvRmT2_T3_T4_T5_mT6_T7_P12ihipStream_tbENKUlT_T0_E_clISt17integral_constantIbLb0EES13_EEDaSY_SZ_EUlSY_E_NS1_11comp_targetILNS1_3genE0ELNS1_11target_archE4294967295ELNS1_3gpuE0ELNS1_3repE0EEENS1_30default_config_static_selectorELNS0_4arch9wavefront6targetE0EEEvT1_ ; -- Begin function _ZN7rocprim17ROCPRIM_400000_NS6detail17trampoline_kernelINS0_14default_configENS1_27scan_by_key_config_selectorIj11FixedVectorIiLj2EEEEZZNS1_16scan_by_key_implILNS1_25lookback_scan_determinismE0ELb0ES3_N6thrust23THRUST_200600_302600_NS6detail15normal_iteratorINSB_10device_ptrIjEEEENSD_INSE_IS6_EEEESI_S6_NSB_4plusIvEENSB_8equal_toIvEES6_EE10hipError_tPvRmT2_T3_T4_T5_mT6_T7_P12ihipStream_tbENKUlT_T0_E_clISt17integral_constantIbLb0EES13_EEDaSY_SZ_EUlSY_E_NS1_11comp_targetILNS1_3genE0ELNS1_11target_archE4294967295ELNS1_3gpuE0ELNS1_3repE0EEENS1_30default_config_static_selectorELNS0_4arch9wavefront6targetE0EEEvT1_
	.globl	_ZN7rocprim17ROCPRIM_400000_NS6detail17trampoline_kernelINS0_14default_configENS1_27scan_by_key_config_selectorIj11FixedVectorIiLj2EEEEZZNS1_16scan_by_key_implILNS1_25lookback_scan_determinismE0ELb0ES3_N6thrust23THRUST_200600_302600_NS6detail15normal_iteratorINSB_10device_ptrIjEEEENSD_INSE_IS6_EEEESI_S6_NSB_4plusIvEENSB_8equal_toIvEES6_EE10hipError_tPvRmT2_T3_T4_T5_mT6_T7_P12ihipStream_tbENKUlT_T0_E_clISt17integral_constantIbLb0EES13_EEDaSY_SZ_EUlSY_E_NS1_11comp_targetILNS1_3genE0ELNS1_11target_archE4294967295ELNS1_3gpuE0ELNS1_3repE0EEENS1_30default_config_static_selectorELNS0_4arch9wavefront6targetE0EEEvT1_
	.p2align	8
	.type	_ZN7rocprim17ROCPRIM_400000_NS6detail17trampoline_kernelINS0_14default_configENS1_27scan_by_key_config_selectorIj11FixedVectorIiLj2EEEEZZNS1_16scan_by_key_implILNS1_25lookback_scan_determinismE0ELb0ES3_N6thrust23THRUST_200600_302600_NS6detail15normal_iteratorINSB_10device_ptrIjEEEENSD_INSE_IS6_EEEESI_S6_NSB_4plusIvEENSB_8equal_toIvEES6_EE10hipError_tPvRmT2_T3_T4_T5_mT6_T7_P12ihipStream_tbENKUlT_T0_E_clISt17integral_constantIbLb0EES13_EEDaSY_SZ_EUlSY_E_NS1_11comp_targetILNS1_3genE0ELNS1_11target_archE4294967295ELNS1_3gpuE0ELNS1_3repE0EEENS1_30default_config_static_selectorELNS0_4arch9wavefront6targetE0EEEvT1_,@function
_ZN7rocprim17ROCPRIM_400000_NS6detail17trampoline_kernelINS0_14default_configENS1_27scan_by_key_config_selectorIj11FixedVectorIiLj2EEEEZZNS1_16scan_by_key_implILNS1_25lookback_scan_determinismE0ELb0ES3_N6thrust23THRUST_200600_302600_NS6detail15normal_iteratorINSB_10device_ptrIjEEEENSD_INSE_IS6_EEEESI_S6_NSB_4plusIvEENSB_8equal_toIvEES6_EE10hipError_tPvRmT2_T3_T4_T5_mT6_T7_P12ihipStream_tbENKUlT_T0_E_clISt17integral_constantIbLb0EES13_EEDaSY_SZ_EUlSY_E_NS1_11comp_targetILNS1_3genE0ELNS1_11target_archE4294967295ELNS1_3gpuE0ELNS1_3repE0EEENS1_30default_config_static_selectorELNS0_4arch9wavefront6targetE0EEEvT1_: ; @_ZN7rocprim17ROCPRIM_400000_NS6detail17trampoline_kernelINS0_14default_configENS1_27scan_by_key_config_selectorIj11FixedVectorIiLj2EEEEZZNS1_16scan_by_key_implILNS1_25lookback_scan_determinismE0ELb0ES3_N6thrust23THRUST_200600_302600_NS6detail15normal_iteratorINSB_10device_ptrIjEEEENSD_INSE_IS6_EEEESI_S6_NSB_4plusIvEENSB_8equal_toIvEES6_EE10hipError_tPvRmT2_T3_T4_T5_mT6_T7_P12ihipStream_tbENKUlT_T0_E_clISt17integral_constantIbLb0EES13_EEDaSY_SZ_EUlSY_E_NS1_11comp_targetILNS1_3genE0ELNS1_11target_archE4294967295ELNS1_3gpuE0ELNS1_3repE0EEENS1_30default_config_static_selectorELNS0_4arch9wavefront6targetE0EEEvT1_
; %bb.0:
	.section	.rodata,"a",@progbits
	.p2align	6, 0x0
	.amdhsa_kernel _ZN7rocprim17ROCPRIM_400000_NS6detail17trampoline_kernelINS0_14default_configENS1_27scan_by_key_config_selectorIj11FixedVectorIiLj2EEEEZZNS1_16scan_by_key_implILNS1_25lookback_scan_determinismE0ELb0ES3_N6thrust23THRUST_200600_302600_NS6detail15normal_iteratorINSB_10device_ptrIjEEEENSD_INSE_IS6_EEEESI_S6_NSB_4plusIvEENSB_8equal_toIvEES6_EE10hipError_tPvRmT2_T3_T4_T5_mT6_T7_P12ihipStream_tbENKUlT_T0_E_clISt17integral_constantIbLb0EES13_EEDaSY_SZ_EUlSY_E_NS1_11comp_targetILNS1_3genE0ELNS1_11target_archE4294967295ELNS1_3gpuE0ELNS1_3repE0EEENS1_30default_config_static_selectorELNS0_4arch9wavefront6targetE0EEEvT1_
		.amdhsa_group_segment_fixed_size 0
		.amdhsa_private_segment_fixed_size 0
		.amdhsa_kernarg_size 120
		.amdhsa_user_sgpr_count 6
		.amdhsa_user_sgpr_private_segment_buffer 1
		.amdhsa_user_sgpr_dispatch_ptr 0
		.amdhsa_user_sgpr_queue_ptr 0
		.amdhsa_user_sgpr_kernarg_segment_ptr 1
		.amdhsa_user_sgpr_dispatch_id 0
		.amdhsa_user_sgpr_flat_scratch_init 0
		.amdhsa_user_sgpr_private_segment_size 0
		.amdhsa_wavefront_size32 1
		.amdhsa_uses_dynamic_stack 0
		.amdhsa_system_sgpr_private_segment_wavefront_offset 0
		.amdhsa_system_sgpr_workgroup_id_x 1
		.amdhsa_system_sgpr_workgroup_id_y 0
		.amdhsa_system_sgpr_workgroup_id_z 0
		.amdhsa_system_sgpr_workgroup_info 0
		.amdhsa_system_vgpr_workitem_id 0
		.amdhsa_next_free_vgpr 1
		.amdhsa_next_free_sgpr 1
		.amdhsa_reserve_vcc 0
		.amdhsa_reserve_flat_scratch 0
		.amdhsa_float_round_mode_32 0
		.amdhsa_float_round_mode_16_64 0
		.amdhsa_float_denorm_mode_32 3
		.amdhsa_float_denorm_mode_16_64 3
		.amdhsa_dx10_clamp 1
		.amdhsa_ieee_mode 1
		.amdhsa_fp16_overflow 0
		.amdhsa_workgroup_processor_mode 1
		.amdhsa_memory_ordered 1
		.amdhsa_forward_progress 1
		.amdhsa_shared_vgpr_count 0
		.amdhsa_exception_fp_ieee_invalid_op 0
		.amdhsa_exception_fp_denorm_src 0
		.amdhsa_exception_fp_ieee_div_zero 0
		.amdhsa_exception_fp_ieee_overflow 0
		.amdhsa_exception_fp_ieee_underflow 0
		.amdhsa_exception_fp_ieee_inexact 0
		.amdhsa_exception_int_div_zero 0
	.end_amdhsa_kernel
	.section	.text._ZN7rocprim17ROCPRIM_400000_NS6detail17trampoline_kernelINS0_14default_configENS1_27scan_by_key_config_selectorIj11FixedVectorIiLj2EEEEZZNS1_16scan_by_key_implILNS1_25lookback_scan_determinismE0ELb0ES3_N6thrust23THRUST_200600_302600_NS6detail15normal_iteratorINSB_10device_ptrIjEEEENSD_INSE_IS6_EEEESI_S6_NSB_4plusIvEENSB_8equal_toIvEES6_EE10hipError_tPvRmT2_T3_T4_T5_mT6_T7_P12ihipStream_tbENKUlT_T0_E_clISt17integral_constantIbLb0EES13_EEDaSY_SZ_EUlSY_E_NS1_11comp_targetILNS1_3genE0ELNS1_11target_archE4294967295ELNS1_3gpuE0ELNS1_3repE0EEENS1_30default_config_static_selectorELNS0_4arch9wavefront6targetE0EEEvT1_,"axG",@progbits,_ZN7rocprim17ROCPRIM_400000_NS6detail17trampoline_kernelINS0_14default_configENS1_27scan_by_key_config_selectorIj11FixedVectorIiLj2EEEEZZNS1_16scan_by_key_implILNS1_25lookback_scan_determinismE0ELb0ES3_N6thrust23THRUST_200600_302600_NS6detail15normal_iteratorINSB_10device_ptrIjEEEENSD_INSE_IS6_EEEESI_S6_NSB_4plusIvEENSB_8equal_toIvEES6_EE10hipError_tPvRmT2_T3_T4_T5_mT6_T7_P12ihipStream_tbENKUlT_T0_E_clISt17integral_constantIbLb0EES13_EEDaSY_SZ_EUlSY_E_NS1_11comp_targetILNS1_3genE0ELNS1_11target_archE4294967295ELNS1_3gpuE0ELNS1_3repE0EEENS1_30default_config_static_selectorELNS0_4arch9wavefront6targetE0EEEvT1_,comdat
.Lfunc_end1951:
	.size	_ZN7rocprim17ROCPRIM_400000_NS6detail17trampoline_kernelINS0_14default_configENS1_27scan_by_key_config_selectorIj11FixedVectorIiLj2EEEEZZNS1_16scan_by_key_implILNS1_25lookback_scan_determinismE0ELb0ES3_N6thrust23THRUST_200600_302600_NS6detail15normal_iteratorINSB_10device_ptrIjEEEENSD_INSE_IS6_EEEESI_S6_NSB_4plusIvEENSB_8equal_toIvEES6_EE10hipError_tPvRmT2_T3_T4_T5_mT6_T7_P12ihipStream_tbENKUlT_T0_E_clISt17integral_constantIbLb0EES13_EEDaSY_SZ_EUlSY_E_NS1_11comp_targetILNS1_3genE0ELNS1_11target_archE4294967295ELNS1_3gpuE0ELNS1_3repE0EEENS1_30default_config_static_selectorELNS0_4arch9wavefront6targetE0EEEvT1_, .Lfunc_end1951-_ZN7rocprim17ROCPRIM_400000_NS6detail17trampoline_kernelINS0_14default_configENS1_27scan_by_key_config_selectorIj11FixedVectorIiLj2EEEEZZNS1_16scan_by_key_implILNS1_25lookback_scan_determinismE0ELb0ES3_N6thrust23THRUST_200600_302600_NS6detail15normal_iteratorINSB_10device_ptrIjEEEENSD_INSE_IS6_EEEESI_S6_NSB_4plusIvEENSB_8equal_toIvEES6_EE10hipError_tPvRmT2_T3_T4_T5_mT6_T7_P12ihipStream_tbENKUlT_T0_E_clISt17integral_constantIbLb0EES13_EEDaSY_SZ_EUlSY_E_NS1_11comp_targetILNS1_3genE0ELNS1_11target_archE4294967295ELNS1_3gpuE0ELNS1_3repE0EEENS1_30default_config_static_selectorELNS0_4arch9wavefront6targetE0EEEvT1_
                                        ; -- End function
	.set _ZN7rocprim17ROCPRIM_400000_NS6detail17trampoline_kernelINS0_14default_configENS1_27scan_by_key_config_selectorIj11FixedVectorIiLj2EEEEZZNS1_16scan_by_key_implILNS1_25lookback_scan_determinismE0ELb0ES3_N6thrust23THRUST_200600_302600_NS6detail15normal_iteratorINSB_10device_ptrIjEEEENSD_INSE_IS6_EEEESI_S6_NSB_4plusIvEENSB_8equal_toIvEES6_EE10hipError_tPvRmT2_T3_T4_T5_mT6_T7_P12ihipStream_tbENKUlT_T0_E_clISt17integral_constantIbLb0EES13_EEDaSY_SZ_EUlSY_E_NS1_11comp_targetILNS1_3genE0ELNS1_11target_archE4294967295ELNS1_3gpuE0ELNS1_3repE0EEENS1_30default_config_static_selectorELNS0_4arch9wavefront6targetE0EEEvT1_.num_vgpr, 0
	.set _ZN7rocprim17ROCPRIM_400000_NS6detail17trampoline_kernelINS0_14default_configENS1_27scan_by_key_config_selectorIj11FixedVectorIiLj2EEEEZZNS1_16scan_by_key_implILNS1_25lookback_scan_determinismE0ELb0ES3_N6thrust23THRUST_200600_302600_NS6detail15normal_iteratorINSB_10device_ptrIjEEEENSD_INSE_IS6_EEEESI_S6_NSB_4plusIvEENSB_8equal_toIvEES6_EE10hipError_tPvRmT2_T3_T4_T5_mT6_T7_P12ihipStream_tbENKUlT_T0_E_clISt17integral_constantIbLb0EES13_EEDaSY_SZ_EUlSY_E_NS1_11comp_targetILNS1_3genE0ELNS1_11target_archE4294967295ELNS1_3gpuE0ELNS1_3repE0EEENS1_30default_config_static_selectorELNS0_4arch9wavefront6targetE0EEEvT1_.num_agpr, 0
	.set _ZN7rocprim17ROCPRIM_400000_NS6detail17trampoline_kernelINS0_14default_configENS1_27scan_by_key_config_selectorIj11FixedVectorIiLj2EEEEZZNS1_16scan_by_key_implILNS1_25lookback_scan_determinismE0ELb0ES3_N6thrust23THRUST_200600_302600_NS6detail15normal_iteratorINSB_10device_ptrIjEEEENSD_INSE_IS6_EEEESI_S6_NSB_4plusIvEENSB_8equal_toIvEES6_EE10hipError_tPvRmT2_T3_T4_T5_mT6_T7_P12ihipStream_tbENKUlT_T0_E_clISt17integral_constantIbLb0EES13_EEDaSY_SZ_EUlSY_E_NS1_11comp_targetILNS1_3genE0ELNS1_11target_archE4294967295ELNS1_3gpuE0ELNS1_3repE0EEENS1_30default_config_static_selectorELNS0_4arch9wavefront6targetE0EEEvT1_.numbered_sgpr, 0
	.set _ZN7rocprim17ROCPRIM_400000_NS6detail17trampoline_kernelINS0_14default_configENS1_27scan_by_key_config_selectorIj11FixedVectorIiLj2EEEEZZNS1_16scan_by_key_implILNS1_25lookback_scan_determinismE0ELb0ES3_N6thrust23THRUST_200600_302600_NS6detail15normal_iteratorINSB_10device_ptrIjEEEENSD_INSE_IS6_EEEESI_S6_NSB_4plusIvEENSB_8equal_toIvEES6_EE10hipError_tPvRmT2_T3_T4_T5_mT6_T7_P12ihipStream_tbENKUlT_T0_E_clISt17integral_constantIbLb0EES13_EEDaSY_SZ_EUlSY_E_NS1_11comp_targetILNS1_3genE0ELNS1_11target_archE4294967295ELNS1_3gpuE0ELNS1_3repE0EEENS1_30default_config_static_selectorELNS0_4arch9wavefront6targetE0EEEvT1_.num_named_barrier, 0
	.set _ZN7rocprim17ROCPRIM_400000_NS6detail17trampoline_kernelINS0_14default_configENS1_27scan_by_key_config_selectorIj11FixedVectorIiLj2EEEEZZNS1_16scan_by_key_implILNS1_25lookback_scan_determinismE0ELb0ES3_N6thrust23THRUST_200600_302600_NS6detail15normal_iteratorINSB_10device_ptrIjEEEENSD_INSE_IS6_EEEESI_S6_NSB_4plusIvEENSB_8equal_toIvEES6_EE10hipError_tPvRmT2_T3_T4_T5_mT6_T7_P12ihipStream_tbENKUlT_T0_E_clISt17integral_constantIbLb0EES13_EEDaSY_SZ_EUlSY_E_NS1_11comp_targetILNS1_3genE0ELNS1_11target_archE4294967295ELNS1_3gpuE0ELNS1_3repE0EEENS1_30default_config_static_selectorELNS0_4arch9wavefront6targetE0EEEvT1_.private_seg_size, 0
	.set _ZN7rocprim17ROCPRIM_400000_NS6detail17trampoline_kernelINS0_14default_configENS1_27scan_by_key_config_selectorIj11FixedVectorIiLj2EEEEZZNS1_16scan_by_key_implILNS1_25lookback_scan_determinismE0ELb0ES3_N6thrust23THRUST_200600_302600_NS6detail15normal_iteratorINSB_10device_ptrIjEEEENSD_INSE_IS6_EEEESI_S6_NSB_4plusIvEENSB_8equal_toIvEES6_EE10hipError_tPvRmT2_T3_T4_T5_mT6_T7_P12ihipStream_tbENKUlT_T0_E_clISt17integral_constantIbLb0EES13_EEDaSY_SZ_EUlSY_E_NS1_11comp_targetILNS1_3genE0ELNS1_11target_archE4294967295ELNS1_3gpuE0ELNS1_3repE0EEENS1_30default_config_static_selectorELNS0_4arch9wavefront6targetE0EEEvT1_.uses_vcc, 0
	.set _ZN7rocprim17ROCPRIM_400000_NS6detail17trampoline_kernelINS0_14default_configENS1_27scan_by_key_config_selectorIj11FixedVectorIiLj2EEEEZZNS1_16scan_by_key_implILNS1_25lookback_scan_determinismE0ELb0ES3_N6thrust23THRUST_200600_302600_NS6detail15normal_iteratorINSB_10device_ptrIjEEEENSD_INSE_IS6_EEEESI_S6_NSB_4plusIvEENSB_8equal_toIvEES6_EE10hipError_tPvRmT2_T3_T4_T5_mT6_T7_P12ihipStream_tbENKUlT_T0_E_clISt17integral_constantIbLb0EES13_EEDaSY_SZ_EUlSY_E_NS1_11comp_targetILNS1_3genE0ELNS1_11target_archE4294967295ELNS1_3gpuE0ELNS1_3repE0EEENS1_30default_config_static_selectorELNS0_4arch9wavefront6targetE0EEEvT1_.uses_flat_scratch, 0
	.set _ZN7rocprim17ROCPRIM_400000_NS6detail17trampoline_kernelINS0_14default_configENS1_27scan_by_key_config_selectorIj11FixedVectorIiLj2EEEEZZNS1_16scan_by_key_implILNS1_25lookback_scan_determinismE0ELb0ES3_N6thrust23THRUST_200600_302600_NS6detail15normal_iteratorINSB_10device_ptrIjEEEENSD_INSE_IS6_EEEESI_S6_NSB_4plusIvEENSB_8equal_toIvEES6_EE10hipError_tPvRmT2_T3_T4_T5_mT6_T7_P12ihipStream_tbENKUlT_T0_E_clISt17integral_constantIbLb0EES13_EEDaSY_SZ_EUlSY_E_NS1_11comp_targetILNS1_3genE0ELNS1_11target_archE4294967295ELNS1_3gpuE0ELNS1_3repE0EEENS1_30default_config_static_selectorELNS0_4arch9wavefront6targetE0EEEvT1_.has_dyn_sized_stack, 0
	.set _ZN7rocprim17ROCPRIM_400000_NS6detail17trampoline_kernelINS0_14default_configENS1_27scan_by_key_config_selectorIj11FixedVectorIiLj2EEEEZZNS1_16scan_by_key_implILNS1_25lookback_scan_determinismE0ELb0ES3_N6thrust23THRUST_200600_302600_NS6detail15normal_iteratorINSB_10device_ptrIjEEEENSD_INSE_IS6_EEEESI_S6_NSB_4plusIvEENSB_8equal_toIvEES6_EE10hipError_tPvRmT2_T3_T4_T5_mT6_T7_P12ihipStream_tbENKUlT_T0_E_clISt17integral_constantIbLb0EES13_EEDaSY_SZ_EUlSY_E_NS1_11comp_targetILNS1_3genE0ELNS1_11target_archE4294967295ELNS1_3gpuE0ELNS1_3repE0EEENS1_30default_config_static_selectorELNS0_4arch9wavefront6targetE0EEEvT1_.has_recursion, 0
	.set _ZN7rocprim17ROCPRIM_400000_NS6detail17trampoline_kernelINS0_14default_configENS1_27scan_by_key_config_selectorIj11FixedVectorIiLj2EEEEZZNS1_16scan_by_key_implILNS1_25lookback_scan_determinismE0ELb0ES3_N6thrust23THRUST_200600_302600_NS6detail15normal_iteratorINSB_10device_ptrIjEEEENSD_INSE_IS6_EEEESI_S6_NSB_4plusIvEENSB_8equal_toIvEES6_EE10hipError_tPvRmT2_T3_T4_T5_mT6_T7_P12ihipStream_tbENKUlT_T0_E_clISt17integral_constantIbLb0EES13_EEDaSY_SZ_EUlSY_E_NS1_11comp_targetILNS1_3genE0ELNS1_11target_archE4294967295ELNS1_3gpuE0ELNS1_3repE0EEENS1_30default_config_static_selectorELNS0_4arch9wavefront6targetE0EEEvT1_.has_indirect_call, 0
	.section	.AMDGPU.csdata,"",@progbits
; Kernel info:
; codeLenInByte = 0
; TotalNumSgprs: 0
; NumVgprs: 0
; ScratchSize: 0
; MemoryBound: 0
; FloatMode: 240
; IeeeMode: 1
; LDSByteSize: 0 bytes/workgroup (compile time only)
; SGPRBlocks: 0
; VGPRBlocks: 0
; NumSGPRsForWavesPerEU: 1
; NumVGPRsForWavesPerEU: 1
; Occupancy: 16
; WaveLimiterHint : 0
; COMPUTE_PGM_RSRC2:SCRATCH_EN: 0
; COMPUTE_PGM_RSRC2:USER_SGPR: 6
; COMPUTE_PGM_RSRC2:TRAP_HANDLER: 0
; COMPUTE_PGM_RSRC2:TGID_X_EN: 1
; COMPUTE_PGM_RSRC2:TGID_Y_EN: 0
; COMPUTE_PGM_RSRC2:TGID_Z_EN: 0
; COMPUTE_PGM_RSRC2:TIDIG_COMP_CNT: 0
	.section	.text._ZN7rocprim17ROCPRIM_400000_NS6detail17trampoline_kernelINS0_14default_configENS1_27scan_by_key_config_selectorIj11FixedVectorIiLj2EEEEZZNS1_16scan_by_key_implILNS1_25lookback_scan_determinismE0ELb0ES3_N6thrust23THRUST_200600_302600_NS6detail15normal_iteratorINSB_10device_ptrIjEEEENSD_INSE_IS6_EEEESI_S6_NSB_4plusIvEENSB_8equal_toIvEES6_EE10hipError_tPvRmT2_T3_T4_T5_mT6_T7_P12ihipStream_tbENKUlT_T0_E_clISt17integral_constantIbLb0EES13_EEDaSY_SZ_EUlSY_E_NS1_11comp_targetILNS1_3genE10ELNS1_11target_archE1201ELNS1_3gpuE5ELNS1_3repE0EEENS1_30default_config_static_selectorELNS0_4arch9wavefront6targetE0EEEvT1_,"axG",@progbits,_ZN7rocprim17ROCPRIM_400000_NS6detail17trampoline_kernelINS0_14default_configENS1_27scan_by_key_config_selectorIj11FixedVectorIiLj2EEEEZZNS1_16scan_by_key_implILNS1_25lookback_scan_determinismE0ELb0ES3_N6thrust23THRUST_200600_302600_NS6detail15normal_iteratorINSB_10device_ptrIjEEEENSD_INSE_IS6_EEEESI_S6_NSB_4plusIvEENSB_8equal_toIvEES6_EE10hipError_tPvRmT2_T3_T4_T5_mT6_T7_P12ihipStream_tbENKUlT_T0_E_clISt17integral_constantIbLb0EES13_EEDaSY_SZ_EUlSY_E_NS1_11comp_targetILNS1_3genE10ELNS1_11target_archE1201ELNS1_3gpuE5ELNS1_3repE0EEENS1_30default_config_static_selectorELNS0_4arch9wavefront6targetE0EEEvT1_,comdat
	.protected	_ZN7rocprim17ROCPRIM_400000_NS6detail17trampoline_kernelINS0_14default_configENS1_27scan_by_key_config_selectorIj11FixedVectorIiLj2EEEEZZNS1_16scan_by_key_implILNS1_25lookback_scan_determinismE0ELb0ES3_N6thrust23THRUST_200600_302600_NS6detail15normal_iteratorINSB_10device_ptrIjEEEENSD_INSE_IS6_EEEESI_S6_NSB_4plusIvEENSB_8equal_toIvEES6_EE10hipError_tPvRmT2_T3_T4_T5_mT6_T7_P12ihipStream_tbENKUlT_T0_E_clISt17integral_constantIbLb0EES13_EEDaSY_SZ_EUlSY_E_NS1_11comp_targetILNS1_3genE10ELNS1_11target_archE1201ELNS1_3gpuE5ELNS1_3repE0EEENS1_30default_config_static_selectorELNS0_4arch9wavefront6targetE0EEEvT1_ ; -- Begin function _ZN7rocprim17ROCPRIM_400000_NS6detail17trampoline_kernelINS0_14default_configENS1_27scan_by_key_config_selectorIj11FixedVectorIiLj2EEEEZZNS1_16scan_by_key_implILNS1_25lookback_scan_determinismE0ELb0ES3_N6thrust23THRUST_200600_302600_NS6detail15normal_iteratorINSB_10device_ptrIjEEEENSD_INSE_IS6_EEEESI_S6_NSB_4plusIvEENSB_8equal_toIvEES6_EE10hipError_tPvRmT2_T3_T4_T5_mT6_T7_P12ihipStream_tbENKUlT_T0_E_clISt17integral_constantIbLb0EES13_EEDaSY_SZ_EUlSY_E_NS1_11comp_targetILNS1_3genE10ELNS1_11target_archE1201ELNS1_3gpuE5ELNS1_3repE0EEENS1_30default_config_static_selectorELNS0_4arch9wavefront6targetE0EEEvT1_
	.globl	_ZN7rocprim17ROCPRIM_400000_NS6detail17trampoline_kernelINS0_14default_configENS1_27scan_by_key_config_selectorIj11FixedVectorIiLj2EEEEZZNS1_16scan_by_key_implILNS1_25lookback_scan_determinismE0ELb0ES3_N6thrust23THRUST_200600_302600_NS6detail15normal_iteratorINSB_10device_ptrIjEEEENSD_INSE_IS6_EEEESI_S6_NSB_4plusIvEENSB_8equal_toIvEES6_EE10hipError_tPvRmT2_T3_T4_T5_mT6_T7_P12ihipStream_tbENKUlT_T0_E_clISt17integral_constantIbLb0EES13_EEDaSY_SZ_EUlSY_E_NS1_11comp_targetILNS1_3genE10ELNS1_11target_archE1201ELNS1_3gpuE5ELNS1_3repE0EEENS1_30default_config_static_selectorELNS0_4arch9wavefront6targetE0EEEvT1_
	.p2align	8
	.type	_ZN7rocprim17ROCPRIM_400000_NS6detail17trampoline_kernelINS0_14default_configENS1_27scan_by_key_config_selectorIj11FixedVectorIiLj2EEEEZZNS1_16scan_by_key_implILNS1_25lookback_scan_determinismE0ELb0ES3_N6thrust23THRUST_200600_302600_NS6detail15normal_iteratorINSB_10device_ptrIjEEEENSD_INSE_IS6_EEEESI_S6_NSB_4plusIvEENSB_8equal_toIvEES6_EE10hipError_tPvRmT2_T3_T4_T5_mT6_T7_P12ihipStream_tbENKUlT_T0_E_clISt17integral_constantIbLb0EES13_EEDaSY_SZ_EUlSY_E_NS1_11comp_targetILNS1_3genE10ELNS1_11target_archE1201ELNS1_3gpuE5ELNS1_3repE0EEENS1_30default_config_static_selectorELNS0_4arch9wavefront6targetE0EEEvT1_,@function
_ZN7rocprim17ROCPRIM_400000_NS6detail17trampoline_kernelINS0_14default_configENS1_27scan_by_key_config_selectorIj11FixedVectorIiLj2EEEEZZNS1_16scan_by_key_implILNS1_25lookback_scan_determinismE0ELb0ES3_N6thrust23THRUST_200600_302600_NS6detail15normal_iteratorINSB_10device_ptrIjEEEENSD_INSE_IS6_EEEESI_S6_NSB_4plusIvEENSB_8equal_toIvEES6_EE10hipError_tPvRmT2_T3_T4_T5_mT6_T7_P12ihipStream_tbENKUlT_T0_E_clISt17integral_constantIbLb0EES13_EEDaSY_SZ_EUlSY_E_NS1_11comp_targetILNS1_3genE10ELNS1_11target_archE1201ELNS1_3gpuE5ELNS1_3repE0EEENS1_30default_config_static_selectorELNS0_4arch9wavefront6targetE0EEEvT1_: ; @_ZN7rocprim17ROCPRIM_400000_NS6detail17trampoline_kernelINS0_14default_configENS1_27scan_by_key_config_selectorIj11FixedVectorIiLj2EEEEZZNS1_16scan_by_key_implILNS1_25lookback_scan_determinismE0ELb0ES3_N6thrust23THRUST_200600_302600_NS6detail15normal_iteratorINSB_10device_ptrIjEEEENSD_INSE_IS6_EEEESI_S6_NSB_4plusIvEENSB_8equal_toIvEES6_EE10hipError_tPvRmT2_T3_T4_T5_mT6_T7_P12ihipStream_tbENKUlT_T0_E_clISt17integral_constantIbLb0EES13_EEDaSY_SZ_EUlSY_E_NS1_11comp_targetILNS1_3genE10ELNS1_11target_archE1201ELNS1_3gpuE5ELNS1_3repE0EEENS1_30default_config_static_selectorELNS0_4arch9wavefront6targetE0EEEvT1_
; %bb.0:
	.section	.rodata,"a",@progbits
	.p2align	6, 0x0
	.amdhsa_kernel _ZN7rocprim17ROCPRIM_400000_NS6detail17trampoline_kernelINS0_14default_configENS1_27scan_by_key_config_selectorIj11FixedVectorIiLj2EEEEZZNS1_16scan_by_key_implILNS1_25lookback_scan_determinismE0ELb0ES3_N6thrust23THRUST_200600_302600_NS6detail15normal_iteratorINSB_10device_ptrIjEEEENSD_INSE_IS6_EEEESI_S6_NSB_4plusIvEENSB_8equal_toIvEES6_EE10hipError_tPvRmT2_T3_T4_T5_mT6_T7_P12ihipStream_tbENKUlT_T0_E_clISt17integral_constantIbLb0EES13_EEDaSY_SZ_EUlSY_E_NS1_11comp_targetILNS1_3genE10ELNS1_11target_archE1201ELNS1_3gpuE5ELNS1_3repE0EEENS1_30default_config_static_selectorELNS0_4arch9wavefront6targetE0EEEvT1_
		.amdhsa_group_segment_fixed_size 0
		.amdhsa_private_segment_fixed_size 0
		.amdhsa_kernarg_size 120
		.amdhsa_user_sgpr_count 6
		.amdhsa_user_sgpr_private_segment_buffer 1
		.amdhsa_user_sgpr_dispatch_ptr 0
		.amdhsa_user_sgpr_queue_ptr 0
		.amdhsa_user_sgpr_kernarg_segment_ptr 1
		.amdhsa_user_sgpr_dispatch_id 0
		.amdhsa_user_sgpr_flat_scratch_init 0
		.amdhsa_user_sgpr_private_segment_size 0
		.amdhsa_wavefront_size32 1
		.amdhsa_uses_dynamic_stack 0
		.amdhsa_system_sgpr_private_segment_wavefront_offset 0
		.amdhsa_system_sgpr_workgroup_id_x 1
		.amdhsa_system_sgpr_workgroup_id_y 0
		.amdhsa_system_sgpr_workgroup_id_z 0
		.amdhsa_system_sgpr_workgroup_info 0
		.amdhsa_system_vgpr_workitem_id 0
		.amdhsa_next_free_vgpr 1
		.amdhsa_next_free_sgpr 1
		.amdhsa_reserve_vcc 0
		.amdhsa_reserve_flat_scratch 0
		.amdhsa_float_round_mode_32 0
		.amdhsa_float_round_mode_16_64 0
		.amdhsa_float_denorm_mode_32 3
		.amdhsa_float_denorm_mode_16_64 3
		.amdhsa_dx10_clamp 1
		.amdhsa_ieee_mode 1
		.amdhsa_fp16_overflow 0
		.amdhsa_workgroup_processor_mode 1
		.amdhsa_memory_ordered 1
		.amdhsa_forward_progress 1
		.amdhsa_shared_vgpr_count 0
		.amdhsa_exception_fp_ieee_invalid_op 0
		.amdhsa_exception_fp_denorm_src 0
		.amdhsa_exception_fp_ieee_div_zero 0
		.amdhsa_exception_fp_ieee_overflow 0
		.amdhsa_exception_fp_ieee_underflow 0
		.amdhsa_exception_fp_ieee_inexact 0
		.amdhsa_exception_int_div_zero 0
	.end_amdhsa_kernel
	.section	.text._ZN7rocprim17ROCPRIM_400000_NS6detail17trampoline_kernelINS0_14default_configENS1_27scan_by_key_config_selectorIj11FixedVectorIiLj2EEEEZZNS1_16scan_by_key_implILNS1_25lookback_scan_determinismE0ELb0ES3_N6thrust23THRUST_200600_302600_NS6detail15normal_iteratorINSB_10device_ptrIjEEEENSD_INSE_IS6_EEEESI_S6_NSB_4plusIvEENSB_8equal_toIvEES6_EE10hipError_tPvRmT2_T3_T4_T5_mT6_T7_P12ihipStream_tbENKUlT_T0_E_clISt17integral_constantIbLb0EES13_EEDaSY_SZ_EUlSY_E_NS1_11comp_targetILNS1_3genE10ELNS1_11target_archE1201ELNS1_3gpuE5ELNS1_3repE0EEENS1_30default_config_static_selectorELNS0_4arch9wavefront6targetE0EEEvT1_,"axG",@progbits,_ZN7rocprim17ROCPRIM_400000_NS6detail17trampoline_kernelINS0_14default_configENS1_27scan_by_key_config_selectorIj11FixedVectorIiLj2EEEEZZNS1_16scan_by_key_implILNS1_25lookback_scan_determinismE0ELb0ES3_N6thrust23THRUST_200600_302600_NS6detail15normal_iteratorINSB_10device_ptrIjEEEENSD_INSE_IS6_EEEESI_S6_NSB_4plusIvEENSB_8equal_toIvEES6_EE10hipError_tPvRmT2_T3_T4_T5_mT6_T7_P12ihipStream_tbENKUlT_T0_E_clISt17integral_constantIbLb0EES13_EEDaSY_SZ_EUlSY_E_NS1_11comp_targetILNS1_3genE10ELNS1_11target_archE1201ELNS1_3gpuE5ELNS1_3repE0EEENS1_30default_config_static_selectorELNS0_4arch9wavefront6targetE0EEEvT1_,comdat
.Lfunc_end1952:
	.size	_ZN7rocprim17ROCPRIM_400000_NS6detail17trampoline_kernelINS0_14default_configENS1_27scan_by_key_config_selectorIj11FixedVectorIiLj2EEEEZZNS1_16scan_by_key_implILNS1_25lookback_scan_determinismE0ELb0ES3_N6thrust23THRUST_200600_302600_NS6detail15normal_iteratorINSB_10device_ptrIjEEEENSD_INSE_IS6_EEEESI_S6_NSB_4plusIvEENSB_8equal_toIvEES6_EE10hipError_tPvRmT2_T3_T4_T5_mT6_T7_P12ihipStream_tbENKUlT_T0_E_clISt17integral_constantIbLb0EES13_EEDaSY_SZ_EUlSY_E_NS1_11comp_targetILNS1_3genE10ELNS1_11target_archE1201ELNS1_3gpuE5ELNS1_3repE0EEENS1_30default_config_static_selectorELNS0_4arch9wavefront6targetE0EEEvT1_, .Lfunc_end1952-_ZN7rocprim17ROCPRIM_400000_NS6detail17trampoline_kernelINS0_14default_configENS1_27scan_by_key_config_selectorIj11FixedVectorIiLj2EEEEZZNS1_16scan_by_key_implILNS1_25lookback_scan_determinismE0ELb0ES3_N6thrust23THRUST_200600_302600_NS6detail15normal_iteratorINSB_10device_ptrIjEEEENSD_INSE_IS6_EEEESI_S6_NSB_4plusIvEENSB_8equal_toIvEES6_EE10hipError_tPvRmT2_T3_T4_T5_mT6_T7_P12ihipStream_tbENKUlT_T0_E_clISt17integral_constantIbLb0EES13_EEDaSY_SZ_EUlSY_E_NS1_11comp_targetILNS1_3genE10ELNS1_11target_archE1201ELNS1_3gpuE5ELNS1_3repE0EEENS1_30default_config_static_selectorELNS0_4arch9wavefront6targetE0EEEvT1_
                                        ; -- End function
	.set _ZN7rocprim17ROCPRIM_400000_NS6detail17trampoline_kernelINS0_14default_configENS1_27scan_by_key_config_selectorIj11FixedVectorIiLj2EEEEZZNS1_16scan_by_key_implILNS1_25lookback_scan_determinismE0ELb0ES3_N6thrust23THRUST_200600_302600_NS6detail15normal_iteratorINSB_10device_ptrIjEEEENSD_INSE_IS6_EEEESI_S6_NSB_4plusIvEENSB_8equal_toIvEES6_EE10hipError_tPvRmT2_T3_T4_T5_mT6_T7_P12ihipStream_tbENKUlT_T0_E_clISt17integral_constantIbLb0EES13_EEDaSY_SZ_EUlSY_E_NS1_11comp_targetILNS1_3genE10ELNS1_11target_archE1201ELNS1_3gpuE5ELNS1_3repE0EEENS1_30default_config_static_selectorELNS0_4arch9wavefront6targetE0EEEvT1_.num_vgpr, 0
	.set _ZN7rocprim17ROCPRIM_400000_NS6detail17trampoline_kernelINS0_14default_configENS1_27scan_by_key_config_selectorIj11FixedVectorIiLj2EEEEZZNS1_16scan_by_key_implILNS1_25lookback_scan_determinismE0ELb0ES3_N6thrust23THRUST_200600_302600_NS6detail15normal_iteratorINSB_10device_ptrIjEEEENSD_INSE_IS6_EEEESI_S6_NSB_4plusIvEENSB_8equal_toIvEES6_EE10hipError_tPvRmT2_T3_T4_T5_mT6_T7_P12ihipStream_tbENKUlT_T0_E_clISt17integral_constantIbLb0EES13_EEDaSY_SZ_EUlSY_E_NS1_11comp_targetILNS1_3genE10ELNS1_11target_archE1201ELNS1_3gpuE5ELNS1_3repE0EEENS1_30default_config_static_selectorELNS0_4arch9wavefront6targetE0EEEvT1_.num_agpr, 0
	.set _ZN7rocprim17ROCPRIM_400000_NS6detail17trampoline_kernelINS0_14default_configENS1_27scan_by_key_config_selectorIj11FixedVectorIiLj2EEEEZZNS1_16scan_by_key_implILNS1_25lookback_scan_determinismE0ELb0ES3_N6thrust23THRUST_200600_302600_NS6detail15normal_iteratorINSB_10device_ptrIjEEEENSD_INSE_IS6_EEEESI_S6_NSB_4plusIvEENSB_8equal_toIvEES6_EE10hipError_tPvRmT2_T3_T4_T5_mT6_T7_P12ihipStream_tbENKUlT_T0_E_clISt17integral_constantIbLb0EES13_EEDaSY_SZ_EUlSY_E_NS1_11comp_targetILNS1_3genE10ELNS1_11target_archE1201ELNS1_3gpuE5ELNS1_3repE0EEENS1_30default_config_static_selectorELNS0_4arch9wavefront6targetE0EEEvT1_.numbered_sgpr, 0
	.set _ZN7rocprim17ROCPRIM_400000_NS6detail17trampoline_kernelINS0_14default_configENS1_27scan_by_key_config_selectorIj11FixedVectorIiLj2EEEEZZNS1_16scan_by_key_implILNS1_25lookback_scan_determinismE0ELb0ES3_N6thrust23THRUST_200600_302600_NS6detail15normal_iteratorINSB_10device_ptrIjEEEENSD_INSE_IS6_EEEESI_S6_NSB_4plusIvEENSB_8equal_toIvEES6_EE10hipError_tPvRmT2_T3_T4_T5_mT6_T7_P12ihipStream_tbENKUlT_T0_E_clISt17integral_constantIbLb0EES13_EEDaSY_SZ_EUlSY_E_NS1_11comp_targetILNS1_3genE10ELNS1_11target_archE1201ELNS1_3gpuE5ELNS1_3repE0EEENS1_30default_config_static_selectorELNS0_4arch9wavefront6targetE0EEEvT1_.num_named_barrier, 0
	.set _ZN7rocprim17ROCPRIM_400000_NS6detail17trampoline_kernelINS0_14default_configENS1_27scan_by_key_config_selectorIj11FixedVectorIiLj2EEEEZZNS1_16scan_by_key_implILNS1_25lookback_scan_determinismE0ELb0ES3_N6thrust23THRUST_200600_302600_NS6detail15normal_iteratorINSB_10device_ptrIjEEEENSD_INSE_IS6_EEEESI_S6_NSB_4plusIvEENSB_8equal_toIvEES6_EE10hipError_tPvRmT2_T3_T4_T5_mT6_T7_P12ihipStream_tbENKUlT_T0_E_clISt17integral_constantIbLb0EES13_EEDaSY_SZ_EUlSY_E_NS1_11comp_targetILNS1_3genE10ELNS1_11target_archE1201ELNS1_3gpuE5ELNS1_3repE0EEENS1_30default_config_static_selectorELNS0_4arch9wavefront6targetE0EEEvT1_.private_seg_size, 0
	.set _ZN7rocprim17ROCPRIM_400000_NS6detail17trampoline_kernelINS0_14default_configENS1_27scan_by_key_config_selectorIj11FixedVectorIiLj2EEEEZZNS1_16scan_by_key_implILNS1_25lookback_scan_determinismE0ELb0ES3_N6thrust23THRUST_200600_302600_NS6detail15normal_iteratorINSB_10device_ptrIjEEEENSD_INSE_IS6_EEEESI_S6_NSB_4plusIvEENSB_8equal_toIvEES6_EE10hipError_tPvRmT2_T3_T4_T5_mT6_T7_P12ihipStream_tbENKUlT_T0_E_clISt17integral_constantIbLb0EES13_EEDaSY_SZ_EUlSY_E_NS1_11comp_targetILNS1_3genE10ELNS1_11target_archE1201ELNS1_3gpuE5ELNS1_3repE0EEENS1_30default_config_static_selectorELNS0_4arch9wavefront6targetE0EEEvT1_.uses_vcc, 0
	.set _ZN7rocprim17ROCPRIM_400000_NS6detail17trampoline_kernelINS0_14default_configENS1_27scan_by_key_config_selectorIj11FixedVectorIiLj2EEEEZZNS1_16scan_by_key_implILNS1_25lookback_scan_determinismE0ELb0ES3_N6thrust23THRUST_200600_302600_NS6detail15normal_iteratorINSB_10device_ptrIjEEEENSD_INSE_IS6_EEEESI_S6_NSB_4plusIvEENSB_8equal_toIvEES6_EE10hipError_tPvRmT2_T3_T4_T5_mT6_T7_P12ihipStream_tbENKUlT_T0_E_clISt17integral_constantIbLb0EES13_EEDaSY_SZ_EUlSY_E_NS1_11comp_targetILNS1_3genE10ELNS1_11target_archE1201ELNS1_3gpuE5ELNS1_3repE0EEENS1_30default_config_static_selectorELNS0_4arch9wavefront6targetE0EEEvT1_.uses_flat_scratch, 0
	.set _ZN7rocprim17ROCPRIM_400000_NS6detail17trampoline_kernelINS0_14default_configENS1_27scan_by_key_config_selectorIj11FixedVectorIiLj2EEEEZZNS1_16scan_by_key_implILNS1_25lookback_scan_determinismE0ELb0ES3_N6thrust23THRUST_200600_302600_NS6detail15normal_iteratorINSB_10device_ptrIjEEEENSD_INSE_IS6_EEEESI_S6_NSB_4plusIvEENSB_8equal_toIvEES6_EE10hipError_tPvRmT2_T3_T4_T5_mT6_T7_P12ihipStream_tbENKUlT_T0_E_clISt17integral_constantIbLb0EES13_EEDaSY_SZ_EUlSY_E_NS1_11comp_targetILNS1_3genE10ELNS1_11target_archE1201ELNS1_3gpuE5ELNS1_3repE0EEENS1_30default_config_static_selectorELNS0_4arch9wavefront6targetE0EEEvT1_.has_dyn_sized_stack, 0
	.set _ZN7rocprim17ROCPRIM_400000_NS6detail17trampoline_kernelINS0_14default_configENS1_27scan_by_key_config_selectorIj11FixedVectorIiLj2EEEEZZNS1_16scan_by_key_implILNS1_25lookback_scan_determinismE0ELb0ES3_N6thrust23THRUST_200600_302600_NS6detail15normal_iteratorINSB_10device_ptrIjEEEENSD_INSE_IS6_EEEESI_S6_NSB_4plusIvEENSB_8equal_toIvEES6_EE10hipError_tPvRmT2_T3_T4_T5_mT6_T7_P12ihipStream_tbENKUlT_T0_E_clISt17integral_constantIbLb0EES13_EEDaSY_SZ_EUlSY_E_NS1_11comp_targetILNS1_3genE10ELNS1_11target_archE1201ELNS1_3gpuE5ELNS1_3repE0EEENS1_30default_config_static_selectorELNS0_4arch9wavefront6targetE0EEEvT1_.has_recursion, 0
	.set _ZN7rocprim17ROCPRIM_400000_NS6detail17trampoline_kernelINS0_14default_configENS1_27scan_by_key_config_selectorIj11FixedVectorIiLj2EEEEZZNS1_16scan_by_key_implILNS1_25lookback_scan_determinismE0ELb0ES3_N6thrust23THRUST_200600_302600_NS6detail15normal_iteratorINSB_10device_ptrIjEEEENSD_INSE_IS6_EEEESI_S6_NSB_4plusIvEENSB_8equal_toIvEES6_EE10hipError_tPvRmT2_T3_T4_T5_mT6_T7_P12ihipStream_tbENKUlT_T0_E_clISt17integral_constantIbLb0EES13_EEDaSY_SZ_EUlSY_E_NS1_11comp_targetILNS1_3genE10ELNS1_11target_archE1201ELNS1_3gpuE5ELNS1_3repE0EEENS1_30default_config_static_selectorELNS0_4arch9wavefront6targetE0EEEvT1_.has_indirect_call, 0
	.section	.AMDGPU.csdata,"",@progbits
; Kernel info:
; codeLenInByte = 0
; TotalNumSgprs: 0
; NumVgprs: 0
; ScratchSize: 0
; MemoryBound: 0
; FloatMode: 240
; IeeeMode: 1
; LDSByteSize: 0 bytes/workgroup (compile time only)
; SGPRBlocks: 0
; VGPRBlocks: 0
; NumSGPRsForWavesPerEU: 1
; NumVGPRsForWavesPerEU: 1
; Occupancy: 16
; WaveLimiterHint : 0
; COMPUTE_PGM_RSRC2:SCRATCH_EN: 0
; COMPUTE_PGM_RSRC2:USER_SGPR: 6
; COMPUTE_PGM_RSRC2:TRAP_HANDLER: 0
; COMPUTE_PGM_RSRC2:TGID_X_EN: 1
; COMPUTE_PGM_RSRC2:TGID_Y_EN: 0
; COMPUTE_PGM_RSRC2:TGID_Z_EN: 0
; COMPUTE_PGM_RSRC2:TIDIG_COMP_CNT: 0
	.section	.text._ZN7rocprim17ROCPRIM_400000_NS6detail17trampoline_kernelINS0_14default_configENS1_27scan_by_key_config_selectorIj11FixedVectorIiLj2EEEEZZNS1_16scan_by_key_implILNS1_25lookback_scan_determinismE0ELb0ES3_N6thrust23THRUST_200600_302600_NS6detail15normal_iteratorINSB_10device_ptrIjEEEENSD_INSE_IS6_EEEESI_S6_NSB_4plusIvEENSB_8equal_toIvEES6_EE10hipError_tPvRmT2_T3_T4_T5_mT6_T7_P12ihipStream_tbENKUlT_T0_E_clISt17integral_constantIbLb0EES13_EEDaSY_SZ_EUlSY_E_NS1_11comp_targetILNS1_3genE5ELNS1_11target_archE942ELNS1_3gpuE9ELNS1_3repE0EEENS1_30default_config_static_selectorELNS0_4arch9wavefront6targetE0EEEvT1_,"axG",@progbits,_ZN7rocprim17ROCPRIM_400000_NS6detail17trampoline_kernelINS0_14default_configENS1_27scan_by_key_config_selectorIj11FixedVectorIiLj2EEEEZZNS1_16scan_by_key_implILNS1_25lookback_scan_determinismE0ELb0ES3_N6thrust23THRUST_200600_302600_NS6detail15normal_iteratorINSB_10device_ptrIjEEEENSD_INSE_IS6_EEEESI_S6_NSB_4plusIvEENSB_8equal_toIvEES6_EE10hipError_tPvRmT2_T3_T4_T5_mT6_T7_P12ihipStream_tbENKUlT_T0_E_clISt17integral_constantIbLb0EES13_EEDaSY_SZ_EUlSY_E_NS1_11comp_targetILNS1_3genE5ELNS1_11target_archE942ELNS1_3gpuE9ELNS1_3repE0EEENS1_30default_config_static_selectorELNS0_4arch9wavefront6targetE0EEEvT1_,comdat
	.protected	_ZN7rocprim17ROCPRIM_400000_NS6detail17trampoline_kernelINS0_14default_configENS1_27scan_by_key_config_selectorIj11FixedVectorIiLj2EEEEZZNS1_16scan_by_key_implILNS1_25lookback_scan_determinismE0ELb0ES3_N6thrust23THRUST_200600_302600_NS6detail15normal_iteratorINSB_10device_ptrIjEEEENSD_INSE_IS6_EEEESI_S6_NSB_4plusIvEENSB_8equal_toIvEES6_EE10hipError_tPvRmT2_T3_T4_T5_mT6_T7_P12ihipStream_tbENKUlT_T0_E_clISt17integral_constantIbLb0EES13_EEDaSY_SZ_EUlSY_E_NS1_11comp_targetILNS1_3genE5ELNS1_11target_archE942ELNS1_3gpuE9ELNS1_3repE0EEENS1_30default_config_static_selectorELNS0_4arch9wavefront6targetE0EEEvT1_ ; -- Begin function _ZN7rocprim17ROCPRIM_400000_NS6detail17trampoline_kernelINS0_14default_configENS1_27scan_by_key_config_selectorIj11FixedVectorIiLj2EEEEZZNS1_16scan_by_key_implILNS1_25lookback_scan_determinismE0ELb0ES3_N6thrust23THRUST_200600_302600_NS6detail15normal_iteratorINSB_10device_ptrIjEEEENSD_INSE_IS6_EEEESI_S6_NSB_4plusIvEENSB_8equal_toIvEES6_EE10hipError_tPvRmT2_T3_T4_T5_mT6_T7_P12ihipStream_tbENKUlT_T0_E_clISt17integral_constantIbLb0EES13_EEDaSY_SZ_EUlSY_E_NS1_11comp_targetILNS1_3genE5ELNS1_11target_archE942ELNS1_3gpuE9ELNS1_3repE0EEENS1_30default_config_static_selectorELNS0_4arch9wavefront6targetE0EEEvT1_
	.globl	_ZN7rocprim17ROCPRIM_400000_NS6detail17trampoline_kernelINS0_14default_configENS1_27scan_by_key_config_selectorIj11FixedVectorIiLj2EEEEZZNS1_16scan_by_key_implILNS1_25lookback_scan_determinismE0ELb0ES3_N6thrust23THRUST_200600_302600_NS6detail15normal_iteratorINSB_10device_ptrIjEEEENSD_INSE_IS6_EEEESI_S6_NSB_4plusIvEENSB_8equal_toIvEES6_EE10hipError_tPvRmT2_T3_T4_T5_mT6_T7_P12ihipStream_tbENKUlT_T0_E_clISt17integral_constantIbLb0EES13_EEDaSY_SZ_EUlSY_E_NS1_11comp_targetILNS1_3genE5ELNS1_11target_archE942ELNS1_3gpuE9ELNS1_3repE0EEENS1_30default_config_static_selectorELNS0_4arch9wavefront6targetE0EEEvT1_
	.p2align	8
	.type	_ZN7rocprim17ROCPRIM_400000_NS6detail17trampoline_kernelINS0_14default_configENS1_27scan_by_key_config_selectorIj11FixedVectorIiLj2EEEEZZNS1_16scan_by_key_implILNS1_25lookback_scan_determinismE0ELb0ES3_N6thrust23THRUST_200600_302600_NS6detail15normal_iteratorINSB_10device_ptrIjEEEENSD_INSE_IS6_EEEESI_S6_NSB_4plusIvEENSB_8equal_toIvEES6_EE10hipError_tPvRmT2_T3_T4_T5_mT6_T7_P12ihipStream_tbENKUlT_T0_E_clISt17integral_constantIbLb0EES13_EEDaSY_SZ_EUlSY_E_NS1_11comp_targetILNS1_3genE5ELNS1_11target_archE942ELNS1_3gpuE9ELNS1_3repE0EEENS1_30default_config_static_selectorELNS0_4arch9wavefront6targetE0EEEvT1_,@function
_ZN7rocprim17ROCPRIM_400000_NS6detail17trampoline_kernelINS0_14default_configENS1_27scan_by_key_config_selectorIj11FixedVectorIiLj2EEEEZZNS1_16scan_by_key_implILNS1_25lookback_scan_determinismE0ELb0ES3_N6thrust23THRUST_200600_302600_NS6detail15normal_iteratorINSB_10device_ptrIjEEEENSD_INSE_IS6_EEEESI_S6_NSB_4plusIvEENSB_8equal_toIvEES6_EE10hipError_tPvRmT2_T3_T4_T5_mT6_T7_P12ihipStream_tbENKUlT_T0_E_clISt17integral_constantIbLb0EES13_EEDaSY_SZ_EUlSY_E_NS1_11comp_targetILNS1_3genE5ELNS1_11target_archE942ELNS1_3gpuE9ELNS1_3repE0EEENS1_30default_config_static_selectorELNS0_4arch9wavefront6targetE0EEEvT1_: ; @_ZN7rocprim17ROCPRIM_400000_NS6detail17trampoline_kernelINS0_14default_configENS1_27scan_by_key_config_selectorIj11FixedVectorIiLj2EEEEZZNS1_16scan_by_key_implILNS1_25lookback_scan_determinismE0ELb0ES3_N6thrust23THRUST_200600_302600_NS6detail15normal_iteratorINSB_10device_ptrIjEEEENSD_INSE_IS6_EEEESI_S6_NSB_4plusIvEENSB_8equal_toIvEES6_EE10hipError_tPvRmT2_T3_T4_T5_mT6_T7_P12ihipStream_tbENKUlT_T0_E_clISt17integral_constantIbLb0EES13_EEDaSY_SZ_EUlSY_E_NS1_11comp_targetILNS1_3genE5ELNS1_11target_archE942ELNS1_3gpuE9ELNS1_3repE0EEENS1_30default_config_static_selectorELNS0_4arch9wavefront6targetE0EEEvT1_
; %bb.0:
	.section	.rodata,"a",@progbits
	.p2align	6, 0x0
	.amdhsa_kernel _ZN7rocprim17ROCPRIM_400000_NS6detail17trampoline_kernelINS0_14default_configENS1_27scan_by_key_config_selectorIj11FixedVectorIiLj2EEEEZZNS1_16scan_by_key_implILNS1_25lookback_scan_determinismE0ELb0ES3_N6thrust23THRUST_200600_302600_NS6detail15normal_iteratorINSB_10device_ptrIjEEEENSD_INSE_IS6_EEEESI_S6_NSB_4plusIvEENSB_8equal_toIvEES6_EE10hipError_tPvRmT2_T3_T4_T5_mT6_T7_P12ihipStream_tbENKUlT_T0_E_clISt17integral_constantIbLb0EES13_EEDaSY_SZ_EUlSY_E_NS1_11comp_targetILNS1_3genE5ELNS1_11target_archE942ELNS1_3gpuE9ELNS1_3repE0EEENS1_30default_config_static_selectorELNS0_4arch9wavefront6targetE0EEEvT1_
		.amdhsa_group_segment_fixed_size 0
		.amdhsa_private_segment_fixed_size 0
		.amdhsa_kernarg_size 120
		.amdhsa_user_sgpr_count 6
		.amdhsa_user_sgpr_private_segment_buffer 1
		.amdhsa_user_sgpr_dispatch_ptr 0
		.amdhsa_user_sgpr_queue_ptr 0
		.amdhsa_user_sgpr_kernarg_segment_ptr 1
		.amdhsa_user_sgpr_dispatch_id 0
		.amdhsa_user_sgpr_flat_scratch_init 0
		.amdhsa_user_sgpr_private_segment_size 0
		.amdhsa_wavefront_size32 1
		.amdhsa_uses_dynamic_stack 0
		.amdhsa_system_sgpr_private_segment_wavefront_offset 0
		.amdhsa_system_sgpr_workgroup_id_x 1
		.amdhsa_system_sgpr_workgroup_id_y 0
		.amdhsa_system_sgpr_workgroup_id_z 0
		.amdhsa_system_sgpr_workgroup_info 0
		.amdhsa_system_vgpr_workitem_id 0
		.amdhsa_next_free_vgpr 1
		.amdhsa_next_free_sgpr 1
		.amdhsa_reserve_vcc 0
		.amdhsa_reserve_flat_scratch 0
		.amdhsa_float_round_mode_32 0
		.amdhsa_float_round_mode_16_64 0
		.amdhsa_float_denorm_mode_32 3
		.amdhsa_float_denorm_mode_16_64 3
		.amdhsa_dx10_clamp 1
		.amdhsa_ieee_mode 1
		.amdhsa_fp16_overflow 0
		.amdhsa_workgroup_processor_mode 1
		.amdhsa_memory_ordered 1
		.amdhsa_forward_progress 1
		.amdhsa_shared_vgpr_count 0
		.amdhsa_exception_fp_ieee_invalid_op 0
		.amdhsa_exception_fp_denorm_src 0
		.amdhsa_exception_fp_ieee_div_zero 0
		.amdhsa_exception_fp_ieee_overflow 0
		.amdhsa_exception_fp_ieee_underflow 0
		.amdhsa_exception_fp_ieee_inexact 0
		.amdhsa_exception_int_div_zero 0
	.end_amdhsa_kernel
	.section	.text._ZN7rocprim17ROCPRIM_400000_NS6detail17trampoline_kernelINS0_14default_configENS1_27scan_by_key_config_selectorIj11FixedVectorIiLj2EEEEZZNS1_16scan_by_key_implILNS1_25lookback_scan_determinismE0ELb0ES3_N6thrust23THRUST_200600_302600_NS6detail15normal_iteratorINSB_10device_ptrIjEEEENSD_INSE_IS6_EEEESI_S6_NSB_4plusIvEENSB_8equal_toIvEES6_EE10hipError_tPvRmT2_T3_T4_T5_mT6_T7_P12ihipStream_tbENKUlT_T0_E_clISt17integral_constantIbLb0EES13_EEDaSY_SZ_EUlSY_E_NS1_11comp_targetILNS1_3genE5ELNS1_11target_archE942ELNS1_3gpuE9ELNS1_3repE0EEENS1_30default_config_static_selectorELNS0_4arch9wavefront6targetE0EEEvT1_,"axG",@progbits,_ZN7rocprim17ROCPRIM_400000_NS6detail17trampoline_kernelINS0_14default_configENS1_27scan_by_key_config_selectorIj11FixedVectorIiLj2EEEEZZNS1_16scan_by_key_implILNS1_25lookback_scan_determinismE0ELb0ES3_N6thrust23THRUST_200600_302600_NS6detail15normal_iteratorINSB_10device_ptrIjEEEENSD_INSE_IS6_EEEESI_S6_NSB_4plusIvEENSB_8equal_toIvEES6_EE10hipError_tPvRmT2_T3_T4_T5_mT6_T7_P12ihipStream_tbENKUlT_T0_E_clISt17integral_constantIbLb0EES13_EEDaSY_SZ_EUlSY_E_NS1_11comp_targetILNS1_3genE5ELNS1_11target_archE942ELNS1_3gpuE9ELNS1_3repE0EEENS1_30default_config_static_selectorELNS0_4arch9wavefront6targetE0EEEvT1_,comdat
.Lfunc_end1953:
	.size	_ZN7rocprim17ROCPRIM_400000_NS6detail17trampoline_kernelINS0_14default_configENS1_27scan_by_key_config_selectorIj11FixedVectorIiLj2EEEEZZNS1_16scan_by_key_implILNS1_25lookback_scan_determinismE0ELb0ES3_N6thrust23THRUST_200600_302600_NS6detail15normal_iteratorINSB_10device_ptrIjEEEENSD_INSE_IS6_EEEESI_S6_NSB_4plusIvEENSB_8equal_toIvEES6_EE10hipError_tPvRmT2_T3_T4_T5_mT6_T7_P12ihipStream_tbENKUlT_T0_E_clISt17integral_constantIbLb0EES13_EEDaSY_SZ_EUlSY_E_NS1_11comp_targetILNS1_3genE5ELNS1_11target_archE942ELNS1_3gpuE9ELNS1_3repE0EEENS1_30default_config_static_selectorELNS0_4arch9wavefront6targetE0EEEvT1_, .Lfunc_end1953-_ZN7rocprim17ROCPRIM_400000_NS6detail17trampoline_kernelINS0_14default_configENS1_27scan_by_key_config_selectorIj11FixedVectorIiLj2EEEEZZNS1_16scan_by_key_implILNS1_25lookback_scan_determinismE0ELb0ES3_N6thrust23THRUST_200600_302600_NS6detail15normal_iteratorINSB_10device_ptrIjEEEENSD_INSE_IS6_EEEESI_S6_NSB_4plusIvEENSB_8equal_toIvEES6_EE10hipError_tPvRmT2_T3_T4_T5_mT6_T7_P12ihipStream_tbENKUlT_T0_E_clISt17integral_constantIbLb0EES13_EEDaSY_SZ_EUlSY_E_NS1_11comp_targetILNS1_3genE5ELNS1_11target_archE942ELNS1_3gpuE9ELNS1_3repE0EEENS1_30default_config_static_selectorELNS0_4arch9wavefront6targetE0EEEvT1_
                                        ; -- End function
	.set _ZN7rocprim17ROCPRIM_400000_NS6detail17trampoline_kernelINS0_14default_configENS1_27scan_by_key_config_selectorIj11FixedVectorIiLj2EEEEZZNS1_16scan_by_key_implILNS1_25lookback_scan_determinismE0ELb0ES3_N6thrust23THRUST_200600_302600_NS6detail15normal_iteratorINSB_10device_ptrIjEEEENSD_INSE_IS6_EEEESI_S6_NSB_4plusIvEENSB_8equal_toIvEES6_EE10hipError_tPvRmT2_T3_T4_T5_mT6_T7_P12ihipStream_tbENKUlT_T0_E_clISt17integral_constantIbLb0EES13_EEDaSY_SZ_EUlSY_E_NS1_11comp_targetILNS1_3genE5ELNS1_11target_archE942ELNS1_3gpuE9ELNS1_3repE0EEENS1_30default_config_static_selectorELNS0_4arch9wavefront6targetE0EEEvT1_.num_vgpr, 0
	.set _ZN7rocprim17ROCPRIM_400000_NS6detail17trampoline_kernelINS0_14default_configENS1_27scan_by_key_config_selectorIj11FixedVectorIiLj2EEEEZZNS1_16scan_by_key_implILNS1_25lookback_scan_determinismE0ELb0ES3_N6thrust23THRUST_200600_302600_NS6detail15normal_iteratorINSB_10device_ptrIjEEEENSD_INSE_IS6_EEEESI_S6_NSB_4plusIvEENSB_8equal_toIvEES6_EE10hipError_tPvRmT2_T3_T4_T5_mT6_T7_P12ihipStream_tbENKUlT_T0_E_clISt17integral_constantIbLb0EES13_EEDaSY_SZ_EUlSY_E_NS1_11comp_targetILNS1_3genE5ELNS1_11target_archE942ELNS1_3gpuE9ELNS1_3repE0EEENS1_30default_config_static_selectorELNS0_4arch9wavefront6targetE0EEEvT1_.num_agpr, 0
	.set _ZN7rocprim17ROCPRIM_400000_NS6detail17trampoline_kernelINS0_14default_configENS1_27scan_by_key_config_selectorIj11FixedVectorIiLj2EEEEZZNS1_16scan_by_key_implILNS1_25lookback_scan_determinismE0ELb0ES3_N6thrust23THRUST_200600_302600_NS6detail15normal_iteratorINSB_10device_ptrIjEEEENSD_INSE_IS6_EEEESI_S6_NSB_4plusIvEENSB_8equal_toIvEES6_EE10hipError_tPvRmT2_T3_T4_T5_mT6_T7_P12ihipStream_tbENKUlT_T0_E_clISt17integral_constantIbLb0EES13_EEDaSY_SZ_EUlSY_E_NS1_11comp_targetILNS1_3genE5ELNS1_11target_archE942ELNS1_3gpuE9ELNS1_3repE0EEENS1_30default_config_static_selectorELNS0_4arch9wavefront6targetE0EEEvT1_.numbered_sgpr, 0
	.set _ZN7rocprim17ROCPRIM_400000_NS6detail17trampoline_kernelINS0_14default_configENS1_27scan_by_key_config_selectorIj11FixedVectorIiLj2EEEEZZNS1_16scan_by_key_implILNS1_25lookback_scan_determinismE0ELb0ES3_N6thrust23THRUST_200600_302600_NS6detail15normal_iteratorINSB_10device_ptrIjEEEENSD_INSE_IS6_EEEESI_S6_NSB_4plusIvEENSB_8equal_toIvEES6_EE10hipError_tPvRmT2_T3_T4_T5_mT6_T7_P12ihipStream_tbENKUlT_T0_E_clISt17integral_constantIbLb0EES13_EEDaSY_SZ_EUlSY_E_NS1_11comp_targetILNS1_3genE5ELNS1_11target_archE942ELNS1_3gpuE9ELNS1_3repE0EEENS1_30default_config_static_selectorELNS0_4arch9wavefront6targetE0EEEvT1_.num_named_barrier, 0
	.set _ZN7rocprim17ROCPRIM_400000_NS6detail17trampoline_kernelINS0_14default_configENS1_27scan_by_key_config_selectorIj11FixedVectorIiLj2EEEEZZNS1_16scan_by_key_implILNS1_25lookback_scan_determinismE0ELb0ES3_N6thrust23THRUST_200600_302600_NS6detail15normal_iteratorINSB_10device_ptrIjEEEENSD_INSE_IS6_EEEESI_S6_NSB_4plusIvEENSB_8equal_toIvEES6_EE10hipError_tPvRmT2_T3_T4_T5_mT6_T7_P12ihipStream_tbENKUlT_T0_E_clISt17integral_constantIbLb0EES13_EEDaSY_SZ_EUlSY_E_NS1_11comp_targetILNS1_3genE5ELNS1_11target_archE942ELNS1_3gpuE9ELNS1_3repE0EEENS1_30default_config_static_selectorELNS0_4arch9wavefront6targetE0EEEvT1_.private_seg_size, 0
	.set _ZN7rocprim17ROCPRIM_400000_NS6detail17trampoline_kernelINS0_14default_configENS1_27scan_by_key_config_selectorIj11FixedVectorIiLj2EEEEZZNS1_16scan_by_key_implILNS1_25lookback_scan_determinismE0ELb0ES3_N6thrust23THRUST_200600_302600_NS6detail15normal_iteratorINSB_10device_ptrIjEEEENSD_INSE_IS6_EEEESI_S6_NSB_4plusIvEENSB_8equal_toIvEES6_EE10hipError_tPvRmT2_T3_T4_T5_mT6_T7_P12ihipStream_tbENKUlT_T0_E_clISt17integral_constantIbLb0EES13_EEDaSY_SZ_EUlSY_E_NS1_11comp_targetILNS1_3genE5ELNS1_11target_archE942ELNS1_3gpuE9ELNS1_3repE0EEENS1_30default_config_static_selectorELNS0_4arch9wavefront6targetE0EEEvT1_.uses_vcc, 0
	.set _ZN7rocprim17ROCPRIM_400000_NS6detail17trampoline_kernelINS0_14default_configENS1_27scan_by_key_config_selectorIj11FixedVectorIiLj2EEEEZZNS1_16scan_by_key_implILNS1_25lookback_scan_determinismE0ELb0ES3_N6thrust23THRUST_200600_302600_NS6detail15normal_iteratorINSB_10device_ptrIjEEEENSD_INSE_IS6_EEEESI_S6_NSB_4plusIvEENSB_8equal_toIvEES6_EE10hipError_tPvRmT2_T3_T4_T5_mT6_T7_P12ihipStream_tbENKUlT_T0_E_clISt17integral_constantIbLb0EES13_EEDaSY_SZ_EUlSY_E_NS1_11comp_targetILNS1_3genE5ELNS1_11target_archE942ELNS1_3gpuE9ELNS1_3repE0EEENS1_30default_config_static_selectorELNS0_4arch9wavefront6targetE0EEEvT1_.uses_flat_scratch, 0
	.set _ZN7rocprim17ROCPRIM_400000_NS6detail17trampoline_kernelINS0_14default_configENS1_27scan_by_key_config_selectorIj11FixedVectorIiLj2EEEEZZNS1_16scan_by_key_implILNS1_25lookback_scan_determinismE0ELb0ES3_N6thrust23THRUST_200600_302600_NS6detail15normal_iteratorINSB_10device_ptrIjEEEENSD_INSE_IS6_EEEESI_S6_NSB_4plusIvEENSB_8equal_toIvEES6_EE10hipError_tPvRmT2_T3_T4_T5_mT6_T7_P12ihipStream_tbENKUlT_T0_E_clISt17integral_constantIbLb0EES13_EEDaSY_SZ_EUlSY_E_NS1_11comp_targetILNS1_3genE5ELNS1_11target_archE942ELNS1_3gpuE9ELNS1_3repE0EEENS1_30default_config_static_selectorELNS0_4arch9wavefront6targetE0EEEvT1_.has_dyn_sized_stack, 0
	.set _ZN7rocprim17ROCPRIM_400000_NS6detail17trampoline_kernelINS0_14default_configENS1_27scan_by_key_config_selectorIj11FixedVectorIiLj2EEEEZZNS1_16scan_by_key_implILNS1_25lookback_scan_determinismE0ELb0ES3_N6thrust23THRUST_200600_302600_NS6detail15normal_iteratorINSB_10device_ptrIjEEEENSD_INSE_IS6_EEEESI_S6_NSB_4plusIvEENSB_8equal_toIvEES6_EE10hipError_tPvRmT2_T3_T4_T5_mT6_T7_P12ihipStream_tbENKUlT_T0_E_clISt17integral_constantIbLb0EES13_EEDaSY_SZ_EUlSY_E_NS1_11comp_targetILNS1_3genE5ELNS1_11target_archE942ELNS1_3gpuE9ELNS1_3repE0EEENS1_30default_config_static_selectorELNS0_4arch9wavefront6targetE0EEEvT1_.has_recursion, 0
	.set _ZN7rocprim17ROCPRIM_400000_NS6detail17trampoline_kernelINS0_14default_configENS1_27scan_by_key_config_selectorIj11FixedVectorIiLj2EEEEZZNS1_16scan_by_key_implILNS1_25lookback_scan_determinismE0ELb0ES3_N6thrust23THRUST_200600_302600_NS6detail15normal_iteratorINSB_10device_ptrIjEEEENSD_INSE_IS6_EEEESI_S6_NSB_4plusIvEENSB_8equal_toIvEES6_EE10hipError_tPvRmT2_T3_T4_T5_mT6_T7_P12ihipStream_tbENKUlT_T0_E_clISt17integral_constantIbLb0EES13_EEDaSY_SZ_EUlSY_E_NS1_11comp_targetILNS1_3genE5ELNS1_11target_archE942ELNS1_3gpuE9ELNS1_3repE0EEENS1_30default_config_static_selectorELNS0_4arch9wavefront6targetE0EEEvT1_.has_indirect_call, 0
	.section	.AMDGPU.csdata,"",@progbits
; Kernel info:
; codeLenInByte = 0
; TotalNumSgprs: 0
; NumVgprs: 0
; ScratchSize: 0
; MemoryBound: 0
; FloatMode: 240
; IeeeMode: 1
; LDSByteSize: 0 bytes/workgroup (compile time only)
; SGPRBlocks: 0
; VGPRBlocks: 0
; NumSGPRsForWavesPerEU: 1
; NumVGPRsForWavesPerEU: 1
; Occupancy: 16
; WaveLimiterHint : 0
; COMPUTE_PGM_RSRC2:SCRATCH_EN: 0
; COMPUTE_PGM_RSRC2:USER_SGPR: 6
; COMPUTE_PGM_RSRC2:TRAP_HANDLER: 0
; COMPUTE_PGM_RSRC2:TGID_X_EN: 1
; COMPUTE_PGM_RSRC2:TGID_Y_EN: 0
; COMPUTE_PGM_RSRC2:TGID_Z_EN: 0
; COMPUTE_PGM_RSRC2:TIDIG_COMP_CNT: 0
	.section	.text._ZN7rocprim17ROCPRIM_400000_NS6detail17trampoline_kernelINS0_14default_configENS1_27scan_by_key_config_selectorIj11FixedVectorIiLj2EEEEZZNS1_16scan_by_key_implILNS1_25lookback_scan_determinismE0ELb0ES3_N6thrust23THRUST_200600_302600_NS6detail15normal_iteratorINSB_10device_ptrIjEEEENSD_INSE_IS6_EEEESI_S6_NSB_4plusIvEENSB_8equal_toIvEES6_EE10hipError_tPvRmT2_T3_T4_T5_mT6_T7_P12ihipStream_tbENKUlT_T0_E_clISt17integral_constantIbLb0EES13_EEDaSY_SZ_EUlSY_E_NS1_11comp_targetILNS1_3genE4ELNS1_11target_archE910ELNS1_3gpuE8ELNS1_3repE0EEENS1_30default_config_static_selectorELNS0_4arch9wavefront6targetE0EEEvT1_,"axG",@progbits,_ZN7rocprim17ROCPRIM_400000_NS6detail17trampoline_kernelINS0_14default_configENS1_27scan_by_key_config_selectorIj11FixedVectorIiLj2EEEEZZNS1_16scan_by_key_implILNS1_25lookback_scan_determinismE0ELb0ES3_N6thrust23THRUST_200600_302600_NS6detail15normal_iteratorINSB_10device_ptrIjEEEENSD_INSE_IS6_EEEESI_S6_NSB_4plusIvEENSB_8equal_toIvEES6_EE10hipError_tPvRmT2_T3_T4_T5_mT6_T7_P12ihipStream_tbENKUlT_T0_E_clISt17integral_constantIbLb0EES13_EEDaSY_SZ_EUlSY_E_NS1_11comp_targetILNS1_3genE4ELNS1_11target_archE910ELNS1_3gpuE8ELNS1_3repE0EEENS1_30default_config_static_selectorELNS0_4arch9wavefront6targetE0EEEvT1_,comdat
	.protected	_ZN7rocprim17ROCPRIM_400000_NS6detail17trampoline_kernelINS0_14default_configENS1_27scan_by_key_config_selectorIj11FixedVectorIiLj2EEEEZZNS1_16scan_by_key_implILNS1_25lookback_scan_determinismE0ELb0ES3_N6thrust23THRUST_200600_302600_NS6detail15normal_iteratorINSB_10device_ptrIjEEEENSD_INSE_IS6_EEEESI_S6_NSB_4plusIvEENSB_8equal_toIvEES6_EE10hipError_tPvRmT2_T3_T4_T5_mT6_T7_P12ihipStream_tbENKUlT_T0_E_clISt17integral_constantIbLb0EES13_EEDaSY_SZ_EUlSY_E_NS1_11comp_targetILNS1_3genE4ELNS1_11target_archE910ELNS1_3gpuE8ELNS1_3repE0EEENS1_30default_config_static_selectorELNS0_4arch9wavefront6targetE0EEEvT1_ ; -- Begin function _ZN7rocprim17ROCPRIM_400000_NS6detail17trampoline_kernelINS0_14default_configENS1_27scan_by_key_config_selectorIj11FixedVectorIiLj2EEEEZZNS1_16scan_by_key_implILNS1_25lookback_scan_determinismE0ELb0ES3_N6thrust23THRUST_200600_302600_NS6detail15normal_iteratorINSB_10device_ptrIjEEEENSD_INSE_IS6_EEEESI_S6_NSB_4plusIvEENSB_8equal_toIvEES6_EE10hipError_tPvRmT2_T3_T4_T5_mT6_T7_P12ihipStream_tbENKUlT_T0_E_clISt17integral_constantIbLb0EES13_EEDaSY_SZ_EUlSY_E_NS1_11comp_targetILNS1_3genE4ELNS1_11target_archE910ELNS1_3gpuE8ELNS1_3repE0EEENS1_30default_config_static_selectorELNS0_4arch9wavefront6targetE0EEEvT1_
	.globl	_ZN7rocprim17ROCPRIM_400000_NS6detail17trampoline_kernelINS0_14default_configENS1_27scan_by_key_config_selectorIj11FixedVectorIiLj2EEEEZZNS1_16scan_by_key_implILNS1_25lookback_scan_determinismE0ELb0ES3_N6thrust23THRUST_200600_302600_NS6detail15normal_iteratorINSB_10device_ptrIjEEEENSD_INSE_IS6_EEEESI_S6_NSB_4plusIvEENSB_8equal_toIvEES6_EE10hipError_tPvRmT2_T3_T4_T5_mT6_T7_P12ihipStream_tbENKUlT_T0_E_clISt17integral_constantIbLb0EES13_EEDaSY_SZ_EUlSY_E_NS1_11comp_targetILNS1_3genE4ELNS1_11target_archE910ELNS1_3gpuE8ELNS1_3repE0EEENS1_30default_config_static_selectorELNS0_4arch9wavefront6targetE0EEEvT1_
	.p2align	8
	.type	_ZN7rocprim17ROCPRIM_400000_NS6detail17trampoline_kernelINS0_14default_configENS1_27scan_by_key_config_selectorIj11FixedVectorIiLj2EEEEZZNS1_16scan_by_key_implILNS1_25lookback_scan_determinismE0ELb0ES3_N6thrust23THRUST_200600_302600_NS6detail15normal_iteratorINSB_10device_ptrIjEEEENSD_INSE_IS6_EEEESI_S6_NSB_4plusIvEENSB_8equal_toIvEES6_EE10hipError_tPvRmT2_T3_T4_T5_mT6_T7_P12ihipStream_tbENKUlT_T0_E_clISt17integral_constantIbLb0EES13_EEDaSY_SZ_EUlSY_E_NS1_11comp_targetILNS1_3genE4ELNS1_11target_archE910ELNS1_3gpuE8ELNS1_3repE0EEENS1_30default_config_static_selectorELNS0_4arch9wavefront6targetE0EEEvT1_,@function
_ZN7rocprim17ROCPRIM_400000_NS6detail17trampoline_kernelINS0_14default_configENS1_27scan_by_key_config_selectorIj11FixedVectorIiLj2EEEEZZNS1_16scan_by_key_implILNS1_25lookback_scan_determinismE0ELb0ES3_N6thrust23THRUST_200600_302600_NS6detail15normal_iteratorINSB_10device_ptrIjEEEENSD_INSE_IS6_EEEESI_S6_NSB_4plusIvEENSB_8equal_toIvEES6_EE10hipError_tPvRmT2_T3_T4_T5_mT6_T7_P12ihipStream_tbENKUlT_T0_E_clISt17integral_constantIbLb0EES13_EEDaSY_SZ_EUlSY_E_NS1_11comp_targetILNS1_3genE4ELNS1_11target_archE910ELNS1_3gpuE8ELNS1_3repE0EEENS1_30default_config_static_selectorELNS0_4arch9wavefront6targetE0EEEvT1_: ; @_ZN7rocprim17ROCPRIM_400000_NS6detail17trampoline_kernelINS0_14default_configENS1_27scan_by_key_config_selectorIj11FixedVectorIiLj2EEEEZZNS1_16scan_by_key_implILNS1_25lookback_scan_determinismE0ELb0ES3_N6thrust23THRUST_200600_302600_NS6detail15normal_iteratorINSB_10device_ptrIjEEEENSD_INSE_IS6_EEEESI_S6_NSB_4plusIvEENSB_8equal_toIvEES6_EE10hipError_tPvRmT2_T3_T4_T5_mT6_T7_P12ihipStream_tbENKUlT_T0_E_clISt17integral_constantIbLb0EES13_EEDaSY_SZ_EUlSY_E_NS1_11comp_targetILNS1_3genE4ELNS1_11target_archE910ELNS1_3gpuE8ELNS1_3repE0EEENS1_30default_config_static_selectorELNS0_4arch9wavefront6targetE0EEEvT1_
; %bb.0:
	.section	.rodata,"a",@progbits
	.p2align	6, 0x0
	.amdhsa_kernel _ZN7rocprim17ROCPRIM_400000_NS6detail17trampoline_kernelINS0_14default_configENS1_27scan_by_key_config_selectorIj11FixedVectorIiLj2EEEEZZNS1_16scan_by_key_implILNS1_25lookback_scan_determinismE0ELb0ES3_N6thrust23THRUST_200600_302600_NS6detail15normal_iteratorINSB_10device_ptrIjEEEENSD_INSE_IS6_EEEESI_S6_NSB_4plusIvEENSB_8equal_toIvEES6_EE10hipError_tPvRmT2_T3_T4_T5_mT6_T7_P12ihipStream_tbENKUlT_T0_E_clISt17integral_constantIbLb0EES13_EEDaSY_SZ_EUlSY_E_NS1_11comp_targetILNS1_3genE4ELNS1_11target_archE910ELNS1_3gpuE8ELNS1_3repE0EEENS1_30default_config_static_selectorELNS0_4arch9wavefront6targetE0EEEvT1_
		.amdhsa_group_segment_fixed_size 0
		.amdhsa_private_segment_fixed_size 0
		.amdhsa_kernarg_size 120
		.amdhsa_user_sgpr_count 6
		.amdhsa_user_sgpr_private_segment_buffer 1
		.amdhsa_user_sgpr_dispatch_ptr 0
		.amdhsa_user_sgpr_queue_ptr 0
		.amdhsa_user_sgpr_kernarg_segment_ptr 1
		.amdhsa_user_sgpr_dispatch_id 0
		.amdhsa_user_sgpr_flat_scratch_init 0
		.amdhsa_user_sgpr_private_segment_size 0
		.amdhsa_wavefront_size32 1
		.amdhsa_uses_dynamic_stack 0
		.amdhsa_system_sgpr_private_segment_wavefront_offset 0
		.amdhsa_system_sgpr_workgroup_id_x 1
		.amdhsa_system_sgpr_workgroup_id_y 0
		.amdhsa_system_sgpr_workgroup_id_z 0
		.amdhsa_system_sgpr_workgroup_info 0
		.amdhsa_system_vgpr_workitem_id 0
		.amdhsa_next_free_vgpr 1
		.amdhsa_next_free_sgpr 1
		.amdhsa_reserve_vcc 0
		.amdhsa_reserve_flat_scratch 0
		.amdhsa_float_round_mode_32 0
		.amdhsa_float_round_mode_16_64 0
		.amdhsa_float_denorm_mode_32 3
		.amdhsa_float_denorm_mode_16_64 3
		.amdhsa_dx10_clamp 1
		.amdhsa_ieee_mode 1
		.amdhsa_fp16_overflow 0
		.amdhsa_workgroup_processor_mode 1
		.amdhsa_memory_ordered 1
		.amdhsa_forward_progress 1
		.amdhsa_shared_vgpr_count 0
		.amdhsa_exception_fp_ieee_invalid_op 0
		.amdhsa_exception_fp_denorm_src 0
		.amdhsa_exception_fp_ieee_div_zero 0
		.amdhsa_exception_fp_ieee_overflow 0
		.amdhsa_exception_fp_ieee_underflow 0
		.amdhsa_exception_fp_ieee_inexact 0
		.amdhsa_exception_int_div_zero 0
	.end_amdhsa_kernel
	.section	.text._ZN7rocprim17ROCPRIM_400000_NS6detail17trampoline_kernelINS0_14default_configENS1_27scan_by_key_config_selectorIj11FixedVectorIiLj2EEEEZZNS1_16scan_by_key_implILNS1_25lookback_scan_determinismE0ELb0ES3_N6thrust23THRUST_200600_302600_NS6detail15normal_iteratorINSB_10device_ptrIjEEEENSD_INSE_IS6_EEEESI_S6_NSB_4plusIvEENSB_8equal_toIvEES6_EE10hipError_tPvRmT2_T3_T4_T5_mT6_T7_P12ihipStream_tbENKUlT_T0_E_clISt17integral_constantIbLb0EES13_EEDaSY_SZ_EUlSY_E_NS1_11comp_targetILNS1_3genE4ELNS1_11target_archE910ELNS1_3gpuE8ELNS1_3repE0EEENS1_30default_config_static_selectorELNS0_4arch9wavefront6targetE0EEEvT1_,"axG",@progbits,_ZN7rocprim17ROCPRIM_400000_NS6detail17trampoline_kernelINS0_14default_configENS1_27scan_by_key_config_selectorIj11FixedVectorIiLj2EEEEZZNS1_16scan_by_key_implILNS1_25lookback_scan_determinismE0ELb0ES3_N6thrust23THRUST_200600_302600_NS6detail15normal_iteratorINSB_10device_ptrIjEEEENSD_INSE_IS6_EEEESI_S6_NSB_4plusIvEENSB_8equal_toIvEES6_EE10hipError_tPvRmT2_T3_T4_T5_mT6_T7_P12ihipStream_tbENKUlT_T0_E_clISt17integral_constantIbLb0EES13_EEDaSY_SZ_EUlSY_E_NS1_11comp_targetILNS1_3genE4ELNS1_11target_archE910ELNS1_3gpuE8ELNS1_3repE0EEENS1_30default_config_static_selectorELNS0_4arch9wavefront6targetE0EEEvT1_,comdat
.Lfunc_end1954:
	.size	_ZN7rocprim17ROCPRIM_400000_NS6detail17trampoline_kernelINS0_14default_configENS1_27scan_by_key_config_selectorIj11FixedVectorIiLj2EEEEZZNS1_16scan_by_key_implILNS1_25lookback_scan_determinismE0ELb0ES3_N6thrust23THRUST_200600_302600_NS6detail15normal_iteratorINSB_10device_ptrIjEEEENSD_INSE_IS6_EEEESI_S6_NSB_4plusIvEENSB_8equal_toIvEES6_EE10hipError_tPvRmT2_T3_T4_T5_mT6_T7_P12ihipStream_tbENKUlT_T0_E_clISt17integral_constantIbLb0EES13_EEDaSY_SZ_EUlSY_E_NS1_11comp_targetILNS1_3genE4ELNS1_11target_archE910ELNS1_3gpuE8ELNS1_3repE0EEENS1_30default_config_static_selectorELNS0_4arch9wavefront6targetE0EEEvT1_, .Lfunc_end1954-_ZN7rocprim17ROCPRIM_400000_NS6detail17trampoline_kernelINS0_14default_configENS1_27scan_by_key_config_selectorIj11FixedVectorIiLj2EEEEZZNS1_16scan_by_key_implILNS1_25lookback_scan_determinismE0ELb0ES3_N6thrust23THRUST_200600_302600_NS6detail15normal_iteratorINSB_10device_ptrIjEEEENSD_INSE_IS6_EEEESI_S6_NSB_4plusIvEENSB_8equal_toIvEES6_EE10hipError_tPvRmT2_T3_T4_T5_mT6_T7_P12ihipStream_tbENKUlT_T0_E_clISt17integral_constantIbLb0EES13_EEDaSY_SZ_EUlSY_E_NS1_11comp_targetILNS1_3genE4ELNS1_11target_archE910ELNS1_3gpuE8ELNS1_3repE0EEENS1_30default_config_static_selectorELNS0_4arch9wavefront6targetE0EEEvT1_
                                        ; -- End function
	.set _ZN7rocprim17ROCPRIM_400000_NS6detail17trampoline_kernelINS0_14default_configENS1_27scan_by_key_config_selectorIj11FixedVectorIiLj2EEEEZZNS1_16scan_by_key_implILNS1_25lookback_scan_determinismE0ELb0ES3_N6thrust23THRUST_200600_302600_NS6detail15normal_iteratorINSB_10device_ptrIjEEEENSD_INSE_IS6_EEEESI_S6_NSB_4plusIvEENSB_8equal_toIvEES6_EE10hipError_tPvRmT2_T3_T4_T5_mT6_T7_P12ihipStream_tbENKUlT_T0_E_clISt17integral_constantIbLb0EES13_EEDaSY_SZ_EUlSY_E_NS1_11comp_targetILNS1_3genE4ELNS1_11target_archE910ELNS1_3gpuE8ELNS1_3repE0EEENS1_30default_config_static_selectorELNS0_4arch9wavefront6targetE0EEEvT1_.num_vgpr, 0
	.set _ZN7rocprim17ROCPRIM_400000_NS6detail17trampoline_kernelINS0_14default_configENS1_27scan_by_key_config_selectorIj11FixedVectorIiLj2EEEEZZNS1_16scan_by_key_implILNS1_25lookback_scan_determinismE0ELb0ES3_N6thrust23THRUST_200600_302600_NS6detail15normal_iteratorINSB_10device_ptrIjEEEENSD_INSE_IS6_EEEESI_S6_NSB_4plusIvEENSB_8equal_toIvEES6_EE10hipError_tPvRmT2_T3_T4_T5_mT6_T7_P12ihipStream_tbENKUlT_T0_E_clISt17integral_constantIbLb0EES13_EEDaSY_SZ_EUlSY_E_NS1_11comp_targetILNS1_3genE4ELNS1_11target_archE910ELNS1_3gpuE8ELNS1_3repE0EEENS1_30default_config_static_selectorELNS0_4arch9wavefront6targetE0EEEvT1_.num_agpr, 0
	.set _ZN7rocprim17ROCPRIM_400000_NS6detail17trampoline_kernelINS0_14default_configENS1_27scan_by_key_config_selectorIj11FixedVectorIiLj2EEEEZZNS1_16scan_by_key_implILNS1_25lookback_scan_determinismE0ELb0ES3_N6thrust23THRUST_200600_302600_NS6detail15normal_iteratorINSB_10device_ptrIjEEEENSD_INSE_IS6_EEEESI_S6_NSB_4plusIvEENSB_8equal_toIvEES6_EE10hipError_tPvRmT2_T3_T4_T5_mT6_T7_P12ihipStream_tbENKUlT_T0_E_clISt17integral_constantIbLb0EES13_EEDaSY_SZ_EUlSY_E_NS1_11comp_targetILNS1_3genE4ELNS1_11target_archE910ELNS1_3gpuE8ELNS1_3repE0EEENS1_30default_config_static_selectorELNS0_4arch9wavefront6targetE0EEEvT1_.numbered_sgpr, 0
	.set _ZN7rocprim17ROCPRIM_400000_NS6detail17trampoline_kernelINS0_14default_configENS1_27scan_by_key_config_selectorIj11FixedVectorIiLj2EEEEZZNS1_16scan_by_key_implILNS1_25lookback_scan_determinismE0ELb0ES3_N6thrust23THRUST_200600_302600_NS6detail15normal_iteratorINSB_10device_ptrIjEEEENSD_INSE_IS6_EEEESI_S6_NSB_4plusIvEENSB_8equal_toIvEES6_EE10hipError_tPvRmT2_T3_T4_T5_mT6_T7_P12ihipStream_tbENKUlT_T0_E_clISt17integral_constantIbLb0EES13_EEDaSY_SZ_EUlSY_E_NS1_11comp_targetILNS1_3genE4ELNS1_11target_archE910ELNS1_3gpuE8ELNS1_3repE0EEENS1_30default_config_static_selectorELNS0_4arch9wavefront6targetE0EEEvT1_.num_named_barrier, 0
	.set _ZN7rocprim17ROCPRIM_400000_NS6detail17trampoline_kernelINS0_14default_configENS1_27scan_by_key_config_selectorIj11FixedVectorIiLj2EEEEZZNS1_16scan_by_key_implILNS1_25lookback_scan_determinismE0ELb0ES3_N6thrust23THRUST_200600_302600_NS6detail15normal_iteratorINSB_10device_ptrIjEEEENSD_INSE_IS6_EEEESI_S6_NSB_4plusIvEENSB_8equal_toIvEES6_EE10hipError_tPvRmT2_T3_T4_T5_mT6_T7_P12ihipStream_tbENKUlT_T0_E_clISt17integral_constantIbLb0EES13_EEDaSY_SZ_EUlSY_E_NS1_11comp_targetILNS1_3genE4ELNS1_11target_archE910ELNS1_3gpuE8ELNS1_3repE0EEENS1_30default_config_static_selectorELNS0_4arch9wavefront6targetE0EEEvT1_.private_seg_size, 0
	.set _ZN7rocprim17ROCPRIM_400000_NS6detail17trampoline_kernelINS0_14default_configENS1_27scan_by_key_config_selectorIj11FixedVectorIiLj2EEEEZZNS1_16scan_by_key_implILNS1_25lookback_scan_determinismE0ELb0ES3_N6thrust23THRUST_200600_302600_NS6detail15normal_iteratorINSB_10device_ptrIjEEEENSD_INSE_IS6_EEEESI_S6_NSB_4plusIvEENSB_8equal_toIvEES6_EE10hipError_tPvRmT2_T3_T4_T5_mT6_T7_P12ihipStream_tbENKUlT_T0_E_clISt17integral_constantIbLb0EES13_EEDaSY_SZ_EUlSY_E_NS1_11comp_targetILNS1_3genE4ELNS1_11target_archE910ELNS1_3gpuE8ELNS1_3repE0EEENS1_30default_config_static_selectorELNS0_4arch9wavefront6targetE0EEEvT1_.uses_vcc, 0
	.set _ZN7rocprim17ROCPRIM_400000_NS6detail17trampoline_kernelINS0_14default_configENS1_27scan_by_key_config_selectorIj11FixedVectorIiLj2EEEEZZNS1_16scan_by_key_implILNS1_25lookback_scan_determinismE0ELb0ES3_N6thrust23THRUST_200600_302600_NS6detail15normal_iteratorINSB_10device_ptrIjEEEENSD_INSE_IS6_EEEESI_S6_NSB_4plusIvEENSB_8equal_toIvEES6_EE10hipError_tPvRmT2_T3_T4_T5_mT6_T7_P12ihipStream_tbENKUlT_T0_E_clISt17integral_constantIbLb0EES13_EEDaSY_SZ_EUlSY_E_NS1_11comp_targetILNS1_3genE4ELNS1_11target_archE910ELNS1_3gpuE8ELNS1_3repE0EEENS1_30default_config_static_selectorELNS0_4arch9wavefront6targetE0EEEvT1_.uses_flat_scratch, 0
	.set _ZN7rocprim17ROCPRIM_400000_NS6detail17trampoline_kernelINS0_14default_configENS1_27scan_by_key_config_selectorIj11FixedVectorIiLj2EEEEZZNS1_16scan_by_key_implILNS1_25lookback_scan_determinismE0ELb0ES3_N6thrust23THRUST_200600_302600_NS6detail15normal_iteratorINSB_10device_ptrIjEEEENSD_INSE_IS6_EEEESI_S6_NSB_4plusIvEENSB_8equal_toIvEES6_EE10hipError_tPvRmT2_T3_T4_T5_mT6_T7_P12ihipStream_tbENKUlT_T0_E_clISt17integral_constantIbLb0EES13_EEDaSY_SZ_EUlSY_E_NS1_11comp_targetILNS1_3genE4ELNS1_11target_archE910ELNS1_3gpuE8ELNS1_3repE0EEENS1_30default_config_static_selectorELNS0_4arch9wavefront6targetE0EEEvT1_.has_dyn_sized_stack, 0
	.set _ZN7rocprim17ROCPRIM_400000_NS6detail17trampoline_kernelINS0_14default_configENS1_27scan_by_key_config_selectorIj11FixedVectorIiLj2EEEEZZNS1_16scan_by_key_implILNS1_25lookback_scan_determinismE0ELb0ES3_N6thrust23THRUST_200600_302600_NS6detail15normal_iteratorINSB_10device_ptrIjEEEENSD_INSE_IS6_EEEESI_S6_NSB_4plusIvEENSB_8equal_toIvEES6_EE10hipError_tPvRmT2_T3_T4_T5_mT6_T7_P12ihipStream_tbENKUlT_T0_E_clISt17integral_constantIbLb0EES13_EEDaSY_SZ_EUlSY_E_NS1_11comp_targetILNS1_3genE4ELNS1_11target_archE910ELNS1_3gpuE8ELNS1_3repE0EEENS1_30default_config_static_selectorELNS0_4arch9wavefront6targetE0EEEvT1_.has_recursion, 0
	.set _ZN7rocprim17ROCPRIM_400000_NS6detail17trampoline_kernelINS0_14default_configENS1_27scan_by_key_config_selectorIj11FixedVectorIiLj2EEEEZZNS1_16scan_by_key_implILNS1_25lookback_scan_determinismE0ELb0ES3_N6thrust23THRUST_200600_302600_NS6detail15normal_iteratorINSB_10device_ptrIjEEEENSD_INSE_IS6_EEEESI_S6_NSB_4plusIvEENSB_8equal_toIvEES6_EE10hipError_tPvRmT2_T3_T4_T5_mT6_T7_P12ihipStream_tbENKUlT_T0_E_clISt17integral_constantIbLb0EES13_EEDaSY_SZ_EUlSY_E_NS1_11comp_targetILNS1_3genE4ELNS1_11target_archE910ELNS1_3gpuE8ELNS1_3repE0EEENS1_30default_config_static_selectorELNS0_4arch9wavefront6targetE0EEEvT1_.has_indirect_call, 0
	.section	.AMDGPU.csdata,"",@progbits
; Kernel info:
; codeLenInByte = 0
; TotalNumSgprs: 0
; NumVgprs: 0
; ScratchSize: 0
; MemoryBound: 0
; FloatMode: 240
; IeeeMode: 1
; LDSByteSize: 0 bytes/workgroup (compile time only)
; SGPRBlocks: 0
; VGPRBlocks: 0
; NumSGPRsForWavesPerEU: 1
; NumVGPRsForWavesPerEU: 1
; Occupancy: 16
; WaveLimiterHint : 0
; COMPUTE_PGM_RSRC2:SCRATCH_EN: 0
; COMPUTE_PGM_RSRC2:USER_SGPR: 6
; COMPUTE_PGM_RSRC2:TRAP_HANDLER: 0
; COMPUTE_PGM_RSRC2:TGID_X_EN: 1
; COMPUTE_PGM_RSRC2:TGID_Y_EN: 0
; COMPUTE_PGM_RSRC2:TGID_Z_EN: 0
; COMPUTE_PGM_RSRC2:TIDIG_COMP_CNT: 0
	.section	.text._ZN7rocprim17ROCPRIM_400000_NS6detail17trampoline_kernelINS0_14default_configENS1_27scan_by_key_config_selectorIj11FixedVectorIiLj2EEEEZZNS1_16scan_by_key_implILNS1_25lookback_scan_determinismE0ELb0ES3_N6thrust23THRUST_200600_302600_NS6detail15normal_iteratorINSB_10device_ptrIjEEEENSD_INSE_IS6_EEEESI_S6_NSB_4plusIvEENSB_8equal_toIvEES6_EE10hipError_tPvRmT2_T3_T4_T5_mT6_T7_P12ihipStream_tbENKUlT_T0_E_clISt17integral_constantIbLb0EES13_EEDaSY_SZ_EUlSY_E_NS1_11comp_targetILNS1_3genE3ELNS1_11target_archE908ELNS1_3gpuE7ELNS1_3repE0EEENS1_30default_config_static_selectorELNS0_4arch9wavefront6targetE0EEEvT1_,"axG",@progbits,_ZN7rocprim17ROCPRIM_400000_NS6detail17trampoline_kernelINS0_14default_configENS1_27scan_by_key_config_selectorIj11FixedVectorIiLj2EEEEZZNS1_16scan_by_key_implILNS1_25lookback_scan_determinismE0ELb0ES3_N6thrust23THRUST_200600_302600_NS6detail15normal_iteratorINSB_10device_ptrIjEEEENSD_INSE_IS6_EEEESI_S6_NSB_4plusIvEENSB_8equal_toIvEES6_EE10hipError_tPvRmT2_T3_T4_T5_mT6_T7_P12ihipStream_tbENKUlT_T0_E_clISt17integral_constantIbLb0EES13_EEDaSY_SZ_EUlSY_E_NS1_11comp_targetILNS1_3genE3ELNS1_11target_archE908ELNS1_3gpuE7ELNS1_3repE0EEENS1_30default_config_static_selectorELNS0_4arch9wavefront6targetE0EEEvT1_,comdat
	.protected	_ZN7rocprim17ROCPRIM_400000_NS6detail17trampoline_kernelINS0_14default_configENS1_27scan_by_key_config_selectorIj11FixedVectorIiLj2EEEEZZNS1_16scan_by_key_implILNS1_25lookback_scan_determinismE0ELb0ES3_N6thrust23THRUST_200600_302600_NS6detail15normal_iteratorINSB_10device_ptrIjEEEENSD_INSE_IS6_EEEESI_S6_NSB_4plusIvEENSB_8equal_toIvEES6_EE10hipError_tPvRmT2_T3_T4_T5_mT6_T7_P12ihipStream_tbENKUlT_T0_E_clISt17integral_constantIbLb0EES13_EEDaSY_SZ_EUlSY_E_NS1_11comp_targetILNS1_3genE3ELNS1_11target_archE908ELNS1_3gpuE7ELNS1_3repE0EEENS1_30default_config_static_selectorELNS0_4arch9wavefront6targetE0EEEvT1_ ; -- Begin function _ZN7rocprim17ROCPRIM_400000_NS6detail17trampoline_kernelINS0_14default_configENS1_27scan_by_key_config_selectorIj11FixedVectorIiLj2EEEEZZNS1_16scan_by_key_implILNS1_25lookback_scan_determinismE0ELb0ES3_N6thrust23THRUST_200600_302600_NS6detail15normal_iteratorINSB_10device_ptrIjEEEENSD_INSE_IS6_EEEESI_S6_NSB_4plusIvEENSB_8equal_toIvEES6_EE10hipError_tPvRmT2_T3_T4_T5_mT6_T7_P12ihipStream_tbENKUlT_T0_E_clISt17integral_constantIbLb0EES13_EEDaSY_SZ_EUlSY_E_NS1_11comp_targetILNS1_3genE3ELNS1_11target_archE908ELNS1_3gpuE7ELNS1_3repE0EEENS1_30default_config_static_selectorELNS0_4arch9wavefront6targetE0EEEvT1_
	.globl	_ZN7rocprim17ROCPRIM_400000_NS6detail17trampoline_kernelINS0_14default_configENS1_27scan_by_key_config_selectorIj11FixedVectorIiLj2EEEEZZNS1_16scan_by_key_implILNS1_25lookback_scan_determinismE0ELb0ES3_N6thrust23THRUST_200600_302600_NS6detail15normal_iteratorINSB_10device_ptrIjEEEENSD_INSE_IS6_EEEESI_S6_NSB_4plusIvEENSB_8equal_toIvEES6_EE10hipError_tPvRmT2_T3_T4_T5_mT6_T7_P12ihipStream_tbENKUlT_T0_E_clISt17integral_constantIbLb0EES13_EEDaSY_SZ_EUlSY_E_NS1_11comp_targetILNS1_3genE3ELNS1_11target_archE908ELNS1_3gpuE7ELNS1_3repE0EEENS1_30default_config_static_selectorELNS0_4arch9wavefront6targetE0EEEvT1_
	.p2align	8
	.type	_ZN7rocprim17ROCPRIM_400000_NS6detail17trampoline_kernelINS0_14default_configENS1_27scan_by_key_config_selectorIj11FixedVectorIiLj2EEEEZZNS1_16scan_by_key_implILNS1_25lookback_scan_determinismE0ELb0ES3_N6thrust23THRUST_200600_302600_NS6detail15normal_iteratorINSB_10device_ptrIjEEEENSD_INSE_IS6_EEEESI_S6_NSB_4plusIvEENSB_8equal_toIvEES6_EE10hipError_tPvRmT2_T3_T4_T5_mT6_T7_P12ihipStream_tbENKUlT_T0_E_clISt17integral_constantIbLb0EES13_EEDaSY_SZ_EUlSY_E_NS1_11comp_targetILNS1_3genE3ELNS1_11target_archE908ELNS1_3gpuE7ELNS1_3repE0EEENS1_30default_config_static_selectorELNS0_4arch9wavefront6targetE0EEEvT1_,@function
_ZN7rocprim17ROCPRIM_400000_NS6detail17trampoline_kernelINS0_14default_configENS1_27scan_by_key_config_selectorIj11FixedVectorIiLj2EEEEZZNS1_16scan_by_key_implILNS1_25lookback_scan_determinismE0ELb0ES3_N6thrust23THRUST_200600_302600_NS6detail15normal_iteratorINSB_10device_ptrIjEEEENSD_INSE_IS6_EEEESI_S6_NSB_4plusIvEENSB_8equal_toIvEES6_EE10hipError_tPvRmT2_T3_T4_T5_mT6_T7_P12ihipStream_tbENKUlT_T0_E_clISt17integral_constantIbLb0EES13_EEDaSY_SZ_EUlSY_E_NS1_11comp_targetILNS1_3genE3ELNS1_11target_archE908ELNS1_3gpuE7ELNS1_3repE0EEENS1_30default_config_static_selectorELNS0_4arch9wavefront6targetE0EEEvT1_: ; @_ZN7rocprim17ROCPRIM_400000_NS6detail17trampoline_kernelINS0_14default_configENS1_27scan_by_key_config_selectorIj11FixedVectorIiLj2EEEEZZNS1_16scan_by_key_implILNS1_25lookback_scan_determinismE0ELb0ES3_N6thrust23THRUST_200600_302600_NS6detail15normal_iteratorINSB_10device_ptrIjEEEENSD_INSE_IS6_EEEESI_S6_NSB_4plusIvEENSB_8equal_toIvEES6_EE10hipError_tPvRmT2_T3_T4_T5_mT6_T7_P12ihipStream_tbENKUlT_T0_E_clISt17integral_constantIbLb0EES13_EEDaSY_SZ_EUlSY_E_NS1_11comp_targetILNS1_3genE3ELNS1_11target_archE908ELNS1_3gpuE7ELNS1_3repE0EEENS1_30default_config_static_selectorELNS0_4arch9wavefront6targetE0EEEvT1_
; %bb.0:
	.section	.rodata,"a",@progbits
	.p2align	6, 0x0
	.amdhsa_kernel _ZN7rocprim17ROCPRIM_400000_NS6detail17trampoline_kernelINS0_14default_configENS1_27scan_by_key_config_selectorIj11FixedVectorIiLj2EEEEZZNS1_16scan_by_key_implILNS1_25lookback_scan_determinismE0ELb0ES3_N6thrust23THRUST_200600_302600_NS6detail15normal_iteratorINSB_10device_ptrIjEEEENSD_INSE_IS6_EEEESI_S6_NSB_4plusIvEENSB_8equal_toIvEES6_EE10hipError_tPvRmT2_T3_T4_T5_mT6_T7_P12ihipStream_tbENKUlT_T0_E_clISt17integral_constantIbLb0EES13_EEDaSY_SZ_EUlSY_E_NS1_11comp_targetILNS1_3genE3ELNS1_11target_archE908ELNS1_3gpuE7ELNS1_3repE0EEENS1_30default_config_static_selectorELNS0_4arch9wavefront6targetE0EEEvT1_
		.amdhsa_group_segment_fixed_size 0
		.amdhsa_private_segment_fixed_size 0
		.amdhsa_kernarg_size 120
		.amdhsa_user_sgpr_count 6
		.amdhsa_user_sgpr_private_segment_buffer 1
		.amdhsa_user_sgpr_dispatch_ptr 0
		.amdhsa_user_sgpr_queue_ptr 0
		.amdhsa_user_sgpr_kernarg_segment_ptr 1
		.amdhsa_user_sgpr_dispatch_id 0
		.amdhsa_user_sgpr_flat_scratch_init 0
		.amdhsa_user_sgpr_private_segment_size 0
		.amdhsa_wavefront_size32 1
		.amdhsa_uses_dynamic_stack 0
		.amdhsa_system_sgpr_private_segment_wavefront_offset 0
		.amdhsa_system_sgpr_workgroup_id_x 1
		.amdhsa_system_sgpr_workgroup_id_y 0
		.amdhsa_system_sgpr_workgroup_id_z 0
		.amdhsa_system_sgpr_workgroup_info 0
		.amdhsa_system_vgpr_workitem_id 0
		.amdhsa_next_free_vgpr 1
		.amdhsa_next_free_sgpr 1
		.amdhsa_reserve_vcc 0
		.amdhsa_reserve_flat_scratch 0
		.amdhsa_float_round_mode_32 0
		.amdhsa_float_round_mode_16_64 0
		.amdhsa_float_denorm_mode_32 3
		.amdhsa_float_denorm_mode_16_64 3
		.amdhsa_dx10_clamp 1
		.amdhsa_ieee_mode 1
		.amdhsa_fp16_overflow 0
		.amdhsa_workgroup_processor_mode 1
		.amdhsa_memory_ordered 1
		.amdhsa_forward_progress 1
		.amdhsa_shared_vgpr_count 0
		.amdhsa_exception_fp_ieee_invalid_op 0
		.amdhsa_exception_fp_denorm_src 0
		.amdhsa_exception_fp_ieee_div_zero 0
		.amdhsa_exception_fp_ieee_overflow 0
		.amdhsa_exception_fp_ieee_underflow 0
		.amdhsa_exception_fp_ieee_inexact 0
		.amdhsa_exception_int_div_zero 0
	.end_amdhsa_kernel
	.section	.text._ZN7rocprim17ROCPRIM_400000_NS6detail17trampoline_kernelINS0_14default_configENS1_27scan_by_key_config_selectorIj11FixedVectorIiLj2EEEEZZNS1_16scan_by_key_implILNS1_25lookback_scan_determinismE0ELb0ES3_N6thrust23THRUST_200600_302600_NS6detail15normal_iteratorINSB_10device_ptrIjEEEENSD_INSE_IS6_EEEESI_S6_NSB_4plusIvEENSB_8equal_toIvEES6_EE10hipError_tPvRmT2_T3_T4_T5_mT6_T7_P12ihipStream_tbENKUlT_T0_E_clISt17integral_constantIbLb0EES13_EEDaSY_SZ_EUlSY_E_NS1_11comp_targetILNS1_3genE3ELNS1_11target_archE908ELNS1_3gpuE7ELNS1_3repE0EEENS1_30default_config_static_selectorELNS0_4arch9wavefront6targetE0EEEvT1_,"axG",@progbits,_ZN7rocprim17ROCPRIM_400000_NS6detail17trampoline_kernelINS0_14default_configENS1_27scan_by_key_config_selectorIj11FixedVectorIiLj2EEEEZZNS1_16scan_by_key_implILNS1_25lookback_scan_determinismE0ELb0ES3_N6thrust23THRUST_200600_302600_NS6detail15normal_iteratorINSB_10device_ptrIjEEEENSD_INSE_IS6_EEEESI_S6_NSB_4plusIvEENSB_8equal_toIvEES6_EE10hipError_tPvRmT2_T3_T4_T5_mT6_T7_P12ihipStream_tbENKUlT_T0_E_clISt17integral_constantIbLb0EES13_EEDaSY_SZ_EUlSY_E_NS1_11comp_targetILNS1_3genE3ELNS1_11target_archE908ELNS1_3gpuE7ELNS1_3repE0EEENS1_30default_config_static_selectorELNS0_4arch9wavefront6targetE0EEEvT1_,comdat
.Lfunc_end1955:
	.size	_ZN7rocprim17ROCPRIM_400000_NS6detail17trampoline_kernelINS0_14default_configENS1_27scan_by_key_config_selectorIj11FixedVectorIiLj2EEEEZZNS1_16scan_by_key_implILNS1_25lookback_scan_determinismE0ELb0ES3_N6thrust23THRUST_200600_302600_NS6detail15normal_iteratorINSB_10device_ptrIjEEEENSD_INSE_IS6_EEEESI_S6_NSB_4plusIvEENSB_8equal_toIvEES6_EE10hipError_tPvRmT2_T3_T4_T5_mT6_T7_P12ihipStream_tbENKUlT_T0_E_clISt17integral_constantIbLb0EES13_EEDaSY_SZ_EUlSY_E_NS1_11comp_targetILNS1_3genE3ELNS1_11target_archE908ELNS1_3gpuE7ELNS1_3repE0EEENS1_30default_config_static_selectorELNS0_4arch9wavefront6targetE0EEEvT1_, .Lfunc_end1955-_ZN7rocprim17ROCPRIM_400000_NS6detail17trampoline_kernelINS0_14default_configENS1_27scan_by_key_config_selectorIj11FixedVectorIiLj2EEEEZZNS1_16scan_by_key_implILNS1_25lookback_scan_determinismE0ELb0ES3_N6thrust23THRUST_200600_302600_NS6detail15normal_iteratorINSB_10device_ptrIjEEEENSD_INSE_IS6_EEEESI_S6_NSB_4plusIvEENSB_8equal_toIvEES6_EE10hipError_tPvRmT2_T3_T4_T5_mT6_T7_P12ihipStream_tbENKUlT_T0_E_clISt17integral_constantIbLb0EES13_EEDaSY_SZ_EUlSY_E_NS1_11comp_targetILNS1_3genE3ELNS1_11target_archE908ELNS1_3gpuE7ELNS1_3repE0EEENS1_30default_config_static_selectorELNS0_4arch9wavefront6targetE0EEEvT1_
                                        ; -- End function
	.set _ZN7rocprim17ROCPRIM_400000_NS6detail17trampoline_kernelINS0_14default_configENS1_27scan_by_key_config_selectorIj11FixedVectorIiLj2EEEEZZNS1_16scan_by_key_implILNS1_25lookback_scan_determinismE0ELb0ES3_N6thrust23THRUST_200600_302600_NS6detail15normal_iteratorINSB_10device_ptrIjEEEENSD_INSE_IS6_EEEESI_S6_NSB_4plusIvEENSB_8equal_toIvEES6_EE10hipError_tPvRmT2_T3_T4_T5_mT6_T7_P12ihipStream_tbENKUlT_T0_E_clISt17integral_constantIbLb0EES13_EEDaSY_SZ_EUlSY_E_NS1_11comp_targetILNS1_3genE3ELNS1_11target_archE908ELNS1_3gpuE7ELNS1_3repE0EEENS1_30default_config_static_selectorELNS0_4arch9wavefront6targetE0EEEvT1_.num_vgpr, 0
	.set _ZN7rocprim17ROCPRIM_400000_NS6detail17trampoline_kernelINS0_14default_configENS1_27scan_by_key_config_selectorIj11FixedVectorIiLj2EEEEZZNS1_16scan_by_key_implILNS1_25lookback_scan_determinismE0ELb0ES3_N6thrust23THRUST_200600_302600_NS6detail15normal_iteratorINSB_10device_ptrIjEEEENSD_INSE_IS6_EEEESI_S6_NSB_4plusIvEENSB_8equal_toIvEES6_EE10hipError_tPvRmT2_T3_T4_T5_mT6_T7_P12ihipStream_tbENKUlT_T0_E_clISt17integral_constantIbLb0EES13_EEDaSY_SZ_EUlSY_E_NS1_11comp_targetILNS1_3genE3ELNS1_11target_archE908ELNS1_3gpuE7ELNS1_3repE0EEENS1_30default_config_static_selectorELNS0_4arch9wavefront6targetE0EEEvT1_.num_agpr, 0
	.set _ZN7rocprim17ROCPRIM_400000_NS6detail17trampoline_kernelINS0_14default_configENS1_27scan_by_key_config_selectorIj11FixedVectorIiLj2EEEEZZNS1_16scan_by_key_implILNS1_25lookback_scan_determinismE0ELb0ES3_N6thrust23THRUST_200600_302600_NS6detail15normal_iteratorINSB_10device_ptrIjEEEENSD_INSE_IS6_EEEESI_S6_NSB_4plusIvEENSB_8equal_toIvEES6_EE10hipError_tPvRmT2_T3_T4_T5_mT6_T7_P12ihipStream_tbENKUlT_T0_E_clISt17integral_constantIbLb0EES13_EEDaSY_SZ_EUlSY_E_NS1_11comp_targetILNS1_3genE3ELNS1_11target_archE908ELNS1_3gpuE7ELNS1_3repE0EEENS1_30default_config_static_selectorELNS0_4arch9wavefront6targetE0EEEvT1_.numbered_sgpr, 0
	.set _ZN7rocprim17ROCPRIM_400000_NS6detail17trampoline_kernelINS0_14default_configENS1_27scan_by_key_config_selectorIj11FixedVectorIiLj2EEEEZZNS1_16scan_by_key_implILNS1_25lookback_scan_determinismE0ELb0ES3_N6thrust23THRUST_200600_302600_NS6detail15normal_iteratorINSB_10device_ptrIjEEEENSD_INSE_IS6_EEEESI_S6_NSB_4plusIvEENSB_8equal_toIvEES6_EE10hipError_tPvRmT2_T3_T4_T5_mT6_T7_P12ihipStream_tbENKUlT_T0_E_clISt17integral_constantIbLb0EES13_EEDaSY_SZ_EUlSY_E_NS1_11comp_targetILNS1_3genE3ELNS1_11target_archE908ELNS1_3gpuE7ELNS1_3repE0EEENS1_30default_config_static_selectorELNS0_4arch9wavefront6targetE0EEEvT1_.num_named_barrier, 0
	.set _ZN7rocprim17ROCPRIM_400000_NS6detail17trampoline_kernelINS0_14default_configENS1_27scan_by_key_config_selectorIj11FixedVectorIiLj2EEEEZZNS1_16scan_by_key_implILNS1_25lookback_scan_determinismE0ELb0ES3_N6thrust23THRUST_200600_302600_NS6detail15normal_iteratorINSB_10device_ptrIjEEEENSD_INSE_IS6_EEEESI_S6_NSB_4plusIvEENSB_8equal_toIvEES6_EE10hipError_tPvRmT2_T3_T4_T5_mT6_T7_P12ihipStream_tbENKUlT_T0_E_clISt17integral_constantIbLb0EES13_EEDaSY_SZ_EUlSY_E_NS1_11comp_targetILNS1_3genE3ELNS1_11target_archE908ELNS1_3gpuE7ELNS1_3repE0EEENS1_30default_config_static_selectorELNS0_4arch9wavefront6targetE0EEEvT1_.private_seg_size, 0
	.set _ZN7rocprim17ROCPRIM_400000_NS6detail17trampoline_kernelINS0_14default_configENS1_27scan_by_key_config_selectorIj11FixedVectorIiLj2EEEEZZNS1_16scan_by_key_implILNS1_25lookback_scan_determinismE0ELb0ES3_N6thrust23THRUST_200600_302600_NS6detail15normal_iteratorINSB_10device_ptrIjEEEENSD_INSE_IS6_EEEESI_S6_NSB_4plusIvEENSB_8equal_toIvEES6_EE10hipError_tPvRmT2_T3_T4_T5_mT6_T7_P12ihipStream_tbENKUlT_T0_E_clISt17integral_constantIbLb0EES13_EEDaSY_SZ_EUlSY_E_NS1_11comp_targetILNS1_3genE3ELNS1_11target_archE908ELNS1_3gpuE7ELNS1_3repE0EEENS1_30default_config_static_selectorELNS0_4arch9wavefront6targetE0EEEvT1_.uses_vcc, 0
	.set _ZN7rocprim17ROCPRIM_400000_NS6detail17trampoline_kernelINS0_14default_configENS1_27scan_by_key_config_selectorIj11FixedVectorIiLj2EEEEZZNS1_16scan_by_key_implILNS1_25lookback_scan_determinismE0ELb0ES3_N6thrust23THRUST_200600_302600_NS6detail15normal_iteratorINSB_10device_ptrIjEEEENSD_INSE_IS6_EEEESI_S6_NSB_4plusIvEENSB_8equal_toIvEES6_EE10hipError_tPvRmT2_T3_T4_T5_mT6_T7_P12ihipStream_tbENKUlT_T0_E_clISt17integral_constantIbLb0EES13_EEDaSY_SZ_EUlSY_E_NS1_11comp_targetILNS1_3genE3ELNS1_11target_archE908ELNS1_3gpuE7ELNS1_3repE0EEENS1_30default_config_static_selectorELNS0_4arch9wavefront6targetE0EEEvT1_.uses_flat_scratch, 0
	.set _ZN7rocprim17ROCPRIM_400000_NS6detail17trampoline_kernelINS0_14default_configENS1_27scan_by_key_config_selectorIj11FixedVectorIiLj2EEEEZZNS1_16scan_by_key_implILNS1_25lookback_scan_determinismE0ELb0ES3_N6thrust23THRUST_200600_302600_NS6detail15normal_iteratorINSB_10device_ptrIjEEEENSD_INSE_IS6_EEEESI_S6_NSB_4plusIvEENSB_8equal_toIvEES6_EE10hipError_tPvRmT2_T3_T4_T5_mT6_T7_P12ihipStream_tbENKUlT_T0_E_clISt17integral_constantIbLb0EES13_EEDaSY_SZ_EUlSY_E_NS1_11comp_targetILNS1_3genE3ELNS1_11target_archE908ELNS1_3gpuE7ELNS1_3repE0EEENS1_30default_config_static_selectorELNS0_4arch9wavefront6targetE0EEEvT1_.has_dyn_sized_stack, 0
	.set _ZN7rocprim17ROCPRIM_400000_NS6detail17trampoline_kernelINS0_14default_configENS1_27scan_by_key_config_selectorIj11FixedVectorIiLj2EEEEZZNS1_16scan_by_key_implILNS1_25lookback_scan_determinismE0ELb0ES3_N6thrust23THRUST_200600_302600_NS6detail15normal_iteratorINSB_10device_ptrIjEEEENSD_INSE_IS6_EEEESI_S6_NSB_4plusIvEENSB_8equal_toIvEES6_EE10hipError_tPvRmT2_T3_T4_T5_mT6_T7_P12ihipStream_tbENKUlT_T0_E_clISt17integral_constantIbLb0EES13_EEDaSY_SZ_EUlSY_E_NS1_11comp_targetILNS1_3genE3ELNS1_11target_archE908ELNS1_3gpuE7ELNS1_3repE0EEENS1_30default_config_static_selectorELNS0_4arch9wavefront6targetE0EEEvT1_.has_recursion, 0
	.set _ZN7rocprim17ROCPRIM_400000_NS6detail17trampoline_kernelINS0_14default_configENS1_27scan_by_key_config_selectorIj11FixedVectorIiLj2EEEEZZNS1_16scan_by_key_implILNS1_25lookback_scan_determinismE0ELb0ES3_N6thrust23THRUST_200600_302600_NS6detail15normal_iteratorINSB_10device_ptrIjEEEENSD_INSE_IS6_EEEESI_S6_NSB_4plusIvEENSB_8equal_toIvEES6_EE10hipError_tPvRmT2_T3_T4_T5_mT6_T7_P12ihipStream_tbENKUlT_T0_E_clISt17integral_constantIbLb0EES13_EEDaSY_SZ_EUlSY_E_NS1_11comp_targetILNS1_3genE3ELNS1_11target_archE908ELNS1_3gpuE7ELNS1_3repE0EEENS1_30default_config_static_selectorELNS0_4arch9wavefront6targetE0EEEvT1_.has_indirect_call, 0
	.section	.AMDGPU.csdata,"",@progbits
; Kernel info:
; codeLenInByte = 0
; TotalNumSgprs: 0
; NumVgprs: 0
; ScratchSize: 0
; MemoryBound: 0
; FloatMode: 240
; IeeeMode: 1
; LDSByteSize: 0 bytes/workgroup (compile time only)
; SGPRBlocks: 0
; VGPRBlocks: 0
; NumSGPRsForWavesPerEU: 1
; NumVGPRsForWavesPerEU: 1
; Occupancy: 16
; WaveLimiterHint : 0
; COMPUTE_PGM_RSRC2:SCRATCH_EN: 0
; COMPUTE_PGM_RSRC2:USER_SGPR: 6
; COMPUTE_PGM_RSRC2:TRAP_HANDLER: 0
; COMPUTE_PGM_RSRC2:TGID_X_EN: 1
; COMPUTE_PGM_RSRC2:TGID_Y_EN: 0
; COMPUTE_PGM_RSRC2:TGID_Z_EN: 0
; COMPUTE_PGM_RSRC2:TIDIG_COMP_CNT: 0
	.section	.text._ZN7rocprim17ROCPRIM_400000_NS6detail17trampoline_kernelINS0_14default_configENS1_27scan_by_key_config_selectorIj11FixedVectorIiLj2EEEEZZNS1_16scan_by_key_implILNS1_25lookback_scan_determinismE0ELb0ES3_N6thrust23THRUST_200600_302600_NS6detail15normal_iteratorINSB_10device_ptrIjEEEENSD_INSE_IS6_EEEESI_S6_NSB_4plusIvEENSB_8equal_toIvEES6_EE10hipError_tPvRmT2_T3_T4_T5_mT6_T7_P12ihipStream_tbENKUlT_T0_E_clISt17integral_constantIbLb0EES13_EEDaSY_SZ_EUlSY_E_NS1_11comp_targetILNS1_3genE2ELNS1_11target_archE906ELNS1_3gpuE6ELNS1_3repE0EEENS1_30default_config_static_selectorELNS0_4arch9wavefront6targetE0EEEvT1_,"axG",@progbits,_ZN7rocprim17ROCPRIM_400000_NS6detail17trampoline_kernelINS0_14default_configENS1_27scan_by_key_config_selectorIj11FixedVectorIiLj2EEEEZZNS1_16scan_by_key_implILNS1_25lookback_scan_determinismE0ELb0ES3_N6thrust23THRUST_200600_302600_NS6detail15normal_iteratorINSB_10device_ptrIjEEEENSD_INSE_IS6_EEEESI_S6_NSB_4plusIvEENSB_8equal_toIvEES6_EE10hipError_tPvRmT2_T3_T4_T5_mT6_T7_P12ihipStream_tbENKUlT_T0_E_clISt17integral_constantIbLb0EES13_EEDaSY_SZ_EUlSY_E_NS1_11comp_targetILNS1_3genE2ELNS1_11target_archE906ELNS1_3gpuE6ELNS1_3repE0EEENS1_30default_config_static_selectorELNS0_4arch9wavefront6targetE0EEEvT1_,comdat
	.protected	_ZN7rocprim17ROCPRIM_400000_NS6detail17trampoline_kernelINS0_14default_configENS1_27scan_by_key_config_selectorIj11FixedVectorIiLj2EEEEZZNS1_16scan_by_key_implILNS1_25lookback_scan_determinismE0ELb0ES3_N6thrust23THRUST_200600_302600_NS6detail15normal_iteratorINSB_10device_ptrIjEEEENSD_INSE_IS6_EEEESI_S6_NSB_4plusIvEENSB_8equal_toIvEES6_EE10hipError_tPvRmT2_T3_T4_T5_mT6_T7_P12ihipStream_tbENKUlT_T0_E_clISt17integral_constantIbLb0EES13_EEDaSY_SZ_EUlSY_E_NS1_11comp_targetILNS1_3genE2ELNS1_11target_archE906ELNS1_3gpuE6ELNS1_3repE0EEENS1_30default_config_static_selectorELNS0_4arch9wavefront6targetE0EEEvT1_ ; -- Begin function _ZN7rocprim17ROCPRIM_400000_NS6detail17trampoline_kernelINS0_14default_configENS1_27scan_by_key_config_selectorIj11FixedVectorIiLj2EEEEZZNS1_16scan_by_key_implILNS1_25lookback_scan_determinismE0ELb0ES3_N6thrust23THRUST_200600_302600_NS6detail15normal_iteratorINSB_10device_ptrIjEEEENSD_INSE_IS6_EEEESI_S6_NSB_4plusIvEENSB_8equal_toIvEES6_EE10hipError_tPvRmT2_T3_T4_T5_mT6_T7_P12ihipStream_tbENKUlT_T0_E_clISt17integral_constantIbLb0EES13_EEDaSY_SZ_EUlSY_E_NS1_11comp_targetILNS1_3genE2ELNS1_11target_archE906ELNS1_3gpuE6ELNS1_3repE0EEENS1_30default_config_static_selectorELNS0_4arch9wavefront6targetE0EEEvT1_
	.globl	_ZN7rocprim17ROCPRIM_400000_NS6detail17trampoline_kernelINS0_14default_configENS1_27scan_by_key_config_selectorIj11FixedVectorIiLj2EEEEZZNS1_16scan_by_key_implILNS1_25lookback_scan_determinismE0ELb0ES3_N6thrust23THRUST_200600_302600_NS6detail15normal_iteratorINSB_10device_ptrIjEEEENSD_INSE_IS6_EEEESI_S6_NSB_4plusIvEENSB_8equal_toIvEES6_EE10hipError_tPvRmT2_T3_T4_T5_mT6_T7_P12ihipStream_tbENKUlT_T0_E_clISt17integral_constantIbLb0EES13_EEDaSY_SZ_EUlSY_E_NS1_11comp_targetILNS1_3genE2ELNS1_11target_archE906ELNS1_3gpuE6ELNS1_3repE0EEENS1_30default_config_static_selectorELNS0_4arch9wavefront6targetE0EEEvT1_
	.p2align	8
	.type	_ZN7rocprim17ROCPRIM_400000_NS6detail17trampoline_kernelINS0_14default_configENS1_27scan_by_key_config_selectorIj11FixedVectorIiLj2EEEEZZNS1_16scan_by_key_implILNS1_25lookback_scan_determinismE0ELb0ES3_N6thrust23THRUST_200600_302600_NS6detail15normal_iteratorINSB_10device_ptrIjEEEENSD_INSE_IS6_EEEESI_S6_NSB_4plusIvEENSB_8equal_toIvEES6_EE10hipError_tPvRmT2_T3_T4_T5_mT6_T7_P12ihipStream_tbENKUlT_T0_E_clISt17integral_constantIbLb0EES13_EEDaSY_SZ_EUlSY_E_NS1_11comp_targetILNS1_3genE2ELNS1_11target_archE906ELNS1_3gpuE6ELNS1_3repE0EEENS1_30default_config_static_selectorELNS0_4arch9wavefront6targetE0EEEvT1_,@function
_ZN7rocprim17ROCPRIM_400000_NS6detail17trampoline_kernelINS0_14default_configENS1_27scan_by_key_config_selectorIj11FixedVectorIiLj2EEEEZZNS1_16scan_by_key_implILNS1_25lookback_scan_determinismE0ELb0ES3_N6thrust23THRUST_200600_302600_NS6detail15normal_iteratorINSB_10device_ptrIjEEEENSD_INSE_IS6_EEEESI_S6_NSB_4plusIvEENSB_8equal_toIvEES6_EE10hipError_tPvRmT2_T3_T4_T5_mT6_T7_P12ihipStream_tbENKUlT_T0_E_clISt17integral_constantIbLb0EES13_EEDaSY_SZ_EUlSY_E_NS1_11comp_targetILNS1_3genE2ELNS1_11target_archE906ELNS1_3gpuE6ELNS1_3repE0EEENS1_30default_config_static_selectorELNS0_4arch9wavefront6targetE0EEEvT1_: ; @_ZN7rocprim17ROCPRIM_400000_NS6detail17trampoline_kernelINS0_14default_configENS1_27scan_by_key_config_selectorIj11FixedVectorIiLj2EEEEZZNS1_16scan_by_key_implILNS1_25lookback_scan_determinismE0ELb0ES3_N6thrust23THRUST_200600_302600_NS6detail15normal_iteratorINSB_10device_ptrIjEEEENSD_INSE_IS6_EEEESI_S6_NSB_4plusIvEENSB_8equal_toIvEES6_EE10hipError_tPvRmT2_T3_T4_T5_mT6_T7_P12ihipStream_tbENKUlT_T0_E_clISt17integral_constantIbLb0EES13_EEDaSY_SZ_EUlSY_E_NS1_11comp_targetILNS1_3genE2ELNS1_11target_archE906ELNS1_3gpuE6ELNS1_3repE0EEENS1_30default_config_static_selectorELNS0_4arch9wavefront6targetE0EEEvT1_
; %bb.0:
	.section	.rodata,"a",@progbits
	.p2align	6, 0x0
	.amdhsa_kernel _ZN7rocprim17ROCPRIM_400000_NS6detail17trampoline_kernelINS0_14default_configENS1_27scan_by_key_config_selectorIj11FixedVectorIiLj2EEEEZZNS1_16scan_by_key_implILNS1_25lookback_scan_determinismE0ELb0ES3_N6thrust23THRUST_200600_302600_NS6detail15normal_iteratorINSB_10device_ptrIjEEEENSD_INSE_IS6_EEEESI_S6_NSB_4plusIvEENSB_8equal_toIvEES6_EE10hipError_tPvRmT2_T3_T4_T5_mT6_T7_P12ihipStream_tbENKUlT_T0_E_clISt17integral_constantIbLb0EES13_EEDaSY_SZ_EUlSY_E_NS1_11comp_targetILNS1_3genE2ELNS1_11target_archE906ELNS1_3gpuE6ELNS1_3repE0EEENS1_30default_config_static_selectorELNS0_4arch9wavefront6targetE0EEEvT1_
		.amdhsa_group_segment_fixed_size 0
		.amdhsa_private_segment_fixed_size 0
		.amdhsa_kernarg_size 120
		.amdhsa_user_sgpr_count 6
		.amdhsa_user_sgpr_private_segment_buffer 1
		.amdhsa_user_sgpr_dispatch_ptr 0
		.amdhsa_user_sgpr_queue_ptr 0
		.amdhsa_user_sgpr_kernarg_segment_ptr 1
		.amdhsa_user_sgpr_dispatch_id 0
		.amdhsa_user_sgpr_flat_scratch_init 0
		.amdhsa_user_sgpr_private_segment_size 0
		.amdhsa_wavefront_size32 1
		.amdhsa_uses_dynamic_stack 0
		.amdhsa_system_sgpr_private_segment_wavefront_offset 0
		.amdhsa_system_sgpr_workgroup_id_x 1
		.amdhsa_system_sgpr_workgroup_id_y 0
		.amdhsa_system_sgpr_workgroup_id_z 0
		.amdhsa_system_sgpr_workgroup_info 0
		.amdhsa_system_vgpr_workitem_id 0
		.amdhsa_next_free_vgpr 1
		.amdhsa_next_free_sgpr 1
		.amdhsa_reserve_vcc 0
		.amdhsa_reserve_flat_scratch 0
		.amdhsa_float_round_mode_32 0
		.amdhsa_float_round_mode_16_64 0
		.amdhsa_float_denorm_mode_32 3
		.amdhsa_float_denorm_mode_16_64 3
		.amdhsa_dx10_clamp 1
		.amdhsa_ieee_mode 1
		.amdhsa_fp16_overflow 0
		.amdhsa_workgroup_processor_mode 1
		.amdhsa_memory_ordered 1
		.amdhsa_forward_progress 1
		.amdhsa_shared_vgpr_count 0
		.amdhsa_exception_fp_ieee_invalid_op 0
		.amdhsa_exception_fp_denorm_src 0
		.amdhsa_exception_fp_ieee_div_zero 0
		.amdhsa_exception_fp_ieee_overflow 0
		.amdhsa_exception_fp_ieee_underflow 0
		.amdhsa_exception_fp_ieee_inexact 0
		.amdhsa_exception_int_div_zero 0
	.end_amdhsa_kernel
	.section	.text._ZN7rocprim17ROCPRIM_400000_NS6detail17trampoline_kernelINS0_14default_configENS1_27scan_by_key_config_selectorIj11FixedVectorIiLj2EEEEZZNS1_16scan_by_key_implILNS1_25lookback_scan_determinismE0ELb0ES3_N6thrust23THRUST_200600_302600_NS6detail15normal_iteratorINSB_10device_ptrIjEEEENSD_INSE_IS6_EEEESI_S6_NSB_4plusIvEENSB_8equal_toIvEES6_EE10hipError_tPvRmT2_T3_T4_T5_mT6_T7_P12ihipStream_tbENKUlT_T0_E_clISt17integral_constantIbLb0EES13_EEDaSY_SZ_EUlSY_E_NS1_11comp_targetILNS1_3genE2ELNS1_11target_archE906ELNS1_3gpuE6ELNS1_3repE0EEENS1_30default_config_static_selectorELNS0_4arch9wavefront6targetE0EEEvT1_,"axG",@progbits,_ZN7rocprim17ROCPRIM_400000_NS6detail17trampoline_kernelINS0_14default_configENS1_27scan_by_key_config_selectorIj11FixedVectorIiLj2EEEEZZNS1_16scan_by_key_implILNS1_25lookback_scan_determinismE0ELb0ES3_N6thrust23THRUST_200600_302600_NS6detail15normal_iteratorINSB_10device_ptrIjEEEENSD_INSE_IS6_EEEESI_S6_NSB_4plusIvEENSB_8equal_toIvEES6_EE10hipError_tPvRmT2_T3_T4_T5_mT6_T7_P12ihipStream_tbENKUlT_T0_E_clISt17integral_constantIbLb0EES13_EEDaSY_SZ_EUlSY_E_NS1_11comp_targetILNS1_3genE2ELNS1_11target_archE906ELNS1_3gpuE6ELNS1_3repE0EEENS1_30default_config_static_selectorELNS0_4arch9wavefront6targetE0EEEvT1_,comdat
.Lfunc_end1956:
	.size	_ZN7rocprim17ROCPRIM_400000_NS6detail17trampoline_kernelINS0_14default_configENS1_27scan_by_key_config_selectorIj11FixedVectorIiLj2EEEEZZNS1_16scan_by_key_implILNS1_25lookback_scan_determinismE0ELb0ES3_N6thrust23THRUST_200600_302600_NS6detail15normal_iteratorINSB_10device_ptrIjEEEENSD_INSE_IS6_EEEESI_S6_NSB_4plusIvEENSB_8equal_toIvEES6_EE10hipError_tPvRmT2_T3_T4_T5_mT6_T7_P12ihipStream_tbENKUlT_T0_E_clISt17integral_constantIbLb0EES13_EEDaSY_SZ_EUlSY_E_NS1_11comp_targetILNS1_3genE2ELNS1_11target_archE906ELNS1_3gpuE6ELNS1_3repE0EEENS1_30default_config_static_selectorELNS0_4arch9wavefront6targetE0EEEvT1_, .Lfunc_end1956-_ZN7rocprim17ROCPRIM_400000_NS6detail17trampoline_kernelINS0_14default_configENS1_27scan_by_key_config_selectorIj11FixedVectorIiLj2EEEEZZNS1_16scan_by_key_implILNS1_25lookback_scan_determinismE0ELb0ES3_N6thrust23THRUST_200600_302600_NS6detail15normal_iteratorINSB_10device_ptrIjEEEENSD_INSE_IS6_EEEESI_S6_NSB_4plusIvEENSB_8equal_toIvEES6_EE10hipError_tPvRmT2_T3_T4_T5_mT6_T7_P12ihipStream_tbENKUlT_T0_E_clISt17integral_constantIbLb0EES13_EEDaSY_SZ_EUlSY_E_NS1_11comp_targetILNS1_3genE2ELNS1_11target_archE906ELNS1_3gpuE6ELNS1_3repE0EEENS1_30default_config_static_selectorELNS0_4arch9wavefront6targetE0EEEvT1_
                                        ; -- End function
	.set _ZN7rocprim17ROCPRIM_400000_NS6detail17trampoline_kernelINS0_14default_configENS1_27scan_by_key_config_selectorIj11FixedVectorIiLj2EEEEZZNS1_16scan_by_key_implILNS1_25lookback_scan_determinismE0ELb0ES3_N6thrust23THRUST_200600_302600_NS6detail15normal_iteratorINSB_10device_ptrIjEEEENSD_INSE_IS6_EEEESI_S6_NSB_4plusIvEENSB_8equal_toIvEES6_EE10hipError_tPvRmT2_T3_T4_T5_mT6_T7_P12ihipStream_tbENKUlT_T0_E_clISt17integral_constantIbLb0EES13_EEDaSY_SZ_EUlSY_E_NS1_11comp_targetILNS1_3genE2ELNS1_11target_archE906ELNS1_3gpuE6ELNS1_3repE0EEENS1_30default_config_static_selectorELNS0_4arch9wavefront6targetE0EEEvT1_.num_vgpr, 0
	.set _ZN7rocprim17ROCPRIM_400000_NS6detail17trampoline_kernelINS0_14default_configENS1_27scan_by_key_config_selectorIj11FixedVectorIiLj2EEEEZZNS1_16scan_by_key_implILNS1_25lookback_scan_determinismE0ELb0ES3_N6thrust23THRUST_200600_302600_NS6detail15normal_iteratorINSB_10device_ptrIjEEEENSD_INSE_IS6_EEEESI_S6_NSB_4plusIvEENSB_8equal_toIvEES6_EE10hipError_tPvRmT2_T3_T4_T5_mT6_T7_P12ihipStream_tbENKUlT_T0_E_clISt17integral_constantIbLb0EES13_EEDaSY_SZ_EUlSY_E_NS1_11comp_targetILNS1_3genE2ELNS1_11target_archE906ELNS1_3gpuE6ELNS1_3repE0EEENS1_30default_config_static_selectorELNS0_4arch9wavefront6targetE0EEEvT1_.num_agpr, 0
	.set _ZN7rocprim17ROCPRIM_400000_NS6detail17trampoline_kernelINS0_14default_configENS1_27scan_by_key_config_selectorIj11FixedVectorIiLj2EEEEZZNS1_16scan_by_key_implILNS1_25lookback_scan_determinismE0ELb0ES3_N6thrust23THRUST_200600_302600_NS6detail15normal_iteratorINSB_10device_ptrIjEEEENSD_INSE_IS6_EEEESI_S6_NSB_4plusIvEENSB_8equal_toIvEES6_EE10hipError_tPvRmT2_T3_T4_T5_mT6_T7_P12ihipStream_tbENKUlT_T0_E_clISt17integral_constantIbLb0EES13_EEDaSY_SZ_EUlSY_E_NS1_11comp_targetILNS1_3genE2ELNS1_11target_archE906ELNS1_3gpuE6ELNS1_3repE0EEENS1_30default_config_static_selectorELNS0_4arch9wavefront6targetE0EEEvT1_.numbered_sgpr, 0
	.set _ZN7rocprim17ROCPRIM_400000_NS6detail17trampoline_kernelINS0_14default_configENS1_27scan_by_key_config_selectorIj11FixedVectorIiLj2EEEEZZNS1_16scan_by_key_implILNS1_25lookback_scan_determinismE0ELb0ES3_N6thrust23THRUST_200600_302600_NS6detail15normal_iteratorINSB_10device_ptrIjEEEENSD_INSE_IS6_EEEESI_S6_NSB_4plusIvEENSB_8equal_toIvEES6_EE10hipError_tPvRmT2_T3_T4_T5_mT6_T7_P12ihipStream_tbENKUlT_T0_E_clISt17integral_constantIbLb0EES13_EEDaSY_SZ_EUlSY_E_NS1_11comp_targetILNS1_3genE2ELNS1_11target_archE906ELNS1_3gpuE6ELNS1_3repE0EEENS1_30default_config_static_selectorELNS0_4arch9wavefront6targetE0EEEvT1_.num_named_barrier, 0
	.set _ZN7rocprim17ROCPRIM_400000_NS6detail17trampoline_kernelINS0_14default_configENS1_27scan_by_key_config_selectorIj11FixedVectorIiLj2EEEEZZNS1_16scan_by_key_implILNS1_25lookback_scan_determinismE0ELb0ES3_N6thrust23THRUST_200600_302600_NS6detail15normal_iteratorINSB_10device_ptrIjEEEENSD_INSE_IS6_EEEESI_S6_NSB_4plusIvEENSB_8equal_toIvEES6_EE10hipError_tPvRmT2_T3_T4_T5_mT6_T7_P12ihipStream_tbENKUlT_T0_E_clISt17integral_constantIbLb0EES13_EEDaSY_SZ_EUlSY_E_NS1_11comp_targetILNS1_3genE2ELNS1_11target_archE906ELNS1_3gpuE6ELNS1_3repE0EEENS1_30default_config_static_selectorELNS0_4arch9wavefront6targetE0EEEvT1_.private_seg_size, 0
	.set _ZN7rocprim17ROCPRIM_400000_NS6detail17trampoline_kernelINS0_14default_configENS1_27scan_by_key_config_selectorIj11FixedVectorIiLj2EEEEZZNS1_16scan_by_key_implILNS1_25lookback_scan_determinismE0ELb0ES3_N6thrust23THRUST_200600_302600_NS6detail15normal_iteratorINSB_10device_ptrIjEEEENSD_INSE_IS6_EEEESI_S6_NSB_4plusIvEENSB_8equal_toIvEES6_EE10hipError_tPvRmT2_T3_T4_T5_mT6_T7_P12ihipStream_tbENKUlT_T0_E_clISt17integral_constantIbLb0EES13_EEDaSY_SZ_EUlSY_E_NS1_11comp_targetILNS1_3genE2ELNS1_11target_archE906ELNS1_3gpuE6ELNS1_3repE0EEENS1_30default_config_static_selectorELNS0_4arch9wavefront6targetE0EEEvT1_.uses_vcc, 0
	.set _ZN7rocprim17ROCPRIM_400000_NS6detail17trampoline_kernelINS0_14default_configENS1_27scan_by_key_config_selectorIj11FixedVectorIiLj2EEEEZZNS1_16scan_by_key_implILNS1_25lookback_scan_determinismE0ELb0ES3_N6thrust23THRUST_200600_302600_NS6detail15normal_iteratorINSB_10device_ptrIjEEEENSD_INSE_IS6_EEEESI_S6_NSB_4plusIvEENSB_8equal_toIvEES6_EE10hipError_tPvRmT2_T3_T4_T5_mT6_T7_P12ihipStream_tbENKUlT_T0_E_clISt17integral_constantIbLb0EES13_EEDaSY_SZ_EUlSY_E_NS1_11comp_targetILNS1_3genE2ELNS1_11target_archE906ELNS1_3gpuE6ELNS1_3repE0EEENS1_30default_config_static_selectorELNS0_4arch9wavefront6targetE0EEEvT1_.uses_flat_scratch, 0
	.set _ZN7rocprim17ROCPRIM_400000_NS6detail17trampoline_kernelINS0_14default_configENS1_27scan_by_key_config_selectorIj11FixedVectorIiLj2EEEEZZNS1_16scan_by_key_implILNS1_25lookback_scan_determinismE0ELb0ES3_N6thrust23THRUST_200600_302600_NS6detail15normal_iteratorINSB_10device_ptrIjEEEENSD_INSE_IS6_EEEESI_S6_NSB_4plusIvEENSB_8equal_toIvEES6_EE10hipError_tPvRmT2_T3_T4_T5_mT6_T7_P12ihipStream_tbENKUlT_T0_E_clISt17integral_constantIbLb0EES13_EEDaSY_SZ_EUlSY_E_NS1_11comp_targetILNS1_3genE2ELNS1_11target_archE906ELNS1_3gpuE6ELNS1_3repE0EEENS1_30default_config_static_selectorELNS0_4arch9wavefront6targetE0EEEvT1_.has_dyn_sized_stack, 0
	.set _ZN7rocprim17ROCPRIM_400000_NS6detail17trampoline_kernelINS0_14default_configENS1_27scan_by_key_config_selectorIj11FixedVectorIiLj2EEEEZZNS1_16scan_by_key_implILNS1_25lookback_scan_determinismE0ELb0ES3_N6thrust23THRUST_200600_302600_NS6detail15normal_iteratorINSB_10device_ptrIjEEEENSD_INSE_IS6_EEEESI_S6_NSB_4plusIvEENSB_8equal_toIvEES6_EE10hipError_tPvRmT2_T3_T4_T5_mT6_T7_P12ihipStream_tbENKUlT_T0_E_clISt17integral_constantIbLb0EES13_EEDaSY_SZ_EUlSY_E_NS1_11comp_targetILNS1_3genE2ELNS1_11target_archE906ELNS1_3gpuE6ELNS1_3repE0EEENS1_30default_config_static_selectorELNS0_4arch9wavefront6targetE0EEEvT1_.has_recursion, 0
	.set _ZN7rocprim17ROCPRIM_400000_NS6detail17trampoline_kernelINS0_14default_configENS1_27scan_by_key_config_selectorIj11FixedVectorIiLj2EEEEZZNS1_16scan_by_key_implILNS1_25lookback_scan_determinismE0ELb0ES3_N6thrust23THRUST_200600_302600_NS6detail15normal_iteratorINSB_10device_ptrIjEEEENSD_INSE_IS6_EEEESI_S6_NSB_4plusIvEENSB_8equal_toIvEES6_EE10hipError_tPvRmT2_T3_T4_T5_mT6_T7_P12ihipStream_tbENKUlT_T0_E_clISt17integral_constantIbLb0EES13_EEDaSY_SZ_EUlSY_E_NS1_11comp_targetILNS1_3genE2ELNS1_11target_archE906ELNS1_3gpuE6ELNS1_3repE0EEENS1_30default_config_static_selectorELNS0_4arch9wavefront6targetE0EEEvT1_.has_indirect_call, 0
	.section	.AMDGPU.csdata,"",@progbits
; Kernel info:
; codeLenInByte = 0
; TotalNumSgprs: 0
; NumVgprs: 0
; ScratchSize: 0
; MemoryBound: 0
; FloatMode: 240
; IeeeMode: 1
; LDSByteSize: 0 bytes/workgroup (compile time only)
; SGPRBlocks: 0
; VGPRBlocks: 0
; NumSGPRsForWavesPerEU: 1
; NumVGPRsForWavesPerEU: 1
; Occupancy: 16
; WaveLimiterHint : 0
; COMPUTE_PGM_RSRC2:SCRATCH_EN: 0
; COMPUTE_PGM_RSRC2:USER_SGPR: 6
; COMPUTE_PGM_RSRC2:TRAP_HANDLER: 0
; COMPUTE_PGM_RSRC2:TGID_X_EN: 1
; COMPUTE_PGM_RSRC2:TGID_Y_EN: 0
; COMPUTE_PGM_RSRC2:TGID_Z_EN: 0
; COMPUTE_PGM_RSRC2:TIDIG_COMP_CNT: 0
	.section	.text._ZN7rocprim17ROCPRIM_400000_NS6detail17trampoline_kernelINS0_14default_configENS1_27scan_by_key_config_selectorIj11FixedVectorIiLj2EEEEZZNS1_16scan_by_key_implILNS1_25lookback_scan_determinismE0ELb0ES3_N6thrust23THRUST_200600_302600_NS6detail15normal_iteratorINSB_10device_ptrIjEEEENSD_INSE_IS6_EEEESI_S6_NSB_4plusIvEENSB_8equal_toIvEES6_EE10hipError_tPvRmT2_T3_T4_T5_mT6_T7_P12ihipStream_tbENKUlT_T0_E_clISt17integral_constantIbLb0EES13_EEDaSY_SZ_EUlSY_E_NS1_11comp_targetILNS1_3genE10ELNS1_11target_archE1200ELNS1_3gpuE4ELNS1_3repE0EEENS1_30default_config_static_selectorELNS0_4arch9wavefront6targetE0EEEvT1_,"axG",@progbits,_ZN7rocprim17ROCPRIM_400000_NS6detail17trampoline_kernelINS0_14default_configENS1_27scan_by_key_config_selectorIj11FixedVectorIiLj2EEEEZZNS1_16scan_by_key_implILNS1_25lookback_scan_determinismE0ELb0ES3_N6thrust23THRUST_200600_302600_NS6detail15normal_iteratorINSB_10device_ptrIjEEEENSD_INSE_IS6_EEEESI_S6_NSB_4plusIvEENSB_8equal_toIvEES6_EE10hipError_tPvRmT2_T3_T4_T5_mT6_T7_P12ihipStream_tbENKUlT_T0_E_clISt17integral_constantIbLb0EES13_EEDaSY_SZ_EUlSY_E_NS1_11comp_targetILNS1_3genE10ELNS1_11target_archE1200ELNS1_3gpuE4ELNS1_3repE0EEENS1_30default_config_static_selectorELNS0_4arch9wavefront6targetE0EEEvT1_,comdat
	.protected	_ZN7rocprim17ROCPRIM_400000_NS6detail17trampoline_kernelINS0_14default_configENS1_27scan_by_key_config_selectorIj11FixedVectorIiLj2EEEEZZNS1_16scan_by_key_implILNS1_25lookback_scan_determinismE0ELb0ES3_N6thrust23THRUST_200600_302600_NS6detail15normal_iteratorINSB_10device_ptrIjEEEENSD_INSE_IS6_EEEESI_S6_NSB_4plusIvEENSB_8equal_toIvEES6_EE10hipError_tPvRmT2_T3_T4_T5_mT6_T7_P12ihipStream_tbENKUlT_T0_E_clISt17integral_constantIbLb0EES13_EEDaSY_SZ_EUlSY_E_NS1_11comp_targetILNS1_3genE10ELNS1_11target_archE1200ELNS1_3gpuE4ELNS1_3repE0EEENS1_30default_config_static_selectorELNS0_4arch9wavefront6targetE0EEEvT1_ ; -- Begin function _ZN7rocprim17ROCPRIM_400000_NS6detail17trampoline_kernelINS0_14default_configENS1_27scan_by_key_config_selectorIj11FixedVectorIiLj2EEEEZZNS1_16scan_by_key_implILNS1_25lookback_scan_determinismE0ELb0ES3_N6thrust23THRUST_200600_302600_NS6detail15normal_iteratorINSB_10device_ptrIjEEEENSD_INSE_IS6_EEEESI_S6_NSB_4plusIvEENSB_8equal_toIvEES6_EE10hipError_tPvRmT2_T3_T4_T5_mT6_T7_P12ihipStream_tbENKUlT_T0_E_clISt17integral_constantIbLb0EES13_EEDaSY_SZ_EUlSY_E_NS1_11comp_targetILNS1_3genE10ELNS1_11target_archE1200ELNS1_3gpuE4ELNS1_3repE0EEENS1_30default_config_static_selectorELNS0_4arch9wavefront6targetE0EEEvT1_
	.globl	_ZN7rocprim17ROCPRIM_400000_NS6detail17trampoline_kernelINS0_14default_configENS1_27scan_by_key_config_selectorIj11FixedVectorIiLj2EEEEZZNS1_16scan_by_key_implILNS1_25lookback_scan_determinismE0ELb0ES3_N6thrust23THRUST_200600_302600_NS6detail15normal_iteratorINSB_10device_ptrIjEEEENSD_INSE_IS6_EEEESI_S6_NSB_4plusIvEENSB_8equal_toIvEES6_EE10hipError_tPvRmT2_T3_T4_T5_mT6_T7_P12ihipStream_tbENKUlT_T0_E_clISt17integral_constantIbLb0EES13_EEDaSY_SZ_EUlSY_E_NS1_11comp_targetILNS1_3genE10ELNS1_11target_archE1200ELNS1_3gpuE4ELNS1_3repE0EEENS1_30default_config_static_selectorELNS0_4arch9wavefront6targetE0EEEvT1_
	.p2align	8
	.type	_ZN7rocprim17ROCPRIM_400000_NS6detail17trampoline_kernelINS0_14default_configENS1_27scan_by_key_config_selectorIj11FixedVectorIiLj2EEEEZZNS1_16scan_by_key_implILNS1_25lookback_scan_determinismE0ELb0ES3_N6thrust23THRUST_200600_302600_NS6detail15normal_iteratorINSB_10device_ptrIjEEEENSD_INSE_IS6_EEEESI_S6_NSB_4plusIvEENSB_8equal_toIvEES6_EE10hipError_tPvRmT2_T3_T4_T5_mT6_T7_P12ihipStream_tbENKUlT_T0_E_clISt17integral_constantIbLb0EES13_EEDaSY_SZ_EUlSY_E_NS1_11comp_targetILNS1_3genE10ELNS1_11target_archE1200ELNS1_3gpuE4ELNS1_3repE0EEENS1_30default_config_static_selectorELNS0_4arch9wavefront6targetE0EEEvT1_,@function
_ZN7rocprim17ROCPRIM_400000_NS6detail17trampoline_kernelINS0_14default_configENS1_27scan_by_key_config_selectorIj11FixedVectorIiLj2EEEEZZNS1_16scan_by_key_implILNS1_25lookback_scan_determinismE0ELb0ES3_N6thrust23THRUST_200600_302600_NS6detail15normal_iteratorINSB_10device_ptrIjEEEENSD_INSE_IS6_EEEESI_S6_NSB_4plusIvEENSB_8equal_toIvEES6_EE10hipError_tPvRmT2_T3_T4_T5_mT6_T7_P12ihipStream_tbENKUlT_T0_E_clISt17integral_constantIbLb0EES13_EEDaSY_SZ_EUlSY_E_NS1_11comp_targetILNS1_3genE10ELNS1_11target_archE1200ELNS1_3gpuE4ELNS1_3repE0EEENS1_30default_config_static_selectorELNS0_4arch9wavefront6targetE0EEEvT1_: ; @_ZN7rocprim17ROCPRIM_400000_NS6detail17trampoline_kernelINS0_14default_configENS1_27scan_by_key_config_selectorIj11FixedVectorIiLj2EEEEZZNS1_16scan_by_key_implILNS1_25lookback_scan_determinismE0ELb0ES3_N6thrust23THRUST_200600_302600_NS6detail15normal_iteratorINSB_10device_ptrIjEEEENSD_INSE_IS6_EEEESI_S6_NSB_4plusIvEENSB_8equal_toIvEES6_EE10hipError_tPvRmT2_T3_T4_T5_mT6_T7_P12ihipStream_tbENKUlT_T0_E_clISt17integral_constantIbLb0EES13_EEDaSY_SZ_EUlSY_E_NS1_11comp_targetILNS1_3genE10ELNS1_11target_archE1200ELNS1_3gpuE4ELNS1_3repE0EEENS1_30default_config_static_selectorELNS0_4arch9wavefront6targetE0EEEvT1_
; %bb.0:
	.section	.rodata,"a",@progbits
	.p2align	6, 0x0
	.amdhsa_kernel _ZN7rocprim17ROCPRIM_400000_NS6detail17trampoline_kernelINS0_14default_configENS1_27scan_by_key_config_selectorIj11FixedVectorIiLj2EEEEZZNS1_16scan_by_key_implILNS1_25lookback_scan_determinismE0ELb0ES3_N6thrust23THRUST_200600_302600_NS6detail15normal_iteratorINSB_10device_ptrIjEEEENSD_INSE_IS6_EEEESI_S6_NSB_4plusIvEENSB_8equal_toIvEES6_EE10hipError_tPvRmT2_T3_T4_T5_mT6_T7_P12ihipStream_tbENKUlT_T0_E_clISt17integral_constantIbLb0EES13_EEDaSY_SZ_EUlSY_E_NS1_11comp_targetILNS1_3genE10ELNS1_11target_archE1200ELNS1_3gpuE4ELNS1_3repE0EEENS1_30default_config_static_selectorELNS0_4arch9wavefront6targetE0EEEvT1_
		.amdhsa_group_segment_fixed_size 0
		.amdhsa_private_segment_fixed_size 0
		.amdhsa_kernarg_size 120
		.amdhsa_user_sgpr_count 6
		.amdhsa_user_sgpr_private_segment_buffer 1
		.amdhsa_user_sgpr_dispatch_ptr 0
		.amdhsa_user_sgpr_queue_ptr 0
		.amdhsa_user_sgpr_kernarg_segment_ptr 1
		.amdhsa_user_sgpr_dispatch_id 0
		.amdhsa_user_sgpr_flat_scratch_init 0
		.amdhsa_user_sgpr_private_segment_size 0
		.amdhsa_wavefront_size32 1
		.amdhsa_uses_dynamic_stack 0
		.amdhsa_system_sgpr_private_segment_wavefront_offset 0
		.amdhsa_system_sgpr_workgroup_id_x 1
		.amdhsa_system_sgpr_workgroup_id_y 0
		.amdhsa_system_sgpr_workgroup_id_z 0
		.amdhsa_system_sgpr_workgroup_info 0
		.amdhsa_system_vgpr_workitem_id 0
		.amdhsa_next_free_vgpr 1
		.amdhsa_next_free_sgpr 1
		.amdhsa_reserve_vcc 0
		.amdhsa_reserve_flat_scratch 0
		.amdhsa_float_round_mode_32 0
		.amdhsa_float_round_mode_16_64 0
		.amdhsa_float_denorm_mode_32 3
		.amdhsa_float_denorm_mode_16_64 3
		.amdhsa_dx10_clamp 1
		.amdhsa_ieee_mode 1
		.amdhsa_fp16_overflow 0
		.amdhsa_workgroup_processor_mode 1
		.amdhsa_memory_ordered 1
		.amdhsa_forward_progress 1
		.amdhsa_shared_vgpr_count 0
		.amdhsa_exception_fp_ieee_invalid_op 0
		.amdhsa_exception_fp_denorm_src 0
		.amdhsa_exception_fp_ieee_div_zero 0
		.amdhsa_exception_fp_ieee_overflow 0
		.amdhsa_exception_fp_ieee_underflow 0
		.amdhsa_exception_fp_ieee_inexact 0
		.amdhsa_exception_int_div_zero 0
	.end_amdhsa_kernel
	.section	.text._ZN7rocprim17ROCPRIM_400000_NS6detail17trampoline_kernelINS0_14default_configENS1_27scan_by_key_config_selectorIj11FixedVectorIiLj2EEEEZZNS1_16scan_by_key_implILNS1_25lookback_scan_determinismE0ELb0ES3_N6thrust23THRUST_200600_302600_NS6detail15normal_iteratorINSB_10device_ptrIjEEEENSD_INSE_IS6_EEEESI_S6_NSB_4plusIvEENSB_8equal_toIvEES6_EE10hipError_tPvRmT2_T3_T4_T5_mT6_T7_P12ihipStream_tbENKUlT_T0_E_clISt17integral_constantIbLb0EES13_EEDaSY_SZ_EUlSY_E_NS1_11comp_targetILNS1_3genE10ELNS1_11target_archE1200ELNS1_3gpuE4ELNS1_3repE0EEENS1_30default_config_static_selectorELNS0_4arch9wavefront6targetE0EEEvT1_,"axG",@progbits,_ZN7rocprim17ROCPRIM_400000_NS6detail17trampoline_kernelINS0_14default_configENS1_27scan_by_key_config_selectorIj11FixedVectorIiLj2EEEEZZNS1_16scan_by_key_implILNS1_25lookback_scan_determinismE0ELb0ES3_N6thrust23THRUST_200600_302600_NS6detail15normal_iteratorINSB_10device_ptrIjEEEENSD_INSE_IS6_EEEESI_S6_NSB_4plusIvEENSB_8equal_toIvEES6_EE10hipError_tPvRmT2_T3_T4_T5_mT6_T7_P12ihipStream_tbENKUlT_T0_E_clISt17integral_constantIbLb0EES13_EEDaSY_SZ_EUlSY_E_NS1_11comp_targetILNS1_3genE10ELNS1_11target_archE1200ELNS1_3gpuE4ELNS1_3repE0EEENS1_30default_config_static_selectorELNS0_4arch9wavefront6targetE0EEEvT1_,comdat
.Lfunc_end1957:
	.size	_ZN7rocprim17ROCPRIM_400000_NS6detail17trampoline_kernelINS0_14default_configENS1_27scan_by_key_config_selectorIj11FixedVectorIiLj2EEEEZZNS1_16scan_by_key_implILNS1_25lookback_scan_determinismE0ELb0ES3_N6thrust23THRUST_200600_302600_NS6detail15normal_iteratorINSB_10device_ptrIjEEEENSD_INSE_IS6_EEEESI_S6_NSB_4plusIvEENSB_8equal_toIvEES6_EE10hipError_tPvRmT2_T3_T4_T5_mT6_T7_P12ihipStream_tbENKUlT_T0_E_clISt17integral_constantIbLb0EES13_EEDaSY_SZ_EUlSY_E_NS1_11comp_targetILNS1_3genE10ELNS1_11target_archE1200ELNS1_3gpuE4ELNS1_3repE0EEENS1_30default_config_static_selectorELNS0_4arch9wavefront6targetE0EEEvT1_, .Lfunc_end1957-_ZN7rocprim17ROCPRIM_400000_NS6detail17trampoline_kernelINS0_14default_configENS1_27scan_by_key_config_selectorIj11FixedVectorIiLj2EEEEZZNS1_16scan_by_key_implILNS1_25lookback_scan_determinismE0ELb0ES3_N6thrust23THRUST_200600_302600_NS6detail15normal_iteratorINSB_10device_ptrIjEEEENSD_INSE_IS6_EEEESI_S6_NSB_4plusIvEENSB_8equal_toIvEES6_EE10hipError_tPvRmT2_T3_T4_T5_mT6_T7_P12ihipStream_tbENKUlT_T0_E_clISt17integral_constantIbLb0EES13_EEDaSY_SZ_EUlSY_E_NS1_11comp_targetILNS1_3genE10ELNS1_11target_archE1200ELNS1_3gpuE4ELNS1_3repE0EEENS1_30default_config_static_selectorELNS0_4arch9wavefront6targetE0EEEvT1_
                                        ; -- End function
	.set _ZN7rocprim17ROCPRIM_400000_NS6detail17trampoline_kernelINS0_14default_configENS1_27scan_by_key_config_selectorIj11FixedVectorIiLj2EEEEZZNS1_16scan_by_key_implILNS1_25lookback_scan_determinismE0ELb0ES3_N6thrust23THRUST_200600_302600_NS6detail15normal_iteratorINSB_10device_ptrIjEEEENSD_INSE_IS6_EEEESI_S6_NSB_4plusIvEENSB_8equal_toIvEES6_EE10hipError_tPvRmT2_T3_T4_T5_mT6_T7_P12ihipStream_tbENKUlT_T0_E_clISt17integral_constantIbLb0EES13_EEDaSY_SZ_EUlSY_E_NS1_11comp_targetILNS1_3genE10ELNS1_11target_archE1200ELNS1_3gpuE4ELNS1_3repE0EEENS1_30default_config_static_selectorELNS0_4arch9wavefront6targetE0EEEvT1_.num_vgpr, 0
	.set _ZN7rocprim17ROCPRIM_400000_NS6detail17trampoline_kernelINS0_14default_configENS1_27scan_by_key_config_selectorIj11FixedVectorIiLj2EEEEZZNS1_16scan_by_key_implILNS1_25lookback_scan_determinismE0ELb0ES3_N6thrust23THRUST_200600_302600_NS6detail15normal_iteratorINSB_10device_ptrIjEEEENSD_INSE_IS6_EEEESI_S6_NSB_4plusIvEENSB_8equal_toIvEES6_EE10hipError_tPvRmT2_T3_T4_T5_mT6_T7_P12ihipStream_tbENKUlT_T0_E_clISt17integral_constantIbLb0EES13_EEDaSY_SZ_EUlSY_E_NS1_11comp_targetILNS1_3genE10ELNS1_11target_archE1200ELNS1_3gpuE4ELNS1_3repE0EEENS1_30default_config_static_selectorELNS0_4arch9wavefront6targetE0EEEvT1_.num_agpr, 0
	.set _ZN7rocprim17ROCPRIM_400000_NS6detail17trampoline_kernelINS0_14default_configENS1_27scan_by_key_config_selectorIj11FixedVectorIiLj2EEEEZZNS1_16scan_by_key_implILNS1_25lookback_scan_determinismE0ELb0ES3_N6thrust23THRUST_200600_302600_NS6detail15normal_iteratorINSB_10device_ptrIjEEEENSD_INSE_IS6_EEEESI_S6_NSB_4plusIvEENSB_8equal_toIvEES6_EE10hipError_tPvRmT2_T3_T4_T5_mT6_T7_P12ihipStream_tbENKUlT_T0_E_clISt17integral_constantIbLb0EES13_EEDaSY_SZ_EUlSY_E_NS1_11comp_targetILNS1_3genE10ELNS1_11target_archE1200ELNS1_3gpuE4ELNS1_3repE0EEENS1_30default_config_static_selectorELNS0_4arch9wavefront6targetE0EEEvT1_.numbered_sgpr, 0
	.set _ZN7rocprim17ROCPRIM_400000_NS6detail17trampoline_kernelINS0_14default_configENS1_27scan_by_key_config_selectorIj11FixedVectorIiLj2EEEEZZNS1_16scan_by_key_implILNS1_25lookback_scan_determinismE0ELb0ES3_N6thrust23THRUST_200600_302600_NS6detail15normal_iteratorINSB_10device_ptrIjEEEENSD_INSE_IS6_EEEESI_S6_NSB_4plusIvEENSB_8equal_toIvEES6_EE10hipError_tPvRmT2_T3_T4_T5_mT6_T7_P12ihipStream_tbENKUlT_T0_E_clISt17integral_constantIbLb0EES13_EEDaSY_SZ_EUlSY_E_NS1_11comp_targetILNS1_3genE10ELNS1_11target_archE1200ELNS1_3gpuE4ELNS1_3repE0EEENS1_30default_config_static_selectorELNS0_4arch9wavefront6targetE0EEEvT1_.num_named_barrier, 0
	.set _ZN7rocprim17ROCPRIM_400000_NS6detail17trampoline_kernelINS0_14default_configENS1_27scan_by_key_config_selectorIj11FixedVectorIiLj2EEEEZZNS1_16scan_by_key_implILNS1_25lookback_scan_determinismE0ELb0ES3_N6thrust23THRUST_200600_302600_NS6detail15normal_iteratorINSB_10device_ptrIjEEEENSD_INSE_IS6_EEEESI_S6_NSB_4plusIvEENSB_8equal_toIvEES6_EE10hipError_tPvRmT2_T3_T4_T5_mT6_T7_P12ihipStream_tbENKUlT_T0_E_clISt17integral_constantIbLb0EES13_EEDaSY_SZ_EUlSY_E_NS1_11comp_targetILNS1_3genE10ELNS1_11target_archE1200ELNS1_3gpuE4ELNS1_3repE0EEENS1_30default_config_static_selectorELNS0_4arch9wavefront6targetE0EEEvT1_.private_seg_size, 0
	.set _ZN7rocprim17ROCPRIM_400000_NS6detail17trampoline_kernelINS0_14default_configENS1_27scan_by_key_config_selectorIj11FixedVectorIiLj2EEEEZZNS1_16scan_by_key_implILNS1_25lookback_scan_determinismE0ELb0ES3_N6thrust23THRUST_200600_302600_NS6detail15normal_iteratorINSB_10device_ptrIjEEEENSD_INSE_IS6_EEEESI_S6_NSB_4plusIvEENSB_8equal_toIvEES6_EE10hipError_tPvRmT2_T3_T4_T5_mT6_T7_P12ihipStream_tbENKUlT_T0_E_clISt17integral_constantIbLb0EES13_EEDaSY_SZ_EUlSY_E_NS1_11comp_targetILNS1_3genE10ELNS1_11target_archE1200ELNS1_3gpuE4ELNS1_3repE0EEENS1_30default_config_static_selectorELNS0_4arch9wavefront6targetE0EEEvT1_.uses_vcc, 0
	.set _ZN7rocprim17ROCPRIM_400000_NS6detail17trampoline_kernelINS0_14default_configENS1_27scan_by_key_config_selectorIj11FixedVectorIiLj2EEEEZZNS1_16scan_by_key_implILNS1_25lookback_scan_determinismE0ELb0ES3_N6thrust23THRUST_200600_302600_NS6detail15normal_iteratorINSB_10device_ptrIjEEEENSD_INSE_IS6_EEEESI_S6_NSB_4plusIvEENSB_8equal_toIvEES6_EE10hipError_tPvRmT2_T3_T4_T5_mT6_T7_P12ihipStream_tbENKUlT_T0_E_clISt17integral_constantIbLb0EES13_EEDaSY_SZ_EUlSY_E_NS1_11comp_targetILNS1_3genE10ELNS1_11target_archE1200ELNS1_3gpuE4ELNS1_3repE0EEENS1_30default_config_static_selectorELNS0_4arch9wavefront6targetE0EEEvT1_.uses_flat_scratch, 0
	.set _ZN7rocprim17ROCPRIM_400000_NS6detail17trampoline_kernelINS0_14default_configENS1_27scan_by_key_config_selectorIj11FixedVectorIiLj2EEEEZZNS1_16scan_by_key_implILNS1_25lookback_scan_determinismE0ELb0ES3_N6thrust23THRUST_200600_302600_NS6detail15normal_iteratorINSB_10device_ptrIjEEEENSD_INSE_IS6_EEEESI_S6_NSB_4plusIvEENSB_8equal_toIvEES6_EE10hipError_tPvRmT2_T3_T4_T5_mT6_T7_P12ihipStream_tbENKUlT_T0_E_clISt17integral_constantIbLb0EES13_EEDaSY_SZ_EUlSY_E_NS1_11comp_targetILNS1_3genE10ELNS1_11target_archE1200ELNS1_3gpuE4ELNS1_3repE0EEENS1_30default_config_static_selectorELNS0_4arch9wavefront6targetE0EEEvT1_.has_dyn_sized_stack, 0
	.set _ZN7rocprim17ROCPRIM_400000_NS6detail17trampoline_kernelINS0_14default_configENS1_27scan_by_key_config_selectorIj11FixedVectorIiLj2EEEEZZNS1_16scan_by_key_implILNS1_25lookback_scan_determinismE0ELb0ES3_N6thrust23THRUST_200600_302600_NS6detail15normal_iteratorINSB_10device_ptrIjEEEENSD_INSE_IS6_EEEESI_S6_NSB_4plusIvEENSB_8equal_toIvEES6_EE10hipError_tPvRmT2_T3_T4_T5_mT6_T7_P12ihipStream_tbENKUlT_T0_E_clISt17integral_constantIbLb0EES13_EEDaSY_SZ_EUlSY_E_NS1_11comp_targetILNS1_3genE10ELNS1_11target_archE1200ELNS1_3gpuE4ELNS1_3repE0EEENS1_30default_config_static_selectorELNS0_4arch9wavefront6targetE0EEEvT1_.has_recursion, 0
	.set _ZN7rocprim17ROCPRIM_400000_NS6detail17trampoline_kernelINS0_14default_configENS1_27scan_by_key_config_selectorIj11FixedVectorIiLj2EEEEZZNS1_16scan_by_key_implILNS1_25lookback_scan_determinismE0ELb0ES3_N6thrust23THRUST_200600_302600_NS6detail15normal_iteratorINSB_10device_ptrIjEEEENSD_INSE_IS6_EEEESI_S6_NSB_4plusIvEENSB_8equal_toIvEES6_EE10hipError_tPvRmT2_T3_T4_T5_mT6_T7_P12ihipStream_tbENKUlT_T0_E_clISt17integral_constantIbLb0EES13_EEDaSY_SZ_EUlSY_E_NS1_11comp_targetILNS1_3genE10ELNS1_11target_archE1200ELNS1_3gpuE4ELNS1_3repE0EEENS1_30default_config_static_selectorELNS0_4arch9wavefront6targetE0EEEvT1_.has_indirect_call, 0
	.section	.AMDGPU.csdata,"",@progbits
; Kernel info:
; codeLenInByte = 0
; TotalNumSgprs: 0
; NumVgprs: 0
; ScratchSize: 0
; MemoryBound: 0
; FloatMode: 240
; IeeeMode: 1
; LDSByteSize: 0 bytes/workgroup (compile time only)
; SGPRBlocks: 0
; VGPRBlocks: 0
; NumSGPRsForWavesPerEU: 1
; NumVGPRsForWavesPerEU: 1
; Occupancy: 16
; WaveLimiterHint : 0
; COMPUTE_PGM_RSRC2:SCRATCH_EN: 0
; COMPUTE_PGM_RSRC2:USER_SGPR: 6
; COMPUTE_PGM_RSRC2:TRAP_HANDLER: 0
; COMPUTE_PGM_RSRC2:TGID_X_EN: 1
; COMPUTE_PGM_RSRC2:TGID_Y_EN: 0
; COMPUTE_PGM_RSRC2:TGID_Z_EN: 0
; COMPUTE_PGM_RSRC2:TIDIG_COMP_CNT: 0
	.section	.text._ZN7rocprim17ROCPRIM_400000_NS6detail17trampoline_kernelINS0_14default_configENS1_27scan_by_key_config_selectorIj11FixedVectorIiLj2EEEEZZNS1_16scan_by_key_implILNS1_25lookback_scan_determinismE0ELb0ES3_N6thrust23THRUST_200600_302600_NS6detail15normal_iteratorINSB_10device_ptrIjEEEENSD_INSE_IS6_EEEESI_S6_NSB_4plusIvEENSB_8equal_toIvEES6_EE10hipError_tPvRmT2_T3_T4_T5_mT6_T7_P12ihipStream_tbENKUlT_T0_E_clISt17integral_constantIbLb0EES13_EEDaSY_SZ_EUlSY_E_NS1_11comp_targetILNS1_3genE9ELNS1_11target_archE1100ELNS1_3gpuE3ELNS1_3repE0EEENS1_30default_config_static_selectorELNS0_4arch9wavefront6targetE0EEEvT1_,"axG",@progbits,_ZN7rocprim17ROCPRIM_400000_NS6detail17trampoline_kernelINS0_14default_configENS1_27scan_by_key_config_selectorIj11FixedVectorIiLj2EEEEZZNS1_16scan_by_key_implILNS1_25lookback_scan_determinismE0ELb0ES3_N6thrust23THRUST_200600_302600_NS6detail15normal_iteratorINSB_10device_ptrIjEEEENSD_INSE_IS6_EEEESI_S6_NSB_4plusIvEENSB_8equal_toIvEES6_EE10hipError_tPvRmT2_T3_T4_T5_mT6_T7_P12ihipStream_tbENKUlT_T0_E_clISt17integral_constantIbLb0EES13_EEDaSY_SZ_EUlSY_E_NS1_11comp_targetILNS1_3genE9ELNS1_11target_archE1100ELNS1_3gpuE3ELNS1_3repE0EEENS1_30default_config_static_selectorELNS0_4arch9wavefront6targetE0EEEvT1_,comdat
	.protected	_ZN7rocprim17ROCPRIM_400000_NS6detail17trampoline_kernelINS0_14default_configENS1_27scan_by_key_config_selectorIj11FixedVectorIiLj2EEEEZZNS1_16scan_by_key_implILNS1_25lookback_scan_determinismE0ELb0ES3_N6thrust23THRUST_200600_302600_NS6detail15normal_iteratorINSB_10device_ptrIjEEEENSD_INSE_IS6_EEEESI_S6_NSB_4plusIvEENSB_8equal_toIvEES6_EE10hipError_tPvRmT2_T3_T4_T5_mT6_T7_P12ihipStream_tbENKUlT_T0_E_clISt17integral_constantIbLb0EES13_EEDaSY_SZ_EUlSY_E_NS1_11comp_targetILNS1_3genE9ELNS1_11target_archE1100ELNS1_3gpuE3ELNS1_3repE0EEENS1_30default_config_static_selectorELNS0_4arch9wavefront6targetE0EEEvT1_ ; -- Begin function _ZN7rocprim17ROCPRIM_400000_NS6detail17trampoline_kernelINS0_14default_configENS1_27scan_by_key_config_selectorIj11FixedVectorIiLj2EEEEZZNS1_16scan_by_key_implILNS1_25lookback_scan_determinismE0ELb0ES3_N6thrust23THRUST_200600_302600_NS6detail15normal_iteratorINSB_10device_ptrIjEEEENSD_INSE_IS6_EEEESI_S6_NSB_4plusIvEENSB_8equal_toIvEES6_EE10hipError_tPvRmT2_T3_T4_T5_mT6_T7_P12ihipStream_tbENKUlT_T0_E_clISt17integral_constantIbLb0EES13_EEDaSY_SZ_EUlSY_E_NS1_11comp_targetILNS1_3genE9ELNS1_11target_archE1100ELNS1_3gpuE3ELNS1_3repE0EEENS1_30default_config_static_selectorELNS0_4arch9wavefront6targetE0EEEvT1_
	.globl	_ZN7rocprim17ROCPRIM_400000_NS6detail17trampoline_kernelINS0_14default_configENS1_27scan_by_key_config_selectorIj11FixedVectorIiLj2EEEEZZNS1_16scan_by_key_implILNS1_25lookback_scan_determinismE0ELb0ES3_N6thrust23THRUST_200600_302600_NS6detail15normal_iteratorINSB_10device_ptrIjEEEENSD_INSE_IS6_EEEESI_S6_NSB_4plusIvEENSB_8equal_toIvEES6_EE10hipError_tPvRmT2_T3_T4_T5_mT6_T7_P12ihipStream_tbENKUlT_T0_E_clISt17integral_constantIbLb0EES13_EEDaSY_SZ_EUlSY_E_NS1_11comp_targetILNS1_3genE9ELNS1_11target_archE1100ELNS1_3gpuE3ELNS1_3repE0EEENS1_30default_config_static_selectorELNS0_4arch9wavefront6targetE0EEEvT1_
	.p2align	8
	.type	_ZN7rocprim17ROCPRIM_400000_NS6detail17trampoline_kernelINS0_14default_configENS1_27scan_by_key_config_selectorIj11FixedVectorIiLj2EEEEZZNS1_16scan_by_key_implILNS1_25lookback_scan_determinismE0ELb0ES3_N6thrust23THRUST_200600_302600_NS6detail15normal_iteratorINSB_10device_ptrIjEEEENSD_INSE_IS6_EEEESI_S6_NSB_4plusIvEENSB_8equal_toIvEES6_EE10hipError_tPvRmT2_T3_T4_T5_mT6_T7_P12ihipStream_tbENKUlT_T0_E_clISt17integral_constantIbLb0EES13_EEDaSY_SZ_EUlSY_E_NS1_11comp_targetILNS1_3genE9ELNS1_11target_archE1100ELNS1_3gpuE3ELNS1_3repE0EEENS1_30default_config_static_selectorELNS0_4arch9wavefront6targetE0EEEvT1_,@function
_ZN7rocprim17ROCPRIM_400000_NS6detail17trampoline_kernelINS0_14default_configENS1_27scan_by_key_config_selectorIj11FixedVectorIiLj2EEEEZZNS1_16scan_by_key_implILNS1_25lookback_scan_determinismE0ELb0ES3_N6thrust23THRUST_200600_302600_NS6detail15normal_iteratorINSB_10device_ptrIjEEEENSD_INSE_IS6_EEEESI_S6_NSB_4plusIvEENSB_8equal_toIvEES6_EE10hipError_tPvRmT2_T3_T4_T5_mT6_T7_P12ihipStream_tbENKUlT_T0_E_clISt17integral_constantIbLb0EES13_EEDaSY_SZ_EUlSY_E_NS1_11comp_targetILNS1_3genE9ELNS1_11target_archE1100ELNS1_3gpuE3ELNS1_3repE0EEENS1_30default_config_static_selectorELNS0_4arch9wavefront6targetE0EEEvT1_: ; @_ZN7rocprim17ROCPRIM_400000_NS6detail17trampoline_kernelINS0_14default_configENS1_27scan_by_key_config_selectorIj11FixedVectorIiLj2EEEEZZNS1_16scan_by_key_implILNS1_25lookback_scan_determinismE0ELb0ES3_N6thrust23THRUST_200600_302600_NS6detail15normal_iteratorINSB_10device_ptrIjEEEENSD_INSE_IS6_EEEESI_S6_NSB_4plusIvEENSB_8equal_toIvEES6_EE10hipError_tPvRmT2_T3_T4_T5_mT6_T7_P12ihipStream_tbENKUlT_T0_E_clISt17integral_constantIbLb0EES13_EEDaSY_SZ_EUlSY_E_NS1_11comp_targetILNS1_3genE9ELNS1_11target_archE1100ELNS1_3gpuE3ELNS1_3repE0EEENS1_30default_config_static_selectorELNS0_4arch9wavefront6targetE0EEEvT1_
; %bb.0:
	.section	.rodata,"a",@progbits
	.p2align	6, 0x0
	.amdhsa_kernel _ZN7rocprim17ROCPRIM_400000_NS6detail17trampoline_kernelINS0_14default_configENS1_27scan_by_key_config_selectorIj11FixedVectorIiLj2EEEEZZNS1_16scan_by_key_implILNS1_25lookback_scan_determinismE0ELb0ES3_N6thrust23THRUST_200600_302600_NS6detail15normal_iteratorINSB_10device_ptrIjEEEENSD_INSE_IS6_EEEESI_S6_NSB_4plusIvEENSB_8equal_toIvEES6_EE10hipError_tPvRmT2_T3_T4_T5_mT6_T7_P12ihipStream_tbENKUlT_T0_E_clISt17integral_constantIbLb0EES13_EEDaSY_SZ_EUlSY_E_NS1_11comp_targetILNS1_3genE9ELNS1_11target_archE1100ELNS1_3gpuE3ELNS1_3repE0EEENS1_30default_config_static_selectorELNS0_4arch9wavefront6targetE0EEEvT1_
		.amdhsa_group_segment_fixed_size 0
		.amdhsa_private_segment_fixed_size 0
		.amdhsa_kernarg_size 120
		.amdhsa_user_sgpr_count 6
		.amdhsa_user_sgpr_private_segment_buffer 1
		.amdhsa_user_sgpr_dispatch_ptr 0
		.amdhsa_user_sgpr_queue_ptr 0
		.amdhsa_user_sgpr_kernarg_segment_ptr 1
		.amdhsa_user_sgpr_dispatch_id 0
		.amdhsa_user_sgpr_flat_scratch_init 0
		.amdhsa_user_sgpr_private_segment_size 0
		.amdhsa_wavefront_size32 1
		.amdhsa_uses_dynamic_stack 0
		.amdhsa_system_sgpr_private_segment_wavefront_offset 0
		.amdhsa_system_sgpr_workgroup_id_x 1
		.amdhsa_system_sgpr_workgroup_id_y 0
		.amdhsa_system_sgpr_workgroup_id_z 0
		.amdhsa_system_sgpr_workgroup_info 0
		.amdhsa_system_vgpr_workitem_id 0
		.amdhsa_next_free_vgpr 1
		.amdhsa_next_free_sgpr 1
		.amdhsa_reserve_vcc 0
		.amdhsa_reserve_flat_scratch 0
		.amdhsa_float_round_mode_32 0
		.amdhsa_float_round_mode_16_64 0
		.amdhsa_float_denorm_mode_32 3
		.amdhsa_float_denorm_mode_16_64 3
		.amdhsa_dx10_clamp 1
		.amdhsa_ieee_mode 1
		.amdhsa_fp16_overflow 0
		.amdhsa_workgroup_processor_mode 1
		.amdhsa_memory_ordered 1
		.amdhsa_forward_progress 1
		.amdhsa_shared_vgpr_count 0
		.amdhsa_exception_fp_ieee_invalid_op 0
		.amdhsa_exception_fp_denorm_src 0
		.amdhsa_exception_fp_ieee_div_zero 0
		.amdhsa_exception_fp_ieee_overflow 0
		.amdhsa_exception_fp_ieee_underflow 0
		.amdhsa_exception_fp_ieee_inexact 0
		.amdhsa_exception_int_div_zero 0
	.end_amdhsa_kernel
	.section	.text._ZN7rocprim17ROCPRIM_400000_NS6detail17trampoline_kernelINS0_14default_configENS1_27scan_by_key_config_selectorIj11FixedVectorIiLj2EEEEZZNS1_16scan_by_key_implILNS1_25lookback_scan_determinismE0ELb0ES3_N6thrust23THRUST_200600_302600_NS6detail15normal_iteratorINSB_10device_ptrIjEEEENSD_INSE_IS6_EEEESI_S6_NSB_4plusIvEENSB_8equal_toIvEES6_EE10hipError_tPvRmT2_T3_T4_T5_mT6_T7_P12ihipStream_tbENKUlT_T0_E_clISt17integral_constantIbLb0EES13_EEDaSY_SZ_EUlSY_E_NS1_11comp_targetILNS1_3genE9ELNS1_11target_archE1100ELNS1_3gpuE3ELNS1_3repE0EEENS1_30default_config_static_selectorELNS0_4arch9wavefront6targetE0EEEvT1_,"axG",@progbits,_ZN7rocprim17ROCPRIM_400000_NS6detail17trampoline_kernelINS0_14default_configENS1_27scan_by_key_config_selectorIj11FixedVectorIiLj2EEEEZZNS1_16scan_by_key_implILNS1_25lookback_scan_determinismE0ELb0ES3_N6thrust23THRUST_200600_302600_NS6detail15normal_iteratorINSB_10device_ptrIjEEEENSD_INSE_IS6_EEEESI_S6_NSB_4plusIvEENSB_8equal_toIvEES6_EE10hipError_tPvRmT2_T3_T4_T5_mT6_T7_P12ihipStream_tbENKUlT_T0_E_clISt17integral_constantIbLb0EES13_EEDaSY_SZ_EUlSY_E_NS1_11comp_targetILNS1_3genE9ELNS1_11target_archE1100ELNS1_3gpuE3ELNS1_3repE0EEENS1_30default_config_static_selectorELNS0_4arch9wavefront6targetE0EEEvT1_,comdat
.Lfunc_end1958:
	.size	_ZN7rocprim17ROCPRIM_400000_NS6detail17trampoline_kernelINS0_14default_configENS1_27scan_by_key_config_selectorIj11FixedVectorIiLj2EEEEZZNS1_16scan_by_key_implILNS1_25lookback_scan_determinismE0ELb0ES3_N6thrust23THRUST_200600_302600_NS6detail15normal_iteratorINSB_10device_ptrIjEEEENSD_INSE_IS6_EEEESI_S6_NSB_4plusIvEENSB_8equal_toIvEES6_EE10hipError_tPvRmT2_T3_T4_T5_mT6_T7_P12ihipStream_tbENKUlT_T0_E_clISt17integral_constantIbLb0EES13_EEDaSY_SZ_EUlSY_E_NS1_11comp_targetILNS1_3genE9ELNS1_11target_archE1100ELNS1_3gpuE3ELNS1_3repE0EEENS1_30default_config_static_selectorELNS0_4arch9wavefront6targetE0EEEvT1_, .Lfunc_end1958-_ZN7rocprim17ROCPRIM_400000_NS6detail17trampoline_kernelINS0_14default_configENS1_27scan_by_key_config_selectorIj11FixedVectorIiLj2EEEEZZNS1_16scan_by_key_implILNS1_25lookback_scan_determinismE0ELb0ES3_N6thrust23THRUST_200600_302600_NS6detail15normal_iteratorINSB_10device_ptrIjEEEENSD_INSE_IS6_EEEESI_S6_NSB_4plusIvEENSB_8equal_toIvEES6_EE10hipError_tPvRmT2_T3_T4_T5_mT6_T7_P12ihipStream_tbENKUlT_T0_E_clISt17integral_constantIbLb0EES13_EEDaSY_SZ_EUlSY_E_NS1_11comp_targetILNS1_3genE9ELNS1_11target_archE1100ELNS1_3gpuE3ELNS1_3repE0EEENS1_30default_config_static_selectorELNS0_4arch9wavefront6targetE0EEEvT1_
                                        ; -- End function
	.set _ZN7rocprim17ROCPRIM_400000_NS6detail17trampoline_kernelINS0_14default_configENS1_27scan_by_key_config_selectorIj11FixedVectorIiLj2EEEEZZNS1_16scan_by_key_implILNS1_25lookback_scan_determinismE0ELb0ES3_N6thrust23THRUST_200600_302600_NS6detail15normal_iteratorINSB_10device_ptrIjEEEENSD_INSE_IS6_EEEESI_S6_NSB_4plusIvEENSB_8equal_toIvEES6_EE10hipError_tPvRmT2_T3_T4_T5_mT6_T7_P12ihipStream_tbENKUlT_T0_E_clISt17integral_constantIbLb0EES13_EEDaSY_SZ_EUlSY_E_NS1_11comp_targetILNS1_3genE9ELNS1_11target_archE1100ELNS1_3gpuE3ELNS1_3repE0EEENS1_30default_config_static_selectorELNS0_4arch9wavefront6targetE0EEEvT1_.num_vgpr, 0
	.set _ZN7rocprim17ROCPRIM_400000_NS6detail17trampoline_kernelINS0_14default_configENS1_27scan_by_key_config_selectorIj11FixedVectorIiLj2EEEEZZNS1_16scan_by_key_implILNS1_25lookback_scan_determinismE0ELb0ES3_N6thrust23THRUST_200600_302600_NS6detail15normal_iteratorINSB_10device_ptrIjEEEENSD_INSE_IS6_EEEESI_S6_NSB_4plusIvEENSB_8equal_toIvEES6_EE10hipError_tPvRmT2_T3_T4_T5_mT6_T7_P12ihipStream_tbENKUlT_T0_E_clISt17integral_constantIbLb0EES13_EEDaSY_SZ_EUlSY_E_NS1_11comp_targetILNS1_3genE9ELNS1_11target_archE1100ELNS1_3gpuE3ELNS1_3repE0EEENS1_30default_config_static_selectorELNS0_4arch9wavefront6targetE0EEEvT1_.num_agpr, 0
	.set _ZN7rocprim17ROCPRIM_400000_NS6detail17trampoline_kernelINS0_14default_configENS1_27scan_by_key_config_selectorIj11FixedVectorIiLj2EEEEZZNS1_16scan_by_key_implILNS1_25lookback_scan_determinismE0ELb0ES3_N6thrust23THRUST_200600_302600_NS6detail15normal_iteratorINSB_10device_ptrIjEEEENSD_INSE_IS6_EEEESI_S6_NSB_4plusIvEENSB_8equal_toIvEES6_EE10hipError_tPvRmT2_T3_T4_T5_mT6_T7_P12ihipStream_tbENKUlT_T0_E_clISt17integral_constantIbLb0EES13_EEDaSY_SZ_EUlSY_E_NS1_11comp_targetILNS1_3genE9ELNS1_11target_archE1100ELNS1_3gpuE3ELNS1_3repE0EEENS1_30default_config_static_selectorELNS0_4arch9wavefront6targetE0EEEvT1_.numbered_sgpr, 0
	.set _ZN7rocprim17ROCPRIM_400000_NS6detail17trampoline_kernelINS0_14default_configENS1_27scan_by_key_config_selectorIj11FixedVectorIiLj2EEEEZZNS1_16scan_by_key_implILNS1_25lookback_scan_determinismE0ELb0ES3_N6thrust23THRUST_200600_302600_NS6detail15normal_iteratorINSB_10device_ptrIjEEEENSD_INSE_IS6_EEEESI_S6_NSB_4plusIvEENSB_8equal_toIvEES6_EE10hipError_tPvRmT2_T3_T4_T5_mT6_T7_P12ihipStream_tbENKUlT_T0_E_clISt17integral_constantIbLb0EES13_EEDaSY_SZ_EUlSY_E_NS1_11comp_targetILNS1_3genE9ELNS1_11target_archE1100ELNS1_3gpuE3ELNS1_3repE0EEENS1_30default_config_static_selectorELNS0_4arch9wavefront6targetE0EEEvT1_.num_named_barrier, 0
	.set _ZN7rocprim17ROCPRIM_400000_NS6detail17trampoline_kernelINS0_14default_configENS1_27scan_by_key_config_selectorIj11FixedVectorIiLj2EEEEZZNS1_16scan_by_key_implILNS1_25lookback_scan_determinismE0ELb0ES3_N6thrust23THRUST_200600_302600_NS6detail15normal_iteratorINSB_10device_ptrIjEEEENSD_INSE_IS6_EEEESI_S6_NSB_4plusIvEENSB_8equal_toIvEES6_EE10hipError_tPvRmT2_T3_T4_T5_mT6_T7_P12ihipStream_tbENKUlT_T0_E_clISt17integral_constantIbLb0EES13_EEDaSY_SZ_EUlSY_E_NS1_11comp_targetILNS1_3genE9ELNS1_11target_archE1100ELNS1_3gpuE3ELNS1_3repE0EEENS1_30default_config_static_selectorELNS0_4arch9wavefront6targetE0EEEvT1_.private_seg_size, 0
	.set _ZN7rocprim17ROCPRIM_400000_NS6detail17trampoline_kernelINS0_14default_configENS1_27scan_by_key_config_selectorIj11FixedVectorIiLj2EEEEZZNS1_16scan_by_key_implILNS1_25lookback_scan_determinismE0ELb0ES3_N6thrust23THRUST_200600_302600_NS6detail15normal_iteratorINSB_10device_ptrIjEEEENSD_INSE_IS6_EEEESI_S6_NSB_4plusIvEENSB_8equal_toIvEES6_EE10hipError_tPvRmT2_T3_T4_T5_mT6_T7_P12ihipStream_tbENKUlT_T0_E_clISt17integral_constantIbLb0EES13_EEDaSY_SZ_EUlSY_E_NS1_11comp_targetILNS1_3genE9ELNS1_11target_archE1100ELNS1_3gpuE3ELNS1_3repE0EEENS1_30default_config_static_selectorELNS0_4arch9wavefront6targetE0EEEvT1_.uses_vcc, 0
	.set _ZN7rocprim17ROCPRIM_400000_NS6detail17trampoline_kernelINS0_14default_configENS1_27scan_by_key_config_selectorIj11FixedVectorIiLj2EEEEZZNS1_16scan_by_key_implILNS1_25lookback_scan_determinismE0ELb0ES3_N6thrust23THRUST_200600_302600_NS6detail15normal_iteratorINSB_10device_ptrIjEEEENSD_INSE_IS6_EEEESI_S6_NSB_4plusIvEENSB_8equal_toIvEES6_EE10hipError_tPvRmT2_T3_T4_T5_mT6_T7_P12ihipStream_tbENKUlT_T0_E_clISt17integral_constantIbLb0EES13_EEDaSY_SZ_EUlSY_E_NS1_11comp_targetILNS1_3genE9ELNS1_11target_archE1100ELNS1_3gpuE3ELNS1_3repE0EEENS1_30default_config_static_selectorELNS0_4arch9wavefront6targetE0EEEvT1_.uses_flat_scratch, 0
	.set _ZN7rocprim17ROCPRIM_400000_NS6detail17trampoline_kernelINS0_14default_configENS1_27scan_by_key_config_selectorIj11FixedVectorIiLj2EEEEZZNS1_16scan_by_key_implILNS1_25lookback_scan_determinismE0ELb0ES3_N6thrust23THRUST_200600_302600_NS6detail15normal_iteratorINSB_10device_ptrIjEEEENSD_INSE_IS6_EEEESI_S6_NSB_4plusIvEENSB_8equal_toIvEES6_EE10hipError_tPvRmT2_T3_T4_T5_mT6_T7_P12ihipStream_tbENKUlT_T0_E_clISt17integral_constantIbLb0EES13_EEDaSY_SZ_EUlSY_E_NS1_11comp_targetILNS1_3genE9ELNS1_11target_archE1100ELNS1_3gpuE3ELNS1_3repE0EEENS1_30default_config_static_selectorELNS0_4arch9wavefront6targetE0EEEvT1_.has_dyn_sized_stack, 0
	.set _ZN7rocprim17ROCPRIM_400000_NS6detail17trampoline_kernelINS0_14default_configENS1_27scan_by_key_config_selectorIj11FixedVectorIiLj2EEEEZZNS1_16scan_by_key_implILNS1_25lookback_scan_determinismE0ELb0ES3_N6thrust23THRUST_200600_302600_NS6detail15normal_iteratorINSB_10device_ptrIjEEEENSD_INSE_IS6_EEEESI_S6_NSB_4plusIvEENSB_8equal_toIvEES6_EE10hipError_tPvRmT2_T3_T4_T5_mT6_T7_P12ihipStream_tbENKUlT_T0_E_clISt17integral_constantIbLb0EES13_EEDaSY_SZ_EUlSY_E_NS1_11comp_targetILNS1_3genE9ELNS1_11target_archE1100ELNS1_3gpuE3ELNS1_3repE0EEENS1_30default_config_static_selectorELNS0_4arch9wavefront6targetE0EEEvT1_.has_recursion, 0
	.set _ZN7rocprim17ROCPRIM_400000_NS6detail17trampoline_kernelINS0_14default_configENS1_27scan_by_key_config_selectorIj11FixedVectorIiLj2EEEEZZNS1_16scan_by_key_implILNS1_25lookback_scan_determinismE0ELb0ES3_N6thrust23THRUST_200600_302600_NS6detail15normal_iteratorINSB_10device_ptrIjEEEENSD_INSE_IS6_EEEESI_S6_NSB_4plusIvEENSB_8equal_toIvEES6_EE10hipError_tPvRmT2_T3_T4_T5_mT6_T7_P12ihipStream_tbENKUlT_T0_E_clISt17integral_constantIbLb0EES13_EEDaSY_SZ_EUlSY_E_NS1_11comp_targetILNS1_3genE9ELNS1_11target_archE1100ELNS1_3gpuE3ELNS1_3repE0EEENS1_30default_config_static_selectorELNS0_4arch9wavefront6targetE0EEEvT1_.has_indirect_call, 0
	.section	.AMDGPU.csdata,"",@progbits
; Kernel info:
; codeLenInByte = 0
; TotalNumSgprs: 0
; NumVgprs: 0
; ScratchSize: 0
; MemoryBound: 0
; FloatMode: 240
; IeeeMode: 1
; LDSByteSize: 0 bytes/workgroup (compile time only)
; SGPRBlocks: 0
; VGPRBlocks: 0
; NumSGPRsForWavesPerEU: 1
; NumVGPRsForWavesPerEU: 1
; Occupancy: 16
; WaveLimiterHint : 0
; COMPUTE_PGM_RSRC2:SCRATCH_EN: 0
; COMPUTE_PGM_RSRC2:USER_SGPR: 6
; COMPUTE_PGM_RSRC2:TRAP_HANDLER: 0
; COMPUTE_PGM_RSRC2:TGID_X_EN: 1
; COMPUTE_PGM_RSRC2:TGID_Y_EN: 0
; COMPUTE_PGM_RSRC2:TGID_Z_EN: 0
; COMPUTE_PGM_RSRC2:TIDIG_COMP_CNT: 0
	.section	.text._ZN7rocprim17ROCPRIM_400000_NS6detail17trampoline_kernelINS0_14default_configENS1_27scan_by_key_config_selectorIj11FixedVectorIiLj2EEEEZZNS1_16scan_by_key_implILNS1_25lookback_scan_determinismE0ELb0ES3_N6thrust23THRUST_200600_302600_NS6detail15normal_iteratorINSB_10device_ptrIjEEEENSD_INSE_IS6_EEEESI_S6_NSB_4plusIvEENSB_8equal_toIvEES6_EE10hipError_tPvRmT2_T3_T4_T5_mT6_T7_P12ihipStream_tbENKUlT_T0_E_clISt17integral_constantIbLb0EES13_EEDaSY_SZ_EUlSY_E_NS1_11comp_targetILNS1_3genE8ELNS1_11target_archE1030ELNS1_3gpuE2ELNS1_3repE0EEENS1_30default_config_static_selectorELNS0_4arch9wavefront6targetE0EEEvT1_,"axG",@progbits,_ZN7rocprim17ROCPRIM_400000_NS6detail17trampoline_kernelINS0_14default_configENS1_27scan_by_key_config_selectorIj11FixedVectorIiLj2EEEEZZNS1_16scan_by_key_implILNS1_25lookback_scan_determinismE0ELb0ES3_N6thrust23THRUST_200600_302600_NS6detail15normal_iteratorINSB_10device_ptrIjEEEENSD_INSE_IS6_EEEESI_S6_NSB_4plusIvEENSB_8equal_toIvEES6_EE10hipError_tPvRmT2_T3_T4_T5_mT6_T7_P12ihipStream_tbENKUlT_T0_E_clISt17integral_constantIbLb0EES13_EEDaSY_SZ_EUlSY_E_NS1_11comp_targetILNS1_3genE8ELNS1_11target_archE1030ELNS1_3gpuE2ELNS1_3repE0EEENS1_30default_config_static_selectorELNS0_4arch9wavefront6targetE0EEEvT1_,comdat
	.protected	_ZN7rocprim17ROCPRIM_400000_NS6detail17trampoline_kernelINS0_14default_configENS1_27scan_by_key_config_selectorIj11FixedVectorIiLj2EEEEZZNS1_16scan_by_key_implILNS1_25lookback_scan_determinismE0ELb0ES3_N6thrust23THRUST_200600_302600_NS6detail15normal_iteratorINSB_10device_ptrIjEEEENSD_INSE_IS6_EEEESI_S6_NSB_4plusIvEENSB_8equal_toIvEES6_EE10hipError_tPvRmT2_T3_T4_T5_mT6_T7_P12ihipStream_tbENKUlT_T0_E_clISt17integral_constantIbLb0EES13_EEDaSY_SZ_EUlSY_E_NS1_11comp_targetILNS1_3genE8ELNS1_11target_archE1030ELNS1_3gpuE2ELNS1_3repE0EEENS1_30default_config_static_selectorELNS0_4arch9wavefront6targetE0EEEvT1_ ; -- Begin function _ZN7rocprim17ROCPRIM_400000_NS6detail17trampoline_kernelINS0_14default_configENS1_27scan_by_key_config_selectorIj11FixedVectorIiLj2EEEEZZNS1_16scan_by_key_implILNS1_25lookback_scan_determinismE0ELb0ES3_N6thrust23THRUST_200600_302600_NS6detail15normal_iteratorINSB_10device_ptrIjEEEENSD_INSE_IS6_EEEESI_S6_NSB_4plusIvEENSB_8equal_toIvEES6_EE10hipError_tPvRmT2_T3_T4_T5_mT6_T7_P12ihipStream_tbENKUlT_T0_E_clISt17integral_constantIbLb0EES13_EEDaSY_SZ_EUlSY_E_NS1_11comp_targetILNS1_3genE8ELNS1_11target_archE1030ELNS1_3gpuE2ELNS1_3repE0EEENS1_30default_config_static_selectorELNS0_4arch9wavefront6targetE0EEEvT1_
	.globl	_ZN7rocprim17ROCPRIM_400000_NS6detail17trampoline_kernelINS0_14default_configENS1_27scan_by_key_config_selectorIj11FixedVectorIiLj2EEEEZZNS1_16scan_by_key_implILNS1_25lookback_scan_determinismE0ELb0ES3_N6thrust23THRUST_200600_302600_NS6detail15normal_iteratorINSB_10device_ptrIjEEEENSD_INSE_IS6_EEEESI_S6_NSB_4plusIvEENSB_8equal_toIvEES6_EE10hipError_tPvRmT2_T3_T4_T5_mT6_T7_P12ihipStream_tbENKUlT_T0_E_clISt17integral_constantIbLb0EES13_EEDaSY_SZ_EUlSY_E_NS1_11comp_targetILNS1_3genE8ELNS1_11target_archE1030ELNS1_3gpuE2ELNS1_3repE0EEENS1_30default_config_static_selectorELNS0_4arch9wavefront6targetE0EEEvT1_
	.p2align	8
	.type	_ZN7rocprim17ROCPRIM_400000_NS6detail17trampoline_kernelINS0_14default_configENS1_27scan_by_key_config_selectorIj11FixedVectorIiLj2EEEEZZNS1_16scan_by_key_implILNS1_25lookback_scan_determinismE0ELb0ES3_N6thrust23THRUST_200600_302600_NS6detail15normal_iteratorINSB_10device_ptrIjEEEENSD_INSE_IS6_EEEESI_S6_NSB_4plusIvEENSB_8equal_toIvEES6_EE10hipError_tPvRmT2_T3_T4_T5_mT6_T7_P12ihipStream_tbENKUlT_T0_E_clISt17integral_constantIbLb0EES13_EEDaSY_SZ_EUlSY_E_NS1_11comp_targetILNS1_3genE8ELNS1_11target_archE1030ELNS1_3gpuE2ELNS1_3repE0EEENS1_30default_config_static_selectorELNS0_4arch9wavefront6targetE0EEEvT1_,@function
_ZN7rocprim17ROCPRIM_400000_NS6detail17trampoline_kernelINS0_14default_configENS1_27scan_by_key_config_selectorIj11FixedVectorIiLj2EEEEZZNS1_16scan_by_key_implILNS1_25lookback_scan_determinismE0ELb0ES3_N6thrust23THRUST_200600_302600_NS6detail15normal_iteratorINSB_10device_ptrIjEEEENSD_INSE_IS6_EEEESI_S6_NSB_4plusIvEENSB_8equal_toIvEES6_EE10hipError_tPvRmT2_T3_T4_T5_mT6_T7_P12ihipStream_tbENKUlT_T0_E_clISt17integral_constantIbLb0EES13_EEDaSY_SZ_EUlSY_E_NS1_11comp_targetILNS1_3genE8ELNS1_11target_archE1030ELNS1_3gpuE2ELNS1_3repE0EEENS1_30default_config_static_selectorELNS0_4arch9wavefront6targetE0EEEvT1_: ; @_ZN7rocprim17ROCPRIM_400000_NS6detail17trampoline_kernelINS0_14default_configENS1_27scan_by_key_config_selectorIj11FixedVectorIiLj2EEEEZZNS1_16scan_by_key_implILNS1_25lookback_scan_determinismE0ELb0ES3_N6thrust23THRUST_200600_302600_NS6detail15normal_iteratorINSB_10device_ptrIjEEEENSD_INSE_IS6_EEEESI_S6_NSB_4plusIvEENSB_8equal_toIvEES6_EE10hipError_tPvRmT2_T3_T4_T5_mT6_T7_P12ihipStream_tbENKUlT_T0_E_clISt17integral_constantIbLb0EES13_EEDaSY_SZ_EUlSY_E_NS1_11comp_targetILNS1_3genE8ELNS1_11target_archE1030ELNS1_3gpuE2ELNS1_3repE0EEENS1_30default_config_static_selectorELNS0_4arch9wavefront6targetE0EEEvT1_
; %bb.0:
	s_clause 0x3
	s_load_dwordx8 s[8:15], s[4:5], 0x0
	s_load_dwordx2 s[26:27], s[4:5], 0x40
	s_load_dword s7, s[4:5], 0x48
	s_load_dwordx8 s[16:23], s[4:5], 0x50
	s_mov_b32 s1, 0
	s_waitcnt lgkmcnt(0)
	s_barrier
	buffer_gl0_inv
	s_lshl_b64 s[24:25], s[10:11], 3
	s_add_u32 s28, s12, s24
	s_addc_u32 s30, s13, s25
	s_lshl_b64 s[2:3], s[10:11], 2
	s_mul_i32 s0, s27, s7
	s_mul_hi_u32 s10, s26, s7
	s_add_u32 s12, s8, s2
	s_addc_u32 s13, s9, s3
	s_add_i32 s31, s10, s0
	s_cmp_lg_u64 s[20:21], 0
	s_mul_i32 s0, s6, 0x300
	s_cselect_b32 s29, -1, 0
	s_lshl_b64 s[2:3], s[0:1], 2
	s_load_dwordx4 s[8:11], s[4:5], 0x30
	s_add_u32 s4, s12, s2
	s_addc_u32 s5, s13, s3
	s_lshl_b64 s[12:13], s[0:1], 3
	s_mul_i32 s0, s26, s7
	s_add_u32 s3, s28, s12
	s_addc_u32 s28, s30, s13
	s_add_u32 s20, s0, s6
	s_addc_u32 s21, s31, 0
	s_add_u32 s16, s16, -1
	s_addc_u32 s17, s17, -1
	s_mul_i32 s7, s16, 0xfffffd00
	s_waitcnt lgkmcnt(0)
	v_cmp_ge_u64_e64 s11, s[20:21], s[16:17]
	s_and_b32 vcc_lo, exec_lo, s11
	s_cbranch_vccz .LBB1959_24
; %bb.1:
	v_mov_b32_e32 v1, s4
	v_mov_b32_e32 v2, s5
	s_add_i32 s30, s7, s10
	v_cmp_gt_u32_e64 s0, s30, v0
	flat_load_dword v1, v[1:2]
	s_waitcnt vmcnt(0) lgkmcnt(0)
	v_mov_b32_e32 v2, v1
	s_and_saveexec_b32 s1, s0
	s_cbranch_execz .LBB1959_3
; %bb.2:
	v_lshlrev_b32_e32 v2, 2, v0
	v_add_co_u32 v2, s2, s4, v2
	v_add_co_ci_u32_e64 v3, null, s5, 0, s2
	flat_load_dword v2, v[2:3]
.LBB1959_3:
	s_or_b32 exec_lo, exec_lo, s1
	v_or_b32_e32 v5, 0x100, v0
	v_mov_b32_e32 v3, v1
	v_cmp_gt_u32_e64 s1, s30, v5
	s_and_saveexec_b32 s2, s1
	s_cbranch_execz .LBB1959_5
; %bb.4:
	v_lshlrev_b32_e32 v3, 2, v0
	v_add_co_u32 v3, s16, s4, v3
	v_add_co_ci_u32_e64 v4, null, s5, 0, s16
	flat_load_dword v3, v[3:4] offset:1024
.LBB1959_5:
	s_or_b32 exec_lo, exec_lo, s2
	v_or_b32_e32 v10, 0x200, v0
	v_cmp_gt_u32_e64 s2, s30, v10
	s_and_saveexec_b32 s16, s2
	s_cbranch_execz .LBB1959_7
; %bb.6:
	v_lshlrev_b32_e32 v1, 2, v10
	v_add_co_u32 v6, s17, s4, v1
	v_add_co_ci_u32_e64 v7, null, s5, 0, s17
	flat_load_dword v1, v[6:7]
.LBB1959_7:
	s_or_b32 exec_lo, exec_lo, s16
	v_lshlrev_b32_e32 v4, 2, v0
	v_lshlrev_b32_e32 v6, 3, v0
	s_cmp_eq_u64 s[20:21], 0
	s_mov_b64 s[16:17], s[4:5]
	s_waitcnt vmcnt(0) lgkmcnt(0)
	ds_write2st64_b32 v4, v2, v3 offset1:4
	v_add_nc_u32_e32 v2, v4, v6
	ds_write_b32 v4, v1 offset:2048
	s_waitcnt lgkmcnt(0)
	s_barrier
	buffer_gl0_inv
	ds_read2_b32 v[7:8], v2 offset1:1
	ds_read_b32 v9, v2 offset:8
	s_cbranch_scc1 .LBB1959_11
; %bb.8:
	s_andn2_b32 vcc_lo, exec_lo, s29
	s_cbranch_vccnz .LBB1959_245
; %bb.9:
	s_lshl_b64 s[16:17], s[20:21], 2
	s_add_u32 s16, s22, s16
	s_addc_u32 s17, s23, s17
	s_add_u32 s16, s16, -4
	s_addc_u32 s17, s17, -1
	s_cbranch_execnz .LBB1959_11
.LBB1959_10:
	s_add_u32 s16, s4, -4
	s_addc_u32 s17, s5, -1
.LBB1959_11:
	v_mov_b32_e32 v3, s16
	v_mov_b32_e32 v4, s17
	v_sub_nc_u32_e32 v12, v2, v6
	s_mov_b32 s16, exec_lo
	flat_load_dword v11, v[3:4]
	s_waitcnt lgkmcnt(1)
	ds_write_b32 v12, v9 offset:3072
	s_waitcnt vmcnt(0) lgkmcnt(0)
	s_barrier
	buffer_gl0_inv
	v_cmpx_ne_u32_e32 0, v0
; %bb.12:
	ds_read_b32 v11, v12 offset:3068
; %bb.13:
	s_or_b32 exec_lo, exec_lo, s16
	v_mov_b32_e32 v3, 0
	v_mov_b32_e32 v1, 0
	;; [unrolled: 1-line block ×4, first 2 shown]
	s_waitcnt lgkmcnt(0)
	s_barrier
	buffer_gl0_inv
	s_and_saveexec_b32 s16, s0
	s_cbranch_execz .LBB1959_15
; %bb.14:
	v_add_co_u32 v1, s0, s3, v6
	v_add_co_ci_u32_e64 v2, null, s28, 0, s0
	flat_load_dwordx2 v[1:2], v[1:2]
.LBB1959_15:
	s_or_b32 exec_lo, exec_lo, s16
	s_and_saveexec_b32 s0, s1
	s_cbranch_execz .LBB1959_17
; %bb.16:
	v_lshlrev_b32_e32 v3, 3, v5
	v_add_co_u32 v3, s1, s3, v3
	v_add_co_ci_u32_e64 v4, null, s28, 0, s1
	flat_load_dwordx2 v[3:4], v[3:4]
.LBB1959_17:
	s_or_b32 exec_lo, exec_lo, s0
	v_mov_b32_e32 v5, 0
	v_mov_b32_e32 v6, 0
	s_and_saveexec_b32 s0, s2
	s_cbranch_execz .LBB1959_19
; %bb.18:
	v_lshlrev_b32_e32 v5, 3, v10
	v_add_co_u32 v5, s1, s3, v5
	v_add_co_ci_u32_e64 v6, null, s28, 0, s1
	flat_load_dwordx2 v[5:6], v[5:6]
.LBB1959_19:
	s_or_b32 exec_lo, exec_lo, s0
	v_lshl_add_u32 v13, v0, 2, v12
	v_mul_u32_u24_e32 v10, 3, v0
	v_mov_b32_e32 v22, 0
	v_mov_b32_e32 v25, 0
	;; [unrolled: 1-line block ×3, first 2 shown]
	s_waitcnt vmcnt(0) lgkmcnt(0)
	ds_write2st64_b64 v13, v[1:2], v[3:4] offset1:4
	ds_write_b64 v13, v[5:6] offset:4096
	v_mov_b32_e32 v2, 0
	v_mov_b32_e32 v1, 0
	;; [unrolled: 1-line block ×4, first 2 shown]
	s_mov_b32 s16, 0
	s_mov_b32 s1, 0
	s_mov_b32 s17, exec_lo
	s_waitcnt lgkmcnt(0)
	s_barrier
	buffer_gl0_inv
                                        ; implicit-def: $sgpr2
                                        ; implicit-def: $vgpr5_vgpr6
	v_cmpx_gt_u32_e64 s30, v10
	s_cbranch_execz .LBB1959_23
; %bb.20:
	v_lshlrev_b32_e32 v1, 4, v0
	v_add_nc_u32_e32 v3, 1, v10
	v_mov_b32_e32 v4, 0
	v_mov_b32_e32 v25, 0
	v_cmp_ne_u32_e32 vcc_lo, v11, v7
	v_add_nc_u32_e32 v12, v13, v1
	v_cmp_gt_u32_e64 s0, s30, v3
	v_mov_b32_e32 v3, 0
                                        ; implicit-def: $sgpr2
                                        ; implicit-def: $vgpr5_vgpr6
	ds_read_b64 v[1:2], v12
	s_and_saveexec_b32 s31, s0
	s_xor_b32 s31, exec_lo, s31
	s_cbranch_execz .LBB1959_22
; %bb.21:
	ds_read2_b64 v[3:6], v12 offset0:1 offset1:2
	v_add_nc_u32_e32 v10, 2, v10
	v_cmp_ne_u32_e64 s0, v7, v8
	v_cmp_ne_u32_e64 s2, v8, v9
	v_cndmask_b32_e64 v25, 0, 1, s0
	v_cmp_gt_u32_e64 s0, s30, v10
	s_and_b32 s1, s0, exec_lo
.LBB1959_22:
	s_or_b32 exec_lo, exec_lo, s31
	v_cndmask_b32_e64 v22, 0, 1, vcc_lo
	s_waitcnt lgkmcnt(0)
	v_mov_b32_e32 v12, v1
	s_and_b32 s1, s1, exec_lo
.LBB1959_23:
	s_or_b32 exec_lo, exec_lo, s17
	v_lshlrev_b32_e32 v21, 3, v0
	s_and_b32 vcc_lo, exec_lo, s16
	s_cbranch_vccnz .LBB1959_25
	s_branch .LBB1959_33
.LBB1959_24:
                                        ; implicit-def: $sgpr2
                                        ; implicit-def: $vgpr5_vgpr6
                                        ; implicit-def: $vgpr22
                                        ; implicit-def: $vgpr2
                                        ; implicit-def: $vgpr25
                                        ; implicit-def: $vgpr12
	v_lshlrev_b32_e32 v21, 3, v0
	s_cbranch_execz .LBB1959_33
.LBB1959_25:
	v_lshlrev_b32_e32 v5, 2, v0
	s_cmp_eq_u64 s[20:21], 0
	v_add_co_u32 v1, s0, s4, v5
	v_add_co_ci_u32_e64 v2, null, s5, 0, s0
	v_add_co_u32 v3, vcc_lo, 0x800, v1
	v_add_co_ci_u32_e64 v4, null, 0, v2, vcc_lo
	s_clause 0x2
	flat_load_dword v6, v[1:2]
	flat_load_dword v2, v[1:2] offset:1024
	flat_load_dword v3, v[3:4]
	v_add_nc_u32_e32 v1, v5, v21
	s_waitcnt vmcnt(1) lgkmcnt(1)
	ds_write2st64_b32 v5, v6, v2 offset1:4
	s_waitcnt vmcnt(0) lgkmcnt(1)
	ds_write_b32 v5, v3 offset:2048
	s_waitcnt lgkmcnt(0)
	s_barrier
	buffer_gl0_inv
	ds_read2_b32 v[7:8], v1 offset1:1
	ds_read_b32 v9, v1 offset:8
	s_cbranch_scc1 .LBB1959_30
; %bb.26:
	s_andn2_b32 vcc_lo, exec_lo, s29
	s_cbranch_vccnz .LBB1959_246
; %bb.27:
	s_lshl_b64 s[0:1], s[20:21], 2
	s_add_u32 s0, s22, s0
	s_addc_u32 s1, s23, s1
	s_add_u32 s0, s0, -4
	s_addc_u32 s1, s1, -1
	s_cbranch_execnz .LBB1959_29
.LBB1959_28:
	s_add_u32 s0, s4, -4
	s_addc_u32 s1, s5, -1
.LBB1959_29:
	s_mov_b64 s[4:5], s[0:1]
.LBB1959_30:
	v_mov_b32_e32 v2, s4
	v_mov_b32_e32 v3, s5
	v_sub_nc_u32_e32 v1, v1, v21
	s_mov_b32 s0, exec_lo
	flat_load_dword v10, v[2:3]
	s_waitcnt lgkmcnt(1)
	ds_write_b32 v1, v9 offset:3072
	s_waitcnt vmcnt(0) lgkmcnt(0)
	s_barrier
	buffer_gl0_inv
	v_cmpx_ne_u32_e32 0, v0
; %bb.31:
	ds_read_b32 v10, v1 offset:3068
; %bb.32:
	s_or_b32 exec_lo, exec_lo, s0
	v_add_co_u32 v2, s0, s3, v21
	v_add_co_ci_u32_e64 v3, null, s28, 0, s0
	s_waitcnt lgkmcnt(0)
	v_add_co_u32 v4, vcc_lo, 0x800, v2
	v_add_co_ci_u32_e64 v5, null, 0, v3, vcc_lo
	v_add_co_u32 v11, vcc_lo, 0x1000, v2
	v_add_co_ci_u32_e64 v12, null, 0, v3, vcc_lo
	s_barrier
	buffer_gl0_inv
	s_clause 0x2
	flat_load_dwordx2 v[2:3], v[2:3]
	flat_load_dwordx2 v[4:5], v[4:5]
	;; [unrolled: 1-line block ×3, first 2 shown]
	v_lshl_add_u32 v1, v0, 2, v1
	v_cmp_ne_u32_e32 vcc_lo, v7, v8
	v_cmp_ne_u32_e64 s2, v8, v9
	s_mov_b32 s1, -1
	s_waitcnt vmcnt(1) lgkmcnt(1)
	ds_write2st64_b64 v1, v[2:3], v[4:5] offset1:4
	s_waitcnt vmcnt(0) lgkmcnt(1)
	ds_write_b64 v1, v[11:12] offset:4096
	v_lshl_add_u32 v6, v0, 4, v1
	s_waitcnt lgkmcnt(0)
	s_barrier
	buffer_gl0_inv
	ds_read2_b64 v[1:4], v6 offset1:1
	ds_read_b64 v[5:6], v6 offset:16
	v_cndmask_b32_e64 v25, 0, 1, vcc_lo
	v_cmp_ne_u32_e32 vcc_lo, v10, v7
	v_cndmask_b32_e64 v22, 0, 1, vcc_lo
	s_waitcnt lgkmcnt(1)
	v_mov_b32_e32 v12, v1
.LBB1959_33:
	v_mov_b32_e32 v26, 0
	v_mov_b32_e32 v23, 0
	;; [unrolled: 1-line block ×3, first 2 shown]
	s_and_saveexec_b32 s0, s1
	s_cbranch_execz .LBB1959_35
; %bb.34:
	v_cndmask_b32_e64 v26, 0, 1, s2
	v_mov_b32_e32 v12, v1
	s_waitcnt lgkmcnt(0)
	v_mov_b32_e32 v23, v5
	v_mov_b32_e32 v24, v6
.LBB1959_35:
	s_or_b32 exec_lo, exec_lo, s0
	v_and_b32_e32 v27, 1, v26
	v_cmp_eq_u16_e64 s0, 0, v26
	v_mbcnt_lo_u32_b32 v1, -1, 0
	s_cmp_lg_u32 s6, 0
	s_waitcnt lgkmcnt(0)
	v_cmp_eq_u32_e32 vcc_lo, 1, v27
	s_barrier
	buffer_gl0_inv
	s_cbranch_scc0 .LBB1959_157
; %bb.36:
	v_mov_b32_e32 v5, 0
	v_add_nc_u32_e32 v6, v3, v12
	v_add_nc_u32_e32 v7, v4, v2
	v_or_b32_e32 v8, v25, v22
	v_cmp_eq_u16_sdwa s1, v25, v5 src0_sel:BYTE_0 src1_sel:DWORD
	v_cmp_ne_u16_sdwa s2, v8, v5 src0_sel:BYTE_0 src1_sel:DWORD
	v_cndmask_b32_e64 v6, v3, v6, s1
	v_cndmask_b32_e64 v7, v4, v7, s1
	s_or_b32 s3, s2, vcc_lo
	s_mov_b32 s2, exec_lo
	v_add_nc_u32_e32 v5, v23, v6
	v_add_nc_u32_e32 v6, v24, v7
	v_cndmask_b32_e64 v9, 0, 1, s3
	v_cndmask_b32_e64 v7, v23, v5, s0
	v_cndmask_b32_e64 v8, v24, v6, s0
	v_and_b32_e32 v5, 15, v1
	v_mov_b32_dpp v6, v9 row_shr:1 row_mask:0xf bank_mask:0xf
	v_mov_b32_dpp v10, v7 row_shr:1 row_mask:0xf bank_mask:0xf
	;; [unrolled: 1-line block ×3, first 2 shown]
	v_cmpx_ne_u32_e32 0, v5
	s_cbranch_execz .LBB1959_40
; %bb.37:
	s_xor_b32 s4, s3, -1
	s_and_saveexec_b32 s3, s4
; %bb.38:
	v_add_nc_u32_e32 v7, v7, v10
	v_add_nc_u32_e32 v8, v8, v11
; %bb.39:
	s_or_b32 exec_lo, exec_lo, s3
	v_and_or_b32 v9, v6, 1, v9
.LBB1959_40:
	s_or_b32 exec_lo, exec_lo, s2
	v_mov_b32_dpp v10, v7 row_shr:2 row_mask:0xf bank_mask:0xf
	v_mov_b32_dpp v11, v8 row_shr:2 row_mask:0xf bank_mask:0xf
	v_mov_b32_dpp v6, v9 row_shr:2 row_mask:0xf bank_mask:0xf
	s_mov_b32 s2, exec_lo
	v_cmpx_lt_u32_e32 1, v5
	s_cbranch_execz .LBB1959_46
; %bb.41:
	s_mov_b32 s3, exec_lo
	v_cmpx_ne_u32_e32 0, v9
	s_xor_b32 s3, exec_lo, s3
; %bb.42:
                                        ; implicit-def: $vgpr10
                                        ; implicit-def: $vgpr11
; %bb.43:
	s_andn2_saveexec_b32 s3, s3
; %bb.44:
	v_add_nc_u32_e32 v7, v7, v10
	v_add_nc_u32_e32 v8, v8, v11
; %bb.45:
	s_or_b32 exec_lo, exec_lo, s3
	v_or_b32_e32 v6, v6, v9
	v_and_b32_e32 v9, 1, v6
.LBB1959_46:
	s_or_b32 exec_lo, exec_lo, s2
	v_mov_b32_dpp v10, v7 row_shr:4 row_mask:0xf bank_mask:0xf
	v_mov_b32_dpp v11, v8 row_shr:4 row_mask:0xf bank_mask:0xf
	v_mov_b32_dpp v6, v9 row_shr:4 row_mask:0xf bank_mask:0xf
	s_mov_b32 s2, exec_lo
	v_cmpx_lt_u32_e32 3, v5
	s_cbranch_execz .LBB1959_52
; %bb.47:
	s_mov_b32 s3, exec_lo
	v_cmpx_ne_u32_e32 0, v9
	s_xor_b32 s3, exec_lo, s3
; %bb.48:
                                        ; implicit-def: $vgpr10
                                        ; implicit-def: $vgpr11
; %bb.49:
	s_andn2_saveexec_b32 s3, s3
; %bb.50:
	v_add_nc_u32_e32 v7, v7, v10
	v_add_nc_u32_e32 v8, v8, v11
; %bb.51:
	s_or_b32 exec_lo, exec_lo, s3
	v_or_b32_e32 v6, v6, v9
	v_and_b32_e32 v9, 1, v6
.LBB1959_52:
	;; [unrolled: 24-line block ×3, first 2 shown]
	s_or_b32 exec_lo, exec_lo, s2
	ds_swizzle_b32 v6, v7 offset:swizzle(BROADCAST,32,15)
	ds_swizzle_b32 v10, v8 offset:swizzle(BROADCAST,32,15)
	ds_swizzle_b32 v5, v9 offset:swizzle(BROADCAST,32,15)
	v_and_b32_e32 v11, 16, v1
	v_cmp_ne_u32_e32 vcc_lo, 0, v11
	v_mov_b32_e32 v11, v9
	s_and_saveexec_b32 s2, vcc_lo
	s_cbranch_execz .LBB1959_64
; %bb.59:
	s_mov_b32 s3, exec_lo
	v_cmpx_ne_u32_e32 0, v9
	s_xor_b32 s3, exec_lo, s3
; %bb.60:
                                        ; implicit-def: $vgpr6
                                        ; implicit-def: $vgpr10
; %bb.61:
	s_andn2_saveexec_b32 s3, s3
	s_cbranch_execz .LBB1959_63
; %bb.62:
	s_waitcnt lgkmcnt(2)
	v_add_nc_u32_e32 v7, v7, v6
	s_waitcnt lgkmcnt(1)
	v_add_nc_u32_e32 v8, v8, v10
.LBB1959_63:
	s_or_b32 exec_lo, exec_lo, s3
	s_waitcnt lgkmcnt(0)
	v_or_b32_e32 v5, v5, v9
	v_and_b32_e32 v11, 1, v5
	v_and_b32_e32 v9, 1, v5
.LBB1959_64:
	s_or_b32 exec_lo, exec_lo, s2
	s_waitcnt lgkmcnt(0)
	v_or_b32_e32 v5, 31, v0
	v_lshrrev_b32_e32 v10, 5, v0
	s_mov_b32 s2, exec_lo
	v_cmpx_eq_u32_e64 v0, v5
	s_cbranch_execz .LBB1959_66
; %bb.65:
	v_mul_u32_u24_e32 v5, 12, v10
	ds_write2_b32 v5, v7, v8 offset1:1
	ds_write_b8 v5, v11 offset:8
.LBB1959_66:
	s_or_b32 exec_lo, exec_lo, s2
	s_mov_b32 s2, exec_lo
	s_waitcnt lgkmcnt(0)
	s_barrier
	buffer_gl0_inv
	v_cmpx_gt_u32_e32 8, v0
	s_cbranch_execz .LBB1959_84
; %bb.67:
	v_mul_u32_u24_e32 v11, 12, v0
	v_and_b32_e32 v14, 7, v1
	s_mov_b32 s3, exec_lo
	ds_read2_b32 v[5:6], v11 offset1:1
	ds_read_b32 v13, v11 offset:8
	s_waitcnt lgkmcnt(1)
	v_mov_b32_dpp v16, v5 row_shr:1 row_mask:0xf bank_mask:0xf
	v_mov_b32_dpp v17, v6 row_shr:1 row_mask:0xf bank_mask:0xf
	s_waitcnt lgkmcnt(0)
	v_mov_b32_dpp v15, v13 row_shr:1 row_mask:0xf bank_mask:0xf
	v_cmpx_ne_u32_e32 0, v14
	s_cbranch_execz .LBB1959_71
; %bb.68:
	v_mov_b32_e32 v18, 0
	v_cmp_eq_u32_sdwa s5, v13, v18 src0_sel:BYTE_0 src1_sel:DWORD
	s_and_saveexec_b32 s4, s5
; %bb.69:
	v_add_nc_u32_e32 v5, v5, v16
	v_add_nc_u32_e32 v6, v6, v17
; %bb.70:
	s_or_b32 exec_lo, exec_lo, s4
	v_and_b32_e32 v15, 1, v15
	v_and_or_b32 v13, 0xffffff01, v13, v15
.LBB1959_71:
	s_or_b32 exec_lo, exec_lo, s3
	v_mov_b32_dpp v16, v5 row_shr:2 row_mask:0xf bank_mask:0xf
	v_mov_b32_dpp v17, v6 row_shr:2 row_mask:0xf bank_mask:0xf
	;; [unrolled: 1-line block ×3, first 2 shown]
	s_mov_b32 s3, exec_lo
	v_cmpx_lt_u32_e32 1, v14
	s_cbranch_execz .LBB1959_77
; %bb.72:
	v_mov_b32_e32 v18, 0
	v_cmp_ne_u32_sdwa s4, v13, v18 src0_sel:BYTE_0 src1_sel:DWORD
	s_and_saveexec_b32 s5, s4
	s_xor_b32 s4, exec_lo, s5
; %bb.73:
                                        ; implicit-def: $vgpr16
                                        ; implicit-def: $vgpr17
; %bb.74:
	s_andn2_saveexec_b32 s4, s4
; %bb.75:
	v_add_nc_u32_e32 v5, v5, v16
	v_add_nc_u32_e32 v6, v6, v17
; %bb.76:
	s_or_b32 exec_lo, exec_lo, s4
	v_and_b32_e32 v15, 1, v15
	v_and_or_b32 v13, 0xffffff01, v13, v15
.LBB1959_77:
	s_or_b32 exec_lo, exec_lo, s3
	v_mov_b32_dpp v16, v5 row_shr:4 row_mask:0xf bank_mask:0xf
	v_mov_b32_dpp v17, v6 row_shr:4 row_mask:0xf bank_mask:0xf
	;; [unrolled: 1-line block ×3, first 2 shown]
	s_mov_b32 s3, exec_lo
	v_cmpx_lt_u32_e32 3, v14
	s_cbranch_execz .LBB1959_83
; %bb.78:
	v_mov_b32_e32 v14, 0
	v_cmp_ne_u32_sdwa s4, v13, v14 src0_sel:BYTE_0 src1_sel:DWORD
	s_and_saveexec_b32 s5, s4
	s_xor_b32 s4, exec_lo, s5
; %bb.79:
                                        ; implicit-def: $vgpr16
                                        ; implicit-def: $vgpr17
; %bb.80:
	s_andn2_saveexec_b32 s4, s4
; %bb.81:
	v_add_nc_u32_e32 v5, v5, v16
	v_add_nc_u32_e32 v6, v6, v17
; %bb.82:
	s_or_b32 exec_lo, exec_lo, s4
	v_or_b32_e32 v13, v15, v13
	v_and_b32_e32 v13, 1, v13
.LBB1959_83:
	s_or_b32 exec_lo, exec_lo, s3
	ds_write2_b32 v11, v5, v6 offset1:1
	ds_write_b8 v11, v13 offset:8
.LBB1959_84:
	s_or_b32 exec_lo, exec_lo, s2
	v_mov_b32_e32 v14, 0
	v_mov_b32_e32 v15, 0
	;; [unrolled: 1-line block ×3, first 2 shown]
	s_mov_b32 s3, exec_lo
	v_cmp_gt_u32_e32 vcc_lo, 32, v0
	s_waitcnt lgkmcnt(0)
	s_barrier
	buffer_gl0_inv
	v_cmpx_lt_u32_e32 31, v0
	s_cbranch_execz .LBB1959_86
; %bb.85:
	v_mad_u32_u24 v5, v10, 12, -12
	v_mad_u32_u24 v6, v10, 12, -4
	v_cmp_eq_u32_e64 s2, 0, v9
	ds_read2_b32 v[14:15], v5 offset1:1
	ds_read_u8 v5, v6
	s_waitcnt lgkmcnt(1)
	v_add_nc_u32_e32 v6, v14, v7
	v_add_nc_u32_e32 v10, v15, v8
	s_waitcnt lgkmcnt(0)
	v_or_b32_e32 v9, v5, v9
	v_and_b32_e32 v28, 1, v5
	v_cndmask_b32_e64 v7, v7, v6, s2
	v_cndmask_b32_e64 v8, v8, v10, s2
	v_and_b32_e32 v9, 1, v9
.LBB1959_86:
	s_or_b32 exec_lo, exec_lo, s3
	v_sub_co_u32 v5, s2, v1, 1
	v_cmp_gt_i32_e64 s3, 0, v5
	v_cndmask_b32_e64 v5, v5, v1, s3
	v_lshlrev_b32_e32 v5, 2, v5
	ds_bpermute_b32 v30, v5, v7
	ds_bpermute_b32 v29, v5, v8
	;; [unrolled: 1-line block ×3, first 2 shown]
	s_and_saveexec_b32 s5, vcc_lo
	s_cbranch_execz .LBB1959_162
; %bb.87:
	v_mov_b32_e32 v18, 0
	ds_read_b32 v5, v18 offset:84
	ds_read_b64 v[6:7], v18 offset:88
	s_and_saveexec_b32 s3, s2
	s_cbranch_execz .LBB1959_89
; %bb.88:
	s_add_i32 s16, s6, 32
	s_mov_b32 s17, 0
	v_mov_b32_e32 v8, 1
	s_lshl_b64 s[16:17], s[16:17], 4
	s_add_u32 s16, s8, s16
	s_addc_u32 s17, s9, s17
	v_mov_b32_e32 v9, s16
	v_mov_b32_e32 v10, s17
	s_waitcnt lgkmcnt(0)
	;;#ASMSTART
	global_store_dwordx4 v[9:10], v[5:8] off	
s_waitcnt vmcnt(0)
	;;#ASMEND
.LBB1959_89:
	s_or_b32 exec_lo, exec_lo, s3
	v_xad_u32 v16, v1, -1, s6
	s_mov_b32 s4, 0
	v_add_nc_u32_e32 v17, 32, v16
	v_lshlrev_b64 v[8:9], 4, v[17:18]
	v_add_co_u32 v19, vcc_lo, s8, v8
	v_add_co_ci_u32_e64 v20, null, s9, v9, vcc_lo
	;;#ASMSTART
	global_load_dwordx4 v[8:11], v[19:20] off glc dlc	
s_waitcnt vmcnt(0)
	;;#ASMEND
	v_alignbit_b32 v34, v9, v8, 8
	v_alignbit_b32 v35, v9, v8, 16
	v_alignbit_b32 v32, v9, v8, 24
	v_perm_b32 v17, v9, v10, 0x70605
	v_perm_b32 v33, v9, v10, 0x1000706
	;; [unrolled: 1-line block ×3, first 2 shown]
	v_cmp_eq_u16_sdwa s16, v11, v18 src0_sel:BYTE_0 src1_sel:DWORD
	s_and_saveexec_b32 s3, s16
	s_cbranch_execz .LBB1959_93
; %bb.90:
	v_mov_b32_e32 v13, 0
.LBB1959_91:                            ; =>This Inner Loop Header: Depth=1
	;;#ASMSTART
	global_load_dwordx4 v[8:11], v[19:20] off glc dlc	
s_waitcnt vmcnt(0)
	;;#ASMEND
	v_cmp_ne_u16_sdwa s16, v11, v13 src0_sel:BYTE_0 src1_sel:DWORD
	s_or_b32 s4, s16, s4
	s_andn2_b32 exec_lo, exec_lo, s4
	s_cbranch_execnz .LBB1959_91
; %bb.92:
	s_or_b32 exec_lo, exec_lo, s4
	v_perm_b32 v13, v9, v10, 0x2010007
	v_perm_b32 v33, v9, v10, 0x1000706
	;; [unrolled: 1-line block ×3, first 2 shown]
	v_alignbit_b32 v32, v9, v8, 24
	v_alignbit_b32 v35, v9, v8, 16
	;; [unrolled: 1-line block ×3, first 2 shown]
.LBB1959_93:
	s_or_b32 exec_lo, exec_lo, s3
	v_lshlrev_b32_e32 v18, 16, v35
	v_lshlrev_b32_e32 v19, 8, v34
	v_lshlrev_b32_e32 v20, 16, v33
	v_lshlrev_b32_e32 v17, 8, v17
	v_cmp_ne_u32_e32 vcc_lo, 31, v1
	v_perm_b32 v18, v32, v18, 0x4020c0c
	v_and_b32_e32 v19, 0xff00, v19
	v_and_b32_e32 v8, 0xff, v8
	v_perm_b32 v20, v13, v20, 0x4020c0c
	v_and_b32_e32 v17, 0xff00, v17
	v_add_co_ci_u32_e64 v13, null, 0, v1, vcc_lo
	v_and_b32_e32 v9, 0xff, v9
	v_mov_b32_e32 v32, 2
	v_or3_b32 v8, v18, v19, v8
	v_lshlrev_b32_e32 v13, 2, v13
	v_and_b32_e32 v18, 0xff, v10
	v_or3_b32 v9, v20, v17, v9
	v_cmp_eq_u16_sdwa s3, v11, v32 src0_sel:BYTE_0 src1_sel:DWORD
	v_lshlrev_b32_e64 v20, v1, -1
	ds_bpermute_b32 v32, v13, v8
	ds_bpermute_b32 v19, v13, v18
	;; [unrolled: 1-line block ×3, first 2 shown]
	v_and_or_b32 v17, s3, v20, 0x80000000
	s_mov_b32 s3, exec_lo
	v_ffbl_b32_e32 v17, v17
	v_cmpx_lt_u32_e64 v1, v17
	s_cbranch_execz .LBB1959_97
; %bb.94:
	s_mov_b32 s4, exec_lo
	v_cmpx_eq_u32_e32 0, v18
	s_cbranch_execz .LBB1959_96
; %bb.95:
	s_waitcnt lgkmcnt(2)
	v_add_nc_u32_e32 v8, v8, v32
	s_waitcnt lgkmcnt(0)
	v_add_nc_u32_e32 v9, v9, v33
.LBB1959_96:
	s_or_b32 exec_lo, exec_lo, s4
	s_waitcnt lgkmcnt(1)
	v_or_b32_e32 v10, v19, v10
	v_and_b32_e32 v18, 1, v10
.LBB1959_97:
	s_or_b32 exec_lo, exec_lo, s3
	v_cmp_gt_u32_e32 vcc_lo, 30, v1
	s_waitcnt lgkmcnt(0)
	v_add_nc_u32_e32 v33, 2, v1
	s_mov_b32 s3, exec_lo
	v_cndmask_b32_e64 v10, 0, 2, vcc_lo
	v_add_lshl_u32 v32, v10, v1, 2
	ds_bpermute_b32 v19, v32, v8
	ds_bpermute_b32 v34, v32, v9
	;; [unrolled: 1-line block ×3, first 2 shown]
	v_cmpx_le_u32_e64 v33, v17
	s_cbranch_execz .LBB1959_103
; %bb.98:
	s_mov_b32 s4, exec_lo
	v_cmpx_ne_u32_e32 0, v18
	s_xor_b32 s4, exec_lo, s4
; %bb.99:
                                        ; implicit-def: $vgpr19
                                        ; implicit-def: $vgpr34
; %bb.100:
	s_andn2_saveexec_b32 s4, s4
	s_cbranch_execz .LBB1959_102
; %bb.101:
	s_waitcnt lgkmcnt(2)
	v_add_nc_u32_e32 v8, v8, v19
	s_waitcnt lgkmcnt(1)
	v_add_nc_u32_e32 v9, v9, v34
.LBB1959_102:
	s_or_b32 exec_lo, exec_lo, s4
	s_waitcnt lgkmcnt(0)
	v_or_b32_e32 v10, v10, v18
	v_and_b32_e32 v18, 1, v10
.LBB1959_103:
	s_or_b32 exec_lo, exec_lo, s3
	v_cmp_gt_u32_e32 vcc_lo, 28, v1
	v_add_nc_u32_e32 v35, 4, v1
	s_mov_b32 s3, exec_lo
	s_waitcnt lgkmcnt(0)
	v_cndmask_b32_e64 v10, 0, 4, vcc_lo
	v_add_lshl_u32 v34, v10, v1, 2
	ds_bpermute_b32 v19, v34, v8
	ds_bpermute_b32 v36, v34, v9
	;; [unrolled: 1-line block ×3, first 2 shown]
	v_cmpx_le_u32_e64 v35, v17
	s_cbranch_execz .LBB1959_109
; %bb.104:
	s_mov_b32 s4, exec_lo
	v_cmpx_ne_u32_e32 0, v18
	s_xor_b32 s4, exec_lo, s4
; %bb.105:
                                        ; implicit-def: $vgpr19
                                        ; implicit-def: $vgpr36
; %bb.106:
	s_andn2_saveexec_b32 s4, s4
	s_cbranch_execz .LBB1959_108
; %bb.107:
	s_waitcnt lgkmcnt(2)
	v_add_nc_u32_e32 v8, v8, v19
	s_waitcnt lgkmcnt(1)
	v_add_nc_u32_e32 v9, v9, v36
.LBB1959_108:
	s_or_b32 exec_lo, exec_lo, s4
	s_waitcnt lgkmcnt(0)
	v_or_b32_e32 v10, v10, v18
	v_and_b32_e32 v18, 1, v10
.LBB1959_109:
	s_or_b32 exec_lo, exec_lo, s3
	v_cmp_gt_u32_e32 vcc_lo, 24, v1
	v_add_nc_u32_e32 v37, 8, v1
	s_mov_b32 s3, exec_lo
	s_waitcnt lgkmcnt(0)
	v_cndmask_b32_e64 v10, 0, 8, vcc_lo
	v_add_lshl_u32 v36, v10, v1, 2
	ds_bpermute_b32 v19, v36, v8
	ds_bpermute_b32 v38, v36, v9
	;; [unrolled: 1-line block ×3, first 2 shown]
	v_cmpx_le_u32_e64 v37, v17
	s_cbranch_execz .LBB1959_115
; %bb.110:
	s_mov_b32 s4, exec_lo
	v_cmpx_ne_u32_e32 0, v18
	s_xor_b32 s4, exec_lo, s4
; %bb.111:
                                        ; implicit-def: $vgpr19
                                        ; implicit-def: $vgpr38
; %bb.112:
	s_andn2_saveexec_b32 s4, s4
	s_cbranch_execz .LBB1959_114
; %bb.113:
	s_waitcnt lgkmcnt(2)
	v_add_nc_u32_e32 v8, v8, v19
	s_waitcnt lgkmcnt(1)
	v_add_nc_u32_e32 v9, v9, v38
.LBB1959_114:
	s_or_b32 exec_lo, exec_lo, s4
	s_waitcnt lgkmcnt(0)
	v_or_b32_e32 v10, v10, v18
	v_and_b32_e32 v18, 1, v10
.LBB1959_115:
	s_or_b32 exec_lo, exec_lo, s3
	s_waitcnt lgkmcnt(1)
	v_lshl_or_b32 v38, v1, 2, 64
	v_add_nc_u32_e32 v39, 16, v1
	s_mov_b32 s3, exec_lo
	ds_bpermute_b32 v19, v38, v8
	ds_bpermute_b32 v40, v38, v9
	s_waitcnt lgkmcnt(2)
	ds_bpermute_b32 v10, v38, v18
	v_cmpx_le_u32_e64 v39, v17
	s_cbranch_execz .LBB1959_121
; %bb.116:
	s_mov_b32 s4, exec_lo
	v_cmpx_ne_u32_e32 0, v18
	s_xor_b32 s4, exec_lo, s4
; %bb.117:
                                        ; implicit-def: $vgpr19
                                        ; implicit-def: $vgpr40
; %bb.118:
	s_andn2_saveexec_b32 s4, s4
	s_cbranch_execz .LBB1959_120
; %bb.119:
	s_waitcnt lgkmcnt(2)
	v_add_nc_u32_e32 v8, v8, v19
	s_waitcnt lgkmcnt(1)
	v_add_nc_u32_e32 v9, v9, v40
.LBB1959_120:
	s_or_b32 exec_lo, exec_lo, s4
	s_waitcnt lgkmcnt(0)
	v_or_b32_e32 v10, v10, v18
	v_and_b32_e32 v18, 1, v10
.LBB1959_121:
	s_or_b32 exec_lo, exec_lo, s3
	v_mov_b32_e32 v17, 0
	v_mov_b32_e32 v43, 2
	s_branch .LBB1959_125
.LBB1959_122:                           ;   in Loop: Header=BB1959_125 Depth=1
	s_or_b32 exec_lo, exec_lo, s4
	s_waitcnt lgkmcnt(0)
	v_or_b32_e32 v18, v10, v18
.LBB1959_123:                           ;   in Loop: Header=BB1959_125 Depth=1
	s_or_b32 exec_lo, exec_lo, s3
	s_waitcnt lgkmcnt(0)
	v_and_b32_e32 v10, 1, v41
	v_and_b32_e32 v18, 1, v18
	v_add_nc_u32_e32 v9, v9, v40
	v_cmp_eq_u16_sdwa vcc_lo, v41, v17 src0_sel:BYTE_0 src1_sel:DWORD
	v_add_nc_u32_e32 v19, v8, v42
	v_cmp_eq_u32_e64 s3, 1, v10
	v_cmp_eq_u32_e64 s4, 1, v18
	v_subrev_nc_u32_e32 v16, 32, v16
	v_cndmask_b32_e32 v8, v40, v9, vcc_lo
	v_cndmask_b32_e32 v9, v42, v19, vcc_lo
	s_or_b32 s3, s3, s4
	v_cndmask_b32_e64 v18, 0, 1, s3
	s_mov_b32 s3, 0
.LBB1959_124:                           ;   in Loop: Header=BB1959_125 Depth=1
	s_and_b32 vcc_lo, exec_lo, s3
	s_cbranch_vccnz .LBB1959_158
.LBB1959_125:                           ; =>This Loop Header: Depth=1
                                        ;     Child Loop BB1959_128 Depth 2
	v_cmp_ne_u16_sdwa s3, v11, v43 src0_sel:BYTE_0 src1_sel:DWORD
	s_waitcnt lgkmcnt(1)
	v_mov_b32_e32 v40, v8
	v_mov_b32_e32 v42, v9
	;; [unrolled: 1-line block ×3, first 2 shown]
                                        ; implicit-def: $vgpr8
                                        ; implicit-def: $vgpr11
                                        ; implicit-def: $vgpr18
                                        ; implicit-def: $vgpr9
	s_cmp_lg_u32 s3, exec_lo
	s_mov_b32 s3, -1
	s_cbranch_scc1 .LBB1959_124
; %bb.126:                              ;   in Loop: Header=BB1959_125 Depth=1
	v_lshlrev_b64 v[8:9], 4, v[16:17]
	v_add_co_u32 v18, vcc_lo, s8, v8
	v_add_co_ci_u32_e64 v19, null, s9, v9, vcc_lo
	s_waitcnt lgkmcnt(0)
	;;#ASMSTART
	global_load_dwordx4 v[8:11], v[18:19] off glc dlc	
s_waitcnt vmcnt(0)
	;;#ASMEND
	v_alignbit_b32 v48, v9, v8, 8
	v_alignbit_b32 v49, v9, v8, 16
	;; [unrolled: 1-line block ×3, first 2 shown]
	v_perm_b32 v45, v9, v10, 0x70605
	v_perm_b32 v47, v9, v10, 0x1000706
	;; [unrolled: 1-line block ×3, first 2 shown]
	v_cmp_eq_u16_sdwa s4, v11, v17 src0_sel:BYTE_0 src1_sel:DWORD
	s_and_saveexec_b32 s3, s4
	s_cbranch_execz .LBB1959_130
; %bb.127:                              ;   in Loop: Header=BB1959_125 Depth=1
	s_mov_b32 s4, 0
.LBB1959_128:                           ;   Parent Loop BB1959_125 Depth=1
                                        ; =>  This Inner Loop Header: Depth=2
	;;#ASMSTART
	global_load_dwordx4 v[8:11], v[18:19] off glc dlc	
s_waitcnt vmcnt(0)
	;;#ASMEND
	v_cmp_ne_u16_sdwa s16, v11, v17 src0_sel:BYTE_0 src1_sel:DWORD
	s_or_b32 s4, s16, s4
	s_andn2_b32 exec_lo, exec_lo, s4
	s_cbranch_execnz .LBB1959_128
; %bb.129:                              ;   in Loop: Header=BB1959_125 Depth=1
	s_or_b32 exec_lo, exec_lo, s4
	v_perm_b32 v44, v9, v10, 0x2010007
	v_perm_b32 v47, v9, v10, 0x1000706
	;; [unrolled: 1-line block ×3, first 2 shown]
	v_alignbit_b32 v46, v9, v8, 24
	v_alignbit_b32 v49, v9, v8, 16
	;; [unrolled: 1-line block ×3, first 2 shown]
.LBB1959_130:                           ;   in Loop: Header=BB1959_125 Depth=1
	s_or_b32 exec_lo, exec_lo, s3
	v_lshlrev_b32_e32 v18, 16, v49
	v_lshlrev_b32_e32 v19, 8, v48
	;; [unrolled: 1-line block ×4, first 2 shown]
	v_and_b32_e32 v8, 0xff, v8
	v_perm_b32 v18, v46, v18, 0x4020c0c
	v_and_b32_e32 v19, 0xff00, v19
	v_perm_b32 v44, v44, v47, 0x4020c0c
	v_and_b32_e32 v46, 0xff, v9
	v_and_b32_e32 v45, 0xff00, v45
	v_cmp_eq_u16_sdwa s3, v11, v43 src0_sel:BYTE_0 src1_sel:DWORD
	v_or3_b32 v9, v18, v19, v8
	v_and_b32_e32 v18, 0xff, v10
	v_or3_b32 v8, v44, v45, v46
	v_and_or_b32 v19, s3, v20, 0x80000000
	ds_bpermute_b32 v45, v13, v9
	ds_bpermute_b32 v44, v13, v18
	s_mov_b32 s3, exec_lo
	ds_bpermute_b32 v46, v13, v8
	v_ffbl_b32_e32 v19, v19
	v_cmpx_lt_u32_e64 v1, v19
	s_cbranch_execz .LBB1959_134
; %bb.131:                              ;   in Loop: Header=BB1959_125 Depth=1
	s_mov_b32 s4, exec_lo
	v_cmpx_eq_u32_e32 0, v18
	s_cbranch_execz .LBB1959_133
; %bb.132:                              ;   in Loop: Header=BB1959_125 Depth=1
	s_waitcnt lgkmcnt(2)
	v_add_nc_u32_e32 v9, v9, v45
	s_waitcnt lgkmcnt(0)
	v_add_nc_u32_e32 v8, v8, v46
.LBB1959_133:                           ;   in Loop: Header=BB1959_125 Depth=1
	s_or_b32 exec_lo, exec_lo, s4
	s_waitcnt lgkmcnt(1)
	v_or_b32_e32 v10, v44, v10
	v_and_b32_e32 v18, 1, v10
.LBB1959_134:                           ;   in Loop: Header=BB1959_125 Depth=1
	s_or_b32 exec_lo, exec_lo, s3
	s_waitcnt lgkmcnt(1)
	ds_bpermute_b32 v44, v32, v9
	ds_bpermute_b32 v45, v32, v8
	ds_bpermute_b32 v10, v32, v18
	s_mov_b32 s3, exec_lo
	v_cmpx_le_u32_e64 v33, v19
	s_cbranch_execz .LBB1959_140
; %bb.135:                              ;   in Loop: Header=BB1959_125 Depth=1
	s_mov_b32 s4, exec_lo
	v_cmpx_ne_u32_e32 0, v18
	s_xor_b32 s4, exec_lo, s4
; %bb.136:                              ;   in Loop: Header=BB1959_125 Depth=1
                                        ; implicit-def: $vgpr44
                                        ; implicit-def: $vgpr45
; %bb.137:                              ;   in Loop: Header=BB1959_125 Depth=1
	s_andn2_saveexec_b32 s4, s4
	s_cbranch_execz .LBB1959_139
; %bb.138:                              ;   in Loop: Header=BB1959_125 Depth=1
	s_waitcnt lgkmcnt(2)
	v_add_nc_u32_e32 v9, v9, v44
	s_waitcnt lgkmcnt(1)
	v_add_nc_u32_e32 v8, v8, v45
.LBB1959_139:                           ;   in Loop: Header=BB1959_125 Depth=1
	s_or_b32 exec_lo, exec_lo, s4
	s_waitcnt lgkmcnt(0)
	v_or_b32_e32 v10, v10, v18
	v_and_b32_e32 v18, 1, v10
.LBB1959_140:                           ;   in Loop: Header=BB1959_125 Depth=1
	s_or_b32 exec_lo, exec_lo, s3
	s_waitcnt lgkmcnt(2)
	ds_bpermute_b32 v44, v34, v9
	s_waitcnt lgkmcnt(2)
	ds_bpermute_b32 v45, v34, v8
	s_waitcnt lgkmcnt(2)
	ds_bpermute_b32 v10, v34, v18
	s_mov_b32 s3, exec_lo
	v_cmpx_le_u32_e64 v35, v19
	s_cbranch_execz .LBB1959_146
; %bb.141:                              ;   in Loop: Header=BB1959_125 Depth=1
	s_mov_b32 s4, exec_lo
	v_cmpx_ne_u32_e32 0, v18
	s_xor_b32 s4, exec_lo, s4
; %bb.142:                              ;   in Loop: Header=BB1959_125 Depth=1
                                        ; implicit-def: $vgpr44
                                        ; implicit-def: $vgpr45
; %bb.143:                              ;   in Loop: Header=BB1959_125 Depth=1
	s_andn2_saveexec_b32 s4, s4
	s_cbranch_execz .LBB1959_145
; %bb.144:                              ;   in Loop: Header=BB1959_125 Depth=1
	s_waitcnt lgkmcnt(2)
	v_add_nc_u32_e32 v9, v9, v44
	s_waitcnt lgkmcnt(1)
	v_add_nc_u32_e32 v8, v8, v45
.LBB1959_145:                           ;   in Loop: Header=BB1959_125 Depth=1
	s_or_b32 exec_lo, exec_lo, s4
	s_waitcnt lgkmcnt(0)
	v_or_b32_e32 v10, v10, v18
	v_and_b32_e32 v18, 1, v10
.LBB1959_146:                           ;   in Loop: Header=BB1959_125 Depth=1
	s_or_b32 exec_lo, exec_lo, s3
	s_waitcnt lgkmcnt(2)
	ds_bpermute_b32 v44, v36, v9
	s_waitcnt lgkmcnt(2)
	ds_bpermute_b32 v45, v36, v8
	s_waitcnt lgkmcnt(2)
	ds_bpermute_b32 v10, v36, v18
	;; [unrolled: 31-line block ×3, first 2 shown]
	s_mov_b32 s3, exec_lo
	v_cmpx_le_u32_e64 v39, v19
	s_cbranch_execz .LBB1959_123
; %bb.153:                              ;   in Loop: Header=BB1959_125 Depth=1
	s_mov_b32 s4, exec_lo
	v_cmpx_ne_u32_e32 0, v18
	s_xor_b32 s4, exec_lo, s4
; %bb.154:                              ;   in Loop: Header=BB1959_125 Depth=1
                                        ; implicit-def: $vgpr44
                                        ; implicit-def: $vgpr45
; %bb.155:                              ;   in Loop: Header=BB1959_125 Depth=1
	s_andn2_saveexec_b32 s4, s4
	s_cbranch_execz .LBB1959_122
; %bb.156:                              ;   in Loop: Header=BB1959_125 Depth=1
	s_waitcnt lgkmcnt(2)
	v_add_nc_u32_e32 v9, v9, v44
	s_waitcnt lgkmcnt(1)
	v_add_nc_u32_e32 v8, v8, v45
	s_branch .LBB1959_122
.LBB1959_157:
                                        ; implicit-def: $vgpr8
                                        ; implicit-def: $vgpr6
                                        ; implicit-def: $vgpr9_vgpr10
	s_cbranch_execnz .LBB1959_169
	s_branch .LBB1959_228
.LBB1959_158:
	s_and_saveexec_b32 s16, s2
	s_cbranch_execz .LBB1959_160
; %bb.159:
	v_and_b32_e32 v9, 0xff, v7
	v_and_b32_e32 v7, 1, v7
	s_waitcnt lgkmcnt(0)
	v_and_b32_e32 v10, 1, v41
	v_mov_b32_e32 v8, 0
	s_mov_b32 s21, 0
	s_add_i32 s20, s6, 32
	v_cmp_eq_u32_e64 s3, 1, v7
	v_cmp_eq_u32_e64 s4, 1, v10
	v_cmp_eq_u64_e32 vcc_lo, 0, v[8:9]
	v_add_nc_u32_e32 v11, v40, v5
	v_add_nc_u32_e32 v8, v42, v6
	s_lshl_b64 s[20:21], s[20:21], 4
	s_or_b32 s3, s3, s4
	s_add_u32 s20, s8, s20
	s_addc_u32 s21, s9, s21
	v_mov_b32_e32 v9, s20
	v_cndmask_b32_e32 v5, v5, v11, vcc_lo
	v_cndmask_b32_e32 v6, v6, v8, vcc_lo
	v_cndmask_b32_e64 v7, 0, 1, s3
	v_mov_b32_e32 v8, 2
	v_mov_b32_e32 v10, s21
	;;#ASMSTART
	global_store_dwordx4 v[9:10], v[5:8] off	
s_waitcnt vmcnt(0)
	;;#ASMEND
.LBB1959_160:
	s_or_b32 exec_lo, exec_lo, s16
	v_cmp_eq_u32_e32 vcc_lo, 0, v0
	s_and_b32 exec_lo, exec_lo, vcc_lo
	s_cbranch_execz .LBB1959_162
; %bb.161:
	v_mov_b32_e32 v5, 0
	ds_write2_b32 v5, v40, v42 offset0:21 offset1:22
	ds_write_b8 v5, v41 offset:92
.LBB1959_162:
	s_or_b32 exec_lo, exec_lo, s5
	v_mov_b32_e32 v11, 0
	s_waitcnt lgkmcnt(0)
	s_barrier
	buffer_gl0_inv
	v_mov_b32_e32 v13, v2
	ds_read2_b32 v[5:6], v11 offset0:21 offset1:22
	v_mov_b32_e32 v9, v12
	v_mov_b32_e32 v7, v12
	;; [unrolled: 1-line block ×5, first 2 shown]
	s_mov_b32 s4, exec_lo
	v_cmpx_ne_u32_e32 0, v0
	s_cbranch_execz .LBB1959_164
; %bb.163:
	v_cndmask_b32_e64 v8, v31, v28, s2
	v_cndmask_b32_e64 v9, v29, v15, s2
	v_cndmask_b32_e64 v7, v30, v14, s2
	v_and_b32_e32 v10, 1, v22
	v_cmp_eq_u16_sdwa vcc_lo, v22, v11 src0_sel:BYTE_0 src1_sel:DWORD
	v_and_b32_e32 v8, 1, v8
	v_add_nc_u32_e32 v9, v2, v9
	v_add_nc_u32_e32 v7, v12, v7
	v_cmp_eq_u32_e64 s2, 1, v10
	v_cmp_eq_u32_e64 s3, 1, v8
	v_cndmask_b32_e32 v8, v2, v9, vcc_lo
	v_cndmask_b32_e32 v7, v12, v7, vcc_lo
	s_or_b32 s2, s2, s3
	v_mov_b32_e32 v10, v8
	v_cndmask_b32_e64 v13, 0, 1, s2
	v_mov_b32_e32 v9, v7
.LBB1959_164:
	s_or_b32 exec_lo, exec_lo, s4
	v_cmp_ne_u16_sdwa s2, v13, v11 src0_sel:BYTE_0 src1_sel:DWORD
	s_and_saveexec_b32 s3, s2
	s_xor_b32 s2, exec_lo, s3
; %bb.165:
                                        ; implicit-def: $vgpr7
                                        ; implicit-def: $vgpr5_vgpr6
; %bb.166:
	s_andn2_saveexec_b32 s2, s2
	s_cbranch_execz .LBB1959_168
; %bb.167:
	s_waitcnt lgkmcnt(0)
	v_add_nc_u32_e32 v9, v7, v5
	v_add_nc_u32_e32 v10, v8, v6
.LBB1959_168:
	s_or_b32 exec_lo, exec_lo, s2
	s_waitcnt lgkmcnt(0)
	v_add_nc_u32_e32 v5, v3, v9
	v_add_nc_u32_e32 v6, v4, v10
	v_cndmask_b32_e64 v5, v3, v5, s1
	v_cndmask_b32_e64 v6, v4, v6, s1
	v_add_nc_u32_e32 v7, v23, v5
	v_add_nc_u32_e32 v8, v24, v6
	v_cndmask_b32_e64 v7, v23, v7, s0
	v_cndmask_b32_e64 v8, v24, v8, s0
	s_branch .LBB1959_228
.LBB1959_169:
	s_cmp_lg_u64 s[26:27], 0
	v_cmp_eq_u32_e32 vcc_lo, 0, v0
	s_cselect_b32 s1, -1, 0
	s_cmp_lg_u64 s[18:19], 0
	v_cmp_ne_u32_e64 s0, 0, v0
	s_cselect_b32 s2, -1, 0
	s_and_b32 s1, s1, s2
	s_and_b32 s2, vcc_lo, s1
	s_and_saveexec_b32 s1, s2
	s_cbranch_execz .LBB1959_173
; %bb.170:
	v_mov_b32_e32 v5, 0
	v_cmp_eq_u16_sdwa s3, v22, v5 src0_sel:BYTE_0 src1_sel:DWORD
	s_and_saveexec_b32 s2, s3
	s_cbranch_execz .LBB1959_172
; %bb.171:
	global_load_dwordx2 v[6:7], v5, s[18:19]
	s_waitcnt vmcnt(0)
	v_add_nc_u32_e32 v12, v12, v6
	v_add_nc_u32_e32 v2, v2, v7
.LBB1959_172:
	s_or_b32 exec_lo, exec_lo, s2
	global_load_ubyte v5, v5, s[18:19] offset:8
	s_waitcnt vmcnt(0)
	v_or_b32_e32 v5, v22, v5
	v_and_b32_e32 v22, 1, v5
.LBB1959_173:
	s_or_b32 exec_lo, exec_lo, s1
	v_mov_b32_e32 v7, 0
	v_add_nc_u32_e32 v6, v4, v2
	v_add_nc_u32_e32 v5, v3, v12
	v_or_b32_e32 v8, v25, v22
	v_cmp_eq_u32_e64 s3, 1, v27
	v_cmp_eq_u16_sdwa s1, v25, v7 src0_sel:BYTE_0 src1_sel:DWORD
	v_cmp_eq_u16_e64 s2, 0, v26
	v_and_b32_e32 v17, 15, v1
	v_cmp_ne_u16_sdwa s4, v8, v7 src0_sel:BYTE_0 src1_sel:DWORD
	v_cndmask_b32_e64 v6, v4, v6, s1
	v_cndmask_b32_e64 v5, v3, v5, s1
	s_or_b32 s5, s4, s3
	s_mov_b32 s4, exec_lo
	v_add_nc_u32_e32 v8, v24, v6
	v_add_nc_u32_e32 v7, v23, v5
	v_cndmask_b32_e64 v11, 0, 1, s5
	v_cndmask_b32_e64 v8, v24, v8, s2
	;; [unrolled: 1-line block ×3, first 2 shown]
	v_mov_b32_dpp v18, v11 row_shr:1 row_mask:0xf bank_mask:0xf
	v_mov_b32_e32 v10, v8
	v_mov_b32_dpp v19, v7 row_shr:1 row_mask:0xf bank_mask:0xf
	v_mov_b32_e32 v13, v7
	;; [unrolled: 2-line block ×3, first 2 shown]
	v_mov_b32_e32 v14, v8
	v_mov_b32_e32 v15, v8
	;; [unrolled: 1-line block ×3, first 2 shown]
	v_cmpx_ne_u32_e32 0, v17
	s_cbranch_execz .LBB1959_177
; %bb.174:
	v_mov_b32_e32 v10, v8
	v_mov_b32_e32 v9, v7
	v_mov_b32_e32 v13, v7
	v_mov_b32_e32 v14, v8
	s_xor_b32 s5, s5, -1
	s_and_saveexec_b32 s3, s5
; %bb.175:
	v_add_nc_u32_e32 v9, v7, v19
	v_add_nc_u32_e32 v10, v8, v20
	v_mov_b32_e32 v13, v9
	v_mov_b32_e32 v14, v10
; %bb.176:
	s_or_b32 exec_lo, exec_lo, s3
	v_and_or_b32 v11, v18, 1, v11
	v_mov_b32_e32 v15, v10
	v_mov_b32_e32 v16, v9
.LBB1959_177:
	s_or_b32 exec_lo, exec_lo, s4
	v_mov_b32_dpp v19, v13 row_shr:2 row_mask:0xf bank_mask:0xf
	v_mov_b32_dpp v20, v14 row_shr:2 row_mask:0xf bank_mask:0xf
	;; [unrolled: 1-line block ×3, first 2 shown]
	s_mov_b32 s4, exec_lo
	v_cmpx_lt_u32_e32 1, v17
	s_cbranch_execz .LBB1959_183
; %bb.178:
	v_cmp_ne_u32_e64 s3, 0, v11
	s_and_saveexec_b32 s5, s3
	s_xor_b32 s3, exec_lo, s5
; %bb.179:
                                        ; implicit-def: $vgpr16
                                        ; implicit-def: $vgpr19
                                        ; implicit-def: $vgpr15
                                        ; implicit-def: $vgpr20
; %bb.180:
	s_andn2_saveexec_b32 s3, s3
; %bb.181:
	v_add_nc_u32_e32 v9, v16, v19
	v_add_nc_u32_e32 v10, v15, v20
; %bb.182:
	s_or_b32 exec_lo, exec_lo, s3
	v_or_b32_e32 v11, v18, v11
	v_mov_b32_e32 v13, v9
	v_mov_b32_e32 v14, v10
	;; [unrolled: 1-line block ×4, first 2 shown]
	v_and_b32_e32 v11, 1, v11
.LBB1959_183:
	s_or_b32 exec_lo, exec_lo, s4
	v_mov_b32_dpp v19, v13 row_shr:4 row_mask:0xf bank_mask:0xf
	v_mov_b32_dpp v20, v14 row_shr:4 row_mask:0xf bank_mask:0xf
	;; [unrolled: 1-line block ×3, first 2 shown]
	s_mov_b32 s4, exec_lo
	v_cmpx_lt_u32_e32 3, v17
	s_cbranch_execz .LBB1959_189
; %bb.184:
	v_cmp_ne_u32_e64 s3, 0, v11
	s_and_saveexec_b32 s5, s3
	s_xor_b32 s3, exec_lo, s5
; %bb.185:
                                        ; implicit-def: $vgpr16
                                        ; implicit-def: $vgpr19
                                        ; implicit-def: $vgpr15
                                        ; implicit-def: $vgpr20
; %bb.186:
	s_andn2_saveexec_b32 s3, s3
; %bb.187:
	v_add_nc_u32_e32 v9, v16, v19
	v_add_nc_u32_e32 v10, v15, v20
; %bb.188:
	s_or_b32 exec_lo, exec_lo, s3
	v_or_b32_e32 v11, v18, v11
	v_mov_b32_e32 v13, v9
	v_mov_b32_e32 v14, v10
	;; [unrolled: 1-line block ×4, first 2 shown]
	v_and_b32_e32 v11, 1, v11
.LBB1959_189:
	s_or_b32 exec_lo, exec_lo, s4
	v_mov_b32_dpp v19, v13 row_shr:8 row_mask:0xf bank_mask:0xf
	v_mov_b32_dpp v20, v14 row_shr:8 row_mask:0xf bank_mask:0xf
	v_mov_b32_dpp v18, v11 row_shr:8 row_mask:0xf bank_mask:0xf
	s_mov_b32 s4, exec_lo
	v_cmpx_lt_u32_e32 7, v17
	s_cbranch_execz .LBB1959_195
; %bb.190:
	v_cmp_ne_u32_e64 s3, 0, v11
                                        ; implicit-def: $vgpr14
	s_and_saveexec_b32 s5, s3
	s_xor_b32 s3, exec_lo, s5
; %bb.191:
	v_mov_b32_e32 v14, v10
	v_mov_b32_e32 v13, v9
                                        ; implicit-def: $vgpr16
                                        ; implicit-def: $vgpr19
                                        ; implicit-def: $vgpr15
                                        ; implicit-def: $vgpr20
; %bb.192:
	s_andn2_saveexec_b32 s3, s3
; %bb.193:
	v_add_nc_u32_e32 v13, v16, v19
	v_add_nc_u32_e32 v14, v15, v20
; %bb.194:
	s_or_b32 exec_lo, exec_lo, s3
	v_or_b32_e32 v11, v18, v11
	v_mov_b32_e32 v9, v13
	v_mov_b32_e32 v10, v14
	;; [unrolled: 1-line block ×4, first 2 shown]
	v_and_b32_e32 v11, 1, v11
.LBB1959_195:
	s_or_b32 exec_lo, exec_lo, s4
	ds_swizzle_b32 v17, v13 offset:swizzle(BROADCAST,32,15)
	ds_swizzle_b32 v14, v14 offset:swizzle(BROADCAST,32,15)
	;; [unrolled: 1-line block ×3, first 2 shown]
	v_and_b32_e32 v18, 16, v1
	v_cmp_ne_u32_e64 s3, 0, v18
	v_mov_b32_e32 v18, v11
	s_and_saveexec_b32 s4, s3
	s_cbranch_execz .LBB1959_201
; %bb.196:
	v_cmp_ne_u32_e64 s3, 0, v11
	s_and_saveexec_b32 s5, s3
	s_xor_b32 s3, exec_lo, s5
; %bb.197:
                                        ; implicit-def: $vgpr16
                                        ; implicit-def: $vgpr17
                                        ; implicit-def: $vgpr15
                                        ; implicit-def: $vgpr14
; %bb.198:
	s_andn2_saveexec_b32 s3, s3
	s_cbranch_execz .LBB1959_200
; %bb.199:
	s_waitcnt lgkmcnt(2)
	v_add_nc_u32_e32 v9, v16, v17
	s_waitcnt lgkmcnt(1)
	v_add_nc_u32_e32 v10, v15, v14
.LBB1959_200:
	s_or_b32 exec_lo, exec_lo, s3
	s_waitcnt lgkmcnt(0)
	v_or_b32_e32 v11, v13, v11
	v_mov_b32_e32 v15, v10
	v_mov_b32_e32 v16, v9
	v_and_b32_e32 v18, 1, v11
	v_and_b32_e32 v11, 1, v11
.LBB1959_201:
	s_or_b32 exec_lo, exec_lo, s4
	s_waitcnt lgkmcnt(1)
	v_or_b32_e32 v14, 31, v0
	s_waitcnt lgkmcnt(0)
	v_lshrrev_b32_e32 v13, 5, v0
	s_mov_b32 s4, exec_lo
	v_cmpx_eq_u32_e64 v0, v14
	s_cbranch_execz .LBB1959_203
; %bb.202:
	v_mul_u32_u24_e32 v14, 12, v13
	ds_write2_b32 v14, v9, v10 offset1:1
	ds_write_b8 v14, v18 offset:8
.LBB1959_203:
	s_or_b32 exec_lo, exec_lo, s4
	s_mov_b32 s4, exec_lo
	s_waitcnt lgkmcnt(0)
	s_barrier
	buffer_gl0_inv
	v_cmpx_gt_u32_e32 8, v0
	s_cbranch_execz .LBB1959_221
; %bb.204:
	v_mul_u32_u24_e32 v14, 12, v0
	v_and_b32_e32 v18, 7, v1
	s_mov_b32 s5, exec_lo
	ds_read2_b32 v[9:10], v14 offset1:1
	ds_read_b32 v17, v14 offset:8
	s_waitcnt lgkmcnt(1)
	v_mov_b32_dpp v20, v9 row_shr:1 row_mask:0xf bank_mask:0xf
	v_mov_b32_dpp v25, v10 row_shr:1 row_mask:0xf bank_mask:0xf
	s_waitcnt lgkmcnt(0)
	v_mov_b32_dpp v19, v17 row_shr:1 row_mask:0xf bank_mask:0xf
	v_cmpx_ne_u32_e32 0, v18
	s_cbranch_execz .LBB1959_208
; %bb.205:
	v_mov_b32_e32 v26, 0
	v_cmp_eq_u32_sdwa s6, v17, v26 src0_sel:BYTE_0 src1_sel:DWORD
	s_and_saveexec_b32 s3, s6
; %bb.206:
	v_add_nc_u32_e32 v9, v9, v20
	v_add_nc_u32_e32 v10, v10, v25
; %bb.207:
	s_or_b32 exec_lo, exec_lo, s3
	v_and_b32_e32 v19, 1, v19
	v_and_or_b32 v17, 0xffffff01, v17, v19
.LBB1959_208:
	s_or_b32 exec_lo, exec_lo, s5
	v_mov_b32_dpp v20, v9 row_shr:2 row_mask:0xf bank_mask:0xf
	v_mov_b32_dpp v25, v10 row_shr:2 row_mask:0xf bank_mask:0xf
	;; [unrolled: 1-line block ×3, first 2 shown]
	s_mov_b32 s5, exec_lo
	v_cmpx_lt_u32_e32 1, v18
	s_cbranch_execz .LBB1959_214
; %bb.209:
	v_mov_b32_e32 v26, 0
	v_cmp_ne_u32_sdwa s3, v17, v26 src0_sel:BYTE_0 src1_sel:DWORD
	s_and_saveexec_b32 s6, s3
	s_xor_b32 s3, exec_lo, s6
; %bb.210:
                                        ; implicit-def: $vgpr20
                                        ; implicit-def: $vgpr25
; %bb.211:
	s_andn2_saveexec_b32 s3, s3
; %bb.212:
	v_add_nc_u32_e32 v9, v9, v20
	v_add_nc_u32_e32 v10, v10, v25
; %bb.213:
	s_or_b32 exec_lo, exec_lo, s3
	v_and_b32_e32 v19, 1, v19
	v_and_or_b32 v17, 0xffffff01, v17, v19
.LBB1959_214:
	s_or_b32 exec_lo, exec_lo, s5
	v_mov_b32_dpp v20, v9 row_shr:4 row_mask:0xf bank_mask:0xf
	v_mov_b32_dpp v25, v10 row_shr:4 row_mask:0xf bank_mask:0xf
	;; [unrolled: 1-line block ×3, first 2 shown]
	s_mov_b32 s5, exec_lo
	v_cmpx_lt_u32_e32 3, v18
	s_cbranch_execz .LBB1959_220
; %bb.215:
	v_mov_b32_e32 v18, 0
	v_cmp_ne_u32_sdwa s3, v17, v18 src0_sel:BYTE_0 src1_sel:DWORD
	s_and_saveexec_b32 s6, s3
	s_xor_b32 s3, exec_lo, s6
; %bb.216:
                                        ; implicit-def: $vgpr20
                                        ; implicit-def: $vgpr25
; %bb.217:
	s_andn2_saveexec_b32 s3, s3
; %bb.218:
	v_add_nc_u32_e32 v9, v9, v20
	v_add_nc_u32_e32 v10, v10, v25
; %bb.219:
	s_or_b32 exec_lo, exec_lo, s3
	v_or_b32_e32 v17, v19, v17
	v_and_b32_e32 v17, 1, v17
.LBB1959_220:
	s_or_b32 exec_lo, exec_lo, s5
	ds_write2_b32 v14, v9, v10 offset1:1
	ds_write_b8 v14, v17 offset:8
.LBB1959_221:
	s_or_b32 exec_lo, exec_lo, s4
	v_mov_b32_e32 v9, 0
	v_mov_b32_e32 v10, 0
	s_mov_b32 s4, exec_lo
	s_waitcnt lgkmcnt(0)
	s_barrier
	buffer_gl0_inv
	v_cmpx_lt_u32_e32 31, v0
	s_cbranch_execz .LBB1959_223
; %bb.222:
	v_mad_u32_u24 v9, v13, 12, -12
	v_cmp_eq_u32_e64 s3, 0, v11
	ds_read2_b32 v[9:10], v9 offset1:1
	s_waitcnt lgkmcnt(0)
	v_add_nc_u32_e32 v13, v9, v16
	v_add_nc_u32_e32 v14, v10, v15
	v_cndmask_b32_e64 v16, v16, v13, s3
	v_cndmask_b32_e64 v15, v15, v14, s3
.LBB1959_223:
	s_or_b32 exec_lo, exec_lo, s4
	v_sub_co_u32 v11, s3, v1, 1
	v_cmp_gt_i32_e64 s4, 0, v11
	v_cndmask_b32_e64 v1, v11, v1, s4
	v_lshlrev_b32_e32 v11, 2, v1
	ds_bpermute_b32 v1, v11, v16
	ds_bpermute_b32 v11, v11, v15
	s_and_saveexec_b32 s4, s0
	s_cbranch_execz .LBB1959_225
; %bb.224:
	s_waitcnt lgkmcnt(1)
	v_cndmask_b32_e64 v1, v1, v9, s3
	s_waitcnt lgkmcnt(0)
	v_cndmask_b32_e64 v5, v11, v10, s3
	v_mov_b32_e32 v6, 0
	;;#ASMSTART
	;;#ASMEND
	v_add_nc_u32_e32 v1, v1, v12
	v_add_nc_u32_e32 v5, v5, v2
	v_cmp_eq_u16_sdwa s0, v22, v6 src0_sel:BYTE_0 src1_sel:DWORD
	v_cndmask_b32_e64 v12, v12, v1, s0
	v_cndmask_b32_e64 v2, v2, v5, s0
	v_add_nc_u32_e32 v1, v3, v12
	v_add_nc_u32_e32 v6, v4, v2
	v_cndmask_b32_e64 v5, v3, v1, s1
	v_cndmask_b32_e64 v6, v4, v6, s1
	v_add_nc_u32_e32 v1, v23, v5
	v_add_nc_u32_e32 v3, v24, v6
	v_cndmask_b32_e64 v7, v23, v1, s2
	v_cndmask_b32_e64 v8, v24, v3, s2
.LBB1959_225:
	s_or_b32 exec_lo, exec_lo, s4
	s_and_saveexec_b32 s0, vcc_lo
	s_cbranch_execz .LBB1959_227
; %bb.226:
	s_waitcnt lgkmcnt(1)
	v_mov_b32_e32 v1, 0
	s_add_u32 s2, s8, 0x200
	s_addc_u32 s3, s9, 0
	v_mov_b32_e32 v16, 2
	v_mov_b32_e32 v4, s3
	ds_read2_b32 v[13:14], v1 offset0:21 offset1:22
	ds_read_u8 v15, v1 offset:92
	v_mov_b32_e32 v3, s2
	s_waitcnt lgkmcnt(0)
	;;#ASMSTART
	global_store_dwordx4 v[3:4], v[13:16] off	
s_waitcnt vmcnt(0)
	;;#ASMEND
.LBB1959_227:
	s_or_b32 exec_lo, exec_lo, s0
	v_mov_b32_e32 v10, v2
	v_mov_b32_e32 v9, v12
.LBB1959_228:
	s_add_u32 s0, s14, s24
	s_addc_u32 s1, s15, s25
	s_add_u32 s0, s0, s12
	s_addc_u32 s1, s1, s13
	s_and_b32 vcc_lo, exec_lo, s11
	s_cbranch_vccz .LBB1959_240
; %bb.229:
	s_waitcnt lgkmcnt(1)
	v_mov_b32_e32 v1, 0
	v_mov_b32_e32 v2, 0
	;; [unrolled: 1-line block ×3, first 2 shown]
	v_mul_u32_u24_e32 v13, 3, v0
	v_mov_b32_e32 v4, 0
	s_add_i32 s7, s7, s10
	s_waitcnt lgkmcnt(0)
	v_mov_b32_e32 v12, v2
	v_mov_b32_e32 v11, v1
	s_mov_b32 s2, exec_lo
	v_cmpx_gt_u32_e64 s7, v13
	s_cbranch_execz .LBB1959_235
; %bb.230:
	v_mov_b32_e32 v3, 0
	v_mov_b32_e32 v1, 0
	v_add_nc_u32_e32 v11, 1, v13
	v_mov_b32_e32 v4, 0
	v_mov_b32_e32 v2, 0
	s_mov_b32 s3, exec_lo
	v_cmpx_gt_u32_e64 s7, v11
	s_cbranch_execz .LBB1959_234
; %bb.231:
	v_mov_b32_e32 v1, 0
	v_add_nc_u32_e32 v3, 2, v13
	v_mov_b32_e32 v2, 0
	s_mov_b32 s4, exec_lo
	v_cmpx_gt_u32_e64 s7, v3
; %bb.232:
	v_mov_b32_e32 v1, v7
	v_mov_b32_e32 v2, v8
; %bb.233:
	s_or_b32 exec_lo, exec_lo, s4
	v_mov_b32_e32 v3, v5
	v_mov_b32_e32 v4, v6
.LBB1959_234:
	s_or_b32 exec_lo, exec_lo, s3
	v_mov_b32_e32 v12, v10
	v_mov_b32_e32 v11, v9
.LBB1959_235:
	s_or_b32 exec_lo, exec_lo, s2
	v_lshlrev_b32_e32 v13, 3, v13
	v_lshlrev_b32_e32 v14, 4, v0
	s_barrier
	buffer_gl0_inv
	ds_write2_b64 v13, v[11:12], v[3:4] offset1:1
	v_sub_nc_u32_e32 v3, v13, v14
	ds_write_b64 v13, v[1:2] offset:16
	s_waitcnt lgkmcnt(0)
	s_barrier
	buffer_gl0_inv
	ds_read2st64_b64 v[1:4], v3 offset0:4 offset1:8
	v_add_co_u32 v11, s2, s0, v21
	v_add_co_ci_u32_e64 v12, null, s1, 0, s2
	s_mov_b32 s2, exec_lo
	v_cmpx_gt_u32_e64 s7, v0
	s_cbranch_execz .LBB1959_237
; %bb.236:
	v_sub_nc_u32_e32 v14, 0, v14
	v_add_nc_u32_e32 v13, v13, v14
	ds_read_b64 v[13:14], v13
	s_waitcnt lgkmcnt(0)
	flat_store_dwordx2 v[11:12], v[13:14]
.LBB1959_237:
	s_or_b32 exec_lo, exec_lo, s2
	v_or_b32_e32 v13, 0x100, v0
	s_mov_b32 s2, exec_lo
	v_cmpx_gt_u32_e64 s7, v13
	s_cbranch_execz .LBB1959_239
; %bb.238:
	v_add_co_u32 v11, vcc_lo, 0x800, v11
	v_add_co_ci_u32_e64 v12, null, 0, v12, vcc_lo
	s_waitcnt lgkmcnt(0)
	flat_store_dwordx2 v[11:12], v[1:2]
.LBB1959_239:
	s_or_b32 exec_lo, exec_lo, s2
	s_waitcnt lgkmcnt(0)
	v_or_b32_e32 v1, 0x200, v0
	v_cmp_gt_u32_e64 s2, s7, v1
	s_branch .LBB1959_242
.LBB1959_240:
	s_mov_b32 s2, 0
                                        ; implicit-def: $vgpr3_vgpr4
	s_cbranch_execz .LBB1959_242
; %bb.241:
	s_waitcnt lgkmcnt(1)
	v_mul_u32_u24_e32 v1, 24, v0
	v_lshlrev_b32_e32 v2, 4, v0
	s_waitcnt lgkmcnt(0)
	s_waitcnt_vscnt null, 0x0
	s_barrier
	buffer_gl0_inv
	ds_write2_b64 v1, v[9:10], v[5:6] offset1:1
	v_sub_nc_u32_e32 v2, v1, v2
	ds_write_b64 v1, v[7:8] offset:16
	s_waitcnt lgkmcnt(0)
	s_barrier
	buffer_gl0_inv
	ds_read2st64_b64 v[5:8], v2 offset1:4
	ds_read_b64 v[3:4], v2 offset:4096
	v_add_co_u32 v1, s3, s0, v21
	v_add_co_ci_u32_e64 v2, null, s1, 0, s3
	s_or_b32 s2, s2, exec_lo
	v_add_co_u32 v9, vcc_lo, 0x800, v1
	v_add_co_ci_u32_e64 v10, null, 0, v2, vcc_lo
	s_waitcnt lgkmcnt(1)
	flat_store_dwordx2 v[1:2], v[5:6]
	flat_store_dwordx2 v[9:10], v[7:8]
.LBB1959_242:
	s_and_saveexec_b32 s3, s2
	s_cbranch_execnz .LBB1959_244
; %bb.243:
	s_endpgm
.LBB1959_244:
	v_lshlrev_b32_e32 v0, 3, v0
	v_add_co_u32 v0, s0, s0, v0
	s_waitcnt lgkmcnt(1)
	v_add_co_ci_u32_e64 v1, null, s1, 0, s0
	v_add_co_u32 v0, vcc_lo, 0x1000, v0
	v_add_co_ci_u32_e64 v1, null, 0, v1, vcc_lo
	flat_store_dwordx2 v[0:1], v[3:4]
	s_endpgm
.LBB1959_245:
                                        ; implicit-def: $sgpr16_sgpr17
	s_branch .LBB1959_10
.LBB1959_246:
                                        ; implicit-def: $sgpr0_sgpr1
	s_branch .LBB1959_28
	.section	.rodata,"a",@progbits
	.p2align	6, 0x0
	.amdhsa_kernel _ZN7rocprim17ROCPRIM_400000_NS6detail17trampoline_kernelINS0_14default_configENS1_27scan_by_key_config_selectorIj11FixedVectorIiLj2EEEEZZNS1_16scan_by_key_implILNS1_25lookback_scan_determinismE0ELb0ES3_N6thrust23THRUST_200600_302600_NS6detail15normal_iteratorINSB_10device_ptrIjEEEENSD_INSE_IS6_EEEESI_S6_NSB_4plusIvEENSB_8equal_toIvEES6_EE10hipError_tPvRmT2_T3_T4_T5_mT6_T7_P12ihipStream_tbENKUlT_T0_E_clISt17integral_constantIbLb0EES13_EEDaSY_SZ_EUlSY_E_NS1_11comp_targetILNS1_3genE8ELNS1_11target_archE1030ELNS1_3gpuE2ELNS1_3repE0EEENS1_30default_config_static_selectorELNS0_4arch9wavefront6targetE0EEEvT1_
		.amdhsa_group_segment_fixed_size 6144
		.amdhsa_private_segment_fixed_size 0
		.amdhsa_kernarg_size 120
		.amdhsa_user_sgpr_count 6
		.amdhsa_user_sgpr_private_segment_buffer 1
		.amdhsa_user_sgpr_dispatch_ptr 0
		.amdhsa_user_sgpr_queue_ptr 0
		.amdhsa_user_sgpr_kernarg_segment_ptr 1
		.amdhsa_user_sgpr_dispatch_id 0
		.amdhsa_user_sgpr_flat_scratch_init 0
		.amdhsa_user_sgpr_private_segment_size 0
		.amdhsa_wavefront_size32 1
		.amdhsa_uses_dynamic_stack 0
		.amdhsa_system_sgpr_private_segment_wavefront_offset 0
		.amdhsa_system_sgpr_workgroup_id_x 1
		.amdhsa_system_sgpr_workgroup_id_y 0
		.amdhsa_system_sgpr_workgroup_id_z 0
		.amdhsa_system_sgpr_workgroup_info 0
		.amdhsa_system_vgpr_workitem_id 0
		.amdhsa_next_free_vgpr 50
		.amdhsa_next_free_sgpr 32
		.amdhsa_reserve_vcc 1
		.amdhsa_reserve_flat_scratch 1
		.amdhsa_float_round_mode_32 0
		.amdhsa_float_round_mode_16_64 0
		.amdhsa_float_denorm_mode_32 3
		.amdhsa_float_denorm_mode_16_64 3
		.amdhsa_dx10_clamp 1
		.amdhsa_ieee_mode 1
		.amdhsa_fp16_overflow 0
		.amdhsa_workgroup_processor_mode 1
		.amdhsa_memory_ordered 1
		.amdhsa_forward_progress 1
		.amdhsa_shared_vgpr_count 0
		.amdhsa_exception_fp_ieee_invalid_op 0
		.amdhsa_exception_fp_denorm_src 0
		.amdhsa_exception_fp_ieee_div_zero 0
		.amdhsa_exception_fp_ieee_overflow 0
		.amdhsa_exception_fp_ieee_underflow 0
		.amdhsa_exception_fp_ieee_inexact 0
		.amdhsa_exception_int_div_zero 0
	.end_amdhsa_kernel
	.section	.text._ZN7rocprim17ROCPRIM_400000_NS6detail17trampoline_kernelINS0_14default_configENS1_27scan_by_key_config_selectorIj11FixedVectorIiLj2EEEEZZNS1_16scan_by_key_implILNS1_25lookback_scan_determinismE0ELb0ES3_N6thrust23THRUST_200600_302600_NS6detail15normal_iteratorINSB_10device_ptrIjEEEENSD_INSE_IS6_EEEESI_S6_NSB_4plusIvEENSB_8equal_toIvEES6_EE10hipError_tPvRmT2_T3_T4_T5_mT6_T7_P12ihipStream_tbENKUlT_T0_E_clISt17integral_constantIbLb0EES13_EEDaSY_SZ_EUlSY_E_NS1_11comp_targetILNS1_3genE8ELNS1_11target_archE1030ELNS1_3gpuE2ELNS1_3repE0EEENS1_30default_config_static_selectorELNS0_4arch9wavefront6targetE0EEEvT1_,"axG",@progbits,_ZN7rocprim17ROCPRIM_400000_NS6detail17trampoline_kernelINS0_14default_configENS1_27scan_by_key_config_selectorIj11FixedVectorIiLj2EEEEZZNS1_16scan_by_key_implILNS1_25lookback_scan_determinismE0ELb0ES3_N6thrust23THRUST_200600_302600_NS6detail15normal_iteratorINSB_10device_ptrIjEEEENSD_INSE_IS6_EEEESI_S6_NSB_4plusIvEENSB_8equal_toIvEES6_EE10hipError_tPvRmT2_T3_T4_T5_mT6_T7_P12ihipStream_tbENKUlT_T0_E_clISt17integral_constantIbLb0EES13_EEDaSY_SZ_EUlSY_E_NS1_11comp_targetILNS1_3genE8ELNS1_11target_archE1030ELNS1_3gpuE2ELNS1_3repE0EEENS1_30default_config_static_selectorELNS0_4arch9wavefront6targetE0EEEvT1_,comdat
.Lfunc_end1959:
	.size	_ZN7rocprim17ROCPRIM_400000_NS6detail17trampoline_kernelINS0_14default_configENS1_27scan_by_key_config_selectorIj11FixedVectorIiLj2EEEEZZNS1_16scan_by_key_implILNS1_25lookback_scan_determinismE0ELb0ES3_N6thrust23THRUST_200600_302600_NS6detail15normal_iteratorINSB_10device_ptrIjEEEENSD_INSE_IS6_EEEESI_S6_NSB_4plusIvEENSB_8equal_toIvEES6_EE10hipError_tPvRmT2_T3_T4_T5_mT6_T7_P12ihipStream_tbENKUlT_T0_E_clISt17integral_constantIbLb0EES13_EEDaSY_SZ_EUlSY_E_NS1_11comp_targetILNS1_3genE8ELNS1_11target_archE1030ELNS1_3gpuE2ELNS1_3repE0EEENS1_30default_config_static_selectorELNS0_4arch9wavefront6targetE0EEEvT1_, .Lfunc_end1959-_ZN7rocprim17ROCPRIM_400000_NS6detail17trampoline_kernelINS0_14default_configENS1_27scan_by_key_config_selectorIj11FixedVectorIiLj2EEEEZZNS1_16scan_by_key_implILNS1_25lookback_scan_determinismE0ELb0ES3_N6thrust23THRUST_200600_302600_NS6detail15normal_iteratorINSB_10device_ptrIjEEEENSD_INSE_IS6_EEEESI_S6_NSB_4plusIvEENSB_8equal_toIvEES6_EE10hipError_tPvRmT2_T3_T4_T5_mT6_T7_P12ihipStream_tbENKUlT_T0_E_clISt17integral_constantIbLb0EES13_EEDaSY_SZ_EUlSY_E_NS1_11comp_targetILNS1_3genE8ELNS1_11target_archE1030ELNS1_3gpuE2ELNS1_3repE0EEENS1_30default_config_static_selectorELNS0_4arch9wavefront6targetE0EEEvT1_
                                        ; -- End function
	.set _ZN7rocprim17ROCPRIM_400000_NS6detail17trampoline_kernelINS0_14default_configENS1_27scan_by_key_config_selectorIj11FixedVectorIiLj2EEEEZZNS1_16scan_by_key_implILNS1_25lookback_scan_determinismE0ELb0ES3_N6thrust23THRUST_200600_302600_NS6detail15normal_iteratorINSB_10device_ptrIjEEEENSD_INSE_IS6_EEEESI_S6_NSB_4plusIvEENSB_8equal_toIvEES6_EE10hipError_tPvRmT2_T3_T4_T5_mT6_T7_P12ihipStream_tbENKUlT_T0_E_clISt17integral_constantIbLb0EES13_EEDaSY_SZ_EUlSY_E_NS1_11comp_targetILNS1_3genE8ELNS1_11target_archE1030ELNS1_3gpuE2ELNS1_3repE0EEENS1_30default_config_static_selectorELNS0_4arch9wavefront6targetE0EEEvT1_.num_vgpr, 50
	.set _ZN7rocprim17ROCPRIM_400000_NS6detail17trampoline_kernelINS0_14default_configENS1_27scan_by_key_config_selectorIj11FixedVectorIiLj2EEEEZZNS1_16scan_by_key_implILNS1_25lookback_scan_determinismE0ELb0ES3_N6thrust23THRUST_200600_302600_NS6detail15normal_iteratorINSB_10device_ptrIjEEEENSD_INSE_IS6_EEEESI_S6_NSB_4plusIvEENSB_8equal_toIvEES6_EE10hipError_tPvRmT2_T3_T4_T5_mT6_T7_P12ihipStream_tbENKUlT_T0_E_clISt17integral_constantIbLb0EES13_EEDaSY_SZ_EUlSY_E_NS1_11comp_targetILNS1_3genE8ELNS1_11target_archE1030ELNS1_3gpuE2ELNS1_3repE0EEENS1_30default_config_static_selectorELNS0_4arch9wavefront6targetE0EEEvT1_.num_agpr, 0
	.set _ZN7rocprim17ROCPRIM_400000_NS6detail17trampoline_kernelINS0_14default_configENS1_27scan_by_key_config_selectorIj11FixedVectorIiLj2EEEEZZNS1_16scan_by_key_implILNS1_25lookback_scan_determinismE0ELb0ES3_N6thrust23THRUST_200600_302600_NS6detail15normal_iteratorINSB_10device_ptrIjEEEENSD_INSE_IS6_EEEESI_S6_NSB_4plusIvEENSB_8equal_toIvEES6_EE10hipError_tPvRmT2_T3_T4_T5_mT6_T7_P12ihipStream_tbENKUlT_T0_E_clISt17integral_constantIbLb0EES13_EEDaSY_SZ_EUlSY_E_NS1_11comp_targetILNS1_3genE8ELNS1_11target_archE1030ELNS1_3gpuE2ELNS1_3repE0EEENS1_30default_config_static_selectorELNS0_4arch9wavefront6targetE0EEEvT1_.numbered_sgpr, 32
	.set _ZN7rocprim17ROCPRIM_400000_NS6detail17trampoline_kernelINS0_14default_configENS1_27scan_by_key_config_selectorIj11FixedVectorIiLj2EEEEZZNS1_16scan_by_key_implILNS1_25lookback_scan_determinismE0ELb0ES3_N6thrust23THRUST_200600_302600_NS6detail15normal_iteratorINSB_10device_ptrIjEEEENSD_INSE_IS6_EEEESI_S6_NSB_4plusIvEENSB_8equal_toIvEES6_EE10hipError_tPvRmT2_T3_T4_T5_mT6_T7_P12ihipStream_tbENKUlT_T0_E_clISt17integral_constantIbLb0EES13_EEDaSY_SZ_EUlSY_E_NS1_11comp_targetILNS1_3genE8ELNS1_11target_archE1030ELNS1_3gpuE2ELNS1_3repE0EEENS1_30default_config_static_selectorELNS0_4arch9wavefront6targetE0EEEvT1_.num_named_barrier, 0
	.set _ZN7rocprim17ROCPRIM_400000_NS6detail17trampoline_kernelINS0_14default_configENS1_27scan_by_key_config_selectorIj11FixedVectorIiLj2EEEEZZNS1_16scan_by_key_implILNS1_25lookback_scan_determinismE0ELb0ES3_N6thrust23THRUST_200600_302600_NS6detail15normal_iteratorINSB_10device_ptrIjEEEENSD_INSE_IS6_EEEESI_S6_NSB_4plusIvEENSB_8equal_toIvEES6_EE10hipError_tPvRmT2_T3_T4_T5_mT6_T7_P12ihipStream_tbENKUlT_T0_E_clISt17integral_constantIbLb0EES13_EEDaSY_SZ_EUlSY_E_NS1_11comp_targetILNS1_3genE8ELNS1_11target_archE1030ELNS1_3gpuE2ELNS1_3repE0EEENS1_30default_config_static_selectorELNS0_4arch9wavefront6targetE0EEEvT1_.private_seg_size, 0
	.set _ZN7rocprim17ROCPRIM_400000_NS6detail17trampoline_kernelINS0_14default_configENS1_27scan_by_key_config_selectorIj11FixedVectorIiLj2EEEEZZNS1_16scan_by_key_implILNS1_25lookback_scan_determinismE0ELb0ES3_N6thrust23THRUST_200600_302600_NS6detail15normal_iteratorINSB_10device_ptrIjEEEENSD_INSE_IS6_EEEESI_S6_NSB_4plusIvEENSB_8equal_toIvEES6_EE10hipError_tPvRmT2_T3_T4_T5_mT6_T7_P12ihipStream_tbENKUlT_T0_E_clISt17integral_constantIbLb0EES13_EEDaSY_SZ_EUlSY_E_NS1_11comp_targetILNS1_3genE8ELNS1_11target_archE1030ELNS1_3gpuE2ELNS1_3repE0EEENS1_30default_config_static_selectorELNS0_4arch9wavefront6targetE0EEEvT1_.uses_vcc, 1
	.set _ZN7rocprim17ROCPRIM_400000_NS6detail17trampoline_kernelINS0_14default_configENS1_27scan_by_key_config_selectorIj11FixedVectorIiLj2EEEEZZNS1_16scan_by_key_implILNS1_25lookback_scan_determinismE0ELb0ES3_N6thrust23THRUST_200600_302600_NS6detail15normal_iteratorINSB_10device_ptrIjEEEENSD_INSE_IS6_EEEESI_S6_NSB_4plusIvEENSB_8equal_toIvEES6_EE10hipError_tPvRmT2_T3_T4_T5_mT6_T7_P12ihipStream_tbENKUlT_T0_E_clISt17integral_constantIbLb0EES13_EEDaSY_SZ_EUlSY_E_NS1_11comp_targetILNS1_3genE8ELNS1_11target_archE1030ELNS1_3gpuE2ELNS1_3repE0EEENS1_30default_config_static_selectorELNS0_4arch9wavefront6targetE0EEEvT1_.uses_flat_scratch, 1
	.set _ZN7rocprim17ROCPRIM_400000_NS6detail17trampoline_kernelINS0_14default_configENS1_27scan_by_key_config_selectorIj11FixedVectorIiLj2EEEEZZNS1_16scan_by_key_implILNS1_25lookback_scan_determinismE0ELb0ES3_N6thrust23THRUST_200600_302600_NS6detail15normal_iteratorINSB_10device_ptrIjEEEENSD_INSE_IS6_EEEESI_S6_NSB_4plusIvEENSB_8equal_toIvEES6_EE10hipError_tPvRmT2_T3_T4_T5_mT6_T7_P12ihipStream_tbENKUlT_T0_E_clISt17integral_constantIbLb0EES13_EEDaSY_SZ_EUlSY_E_NS1_11comp_targetILNS1_3genE8ELNS1_11target_archE1030ELNS1_3gpuE2ELNS1_3repE0EEENS1_30default_config_static_selectorELNS0_4arch9wavefront6targetE0EEEvT1_.has_dyn_sized_stack, 0
	.set _ZN7rocprim17ROCPRIM_400000_NS6detail17trampoline_kernelINS0_14default_configENS1_27scan_by_key_config_selectorIj11FixedVectorIiLj2EEEEZZNS1_16scan_by_key_implILNS1_25lookback_scan_determinismE0ELb0ES3_N6thrust23THRUST_200600_302600_NS6detail15normal_iteratorINSB_10device_ptrIjEEEENSD_INSE_IS6_EEEESI_S6_NSB_4plusIvEENSB_8equal_toIvEES6_EE10hipError_tPvRmT2_T3_T4_T5_mT6_T7_P12ihipStream_tbENKUlT_T0_E_clISt17integral_constantIbLb0EES13_EEDaSY_SZ_EUlSY_E_NS1_11comp_targetILNS1_3genE8ELNS1_11target_archE1030ELNS1_3gpuE2ELNS1_3repE0EEENS1_30default_config_static_selectorELNS0_4arch9wavefront6targetE0EEEvT1_.has_recursion, 0
	.set _ZN7rocprim17ROCPRIM_400000_NS6detail17trampoline_kernelINS0_14default_configENS1_27scan_by_key_config_selectorIj11FixedVectorIiLj2EEEEZZNS1_16scan_by_key_implILNS1_25lookback_scan_determinismE0ELb0ES3_N6thrust23THRUST_200600_302600_NS6detail15normal_iteratorINSB_10device_ptrIjEEEENSD_INSE_IS6_EEEESI_S6_NSB_4plusIvEENSB_8equal_toIvEES6_EE10hipError_tPvRmT2_T3_T4_T5_mT6_T7_P12ihipStream_tbENKUlT_T0_E_clISt17integral_constantIbLb0EES13_EEDaSY_SZ_EUlSY_E_NS1_11comp_targetILNS1_3genE8ELNS1_11target_archE1030ELNS1_3gpuE2ELNS1_3repE0EEENS1_30default_config_static_selectorELNS0_4arch9wavefront6targetE0EEEvT1_.has_indirect_call, 0
	.section	.AMDGPU.csdata,"",@progbits
; Kernel info:
; codeLenInByte = 7356
; TotalNumSgprs: 34
; NumVgprs: 50
; ScratchSize: 0
; MemoryBound: 0
; FloatMode: 240
; IeeeMode: 1
; LDSByteSize: 6144 bytes/workgroup (compile time only)
; SGPRBlocks: 0
; VGPRBlocks: 6
; NumSGPRsForWavesPerEU: 34
; NumVGPRsForWavesPerEU: 50
; Occupancy: 16
; WaveLimiterHint : 1
; COMPUTE_PGM_RSRC2:SCRATCH_EN: 0
; COMPUTE_PGM_RSRC2:USER_SGPR: 6
; COMPUTE_PGM_RSRC2:TRAP_HANDLER: 0
; COMPUTE_PGM_RSRC2:TGID_X_EN: 1
; COMPUTE_PGM_RSRC2:TGID_Y_EN: 0
; COMPUTE_PGM_RSRC2:TGID_Z_EN: 0
; COMPUTE_PGM_RSRC2:TIDIG_COMP_CNT: 0
	.section	.text._ZN7rocprim17ROCPRIM_400000_NS6detail30init_device_scan_by_key_kernelINS1_19lookback_scan_stateINS0_5tupleIJ11FixedVectorIiLj2EEbEEELb1ELb1EEEN6thrust23THRUST_200600_302600_NS6detail15normal_iteratorINSA_10device_ptrIjEEEEjNS1_16block_id_wrapperIjLb1EEEEEvT_jjPNSI_10value_typeET0_PNSt15iterator_traitsISL_E10value_typeEmT1_T2_,"axG",@progbits,_ZN7rocprim17ROCPRIM_400000_NS6detail30init_device_scan_by_key_kernelINS1_19lookback_scan_stateINS0_5tupleIJ11FixedVectorIiLj2EEbEEELb1ELb1EEEN6thrust23THRUST_200600_302600_NS6detail15normal_iteratorINSA_10device_ptrIjEEEEjNS1_16block_id_wrapperIjLb1EEEEEvT_jjPNSI_10value_typeET0_PNSt15iterator_traitsISL_E10value_typeEmT1_T2_,comdat
	.protected	_ZN7rocprim17ROCPRIM_400000_NS6detail30init_device_scan_by_key_kernelINS1_19lookback_scan_stateINS0_5tupleIJ11FixedVectorIiLj2EEbEEELb1ELb1EEEN6thrust23THRUST_200600_302600_NS6detail15normal_iteratorINSA_10device_ptrIjEEEEjNS1_16block_id_wrapperIjLb1EEEEEvT_jjPNSI_10value_typeET0_PNSt15iterator_traitsISL_E10value_typeEmT1_T2_ ; -- Begin function _ZN7rocprim17ROCPRIM_400000_NS6detail30init_device_scan_by_key_kernelINS1_19lookback_scan_stateINS0_5tupleIJ11FixedVectorIiLj2EEbEEELb1ELb1EEEN6thrust23THRUST_200600_302600_NS6detail15normal_iteratorINSA_10device_ptrIjEEEEjNS1_16block_id_wrapperIjLb1EEEEEvT_jjPNSI_10value_typeET0_PNSt15iterator_traitsISL_E10value_typeEmT1_T2_
	.globl	_ZN7rocprim17ROCPRIM_400000_NS6detail30init_device_scan_by_key_kernelINS1_19lookback_scan_stateINS0_5tupleIJ11FixedVectorIiLj2EEbEEELb1ELb1EEEN6thrust23THRUST_200600_302600_NS6detail15normal_iteratorINSA_10device_ptrIjEEEEjNS1_16block_id_wrapperIjLb1EEEEEvT_jjPNSI_10value_typeET0_PNSt15iterator_traitsISL_E10value_typeEmT1_T2_
	.p2align	8
	.type	_ZN7rocprim17ROCPRIM_400000_NS6detail30init_device_scan_by_key_kernelINS1_19lookback_scan_stateINS0_5tupleIJ11FixedVectorIiLj2EEbEEELb1ELb1EEEN6thrust23THRUST_200600_302600_NS6detail15normal_iteratorINSA_10device_ptrIjEEEEjNS1_16block_id_wrapperIjLb1EEEEEvT_jjPNSI_10value_typeET0_PNSt15iterator_traitsISL_E10value_typeEmT1_T2_,@function
_ZN7rocprim17ROCPRIM_400000_NS6detail30init_device_scan_by_key_kernelINS1_19lookback_scan_stateINS0_5tupleIJ11FixedVectorIiLj2EEbEEELb1ELb1EEEN6thrust23THRUST_200600_302600_NS6detail15normal_iteratorINSA_10device_ptrIjEEEEjNS1_16block_id_wrapperIjLb1EEEEEvT_jjPNSI_10value_typeET0_PNSt15iterator_traitsISL_E10value_typeEmT1_T2_: ; @_ZN7rocprim17ROCPRIM_400000_NS6detail30init_device_scan_by_key_kernelINS1_19lookback_scan_stateINS0_5tupleIJ11FixedVectorIiLj2EEbEEELb1ELb1EEEN6thrust23THRUST_200600_302600_NS6detail15normal_iteratorINSA_10device_ptrIjEEEEjNS1_16block_id_wrapperIjLb1EEEEEvT_jjPNSI_10value_typeET0_PNSt15iterator_traitsISL_E10value_typeEmT1_T2_
; %bb.0:
	s_clause 0x2
	s_load_dword s0, s[4:5], 0x4c
	s_load_dwordx8 s[8:15], s[4:5], 0x0
	s_load_dword s7, s[4:5], 0x40
	s_waitcnt lgkmcnt(0)
	s_and_b32 s16, s0, 0xffff
	s_cmp_eq_u64 s[12:13], 0
	v_mad_u64_u32 v[4:5], null, s6, s16, v[0:1]
	s_cbranch_scc1 .LBB1960_10
; %bb.1:
	s_cmp_lt_u32 s11, s10
	s_mov_b32 s1, 0
	s_cselect_b32 s0, s11, 0
	s_mov_b32 s2, exec_lo
	v_cmpx_eq_u32_e64 s0, v4
	s_cbranch_execz .LBB1960_9
; %bb.2:
	s_add_i32 s0, s11, 32
	v_mov_b32_e32 v5, 0
	s_lshl_b64 s[0:1], s[0:1], 4
	s_mov_b32 s3, exec_lo
	s_add_u32 s0, s8, s0
	s_addc_u32 s1, s9, s1
	v_mov_b32_e32 v0, s0
	v_mov_b32_e32 v1, s1
	;;#ASMSTART
	global_load_dwordx4 v[0:3], v[0:1] off glc dlc	
s_waitcnt vmcnt(0)
	;;#ASMEND
	v_and_b32_e32 v6, 0xff, v3
	v_cmpx_eq_u64_e32 0, v[5:6]
	s_cbranch_execz .LBB1960_8
; %bb.3:
	v_mov_b32_e32 v8, s1
	v_mov_b32_e32 v7, s0
	s_mov_b32 s1, 1
	s_mov_b32 s0, 0
	.p2align	6
.LBB1960_4:                             ; =>This Loop Header: Depth=1
                                        ;     Child Loop BB1960_5 Depth 2
	s_mov_b32 s6, s1
.LBB1960_5:                             ;   Parent Loop BB1960_4 Depth=1
                                        ; =>  This Inner Loop Header: Depth=2
	s_add_i32 s6, s6, -1
	s_sleep 1
	s_cmp_eq_u32 s6, 0
	s_cbranch_scc0 .LBB1960_5
; %bb.6:                                ;   in Loop: Header=BB1960_4 Depth=1
	;;#ASMSTART
	global_load_dwordx4 v[0:3], v[7:8] off glc dlc	
s_waitcnt vmcnt(0)
	;;#ASMEND
	v_and_b32_e32 v6, 0xff, v3
	s_cmp_lt_u32 s1, 32
	s_cselect_b32 s6, -1, 0
	v_cmp_ne_u64_e32 vcc_lo, 0, v[5:6]
	s_cmp_lg_u32 s6, 0
	s_addc_u32 s1, s1, 0
	s_or_b32 s0, vcc_lo, s0
	s_andn2_b32 exec_lo, exec_lo, s0
	s_cbranch_execnz .LBB1960_4
; %bb.7:
	s_or_b32 exec_lo, exec_lo, s0
.LBB1960_8:
	s_or_b32 exec_lo, exec_lo, s3
	v_mov_b32_e32 v3, 0
	global_store_dwordx2 v3, v[0:1], s[12:13]
	global_store_byte v3, v2, s[12:13] offset:8
.LBB1960_9:
	s_or_b32 exec_lo, exec_lo, s2
.LBB1960_10:
	s_mov_b32 s0, exec_lo
	v_cmpx_eq_u32_e32 0, v4
	s_cbranch_execz .LBB1960_12
; %bb.11:
	s_load_dwordx2 s[2:3], s[4:5], 0x38
	v_mov_b32_e32 v0, 0
	s_waitcnt lgkmcnt(0)
	global_store_dword v0, v0, s[2:3]
.LBB1960_12:
	s_or_b32 exec_lo, exec_lo, s0
	s_mov_b32 s0, exec_lo
	v_cmpx_gt_u32_e64 s10, v4
	s_cbranch_execz .LBB1960_14
; %bb.13:
	v_add_nc_u32_e32 v0, 32, v4
	v_mov_b32_e32 v1, 0
	v_lshlrev_b64 v[5:6], 4, v[0:1]
	v_mov_b32_e32 v0, v1
	v_mov_b32_e32 v2, v1
	;; [unrolled: 1-line block ×3, first 2 shown]
	v_add_co_u32 v5, vcc_lo, s8, v5
	v_add_co_ci_u32_e64 v6, null, s9, v6, vcc_lo
	global_store_dwordx4 v[5:6], v[0:3], off
.LBB1960_14:
	s_or_b32 exec_lo, exec_lo, s0
	v_mov_b32_e32 v5, 0
	s_mov_b32 s0, exec_lo
	v_cmpx_lt_u32_e32 31, v4
	s_xor_b32 s0, exec_lo, s0
	s_andn2_saveexec_b32 s0, s0
	s_cbranch_execz .LBB1960_16
; %bb.15:
	v_lshlrev_b64 v[1:2], 4, v[4:5]
	v_mov_b32_e32 v0, 0
	v_mov_b32_e32 v3, 0xff
	v_add_co_u32 v6, vcc_lo, s8, v1
	v_add_co_ci_u32_e64 v7, null, s9, v2, vcc_lo
	v_mov_b32_e32 v1, v0
	v_mov_b32_e32 v2, v0
	global_store_dwordx4 v[6:7], v[0:3], off
.LBB1960_16:
	s_or_b32 exec_lo, exec_lo, s0
	s_load_dwordx2 s[2:3], s[4:5], 0x28
	s_mov_b32 s0, exec_lo
	s_waitcnt lgkmcnt(0)
	v_cmpx_gt_u64_e64 s[2:3], v[4:5]
	s_cbranch_execz .LBB1960_19
; %bb.17:
	s_clause 0x1
	s_load_dword s6, s[4:5], 0x30
	s_load_dwordx2 s[8:9], s[4:5], 0x20
	s_mov_b32 s1, 0
	v_lshlrev_b64 v[2:3], 2, v[4:5]
	s_mul_i32 s4, s7, s16
	s_waitcnt lgkmcnt(0)
	v_mad_u64_u32 v[0:1], null, v4, s6, 0
	s_add_i32 s0, s6, -1
	s_mul_hi_u32 s7, s6, s4
	s_lshl_b64 s[10:11], s[0:1], 2
	s_mul_i32 s6, s6, s4
	s_add_u32 s0, s14, s10
	s_addc_u32 s5, s15, s11
	v_lshlrev_b64 v[0:1], 2, v[0:1]
	s_lshl_b64 s[6:7], s[6:7], 2
	v_add_co_u32 v0, vcc_lo, s0, v0
	v_add_co_ci_u32_e64 v1, null, s5, v1, vcc_lo
	v_add_co_u32 v2, vcc_lo, s8, v2
	v_add_co_ci_u32_e64 v3, null, s9, v3, vcc_lo
	s_mov_b32 s5, s1
	s_lshl_b64 s[8:9], s[4:5], 2
	.p2align	6
.LBB1960_18:                            ; =>This Inner Loop Header: Depth=1
	global_load_dword v6, v[0:1], off
	v_add_co_u32 v4, vcc_lo, v4, s4
	v_add_co_ci_u32_e64 v5, null, 0, v5, vcc_lo
	v_add_co_u32 v0, vcc_lo, v0, s6
	v_add_co_ci_u32_e64 v1, null, s7, v1, vcc_lo
	v_cmp_le_u64_e32 vcc_lo, s[2:3], v[4:5]
	s_or_b32 s1, vcc_lo, s1
	s_waitcnt vmcnt(0)
	global_store_dword v[2:3], v6, off
	v_add_co_u32 v2, s0, v2, s8
	v_add_co_ci_u32_e64 v3, null, s9, v3, s0
	s_andn2_b32 exec_lo, exec_lo, s1
	s_cbranch_execnz .LBB1960_18
.LBB1960_19:
	s_endpgm
	.section	.rodata,"a",@progbits
	.p2align	6, 0x0
	.amdhsa_kernel _ZN7rocprim17ROCPRIM_400000_NS6detail30init_device_scan_by_key_kernelINS1_19lookback_scan_stateINS0_5tupleIJ11FixedVectorIiLj2EEbEEELb1ELb1EEEN6thrust23THRUST_200600_302600_NS6detail15normal_iteratorINSA_10device_ptrIjEEEEjNS1_16block_id_wrapperIjLb1EEEEEvT_jjPNSI_10value_typeET0_PNSt15iterator_traitsISL_E10value_typeEmT1_T2_
		.amdhsa_group_segment_fixed_size 0
		.amdhsa_private_segment_fixed_size 0
		.amdhsa_kernarg_size 320
		.amdhsa_user_sgpr_count 6
		.amdhsa_user_sgpr_private_segment_buffer 1
		.amdhsa_user_sgpr_dispatch_ptr 0
		.amdhsa_user_sgpr_queue_ptr 0
		.amdhsa_user_sgpr_kernarg_segment_ptr 1
		.amdhsa_user_sgpr_dispatch_id 0
		.amdhsa_user_sgpr_flat_scratch_init 0
		.amdhsa_user_sgpr_private_segment_size 0
		.amdhsa_wavefront_size32 1
		.amdhsa_uses_dynamic_stack 0
		.amdhsa_system_sgpr_private_segment_wavefront_offset 0
		.amdhsa_system_sgpr_workgroup_id_x 1
		.amdhsa_system_sgpr_workgroup_id_y 0
		.amdhsa_system_sgpr_workgroup_id_z 0
		.amdhsa_system_sgpr_workgroup_info 0
		.amdhsa_system_vgpr_workitem_id 0
		.amdhsa_next_free_vgpr 9
		.amdhsa_next_free_sgpr 17
		.amdhsa_reserve_vcc 1
		.amdhsa_reserve_flat_scratch 0
		.amdhsa_float_round_mode_32 0
		.amdhsa_float_round_mode_16_64 0
		.amdhsa_float_denorm_mode_32 3
		.amdhsa_float_denorm_mode_16_64 3
		.amdhsa_dx10_clamp 1
		.amdhsa_ieee_mode 1
		.amdhsa_fp16_overflow 0
		.amdhsa_workgroup_processor_mode 1
		.amdhsa_memory_ordered 1
		.amdhsa_forward_progress 1
		.amdhsa_shared_vgpr_count 0
		.amdhsa_exception_fp_ieee_invalid_op 0
		.amdhsa_exception_fp_denorm_src 0
		.amdhsa_exception_fp_ieee_div_zero 0
		.amdhsa_exception_fp_ieee_overflow 0
		.amdhsa_exception_fp_ieee_underflow 0
		.amdhsa_exception_fp_ieee_inexact 0
		.amdhsa_exception_int_div_zero 0
	.end_amdhsa_kernel
	.section	.text._ZN7rocprim17ROCPRIM_400000_NS6detail30init_device_scan_by_key_kernelINS1_19lookback_scan_stateINS0_5tupleIJ11FixedVectorIiLj2EEbEEELb1ELb1EEEN6thrust23THRUST_200600_302600_NS6detail15normal_iteratorINSA_10device_ptrIjEEEEjNS1_16block_id_wrapperIjLb1EEEEEvT_jjPNSI_10value_typeET0_PNSt15iterator_traitsISL_E10value_typeEmT1_T2_,"axG",@progbits,_ZN7rocprim17ROCPRIM_400000_NS6detail30init_device_scan_by_key_kernelINS1_19lookback_scan_stateINS0_5tupleIJ11FixedVectorIiLj2EEbEEELb1ELb1EEEN6thrust23THRUST_200600_302600_NS6detail15normal_iteratorINSA_10device_ptrIjEEEEjNS1_16block_id_wrapperIjLb1EEEEEvT_jjPNSI_10value_typeET0_PNSt15iterator_traitsISL_E10value_typeEmT1_T2_,comdat
.Lfunc_end1960:
	.size	_ZN7rocprim17ROCPRIM_400000_NS6detail30init_device_scan_by_key_kernelINS1_19lookback_scan_stateINS0_5tupleIJ11FixedVectorIiLj2EEbEEELb1ELb1EEEN6thrust23THRUST_200600_302600_NS6detail15normal_iteratorINSA_10device_ptrIjEEEEjNS1_16block_id_wrapperIjLb1EEEEEvT_jjPNSI_10value_typeET0_PNSt15iterator_traitsISL_E10value_typeEmT1_T2_, .Lfunc_end1960-_ZN7rocprim17ROCPRIM_400000_NS6detail30init_device_scan_by_key_kernelINS1_19lookback_scan_stateINS0_5tupleIJ11FixedVectorIiLj2EEbEEELb1ELb1EEEN6thrust23THRUST_200600_302600_NS6detail15normal_iteratorINSA_10device_ptrIjEEEEjNS1_16block_id_wrapperIjLb1EEEEEvT_jjPNSI_10value_typeET0_PNSt15iterator_traitsISL_E10value_typeEmT1_T2_
                                        ; -- End function
	.set _ZN7rocprim17ROCPRIM_400000_NS6detail30init_device_scan_by_key_kernelINS1_19lookback_scan_stateINS0_5tupleIJ11FixedVectorIiLj2EEbEEELb1ELb1EEEN6thrust23THRUST_200600_302600_NS6detail15normal_iteratorINSA_10device_ptrIjEEEEjNS1_16block_id_wrapperIjLb1EEEEEvT_jjPNSI_10value_typeET0_PNSt15iterator_traitsISL_E10value_typeEmT1_T2_.num_vgpr, 9
	.set _ZN7rocprim17ROCPRIM_400000_NS6detail30init_device_scan_by_key_kernelINS1_19lookback_scan_stateINS0_5tupleIJ11FixedVectorIiLj2EEbEEELb1ELb1EEEN6thrust23THRUST_200600_302600_NS6detail15normal_iteratorINSA_10device_ptrIjEEEEjNS1_16block_id_wrapperIjLb1EEEEEvT_jjPNSI_10value_typeET0_PNSt15iterator_traitsISL_E10value_typeEmT1_T2_.num_agpr, 0
	.set _ZN7rocprim17ROCPRIM_400000_NS6detail30init_device_scan_by_key_kernelINS1_19lookback_scan_stateINS0_5tupleIJ11FixedVectorIiLj2EEbEEELb1ELb1EEEN6thrust23THRUST_200600_302600_NS6detail15normal_iteratorINSA_10device_ptrIjEEEEjNS1_16block_id_wrapperIjLb1EEEEEvT_jjPNSI_10value_typeET0_PNSt15iterator_traitsISL_E10value_typeEmT1_T2_.numbered_sgpr, 17
	.set _ZN7rocprim17ROCPRIM_400000_NS6detail30init_device_scan_by_key_kernelINS1_19lookback_scan_stateINS0_5tupleIJ11FixedVectorIiLj2EEbEEELb1ELb1EEEN6thrust23THRUST_200600_302600_NS6detail15normal_iteratorINSA_10device_ptrIjEEEEjNS1_16block_id_wrapperIjLb1EEEEEvT_jjPNSI_10value_typeET0_PNSt15iterator_traitsISL_E10value_typeEmT1_T2_.num_named_barrier, 0
	.set _ZN7rocprim17ROCPRIM_400000_NS6detail30init_device_scan_by_key_kernelINS1_19lookback_scan_stateINS0_5tupleIJ11FixedVectorIiLj2EEbEEELb1ELb1EEEN6thrust23THRUST_200600_302600_NS6detail15normal_iteratorINSA_10device_ptrIjEEEEjNS1_16block_id_wrapperIjLb1EEEEEvT_jjPNSI_10value_typeET0_PNSt15iterator_traitsISL_E10value_typeEmT1_T2_.private_seg_size, 0
	.set _ZN7rocprim17ROCPRIM_400000_NS6detail30init_device_scan_by_key_kernelINS1_19lookback_scan_stateINS0_5tupleIJ11FixedVectorIiLj2EEbEEELb1ELb1EEEN6thrust23THRUST_200600_302600_NS6detail15normal_iteratorINSA_10device_ptrIjEEEEjNS1_16block_id_wrapperIjLb1EEEEEvT_jjPNSI_10value_typeET0_PNSt15iterator_traitsISL_E10value_typeEmT1_T2_.uses_vcc, 1
	.set _ZN7rocprim17ROCPRIM_400000_NS6detail30init_device_scan_by_key_kernelINS1_19lookback_scan_stateINS0_5tupleIJ11FixedVectorIiLj2EEbEEELb1ELb1EEEN6thrust23THRUST_200600_302600_NS6detail15normal_iteratorINSA_10device_ptrIjEEEEjNS1_16block_id_wrapperIjLb1EEEEEvT_jjPNSI_10value_typeET0_PNSt15iterator_traitsISL_E10value_typeEmT1_T2_.uses_flat_scratch, 0
	.set _ZN7rocprim17ROCPRIM_400000_NS6detail30init_device_scan_by_key_kernelINS1_19lookback_scan_stateINS0_5tupleIJ11FixedVectorIiLj2EEbEEELb1ELb1EEEN6thrust23THRUST_200600_302600_NS6detail15normal_iteratorINSA_10device_ptrIjEEEEjNS1_16block_id_wrapperIjLb1EEEEEvT_jjPNSI_10value_typeET0_PNSt15iterator_traitsISL_E10value_typeEmT1_T2_.has_dyn_sized_stack, 0
	.set _ZN7rocprim17ROCPRIM_400000_NS6detail30init_device_scan_by_key_kernelINS1_19lookback_scan_stateINS0_5tupleIJ11FixedVectorIiLj2EEbEEELb1ELb1EEEN6thrust23THRUST_200600_302600_NS6detail15normal_iteratorINSA_10device_ptrIjEEEEjNS1_16block_id_wrapperIjLb1EEEEEvT_jjPNSI_10value_typeET0_PNSt15iterator_traitsISL_E10value_typeEmT1_T2_.has_recursion, 0
	.set _ZN7rocprim17ROCPRIM_400000_NS6detail30init_device_scan_by_key_kernelINS1_19lookback_scan_stateINS0_5tupleIJ11FixedVectorIiLj2EEbEEELb1ELb1EEEN6thrust23THRUST_200600_302600_NS6detail15normal_iteratorINSA_10device_ptrIjEEEEjNS1_16block_id_wrapperIjLb1EEEEEvT_jjPNSI_10value_typeET0_PNSt15iterator_traitsISL_E10value_typeEmT1_T2_.has_indirect_call, 0
	.section	.AMDGPU.csdata,"",@progbits
; Kernel info:
; codeLenInByte = 792
; TotalNumSgprs: 19
; NumVgprs: 9
; ScratchSize: 0
; MemoryBound: 0
; FloatMode: 240
; IeeeMode: 1
; LDSByteSize: 0 bytes/workgroup (compile time only)
; SGPRBlocks: 0
; VGPRBlocks: 1
; NumSGPRsForWavesPerEU: 19
; NumVGPRsForWavesPerEU: 9
; Occupancy: 16
; WaveLimiterHint : 0
; COMPUTE_PGM_RSRC2:SCRATCH_EN: 0
; COMPUTE_PGM_RSRC2:USER_SGPR: 6
; COMPUTE_PGM_RSRC2:TRAP_HANDLER: 0
; COMPUTE_PGM_RSRC2:TGID_X_EN: 1
; COMPUTE_PGM_RSRC2:TGID_Y_EN: 0
; COMPUTE_PGM_RSRC2:TGID_Z_EN: 0
; COMPUTE_PGM_RSRC2:TIDIG_COMP_CNT: 0
	.section	.text._ZN7rocprim17ROCPRIM_400000_NS6detail30init_device_scan_by_key_kernelINS1_19lookback_scan_stateINS0_5tupleIJ11FixedVectorIiLj2EEbEEELb1ELb1EEENS1_16block_id_wrapperIjLb1EEEEEvT_jjPNSB_10value_typeET0_,"axG",@progbits,_ZN7rocprim17ROCPRIM_400000_NS6detail30init_device_scan_by_key_kernelINS1_19lookback_scan_stateINS0_5tupleIJ11FixedVectorIiLj2EEbEEELb1ELb1EEENS1_16block_id_wrapperIjLb1EEEEEvT_jjPNSB_10value_typeET0_,comdat
	.protected	_ZN7rocprim17ROCPRIM_400000_NS6detail30init_device_scan_by_key_kernelINS1_19lookback_scan_stateINS0_5tupleIJ11FixedVectorIiLj2EEbEEELb1ELb1EEENS1_16block_id_wrapperIjLb1EEEEEvT_jjPNSB_10value_typeET0_ ; -- Begin function _ZN7rocprim17ROCPRIM_400000_NS6detail30init_device_scan_by_key_kernelINS1_19lookback_scan_stateINS0_5tupleIJ11FixedVectorIiLj2EEbEEELb1ELb1EEENS1_16block_id_wrapperIjLb1EEEEEvT_jjPNSB_10value_typeET0_
	.globl	_ZN7rocprim17ROCPRIM_400000_NS6detail30init_device_scan_by_key_kernelINS1_19lookback_scan_stateINS0_5tupleIJ11FixedVectorIiLj2EEbEEELb1ELb1EEENS1_16block_id_wrapperIjLb1EEEEEvT_jjPNSB_10value_typeET0_
	.p2align	8
	.type	_ZN7rocprim17ROCPRIM_400000_NS6detail30init_device_scan_by_key_kernelINS1_19lookback_scan_stateINS0_5tupleIJ11FixedVectorIiLj2EEbEEELb1ELb1EEENS1_16block_id_wrapperIjLb1EEEEEvT_jjPNSB_10value_typeET0_,@function
_ZN7rocprim17ROCPRIM_400000_NS6detail30init_device_scan_by_key_kernelINS1_19lookback_scan_stateINS0_5tupleIJ11FixedVectorIiLj2EEbEEELb1ELb1EEENS1_16block_id_wrapperIjLb1EEEEEvT_jjPNSB_10value_typeET0_: ; @_ZN7rocprim17ROCPRIM_400000_NS6detail30init_device_scan_by_key_kernelINS1_19lookback_scan_stateINS0_5tupleIJ11FixedVectorIiLj2EEbEEELb1ELb1EEENS1_16block_id_wrapperIjLb1EEEEEvT_jjPNSB_10value_typeET0_
; %bb.0:
	s_clause 0x1
	s_load_dword s0, s[4:5], 0x2c
	s_load_dwordx8 s[8:15], s[4:5], 0x0
	s_waitcnt lgkmcnt(0)
	s_and_b32 s0, s0, 0xffff
	s_cmp_eq_u64 s[12:13], 0
	v_mad_u64_u32 v[0:1], null, s6, s0, v[0:1]
	s_cbranch_scc1 .LBB1961_10
; %bb.1:
	s_cmp_lt_u32 s11, s10
	s_mov_b32 s1, 0
	s_cselect_b32 s0, s11, 0
	s_mov_b32 s2, exec_lo
	v_cmpx_eq_u32_e64 s0, v0
	s_cbranch_execz .LBB1961_9
; %bb.2:
	s_add_i32 s0, s11, 32
	v_mov_b32_e32 v5, 0
	s_lshl_b64 s[0:1], s[0:1], 4
	s_mov_b32 s3, exec_lo
	s_add_u32 s0, s8, s0
	s_addc_u32 s1, s9, s1
	v_mov_b32_e32 v2, s1
	v_mov_b32_e32 v1, s0
	;;#ASMSTART
	global_load_dwordx4 v[1:4], v[1:2] off glc dlc	
s_waitcnt vmcnt(0)
	;;#ASMEND
	v_and_b32_e32 v6, 0xff, v4
	v_cmpx_eq_u64_e32 0, v[5:6]
	s_cbranch_execz .LBB1961_8
; %bb.3:
	v_mov_b32_e32 v8, s1
	v_mov_b32_e32 v7, s0
	s_mov_b32 s1, 1
	s_mov_b32 s0, 0
	.p2align	6
.LBB1961_4:                             ; =>This Loop Header: Depth=1
                                        ;     Child Loop BB1961_5 Depth 2
	s_mov_b32 s4, s1
.LBB1961_5:                             ;   Parent Loop BB1961_4 Depth=1
                                        ; =>  This Inner Loop Header: Depth=2
	s_add_i32 s4, s4, -1
	s_sleep 1
	s_cmp_eq_u32 s4, 0
	s_cbranch_scc0 .LBB1961_5
; %bb.6:                                ;   in Loop: Header=BB1961_4 Depth=1
	;;#ASMSTART
	global_load_dwordx4 v[1:4], v[7:8] off glc dlc	
s_waitcnt vmcnt(0)
	;;#ASMEND
	v_and_b32_e32 v6, 0xff, v4
	s_cmp_lt_u32 s1, 32
	s_cselect_b32 s4, -1, 0
	v_cmp_ne_u64_e32 vcc_lo, 0, v[5:6]
	s_cmp_lg_u32 s4, 0
	s_addc_u32 s1, s1, 0
	s_or_b32 s0, vcc_lo, s0
	s_andn2_b32 exec_lo, exec_lo, s0
	s_cbranch_execnz .LBB1961_4
; %bb.7:
	s_or_b32 exec_lo, exec_lo, s0
.LBB1961_8:
	s_or_b32 exec_lo, exec_lo, s3
	v_mov_b32_e32 v4, 0
	global_store_dwordx2 v4, v[1:2], s[12:13]
	global_store_byte v4, v3, s[12:13] offset:8
.LBB1961_9:
	s_or_b32 exec_lo, exec_lo, s2
.LBB1961_10:
	s_mov_b32 s0, exec_lo
	v_cmpx_eq_u32_e32 0, v0
	s_cbranch_execz .LBB1961_12
; %bb.11:
	v_mov_b32_e32 v1, 0
	global_store_dword v1, v1, s[14:15]
.LBB1961_12:
	s_or_b32 exec_lo, exec_lo, s0
	s_mov_b32 s0, exec_lo
	v_cmpx_gt_u32_e64 s10, v0
	s_cbranch_execz .LBB1961_14
; %bb.13:
	v_add_nc_u32_e32 v1, 32, v0
	v_mov_b32_e32 v2, 0
	v_lshlrev_b64 v[4:5], 4, v[1:2]
	v_mov_b32_e32 v1, v2
	v_mov_b32_e32 v3, v2
	v_add_co_u32 v6, vcc_lo, s8, v4
	v_add_co_ci_u32_e64 v7, null, s9, v5, vcc_lo
	v_mov_b32_e32 v4, v2
	global_store_dwordx4 v[6:7], v[1:4], off
.LBB1961_14:
	s_or_b32 exec_lo, exec_lo, s0
	s_mov_b32 s0, exec_lo
	v_cmpx_gt_u32_e32 32, v0
	s_cbranch_execz .LBB1961_16
; %bb.15:
	v_mov_b32_e32 v1, 0
	v_mov_b32_e32 v3, 0xff
	v_lshlrev_b64 v[4:5], 4, v[0:1]
	v_mov_b32_e32 v0, v1
	v_mov_b32_e32 v2, v1
	v_add_co_u32 v4, vcc_lo, s8, v4
	v_add_co_ci_u32_e64 v5, null, s9, v5, vcc_lo
	global_store_dwordx4 v[4:5], v[0:3], off
.LBB1961_16:
	s_endpgm
	.section	.rodata,"a",@progbits
	.p2align	6, 0x0
	.amdhsa_kernel _ZN7rocprim17ROCPRIM_400000_NS6detail30init_device_scan_by_key_kernelINS1_19lookback_scan_stateINS0_5tupleIJ11FixedVectorIiLj2EEbEEELb1ELb1EEENS1_16block_id_wrapperIjLb1EEEEEvT_jjPNSB_10value_typeET0_
		.amdhsa_group_segment_fixed_size 0
		.amdhsa_private_segment_fixed_size 0
		.amdhsa_kernarg_size 288
		.amdhsa_user_sgpr_count 6
		.amdhsa_user_sgpr_private_segment_buffer 1
		.amdhsa_user_sgpr_dispatch_ptr 0
		.amdhsa_user_sgpr_queue_ptr 0
		.amdhsa_user_sgpr_kernarg_segment_ptr 1
		.amdhsa_user_sgpr_dispatch_id 0
		.amdhsa_user_sgpr_flat_scratch_init 0
		.amdhsa_user_sgpr_private_segment_size 0
		.amdhsa_wavefront_size32 1
		.amdhsa_uses_dynamic_stack 0
		.amdhsa_system_sgpr_private_segment_wavefront_offset 0
		.amdhsa_system_sgpr_workgroup_id_x 1
		.amdhsa_system_sgpr_workgroup_id_y 0
		.amdhsa_system_sgpr_workgroup_id_z 0
		.amdhsa_system_sgpr_workgroup_info 0
		.amdhsa_system_vgpr_workitem_id 0
		.amdhsa_next_free_vgpr 9
		.amdhsa_next_free_sgpr 16
		.amdhsa_reserve_vcc 1
		.amdhsa_reserve_flat_scratch 0
		.amdhsa_float_round_mode_32 0
		.amdhsa_float_round_mode_16_64 0
		.amdhsa_float_denorm_mode_32 3
		.amdhsa_float_denorm_mode_16_64 3
		.amdhsa_dx10_clamp 1
		.amdhsa_ieee_mode 1
		.amdhsa_fp16_overflow 0
		.amdhsa_workgroup_processor_mode 1
		.amdhsa_memory_ordered 1
		.amdhsa_forward_progress 1
		.amdhsa_shared_vgpr_count 0
		.amdhsa_exception_fp_ieee_invalid_op 0
		.amdhsa_exception_fp_denorm_src 0
		.amdhsa_exception_fp_ieee_div_zero 0
		.amdhsa_exception_fp_ieee_overflow 0
		.amdhsa_exception_fp_ieee_underflow 0
		.amdhsa_exception_fp_ieee_inexact 0
		.amdhsa_exception_int_div_zero 0
	.end_amdhsa_kernel
	.section	.text._ZN7rocprim17ROCPRIM_400000_NS6detail30init_device_scan_by_key_kernelINS1_19lookback_scan_stateINS0_5tupleIJ11FixedVectorIiLj2EEbEEELb1ELb1EEENS1_16block_id_wrapperIjLb1EEEEEvT_jjPNSB_10value_typeET0_,"axG",@progbits,_ZN7rocprim17ROCPRIM_400000_NS6detail30init_device_scan_by_key_kernelINS1_19lookback_scan_stateINS0_5tupleIJ11FixedVectorIiLj2EEbEEELb1ELb1EEENS1_16block_id_wrapperIjLb1EEEEEvT_jjPNSB_10value_typeET0_,comdat
.Lfunc_end1961:
	.size	_ZN7rocprim17ROCPRIM_400000_NS6detail30init_device_scan_by_key_kernelINS1_19lookback_scan_stateINS0_5tupleIJ11FixedVectorIiLj2EEbEEELb1ELb1EEENS1_16block_id_wrapperIjLb1EEEEEvT_jjPNSB_10value_typeET0_, .Lfunc_end1961-_ZN7rocprim17ROCPRIM_400000_NS6detail30init_device_scan_by_key_kernelINS1_19lookback_scan_stateINS0_5tupleIJ11FixedVectorIiLj2EEbEEELb1ELb1EEENS1_16block_id_wrapperIjLb1EEEEEvT_jjPNSB_10value_typeET0_
                                        ; -- End function
	.set _ZN7rocprim17ROCPRIM_400000_NS6detail30init_device_scan_by_key_kernelINS1_19lookback_scan_stateINS0_5tupleIJ11FixedVectorIiLj2EEbEEELb1ELb1EEENS1_16block_id_wrapperIjLb1EEEEEvT_jjPNSB_10value_typeET0_.num_vgpr, 9
	.set _ZN7rocprim17ROCPRIM_400000_NS6detail30init_device_scan_by_key_kernelINS1_19lookback_scan_stateINS0_5tupleIJ11FixedVectorIiLj2EEbEEELb1ELb1EEENS1_16block_id_wrapperIjLb1EEEEEvT_jjPNSB_10value_typeET0_.num_agpr, 0
	.set _ZN7rocprim17ROCPRIM_400000_NS6detail30init_device_scan_by_key_kernelINS1_19lookback_scan_stateINS0_5tupleIJ11FixedVectorIiLj2EEbEEELb1ELb1EEENS1_16block_id_wrapperIjLb1EEEEEvT_jjPNSB_10value_typeET0_.numbered_sgpr, 16
	.set _ZN7rocprim17ROCPRIM_400000_NS6detail30init_device_scan_by_key_kernelINS1_19lookback_scan_stateINS0_5tupleIJ11FixedVectorIiLj2EEbEEELb1ELb1EEENS1_16block_id_wrapperIjLb1EEEEEvT_jjPNSB_10value_typeET0_.num_named_barrier, 0
	.set _ZN7rocprim17ROCPRIM_400000_NS6detail30init_device_scan_by_key_kernelINS1_19lookback_scan_stateINS0_5tupleIJ11FixedVectorIiLj2EEbEEELb1ELb1EEENS1_16block_id_wrapperIjLb1EEEEEvT_jjPNSB_10value_typeET0_.private_seg_size, 0
	.set _ZN7rocprim17ROCPRIM_400000_NS6detail30init_device_scan_by_key_kernelINS1_19lookback_scan_stateINS0_5tupleIJ11FixedVectorIiLj2EEbEEELb1ELb1EEENS1_16block_id_wrapperIjLb1EEEEEvT_jjPNSB_10value_typeET0_.uses_vcc, 1
	.set _ZN7rocprim17ROCPRIM_400000_NS6detail30init_device_scan_by_key_kernelINS1_19lookback_scan_stateINS0_5tupleIJ11FixedVectorIiLj2EEbEEELb1ELb1EEENS1_16block_id_wrapperIjLb1EEEEEvT_jjPNSB_10value_typeET0_.uses_flat_scratch, 0
	.set _ZN7rocprim17ROCPRIM_400000_NS6detail30init_device_scan_by_key_kernelINS1_19lookback_scan_stateINS0_5tupleIJ11FixedVectorIiLj2EEbEEELb1ELb1EEENS1_16block_id_wrapperIjLb1EEEEEvT_jjPNSB_10value_typeET0_.has_dyn_sized_stack, 0
	.set _ZN7rocprim17ROCPRIM_400000_NS6detail30init_device_scan_by_key_kernelINS1_19lookback_scan_stateINS0_5tupleIJ11FixedVectorIiLj2EEbEEELb1ELb1EEENS1_16block_id_wrapperIjLb1EEEEEvT_jjPNSB_10value_typeET0_.has_recursion, 0
	.set _ZN7rocprim17ROCPRIM_400000_NS6detail30init_device_scan_by_key_kernelINS1_19lookback_scan_stateINS0_5tupleIJ11FixedVectorIiLj2EEbEEELb1ELb1EEENS1_16block_id_wrapperIjLb1EEEEEvT_jjPNSB_10value_typeET0_.has_indirect_call, 0
	.section	.AMDGPU.csdata,"",@progbits
; Kernel info:
; codeLenInByte = 492
; TotalNumSgprs: 18
; NumVgprs: 9
; ScratchSize: 0
; MemoryBound: 0
; FloatMode: 240
; IeeeMode: 1
; LDSByteSize: 0 bytes/workgroup (compile time only)
; SGPRBlocks: 0
; VGPRBlocks: 1
; NumSGPRsForWavesPerEU: 18
; NumVGPRsForWavesPerEU: 9
; Occupancy: 16
; WaveLimiterHint : 0
; COMPUTE_PGM_RSRC2:SCRATCH_EN: 0
; COMPUTE_PGM_RSRC2:USER_SGPR: 6
; COMPUTE_PGM_RSRC2:TRAP_HANDLER: 0
; COMPUTE_PGM_RSRC2:TGID_X_EN: 1
; COMPUTE_PGM_RSRC2:TGID_Y_EN: 0
; COMPUTE_PGM_RSRC2:TGID_Z_EN: 0
; COMPUTE_PGM_RSRC2:TIDIG_COMP_CNT: 0
	.section	.text._ZN7rocprim17ROCPRIM_400000_NS6detail17trampoline_kernelINS0_14default_configENS1_27scan_by_key_config_selectorIj11FixedVectorIiLj2EEEEZZNS1_16scan_by_key_implILNS1_25lookback_scan_determinismE0ELb0ES3_N6thrust23THRUST_200600_302600_NS6detail15normal_iteratorINSB_10device_ptrIjEEEENSD_INSE_IS6_EEEESI_S6_NSB_4plusIvEENSB_8equal_toIvEES6_EE10hipError_tPvRmT2_T3_T4_T5_mT6_T7_P12ihipStream_tbENKUlT_T0_E_clISt17integral_constantIbLb1EES13_EEDaSY_SZ_EUlSY_E_NS1_11comp_targetILNS1_3genE0ELNS1_11target_archE4294967295ELNS1_3gpuE0ELNS1_3repE0EEENS1_30default_config_static_selectorELNS0_4arch9wavefront6targetE0EEEvT1_,"axG",@progbits,_ZN7rocprim17ROCPRIM_400000_NS6detail17trampoline_kernelINS0_14default_configENS1_27scan_by_key_config_selectorIj11FixedVectorIiLj2EEEEZZNS1_16scan_by_key_implILNS1_25lookback_scan_determinismE0ELb0ES3_N6thrust23THRUST_200600_302600_NS6detail15normal_iteratorINSB_10device_ptrIjEEEENSD_INSE_IS6_EEEESI_S6_NSB_4plusIvEENSB_8equal_toIvEES6_EE10hipError_tPvRmT2_T3_T4_T5_mT6_T7_P12ihipStream_tbENKUlT_T0_E_clISt17integral_constantIbLb1EES13_EEDaSY_SZ_EUlSY_E_NS1_11comp_targetILNS1_3genE0ELNS1_11target_archE4294967295ELNS1_3gpuE0ELNS1_3repE0EEENS1_30default_config_static_selectorELNS0_4arch9wavefront6targetE0EEEvT1_,comdat
	.protected	_ZN7rocprim17ROCPRIM_400000_NS6detail17trampoline_kernelINS0_14default_configENS1_27scan_by_key_config_selectorIj11FixedVectorIiLj2EEEEZZNS1_16scan_by_key_implILNS1_25lookback_scan_determinismE0ELb0ES3_N6thrust23THRUST_200600_302600_NS6detail15normal_iteratorINSB_10device_ptrIjEEEENSD_INSE_IS6_EEEESI_S6_NSB_4plusIvEENSB_8equal_toIvEES6_EE10hipError_tPvRmT2_T3_T4_T5_mT6_T7_P12ihipStream_tbENKUlT_T0_E_clISt17integral_constantIbLb1EES13_EEDaSY_SZ_EUlSY_E_NS1_11comp_targetILNS1_3genE0ELNS1_11target_archE4294967295ELNS1_3gpuE0ELNS1_3repE0EEENS1_30default_config_static_selectorELNS0_4arch9wavefront6targetE0EEEvT1_ ; -- Begin function _ZN7rocprim17ROCPRIM_400000_NS6detail17trampoline_kernelINS0_14default_configENS1_27scan_by_key_config_selectorIj11FixedVectorIiLj2EEEEZZNS1_16scan_by_key_implILNS1_25lookback_scan_determinismE0ELb0ES3_N6thrust23THRUST_200600_302600_NS6detail15normal_iteratorINSB_10device_ptrIjEEEENSD_INSE_IS6_EEEESI_S6_NSB_4plusIvEENSB_8equal_toIvEES6_EE10hipError_tPvRmT2_T3_T4_T5_mT6_T7_P12ihipStream_tbENKUlT_T0_E_clISt17integral_constantIbLb1EES13_EEDaSY_SZ_EUlSY_E_NS1_11comp_targetILNS1_3genE0ELNS1_11target_archE4294967295ELNS1_3gpuE0ELNS1_3repE0EEENS1_30default_config_static_selectorELNS0_4arch9wavefront6targetE0EEEvT1_
	.globl	_ZN7rocprim17ROCPRIM_400000_NS6detail17trampoline_kernelINS0_14default_configENS1_27scan_by_key_config_selectorIj11FixedVectorIiLj2EEEEZZNS1_16scan_by_key_implILNS1_25lookback_scan_determinismE0ELb0ES3_N6thrust23THRUST_200600_302600_NS6detail15normal_iteratorINSB_10device_ptrIjEEEENSD_INSE_IS6_EEEESI_S6_NSB_4plusIvEENSB_8equal_toIvEES6_EE10hipError_tPvRmT2_T3_T4_T5_mT6_T7_P12ihipStream_tbENKUlT_T0_E_clISt17integral_constantIbLb1EES13_EEDaSY_SZ_EUlSY_E_NS1_11comp_targetILNS1_3genE0ELNS1_11target_archE4294967295ELNS1_3gpuE0ELNS1_3repE0EEENS1_30default_config_static_selectorELNS0_4arch9wavefront6targetE0EEEvT1_
	.p2align	8
	.type	_ZN7rocprim17ROCPRIM_400000_NS6detail17trampoline_kernelINS0_14default_configENS1_27scan_by_key_config_selectorIj11FixedVectorIiLj2EEEEZZNS1_16scan_by_key_implILNS1_25lookback_scan_determinismE0ELb0ES3_N6thrust23THRUST_200600_302600_NS6detail15normal_iteratorINSB_10device_ptrIjEEEENSD_INSE_IS6_EEEESI_S6_NSB_4plusIvEENSB_8equal_toIvEES6_EE10hipError_tPvRmT2_T3_T4_T5_mT6_T7_P12ihipStream_tbENKUlT_T0_E_clISt17integral_constantIbLb1EES13_EEDaSY_SZ_EUlSY_E_NS1_11comp_targetILNS1_3genE0ELNS1_11target_archE4294967295ELNS1_3gpuE0ELNS1_3repE0EEENS1_30default_config_static_selectorELNS0_4arch9wavefront6targetE0EEEvT1_,@function
_ZN7rocprim17ROCPRIM_400000_NS6detail17trampoline_kernelINS0_14default_configENS1_27scan_by_key_config_selectorIj11FixedVectorIiLj2EEEEZZNS1_16scan_by_key_implILNS1_25lookback_scan_determinismE0ELb0ES3_N6thrust23THRUST_200600_302600_NS6detail15normal_iteratorINSB_10device_ptrIjEEEENSD_INSE_IS6_EEEESI_S6_NSB_4plusIvEENSB_8equal_toIvEES6_EE10hipError_tPvRmT2_T3_T4_T5_mT6_T7_P12ihipStream_tbENKUlT_T0_E_clISt17integral_constantIbLb1EES13_EEDaSY_SZ_EUlSY_E_NS1_11comp_targetILNS1_3genE0ELNS1_11target_archE4294967295ELNS1_3gpuE0ELNS1_3repE0EEENS1_30default_config_static_selectorELNS0_4arch9wavefront6targetE0EEEvT1_: ; @_ZN7rocprim17ROCPRIM_400000_NS6detail17trampoline_kernelINS0_14default_configENS1_27scan_by_key_config_selectorIj11FixedVectorIiLj2EEEEZZNS1_16scan_by_key_implILNS1_25lookback_scan_determinismE0ELb0ES3_N6thrust23THRUST_200600_302600_NS6detail15normal_iteratorINSB_10device_ptrIjEEEENSD_INSE_IS6_EEEESI_S6_NSB_4plusIvEENSB_8equal_toIvEES6_EE10hipError_tPvRmT2_T3_T4_T5_mT6_T7_P12ihipStream_tbENKUlT_T0_E_clISt17integral_constantIbLb1EES13_EEDaSY_SZ_EUlSY_E_NS1_11comp_targetILNS1_3genE0ELNS1_11target_archE4294967295ELNS1_3gpuE0ELNS1_3repE0EEENS1_30default_config_static_selectorELNS0_4arch9wavefront6targetE0EEEvT1_
; %bb.0:
	.section	.rodata,"a",@progbits
	.p2align	6, 0x0
	.amdhsa_kernel _ZN7rocprim17ROCPRIM_400000_NS6detail17trampoline_kernelINS0_14default_configENS1_27scan_by_key_config_selectorIj11FixedVectorIiLj2EEEEZZNS1_16scan_by_key_implILNS1_25lookback_scan_determinismE0ELb0ES3_N6thrust23THRUST_200600_302600_NS6detail15normal_iteratorINSB_10device_ptrIjEEEENSD_INSE_IS6_EEEESI_S6_NSB_4plusIvEENSB_8equal_toIvEES6_EE10hipError_tPvRmT2_T3_T4_T5_mT6_T7_P12ihipStream_tbENKUlT_T0_E_clISt17integral_constantIbLb1EES13_EEDaSY_SZ_EUlSY_E_NS1_11comp_targetILNS1_3genE0ELNS1_11target_archE4294967295ELNS1_3gpuE0ELNS1_3repE0EEENS1_30default_config_static_selectorELNS0_4arch9wavefront6targetE0EEEvT1_
		.amdhsa_group_segment_fixed_size 0
		.amdhsa_private_segment_fixed_size 0
		.amdhsa_kernarg_size 120
		.amdhsa_user_sgpr_count 6
		.amdhsa_user_sgpr_private_segment_buffer 1
		.amdhsa_user_sgpr_dispatch_ptr 0
		.amdhsa_user_sgpr_queue_ptr 0
		.amdhsa_user_sgpr_kernarg_segment_ptr 1
		.amdhsa_user_sgpr_dispatch_id 0
		.amdhsa_user_sgpr_flat_scratch_init 0
		.amdhsa_user_sgpr_private_segment_size 0
		.amdhsa_wavefront_size32 1
		.amdhsa_uses_dynamic_stack 0
		.amdhsa_system_sgpr_private_segment_wavefront_offset 0
		.amdhsa_system_sgpr_workgroup_id_x 1
		.amdhsa_system_sgpr_workgroup_id_y 0
		.amdhsa_system_sgpr_workgroup_id_z 0
		.amdhsa_system_sgpr_workgroup_info 0
		.amdhsa_system_vgpr_workitem_id 0
		.amdhsa_next_free_vgpr 1
		.amdhsa_next_free_sgpr 1
		.amdhsa_reserve_vcc 0
		.amdhsa_reserve_flat_scratch 0
		.amdhsa_float_round_mode_32 0
		.amdhsa_float_round_mode_16_64 0
		.amdhsa_float_denorm_mode_32 3
		.amdhsa_float_denorm_mode_16_64 3
		.amdhsa_dx10_clamp 1
		.amdhsa_ieee_mode 1
		.amdhsa_fp16_overflow 0
		.amdhsa_workgroup_processor_mode 1
		.amdhsa_memory_ordered 1
		.amdhsa_forward_progress 1
		.amdhsa_shared_vgpr_count 0
		.amdhsa_exception_fp_ieee_invalid_op 0
		.amdhsa_exception_fp_denorm_src 0
		.amdhsa_exception_fp_ieee_div_zero 0
		.amdhsa_exception_fp_ieee_overflow 0
		.amdhsa_exception_fp_ieee_underflow 0
		.amdhsa_exception_fp_ieee_inexact 0
		.amdhsa_exception_int_div_zero 0
	.end_amdhsa_kernel
	.section	.text._ZN7rocprim17ROCPRIM_400000_NS6detail17trampoline_kernelINS0_14default_configENS1_27scan_by_key_config_selectorIj11FixedVectorIiLj2EEEEZZNS1_16scan_by_key_implILNS1_25lookback_scan_determinismE0ELb0ES3_N6thrust23THRUST_200600_302600_NS6detail15normal_iteratorINSB_10device_ptrIjEEEENSD_INSE_IS6_EEEESI_S6_NSB_4plusIvEENSB_8equal_toIvEES6_EE10hipError_tPvRmT2_T3_T4_T5_mT6_T7_P12ihipStream_tbENKUlT_T0_E_clISt17integral_constantIbLb1EES13_EEDaSY_SZ_EUlSY_E_NS1_11comp_targetILNS1_3genE0ELNS1_11target_archE4294967295ELNS1_3gpuE0ELNS1_3repE0EEENS1_30default_config_static_selectorELNS0_4arch9wavefront6targetE0EEEvT1_,"axG",@progbits,_ZN7rocprim17ROCPRIM_400000_NS6detail17trampoline_kernelINS0_14default_configENS1_27scan_by_key_config_selectorIj11FixedVectorIiLj2EEEEZZNS1_16scan_by_key_implILNS1_25lookback_scan_determinismE0ELb0ES3_N6thrust23THRUST_200600_302600_NS6detail15normal_iteratorINSB_10device_ptrIjEEEENSD_INSE_IS6_EEEESI_S6_NSB_4plusIvEENSB_8equal_toIvEES6_EE10hipError_tPvRmT2_T3_T4_T5_mT6_T7_P12ihipStream_tbENKUlT_T0_E_clISt17integral_constantIbLb1EES13_EEDaSY_SZ_EUlSY_E_NS1_11comp_targetILNS1_3genE0ELNS1_11target_archE4294967295ELNS1_3gpuE0ELNS1_3repE0EEENS1_30default_config_static_selectorELNS0_4arch9wavefront6targetE0EEEvT1_,comdat
.Lfunc_end1962:
	.size	_ZN7rocprim17ROCPRIM_400000_NS6detail17trampoline_kernelINS0_14default_configENS1_27scan_by_key_config_selectorIj11FixedVectorIiLj2EEEEZZNS1_16scan_by_key_implILNS1_25lookback_scan_determinismE0ELb0ES3_N6thrust23THRUST_200600_302600_NS6detail15normal_iteratorINSB_10device_ptrIjEEEENSD_INSE_IS6_EEEESI_S6_NSB_4plusIvEENSB_8equal_toIvEES6_EE10hipError_tPvRmT2_T3_T4_T5_mT6_T7_P12ihipStream_tbENKUlT_T0_E_clISt17integral_constantIbLb1EES13_EEDaSY_SZ_EUlSY_E_NS1_11comp_targetILNS1_3genE0ELNS1_11target_archE4294967295ELNS1_3gpuE0ELNS1_3repE0EEENS1_30default_config_static_selectorELNS0_4arch9wavefront6targetE0EEEvT1_, .Lfunc_end1962-_ZN7rocprim17ROCPRIM_400000_NS6detail17trampoline_kernelINS0_14default_configENS1_27scan_by_key_config_selectorIj11FixedVectorIiLj2EEEEZZNS1_16scan_by_key_implILNS1_25lookback_scan_determinismE0ELb0ES3_N6thrust23THRUST_200600_302600_NS6detail15normal_iteratorINSB_10device_ptrIjEEEENSD_INSE_IS6_EEEESI_S6_NSB_4plusIvEENSB_8equal_toIvEES6_EE10hipError_tPvRmT2_T3_T4_T5_mT6_T7_P12ihipStream_tbENKUlT_T0_E_clISt17integral_constantIbLb1EES13_EEDaSY_SZ_EUlSY_E_NS1_11comp_targetILNS1_3genE0ELNS1_11target_archE4294967295ELNS1_3gpuE0ELNS1_3repE0EEENS1_30default_config_static_selectorELNS0_4arch9wavefront6targetE0EEEvT1_
                                        ; -- End function
	.set _ZN7rocprim17ROCPRIM_400000_NS6detail17trampoline_kernelINS0_14default_configENS1_27scan_by_key_config_selectorIj11FixedVectorIiLj2EEEEZZNS1_16scan_by_key_implILNS1_25lookback_scan_determinismE0ELb0ES3_N6thrust23THRUST_200600_302600_NS6detail15normal_iteratorINSB_10device_ptrIjEEEENSD_INSE_IS6_EEEESI_S6_NSB_4plusIvEENSB_8equal_toIvEES6_EE10hipError_tPvRmT2_T3_T4_T5_mT6_T7_P12ihipStream_tbENKUlT_T0_E_clISt17integral_constantIbLb1EES13_EEDaSY_SZ_EUlSY_E_NS1_11comp_targetILNS1_3genE0ELNS1_11target_archE4294967295ELNS1_3gpuE0ELNS1_3repE0EEENS1_30default_config_static_selectorELNS0_4arch9wavefront6targetE0EEEvT1_.num_vgpr, 0
	.set _ZN7rocprim17ROCPRIM_400000_NS6detail17trampoline_kernelINS0_14default_configENS1_27scan_by_key_config_selectorIj11FixedVectorIiLj2EEEEZZNS1_16scan_by_key_implILNS1_25lookback_scan_determinismE0ELb0ES3_N6thrust23THRUST_200600_302600_NS6detail15normal_iteratorINSB_10device_ptrIjEEEENSD_INSE_IS6_EEEESI_S6_NSB_4plusIvEENSB_8equal_toIvEES6_EE10hipError_tPvRmT2_T3_T4_T5_mT6_T7_P12ihipStream_tbENKUlT_T0_E_clISt17integral_constantIbLb1EES13_EEDaSY_SZ_EUlSY_E_NS1_11comp_targetILNS1_3genE0ELNS1_11target_archE4294967295ELNS1_3gpuE0ELNS1_3repE0EEENS1_30default_config_static_selectorELNS0_4arch9wavefront6targetE0EEEvT1_.num_agpr, 0
	.set _ZN7rocprim17ROCPRIM_400000_NS6detail17trampoline_kernelINS0_14default_configENS1_27scan_by_key_config_selectorIj11FixedVectorIiLj2EEEEZZNS1_16scan_by_key_implILNS1_25lookback_scan_determinismE0ELb0ES3_N6thrust23THRUST_200600_302600_NS6detail15normal_iteratorINSB_10device_ptrIjEEEENSD_INSE_IS6_EEEESI_S6_NSB_4plusIvEENSB_8equal_toIvEES6_EE10hipError_tPvRmT2_T3_T4_T5_mT6_T7_P12ihipStream_tbENKUlT_T0_E_clISt17integral_constantIbLb1EES13_EEDaSY_SZ_EUlSY_E_NS1_11comp_targetILNS1_3genE0ELNS1_11target_archE4294967295ELNS1_3gpuE0ELNS1_3repE0EEENS1_30default_config_static_selectorELNS0_4arch9wavefront6targetE0EEEvT1_.numbered_sgpr, 0
	.set _ZN7rocprim17ROCPRIM_400000_NS6detail17trampoline_kernelINS0_14default_configENS1_27scan_by_key_config_selectorIj11FixedVectorIiLj2EEEEZZNS1_16scan_by_key_implILNS1_25lookback_scan_determinismE0ELb0ES3_N6thrust23THRUST_200600_302600_NS6detail15normal_iteratorINSB_10device_ptrIjEEEENSD_INSE_IS6_EEEESI_S6_NSB_4plusIvEENSB_8equal_toIvEES6_EE10hipError_tPvRmT2_T3_T4_T5_mT6_T7_P12ihipStream_tbENKUlT_T0_E_clISt17integral_constantIbLb1EES13_EEDaSY_SZ_EUlSY_E_NS1_11comp_targetILNS1_3genE0ELNS1_11target_archE4294967295ELNS1_3gpuE0ELNS1_3repE0EEENS1_30default_config_static_selectorELNS0_4arch9wavefront6targetE0EEEvT1_.num_named_barrier, 0
	.set _ZN7rocprim17ROCPRIM_400000_NS6detail17trampoline_kernelINS0_14default_configENS1_27scan_by_key_config_selectorIj11FixedVectorIiLj2EEEEZZNS1_16scan_by_key_implILNS1_25lookback_scan_determinismE0ELb0ES3_N6thrust23THRUST_200600_302600_NS6detail15normal_iteratorINSB_10device_ptrIjEEEENSD_INSE_IS6_EEEESI_S6_NSB_4plusIvEENSB_8equal_toIvEES6_EE10hipError_tPvRmT2_T3_T4_T5_mT6_T7_P12ihipStream_tbENKUlT_T0_E_clISt17integral_constantIbLb1EES13_EEDaSY_SZ_EUlSY_E_NS1_11comp_targetILNS1_3genE0ELNS1_11target_archE4294967295ELNS1_3gpuE0ELNS1_3repE0EEENS1_30default_config_static_selectorELNS0_4arch9wavefront6targetE0EEEvT1_.private_seg_size, 0
	.set _ZN7rocprim17ROCPRIM_400000_NS6detail17trampoline_kernelINS0_14default_configENS1_27scan_by_key_config_selectorIj11FixedVectorIiLj2EEEEZZNS1_16scan_by_key_implILNS1_25lookback_scan_determinismE0ELb0ES3_N6thrust23THRUST_200600_302600_NS6detail15normal_iteratorINSB_10device_ptrIjEEEENSD_INSE_IS6_EEEESI_S6_NSB_4plusIvEENSB_8equal_toIvEES6_EE10hipError_tPvRmT2_T3_T4_T5_mT6_T7_P12ihipStream_tbENKUlT_T0_E_clISt17integral_constantIbLb1EES13_EEDaSY_SZ_EUlSY_E_NS1_11comp_targetILNS1_3genE0ELNS1_11target_archE4294967295ELNS1_3gpuE0ELNS1_3repE0EEENS1_30default_config_static_selectorELNS0_4arch9wavefront6targetE0EEEvT1_.uses_vcc, 0
	.set _ZN7rocprim17ROCPRIM_400000_NS6detail17trampoline_kernelINS0_14default_configENS1_27scan_by_key_config_selectorIj11FixedVectorIiLj2EEEEZZNS1_16scan_by_key_implILNS1_25lookback_scan_determinismE0ELb0ES3_N6thrust23THRUST_200600_302600_NS6detail15normal_iteratorINSB_10device_ptrIjEEEENSD_INSE_IS6_EEEESI_S6_NSB_4plusIvEENSB_8equal_toIvEES6_EE10hipError_tPvRmT2_T3_T4_T5_mT6_T7_P12ihipStream_tbENKUlT_T0_E_clISt17integral_constantIbLb1EES13_EEDaSY_SZ_EUlSY_E_NS1_11comp_targetILNS1_3genE0ELNS1_11target_archE4294967295ELNS1_3gpuE0ELNS1_3repE0EEENS1_30default_config_static_selectorELNS0_4arch9wavefront6targetE0EEEvT1_.uses_flat_scratch, 0
	.set _ZN7rocprim17ROCPRIM_400000_NS6detail17trampoline_kernelINS0_14default_configENS1_27scan_by_key_config_selectorIj11FixedVectorIiLj2EEEEZZNS1_16scan_by_key_implILNS1_25lookback_scan_determinismE0ELb0ES3_N6thrust23THRUST_200600_302600_NS6detail15normal_iteratorINSB_10device_ptrIjEEEENSD_INSE_IS6_EEEESI_S6_NSB_4plusIvEENSB_8equal_toIvEES6_EE10hipError_tPvRmT2_T3_T4_T5_mT6_T7_P12ihipStream_tbENKUlT_T0_E_clISt17integral_constantIbLb1EES13_EEDaSY_SZ_EUlSY_E_NS1_11comp_targetILNS1_3genE0ELNS1_11target_archE4294967295ELNS1_3gpuE0ELNS1_3repE0EEENS1_30default_config_static_selectorELNS0_4arch9wavefront6targetE0EEEvT1_.has_dyn_sized_stack, 0
	.set _ZN7rocprim17ROCPRIM_400000_NS6detail17trampoline_kernelINS0_14default_configENS1_27scan_by_key_config_selectorIj11FixedVectorIiLj2EEEEZZNS1_16scan_by_key_implILNS1_25lookback_scan_determinismE0ELb0ES3_N6thrust23THRUST_200600_302600_NS6detail15normal_iteratorINSB_10device_ptrIjEEEENSD_INSE_IS6_EEEESI_S6_NSB_4plusIvEENSB_8equal_toIvEES6_EE10hipError_tPvRmT2_T3_T4_T5_mT6_T7_P12ihipStream_tbENKUlT_T0_E_clISt17integral_constantIbLb1EES13_EEDaSY_SZ_EUlSY_E_NS1_11comp_targetILNS1_3genE0ELNS1_11target_archE4294967295ELNS1_3gpuE0ELNS1_3repE0EEENS1_30default_config_static_selectorELNS0_4arch9wavefront6targetE0EEEvT1_.has_recursion, 0
	.set _ZN7rocprim17ROCPRIM_400000_NS6detail17trampoline_kernelINS0_14default_configENS1_27scan_by_key_config_selectorIj11FixedVectorIiLj2EEEEZZNS1_16scan_by_key_implILNS1_25lookback_scan_determinismE0ELb0ES3_N6thrust23THRUST_200600_302600_NS6detail15normal_iteratorINSB_10device_ptrIjEEEENSD_INSE_IS6_EEEESI_S6_NSB_4plusIvEENSB_8equal_toIvEES6_EE10hipError_tPvRmT2_T3_T4_T5_mT6_T7_P12ihipStream_tbENKUlT_T0_E_clISt17integral_constantIbLb1EES13_EEDaSY_SZ_EUlSY_E_NS1_11comp_targetILNS1_3genE0ELNS1_11target_archE4294967295ELNS1_3gpuE0ELNS1_3repE0EEENS1_30default_config_static_selectorELNS0_4arch9wavefront6targetE0EEEvT1_.has_indirect_call, 0
	.section	.AMDGPU.csdata,"",@progbits
; Kernel info:
; codeLenInByte = 0
; TotalNumSgprs: 0
; NumVgprs: 0
; ScratchSize: 0
; MemoryBound: 0
; FloatMode: 240
; IeeeMode: 1
; LDSByteSize: 0 bytes/workgroup (compile time only)
; SGPRBlocks: 0
; VGPRBlocks: 0
; NumSGPRsForWavesPerEU: 1
; NumVGPRsForWavesPerEU: 1
; Occupancy: 16
; WaveLimiterHint : 0
; COMPUTE_PGM_RSRC2:SCRATCH_EN: 0
; COMPUTE_PGM_RSRC2:USER_SGPR: 6
; COMPUTE_PGM_RSRC2:TRAP_HANDLER: 0
; COMPUTE_PGM_RSRC2:TGID_X_EN: 1
; COMPUTE_PGM_RSRC2:TGID_Y_EN: 0
; COMPUTE_PGM_RSRC2:TGID_Z_EN: 0
; COMPUTE_PGM_RSRC2:TIDIG_COMP_CNT: 0
	.section	.text._ZN7rocprim17ROCPRIM_400000_NS6detail17trampoline_kernelINS0_14default_configENS1_27scan_by_key_config_selectorIj11FixedVectorIiLj2EEEEZZNS1_16scan_by_key_implILNS1_25lookback_scan_determinismE0ELb0ES3_N6thrust23THRUST_200600_302600_NS6detail15normal_iteratorINSB_10device_ptrIjEEEENSD_INSE_IS6_EEEESI_S6_NSB_4plusIvEENSB_8equal_toIvEES6_EE10hipError_tPvRmT2_T3_T4_T5_mT6_T7_P12ihipStream_tbENKUlT_T0_E_clISt17integral_constantIbLb1EES13_EEDaSY_SZ_EUlSY_E_NS1_11comp_targetILNS1_3genE10ELNS1_11target_archE1201ELNS1_3gpuE5ELNS1_3repE0EEENS1_30default_config_static_selectorELNS0_4arch9wavefront6targetE0EEEvT1_,"axG",@progbits,_ZN7rocprim17ROCPRIM_400000_NS6detail17trampoline_kernelINS0_14default_configENS1_27scan_by_key_config_selectorIj11FixedVectorIiLj2EEEEZZNS1_16scan_by_key_implILNS1_25lookback_scan_determinismE0ELb0ES3_N6thrust23THRUST_200600_302600_NS6detail15normal_iteratorINSB_10device_ptrIjEEEENSD_INSE_IS6_EEEESI_S6_NSB_4plusIvEENSB_8equal_toIvEES6_EE10hipError_tPvRmT2_T3_T4_T5_mT6_T7_P12ihipStream_tbENKUlT_T0_E_clISt17integral_constantIbLb1EES13_EEDaSY_SZ_EUlSY_E_NS1_11comp_targetILNS1_3genE10ELNS1_11target_archE1201ELNS1_3gpuE5ELNS1_3repE0EEENS1_30default_config_static_selectorELNS0_4arch9wavefront6targetE0EEEvT1_,comdat
	.protected	_ZN7rocprim17ROCPRIM_400000_NS6detail17trampoline_kernelINS0_14default_configENS1_27scan_by_key_config_selectorIj11FixedVectorIiLj2EEEEZZNS1_16scan_by_key_implILNS1_25lookback_scan_determinismE0ELb0ES3_N6thrust23THRUST_200600_302600_NS6detail15normal_iteratorINSB_10device_ptrIjEEEENSD_INSE_IS6_EEEESI_S6_NSB_4plusIvEENSB_8equal_toIvEES6_EE10hipError_tPvRmT2_T3_T4_T5_mT6_T7_P12ihipStream_tbENKUlT_T0_E_clISt17integral_constantIbLb1EES13_EEDaSY_SZ_EUlSY_E_NS1_11comp_targetILNS1_3genE10ELNS1_11target_archE1201ELNS1_3gpuE5ELNS1_3repE0EEENS1_30default_config_static_selectorELNS0_4arch9wavefront6targetE0EEEvT1_ ; -- Begin function _ZN7rocprim17ROCPRIM_400000_NS6detail17trampoline_kernelINS0_14default_configENS1_27scan_by_key_config_selectorIj11FixedVectorIiLj2EEEEZZNS1_16scan_by_key_implILNS1_25lookback_scan_determinismE0ELb0ES3_N6thrust23THRUST_200600_302600_NS6detail15normal_iteratorINSB_10device_ptrIjEEEENSD_INSE_IS6_EEEESI_S6_NSB_4plusIvEENSB_8equal_toIvEES6_EE10hipError_tPvRmT2_T3_T4_T5_mT6_T7_P12ihipStream_tbENKUlT_T0_E_clISt17integral_constantIbLb1EES13_EEDaSY_SZ_EUlSY_E_NS1_11comp_targetILNS1_3genE10ELNS1_11target_archE1201ELNS1_3gpuE5ELNS1_3repE0EEENS1_30default_config_static_selectorELNS0_4arch9wavefront6targetE0EEEvT1_
	.globl	_ZN7rocprim17ROCPRIM_400000_NS6detail17trampoline_kernelINS0_14default_configENS1_27scan_by_key_config_selectorIj11FixedVectorIiLj2EEEEZZNS1_16scan_by_key_implILNS1_25lookback_scan_determinismE0ELb0ES3_N6thrust23THRUST_200600_302600_NS6detail15normal_iteratorINSB_10device_ptrIjEEEENSD_INSE_IS6_EEEESI_S6_NSB_4plusIvEENSB_8equal_toIvEES6_EE10hipError_tPvRmT2_T3_T4_T5_mT6_T7_P12ihipStream_tbENKUlT_T0_E_clISt17integral_constantIbLb1EES13_EEDaSY_SZ_EUlSY_E_NS1_11comp_targetILNS1_3genE10ELNS1_11target_archE1201ELNS1_3gpuE5ELNS1_3repE0EEENS1_30default_config_static_selectorELNS0_4arch9wavefront6targetE0EEEvT1_
	.p2align	8
	.type	_ZN7rocprim17ROCPRIM_400000_NS6detail17trampoline_kernelINS0_14default_configENS1_27scan_by_key_config_selectorIj11FixedVectorIiLj2EEEEZZNS1_16scan_by_key_implILNS1_25lookback_scan_determinismE0ELb0ES3_N6thrust23THRUST_200600_302600_NS6detail15normal_iteratorINSB_10device_ptrIjEEEENSD_INSE_IS6_EEEESI_S6_NSB_4plusIvEENSB_8equal_toIvEES6_EE10hipError_tPvRmT2_T3_T4_T5_mT6_T7_P12ihipStream_tbENKUlT_T0_E_clISt17integral_constantIbLb1EES13_EEDaSY_SZ_EUlSY_E_NS1_11comp_targetILNS1_3genE10ELNS1_11target_archE1201ELNS1_3gpuE5ELNS1_3repE0EEENS1_30default_config_static_selectorELNS0_4arch9wavefront6targetE0EEEvT1_,@function
_ZN7rocprim17ROCPRIM_400000_NS6detail17trampoline_kernelINS0_14default_configENS1_27scan_by_key_config_selectorIj11FixedVectorIiLj2EEEEZZNS1_16scan_by_key_implILNS1_25lookback_scan_determinismE0ELb0ES3_N6thrust23THRUST_200600_302600_NS6detail15normal_iteratorINSB_10device_ptrIjEEEENSD_INSE_IS6_EEEESI_S6_NSB_4plusIvEENSB_8equal_toIvEES6_EE10hipError_tPvRmT2_T3_T4_T5_mT6_T7_P12ihipStream_tbENKUlT_T0_E_clISt17integral_constantIbLb1EES13_EEDaSY_SZ_EUlSY_E_NS1_11comp_targetILNS1_3genE10ELNS1_11target_archE1201ELNS1_3gpuE5ELNS1_3repE0EEENS1_30default_config_static_selectorELNS0_4arch9wavefront6targetE0EEEvT1_: ; @_ZN7rocprim17ROCPRIM_400000_NS6detail17trampoline_kernelINS0_14default_configENS1_27scan_by_key_config_selectorIj11FixedVectorIiLj2EEEEZZNS1_16scan_by_key_implILNS1_25lookback_scan_determinismE0ELb0ES3_N6thrust23THRUST_200600_302600_NS6detail15normal_iteratorINSB_10device_ptrIjEEEENSD_INSE_IS6_EEEESI_S6_NSB_4plusIvEENSB_8equal_toIvEES6_EE10hipError_tPvRmT2_T3_T4_T5_mT6_T7_P12ihipStream_tbENKUlT_T0_E_clISt17integral_constantIbLb1EES13_EEDaSY_SZ_EUlSY_E_NS1_11comp_targetILNS1_3genE10ELNS1_11target_archE1201ELNS1_3gpuE5ELNS1_3repE0EEENS1_30default_config_static_selectorELNS0_4arch9wavefront6targetE0EEEvT1_
; %bb.0:
	.section	.rodata,"a",@progbits
	.p2align	6, 0x0
	.amdhsa_kernel _ZN7rocprim17ROCPRIM_400000_NS6detail17trampoline_kernelINS0_14default_configENS1_27scan_by_key_config_selectorIj11FixedVectorIiLj2EEEEZZNS1_16scan_by_key_implILNS1_25lookback_scan_determinismE0ELb0ES3_N6thrust23THRUST_200600_302600_NS6detail15normal_iteratorINSB_10device_ptrIjEEEENSD_INSE_IS6_EEEESI_S6_NSB_4plusIvEENSB_8equal_toIvEES6_EE10hipError_tPvRmT2_T3_T4_T5_mT6_T7_P12ihipStream_tbENKUlT_T0_E_clISt17integral_constantIbLb1EES13_EEDaSY_SZ_EUlSY_E_NS1_11comp_targetILNS1_3genE10ELNS1_11target_archE1201ELNS1_3gpuE5ELNS1_3repE0EEENS1_30default_config_static_selectorELNS0_4arch9wavefront6targetE0EEEvT1_
		.amdhsa_group_segment_fixed_size 0
		.amdhsa_private_segment_fixed_size 0
		.amdhsa_kernarg_size 120
		.amdhsa_user_sgpr_count 6
		.amdhsa_user_sgpr_private_segment_buffer 1
		.amdhsa_user_sgpr_dispatch_ptr 0
		.amdhsa_user_sgpr_queue_ptr 0
		.amdhsa_user_sgpr_kernarg_segment_ptr 1
		.amdhsa_user_sgpr_dispatch_id 0
		.amdhsa_user_sgpr_flat_scratch_init 0
		.amdhsa_user_sgpr_private_segment_size 0
		.amdhsa_wavefront_size32 1
		.amdhsa_uses_dynamic_stack 0
		.amdhsa_system_sgpr_private_segment_wavefront_offset 0
		.amdhsa_system_sgpr_workgroup_id_x 1
		.amdhsa_system_sgpr_workgroup_id_y 0
		.amdhsa_system_sgpr_workgroup_id_z 0
		.amdhsa_system_sgpr_workgroup_info 0
		.amdhsa_system_vgpr_workitem_id 0
		.amdhsa_next_free_vgpr 1
		.amdhsa_next_free_sgpr 1
		.amdhsa_reserve_vcc 0
		.amdhsa_reserve_flat_scratch 0
		.amdhsa_float_round_mode_32 0
		.amdhsa_float_round_mode_16_64 0
		.amdhsa_float_denorm_mode_32 3
		.amdhsa_float_denorm_mode_16_64 3
		.amdhsa_dx10_clamp 1
		.amdhsa_ieee_mode 1
		.amdhsa_fp16_overflow 0
		.amdhsa_workgroup_processor_mode 1
		.amdhsa_memory_ordered 1
		.amdhsa_forward_progress 1
		.amdhsa_shared_vgpr_count 0
		.amdhsa_exception_fp_ieee_invalid_op 0
		.amdhsa_exception_fp_denorm_src 0
		.amdhsa_exception_fp_ieee_div_zero 0
		.amdhsa_exception_fp_ieee_overflow 0
		.amdhsa_exception_fp_ieee_underflow 0
		.amdhsa_exception_fp_ieee_inexact 0
		.amdhsa_exception_int_div_zero 0
	.end_amdhsa_kernel
	.section	.text._ZN7rocprim17ROCPRIM_400000_NS6detail17trampoline_kernelINS0_14default_configENS1_27scan_by_key_config_selectorIj11FixedVectorIiLj2EEEEZZNS1_16scan_by_key_implILNS1_25lookback_scan_determinismE0ELb0ES3_N6thrust23THRUST_200600_302600_NS6detail15normal_iteratorINSB_10device_ptrIjEEEENSD_INSE_IS6_EEEESI_S6_NSB_4plusIvEENSB_8equal_toIvEES6_EE10hipError_tPvRmT2_T3_T4_T5_mT6_T7_P12ihipStream_tbENKUlT_T0_E_clISt17integral_constantIbLb1EES13_EEDaSY_SZ_EUlSY_E_NS1_11comp_targetILNS1_3genE10ELNS1_11target_archE1201ELNS1_3gpuE5ELNS1_3repE0EEENS1_30default_config_static_selectorELNS0_4arch9wavefront6targetE0EEEvT1_,"axG",@progbits,_ZN7rocprim17ROCPRIM_400000_NS6detail17trampoline_kernelINS0_14default_configENS1_27scan_by_key_config_selectorIj11FixedVectorIiLj2EEEEZZNS1_16scan_by_key_implILNS1_25lookback_scan_determinismE0ELb0ES3_N6thrust23THRUST_200600_302600_NS6detail15normal_iteratorINSB_10device_ptrIjEEEENSD_INSE_IS6_EEEESI_S6_NSB_4plusIvEENSB_8equal_toIvEES6_EE10hipError_tPvRmT2_T3_T4_T5_mT6_T7_P12ihipStream_tbENKUlT_T0_E_clISt17integral_constantIbLb1EES13_EEDaSY_SZ_EUlSY_E_NS1_11comp_targetILNS1_3genE10ELNS1_11target_archE1201ELNS1_3gpuE5ELNS1_3repE0EEENS1_30default_config_static_selectorELNS0_4arch9wavefront6targetE0EEEvT1_,comdat
.Lfunc_end1963:
	.size	_ZN7rocprim17ROCPRIM_400000_NS6detail17trampoline_kernelINS0_14default_configENS1_27scan_by_key_config_selectorIj11FixedVectorIiLj2EEEEZZNS1_16scan_by_key_implILNS1_25lookback_scan_determinismE0ELb0ES3_N6thrust23THRUST_200600_302600_NS6detail15normal_iteratorINSB_10device_ptrIjEEEENSD_INSE_IS6_EEEESI_S6_NSB_4plusIvEENSB_8equal_toIvEES6_EE10hipError_tPvRmT2_T3_T4_T5_mT6_T7_P12ihipStream_tbENKUlT_T0_E_clISt17integral_constantIbLb1EES13_EEDaSY_SZ_EUlSY_E_NS1_11comp_targetILNS1_3genE10ELNS1_11target_archE1201ELNS1_3gpuE5ELNS1_3repE0EEENS1_30default_config_static_selectorELNS0_4arch9wavefront6targetE0EEEvT1_, .Lfunc_end1963-_ZN7rocprim17ROCPRIM_400000_NS6detail17trampoline_kernelINS0_14default_configENS1_27scan_by_key_config_selectorIj11FixedVectorIiLj2EEEEZZNS1_16scan_by_key_implILNS1_25lookback_scan_determinismE0ELb0ES3_N6thrust23THRUST_200600_302600_NS6detail15normal_iteratorINSB_10device_ptrIjEEEENSD_INSE_IS6_EEEESI_S6_NSB_4plusIvEENSB_8equal_toIvEES6_EE10hipError_tPvRmT2_T3_T4_T5_mT6_T7_P12ihipStream_tbENKUlT_T0_E_clISt17integral_constantIbLb1EES13_EEDaSY_SZ_EUlSY_E_NS1_11comp_targetILNS1_3genE10ELNS1_11target_archE1201ELNS1_3gpuE5ELNS1_3repE0EEENS1_30default_config_static_selectorELNS0_4arch9wavefront6targetE0EEEvT1_
                                        ; -- End function
	.set _ZN7rocprim17ROCPRIM_400000_NS6detail17trampoline_kernelINS0_14default_configENS1_27scan_by_key_config_selectorIj11FixedVectorIiLj2EEEEZZNS1_16scan_by_key_implILNS1_25lookback_scan_determinismE0ELb0ES3_N6thrust23THRUST_200600_302600_NS6detail15normal_iteratorINSB_10device_ptrIjEEEENSD_INSE_IS6_EEEESI_S6_NSB_4plusIvEENSB_8equal_toIvEES6_EE10hipError_tPvRmT2_T3_T4_T5_mT6_T7_P12ihipStream_tbENKUlT_T0_E_clISt17integral_constantIbLb1EES13_EEDaSY_SZ_EUlSY_E_NS1_11comp_targetILNS1_3genE10ELNS1_11target_archE1201ELNS1_3gpuE5ELNS1_3repE0EEENS1_30default_config_static_selectorELNS0_4arch9wavefront6targetE0EEEvT1_.num_vgpr, 0
	.set _ZN7rocprim17ROCPRIM_400000_NS6detail17trampoline_kernelINS0_14default_configENS1_27scan_by_key_config_selectorIj11FixedVectorIiLj2EEEEZZNS1_16scan_by_key_implILNS1_25lookback_scan_determinismE0ELb0ES3_N6thrust23THRUST_200600_302600_NS6detail15normal_iteratorINSB_10device_ptrIjEEEENSD_INSE_IS6_EEEESI_S6_NSB_4plusIvEENSB_8equal_toIvEES6_EE10hipError_tPvRmT2_T3_T4_T5_mT6_T7_P12ihipStream_tbENKUlT_T0_E_clISt17integral_constantIbLb1EES13_EEDaSY_SZ_EUlSY_E_NS1_11comp_targetILNS1_3genE10ELNS1_11target_archE1201ELNS1_3gpuE5ELNS1_3repE0EEENS1_30default_config_static_selectorELNS0_4arch9wavefront6targetE0EEEvT1_.num_agpr, 0
	.set _ZN7rocprim17ROCPRIM_400000_NS6detail17trampoline_kernelINS0_14default_configENS1_27scan_by_key_config_selectorIj11FixedVectorIiLj2EEEEZZNS1_16scan_by_key_implILNS1_25lookback_scan_determinismE0ELb0ES3_N6thrust23THRUST_200600_302600_NS6detail15normal_iteratorINSB_10device_ptrIjEEEENSD_INSE_IS6_EEEESI_S6_NSB_4plusIvEENSB_8equal_toIvEES6_EE10hipError_tPvRmT2_T3_T4_T5_mT6_T7_P12ihipStream_tbENKUlT_T0_E_clISt17integral_constantIbLb1EES13_EEDaSY_SZ_EUlSY_E_NS1_11comp_targetILNS1_3genE10ELNS1_11target_archE1201ELNS1_3gpuE5ELNS1_3repE0EEENS1_30default_config_static_selectorELNS0_4arch9wavefront6targetE0EEEvT1_.numbered_sgpr, 0
	.set _ZN7rocprim17ROCPRIM_400000_NS6detail17trampoline_kernelINS0_14default_configENS1_27scan_by_key_config_selectorIj11FixedVectorIiLj2EEEEZZNS1_16scan_by_key_implILNS1_25lookback_scan_determinismE0ELb0ES3_N6thrust23THRUST_200600_302600_NS6detail15normal_iteratorINSB_10device_ptrIjEEEENSD_INSE_IS6_EEEESI_S6_NSB_4plusIvEENSB_8equal_toIvEES6_EE10hipError_tPvRmT2_T3_T4_T5_mT6_T7_P12ihipStream_tbENKUlT_T0_E_clISt17integral_constantIbLb1EES13_EEDaSY_SZ_EUlSY_E_NS1_11comp_targetILNS1_3genE10ELNS1_11target_archE1201ELNS1_3gpuE5ELNS1_3repE0EEENS1_30default_config_static_selectorELNS0_4arch9wavefront6targetE0EEEvT1_.num_named_barrier, 0
	.set _ZN7rocprim17ROCPRIM_400000_NS6detail17trampoline_kernelINS0_14default_configENS1_27scan_by_key_config_selectorIj11FixedVectorIiLj2EEEEZZNS1_16scan_by_key_implILNS1_25lookback_scan_determinismE0ELb0ES3_N6thrust23THRUST_200600_302600_NS6detail15normal_iteratorINSB_10device_ptrIjEEEENSD_INSE_IS6_EEEESI_S6_NSB_4plusIvEENSB_8equal_toIvEES6_EE10hipError_tPvRmT2_T3_T4_T5_mT6_T7_P12ihipStream_tbENKUlT_T0_E_clISt17integral_constantIbLb1EES13_EEDaSY_SZ_EUlSY_E_NS1_11comp_targetILNS1_3genE10ELNS1_11target_archE1201ELNS1_3gpuE5ELNS1_3repE0EEENS1_30default_config_static_selectorELNS0_4arch9wavefront6targetE0EEEvT1_.private_seg_size, 0
	.set _ZN7rocprim17ROCPRIM_400000_NS6detail17trampoline_kernelINS0_14default_configENS1_27scan_by_key_config_selectorIj11FixedVectorIiLj2EEEEZZNS1_16scan_by_key_implILNS1_25lookback_scan_determinismE0ELb0ES3_N6thrust23THRUST_200600_302600_NS6detail15normal_iteratorINSB_10device_ptrIjEEEENSD_INSE_IS6_EEEESI_S6_NSB_4plusIvEENSB_8equal_toIvEES6_EE10hipError_tPvRmT2_T3_T4_T5_mT6_T7_P12ihipStream_tbENKUlT_T0_E_clISt17integral_constantIbLb1EES13_EEDaSY_SZ_EUlSY_E_NS1_11comp_targetILNS1_3genE10ELNS1_11target_archE1201ELNS1_3gpuE5ELNS1_3repE0EEENS1_30default_config_static_selectorELNS0_4arch9wavefront6targetE0EEEvT1_.uses_vcc, 0
	.set _ZN7rocprim17ROCPRIM_400000_NS6detail17trampoline_kernelINS0_14default_configENS1_27scan_by_key_config_selectorIj11FixedVectorIiLj2EEEEZZNS1_16scan_by_key_implILNS1_25lookback_scan_determinismE0ELb0ES3_N6thrust23THRUST_200600_302600_NS6detail15normal_iteratorINSB_10device_ptrIjEEEENSD_INSE_IS6_EEEESI_S6_NSB_4plusIvEENSB_8equal_toIvEES6_EE10hipError_tPvRmT2_T3_T4_T5_mT6_T7_P12ihipStream_tbENKUlT_T0_E_clISt17integral_constantIbLb1EES13_EEDaSY_SZ_EUlSY_E_NS1_11comp_targetILNS1_3genE10ELNS1_11target_archE1201ELNS1_3gpuE5ELNS1_3repE0EEENS1_30default_config_static_selectorELNS0_4arch9wavefront6targetE0EEEvT1_.uses_flat_scratch, 0
	.set _ZN7rocprim17ROCPRIM_400000_NS6detail17trampoline_kernelINS0_14default_configENS1_27scan_by_key_config_selectorIj11FixedVectorIiLj2EEEEZZNS1_16scan_by_key_implILNS1_25lookback_scan_determinismE0ELb0ES3_N6thrust23THRUST_200600_302600_NS6detail15normal_iteratorINSB_10device_ptrIjEEEENSD_INSE_IS6_EEEESI_S6_NSB_4plusIvEENSB_8equal_toIvEES6_EE10hipError_tPvRmT2_T3_T4_T5_mT6_T7_P12ihipStream_tbENKUlT_T0_E_clISt17integral_constantIbLb1EES13_EEDaSY_SZ_EUlSY_E_NS1_11comp_targetILNS1_3genE10ELNS1_11target_archE1201ELNS1_3gpuE5ELNS1_3repE0EEENS1_30default_config_static_selectorELNS0_4arch9wavefront6targetE0EEEvT1_.has_dyn_sized_stack, 0
	.set _ZN7rocprim17ROCPRIM_400000_NS6detail17trampoline_kernelINS0_14default_configENS1_27scan_by_key_config_selectorIj11FixedVectorIiLj2EEEEZZNS1_16scan_by_key_implILNS1_25lookback_scan_determinismE0ELb0ES3_N6thrust23THRUST_200600_302600_NS6detail15normal_iteratorINSB_10device_ptrIjEEEENSD_INSE_IS6_EEEESI_S6_NSB_4plusIvEENSB_8equal_toIvEES6_EE10hipError_tPvRmT2_T3_T4_T5_mT6_T7_P12ihipStream_tbENKUlT_T0_E_clISt17integral_constantIbLb1EES13_EEDaSY_SZ_EUlSY_E_NS1_11comp_targetILNS1_3genE10ELNS1_11target_archE1201ELNS1_3gpuE5ELNS1_3repE0EEENS1_30default_config_static_selectorELNS0_4arch9wavefront6targetE0EEEvT1_.has_recursion, 0
	.set _ZN7rocprim17ROCPRIM_400000_NS6detail17trampoline_kernelINS0_14default_configENS1_27scan_by_key_config_selectorIj11FixedVectorIiLj2EEEEZZNS1_16scan_by_key_implILNS1_25lookback_scan_determinismE0ELb0ES3_N6thrust23THRUST_200600_302600_NS6detail15normal_iteratorINSB_10device_ptrIjEEEENSD_INSE_IS6_EEEESI_S6_NSB_4plusIvEENSB_8equal_toIvEES6_EE10hipError_tPvRmT2_T3_T4_T5_mT6_T7_P12ihipStream_tbENKUlT_T0_E_clISt17integral_constantIbLb1EES13_EEDaSY_SZ_EUlSY_E_NS1_11comp_targetILNS1_3genE10ELNS1_11target_archE1201ELNS1_3gpuE5ELNS1_3repE0EEENS1_30default_config_static_selectorELNS0_4arch9wavefront6targetE0EEEvT1_.has_indirect_call, 0
	.section	.AMDGPU.csdata,"",@progbits
; Kernel info:
; codeLenInByte = 0
; TotalNumSgprs: 0
; NumVgprs: 0
; ScratchSize: 0
; MemoryBound: 0
; FloatMode: 240
; IeeeMode: 1
; LDSByteSize: 0 bytes/workgroup (compile time only)
; SGPRBlocks: 0
; VGPRBlocks: 0
; NumSGPRsForWavesPerEU: 1
; NumVGPRsForWavesPerEU: 1
; Occupancy: 16
; WaveLimiterHint : 0
; COMPUTE_PGM_RSRC2:SCRATCH_EN: 0
; COMPUTE_PGM_RSRC2:USER_SGPR: 6
; COMPUTE_PGM_RSRC2:TRAP_HANDLER: 0
; COMPUTE_PGM_RSRC2:TGID_X_EN: 1
; COMPUTE_PGM_RSRC2:TGID_Y_EN: 0
; COMPUTE_PGM_RSRC2:TGID_Z_EN: 0
; COMPUTE_PGM_RSRC2:TIDIG_COMP_CNT: 0
	.section	.text._ZN7rocprim17ROCPRIM_400000_NS6detail17trampoline_kernelINS0_14default_configENS1_27scan_by_key_config_selectorIj11FixedVectorIiLj2EEEEZZNS1_16scan_by_key_implILNS1_25lookback_scan_determinismE0ELb0ES3_N6thrust23THRUST_200600_302600_NS6detail15normal_iteratorINSB_10device_ptrIjEEEENSD_INSE_IS6_EEEESI_S6_NSB_4plusIvEENSB_8equal_toIvEES6_EE10hipError_tPvRmT2_T3_T4_T5_mT6_T7_P12ihipStream_tbENKUlT_T0_E_clISt17integral_constantIbLb1EES13_EEDaSY_SZ_EUlSY_E_NS1_11comp_targetILNS1_3genE5ELNS1_11target_archE942ELNS1_3gpuE9ELNS1_3repE0EEENS1_30default_config_static_selectorELNS0_4arch9wavefront6targetE0EEEvT1_,"axG",@progbits,_ZN7rocprim17ROCPRIM_400000_NS6detail17trampoline_kernelINS0_14default_configENS1_27scan_by_key_config_selectorIj11FixedVectorIiLj2EEEEZZNS1_16scan_by_key_implILNS1_25lookback_scan_determinismE0ELb0ES3_N6thrust23THRUST_200600_302600_NS6detail15normal_iteratorINSB_10device_ptrIjEEEENSD_INSE_IS6_EEEESI_S6_NSB_4plusIvEENSB_8equal_toIvEES6_EE10hipError_tPvRmT2_T3_T4_T5_mT6_T7_P12ihipStream_tbENKUlT_T0_E_clISt17integral_constantIbLb1EES13_EEDaSY_SZ_EUlSY_E_NS1_11comp_targetILNS1_3genE5ELNS1_11target_archE942ELNS1_3gpuE9ELNS1_3repE0EEENS1_30default_config_static_selectorELNS0_4arch9wavefront6targetE0EEEvT1_,comdat
	.protected	_ZN7rocprim17ROCPRIM_400000_NS6detail17trampoline_kernelINS0_14default_configENS1_27scan_by_key_config_selectorIj11FixedVectorIiLj2EEEEZZNS1_16scan_by_key_implILNS1_25lookback_scan_determinismE0ELb0ES3_N6thrust23THRUST_200600_302600_NS6detail15normal_iteratorINSB_10device_ptrIjEEEENSD_INSE_IS6_EEEESI_S6_NSB_4plusIvEENSB_8equal_toIvEES6_EE10hipError_tPvRmT2_T3_T4_T5_mT6_T7_P12ihipStream_tbENKUlT_T0_E_clISt17integral_constantIbLb1EES13_EEDaSY_SZ_EUlSY_E_NS1_11comp_targetILNS1_3genE5ELNS1_11target_archE942ELNS1_3gpuE9ELNS1_3repE0EEENS1_30default_config_static_selectorELNS0_4arch9wavefront6targetE0EEEvT1_ ; -- Begin function _ZN7rocprim17ROCPRIM_400000_NS6detail17trampoline_kernelINS0_14default_configENS1_27scan_by_key_config_selectorIj11FixedVectorIiLj2EEEEZZNS1_16scan_by_key_implILNS1_25lookback_scan_determinismE0ELb0ES3_N6thrust23THRUST_200600_302600_NS6detail15normal_iteratorINSB_10device_ptrIjEEEENSD_INSE_IS6_EEEESI_S6_NSB_4plusIvEENSB_8equal_toIvEES6_EE10hipError_tPvRmT2_T3_T4_T5_mT6_T7_P12ihipStream_tbENKUlT_T0_E_clISt17integral_constantIbLb1EES13_EEDaSY_SZ_EUlSY_E_NS1_11comp_targetILNS1_3genE5ELNS1_11target_archE942ELNS1_3gpuE9ELNS1_3repE0EEENS1_30default_config_static_selectorELNS0_4arch9wavefront6targetE0EEEvT1_
	.globl	_ZN7rocprim17ROCPRIM_400000_NS6detail17trampoline_kernelINS0_14default_configENS1_27scan_by_key_config_selectorIj11FixedVectorIiLj2EEEEZZNS1_16scan_by_key_implILNS1_25lookback_scan_determinismE0ELb0ES3_N6thrust23THRUST_200600_302600_NS6detail15normal_iteratorINSB_10device_ptrIjEEEENSD_INSE_IS6_EEEESI_S6_NSB_4plusIvEENSB_8equal_toIvEES6_EE10hipError_tPvRmT2_T3_T4_T5_mT6_T7_P12ihipStream_tbENKUlT_T0_E_clISt17integral_constantIbLb1EES13_EEDaSY_SZ_EUlSY_E_NS1_11comp_targetILNS1_3genE5ELNS1_11target_archE942ELNS1_3gpuE9ELNS1_3repE0EEENS1_30default_config_static_selectorELNS0_4arch9wavefront6targetE0EEEvT1_
	.p2align	8
	.type	_ZN7rocprim17ROCPRIM_400000_NS6detail17trampoline_kernelINS0_14default_configENS1_27scan_by_key_config_selectorIj11FixedVectorIiLj2EEEEZZNS1_16scan_by_key_implILNS1_25lookback_scan_determinismE0ELb0ES3_N6thrust23THRUST_200600_302600_NS6detail15normal_iteratorINSB_10device_ptrIjEEEENSD_INSE_IS6_EEEESI_S6_NSB_4plusIvEENSB_8equal_toIvEES6_EE10hipError_tPvRmT2_T3_T4_T5_mT6_T7_P12ihipStream_tbENKUlT_T0_E_clISt17integral_constantIbLb1EES13_EEDaSY_SZ_EUlSY_E_NS1_11comp_targetILNS1_3genE5ELNS1_11target_archE942ELNS1_3gpuE9ELNS1_3repE0EEENS1_30default_config_static_selectorELNS0_4arch9wavefront6targetE0EEEvT1_,@function
_ZN7rocprim17ROCPRIM_400000_NS6detail17trampoline_kernelINS0_14default_configENS1_27scan_by_key_config_selectorIj11FixedVectorIiLj2EEEEZZNS1_16scan_by_key_implILNS1_25lookback_scan_determinismE0ELb0ES3_N6thrust23THRUST_200600_302600_NS6detail15normal_iteratorINSB_10device_ptrIjEEEENSD_INSE_IS6_EEEESI_S6_NSB_4plusIvEENSB_8equal_toIvEES6_EE10hipError_tPvRmT2_T3_T4_T5_mT6_T7_P12ihipStream_tbENKUlT_T0_E_clISt17integral_constantIbLb1EES13_EEDaSY_SZ_EUlSY_E_NS1_11comp_targetILNS1_3genE5ELNS1_11target_archE942ELNS1_3gpuE9ELNS1_3repE0EEENS1_30default_config_static_selectorELNS0_4arch9wavefront6targetE0EEEvT1_: ; @_ZN7rocprim17ROCPRIM_400000_NS6detail17trampoline_kernelINS0_14default_configENS1_27scan_by_key_config_selectorIj11FixedVectorIiLj2EEEEZZNS1_16scan_by_key_implILNS1_25lookback_scan_determinismE0ELb0ES3_N6thrust23THRUST_200600_302600_NS6detail15normal_iteratorINSB_10device_ptrIjEEEENSD_INSE_IS6_EEEESI_S6_NSB_4plusIvEENSB_8equal_toIvEES6_EE10hipError_tPvRmT2_T3_T4_T5_mT6_T7_P12ihipStream_tbENKUlT_T0_E_clISt17integral_constantIbLb1EES13_EEDaSY_SZ_EUlSY_E_NS1_11comp_targetILNS1_3genE5ELNS1_11target_archE942ELNS1_3gpuE9ELNS1_3repE0EEENS1_30default_config_static_selectorELNS0_4arch9wavefront6targetE0EEEvT1_
; %bb.0:
	.section	.rodata,"a",@progbits
	.p2align	6, 0x0
	.amdhsa_kernel _ZN7rocprim17ROCPRIM_400000_NS6detail17trampoline_kernelINS0_14default_configENS1_27scan_by_key_config_selectorIj11FixedVectorIiLj2EEEEZZNS1_16scan_by_key_implILNS1_25lookback_scan_determinismE0ELb0ES3_N6thrust23THRUST_200600_302600_NS6detail15normal_iteratorINSB_10device_ptrIjEEEENSD_INSE_IS6_EEEESI_S6_NSB_4plusIvEENSB_8equal_toIvEES6_EE10hipError_tPvRmT2_T3_T4_T5_mT6_T7_P12ihipStream_tbENKUlT_T0_E_clISt17integral_constantIbLb1EES13_EEDaSY_SZ_EUlSY_E_NS1_11comp_targetILNS1_3genE5ELNS1_11target_archE942ELNS1_3gpuE9ELNS1_3repE0EEENS1_30default_config_static_selectorELNS0_4arch9wavefront6targetE0EEEvT1_
		.amdhsa_group_segment_fixed_size 0
		.amdhsa_private_segment_fixed_size 0
		.amdhsa_kernarg_size 120
		.amdhsa_user_sgpr_count 6
		.amdhsa_user_sgpr_private_segment_buffer 1
		.amdhsa_user_sgpr_dispatch_ptr 0
		.amdhsa_user_sgpr_queue_ptr 0
		.amdhsa_user_sgpr_kernarg_segment_ptr 1
		.amdhsa_user_sgpr_dispatch_id 0
		.amdhsa_user_sgpr_flat_scratch_init 0
		.amdhsa_user_sgpr_private_segment_size 0
		.amdhsa_wavefront_size32 1
		.amdhsa_uses_dynamic_stack 0
		.amdhsa_system_sgpr_private_segment_wavefront_offset 0
		.amdhsa_system_sgpr_workgroup_id_x 1
		.amdhsa_system_sgpr_workgroup_id_y 0
		.amdhsa_system_sgpr_workgroup_id_z 0
		.amdhsa_system_sgpr_workgroup_info 0
		.amdhsa_system_vgpr_workitem_id 0
		.amdhsa_next_free_vgpr 1
		.amdhsa_next_free_sgpr 1
		.amdhsa_reserve_vcc 0
		.amdhsa_reserve_flat_scratch 0
		.amdhsa_float_round_mode_32 0
		.amdhsa_float_round_mode_16_64 0
		.amdhsa_float_denorm_mode_32 3
		.amdhsa_float_denorm_mode_16_64 3
		.amdhsa_dx10_clamp 1
		.amdhsa_ieee_mode 1
		.amdhsa_fp16_overflow 0
		.amdhsa_workgroup_processor_mode 1
		.amdhsa_memory_ordered 1
		.amdhsa_forward_progress 1
		.amdhsa_shared_vgpr_count 0
		.amdhsa_exception_fp_ieee_invalid_op 0
		.amdhsa_exception_fp_denorm_src 0
		.amdhsa_exception_fp_ieee_div_zero 0
		.amdhsa_exception_fp_ieee_overflow 0
		.amdhsa_exception_fp_ieee_underflow 0
		.amdhsa_exception_fp_ieee_inexact 0
		.amdhsa_exception_int_div_zero 0
	.end_amdhsa_kernel
	.section	.text._ZN7rocprim17ROCPRIM_400000_NS6detail17trampoline_kernelINS0_14default_configENS1_27scan_by_key_config_selectorIj11FixedVectorIiLj2EEEEZZNS1_16scan_by_key_implILNS1_25lookback_scan_determinismE0ELb0ES3_N6thrust23THRUST_200600_302600_NS6detail15normal_iteratorINSB_10device_ptrIjEEEENSD_INSE_IS6_EEEESI_S6_NSB_4plusIvEENSB_8equal_toIvEES6_EE10hipError_tPvRmT2_T3_T4_T5_mT6_T7_P12ihipStream_tbENKUlT_T0_E_clISt17integral_constantIbLb1EES13_EEDaSY_SZ_EUlSY_E_NS1_11comp_targetILNS1_3genE5ELNS1_11target_archE942ELNS1_3gpuE9ELNS1_3repE0EEENS1_30default_config_static_selectorELNS0_4arch9wavefront6targetE0EEEvT1_,"axG",@progbits,_ZN7rocprim17ROCPRIM_400000_NS6detail17trampoline_kernelINS0_14default_configENS1_27scan_by_key_config_selectorIj11FixedVectorIiLj2EEEEZZNS1_16scan_by_key_implILNS1_25lookback_scan_determinismE0ELb0ES3_N6thrust23THRUST_200600_302600_NS6detail15normal_iteratorINSB_10device_ptrIjEEEENSD_INSE_IS6_EEEESI_S6_NSB_4plusIvEENSB_8equal_toIvEES6_EE10hipError_tPvRmT2_T3_T4_T5_mT6_T7_P12ihipStream_tbENKUlT_T0_E_clISt17integral_constantIbLb1EES13_EEDaSY_SZ_EUlSY_E_NS1_11comp_targetILNS1_3genE5ELNS1_11target_archE942ELNS1_3gpuE9ELNS1_3repE0EEENS1_30default_config_static_selectorELNS0_4arch9wavefront6targetE0EEEvT1_,comdat
.Lfunc_end1964:
	.size	_ZN7rocprim17ROCPRIM_400000_NS6detail17trampoline_kernelINS0_14default_configENS1_27scan_by_key_config_selectorIj11FixedVectorIiLj2EEEEZZNS1_16scan_by_key_implILNS1_25lookback_scan_determinismE0ELb0ES3_N6thrust23THRUST_200600_302600_NS6detail15normal_iteratorINSB_10device_ptrIjEEEENSD_INSE_IS6_EEEESI_S6_NSB_4plusIvEENSB_8equal_toIvEES6_EE10hipError_tPvRmT2_T3_T4_T5_mT6_T7_P12ihipStream_tbENKUlT_T0_E_clISt17integral_constantIbLb1EES13_EEDaSY_SZ_EUlSY_E_NS1_11comp_targetILNS1_3genE5ELNS1_11target_archE942ELNS1_3gpuE9ELNS1_3repE0EEENS1_30default_config_static_selectorELNS0_4arch9wavefront6targetE0EEEvT1_, .Lfunc_end1964-_ZN7rocprim17ROCPRIM_400000_NS6detail17trampoline_kernelINS0_14default_configENS1_27scan_by_key_config_selectorIj11FixedVectorIiLj2EEEEZZNS1_16scan_by_key_implILNS1_25lookback_scan_determinismE0ELb0ES3_N6thrust23THRUST_200600_302600_NS6detail15normal_iteratorINSB_10device_ptrIjEEEENSD_INSE_IS6_EEEESI_S6_NSB_4plusIvEENSB_8equal_toIvEES6_EE10hipError_tPvRmT2_T3_T4_T5_mT6_T7_P12ihipStream_tbENKUlT_T0_E_clISt17integral_constantIbLb1EES13_EEDaSY_SZ_EUlSY_E_NS1_11comp_targetILNS1_3genE5ELNS1_11target_archE942ELNS1_3gpuE9ELNS1_3repE0EEENS1_30default_config_static_selectorELNS0_4arch9wavefront6targetE0EEEvT1_
                                        ; -- End function
	.set _ZN7rocprim17ROCPRIM_400000_NS6detail17trampoline_kernelINS0_14default_configENS1_27scan_by_key_config_selectorIj11FixedVectorIiLj2EEEEZZNS1_16scan_by_key_implILNS1_25lookback_scan_determinismE0ELb0ES3_N6thrust23THRUST_200600_302600_NS6detail15normal_iteratorINSB_10device_ptrIjEEEENSD_INSE_IS6_EEEESI_S6_NSB_4plusIvEENSB_8equal_toIvEES6_EE10hipError_tPvRmT2_T3_T4_T5_mT6_T7_P12ihipStream_tbENKUlT_T0_E_clISt17integral_constantIbLb1EES13_EEDaSY_SZ_EUlSY_E_NS1_11comp_targetILNS1_3genE5ELNS1_11target_archE942ELNS1_3gpuE9ELNS1_3repE0EEENS1_30default_config_static_selectorELNS0_4arch9wavefront6targetE0EEEvT1_.num_vgpr, 0
	.set _ZN7rocprim17ROCPRIM_400000_NS6detail17trampoline_kernelINS0_14default_configENS1_27scan_by_key_config_selectorIj11FixedVectorIiLj2EEEEZZNS1_16scan_by_key_implILNS1_25lookback_scan_determinismE0ELb0ES3_N6thrust23THRUST_200600_302600_NS6detail15normal_iteratorINSB_10device_ptrIjEEEENSD_INSE_IS6_EEEESI_S6_NSB_4plusIvEENSB_8equal_toIvEES6_EE10hipError_tPvRmT2_T3_T4_T5_mT6_T7_P12ihipStream_tbENKUlT_T0_E_clISt17integral_constantIbLb1EES13_EEDaSY_SZ_EUlSY_E_NS1_11comp_targetILNS1_3genE5ELNS1_11target_archE942ELNS1_3gpuE9ELNS1_3repE0EEENS1_30default_config_static_selectorELNS0_4arch9wavefront6targetE0EEEvT1_.num_agpr, 0
	.set _ZN7rocprim17ROCPRIM_400000_NS6detail17trampoline_kernelINS0_14default_configENS1_27scan_by_key_config_selectorIj11FixedVectorIiLj2EEEEZZNS1_16scan_by_key_implILNS1_25lookback_scan_determinismE0ELb0ES3_N6thrust23THRUST_200600_302600_NS6detail15normal_iteratorINSB_10device_ptrIjEEEENSD_INSE_IS6_EEEESI_S6_NSB_4plusIvEENSB_8equal_toIvEES6_EE10hipError_tPvRmT2_T3_T4_T5_mT6_T7_P12ihipStream_tbENKUlT_T0_E_clISt17integral_constantIbLb1EES13_EEDaSY_SZ_EUlSY_E_NS1_11comp_targetILNS1_3genE5ELNS1_11target_archE942ELNS1_3gpuE9ELNS1_3repE0EEENS1_30default_config_static_selectorELNS0_4arch9wavefront6targetE0EEEvT1_.numbered_sgpr, 0
	.set _ZN7rocprim17ROCPRIM_400000_NS6detail17trampoline_kernelINS0_14default_configENS1_27scan_by_key_config_selectorIj11FixedVectorIiLj2EEEEZZNS1_16scan_by_key_implILNS1_25lookback_scan_determinismE0ELb0ES3_N6thrust23THRUST_200600_302600_NS6detail15normal_iteratorINSB_10device_ptrIjEEEENSD_INSE_IS6_EEEESI_S6_NSB_4plusIvEENSB_8equal_toIvEES6_EE10hipError_tPvRmT2_T3_T4_T5_mT6_T7_P12ihipStream_tbENKUlT_T0_E_clISt17integral_constantIbLb1EES13_EEDaSY_SZ_EUlSY_E_NS1_11comp_targetILNS1_3genE5ELNS1_11target_archE942ELNS1_3gpuE9ELNS1_3repE0EEENS1_30default_config_static_selectorELNS0_4arch9wavefront6targetE0EEEvT1_.num_named_barrier, 0
	.set _ZN7rocprim17ROCPRIM_400000_NS6detail17trampoline_kernelINS0_14default_configENS1_27scan_by_key_config_selectorIj11FixedVectorIiLj2EEEEZZNS1_16scan_by_key_implILNS1_25lookback_scan_determinismE0ELb0ES3_N6thrust23THRUST_200600_302600_NS6detail15normal_iteratorINSB_10device_ptrIjEEEENSD_INSE_IS6_EEEESI_S6_NSB_4plusIvEENSB_8equal_toIvEES6_EE10hipError_tPvRmT2_T3_T4_T5_mT6_T7_P12ihipStream_tbENKUlT_T0_E_clISt17integral_constantIbLb1EES13_EEDaSY_SZ_EUlSY_E_NS1_11comp_targetILNS1_3genE5ELNS1_11target_archE942ELNS1_3gpuE9ELNS1_3repE0EEENS1_30default_config_static_selectorELNS0_4arch9wavefront6targetE0EEEvT1_.private_seg_size, 0
	.set _ZN7rocprim17ROCPRIM_400000_NS6detail17trampoline_kernelINS0_14default_configENS1_27scan_by_key_config_selectorIj11FixedVectorIiLj2EEEEZZNS1_16scan_by_key_implILNS1_25lookback_scan_determinismE0ELb0ES3_N6thrust23THRUST_200600_302600_NS6detail15normal_iteratorINSB_10device_ptrIjEEEENSD_INSE_IS6_EEEESI_S6_NSB_4plusIvEENSB_8equal_toIvEES6_EE10hipError_tPvRmT2_T3_T4_T5_mT6_T7_P12ihipStream_tbENKUlT_T0_E_clISt17integral_constantIbLb1EES13_EEDaSY_SZ_EUlSY_E_NS1_11comp_targetILNS1_3genE5ELNS1_11target_archE942ELNS1_3gpuE9ELNS1_3repE0EEENS1_30default_config_static_selectorELNS0_4arch9wavefront6targetE0EEEvT1_.uses_vcc, 0
	.set _ZN7rocprim17ROCPRIM_400000_NS6detail17trampoline_kernelINS0_14default_configENS1_27scan_by_key_config_selectorIj11FixedVectorIiLj2EEEEZZNS1_16scan_by_key_implILNS1_25lookback_scan_determinismE0ELb0ES3_N6thrust23THRUST_200600_302600_NS6detail15normal_iteratorINSB_10device_ptrIjEEEENSD_INSE_IS6_EEEESI_S6_NSB_4plusIvEENSB_8equal_toIvEES6_EE10hipError_tPvRmT2_T3_T4_T5_mT6_T7_P12ihipStream_tbENKUlT_T0_E_clISt17integral_constantIbLb1EES13_EEDaSY_SZ_EUlSY_E_NS1_11comp_targetILNS1_3genE5ELNS1_11target_archE942ELNS1_3gpuE9ELNS1_3repE0EEENS1_30default_config_static_selectorELNS0_4arch9wavefront6targetE0EEEvT1_.uses_flat_scratch, 0
	.set _ZN7rocprim17ROCPRIM_400000_NS6detail17trampoline_kernelINS0_14default_configENS1_27scan_by_key_config_selectorIj11FixedVectorIiLj2EEEEZZNS1_16scan_by_key_implILNS1_25lookback_scan_determinismE0ELb0ES3_N6thrust23THRUST_200600_302600_NS6detail15normal_iteratorINSB_10device_ptrIjEEEENSD_INSE_IS6_EEEESI_S6_NSB_4plusIvEENSB_8equal_toIvEES6_EE10hipError_tPvRmT2_T3_T4_T5_mT6_T7_P12ihipStream_tbENKUlT_T0_E_clISt17integral_constantIbLb1EES13_EEDaSY_SZ_EUlSY_E_NS1_11comp_targetILNS1_3genE5ELNS1_11target_archE942ELNS1_3gpuE9ELNS1_3repE0EEENS1_30default_config_static_selectorELNS0_4arch9wavefront6targetE0EEEvT1_.has_dyn_sized_stack, 0
	.set _ZN7rocprim17ROCPRIM_400000_NS6detail17trampoline_kernelINS0_14default_configENS1_27scan_by_key_config_selectorIj11FixedVectorIiLj2EEEEZZNS1_16scan_by_key_implILNS1_25lookback_scan_determinismE0ELb0ES3_N6thrust23THRUST_200600_302600_NS6detail15normal_iteratorINSB_10device_ptrIjEEEENSD_INSE_IS6_EEEESI_S6_NSB_4plusIvEENSB_8equal_toIvEES6_EE10hipError_tPvRmT2_T3_T4_T5_mT6_T7_P12ihipStream_tbENKUlT_T0_E_clISt17integral_constantIbLb1EES13_EEDaSY_SZ_EUlSY_E_NS1_11comp_targetILNS1_3genE5ELNS1_11target_archE942ELNS1_3gpuE9ELNS1_3repE0EEENS1_30default_config_static_selectorELNS0_4arch9wavefront6targetE0EEEvT1_.has_recursion, 0
	.set _ZN7rocprim17ROCPRIM_400000_NS6detail17trampoline_kernelINS0_14default_configENS1_27scan_by_key_config_selectorIj11FixedVectorIiLj2EEEEZZNS1_16scan_by_key_implILNS1_25lookback_scan_determinismE0ELb0ES3_N6thrust23THRUST_200600_302600_NS6detail15normal_iteratorINSB_10device_ptrIjEEEENSD_INSE_IS6_EEEESI_S6_NSB_4plusIvEENSB_8equal_toIvEES6_EE10hipError_tPvRmT2_T3_T4_T5_mT6_T7_P12ihipStream_tbENKUlT_T0_E_clISt17integral_constantIbLb1EES13_EEDaSY_SZ_EUlSY_E_NS1_11comp_targetILNS1_3genE5ELNS1_11target_archE942ELNS1_3gpuE9ELNS1_3repE0EEENS1_30default_config_static_selectorELNS0_4arch9wavefront6targetE0EEEvT1_.has_indirect_call, 0
	.section	.AMDGPU.csdata,"",@progbits
; Kernel info:
; codeLenInByte = 0
; TotalNumSgprs: 0
; NumVgprs: 0
; ScratchSize: 0
; MemoryBound: 0
; FloatMode: 240
; IeeeMode: 1
; LDSByteSize: 0 bytes/workgroup (compile time only)
; SGPRBlocks: 0
; VGPRBlocks: 0
; NumSGPRsForWavesPerEU: 1
; NumVGPRsForWavesPerEU: 1
; Occupancy: 16
; WaveLimiterHint : 0
; COMPUTE_PGM_RSRC2:SCRATCH_EN: 0
; COMPUTE_PGM_RSRC2:USER_SGPR: 6
; COMPUTE_PGM_RSRC2:TRAP_HANDLER: 0
; COMPUTE_PGM_RSRC2:TGID_X_EN: 1
; COMPUTE_PGM_RSRC2:TGID_Y_EN: 0
; COMPUTE_PGM_RSRC2:TGID_Z_EN: 0
; COMPUTE_PGM_RSRC2:TIDIG_COMP_CNT: 0
	.section	.text._ZN7rocprim17ROCPRIM_400000_NS6detail17trampoline_kernelINS0_14default_configENS1_27scan_by_key_config_selectorIj11FixedVectorIiLj2EEEEZZNS1_16scan_by_key_implILNS1_25lookback_scan_determinismE0ELb0ES3_N6thrust23THRUST_200600_302600_NS6detail15normal_iteratorINSB_10device_ptrIjEEEENSD_INSE_IS6_EEEESI_S6_NSB_4plusIvEENSB_8equal_toIvEES6_EE10hipError_tPvRmT2_T3_T4_T5_mT6_T7_P12ihipStream_tbENKUlT_T0_E_clISt17integral_constantIbLb1EES13_EEDaSY_SZ_EUlSY_E_NS1_11comp_targetILNS1_3genE4ELNS1_11target_archE910ELNS1_3gpuE8ELNS1_3repE0EEENS1_30default_config_static_selectorELNS0_4arch9wavefront6targetE0EEEvT1_,"axG",@progbits,_ZN7rocprim17ROCPRIM_400000_NS6detail17trampoline_kernelINS0_14default_configENS1_27scan_by_key_config_selectorIj11FixedVectorIiLj2EEEEZZNS1_16scan_by_key_implILNS1_25lookback_scan_determinismE0ELb0ES3_N6thrust23THRUST_200600_302600_NS6detail15normal_iteratorINSB_10device_ptrIjEEEENSD_INSE_IS6_EEEESI_S6_NSB_4plusIvEENSB_8equal_toIvEES6_EE10hipError_tPvRmT2_T3_T4_T5_mT6_T7_P12ihipStream_tbENKUlT_T0_E_clISt17integral_constantIbLb1EES13_EEDaSY_SZ_EUlSY_E_NS1_11comp_targetILNS1_3genE4ELNS1_11target_archE910ELNS1_3gpuE8ELNS1_3repE0EEENS1_30default_config_static_selectorELNS0_4arch9wavefront6targetE0EEEvT1_,comdat
	.protected	_ZN7rocprim17ROCPRIM_400000_NS6detail17trampoline_kernelINS0_14default_configENS1_27scan_by_key_config_selectorIj11FixedVectorIiLj2EEEEZZNS1_16scan_by_key_implILNS1_25lookback_scan_determinismE0ELb0ES3_N6thrust23THRUST_200600_302600_NS6detail15normal_iteratorINSB_10device_ptrIjEEEENSD_INSE_IS6_EEEESI_S6_NSB_4plusIvEENSB_8equal_toIvEES6_EE10hipError_tPvRmT2_T3_T4_T5_mT6_T7_P12ihipStream_tbENKUlT_T0_E_clISt17integral_constantIbLb1EES13_EEDaSY_SZ_EUlSY_E_NS1_11comp_targetILNS1_3genE4ELNS1_11target_archE910ELNS1_3gpuE8ELNS1_3repE0EEENS1_30default_config_static_selectorELNS0_4arch9wavefront6targetE0EEEvT1_ ; -- Begin function _ZN7rocprim17ROCPRIM_400000_NS6detail17trampoline_kernelINS0_14default_configENS1_27scan_by_key_config_selectorIj11FixedVectorIiLj2EEEEZZNS1_16scan_by_key_implILNS1_25lookback_scan_determinismE0ELb0ES3_N6thrust23THRUST_200600_302600_NS6detail15normal_iteratorINSB_10device_ptrIjEEEENSD_INSE_IS6_EEEESI_S6_NSB_4plusIvEENSB_8equal_toIvEES6_EE10hipError_tPvRmT2_T3_T4_T5_mT6_T7_P12ihipStream_tbENKUlT_T0_E_clISt17integral_constantIbLb1EES13_EEDaSY_SZ_EUlSY_E_NS1_11comp_targetILNS1_3genE4ELNS1_11target_archE910ELNS1_3gpuE8ELNS1_3repE0EEENS1_30default_config_static_selectorELNS0_4arch9wavefront6targetE0EEEvT1_
	.globl	_ZN7rocprim17ROCPRIM_400000_NS6detail17trampoline_kernelINS0_14default_configENS1_27scan_by_key_config_selectorIj11FixedVectorIiLj2EEEEZZNS1_16scan_by_key_implILNS1_25lookback_scan_determinismE0ELb0ES3_N6thrust23THRUST_200600_302600_NS6detail15normal_iteratorINSB_10device_ptrIjEEEENSD_INSE_IS6_EEEESI_S6_NSB_4plusIvEENSB_8equal_toIvEES6_EE10hipError_tPvRmT2_T3_T4_T5_mT6_T7_P12ihipStream_tbENKUlT_T0_E_clISt17integral_constantIbLb1EES13_EEDaSY_SZ_EUlSY_E_NS1_11comp_targetILNS1_3genE4ELNS1_11target_archE910ELNS1_3gpuE8ELNS1_3repE0EEENS1_30default_config_static_selectorELNS0_4arch9wavefront6targetE0EEEvT1_
	.p2align	8
	.type	_ZN7rocprim17ROCPRIM_400000_NS6detail17trampoline_kernelINS0_14default_configENS1_27scan_by_key_config_selectorIj11FixedVectorIiLj2EEEEZZNS1_16scan_by_key_implILNS1_25lookback_scan_determinismE0ELb0ES3_N6thrust23THRUST_200600_302600_NS6detail15normal_iteratorINSB_10device_ptrIjEEEENSD_INSE_IS6_EEEESI_S6_NSB_4plusIvEENSB_8equal_toIvEES6_EE10hipError_tPvRmT2_T3_T4_T5_mT6_T7_P12ihipStream_tbENKUlT_T0_E_clISt17integral_constantIbLb1EES13_EEDaSY_SZ_EUlSY_E_NS1_11comp_targetILNS1_3genE4ELNS1_11target_archE910ELNS1_3gpuE8ELNS1_3repE0EEENS1_30default_config_static_selectorELNS0_4arch9wavefront6targetE0EEEvT1_,@function
_ZN7rocprim17ROCPRIM_400000_NS6detail17trampoline_kernelINS0_14default_configENS1_27scan_by_key_config_selectorIj11FixedVectorIiLj2EEEEZZNS1_16scan_by_key_implILNS1_25lookback_scan_determinismE0ELb0ES3_N6thrust23THRUST_200600_302600_NS6detail15normal_iteratorINSB_10device_ptrIjEEEENSD_INSE_IS6_EEEESI_S6_NSB_4plusIvEENSB_8equal_toIvEES6_EE10hipError_tPvRmT2_T3_T4_T5_mT6_T7_P12ihipStream_tbENKUlT_T0_E_clISt17integral_constantIbLb1EES13_EEDaSY_SZ_EUlSY_E_NS1_11comp_targetILNS1_3genE4ELNS1_11target_archE910ELNS1_3gpuE8ELNS1_3repE0EEENS1_30default_config_static_selectorELNS0_4arch9wavefront6targetE0EEEvT1_: ; @_ZN7rocprim17ROCPRIM_400000_NS6detail17trampoline_kernelINS0_14default_configENS1_27scan_by_key_config_selectorIj11FixedVectorIiLj2EEEEZZNS1_16scan_by_key_implILNS1_25lookback_scan_determinismE0ELb0ES3_N6thrust23THRUST_200600_302600_NS6detail15normal_iteratorINSB_10device_ptrIjEEEENSD_INSE_IS6_EEEESI_S6_NSB_4plusIvEENSB_8equal_toIvEES6_EE10hipError_tPvRmT2_T3_T4_T5_mT6_T7_P12ihipStream_tbENKUlT_T0_E_clISt17integral_constantIbLb1EES13_EEDaSY_SZ_EUlSY_E_NS1_11comp_targetILNS1_3genE4ELNS1_11target_archE910ELNS1_3gpuE8ELNS1_3repE0EEENS1_30default_config_static_selectorELNS0_4arch9wavefront6targetE0EEEvT1_
; %bb.0:
	.section	.rodata,"a",@progbits
	.p2align	6, 0x0
	.amdhsa_kernel _ZN7rocprim17ROCPRIM_400000_NS6detail17trampoline_kernelINS0_14default_configENS1_27scan_by_key_config_selectorIj11FixedVectorIiLj2EEEEZZNS1_16scan_by_key_implILNS1_25lookback_scan_determinismE0ELb0ES3_N6thrust23THRUST_200600_302600_NS6detail15normal_iteratorINSB_10device_ptrIjEEEENSD_INSE_IS6_EEEESI_S6_NSB_4plusIvEENSB_8equal_toIvEES6_EE10hipError_tPvRmT2_T3_T4_T5_mT6_T7_P12ihipStream_tbENKUlT_T0_E_clISt17integral_constantIbLb1EES13_EEDaSY_SZ_EUlSY_E_NS1_11comp_targetILNS1_3genE4ELNS1_11target_archE910ELNS1_3gpuE8ELNS1_3repE0EEENS1_30default_config_static_selectorELNS0_4arch9wavefront6targetE0EEEvT1_
		.amdhsa_group_segment_fixed_size 0
		.amdhsa_private_segment_fixed_size 0
		.amdhsa_kernarg_size 120
		.amdhsa_user_sgpr_count 6
		.amdhsa_user_sgpr_private_segment_buffer 1
		.amdhsa_user_sgpr_dispatch_ptr 0
		.amdhsa_user_sgpr_queue_ptr 0
		.amdhsa_user_sgpr_kernarg_segment_ptr 1
		.amdhsa_user_sgpr_dispatch_id 0
		.amdhsa_user_sgpr_flat_scratch_init 0
		.amdhsa_user_sgpr_private_segment_size 0
		.amdhsa_wavefront_size32 1
		.amdhsa_uses_dynamic_stack 0
		.amdhsa_system_sgpr_private_segment_wavefront_offset 0
		.amdhsa_system_sgpr_workgroup_id_x 1
		.amdhsa_system_sgpr_workgroup_id_y 0
		.amdhsa_system_sgpr_workgroup_id_z 0
		.amdhsa_system_sgpr_workgroup_info 0
		.amdhsa_system_vgpr_workitem_id 0
		.amdhsa_next_free_vgpr 1
		.amdhsa_next_free_sgpr 1
		.amdhsa_reserve_vcc 0
		.amdhsa_reserve_flat_scratch 0
		.amdhsa_float_round_mode_32 0
		.amdhsa_float_round_mode_16_64 0
		.amdhsa_float_denorm_mode_32 3
		.amdhsa_float_denorm_mode_16_64 3
		.amdhsa_dx10_clamp 1
		.amdhsa_ieee_mode 1
		.amdhsa_fp16_overflow 0
		.amdhsa_workgroup_processor_mode 1
		.amdhsa_memory_ordered 1
		.amdhsa_forward_progress 1
		.amdhsa_shared_vgpr_count 0
		.amdhsa_exception_fp_ieee_invalid_op 0
		.amdhsa_exception_fp_denorm_src 0
		.amdhsa_exception_fp_ieee_div_zero 0
		.amdhsa_exception_fp_ieee_overflow 0
		.amdhsa_exception_fp_ieee_underflow 0
		.amdhsa_exception_fp_ieee_inexact 0
		.amdhsa_exception_int_div_zero 0
	.end_amdhsa_kernel
	.section	.text._ZN7rocprim17ROCPRIM_400000_NS6detail17trampoline_kernelINS0_14default_configENS1_27scan_by_key_config_selectorIj11FixedVectorIiLj2EEEEZZNS1_16scan_by_key_implILNS1_25lookback_scan_determinismE0ELb0ES3_N6thrust23THRUST_200600_302600_NS6detail15normal_iteratorINSB_10device_ptrIjEEEENSD_INSE_IS6_EEEESI_S6_NSB_4plusIvEENSB_8equal_toIvEES6_EE10hipError_tPvRmT2_T3_T4_T5_mT6_T7_P12ihipStream_tbENKUlT_T0_E_clISt17integral_constantIbLb1EES13_EEDaSY_SZ_EUlSY_E_NS1_11comp_targetILNS1_3genE4ELNS1_11target_archE910ELNS1_3gpuE8ELNS1_3repE0EEENS1_30default_config_static_selectorELNS0_4arch9wavefront6targetE0EEEvT1_,"axG",@progbits,_ZN7rocprim17ROCPRIM_400000_NS6detail17trampoline_kernelINS0_14default_configENS1_27scan_by_key_config_selectorIj11FixedVectorIiLj2EEEEZZNS1_16scan_by_key_implILNS1_25lookback_scan_determinismE0ELb0ES3_N6thrust23THRUST_200600_302600_NS6detail15normal_iteratorINSB_10device_ptrIjEEEENSD_INSE_IS6_EEEESI_S6_NSB_4plusIvEENSB_8equal_toIvEES6_EE10hipError_tPvRmT2_T3_T4_T5_mT6_T7_P12ihipStream_tbENKUlT_T0_E_clISt17integral_constantIbLb1EES13_EEDaSY_SZ_EUlSY_E_NS1_11comp_targetILNS1_3genE4ELNS1_11target_archE910ELNS1_3gpuE8ELNS1_3repE0EEENS1_30default_config_static_selectorELNS0_4arch9wavefront6targetE0EEEvT1_,comdat
.Lfunc_end1965:
	.size	_ZN7rocprim17ROCPRIM_400000_NS6detail17trampoline_kernelINS0_14default_configENS1_27scan_by_key_config_selectorIj11FixedVectorIiLj2EEEEZZNS1_16scan_by_key_implILNS1_25lookback_scan_determinismE0ELb0ES3_N6thrust23THRUST_200600_302600_NS6detail15normal_iteratorINSB_10device_ptrIjEEEENSD_INSE_IS6_EEEESI_S6_NSB_4plusIvEENSB_8equal_toIvEES6_EE10hipError_tPvRmT2_T3_T4_T5_mT6_T7_P12ihipStream_tbENKUlT_T0_E_clISt17integral_constantIbLb1EES13_EEDaSY_SZ_EUlSY_E_NS1_11comp_targetILNS1_3genE4ELNS1_11target_archE910ELNS1_3gpuE8ELNS1_3repE0EEENS1_30default_config_static_selectorELNS0_4arch9wavefront6targetE0EEEvT1_, .Lfunc_end1965-_ZN7rocprim17ROCPRIM_400000_NS6detail17trampoline_kernelINS0_14default_configENS1_27scan_by_key_config_selectorIj11FixedVectorIiLj2EEEEZZNS1_16scan_by_key_implILNS1_25lookback_scan_determinismE0ELb0ES3_N6thrust23THRUST_200600_302600_NS6detail15normal_iteratorINSB_10device_ptrIjEEEENSD_INSE_IS6_EEEESI_S6_NSB_4plusIvEENSB_8equal_toIvEES6_EE10hipError_tPvRmT2_T3_T4_T5_mT6_T7_P12ihipStream_tbENKUlT_T0_E_clISt17integral_constantIbLb1EES13_EEDaSY_SZ_EUlSY_E_NS1_11comp_targetILNS1_3genE4ELNS1_11target_archE910ELNS1_3gpuE8ELNS1_3repE0EEENS1_30default_config_static_selectorELNS0_4arch9wavefront6targetE0EEEvT1_
                                        ; -- End function
	.set _ZN7rocprim17ROCPRIM_400000_NS6detail17trampoline_kernelINS0_14default_configENS1_27scan_by_key_config_selectorIj11FixedVectorIiLj2EEEEZZNS1_16scan_by_key_implILNS1_25lookback_scan_determinismE0ELb0ES3_N6thrust23THRUST_200600_302600_NS6detail15normal_iteratorINSB_10device_ptrIjEEEENSD_INSE_IS6_EEEESI_S6_NSB_4plusIvEENSB_8equal_toIvEES6_EE10hipError_tPvRmT2_T3_T4_T5_mT6_T7_P12ihipStream_tbENKUlT_T0_E_clISt17integral_constantIbLb1EES13_EEDaSY_SZ_EUlSY_E_NS1_11comp_targetILNS1_3genE4ELNS1_11target_archE910ELNS1_3gpuE8ELNS1_3repE0EEENS1_30default_config_static_selectorELNS0_4arch9wavefront6targetE0EEEvT1_.num_vgpr, 0
	.set _ZN7rocprim17ROCPRIM_400000_NS6detail17trampoline_kernelINS0_14default_configENS1_27scan_by_key_config_selectorIj11FixedVectorIiLj2EEEEZZNS1_16scan_by_key_implILNS1_25lookback_scan_determinismE0ELb0ES3_N6thrust23THRUST_200600_302600_NS6detail15normal_iteratorINSB_10device_ptrIjEEEENSD_INSE_IS6_EEEESI_S6_NSB_4plusIvEENSB_8equal_toIvEES6_EE10hipError_tPvRmT2_T3_T4_T5_mT6_T7_P12ihipStream_tbENKUlT_T0_E_clISt17integral_constantIbLb1EES13_EEDaSY_SZ_EUlSY_E_NS1_11comp_targetILNS1_3genE4ELNS1_11target_archE910ELNS1_3gpuE8ELNS1_3repE0EEENS1_30default_config_static_selectorELNS0_4arch9wavefront6targetE0EEEvT1_.num_agpr, 0
	.set _ZN7rocprim17ROCPRIM_400000_NS6detail17trampoline_kernelINS0_14default_configENS1_27scan_by_key_config_selectorIj11FixedVectorIiLj2EEEEZZNS1_16scan_by_key_implILNS1_25lookback_scan_determinismE0ELb0ES3_N6thrust23THRUST_200600_302600_NS6detail15normal_iteratorINSB_10device_ptrIjEEEENSD_INSE_IS6_EEEESI_S6_NSB_4plusIvEENSB_8equal_toIvEES6_EE10hipError_tPvRmT2_T3_T4_T5_mT6_T7_P12ihipStream_tbENKUlT_T0_E_clISt17integral_constantIbLb1EES13_EEDaSY_SZ_EUlSY_E_NS1_11comp_targetILNS1_3genE4ELNS1_11target_archE910ELNS1_3gpuE8ELNS1_3repE0EEENS1_30default_config_static_selectorELNS0_4arch9wavefront6targetE0EEEvT1_.numbered_sgpr, 0
	.set _ZN7rocprim17ROCPRIM_400000_NS6detail17trampoline_kernelINS0_14default_configENS1_27scan_by_key_config_selectorIj11FixedVectorIiLj2EEEEZZNS1_16scan_by_key_implILNS1_25lookback_scan_determinismE0ELb0ES3_N6thrust23THRUST_200600_302600_NS6detail15normal_iteratorINSB_10device_ptrIjEEEENSD_INSE_IS6_EEEESI_S6_NSB_4plusIvEENSB_8equal_toIvEES6_EE10hipError_tPvRmT2_T3_T4_T5_mT6_T7_P12ihipStream_tbENKUlT_T0_E_clISt17integral_constantIbLb1EES13_EEDaSY_SZ_EUlSY_E_NS1_11comp_targetILNS1_3genE4ELNS1_11target_archE910ELNS1_3gpuE8ELNS1_3repE0EEENS1_30default_config_static_selectorELNS0_4arch9wavefront6targetE0EEEvT1_.num_named_barrier, 0
	.set _ZN7rocprim17ROCPRIM_400000_NS6detail17trampoline_kernelINS0_14default_configENS1_27scan_by_key_config_selectorIj11FixedVectorIiLj2EEEEZZNS1_16scan_by_key_implILNS1_25lookback_scan_determinismE0ELb0ES3_N6thrust23THRUST_200600_302600_NS6detail15normal_iteratorINSB_10device_ptrIjEEEENSD_INSE_IS6_EEEESI_S6_NSB_4plusIvEENSB_8equal_toIvEES6_EE10hipError_tPvRmT2_T3_T4_T5_mT6_T7_P12ihipStream_tbENKUlT_T0_E_clISt17integral_constantIbLb1EES13_EEDaSY_SZ_EUlSY_E_NS1_11comp_targetILNS1_3genE4ELNS1_11target_archE910ELNS1_3gpuE8ELNS1_3repE0EEENS1_30default_config_static_selectorELNS0_4arch9wavefront6targetE0EEEvT1_.private_seg_size, 0
	.set _ZN7rocprim17ROCPRIM_400000_NS6detail17trampoline_kernelINS0_14default_configENS1_27scan_by_key_config_selectorIj11FixedVectorIiLj2EEEEZZNS1_16scan_by_key_implILNS1_25lookback_scan_determinismE0ELb0ES3_N6thrust23THRUST_200600_302600_NS6detail15normal_iteratorINSB_10device_ptrIjEEEENSD_INSE_IS6_EEEESI_S6_NSB_4plusIvEENSB_8equal_toIvEES6_EE10hipError_tPvRmT2_T3_T4_T5_mT6_T7_P12ihipStream_tbENKUlT_T0_E_clISt17integral_constantIbLb1EES13_EEDaSY_SZ_EUlSY_E_NS1_11comp_targetILNS1_3genE4ELNS1_11target_archE910ELNS1_3gpuE8ELNS1_3repE0EEENS1_30default_config_static_selectorELNS0_4arch9wavefront6targetE0EEEvT1_.uses_vcc, 0
	.set _ZN7rocprim17ROCPRIM_400000_NS6detail17trampoline_kernelINS0_14default_configENS1_27scan_by_key_config_selectorIj11FixedVectorIiLj2EEEEZZNS1_16scan_by_key_implILNS1_25lookback_scan_determinismE0ELb0ES3_N6thrust23THRUST_200600_302600_NS6detail15normal_iteratorINSB_10device_ptrIjEEEENSD_INSE_IS6_EEEESI_S6_NSB_4plusIvEENSB_8equal_toIvEES6_EE10hipError_tPvRmT2_T3_T4_T5_mT6_T7_P12ihipStream_tbENKUlT_T0_E_clISt17integral_constantIbLb1EES13_EEDaSY_SZ_EUlSY_E_NS1_11comp_targetILNS1_3genE4ELNS1_11target_archE910ELNS1_3gpuE8ELNS1_3repE0EEENS1_30default_config_static_selectorELNS0_4arch9wavefront6targetE0EEEvT1_.uses_flat_scratch, 0
	.set _ZN7rocprim17ROCPRIM_400000_NS6detail17trampoline_kernelINS0_14default_configENS1_27scan_by_key_config_selectorIj11FixedVectorIiLj2EEEEZZNS1_16scan_by_key_implILNS1_25lookback_scan_determinismE0ELb0ES3_N6thrust23THRUST_200600_302600_NS6detail15normal_iteratorINSB_10device_ptrIjEEEENSD_INSE_IS6_EEEESI_S6_NSB_4plusIvEENSB_8equal_toIvEES6_EE10hipError_tPvRmT2_T3_T4_T5_mT6_T7_P12ihipStream_tbENKUlT_T0_E_clISt17integral_constantIbLb1EES13_EEDaSY_SZ_EUlSY_E_NS1_11comp_targetILNS1_3genE4ELNS1_11target_archE910ELNS1_3gpuE8ELNS1_3repE0EEENS1_30default_config_static_selectorELNS0_4arch9wavefront6targetE0EEEvT1_.has_dyn_sized_stack, 0
	.set _ZN7rocprim17ROCPRIM_400000_NS6detail17trampoline_kernelINS0_14default_configENS1_27scan_by_key_config_selectorIj11FixedVectorIiLj2EEEEZZNS1_16scan_by_key_implILNS1_25lookback_scan_determinismE0ELb0ES3_N6thrust23THRUST_200600_302600_NS6detail15normal_iteratorINSB_10device_ptrIjEEEENSD_INSE_IS6_EEEESI_S6_NSB_4plusIvEENSB_8equal_toIvEES6_EE10hipError_tPvRmT2_T3_T4_T5_mT6_T7_P12ihipStream_tbENKUlT_T0_E_clISt17integral_constantIbLb1EES13_EEDaSY_SZ_EUlSY_E_NS1_11comp_targetILNS1_3genE4ELNS1_11target_archE910ELNS1_3gpuE8ELNS1_3repE0EEENS1_30default_config_static_selectorELNS0_4arch9wavefront6targetE0EEEvT1_.has_recursion, 0
	.set _ZN7rocprim17ROCPRIM_400000_NS6detail17trampoline_kernelINS0_14default_configENS1_27scan_by_key_config_selectorIj11FixedVectorIiLj2EEEEZZNS1_16scan_by_key_implILNS1_25lookback_scan_determinismE0ELb0ES3_N6thrust23THRUST_200600_302600_NS6detail15normal_iteratorINSB_10device_ptrIjEEEENSD_INSE_IS6_EEEESI_S6_NSB_4plusIvEENSB_8equal_toIvEES6_EE10hipError_tPvRmT2_T3_T4_T5_mT6_T7_P12ihipStream_tbENKUlT_T0_E_clISt17integral_constantIbLb1EES13_EEDaSY_SZ_EUlSY_E_NS1_11comp_targetILNS1_3genE4ELNS1_11target_archE910ELNS1_3gpuE8ELNS1_3repE0EEENS1_30default_config_static_selectorELNS0_4arch9wavefront6targetE0EEEvT1_.has_indirect_call, 0
	.section	.AMDGPU.csdata,"",@progbits
; Kernel info:
; codeLenInByte = 0
; TotalNumSgprs: 0
; NumVgprs: 0
; ScratchSize: 0
; MemoryBound: 0
; FloatMode: 240
; IeeeMode: 1
; LDSByteSize: 0 bytes/workgroup (compile time only)
; SGPRBlocks: 0
; VGPRBlocks: 0
; NumSGPRsForWavesPerEU: 1
; NumVGPRsForWavesPerEU: 1
; Occupancy: 16
; WaveLimiterHint : 0
; COMPUTE_PGM_RSRC2:SCRATCH_EN: 0
; COMPUTE_PGM_RSRC2:USER_SGPR: 6
; COMPUTE_PGM_RSRC2:TRAP_HANDLER: 0
; COMPUTE_PGM_RSRC2:TGID_X_EN: 1
; COMPUTE_PGM_RSRC2:TGID_Y_EN: 0
; COMPUTE_PGM_RSRC2:TGID_Z_EN: 0
; COMPUTE_PGM_RSRC2:TIDIG_COMP_CNT: 0
	.section	.text._ZN7rocprim17ROCPRIM_400000_NS6detail17trampoline_kernelINS0_14default_configENS1_27scan_by_key_config_selectorIj11FixedVectorIiLj2EEEEZZNS1_16scan_by_key_implILNS1_25lookback_scan_determinismE0ELb0ES3_N6thrust23THRUST_200600_302600_NS6detail15normal_iteratorINSB_10device_ptrIjEEEENSD_INSE_IS6_EEEESI_S6_NSB_4plusIvEENSB_8equal_toIvEES6_EE10hipError_tPvRmT2_T3_T4_T5_mT6_T7_P12ihipStream_tbENKUlT_T0_E_clISt17integral_constantIbLb1EES13_EEDaSY_SZ_EUlSY_E_NS1_11comp_targetILNS1_3genE3ELNS1_11target_archE908ELNS1_3gpuE7ELNS1_3repE0EEENS1_30default_config_static_selectorELNS0_4arch9wavefront6targetE0EEEvT1_,"axG",@progbits,_ZN7rocprim17ROCPRIM_400000_NS6detail17trampoline_kernelINS0_14default_configENS1_27scan_by_key_config_selectorIj11FixedVectorIiLj2EEEEZZNS1_16scan_by_key_implILNS1_25lookback_scan_determinismE0ELb0ES3_N6thrust23THRUST_200600_302600_NS6detail15normal_iteratorINSB_10device_ptrIjEEEENSD_INSE_IS6_EEEESI_S6_NSB_4plusIvEENSB_8equal_toIvEES6_EE10hipError_tPvRmT2_T3_T4_T5_mT6_T7_P12ihipStream_tbENKUlT_T0_E_clISt17integral_constantIbLb1EES13_EEDaSY_SZ_EUlSY_E_NS1_11comp_targetILNS1_3genE3ELNS1_11target_archE908ELNS1_3gpuE7ELNS1_3repE0EEENS1_30default_config_static_selectorELNS0_4arch9wavefront6targetE0EEEvT1_,comdat
	.protected	_ZN7rocprim17ROCPRIM_400000_NS6detail17trampoline_kernelINS0_14default_configENS1_27scan_by_key_config_selectorIj11FixedVectorIiLj2EEEEZZNS1_16scan_by_key_implILNS1_25lookback_scan_determinismE0ELb0ES3_N6thrust23THRUST_200600_302600_NS6detail15normal_iteratorINSB_10device_ptrIjEEEENSD_INSE_IS6_EEEESI_S6_NSB_4plusIvEENSB_8equal_toIvEES6_EE10hipError_tPvRmT2_T3_T4_T5_mT6_T7_P12ihipStream_tbENKUlT_T0_E_clISt17integral_constantIbLb1EES13_EEDaSY_SZ_EUlSY_E_NS1_11comp_targetILNS1_3genE3ELNS1_11target_archE908ELNS1_3gpuE7ELNS1_3repE0EEENS1_30default_config_static_selectorELNS0_4arch9wavefront6targetE0EEEvT1_ ; -- Begin function _ZN7rocprim17ROCPRIM_400000_NS6detail17trampoline_kernelINS0_14default_configENS1_27scan_by_key_config_selectorIj11FixedVectorIiLj2EEEEZZNS1_16scan_by_key_implILNS1_25lookback_scan_determinismE0ELb0ES3_N6thrust23THRUST_200600_302600_NS6detail15normal_iteratorINSB_10device_ptrIjEEEENSD_INSE_IS6_EEEESI_S6_NSB_4plusIvEENSB_8equal_toIvEES6_EE10hipError_tPvRmT2_T3_T4_T5_mT6_T7_P12ihipStream_tbENKUlT_T0_E_clISt17integral_constantIbLb1EES13_EEDaSY_SZ_EUlSY_E_NS1_11comp_targetILNS1_3genE3ELNS1_11target_archE908ELNS1_3gpuE7ELNS1_3repE0EEENS1_30default_config_static_selectorELNS0_4arch9wavefront6targetE0EEEvT1_
	.globl	_ZN7rocprim17ROCPRIM_400000_NS6detail17trampoline_kernelINS0_14default_configENS1_27scan_by_key_config_selectorIj11FixedVectorIiLj2EEEEZZNS1_16scan_by_key_implILNS1_25lookback_scan_determinismE0ELb0ES3_N6thrust23THRUST_200600_302600_NS6detail15normal_iteratorINSB_10device_ptrIjEEEENSD_INSE_IS6_EEEESI_S6_NSB_4plusIvEENSB_8equal_toIvEES6_EE10hipError_tPvRmT2_T3_T4_T5_mT6_T7_P12ihipStream_tbENKUlT_T0_E_clISt17integral_constantIbLb1EES13_EEDaSY_SZ_EUlSY_E_NS1_11comp_targetILNS1_3genE3ELNS1_11target_archE908ELNS1_3gpuE7ELNS1_3repE0EEENS1_30default_config_static_selectorELNS0_4arch9wavefront6targetE0EEEvT1_
	.p2align	8
	.type	_ZN7rocprim17ROCPRIM_400000_NS6detail17trampoline_kernelINS0_14default_configENS1_27scan_by_key_config_selectorIj11FixedVectorIiLj2EEEEZZNS1_16scan_by_key_implILNS1_25lookback_scan_determinismE0ELb0ES3_N6thrust23THRUST_200600_302600_NS6detail15normal_iteratorINSB_10device_ptrIjEEEENSD_INSE_IS6_EEEESI_S6_NSB_4plusIvEENSB_8equal_toIvEES6_EE10hipError_tPvRmT2_T3_T4_T5_mT6_T7_P12ihipStream_tbENKUlT_T0_E_clISt17integral_constantIbLb1EES13_EEDaSY_SZ_EUlSY_E_NS1_11comp_targetILNS1_3genE3ELNS1_11target_archE908ELNS1_3gpuE7ELNS1_3repE0EEENS1_30default_config_static_selectorELNS0_4arch9wavefront6targetE0EEEvT1_,@function
_ZN7rocprim17ROCPRIM_400000_NS6detail17trampoline_kernelINS0_14default_configENS1_27scan_by_key_config_selectorIj11FixedVectorIiLj2EEEEZZNS1_16scan_by_key_implILNS1_25lookback_scan_determinismE0ELb0ES3_N6thrust23THRUST_200600_302600_NS6detail15normal_iteratorINSB_10device_ptrIjEEEENSD_INSE_IS6_EEEESI_S6_NSB_4plusIvEENSB_8equal_toIvEES6_EE10hipError_tPvRmT2_T3_T4_T5_mT6_T7_P12ihipStream_tbENKUlT_T0_E_clISt17integral_constantIbLb1EES13_EEDaSY_SZ_EUlSY_E_NS1_11comp_targetILNS1_3genE3ELNS1_11target_archE908ELNS1_3gpuE7ELNS1_3repE0EEENS1_30default_config_static_selectorELNS0_4arch9wavefront6targetE0EEEvT1_: ; @_ZN7rocprim17ROCPRIM_400000_NS6detail17trampoline_kernelINS0_14default_configENS1_27scan_by_key_config_selectorIj11FixedVectorIiLj2EEEEZZNS1_16scan_by_key_implILNS1_25lookback_scan_determinismE0ELb0ES3_N6thrust23THRUST_200600_302600_NS6detail15normal_iteratorINSB_10device_ptrIjEEEENSD_INSE_IS6_EEEESI_S6_NSB_4plusIvEENSB_8equal_toIvEES6_EE10hipError_tPvRmT2_T3_T4_T5_mT6_T7_P12ihipStream_tbENKUlT_T0_E_clISt17integral_constantIbLb1EES13_EEDaSY_SZ_EUlSY_E_NS1_11comp_targetILNS1_3genE3ELNS1_11target_archE908ELNS1_3gpuE7ELNS1_3repE0EEENS1_30default_config_static_selectorELNS0_4arch9wavefront6targetE0EEEvT1_
; %bb.0:
	.section	.rodata,"a",@progbits
	.p2align	6, 0x0
	.amdhsa_kernel _ZN7rocprim17ROCPRIM_400000_NS6detail17trampoline_kernelINS0_14default_configENS1_27scan_by_key_config_selectorIj11FixedVectorIiLj2EEEEZZNS1_16scan_by_key_implILNS1_25lookback_scan_determinismE0ELb0ES3_N6thrust23THRUST_200600_302600_NS6detail15normal_iteratorINSB_10device_ptrIjEEEENSD_INSE_IS6_EEEESI_S6_NSB_4plusIvEENSB_8equal_toIvEES6_EE10hipError_tPvRmT2_T3_T4_T5_mT6_T7_P12ihipStream_tbENKUlT_T0_E_clISt17integral_constantIbLb1EES13_EEDaSY_SZ_EUlSY_E_NS1_11comp_targetILNS1_3genE3ELNS1_11target_archE908ELNS1_3gpuE7ELNS1_3repE0EEENS1_30default_config_static_selectorELNS0_4arch9wavefront6targetE0EEEvT1_
		.amdhsa_group_segment_fixed_size 0
		.amdhsa_private_segment_fixed_size 0
		.amdhsa_kernarg_size 120
		.amdhsa_user_sgpr_count 6
		.amdhsa_user_sgpr_private_segment_buffer 1
		.amdhsa_user_sgpr_dispatch_ptr 0
		.amdhsa_user_sgpr_queue_ptr 0
		.amdhsa_user_sgpr_kernarg_segment_ptr 1
		.amdhsa_user_sgpr_dispatch_id 0
		.amdhsa_user_sgpr_flat_scratch_init 0
		.amdhsa_user_sgpr_private_segment_size 0
		.amdhsa_wavefront_size32 1
		.amdhsa_uses_dynamic_stack 0
		.amdhsa_system_sgpr_private_segment_wavefront_offset 0
		.amdhsa_system_sgpr_workgroup_id_x 1
		.amdhsa_system_sgpr_workgroup_id_y 0
		.amdhsa_system_sgpr_workgroup_id_z 0
		.amdhsa_system_sgpr_workgroup_info 0
		.amdhsa_system_vgpr_workitem_id 0
		.amdhsa_next_free_vgpr 1
		.amdhsa_next_free_sgpr 1
		.amdhsa_reserve_vcc 0
		.amdhsa_reserve_flat_scratch 0
		.amdhsa_float_round_mode_32 0
		.amdhsa_float_round_mode_16_64 0
		.amdhsa_float_denorm_mode_32 3
		.amdhsa_float_denorm_mode_16_64 3
		.amdhsa_dx10_clamp 1
		.amdhsa_ieee_mode 1
		.amdhsa_fp16_overflow 0
		.amdhsa_workgroup_processor_mode 1
		.amdhsa_memory_ordered 1
		.amdhsa_forward_progress 1
		.amdhsa_shared_vgpr_count 0
		.amdhsa_exception_fp_ieee_invalid_op 0
		.amdhsa_exception_fp_denorm_src 0
		.amdhsa_exception_fp_ieee_div_zero 0
		.amdhsa_exception_fp_ieee_overflow 0
		.amdhsa_exception_fp_ieee_underflow 0
		.amdhsa_exception_fp_ieee_inexact 0
		.amdhsa_exception_int_div_zero 0
	.end_amdhsa_kernel
	.section	.text._ZN7rocprim17ROCPRIM_400000_NS6detail17trampoline_kernelINS0_14default_configENS1_27scan_by_key_config_selectorIj11FixedVectorIiLj2EEEEZZNS1_16scan_by_key_implILNS1_25lookback_scan_determinismE0ELb0ES3_N6thrust23THRUST_200600_302600_NS6detail15normal_iteratorINSB_10device_ptrIjEEEENSD_INSE_IS6_EEEESI_S6_NSB_4plusIvEENSB_8equal_toIvEES6_EE10hipError_tPvRmT2_T3_T4_T5_mT6_T7_P12ihipStream_tbENKUlT_T0_E_clISt17integral_constantIbLb1EES13_EEDaSY_SZ_EUlSY_E_NS1_11comp_targetILNS1_3genE3ELNS1_11target_archE908ELNS1_3gpuE7ELNS1_3repE0EEENS1_30default_config_static_selectorELNS0_4arch9wavefront6targetE0EEEvT1_,"axG",@progbits,_ZN7rocprim17ROCPRIM_400000_NS6detail17trampoline_kernelINS0_14default_configENS1_27scan_by_key_config_selectorIj11FixedVectorIiLj2EEEEZZNS1_16scan_by_key_implILNS1_25lookback_scan_determinismE0ELb0ES3_N6thrust23THRUST_200600_302600_NS6detail15normal_iteratorINSB_10device_ptrIjEEEENSD_INSE_IS6_EEEESI_S6_NSB_4plusIvEENSB_8equal_toIvEES6_EE10hipError_tPvRmT2_T3_T4_T5_mT6_T7_P12ihipStream_tbENKUlT_T0_E_clISt17integral_constantIbLb1EES13_EEDaSY_SZ_EUlSY_E_NS1_11comp_targetILNS1_3genE3ELNS1_11target_archE908ELNS1_3gpuE7ELNS1_3repE0EEENS1_30default_config_static_selectorELNS0_4arch9wavefront6targetE0EEEvT1_,comdat
.Lfunc_end1966:
	.size	_ZN7rocprim17ROCPRIM_400000_NS6detail17trampoline_kernelINS0_14default_configENS1_27scan_by_key_config_selectorIj11FixedVectorIiLj2EEEEZZNS1_16scan_by_key_implILNS1_25lookback_scan_determinismE0ELb0ES3_N6thrust23THRUST_200600_302600_NS6detail15normal_iteratorINSB_10device_ptrIjEEEENSD_INSE_IS6_EEEESI_S6_NSB_4plusIvEENSB_8equal_toIvEES6_EE10hipError_tPvRmT2_T3_T4_T5_mT6_T7_P12ihipStream_tbENKUlT_T0_E_clISt17integral_constantIbLb1EES13_EEDaSY_SZ_EUlSY_E_NS1_11comp_targetILNS1_3genE3ELNS1_11target_archE908ELNS1_3gpuE7ELNS1_3repE0EEENS1_30default_config_static_selectorELNS0_4arch9wavefront6targetE0EEEvT1_, .Lfunc_end1966-_ZN7rocprim17ROCPRIM_400000_NS6detail17trampoline_kernelINS0_14default_configENS1_27scan_by_key_config_selectorIj11FixedVectorIiLj2EEEEZZNS1_16scan_by_key_implILNS1_25lookback_scan_determinismE0ELb0ES3_N6thrust23THRUST_200600_302600_NS6detail15normal_iteratorINSB_10device_ptrIjEEEENSD_INSE_IS6_EEEESI_S6_NSB_4plusIvEENSB_8equal_toIvEES6_EE10hipError_tPvRmT2_T3_T4_T5_mT6_T7_P12ihipStream_tbENKUlT_T0_E_clISt17integral_constantIbLb1EES13_EEDaSY_SZ_EUlSY_E_NS1_11comp_targetILNS1_3genE3ELNS1_11target_archE908ELNS1_3gpuE7ELNS1_3repE0EEENS1_30default_config_static_selectorELNS0_4arch9wavefront6targetE0EEEvT1_
                                        ; -- End function
	.set _ZN7rocprim17ROCPRIM_400000_NS6detail17trampoline_kernelINS0_14default_configENS1_27scan_by_key_config_selectorIj11FixedVectorIiLj2EEEEZZNS1_16scan_by_key_implILNS1_25lookback_scan_determinismE0ELb0ES3_N6thrust23THRUST_200600_302600_NS6detail15normal_iteratorINSB_10device_ptrIjEEEENSD_INSE_IS6_EEEESI_S6_NSB_4plusIvEENSB_8equal_toIvEES6_EE10hipError_tPvRmT2_T3_T4_T5_mT6_T7_P12ihipStream_tbENKUlT_T0_E_clISt17integral_constantIbLb1EES13_EEDaSY_SZ_EUlSY_E_NS1_11comp_targetILNS1_3genE3ELNS1_11target_archE908ELNS1_3gpuE7ELNS1_3repE0EEENS1_30default_config_static_selectorELNS0_4arch9wavefront6targetE0EEEvT1_.num_vgpr, 0
	.set _ZN7rocprim17ROCPRIM_400000_NS6detail17trampoline_kernelINS0_14default_configENS1_27scan_by_key_config_selectorIj11FixedVectorIiLj2EEEEZZNS1_16scan_by_key_implILNS1_25lookback_scan_determinismE0ELb0ES3_N6thrust23THRUST_200600_302600_NS6detail15normal_iteratorINSB_10device_ptrIjEEEENSD_INSE_IS6_EEEESI_S6_NSB_4plusIvEENSB_8equal_toIvEES6_EE10hipError_tPvRmT2_T3_T4_T5_mT6_T7_P12ihipStream_tbENKUlT_T0_E_clISt17integral_constantIbLb1EES13_EEDaSY_SZ_EUlSY_E_NS1_11comp_targetILNS1_3genE3ELNS1_11target_archE908ELNS1_3gpuE7ELNS1_3repE0EEENS1_30default_config_static_selectorELNS0_4arch9wavefront6targetE0EEEvT1_.num_agpr, 0
	.set _ZN7rocprim17ROCPRIM_400000_NS6detail17trampoline_kernelINS0_14default_configENS1_27scan_by_key_config_selectorIj11FixedVectorIiLj2EEEEZZNS1_16scan_by_key_implILNS1_25lookback_scan_determinismE0ELb0ES3_N6thrust23THRUST_200600_302600_NS6detail15normal_iteratorINSB_10device_ptrIjEEEENSD_INSE_IS6_EEEESI_S6_NSB_4plusIvEENSB_8equal_toIvEES6_EE10hipError_tPvRmT2_T3_T4_T5_mT6_T7_P12ihipStream_tbENKUlT_T0_E_clISt17integral_constantIbLb1EES13_EEDaSY_SZ_EUlSY_E_NS1_11comp_targetILNS1_3genE3ELNS1_11target_archE908ELNS1_3gpuE7ELNS1_3repE0EEENS1_30default_config_static_selectorELNS0_4arch9wavefront6targetE0EEEvT1_.numbered_sgpr, 0
	.set _ZN7rocprim17ROCPRIM_400000_NS6detail17trampoline_kernelINS0_14default_configENS1_27scan_by_key_config_selectorIj11FixedVectorIiLj2EEEEZZNS1_16scan_by_key_implILNS1_25lookback_scan_determinismE0ELb0ES3_N6thrust23THRUST_200600_302600_NS6detail15normal_iteratorINSB_10device_ptrIjEEEENSD_INSE_IS6_EEEESI_S6_NSB_4plusIvEENSB_8equal_toIvEES6_EE10hipError_tPvRmT2_T3_T4_T5_mT6_T7_P12ihipStream_tbENKUlT_T0_E_clISt17integral_constantIbLb1EES13_EEDaSY_SZ_EUlSY_E_NS1_11comp_targetILNS1_3genE3ELNS1_11target_archE908ELNS1_3gpuE7ELNS1_3repE0EEENS1_30default_config_static_selectorELNS0_4arch9wavefront6targetE0EEEvT1_.num_named_barrier, 0
	.set _ZN7rocprim17ROCPRIM_400000_NS6detail17trampoline_kernelINS0_14default_configENS1_27scan_by_key_config_selectorIj11FixedVectorIiLj2EEEEZZNS1_16scan_by_key_implILNS1_25lookback_scan_determinismE0ELb0ES3_N6thrust23THRUST_200600_302600_NS6detail15normal_iteratorINSB_10device_ptrIjEEEENSD_INSE_IS6_EEEESI_S6_NSB_4plusIvEENSB_8equal_toIvEES6_EE10hipError_tPvRmT2_T3_T4_T5_mT6_T7_P12ihipStream_tbENKUlT_T0_E_clISt17integral_constantIbLb1EES13_EEDaSY_SZ_EUlSY_E_NS1_11comp_targetILNS1_3genE3ELNS1_11target_archE908ELNS1_3gpuE7ELNS1_3repE0EEENS1_30default_config_static_selectorELNS0_4arch9wavefront6targetE0EEEvT1_.private_seg_size, 0
	.set _ZN7rocprim17ROCPRIM_400000_NS6detail17trampoline_kernelINS0_14default_configENS1_27scan_by_key_config_selectorIj11FixedVectorIiLj2EEEEZZNS1_16scan_by_key_implILNS1_25lookback_scan_determinismE0ELb0ES3_N6thrust23THRUST_200600_302600_NS6detail15normal_iteratorINSB_10device_ptrIjEEEENSD_INSE_IS6_EEEESI_S6_NSB_4plusIvEENSB_8equal_toIvEES6_EE10hipError_tPvRmT2_T3_T4_T5_mT6_T7_P12ihipStream_tbENKUlT_T0_E_clISt17integral_constantIbLb1EES13_EEDaSY_SZ_EUlSY_E_NS1_11comp_targetILNS1_3genE3ELNS1_11target_archE908ELNS1_3gpuE7ELNS1_3repE0EEENS1_30default_config_static_selectorELNS0_4arch9wavefront6targetE0EEEvT1_.uses_vcc, 0
	.set _ZN7rocprim17ROCPRIM_400000_NS6detail17trampoline_kernelINS0_14default_configENS1_27scan_by_key_config_selectorIj11FixedVectorIiLj2EEEEZZNS1_16scan_by_key_implILNS1_25lookback_scan_determinismE0ELb0ES3_N6thrust23THRUST_200600_302600_NS6detail15normal_iteratorINSB_10device_ptrIjEEEENSD_INSE_IS6_EEEESI_S6_NSB_4plusIvEENSB_8equal_toIvEES6_EE10hipError_tPvRmT2_T3_T4_T5_mT6_T7_P12ihipStream_tbENKUlT_T0_E_clISt17integral_constantIbLb1EES13_EEDaSY_SZ_EUlSY_E_NS1_11comp_targetILNS1_3genE3ELNS1_11target_archE908ELNS1_3gpuE7ELNS1_3repE0EEENS1_30default_config_static_selectorELNS0_4arch9wavefront6targetE0EEEvT1_.uses_flat_scratch, 0
	.set _ZN7rocprim17ROCPRIM_400000_NS6detail17trampoline_kernelINS0_14default_configENS1_27scan_by_key_config_selectorIj11FixedVectorIiLj2EEEEZZNS1_16scan_by_key_implILNS1_25lookback_scan_determinismE0ELb0ES3_N6thrust23THRUST_200600_302600_NS6detail15normal_iteratorINSB_10device_ptrIjEEEENSD_INSE_IS6_EEEESI_S6_NSB_4plusIvEENSB_8equal_toIvEES6_EE10hipError_tPvRmT2_T3_T4_T5_mT6_T7_P12ihipStream_tbENKUlT_T0_E_clISt17integral_constantIbLb1EES13_EEDaSY_SZ_EUlSY_E_NS1_11comp_targetILNS1_3genE3ELNS1_11target_archE908ELNS1_3gpuE7ELNS1_3repE0EEENS1_30default_config_static_selectorELNS0_4arch9wavefront6targetE0EEEvT1_.has_dyn_sized_stack, 0
	.set _ZN7rocprim17ROCPRIM_400000_NS6detail17trampoline_kernelINS0_14default_configENS1_27scan_by_key_config_selectorIj11FixedVectorIiLj2EEEEZZNS1_16scan_by_key_implILNS1_25lookback_scan_determinismE0ELb0ES3_N6thrust23THRUST_200600_302600_NS6detail15normal_iteratorINSB_10device_ptrIjEEEENSD_INSE_IS6_EEEESI_S6_NSB_4plusIvEENSB_8equal_toIvEES6_EE10hipError_tPvRmT2_T3_T4_T5_mT6_T7_P12ihipStream_tbENKUlT_T0_E_clISt17integral_constantIbLb1EES13_EEDaSY_SZ_EUlSY_E_NS1_11comp_targetILNS1_3genE3ELNS1_11target_archE908ELNS1_3gpuE7ELNS1_3repE0EEENS1_30default_config_static_selectorELNS0_4arch9wavefront6targetE0EEEvT1_.has_recursion, 0
	.set _ZN7rocprim17ROCPRIM_400000_NS6detail17trampoline_kernelINS0_14default_configENS1_27scan_by_key_config_selectorIj11FixedVectorIiLj2EEEEZZNS1_16scan_by_key_implILNS1_25lookback_scan_determinismE0ELb0ES3_N6thrust23THRUST_200600_302600_NS6detail15normal_iteratorINSB_10device_ptrIjEEEENSD_INSE_IS6_EEEESI_S6_NSB_4plusIvEENSB_8equal_toIvEES6_EE10hipError_tPvRmT2_T3_T4_T5_mT6_T7_P12ihipStream_tbENKUlT_T0_E_clISt17integral_constantIbLb1EES13_EEDaSY_SZ_EUlSY_E_NS1_11comp_targetILNS1_3genE3ELNS1_11target_archE908ELNS1_3gpuE7ELNS1_3repE0EEENS1_30default_config_static_selectorELNS0_4arch9wavefront6targetE0EEEvT1_.has_indirect_call, 0
	.section	.AMDGPU.csdata,"",@progbits
; Kernel info:
; codeLenInByte = 0
; TotalNumSgprs: 0
; NumVgprs: 0
; ScratchSize: 0
; MemoryBound: 0
; FloatMode: 240
; IeeeMode: 1
; LDSByteSize: 0 bytes/workgroup (compile time only)
; SGPRBlocks: 0
; VGPRBlocks: 0
; NumSGPRsForWavesPerEU: 1
; NumVGPRsForWavesPerEU: 1
; Occupancy: 16
; WaveLimiterHint : 0
; COMPUTE_PGM_RSRC2:SCRATCH_EN: 0
; COMPUTE_PGM_RSRC2:USER_SGPR: 6
; COMPUTE_PGM_RSRC2:TRAP_HANDLER: 0
; COMPUTE_PGM_RSRC2:TGID_X_EN: 1
; COMPUTE_PGM_RSRC2:TGID_Y_EN: 0
; COMPUTE_PGM_RSRC2:TGID_Z_EN: 0
; COMPUTE_PGM_RSRC2:TIDIG_COMP_CNT: 0
	.section	.text._ZN7rocprim17ROCPRIM_400000_NS6detail17trampoline_kernelINS0_14default_configENS1_27scan_by_key_config_selectorIj11FixedVectorIiLj2EEEEZZNS1_16scan_by_key_implILNS1_25lookback_scan_determinismE0ELb0ES3_N6thrust23THRUST_200600_302600_NS6detail15normal_iteratorINSB_10device_ptrIjEEEENSD_INSE_IS6_EEEESI_S6_NSB_4plusIvEENSB_8equal_toIvEES6_EE10hipError_tPvRmT2_T3_T4_T5_mT6_T7_P12ihipStream_tbENKUlT_T0_E_clISt17integral_constantIbLb1EES13_EEDaSY_SZ_EUlSY_E_NS1_11comp_targetILNS1_3genE2ELNS1_11target_archE906ELNS1_3gpuE6ELNS1_3repE0EEENS1_30default_config_static_selectorELNS0_4arch9wavefront6targetE0EEEvT1_,"axG",@progbits,_ZN7rocprim17ROCPRIM_400000_NS6detail17trampoline_kernelINS0_14default_configENS1_27scan_by_key_config_selectorIj11FixedVectorIiLj2EEEEZZNS1_16scan_by_key_implILNS1_25lookback_scan_determinismE0ELb0ES3_N6thrust23THRUST_200600_302600_NS6detail15normal_iteratorINSB_10device_ptrIjEEEENSD_INSE_IS6_EEEESI_S6_NSB_4plusIvEENSB_8equal_toIvEES6_EE10hipError_tPvRmT2_T3_T4_T5_mT6_T7_P12ihipStream_tbENKUlT_T0_E_clISt17integral_constantIbLb1EES13_EEDaSY_SZ_EUlSY_E_NS1_11comp_targetILNS1_3genE2ELNS1_11target_archE906ELNS1_3gpuE6ELNS1_3repE0EEENS1_30default_config_static_selectorELNS0_4arch9wavefront6targetE0EEEvT1_,comdat
	.protected	_ZN7rocprim17ROCPRIM_400000_NS6detail17trampoline_kernelINS0_14default_configENS1_27scan_by_key_config_selectorIj11FixedVectorIiLj2EEEEZZNS1_16scan_by_key_implILNS1_25lookback_scan_determinismE0ELb0ES3_N6thrust23THRUST_200600_302600_NS6detail15normal_iteratorINSB_10device_ptrIjEEEENSD_INSE_IS6_EEEESI_S6_NSB_4plusIvEENSB_8equal_toIvEES6_EE10hipError_tPvRmT2_T3_T4_T5_mT6_T7_P12ihipStream_tbENKUlT_T0_E_clISt17integral_constantIbLb1EES13_EEDaSY_SZ_EUlSY_E_NS1_11comp_targetILNS1_3genE2ELNS1_11target_archE906ELNS1_3gpuE6ELNS1_3repE0EEENS1_30default_config_static_selectorELNS0_4arch9wavefront6targetE0EEEvT1_ ; -- Begin function _ZN7rocprim17ROCPRIM_400000_NS6detail17trampoline_kernelINS0_14default_configENS1_27scan_by_key_config_selectorIj11FixedVectorIiLj2EEEEZZNS1_16scan_by_key_implILNS1_25lookback_scan_determinismE0ELb0ES3_N6thrust23THRUST_200600_302600_NS6detail15normal_iteratorINSB_10device_ptrIjEEEENSD_INSE_IS6_EEEESI_S6_NSB_4plusIvEENSB_8equal_toIvEES6_EE10hipError_tPvRmT2_T3_T4_T5_mT6_T7_P12ihipStream_tbENKUlT_T0_E_clISt17integral_constantIbLb1EES13_EEDaSY_SZ_EUlSY_E_NS1_11comp_targetILNS1_3genE2ELNS1_11target_archE906ELNS1_3gpuE6ELNS1_3repE0EEENS1_30default_config_static_selectorELNS0_4arch9wavefront6targetE0EEEvT1_
	.globl	_ZN7rocprim17ROCPRIM_400000_NS6detail17trampoline_kernelINS0_14default_configENS1_27scan_by_key_config_selectorIj11FixedVectorIiLj2EEEEZZNS1_16scan_by_key_implILNS1_25lookback_scan_determinismE0ELb0ES3_N6thrust23THRUST_200600_302600_NS6detail15normal_iteratorINSB_10device_ptrIjEEEENSD_INSE_IS6_EEEESI_S6_NSB_4plusIvEENSB_8equal_toIvEES6_EE10hipError_tPvRmT2_T3_T4_T5_mT6_T7_P12ihipStream_tbENKUlT_T0_E_clISt17integral_constantIbLb1EES13_EEDaSY_SZ_EUlSY_E_NS1_11comp_targetILNS1_3genE2ELNS1_11target_archE906ELNS1_3gpuE6ELNS1_3repE0EEENS1_30default_config_static_selectorELNS0_4arch9wavefront6targetE0EEEvT1_
	.p2align	8
	.type	_ZN7rocprim17ROCPRIM_400000_NS6detail17trampoline_kernelINS0_14default_configENS1_27scan_by_key_config_selectorIj11FixedVectorIiLj2EEEEZZNS1_16scan_by_key_implILNS1_25lookback_scan_determinismE0ELb0ES3_N6thrust23THRUST_200600_302600_NS6detail15normal_iteratorINSB_10device_ptrIjEEEENSD_INSE_IS6_EEEESI_S6_NSB_4plusIvEENSB_8equal_toIvEES6_EE10hipError_tPvRmT2_T3_T4_T5_mT6_T7_P12ihipStream_tbENKUlT_T0_E_clISt17integral_constantIbLb1EES13_EEDaSY_SZ_EUlSY_E_NS1_11comp_targetILNS1_3genE2ELNS1_11target_archE906ELNS1_3gpuE6ELNS1_3repE0EEENS1_30default_config_static_selectorELNS0_4arch9wavefront6targetE0EEEvT1_,@function
_ZN7rocprim17ROCPRIM_400000_NS6detail17trampoline_kernelINS0_14default_configENS1_27scan_by_key_config_selectorIj11FixedVectorIiLj2EEEEZZNS1_16scan_by_key_implILNS1_25lookback_scan_determinismE0ELb0ES3_N6thrust23THRUST_200600_302600_NS6detail15normal_iteratorINSB_10device_ptrIjEEEENSD_INSE_IS6_EEEESI_S6_NSB_4plusIvEENSB_8equal_toIvEES6_EE10hipError_tPvRmT2_T3_T4_T5_mT6_T7_P12ihipStream_tbENKUlT_T0_E_clISt17integral_constantIbLb1EES13_EEDaSY_SZ_EUlSY_E_NS1_11comp_targetILNS1_3genE2ELNS1_11target_archE906ELNS1_3gpuE6ELNS1_3repE0EEENS1_30default_config_static_selectorELNS0_4arch9wavefront6targetE0EEEvT1_: ; @_ZN7rocprim17ROCPRIM_400000_NS6detail17trampoline_kernelINS0_14default_configENS1_27scan_by_key_config_selectorIj11FixedVectorIiLj2EEEEZZNS1_16scan_by_key_implILNS1_25lookback_scan_determinismE0ELb0ES3_N6thrust23THRUST_200600_302600_NS6detail15normal_iteratorINSB_10device_ptrIjEEEENSD_INSE_IS6_EEEESI_S6_NSB_4plusIvEENSB_8equal_toIvEES6_EE10hipError_tPvRmT2_T3_T4_T5_mT6_T7_P12ihipStream_tbENKUlT_T0_E_clISt17integral_constantIbLb1EES13_EEDaSY_SZ_EUlSY_E_NS1_11comp_targetILNS1_3genE2ELNS1_11target_archE906ELNS1_3gpuE6ELNS1_3repE0EEENS1_30default_config_static_selectorELNS0_4arch9wavefront6targetE0EEEvT1_
; %bb.0:
	.section	.rodata,"a",@progbits
	.p2align	6, 0x0
	.amdhsa_kernel _ZN7rocprim17ROCPRIM_400000_NS6detail17trampoline_kernelINS0_14default_configENS1_27scan_by_key_config_selectorIj11FixedVectorIiLj2EEEEZZNS1_16scan_by_key_implILNS1_25lookback_scan_determinismE0ELb0ES3_N6thrust23THRUST_200600_302600_NS6detail15normal_iteratorINSB_10device_ptrIjEEEENSD_INSE_IS6_EEEESI_S6_NSB_4plusIvEENSB_8equal_toIvEES6_EE10hipError_tPvRmT2_T3_T4_T5_mT6_T7_P12ihipStream_tbENKUlT_T0_E_clISt17integral_constantIbLb1EES13_EEDaSY_SZ_EUlSY_E_NS1_11comp_targetILNS1_3genE2ELNS1_11target_archE906ELNS1_3gpuE6ELNS1_3repE0EEENS1_30default_config_static_selectorELNS0_4arch9wavefront6targetE0EEEvT1_
		.amdhsa_group_segment_fixed_size 0
		.amdhsa_private_segment_fixed_size 0
		.amdhsa_kernarg_size 120
		.amdhsa_user_sgpr_count 6
		.amdhsa_user_sgpr_private_segment_buffer 1
		.amdhsa_user_sgpr_dispatch_ptr 0
		.amdhsa_user_sgpr_queue_ptr 0
		.amdhsa_user_sgpr_kernarg_segment_ptr 1
		.amdhsa_user_sgpr_dispatch_id 0
		.amdhsa_user_sgpr_flat_scratch_init 0
		.amdhsa_user_sgpr_private_segment_size 0
		.amdhsa_wavefront_size32 1
		.amdhsa_uses_dynamic_stack 0
		.amdhsa_system_sgpr_private_segment_wavefront_offset 0
		.amdhsa_system_sgpr_workgroup_id_x 1
		.amdhsa_system_sgpr_workgroup_id_y 0
		.amdhsa_system_sgpr_workgroup_id_z 0
		.amdhsa_system_sgpr_workgroup_info 0
		.amdhsa_system_vgpr_workitem_id 0
		.amdhsa_next_free_vgpr 1
		.amdhsa_next_free_sgpr 1
		.amdhsa_reserve_vcc 0
		.amdhsa_reserve_flat_scratch 0
		.amdhsa_float_round_mode_32 0
		.amdhsa_float_round_mode_16_64 0
		.amdhsa_float_denorm_mode_32 3
		.amdhsa_float_denorm_mode_16_64 3
		.amdhsa_dx10_clamp 1
		.amdhsa_ieee_mode 1
		.amdhsa_fp16_overflow 0
		.amdhsa_workgroup_processor_mode 1
		.amdhsa_memory_ordered 1
		.amdhsa_forward_progress 1
		.amdhsa_shared_vgpr_count 0
		.amdhsa_exception_fp_ieee_invalid_op 0
		.amdhsa_exception_fp_denorm_src 0
		.amdhsa_exception_fp_ieee_div_zero 0
		.amdhsa_exception_fp_ieee_overflow 0
		.amdhsa_exception_fp_ieee_underflow 0
		.amdhsa_exception_fp_ieee_inexact 0
		.amdhsa_exception_int_div_zero 0
	.end_amdhsa_kernel
	.section	.text._ZN7rocprim17ROCPRIM_400000_NS6detail17trampoline_kernelINS0_14default_configENS1_27scan_by_key_config_selectorIj11FixedVectorIiLj2EEEEZZNS1_16scan_by_key_implILNS1_25lookback_scan_determinismE0ELb0ES3_N6thrust23THRUST_200600_302600_NS6detail15normal_iteratorINSB_10device_ptrIjEEEENSD_INSE_IS6_EEEESI_S6_NSB_4plusIvEENSB_8equal_toIvEES6_EE10hipError_tPvRmT2_T3_T4_T5_mT6_T7_P12ihipStream_tbENKUlT_T0_E_clISt17integral_constantIbLb1EES13_EEDaSY_SZ_EUlSY_E_NS1_11comp_targetILNS1_3genE2ELNS1_11target_archE906ELNS1_3gpuE6ELNS1_3repE0EEENS1_30default_config_static_selectorELNS0_4arch9wavefront6targetE0EEEvT1_,"axG",@progbits,_ZN7rocprim17ROCPRIM_400000_NS6detail17trampoline_kernelINS0_14default_configENS1_27scan_by_key_config_selectorIj11FixedVectorIiLj2EEEEZZNS1_16scan_by_key_implILNS1_25lookback_scan_determinismE0ELb0ES3_N6thrust23THRUST_200600_302600_NS6detail15normal_iteratorINSB_10device_ptrIjEEEENSD_INSE_IS6_EEEESI_S6_NSB_4plusIvEENSB_8equal_toIvEES6_EE10hipError_tPvRmT2_T3_T4_T5_mT6_T7_P12ihipStream_tbENKUlT_T0_E_clISt17integral_constantIbLb1EES13_EEDaSY_SZ_EUlSY_E_NS1_11comp_targetILNS1_3genE2ELNS1_11target_archE906ELNS1_3gpuE6ELNS1_3repE0EEENS1_30default_config_static_selectorELNS0_4arch9wavefront6targetE0EEEvT1_,comdat
.Lfunc_end1967:
	.size	_ZN7rocprim17ROCPRIM_400000_NS6detail17trampoline_kernelINS0_14default_configENS1_27scan_by_key_config_selectorIj11FixedVectorIiLj2EEEEZZNS1_16scan_by_key_implILNS1_25lookback_scan_determinismE0ELb0ES3_N6thrust23THRUST_200600_302600_NS6detail15normal_iteratorINSB_10device_ptrIjEEEENSD_INSE_IS6_EEEESI_S6_NSB_4plusIvEENSB_8equal_toIvEES6_EE10hipError_tPvRmT2_T3_T4_T5_mT6_T7_P12ihipStream_tbENKUlT_T0_E_clISt17integral_constantIbLb1EES13_EEDaSY_SZ_EUlSY_E_NS1_11comp_targetILNS1_3genE2ELNS1_11target_archE906ELNS1_3gpuE6ELNS1_3repE0EEENS1_30default_config_static_selectorELNS0_4arch9wavefront6targetE0EEEvT1_, .Lfunc_end1967-_ZN7rocprim17ROCPRIM_400000_NS6detail17trampoline_kernelINS0_14default_configENS1_27scan_by_key_config_selectorIj11FixedVectorIiLj2EEEEZZNS1_16scan_by_key_implILNS1_25lookback_scan_determinismE0ELb0ES3_N6thrust23THRUST_200600_302600_NS6detail15normal_iteratorINSB_10device_ptrIjEEEENSD_INSE_IS6_EEEESI_S6_NSB_4plusIvEENSB_8equal_toIvEES6_EE10hipError_tPvRmT2_T3_T4_T5_mT6_T7_P12ihipStream_tbENKUlT_T0_E_clISt17integral_constantIbLb1EES13_EEDaSY_SZ_EUlSY_E_NS1_11comp_targetILNS1_3genE2ELNS1_11target_archE906ELNS1_3gpuE6ELNS1_3repE0EEENS1_30default_config_static_selectorELNS0_4arch9wavefront6targetE0EEEvT1_
                                        ; -- End function
	.set _ZN7rocprim17ROCPRIM_400000_NS6detail17trampoline_kernelINS0_14default_configENS1_27scan_by_key_config_selectorIj11FixedVectorIiLj2EEEEZZNS1_16scan_by_key_implILNS1_25lookback_scan_determinismE0ELb0ES3_N6thrust23THRUST_200600_302600_NS6detail15normal_iteratorINSB_10device_ptrIjEEEENSD_INSE_IS6_EEEESI_S6_NSB_4plusIvEENSB_8equal_toIvEES6_EE10hipError_tPvRmT2_T3_T4_T5_mT6_T7_P12ihipStream_tbENKUlT_T0_E_clISt17integral_constantIbLb1EES13_EEDaSY_SZ_EUlSY_E_NS1_11comp_targetILNS1_3genE2ELNS1_11target_archE906ELNS1_3gpuE6ELNS1_3repE0EEENS1_30default_config_static_selectorELNS0_4arch9wavefront6targetE0EEEvT1_.num_vgpr, 0
	.set _ZN7rocprim17ROCPRIM_400000_NS6detail17trampoline_kernelINS0_14default_configENS1_27scan_by_key_config_selectorIj11FixedVectorIiLj2EEEEZZNS1_16scan_by_key_implILNS1_25lookback_scan_determinismE0ELb0ES3_N6thrust23THRUST_200600_302600_NS6detail15normal_iteratorINSB_10device_ptrIjEEEENSD_INSE_IS6_EEEESI_S6_NSB_4plusIvEENSB_8equal_toIvEES6_EE10hipError_tPvRmT2_T3_T4_T5_mT6_T7_P12ihipStream_tbENKUlT_T0_E_clISt17integral_constantIbLb1EES13_EEDaSY_SZ_EUlSY_E_NS1_11comp_targetILNS1_3genE2ELNS1_11target_archE906ELNS1_3gpuE6ELNS1_3repE0EEENS1_30default_config_static_selectorELNS0_4arch9wavefront6targetE0EEEvT1_.num_agpr, 0
	.set _ZN7rocprim17ROCPRIM_400000_NS6detail17trampoline_kernelINS0_14default_configENS1_27scan_by_key_config_selectorIj11FixedVectorIiLj2EEEEZZNS1_16scan_by_key_implILNS1_25lookback_scan_determinismE0ELb0ES3_N6thrust23THRUST_200600_302600_NS6detail15normal_iteratorINSB_10device_ptrIjEEEENSD_INSE_IS6_EEEESI_S6_NSB_4plusIvEENSB_8equal_toIvEES6_EE10hipError_tPvRmT2_T3_T4_T5_mT6_T7_P12ihipStream_tbENKUlT_T0_E_clISt17integral_constantIbLb1EES13_EEDaSY_SZ_EUlSY_E_NS1_11comp_targetILNS1_3genE2ELNS1_11target_archE906ELNS1_3gpuE6ELNS1_3repE0EEENS1_30default_config_static_selectorELNS0_4arch9wavefront6targetE0EEEvT1_.numbered_sgpr, 0
	.set _ZN7rocprim17ROCPRIM_400000_NS6detail17trampoline_kernelINS0_14default_configENS1_27scan_by_key_config_selectorIj11FixedVectorIiLj2EEEEZZNS1_16scan_by_key_implILNS1_25lookback_scan_determinismE0ELb0ES3_N6thrust23THRUST_200600_302600_NS6detail15normal_iteratorINSB_10device_ptrIjEEEENSD_INSE_IS6_EEEESI_S6_NSB_4plusIvEENSB_8equal_toIvEES6_EE10hipError_tPvRmT2_T3_T4_T5_mT6_T7_P12ihipStream_tbENKUlT_T0_E_clISt17integral_constantIbLb1EES13_EEDaSY_SZ_EUlSY_E_NS1_11comp_targetILNS1_3genE2ELNS1_11target_archE906ELNS1_3gpuE6ELNS1_3repE0EEENS1_30default_config_static_selectorELNS0_4arch9wavefront6targetE0EEEvT1_.num_named_barrier, 0
	.set _ZN7rocprim17ROCPRIM_400000_NS6detail17trampoline_kernelINS0_14default_configENS1_27scan_by_key_config_selectorIj11FixedVectorIiLj2EEEEZZNS1_16scan_by_key_implILNS1_25lookback_scan_determinismE0ELb0ES3_N6thrust23THRUST_200600_302600_NS6detail15normal_iteratorINSB_10device_ptrIjEEEENSD_INSE_IS6_EEEESI_S6_NSB_4plusIvEENSB_8equal_toIvEES6_EE10hipError_tPvRmT2_T3_T4_T5_mT6_T7_P12ihipStream_tbENKUlT_T0_E_clISt17integral_constantIbLb1EES13_EEDaSY_SZ_EUlSY_E_NS1_11comp_targetILNS1_3genE2ELNS1_11target_archE906ELNS1_3gpuE6ELNS1_3repE0EEENS1_30default_config_static_selectorELNS0_4arch9wavefront6targetE0EEEvT1_.private_seg_size, 0
	.set _ZN7rocprim17ROCPRIM_400000_NS6detail17trampoline_kernelINS0_14default_configENS1_27scan_by_key_config_selectorIj11FixedVectorIiLj2EEEEZZNS1_16scan_by_key_implILNS1_25lookback_scan_determinismE0ELb0ES3_N6thrust23THRUST_200600_302600_NS6detail15normal_iteratorINSB_10device_ptrIjEEEENSD_INSE_IS6_EEEESI_S6_NSB_4plusIvEENSB_8equal_toIvEES6_EE10hipError_tPvRmT2_T3_T4_T5_mT6_T7_P12ihipStream_tbENKUlT_T0_E_clISt17integral_constantIbLb1EES13_EEDaSY_SZ_EUlSY_E_NS1_11comp_targetILNS1_3genE2ELNS1_11target_archE906ELNS1_3gpuE6ELNS1_3repE0EEENS1_30default_config_static_selectorELNS0_4arch9wavefront6targetE0EEEvT1_.uses_vcc, 0
	.set _ZN7rocprim17ROCPRIM_400000_NS6detail17trampoline_kernelINS0_14default_configENS1_27scan_by_key_config_selectorIj11FixedVectorIiLj2EEEEZZNS1_16scan_by_key_implILNS1_25lookback_scan_determinismE0ELb0ES3_N6thrust23THRUST_200600_302600_NS6detail15normal_iteratorINSB_10device_ptrIjEEEENSD_INSE_IS6_EEEESI_S6_NSB_4plusIvEENSB_8equal_toIvEES6_EE10hipError_tPvRmT2_T3_T4_T5_mT6_T7_P12ihipStream_tbENKUlT_T0_E_clISt17integral_constantIbLb1EES13_EEDaSY_SZ_EUlSY_E_NS1_11comp_targetILNS1_3genE2ELNS1_11target_archE906ELNS1_3gpuE6ELNS1_3repE0EEENS1_30default_config_static_selectorELNS0_4arch9wavefront6targetE0EEEvT1_.uses_flat_scratch, 0
	.set _ZN7rocprim17ROCPRIM_400000_NS6detail17trampoline_kernelINS0_14default_configENS1_27scan_by_key_config_selectorIj11FixedVectorIiLj2EEEEZZNS1_16scan_by_key_implILNS1_25lookback_scan_determinismE0ELb0ES3_N6thrust23THRUST_200600_302600_NS6detail15normal_iteratorINSB_10device_ptrIjEEEENSD_INSE_IS6_EEEESI_S6_NSB_4plusIvEENSB_8equal_toIvEES6_EE10hipError_tPvRmT2_T3_T4_T5_mT6_T7_P12ihipStream_tbENKUlT_T0_E_clISt17integral_constantIbLb1EES13_EEDaSY_SZ_EUlSY_E_NS1_11comp_targetILNS1_3genE2ELNS1_11target_archE906ELNS1_3gpuE6ELNS1_3repE0EEENS1_30default_config_static_selectorELNS0_4arch9wavefront6targetE0EEEvT1_.has_dyn_sized_stack, 0
	.set _ZN7rocprim17ROCPRIM_400000_NS6detail17trampoline_kernelINS0_14default_configENS1_27scan_by_key_config_selectorIj11FixedVectorIiLj2EEEEZZNS1_16scan_by_key_implILNS1_25lookback_scan_determinismE0ELb0ES3_N6thrust23THRUST_200600_302600_NS6detail15normal_iteratorINSB_10device_ptrIjEEEENSD_INSE_IS6_EEEESI_S6_NSB_4plusIvEENSB_8equal_toIvEES6_EE10hipError_tPvRmT2_T3_T4_T5_mT6_T7_P12ihipStream_tbENKUlT_T0_E_clISt17integral_constantIbLb1EES13_EEDaSY_SZ_EUlSY_E_NS1_11comp_targetILNS1_3genE2ELNS1_11target_archE906ELNS1_3gpuE6ELNS1_3repE0EEENS1_30default_config_static_selectorELNS0_4arch9wavefront6targetE0EEEvT1_.has_recursion, 0
	.set _ZN7rocprim17ROCPRIM_400000_NS6detail17trampoline_kernelINS0_14default_configENS1_27scan_by_key_config_selectorIj11FixedVectorIiLj2EEEEZZNS1_16scan_by_key_implILNS1_25lookback_scan_determinismE0ELb0ES3_N6thrust23THRUST_200600_302600_NS6detail15normal_iteratorINSB_10device_ptrIjEEEENSD_INSE_IS6_EEEESI_S6_NSB_4plusIvEENSB_8equal_toIvEES6_EE10hipError_tPvRmT2_T3_T4_T5_mT6_T7_P12ihipStream_tbENKUlT_T0_E_clISt17integral_constantIbLb1EES13_EEDaSY_SZ_EUlSY_E_NS1_11comp_targetILNS1_3genE2ELNS1_11target_archE906ELNS1_3gpuE6ELNS1_3repE0EEENS1_30default_config_static_selectorELNS0_4arch9wavefront6targetE0EEEvT1_.has_indirect_call, 0
	.section	.AMDGPU.csdata,"",@progbits
; Kernel info:
; codeLenInByte = 0
; TotalNumSgprs: 0
; NumVgprs: 0
; ScratchSize: 0
; MemoryBound: 0
; FloatMode: 240
; IeeeMode: 1
; LDSByteSize: 0 bytes/workgroup (compile time only)
; SGPRBlocks: 0
; VGPRBlocks: 0
; NumSGPRsForWavesPerEU: 1
; NumVGPRsForWavesPerEU: 1
; Occupancy: 16
; WaveLimiterHint : 0
; COMPUTE_PGM_RSRC2:SCRATCH_EN: 0
; COMPUTE_PGM_RSRC2:USER_SGPR: 6
; COMPUTE_PGM_RSRC2:TRAP_HANDLER: 0
; COMPUTE_PGM_RSRC2:TGID_X_EN: 1
; COMPUTE_PGM_RSRC2:TGID_Y_EN: 0
; COMPUTE_PGM_RSRC2:TGID_Z_EN: 0
; COMPUTE_PGM_RSRC2:TIDIG_COMP_CNT: 0
	.section	.text._ZN7rocprim17ROCPRIM_400000_NS6detail17trampoline_kernelINS0_14default_configENS1_27scan_by_key_config_selectorIj11FixedVectorIiLj2EEEEZZNS1_16scan_by_key_implILNS1_25lookback_scan_determinismE0ELb0ES3_N6thrust23THRUST_200600_302600_NS6detail15normal_iteratorINSB_10device_ptrIjEEEENSD_INSE_IS6_EEEESI_S6_NSB_4plusIvEENSB_8equal_toIvEES6_EE10hipError_tPvRmT2_T3_T4_T5_mT6_T7_P12ihipStream_tbENKUlT_T0_E_clISt17integral_constantIbLb1EES13_EEDaSY_SZ_EUlSY_E_NS1_11comp_targetILNS1_3genE10ELNS1_11target_archE1200ELNS1_3gpuE4ELNS1_3repE0EEENS1_30default_config_static_selectorELNS0_4arch9wavefront6targetE0EEEvT1_,"axG",@progbits,_ZN7rocprim17ROCPRIM_400000_NS6detail17trampoline_kernelINS0_14default_configENS1_27scan_by_key_config_selectorIj11FixedVectorIiLj2EEEEZZNS1_16scan_by_key_implILNS1_25lookback_scan_determinismE0ELb0ES3_N6thrust23THRUST_200600_302600_NS6detail15normal_iteratorINSB_10device_ptrIjEEEENSD_INSE_IS6_EEEESI_S6_NSB_4plusIvEENSB_8equal_toIvEES6_EE10hipError_tPvRmT2_T3_T4_T5_mT6_T7_P12ihipStream_tbENKUlT_T0_E_clISt17integral_constantIbLb1EES13_EEDaSY_SZ_EUlSY_E_NS1_11comp_targetILNS1_3genE10ELNS1_11target_archE1200ELNS1_3gpuE4ELNS1_3repE0EEENS1_30default_config_static_selectorELNS0_4arch9wavefront6targetE0EEEvT1_,comdat
	.protected	_ZN7rocprim17ROCPRIM_400000_NS6detail17trampoline_kernelINS0_14default_configENS1_27scan_by_key_config_selectorIj11FixedVectorIiLj2EEEEZZNS1_16scan_by_key_implILNS1_25lookback_scan_determinismE0ELb0ES3_N6thrust23THRUST_200600_302600_NS6detail15normal_iteratorINSB_10device_ptrIjEEEENSD_INSE_IS6_EEEESI_S6_NSB_4plusIvEENSB_8equal_toIvEES6_EE10hipError_tPvRmT2_T3_T4_T5_mT6_T7_P12ihipStream_tbENKUlT_T0_E_clISt17integral_constantIbLb1EES13_EEDaSY_SZ_EUlSY_E_NS1_11comp_targetILNS1_3genE10ELNS1_11target_archE1200ELNS1_3gpuE4ELNS1_3repE0EEENS1_30default_config_static_selectorELNS0_4arch9wavefront6targetE0EEEvT1_ ; -- Begin function _ZN7rocprim17ROCPRIM_400000_NS6detail17trampoline_kernelINS0_14default_configENS1_27scan_by_key_config_selectorIj11FixedVectorIiLj2EEEEZZNS1_16scan_by_key_implILNS1_25lookback_scan_determinismE0ELb0ES3_N6thrust23THRUST_200600_302600_NS6detail15normal_iteratorINSB_10device_ptrIjEEEENSD_INSE_IS6_EEEESI_S6_NSB_4plusIvEENSB_8equal_toIvEES6_EE10hipError_tPvRmT2_T3_T4_T5_mT6_T7_P12ihipStream_tbENKUlT_T0_E_clISt17integral_constantIbLb1EES13_EEDaSY_SZ_EUlSY_E_NS1_11comp_targetILNS1_3genE10ELNS1_11target_archE1200ELNS1_3gpuE4ELNS1_3repE0EEENS1_30default_config_static_selectorELNS0_4arch9wavefront6targetE0EEEvT1_
	.globl	_ZN7rocprim17ROCPRIM_400000_NS6detail17trampoline_kernelINS0_14default_configENS1_27scan_by_key_config_selectorIj11FixedVectorIiLj2EEEEZZNS1_16scan_by_key_implILNS1_25lookback_scan_determinismE0ELb0ES3_N6thrust23THRUST_200600_302600_NS6detail15normal_iteratorINSB_10device_ptrIjEEEENSD_INSE_IS6_EEEESI_S6_NSB_4plusIvEENSB_8equal_toIvEES6_EE10hipError_tPvRmT2_T3_T4_T5_mT6_T7_P12ihipStream_tbENKUlT_T0_E_clISt17integral_constantIbLb1EES13_EEDaSY_SZ_EUlSY_E_NS1_11comp_targetILNS1_3genE10ELNS1_11target_archE1200ELNS1_3gpuE4ELNS1_3repE0EEENS1_30default_config_static_selectorELNS0_4arch9wavefront6targetE0EEEvT1_
	.p2align	8
	.type	_ZN7rocprim17ROCPRIM_400000_NS6detail17trampoline_kernelINS0_14default_configENS1_27scan_by_key_config_selectorIj11FixedVectorIiLj2EEEEZZNS1_16scan_by_key_implILNS1_25lookback_scan_determinismE0ELb0ES3_N6thrust23THRUST_200600_302600_NS6detail15normal_iteratorINSB_10device_ptrIjEEEENSD_INSE_IS6_EEEESI_S6_NSB_4plusIvEENSB_8equal_toIvEES6_EE10hipError_tPvRmT2_T3_T4_T5_mT6_T7_P12ihipStream_tbENKUlT_T0_E_clISt17integral_constantIbLb1EES13_EEDaSY_SZ_EUlSY_E_NS1_11comp_targetILNS1_3genE10ELNS1_11target_archE1200ELNS1_3gpuE4ELNS1_3repE0EEENS1_30default_config_static_selectorELNS0_4arch9wavefront6targetE0EEEvT1_,@function
_ZN7rocprim17ROCPRIM_400000_NS6detail17trampoline_kernelINS0_14default_configENS1_27scan_by_key_config_selectorIj11FixedVectorIiLj2EEEEZZNS1_16scan_by_key_implILNS1_25lookback_scan_determinismE0ELb0ES3_N6thrust23THRUST_200600_302600_NS6detail15normal_iteratorINSB_10device_ptrIjEEEENSD_INSE_IS6_EEEESI_S6_NSB_4plusIvEENSB_8equal_toIvEES6_EE10hipError_tPvRmT2_T3_T4_T5_mT6_T7_P12ihipStream_tbENKUlT_T0_E_clISt17integral_constantIbLb1EES13_EEDaSY_SZ_EUlSY_E_NS1_11comp_targetILNS1_3genE10ELNS1_11target_archE1200ELNS1_3gpuE4ELNS1_3repE0EEENS1_30default_config_static_selectorELNS0_4arch9wavefront6targetE0EEEvT1_: ; @_ZN7rocprim17ROCPRIM_400000_NS6detail17trampoline_kernelINS0_14default_configENS1_27scan_by_key_config_selectorIj11FixedVectorIiLj2EEEEZZNS1_16scan_by_key_implILNS1_25lookback_scan_determinismE0ELb0ES3_N6thrust23THRUST_200600_302600_NS6detail15normal_iteratorINSB_10device_ptrIjEEEENSD_INSE_IS6_EEEESI_S6_NSB_4plusIvEENSB_8equal_toIvEES6_EE10hipError_tPvRmT2_T3_T4_T5_mT6_T7_P12ihipStream_tbENKUlT_T0_E_clISt17integral_constantIbLb1EES13_EEDaSY_SZ_EUlSY_E_NS1_11comp_targetILNS1_3genE10ELNS1_11target_archE1200ELNS1_3gpuE4ELNS1_3repE0EEENS1_30default_config_static_selectorELNS0_4arch9wavefront6targetE0EEEvT1_
; %bb.0:
	.section	.rodata,"a",@progbits
	.p2align	6, 0x0
	.amdhsa_kernel _ZN7rocprim17ROCPRIM_400000_NS6detail17trampoline_kernelINS0_14default_configENS1_27scan_by_key_config_selectorIj11FixedVectorIiLj2EEEEZZNS1_16scan_by_key_implILNS1_25lookback_scan_determinismE0ELb0ES3_N6thrust23THRUST_200600_302600_NS6detail15normal_iteratorINSB_10device_ptrIjEEEENSD_INSE_IS6_EEEESI_S6_NSB_4plusIvEENSB_8equal_toIvEES6_EE10hipError_tPvRmT2_T3_T4_T5_mT6_T7_P12ihipStream_tbENKUlT_T0_E_clISt17integral_constantIbLb1EES13_EEDaSY_SZ_EUlSY_E_NS1_11comp_targetILNS1_3genE10ELNS1_11target_archE1200ELNS1_3gpuE4ELNS1_3repE0EEENS1_30default_config_static_selectorELNS0_4arch9wavefront6targetE0EEEvT1_
		.amdhsa_group_segment_fixed_size 0
		.amdhsa_private_segment_fixed_size 0
		.amdhsa_kernarg_size 120
		.amdhsa_user_sgpr_count 6
		.amdhsa_user_sgpr_private_segment_buffer 1
		.amdhsa_user_sgpr_dispatch_ptr 0
		.amdhsa_user_sgpr_queue_ptr 0
		.amdhsa_user_sgpr_kernarg_segment_ptr 1
		.amdhsa_user_sgpr_dispatch_id 0
		.amdhsa_user_sgpr_flat_scratch_init 0
		.amdhsa_user_sgpr_private_segment_size 0
		.amdhsa_wavefront_size32 1
		.amdhsa_uses_dynamic_stack 0
		.amdhsa_system_sgpr_private_segment_wavefront_offset 0
		.amdhsa_system_sgpr_workgroup_id_x 1
		.amdhsa_system_sgpr_workgroup_id_y 0
		.amdhsa_system_sgpr_workgroup_id_z 0
		.amdhsa_system_sgpr_workgroup_info 0
		.amdhsa_system_vgpr_workitem_id 0
		.amdhsa_next_free_vgpr 1
		.amdhsa_next_free_sgpr 1
		.amdhsa_reserve_vcc 0
		.amdhsa_reserve_flat_scratch 0
		.amdhsa_float_round_mode_32 0
		.amdhsa_float_round_mode_16_64 0
		.amdhsa_float_denorm_mode_32 3
		.amdhsa_float_denorm_mode_16_64 3
		.amdhsa_dx10_clamp 1
		.amdhsa_ieee_mode 1
		.amdhsa_fp16_overflow 0
		.amdhsa_workgroup_processor_mode 1
		.amdhsa_memory_ordered 1
		.amdhsa_forward_progress 1
		.amdhsa_shared_vgpr_count 0
		.amdhsa_exception_fp_ieee_invalid_op 0
		.amdhsa_exception_fp_denorm_src 0
		.amdhsa_exception_fp_ieee_div_zero 0
		.amdhsa_exception_fp_ieee_overflow 0
		.amdhsa_exception_fp_ieee_underflow 0
		.amdhsa_exception_fp_ieee_inexact 0
		.amdhsa_exception_int_div_zero 0
	.end_amdhsa_kernel
	.section	.text._ZN7rocprim17ROCPRIM_400000_NS6detail17trampoline_kernelINS0_14default_configENS1_27scan_by_key_config_selectorIj11FixedVectorIiLj2EEEEZZNS1_16scan_by_key_implILNS1_25lookback_scan_determinismE0ELb0ES3_N6thrust23THRUST_200600_302600_NS6detail15normal_iteratorINSB_10device_ptrIjEEEENSD_INSE_IS6_EEEESI_S6_NSB_4plusIvEENSB_8equal_toIvEES6_EE10hipError_tPvRmT2_T3_T4_T5_mT6_T7_P12ihipStream_tbENKUlT_T0_E_clISt17integral_constantIbLb1EES13_EEDaSY_SZ_EUlSY_E_NS1_11comp_targetILNS1_3genE10ELNS1_11target_archE1200ELNS1_3gpuE4ELNS1_3repE0EEENS1_30default_config_static_selectorELNS0_4arch9wavefront6targetE0EEEvT1_,"axG",@progbits,_ZN7rocprim17ROCPRIM_400000_NS6detail17trampoline_kernelINS0_14default_configENS1_27scan_by_key_config_selectorIj11FixedVectorIiLj2EEEEZZNS1_16scan_by_key_implILNS1_25lookback_scan_determinismE0ELb0ES3_N6thrust23THRUST_200600_302600_NS6detail15normal_iteratorINSB_10device_ptrIjEEEENSD_INSE_IS6_EEEESI_S6_NSB_4plusIvEENSB_8equal_toIvEES6_EE10hipError_tPvRmT2_T3_T4_T5_mT6_T7_P12ihipStream_tbENKUlT_T0_E_clISt17integral_constantIbLb1EES13_EEDaSY_SZ_EUlSY_E_NS1_11comp_targetILNS1_3genE10ELNS1_11target_archE1200ELNS1_3gpuE4ELNS1_3repE0EEENS1_30default_config_static_selectorELNS0_4arch9wavefront6targetE0EEEvT1_,comdat
.Lfunc_end1968:
	.size	_ZN7rocprim17ROCPRIM_400000_NS6detail17trampoline_kernelINS0_14default_configENS1_27scan_by_key_config_selectorIj11FixedVectorIiLj2EEEEZZNS1_16scan_by_key_implILNS1_25lookback_scan_determinismE0ELb0ES3_N6thrust23THRUST_200600_302600_NS6detail15normal_iteratorINSB_10device_ptrIjEEEENSD_INSE_IS6_EEEESI_S6_NSB_4plusIvEENSB_8equal_toIvEES6_EE10hipError_tPvRmT2_T3_T4_T5_mT6_T7_P12ihipStream_tbENKUlT_T0_E_clISt17integral_constantIbLb1EES13_EEDaSY_SZ_EUlSY_E_NS1_11comp_targetILNS1_3genE10ELNS1_11target_archE1200ELNS1_3gpuE4ELNS1_3repE0EEENS1_30default_config_static_selectorELNS0_4arch9wavefront6targetE0EEEvT1_, .Lfunc_end1968-_ZN7rocprim17ROCPRIM_400000_NS6detail17trampoline_kernelINS0_14default_configENS1_27scan_by_key_config_selectorIj11FixedVectorIiLj2EEEEZZNS1_16scan_by_key_implILNS1_25lookback_scan_determinismE0ELb0ES3_N6thrust23THRUST_200600_302600_NS6detail15normal_iteratorINSB_10device_ptrIjEEEENSD_INSE_IS6_EEEESI_S6_NSB_4plusIvEENSB_8equal_toIvEES6_EE10hipError_tPvRmT2_T3_T4_T5_mT6_T7_P12ihipStream_tbENKUlT_T0_E_clISt17integral_constantIbLb1EES13_EEDaSY_SZ_EUlSY_E_NS1_11comp_targetILNS1_3genE10ELNS1_11target_archE1200ELNS1_3gpuE4ELNS1_3repE0EEENS1_30default_config_static_selectorELNS0_4arch9wavefront6targetE0EEEvT1_
                                        ; -- End function
	.set _ZN7rocprim17ROCPRIM_400000_NS6detail17trampoline_kernelINS0_14default_configENS1_27scan_by_key_config_selectorIj11FixedVectorIiLj2EEEEZZNS1_16scan_by_key_implILNS1_25lookback_scan_determinismE0ELb0ES3_N6thrust23THRUST_200600_302600_NS6detail15normal_iteratorINSB_10device_ptrIjEEEENSD_INSE_IS6_EEEESI_S6_NSB_4plusIvEENSB_8equal_toIvEES6_EE10hipError_tPvRmT2_T3_T4_T5_mT6_T7_P12ihipStream_tbENKUlT_T0_E_clISt17integral_constantIbLb1EES13_EEDaSY_SZ_EUlSY_E_NS1_11comp_targetILNS1_3genE10ELNS1_11target_archE1200ELNS1_3gpuE4ELNS1_3repE0EEENS1_30default_config_static_selectorELNS0_4arch9wavefront6targetE0EEEvT1_.num_vgpr, 0
	.set _ZN7rocprim17ROCPRIM_400000_NS6detail17trampoline_kernelINS0_14default_configENS1_27scan_by_key_config_selectorIj11FixedVectorIiLj2EEEEZZNS1_16scan_by_key_implILNS1_25lookback_scan_determinismE0ELb0ES3_N6thrust23THRUST_200600_302600_NS6detail15normal_iteratorINSB_10device_ptrIjEEEENSD_INSE_IS6_EEEESI_S6_NSB_4plusIvEENSB_8equal_toIvEES6_EE10hipError_tPvRmT2_T3_T4_T5_mT6_T7_P12ihipStream_tbENKUlT_T0_E_clISt17integral_constantIbLb1EES13_EEDaSY_SZ_EUlSY_E_NS1_11comp_targetILNS1_3genE10ELNS1_11target_archE1200ELNS1_3gpuE4ELNS1_3repE0EEENS1_30default_config_static_selectorELNS0_4arch9wavefront6targetE0EEEvT1_.num_agpr, 0
	.set _ZN7rocprim17ROCPRIM_400000_NS6detail17trampoline_kernelINS0_14default_configENS1_27scan_by_key_config_selectorIj11FixedVectorIiLj2EEEEZZNS1_16scan_by_key_implILNS1_25lookback_scan_determinismE0ELb0ES3_N6thrust23THRUST_200600_302600_NS6detail15normal_iteratorINSB_10device_ptrIjEEEENSD_INSE_IS6_EEEESI_S6_NSB_4plusIvEENSB_8equal_toIvEES6_EE10hipError_tPvRmT2_T3_T4_T5_mT6_T7_P12ihipStream_tbENKUlT_T0_E_clISt17integral_constantIbLb1EES13_EEDaSY_SZ_EUlSY_E_NS1_11comp_targetILNS1_3genE10ELNS1_11target_archE1200ELNS1_3gpuE4ELNS1_3repE0EEENS1_30default_config_static_selectorELNS0_4arch9wavefront6targetE0EEEvT1_.numbered_sgpr, 0
	.set _ZN7rocprim17ROCPRIM_400000_NS6detail17trampoline_kernelINS0_14default_configENS1_27scan_by_key_config_selectorIj11FixedVectorIiLj2EEEEZZNS1_16scan_by_key_implILNS1_25lookback_scan_determinismE0ELb0ES3_N6thrust23THRUST_200600_302600_NS6detail15normal_iteratorINSB_10device_ptrIjEEEENSD_INSE_IS6_EEEESI_S6_NSB_4plusIvEENSB_8equal_toIvEES6_EE10hipError_tPvRmT2_T3_T4_T5_mT6_T7_P12ihipStream_tbENKUlT_T0_E_clISt17integral_constantIbLb1EES13_EEDaSY_SZ_EUlSY_E_NS1_11comp_targetILNS1_3genE10ELNS1_11target_archE1200ELNS1_3gpuE4ELNS1_3repE0EEENS1_30default_config_static_selectorELNS0_4arch9wavefront6targetE0EEEvT1_.num_named_barrier, 0
	.set _ZN7rocprim17ROCPRIM_400000_NS6detail17trampoline_kernelINS0_14default_configENS1_27scan_by_key_config_selectorIj11FixedVectorIiLj2EEEEZZNS1_16scan_by_key_implILNS1_25lookback_scan_determinismE0ELb0ES3_N6thrust23THRUST_200600_302600_NS6detail15normal_iteratorINSB_10device_ptrIjEEEENSD_INSE_IS6_EEEESI_S6_NSB_4plusIvEENSB_8equal_toIvEES6_EE10hipError_tPvRmT2_T3_T4_T5_mT6_T7_P12ihipStream_tbENKUlT_T0_E_clISt17integral_constantIbLb1EES13_EEDaSY_SZ_EUlSY_E_NS1_11comp_targetILNS1_3genE10ELNS1_11target_archE1200ELNS1_3gpuE4ELNS1_3repE0EEENS1_30default_config_static_selectorELNS0_4arch9wavefront6targetE0EEEvT1_.private_seg_size, 0
	.set _ZN7rocprim17ROCPRIM_400000_NS6detail17trampoline_kernelINS0_14default_configENS1_27scan_by_key_config_selectorIj11FixedVectorIiLj2EEEEZZNS1_16scan_by_key_implILNS1_25lookback_scan_determinismE0ELb0ES3_N6thrust23THRUST_200600_302600_NS6detail15normal_iteratorINSB_10device_ptrIjEEEENSD_INSE_IS6_EEEESI_S6_NSB_4plusIvEENSB_8equal_toIvEES6_EE10hipError_tPvRmT2_T3_T4_T5_mT6_T7_P12ihipStream_tbENKUlT_T0_E_clISt17integral_constantIbLb1EES13_EEDaSY_SZ_EUlSY_E_NS1_11comp_targetILNS1_3genE10ELNS1_11target_archE1200ELNS1_3gpuE4ELNS1_3repE0EEENS1_30default_config_static_selectorELNS0_4arch9wavefront6targetE0EEEvT1_.uses_vcc, 0
	.set _ZN7rocprim17ROCPRIM_400000_NS6detail17trampoline_kernelINS0_14default_configENS1_27scan_by_key_config_selectorIj11FixedVectorIiLj2EEEEZZNS1_16scan_by_key_implILNS1_25lookback_scan_determinismE0ELb0ES3_N6thrust23THRUST_200600_302600_NS6detail15normal_iteratorINSB_10device_ptrIjEEEENSD_INSE_IS6_EEEESI_S6_NSB_4plusIvEENSB_8equal_toIvEES6_EE10hipError_tPvRmT2_T3_T4_T5_mT6_T7_P12ihipStream_tbENKUlT_T0_E_clISt17integral_constantIbLb1EES13_EEDaSY_SZ_EUlSY_E_NS1_11comp_targetILNS1_3genE10ELNS1_11target_archE1200ELNS1_3gpuE4ELNS1_3repE0EEENS1_30default_config_static_selectorELNS0_4arch9wavefront6targetE0EEEvT1_.uses_flat_scratch, 0
	.set _ZN7rocprim17ROCPRIM_400000_NS6detail17trampoline_kernelINS0_14default_configENS1_27scan_by_key_config_selectorIj11FixedVectorIiLj2EEEEZZNS1_16scan_by_key_implILNS1_25lookback_scan_determinismE0ELb0ES3_N6thrust23THRUST_200600_302600_NS6detail15normal_iteratorINSB_10device_ptrIjEEEENSD_INSE_IS6_EEEESI_S6_NSB_4plusIvEENSB_8equal_toIvEES6_EE10hipError_tPvRmT2_T3_T4_T5_mT6_T7_P12ihipStream_tbENKUlT_T0_E_clISt17integral_constantIbLb1EES13_EEDaSY_SZ_EUlSY_E_NS1_11comp_targetILNS1_3genE10ELNS1_11target_archE1200ELNS1_3gpuE4ELNS1_3repE0EEENS1_30default_config_static_selectorELNS0_4arch9wavefront6targetE0EEEvT1_.has_dyn_sized_stack, 0
	.set _ZN7rocprim17ROCPRIM_400000_NS6detail17trampoline_kernelINS0_14default_configENS1_27scan_by_key_config_selectorIj11FixedVectorIiLj2EEEEZZNS1_16scan_by_key_implILNS1_25lookback_scan_determinismE0ELb0ES3_N6thrust23THRUST_200600_302600_NS6detail15normal_iteratorINSB_10device_ptrIjEEEENSD_INSE_IS6_EEEESI_S6_NSB_4plusIvEENSB_8equal_toIvEES6_EE10hipError_tPvRmT2_T3_T4_T5_mT6_T7_P12ihipStream_tbENKUlT_T0_E_clISt17integral_constantIbLb1EES13_EEDaSY_SZ_EUlSY_E_NS1_11comp_targetILNS1_3genE10ELNS1_11target_archE1200ELNS1_3gpuE4ELNS1_3repE0EEENS1_30default_config_static_selectorELNS0_4arch9wavefront6targetE0EEEvT1_.has_recursion, 0
	.set _ZN7rocprim17ROCPRIM_400000_NS6detail17trampoline_kernelINS0_14default_configENS1_27scan_by_key_config_selectorIj11FixedVectorIiLj2EEEEZZNS1_16scan_by_key_implILNS1_25lookback_scan_determinismE0ELb0ES3_N6thrust23THRUST_200600_302600_NS6detail15normal_iteratorINSB_10device_ptrIjEEEENSD_INSE_IS6_EEEESI_S6_NSB_4plusIvEENSB_8equal_toIvEES6_EE10hipError_tPvRmT2_T3_T4_T5_mT6_T7_P12ihipStream_tbENKUlT_T0_E_clISt17integral_constantIbLb1EES13_EEDaSY_SZ_EUlSY_E_NS1_11comp_targetILNS1_3genE10ELNS1_11target_archE1200ELNS1_3gpuE4ELNS1_3repE0EEENS1_30default_config_static_selectorELNS0_4arch9wavefront6targetE0EEEvT1_.has_indirect_call, 0
	.section	.AMDGPU.csdata,"",@progbits
; Kernel info:
; codeLenInByte = 0
; TotalNumSgprs: 0
; NumVgprs: 0
; ScratchSize: 0
; MemoryBound: 0
; FloatMode: 240
; IeeeMode: 1
; LDSByteSize: 0 bytes/workgroup (compile time only)
; SGPRBlocks: 0
; VGPRBlocks: 0
; NumSGPRsForWavesPerEU: 1
; NumVGPRsForWavesPerEU: 1
; Occupancy: 16
; WaveLimiterHint : 0
; COMPUTE_PGM_RSRC2:SCRATCH_EN: 0
; COMPUTE_PGM_RSRC2:USER_SGPR: 6
; COMPUTE_PGM_RSRC2:TRAP_HANDLER: 0
; COMPUTE_PGM_RSRC2:TGID_X_EN: 1
; COMPUTE_PGM_RSRC2:TGID_Y_EN: 0
; COMPUTE_PGM_RSRC2:TGID_Z_EN: 0
; COMPUTE_PGM_RSRC2:TIDIG_COMP_CNT: 0
	.section	.text._ZN7rocprim17ROCPRIM_400000_NS6detail17trampoline_kernelINS0_14default_configENS1_27scan_by_key_config_selectorIj11FixedVectorIiLj2EEEEZZNS1_16scan_by_key_implILNS1_25lookback_scan_determinismE0ELb0ES3_N6thrust23THRUST_200600_302600_NS6detail15normal_iteratorINSB_10device_ptrIjEEEENSD_INSE_IS6_EEEESI_S6_NSB_4plusIvEENSB_8equal_toIvEES6_EE10hipError_tPvRmT2_T3_T4_T5_mT6_T7_P12ihipStream_tbENKUlT_T0_E_clISt17integral_constantIbLb1EES13_EEDaSY_SZ_EUlSY_E_NS1_11comp_targetILNS1_3genE9ELNS1_11target_archE1100ELNS1_3gpuE3ELNS1_3repE0EEENS1_30default_config_static_selectorELNS0_4arch9wavefront6targetE0EEEvT1_,"axG",@progbits,_ZN7rocprim17ROCPRIM_400000_NS6detail17trampoline_kernelINS0_14default_configENS1_27scan_by_key_config_selectorIj11FixedVectorIiLj2EEEEZZNS1_16scan_by_key_implILNS1_25lookback_scan_determinismE0ELb0ES3_N6thrust23THRUST_200600_302600_NS6detail15normal_iteratorINSB_10device_ptrIjEEEENSD_INSE_IS6_EEEESI_S6_NSB_4plusIvEENSB_8equal_toIvEES6_EE10hipError_tPvRmT2_T3_T4_T5_mT6_T7_P12ihipStream_tbENKUlT_T0_E_clISt17integral_constantIbLb1EES13_EEDaSY_SZ_EUlSY_E_NS1_11comp_targetILNS1_3genE9ELNS1_11target_archE1100ELNS1_3gpuE3ELNS1_3repE0EEENS1_30default_config_static_selectorELNS0_4arch9wavefront6targetE0EEEvT1_,comdat
	.protected	_ZN7rocprim17ROCPRIM_400000_NS6detail17trampoline_kernelINS0_14default_configENS1_27scan_by_key_config_selectorIj11FixedVectorIiLj2EEEEZZNS1_16scan_by_key_implILNS1_25lookback_scan_determinismE0ELb0ES3_N6thrust23THRUST_200600_302600_NS6detail15normal_iteratorINSB_10device_ptrIjEEEENSD_INSE_IS6_EEEESI_S6_NSB_4plusIvEENSB_8equal_toIvEES6_EE10hipError_tPvRmT2_T3_T4_T5_mT6_T7_P12ihipStream_tbENKUlT_T0_E_clISt17integral_constantIbLb1EES13_EEDaSY_SZ_EUlSY_E_NS1_11comp_targetILNS1_3genE9ELNS1_11target_archE1100ELNS1_3gpuE3ELNS1_3repE0EEENS1_30default_config_static_selectorELNS0_4arch9wavefront6targetE0EEEvT1_ ; -- Begin function _ZN7rocprim17ROCPRIM_400000_NS6detail17trampoline_kernelINS0_14default_configENS1_27scan_by_key_config_selectorIj11FixedVectorIiLj2EEEEZZNS1_16scan_by_key_implILNS1_25lookback_scan_determinismE0ELb0ES3_N6thrust23THRUST_200600_302600_NS6detail15normal_iteratorINSB_10device_ptrIjEEEENSD_INSE_IS6_EEEESI_S6_NSB_4plusIvEENSB_8equal_toIvEES6_EE10hipError_tPvRmT2_T3_T4_T5_mT6_T7_P12ihipStream_tbENKUlT_T0_E_clISt17integral_constantIbLb1EES13_EEDaSY_SZ_EUlSY_E_NS1_11comp_targetILNS1_3genE9ELNS1_11target_archE1100ELNS1_3gpuE3ELNS1_3repE0EEENS1_30default_config_static_selectorELNS0_4arch9wavefront6targetE0EEEvT1_
	.globl	_ZN7rocprim17ROCPRIM_400000_NS6detail17trampoline_kernelINS0_14default_configENS1_27scan_by_key_config_selectorIj11FixedVectorIiLj2EEEEZZNS1_16scan_by_key_implILNS1_25lookback_scan_determinismE0ELb0ES3_N6thrust23THRUST_200600_302600_NS6detail15normal_iteratorINSB_10device_ptrIjEEEENSD_INSE_IS6_EEEESI_S6_NSB_4plusIvEENSB_8equal_toIvEES6_EE10hipError_tPvRmT2_T3_T4_T5_mT6_T7_P12ihipStream_tbENKUlT_T0_E_clISt17integral_constantIbLb1EES13_EEDaSY_SZ_EUlSY_E_NS1_11comp_targetILNS1_3genE9ELNS1_11target_archE1100ELNS1_3gpuE3ELNS1_3repE0EEENS1_30default_config_static_selectorELNS0_4arch9wavefront6targetE0EEEvT1_
	.p2align	8
	.type	_ZN7rocprim17ROCPRIM_400000_NS6detail17trampoline_kernelINS0_14default_configENS1_27scan_by_key_config_selectorIj11FixedVectorIiLj2EEEEZZNS1_16scan_by_key_implILNS1_25lookback_scan_determinismE0ELb0ES3_N6thrust23THRUST_200600_302600_NS6detail15normal_iteratorINSB_10device_ptrIjEEEENSD_INSE_IS6_EEEESI_S6_NSB_4plusIvEENSB_8equal_toIvEES6_EE10hipError_tPvRmT2_T3_T4_T5_mT6_T7_P12ihipStream_tbENKUlT_T0_E_clISt17integral_constantIbLb1EES13_EEDaSY_SZ_EUlSY_E_NS1_11comp_targetILNS1_3genE9ELNS1_11target_archE1100ELNS1_3gpuE3ELNS1_3repE0EEENS1_30default_config_static_selectorELNS0_4arch9wavefront6targetE0EEEvT1_,@function
_ZN7rocprim17ROCPRIM_400000_NS6detail17trampoline_kernelINS0_14default_configENS1_27scan_by_key_config_selectorIj11FixedVectorIiLj2EEEEZZNS1_16scan_by_key_implILNS1_25lookback_scan_determinismE0ELb0ES3_N6thrust23THRUST_200600_302600_NS6detail15normal_iteratorINSB_10device_ptrIjEEEENSD_INSE_IS6_EEEESI_S6_NSB_4plusIvEENSB_8equal_toIvEES6_EE10hipError_tPvRmT2_T3_T4_T5_mT6_T7_P12ihipStream_tbENKUlT_T0_E_clISt17integral_constantIbLb1EES13_EEDaSY_SZ_EUlSY_E_NS1_11comp_targetILNS1_3genE9ELNS1_11target_archE1100ELNS1_3gpuE3ELNS1_3repE0EEENS1_30default_config_static_selectorELNS0_4arch9wavefront6targetE0EEEvT1_: ; @_ZN7rocprim17ROCPRIM_400000_NS6detail17trampoline_kernelINS0_14default_configENS1_27scan_by_key_config_selectorIj11FixedVectorIiLj2EEEEZZNS1_16scan_by_key_implILNS1_25lookback_scan_determinismE0ELb0ES3_N6thrust23THRUST_200600_302600_NS6detail15normal_iteratorINSB_10device_ptrIjEEEENSD_INSE_IS6_EEEESI_S6_NSB_4plusIvEENSB_8equal_toIvEES6_EE10hipError_tPvRmT2_T3_T4_T5_mT6_T7_P12ihipStream_tbENKUlT_T0_E_clISt17integral_constantIbLb1EES13_EEDaSY_SZ_EUlSY_E_NS1_11comp_targetILNS1_3genE9ELNS1_11target_archE1100ELNS1_3gpuE3ELNS1_3repE0EEENS1_30default_config_static_selectorELNS0_4arch9wavefront6targetE0EEEvT1_
; %bb.0:
	.section	.rodata,"a",@progbits
	.p2align	6, 0x0
	.amdhsa_kernel _ZN7rocprim17ROCPRIM_400000_NS6detail17trampoline_kernelINS0_14default_configENS1_27scan_by_key_config_selectorIj11FixedVectorIiLj2EEEEZZNS1_16scan_by_key_implILNS1_25lookback_scan_determinismE0ELb0ES3_N6thrust23THRUST_200600_302600_NS6detail15normal_iteratorINSB_10device_ptrIjEEEENSD_INSE_IS6_EEEESI_S6_NSB_4plusIvEENSB_8equal_toIvEES6_EE10hipError_tPvRmT2_T3_T4_T5_mT6_T7_P12ihipStream_tbENKUlT_T0_E_clISt17integral_constantIbLb1EES13_EEDaSY_SZ_EUlSY_E_NS1_11comp_targetILNS1_3genE9ELNS1_11target_archE1100ELNS1_3gpuE3ELNS1_3repE0EEENS1_30default_config_static_selectorELNS0_4arch9wavefront6targetE0EEEvT1_
		.amdhsa_group_segment_fixed_size 0
		.amdhsa_private_segment_fixed_size 0
		.amdhsa_kernarg_size 120
		.amdhsa_user_sgpr_count 6
		.amdhsa_user_sgpr_private_segment_buffer 1
		.amdhsa_user_sgpr_dispatch_ptr 0
		.amdhsa_user_sgpr_queue_ptr 0
		.amdhsa_user_sgpr_kernarg_segment_ptr 1
		.amdhsa_user_sgpr_dispatch_id 0
		.amdhsa_user_sgpr_flat_scratch_init 0
		.amdhsa_user_sgpr_private_segment_size 0
		.amdhsa_wavefront_size32 1
		.amdhsa_uses_dynamic_stack 0
		.amdhsa_system_sgpr_private_segment_wavefront_offset 0
		.amdhsa_system_sgpr_workgroup_id_x 1
		.amdhsa_system_sgpr_workgroup_id_y 0
		.amdhsa_system_sgpr_workgroup_id_z 0
		.amdhsa_system_sgpr_workgroup_info 0
		.amdhsa_system_vgpr_workitem_id 0
		.amdhsa_next_free_vgpr 1
		.amdhsa_next_free_sgpr 1
		.amdhsa_reserve_vcc 0
		.amdhsa_reserve_flat_scratch 0
		.amdhsa_float_round_mode_32 0
		.amdhsa_float_round_mode_16_64 0
		.amdhsa_float_denorm_mode_32 3
		.amdhsa_float_denorm_mode_16_64 3
		.amdhsa_dx10_clamp 1
		.amdhsa_ieee_mode 1
		.amdhsa_fp16_overflow 0
		.amdhsa_workgroup_processor_mode 1
		.amdhsa_memory_ordered 1
		.amdhsa_forward_progress 1
		.amdhsa_shared_vgpr_count 0
		.amdhsa_exception_fp_ieee_invalid_op 0
		.amdhsa_exception_fp_denorm_src 0
		.amdhsa_exception_fp_ieee_div_zero 0
		.amdhsa_exception_fp_ieee_overflow 0
		.amdhsa_exception_fp_ieee_underflow 0
		.amdhsa_exception_fp_ieee_inexact 0
		.amdhsa_exception_int_div_zero 0
	.end_amdhsa_kernel
	.section	.text._ZN7rocprim17ROCPRIM_400000_NS6detail17trampoline_kernelINS0_14default_configENS1_27scan_by_key_config_selectorIj11FixedVectorIiLj2EEEEZZNS1_16scan_by_key_implILNS1_25lookback_scan_determinismE0ELb0ES3_N6thrust23THRUST_200600_302600_NS6detail15normal_iteratorINSB_10device_ptrIjEEEENSD_INSE_IS6_EEEESI_S6_NSB_4plusIvEENSB_8equal_toIvEES6_EE10hipError_tPvRmT2_T3_T4_T5_mT6_T7_P12ihipStream_tbENKUlT_T0_E_clISt17integral_constantIbLb1EES13_EEDaSY_SZ_EUlSY_E_NS1_11comp_targetILNS1_3genE9ELNS1_11target_archE1100ELNS1_3gpuE3ELNS1_3repE0EEENS1_30default_config_static_selectorELNS0_4arch9wavefront6targetE0EEEvT1_,"axG",@progbits,_ZN7rocprim17ROCPRIM_400000_NS6detail17trampoline_kernelINS0_14default_configENS1_27scan_by_key_config_selectorIj11FixedVectorIiLj2EEEEZZNS1_16scan_by_key_implILNS1_25lookback_scan_determinismE0ELb0ES3_N6thrust23THRUST_200600_302600_NS6detail15normal_iteratorINSB_10device_ptrIjEEEENSD_INSE_IS6_EEEESI_S6_NSB_4plusIvEENSB_8equal_toIvEES6_EE10hipError_tPvRmT2_T3_T4_T5_mT6_T7_P12ihipStream_tbENKUlT_T0_E_clISt17integral_constantIbLb1EES13_EEDaSY_SZ_EUlSY_E_NS1_11comp_targetILNS1_3genE9ELNS1_11target_archE1100ELNS1_3gpuE3ELNS1_3repE0EEENS1_30default_config_static_selectorELNS0_4arch9wavefront6targetE0EEEvT1_,comdat
.Lfunc_end1969:
	.size	_ZN7rocprim17ROCPRIM_400000_NS6detail17trampoline_kernelINS0_14default_configENS1_27scan_by_key_config_selectorIj11FixedVectorIiLj2EEEEZZNS1_16scan_by_key_implILNS1_25lookback_scan_determinismE0ELb0ES3_N6thrust23THRUST_200600_302600_NS6detail15normal_iteratorINSB_10device_ptrIjEEEENSD_INSE_IS6_EEEESI_S6_NSB_4plusIvEENSB_8equal_toIvEES6_EE10hipError_tPvRmT2_T3_T4_T5_mT6_T7_P12ihipStream_tbENKUlT_T0_E_clISt17integral_constantIbLb1EES13_EEDaSY_SZ_EUlSY_E_NS1_11comp_targetILNS1_3genE9ELNS1_11target_archE1100ELNS1_3gpuE3ELNS1_3repE0EEENS1_30default_config_static_selectorELNS0_4arch9wavefront6targetE0EEEvT1_, .Lfunc_end1969-_ZN7rocprim17ROCPRIM_400000_NS6detail17trampoline_kernelINS0_14default_configENS1_27scan_by_key_config_selectorIj11FixedVectorIiLj2EEEEZZNS1_16scan_by_key_implILNS1_25lookback_scan_determinismE0ELb0ES3_N6thrust23THRUST_200600_302600_NS6detail15normal_iteratorINSB_10device_ptrIjEEEENSD_INSE_IS6_EEEESI_S6_NSB_4plusIvEENSB_8equal_toIvEES6_EE10hipError_tPvRmT2_T3_T4_T5_mT6_T7_P12ihipStream_tbENKUlT_T0_E_clISt17integral_constantIbLb1EES13_EEDaSY_SZ_EUlSY_E_NS1_11comp_targetILNS1_3genE9ELNS1_11target_archE1100ELNS1_3gpuE3ELNS1_3repE0EEENS1_30default_config_static_selectorELNS0_4arch9wavefront6targetE0EEEvT1_
                                        ; -- End function
	.set _ZN7rocprim17ROCPRIM_400000_NS6detail17trampoline_kernelINS0_14default_configENS1_27scan_by_key_config_selectorIj11FixedVectorIiLj2EEEEZZNS1_16scan_by_key_implILNS1_25lookback_scan_determinismE0ELb0ES3_N6thrust23THRUST_200600_302600_NS6detail15normal_iteratorINSB_10device_ptrIjEEEENSD_INSE_IS6_EEEESI_S6_NSB_4plusIvEENSB_8equal_toIvEES6_EE10hipError_tPvRmT2_T3_T4_T5_mT6_T7_P12ihipStream_tbENKUlT_T0_E_clISt17integral_constantIbLb1EES13_EEDaSY_SZ_EUlSY_E_NS1_11comp_targetILNS1_3genE9ELNS1_11target_archE1100ELNS1_3gpuE3ELNS1_3repE0EEENS1_30default_config_static_selectorELNS0_4arch9wavefront6targetE0EEEvT1_.num_vgpr, 0
	.set _ZN7rocprim17ROCPRIM_400000_NS6detail17trampoline_kernelINS0_14default_configENS1_27scan_by_key_config_selectorIj11FixedVectorIiLj2EEEEZZNS1_16scan_by_key_implILNS1_25lookback_scan_determinismE0ELb0ES3_N6thrust23THRUST_200600_302600_NS6detail15normal_iteratorINSB_10device_ptrIjEEEENSD_INSE_IS6_EEEESI_S6_NSB_4plusIvEENSB_8equal_toIvEES6_EE10hipError_tPvRmT2_T3_T4_T5_mT6_T7_P12ihipStream_tbENKUlT_T0_E_clISt17integral_constantIbLb1EES13_EEDaSY_SZ_EUlSY_E_NS1_11comp_targetILNS1_3genE9ELNS1_11target_archE1100ELNS1_3gpuE3ELNS1_3repE0EEENS1_30default_config_static_selectorELNS0_4arch9wavefront6targetE0EEEvT1_.num_agpr, 0
	.set _ZN7rocprim17ROCPRIM_400000_NS6detail17trampoline_kernelINS0_14default_configENS1_27scan_by_key_config_selectorIj11FixedVectorIiLj2EEEEZZNS1_16scan_by_key_implILNS1_25lookback_scan_determinismE0ELb0ES3_N6thrust23THRUST_200600_302600_NS6detail15normal_iteratorINSB_10device_ptrIjEEEENSD_INSE_IS6_EEEESI_S6_NSB_4plusIvEENSB_8equal_toIvEES6_EE10hipError_tPvRmT2_T3_T4_T5_mT6_T7_P12ihipStream_tbENKUlT_T0_E_clISt17integral_constantIbLb1EES13_EEDaSY_SZ_EUlSY_E_NS1_11comp_targetILNS1_3genE9ELNS1_11target_archE1100ELNS1_3gpuE3ELNS1_3repE0EEENS1_30default_config_static_selectorELNS0_4arch9wavefront6targetE0EEEvT1_.numbered_sgpr, 0
	.set _ZN7rocprim17ROCPRIM_400000_NS6detail17trampoline_kernelINS0_14default_configENS1_27scan_by_key_config_selectorIj11FixedVectorIiLj2EEEEZZNS1_16scan_by_key_implILNS1_25lookback_scan_determinismE0ELb0ES3_N6thrust23THRUST_200600_302600_NS6detail15normal_iteratorINSB_10device_ptrIjEEEENSD_INSE_IS6_EEEESI_S6_NSB_4plusIvEENSB_8equal_toIvEES6_EE10hipError_tPvRmT2_T3_T4_T5_mT6_T7_P12ihipStream_tbENKUlT_T0_E_clISt17integral_constantIbLb1EES13_EEDaSY_SZ_EUlSY_E_NS1_11comp_targetILNS1_3genE9ELNS1_11target_archE1100ELNS1_3gpuE3ELNS1_3repE0EEENS1_30default_config_static_selectorELNS0_4arch9wavefront6targetE0EEEvT1_.num_named_barrier, 0
	.set _ZN7rocprim17ROCPRIM_400000_NS6detail17trampoline_kernelINS0_14default_configENS1_27scan_by_key_config_selectorIj11FixedVectorIiLj2EEEEZZNS1_16scan_by_key_implILNS1_25lookback_scan_determinismE0ELb0ES3_N6thrust23THRUST_200600_302600_NS6detail15normal_iteratorINSB_10device_ptrIjEEEENSD_INSE_IS6_EEEESI_S6_NSB_4plusIvEENSB_8equal_toIvEES6_EE10hipError_tPvRmT2_T3_T4_T5_mT6_T7_P12ihipStream_tbENKUlT_T0_E_clISt17integral_constantIbLb1EES13_EEDaSY_SZ_EUlSY_E_NS1_11comp_targetILNS1_3genE9ELNS1_11target_archE1100ELNS1_3gpuE3ELNS1_3repE0EEENS1_30default_config_static_selectorELNS0_4arch9wavefront6targetE0EEEvT1_.private_seg_size, 0
	.set _ZN7rocprim17ROCPRIM_400000_NS6detail17trampoline_kernelINS0_14default_configENS1_27scan_by_key_config_selectorIj11FixedVectorIiLj2EEEEZZNS1_16scan_by_key_implILNS1_25lookback_scan_determinismE0ELb0ES3_N6thrust23THRUST_200600_302600_NS6detail15normal_iteratorINSB_10device_ptrIjEEEENSD_INSE_IS6_EEEESI_S6_NSB_4plusIvEENSB_8equal_toIvEES6_EE10hipError_tPvRmT2_T3_T4_T5_mT6_T7_P12ihipStream_tbENKUlT_T0_E_clISt17integral_constantIbLb1EES13_EEDaSY_SZ_EUlSY_E_NS1_11comp_targetILNS1_3genE9ELNS1_11target_archE1100ELNS1_3gpuE3ELNS1_3repE0EEENS1_30default_config_static_selectorELNS0_4arch9wavefront6targetE0EEEvT1_.uses_vcc, 0
	.set _ZN7rocprim17ROCPRIM_400000_NS6detail17trampoline_kernelINS0_14default_configENS1_27scan_by_key_config_selectorIj11FixedVectorIiLj2EEEEZZNS1_16scan_by_key_implILNS1_25lookback_scan_determinismE0ELb0ES3_N6thrust23THRUST_200600_302600_NS6detail15normal_iteratorINSB_10device_ptrIjEEEENSD_INSE_IS6_EEEESI_S6_NSB_4plusIvEENSB_8equal_toIvEES6_EE10hipError_tPvRmT2_T3_T4_T5_mT6_T7_P12ihipStream_tbENKUlT_T0_E_clISt17integral_constantIbLb1EES13_EEDaSY_SZ_EUlSY_E_NS1_11comp_targetILNS1_3genE9ELNS1_11target_archE1100ELNS1_3gpuE3ELNS1_3repE0EEENS1_30default_config_static_selectorELNS0_4arch9wavefront6targetE0EEEvT1_.uses_flat_scratch, 0
	.set _ZN7rocprim17ROCPRIM_400000_NS6detail17trampoline_kernelINS0_14default_configENS1_27scan_by_key_config_selectorIj11FixedVectorIiLj2EEEEZZNS1_16scan_by_key_implILNS1_25lookback_scan_determinismE0ELb0ES3_N6thrust23THRUST_200600_302600_NS6detail15normal_iteratorINSB_10device_ptrIjEEEENSD_INSE_IS6_EEEESI_S6_NSB_4plusIvEENSB_8equal_toIvEES6_EE10hipError_tPvRmT2_T3_T4_T5_mT6_T7_P12ihipStream_tbENKUlT_T0_E_clISt17integral_constantIbLb1EES13_EEDaSY_SZ_EUlSY_E_NS1_11comp_targetILNS1_3genE9ELNS1_11target_archE1100ELNS1_3gpuE3ELNS1_3repE0EEENS1_30default_config_static_selectorELNS0_4arch9wavefront6targetE0EEEvT1_.has_dyn_sized_stack, 0
	.set _ZN7rocprim17ROCPRIM_400000_NS6detail17trampoline_kernelINS0_14default_configENS1_27scan_by_key_config_selectorIj11FixedVectorIiLj2EEEEZZNS1_16scan_by_key_implILNS1_25lookback_scan_determinismE0ELb0ES3_N6thrust23THRUST_200600_302600_NS6detail15normal_iteratorINSB_10device_ptrIjEEEENSD_INSE_IS6_EEEESI_S6_NSB_4plusIvEENSB_8equal_toIvEES6_EE10hipError_tPvRmT2_T3_T4_T5_mT6_T7_P12ihipStream_tbENKUlT_T0_E_clISt17integral_constantIbLb1EES13_EEDaSY_SZ_EUlSY_E_NS1_11comp_targetILNS1_3genE9ELNS1_11target_archE1100ELNS1_3gpuE3ELNS1_3repE0EEENS1_30default_config_static_selectorELNS0_4arch9wavefront6targetE0EEEvT1_.has_recursion, 0
	.set _ZN7rocprim17ROCPRIM_400000_NS6detail17trampoline_kernelINS0_14default_configENS1_27scan_by_key_config_selectorIj11FixedVectorIiLj2EEEEZZNS1_16scan_by_key_implILNS1_25lookback_scan_determinismE0ELb0ES3_N6thrust23THRUST_200600_302600_NS6detail15normal_iteratorINSB_10device_ptrIjEEEENSD_INSE_IS6_EEEESI_S6_NSB_4plusIvEENSB_8equal_toIvEES6_EE10hipError_tPvRmT2_T3_T4_T5_mT6_T7_P12ihipStream_tbENKUlT_T0_E_clISt17integral_constantIbLb1EES13_EEDaSY_SZ_EUlSY_E_NS1_11comp_targetILNS1_3genE9ELNS1_11target_archE1100ELNS1_3gpuE3ELNS1_3repE0EEENS1_30default_config_static_selectorELNS0_4arch9wavefront6targetE0EEEvT1_.has_indirect_call, 0
	.section	.AMDGPU.csdata,"",@progbits
; Kernel info:
; codeLenInByte = 0
; TotalNumSgprs: 0
; NumVgprs: 0
; ScratchSize: 0
; MemoryBound: 0
; FloatMode: 240
; IeeeMode: 1
; LDSByteSize: 0 bytes/workgroup (compile time only)
; SGPRBlocks: 0
; VGPRBlocks: 0
; NumSGPRsForWavesPerEU: 1
; NumVGPRsForWavesPerEU: 1
; Occupancy: 16
; WaveLimiterHint : 0
; COMPUTE_PGM_RSRC2:SCRATCH_EN: 0
; COMPUTE_PGM_RSRC2:USER_SGPR: 6
; COMPUTE_PGM_RSRC2:TRAP_HANDLER: 0
; COMPUTE_PGM_RSRC2:TGID_X_EN: 1
; COMPUTE_PGM_RSRC2:TGID_Y_EN: 0
; COMPUTE_PGM_RSRC2:TGID_Z_EN: 0
; COMPUTE_PGM_RSRC2:TIDIG_COMP_CNT: 0
	.section	.text._ZN7rocprim17ROCPRIM_400000_NS6detail17trampoline_kernelINS0_14default_configENS1_27scan_by_key_config_selectorIj11FixedVectorIiLj2EEEEZZNS1_16scan_by_key_implILNS1_25lookback_scan_determinismE0ELb0ES3_N6thrust23THRUST_200600_302600_NS6detail15normal_iteratorINSB_10device_ptrIjEEEENSD_INSE_IS6_EEEESI_S6_NSB_4plusIvEENSB_8equal_toIvEES6_EE10hipError_tPvRmT2_T3_T4_T5_mT6_T7_P12ihipStream_tbENKUlT_T0_E_clISt17integral_constantIbLb1EES13_EEDaSY_SZ_EUlSY_E_NS1_11comp_targetILNS1_3genE8ELNS1_11target_archE1030ELNS1_3gpuE2ELNS1_3repE0EEENS1_30default_config_static_selectorELNS0_4arch9wavefront6targetE0EEEvT1_,"axG",@progbits,_ZN7rocprim17ROCPRIM_400000_NS6detail17trampoline_kernelINS0_14default_configENS1_27scan_by_key_config_selectorIj11FixedVectorIiLj2EEEEZZNS1_16scan_by_key_implILNS1_25lookback_scan_determinismE0ELb0ES3_N6thrust23THRUST_200600_302600_NS6detail15normal_iteratorINSB_10device_ptrIjEEEENSD_INSE_IS6_EEEESI_S6_NSB_4plusIvEENSB_8equal_toIvEES6_EE10hipError_tPvRmT2_T3_T4_T5_mT6_T7_P12ihipStream_tbENKUlT_T0_E_clISt17integral_constantIbLb1EES13_EEDaSY_SZ_EUlSY_E_NS1_11comp_targetILNS1_3genE8ELNS1_11target_archE1030ELNS1_3gpuE2ELNS1_3repE0EEENS1_30default_config_static_selectorELNS0_4arch9wavefront6targetE0EEEvT1_,comdat
	.protected	_ZN7rocprim17ROCPRIM_400000_NS6detail17trampoline_kernelINS0_14default_configENS1_27scan_by_key_config_selectorIj11FixedVectorIiLj2EEEEZZNS1_16scan_by_key_implILNS1_25lookback_scan_determinismE0ELb0ES3_N6thrust23THRUST_200600_302600_NS6detail15normal_iteratorINSB_10device_ptrIjEEEENSD_INSE_IS6_EEEESI_S6_NSB_4plusIvEENSB_8equal_toIvEES6_EE10hipError_tPvRmT2_T3_T4_T5_mT6_T7_P12ihipStream_tbENKUlT_T0_E_clISt17integral_constantIbLb1EES13_EEDaSY_SZ_EUlSY_E_NS1_11comp_targetILNS1_3genE8ELNS1_11target_archE1030ELNS1_3gpuE2ELNS1_3repE0EEENS1_30default_config_static_selectorELNS0_4arch9wavefront6targetE0EEEvT1_ ; -- Begin function _ZN7rocprim17ROCPRIM_400000_NS6detail17trampoline_kernelINS0_14default_configENS1_27scan_by_key_config_selectorIj11FixedVectorIiLj2EEEEZZNS1_16scan_by_key_implILNS1_25lookback_scan_determinismE0ELb0ES3_N6thrust23THRUST_200600_302600_NS6detail15normal_iteratorINSB_10device_ptrIjEEEENSD_INSE_IS6_EEEESI_S6_NSB_4plusIvEENSB_8equal_toIvEES6_EE10hipError_tPvRmT2_T3_T4_T5_mT6_T7_P12ihipStream_tbENKUlT_T0_E_clISt17integral_constantIbLb1EES13_EEDaSY_SZ_EUlSY_E_NS1_11comp_targetILNS1_3genE8ELNS1_11target_archE1030ELNS1_3gpuE2ELNS1_3repE0EEENS1_30default_config_static_selectorELNS0_4arch9wavefront6targetE0EEEvT1_
	.globl	_ZN7rocprim17ROCPRIM_400000_NS6detail17trampoline_kernelINS0_14default_configENS1_27scan_by_key_config_selectorIj11FixedVectorIiLj2EEEEZZNS1_16scan_by_key_implILNS1_25lookback_scan_determinismE0ELb0ES3_N6thrust23THRUST_200600_302600_NS6detail15normal_iteratorINSB_10device_ptrIjEEEENSD_INSE_IS6_EEEESI_S6_NSB_4plusIvEENSB_8equal_toIvEES6_EE10hipError_tPvRmT2_T3_T4_T5_mT6_T7_P12ihipStream_tbENKUlT_T0_E_clISt17integral_constantIbLb1EES13_EEDaSY_SZ_EUlSY_E_NS1_11comp_targetILNS1_3genE8ELNS1_11target_archE1030ELNS1_3gpuE2ELNS1_3repE0EEENS1_30default_config_static_selectorELNS0_4arch9wavefront6targetE0EEEvT1_
	.p2align	8
	.type	_ZN7rocprim17ROCPRIM_400000_NS6detail17trampoline_kernelINS0_14default_configENS1_27scan_by_key_config_selectorIj11FixedVectorIiLj2EEEEZZNS1_16scan_by_key_implILNS1_25lookback_scan_determinismE0ELb0ES3_N6thrust23THRUST_200600_302600_NS6detail15normal_iteratorINSB_10device_ptrIjEEEENSD_INSE_IS6_EEEESI_S6_NSB_4plusIvEENSB_8equal_toIvEES6_EE10hipError_tPvRmT2_T3_T4_T5_mT6_T7_P12ihipStream_tbENKUlT_T0_E_clISt17integral_constantIbLb1EES13_EEDaSY_SZ_EUlSY_E_NS1_11comp_targetILNS1_3genE8ELNS1_11target_archE1030ELNS1_3gpuE2ELNS1_3repE0EEENS1_30default_config_static_selectorELNS0_4arch9wavefront6targetE0EEEvT1_,@function
_ZN7rocprim17ROCPRIM_400000_NS6detail17trampoline_kernelINS0_14default_configENS1_27scan_by_key_config_selectorIj11FixedVectorIiLj2EEEEZZNS1_16scan_by_key_implILNS1_25lookback_scan_determinismE0ELb0ES3_N6thrust23THRUST_200600_302600_NS6detail15normal_iteratorINSB_10device_ptrIjEEEENSD_INSE_IS6_EEEESI_S6_NSB_4plusIvEENSB_8equal_toIvEES6_EE10hipError_tPvRmT2_T3_T4_T5_mT6_T7_P12ihipStream_tbENKUlT_T0_E_clISt17integral_constantIbLb1EES13_EEDaSY_SZ_EUlSY_E_NS1_11comp_targetILNS1_3genE8ELNS1_11target_archE1030ELNS1_3gpuE2ELNS1_3repE0EEENS1_30default_config_static_selectorELNS0_4arch9wavefront6targetE0EEEvT1_: ; @_ZN7rocprim17ROCPRIM_400000_NS6detail17trampoline_kernelINS0_14default_configENS1_27scan_by_key_config_selectorIj11FixedVectorIiLj2EEEEZZNS1_16scan_by_key_implILNS1_25lookback_scan_determinismE0ELb0ES3_N6thrust23THRUST_200600_302600_NS6detail15normal_iteratorINSB_10device_ptrIjEEEENSD_INSE_IS6_EEEESI_S6_NSB_4plusIvEENSB_8equal_toIvEES6_EE10hipError_tPvRmT2_T3_T4_T5_mT6_T7_P12ihipStream_tbENKUlT_T0_E_clISt17integral_constantIbLb1EES13_EEDaSY_SZ_EUlSY_E_NS1_11comp_targetILNS1_3genE8ELNS1_11target_archE1030ELNS1_3gpuE2ELNS1_3repE0EEENS1_30default_config_static_selectorELNS0_4arch9wavefront6targetE0EEEvT1_
; %bb.0:
	s_endpgm
	.section	.rodata,"a",@progbits
	.p2align	6, 0x0
	.amdhsa_kernel _ZN7rocprim17ROCPRIM_400000_NS6detail17trampoline_kernelINS0_14default_configENS1_27scan_by_key_config_selectorIj11FixedVectorIiLj2EEEEZZNS1_16scan_by_key_implILNS1_25lookback_scan_determinismE0ELb0ES3_N6thrust23THRUST_200600_302600_NS6detail15normal_iteratorINSB_10device_ptrIjEEEENSD_INSE_IS6_EEEESI_S6_NSB_4plusIvEENSB_8equal_toIvEES6_EE10hipError_tPvRmT2_T3_T4_T5_mT6_T7_P12ihipStream_tbENKUlT_T0_E_clISt17integral_constantIbLb1EES13_EEDaSY_SZ_EUlSY_E_NS1_11comp_targetILNS1_3genE8ELNS1_11target_archE1030ELNS1_3gpuE2ELNS1_3repE0EEENS1_30default_config_static_selectorELNS0_4arch9wavefront6targetE0EEEvT1_
		.amdhsa_group_segment_fixed_size 0
		.amdhsa_private_segment_fixed_size 0
		.amdhsa_kernarg_size 120
		.amdhsa_user_sgpr_count 6
		.amdhsa_user_sgpr_private_segment_buffer 1
		.amdhsa_user_sgpr_dispatch_ptr 0
		.amdhsa_user_sgpr_queue_ptr 0
		.amdhsa_user_sgpr_kernarg_segment_ptr 1
		.amdhsa_user_sgpr_dispatch_id 0
		.amdhsa_user_sgpr_flat_scratch_init 0
		.amdhsa_user_sgpr_private_segment_size 0
		.amdhsa_wavefront_size32 1
		.amdhsa_uses_dynamic_stack 0
		.amdhsa_system_sgpr_private_segment_wavefront_offset 0
		.amdhsa_system_sgpr_workgroup_id_x 1
		.amdhsa_system_sgpr_workgroup_id_y 0
		.amdhsa_system_sgpr_workgroup_id_z 0
		.amdhsa_system_sgpr_workgroup_info 0
		.amdhsa_system_vgpr_workitem_id 0
		.amdhsa_next_free_vgpr 1
		.amdhsa_next_free_sgpr 1
		.amdhsa_reserve_vcc 0
		.amdhsa_reserve_flat_scratch 0
		.amdhsa_float_round_mode_32 0
		.amdhsa_float_round_mode_16_64 0
		.amdhsa_float_denorm_mode_32 3
		.amdhsa_float_denorm_mode_16_64 3
		.amdhsa_dx10_clamp 1
		.amdhsa_ieee_mode 1
		.amdhsa_fp16_overflow 0
		.amdhsa_workgroup_processor_mode 1
		.amdhsa_memory_ordered 1
		.amdhsa_forward_progress 1
		.amdhsa_shared_vgpr_count 0
		.amdhsa_exception_fp_ieee_invalid_op 0
		.amdhsa_exception_fp_denorm_src 0
		.amdhsa_exception_fp_ieee_div_zero 0
		.amdhsa_exception_fp_ieee_overflow 0
		.amdhsa_exception_fp_ieee_underflow 0
		.amdhsa_exception_fp_ieee_inexact 0
		.amdhsa_exception_int_div_zero 0
	.end_amdhsa_kernel
	.section	.text._ZN7rocprim17ROCPRIM_400000_NS6detail17trampoline_kernelINS0_14default_configENS1_27scan_by_key_config_selectorIj11FixedVectorIiLj2EEEEZZNS1_16scan_by_key_implILNS1_25lookback_scan_determinismE0ELb0ES3_N6thrust23THRUST_200600_302600_NS6detail15normal_iteratorINSB_10device_ptrIjEEEENSD_INSE_IS6_EEEESI_S6_NSB_4plusIvEENSB_8equal_toIvEES6_EE10hipError_tPvRmT2_T3_T4_T5_mT6_T7_P12ihipStream_tbENKUlT_T0_E_clISt17integral_constantIbLb1EES13_EEDaSY_SZ_EUlSY_E_NS1_11comp_targetILNS1_3genE8ELNS1_11target_archE1030ELNS1_3gpuE2ELNS1_3repE0EEENS1_30default_config_static_selectorELNS0_4arch9wavefront6targetE0EEEvT1_,"axG",@progbits,_ZN7rocprim17ROCPRIM_400000_NS6detail17trampoline_kernelINS0_14default_configENS1_27scan_by_key_config_selectorIj11FixedVectorIiLj2EEEEZZNS1_16scan_by_key_implILNS1_25lookback_scan_determinismE0ELb0ES3_N6thrust23THRUST_200600_302600_NS6detail15normal_iteratorINSB_10device_ptrIjEEEENSD_INSE_IS6_EEEESI_S6_NSB_4plusIvEENSB_8equal_toIvEES6_EE10hipError_tPvRmT2_T3_T4_T5_mT6_T7_P12ihipStream_tbENKUlT_T0_E_clISt17integral_constantIbLb1EES13_EEDaSY_SZ_EUlSY_E_NS1_11comp_targetILNS1_3genE8ELNS1_11target_archE1030ELNS1_3gpuE2ELNS1_3repE0EEENS1_30default_config_static_selectorELNS0_4arch9wavefront6targetE0EEEvT1_,comdat
.Lfunc_end1970:
	.size	_ZN7rocprim17ROCPRIM_400000_NS6detail17trampoline_kernelINS0_14default_configENS1_27scan_by_key_config_selectorIj11FixedVectorIiLj2EEEEZZNS1_16scan_by_key_implILNS1_25lookback_scan_determinismE0ELb0ES3_N6thrust23THRUST_200600_302600_NS6detail15normal_iteratorINSB_10device_ptrIjEEEENSD_INSE_IS6_EEEESI_S6_NSB_4plusIvEENSB_8equal_toIvEES6_EE10hipError_tPvRmT2_T3_T4_T5_mT6_T7_P12ihipStream_tbENKUlT_T0_E_clISt17integral_constantIbLb1EES13_EEDaSY_SZ_EUlSY_E_NS1_11comp_targetILNS1_3genE8ELNS1_11target_archE1030ELNS1_3gpuE2ELNS1_3repE0EEENS1_30default_config_static_selectorELNS0_4arch9wavefront6targetE0EEEvT1_, .Lfunc_end1970-_ZN7rocprim17ROCPRIM_400000_NS6detail17trampoline_kernelINS0_14default_configENS1_27scan_by_key_config_selectorIj11FixedVectorIiLj2EEEEZZNS1_16scan_by_key_implILNS1_25lookback_scan_determinismE0ELb0ES3_N6thrust23THRUST_200600_302600_NS6detail15normal_iteratorINSB_10device_ptrIjEEEENSD_INSE_IS6_EEEESI_S6_NSB_4plusIvEENSB_8equal_toIvEES6_EE10hipError_tPvRmT2_T3_T4_T5_mT6_T7_P12ihipStream_tbENKUlT_T0_E_clISt17integral_constantIbLb1EES13_EEDaSY_SZ_EUlSY_E_NS1_11comp_targetILNS1_3genE8ELNS1_11target_archE1030ELNS1_3gpuE2ELNS1_3repE0EEENS1_30default_config_static_selectorELNS0_4arch9wavefront6targetE0EEEvT1_
                                        ; -- End function
	.set _ZN7rocprim17ROCPRIM_400000_NS6detail17trampoline_kernelINS0_14default_configENS1_27scan_by_key_config_selectorIj11FixedVectorIiLj2EEEEZZNS1_16scan_by_key_implILNS1_25lookback_scan_determinismE0ELb0ES3_N6thrust23THRUST_200600_302600_NS6detail15normal_iteratorINSB_10device_ptrIjEEEENSD_INSE_IS6_EEEESI_S6_NSB_4plusIvEENSB_8equal_toIvEES6_EE10hipError_tPvRmT2_T3_T4_T5_mT6_T7_P12ihipStream_tbENKUlT_T0_E_clISt17integral_constantIbLb1EES13_EEDaSY_SZ_EUlSY_E_NS1_11comp_targetILNS1_3genE8ELNS1_11target_archE1030ELNS1_3gpuE2ELNS1_3repE0EEENS1_30default_config_static_selectorELNS0_4arch9wavefront6targetE0EEEvT1_.num_vgpr, 0
	.set _ZN7rocprim17ROCPRIM_400000_NS6detail17trampoline_kernelINS0_14default_configENS1_27scan_by_key_config_selectorIj11FixedVectorIiLj2EEEEZZNS1_16scan_by_key_implILNS1_25lookback_scan_determinismE0ELb0ES3_N6thrust23THRUST_200600_302600_NS6detail15normal_iteratorINSB_10device_ptrIjEEEENSD_INSE_IS6_EEEESI_S6_NSB_4plusIvEENSB_8equal_toIvEES6_EE10hipError_tPvRmT2_T3_T4_T5_mT6_T7_P12ihipStream_tbENKUlT_T0_E_clISt17integral_constantIbLb1EES13_EEDaSY_SZ_EUlSY_E_NS1_11comp_targetILNS1_3genE8ELNS1_11target_archE1030ELNS1_3gpuE2ELNS1_3repE0EEENS1_30default_config_static_selectorELNS0_4arch9wavefront6targetE0EEEvT1_.num_agpr, 0
	.set _ZN7rocprim17ROCPRIM_400000_NS6detail17trampoline_kernelINS0_14default_configENS1_27scan_by_key_config_selectorIj11FixedVectorIiLj2EEEEZZNS1_16scan_by_key_implILNS1_25lookback_scan_determinismE0ELb0ES3_N6thrust23THRUST_200600_302600_NS6detail15normal_iteratorINSB_10device_ptrIjEEEENSD_INSE_IS6_EEEESI_S6_NSB_4plusIvEENSB_8equal_toIvEES6_EE10hipError_tPvRmT2_T3_T4_T5_mT6_T7_P12ihipStream_tbENKUlT_T0_E_clISt17integral_constantIbLb1EES13_EEDaSY_SZ_EUlSY_E_NS1_11comp_targetILNS1_3genE8ELNS1_11target_archE1030ELNS1_3gpuE2ELNS1_3repE0EEENS1_30default_config_static_selectorELNS0_4arch9wavefront6targetE0EEEvT1_.numbered_sgpr, 0
	.set _ZN7rocprim17ROCPRIM_400000_NS6detail17trampoline_kernelINS0_14default_configENS1_27scan_by_key_config_selectorIj11FixedVectorIiLj2EEEEZZNS1_16scan_by_key_implILNS1_25lookback_scan_determinismE0ELb0ES3_N6thrust23THRUST_200600_302600_NS6detail15normal_iteratorINSB_10device_ptrIjEEEENSD_INSE_IS6_EEEESI_S6_NSB_4plusIvEENSB_8equal_toIvEES6_EE10hipError_tPvRmT2_T3_T4_T5_mT6_T7_P12ihipStream_tbENKUlT_T0_E_clISt17integral_constantIbLb1EES13_EEDaSY_SZ_EUlSY_E_NS1_11comp_targetILNS1_3genE8ELNS1_11target_archE1030ELNS1_3gpuE2ELNS1_3repE0EEENS1_30default_config_static_selectorELNS0_4arch9wavefront6targetE0EEEvT1_.num_named_barrier, 0
	.set _ZN7rocprim17ROCPRIM_400000_NS6detail17trampoline_kernelINS0_14default_configENS1_27scan_by_key_config_selectorIj11FixedVectorIiLj2EEEEZZNS1_16scan_by_key_implILNS1_25lookback_scan_determinismE0ELb0ES3_N6thrust23THRUST_200600_302600_NS6detail15normal_iteratorINSB_10device_ptrIjEEEENSD_INSE_IS6_EEEESI_S6_NSB_4plusIvEENSB_8equal_toIvEES6_EE10hipError_tPvRmT2_T3_T4_T5_mT6_T7_P12ihipStream_tbENKUlT_T0_E_clISt17integral_constantIbLb1EES13_EEDaSY_SZ_EUlSY_E_NS1_11comp_targetILNS1_3genE8ELNS1_11target_archE1030ELNS1_3gpuE2ELNS1_3repE0EEENS1_30default_config_static_selectorELNS0_4arch9wavefront6targetE0EEEvT1_.private_seg_size, 0
	.set _ZN7rocprim17ROCPRIM_400000_NS6detail17trampoline_kernelINS0_14default_configENS1_27scan_by_key_config_selectorIj11FixedVectorIiLj2EEEEZZNS1_16scan_by_key_implILNS1_25lookback_scan_determinismE0ELb0ES3_N6thrust23THRUST_200600_302600_NS6detail15normal_iteratorINSB_10device_ptrIjEEEENSD_INSE_IS6_EEEESI_S6_NSB_4plusIvEENSB_8equal_toIvEES6_EE10hipError_tPvRmT2_T3_T4_T5_mT6_T7_P12ihipStream_tbENKUlT_T0_E_clISt17integral_constantIbLb1EES13_EEDaSY_SZ_EUlSY_E_NS1_11comp_targetILNS1_3genE8ELNS1_11target_archE1030ELNS1_3gpuE2ELNS1_3repE0EEENS1_30default_config_static_selectorELNS0_4arch9wavefront6targetE0EEEvT1_.uses_vcc, 0
	.set _ZN7rocprim17ROCPRIM_400000_NS6detail17trampoline_kernelINS0_14default_configENS1_27scan_by_key_config_selectorIj11FixedVectorIiLj2EEEEZZNS1_16scan_by_key_implILNS1_25lookback_scan_determinismE0ELb0ES3_N6thrust23THRUST_200600_302600_NS6detail15normal_iteratorINSB_10device_ptrIjEEEENSD_INSE_IS6_EEEESI_S6_NSB_4plusIvEENSB_8equal_toIvEES6_EE10hipError_tPvRmT2_T3_T4_T5_mT6_T7_P12ihipStream_tbENKUlT_T0_E_clISt17integral_constantIbLb1EES13_EEDaSY_SZ_EUlSY_E_NS1_11comp_targetILNS1_3genE8ELNS1_11target_archE1030ELNS1_3gpuE2ELNS1_3repE0EEENS1_30default_config_static_selectorELNS0_4arch9wavefront6targetE0EEEvT1_.uses_flat_scratch, 0
	.set _ZN7rocprim17ROCPRIM_400000_NS6detail17trampoline_kernelINS0_14default_configENS1_27scan_by_key_config_selectorIj11FixedVectorIiLj2EEEEZZNS1_16scan_by_key_implILNS1_25lookback_scan_determinismE0ELb0ES3_N6thrust23THRUST_200600_302600_NS6detail15normal_iteratorINSB_10device_ptrIjEEEENSD_INSE_IS6_EEEESI_S6_NSB_4plusIvEENSB_8equal_toIvEES6_EE10hipError_tPvRmT2_T3_T4_T5_mT6_T7_P12ihipStream_tbENKUlT_T0_E_clISt17integral_constantIbLb1EES13_EEDaSY_SZ_EUlSY_E_NS1_11comp_targetILNS1_3genE8ELNS1_11target_archE1030ELNS1_3gpuE2ELNS1_3repE0EEENS1_30default_config_static_selectorELNS0_4arch9wavefront6targetE0EEEvT1_.has_dyn_sized_stack, 0
	.set _ZN7rocprim17ROCPRIM_400000_NS6detail17trampoline_kernelINS0_14default_configENS1_27scan_by_key_config_selectorIj11FixedVectorIiLj2EEEEZZNS1_16scan_by_key_implILNS1_25lookback_scan_determinismE0ELb0ES3_N6thrust23THRUST_200600_302600_NS6detail15normal_iteratorINSB_10device_ptrIjEEEENSD_INSE_IS6_EEEESI_S6_NSB_4plusIvEENSB_8equal_toIvEES6_EE10hipError_tPvRmT2_T3_T4_T5_mT6_T7_P12ihipStream_tbENKUlT_T0_E_clISt17integral_constantIbLb1EES13_EEDaSY_SZ_EUlSY_E_NS1_11comp_targetILNS1_3genE8ELNS1_11target_archE1030ELNS1_3gpuE2ELNS1_3repE0EEENS1_30default_config_static_selectorELNS0_4arch9wavefront6targetE0EEEvT1_.has_recursion, 0
	.set _ZN7rocprim17ROCPRIM_400000_NS6detail17trampoline_kernelINS0_14default_configENS1_27scan_by_key_config_selectorIj11FixedVectorIiLj2EEEEZZNS1_16scan_by_key_implILNS1_25lookback_scan_determinismE0ELb0ES3_N6thrust23THRUST_200600_302600_NS6detail15normal_iteratorINSB_10device_ptrIjEEEENSD_INSE_IS6_EEEESI_S6_NSB_4plusIvEENSB_8equal_toIvEES6_EE10hipError_tPvRmT2_T3_T4_T5_mT6_T7_P12ihipStream_tbENKUlT_T0_E_clISt17integral_constantIbLb1EES13_EEDaSY_SZ_EUlSY_E_NS1_11comp_targetILNS1_3genE8ELNS1_11target_archE1030ELNS1_3gpuE2ELNS1_3repE0EEENS1_30default_config_static_selectorELNS0_4arch9wavefront6targetE0EEEvT1_.has_indirect_call, 0
	.section	.AMDGPU.csdata,"",@progbits
; Kernel info:
; codeLenInByte = 4
; TotalNumSgprs: 0
; NumVgprs: 0
; ScratchSize: 0
; MemoryBound: 0
; FloatMode: 240
; IeeeMode: 1
; LDSByteSize: 0 bytes/workgroup (compile time only)
; SGPRBlocks: 0
; VGPRBlocks: 0
; NumSGPRsForWavesPerEU: 1
; NumVGPRsForWavesPerEU: 1
; Occupancy: 16
; WaveLimiterHint : 0
; COMPUTE_PGM_RSRC2:SCRATCH_EN: 0
; COMPUTE_PGM_RSRC2:USER_SGPR: 6
; COMPUTE_PGM_RSRC2:TRAP_HANDLER: 0
; COMPUTE_PGM_RSRC2:TGID_X_EN: 1
; COMPUTE_PGM_RSRC2:TGID_Y_EN: 0
; COMPUTE_PGM_RSRC2:TGID_Z_EN: 0
; COMPUTE_PGM_RSRC2:TIDIG_COMP_CNT: 0
	.section	.text._ZN7rocprim17ROCPRIM_400000_NS6detail30init_device_scan_by_key_kernelINS1_19lookback_scan_stateINS0_5tupleIJ11FixedVectorIiLj2EEbEEELb1ELb1EEEN6thrust23THRUST_200600_302600_NS6detail15normal_iteratorINSA_10device_ptrIjEEEEjNS1_16block_id_wrapperIjLb0EEEEEvT_jjPNSI_10value_typeET0_PNSt15iterator_traitsISL_E10value_typeEmT1_T2_,"axG",@progbits,_ZN7rocprim17ROCPRIM_400000_NS6detail30init_device_scan_by_key_kernelINS1_19lookback_scan_stateINS0_5tupleIJ11FixedVectorIiLj2EEbEEELb1ELb1EEEN6thrust23THRUST_200600_302600_NS6detail15normal_iteratorINSA_10device_ptrIjEEEEjNS1_16block_id_wrapperIjLb0EEEEEvT_jjPNSI_10value_typeET0_PNSt15iterator_traitsISL_E10value_typeEmT1_T2_,comdat
	.protected	_ZN7rocprim17ROCPRIM_400000_NS6detail30init_device_scan_by_key_kernelINS1_19lookback_scan_stateINS0_5tupleIJ11FixedVectorIiLj2EEbEEELb1ELb1EEEN6thrust23THRUST_200600_302600_NS6detail15normal_iteratorINSA_10device_ptrIjEEEEjNS1_16block_id_wrapperIjLb0EEEEEvT_jjPNSI_10value_typeET0_PNSt15iterator_traitsISL_E10value_typeEmT1_T2_ ; -- Begin function _ZN7rocprim17ROCPRIM_400000_NS6detail30init_device_scan_by_key_kernelINS1_19lookback_scan_stateINS0_5tupleIJ11FixedVectorIiLj2EEbEEELb1ELb1EEEN6thrust23THRUST_200600_302600_NS6detail15normal_iteratorINSA_10device_ptrIjEEEEjNS1_16block_id_wrapperIjLb0EEEEEvT_jjPNSI_10value_typeET0_PNSt15iterator_traitsISL_E10value_typeEmT1_T2_
	.globl	_ZN7rocprim17ROCPRIM_400000_NS6detail30init_device_scan_by_key_kernelINS1_19lookback_scan_stateINS0_5tupleIJ11FixedVectorIiLj2EEbEEELb1ELb1EEEN6thrust23THRUST_200600_302600_NS6detail15normal_iteratorINSA_10device_ptrIjEEEEjNS1_16block_id_wrapperIjLb0EEEEEvT_jjPNSI_10value_typeET0_PNSt15iterator_traitsISL_E10value_typeEmT1_T2_
	.p2align	8
	.type	_ZN7rocprim17ROCPRIM_400000_NS6detail30init_device_scan_by_key_kernelINS1_19lookback_scan_stateINS0_5tupleIJ11FixedVectorIiLj2EEbEEELb1ELb1EEEN6thrust23THRUST_200600_302600_NS6detail15normal_iteratorINSA_10device_ptrIjEEEEjNS1_16block_id_wrapperIjLb0EEEEEvT_jjPNSI_10value_typeET0_PNSt15iterator_traitsISL_E10value_typeEmT1_T2_,@function
_ZN7rocprim17ROCPRIM_400000_NS6detail30init_device_scan_by_key_kernelINS1_19lookback_scan_stateINS0_5tupleIJ11FixedVectorIiLj2EEbEEELb1ELb1EEEN6thrust23THRUST_200600_302600_NS6detail15normal_iteratorINSA_10device_ptrIjEEEEjNS1_16block_id_wrapperIjLb0EEEEEvT_jjPNSI_10value_typeET0_PNSt15iterator_traitsISL_E10value_typeEmT1_T2_: ; @_ZN7rocprim17ROCPRIM_400000_NS6detail30init_device_scan_by_key_kernelINS1_19lookback_scan_stateINS0_5tupleIJ11FixedVectorIiLj2EEbEEELb1ELb1EEEN6thrust23THRUST_200600_302600_NS6detail15normal_iteratorINSA_10device_ptrIjEEEEjNS1_16block_id_wrapperIjLb0EEEEEvT_jjPNSI_10value_typeET0_PNSt15iterator_traitsISL_E10value_typeEmT1_T2_
; %bb.0:
	s_clause 0x2
	s_load_dword s0, s[4:5], 0x44
	s_load_dwordx8 s[8:15], s[4:5], 0x0
	s_load_dword s7, s[4:5], 0x38
	s_waitcnt lgkmcnt(0)
	s_and_b32 s16, s0, 0xffff
	s_cmp_eq_u64 s[12:13], 0
	v_mad_u64_u32 v[4:5], null, s6, s16, v[0:1]
	s_cbranch_scc1 .LBB1971_10
; %bb.1:
	s_cmp_lt_u32 s11, s10
	s_mov_b32 s1, 0
	s_cselect_b32 s0, s11, 0
	s_mov_b32 s2, exec_lo
	v_cmpx_eq_u32_e64 s0, v4
	s_cbranch_execz .LBB1971_9
; %bb.2:
	s_add_i32 s0, s11, 32
	v_mov_b32_e32 v5, 0
	s_lshl_b64 s[0:1], s[0:1], 4
	s_mov_b32 s3, exec_lo
	s_add_u32 s0, s8, s0
	s_addc_u32 s1, s9, s1
	v_mov_b32_e32 v0, s0
	v_mov_b32_e32 v1, s1
	;;#ASMSTART
	global_load_dwordx4 v[0:3], v[0:1] off glc dlc	
s_waitcnt vmcnt(0)
	;;#ASMEND
	v_and_b32_e32 v6, 0xff, v3
	v_cmpx_eq_u64_e32 0, v[5:6]
	s_cbranch_execz .LBB1971_8
; %bb.3:
	v_mov_b32_e32 v8, s1
	v_mov_b32_e32 v7, s0
	s_mov_b32 s1, 1
	s_mov_b32 s0, 0
	.p2align	6
.LBB1971_4:                             ; =>This Loop Header: Depth=1
                                        ;     Child Loop BB1971_5 Depth 2
	s_mov_b32 s6, s1
.LBB1971_5:                             ;   Parent Loop BB1971_4 Depth=1
                                        ; =>  This Inner Loop Header: Depth=2
	s_add_i32 s6, s6, -1
	s_sleep 1
	s_cmp_eq_u32 s6, 0
	s_cbranch_scc0 .LBB1971_5
; %bb.6:                                ;   in Loop: Header=BB1971_4 Depth=1
	;;#ASMSTART
	global_load_dwordx4 v[0:3], v[7:8] off glc dlc	
s_waitcnt vmcnt(0)
	;;#ASMEND
	v_and_b32_e32 v6, 0xff, v3
	s_cmp_lt_u32 s1, 32
	s_cselect_b32 s6, -1, 0
	v_cmp_ne_u64_e32 vcc_lo, 0, v[5:6]
	s_cmp_lg_u32 s6, 0
	s_addc_u32 s1, s1, 0
	s_or_b32 s0, vcc_lo, s0
	s_andn2_b32 exec_lo, exec_lo, s0
	s_cbranch_execnz .LBB1971_4
; %bb.7:
	s_or_b32 exec_lo, exec_lo, s0
.LBB1971_8:
	s_or_b32 exec_lo, exec_lo, s3
	v_mov_b32_e32 v3, 0
	global_store_dwordx2 v3, v[0:1], s[12:13]
	global_store_byte v3, v2, s[12:13] offset:8
.LBB1971_9:
	s_or_b32 exec_lo, exec_lo, s2
.LBB1971_10:
	s_mov_b32 s0, exec_lo
	v_cmpx_gt_u32_e64 s10, v4
	s_cbranch_execz .LBB1971_12
; %bb.11:
	v_add_nc_u32_e32 v0, 32, v4
	v_mov_b32_e32 v1, 0
	v_lshlrev_b64 v[5:6], 4, v[0:1]
	v_mov_b32_e32 v0, v1
	v_mov_b32_e32 v2, v1
	;; [unrolled: 1-line block ×3, first 2 shown]
	v_add_co_u32 v5, vcc_lo, s8, v5
	v_add_co_ci_u32_e64 v6, null, s9, v6, vcc_lo
	global_store_dwordx4 v[5:6], v[0:3], off
.LBB1971_12:
	s_or_b32 exec_lo, exec_lo, s0
	v_mov_b32_e32 v5, 0
	s_mov_b32 s0, exec_lo
	v_cmpx_lt_u32_e32 31, v4
	s_xor_b32 s0, exec_lo, s0
	s_andn2_saveexec_b32 s0, s0
	s_cbranch_execz .LBB1971_14
; %bb.13:
	v_lshlrev_b64 v[1:2], 4, v[4:5]
	v_mov_b32_e32 v0, 0
	v_mov_b32_e32 v3, 0xff
	v_add_co_u32 v6, vcc_lo, s8, v1
	v_add_co_ci_u32_e64 v7, null, s9, v2, vcc_lo
	v_mov_b32_e32 v1, v0
	v_mov_b32_e32 v2, v0
	global_store_dwordx4 v[6:7], v[0:3], off
.LBB1971_14:
	s_or_b32 exec_lo, exec_lo, s0
	s_load_dwordx2 s[2:3], s[4:5], 0x28
	s_mov_b32 s0, exec_lo
	s_waitcnt lgkmcnt(0)
	v_cmpx_gt_u64_e64 s[2:3], v[4:5]
	s_cbranch_execz .LBB1971_17
; %bb.15:
	s_clause 0x1
	s_load_dword s6, s[4:5], 0x30
	s_load_dwordx2 s[8:9], s[4:5], 0x20
	s_mov_b32 s1, 0
	v_lshlrev_b64 v[2:3], 2, v[4:5]
	s_mul_i32 s4, s7, s16
	s_waitcnt lgkmcnt(0)
	v_mad_u64_u32 v[0:1], null, v4, s6, 0
	s_add_i32 s0, s6, -1
	s_mul_hi_u32 s7, s6, s4
	s_lshl_b64 s[10:11], s[0:1], 2
	s_mul_i32 s6, s6, s4
	s_add_u32 s0, s14, s10
	s_addc_u32 s5, s15, s11
	v_lshlrev_b64 v[0:1], 2, v[0:1]
	s_lshl_b64 s[6:7], s[6:7], 2
	v_add_co_u32 v0, vcc_lo, s0, v0
	v_add_co_ci_u32_e64 v1, null, s5, v1, vcc_lo
	v_add_co_u32 v2, vcc_lo, s8, v2
	v_add_co_ci_u32_e64 v3, null, s9, v3, vcc_lo
	s_mov_b32 s5, s1
	s_lshl_b64 s[8:9], s[4:5], 2
	.p2align	6
.LBB1971_16:                            ; =>This Inner Loop Header: Depth=1
	global_load_dword v6, v[0:1], off
	v_add_co_u32 v4, vcc_lo, v4, s4
	v_add_co_ci_u32_e64 v5, null, 0, v5, vcc_lo
	v_add_co_u32 v0, vcc_lo, v0, s6
	v_add_co_ci_u32_e64 v1, null, s7, v1, vcc_lo
	v_cmp_le_u64_e32 vcc_lo, s[2:3], v[4:5]
	s_or_b32 s1, vcc_lo, s1
	s_waitcnt vmcnt(0)
	global_store_dword v[2:3], v6, off
	v_add_co_u32 v2, s0, v2, s8
	v_add_co_ci_u32_e64 v3, null, s9, v3, s0
	s_andn2_b32 exec_lo, exec_lo, s1
	s_cbranch_execnz .LBB1971_16
.LBB1971_17:
	s_endpgm
	.section	.rodata,"a",@progbits
	.p2align	6, 0x0
	.amdhsa_kernel _ZN7rocprim17ROCPRIM_400000_NS6detail30init_device_scan_by_key_kernelINS1_19lookback_scan_stateINS0_5tupleIJ11FixedVectorIiLj2EEbEEELb1ELb1EEEN6thrust23THRUST_200600_302600_NS6detail15normal_iteratorINSA_10device_ptrIjEEEEjNS1_16block_id_wrapperIjLb0EEEEEvT_jjPNSI_10value_typeET0_PNSt15iterator_traitsISL_E10value_typeEmT1_T2_
		.amdhsa_group_segment_fixed_size 0
		.amdhsa_private_segment_fixed_size 0
		.amdhsa_kernarg_size 312
		.amdhsa_user_sgpr_count 6
		.amdhsa_user_sgpr_private_segment_buffer 1
		.amdhsa_user_sgpr_dispatch_ptr 0
		.amdhsa_user_sgpr_queue_ptr 0
		.amdhsa_user_sgpr_kernarg_segment_ptr 1
		.amdhsa_user_sgpr_dispatch_id 0
		.amdhsa_user_sgpr_flat_scratch_init 0
		.amdhsa_user_sgpr_private_segment_size 0
		.amdhsa_wavefront_size32 1
		.amdhsa_uses_dynamic_stack 0
		.amdhsa_system_sgpr_private_segment_wavefront_offset 0
		.amdhsa_system_sgpr_workgroup_id_x 1
		.amdhsa_system_sgpr_workgroup_id_y 0
		.amdhsa_system_sgpr_workgroup_id_z 0
		.amdhsa_system_sgpr_workgroup_info 0
		.amdhsa_system_vgpr_workitem_id 0
		.amdhsa_next_free_vgpr 9
		.amdhsa_next_free_sgpr 17
		.amdhsa_reserve_vcc 1
		.amdhsa_reserve_flat_scratch 0
		.amdhsa_float_round_mode_32 0
		.amdhsa_float_round_mode_16_64 0
		.amdhsa_float_denorm_mode_32 3
		.amdhsa_float_denorm_mode_16_64 3
		.amdhsa_dx10_clamp 1
		.amdhsa_ieee_mode 1
		.amdhsa_fp16_overflow 0
		.amdhsa_workgroup_processor_mode 1
		.amdhsa_memory_ordered 1
		.amdhsa_forward_progress 1
		.amdhsa_shared_vgpr_count 0
		.amdhsa_exception_fp_ieee_invalid_op 0
		.amdhsa_exception_fp_denorm_src 0
		.amdhsa_exception_fp_ieee_div_zero 0
		.amdhsa_exception_fp_ieee_overflow 0
		.amdhsa_exception_fp_ieee_underflow 0
		.amdhsa_exception_fp_ieee_inexact 0
		.amdhsa_exception_int_div_zero 0
	.end_amdhsa_kernel
	.section	.text._ZN7rocprim17ROCPRIM_400000_NS6detail30init_device_scan_by_key_kernelINS1_19lookback_scan_stateINS0_5tupleIJ11FixedVectorIiLj2EEbEEELb1ELb1EEEN6thrust23THRUST_200600_302600_NS6detail15normal_iteratorINSA_10device_ptrIjEEEEjNS1_16block_id_wrapperIjLb0EEEEEvT_jjPNSI_10value_typeET0_PNSt15iterator_traitsISL_E10value_typeEmT1_T2_,"axG",@progbits,_ZN7rocprim17ROCPRIM_400000_NS6detail30init_device_scan_by_key_kernelINS1_19lookback_scan_stateINS0_5tupleIJ11FixedVectorIiLj2EEbEEELb1ELb1EEEN6thrust23THRUST_200600_302600_NS6detail15normal_iteratorINSA_10device_ptrIjEEEEjNS1_16block_id_wrapperIjLb0EEEEEvT_jjPNSI_10value_typeET0_PNSt15iterator_traitsISL_E10value_typeEmT1_T2_,comdat
.Lfunc_end1971:
	.size	_ZN7rocprim17ROCPRIM_400000_NS6detail30init_device_scan_by_key_kernelINS1_19lookback_scan_stateINS0_5tupleIJ11FixedVectorIiLj2EEbEEELb1ELb1EEEN6thrust23THRUST_200600_302600_NS6detail15normal_iteratorINSA_10device_ptrIjEEEEjNS1_16block_id_wrapperIjLb0EEEEEvT_jjPNSI_10value_typeET0_PNSt15iterator_traitsISL_E10value_typeEmT1_T2_, .Lfunc_end1971-_ZN7rocprim17ROCPRIM_400000_NS6detail30init_device_scan_by_key_kernelINS1_19lookback_scan_stateINS0_5tupleIJ11FixedVectorIiLj2EEbEEELb1ELb1EEEN6thrust23THRUST_200600_302600_NS6detail15normal_iteratorINSA_10device_ptrIjEEEEjNS1_16block_id_wrapperIjLb0EEEEEvT_jjPNSI_10value_typeET0_PNSt15iterator_traitsISL_E10value_typeEmT1_T2_
                                        ; -- End function
	.set _ZN7rocprim17ROCPRIM_400000_NS6detail30init_device_scan_by_key_kernelINS1_19lookback_scan_stateINS0_5tupleIJ11FixedVectorIiLj2EEbEEELb1ELb1EEEN6thrust23THRUST_200600_302600_NS6detail15normal_iteratorINSA_10device_ptrIjEEEEjNS1_16block_id_wrapperIjLb0EEEEEvT_jjPNSI_10value_typeET0_PNSt15iterator_traitsISL_E10value_typeEmT1_T2_.num_vgpr, 9
	.set _ZN7rocprim17ROCPRIM_400000_NS6detail30init_device_scan_by_key_kernelINS1_19lookback_scan_stateINS0_5tupleIJ11FixedVectorIiLj2EEbEEELb1ELb1EEEN6thrust23THRUST_200600_302600_NS6detail15normal_iteratorINSA_10device_ptrIjEEEEjNS1_16block_id_wrapperIjLb0EEEEEvT_jjPNSI_10value_typeET0_PNSt15iterator_traitsISL_E10value_typeEmT1_T2_.num_agpr, 0
	.set _ZN7rocprim17ROCPRIM_400000_NS6detail30init_device_scan_by_key_kernelINS1_19lookback_scan_stateINS0_5tupleIJ11FixedVectorIiLj2EEbEEELb1ELb1EEEN6thrust23THRUST_200600_302600_NS6detail15normal_iteratorINSA_10device_ptrIjEEEEjNS1_16block_id_wrapperIjLb0EEEEEvT_jjPNSI_10value_typeET0_PNSt15iterator_traitsISL_E10value_typeEmT1_T2_.numbered_sgpr, 17
	.set _ZN7rocprim17ROCPRIM_400000_NS6detail30init_device_scan_by_key_kernelINS1_19lookback_scan_stateINS0_5tupleIJ11FixedVectorIiLj2EEbEEELb1ELb1EEEN6thrust23THRUST_200600_302600_NS6detail15normal_iteratorINSA_10device_ptrIjEEEEjNS1_16block_id_wrapperIjLb0EEEEEvT_jjPNSI_10value_typeET0_PNSt15iterator_traitsISL_E10value_typeEmT1_T2_.num_named_barrier, 0
	.set _ZN7rocprim17ROCPRIM_400000_NS6detail30init_device_scan_by_key_kernelINS1_19lookback_scan_stateINS0_5tupleIJ11FixedVectorIiLj2EEbEEELb1ELb1EEEN6thrust23THRUST_200600_302600_NS6detail15normal_iteratorINSA_10device_ptrIjEEEEjNS1_16block_id_wrapperIjLb0EEEEEvT_jjPNSI_10value_typeET0_PNSt15iterator_traitsISL_E10value_typeEmT1_T2_.private_seg_size, 0
	.set _ZN7rocprim17ROCPRIM_400000_NS6detail30init_device_scan_by_key_kernelINS1_19lookback_scan_stateINS0_5tupleIJ11FixedVectorIiLj2EEbEEELb1ELb1EEEN6thrust23THRUST_200600_302600_NS6detail15normal_iteratorINSA_10device_ptrIjEEEEjNS1_16block_id_wrapperIjLb0EEEEEvT_jjPNSI_10value_typeET0_PNSt15iterator_traitsISL_E10value_typeEmT1_T2_.uses_vcc, 1
	.set _ZN7rocprim17ROCPRIM_400000_NS6detail30init_device_scan_by_key_kernelINS1_19lookback_scan_stateINS0_5tupleIJ11FixedVectorIiLj2EEbEEELb1ELb1EEEN6thrust23THRUST_200600_302600_NS6detail15normal_iteratorINSA_10device_ptrIjEEEEjNS1_16block_id_wrapperIjLb0EEEEEvT_jjPNSI_10value_typeET0_PNSt15iterator_traitsISL_E10value_typeEmT1_T2_.uses_flat_scratch, 0
	.set _ZN7rocprim17ROCPRIM_400000_NS6detail30init_device_scan_by_key_kernelINS1_19lookback_scan_stateINS0_5tupleIJ11FixedVectorIiLj2EEbEEELb1ELb1EEEN6thrust23THRUST_200600_302600_NS6detail15normal_iteratorINSA_10device_ptrIjEEEEjNS1_16block_id_wrapperIjLb0EEEEEvT_jjPNSI_10value_typeET0_PNSt15iterator_traitsISL_E10value_typeEmT1_T2_.has_dyn_sized_stack, 0
	.set _ZN7rocprim17ROCPRIM_400000_NS6detail30init_device_scan_by_key_kernelINS1_19lookback_scan_stateINS0_5tupleIJ11FixedVectorIiLj2EEbEEELb1ELb1EEEN6thrust23THRUST_200600_302600_NS6detail15normal_iteratorINSA_10device_ptrIjEEEEjNS1_16block_id_wrapperIjLb0EEEEEvT_jjPNSI_10value_typeET0_PNSt15iterator_traitsISL_E10value_typeEmT1_T2_.has_recursion, 0
	.set _ZN7rocprim17ROCPRIM_400000_NS6detail30init_device_scan_by_key_kernelINS1_19lookback_scan_stateINS0_5tupleIJ11FixedVectorIiLj2EEbEEELb1ELb1EEEN6thrust23THRUST_200600_302600_NS6detail15normal_iteratorINSA_10device_ptrIjEEEEjNS1_16block_id_wrapperIjLb0EEEEEvT_jjPNSI_10value_typeET0_PNSt15iterator_traitsISL_E10value_typeEmT1_T2_.has_indirect_call, 0
	.section	.AMDGPU.csdata,"",@progbits
; Kernel info:
; codeLenInByte = 728
; TotalNumSgprs: 19
; NumVgprs: 9
; ScratchSize: 0
; MemoryBound: 0
; FloatMode: 240
; IeeeMode: 1
; LDSByteSize: 0 bytes/workgroup (compile time only)
; SGPRBlocks: 0
; VGPRBlocks: 1
; NumSGPRsForWavesPerEU: 19
; NumVGPRsForWavesPerEU: 9
; Occupancy: 16
; WaveLimiterHint : 0
; COMPUTE_PGM_RSRC2:SCRATCH_EN: 0
; COMPUTE_PGM_RSRC2:USER_SGPR: 6
; COMPUTE_PGM_RSRC2:TRAP_HANDLER: 0
; COMPUTE_PGM_RSRC2:TGID_X_EN: 1
; COMPUTE_PGM_RSRC2:TGID_Y_EN: 0
; COMPUTE_PGM_RSRC2:TGID_Z_EN: 0
; COMPUTE_PGM_RSRC2:TIDIG_COMP_CNT: 0
	.section	.text._ZN7rocprim17ROCPRIM_400000_NS6detail30init_device_scan_by_key_kernelINS1_19lookback_scan_stateINS0_5tupleIJ11FixedVectorIiLj2EEbEEELb1ELb1EEENS1_16block_id_wrapperIjLb0EEEEEvT_jjPNSB_10value_typeET0_,"axG",@progbits,_ZN7rocprim17ROCPRIM_400000_NS6detail30init_device_scan_by_key_kernelINS1_19lookback_scan_stateINS0_5tupleIJ11FixedVectorIiLj2EEbEEELb1ELb1EEENS1_16block_id_wrapperIjLb0EEEEEvT_jjPNSB_10value_typeET0_,comdat
	.protected	_ZN7rocprim17ROCPRIM_400000_NS6detail30init_device_scan_by_key_kernelINS1_19lookback_scan_stateINS0_5tupleIJ11FixedVectorIiLj2EEbEEELb1ELb1EEENS1_16block_id_wrapperIjLb0EEEEEvT_jjPNSB_10value_typeET0_ ; -- Begin function _ZN7rocprim17ROCPRIM_400000_NS6detail30init_device_scan_by_key_kernelINS1_19lookback_scan_stateINS0_5tupleIJ11FixedVectorIiLj2EEbEEELb1ELb1EEENS1_16block_id_wrapperIjLb0EEEEEvT_jjPNSB_10value_typeET0_
	.globl	_ZN7rocprim17ROCPRIM_400000_NS6detail30init_device_scan_by_key_kernelINS1_19lookback_scan_stateINS0_5tupleIJ11FixedVectorIiLj2EEbEEELb1ELb1EEENS1_16block_id_wrapperIjLb0EEEEEvT_jjPNSB_10value_typeET0_
	.p2align	8
	.type	_ZN7rocprim17ROCPRIM_400000_NS6detail30init_device_scan_by_key_kernelINS1_19lookback_scan_stateINS0_5tupleIJ11FixedVectorIiLj2EEbEEELb1ELb1EEENS1_16block_id_wrapperIjLb0EEEEEvT_jjPNSB_10value_typeET0_,@function
_ZN7rocprim17ROCPRIM_400000_NS6detail30init_device_scan_by_key_kernelINS1_19lookback_scan_stateINS0_5tupleIJ11FixedVectorIiLj2EEbEEELb1ELb1EEENS1_16block_id_wrapperIjLb0EEEEEvT_jjPNSB_10value_typeET0_: ; @_ZN7rocprim17ROCPRIM_400000_NS6detail30init_device_scan_by_key_kernelINS1_19lookback_scan_stateINS0_5tupleIJ11FixedVectorIiLj2EEbEEELb1ELb1EEENS1_16block_id_wrapperIjLb0EEEEEvT_jjPNSB_10value_typeET0_
; %bb.0:
	s_clause 0x2
	s_load_dword s7, s[4:5], 0x2c
	s_load_dwordx2 s[8:9], s[4:5], 0x10
	s_load_dwordx4 s[0:3], s[4:5], 0x0
	s_waitcnt lgkmcnt(0)
	s_and_b32 s4, s7, 0xffff
	s_cmp_eq_u64 s[8:9], 0
	v_mad_u64_u32 v[0:1], null, s6, s4, v[0:1]
	s_cbranch_scc1 .LBB1972_10
; %bb.1:
	s_cmp_lt_u32 s3, s2
	s_mov_b32 s5, 0
	s_cselect_b32 s4, s3, 0
	s_mov_b32 s6, exec_lo
	v_cmpx_eq_u32_e64 s4, v0
	s_cbranch_execz .LBB1972_9
; %bb.2:
	s_add_i32 s4, s3, 32
	v_mov_b32_e32 v5, 0
	s_lshl_b64 s[4:5], s[4:5], 4
	s_mov_b32 s3, exec_lo
	s_add_u32 s4, s0, s4
	s_addc_u32 s5, s1, s5
	v_mov_b32_e32 v1, s4
	v_mov_b32_e32 v2, s5
	;;#ASMSTART
	global_load_dwordx4 v[1:4], v[1:2] off glc dlc	
s_waitcnt vmcnt(0)
	;;#ASMEND
	v_and_b32_e32 v6, 0xff, v4
	v_cmpx_eq_u64_e32 0, v[5:6]
	s_cbranch_execz .LBB1972_8
; %bb.3:
	v_mov_b32_e32 v8, s5
	v_mov_b32_e32 v7, s4
	s_mov_b32 s5, 1
	s_mov_b32 s4, 0
	.p2align	6
.LBB1972_4:                             ; =>This Loop Header: Depth=1
                                        ;     Child Loop BB1972_5 Depth 2
	s_mov_b32 s7, s5
.LBB1972_5:                             ;   Parent Loop BB1972_4 Depth=1
                                        ; =>  This Inner Loop Header: Depth=2
	s_add_i32 s7, s7, -1
	s_sleep 1
	s_cmp_eq_u32 s7, 0
	s_cbranch_scc0 .LBB1972_5
; %bb.6:                                ;   in Loop: Header=BB1972_4 Depth=1
	;;#ASMSTART
	global_load_dwordx4 v[1:4], v[7:8] off glc dlc	
s_waitcnt vmcnt(0)
	;;#ASMEND
	v_and_b32_e32 v6, 0xff, v4
	s_cmp_lt_u32 s5, 32
	s_cselect_b32 s7, -1, 0
	v_cmp_ne_u64_e32 vcc_lo, 0, v[5:6]
	s_cmp_lg_u32 s7, 0
	s_addc_u32 s5, s5, 0
	s_or_b32 s4, vcc_lo, s4
	s_andn2_b32 exec_lo, exec_lo, s4
	s_cbranch_execnz .LBB1972_4
; %bb.7:
	s_or_b32 exec_lo, exec_lo, s4
.LBB1972_8:
	s_or_b32 exec_lo, exec_lo, s3
	v_mov_b32_e32 v4, 0
	global_store_dwordx2 v4, v[1:2], s[8:9]
	global_store_byte v4, v3, s[8:9] offset:8
.LBB1972_9:
	s_or_b32 exec_lo, exec_lo, s6
.LBB1972_10:
	v_cmp_gt_u32_e32 vcc_lo, s2, v0
	s_and_saveexec_b32 s2, vcc_lo
	s_cbranch_execz .LBB1972_12
; %bb.11:
	v_add_nc_u32_e32 v1, 32, v0
	v_mov_b32_e32 v2, 0
	v_lshlrev_b64 v[4:5], 4, v[1:2]
	v_mov_b32_e32 v1, v2
	v_mov_b32_e32 v3, v2
	v_add_co_u32 v6, vcc_lo, s0, v4
	v_add_co_ci_u32_e64 v7, null, s1, v5, vcc_lo
	v_mov_b32_e32 v4, v2
	global_store_dwordx4 v[6:7], v[1:4], off
.LBB1972_12:
	s_or_b32 exec_lo, exec_lo, s2
	s_mov_b32 s2, exec_lo
	v_cmpx_gt_u32_e32 32, v0
	s_cbranch_execz .LBB1972_14
; %bb.13:
	v_mov_b32_e32 v1, 0
	v_mov_b32_e32 v3, 0xff
	v_lshlrev_b64 v[4:5], 4, v[0:1]
	v_mov_b32_e32 v0, v1
	v_mov_b32_e32 v2, v1
	v_add_co_u32 v4, vcc_lo, s0, v4
	v_add_co_ci_u32_e64 v5, null, s1, v5, vcc_lo
	global_store_dwordx4 v[4:5], v[0:3], off
.LBB1972_14:
	s_endpgm
	.section	.rodata,"a",@progbits
	.p2align	6, 0x0
	.amdhsa_kernel _ZN7rocprim17ROCPRIM_400000_NS6detail30init_device_scan_by_key_kernelINS1_19lookback_scan_stateINS0_5tupleIJ11FixedVectorIiLj2EEbEEELb1ELb1EEENS1_16block_id_wrapperIjLb0EEEEEvT_jjPNSB_10value_typeET0_
		.amdhsa_group_segment_fixed_size 0
		.amdhsa_private_segment_fixed_size 0
		.amdhsa_kernarg_size 288
		.amdhsa_user_sgpr_count 6
		.amdhsa_user_sgpr_private_segment_buffer 1
		.amdhsa_user_sgpr_dispatch_ptr 0
		.amdhsa_user_sgpr_queue_ptr 0
		.amdhsa_user_sgpr_kernarg_segment_ptr 1
		.amdhsa_user_sgpr_dispatch_id 0
		.amdhsa_user_sgpr_flat_scratch_init 0
		.amdhsa_user_sgpr_private_segment_size 0
		.amdhsa_wavefront_size32 1
		.amdhsa_uses_dynamic_stack 0
		.amdhsa_system_sgpr_private_segment_wavefront_offset 0
		.amdhsa_system_sgpr_workgroup_id_x 1
		.amdhsa_system_sgpr_workgroup_id_y 0
		.amdhsa_system_sgpr_workgroup_id_z 0
		.amdhsa_system_sgpr_workgroup_info 0
		.amdhsa_system_vgpr_workitem_id 0
		.amdhsa_next_free_vgpr 9
		.amdhsa_next_free_sgpr 10
		.amdhsa_reserve_vcc 1
		.amdhsa_reserve_flat_scratch 0
		.amdhsa_float_round_mode_32 0
		.amdhsa_float_round_mode_16_64 0
		.amdhsa_float_denorm_mode_32 3
		.amdhsa_float_denorm_mode_16_64 3
		.amdhsa_dx10_clamp 1
		.amdhsa_ieee_mode 1
		.amdhsa_fp16_overflow 0
		.amdhsa_workgroup_processor_mode 1
		.amdhsa_memory_ordered 1
		.amdhsa_forward_progress 1
		.amdhsa_shared_vgpr_count 0
		.amdhsa_exception_fp_ieee_invalid_op 0
		.amdhsa_exception_fp_denorm_src 0
		.amdhsa_exception_fp_ieee_div_zero 0
		.amdhsa_exception_fp_ieee_overflow 0
		.amdhsa_exception_fp_ieee_underflow 0
		.amdhsa_exception_fp_ieee_inexact 0
		.amdhsa_exception_int_div_zero 0
	.end_amdhsa_kernel
	.section	.text._ZN7rocprim17ROCPRIM_400000_NS6detail30init_device_scan_by_key_kernelINS1_19lookback_scan_stateINS0_5tupleIJ11FixedVectorIiLj2EEbEEELb1ELb1EEENS1_16block_id_wrapperIjLb0EEEEEvT_jjPNSB_10value_typeET0_,"axG",@progbits,_ZN7rocprim17ROCPRIM_400000_NS6detail30init_device_scan_by_key_kernelINS1_19lookback_scan_stateINS0_5tupleIJ11FixedVectorIiLj2EEbEEELb1ELb1EEENS1_16block_id_wrapperIjLb0EEEEEvT_jjPNSB_10value_typeET0_,comdat
.Lfunc_end1972:
	.size	_ZN7rocprim17ROCPRIM_400000_NS6detail30init_device_scan_by_key_kernelINS1_19lookback_scan_stateINS0_5tupleIJ11FixedVectorIiLj2EEbEEELb1ELb1EEENS1_16block_id_wrapperIjLb0EEEEEvT_jjPNSB_10value_typeET0_, .Lfunc_end1972-_ZN7rocprim17ROCPRIM_400000_NS6detail30init_device_scan_by_key_kernelINS1_19lookback_scan_stateINS0_5tupleIJ11FixedVectorIiLj2EEbEEELb1ELb1EEENS1_16block_id_wrapperIjLb0EEEEEvT_jjPNSB_10value_typeET0_
                                        ; -- End function
	.set _ZN7rocprim17ROCPRIM_400000_NS6detail30init_device_scan_by_key_kernelINS1_19lookback_scan_stateINS0_5tupleIJ11FixedVectorIiLj2EEbEEELb1ELb1EEENS1_16block_id_wrapperIjLb0EEEEEvT_jjPNSB_10value_typeET0_.num_vgpr, 9
	.set _ZN7rocprim17ROCPRIM_400000_NS6detail30init_device_scan_by_key_kernelINS1_19lookback_scan_stateINS0_5tupleIJ11FixedVectorIiLj2EEbEEELb1ELb1EEENS1_16block_id_wrapperIjLb0EEEEEvT_jjPNSB_10value_typeET0_.num_agpr, 0
	.set _ZN7rocprim17ROCPRIM_400000_NS6detail30init_device_scan_by_key_kernelINS1_19lookback_scan_stateINS0_5tupleIJ11FixedVectorIiLj2EEbEEELb1ELb1EEENS1_16block_id_wrapperIjLb0EEEEEvT_jjPNSB_10value_typeET0_.numbered_sgpr, 10
	.set _ZN7rocprim17ROCPRIM_400000_NS6detail30init_device_scan_by_key_kernelINS1_19lookback_scan_stateINS0_5tupleIJ11FixedVectorIiLj2EEbEEELb1ELb1EEENS1_16block_id_wrapperIjLb0EEEEEvT_jjPNSB_10value_typeET0_.num_named_barrier, 0
	.set _ZN7rocprim17ROCPRIM_400000_NS6detail30init_device_scan_by_key_kernelINS1_19lookback_scan_stateINS0_5tupleIJ11FixedVectorIiLj2EEbEEELb1ELb1EEENS1_16block_id_wrapperIjLb0EEEEEvT_jjPNSB_10value_typeET0_.private_seg_size, 0
	.set _ZN7rocprim17ROCPRIM_400000_NS6detail30init_device_scan_by_key_kernelINS1_19lookback_scan_stateINS0_5tupleIJ11FixedVectorIiLj2EEbEEELb1ELb1EEENS1_16block_id_wrapperIjLb0EEEEEvT_jjPNSB_10value_typeET0_.uses_vcc, 1
	.set _ZN7rocprim17ROCPRIM_400000_NS6detail30init_device_scan_by_key_kernelINS1_19lookback_scan_stateINS0_5tupleIJ11FixedVectorIiLj2EEbEEELb1ELb1EEENS1_16block_id_wrapperIjLb0EEEEEvT_jjPNSB_10value_typeET0_.uses_flat_scratch, 0
	.set _ZN7rocprim17ROCPRIM_400000_NS6detail30init_device_scan_by_key_kernelINS1_19lookback_scan_stateINS0_5tupleIJ11FixedVectorIiLj2EEbEEELb1ELb1EEENS1_16block_id_wrapperIjLb0EEEEEvT_jjPNSB_10value_typeET0_.has_dyn_sized_stack, 0
	.set _ZN7rocprim17ROCPRIM_400000_NS6detail30init_device_scan_by_key_kernelINS1_19lookback_scan_stateINS0_5tupleIJ11FixedVectorIiLj2EEbEEELb1ELb1EEENS1_16block_id_wrapperIjLb0EEEEEvT_jjPNSB_10value_typeET0_.has_recursion, 0
	.set _ZN7rocprim17ROCPRIM_400000_NS6detail30init_device_scan_by_key_kernelINS1_19lookback_scan_stateINS0_5tupleIJ11FixedVectorIiLj2EEbEEELb1ELb1EEENS1_16block_id_wrapperIjLb0EEEEEvT_jjPNSB_10value_typeET0_.has_indirect_call, 0
	.section	.AMDGPU.csdata,"",@progbits
; Kernel info:
; codeLenInByte = 460
; TotalNumSgprs: 12
; NumVgprs: 9
; ScratchSize: 0
; MemoryBound: 0
; FloatMode: 240
; IeeeMode: 1
; LDSByteSize: 0 bytes/workgroup (compile time only)
; SGPRBlocks: 0
; VGPRBlocks: 1
; NumSGPRsForWavesPerEU: 12
; NumVGPRsForWavesPerEU: 9
; Occupancy: 16
; WaveLimiterHint : 0
; COMPUTE_PGM_RSRC2:SCRATCH_EN: 0
; COMPUTE_PGM_RSRC2:USER_SGPR: 6
; COMPUTE_PGM_RSRC2:TRAP_HANDLER: 0
; COMPUTE_PGM_RSRC2:TGID_X_EN: 1
; COMPUTE_PGM_RSRC2:TGID_Y_EN: 0
; COMPUTE_PGM_RSRC2:TGID_Z_EN: 0
; COMPUTE_PGM_RSRC2:TIDIG_COMP_CNT: 0
	.section	.text._ZN7rocprim17ROCPRIM_400000_NS6detail17trampoline_kernelINS0_14default_configENS1_27scan_by_key_config_selectorIj11FixedVectorIiLj2EEEEZZNS1_16scan_by_key_implILNS1_25lookback_scan_determinismE0ELb0ES3_N6thrust23THRUST_200600_302600_NS6detail15normal_iteratorINSB_10device_ptrIjEEEENSD_INSE_IS6_EEEESI_S6_NSB_4plusIvEENSB_8equal_toIvEES6_EE10hipError_tPvRmT2_T3_T4_T5_mT6_T7_P12ihipStream_tbENKUlT_T0_E_clISt17integral_constantIbLb1EES12_IbLb0EEEEDaSY_SZ_EUlSY_E_NS1_11comp_targetILNS1_3genE0ELNS1_11target_archE4294967295ELNS1_3gpuE0ELNS1_3repE0EEENS1_30default_config_static_selectorELNS0_4arch9wavefront6targetE0EEEvT1_,"axG",@progbits,_ZN7rocprim17ROCPRIM_400000_NS6detail17trampoline_kernelINS0_14default_configENS1_27scan_by_key_config_selectorIj11FixedVectorIiLj2EEEEZZNS1_16scan_by_key_implILNS1_25lookback_scan_determinismE0ELb0ES3_N6thrust23THRUST_200600_302600_NS6detail15normal_iteratorINSB_10device_ptrIjEEEENSD_INSE_IS6_EEEESI_S6_NSB_4plusIvEENSB_8equal_toIvEES6_EE10hipError_tPvRmT2_T3_T4_T5_mT6_T7_P12ihipStream_tbENKUlT_T0_E_clISt17integral_constantIbLb1EES12_IbLb0EEEEDaSY_SZ_EUlSY_E_NS1_11comp_targetILNS1_3genE0ELNS1_11target_archE4294967295ELNS1_3gpuE0ELNS1_3repE0EEENS1_30default_config_static_selectorELNS0_4arch9wavefront6targetE0EEEvT1_,comdat
	.protected	_ZN7rocprim17ROCPRIM_400000_NS6detail17trampoline_kernelINS0_14default_configENS1_27scan_by_key_config_selectorIj11FixedVectorIiLj2EEEEZZNS1_16scan_by_key_implILNS1_25lookback_scan_determinismE0ELb0ES3_N6thrust23THRUST_200600_302600_NS6detail15normal_iteratorINSB_10device_ptrIjEEEENSD_INSE_IS6_EEEESI_S6_NSB_4plusIvEENSB_8equal_toIvEES6_EE10hipError_tPvRmT2_T3_T4_T5_mT6_T7_P12ihipStream_tbENKUlT_T0_E_clISt17integral_constantIbLb1EES12_IbLb0EEEEDaSY_SZ_EUlSY_E_NS1_11comp_targetILNS1_3genE0ELNS1_11target_archE4294967295ELNS1_3gpuE0ELNS1_3repE0EEENS1_30default_config_static_selectorELNS0_4arch9wavefront6targetE0EEEvT1_ ; -- Begin function _ZN7rocprim17ROCPRIM_400000_NS6detail17trampoline_kernelINS0_14default_configENS1_27scan_by_key_config_selectorIj11FixedVectorIiLj2EEEEZZNS1_16scan_by_key_implILNS1_25lookback_scan_determinismE0ELb0ES3_N6thrust23THRUST_200600_302600_NS6detail15normal_iteratorINSB_10device_ptrIjEEEENSD_INSE_IS6_EEEESI_S6_NSB_4plusIvEENSB_8equal_toIvEES6_EE10hipError_tPvRmT2_T3_T4_T5_mT6_T7_P12ihipStream_tbENKUlT_T0_E_clISt17integral_constantIbLb1EES12_IbLb0EEEEDaSY_SZ_EUlSY_E_NS1_11comp_targetILNS1_3genE0ELNS1_11target_archE4294967295ELNS1_3gpuE0ELNS1_3repE0EEENS1_30default_config_static_selectorELNS0_4arch9wavefront6targetE0EEEvT1_
	.globl	_ZN7rocprim17ROCPRIM_400000_NS6detail17trampoline_kernelINS0_14default_configENS1_27scan_by_key_config_selectorIj11FixedVectorIiLj2EEEEZZNS1_16scan_by_key_implILNS1_25lookback_scan_determinismE0ELb0ES3_N6thrust23THRUST_200600_302600_NS6detail15normal_iteratorINSB_10device_ptrIjEEEENSD_INSE_IS6_EEEESI_S6_NSB_4plusIvEENSB_8equal_toIvEES6_EE10hipError_tPvRmT2_T3_T4_T5_mT6_T7_P12ihipStream_tbENKUlT_T0_E_clISt17integral_constantIbLb1EES12_IbLb0EEEEDaSY_SZ_EUlSY_E_NS1_11comp_targetILNS1_3genE0ELNS1_11target_archE4294967295ELNS1_3gpuE0ELNS1_3repE0EEENS1_30default_config_static_selectorELNS0_4arch9wavefront6targetE0EEEvT1_
	.p2align	8
	.type	_ZN7rocprim17ROCPRIM_400000_NS6detail17trampoline_kernelINS0_14default_configENS1_27scan_by_key_config_selectorIj11FixedVectorIiLj2EEEEZZNS1_16scan_by_key_implILNS1_25lookback_scan_determinismE0ELb0ES3_N6thrust23THRUST_200600_302600_NS6detail15normal_iteratorINSB_10device_ptrIjEEEENSD_INSE_IS6_EEEESI_S6_NSB_4plusIvEENSB_8equal_toIvEES6_EE10hipError_tPvRmT2_T3_T4_T5_mT6_T7_P12ihipStream_tbENKUlT_T0_E_clISt17integral_constantIbLb1EES12_IbLb0EEEEDaSY_SZ_EUlSY_E_NS1_11comp_targetILNS1_3genE0ELNS1_11target_archE4294967295ELNS1_3gpuE0ELNS1_3repE0EEENS1_30default_config_static_selectorELNS0_4arch9wavefront6targetE0EEEvT1_,@function
_ZN7rocprim17ROCPRIM_400000_NS6detail17trampoline_kernelINS0_14default_configENS1_27scan_by_key_config_selectorIj11FixedVectorIiLj2EEEEZZNS1_16scan_by_key_implILNS1_25lookback_scan_determinismE0ELb0ES3_N6thrust23THRUST_200600_302600_NS6detail15normal_iteratorINSB_10device_ptrIjEEEENSD_INSE_IS6_EEEESI_S6_NSB_4plusIvEENSB_8equal_toIvEES6_EE10hipError_tPvRmT2_T3_T4_T5_mT6_T7_P12ihipStream_tbENKUlT_T0_E_clISt17integral_constantIbLb1EES12_IbLb0EEEEDaSY_SZ_EUlSY_E_NS1_11comp_targetILNS1_3genE0ELNS1_11target_archE4294967295ELNS1_3gpuE0ELNS1_3repE0EEENS1_30default_config_static_selectorELNS0_4arch9wavefront6targetE0EEEvT1_: ; @_ZN7rocprim17ROCPRIM_400000_NS6detail17trampoline_kernelINS0_14default_configENS1_27scan_by_key_config_selectorIj11FixedVectorIiLj2EEEEZZNS1_16scan_by_key_implILNS1_25lookback_scan_determinismE0ELb0ES3_N6thrust23THRUST_200600_302600_NS6detail15normal_iteratorINSB_10device_ptrIjEEEENSD_INSE_IS6_EEEESI_S6_NSB_4plusIvEENSB_8equal_toIvEES6_EE10hipError_tPvRmT2_T3_T4_T5_mT6_T7_P12ihipStream_tbENKUlT_T0_E_clISt17integral_constantIbLb1EES12_IbLb0EEEEDaSY_SZ_EUlSY_E_NS1_11comp_targetILNS1_3genE0ELNS1_11target_archE4294967295ELNS1_3gpuE0ELNS1_3repE0EEENS1_30default_config_static_selectorELNS0_4arch9wavefront6targetE0EEEvT1_
; %bb.0:
	.section	.rodata,"a",@progbits
	.p2align	6, 0x0
	.amdhsa_kernel _ZN7rocprim17ROCPRIM_400000_NS6detail17trampoline_kernelINS0_14default_configENS1_27scan_by_key_config_selectorIj11FixedVectorIiLj2EEEEZZNS1_16scan_by_key_implILNS1_25lookback_scan_determinismE0ELb0ES3_N6thrust23THRUST_200600_302600_NS6detail15normal_iteratorINSB_10device_ptrIjEEEENSD_INSE_IS6_EEEESI_S6_NSB_4plusIvEENSB_8equal_toIvEES6_EE10hipError_tPvRmT2_T3_T4_T5_mT6_T7_P12ihipStream_tbENKUlT_T0_E_clISt17integral_constantIbLb1EES12_IbLb0EEEEDaSY_SZ_EUlSY_E_NS1_11comp_targetILNS1_3genE0ELNS1_11target_archE4294967295ELNS1_3gpuE0ELNS1_3repE0EEENS1_30default_config_static_selectorELNS0_4arch9wavefront6targetE0EEEvT1_
		.amdhsa_group_segment_fixed_size 0
		.amdhsa_private_segment_fixed_size 0
		.amdhsa_kernarg_size 120
		.amdhsa_user_sgpr_count 6
		.amdhsa_user_sgpr_private_segment_buffer 1
		.amdhsa_user_sgpr_dispatch_ptr 0
		.amdhsa_user_sgpr_queue_ptr 0
		.amdhsa_user_sgpr_kernarg_segment_ptr 1
		.amdhsa_user_sgpr_dispatch_id 0
		.amdhsa_user_sgpr_flat_scratch_init 0
		.amdhsa_user_sgpr_private_segment_size 0
		.amdhsa_wavefront_size32 1
		.amdhsa_uses_dynamic_stack 0
		.amdhsa_system_sgpr_private_segment_wavefront_offset 0
		.amdhsa_system_sgpr_workgroup_id_x 1
		.amdhsa_system_sgpr_workgroup_id_y 0
		.amdhsa_system_sgpr_workgroup_id_z 0
		.amdhsa_system_sgpr_workgroup_info 0
		.amdhsa_system_vgpr_workitem_id 0
		.amdhsa_next_free_vgpr 1
		.amdhsa_next_free_sgpr 1
		.amdhsa_reserve_vcc 0
		.amdhsa_reserve_flat_scratch 0
		.amdhsa_float_round_mode_32 0
		.amdhsa_float_round_mode_16_64 0
		.amdhsa_float_denorm_mode_32 3
		.amdhsa_float_denorm_mode_16_64 3
		.amdhsa_dx10_clamp 1
		.amdhsa_ieee_mode 1
		.amdhsa_fp16_overflow 0
		.amdhsa_workgroup_processor_mode 1
		.amdhsa_memory_ordered 1
		.amdhsa_forward_progress 1
		.amdhsa_shared_vgpr_count 0
		.amdhsa_exception_fp_ieee_invalid_op 0
		.amdhsa_exception_fp_denorm_src 0
		.amdhsa_exception_fp_ieee_div_zero 0
		.amdhsa_exception_fp_ieee_overflow 0
		.amdhsa_exception_fp_ieee_underflow 0
		.amdhsa_exception_fp_ieee_inexact 0
		.amdhsa_exception_int_div_zero 0
	.end_amdhsa_kernel
	.section	.text._ZN7rocprim17ROCPRIM_400000_NS6detail17trampoline_kernelINS0_14default_configENS1_27scan_by_key_config_selectorIj11FixedVectorIiLj2EEEEZZNS1_16scan_by_key_implILNS1_25lookback_scan_determinismE0ELb0ES3_N6thrust23THRUST_200600_302600_NS6detail15normal_iteratorINSB_10device_ptrIjEEEENSD_INSE_IS6_EEEESI_S6_NSB_4plusIvEENSB_8equal_toIvEES6_EE10hipError_tPvRmT2_T3_T4_T5_mT6_T7_P12ihipStream_tbENKUlT_T0_E_clISt17integral_constantIbLb1EES12_IbLb0EEEEDaSY_SZ_EUlSY_E_NS1_11comp_targetILNS1_3genE0ELNS1_11target_archE4294967295ELNS1_3gpuE0ELNS1_3repE0EEENS1_30default_config_static_selectorELNS0_4arch9wavefront6targetE0EEEvT1_,"axG",@progbits,_ZN7rocprim17ROCPRIM_400000_NS6detail17trampoline_kernelINS0_14default_configENS1_27scan_by_key_config_selectorIj11FixedVectorIiLj2EEEEZZNS1_16scan_by_key_implILNS1_25lookback_scan_determinismE0ELb0ES3_N6thrust23THRUST_200600_302600_NS6detail15normal_iteratorINSB_10device_ptrIjEEEENSD_INSE_IS6_EEEESI_S6_NSB_4plusIvEENSB_8equal_toIvEES6_EE10hipError_tPvRmT2_T3_T4_T5_mT6_T7_P12ihipStream_tbENKUlT_T0_E_clISt17integral_constantIbLb1EES12_IbLb0EEEEDaSY_SZ_EUlSY_E_NS1_11comp_targetILNS1_3genE0ELNS1_11target_archE4294967295ELNS1_3gpuE0ELNS1_3repE0EEENS1_30default_config_static_selectorELNS0_4arch9wavefront6targetE0EEEvT1_,comdat
.Lfunc_end1973:
	.size	_ZN7rocprim17ROCPRIM_400000_NS6detail17trampoline_kernelINS0_14default_configENS1_27scan_by_key_config_selectorIj11FixedVectorIiLj2EEEEZZNS1_16scan_by_key_implILNS1_25lookback_scan_determinismE0ELb0ES3_N6thrust23THRUST_200600_302600_NS6detail15normal_iteratorINSB_10device_ptrIjEEEENSD_INSE_IS6_EEEESI_S6_NSB_4plusIvEENSB_8equal_toIvEES6_EE10hipError_tPvRmT2_T3_T4_T5_mT6_T7_P12ihipStream_tbENKUlT_T0_E_clISt17integral_constantIbLb1EES12_IbLb0EEEEDaSY_SZ_EUlSY_E_NS1_11comp_targetILNS1_3genE0ELNS1_11target_archE4294967295ELNS1_3gpuE0ELNS1_3repE0EEENS1_30default_config_static_selectorELNS0_4arch9wavefront6targetE0EEEvT1_, .Lfunc_end1973-_ZN7rocprim17ROCPRIM_400000_NS6detail17trampoline_kernelINS0_14default_configENS1_27scan_by_key_config_selectorIj11FixedVectorIiLj2EEEEZZNS1_16scan_by_key_implILNS1_25lookback_scan_determinismE0ELb0ES3_N6thrust23THRUST_200600_302600_NS6detail15normal_iteratorINSB_10device_ptrIjEEEENSD_INSE_IS6_EEEESI_S6_NSB_4plusIvEENSB_8equal_toIvEES6_EE10hipError_tPvRmT2_T3_T4_T5_mT6_T7_P12ihipStream_tbENKUlT_T0_E_clISt17integral_constantIbLb1EES12_IbLb0EEEEDaSY_SZ_EUlSY_E_NS1_11comp_targetILNS1_3genE0ELNS1_11target_archE4294967295ELNS1_3gpuE0ELNS1_3repE0EEENS1_30default_config_static_selectorELNS0_4arch9wavefront6targetE0EEEvT1_
                                        ; -- End function
	.set _ZN7rocprim17ROCPRIM_400000_NS6detail17trampoline_kernelINS0_14default_configENS1_27scan_by_key_config_selectorIj11FixedVectorIiLj2EEEEZZNS1_16scan_by_key_implILNS1_25lookback_scan_determinismE0ELb0ES3_N6thrust23THRUST_200600_302600_NS6detail15normal_iteratorINSB_10device_ptrIjEEEENSD_INSE_IS6_EEEESI_S6_NSB_4plusIvEENSB_8equal_toIvEES6_EE10hipError_tPvRmT2_T3_T4_T5_mT6_T7_P12ihipStream_tbENKUlT_T0_E_clISt17integral_constantIbLb1EES12_IbLb0EEEEDaSY_SZ_EUlSY_E_NS1_11comp_targetILNS1_3genE0ELNS1_11target_archE4294967295ELNS1_3gpuE0ELNS1_3repE0EEENS1_30default_config_static_selectorELNS0_4arch9wavefront6targetE0EEEvT1_.num_vgpr, 0
	.set _ZN7rocprim17ROCPRIM_400000_NS6detail17trampoline_kernelINS0_14default_configENS1_27scan_by_key_config_selectorIj11FixedVectorIiLj2EEEEZZNS1_16scan_by_key_implILNS1_25lookback_scan_determinismE0ELb0ES3_N6thrust23THRUST_200600_302600_NS6detail15normal_iteratorINSB_10device_ptrIjEEEENSD_INSE_IS6_EEEESI_S6_NSB_4plusIvEENSB_8equal_toIvEES6_EE10hipError_tPvRmT2_T3_T4_T5_mT6_T7_P12ihipStream_tbENKUlT_T0_E_clISt17integral_constantIbLb1EES12_IbLb0EEEEDaSY_SZ_EUlSY_E_NS1_11comp_targetILNS1_3genE0ELNS1_11target_archE4294967295ELNS1_3gpuE0ELNS1_3repE0EEENS1_30default_config_static_selectorELNS0_4arch9wavefront6targetE0EEEvT1_.num_agpr, 0
	.set _ZN7rocprim17ROCPRIM_400000_NS6detail17trampoline_kernelINS0_14default_configENS1_27scan_by_key_config_selectorIj11FixedVectorIiLj2EEEEZZNS1_16scan_by_key_implILNS1_25lookback_scan_determinismE0ELb0ES3_N6thrust23THRUST_200600_302600_NS6detail15normal_iteratorINSB_10device_ptrIjEEEENSD_INSE_IS6_EEEESI_S6_NSB_4plusIvEENSB_8equal_toIvEES6_EE10hipError_tPvRmT2_T3_T4_T5_mT6_T7_P12ihipStream_tbENKUlT_T0_E_clISt17integral_constantIbLb1EES12_IbLb0EEEEDaSY_SZ_EUlSY_E_NS1_11comp_targetILNS1_3genE0ELNS1_11target_archE4294967295ELNS1_3gpuE0ELNS1_3repE0EEENS1_30default_config_static_selectorELNS0_4arch9wavefront6targetE0EEEvT1_.numbered_sgpr, 0
	.set _ZN7rocprim17ROCPRIM_400000_NS6detail17trampoline_kernelINS0_14default_configENS1_27scan_by_key_config_selectorIj11FixedVectorIiLj2EEEEZZNS1_16scan_by_key_implILNS1_25lookback_scan_determinismE0ELb0ES3_N6thrust23THRUST_200600_302600_NS6detail15normal_iteratorINSB_10device_ptrIjEEEENSD_INSE_IS6_EEEESI_S6_NSB_4plusIvEENSB_8equal_toIvEES6_EE10hipError_tPvRmT2_T3_T4_T5_mT6_T7_P12ihipStream_tbENKUlT_T0_E_clISt17integral_constantIbLb1EES12_IbLb0EEEEDaSY_SZ_EUlSY_E_NS1_11comp_targetILNS1_3genE0ELNS1_11target_archE4294967295ELNS1_3gpuE0ELNS1_3repE0EEENS1_30default_config_static_selectorELNS0_4arch9wavefront6targetE0EEEvT1_.num_named_barrier, 0
	.set _ZN7rocprim17ROCPRIM_400000_NS6detail17trampoline_kernelINS0_14default_configENS1_27scan_by_key_config_selectorIj11FixedVectorIiLj2EEEEZZNS1_16scan_by_key_implILNS1_25lookback_scan_determinismE0ELb0ES3_N6thrust23THRUST_200600_302600_NS6detail15normal_iteratorINSB_10device_ptrIjEEEENSD_INSE_IS6_EEEESI_S6_NSB_4plusIvEENSB_8equal_toIvEES6_EE10hipError_tPvRmT2_T3_T4_T5_mT6_T7_P12ihipStream_tbENKUlT_T0_E_clISt17integral_constantIbLb1EES12_IbLb0EEEEDaSY_SZ_EUlSY_E_NS1_11comp_targetILNS1_3genE0ELNS1_11target_archE4294967295ELNS1_3gpuE0ELNS1_3repE0EEENS1_30default_config_static_selectorELNS0_4arch9wavefront6targetE0EEEvT1_.private_seg_size, 0
	.set _ZN7rocprim17ROCPRIM_400000_NS6detail17trampoline_kernelINS0_14default_configENS1_27scan_by_key_config_selectorIj11FixedVectorIiLj2EEEEZZNS1_16scan_by_key_implILNS1_25lookback_scan_determinismE0ELb0ES3_N6thrust23THRUST_200600_302600_NS6detail15normal_iteratorINSB_10device_ptrIjEEEENSD_INSE_IS6_EEEESI_S6_NSB_4plusIvEENSB_8equal_toIvEES6_EE10hipError_tPvRmT2_T3_T4_T5_mT6_T7_P12ihipStream_tbENKUlT_T0_E_clISt17integral_constantIbLb1EES12_IbLb0EEEEDaSY_SZ_EUlSY_E_NS1_11comp_targetILNS1_3genE0ELNS1_11target_archE4294967295ELNS1_3gpuE0ELNS1_3repE0EEENS1_30default_config_static_selectorELNS0_4arch9wavefront6targetE0EEEvT1_.uses_vcc, 0
	.set _ZN7rocprim17ROCPRIM_400000_NS6detail17trampoline_kernelINS0_14default_configENS1_27scan_by_key_config_selectorIj11FixedVectorIiLj2EEEEZZNS1_16scan_by_key_implILNS1_25lookback_scan_determinismE0ELb0ES3_N6thrust23THRUST_200600_302600_NS6detail15normal_iteratorINSB_10device_ptrIjEEEENSD_INSE_IS6_EEEESI_S6_NSB_4plusIvEENSB_8equal_toIvEES6_EE10hipError_tPvRmT2_T3_T4_T5_mT6_T7_P12ihipStream_tbENKUlT_T0_E_clISt17integral_constantIbLb1EES12_IbLb0EEEEDaSY_SZ_EUlSY_E_NS1_11comp_targetILNS1_3genE0ELNS1_11target_archE4294967295ELNS1_3gpuE0ELNS1_3repE0EEENS1_30default_config_static_selectorELNS0_4arch9wavefront6targetE0EEEvT1_.uses_flat_scratch, 0
	.set _ZN7rocprim17ROCPRIM_400000_NS6detail17trampoline_kernelINS0_14default_configENS1_27scan_by_key_config_selectorIj11FixedVectorIiLj2EEEEZZNS1_16scan_by_key_implILNS1_25lookback_scan_determinismE0ELb0ES3_N6thrust23THRUST_200600_302600_NS6detail15normal_iteratorINSB_10device_ptrIjEEEENSD_INSE_IS6_EEEESI_S6_NSB_4plusIvEENSB_8equal_toIvEES6_EE10hipError_tPvRmT2_T3_T4_T5_mT6_T7_P12ihipStream_tbENKUlT_T0_E_clISt17integral_constantIbLb1EES12_IbLb0EEEEDaSY_SZ_EUlSY_E_NS1_11comp_targetILNS1_3genE0ELNS1_11target_archE4294967295ELNS1_3gpuE0ELNS1_3repE0EEENS1_30default_config_static_selectorELNS0_4arch9wavefront6targetE0EEEvT1_.has_dyn_sized_stack, 0
	.set _ZN7rocprim17ROCPRIM_400000_NS6detail17trampoline_kernelINS0_14default_configENS1_27scan_by_key_config_selectorIj11FixedVectorIiLj2EEEEZZNS1_16scan_by_key_implILNS1_25lookback_scan_determinismE0ELb0ES3_N6thrust23THRUST_200600_302600_NS6detail15normal_iteratorINSB_10device_ptrIjEEEENSD_INSE_IS6_EEEESI_S6_NSB_4plusIvEENSB_8equal_toIvEES6_EE10hipError_tPvRmT2_T3_T4_T5_mT6_T7_P12ihipStream_tbENKUlT_T0_E_clISt17integral_constantIbLb1EES12_IbLb0EEEEDaSY_SZ_EUlSY_E_NS1_11comp_targetILNS1_3genE0ELNS1_11target_archE4294967295ELNS1_3gpuE0ELNS1_3repE0EEENS1_30default_config_static_selectorELNS0_4arch9wavefront6targetE0EEEvT1_.has_recursion, 0
	.set _ZN7rocprim17ROCPRIM_400000_NS6detail17trampoline_kernelINS0_14default_configENS1_27scan_by_key_config_selectorIj11FixedVectorIiLj2EEEEZZNS1_16scan_by_key_implILNS1_25lookback_scan_determinismE0ELb0ES3_N6thrust23THRUST_200600_302600_NS6detail15normal_iteratorINSB_10device_ptrIjEEEENSD_INSE_IS6_EEEESI_S6_NSB_4plusIvEENSB_8equal_toIvEES6_EE10hipError_tPvRmT2_T3_T4_T5_mT6_T7_P12ihipStream_tbENKUlT_T0_E_clISt17integral_constantIbLb1EES12_IbLb0EEEEDaSY_SZ_EUlSY_E_NS1_11comp_targetILNS1_3genE0ELNS1_11target_archE4294967295ELNS1_3gpuE0ELNS1_3repE0EEENS1_30default_config_static_selectorELNS0_4arch9wavefront6targetE0EEEvT1_.has_indirect_call, 0
	.section	.AMDGPU.csdata,"",@progbits
; Kernel info:
; codeLenInByte = 0
; TotalNumSgprs: 0
; NumVgprs: 0
; ScratchSize: 0
; MemoryBound: 0
; FloatMode: 240
; IeeeMode: 1
; LDSByteSize: 0 bytes/workgroup (compile time only)
; SGPRBlocks: 0
; VGPRBlocks: 0
; NumSGPRsForWavesPerEU: 1
; NumVGPRsForWavesPerEU: 1
; Occupancy: 16
; WaveLimiterHint : 0
; COMPUTE_PGM_RSRC2:SCRATCH_EN: 0
; COMPUTE_PGM_RSRC2:USER_SGPR: 6
; COMPUTE_PGM_RSRC2:TRAP_HANDLER: 0
; COMPUTE_PGM_RSRC2:TGID_X_EN: 1
; COMPUTE_PGM_RSRC2:TGID_Y_EN: 0
; COMPUTE_PGM_RSRC2:TGID_Z_EN: 0
; COMPUTE_PGM_RSRC2:TIDIG_COMP_CNT: 0
	.section	.text._ZN7rocprim17ROCPRIM_400000_NS6detail17trampoline_kernelINS0_14default_configENS1_27scan_by_key_config_selectorIj11FixedVectorIiLj2EEEEZZNS1_16scan_by_key_implILNS1_25lookback_scan_determinismE0ELb0ES3_N6thrust23THRUST_200600_302600_NS6detail15normal_iteratorINSB_10device_ptrIjEEEENSD_INSE_IS6_EEEESI_S6_NSB_4plusIvEENSB_8equal_toIvEES6_EE10hipError_tPvRmT2_T3_T4_T5_mT6_T7_P12ihipStream_tbENKUlT_T0_E_clISt17integral_constantIbLb1EES12_IbLb0EEEEDaSY_SZ_EUlSY_E_NS1_11comp_targetILNS1_3genE10ELNS1_11target_archE1201ELNS1_3gpuE5ELNS1_3repE0EEENS1_30default_config_static_selectorELNS0_4arch9wavefront6targetE0EEEvT1_,"axG",@progbits,_ZN7rocprim17ROCPRIM_400000_NS6detail17trampoline_kernelINS0_14default_configENS1_27scan_by_key_config_selectorIj11FixedVectorIiLj2EEEEZZNS1_16scan_by_key_implILNS1_25lookback_scan_determinismE0ELb0ES3_N6thrust23THRUST_200600_302600_NS6detail15normal_iteratorINSB_10device_ptrIjEEEENSD_INSE_IS6_EEEESI_S6_NSB_4plusIvEENSB_8equal_toIvEES6_EE10hipError_tPvRmT2_T3_T4_T5_mT6_T7_P12ihipStream_tbENKUlT_T0_E_clISt17integral_constantIbLb1EES12_IbLb0EEEEDaSY_SZ_EUlSY_E_NS1_11comp_targetILNS1_3genE10ELNS1_11target_archE1201ELNS1_3gpuE5ELNS1_3repE0EEENS1_30default_config_static_selectorELNS0_4arch9wavefront6targetE0EEEvT1_,comdat
	.protected	_ZN7rocprim17ROCPRIM_400000_NS6detail17trampoline_kernelINS0_14default_configENS1_27scan_by_key_config_selectorIj11FixedVectorIiLj2EEEEZZNS1_16scan_by_key_implILNS1_25lookback_scan_determinismE0ELb0ES3_N6thrust23THRUST_200600_302600_NS6detail15normal_iteratorINSB_10device_ptrIjEEEENSD_INSE_IS6_EEEESI_S6_NSB_4plusIvEENSB_8equal_toIvEES6_EE10hipError_tPvRmT2_T3_T4_T5_mT6_T7_P12ihipStream_tbENKUlT_T0_E_clISt17integral_constantIbLb1EES12_IbLb0EEEEDaSY_SZ_EUlSY_E_NS1_11comp_targetILNS1_3genE10ELNS1_11target_archE1201ELNS1_3gpuE5ELNS1_3repE0EEENS1_30default_config_static_selectorELNS0_4arch9wavefront6targetE0EEEvT1_ ; -- Begin function _ZN7rocprim17ROCPRIM_400000_NS6detail17trampoline_kernelINS0_14default_configENS1_27scan_by_key_config_selectorIj11FixedVectorIiLj2EEEEZZNS1_16scan_by_key_implILNS1_25lookback_scan_determinismE0ELb0ES3_N6thrust23THRUST_200600_302600_NS6detail15normal_iteratorINSB_10device_ptrIjEEEENSD_INSE_IS6_EEEESI_S6_NSB_4plusIvEENSB_8equal_toIvEES6_EE10hipError_tPvRmT2_T3_T4_T5_mT6_T7_P12ihipStream_tbENKUlT_T0_E_clISt17integral_constantIbLb1EES12_IbLb0EEEEDaSY_SZ_EUlSY_E_NS1_11comp_targetILNS1_3genE10ELNS1_11target_archE1201ELNS1_3gpuE5ELNS1_3repE0EEENS1_30default_config_static_selectorELNS0_4arch9wavefront6targetE0EEEvT1_
	.globl	_ZN7rocprim17ROCPRIM_400000_NS6detail17trampoline_kernelINS0_14default_configENS1_27scan_by_key_config_selectorIj11FixedVectorIiLj2EEEEZZNS1_16scan_by_key_implILNS1_25lookback_scan_determinismE0ELb0ES3_N6thrust23THRUST_200600_302600_NS6detail15normal_iteratorINSB_10device_ptrIjEEEENSD_INSE_IS6_EEEESI_S6_NSB_4plusIvEENSB_8equal_toIvEES6_EE10hipError_tPvRmT2_T3_T4_T5_mT6_T7_P12ihipStream_tbENKUlT_T0_E_clISt17integral_constantIbLb1EES12_IbLb0EEEEDaSY_SZ_EUlSY_E_NS1_11comp_targetILNS1_3genE10ELNS1_11target_archE1201ELNS1_3gpuE5ELNS1_3repE0EEENS1_30default_config_static_selectorELNS0_4arch9wavefront6targetE0EEEvT1_
	.p2align	8
	.type	_ZN7rocprim17ROCPRIM_400000_NS6detail17trampoline_kernelINS0_14default_configENS1_27scan_by_key_config_selectorIj11FixedVectorIiLj2EEEEZZNS1_16scan_by_key_implILNS1_25lookback_scan_determinismE0ELb0ES3_N6thrust23THRUST_200600_302600_NS6detail15normal_iteratorINSB_10device_ptrIjEEEENSD_INSE_IS6_EEEESI_S6_NSB_4plusIvEENSB_8equal_toIvEES6_EE10hipError_tPvRmT2_T3_T4_T5_mT6_T7_P12ihipStream_tbENKUlT_T0_E_clISt17integral_constantIbLb1EES12_IbLb0EEEEDaSY_SZ_EUlSY_E_NS1_11comp_targetILNS1_3genE10ELNS1_11target_archE1201ELNS1_3gpuE5ELNS1_3repE0EEENS1_30default_config_static_selectorELNS0_4arch9wavefront6targetE0EEEvT1_,@function
_ZN7rocprim17ROCPRIM_400000_NS6detail17trampoline_kernelINS0_14default_configENS1_27scan_by_key_config_selectorIj11FixedVectorIiLj2EEEEZZNS1_16scan_by_key_implILNS1_25lookback_scan_determinismE0ELb0ES3_N6thrust23THRUST_200600_302600_NS6detail15normal_iteratorINSB_10device_ptrIjEEEENSD_INSE_IS6_EEEESI_S6_NSB_4plusIvEENSB_8equal_toIvEES6_EE10hipError_tPvRmT2_T3_T4_T5_mT6_T7_P12ihipStream_tbENKUlT_T0_E_clISt17integral_constantIbLb1EES12_IbLb0EEEEDaSY_SZ_EUlSY_E_NS1_11comp_targetILNS1_3genE10ELNS1_11target_archE1201ELNS1_3gpuE5ELNS1_3repE0EEENS1_30default_config_static_selectorELNS0_4arch9wavefront6targetE0EEEvT1_: ; @_ZN7rocprim17ROCPRIM_400000_NS6detail17trampoline_kernelINS0_14default_configENS1_27scan_by_key_config_selectorIj11FixedVectorIiLj2EEEEZZNS1_16scan_by_key_implILNS1_25lookback_scan_determinismE0ELb0ES3_N6thrust23THRUST_200600_302600_NS6detail15normal_iteratorINSB_10device_ptrIjEEEENSD_INSE_IS6_EEEESI_S6_NSB_4plusIvEENSB_8equal_toIvEES6_EE10hipError_tPvRmT2_T3_T4_T5_mT6_T7_P12ihipStream_tbENKUlT_T0_E_clISt17integral_constantIbLb1EES12_IbLb0EEEEDaSY_SZ_EUlSY_E_NS1_11comp_targetILNS1_3genE10ELNS1_11target_archE1201ELNS1_3gpuE5ELNS1_3repE0EEENS1_30default_config_static_selectorELNS0_4arch9wavefront6targetE0EEEvT1_
; %bb.0:
	.section	.rodata,"a",@progbits
	.p2align	6, 0x0
	.amdhsa_kernel _ZN7rocprim17ROCPRIM_400000_NS6detail17trampoline_kernelINS0_14default_configENS1_27scan_by_key_config_selectorIj11FixedVectorIiLj2EEEEZZNS1_16scan_by_key_implILNS1_25lookback_scan_determinismE0ELb0ES3_N6thrust23THRUST_200600_302600_NS6detail15normal_iteratorINSB_10device_ptrIjEEEENSD_INSE_IS6_EEEESI_S6_NSB_4plusIvEENSB_8equal_toIvEES6_EE10hipError_tPvRmT2_T3_T4_T5_mT6_T7_P12ihipStream_tbENKUlT_T0_E_clISt17integral_constantIbLb1EES12_IbLb0EEEEDaSY_SZ_EUlSY_E_NS1_11comp_targetILNS1_3genE10ELNS1_11target_archE1201ELNS1_3gpuE5ELNS1_3repE0EEENS1_30default_config_static_selectorELNS0_4arch9wavefront6targetE0EEEvT1_
		.amdhsa_group_segment_fixed_size 0
		.amdhsa_private_segment_fixed_size 0
		.amdhsa_kernarg_size 120
		.amdhsa_user_sgpr_count 6
		.amdhsa_user_sgpr_private_segment_buffer 1
		.amdhsa_user_sgpr_dispatch_ptr 0
		.amdhsa_user_sgpr_queue_ptr 0
		.amdhsa_user_sgpr_kernarg_segment_ptr 1
		.amdhsa_user_sgpr_dispatch_id 0
		.amdhsa_user_sgpr_flat_scratch_init 0
		.amdhsa_user_sgpr_private_segment_size 0
		.amdhsa_wavefront_size32 1
		.amdhsa_uses_dynamic_stack 0
		.amdhsa_system_sgpr_private_segment_wavefront_offset 0
		.amdhsa_system_sgpr_workgroup_id_x 1
		.amdhsa_system_sgpr_workgroup_id_y 0
		.amdhsa_system_sgpr_workgroup_id_z 0
		.amdhsa_system_sgpr_workgroup_info 0
		.amdhsa_system_vgpr_workitem_id 0
		.amdhsa_next_free_vgpr 1
		.amdhsa_next_free_sgpr 1
		.amdhsa_reserve_vcc 0
		.amdhsa_reserve_flat_scratch 0
		.amdhsa_float_round_mode_32 0
		.amdhsa_float_round_mode_16_64 0
		.amdhsa_float_denorm_mode_32 3
		.amdhsa_float_denorm_mode_16_64 3
		.amdhsa_dx10_clamp 1
		.amdhsa_ieee_mode 1
		.amdhsa_fp16_overflow 0
		.amdhsa_workgroup_processor_mode 1
		.amdhsa_memory_ordered 1
		.amdhsa_forward_progress 1
		.amdhsa_shared_vgpr_count 0
		.amdhsa_exception_fp_ieee_invalid_op 0
		.amdhsa_exception_fp_denorm_src 0
		.amdhsa_exception_fp_ieee_div_zero 0
		.amdhsa_exception_fp_ieee_overflow 0
		.amdhsa_exception_fp_ieee_underflow 0
		.amdhsa_exception_fp_ieee_inexact 0
		.amdhsa_exception_int_div_zero 0
	.end_amdhsa_kernel
	.section	.text._ZN7rocprim17ROCPRIM_400000_NS6detail17trampoline_kernelINS0_14default_configENS1_27scan_by_key_config_selectorIj11FixedVectorIiLj2EEEEZZNS1_16scan_by_key_implILNS1_25lookback_scan_determinismE0ELb0ES3_N6thrust23THRUST_200600_302600_NS6detail15normal_iteratorINSB_10device_ptrIjEEEENSD_INSE_IS6_EEEESI_S6_NSB_4plusIvEENSB_8equal_toIvEES6_EE10hipError_tPvRmT2_T3_T4_T5_mT6_T7_P12ihipStream_tbENKUlT_T0_E_clISt17integral_constantIbLb1EES12_IbLb0EEEEDaSY_SZ_EUlSY_E_NS1_11comp_targetILNS1_3genE10ELNS1_11target_archE1201ELNS1_3gpuE5ELNS1_3repE0EEENS1_30default_config_static_selectorELNS0_4arch9wavefront6targetE0EEEvT1_,"axG",@progbits,_ZN7rocprim17ROCPRIM_400000_NS6detail17trampoline_kernelINS0_14default_configENS1_27scan_by_key_config_selectorIj11FixedVectorIiLj2EEEEZZNS1_16scan_by_key_implILNS1_25lookback_scan_determinismE0ELb0ES3_N6thrust23THRUST_200600_302600_NS6detail15normal_iteratorINSB_10device_ptrIjEEEENSD_INSE_IS6_EEEESI_S6_NSB_4plusIvEENSB_8equal_toIvEES6_EE10hipError_tPvRmT2_T3_T4_T5_mT6_T7_P12ihipStream_tbENKUlT_T0_E_clISt17integral_constantIbLb1EES12_IbLb0EEEEDaSY_SZ_EUlSY_E_NS1_11comp_targetILNS1_3genE10ELNS1_11target_archE1201ELNS1_3gpuE5ELNS1_3repE0EEENS1_30default_config_static_selectorELNS0_4arch9wavefront6targetE0EEEvT1_,comdat
.Lfunc_end1974:
	.size	_ZN7rocprim17ROCPRIM_400000_NS6detail17trampoline_kernelINS0_14default_configENS1_27scan_by_key_config_selectorIj11FixedVectorIiLj2EEEEZZNS1_16scan_by_key_implILNS1_25lookback_scan_determinismE0ELb0ES3_N6thrust23THRUST_200600_302600_NS6detail15normal_iteratorINSB_10device_ptrIjEEEENSD_INSE_IS6_EEEESI_S6_NSB_4plusIvEENSB_8equal_toIvEES6_EE10hipError_tPvRmT2_T3_T4_T5_mT6_T7_P12ihipStream_tbENKUlT_T0_E_clISt17integral_constantIbLb1EES12_IbLb0EEEEDaSY_SZ_EUlSY_E_NS1_11comp_targetILNS1_3genE10ELNS1_11target_archE1201ELNS1_3gpuE5ELNS1_3repE0EEENS1_30default_config_static_selectorELNS0_4arch9wavefront6targetE0EEEvT1_, .Lfunc_end1974-_ZN7rocprim17ROCPRIM_400000_NS6detail17trampoline_kernelINS0_14default_configENS1_27scan_by_key_config_selectorIj11FixedVectorIiLj2EEEEZZNS1_16scan_by_key_implILNS1_25lookback_scan_determinismE0ELb0ES3_N6thrust23THRUST_200600_302600_NS6detail15normal_iteratorINSB_10device_ptrIjEEEENSD_INSE_IS6_EEEESI_S6_NSB_4plusIvEENSB_8equal_toIvEES6_EE10hipError_tPvRmT2_T3_T4_T5_mT6_T7_P12ihipStream_tbENKUlT_T0_E_clISt17integral_constantIbLb1EES12_IbLb0EEEEDaSY_SZ_EUlSY_E_NS1_11comp_targetILNS1_3genE10ELNS1_11target_archE1201ELNS1_3gpuE5ELNS1_3repE0EEENS1_30default_config_static_selectorELNS0_4arch9wavefront6targetE0EEEvT1_
                                        ; -- End function
	.set _ZN7rocprim17ROCPRIM_400000_NS6detail17trampoline_kernelINS0_14default_configENS1_27scan_by_key_config_selectorIj11FixedVectorIiLj2EEEEZZNS1_16scan_by_key_implILNS1_25lookback_scan_determinismE0ELb0ES3_N6thrust23THRUST_200600_302600_NS6detail15normal_iteratorINSB_10device_ptrIjEEEENSD_INSE_IS6_EEEESI_S6_NSB_4plusIvEENSB_8equal_toIvEES6_EE10hipError_tPvRmT2_T3_T4_T5_mT6_T7_P12ihipStream_tbENKUlT_T0_E_clISt17integral_constantIbLb1EES12_IbLb0EEEEDaSY_SZ_EUlSY_E_NS1_11comp_targetILNS1_3genE10ELNS1_11target_archE1201ELNS1_3gpuE5ELNS1_3repE0EEENS1_30default_config_static_selectorELNS0_4arch9wavefront6targetE0EEEvT1_.num_vgpr, 0
	.set _ZN7rocprim17ROCPRIM_400000_NS6detail17trampoline_kernelINS0_14default_configENS1_27scan_by_key_config_selectorIj11FixedVectorIiLj2EEEEZZNS1_16scan_by_key_implILNS1_25lookback_scan_determinismE0ELb0ES3_N6thrust23THRUST_200600_302600_NS6detail15normal_iteratorINSB_10device_ptrIjEEEENSD_INSE_IS6_EEEESI_S6_NSB_4plusIvEENSB_8equal_toIvEES6_EE10hipError_tPvRmT2_T3_T4_T5_mT6_T7_P12ihipStream_tbENKUlT_T0_E_clISt17integral_constantIbLb1EES12_IbLb0EEEEDaSY_SZ_EUlSY_E_NS1_11comp_targetILNS1_3genE10ELNS1_11target_archE1201ELNS1_3gpuE5ELNS1_3repE0EEENS1_30default_config_static_selectorELNS0_4arch9wavefront6targetE0EEEvT1_.num_agpr, 0
	.set _ZN7rocprim17ROCPRIM_400000_NS6detail17trampoline_kernelINS0_14default_configENS1_27scan_by_key_config_selectorIj11FixedVectorIiLj2EEEEZZNS1_16scan_by_key_implILNS1_25lookback_scan_determinismE0ELb0ES3_N6thrust23THRUST_200600_302600_NS6detail15normal_iteratorINSB_10device_ptrIjEEEENSD_INSE_IS6_EEEESI_S6_NSB_4plusIvEENSB_8equal_toIvEES6_EE10hipError_tPvRmT2_T3_T4_T5_mT6_T7_P12ihipStream_tbENKUlT_T0_E_clISt17integral_constantIbLb1EES12_IbLb0EEEEDaSY_SZ_EUlSY_E_NS1_11comp_targetILNS1_3genE10ELNS1_11target_archE1201ELNS1_3gpuE5ELNS1_3repE0EEENS1_30default_config_static_selectorELNS0_4arch9wavefront6targetE0EEEvT1_.numbered_sgpr, 0
	.set _ZN7rocprim17ROCPRIM_400000_NS6detail17trampoline_kernelINS0_14default_configENS1_27scan_by_key_config_selectorIj11FixedVectorIiLj2EEEEZZNS1_16scan_by_key_implILNS1_25lookback_scan_determinismE0ELb0ES3_N6thrust23THRUST_200600_302600_NS6detail15normal_iteratorINSB_10device_ptrIjEEEENSD_INSE_IS6_EEEESI_S6_NSB_4plusIvEENSB_8equal_toIvEES6_EE10hipError_tPvRmT2_T3_T4_T5_mT6_T7_P12ihipStream_tbENKUlT_T0_E_clISt17integral_constantIbLb1EES12_IbLb0EEEEDaSY_SZ_EUlSY_E_NS1_11comp_targetILNS1_3genE10ELNS1_11target_archE1201ELNS1_3gpuE5ELNS1_3repE0EEENS1_30default_config_static_selectorELNS0_4arch9wavefront6targetE0EEEvT1_.num_named_barrier, 0
	.set _ZN7rocprim17ROCPRIM_400000_NS6detail17trampoline_kernelINS0_14default_configENS1_27scan_by_key_config_selectorIj11FixedVectorIiLj2EEEEZZNS1_16scan_by_key_implILNS1_25lookback_scan_determinismE0ELb0ES3_N6thrust23THRUST_200600_302600_NS6detail15normal_iteratorINSB_10device_ptrIjEEEENSD_INSE_IS6_EEEESI_S6_NSB_4plusIvEENSB_8equal_toIvEES6_EE10hipError_tPvRmT2_T3_T4_T5_mT6_T7_P12ihipStream_tbENKUlT_T0_E_clISt17integral_constantIbLb1EES12_IbLb0EEEEDaSY_SZ_EUlSY_E_NS1_11comp_targetILNS1_3genE10ELNS1_11target_archE1201ELNS1_3gpuE5ELNS1_3repE0EEENS1_30default_config_static_selectorELNS0_4arch9wavefront6targetE0EEEvT1_.private_seg_size, 0
	.set _ZN7rocprim17ROCPRIM_400000_NS6detail17trampoline_kernelINS0_14default_configENS1_27scan_by_key_config_selectorIj11FixedVectorIiLj2EEEEZZNS1_16scan_by_key_implILNS1_25lookback_scan_determinismE0ELb0ES3_N6thrust23THRUST_200600_302600_NS6detail15normal_iteratorINSB_10device_ptrIjEEEENSD_INSE_IS6_EEEESI_S6_NSB_4plusIvEENSB_8equal_toIvEES6_EE10hipError_tPvRmT2_T3_T4_T5_mT6_T7_P12ihipStream_tbENKUlT_T0_E_clISt17integral_constantIbLb1EES12_IbLb0EEEEDaSY_SZ_EUlSY_E_NS1_11comp_targetILNS1_3genE10ELNS1_11target_archE1201ELNS1_3gpuE5ELNS1_3repE0EEENS1_30default_config_static_selectorELNS0_4arch9wavefront6targetE0EEEvT1_.uses_vcc, 0
	.set _ZN7rocprim17ROCPRIM_400000_NS6detail17trampoline_kernelINS0_14default_configENS1_27scan_by_key_config_selectorIj11FixedVectorIiLj2EEEEZZNS1_16scan_by_key_implILNS1_25lookback_scan_determinismE0ELb0ES3_N6thrust23THRUST_200600_302600_NS6detail15normal_iteratorINSB_10device_ptrIjEEEENSD_INSE_IS6_EEEESI_S6_NSB_4plusIvEENSB_8equal_toIvEES6_EE10hipError_tPvRmT2_T3_T4_T5_mT6_T7_P12ihipStream_tbENKUlT_T0_E_clISt17integral_constantIbLb1EES12_IbLb0EEEEDaSY_SZ_EUlSY_E_NS1_11comp_targetILNS1_3genE10ELNS1_11target_archE1201ELNS1_3gpuE5ELNS1_3repE0EEENS1_30default_config_static_selectorELNS0_4arch9wavefront6targetE0EEEvT1_.uses_flat_scratch, 0
	.set _ZN7rocprim17ROCPRIM_400000_NS6detail17trampoline_kernelINS0_14default_configENS1_27scan_by_key_config_selectorIj11FixedVectorIiLj2EEEEZZNS1_16scan_by_key_implILNS1_25lookback_scan_determinismE0ELb0ES3_N6thrust23THRUST_200600_302600_NS6detail15normal_iteratorINSB_10device_ptrIjEEEENSD_INSE_IS6_EEEESI_S6_NSB_4plusIvEENSB_8equal_toIvEES6_EE10hipError_tPvRmT2_T3_T4_T5_mT6_T7_P12ihipStream_tbENKUlT_T0_E_clISt17integral_constantIbLb1EES12_IbLb0EEEEDaSY_SZ_EUlSY_E_NS1_11comp_targetILNS1_3genE10ELNS1_11target_archE1201ELNS1_3gpuE5ELNS1_3repE0EEENS1_30default_config_static_selectorELNS0_4arch9wavefront6targetE0EEEvT1_.has_dyn_sized_stack, 0
	.set _ZN7rocprim17ROCPRIM_400000_NS6detail17trampoline_kernelINS0_14default_configENS1_27scan_by_key_config_selectorIj11FixedVectorIiLj2EEEEZZNS1_16scan_by_key_implILNS1_25lookback_scan_determinismE0ELb0ES3_N6thrust23THRUST_200600_302600_NS6detail15normal_iteratorINSB_10device_ptrIjEEEENSD_INSE_IS6_EEEESI_S6_NSB_4plusIvEENSB_8equal_toIvEES6_EE10hipError_tPvRmT2_T3_T4_T5_mT6_T7_P12ihipStream_tbENKUlT_T0_E_clISt17integral_constantIbLb1EES12_IbLb0EEEEDaSY_SZ_EUlSY_E_NS1_11comp_targetILNS1_3genE10ELNS1_11target_archE1201ELNS1_3gpuE5ELNS1_3repE0EEENS1_30default_config_static_selectorELNS0_4arch9wavefront6targetE0EEEvT1_.has_recursion, 0
	.set _ZN7rocprim17ROCPRIM_400000_NS6detail17trampoline_kernelINS0_14default_configENS1_27scan_by_key_config_selectorIj11FixedVectorIiLj2EEEEZZNS1_16scan_by_key_implILNS1_25lookback_scan_determinismE0ELb0ES3_N6thrust23THRUST_200600_302600_NS6detail15normal_iteratorINSB_10device_ptrIjEEEENSD_INSE_IS6_EEEESI_S6_NSB_4plusIvEENSB_8equal_toIvEES6_EE10hipError_tPvRmT2_T3_T4_T5_mT6_T7_P12ihipStream_tbENKUlT_T0_E_clISt17integral_constantIbLb1EES12_IbLb0EEEEDaSY_SZ_EUlSY_E_NS1_11comp_targetILNS1_3genE10ELNS1_11target_archE1201ELNS1_3gpuE5ELNS1_3repE0EEENS1_30default_config_static_selectorELNS0_4arch9wavefront6targetE0EEEvT1_.has_indirect_call, 0
	.section	.AMDGPU.csdata,"",@progbits
; Kernel info:
; codeLenInByte = 0
; TotalNumSgprs: 0
; NumVgprs: 0
; ScratchSize: 0
; MemoryBound: 0
; FloatMode: 240
; IeeeMode: 1
; LDSByteSize: 0 bytes/workgroup (compile time only)
; SGPRBlocks: 0
; VGPRBlocks: 0
; NumSGPRsForWavesPerEU: 1
; NumVGPRsForWavesPerEU: 1
; Occupancy: 16
; WaveLimiterHint : 0
; COMPUTE_PGM_RSRC2:SCRATCH_EN: 0
; COMPUTE_PGM_RSRC2:USER_SGPR: 6
; COMPUTE_PGM_RSRC2:TRAP_HANDLER: 0
; COMPUTE_PGM_RSRC2:TGID_X_EN: 1
; COMPUTE_PGM_RSRC2:TGID_Y_EN: 0
; COMPUTE_PGM_RSRC2:TGID_Z_EN: 0
; COMPUTE_PGM_RSRC2:TIDIG_COMP_CNT: 0
	.section	.text._ZN7rocprim17ROCPRIM_400000_NS6detail17trampoline_kernelINS0_14default_configENS1_27scan_by_key_config_selectorIj11FixedVectorIiLj2EEEEZZNS1_16scan_by_key_implILNS1_25lookback_scan_determinismE0ELb0ES3_N6thrust23THRUST_200600_302600_NS6detail15normal_iteratorINSB_10device_ptrIjEEEENSD_INSE_IS6_EEEESI_S6_NSB_4plusIvEENSB_8equal_toIvEES6_EE10hipError_tPvRmT2_T3_T4_T5_mT6_T7_P12ihipStream_tbENKUlT_T0_E_clISt17integral_constantIbLb1EES12_IbLb0EEEEDaSY_SZ_EUlSY_E_NS1_11comp_targetILNS1_3genE5ELNS1_11target_archE942ELNS1_3gpuE9ELNS1_3repE0EEENS1_30default_config_static_selectorELNS0_4arch9wavefront6targetE0EEEvT1_,"axG",@progbits,_ZN7rocprim17ROCPRIM_400000_NS6detail17trampoline_kernelINS0_14default_configENS1_27scan_by_key_config_selectorIj11FixedVectorIiLj2EEEEZZNS1_16scan_by_key_implILNS1_25lookback_scan_determinismE0ELb0ES3_N6thrust23THRUST_200600_302600_NS6detail15normal_iteratorINSB_10device_ptrIjEEEENSD_INSE_IS6_EEEESI_S6_NSB_4plusIvEENSB_8equal_toIvEES6_EE10hipError_tPvRmT2_T3_T4_T5_mT6_T7_P12ihipStream_tbENKUlT_T0_E_clISt17integral_constantIbLb1EES12_IbLb0EEEEDaSY_SZ_EUlSY_E_NS1_11comp_targetILNS1_3genE5ELNS1_11target_archE942ELNS1_3gpuE9ELNS1_3repE0EEENS1_30default_config_static_selectorELNS0_4arch9wavefront6targetE0EEEvT1_,comdat
	.protected	_ZN7rocprim17ROCPRIM_400000_NS6detail17trampoline_kernelINS0_14default_configENS1_27scan_by_key_config_selectorIj11FixedVectorIiLj2EEEEZZNS1_16scan_by_key_implILNS1_25lookback_scan_determinismE0ELb0ES3_N6thrust23THRUST_200600_302600_NS6detail15normal_iteratorINSB_10device_ptrIjEEEENSD_INSE_IS6_EEEESI_S6_NSB_4plusIvEENSB_8equal_toIvEES6_EE10hipError_tPvRmT2_T3_T4_T5_mT6_T7_P12ihipStream_tbENKUlT_T0_E_clISt17integral_constantIbLb1EES12_IbLb0EEEEDaSY_SZ_EUlSY_E_NS1_11comp_targetILNS1_3genE5ELNS1_11target_archE942ELNS1_3gpuE9ELNS1_3repE0EEENS1_30default_config_static_selectorELNS0_4arch9wavefront6targetE0EEEvT1_ ; -- Begin function _ZN7rocprim17ROCPRIM_400000_NS6detail17trampoline_kernelINS0_14default_configENS1_27scan_by_key_config_selectorIj11FixedVectorIiLj2EEEEZZNS1_16scan_by_key_implILNS1_25lookback_scan_determinismE0ELb0ES3_N6thrust23THRUST_200600_302600_NS6detail15normal_iteratorINSB_10device_ptrIjEEEENSD_INSE_IS6_EEEESI_S6_NSB_4plusIvEENSB_8equal_toIvEES6_EE10hipError_tPvRmT2_T3_T4_T5_mT6_T7_P12ihipStream_tbENKUlT_T0_E_clISt17integral_constantIbLb1EES12_IbLb0EEEEDaSY_SZ_EUlSY_E_NS1_11comp_targetILNS1_3genE5ELNS1_11target_archE942ELNS1_3gpuE9ELNS1_3repE0EEENS1_30default_config_static_selectorELNS0_4arch9wavefront6targetE0EEEvT1_
	.globl	_ZN7rocprim17ROCPRIM_400000_NS6detail17trampoline_kernelINS0_14default_configENS1_27scan_by_key_config_selectorIj11FixedVectorIiLj2EEEEZZNS1_16scan_by_key_implILNS1_25lookback_scan_determinismE0ELb0ES3_N6thrust23THRUST_200600_302600_NS6detail15normal_iteratorINSB_10device_ptrIjEEEENSD_INSE_IS6_EEEESI_S6_NSB_4plusIvEENSB_8equal_toIvEES6_EE10hipError_tPvRmT2_T3_T4_T5_mT6_T7_P12ihipStream_tbENKUlT_T0_E_clISt17integral_constantIbLb1EES12_IbLb0EEEEDaSY_SZ_EUlSY_E_NS1_11comp_targetILNS1_3genE5ELNS1_11target_archE942ELNS1_3gpuE9ELNS1_3repE0EEENS1_30default_config_static_selectorELNS0_4arch9wavefront6targetE0EEEvT1_
	.p2align	8
	.type	_ZN7rocprim17ROCPRIM_400000_NS6detail17trampoline_kernelINS0_14default_configENS1_27scan_by_key_config_selectorIj11FixedVectorIiLj2EEEEZZNS1_16scan_by_key_implILNS1_25lookback_scan_determinismE0ELb0ES3_N6thrust23THRUST_200600_302600_NS6detail15normal_iteratorINSB_10device_ptrIjEEEENSD_INSE_IS6_EEEESI_S6_NSB_4plusIvEENSB_8equal_toIvEES6_EE10hipError_tPvRmT2_T3_T4_T5_mT6_T7_P12ihipStream_tbENKUlT_T0_E_clISt17integral_constantIbLb1EES12_IbLb0EEEEDaSY_SZ_EUlSY_E_NS1_11comp_targetILNS1_3genE5ELNS1_11target_archE942ELNS1_3gpuE9ELNS1_3repE0EEENS1_30default_config_static_selectorELNS0_4arch9wavefront6targetE0EEEvT1_,@function
_ZN7rocprim17ROCPRIM_400000_NS6detail17trampoline_kernelINS0_14default_configENS1_27scan_by_key_config_selectorIj11FixedVectorIiLj2EEEEZZNS1_16scan_by_key_implILNS1_25lookback_scan_determinismE0ELb0ES3_N6thrust23THRUST_200600_302600_NS6detail15normal_iteratorINSB_10device_ptrIjEEEENSD_INSE_IS6_EEEESI_S6_NSB_4plusIvEENSB_8equal_toIvEES6_EE10hipError_tPvRmT2_T3_T4_T5_mT6_T7_P12ihipStream_tbENKUlT_T0_E_clISt17integral_constantIbLb1EES12_IbLb0EEEEDaSY_SZ_EUlSY_E_NS1_11comp_targetILNS1_3genE5ELNS1_11target_archE942ELNS1_3gpuE9ELNS1_3repE0EEENS1_30default_config_static_selectorELNS0_4arch9wavefront6targetE0EEEvT1_: ; @_ZN7rocprim17ROCPRIM_400000_NS6detail17trampoline_kernelINS0_14default_configENS1_27scan_by_key_config_selectorIj11FixedVectorIiLj2EEEEZZNS1_16scan_by_key_implILNS1_25lookback_scan_determinismE0ELb0ES3_N6thrust23THRUST_200600_302600_NS6detail15normal_iteratorINSB_10device_ptrIjEEEENSD_INSE_IS6_EEEESI_S6_NSB_4plusIvEENSB_8equal_toIvEES6_EE10hipError_tPvRmT2_T3_T4_T5_mT6_T7_P12ihipStream_tbENKUlT_T0_E_clISt17integral_constantIbLb1EES12_IbLb0EEEEDaSY_SZ_EUlSY_E_NS1_11comp_targetILNS1_3genE5ELNS1_11target_archE942ELNS1_3gpuE9ELNS1_3repE0EEENS1_30default_config_static_selectorELNS0_4arch9wavefront6targetE0EEEvT1_
; %bb.0:
	.section	.rodata,"a",@progbits
	.p2align	6, 0x0
	.amdhsa_kernel _ZN7rocprim17ROCPRIM_400000_NS6detail17trampoline_kernelINS0_14default_configENS1_27scan_by_key_config_selectorIj11FixedVectorIiLj2EEEEZZNS1_16scan_by_key_implILNS1_25lookback_scan_determinismE0ELb0ES3_N6thrust23THRUST_200600_302600_NS6detail15normal_iteratorINSB_10device_ptrIjEEEENSD_INSE_IS6_EEEESI_S6_NSB_4plusIvEENSB_8equal_toIvEES6_EE10hipError_tPvRmT2_T3_T4_T5_mT6_T7_P12ihipStream_tbENKUlT_T0_E_clISt17integral_constantIbLb1EES12_IbLb0EEEEDaSY_SZ_EUlSY_E_NS1_11comp_targetILNS1_3genE5ELNS1_11target_archE942ELNS1_3gpuE9ELNS1_3repE0EEENS1_30default_config_static_selectorELNS0_4arch9wavefront6targetE0EEEvT1_
		.amdhsa_group_segment_fixed_size 0
		.amdhsa_private_segment_fixed_size 0
		.amdhsa_kernarg_size 120
		.amdhsa_user_sgpr_count 6
		.amdhsa_user_sgpr_private_segment_buffer 1
		.amdhsa_user_sgpr_dispatch_ptr 0
		.amdhsa_user_sgpr_queue_ptr 0
		.amdhsa_user_sgpr_kernarg_segment_ptr 1
		.amdhsa_user_sgpr_dispatch_id 0
		.amdhsa_user_sgpr_flat_scratch_init 0
		.amdhsa_user_sgpr_private_segment_size 0
		.amdhsa_wavefront_size32 1
		.amdhsa_uses_dynamic_stack 0
		.amdhsa_system_sgpr_private_segment_wavefront_offset 0
		.amdhsa_system_sgpr_workgroup_id_x 1
		.amdhsa_system_sgpr_workgroup_id_y 0
		.amdhsa_system_sgpr_workgroup_id_z 0
		.amdhsa_system_sgpr_workgroup_info 0
		.amdhsa_system_vgpr_workitem_id 0
		.amdhsa_next_free_vgpr 1
		.amdhsa_next_free_sgpr 1
		.amdhsa_reserve_vcc 0
		.amdhsa_reserve_flat_scratch 0
		.amdhsa_float_round_mode_32 0
		.amdhsa_float_round_mode_16_64 0
		.amdhsa_float_denorm_mode_32 3
		.amdhsa_float_denorm_mode_16_64 3
		.amdhsa_dx10_clamp 1
		.amdhsa_ieee_mode 1
		.amdhsa_fp16_overflow 0
		.amdhsa_workgroup_processor_mode 1
		.amdhsa_memory_ordered 1
		.amdhsa_forward_progress 1
		.amdhsa_shared_vgpr_count 0
		.amdhsa_exception_fp_ieee_invalid_op 0
		.amdhsa_exception_fp_denorm_src 0
		.amdhsa_exception_fp_ieee_div_zero 0
		.amdhsa_exception_fp_ieee_overflow 0
		.amdhsa_exception_fp_ieee_underflow 0
		.amdhsa_exception_fp_ieee_inexact 0
		.amdhsa_exception_int_div_zero 0
	.end_amdhsa_kernel
	.section	.text._ZN7rocprim17ROCPRIM_400000_NS6detail17trampoline_kernelINS0_14default_configENS1_27scan_by_key_config_selectorIj11FixedVectorIiLj2EEEEZZNS1_16scan_by_key_implILNS1_25lookback_scan_determinismE0ELb0ES3_N6thrust23THRUST_200600_302600_NS6detail15normal_iteratorINSB_10device_ptrIjEEEENSD_INSE_IS6_EEEESI_S6_NSB_4plusIvEENSB_8equal_toIvEES6_EE10hipError_tPvRmT2_T3_T4_T5_mT6_T7_P12ihipStream_tbENKUlT_T0_E_clISt17integral_constantIbLb1EES12_IbLb0EEEEDaSY_SZ_EUlSY_E_NS1_11comp_targetILNS1_3genE5ELNS1_11target_archE942ELNS1_3gpuE9ELNS1_3repE0EEENS1_30default_config_static_selectorELNS0_4arch9wavefront6targetE0EEEvT1_,"axG",@progbits,_ZN7rocprim17ROCPRIM_400000_NS6detail17trampoline_kernelINS0_14default_configENS1_27scan_by_key_config_selectorIj11FixedVectorIiLj2EEEEZZNS1_16scan_by_key_implILNS1_25lookback_scan_determinismE0ELb0ES3_N6thrust23THRUST_200600_302600_NS6detail15normal_iteratorINSB_10device_ptrIjEEEENSD_INSE_IS6_EEEESI_S6_NSB_4plusIvEENSB_8equal_toIvEES6_EE10hipError_tPvRmT2_T3_T4_T5_mT6_T7_P12ihipStream_tbENKUlT_T0_E_clISt17integral_constantIbLb1EES12_IbLb0EEEEDaSY_SZ_EUlSY_E_NS1_11comp_targetILNS1_3genE5ELNS1_11target_archE942ELNS1_3gpuE9ELNS1_3repE0EEENS1_30default_config_static_selectorELNS0_4arch9wavefront6targetE0EEEvT1_,comdat
.Lfunc_end1975:
	.size	_ZN7rocprim17ROCPRIM_400000_NS6detail17trampoline_kernelINS0_14default_configENS1_27scan_by_key_config_selectorIj11FixedVectorIiLj2EEEEZZNS1_16scan_by_key_implILNS1_25lookback_scan_determinismE0ELb0ES3_N6thrust23THRUST_200600_302600_NS6detail15normal_iteratorINSB_10device_ptrIjEEEENSD_INSE_IS6_EEEESI_S6_NSB_4plusIvEENSB_8equal_toIvEES6_EE10hipError_tPvRmT2_T3_T4_T5_mT6_T7_P12ihipStream_tbENKUlT_T0_E_clISt17integral_constantIbLb1EES12_IbLb0EEEEDaSY_SZ_EUlSY_E_NS1_11comp_targetILNS1_3genE5ELNS1_11target_archE942ELNS1_3gpuE9ELNS1_3repE0EEENS1_30default_config_static_selectorELNS0_4arch9wavefront6targetE0EEEvT1_, .Lfunc_end1975-_ZN7rocprim17ROCPRIM_400000_NS6detail17trampoline_kernelINS0_14default_configENS1_27scan_by_key_config_selectorIj11FixedVectorIiLj2EEEEZZNS1_16scan_by_key_implILNS1_25lookback_scan_determinismE0ELb0ES3_N6thrust23THRUST_200600_302600_NS6detail15normal_iteratorINSB_10device_ptrIjEEEENSD_INSE_IS6_EEEESI_S6_NSB_4plusIvEENSB_8equal_toIvEES6_EE10hipError_tPvRmT2_T3_T4_T5_mT6_T7_P12ihipStream_tbENKUlT_T0_E_clISt17integral_constantIbLb1EES12_IbLb0EEEEDaSY_SZ_EUlSY_E_NS1_11comp_targetILNS1_3genE5ELNS1_11target_archE942ELNS1_3gpuE9ELNS1_3repE0EEENS1_30default_config_static_selectorELNS0_4arch9wavefront6targetE0EEEvT1_
                                        ; -- End function
	.set _ZN7rocprim17ROCPRIM_400000_NS6detail17trampoline_kernelINS0_14default_configENS1_27scan_by_key_config_selectorIj11FixedVectorIiLj2EEEEZZNS1_16scan_by_key_implILNS1_25lookback_scan_determinismE0ELb0ES3_N6thrust23THRUST_200600_302600_NS6detail15normal_iteratorINSB_10device_ptrIjEEEENSD_INSE_IS6_EEEESI_S6_NSB_4plusIvEENSB_8equal_toIvEES6_EE10hipError_tPvRmT2_T3_T4_T5_mT6_T7_P12ihipStream_tbENKUlT_T0_E_clISt17integral_constantIbLb1EES12_IbLb0EEEEDaSY_SZ_EUlSY_E_NS1_11comp_targetILNS1_3genE5ELNS1_11target_archE942ELNS1_3gpuE9ELNS1_3repE0EEENS1_30default_config_static_selectorELNS0_4arch9wavefront6targetE0EEEvT1_.num_vgpr, 0
	.set _ZN7rocprim17ROCPRIM_400000_NS6detail17trampoline_kernelINS0_14default_configENS1_27scan_by_key_config_selectorIj11FixedVectorIiLj2EEEEZZNS1_16scan_by_key_implILNS1_25lookback_scan_determinismE0ELb0ES3_N6thrust23THRUST_200600_302600_NS6detail15normal_iteratorINSB_10device_ptrIjEEEENSD_INSE_IS6_EEEESI_S6_NSB_4plusIvEENSB_8equal_toIvEES6_EE10hipError_tPvRmT2_T3_T4_T5_mT6_T7_P12ihipStream_tbENKUlT_T0_E_clISt17integral_constantIbLb1EES12_IbLb0EEEEDaSY_SZ_EUlSY_E_NS1_11comp_targetILNS1_3genE5ELNS1_11target_archE942ELNS1_3gpuE9ELNS1_3repE0EEENS1_30default_config_static_selectorELNS0_4arch9wavefront6targetE0EEEvT1_.num_agpr, 0
	.set _ZN7rocprim17ROCPRIM_400000_NS6detail17trampoline_kernelINS0_14default_configENS1_27scan_by_key_config_selectorIj11FixedVectorIiLj2EEEEZZNS1_16scan_by_key_implILNS1_25lookback_scan_determinismE0ELb0ES3_N6thrust23THRUST_200600_302600_NS6detail15normal_iteratorINSB_10device_ptrIjEEEENSD_INSE_IS6_EEEESI_S6_NSB_4plusIvEENSB_8equal_toIvEES6_EE10hipError_tPvRmT2_T3_T4_T5_mT6_T7_P12ihipStream_tbENKUlT_T0_E_clISt17integral_constantIbLb1EES12_IbLb0EEEEDaSY_SZ_EUlSY_E_NS1_11comp_targetILNS1_3genE5ELNS1_11target_archE942ELNS1_3gpuE9ELNS1_3repE0EEENS1_30default_config_static_selectorELNS0_4arch9wavefront6targetE0EEEvT1_.numbered_sgpr, 0
	.set _ZN7rocprim17ROCPRIM_400000_NS6detail17trampoline_kernelINS0_14default_configENS1_27scan_by_key_config_selectorIj11FixedVectorIiLj2EEEEZZNS1_16scan_by_key_implILNS1_25lookback_scan_determinismE0ELb0ES3_N6thrust23THRUST_200600_302600_NS6detail15normal_iteratorINSB_10device_ptrIjEEEENSD_INSE_IS6_EEEESI_S6_NSB_4plusIvEENSB_8equal_toIvEES6_EE10hipError_tPvRmT2_T3_T4_T5_mT6_T7_P12ihipStream_tbENKUlT_T0_E_clISt17integral_constantIbLb1EES12_IbLb0EEEEDaSY_SZ_EUlSY_E_NS1_11comp_targetILNS1_3genE5ELNS1_11target_archE942ELNS1_3gpuE9ELNS1_3repE0EEENS1_30default_config_static_selectorELNS0_4arch9wavefront6targetE0EEEvT1_.num_named_barrier, 0
	.set _ZN7rocprim17ROCPRIM_400000_NS6detail17trampoline_kernelINS0_14default_configENS1_27scan_by_key_config_selectorIj11FixedVectorIiLj2EEEEZZNS1_16scan_by_key_implILNS1_25lookback_scan_determinismE0ELb0ES3_N6thrust23THRUST_200600_302600_NS6detail15normal_iteratorINSB_10device_ptrIjEEEENSD_INSE_IS6_EEEESI_S6_NSB_4plusIvEENSB_8equal_toIvEES6_EE10hipError_tPvRmT2_T3_T4_T5_mT6_T7_P12ihipStream_tbENKUlT_T0_E_clISt17integral_constantIbLb1EES12_IbLb0EEEEDaSY_SZ_EUlSY_E_NS1_11comp_targetILNS1_3genE5ELNS1_11target_archE942ELNS1_3gpuE9ELNS1_3repE0EEENS1_30default_config_static_selectorELNS0_4arch9wavefront6targetE0EEEvT1_.private_seg_size, 0
	.set _ZN7rocprim17ROCPRIM_400000_NS6detail17trampoline_kernelINS0_14default_configENS1_27scan_by_key_config_selectorIj11FixedVectorIiLj2EEEEZZNS1_16scan_by_key_implILNS1_25lookback_scan_determinismE0ELb0ES3_N6thrust23THRUST_200600_302600_NS6detail15normal_iteratorINSB_10device_ptrIjEEEENSD_INSE_IS6_EEEESI_S6_NSB_4plusIvEENSB_8equal_toIvEES6_EE10hipError_tPvRmT2_T3_T4_T5_mT6_T7_P12ihipStream_tbENKUlT_T0_E_clISt17integral_constantIbLb1EES12_IbLb0EEEEDaSY_SZ_EUlSY_E_NS1_11comp_targetILNS1_3genE5ELNS1_11target_archE942ELNS1_3gpuE9ELNS1_3repE0EEENS1_30default_config_static_selectorELNS0_4arch9wavefront6targetE0EEEvT1_.uses_vcc, 0
	.set _ZN7rocprim17ROCPRIM_400000_NS6detail17trampoline_kernelINS0_14default_configENS1_27scan_by_key_config_selectorIj11FixedVectorIiLj2EEEEZZNS1_16scan_by_key_implILNS1_25lookback_scan_determinismE0ELb0ES3_N6thrust23THRUST_200600_302600_NS6detail15normal_iteratorINSB_10device_ptrIjEEEENSD_INSE_IS6_EEEESI_S6_NSB_4plusIvEENSB_8equal_toIvEES6_EE10hipError_tPvRmT2_T3_T4_T5_mT6_T7_P12ihipStream_tbENKUlT_T0_E_clISt17integral_constantIbLb1EES12_IbLb0EEEEDaSY_SZ_EUlSY_E_NS1_11comp_targetILNS1_3genE5ELNS1_11target_archE942ELNS1_3gpuE9ELNS1_3repE0EEENS1_30default_config_static_selectorELNS0_4arch9wavefront6targetE0EEEvT1_.uses_flat_scratch, 0
	.set _ZN7rocprim17ROCPRIM_400000_NS6detail17trampoline_kernelINS0_14default_configENS1_27scan_by_key_config_selectorIj11FixedVectorIiLj2EEEEZZNS1_16scan_by_key_implILNS1_25lookback_scan_determinismE0ELb0ES3_N6thrust23THRUST_200600_302600_NS6detail15normal_iteratorINSB_10device_ptrIjEEEENSD_INSE_IS6_EEEESI_S6_NSB_4plusIvEENSB_8equal_toIvEES6_EE10hipError_tPvRmT2_T3_T4_T5_mT6_T7_P12ihipStream_tbENKUlT_T0_E_clISt17integral_constantIbLb1EES12_IbLb0EEEEDaSY_SZ_EUlSY_E_NS1_11comp_targetILNS1_3genE5ELNS1_11target_archE942ELNS1_3gpuE9ELNS1_3repE0EEENS1_30default_config_static_selectorELNS0_4arch9wavefront6targetE0EEEvT1_.has_dyn_sized_stack, 0
	.set _ZN7rocprim17ROCPRIM_400000_NS6detail17trampoline_kernelINS0_14default_configENS1_27scan_by_key_config_selectorIj11FixedVectorIiLj2EEEEZZNS1_16scan_by_key_implILNS1_25lookback_scan_determinismE0ELb0ES3_N6thrust23THRUST_200600_302600_NS6detail15normal_iteratorINSB_10device_ptrIjEEEENSD_INSE_IS6_EEEESI_S6_NSB_4plusIvEENSB_8equal_toIvEES6_EE10hipError_tPvRmT2_T3_T4_T5_mT6_T7_P12ihipStream_tbENKUlT_T0_E_clISt17integral_constantIbLb1EES12_IbLb0EEEEDaSY_SZ_EUlSY_E_NS1_11comp_targetILNS1_3genE5ELNS1_11target_archE942ELNS1_3gpuE9ELNS1_3repE0EEENS1_30default_config_static_selectorELNS0_4arch9wavefront6targetE0EEEvT1_.has_recursion, 0
	.set _ZN7rocprim17ROCPRIM_400000_NS6detail17trampoline_kernelINS0_14default_configENS1_27scan_by_key_config_selectorIj11FixedVectorIiLj2EEEEZZNS1_16scan_by_key_implILNS1_25lookback_scan_determinismE0ELb0ES3_N6thrust23THRUST_200600_302600_NS6detail15normal_iteratorINSB_10device_ptrIjEEEENSD_INSE_IS6_EEEESI_S6_NSB_4plusIvEENSB_8equal_toIvEES6_EE10hipError_tPvRmT2_T3_T4_T5_mT6_T7_P12ihipStream_tbENKUlT_T0_E_clISt17integral_constantIbLb1EES12_IbLb0EEEEDaSY_SZ_EUlSY_E_NS1_11comp_targetILNS1_3genE5ELNS1_11target_archE942ELNS1_3gpuE9ELNS1_3repE0EEENS1_30default_config_static_selectorELNS0_4arch9wavefront6targetE0EEEvT1_.has_indirect_call, 0
	.section	.AMDGPU.csdata,"",@progbits
; Kernel info:
; codeLenInByte = 0
; TotalNumSgprs: 0
; NumVgprs: 0
; ScratchSize: 0
; MemoryBound: 0
; FloatMode: 240
; IeeeMode: 1
; LDSByteSize: 0 bytes/workgroup (compile time only)
; SGPRBlocks: 0
; VGPRBlocks: 0
; NumSGPRsForWavesPerEU: 1
; NumVGPRsForWavesPerEU: 1
; Occupancy: 16
; WaveLimiterHint : 0
; COMPUTE_PGM_RSRC2:SCRATCH_EN: 0
; COMPUTE_PGM_RSRC2:USER_SGPR: 6
; COMPUTE_PGM_RSRC2:TRAP_HANDLER: 0
; COMPUTE_PGM_RSRC2:TGID_X_EN: 1
; COMPUTE_PGM_RSRC2:TGID_Y_EN: 0
; COMPUTE_PGM_RSRC2:TGID_Z_EN: 0
; COMPUTE_PGM_RSRC2:TIDIG_COMP_CNT: 0
	.section	.text._ZN7rocprim17ROCPRIM_400000_NS6detail17trampoline_kernelINS0_14default_configENS1_27scan_by_key_config_selectorIj11FixedVectorIiLj2EEEEZZNS1_16scan_by_key_implILNS1_25lookback_scan_determinismE0ELb0ES3_N6thrust23THRUST_200600_302600_NS6detail15normal_iteratorINSB_10device_ptrIjEEEENSD_INSE_IS6_EEEESI_S6_NSB_4plusIvEENSB_8equal_toIvEES6_EE10hipError_tPvRmT2_T3_T4_T5_mT6_T7_P12ihipStream_tbENKUlT_T0_E_clISt17integral_constantIbLb1EES12_IbLb0EEEEDaSY_SZ_EUlSY_E_NS1_11comp_targetILNS1_3genE4ELNS1_11target_archE910ELNS1_3gpuE8ELNS1_3repE0EEENS1_30default_config_static_selectorELNS0_4arch9wavefront6targetE0EEEvT1_,"axG",@progbits,_ZN7rocprim17ROCPRIM_400000_NS6detail17trampoline_kernelINS0_14default_configENS1_27scan_by_key_config_selectorIj11FixedVectorIiLj2EEEEZZNS1_16scan_by_key_implILNS1_25lookback_scan_determinismE0ELb0ES3_N6thrust23THRUST_200600_302600_NS6detail15normal_iteratorINSB_10device_ptrIjEEEENSD_INSE_IS6_EEEESI_S6_NSB_4plusIvEENSB_8equal_toIvEES6_EE10hipError_tPvRmT2_T3_T4_T5_mT6_T7_P12ihipStream_tbENKUlT_T0_E_clISt17integral_constantIbLb1EES12_IbLb0EEEEDaSY_SZ_EUlSY_E_NS1_11comp_targetILNS1_3genE4ELNS1_11target_archE910ELNS1_3gpuE8ELNS1_3repE0EEENS1_30default_config_static_selectorELNS0_4arch9wavefront6targetE0EEEvT1_,comdat
	.protected	_ZN7rocprim17ROCPRIM_400000_NS6detail17trampoline_kernelINS0_14default_configENS1_27scan_by_key_config_selectorIj11FixedVectorIiLj2EEEEZZNS1_16scan_by_key_implILNS1_25lookback_scan_determinismE0ELb0ES3_N6thrust23THRUST_200600_302600_NS6detail15normal_iteratorINSB_10device_ptrIjEEEENSD_INSE_IS6_EEEESI_S6_NSB_4plusIvEENSB_8equal_toIvEES6_EE10hipError_tPvRmT2_T3_T4_T5_mT6_T7_P12ihipStream_tbENKUlT_T0_E_clISt17integral_constantIbLb1EES12_IbLb0EEEEDaSY_SZ_EUlSY_E_NS1_11comp_targetILNS1_3genE4ELNS1_11target_archE910ELNS1_3gpuE8ELNS1_3repE0EEENS1_30default_config_static_selectorELNS0_4arch9wavefront6targetE0EEEvT1_ ; -- Begin function _ZN7rocprim17ROCPRIM_400000_NS6detail17trampoline_kernelINS0_14default_configENS1_27scan_by_key_config_selectorIj11FixedVectorIiLj2EEEEZZNS1_16scan_by_key_implILNS1_25lookback_scan_determinismE0ELb0ES3_N6thrust23THRUST_200600_302600_NS6detail15normal_iteratorINSB_10device_ptrIjEEEENSD_INSE_IS6_EEEESI_S6_NSB_4plusIvEENSB_8equal_toIvEES6_EE10hipError_tPvRmT2_T3_T4_T5_mT6_T7_P12ihipStream_tbENKUlT_T0_E_clISt17integral_constantIbLb1EES12_IbLb0EEEEDaSY_SZ_EUlSY_E_NS1_11comp_targetILNS1_3genE4ELNS1_11target_archE910ELNS1_3gpuE8ELNS1_3repE0EEENS1_30default_config_static_selectorELNS0_4arch9wavefront6targetE0EEEvT1_
	.globl	_ZN7rocprim17ROCPRIM_400000_NS6detail17trampoline_kernelINS0_14default_configENS1_27scan_by_key_config_selectorIj11FixedVectorIiLj2EEEEZZNS1_16scan_by_key_implILNS1_25lookback_scan_determinismE0ELb0ES3_N6thrust23THRUST_200600_302600_NS6detail15normal_iteratorINSB_10device_ptrIjEEEENSD_INSE_IS6_EEEESI_S6_NSB_4plusIvEENSB_8equal_toIvEES6_EE10hipError_tPvRmT2_T3_T4_T5_mT6_T7_P12ihipStream_tbENKUlT_T0_E_clISt17integral_constantIbLb1EES12_IbLb0EEEEDaSY_SZ_EUlSY_E_NS1_11comp_targetILNS1_3genE4ELNS1_11target_archE910ELNS1_3gpuE8ELNS1_3repE0EEENS1_30default_config_static_selectorELNS0_4arch9wavefront6targetE0EEEvT1_
	.p2align	8
	.type	_ZN7rocprim17ROCPRIM_400000_NS6detail17trampoline_kernelINS0_14default_configENS1_27scan_by_key_config_selectorIj11FixedVectorIiLj2EEEEZZNS1_16scan_by_key_implILNS1_25lookback_scan_determinismE0ELb0ES3_N6thrust23THRUST_200600_302600_NS6detail15normal_iteratorINSB_10device_ptrIjEEEENSD_INSE_IS6_EEEESI_S6_NSB_4plusIvEENSB_8equal_toIvEES6_EE10hipError_tPvRmT2_T3_T4_T5_mT6_T7_P12ihipStream_tbENKUlT_T0_E_clISt17integral_constantIbLb1EES12_IbLb0EEEEDaSY_SZ_EUlSY_E_NS1_11comp_targetILNS1_3genE4ELNS1_11target_archE910ELNS1_3gpuE8ELNS1_3repE0EEENS1_30default_config_static_selectorELNS0_4arch9wavefront6targetE0EEEvT1_,@function
_ZN7rocprim17ROCPRIM_400000_NS6detail17trampoline_kernelINS0_14default_configENS1_27scan_by_key_config_selectorIj11FixedVectorIiLj2EEEEZZNS1_16scan_by_key_implILNS1_25lookback_scan_determinismE0ELb0ES3_N6thrust23THRUST_200600_302600_NS6detail15normal_iteratorINSB_10device_ptrIjEEEENSD_INSE_IS6_EEEESI_S6_NSB_4plusIvEENSB_8equal_toIvEES6_EE10hipError_tPvRmT2_T3_T4_T5_mT6_T7_P12ihipStream_tbENKUlT_T0_E_clISt17integral_constantIbLb1EES12_IbLb0EEEEDaSY_SZ_EUlSY_E_NS1_11comp_targetILNS1_3genE4ELNS1_11target_archE910ELNS1_3gpuE8ELNS1_3repE0EEENS1_30default_config_static_selectorELNS0_4arch9wavefront6targetE0EEEvT1_: ; @_ZN7rocprim17ROCPRIM_400000_NS6detail17trampoline_kernelINS0_14default_configENS1_27scan_by_key_config_selectorIj11FixedVectorIiLj2EEEEZZNS1_16scan_by_key_implILNS1_25lookback_scan_determinismE0ELb0ES3_N6thrust23THRUST_200600_302600_NS6detail15normal_iteratorINSB_10device_ptrIjEEEENSD_INSE_IS6_EEEESI_S6_NSB_4plusIvEENSB_8equal_toIvEES6_EE10hipError_tPvRmT2_T3_T4_T5_mT6_T7_P12ihipStream_tbENKUlT_T0_E_clISt17integral_constantIbLb1EES12_IbLb0EEEEDaSY_SZ_EUlSY_E_NS1_11comp_targetILNS1_3genE4ELNS1_11target_archE910ELNS1_3gpuE8ELNS1_3repE0EEENS1_30default_config_static_selectorELNS0_4arch9wavefront6targetE0EEEvT1_
; %bb.0:
	.section	.rodata,"a",@progbits
	.p2align	6, 0x0
	.amdhsa_kernel _ZN7rocprim17ROCPRIM_400000_NS6detail17trampoline_kernelINS0_14default_configENS1_27scan_by_key_config_selectorIj11FixedVectorIiLj2EEEEZZNS1_16scan_by_key_implILNS1_25lookback_scan_determinismE0ELb0ES3_N6thrust23THRUST_200600_302600_NS6detail15normal_iteratorINSB_10device_ptrIjEEEENSD_INSE_IS6_EEEESI_S6_NSB_4plusIvEENSB_8equal_toIvEES6_EE10hipError_tPvRmT2_T3_T4_T5_mT6_T7_P12ihipStream_tbENKUlT_T0_E_clISt17integral_constantIbLb1EES12_IbLb0EEEEDaSY_SZ_EUlSY_E_NS1_11comp_targetILNS1_3genE4ELNS1_11target_archE910ELNS1_3gpuE8ELNS1_3repE0EEENS1_30default_config_static_selectorELNS0_4arch9wavefront6targetE0EEEvT1_
		.amdhsa_group_segment_fixed_size 0
		.amdhsa_private_segment_fixed_size 0
		.amdhsa_kernarg_size 120
		.amdhsa_user_sgpr_count 6
		.amdhsa_user_sgpr_private_segment_buffer 1
		.amdhsa_user_sgpr_dispatch_ptr 0
		.amdhsa_user_sgpr_queue_ptr 0
		.amdhsa_user_sgpr_kernarg_segment_ptr 1
		.amdhsa_user_sgpr_dispatch_id 0
		.amdhsa_user_sgpr_flat_scratch_init 0
		.amdhsa_user_sgpr_private_segment_size 0
		.amdhsa_wavefront_size32 1
		.amdhsa_uses_dynamic_stack 0
		.amdhsa_system_sgpr_private_segment_wavefront_offset 0
		.amdhsa_system_sgpr_workgroup_id_x 1
		.amdhsa_system_sgpr_workgroup_id_y 0
		.amdhsa_system_sgpr_workgroup_id_z 0
		.amdhsa_system_sgpr_workgroup_info 0
		.amdhsa_system_vgpr_workitem_id 0
		.amdhsa_next_free_vgpr 1
		.amdhsa_next_free_sgpr 1
		.amdhsa_reserve_vcc 0
		.amdhsa_reserve_flat_scratch 0
		.amdhsa_float_round_mode_32 0
		.amdhsa_float_round_mode_16_64 0
		.amdhsa_float_denorm_mode_32 3
		.amdhsa_float_denorm_mode_16_64 3
		.amdhsa_dx10_clamp 1
		.amdhsa_ieee_mode 1
		.amdhsa_fp16_overflow 0
		.amdhsa_workgroup_processor_mode 1
		.amdhsa_memory_ordered 1
		.amdhsa_forward_progress 1
		.amdhsa_shared_vgpr_count 0
		.amdhsa_exception_fp_ieee_invalid_op 0
		.amdhsa_exception_fp_denorm_src 0
		.amdhsa_exception_fp_ieee_div_zero 0
		.amdhsa_exception_fp_ieee_overflow 0
		.amdhsa_exception_fp_ieee_underflow 0
		.amdhsa_exception_fp_ieee_inexact 0
		.amdhsa_exception_int_div_zero 0
	.end_amdhsa_kernel
	.section	.text._ZN7rocprim17ROCPRIM_400000_NS6detail17trampoline_kernelINS0_14default_configENS1_27scan_by_key_config_selectorIj11FixedVectorIiLj2EEEEZZNS1_16scan_by_key_implILNS1_25lookback_scan_determinismE0ELb0ES3_N6thrust23THRUST_200600_302600_NS6detail15normal_iteratorINSB_10device_ptrIjEEEENSD_INSE_IS6_EEEESI_S6_NSB_4plusIvEENSB_8equal_toIvEES6_EE10hipError_tPvRmT2_T3_T4_T5_mT6_T7_P12ihipStream_tbENKUlT_T0_E_clISt17integral_constantIbLb1EES12_IbLb0EEEEDaSY_SZ_EUlSY_E_NS1_11comp_targetILNS1_3genE4ELNS1_11target_archE910ELNS1_3gpuE8ELNS1_3repE0EEENS1_30default_config_static_selectorELNS0_4arch9wavefront6targetE0EEEvT1_,"axG",@progbits,_ZN7rocprim17ROCPRIM_400000_NS6detail17trampoline_kernelINS0_14default_configENS1_27scan_by_key_config_selectorIj11FixedVectorIiLj2EEEEZZNS1_16scan_by_key_implILNS1_25lookback_scan_determinismE0ELb0ES3_N6thrust23THRUST_200600_302600_NS6detail15normal_iteratorINSB_10device_ptrIjEEEENSD_INSE_IS6_EEEESI_S6_NSB_4plusIvEENSB_8equal_toIvEES6_EE10hipError_tPvRmT2_T3_T4_T5_mT6_T7_P12ihipStream_tbENKUlT_T0_E_clISt17integral_constantIbLb1EES12_IbLb0EEEEDaSY_SZ_EUlSY_E_NS1_11comp_targetILNS1_3genE4ELNS1_11target_archE910ELNS1_3gpuE8ELNS1_3repE0EEENS1_30default_config_static_selectorELNS0_4arch9wavefront6targetE0EEEvT1_,comdat
.Lfunc_end1976:
	.size	_ZN7rocprim17ROCPRIM_400000_NS6detail17trampoline_kernelINS0_14default_configENS1_27scan_by_key_config_selectorIj11FixedVectorIiLj2EEEEZZNS1_16scan_by_key_implILNS1_25lookback_scan_determinismE0ELb0ES3_N6thrust23THRUST_200600_302600_NS6detail15normal_iteratorINSB_10device_ptrIjEEEENSD_INSE_IS6_EEEESI_S6_NSB_4plusIvEENSB_8equal_toIvEES6_EE10hipError_tPvRmT2_T3_T4_T5_mT6_T7_P12ihipStream_tbENKUlT_T0_E_clISt17integral_constantIbLb1EES12_IbLb0EEEEDaSY_SZ_EUlSY_E_NS1_11comp_targetILNS1_3genE4ELNS1_11target_archE910ELNS1_3gpuE8ELNS1_3repE0EEENS1_30default_config_static_selectorELNS0_4arch9wavefront6targetE0EEEvT1_, .Lfunc_end1976-_ZN7rocprim17ROCPRIM_400000_NS6detail17trampoline_kernelINS0_14default_configENS1_27scan_by_key_config_selectorIj11FixedVectorIiLj2EEEEZZNS1_16scan_by_key_implILNS1_25lookback_scan_determinismE0ELb0ES3_N6thrust23THRUST_200600_302600_NS6detail15normal_iteratorINSB_10device_ptrIjEEEENSD_INSE_IS6_EEEESI_S6_NSB_4plusIvEENSB_8equal_toIvEES6_EE10hipError_tPvRmT2_T3_T4_T5_mT6_T7_P12ihipStream_tbENKUlT_T0_E_clISt17integral_constantIbLb1EES12_IbLb0EEEEDaSY_SZ_EUlSY_E_NS1_11comp_targetILNS1_3genE4ELNS1_11target_archE910ELNS1_3gpuE8ELNS1_3repE0EEENS1_30default_config_static_selectorELNS0_4arch9wavefront6targetE0EEEvT1_
                                        ; -- End function
	.set _ZN7rocprim17ROCPRIM_400000_NS6detail17trampoline_kernelINS0_14default_configENS1_27scan_by_key_config_selectorIj11FixedVectorIiLj2EEEEZZNS1_16scan_by_key_implILNS1_25lookback_scan_determinismE0ELb0ES3_N6thrust23THRUST_200600_302600_NS6detail15normal_iteratorINSB_10device_ptrIjEEEENSD_INSE_IS6_EEEESI_S6_NSB_4plusIvEENSB_8equal_toIvEES6_EE10hipError_tPvRmT2_T3_T4_T5_mT6_T7_P12ihipStream_tbENKUlT_T0_E_clISt17integral_constantIbLb1EES12_IbLb0EEEEDaSY_SZ_EUlSY_E_NS1_11comp_targetILNS1_3genE4ELNS1_11target_archE910ELNS1_3gpuE8ELNS1_3repE0EEENS1_30default_config_static_selectorELNS0_4arch9wavefront6targetE0EEEvT1_.num_vgpr, 0
	.set _ZN7rocprim17ROCPRIM_400000_NS6detail17trampoline_kernelINS0_14default_configENS1_27scan_by_key_config_selectorIj11FixedVectorIiLj2EEEEZZNS1_16scan_by_key_implILNS1_25lookback_scan_determinismE0ELb0ES3_N6thrust23THRUST_200600_302600_NS6detail15normal_iteratorINSB_10device_ptrIjEEEENSD_INSE_IS6_EEEESI_S6_NSB_4plusIvEENSB_8equal_toIvEES6_EE10hipError_tPvRmT2_T3_T4_T5_mT6_T7_P12ihipStream_tbENKUlT_T0_E_clISt17integral_constantIbLb1EES12_IbLb0EEEEDaSY_SZ_EUlSY_E_NS1_11comp_targetILNS1_3genE4ELNS1_11target_archE910ELNS1_3gpuE8ELNS1_3repE0EEENS1_30default_config_static_selectorELNS0_4arch9wavefront6targetE0EEEvT1_.num_agpr, 0
	.set _ZN7rocprim17ROCPRIM_400000_NS6detail17trampoline_kernelINS0_14default_configENS1_27scan_by_key_config_selectorIj11FixedVectorIiLj2EEEEZZNS1_16scan_by_key_implILNS1_25lookback_scan_determinismE0ELb0ES3_N6thrust23THRUST_200600_302600_NS6detail15normal_iteratorINSB_10device_ptrIjEEEENSD_INSE_IS6_EEEESI_S6_NSB_4plusIvEENSB_8equal_toIvEES6_EE10hipError_tPvRmT2_T3_T4_T5_mT6_T7_P12ihipStream_tbENKUlT_T0_E_clISt17integral_constantIbLb1EES12_IbLb0EEEEDaSY_SZ_EUlSY_E_NS1_11comp_targetILNS1_3genE4ELNS1_11target_archE910ELNS1_3gpuE8ELNS1_3repE0EEENS1_30default_config_static_selectorELNS0_4arch9wavefront6targetE0EEEvT1_.numbered_sgpr, 0
	.set _ZN7rocprim17ROCPRIM_400000_NS6detail17trampoline_kernelINS0_14default_configENS1_27scan_by_key_config_selectorIj11FixedVectorIiLj2EEEEZZNS1_16scan_by_key_implILNS1_25lookback_scan_determinismE0ELb0ES3_N6thrust23THRUST_200600_302600_NS6detail15normal_iteratorINSB_10device_ptrIjEEEENSD_INSE_IS6_EEEESI_S6_NSB_4plusIvEENSB_8equal_toIvEES6_EE10hipError_tPvRmT2_T3_T4_T5_mT6_T7_P12ihipStream_tbENKUlT_T0_E_clISt17integral_constantIbLb1EES12_IbLb0EEEEDaSY_SZ_EUlSY_E_NS1_11comp_targetILNS1_3genE4ELNS1_11target_archE910ELNS1_3gpuE8ELNS1_3repE0EEENS1_30default_config_static_selectorELNS0_4arch9wavefront6targetE0EEEvT1_.num_named_barrier, 0
	.set _ZN7rocprim17ROCPRIM_400000_NS6detail17trampoline_kernelINS0_14default_configENS1_27scan_by_key_config_selectorIj11FixedVectorIiLj2EEEEZZNS1_16scan_by_key_implILNS1_25lookback_scan_determinismE0ELb0ES3_N6thrust23THRUST_200600_302600_NS6detail15normal_iteratorINSB_10device_ptrIjEEEENSD_INSE_IS6_EEEESI_S6_NSB_4plusIvEENSB_8equal_toIvEES6_EE10hipError_tPvRmT2_T3_T4_T5_mT6_T7_P12ihipStream_tbENKUlT_T0_E_clISt17integral_constantIbLb1EES12_IbLb0EEEEDaSY_SZ_EUlSY_E_NS1_11comp_targetILNS1_3genE4ELNS1_11target_archE910ELNS1_3gpuE8ELNS1_3repE0EEENS1_30default_config_static_selectorELNS0_4arch9wavefront6targetE0EEEvT1_.private_seg_size, 0
	.set _ZN7rocprim17ROCPRIM_400000_NS6detail17trampoline_kernelINS0_14default_configENS1_27scan_by_key_config_selectorIj11FixedVectorIiLj2EEEEZZNS1_16scan_by_key_implILNS1_25lookback_scan_determinismE0ELb0ES3_N6thrust23THRUST_200600_302600_NS6detail15normal_iteratorINSB_10device_ptrIjEEEENSD_INSE_IS6_EEEESI_S6_NSB_4plusIvEENSB_8equal_toIvEES6_EE10hipError_tPvRmT2_T3_T4_T5_mT6_T7_P12ihipStream_tbENKUlT_T0_E_clISt17integral_constantIbLb1EES12_IbLb0EEEEDaSY_SZ_EUlSY_E_NS1_11comp_targetILNS1_3genE4ELNS1_11target_archE910ELNS1_3gpuE8ELNS1_3repE0EEENS1_30default_config_static_selectorELNS0_4arch9wavefront6targetE0EEEvT1_.uses_vcc, 0
	.set _ZN7rocprim17ROCPRIM_400000_NS6detail17trampoline_kernelINS0_14default_configENS1_27scan_by_key_config_selectorIj11FixedVectorIiLj2EEEEZZNS1_16scan_by_key_implILNS1_25lookback_scan_determinismE0ELb0ES3_N6thrust23THRUST_200600_302600_NS6detail15normal_iteratorINSB_10device_ptrIjEEEENSD_INSE_IS6_EEEESI_S6_NSB_4plusIvEENSB_8equal_toIvEES6_EE10hipError_tPvRmT2_T3_T4_T5_mT6_T7_P12ihipStream_tbENKUlT_T0_E_clISt17integral_constantIbLb1EES12_IbLb0EEEEDaSY_SZ_EUlSY_E_NS1_11comp_targetILNS1_3genE4ELNS1_11target_archE910ELNS1_3gpuE8ELNS1_3repE0EEENS1_30default_config_static_selectorELNS0_4arch9wavefront6targetE0EEEvT1_.uses_flat_scratch, 0
	.set _ZN7rocprim17ROCPRIM_400000_NS6detail17trampoline_kernelINS0_14default_configENS1_27scan_by_key_config_selectorIj11FixedVectorIiLj2EEEEZZNS1_16scan_by_key_implILNS1_25lookback_scan_determinismE0ELb0ES3_N6thrust23THRUST_200600_302600_NS6detail15normal_iteratorINSB_10device_ptrIjEEEENSD_INSE_IS6_EEEESI_S6_NSB_4plusIvEENSB_8equal_toIvEES6_EE10hipError_tPvRmT2_T3_T4_T5_mT6_T7_P12ihipStream_tbENKUlT_T0_E_clISt17integral_constantIbLb1EES12_IbLb0EEEEDaSY_SZ_EUlSY_E_NS1_11comp_targetILNS1_3genE4ELNS1_11target_archE910ELNS1_3gpuE8ELNS1_3repE0EEENS1_30default_config_static_selectorELNS0_4arch9wavefront6targetE0EEEvT1_.has_dyn_sized_stack, 0
	.set _ZN7rocprim17ROCPRIM_400000_NS6detail17trampoline_kernelINS0_14default_configENS1_27scan_by_key_config_selectorIj11FixedVectorIiLj2EEEEZZNS1_16scan_by_key_implILNS1_25lookback_scan_determinismE0ELb0ES3_N6thrust23THRUST_200600_302600_NS6detail15normal_iteratorINSB_10device_ptrIjEEEENSD_INSE_IS6_EEEESI_S6_NSB_4plusIvEENSB_8equal_toIvEES6_EE10hipError_tPvRmT2_T3_T4_T5_mT6_T7_P12ihipStream_tbENKUlT_T0_E_clISt17integral_constantIbLb1EES12_IbLb0EEEEDaSY_SZ_EUlSY_E_NS1_11comp_targetILNS1_3genE4ELNS1_11target_archE910ELNS1_3gpuE8ELNS1_3repE0EEENS1_30default_config_static_selectorELNS0_4arch9wavefront6targetE0EEEvT1_.has_recursion, 0
	.set _ZN7rocprim17ROCPRIM_400000_NS6detail17trampoline_kernelINS0_14default_configENS1_27scan_by_key_config_selectorIj11FixedVectorIiLj2EEEEZZNS1_16scan_by_key_implILNS1_25lookback_scan_determinismE0ELb0ES3_N6thrust23THRUST_200600_302600_NS6detail15normal_iteratorINSB_10device_ptrIjEEEENSD_INSE_IS6_EEEESI_S6_NSB_4plusIvEENSB_8equal_toIvEES6_EE10hipError_tPvRmT2_T3_T4_T5_mT6_T7_P12ihipStream_tbENKUlT_T0_E_clISt17integral_constantIbLb1EES12_IbLb0EEEEDaSY_SZ_EUlSY_E_NS1_11comp_targetILNS1_3genE4ELNS1_11target_archE910ELNS1_3gpuE8ELNS1_3repE0EEENS1_30default_config_static_selectorELNS0_4arch9wavefront6targetE0EEEvT1_.has_indirect_call, 0
	.section	.AMDGPU.csdata,"",@progbits
; Kernel info:
; codeLenInByte = 0
; TotalNumSgprs: 0
; NumVgprs: 0
; ScratchSize: 0
; MemoryBound: 0
; FloatMode: 240
; IeeeMode: 1
; LDSByteSize: 0 bytes/workgroup (compile time only)
; SGPRBlocks: 0
; VGPRBlocks: 0
; NumSGPRsForWavesPerEU: 1
; NumVGPRsForWavesPerEU: 1
; Occupancy: 16
; WaveLimiterHint : 0
; COMPUTE_PGM_RSRC2:SCRATCH_EN: 0
; COMPUTE_PGM_RSRC2:USER_SGPR: 6
; COMPUTE_PGM_RSRC2:TRAP_HANDLER: 0
; COMPUTE_PGM_RSRC2:TGID_X_EN: 1
; COMPUTE_PGM_RSRC2:TGID_Y_EN: 0
; COMPUTE_PGM_RSRC2:TGID_Z_EN: 0
; COMPUTE_PGM_RSRC2:TIDIG_COMP_CNT: 0
	.section	.text._ZN7rocprim17ROCPRIM_400000_NS6detail17trampoline_kernelINS0_14default_configENS1_27scan_by_key_config_selectorIj11FixedVectorIiLj2EEEEZZNS1_16scan_by_key_implILNS1_25lookback_scan_determinismE0ELb0ES3_N6thrust23THRUST_200600_302600_NS6detail15normal_iteratorINSB_10device_ptrIjEEEENSD_INSE_IS6_EEEESI_S6_NSB_4plusIvEENSB_8equal_toIvEES6_EE10hipError_tPvRmT2_T3_T4_T5_mT6_T7_P12ihipStream_tbENKUlT_T0_E_clISt17integral_constantIbLb1EES12_IbLb0EEEEDaSY_SZ_EUlSY_E_NS1_11comp_targetILNS1_3genE3ELNS1_11target_archE908ELNS1_3gpuE7ELNS1_3repE0EEENS1_30default_config_static_selectorELNS0_4arch9wavefront6targetE0EEEvT1_,"axG",@progbits,_ZN7rocprim17ROCPRIM_400000_NS6detail17trampoline_kernelINS0_14default_configENS1_27scan_by_key_config_selectorIj11FixedVectorIiLj2EEEEZZNS1_16scan_by_key_implILNS1_25lookback_scan_determinismE0ELb0ES3_N6thrust23THRUST_200600_302600_NS6detail15normal_iteratorINSB_10device_ptrIjEEEENSD_INSE_IS6_EEEESI_S6_NSB_4plusIvEENSB_8equal_toIvEES6_EE10hipError_tPvRmT2_T3_T4_T5_mT6_T7_P12ihipStream_tbENKUlT_T0_E_clISt17integral_constantIbLb1EES12_IbLb0EEEEDaSY_SZ_EUlSY_E_NS1_11comp_targetILNS1_3genE3ELNS1_11target_archE908ELNS1_3gpuE7ELNS1_3repE0EEENS1_30default_config_static_selectorELNS0_4arch9wavefront6targetE0EEEvT1_,comdat
	.protected	_ZN7rocprim17ROCPRIM_400000_NS6detail17trampoline_kernelINS0_14default_configENS1_27scan_by_key_config_selectorIj11FixedVectorIiLj2EEEEZZNS1_16scan_by_key_implILNS1_25lookback_scan_determinismE0ELb0ES3_N6thrust23THRUST_200600_302600_NS6detail15normal_iteratorINSB_10device_ptrIjEEEENSD_INSE_IS6_EEEESI_S6_NSB_4plusIvEENSB_8equal_toIvEES6_EE10hipError_tPvRmT2_T3_T4_T5_mT6_T7_P12ihipStream_tbENKUlT_T0_E_clISt17integral_constantIbLb1EES12_IbLb0EEEEDaSY_SZ_EUlSY_E_NS1_11comp_targetILNS1_3genE3ELNS1_11target_archE908ELNS1_3gpuE7ELNS1_3repE0EEENS1_30default_config_static_selectorELNS0_4arch9wavefront6targetE0EEEvT1_ ; -- Begin function _ZN7rocprim17ROCPRIM_400000_NS6detail17trampoline_kernelINS0_14default_configENS1_27scan_by_key_config_selectorIj11FixedVectorIiLj2EEEEZZNS1_16scan_by_key_implILNS1_25lookback_scan_determinismE0ELb0ES3_N6thrust23THRUST_200600_302600_NS6detail15normal_iteratorINSB_10device_ptrIjEEEENSD_INSE_IS6_EEEESI_S6_NSB_4plusIvEENSB_8equal_toIvEES6_EE10hipError_tPvRmT2_T3_T4_T5_mT6_T7_P12ihipStream_tbENKUlT_T0_E_clISt17integral_constantIbLb1EES12_IbLb0EEEEDaSY_SZ_EUlSY_E_NS1_11comp_targetILNS1_3genE3ELNS1_11target_archE908ELNS1_3gpuE7ELNS1_3repE0EEENS1_30default_config_static_selectorELNS0_4arch9wavefront6targetE0EEEvT1_
	.globl	_ZN7rocprim17ROCPRIM_400000_NS6detail17trampoline_kernelINS0_14default_configENS1_27scan_by_key_config_selectorIj11FixedVectorIiLj2EEEEZZNS1_16scan_by_key_implILNS1_25lookback_scan_determinismE0ELb0ES3_N6thrust23THRUST_200600_302600_NS6detail15normal_iteratorINSB_10device_ptrIjEEEENSD_INSE_IS6_EEEESI_S6_NSB_4plusIvEENSB_8equal_toIvEES6_EE10hipError_tPvRmT2_T3_T4_T5_mT6_T7_P12ihipStream_tbENKUlT_T0_E_clISt17integral_constantIbLb1EES12_IbLb0EEEEDaSY_SZ_EUlSY_E_NS1_11comp_targetILNS1_3genE3ELNS1_11target_archE908ELNS1_3gpuE7ELNS1_3repE0EEENS1_30default_config_static_selectorELNS0_4arch9wavefront6targetE0EEEvT1_
	.p2align	8
	.type	_ZN7rocprim17ROCPRIM_400000_NS6detail17trampoline_kernelINS0_14default_configENS1_27scan_by_key_config_selectorIj11FixedVectorIiLj2EEEEZZNS1_16scan_by_key_implILNS1_25lookback_scan_determinismE0ELb0ES3_N6thrust23THRUST_200600_302600_NS6detail15normal_iteratorINSB_10device_ptrIjEEEENSD_INSE_IS6_EEEESI_S6_NSB_4plusIvEENSB_8equal_toIvEES6_EE10hipError_tPvRmT2_T3_T4_T5_mT6_T7_P12ihipStream_tbENKUlT_T0_E_clISt17integral_constantIbLb1EES12_IbLb0EEEEDaSY_SZ_EUlSY_E_NS1_11comp_targetILNS1_3genE3ELNS1_11target_archE908ELNS1_3gpuE7ELNS1_3repE0EEENS1_30default_config_static_selectorELNS0_4arch9wavefront6targetE0EEEvT1_,@function
_ZN7rocprim17ROCPRIM_400000_NS6detail17trampoline_kernelINS0_14default_configENS1_27scan_by_key_config_selectorIj11FixedVectorIiLj2EEEEZZNS1_16scan_by_key_implILNS1_25lookback_scan_determinismE0ELb0ES3_N6thrust23THRUST_200600_302600_NS6detail15normal_iteratorINSB_10device_ptrIjEEEENSD_INSE_IS6_EEEESI_S6_NSB_4plusIvEENSB_8equal_toIvEES6_EE10hipError_tPvRmT2_T3_T4_T5_mT6_T7_P12ihipStream_tbENKUlT_T0_E_clISt17integral_constantIbLb1EES12_IbLb0EEEEDaSY_SZ_EUlSY_E_NS1_11comp_targetILNS1_3genE3ELNS1_11target_archE908ELNS1_3gpuE7ELNS1_3repE0EEENS1_30default_config_static_selectorELNS0_4arch9wavefront6targetE0EEEvT1_: ; @_ZN7rocprim17ROCPRIM_400000_NS6detail17trampoline_kernelINS0_14default_configENS1_27scan_by_key_config_selectorIj11FixedVectorIiLj2EEEEZZNS1_16scan_by_key_implILNS1_25lookback_scan_determinismE0ELb0ES3_N6thrust23THRUST_200600_302600_NS6detail15normal_iteratorINSB_10device_ptrIjEEEENSD_INSE_IS6_EEEESI_S6_NSB_4plusIvEENSB_8equal_toIvEES6_EE10hipError_tPvRmT2_T3_T4_T5_mT6_T7_P12ihipStream_tbENKUlT_T0_E_clISt17integral_constantIbLb1EES12_IbLb0EEEEDaSY_SZ_EUlSY_E_NS1_11comp_targetILNS1_3genE3ELNS1_11target_archE908ELNS1_3gpuE7ELNS1_3repE0EEENS1_30default_config_static_selectorELNS0_4arch9wavefront6targetE0EEEvT1_
; %bb.0:
	.section	.rodata,"a",@progbits
	.p2align	6, 0x0
	.amdhsa_kernel _ZN7rocprim17ROCPRIM_400000_NS6detail17trampoline_kernelINS0_14default_configENS1_27scan_by_key_config_selectorIj11FixedVectorIiLj2EEEEZZNS1_16scan_by_key_implILNS1_25lookback_scan_determinismE0ELb0ES3_N6thrust23THRUST_200600_302600_NS6detail15normal_iteratorINSB_10device_ptrIjEEEENSD_INSE_IS6_EEEESI_S6_NSB_4plusIvEENSB_8equal_toIvEES6_EE10hipError_tPvRmT2_T3_T4_T5_mT6_T7_P12ihipStream_tbENKUlT_T0_E_clISt17integral_constantIbLb1EES12_IbLb0EEEEDaSY_SZ_EUlSY_E_NS1_11comp_targetILNS1_3genE3ELNS1_11target_archE908ELNS1_3gpuE7ELNS1_3repE0EEENS1_30default_config_static_selectorELNS0_4arch9wavefront6targetE0EEEvT1_
		.amdhsa_group_segment_fixed_size 0
		.amdhsa_private_segment_fixed_size 0
		.amdhsa_kernarg_size 120
		.amdhsa_user_sgpr_count 6
		.amdhsa_user_sgpr_private_segment_buffer 1
		.amdhsa_user_sgpr_dispatch_ptr 0
		.amdhsa_user_sgpr_queue_ptr 0
		.amdhsa_user_sgpr_kernarg_segment_ptr 1
		.amdhsa_user_sgpr_dispatch_id 0
		.amdhsa_user_sgpr_flat_scratch_init 0
		.amdhsa_user_sgpr_private_segment_size 0
		.amdhsa_wavefront_size32 1
		.amdhsa_uses_dynamic_stack 0
		.amdhsa_system_sgpr_private_segment_wavefront_offset 0
		.amdhsa_system_sgpr_workgroup_id_x 1
		.amdhsa_system_sgpr_workgroup_id_y 0
		.amdhsa_system_sgpr_workgroup_id_z 0
		.amdhsa_system_sgpr_workgroup_info 0
		.amdhsa_system_vgpr_workitem_id 0
		.amdhsa_next_free_vgpr 1
		.amdhsa_next_free_sgpr 1
		.amdhsa_reserve_vcc 0
		.amdhsa_reserve_flat_scratch 0
		.amdhsa_float_round_mode_32 0
		.amdhsa_float_round_mode_16_64 0
		.amdhsa_float_denorm_mode_32 3
		.amdhsa_float_denorm_mode_16_64 3
		.amdhsa_dx10_clamp 1
		.amdhsa_ieee_mode 1
		.amdhsa_fp16_overflow 0
		.amdhsa_workgroup_processor_mode 1
		.amdhsa_memory_ordered 1
		.amdhsa_forward_progress 1
		.amdhsa_shared_vgpr_count 0
		.amdhsa_exception_fp_ieee_invalid_op 0
		.amdhsa_exception_fp_denorm_src 0
		.amdhsa_exception_fp_ieee_div_zero 0
		.amdhsa_exception_fp_ieee_overflow 0
		.amdhsa_exception_fp_ieee_underflow 0
		.amdhsa_exception_fp_ieee_inexact 0
		.amdhsa_exception_int_div_zero 0
	.end_amdhsa_kernel
	.section	.text._ZN7rocprim17ROCPRIM_400000_NS6detail17trampoline_kernelINS0_14default_configENS1_27scan_by_key_config_selectorIj11FixedVectorIiLj2EEEEZZNS1_16scan_by_key_implILNS1_25lookback_scan_determinismE0ELb0ES3_N6thrust23THRUST_200600_302600_NS6detail15normal_iteratorINSB_10device_ptrIjEEEENSD_INSE_IS6_EEEESI_S6_NSB_4plusIvEENSB_8equal_toIvEES6_EE10hipError_tPvRmT2_T3_T4_T5_mT6_T7_P12ihipStream_tbENKUlT_T0_E_clISt17integral_constantIbLb1EES12_IbLb0EEEEDaSY_SZ_EUlSY_E_NS1_11comp_targetILNS1_3genE3ELNS1_11target_archE908ELNS1_3gpuE7ELNS1_3repE0EEENS1_30default_config_static_selectorELNS0_4arch9wavefront6targetE0EEEvT1_,"axG",@progbits,_ZN7rocprim17ROCPRIM_400000_NS6detail17trampoline_kernelINS0_14default_configENS1_27scan_by_key_config_selectorIj11FixedVectorIiLj2EEEEZZNS1_16scan_by_key_implILNS1_25lookback_scan_determinismE0ELb0ES3_N6thrust23THRUST_200600_302600_NS6detail15normal_iteratorINSB_10device_ptrIjEEEENSD_INSE_IS6_EEEESI_S6_NSB_4plusIvEENSB_8equal_toIvEES6_EE10hipError_tPvRmT2_T3_T4_T5_mT6_T7_P12ihipStream_tbENKUlT_T0_E_clISt17integral_constantIbLb1EES12_IbLb0EEEEDaSY_SZ_EUlSY_E_NS1_11comp_targetILNS1_3genE3ELNS1_11target_archE908ELNS1_3gpuE7ELNS1_3repE0EEENS1_30default_config_static_selectorELNS0_4arch9wavefront6targetE0EEEvT1_,comdat
.Lfunc_end1977:
	.size	_ZN7rocprim17ROCPRIM_400000_NS6detail17trampoline_kernelINS0_14default_configENS1_27scan_by_key_config_selectorIj11FixedVectorIiLj2EEEEZZNS1_16scan_by_key_implILNS1_25lookback_scan_determinismE0ELb0ES3_N6thrust23THRUST_200600_302600_NS6detail15normal_iteratorINSB_10device_ptrIjEEEENSD_INSE_IS6_EEEESI_S6_NSB_4plusIvEENSB_8equal_toIvEES6_EE10hipError_tPvRmT2_T3_T4_T5_mT6_T7_P12ihipStream_tbENKUlT_T0_E_clISt17integral_constantIbLb1EES12_IbLb0EEEEDaSY_SZ_EUlSY_E_NS1_11comp_targetILNS1_3genE3ELNS1_11target_archE908ELNS1_3gpuE7ELNS1_3repE0EEENS1_30default_config_static_selectorELNS0_4arch9wavefront6targetE0EEEvT1_, .Lfunc_end1977-_ZN7rocprim17ROCPRIM_400000_NS6detail17trampoline_kernelINS0_14default_configENS1_27scan_by_key_config_selectorIj11FixedVectorIiLj2EEEEZZNS1_16scan_by_key_implILNS1_25lookback_scan_determinismE0ELb0ES3_N6thrust23THRUST_200600_302600_NS6detail15normal_iteratorINSB_10device_ptrIjEEEENSD_INSE_IS6_EEEESI_S6_NSB_4plusIvEENSB_8equal_toIvEES6_EE10hipError_tPvRmT2_T3_T4_T5_mT6_T7_P12ihipStream_tbENKUlT_T0_E_clISt17integral_constantIbLb1EES12_IbLb0EEEEDaSY_SZ_EUlSY_E_NS1_11comp_targetILNS1_3genE3ELNS1_11target_archE908ELNS1_3gpuE7ELNS1_3repE0EEENS1_30default_config_static_selectorELNS0_4arch9wavefront6targetE0EEEvT1_
                                        ; -- End function
	.set _ZN7rocprim17ROCPRIM_400000_NS6detail17trampoline_kernelINS0_14default_configENS1_27scan_by_key_config_selectorIj11FixedVectorIiLj2EEEEZZNS1_16scan_by_key_implILNS1_25lookback_scan_determinismE0ELb0ES3_N6thrust23THRUST_200600_302600_NS6detail15normal_iteratorINSB_10device_ptrIjEEEENSD_INSE_IS6_EEEESI_S6_NSB_4plusIvEENSB_8equal_toIvEES6_EE10hipError_tPvRmT2_T3_T4_T5_mT6_T7_P12ihipStream_tbENKUlT_T0_E_clISt17integral_constantIbLb1EES12_IbLb0EEEEDaSY_SZ_EUlSY_E_NS1_11comp_targetILNS1_3genE3ELNS1_11target_archE908ELNS1_3gpuE7ELNS1_3repE0EEENS1_30default_config_static_selectorELNS0_4arch9wavefront6targetE0EEEvT1_.num_vgpr, 0
	.set _ZN7rocprim17ROCPRIM_400000_NS6detail17trampoline_kernelINS0_14default_configENS1_27scan_by_key_config_selectorIj11FixedVectorIiLj2EEEEZZNS1_16scan_by_key_implILNS1_25lookback_scan_determinismE0ELb0ES3_N6thrust23THRUST_200600_302600_NS6detail15normal_iteratorINSB_10device_ptrIjEEEENSD_INSE_IS6_EEEESI_S6_NSB_4plusIvEENSB_8equal_toIvEES6_EE10hipError_tPvRmT2_T3_T4_T5_mT6_T7_P12ihipStream_tbENKUlT_T0_E_clISt17integral_constantIbLb1EES12_IbLb0EEEEDaSY_SZ_EUlSY_E_NS1_11comp_targetILNS1_3genE3ELNS1_11target_archE908ELNS1_3gpuE7ELNS1_3repE0EEENS1_30default_config_static_selectorELNS0_4arch9wavefront6targetE0EEEvT1_.num_agpr, 0
	.set _ZN7rocprim17ROCPRIM_400000_NS6detail17trampoline_kernelINS0_14default_configENS1_27scan_by_key_config_selectorIj11FixedVectorIiLj2EEEEZZNS1_16scan_by_key_implILNS1_25lookback_scan_determinismE0ELb0ES3_N6thrust23THRUST_200600_302600_NS6detail15normal_iteratorINSB_10device_ptrIjEEEENSD_INSE_IS6_EEEESI_S6_NSB_4plusIvEENSB_8equal_toIvEES6_EE10hipError_tPvRmT2_T3_T4_T5_mT6_T7_P12ihipStream_tbENKUlT_T0_E_clISt17integral_constantIbLb1EES12_IbLb0EEEEDaSY_SZ_EUlSY_E_NS1_11comp_targetILNS1_3genE3ELNS1_11target_archE908ELNS1_3gpuE7ELNS1_3repE0EEENS1_30default_config_static_selectorELNS0_4arch9wavefront6targetE0EEEvT1_.numbered_sgpr, 0
	.set _ZN7rocprim17ROCPRIM_400000_NS6detail17trampoline_kernelINS0_14default_configENS1_27scan_by_key_config_selectorIj11FixedVectorIiLj2EEEEZZNS1_16scan_by_key_implILNS1_25lookback_scan_determinismE0ELb0ES3_N6thrust23THRUST_200600_302600_NS6detail15normal_iteratorINSB_10device_ptrIjEEEENSD_INSE_IS6_EEEESI_S6_NSB_4plusIvEENSB_8equal_toIvEES6_EE10hipError_tPvRmT2_T3_T4_T5_mT6_T7_P12ihipStream_tbENKUlT_T0_E_clISt17integral_constantIbLb1EES12_IbLb0EEEEDaSY_SZ_EUlSY_E_NS1_11comp_targetILNS1_3genE3ELNS1_11target_archE908ELNS1_3gpuE7ELNS1_3repE0EEENS1_30default_config_static_selectorELNS0_4arch9wavefront6targetE0EEEvT1_.num_named_barrier, 0
	.set _ZN7rocprim17ROCPRIM_400000_NS6detail17trampoline_kernelINS0_14default_configENS1_27scan_by_key_config_selectorIj11FixedVectorIiLj2EEEEZZNS1_16scan_by_key_implILNS1_25lookback_scan_determinismE0ELb0ES3_N6thrust23THRUST_200600_302600_NS6detail15normal_iteratorINSB_10device_ptrIjEEEENSD_INSE_IS6_EEEESI_S6_NSB_4plusIvEENSB_8equal_toIvEES6_EE10hipError_tPvRmT2_T3_T4_T5_mT6_T7_P12ihipStream_tbENKUlT_T0_E_clISt17integral_constantIbLb1EES12_IbLb0EEEEDaSY_SZ_EUlSY_E_NS1_11comp_targetILNS1_3genE3ELNS1_11target_archE908ELNS1_3gpuE7ELNS1_3repE0EEENS1_30default_config_static_selectorELNS0_4arch9wavefront6targetE0EEEvT1_.private_seg_size, 0
	.set _ZN7rocprim17ROCPRIM_400000_NS6detail17trampoline_kernelINS0_14default_configENS1_27scan_by_key_config_selectorIj11FixedVectorIiLj2EEEEZZNS1_16scan_by_key_implILNS1_25lookback_scan_determinismE0ELb0ES3_N6thrust23THRUST_200600_302600_NS6detail15normal_iteratorINSB_10device_ptrIjEEEENSD_INSE_IS6_EEEESI_S6_NSB_4plusIvEENSB_8equal_toIvEES6_EE10hipError_tPvRmT2_T3_T4_T5_mT6_T7_P12ihipStream_tbENKUlT_T0_E_clISt17integral_constantIbLb1EES12_IbLb0EEEEDaSY_SZ_EUlSY_E_NS1_11comp_targetILNS1_3genE3ELNS1_11target_archE908ELNS1_3gpuE7ELNS1_3repE0EEENS1_30default_config_static_selectorELNS0_4arch9wavefront6targetE0EEEvT1_.uses_vcc, 0
	.set _ZN7rocprim17ROCPRIM_400000_NS6detail17trampoline_kernelINS0_14default_configENS1_27scan_by_key_config_selectorIj11FixedVectorIiLj2EEEEZZNS1_16scan_by_key_implILNS1_25lookback_scan_determinismE0ELb0ES3_N6thrust23THRUST_200600_302600_NS6detail15normal_iteratorINSB_10device_ptrIjEEEENSD_INSE_IS6_EEEESI_S6_NSB_4plusIvEENSB_8equal_toIvEES6_EE10hipError_tPvRmT2_T3_T4_T5_mT6_T7_P12ihipStream_tbENKUlT_T0_E_clISt17integral_constantIbLb1EES12_IbLb0EEEEDaSY_SZ_EUlSY_E_NS1_11comp_targetILNS1_3genE3ELNS1_11target_archE908ELNS1_3gpuE7ELNS1_3repE0EEENS1_30default_config_static_selectorELNS0_4arch9wavefront6targetE0EEEvT1_.uses_flat_scratch, 0
	.set _ZN7rocprim17ROCPRIM_400000_NS6detail17trampoline_kernelINS0_14default_configENS1_27scan_by_key_config_selectorIj11FixedVectorIiLj2EEEEZZNS1_16scan_by_key_implILNS1_25lookback_scan_determinismE0ELb0ES3_N6thrust23THRUST_200600_302600_NS6detail15normal_iteratorINSB_10device_ptrIjEEEENSD_INSE_IS6_EEEESI_S6_NSB_4plusIvEENSB_8equal_toIvEES6_EE10hipError_tPvRmT2_T3_T4_T5_mT6_T7_P12ihipStream_tbENKUlT_T0_E_clISt17integral_constantIbLb1EES12_IbLb0EEEEDaSY_SZ_EUlSY_E_NS1_11comp_targetILNS1_3genE3ELNS1_11target_archE908ELNS1_3gpuE7ELNS1_3repE0EEENS1_30default_config_static_selectorELNS0_4arch9wavefront6targetE0EEEvT1_.has_dyn_sized_stack, 0
	.set _ZN7rocprim17ROCPRIM_400000_NS6detail17trampoline_kernelINS0_14default_configENS1_27scan_by_key_config_selectorIj11FixedVectorIiLj2EEEEZZNS1_16scan_by_key_implILNS1_25lookback_scan_determinismE0ELb0ES3_N6thrust23THRUST_200600_302600_NS6detail15normal_iteratorINSB_10device_ptrIjEEEENSD_INSE_IS6_EEEESI_S6_NSB_4plusIvEENSB_8equal_toIvEES6_EE10hipError_tPvRmT2_T3_T4_T5_mT6_T7_P12ihipStream_tbENKUlT_T0_E_clISt17integral_constantIbLb1EES12_IbLb0EEEEDaSY_SZ_EUlSY_E_NS1_11comp_targetILNS1_3genE3ELNS1_11target_archE908ELNS1_3gpuE7ELNS1_3repE0EEENS1_30default_config_static_selectorELNS0_4arch9wavefront6targetE0EEEvT1_.has_recursion, 0
	.set _ZN7rocprim17ROCPRIM_400000_NS6detail17trampoline_kernelINS0_14default_configENS1_27scan_by_key_config_selectorIj11FixedVectorIiLj2EEEEZZNS1_16scan_by_key_implILNS1_25lookback_scan_determinismE0ELb0ES3_N6thrust23THRUST_200600_302600_NS6detail15normal_iteratorINSB_10device_ptrIjEEEENSD_INSE_IS6_EEEESI_S6_NSB_4plusIvEENSB_8equal_toIvEES6_EE10hipError_tPvRmT2_T3_T4_T5_mT6_T7_P12ihipStream_tbENKUlT_T0_E_clISt17integral_constantIbLb1EES12_IbLb0EEEEDaSY_SZ_EUlSY_E_NS1_11comp_targetILNS1_3genE3ELNS1_11target_archE908ELNS1_3gpuE7ELNS1_3repE0EEENS1_30default_config_static_selectorELNS0_4arch9wavefront6targetE0EEEvT1_.has_indirect_call, 0
	.section	.AMDGPU.csdata,"",@progbits
; Kernel info:
; codeLenInByte = 0
; TotalNumSgprs: 0
; NumVgprs: 0
; ScratchSize: 0
; MemoryBound: 0
; FloatMode: 240
; IeeeMode: 1
; LDSByteSize: 0 bytes/workgroup (compile time only)
; SGPRBlocks: 0
; VGPRBlocks: 0
; NumSGPRsForWavesPerEU: 1
; NumVGPRsForWavesPerEU: 1
; Occupancy: 16
; WaveLimiterHint : 0
; COMPUTE_PGM_RSRC2:SCRATCH_EN: 0
; COMPUTE_PGM_RSRC2:USER_SGPR: 6
; COMPUTE_PGM_RSRC2:TRAP_HANDLER: 0
; COMPUTE_PGM_RSRC2:TGID_X_EN: 1
; COMPUTE_PGM_RSRC2:TGID_Y_EN: 0
; COMPUTE_PGM_RSRC2:TGID_Z_EN: 0
; COMPUTE_PGM_RSRC2:TIDIG_COMP_CNT: 0
	.section	.text._ZN7rocprim17ROCPRIM_400000_NS6detail17trampoline_kernelINS0_14default_configENS1_27scan_by_key_config_selectorIj11FixedVectorIiLj2EEEEZZNS1_16scan_by_key_implILNS1_25lookback_scan_determinismE0ELb0ES3_N6thrust23THRUST_200600_302600_NS6detail15normal_iteratorINSB_10device_ptrIjEEEENSD_INSE_IS6_EEEESI_S6_NSB_4plusIvEENSB_8equal_toIvEES6_EE10hipError_tPvRmT2_T3_T4_T5_mT6_T7_P12ihipStream_tbENKUlT_T0_E_clISt17integral_constantIbLb1EES12_IbLb0EEEEDaSY_SZ_EUlSY_E_NS1_11comp_targetILNS1_3genE2ELNS1_11target_archE906ELNS1_3gpuE6ELNS1_3repE0EEENS1_30default_config_static_selectorELNS0_4arch9wavefront6targetE0EEEvT1_,"axG",@progbits,_ZN7rocprim17ROCPRIM_400000_NS6detail17trampoline_kernelINS0_14default_configENS1_27scan_by_key_config_selectorIj11FixedVectorIiLj2EEEEZZNS1_16scan_by_key_implILNS1_25lookback_scan_determinismE0ELb0ES3_N6thrust23THRUST_200600_302600_NS6detail15normal_iteratorINSB_10device_ptrIjEEEENSD_INSE_IS6_EEEESI_S6_NSB_4plusIvEENSB_8equal_toIvEES6_EE10hipError_tPvRmT2_T3_T4_T5_mT6_T7_P12ihipStream_tbENKUlT_T0_E_clISt17integral_constantIbLb1EES12_IbLb0EEEEDaSY_SZ_EUlSY_E_NS1_11comp_targetILNS1_3genE2ELNS1_11target_archE906ELNS1_3gpuE6ELNS1_3repE0EEENS1_30default_config_static_selectorELNS0_4arch9wavefront6targetE0EEEvT1_,comdat
	.protected	_ZN7rocprim17ROCPRIM_400000_NS6detail17trampoline_kernelINS0_14default_configENS1_27scan_by_key_config_selectorIj11FixedVectorIiLj2EEEEZZNS1_16scan_by_key_implILNS1_25lookback_scan_determinismE0ELb0ES3_N6thrust23THRUST_200600_302600_NS6detail15normal_iteratorINSB_10device_ptrIjEEEENSD_INSE_IS6_EEEESI_S6_NSB_4plusIvEENSB_8equal_toIvEES6_EE10hipError_tPvRmT2_T3_T4_T5_mT6_T7_P12ihipStream_tbENKUlT_T0_E_clISt17integral_constantIbLb1EES12_IbLb0EEEEDaSY_SZ_EUlSY_E_NS1_11comp_targetILNS1_3genE2ELNS1_11target_archE906ELNS1_3gpuE6ELNS1_3repE0EEENS1_30default_config_static_selectorELNS0_4arch9wavefront6targetE0EEEvT1_ ; -- Begin function _ZN7rocprim17ROCPRIM_400000_NS6detail17trampoline_kernelINS0_14default_configENS1_27scan_by_key_config_selectorIj11FixedVectorIiLj2EEEEZZNS1_16scan_by_key_implILNS1_25lookback_scan_determinismE0ELb0ES3_N6thrust23THRUST_200600_302600_NS6detail15normal_iteratorINSB_10device_ptrIjEEEENSD_INSE_IS6_EEEESI_S6_NSB_4plusIvEENSB_8equal_toIvEES6_EE10hipError_tPvRmT2_T3_T4_T5_mT6_T7_P12ihipStream_tbENKUlT_T0_E_clISt17integral_constantIbLb1EES12_IbLb0EEEEDaSY_SZ_EUlSY_E_NS1_11comp_targetILNS1_3genE2ELNS1_11target_archE906ELNS1_3gpuE6ELNS1_3repE0EEENS1_30default_config_static_selectorELNS0_4arch9wavefront6targetE0EEEvT1_
	.globl	_ZN7rocprim17ROCPRIM_400000_NS6detail17trampoline_kernelINS0_14default_configENS1_27scan_by_key_config_selectorIj11FixedVectorIiLj2EEEEZZNS1_16scan_by_key_implILNS1_25lookback_scan_determinismE0ELb0ES3_N6thrust23THRUST_200600_302600_NS6detail15normal_iteratorINSB_10device_ptrIjEEEENSD_INSE_IS6_EEEESI_S6_NSB_4plusIvEENSB_8equal_toIvEES6_EE10hipError_tPvRmT2_T3_T4_T5_mT6_T7_P12ihipStream_tbENKUlT_T0_E_clISt17integral_constantIbLb1EES12_IbLb0EEEEDaSY_SZ_EUlSY_E_NS1_11comp_targetILNS1_3genE2ELNS1_11target_archE906ELNS1_3gpuE6ELNS1_3repE0EEENS1_30default_config_static_selectorELNS0_4arch9wavefront6targetE0EEEvT1_
	.p2align	8
	.type	_ZN7rocprim17ROCPRIM_400000_NS6detail17trampoline_kernelINS0_14default_configENS1_27scan_by_key_config_selectorIj11FixedVectorIiLj2EEEEZZNS1_16scan_by_key_implILNS1_25lookback_scan_determinismE0ELb0ES3_N6thrust23THRUST_200600_302600_NS6detail15normal_iteratorINSB_10device_ptrIjEEEENSD_INSE_IS6_EEEESI_S6_NSB_4plusIvEENSB_8equal_toIvEES6_EE10hipError_tPvRmT2_T3_T4_T5_mT6_T7_P12ihipStream_tbENKUlT_T0_E_clISt17integral_constantIbLb1EES12_IbLb0EEEEDaSY_SZ_EUlSY_E_NS1_11comp_targetILNS1_3genE2ELNS1_11target_archE906ELNS1_3gpuE6ELNS1_3repE0EEENS1_30default_config_static_selectorELNS0_4arch9wavefront6targetE0EEEvT1_,@function
_ZN7rocprim17ROCPRIM_400000_NS6detail17trampoline_kernelINS0_14default_configENS1_27scan_by_key_config_selectorIj11FixedVectorIiLj2EEEEZZNS1_16scan_by_key_implILNS1_25lookback_scan_determinismE0ELb0ES3_N6thrust23THRUST_200600_302600_NS6detail15normal_iteratorINSB_10device_ptrIjEEEENSD_INSE_IS6_EEEESI_S6_NSB_4plusIvEENSB_8equal_toIvEES6_EE10hipError_tPvRmT2_T3_T4_T5_mT6_T7_P12ihipStream_tbENKUlT_T0_E_clISt17integral_constantIbLb1EES12_IbLb0EEEEDaSY_SZ_EUlSY_E_NS1_11comp_targetILNS1_3genE2ELNS1_11target_archE906ELNS1_3gpuE6ELNS1_3repE0EEENS1_30default_config_static_selectorELNS0_4arch9wavefront6targetE0EEEvT1_: ; @_ZN7rocprim17ROCPRIM_400000_NS6detail17trampoline_kernelINS0_14default_configENS1_27scan_by_key_config_selectorIj11FixedVectorIiLj2EEEEZZNS1_16scan_by_key_implILNS1_25lookback_scan_determinismE0ELb0ES3_N6thrust23THRUST_200600_302600_NS6detail15normal_iteratorINSB_10device_ptrIjEEEENSD_INSE_IS6_EEEESI_S6_NSB_4plusIvEENSB_8equal_toIvEES6_EE10hipError_tPvRmT2_T3_T4_T5_mT6_T7_P12ihipStream_tbENKUlT_T0_E_clISt17integral_constantIbLb1EES12_IbLb0EEEEDaSY_SZ_EUlSY_E_NS1_11comp_targetILNS1_3genE2ELNS1_11target_archE906ELNS1_3gpuE6ELNS1_3repE0EEENS1_30default_config_static_selectorELNS0_4arch9wavefront6targetE0EEEvT1_
; %bb.0:
	.section	.rodata,"a",@progbits
	.p2align	6, 0x0
	.amdhsa_kernel _ZN7rocprim17ROCPRIM_400000_NS6detail17trampoline_kernelINS0_14default_configENS1_27scan_by_key_config_selectorIj11FixedVectorIiLj2EEEEZZNS1_16scan_by_key_implILNS1_25lookback_scan_determinismE0ELb0ES3_N6thrust23THRUST_200600_302600_NS6detail15normal_iteratorINSB_10device_ptrIjEEEENSD_INSE_IS6_EEEESI_S6_NSB_4plusIvEENSB_8equal_toIvEES6_EE10hipError_tPvRmT2_T3_T4_T5_mT6_T7_P12ihipStream_tbENKUlT_T0_E_clISt17integral_constantIbLb1EES12_IbLb0EEEEDaSY_SZ_EUlSY_E_NS1_11comp_targetILNS1_3genE2ELNS1_11target_archE906ELNS1_3gpuE6ELNS1_3repE0EEENS1_30default_config_static_selectorELNS0_4arch9wavefront6targetE0EEEvT1_
		.amdhsa_group_segment_fixed_size 0
		.amdhsa_private_segment_fixed_size 0
		.amdhsa_kernarg_size 120
		.amdhsa_user_sgpr_count 6
		.amdhsa_user_sgpr_private_segment_buffer 1
		.amdhsa_user_sgpr_dispatch_ptr 0
		.amdhsa_user_sgpr_queue_ptr 0
		.amdhsa_user_sgpr_kernarg_segment_ptr 1
		.amdhsa_user_sgpr_dispatch_id 0
		.amdhsa_user_sgpr_flat_scratch_init 0
		.amdhsa_user_sgpr_private_segment_size 0
		.amdhsa_wavefront_size32 1
		.amdhsa_uses_dynamic_stack 0
		.amdhsa_system_sgpr_private_segment_wavefront_offset 0
		.amdhsa_system_sgpr_workgroup_id_x 1
		.amdhsa_system_sgpr_workgroup_id_y 0
		.amdhsa_system_sgpr_workgroup_id_z 0
		.amdhsa_system_sgpr_workgroup_info 0
		.amdhsa_system_vgpr_workitem_id 0
		.amdhsa_next_free_vgpr 1
		.amdhsa_next_free_sgpr 1
		.amdhsa_reserve_vcc 0
		.amdhsa_reserve_flat_scratch 0
		.amdhsa_float_round_mode_32 0
		.amdhsa_float_round_mode_16_64 0
		.amdhsa_float_denorm_mode_32 3
		.amdhsa_float_denorm_mode_16_64 3
		.amdhsa_dx10_clamp 1
		.amdhsa_ieee_mode 1
		.amdhsa_fp16_overflow 0
		.amdhsa_workgroup_processor_mode 1
		.amdhsa_memory_ordered 1
		.amdhsa_forward_progress 1
		.amdhsa_shared_vgpr_count 0
		.amdhsa_exception_fp_ieee_invalid_op 0
		.amdhsa_exception_fp_denorm_src 0
		.amdhsa_exception_fp_ieee_div_zero 0
		.amdhsa_exception_fp_ieee_overflow 0
		.amdhsa_exception_fp_ieee_underflow 0
		.amdhsa_exception_fp_ieee_inexact 0
		.amdhsa_exception_int_div_zero 0
	.end_amdhsa_kernel
	.section	.text._ZN7rocprim17ROCPRIM_400000_NS6detail17trampoline_kernelINS0_14default_configENS1_27scan_by_key_config_selectorIj11FixedVectorIiLj2EEEEZZNS1_16scan_by_key_implILNS1_25lookback_scan_determinismE0ELb0ES3_N6thrust23THRUST_200600_302600_NS6detail15normal_iteratorINSB_10device_ptrIjEEEENSD_INSE_IS6_EEEESI_S6_NSB_4plusIvEENSB_8equal_toIvEES6_EE10hipError_tPvRmT2_T3_T4_T5_mT6_T7_P12ihipStream_tbENKUlT_T0_E_clISt17integral_constantIbLb1EES12_IbLb0EEEEDaSY_SZ_EUlSY_E_NS1_11comp_targetILNS1_3genE2ELNS1_11target_archE906ELNS1_3gpuE6ELNS1_3repE0EEENS1_30default_config_static_selectorELNS0_4arch9wavefront6targetE0EEEvT1_,"axG",@progbits,_ZN7rocprim17ROCPRIM_400000_NS6detail17trampoline_kernelINS0_14default_configENS1_27scan_by_key_config_selectorIj11FixedVectorIiLj2EEEEZZNS1_16scan_by_key_implILNS1_25lookback_scan_determinismE0ELb0ES3_N6thrust23THRUST_200600_302600_NS6detail15normal_iteratorINSB_10device_ptrIjEEEENSD_INSE_IS6_EEEESI_S6_NSB_4plusIvEENSB_8equal_toIvEES6_EE10hipError_tPvRmT2_T3_T4_T5_mT6_T7_P12ihipStream_tbENKUlT_T0_E_clISt17integral_constantIbLb1EES12_IbLb0EEEEDaSY_SZ_EUlSY_E_NS1_11comp_targetILNS1_3genE2ELNS1_11target_archE906ELNS1_3gpuE6ELNS1_3repE0EEENS1_30default_config_static_selectorELNS0_4arch9wavefront6targetE0EEEvT1_,comdat
.Lfunc_end1978:
	.size	_ZN7rocprim17ROCPRIM_400000_NS6detail17trampoline_kernelINS0_14default_configENS1_27scan_by_key_config_selectorIj11FixedVectorIiLj2EEEEZZNS1_16scan_by_key_implILNS1_25lookback_scan_determinismE0ELb0ES3_N6thrust23THRUST_200600_302600_NS6detail15normal_iteratorINSB_10device_ptrIjEEEENSD_INSE_IS6_EEEESI_S6_NSB_4plusIvEENSB_8equal_toIvEES6_EE10hipError_tPvRmT2_T3_T4_T5_mT6_T7_P12ihipStream_tbENKUlT_T0_E_clISt17integral_constantIbLb1EES12_IbLb0EEEEDaSY_SZ_EUlSY_E_NS1_11comp_targetILNS1_3genE2ELNS1_11target_archE906ELNS1_3gpuE6ELNS1_3repE0EEENS1_30default_config_static_selectorELNS0_4arch9wavefront6targetE0EEEvT1_, .Lfunc_end1978-_ZN7rocprim17ROCPRIM_400000_NS6detail17trampoline_kernelINS0_14default_configENS1_27scan_by_key_config_selectorIj11FixedVectorIiLj2EEEEZZNS1_16scan_by_key_implILNS1_25lookback_scan_determinismE0ELb0ES3_N6thrust23THRUST_200600_302600_NS6detail15normal_iteratorINSB_10device_ptrIjEEEENSD_INSE_IS6_EEEESI_S6_NSB_4plusIvEENSB_8equal_toIvEES6_EE10hipError_tPvRmT2_T3_T4_T5_mT6_T7_P12ihipStream_tbENKUlT_T0_E_clISt17integral_constantIbLb1EES12_IbLb0EEEEDaSY_SZ_EUlSY_E_NS1_11comp_targetILNS1_3genE2ELNS1_11target_archE906ELNS1_3gpuE6ELNS1_3repE0EEENS1_30default_config_static_selectorELNS0_4arch9wavefront6targetE0EEEvT1_
                                        ; -- End function
	.set _ZN7rocprim17ROCPRIM_400000_NS6detail17trampoline_kernelINS0_14default_configENS1_27scan_by_key_config_selectorIj11FixedVectorIiLj2EEEEZZNS1_16scan_by_key_implILNS1_25lookback_scan_determinismE0ELb0ES3_N6thrust23THRUST_200600_302600_NS6detail15normal_iteratorINSB_10device_ptrIjEEEENSD_INSE_IS6_EEEESI_S6_NSB_4plusIvEENSB_8equal_toIvEES6_EE10hipError_tPvRmT2_T3_T4_T5_mT6_T7_P12ihipStream_tbENKUlT_T0_E_clISt17integral_constantIbLb1EES12_IbLb0EEEEDaSY_SZ_EUlSY_E_NS1_11comp_targetILNS1_3genE2ELNS1_11target_archE906ELNS1_3gpuE6ELNS1_3repE0EEENS1_30default_config_static_selectorELNS0_4arch9wavefront6targetE0EEEvT1_.num_vgpr, 0
	.set _ZN7rocprim17ROCPRIM_400000_NS6detail17trampoline_kernelINS0_14default_configENS1_27scan_by_key_config_selectorIj11FixedVectorIiLj2EEEEZZNS1_16scan_by_key_implILNS1_25lookback_scan_determinismE0ELb0ES3_N6thrust23THRUST_200600_302600_NS6detail15normal_iteratorINSB_10device_ptrIjEEEENSD_INSE_IS6_EEEESI_S6_NSB_4plusIvEENSB_8equal_toIvEES6_EE10hipError_tPvRmT2_T3_T4_T5_mT6_T7_P12ihipStream_tbENKUlT_T0_E_clISt17integral_constantIbLb1EES12_IbLb0EEEEDaSY_SZ_EUlSY_E_NS1_11comp_targetILNS1_3genE2ELNS1_11target_archE906ELNS1_3gpuE6ELNS1_3repE0EEENS1_30default_config_static_selectorELNS0_4arch9wavefront6targetE0EEEvT1_.num_agpr, 0
	.set _ZN7rocprim17ROCPRIM_400000_NS6detail17trampoline_kernelINS0_14default_configENS1_27scan_by_key_config_selectorIj11FixedVectorIiLj2EEEEZZNS1_16scan_by_key_implILNS1_25lookback_scan_determinismE0ELb0ES3_N6thrust23THRUST_200600_302600_NS6detail15normal_iteratorINSB_10device_ptrIjEEEENSD_INSE_IS6_EEEESI_S6_NSB_4plusIvEENSB_8equal_toIvEES6_EE10hipError_tPvRmT2_T3_T4_T5_mT6_T7_P12ihipStream_tbENKUlT_T0_E_clISt17integral_constantIbLb1EES12_IbLb0EEEEDaSY_SZ_EUlSY_E_NS1_11comp_targetILNS1_3genE2ELNS1_11target_archE906ELNS1_3gpuE6ELNS1_3repE0EEENS1_30default_config_static_selectorELNS0_4arch9wavefront6targetE0EEEvT1_.numbered_sgpr, 0
	.set _ZN7rocprim17ROCPRIM_400000_NS6detail17trampoline_kernelINS0_14default_configENS1_27scan_by_key_config_selectorIj11FixedVectorIiLj2EEEEZZNS1_16scan_by_key_implILNS1_25lookback_scan_determinismE0ELb0ES3_N6thrust23THRUST_200600_302600_NS6detail15normal_iteratorINSB_10device_ptrIjEEEENSD_INSE_IS6_EEEESI_S6_NSB_4plusIvEENSB_8equal_toIvEES6_EE10hipError_tPvRmT2_T3_T4_T5_mT6_T7_P12ihipStream_tbENKUlT_T0_E_clISt17integral_constantIbLb1EES12_IbLb0EEEEDaSY_SZ_EUlSY_E_NS1_11comp_targetILNS1_3genE2ELNS1_11target_archE906ELNS1_3gpuE6ELNS1_3repE0EEENS1_30default_config_static_selectorELNS0_4arch9wavefront6targetE0EEEvT1_.num_named_barrier, 0
	.set _ZN7rocprim17ROCPRIM_400000_NS6detail17trampoline_kernelINS0_14default_configENS1_27scan_by_key_config_selectorIj11FixedVectorIiLj2EEEEZZNS1_16scan_by_key_implILNS1_25lookback_scan_determinismE0ELb0ES3_N6thrust23THRUST_200600_302600_NS6detail15normal_iteratorINSB_10device_ptrIjEEEENSD_INSE_IS6_EEEESI_S6_NSB_4plusIvEENSB_8equal_toIvEES6_EE10hipError_tPvRmT2_T3_T4_T5_mT6_T7_P12ihipStream_tbENKUlT_T0_E_clISt17integral_constantIbLb1EES12_IbLb0EEEEDaSY_SZ_EUlSY_E_NS1_11comp_targetILNS1_3genE2ELNS1_11target_archE906ELNS1_3gpuE6ELNS1_3repE0EEENS1_30default_config_static_selectorELNS0_4arch9wavefront6targetE0EEEvT1_.private_seg_size, 0
	.set _ZN7rocprim17ROCPRIM_400000_NS6detail17trampoline_kernelINS0_14default_configENS1_27scan_by_key_config_selectorIj11FixedVectorIiLj2EEEEZZNS1_16scan_by_key_implILNS1_25lookback_scan_determinismE0ELb0ES3_N6thrust23THRUST_200600_302600_NS6detail15normal_iteratorINSB_10device_ptrIjEEEENSD_INSE_IS6_EEEESI_S6_NSB_4plusIvEENSB_8equal_toIvEES6_EE10hipError_tPvRmT2_T3_T4_T5_mT6_T7_P12ihipStream_tbENKUlT_T0_E_clISt17integral_constantIbLb1EES12_IbLb0EEEEDaSY_SZ_EUlSY_E_NS1_11comp_targetILNS1_3genE2ELNS1_11target_archE906ELNS1_3gpuE6ELNS1_3repE0EEENS1_30default_config_static_selectorELNS0_4arch9wavefront6targetE0EEEvT1_.uses_vcc, 0
	.set _ZN7rocprim17ROCPRIM_400000_NS6detail17trampoline_kernelINS0_14default_configENS1_27scan_by_key_config_selectorIj11FixedVectorIiLj2EEEEZZNS1_16scan_by_key_implILNS1_25lookback_scan_determinismE0ELb0ES3_N6thrust23THRUST_200600_302600_NS6detail15normal_iteratorINSB_10device_ptrIjEEEENSD_INSE_IS6_EEEESI_S6_NSB_4plusIvEENSB_8equal_toIvEES6_EE10hipError_tPvRmT2_T3_T4_T5_mT6_T7_P12ihipStream_tbENKUlT_T0_E_clISt17integral_constantIbLb1EES12_IbLb0EEEEDaSY_SZ_EUlSY_E_NS1_11comp_targetILNS1_3genE2ELNS1_11target_archE906ELNS1_3gpuE6ELNS1_3repE0EEENS1_30default_config_static_selectorELNS0_4arch9wavefront6targetE0EEEvT1_.uses_flat_scratch, 0
	.set _ZN7rocprim17ROCPRIM_400000_NS6detail17trampoline_kernelINS0_14default_configENS1_27scan_by_key_config_selectorIj11FixedVectorIiLj2EEEEZZNS1_16scan_by_key_implILNS1_25lookback_scan_determinismE0ELb0ES3_N6thrust23THRUST_200600_302600_NS6detail15normal_iteratorINSB_10device_ptrIjEEEENSD_INSE_IS6_EEEESI_S6_NSB_4plusIvEENSB_8equal_toIvEES6_EE10hipError_tPvRmT2_T3_T4_T5_mT6_T7_P12ihipStream_tbENKUlT_T0_E_clISt17integral_constantIbLb1EES12_IbLb0EEEEDaSY_SZ_EUlSY_E_NS1_11comp_targetILNS1_3genE2ELNS1_11target_archE906ELNS1_3gpuE6ELNS1_3repE0EEENS1_30default_config_static_selectorELNS0_4arch9wavefront6targetE0EEEvT1_.has_dyn_sized_stack, 0
	.set _ZN7rocprim17ROCPRIM_400000_NS6detail17trampoline_kernelINS0_14default_configENS1_27scan_by_key_config_selectorIj11FixedVectorIiLj2EEEEZZNS1_16scan_by_key_implILNS1_25lookback_scan_determinismE0ELb0ES3_N6thrust23THRUST_200600_302600_NS6detail15normal_iteratorINSB_10device_ptrIjEEEENSD_INSE_IS6_EEEESI_S6_NSB_4plusIvEENSB_8equal_toIvEES6_EE10hipError_tPvRmT2_T3_T4_T5_mT6_T7_P12ihipStream_tbENKUlT_T0_E_clISt17integral_constantIbLb1EES12_IbLb0EEEEDaSY_SZ_EUlSY_E_NS1_11comp_targetILNS1_3genE2ELNS1_11target_archE906ELNS1_3gpuE6ELNS1_3repE0EEENS1_30default_config_static_selectorELNS0_4arch9wavefront6targetE0EEEvT1_.has_recursion, 0
	.set _ZN7rocprim17ROCPRIM_400000_NS6detail17trampoline_kernelINS0_14default_configENS1_27scan_by_key_config_selectorIj11FixedVectorIiLj2EEEEZZNS1_16scan_by_key_implILNS1_25lookback_scan_determinismE0ELb0ES3_N6thrust23THRUST_200600_302600_NS6detail15normal_iteratorINSB_10device_ptrIjEEEENSD_INSE_IS6_EEEESI_S6_NSB_4plusIvEENSB_8equal_toIvEES6_EE10hipError_tPvRmT2_T3_T4_T5_mT6_T7_P12ihipStream_tbENKUlT_T0_E_clISt17integral_constantIbLb1EES12_IbLb0EEEEDaSY_SZ_EUlSY_E_NS1_11comp_targetILNS1_3genE2ELNS1_11target_archE906ELNS1_3gpuE6ELNS1_3repE0EEENS1_30default_config_static_selectorELNS0_4arch9wavefront6targetE0EEEvT1_.has_indirect_call, 0
	.section	.AMDGPU.csdata,"",@progbits
; Kernel info:
; codeLenInByte = 0
; TotalNumSgprs: 0
; NumVgprs: 0
; ScratchSize: 0
; MemoryBound: 0
; FloatMode: 240
; IeeeMode: 1
; LDSByteSize: 0 bytes/workgroup (compile time only)
; SGPRBlocks: 0
; VGPRBlocks: 0
; NumSGPRsForWavesPerEU: 1
; NumVGPRsForWavesPerEU: 1
; Occupancy: 16
; WaveLimiterHint : 0
; COMPUTE_PGM_RSRC2:SCRATCH_EN: 0
; COMPUTE_PGM_RSRC2:USER_SGPR: 6
; COMPUTE_PGM_RSRC2:TRAP_HANDLER: 0
; COMPUTE_PGM_RSRC2:TGID_X_EN: 1
; COMPUTE_PGM_RSRC2:TGID_Y_EN: 0
; COMPUTE_PGM_RSRC2:TGID_Z_EN: 0
; COMPUTE_PGM_RSRC2:TIDIG_COMP_CNT: 0
	.section	.text._ZN7rocprim17ROCPRIM_400000_NS6detail17trampoline_kernelINS0_14default_configENS1_27scan_by_key_config_selectorIj11FixedVectorIiLj2EEEEZZNS1_16scan_by_key_implILNS1_25lookback_scan_determinismE0ELb0ES3_N6thrust23THRUST_200600_302600_NS6detail15normal_iteratorINSB_10device_ptrIjEEEENSD_INSE_IS6_EEEESI_S6_NSB_4plusIvEENSB_8equal_toIvEES6_EE10hipError_tPvRmT2_T3_T4_T5_mT6_T7_P12ihipStream_tbENKUlT_T0_E_clISt17integral_constantIbLb1EES12_IbLb0EEEEDaSY_SZ_EUlSY_E_NS1_11comp_targetILNS1_3genE10ELNS1_11target_archE1200ELNS1_3gpuE4ELNS1_3repE0EEENS1_30default_config_static_selectorELNS0_4arch9wavefront6targetE0EEEvT1_,"axG",@progbits,_ZN7rocprim17ROCPRIM_400000_NS6detail17trampoline_kernelINS0_14default_configENS1_27scan_by_key_config_selectorIj11FixedVectorIiLj2EEEEZZNS1_16scan_by_key_implILNS1_25lookback_scan_determinismE0ELb0ES3_N6thrust23THRUST_200600_302600_NS6detail15normal_iteratorINSB_10device_ptrIjEEEENSD_INSE_IS6_EEEESI_S6_NSB_4plusIvEENSB_8equal_toIvEES6_EE10hipError_tPvRmT2_T3_T4_T5_mT6_T7_P12ihipStream_tbENKUlT_T0_E_clISt17integral_constantIbLb1EES12_IbLb0EEEEDaSY_SZ_EUlSY_E_NS1_11comp_targetILNS1_3genE10ELNS1_11target_archE1200ELNS1_3gpuE4ELNS1_3repE0EEENS1_30default_config_static_selectorELNS0_4arch9wavefront6targetE0EEEvT1_,comdat
	.protected	_ZN7rocprim17ROCPRIM_400000_NS6detail17trampoline_kernelINS0_14default_configENS1_27scan_by_key_config_selectorIj11FixedVectorIiLj2EEEEZZNS1_16scan_by_key_implILNS1_25lookback_scan_determinismE0ELb0ES3_N6thrust23THRUST_200600_302600_NS6detail15normal_iteratorINSB_10device_ptrIjEEEENSD_INSE_IS6_EEEESI_S6_NSB_4plusIvEENSB_8equal_toIvEES6_EE10hipError_tPvRmT2_T3_T4_T5_mT6_T7_P12ihipStream_tbENKUlT_T0_E_clISt17integral_constantIbLb1EES12_IbLb0EEEEDaSY_SZ_EUlSY_E_NS1_11comp_targetILNS1_3genE10ELNS1_11target_archE1200ELNS1_3gpuE4ELNS1_3repE0EEENS1_30default_config_static_selectorELNS0_4arch9wavefront6targetE0EEEvT1_ ; -- Begin function _ZN7rocprim17ROCPRIM_400000_NS6detail17trampoline_kernelINS0_14default_configENS1_27scan_by_key_config_selectorIj11FixedVectorIiLj2EEEEZZNS1_16scan_by_key_implILNS1_25lookback_scan_determinismE0ELb0ES3_N6thrust23THRUST_200600_302600_NS6detail15normal_iteratorINSB_10device_ptrIjEEEENSD_INSE_IS6_EEEESI_S6_NSB_4plusIvEENSB_8equal_toIvEES6_EE10hipError_tPvRmT2_T3_T4_T5_mT6_T7_P12ihipStream_tbENKUlT_T0_E_clISt17integral_constantIbLb1EES12_IbLb0EEEEDaSY_SZ_EUlSY_E_NS1_11comp_targetILNS1_3genE10ELNS1_11target_archE1200ELNS1_3gpuE4ELNS1_3repE0EEENS1_30default_config_static_selectorELNS0_4arch9wavefront6targetE0EEEvT1_
	.globl	_ZN7rocprim17ROCPRIM_400000_NS6detail17trampoline_kernelINS0_14default_configENS1_27scan_by_key_config_selectorIj11FixedVectorIiLj2EEEEZZNS1_16scan_by_key_implILNS1_25lookback_scan_determinismE0ELb0ES3_N6thrust23THRUST_200600_302600_NS6detail15normal_iteratorINSB_10device_ptrIjEEEENSD_INSE_IS6_EEEESI_S6_NSB_4plusIvEENSB_8equal_toIvEES6_EE10hipError_tPvRmT2_T3_T4_T5_mT6_T7_P12ihipStream_tbENKUlT_T0_E_clISt17integral_constantIbLb1EES12_IbLb0EEEEDaSY_SZ_EUlSY_E_NS1_11comp_targetILNS1_3genE10ELNS1_11target_archE1200ELNS1_3gpuE4ELNS1_3repE0EEENS1_30default_config_static_selectorELNS0_4arch9wavefront6targetE0EEEvT1_
	.p2align	8
	.type	_ZN7rocprim17ROCPRIM_400000_NS6detail17trampoline_kernelINS0_14default_configENS1_27scan_by_key_config_selectorIj11FixedVectorIiLj2EEEEZZNS1_16scan_by_key_implILNS1_25lookback_scan_determinismE0ELb0ES3_N6thrust23THRUST_200600_302600_NS6detail15normal_iteratorINSB_10device_ptrIjEEEENSD_INSE_IS6_EEEESI_S6_NSB_4plusIvEENSB_8equal_toIvEES6_EE10hipError_tPvRmT2_T3_T4_T5_mT6_T7_P12ihipStream_tbENKUlT_T0_E_clISt17integral_constantIbLb1EES12_IbLb0EEEEDaSY_SZ_EUlSY_E_NS1_11comp_targetILNS1_3genE10ELNS1_11target_archE1200ELNS1_3gpuE4ELNS1_3repE0EEENS1_30default_config_static_selectorELNS0_4arch9wavefront6targetE0EEEvT1_,@function
_ZN7rocprim17ROCPRIM_400000_NS6detail17trampoline_kernelINS0_14default_configENS1_27scan_by_key_config_selectorIj11FixedVectorIiLj2EEEEZZNS1_16scan_by_key_implILNS1_25lookback_scan_determinismE0ELb0ES3_N6thrust23THRUST_200600_302600_NS6detail15normal_iteratorINSB_10device_ptrIjEEEENSD_INSE_IS6_EEEESI_S6_NSB_4plusIvEENSB_8equal_toIvEES6_EE10hipError_tPvRmT2_T3_T4_T5_mT6_T7_P12ihipStream_tbENKUlT_T0_E_clISt17integral_constantIbLb1EES12_IbLb0EEEEDaSY_SZ_EUlSY_E_NS1_11comp_targetILNS1_3genE10ELNS1_11target_archE1200ELNS1_3gpuE4ELNS1_3repE0EEENS1_30default_config_static_selectorELNS0_4arch9wavefront6targetE0EEEvT1_: ; @_ZN7rocprim17ROCPRIM_400000_NS6detail17trampoline_kernelINS0_14default_configENS1_27scan_by_key_config_selectorIj11FixedVectorIiLj2EEEEZZNS1_16scan_by_key_implILNS1_25lookback_scan_determinismE0ELb0ES3_N6thrust23THRUST_200600_302600_NS6detail15normal_iteratorINSB_10device_ptrIjEEEENSD_INSE_IS6_EEEESI_S6_NSB_4plusIvEENSB_8equal_toIvEES6_EE10hipError_tPvRmT2_T3_T4_T5_mT6_T7_P12ihipStream_tbENKUlT_T0_E_clISt17integral_constantIbLb1EES12_IbLb0EEEEDaSY_SZ_EUlSY_E_NS1_11comp_targetILNS1_3genE10ELNS1_11target_archE1200ELNS1_3gpuE4ELNS1_3repE0EEENS1_30default_config_static_selectorELNS0_4arch9wavefront6targetE0EEEvT1_
; %bb.0:
	.section	.rodata,"a",@progbits
	.p2align	6, 0x0
	.amdhsa_kernel _ZN7rocprim17ROCPRIM_400000_NS6detail17trampoline_kernelINS0_14default_configENS1_27scan_by_key_config_selectorIj11FixedVectorIiLj2EEEEZZNS1_16scan_by_key_implILNS1_25lookback_scan_determinismE0ELb0ES3_N6thrust23THRUST_200600_302600_NS6detail15normal_iteratorINSB_10device_ptrIjEEEENSD_INSE_IS6_EEEESI_S6_NSB_4plusIvEENSB_8equal_toIvEES6_EE10hipError_tPvRmT2_T3_T4_T5_mT6_T7_P12ihipStream_tbENKUlT_T0_E_clISt17integral_constantIbLb1EES12_IbLb0EEEEDaSY_SZ_EUlSY_E_NS1_11comp_targetILNS1_3genE10ELNS1_11target_archE1200ELNS1_3gpuE4ELNS1_3repE0EEENS1_30default_config_static_selectorELNS0_4arch9wavefront6targetE0EEEvT1_
		.amdhsa_group_segment_fixed_size 0
		.amdhsa_private_segment_fixed_size 0
		.amdhsa_kernarg_size 120
		.amdhsa_user_sgpr_count 6
		.amdhsa_user_sgpr_private_segment_buffer 1
		.amdhsa_user_sgpr_dispatch_ptr 0
		.amdhsa_user_sgpr_queue_ptr 0
		.amdhsa_user_sgpr_kernarg_segment_ptr 1
		.amdhsa_user_sgpr_dispatch_id 0
		.amdhsa_user_sgpr_flat_scratch_init 0
		.amdhsa_user_sgpr_private_segment_size 0
		.amdhsa_wavefront_size32 1
		.amdhsa_uses_dynamic_stack 0
		.amdhsa_system_sgpr_private_segment_wavefront_offset 0
		.amdhsa_system_sgpr_workgroup_id_x 1
		.amdhsa_system_sgpr_workgroup_id_y 0
		.amdhsa_system_sgpr_workgroup_id_z 0
		.amdhsa_system_sgpr_workgroup_info 0
		.amdhsa_system_vgpr_workitem_id 0
		.amdhsa_next_free_vgpr 1
		.amdhsa_next_free_sgpr 1
		.amdhsa_reserve_vcc 0
		.amdhsa_reserve_flat_scratch 0
		.amdhsa_float_round_mode_32 0
		.amdhsa_float_round_mode_16_64 0
		.amdhsa_float_denorm_mode_32 3
		.amdhsa_float_denorm_mode_16_64 3
		.amdhsa_dx10_clamp 1
		.amdhsa_ieee_mode 1
		.amdhsa_fp16_overflow 0
		.amdhsa_workgroup_processor_mode 1
		.amdhsa_memory_ordered 1
		.amdhsa_forward_progress 1
		.amdhsa_shared_vgpr_count 0
		.amdhsa_exception_fp_ieee_invalid_op 0
		.amdhsa_exception_fp_denorm_src 0
		.amdhsa_exception_fp_ieee_div_zero 0
		.amdhsa_exception_fp_ieee_overflow 0
		.amdhsa_exception_fp_ieee_underflow 0
		.amdhsa_exception_fp_ieee_inexact 0
		.amdhsa_exception_int_div_zero 0
	.end_amdhsa_kernel
	.section	.text._ZN7rocprim17ROCPRIM_400000_NS6detail17trampoline_kernelINS0_14default_configENS1_27scan_by_key_config_selectorIj11FixedVectorIiLj2EEEEZZNS1_16scan_by_key_implILNS1_25lookback_scan_determinismE0ELb0ES3_N6thrust23THRUST_200600_302600_NS6detail15normal_iteratorINSB_10device_ptrIjEEEENSD_INSE_IS6_EEEESI_S6_NSB_4plusIvEENSB_8equal_toIvEES6_EE10hipError_tPvRmT2_T3_T4_T5_mT6_T7_P12ihipStream_tbENKUlT_T0_E_clISt17integral_constantIbLb1EES12_IbLb0EEEEDaSY_SZ_EUlSY_E_NS1_11comp_targetILNS1_3genE10ELNS1_11target_archE1200ELNS1_3gpuE4ELNS1_3repE0EEENS1_30default_config_static_selectorELNS0_4arch9wavefront6targetE0EEEvT1_,"axG",@progbits,_ZN7rocprim17ROCPRIM_400000_NS6detail17trampoline_kernelINS0_14default_configENS1_27scan_by_key_config_selectorIj11FixedVectorIiLj2EEEEZZNS1_16scan_by_key_implILNS1_25lookback_scan_determinismE0ELb0ES3_N6thrust23THRUST_200600_302600_NS6detail15normal_iteratorINSB_10device_ptrIjEEEENSD_INSE_IS6_EEEESI_S6_NSB_4plusIvEENSB_8equal_toIvEES6_EE10hipError_tPvRmT2_T3_T4_T5_mT6_T7_P12ihipStream_tbENKUlT_T0_E_clISt17integral_constantIbLb1EES12_IbLb0EEEEDaSY_SZ_EUlSY_E_NS1_11comp_targetILNS1_3genE10ELNS1_11target_archE1200ELNS1_3gpuE4ELNS1_3repE0EEENS1_30default_config_static_selectorELNS0_4arch9wavefront6targetE0EEEvT1_,comdat
.Lfunc_end1979:
	.size	_ZN7rocprim17ROCPRIM_400000_NS6detail17trampoline_kernelINS0_14default_configENS1_27scan_by_key_config_selectorIj11FixedVectorIiLj2EEEEZZNS1_16scan_by_key_implILNS1_25lookback_scan_determinismE0ELb0ES3_N6thrust23THRUST_200600_302600_NS6detail15normal_iteratorINSB_10device_ptrIjEEEENSD_INSE_IS6_EEEESI_S6_NSB_4plusIvEENSB_8equal_toIvEES6_EE10hipError_tPvRmT2_T3_T4_T5_mT6_T7_P12ihipStream_tbENKUlT_T0_E_clISt17integral_constantIbLb1EES12_IbLb0EEEEDaSY_SZ_EUlSY_E_NS1_11comp_targetILNS1_3genE10ELNS1_11target_archE1200ELNS1_3gpuE4ELNS1_3repE0EEENS1_30default_config_static_selectorELNS0_4arch9wavefront6targetE0EEEvT1_, .Lfunc_end1979-_ZN7rocprim17ROCPRIM_400000_NS6detail17trampoline_kernelINS0_14default_configENS1_27scan_by_key_config_selectorIj11FixedVectorIiLj2EEEEZZNS1_16scan_by_key_implILNS1_25lookback_scan_determinismE0ELb0ES3_N6thrust23THRUST_200600_302600_NS6detail15normal_iteratorINSB_10device_ptrIjEEEENSD_INSE_IS6_EEEESI_S6_NSB_4plusIvEENSB_8equal_toIvEES6_EE10hipError_tPvRmT2_T3_T4_T5_mT6_T7_P12ihipStream_tbENKUlT_T0_E_clISt17integral_constantIbLb1EES12_IbLb0EEEEDaSY_SZ_EUlSY_E_NS1_11comp_targetILNS1_3genE10ELNS1_11target_archE1200ELNS1_3gpuE4ELNS1_3repE0EEENS1_30default_config_static_selectorELNS0_4arch9wavefront6targetE0EEEvT1_
                                        ; -- End function
	.set _ZN7rocprim17ROCPRIM_400000_NS6detail17trampoline_kernelINS0_14default_configENS1_27scan_by_key_config_selectorIj11FixedVectorIiLj2EEEEZZNS1_16scan_by_key_implILNS1_25lookback_scan_determinismE0ELb0ES3_N6thrust23THRUST_200600_302600_NS6detail15normal_iteratorINSB_10device_ptrIjEEEENSD_INSE_IS6_EEEESI_S6_NSB_4plusIvEENSB_8equal_toIvEES6_EE10hipError_tPvRmT2_T3_T4_T5_mT6_T7_P12ihipStream_tbENKUlT_T0_E_clISt17integral_constantIbLb1EES12_IbLb0EEEEDaSY_SZ_EUlSY_E_NS1_11comp_targetILNS1_3genE10ELNS1_11target_archE1200ELNS1_3gpuE4ELNS1_3repE0EEENS1_30default_config_static_selectorELNS0_4arch9wavefront6targetE0EEEvT1_.num_vgpr, 0
	.set _ZN7rocprim17ROCPRIM_400000_NS6detail17trampoline_kernelINS0_14default_configENS1_27scan_by_key_config_selectorIj11FixedVectorIiLj2EEEEZZNS1_16scan_by_key_implILNS1_25lookback_scan_determinismE0ELb0ES3_N6thrust23THRUST_200600_302600_NS6detail15normal_iteratorINSB_10device_ptrIjEEEENSD_INSE_IS6_EEEESI_S6_NSB_4plusIvEENSB_8equal_toIvEES6_EE10hipError_tPvRmT2_T3_T4_T5_mT6_T7_P12ihipStream_tbENKUlT_T0_E_clISt17integral_constantIbLb1EES12_IbLb0EEEEDaSY_SZ_EUlSY_E_NS1_11comp_targetILNS1_3genE10ELNS1_11target_archE1200ELNS1_3gpuE4ELNS1_3repE0EEENS1_30default_config_static_selectorELNS0_4arch9wavefront6targetE0EEEvT1_.num_agpr, 0
	.set _ZN7rocprim17ROCPRIM_400000_NS6detail17trampoline_kernelINS0_14default_configENS1_27scan_by_key_config_selectorIj11FixedVectorIiLj2EEEEZZNS1_16scan_by_key_implILNS1_25lookback_scan_determinismE0ELb0ES3_N6thrust23THRUST_200600_302600_NS6detail15normal_iteratorINSB_10device_ptrIjEEEENSD_INSE_IS6_EEEESI_S6_NSB_4plusIvEENSB_8equal_toIvEES6_EE10hipError_tPvRmT2_T3_T4_T5_mT6_T7_P12ihipStream_tbENKUlT_T0_E_clISt17integral_constantIbLb1EES12_IbLb0EEEEDaSY_SZ_EUlSY_E_NS1_11comp_targetILNS1_3genE10ELNS1_11target_archE1200ELNS1_3gpuE4ELNS1_3repE0EEENS1_30default_config_static_selectorELNS0_4arch9wavefront6targetE0EEEvT1_.numbered_sgpr, 0
	.set _ZN7rocprim17ROCPRIM_400000_NS6detail17trampoline_kernelINS0_14default_configENS1_27scan_by_key_config_selectorIj11FixedVectorIiLj2EEEEZZNS1_16scan_by_key_implILNS1_25lookback_scan_determinismE0ELb0ES3_N6thrust23THRUST_200600_302600_NS6detail15normal_iteratorINSB_10device_ptrIjEEEENSD_INSE_IS6_EEEESI_S6_NSB_4plusIvEENSB_8equal_toIvEES6_EE10hipError_tPvRmT2_T3_T4_T5_mT6_T7_P12ihipStream_tbENKUlT_T0_E_clISt17integral_constantIbLb1EES12_IbLb0EEEEDaSY_SZ_EUlSY_E_NS1_11comp_targetILNS1_3genE10ELNS1_11target_archE1200ELNS1_3gpuE4ELNS1_3repE0EEENS1_30default_config_static_selectorELNS0_4arch9wavefront6targetE0EEEvT1_.num_named_barrier, 0
	.set _ZN7rocprim17ROCPRIM_400000_NS6detail17trampoline_kernelINS0_14default_configENS1_27scan_by_key_config_selectorIj11FixedVectorIiLj2EEEEZZNS1_16scan_by_key_implILNS1_25lookback_scan_determinismE0ELb0ES3_N6thrust23THRUST_200600_302600_NS6detail15normal_iteratorINSB_10device_ptrIjEEEENSD_INSE_IS6_EEEESI_S6_NSB_4plusIvEENSB_8equal_toIvEES6_EE10hipError_tPvRmT2_T3_T4_T5_mT6_T7_P12ihipStream_tbENKUlT_T0_E_clISt17integral_constantIbLb1EES12_IbLb0EEEEDaSY_SZ_EUlSY_E_NS1_11comp_targetILNS1_3genE10ELNS1_11target_archE1200ELNS1_3gpuE4ELNS1_3repE0EEENS1_30default_config_static_selectorELNS0_4arch9wavefront6targetE0EEEvT1_.private_seg_size, 0
	.set _ZN7rocprim17ROCPRIM_400000_NS6detail17trampoline_kernelINS0_14default_configENS1_27scan_by_key_config_selectorIj11FixedVectorIiLj2EEEEZZNS1_16scan_by_key_implILNS1_25lookback_scan_determinismE0ELb0ES3_N6thrust23THRUST_200600_302600_NS6detail15normal_iteratorINSB_10device_ptrIjEEEENSD_INSE_IS6_EEEESI_S6_NSB_4plusIvEENSB_8equal_toIvEES6_EE10hipError_tPvRmT2_T3_T4_T5_mT6_T7_P12ihipStream_tbENKUlT_T0_E_clISt17integral_constantIbLb1EES12_IbLb0EEEEDaSY_SZ_EUlSY_E_NS1_11comp_targetILNS1_3genE10ELNS1_11target_archE1200ELNS1_3gpuE4ELNS1_3repE0EEENS1_30default_config_static_selectorELNS0_4arch9wavefront6targetE0EEEvT1_.uses_vcc, 0
	.set _ZN7rocprim17ROCPRIM_400000_NS6detail17trampoline_kernelINS0_14default_configENS1_27scan_by_key_config_selectorIj11FixedVectorIiLj2EEEEZZNS1_16scan_by_key_implILNS1_25lookback_scan_determinismE0ELb0ES3_N6thrust23THRUST_200600_302600_NS6detail15normal_iteratorINSB_10device_ptrIjEEEENSD_INSE_IS6_EEEESI_S6_NSB_4plusIvEENSB_8equal_toIvEES6_EE10hipError_tPvRmT2_T3_T4_T5_mT6_T7_P12ihipStream_tbENKUlT_T0_E_clISt17integral_constantIbLb1EES12_IbLb0EEEEDaSY_SZ_EUlSY_E_NS1_11comp_targetILNS1_3genE10ELNS1_11target_archE1200ELNS1_3gpuE4ELNS1_3repE0EEENS1_30default_config_static_selectorELNS0_4arch9wavefront6targetE0EEEvT1_.uses_flat_scratch, 0
	.set _ZN7rocprim17ROCPRIM_400000_NS6detail17trampoline_kernelINS0_14default_configENS1_27scan_by_key_config_selectorIj11FixedVectorIiLj2EEEEZZNS1_16scan_by_key_implILNS1_25lookback_scan_determinismE0ELb0ES3_N6thrust23THRUST_200600_302600_NS6detail15normal_iteratorINSB_10device_ptrIjEEEENSD_INSE_IS6_EEEESI_S6_NSB_4plusIvEENSB_8equal_toIvEES6_EE10hipError_tPvRmT2_T3_T4_T5_mT6_T7_P12ihipStream_tbENKUlT_T0_E_clISt17integral_constantIbLb1EES12_IbLb0EEEEDaSY_SZ_EUlSY_E_NS1_11comp_targetILNS1_3genE10ELNS1_11target_archE1200ELNS1_3gpuE4ELNS1_3repE0EEENS1_30default_config_static_selectorELNS0_4arch9wavefront6targetE0EEEvT1_.has_dyn_sized_stack, 0
	.set _ZN7rocprim17ROCPRIM_400000_NS6detail17trampoline_kernelINS0_14default_configENS1_27scan_by_key_config_selectorIj11FixedVectorIiLj2EEEEZZNS1_16scan_by_key_implILNS1_25lookback_scan_determinismE0ELb0ES3_N6thrust23THRUST_200600_302600_NS6detail15normal_iteratorINSB_10device_ptrIjEEEENSD_INSE_IS6_EEEESI_S6_NSB_4plusIvEENSB_8equal_toIvEES6_EE10hipError_tPvRmT2_T3_T4_T5_mT6_T7_P12ihipStream_tbENKUlT_T0_E_clISt17integral_constantIbLb1EES12_IbLb0EEEEDaSY_SZ_EUlSY_E_NS1_11comp_targetILNS1_3genE10ELNS1_11target_archE1200ELNS1_3gpuE4ELNS1_3repE0EEENS1_30default_config_static_selectorELNS0_4arch9wavefront6targetE0EEEvT1_.has_recursion, 0
	.set _ZN7rocprim17ROCPRIM_400000_NS6detail17trampoline_kernelINS0_14default_configENS1_27scan_by_key_config_selectorIj11FixedVectorIiLj2EEEEZZNS1_16scan_by_key_implILNS1_25lookback_scan_determinismE0ELb0ES3_N6thrust23THRUST_200600_302600_NS6detail15normal_iteratorINSB_10device_ptrIjEEEENSD_INSE_IS6_EEEESI_S6_NSB_4plusIvEENSB_8equal_toIvEES6_EE10hipError_tPvRmT2_T3_T4_T5_mT6_T7_P12ihipStream_tbENKUlT_T0_E_clISt17integral_constantIbLb1EES12_IbLb0EEEEDaSY_SZ_EUlSY_E_NS1_11comp_targetILNS1_3genE10ELNS1_11target_archE1200ELNS1_3gpuE4ELNS1_3repE0EEENS1_30default_config_static_selectorELNS0_4arch9wavefront6targetE0EEEvT1_.has_indirect_call, 0
	.section	.AMDGPU.csdata,"",@progbits
; Kernel info:
; codeLenInByte = 0
; TotalNumSgprs: 0
; NumVgprs: 0
; ScratchSize: 0
; MemoryBound: 0
; FloatMode: 240
; IeeeMode: 1
; LDSByteSize: 0 bytes/workgroup (compile time only)
; SGPRBlocks: 0
; VGPRBlocks: 0
; NumSGPRsForWavesPerEU: 1
; NumVGPRsForWavesPerEU: 1
; Occupancy: 16
; WaveLimiterHint : 0
; COMPUTE_PGM_RSRC2:SCRATCH_EN: 0
; COMPUTE_PGM_RSRC2:USER_SGPR: 6
; COMPUTE_PGM_RSRC2:TRAP_HANDLER: 0
; COMPUTE_PGM_RSRC2:TGID_X_EN: 1
; COMPUTE_PGM_RSRC2:TGID_Y_EN: 0
; COMPUTE_PGM_RSRC2:TGID_Z_EN: 0
; COMPUTE_PGM_RSRC2:TIDIG_COMP_CNT: 0
	.section	.text._ZN7rocprim17ROCPRIM_400000_NS6detail17trampoline_kernelINS0_14default_configENS1_27scan_by_key_config_selectorIj11FixedVectorIiLj2EEEEZZNS1_16scan_by_key_implILNS1_25lookback_scan_determinismE0ELb0ES3_N6thrust23THRUST_200600_302600_NS6detail15normal_iteratorINSB_10device_ptrIjEEEENSD_INSE_IS6_EEEESI_S6_NSB_4plusIvEENSB_8equal_toIvEES6_EE10hipError_tPvRmT2_T3_T4_T5_mT6_T7_P12ihipStream_tbENKUlT_T0_E_clISt17integral_constantIbLb1EES12_IbLb0EEEEDaSY_SZ_EUlSY_E_NS1_11comp_targetILNS1_3genE9ELNS1_11target_archE1100ELNS1_3gpuE3ELNS1_3repE0EEENS1_30default_config_static_selectorELNS0_4arch9wavefront6targetE0EEEvT1_,"axG",@progbits,_ZN7rocprim17ROCPRIM_400000_NS6detail17trampoline_kernelINS0_14default_configENS1_27scan_by_key_config_selectorIj11FixedVectorIiLj2EEEEZZNS1_16scan_by_key_implILNS1_25lookback_scan_determinismE0ELb0ES3_N6thrust23THRUST_200600_302600_NS6detail15normal_iteratorINSB_10device_ptrIjEEEENSD_INSE_IS6_EEEESI_S6_NSB_4plusIvEENSB_8equal_toIvEES6_EE10hipError_tPvRmT2_T3_T4_T5_mT6_T7_P12ihipStream_tbENKUlT_T0_E_clISt17integral_constantIbLb1EES12_IbLb0EEEEDaSY_SZ_EUlSY_E_NS1_11comp_targetILNS1_3genE9ELNS1_11target_archE1100ELNS1_3gpuE3ELNS1_3repE0EEENS1_30default_config_static_selectorELNS0_4arch9wavefront6targetE0EEEvT1_,comdat
	.protected	_ZN7rocprim17ROCPRIM_400000_NS6detail17trampoline_kernelINS0_14default_configENS1_27scan_by_key_config_selectorIj11FixedVectorIiLj2EEEEZZNS1_16scan_by_key_implILNS1_25lookback_scan_determinismE0ELb0ES3_N6thrust23THRUST_200600_302600_NS6detail15normal_iteratorINSB_10device_ptrIjEEEENSD_INSE_IS6_EEEESI_S6_NSB_4plusIvEENSB_8equal_toIvEES6_EE10hipError_tPvRmT2_T3_T4_T5_mT6_T7_P12ihipStream_tbENKUlT_T0_E_clISt17integral_constantIbLb1EES12_IbLb0EEEEDaSY_SZ_EUlSY_E_NS1_11comp_targetILNS1_3genE9ELNS1_11target_archE1100ELNS1_3gpuE3ELNS1_3repE0EEENS1_30default_config_static_selectorELNS0_4arch9wavefront6targetE0EEEvT1_ ; -- Begin function _ZN7rocprim17ROCPRIM_400000_NS6detail17trampoline_kernelINS0_14default_configENS1_27scan_by_key_config_selectorIj11FixedVectorIiLj2EEEEZZNS1_16scan_by_key_implILNS1_25lookback_scan_determinismE0ELb0ES3_N6thrust23THRUST_200600_302600_NS6detail15normal_iteratorINSB_10device_ptrIjEEEENSD_INSE_IS6_EEEESI_S6_NSB_4plusIvEENSB_8equal_toIvEES6_EE10hipError_tPvRmT2_T3_T4_T5_mT6_T7_P12ihipStream_tbENKUlT_T0_E_clISt17integral_constantIbLb1EES12_IbLb0EEEEDaSY_SZ_EUlSY_E_NS1_11comp_targetILNS1_3genE9ELNS1_11target_archE1100ELNS1_3gpuE3ELNS1_3repE0EEENS1_30default_config_static_selectorELNS0_4arch9wavefront6targetE0EEEvT1_
	.globl	_ZN7rocprim17ROCPRIM_400000_NS6detail17trampoline_kernelINS0_14default_configENS1_27scan_by_key_config_selectorIj11FixedVectorIiLj2EEEEZZNS1_16scan_by_key_implILNS1_25lookback_scan_determinismE0ELb0ES3_N6thrust23THRUST_200600_302600_NS6detail15normal_iteratorINSB_10device_ptrIjEEEENSD_INSE_IS6_EEEESI_S6_NSB_4plusIvEENSB_8equal_toIvEES6_EE10hipError_tPvRmT2_T3_T4_T5_mT6_T7_P12ihipStream_tbENKUlT_T0_E_clISt17integral_constantIbLb1EES12_IbLb0EEEEDaSY_SZ_EUlSY_E_NS1_11comp_targetILNS1_3genE9ELNS1_11target_archE1100ELNS1_3gpuE3ELNS1_3repE0EEENS1_30default_config_static_selectorELNS0_4arch9wavefront6targetE0EEEvT1_
	.p2align	8
	.type	_ZN7rocprim17ROCPRIM_400000_NS6detail17trampoline_kernelINS0_14default_configENS1_27scan_by_key_config_selectorIj11FixedVectorIiLj2EEEEZZNS1_16scan_by_key_implILNS1_25lookback_scan_determinismE0ELb0ES3_N6thrust23THRUST_200600_302600_NS6detail15normal_iteratorINSB_10device_ptrIjEEEENSD_INSE_IS6_EEEESI_S6_NSB_4plusIvEENSB_8equal_toIvEES6_EE10hipError_tPvRmT2_T3_T4_T5_mT6_T7_P12ihipStream_tbENKUlT_T0_E_clISt17integral_constantIbLb1EES12_IbLb0EEEEDaSY_SZ_EUlSY_E_NS1_11comp_targetILNS1_3genE9ELNS1_11target_archE1100ELNS1_3gpuE3ELNS1_3repE0EEENS1_30default_config_static_selectorELNS0_4arch9wavefront6targetE0EEEvT1_,@function
_ZN7rocprim17ROCPRIM_400000_NS6detail17trampoline_kernelINS0_14default_configENS1_27scan_by_key_config_selectorIj11FixedVectorIiLj2EEEEZZNS1_16scan_by_key_implILNS1_25lookback_scan_determinismE0ELb0ES3_N6thrust23THRUST_200600_302600_NS6detail15normal_iteratorINSB_10device_ptrIjEEEENSD_INSE_IS6_EEEESI_S6_NSB_4plusIvEENSB_8equal_toIvEES6_EE10hipError_tPvRmT2_T3_T4_T5_mT6_T7_P12ihipStream_tbENKUlT_T0_E_clISt17integral_constantIbLb1EES12_IbLb0EEEEDaSY_SZ_EUlSY_E_NS1_11comp_targetILNS1_3genE9ELNS1_11target_archE1100ELNS1_3gpuE3ELNS1_3repE0EEENS1_30default_config_static_selectorELNS0_4arch9wavefront6targetE0EEEvT1_: ; @_ZN7rocprim17ROCPRIM_400000_NS6detail17trampoline_kernelINS0_14default_configENS1_27scan_by_key_config_selectorIj11FixedVectorIiLj2EEEEZZNS1_16scan_by_key_implILNS1_25lookback_scan_determinismE0ELb0ES3_N6thrust23THRUST_200600_302600_NS6detail15normal_iteratorINSB_10device_ptrIjEEEENSD_INSE_IS6_EEEESI_S6_NSB_4plusIvEENSB_8equal_toIvEES6_EE10hipError_tPvRmT2_T3_T4_T5_mT6_T7_P12ihipStream_tbENKUlT_T0_E_clISt17integral_constantIbLb1EES12_IbLb0EEEEDaSY_SZ_EUlSY_E_NS1_11comp_targetILNS1_3genE9ELNS1_11target_archE1100ELNS1_3gpuE3ELNS1_3repE0EEENS1_30default_config_static_selectorELNS0_4arch9wavefront6targetE0EEEvT1_
; %bb.0:
	.section	.rodata,"a",@progbits
	.p2align	6, 0x0
	.amdhsa_kernel _ZN7rocprim17ROCPRIM_400000_NS6detail17trampoline_kernelINS0_14default_configENS1_27scan_by_key_config_selectorIj11FixedVectorIiLj2EEEEZZNS1_16scan_by_key_implILNS1_25lookback_scan_determinismE0ELb0ES3_N6thrust23THRUST_200600_302600_NS6detail15normal_iteratorINSB_10device_ptrIjEEEENSD_INSE_IS6_EEEESI_S6_NSB_4plusIvEENSB_8equal_toIvEES6_EE10hipError_tPvRmT2_T3_T4_T5_mT6_T7_P12ihipStream_tbENKUlT_T0_E_clISt17integral_constantIbLb1EES12_IbLb0EEEEDaSY_SZ_EUlSY_E_NS1_11comp_targetILNS1_3genE9ELNS1_11target_archE1100ELNS1_3gpuE3ELNS1_3repE0EEENS1_30default_config_static_selectorELNS0_4arch9wavefront6targetE0EEEvT1_
		.amdhsa_group_segment_fixed_size 0
		.amdhsa_private_segment_fixed_size 0
		.amdhsa_kernarg_size 120
		.amdhsa_user_sgpr_count 6
		.amdhsa_user_sgpr_private_segment_buffer 1
		.amdhsa_user_sgpr_dispatch_ptr 0
		.amdhsa_user_sgpr_queue_ptr 0
		.amdhsa_user_sgpr_kernarg_segment_ptr 1
		.amdhsa_user_sgpr_dispatch_id 0
		.amdhsa_user_sgpr_flat_scratch_init 0
		.amdhsa_user_sgpr_private_segment_size 0
		.amdhsa_wavefront_size32 1
		.amdhsa_uses_dynamic_stack 0
		.amdhsa_system_sgpr_private_segment_wavefront_offset 0
		.amdhsa_system_sgpr_workgroup_id_x 1
		.amdhsa_system_sgpr_workgroup_id_y 0
		.amdhsa_system_sgpr_workgroup_id_z 0
		.amdhsa_system_sgpr_workgroup_info 0
		.amdhsa_system_vgpr_workitem_id 0
		.amdhsa_next_free_vgpr 1
		.amdhsa_next_free_sgpr 1
		.amdhsa_reserve_vcc 0
		.amdhsa_reserve_flat_scratch 0
		.amdhsa_float_round_mode_32 0
		.amdhsa_float_round_mode_16_64 0
		.amdhsa_float_denorm_mode_32 3
		.amdhsa_float_denorm_mode_16_64 3
		.amdhsa_dx10_clamp 1
		.amdhsa_ieee_mode 1
		.amdhsa_fp16_overflow 0
		.amdhsa_workgroup_processor_mode 1
		.amdhsa_memory_ordered 1
		.amdhsa_forward_progress 1
		.amdhsa_shared_vgpr_count 0
		.amdhsa_exception_fp_ieee_invalid_op 0
		.amdhsa_exception_fp_denorm_src 0
		.amdhsa_exception_fp_ieee_div_zero 0
		.amdhsa_exception_fp_ieee_overflow 0
		.amdhsa_exception_fp_ieee_underflow 0
		.amdhsa_exception_fp_ieee_inexact 0
		.amdhsa_exception_int_div_zero 0
	.end_amdhsa_kernel
	.section	.text._ZN7rocprim17ROCPRIM_400000_NS6detail17trampoline_kernelINS0_14default_configENS1_27scan_by_key_config_selectorIj11FixedVectorIiLj2EEEEZZNS1_16scan_by_key_implILNS1_25lookback_scan_determinismE0ELb0ES3_N6thrust23THRUST_200600_302600_NS6detail15normal_iteratorINSB_10device_ptrIjEEEENSD_INSE_IS6_EEEESI_S6_NSB_4plusIvEENSB_8equal_toIvEES6_EE10hipError_tPvRmT2_T3_T4_T5_mT6_T7_P12ihipStream_tbENKUlT_T0_E_clISt17integral_constantIbLb1EES12_IbLb0EEEEDaSY_SZ_EUlSY_E_NS1_11comp_targetILNS1_3genE9ELNS1_11target_archE1100ELNS1_3gpuE3ELNS1_3repE0EEENS1_30default_config_static_selectorELNS0_4arch9wavefront6targetE0EEEvT1_,"axG",@progbits,_ZN7rocprim17ROCPRIM_400000_NS6detail17trampoline_kernelINS0_14default_configENS1_27scan_by_key_config_selectorIj11FixedVectorIiLj2EEEEZZNS1_16scan_by_key_implILNS1_25lookback_scan_determinismE0ELb0ES3_N6thrust23THRUST_200600_302600_NS6detail15normal_iteratorINSB_10device_ptrIjEEEENSD_INSE_IS6_EEEESI_S6_NSB_4plusIvEENSB_8equal_toIvEES6_EE10hipError_tPvRmT2_T3_T4_T5_mT6_T7_P12ihipStream_tbENKUlT_T0_E_clISt17integral_constantIbLb1EES12_IbLb0EEEEDaSY_SZ_EUlSY_E_NS1_11comp_targetILNS1_3genE9ELNS1_11target_archE1100ELNS1_3gpuE3ELNS1_3repE0EEENS1_30default_config_static_selectorELNS0_4arch9wavefront6targetE0EEEvT1_,comdat
.Lfunc_end1980:
	.size	_ZN7rocprim17ROCPRIM_400000_NS6detail17trampoline_kernelINS0_14default_configENS1_27scan_by_key_config_selectorIj11FixedVectorIiLj2EEEEZZNS1_16scan_by_key_implILNS1_25lookback_scan_determinismE0ELb0ES3_N6thrust23THRUST_200600_302600_NS6detail15normal_iteratorINSB_10device_ptrIjEEEENSD_INSE_IS6_EEEESI_S6_NSB_4plusIvEENSB_8equal_toIvEES6_EE10hipError_tPvRmT2_T3_T4_T5_mT6_T7_P12ihipStream_tbENKUlT_T0_E_clISt17integral_constantIbLb1EES12_IbLb0EEEEDaSY_SZ_EUlSY_E_NS1_11comp_targetILNS1_3genE9ELNS1_11target_archE1100ELNS1_3gpuE3ELNS1_3repE0EEENS1_30default_config_static_selectorELNS0_4arch9wavefront6targetE0EEEvT1_, .Lfunc_end1980-_ZN7rocprim17ROCPRIM_400000_NS6detail17trampoline_kernelINS0_14default_configENS1_27scan_by_key_config_selectorIj11FixedVectorIiLj2EEEEZZNS1_16scan_by_key_implILNS1_25lookback_scan_determinismE0ELb0ES3_N6thrust23THRUST_200600_302600_NS6detail15normal_iteratorINSB_10device_ptrIjEEEENSD_INSE_IS6_EEEESI_S6_NSB_4plusIvEENSB_8equal_toIvEES6_EE10hipError_tPvRmT2_T3_T4_T5_mT6_T7_P12ihipStream_tbENKUlT_T0_E_clISt17integral_constantIbLb1EES12_IbLb0EEEEDaSY_SZ_EUlSY_E_NS1_11comp_targetILNS1_3genE9ELNS1_11target_archE1100ELNS1_3gpuE3ELNS1_3repE0EEENS1_30default_config_static_selectorELNS0_4arch9wavefront6targetE0EEEvT1_
                                        ; -- End function
	.set _ZN7rocprim17ROCPRIM_400000_NS6detail17trampoline_kernelINS0_14default_configENS1_27scan_by_key_config_selectorIj11FixedVectorIiLj2EEEEZZNS1_16scan_by_key_implILNS1_25lookback_scan_determinismE0ELb0ES3_N6thrust23THRUST_200600_302600_NS6detail15normal_iteratorINSB_10device_ptrIjEEEENSD_INSE_IS6_EEEESI_S6_NSB_4plusIvEENSB_8equal_toIvEES6_EE10hipError_tPvRmT2_T3_T4_T5_mT6_T7_P12ihipStream_tbENKUlT_T0_E_clISt17integral_constantIbLb1EES12_IbLb0EEEEDaSY_SZ_EUlSY_E_NS1_11comp_targetILNS1_3genE9ELNS1_11target_archE1100ELNS1_3gpuE3ELNS1_3repE0EEENS1_30default_config_static_selectorELNS0_4arch9wavefront6targetE0EEEvT1_.num_vgpr, 0
	.set _ZN7rocprim17ROCPRIM_400000_NS6detail17trampoline_kernelINS0_14default_configENS1_27scan_by_key_config_selectorIj11FixedVectorIiLj2EEEEZZNS1_16scan_by_key_implILNS1_25lookback_scan_determinismE0ELb0ES3_N6thrust23THRUST_200600_302600_NS6detail15normal_iteratorINSB_10device_ptrIjEEEENSD_INSE_IS6_EEEESI_S6_NSB_4plusIvEENSB_8equal_toIvEES6_EE10hipError_tPvRmT2_T3_T4_T5_mT6_T7_P12ihipStream_tbENKUlT_T0_E_clISt17integral_constantIbLb1EES12_IbLb0EEEEDaSY_SZ_EUlSY_E_NS1_11comp_targetILNS1_3genE9ELNS1_11target_archE1100ELNS1_3gpuE3ELNS1_3repE0EEENS1_30default_config_static_selectorELNS0_4arch9wavefront6targetE0EEEvT1_.num_agpr, 0
	.set _ZN7rocprim17ROCPRIM_400000_NS6detail17trampoline_kernelINS0_14default_configENS1_27scan_by_key_config_selectorIj11FixedVectorIiLj2EEEEZZNS1_16scan_by_key_implILNS1_25lookback_scan_determinismE0ELb0ES3_N6thrust23THRUST_200600_302600_NS6detail15normal_iteratorINSB_10device_ptrIjEEEENSD_INSE_IS6_EEEESI_S6_NSB_4plusIvEENSB_8equal_toIvEES6_EE10hipError_tPvRmT2_T3_T4_T5_mT6_T7_P12ihipStream_tbENKUlT_T0_E_clISt17integral_constantIbLb1EES12_IbLb0EEEEDaSY_SZ_EUlSY_E_NS1_11comp_targetILNS1_3genE9ELNS1_11target_archE1100ELNS1_3gpuE3ELNS1_3repE0EEENS1_30default_config_static_selectorELNS0_4arch9wavefront6targetE0EEEvT1_.numbered_sgpr, 0
	.set _ZN7rocprim17ROCPRIM_400000_NS6detail17trampoline_kernelINS0_14default_configENS1_27scan_by_key_config_selectorIj11FixedVectorIiLj2EEEEZZNS1_16scan_by_key_implILNS1_25lookback_scan_determinismE0ELb0ES3_N6thrust23THRUST_200600_302600_NS6detail15normal_iteratorINSB_10device_ptrIjEEEENSD_INSE_IS6_EEEESI_S6_NSB_4plusIvEENSB_8equal_toIvEES6_EE10hipError_tPvRmT2_T3_T4_T5_mT6_T7_P12ihipStream_tbENKUlT_T0_E_clISt17integral_constantIbLb1EES12_IbLb0EEEEDaSY_SZ_EUlSY_E_NS1_11comp_targetILNS1_3genE9ELNS1_11target_archE1100ELNS1_3gpuE3ELNS1_3repE0EEENS1_30default_config_static_selectorELNS0_4arch9wavefront6targetE0EEEvT1_.num_named_barrier, 0
	.set _ZN7rocprim17ROCPRIM_400000_NS6detail17trampoline_kernelINS0_14default_configENS1_27scan_by_key_config_selectorIj11FixedVectorIiLj2EEEEZZNS1_16scan_by_key_implILNS1_25lookback_scan_determinismE0ELb0ES3_N6thrust23THRUST_200600_302600_NS6detail15normal_iteratorINSB_10device_ptrIjEEEENSD_INSE_IS6_EEEESI_S6_NSB_4plusIvEENSB_8equal_toIvEES6_EE10hipError_tPvRmT2_T3_T4_T5_mT6_T7_P12ihipStream_tbENKUlT_T0_E_clISt17integral_constantIbLb1EES12_IbLb0EEEEDaSY_SZ_EUlSY_E_NS1_11comp_targetILNS1_3genE9ELNS1_11target_archE1100ELNS1_3gpuE3ELNS1_3repE0EEENS1_30default_config_static_selectorELNS0_4arch9wavefront6targetE0EEEvT1_.private_seg_size, 0
	.set _ZN7rocprim17ROCPRIM_400000_NS6detail17trampoline_kernelINS0_14default_configENS1_27scan_by_key_config_selectorIj11FixedVectorIiLj2EEEEZZNS1_16scan_by_key_implILNS1_25lookback_scan_determinismE0ELb0ES3_N6thrust23THRUST_200600_302600_NS6detail15normal_iteratorINSB_10device_ptrIjEEEENSD_INSE_IS6_EEEESI_S6_NSB_4plusIvEENSB_8equal_toIvEES6_EE10hipError_tPvRmT2_T3_T4_T5_mT6_T7_P12ihipStream_tbENKUlT_T0_E_clISt17integral_constantIbLb1EES12_IbLb0EEEEDaSY_SZ_EUlSY_E_NS1_11comp_targetILNS1_3genE9ELNS1_11target_archE1100ELNS1_3gpuE3ELNS1_3repE0EEENS1_30default_config_static_selectorELNS0_4arch9wavefront6targetE0EEEvT1_.uses_vcc, 0
	.set _ZN7rocprim17ROCPRIM_400000_NS6detail17trampoline_kernelINS0_14default_configENS1_27scan_by_key_config_selectorIj11FixedVectorIiLj2EEEEZZNS1_16scan_by_key_implILNS1_25lookback_scan_determinismE0ELb0ES3_N6thrust23THRUST_200600_302600_NS6detail15normal_iteratorINSB_10device_ptrIjEEEENSD_INSE_IS6_EEEESI_S6_NSB_4plusIvEENSB_8equal_toIvEES6_EE10hipError_tPvRmT2_T3_T4_T5_mT6_T7_P12ihipStream_tbENKUlT_T0_E_clISt17integral_constantIbLb1EES12_IbLb0EEEEDaSY_SZ_EUlSY_E_NS1_11comp_targetILNS1_3genE9ELNS1_11target_archE1100ELNS1_3gpuE3ELNS1_3repE0EEENS1_30default_config_static_selectorELNS0_4arch9wavefront6targetE0EEEvT1_.uses_flat_scratch, 0
	.set _ZN7rocprim17ROCPRIM_400000_NS6detail17trampoline_kernelINS0_14default_configENS1_27scan_by_key_config_selectorIj11FixedVectorIiLj2EEEEZZNS1_16scan_by_key_implILNS1_25lookback_scan_determinismE0ELb0ES3_N6thrust23THRUST_200600_302600_NS6detail15normal_iteratorINSB_10device_ptrIjEEEENSD_INSE_IS6_EEEESI_S6_NSB_4plusIvEENSB_8equal_toIvEES6_EE10hipError_tPvRmT2_T3_T4_T5_mT6_T7_P12ihipStream_tbENKUlT_T0_E_clISt17integral_constantIbLb1EES12_IbLb0EEEEDaSY_SZ_EUlSY_E_NS1_11comp_targetILNS1_3genE9ELNS1_11target_archE1100ELNS1_3gpuE3ELNS1_3repE0EEENS1_30default_config_static_selectorELNS0_4arch9wavefront6targetE0EEEvT1_.has_dyn_sized_stack, 0
	.set _ZN7rocprim17ROCPRIM_400000_NS6detail17trampoline_kernelINS0_14default_configENS1_27scan_by_key_config_selectorIj11FixedVectorIiLj2EEEEZZNS1_16scan_by_key_implILNS1_25lookback_scan_determinismE0ELb0ES3_N6thrust23THRUST_200600_302600_NS6detail15normal_iteratorINSB_10device_ptrIjEEEENSD_INSE_IS6_EEEESI_S6_NSB_4plusIvEENSB_8equal_toIvEES6_EE10hipError_tPvRmT2_T3_T4_T5_mT6_T7_P12ihipStream_tbENKUlT_T0_E_clISt17integral_constantIbLb1EES12_IbLb0EEEEDaSY_SZ_EUlSY_E_NS1_11comp_targetILNS1_3genE9ELNS1_11target_archE1100ELNS1_3gpuE3ELNS1_3repE0EEENS1_30default_config_static_selectorELNS0_4arch9wavefront6targetE0EEEvT1_.has_recursion, 0
	.set _ZN7rocprim17ROCPRIM_400000_NS6detail17trampoline_kernelINS0_14default_configENS1_27scan_by_key_config_selectorIj11FixedVectorIiLj2EEEEZZNS1_16scan_by_key_implILNS1_25lookback_scan_determinismE0ELb0ES3_N6thrust23THRUST_200600_302600_NS6detail15normal_iteratorINSB_10device_ptrIjEEEENSD_INSE_IS6_EEEESI_S6_NSB_4plusIvEENSB_8equal_toIvEES6_EE10hipError_tPvRmT2_T3_T4_T5_mT6_T7_P12ihipStream_tbENKUlT_T0_E_clISt17integral_constantIbLb1EES12_IbLb0EEEEDaSY_SZ_EUlSY_E_NS1_11comp_targetILNS1_3genE9ELNS1_11target_archE1100ELNS1_3gpuE3ELNS1_3repE0EEENS1_30default_config_static_selectorELNS0_4arch9wavefront6targetE0EEEvT1_.has_indirect_call, 0
	.section	.AMDGPU.csdata,"",@progbits
; Kernel info:
; codeLenInByte = 0
; TotalNumSgprs: 0
; NumVgprs: 0
; ScratchSize: 0
; MemoryBound: 0
; FloatMode: 240
; IeeeMode: 1
; LDSByteSize: 0 bytes/workgroup (compile time only)
; SGPRBlocks: 0
; VGPRBlocks: 0
; NumSGPRsForWavesPerEU: 1
; NumVGPRsForWavesPerEU: 1
; Occupancy: 16
; WaveLimiterHint : 0
; COMPUTE_PGM_RSRC2:SCRATCH_EN: 0
; COMPUTE_PGM_RSRC2:USER_SGPR: 6
; COMPUTE_PGM_RSRC2:TRAP_HANDLER: 0
; COMPUTE_PGM_RSRC2:TGID_X_EN: 1
; COMPUTE_PGM_RSRC2:TGID_Y_EN: 0
; COMPUTE_PGM_RSRC2:TGID_Z_EN: 0
; COMPUTE_PGM_RSRC2:TIDIG_COMP_CNT: 0
	.section	.text._ZN7rocprim17ROCPRIM_400000_NS6detail17trampoline_kernelINS0_14default_configENS1_27scan_by_key_config_selectorIj11FixedVectorIiLj2EEEEZZNS1_16scan_by_key_implILNS1_25lookback_scan_determinismE0ELb0ES3_N6thrust23THRUST_200600_302600_NS6detail15normal_iteratorINSB_10device_ptrIjEEEENSD_INSE_IS6_EEEESI_S6_NSB_4plusIvEENSB_8equal_toIvEES6_EE10hipError_tPvRmT2_T3_T4_T5_mT6_T7_P12ihipStream_tbENKUlT_T0_E_clISt17integral_constantIbLb1EES12_IbLb0EEEEDaSY_SZ_EUlSY_E_NS1_11comp_targetILNS1_3genE8ELNS1_11target_archE1030ELNS1_3gpuE2ELNS1_3repE0EEENS1_30default_config_static_selectorELNS0_4arch9wavefront6targetE0EEEvT1_,"axG",@progbits,_ZN7rocprim17ROCPRIM_400000_NS6detail17trampoline_kernelINS0_14default_configENS1_27scan_by_key_config_selectorIj11FixedVectorIiLj2EEEEZZNS1_16scan_by_key_implILNS1_25lookback_scan_determinismE0ELb0ES3_N6thrust23THRUST_200600_302600_NS6detail15normal_iteratorINSB_10device_ptrIjEEEENSD_INSE_IS6_EEEESI_S6_NSB_4plusIvEENSB_8equal_toIvEES6_EE10hipError_tPvRmT2_T3_T4_T5_mT6_T7_P12ihipStream_tbENKUlT_T0_E_clISt17integral_constantIbLb1EES12_IbLb0EEEEDaSY_SZ_EUlSY_E_NS1_11comp_targetILNS1_3genE8ELNS1_11target_archE1030ELNS1_3gpuE2ELNS1_3repE0EEENS1_30default_config_static_selectorELNS0_4arch9wavefront6targetE0EEEvT1_,comdat
	.protected	_ZN7rocprim17ROCPRIM_400000_NS6detail17trampoline_kernelINS0_14default_configENS1_27scan_by_key_config_selectorIj11FixedVectorIiLj2EEEEZZNS1_16scan_by_key_implILNS1_25lookback_scan_determinismE0ELb0ES3_N6thrust23THRUST_200600_302600_NS6detail15normal_iteratorINSB_10device_ptrIjEEEENSD_INSE_IS6_EEEESI_S6_NSB_4plusIvEENSB_8equal_toIvEES6_EE10hipError_tPvRmT2_T3_T4_T5_mT6_T7_P12ihipStream_tbENKUlT_T0_E_clISt17integral_constantIbLb1EES12_IbLb0EEEEDaSY_SZ_EUlSY_E_NS1_11comp_targetILNS1_3genE8ELNS1_11target_archE1030ELNS1_3gpuE2ELNS1_3repE0EEENS1_30default_config_static_selectorELNS0_4arch9wavefront6targetE0EEEvT1_ ; -- Begin function _ZN7rocprim17ROCPRIM_400000_NS6detail17trampoline_kernelINS0_14default_configENS1_27scan_by_key_config_selectorIj11FixedVectorIiLj2EEEEZZNS1_16scan_by_key_implILNS1_25lookback_scan_determinismE0ELb0ES3_N6thrust23THRUST_200600_302600_NS6detail15normal_iteratorINSB_10device_ptrIjEEEENSD_INSE_IS6_EEEESI_S6_NSB_4plusIvEENSB_8equal_toIvEES6_EE10hipError_tPvRmT2_T3_T4_T5_mT6_T7_P12ihipStream_tbENKUlT_T0_E_clISt17integral_constantIbLb1EES12_IbLb0EEEEDaSY_SZ_EUlSY_E_NS1_11comp_targetILNS1_3genE8ELNS1_11target_archE1030ELNS1_3gpuE2ELNS1_3repE0EEENS1_30default_config_static_selectorELNS0_4arch9wavefront6targetE0EEEvT1_
	.globl	_ZN7rocprim17ROCPRIM_400000_NS6detail17trampoline_kernelINS0_14default_configENS1_27scan_by_key_config_selectorIj11FixedVectorIiLj2EEEEZZNS1_16scan_by_key_implILNS1_25lookback_scan_determinismE0ELb0ES3_N6thrust23THRUST_200600_302600_NS6detail15normal_iteratorINSB_10device_ptrIjEEEENSD_INSE_IS6_EEEESI_S6_NSB_4plusIvEENSB_8equal_toIvEES6_EE10hipError_tPvRmT2_T3_T4_T5_mT6_T7_P12ihipStream_tbENKUlT_T0_E_clISt17integral_constantIbLb1EES12_IbLb0EEEEDaSY_SZ_EUlSY_E_NS1_11comp_targetILNS1_3genE8ELNS1_11target_archE1030ELNS1_3gpuE2ELNS1_3repE0EEENS1_30default_config_static_selectorELNS0_4arch9wavefront6targetE0EEEvT1_
	.p2align	8
	.type	_ZN7rocprim17ROCPRIM_400000_NS6detail17trampoline_kernelINS0_14default_configENS1_27scan_by_key_config_selectorIj11FixedVectorIiLj2EEEEZZNS1_16scan_by_key_implILNS1_25lookback_scan_determinismE0ELb0ES3_N6thrust23THRUST_200600_302600_NS6detail15normal_iteratorINSB_10device_ptrIjEEEENSD_INSE_IS6_EEEESI_S6_NSB_4plusIvEENSB_8equal_toIvEES6_EE10hipError_tPvRmT2_T3_T4_T5_mT6_T7_P12ihipStream_tbENKUlT_T0_E_clISt17integral_constantIbLb1EES12_IbLb0EEEEDaSY_SZ_EUlSY_E_NS1_11comp_targetILNS1_3genE8ELNS1_11target_archE1030ELNS1_3gpuE2ELNS1_3repE0EEENS1_30default_config_static_selectorELNS0_4arch9wavefront6targetE0EEEvT1_,@function
_ZN7rocprim17ROCPRIM_400000_NS6detail17trampoline_kernelINS0_14default_configENS1_27scan_by_key_config_selectorIj11FixedVectorIiLj2EEEEZZNS1_16scan_by_key_implILNS1_25lookback_scan_determinismE0ELb0ES3_N6thrust23THRUST_200600_302600_NS6detail15normal_iteratorINSB_10device_ptrIjEEEENSD_INSE_IS6_EEEESI_S6_NSB_4plusIvEENSB_8equal_toIvEES6_EE10hipError_tPvRmT2_T3_T4_T5_mT6_T7_P12ihipStream_tbENKUlT_T0_E_clISt17integral_constantIbLb1EES12_IbLb0EEEEDaSY_SZ_EUlSY_E_NS1_11comp_targetILNS1_3genE8ELNS1_11target_archE1030ELNS1_3gpuE2ELNS1_3repE0EEENS1_30default_config_static_selectorELNS0_4arch9wavefront6targetE0EEEvT1_: ; @_ZN7rocprim17ROCPRIM_400000_NS6detail17trampoline_kernelINS0_14default_configENS1_27scan_by_key_config_selectorIj11FixedVectorIiLj2EEEEZZNS1_16scan_by_key_implILNS1_25lookback_scan_determinismE0ELb0ES3_N6thrust23THRUST_200600_302600_NS6detail15normal_iteratorINSB_10device_ptrIjEEEENSD_INSE_IS6_EEEESI_S6_NSB_4plusIvEENSB_8equal_toIvEES6_EE10hipError_tPvRmT2_T3_T4_T5_mT6_T7_P12ihipStream_tbENKUlT_T0_E_clISt17integral_constantIbLb1EES12_IbLb0EEEEDaSY_SZ_EUlSY_E_NS1_11comp_targetILNS1_3genE8ELNS1_11target_archE1030ELNS1_3gpuE2ELNS1_3repE0EEENS1_30default_config_static_selectorELNS0_4arch9wavefront6targetE0EEEvT1_
; %bb.0:
	s_endpgm
	.section	.rodata,"a",@progbits
	.p2align	6, 0x0
	.amdhsa_kernel _ZN7rocprim17ROCPRIM_400000_NS6detail17trampoline_kernelINS0_14default_configENS1_27scan_by_key_config_selectorIj11FixedVectorIiLj2EEEEZZNS1_16scan_by_key_implILNS1_25lookback_scan_determinismE0ELb0ES3_N6thrust23THRUST_200600_302600_NS6detail15normal_iteratorINSB_10device_ptrIjEEEENSD_INSE_IS6_EEEESI_S6_NSB_4plusIvEENSB_8equal_toIvEES6_EE10hipError_tPvRmT2_T3_T4_T5_mT6_T7_P12ihipStream_tbENKUlT_T0_E_clISt17integral_constantIbLb1EES12_IbLb0EEEEDaSY_SZ_EUlSY_E_NS1_11comp_targetILNS1_3genE8ELNS1_11target_archE1030ELNS1_3gpuE2ELNS1_3repE0EEENS1_30default_config_static_selectorELNS0_4arch9wavefront6targetE0EEEvT1_
		.amdhsa_group_segment_fixed_size 0
		.amdhsa_private_segment_fixed_size 0
		.amdhsa_kernarg_size 120
		.amdhsa_user_sgpr_count 6
		.amdhsa_user_sgpr_private_segment_buffer 1
		.amdhsa_user_sgpr_dispatch_ptr 0
		.amdhsa_user_sgpr_queue_ptr 0
		.amdhsa_user_sgpr_kernarg_segment_ptr 1
		.amdhsa_user_sgpr_dispatch_id 0
		.amdhsa_user_sgpr_flat_scratch_init 0
		.amdhsa_user_sgpr_private_segment_size 0
		.amdhsa_wavefront_size32 1
		.amdhsa_uses_dynamic_stack 0
		.amdhsa_system_sgpr_private_segment_wavefront_offset 0
		.amdhsa_system_sgpr_workgroup_id_x 1
		.amdhsa_system_sgpr_workgroup_id_y 0
		.amdhsa_system_sgpr_workgroup_id_z 0
		.amdhsa_system_sgpr_workgroup_info 0
		.amdhsa_system_vgpr_workitem_id 0
		.amdhsa_next_free_vgpr 1
		.amdhsa_next_free_sgpr 1
		.amdhsa_reserve_vcc 0
		.amdhsa_reserve_flat_scratch 0
		.amdhsa_float_round_mode_32 0
		.amdhsa_float_round_mode_16_64 0
		.amdhsa_float_denorm_mode_32 3
		.amdhsa_float_denorm_mode_16_64 3
		.amdhsa_dx10_clamp 1
		.amdhsa_ieee_mode 1
		.amdhsa_fp16_overflow 0
		.amdhsa_workgroup_processor_mode 1
		.amdhsa_memory_ordered 1
		.amdhsa_forward_progress 1
		.amdhsa_shared_vgpr_count 0
		.amdhsa_exception_fp_ieee_invalid_op 0
		.amdhsa_exception_fp_denorm_src 0
		.amdhsa_exception_fp_ieee_div_zero 0
		.amdhsa_exception_fp_ieee_overflow 0
		.amdhsa_exception_fp_ieee_underflow 0
		.amdhsa_exception_fp_ieee_inexact 0
		.amdhsa_exception_int_div_zero 0
	.end_amdhsa_kernel
	.section	.text._ZN7rocprim17ROCPRIM_400000_NS6detail17trampoline_kernelINS0_14default_configENS1_27scan_by_key_config_selectorIj11FixedVectorIiLj2EEEEZZNS1_16scan_by_key_implILNS1_25lookback_scan_determinismE0ELb0ES3_N6thrust23THRUST_200600_302600_NS6detail15normal_iteratorINSB_10device_ptrIjEEEENSD_INSE_IS6_EEEESI_S6_NSB_4plusIvEENSB_8equal_toIvEES6_EE10hipError_tPvRmT2_T3_T4_T5_mT6_T7_P12ihipStream_tbENKUlT_T0_E_clISt17integral_constantIbLb1EES12_IbLb0EEEEDaSY_SZ_EUlSY_E_NS1_11comp_targetILNS1_3genE8ELNS1_11target_archE1030ELNS1_3gpuE2ELNS1_3repE0EEENS1_30default_config_static_selectorELNS0_4arch9wavefront6targetE0EEEvT1_,"axG",@progbits,_ZN7rocprim17ROCPRIM_400000_NS6detail17trampoline_kernelINS0_14default_configENS1_27scan_by_key_config_selectorIj11FixedVectorIiLj2EEEEZZNS1_16scan_by_key_implILNS1_25lookback_scan_determinismE0ELb0ES3_N6thrust23THRUST_200600_302600_NS6detail15normal_iteratorINSB_10device_ptrIjEEEENSD_INSE_IS6_EEEESI_S6_NSB_4plusIvEENSB_8equal_toIvEES6_EE10hipError_tPvRmT2_T3_T4_T5_mT6_T7_P12ihipStream_tbENKUlT_T0_E_clISt17integral_constantIbLb1EES12_IbLb0EEEEDaSY_SZ_EUlSY_E_NS1_11comp_targetILNS1_3genE8ELNS1_11target_archE1030ELNS1_3gpuE2ELNS1_3repE0EEENS1_30default_config_static_selectorELNS0_4arch9wavefront6targetE0EEEvT1_,comdat
.Lfunc_end1981:
	.size	_ZN7rocprim17ROCPRIM_400000_NS6detail17trampoline_kernelINS0_14default_configENS1_27scan_by_key_config_selectorIj11FixedVectorIiLj2EEEEZZNS1_16scan_by_key_implILNS1_25lookback_scan_determinismE0ELb0ES3_N6thrust23THRUST_200600_302600_NS6detail15normal_iteratorINSB_10device_ptrIjEEEENSD_INSE_IS6_EEEESI_S6_NSB_4plusIvEENSB_8equal_toIvEES6_EE10hipError_tPvRmT2_T3_T4_T5_mT6_T7_P12ihipStream_tbENKUlT_T0_E_clISt17integral_constantIbLb1EES12_IbLb0EEEEDaSY_SZ_EUlSY_E_NS1_11comp_targetILNS1_3genE8ELNS1_11target_archE1030ELNS1_3gpuE2ELNS1_3repE0EEENS1_30default_config_static_selectorELNS0_4arch9wavefront6targetE0EEEvT1_, .Lfunc_end1981-_ZN7rocprim17ROCPRIM_400000_NS6detail17trampoline_kernelINS0_14default_configENS1_27scan_by_key_config_selectorIj11FixedVectorIiLj2EEEEZZNS1_16scan_by_key_implILNS1_25lookback_scan_determinismE0ELb0ES3_N6thrust23THRUST_200600_302600_NS6detail15normal_iteratorINSB_10device_ptrIjEEEENSD_INSE_IS6_EEEESI_S6_NSB_4plusIvEENSB_8equal_toIvEES6_EE10hipError_tPvRmT2_T3_T4_T5_mT6_T7_P12ihipStream_tbENKUlT_T0_E_clISt17integral_constantIbLb1EES12_IbLb0EEEEDaSY_SZ_EUlSY_E_NS1_11comp_targetILNS1_3genE8ELNS1_11target_archE1030ELNS1_3gpuE2ELNS1_3repE0EEENS1_30default_config_static_selectorELNS0_4arch9wavefront6targetE0EEEvT1_
                                        ; -- End function
	.set _ZN7rocprim17ROCPRIM_400000_NS6detail17trampoline_kernelINS0_14default_configENS1_27scan_by_key_config_selectorIj11FixedVectorIiLj2EEEEZZNS1_16scan_by_key_implILNS1_25lookback_scan_determinismE0ELb0ES3_N6thrust23THRUST_200600_302600_NS6detail15normal_iteratorINSB_10device_ptrIjEEEENSD_INSE_IS6_EEEESI_S6_NSB_4plusIvEENSB_8equal_toIvEES6_EE10hipError_tPvRmT2_T3_T4_T5_mT6_T7_P12ihipStream_tbENKUlT_T0_E_clISt17integral_constantIbLb1EES12_IbLb0EEEEDaSY_SZ_EUlSY_E_NS1_11comp_targetILNS1_3genE8ELNS1_11target_archE1030ELNS1_3gpuE2ELNS1_3repE0EEENS1_30default_config_static_selectorELNS0_4arch9wavefront6targetE0EEEvT1_.num_vgpr, 0
	.set _ZN7rocprim17ROCPRIM_400000_NS6detail17trampoline_kernelINS0_14default_configENS1_27scan_by_key_config_selectorIj11FixedVectorIiLj2EEEEZZNS1_16scan_by_key_implILNS1_25lookback_scan_determinismE0ELb0ES3_N6thrust23THRUST_200600_302600_NS6detail15normal_iteratorINSB_10device_ptrIjEEEENSD_INSE_IS6_EEEESI_S6_NSB_4plusIvEENSB_8equal_toIvEES6_EE10hipError_tPvRmT2_T3_T4_T5_mT6_T7_P12ihipStream_tbENKUlT_T0_E_clISt17integral_constantIbLb1EES12_IbLb0EEEEDaSY_SZ_EUlSY_E_NS1_11comp_targetILNS1_3genE8ELNS1_11target_archE1030ELNS1_3gpuE2ELNS1_3repE0EEENS1_30default_config_static_selectorELNS0_4arch9wavefront6targetE0EEEvT1_.num_agpr, 0
	.set _ZN7rocprim17ROCPRIM_400000_NS6detail17trampoline_kernelINS0_14default_configENS1_27scan_by_key_config_selectorIj11FixedVectorIiLj2EEEEZZNS1_16scan_by_key_implILNS1_25lookback_scan_determinismE0ELb0ES3_N6thrust23THRUST_200600_302600_NS6detail15normal_iteratorINSB_10device_ptrIjEEEENSD_INSE_IS6_EEEESI_S6_NSB_4plusIvEENSB_8equal_toIvEES6_EE10hipError_tPvRmT2_T3_T4_T5_mT6_T7_P12ihipStream_tbENKUlT_T0_E_clISt17integral_constantIbLb1EES12_IbLb0EEEEDaSY_SZ_EUlSY_E_NS1_11comp_targetILNS1_3genE8ELNS1_11target_archE1030ELNS1_3gpuE2ELNS1_3repE0EEENS1_30default_config_static_selectorELNS0_4arch9wavefront6targetE0EEEvT1_.numbered_sgpr, 0
	.set _ZN7rocprim17ROCPRIM_400000_NS6detail17trampoline_kernelINS0_14default_configENS1_27scan_by_key_config_selectorIj11FixedVectorIiLj2EEEEZZNS1_16scan_by_key_implILNS1_25lookback_scan_determinismE0ELb0ES3_N6thrust23THRUST_200600_302600_NS6detail15normal_iteratorINSB_10device_ptrIjEEEENSD_INSE_IS6_EEEESI_S6_NSB_4plusIvEENSB_8equal_toIvEES6_EE10hipError_tPvRmT2_T3_T4_T5_mT6_T7_P12ihipStream_tbENKUlT_T0_E_clISt17integral_constantIbLb1EES12_IbLb0EEEEDaSY_SZ_EUlSY_E_NS1_11comp_targetILNS1_3genE8ELNS1_11target_archE1030ELNS1_3gpuE2ELNS1_3repE0EEENS1_30default_config_static_selectorELNS0_4arch9wavefront6targetE0EEEvT1_.num_named_barrier, 0
	.set _ZN7rocprim17ROCPRIM_400000_NS6detail17trampoline_kernelINS0_14default_configENS1_27scan_by_key_config_selectorIj11FixedVectorIiLj2EEEEZZNS1_16scan_by_key_implILNS1_25lookback_scan_determinismE0ELb0ES3_N6thrust23THRUST_200600_302600_NS6detail15normal_iteratorINSB_10device_ptrIjEEEENSD_INSE_IS6_EEEESI_S6_NSB_4plusIvEENSB_8equal_toIvEES6_EE10hipError_tPvRmT2_T3_T4_T5_mT6_T7_P12ihipStream_tbENKUlT_T0_E_clISt17integral_constantIbLb1EES12_IbLb0EEEEDaSY_SZ_EUlSY_E_NS1_11comp_targetILNS1_3genE8ELNS1_11target_archE1030ELNS1_3gpuE2ELNS1_3repE0EEENS1_30default_config_static_selectorELNS0_4arch9wavefront6targetE0EEEvT1_.private_seg_size, 0
	.set _ZN7rocprim17ROCPRIM_400000_NS6detail17trampoline_kernelINS0_14default_configENS1_27scan_by_key_config_selectorIj11FixedVectorIiLj2EEEEZZNS1_16scan_by_key_implILNS1_25lookback_scan_determinismE0ELb0ES3_N6thrust23THRUST_200600_302600_NS6detail15normal_iteratorINSB_10device_ptrIjEEEENSD_INSE_IS6_EEEESI_S6_NSB_4plusIvEENSB_8equal_toIvEES6_EE10hipError_tPvRmT2_T3_T4_T5_mT6_T7_P12ihipStream_tbENKUlT_T0_E_clISt17integral_constantIbLb1EES12_IbLb0EEEEDaSY_SZ_EUlSY_E_NS1_11comp_targetILNS1_3genE8ELNS1_11target_archE1030ELNS1_3gpuE2ELNS1_3repE0EEENS1_30default_config_static_selectorELNS0_4arch9wavefront6targetE0EEEvT1_.uses_vcc, 0
	.set _ZN7rocprim17ROCPRIM_400000_NS6detail17trampoline_kernelINS0_14default_configENS1_27scan_by_key_config_selectorIj11FixedVectorIiLj2EEEEZZNS1_16scan_by_key_implILNS1_25lookback_scan_determinismE0ELb0ES3_N6thrust23THRUST_200600_302600_NS6detail15normal_iteratorINSB_10device_ptrIjEEEENSD_INSE_IS6_EEEESI_S6_NSB_4plusIvEENSB_8equal_toIvEES6_EE10hipError_tPvRmT2_T3_T4_T5_mT6_T7_P12ihipStream_tbENKUlT_T0_E_clISt17integral_constantIbLb1EES12_IbLb0EEEEDaSY_SZ_EUlSY_E_NS1_11comp_targetILNS1_3genE8ELNS1_11target_archE1030ELNS1_3gpuE2ELNS1_3repE0EEENS1_30default_config_static_selectorELNS0_4arch9wavefront6targetE0EEEvT1_.uses_flat_scratch, 0
	.set _ZN7rocprim17ROCPRIM_400000_NS6detail17trampoline_kernelINS0_14default_configENS1_27scan_by_key_config_selectorIj11FixedVectorIiLj2EEEEZZNS1_16scan_by_key_implILNS1_25lookback_scan_determinismE0ELb0ES3_N6thrust23THRUST_200600_302600_NS6detail15normal_iteratorINSB_10device_ptrIjEEEENSD_INSE_IS6_EEEESI_S6_NSB_4plusIvEENSB_8equal_toIvEES6_EE10hipError_tPvRmT2_T3_T4_T5_mT6_T7_P12ihipStream_tbENKUlT_T0_E_clISt17integral_constantIbLb1EES12_IbLb0EEEEDaSY_SZ_EUlSY_E_NS1_11comp_targetILNS1_3genE8ELNS1_11target_archE1030ELNS1_3gpuE2ELNS1_3repE0EEENS1_30default_config_static_selectorELNS0_4arch9wavefront6targetE0EEEvT1_.has_dyn_sized_stack, 0
	.set _ZN7rocprim17ROCPRIM_400000_NS6detail17trampoline_kernelINS0_14default_configENS1_27scan_by_key_config_selectorIj11FixedVectorIiLj2EEEEZZNS1_16scan_by_key_implILNS1_25lookback_scan_determinismE0ELb0ES3_N6thrust23THRUST_200600_302600_NS6detail15normal_iteratorINSB_10device_ptrIjEEEENSD_INSE_IS6_EEEESI_S6_NSB_4plusIvEENSB_8equal_toIvEES6_EE10hipError_tPvRmT2_T3_T4_T5_mT6_T7_P12ihipStream_tbENKUlT_T0_E_clISt17integral_constantIbLb1EES12_IbLb0EEEEDaSY_SZ_EUlSY_E_NS1_11comp_targetILNS1_3genE8ELNS1_11target_archE1030ELNS1_3gpuE2ELNS1_3repE0EEENS1_30default_config_static_selectorELNS0_4arch9wavefront6targetE0EEEvT1_.has_recursion, 0
	.set _ZN7rocprim17ROCPRIM_400000_NS6detail17trampoline_kernelINS0_14default_configENS1_27scan_by_key_config_selectorIj11FixedVectorIiLj2EEEEZZNS1_16scan_by_key_implILNS1_25lookback_scan_determinismE0ELb0ES3_N6thrust23THRUST_200600_302600_NS6detail15normal_iteratorINSB_10device_ptrIjEEEENSD_INSE_IS6_EEEESI_S6_NSB_4plusIvEENSB_8equal_toIvEES6_EE10hipError_tPvRmT2_T3_T4_T5_mT6_T7_P12ihipStream_tbENKUlT_T0_E_clISt17integral_constantIbLb1EES12_IbLb0EEEEDaSY_SZ_EUlSY_E_NS1_11comp_targetILNS1_3genE8ELNS1_11target_archE1030ELNS1_3gpuE2ELNS1_3repE0EEENS1_30default_config_static_selectorELNS0_4arch9wavefront6targetE0EEEvT1_.has_indirect_call, 0
	.section	.AMDGPU.csdata,"",@progbits
; Kernel info:
; codeLenInByte = 4
; TotalNumSgprs: 0
; NumVgprs: 0
; ScratchSize: 0
; MemoryBound: 0
; FloatMode: 240
; IeeeMode: 1
; LDSByteSize: 0 bytes/workgroup (compile time only)
; SGPRBlocks: 0
; VGPRBlocks: 0
; NumSGPRsForWavesPerEU: 1
; NumVGPRsForWavesPerEU: 1
; Occupancy: 16
; WaveLimiterHint : 0
; COMPUTE_PGM_RSRC2:SCRATCH_EN: 0
; COMPUTE_PGM_RSRC2:USER_SGPR: 6
; COMPUTE_PGM_RSRC2:TRAP_HANDLER: 0
; COMPUTE_PGM_RSRC2:TGID_X_EN: 1
; COMPUTE_PGM_RSRC2:TGID_Y_EN: 0
; COMPUTE_PGM_RSRC2:TGID_Z_EN: 0
; COMPUTE_PGM_RSRC2:TIDIG_COMP_CNT: 0
	.section	.text._ZN7rocprim17ROCPRIM_400000_NS6detail30init_device_scan_by_key_kernelINS1_19lookback_scan_stateINS0_5tupleIJ11FixedVectorIiLj2EEbEEELb0ELb1EEEN6thrust23THRUST_200600_302600_NS6detail15normal_iteratorINSA_10device_ptrIjEEEEjNS1_16block_id_wrapperIjLb1EEEEEvT_jjPNSI_10value_typeET0_PNSt15iterator_traitsISL_E10value_typeEmT1_T2_,"axG",@progbits,_ZN7rocprim17ROCPRIM_400000_NS6detail30init_device_scan_by_key_kernelINS1_19lookback_scan_stateINS0_5tupleIJ11FixedVectorIiLj2EEbEEELb0ELb1EEEN6thrust23THRUST_200600_302600_NS6detail15normal_iteratorINSA_10device_ptrIjEEEEjNS1_16block_id_wrapperIjLb1EEEEEvT_jjPNSI_10value_typeET0_PNSt15iterator_traitsISL_E10value_typeEmT1_T2_,comdat
	.protected	_ZN7rocprim17ROCPRIM_400000_NS6detail30init_device_scan_by_key_kernelINS1_19lookback_scan_stateINS0_5tupleIJ11FixedVectorIiLj2EEbEEELb0ELb1EEEN6thrust23THRUST_200600_302600_NS6detail15normal_iteratorINSA_10device_ptrIjEEEEjNS1_16block_id_wrapperIjLb1EEEEEvT_jjPNSI_10value_typeET0_PNSt15iterator_traitsISL_E10value_typeEmT1_T2_ ; -- Begin function _ZN7rocprim17ROCPRIM_400000_NS6detail30init_device_scan_by_key_kernelINS1_19lookback_scan_stateINS0_5tupleIJ11FixedVectorIiLj2EEbEEELb0ELb1EEEN6thrust23THRUST_200600_302600_NS6detail15normal_iteratorINSA_10device_ptrIjEEEEjNS1_16block_id_wrapperIjLb1EEEEEvT_jjPNSI_10value_typeET0_PNSt15iterator_traitsISL_E10value_typeEmT1_T2_
	.globl	_ZN7rocprim17ROCPRIM_400000_NS6detail30init_device_scan_by_key_kernelINS1_19lookback_scan_stateINS0_5tupleIJ11FixedVectorIiLj2EEbEEELb0ELb1EEEN6thrust23THRUST_200600_302600_NS6detail15normal_iteratorINSA_10device_ptrIjEEEEjNS1_16block_id_wrapperIjLb1EEEEEvT_jjPNSI_10value_typeET0_PNSt15iterator_traitsISL_E10value_typeEmT1_T2_
	.p2align	8
	.type	_ZN7rocprim17ROCPRIM_400000_NS6detail30init_device_scan_by_key_kernelINS1_19lookback_scan_stateINS0_5tupleIJ11FixedVectorIiLj2EEbEEELb0ELb1EEEN6thrust23THRUST_200600_302600_NS6detail15normal_iteratorINSA_10device_ptrIjEEEEjNS1_16block_id_wrapperIjLb1EEEEEvT_jjPNSI_10value_typeET0_PNSt15iterator_traitsISL_E10value_typeEmT1_T2_,@function
_ZN7rocprim17ROCPRIM_400000_NS6detail30init_device_scan_by_key_kernelINS1_19lookback_scan_stateINS0_5tupleIJ11FixedVectorIiLj2EEbEEELb0ELb1EEEN6thrust23THRUST_200600_302600_NS6detail15normal_iteratorINSA_10device_ptrIjEEEEjNS1_16block_id_wrapperIjLb1EEEEEvT_jjPNSI_10value_typeET0_PNSt15iterator_traitsISL_E10value_typeEmT1_T2_: ; @_ZN7rocprim17ROCPRIM_400000_NS6detail30init_device_scan_by_key_kernelINS1_19lookback_scan_stateINS0_5tupleIJ11FixedVectorIiLj2EEbEEELb0ELb1EEEN6thrust23THRUST_200600_302600_NS6detail15normal_iteratorINSA_10device_ptrIjEEEEjNS1_16block_id_wrapperIjLb1EEEEEvT_jjPNSI_10value_typeET0_PNSt15iterator_traitsISL_E10value_typeEmT1_T2_
; %bb.0:
	s_clause 0x2
	s_load_dword s0, s[4:5], 0x4c
	s_load_dwordx8 s[8:15], s[4:5], 0x0
	s_load_dword s7, s[4:5], 0x40
	s_waitcnt lgkmcnt(0)
	s_and_b32 s16, s0, 0xffff
	s_cmp_eq_u64 s[12:13], 0
	v_mad_u64_u32 v[4:5], null, s6, s16, v[0:1]
	s_cbranch_scc1 .LBB1982_8
; %bb.1:
	s_cmp_lt_u32 s11, s10
	s_mov_b32 s1, 0
	s_cselect_b32 s0, s11, 0
	s_mov_b32 s2, exec_lo
	v_cmpx_eq_u32_e64 s0, v4
	s_cbranch_execz .LBB1982_7
; %bb.2:
	s_add_i32 s0, s11, 32
	v_mov_b32_e32 v5, 0
	s_lshl_b64 s[0:1], s[0:1], 4
	s_mov_b32 s3, exec_lo
	s_add_u32 s0, s8, s0
	s_addc_u32 s1, s9, s1
	v_mov_b32_e32 v0, s0
	v_mov_b32_e32 v1, s1
	;;#ASMSTART
	global_load_dwordx4 v[0:3], v[0:1] off glc dlc	
s_waitcnt vmcnt(0)
	;;#ASMEND
	v_and_b32_e32 v6, 0xff, v3
	v_cmpx_eq_u64_e32 0, v[5:6]
	s_cbranch_execz .LBB1982_6
; %bb.3:
	v_mov_b32_e32 v8, s1
	v_mov_b32_e32 v7, s0
	s_mov_b32 s0, 0
.LBB1982_4:                             ; =>This Inner Loop Header: Depth=1
	;;#ASMSTART
	global_load_dwordx4 v[0:3], v[7:8] off glc dlc	
s_waitcnt vmcnt(0)
	;;#ASMEND
	v_and_b32_e32 v6, 0xff, v3
	v_cmp_ne_u64_e32 vcc_lo, 0, v[5:6]
	s_or_b32 s0, vcc_lo, s0
	s_andn2_b32 exec_lo, exec_lo, s0
	s_cbranch_execnz .LBB1982_4
; %bb.5:
	s_or_b32 exec_lo, exec_lo, s0
.LBB1982_6:
	s_or_b32 exec_lo, exec_lo, s3
	v_mov_b32_e32 v3, 0
	global_store_dwordx2 v3, v[0:1], s[12:13]
	global_store_byte v3, v2, s[12:13] offset:8
.LBB1982_7:
	s_or_b32 exec_lo, exec_lo, s2
.LBB1982_8:
	s_mov_b32 s0, exec_lo
	v_cmpx_eq_u32_e32 0, v4
	s_cbranch_execz .LBB1982_10
; %bb.9:
	s_load_dwordx2 s[2:3], s[4:5], 0x38
	v_mov_b32_e32 v0, 0
	s_waitcnt lgkmcnt(0)
	global_store_dword v0, v0, s[2:3]
.LBB1982_10:
	s_or_b32 exec_lo, exec_lo, s0
	s_mov_b32 s0, exec_lo
	v_cmpx_gt_u32_e64 s10, v4
	s_cbranch_execz .LBB1982_12
; %bb.11:
	v_add_nc_u32_e32 v0, 32, v4
	v_mov_b32_e32 v1, 0
	v_lshlrev_b64 v[5:6], 4, v[0:1]
	v_mov_b32_e32 v0, v1
	v_mov_b32_e32 v2, v1
	;; [unrolled: 1-line block ×3, first 2 shown]
	v_add_co_u32 v5, vcc_lo, s8, v5
	v_add_co_ci_u32_e64 v6, null, s9, v6, vcc_lo
	global_store_dwordx4 v[5:6], v[0:3], off
.LBB1982_12:
	s_or_b32 exec_lo, exec_lo, s0
	v_mov_b32_e32 v5, 0
	s_mov_b32 s0, exec_lo
	v_cmpx_lt_u32_e32 31, v4
	s_xor_b32 s0, exec_lo, s0
	s_andn2_saveexec_b32 s0, s0
	s_cbranch_execz .LBB1982_14
; %bb.13:
	v_lshlrev_b64 v[1:2], 4, v[4:5]
	v_mov_b32_e32 v0, 0
	v_mov_b32_e32 v3, 0xff
	v_add_co_u32 v6, vcc_lo, s8, v1
	v_add_co_ci_u32_e64 v7, null, s9, v2, vcc_lo
	v_mov_b32_e32 v1, v0
	v_mov_b32_e32 v2, v0
	global_store_dwordx4 v[6:7], v[0:3], off
.LBB1982_14:
	s_or_b32 exec_lo, exec_lo, s0
	s_load_dwordx2 s[2:3], s[4:5], 0x28
	s_mov_b32 s0, exec_lo
	s_waitcnt lgkmcnt(0)
	v_cmpx_gt_u64_e64 s[2:3], v[4:5]
	s_cbranch_execz .LBB1982_17
; %bb.15:
	s_clause 0x1
	s_load_dword s6, s[4:5], 0x30
	s_load_dwordx2 s[8:9], s[4:5], 0x20
	s_mov_b32 s1, 0
	v_lshlrev_b64 v[2:3], 2, v[4:5]
	s_mul_i32 s4, s7, s16
	s_waitcnt lgkmcnt(0)
	v_mad_u64_u32 v[0:1], null, v4, s6, 0
	s_add_i32 s0, s6, -1
	s_mul_hi_u32 s7, s6, s4
	s_lshl_b64 s[10:11], s[0:1], 2
	s_mul_i32 s6, s6, s4
	s_add_u32 s0, s14, s10
	s_addc_u32 s5, s15, s11
	v_lshlrev_b64 v[0:1], 2, v[0:1]
	s_lshl_b64 s[6:7], s[6:7], 2
	v_add_co_u32 v0, vcc_lo, s0, v0
	v_add_co_ci_u32_e64 v1, null, s5, v1, vcc_lo
	v_add_co_u32 v2, vcc_lo, s8, v2
	v_add_co_ci_u32_e64 v3, null, s9, v3, vcc_lo
	s_mov_b32 s5, s1
	s_lshl_b64 s[8:9], s[4:5], 2
	.p2align	6
.LBB1982_16:                            ; =>This Inner Loop Header: Depth=1
	global_load_dword v6, v[0:1], off
	v_add_co_u32 v4, vcc_lo, v4, s4
	v_add_co_ci_u32_e64 v5, null, 0, v5, vcc_lo
	v_add_co_u32 v0, vcc_lo, v0, s6
	v_add_co_ci_u32_e64 v1, null, s7, v1, vcc_lo
	v_cmp_le_u64_e32 vcc_lo, s[2:3], v[4:5]
	s_or_b32 s1, vcc_lo, s1
	s_waitcnt vmcnt(0)
	global_store_dword v[2:3], v6, off
	v_add_co_u32 v2, s0, v2, s8
	v_add_co_ci_u32_e64 v3, null, s9, v3, s0
	s_andn2_b32 exec_lo, exec_lo, s1
	s_cbranch_execnz .LBB1982_16
.LBB1982_17:
	s_endpgm
	.section	.rodata,"a",@progbits
	.p2align	6, 0x0
	.amdhsa_kernel _ZN7rocprim17ROCPRIM_400000_NS6detail30init_device_scan_by_key_kernelINS1_19lookback_scan_stateINS0_5tupleIJ11FixedVectorIiLj2EEbEEELb0ELb1EEEN6thrust23THRUST_200600_302600_NS6detail15normal_iteratorINSA_10device_ptrIjEEEEjNS1_16block_id_wrapperIjLb1EEEEEvT_jjPNSI_10value_typeET0_PNSt15iterator_traitsISL_E10value_typeEmT1_T2_
		.amdhsa_group_segment_fixed_size 0
		.amdhsa_private_segment_fixed_size 0
		.amdhsa_kernarg_size 320
		.amdhsa_user_sgpr_count 6
		.amdhsa_user_sgpr_private_segment_buffer 1
		.amdhsa_user_sgpr_dispatch_ptr 0
		.amdhsa_user_sgpr_queue_ptr 0
		.amdhsa_user_sgpr_kernarg_segment_ptr 1
		.amdhsa_user_sgpr_dispatch_id 0
		.amdhsa_user_sgpr_flat_scratch_init 0
		.amdhsa_user_sgpr_private_segment_size 0
		.amdhsa_wavefront_size32 1
		.amdhsa_uses_dynamic_stack 0
		.amdhsa_system_sgpr_private_segment_wavefront_offset 0
		.amdhsa_system_sgpr_workgroup_id_x 1
		.amdhsa_system_sgpr_workgroup_id_y 0
		.amdhsa_system_sgpr_workgroup_id_z 0
		.amdhsa_system_sgpr_workgroup_info 0
		.amdhsa_system_vgpr_workitem_id 0
		.amdhsa_next_free_vgpr 9
		.amdhsa_next_free_sgpr 17
		.amdhsa_reserve_vcc 1
		.amdhsa_reserve_flat_scratch 0
		.amdhsa_float_round_mode_32 0
		.amdhsa_float_round_mode_16_64 0
		.amdhsa_float_denorm_mode_32 3
		.amdhsa_float_denorm_mode_16_64 3
		.amdhsa_dx10_clamp 1
		.amdhsa_ieee_mode 1
		.amdhsa_fp16_overflow 0
		.amdhsa_workgroup_processor_mode 1
		.amdhsa_memory_ordered 1
		.amdhsa_forward_progress 1
		.amdhsa_shared_vgpr_count 0
		.amdhsa_exception_fp_ieee_invalid_op 0
		.amdhsa_exception_fp_denorm_src 0
		.amdhsa_exception_fp_ieee_div_zero 0
		.amdhsa_exception_fp_ieee_overflow 0
		.amdhsa_exception_fp_ieee_underflow 0
		.amdhsa_exception_fp_ieee_inexact 0
		.amdhsa_exception_int_div_zero 0
	.end_amdhsa_kernel
	.section	.text._ZN7rocprim17ROCPRIM_400000_NS6detail30init_device_scan_by_key_kernelINS1_19lookback_scan_stateINS0_5tupleIJ11FixedVectorIiLj2EEbEEELb0ELb1EEEN6thrust23THRUST_200600_302600_NS6detail15normal_iteratorINSA_10device_ptrIjEEEEjNS1_16block_id_wrapperIjLb1EEEEEvT_jjPNSI_10value_typeET0_PNSt15iterator_traitsISL_E10value_typeEmT1_T2_,"axG",@progbits,_ZN7rocprim17ROCPRIM_400000_NS6detail30init_device_scan_by_key_kernelINS1_19lookback_scan_stateINS0_5tupleIJ11FixedVectorIiLj2EEbEEELb0ELb1EEEN6thrust23THRUST_200600_302600_NS6detail15normal_iteratorINSA_10device_ptrIjEEEEjNS1_16block_id_wrapperIjLb1EEEEEvT_jjPNSI_10value_typeET0_PNSt15iterator_traitsISL_E10value_typeEmT1_T2_,comdat
.Lfunc_end1982:
	.size	_ZN7rocprim17ROCPRIM_400000_NS6detail30init_device_scan_by_key_kernelINS1_19lookback_scan_stateINS0_5tupleIJ11FixedVectorIiLj2EEbEEELb0ELb1EEEN6thrust23THRUST_200600_302600_NS6detail15normal_iteratorINSA_10device_ptrIjEEEEjNS1_16block_id_wrapperIjLb1EEEEEvT_jjPNSI_10value_typeET0_PNSt15iterator_traitsISL_E10value_typeEmT1_T2_, .Lfunc_end1982-_ZN7rocprim17ROCPRIM_400000_NS6detail30init_device_scan_by_key_kernelINS1_19lookback_scan_stateINS0_5tupleIJ11FixedVectorIiLj2EEbEEELb0ELb1EEEN6thrust23THRUST_200600_302600_NS6detail15normal_iteratorINSA_10device_ptrIjEEEEjNS1_16block_id_wrapperIjLb1EEEEEvT_jjPNSI_10value_typeET0_PNSt15iterator_traitsISL_E10value_typeEmT1_T2_
                                        ; -- End function
	.set _ZN7rocprim17ROCPRIM_400000_NS6detail30init_device_scan_by_key_kernelINS1_19lookback_scan_stateINS0_5tupleIJ11FixedVectorIiLj2EEbEEELb0ELb1EEEN6thrust23THRUST_200600_302600_NS6detail15normal_iteratorINSA_10device_ptrIjEEEEjNS1_16block_id_wrapperIjLb1EEEEEvT_jjPNSI_10value_typeET0_PNSt15iterator_traitsISL_E10value_typeEmT1_T2_.num_vgpr, 9
	.set _ZN7rocprim17ROCPRIM_400000_NS6detail30init_device_scan_by_key_kernelINS1_19lookback_scan_stateINS0_5tupleIJ11FixedVectorIiLj2EEbEEELb0ELb1EEEN6thrust23THRUST_200600_302600_NS6detail15normal_iteratorINSA_10device_ptrIjEEEEjNS1_16block_id_wrapperIjLb1EEEEEvT_jjPNSI_10value_typeET0_PNSt15iterator_traitsISL_E10value_typeEmT1_T2_.num_agpr, 0
	.set _ZN7rocprim17ROCPRIM_400000_NS6detail30init_device_scan_by_key_kernelINS1_19lookback_scan_stateINS0_5tupleIJ11FixedVectorIiLj2EEbEEELb0ELb1EEEN6thrust23THRUST_200600_302600_NS6detail15normal_iteratorINSA_10device_ptrIjEEEEjNS1_16block_id_wrapperIjLb1EEEEEvT_jjPNSI_10value_typeET0_PNSt15iterator_traitsISL_E10value_typeEmT1_T2_.numbered_sgpr, 17
	.set _ZN7rocprim17ROCPRIM_400000_NS6detail30init_device_scan_by_key_kernelINS1_19lookback_scan_stateINS0_5tupleIJ11FixedVectorIiLj2EEbEEELb0ELb1EEEN6thrust23THRUST_200600_302600_NS6detail15normal_iteratorINSA_10device_ptrIjEEEEjNS1_16block_id_wrapperIjLb1EEEEEvT_jjPNSI_10value_typeET0_PNSt15iterator_traitsISL_E10value_typeEmT1_T2_.num_named_barrier, 0
	.set _ZN7rocprim17ROCPRIM_400000_NS6detail30init_device_scan_by_key_kernelINS1_19lookback_scan_stateINS0_5tupleIJ11FixedVectorIiLj2EEbEEELb0ELb1EEEN6thrust23THRUST_200600_302600_NS6detail15normal_iteratorINSA_10device_ptrIjEEEEjNS1_16block_id_wrapperIjLb1EEEEEvT_jjPNSI_10value_typeET0_PNSt15iterator_traitsISL_E10value_typeEmT1_T2_.private_seg_size, 0
	.set _ZN7rocprim17ROCPRIM_400000_NS6detail30init_device_scan_by_key_kernelINS1_19lookback_scan_stateINS0_5tupleIJ11FixedVectorIiLj2EEbEEELb0ELb1EEEN6thrust23THRUST_200600_302600_NS6detail15normal_iteratorINSA_10device_ptrIjEEEEjNS1_16block_id_wrapperIjLb1EEEEEvT_jjPNSI_10value_typeET0_PNSt15iterator_traitsISL_E10value_typeEmT1_T2_.uses_vcc, 1
	.set _ZN7rocprim17ROCPRIM_400000_NS6detail30init_device_scan_by_key_kernelINS1_19lookback_scan_stateINS0_5tupleIJ11FixedVectorIiLj2EEbEEELb0ELb1EEEN6thrust23THRUST_200600_302600_NS6detail15normal_iteratorINSA_10device_ptrIjEEEEjNS1_16block_id_wrapperIjLb1EEEEEvT_jjPNSI_10value_typeET0_PNSt15iterator_traitsISL_E10value_typeEmT1_T2_.uses_flat_scratch, 0
	.set _ZN7rocprim17ROCPRIM_400000_NS6detail30init_device_scan_by_key_kernelINS1_19lookback_scan_stateINS0_5tupleIJ11FixedVectorIiLj2EEbEEELb0ELb1EEEN6thrust23THRUST_200600_302600_NS6detail15normal_iteratorINSA_10device_ptrIjEEEEjNS1_16block_id_wrapperIjLb1EEEEEvT_jjPNSI_10value_typeET0_PNSt15iterator_traitsISL_E10value_typeEmT1_T2_.has_dyn_sized_stack, 0
	.set _ZN7rocprim17ROCPRIM_400000_NS6detail30init_device_scan_by_key_kernelINS1_19lookback_scan_stateINS0_5tupleIJ11FixedVectorIiLj2EEbEEELb0ELb1EEEN6thrust23THRUST_200600_302600_NS6detail15normal_iteratorINSA_10device_ptrIjEEEEjNS1_16block_id_wrapperIjLb1EEEEEvT_jjPNSI_10value_typeET0_PNSt15iterator_traitsISL_E10value_typeEmT1_T2_.has_recursion, 0
	.set _ZN7rocprim17ROCPRIM_400000_NS6detail30init_device_scan_by_key_kernelINS1_19lookback_scan_stateINS0_5tupleIJ11FixedVectorIiLj2EEbEEELb0ELb1EEEN6thrust23THRUST_200600_302600_NS6detail15normal_iteratorINSA_10device_ptrIjEEEEjNS1_16block_id_wrapperIjLb1EEEEEvT_jjPNSI_10value_typeET0_PNSt15iterator_traitsISL_E10value_typeEmT1_T2_.has_indirect_call, 0
	.section	.AMDGPU.csdata,"",@progbits
; Kernel info:
; codeLenInByte = 728
; TotalNumSgprs: 19
; NumVgprs: 9
; ScratchSize: 0
; MemoryBound: 0
; FloatMode: 240
; IeeeMode: 1
; LDSByteSize: 0 bytes/workgroup (compile time only)
; SGPRBlocks: 0
; VGPRBlocks: 1
; NumSGPRsForWavesPerEU: 19
; NumVGPRsForWavesPerEU: 9
; Occupancy: 16
; WaveLimiterHint : 0
; COMPUTE_PGM_RSRC2:SCRATCH_EN: 0
; COMPUTE_PGM_RSRC2:USER_SGPR: 6
; COMPUTE_PGM_RSRC2:TRAP_HANDLER: 0
; COMPUTE_PGM_RSRC2:TGID_X_EN: 1
; COMPUTE_PGM_RSRC2:TGID_Y_EN: 0
; COMPUTE_PGM_RSRC2:TGID_Z_EN: 0
; COMPUTE_PGM_RSRC2:TIDIG_COMP_CNT: 0
	.section	.text._ZN7rocprim17ROCPRIM_400000_NS6detail30init_device_scan_by_key_kernelINS1_19lookback_scan_stateINS0_5tupleIJ11FixedVectorIiLj2EEbEEELb0ELb1EEENS1_16block_id_wrapperIjLb1EEEEEvT_jjPNSB_10value_typeET0_,"axG",@progbits,_ZN7rocprim17ROCPRIM_400000_NS6detail30init_device_scan_by_key_kernelINS1_19lookback_scan_stateINS0_5tupleIJ11FixedVectorIiLj2EEbEEELb0ELb1EEENS1_16block_id_wrapperIjLb1EEEEEvT_jjPNSB_10value_typeET0_,comdat
	.protected	_ZN7rocprim17ROCPRIM_400000_NS6detail30init_device_scan_by_key_kernelINS1_19lookback_scan_stateINS0_5tupleIJ11FixedVectorIiLj2EEbEEELb0ELb1EEENS1_16block_id_wrapperIjLb1EEEEEvT_jjPNSB_10value_typeET0_ ; -- Begin function _ZN7rocprim17ROCPRIM_400000_NS6detail30init_device_scan_by_key_kernelINS1_19lookback_scan_stateINS0_5tupleIJ11FixedVectorIiLj2EEbEEELb0ELb1EEENS1_16block_id_wrapperIjLb1EEEEEvT_jjPNSB_10value_typeET0_
	.globl	_ZN7rocprim17ROCPRIM_400000_NS6detail30init_device_scan_by_key_kernelINS1_19lookback_scan_stateINS0_5tupleIJ11FixedVectorIiLj2EEbEEELb0ELb1EEENS1_16block_id_wrapperIjLb1EEEEEvT_jjPNSB_10value_typeET0_
	.p2align	8
	.type	_ZN7rocprim17ROCPRIM_400000_NS6detail30init_device_scan_by_key_kernelINS1_19lookback_scan_stateINS0_5tupleIJ11FixedVectorIiLj2EEbEEELb0ELb1EEENS1_16block_id_wrapperIjLb1EEEEEvT_jjPNSB_10value_typeET0_,@function
_ZN7rocprim17ROCPRIM_400000_NS6detail30init_device_scan_by_key_kernelINS1_19lookback_scan_stateINS0_5tupleIJ11FixedVectorIiLj2EEbEEELb0ELb1EEENS1_16block_id_wrapperIjLb1EEEEEvT_jjPNSB_10value_typeET0_: ; @_ZN7rocprim17ROCPRIM_400000_NS6detail30init_device_scan_by_key_kernelINS1_19lookback_scan_stateINS0_5tupleIJ11FixedVectorIiLj2EEbEEELb0ELb1EEENS1_16block_id_wrapperIjLb1EEEEEvT_jjPNSB_10value_typeET0_
; %bb.0:
	s_clause 0x1
	s_load_dword s0, s[4:5], 0x2c
	s_load_dwordx8 s[8:15], s[4:5], 0x0
	s_waitcnt lgkmcnt(0)
	s_and_b32 s0, s0, 0xffff
	s_cmp_eq_u64 s[12:13], 0
	v_mad_u64_u32 v[0:1], null, s6, s0, v[0:1]
	s_cbranch_scc1 .LBB1983_8
; %bb.1:
	s_cmp_lt_u32 s11, s10
	s_mov_b32 s1, 0
	s_cselect_b32 s0, s11, 0
	s_mov_b32 s2, exec_lo
	v_cmpx_eq_u32_e64 s0, v0
	s_cbranch_execz .LBB1983_7
; %bb.2:
	s_add_i32 s0, s11, 32
	v_mov_b32_e32 v5, 0
	s_lshl_b64 s[0:1], s[0:1], 4
	s_mov_b32 s3, exec_lo
	s_add_u32 s0, s8, s0
	s_addc_u32 s1, s9, s1
	v_mov_b32_e32 v2, s1
	v_mov_b32_e32 v1, s0
	;;#ASMSTART
	global_load_dwordx4 v[1:4], v[1:2] off glc dlc	
s_waitcnt vmcnt(0)
	;;#ASMEND
	v_and_b32_e32 v6, 0xff, v4
	v_cmpx_eq_u64_e32 0, v[5:6]
	s_cbranch_execz .LBB1983_6
; %bb.3:
	v_mov_b32_e32 v8, s1
	v_mov_b32_e32 v7, s0
	s_mov_b32 s0, 0
.LBB1983_4:                             ; =>This Inner Loop Header: Depth=1
	;;#ASMSTART
	global_load_dwordx4 v[1:4], v[7:8] off glc dlc	
s_waitcnt vmcnt(0)
	;;#ASMEND
	v_and_b32_e32 v6, 0xff, v4
	v_cmp_ne_u64_e32 vcc_lo, 0, v[5:6]
	s_or_b32 s0, vcc_lo, s0
	s_andn2_b32 exec_lo, exec_lo, s0
	s_cbranch_execnz .LBB1983_4
; %bb.5:
	s_or_b32 exec_lo, exec_lo, s0
.LBB1983_6:
	s_or_b32 exec_lo, exec_lo, s3
	v_mov_b32_e32 v4, 0
	global_store_dwordx2 v4, v[1:2], s[12:13]
	global_store_byte v4, v3, s[12:13] offset:8
.LBB1983_7:
	s_or_b32 exec_lo, exec_lo, s2
.LBB1983_8:
	s_mov_b32 s0, exec_lo
	v_cmpx_eq_u32_e32 0, v0
	s_cbranch_execz .LBB1983_10
; %bb.9:
	v_mov_b32_e32 v1, 0
	global_store_dword v1, v1, s[14:15]
.LBB1983_10:
	s_or_b32 exec_lo, exec_lo, s0
	s_mov_b32 s0, exec_lo
	v_cmpx_gt_u32_e64 s10, v0
	s_cbranch_execz .LBB1983_12
; %bb.11:
	v_add_nc_u32_e32 v1, 32, v0
	v_mov_b32_e32 v2, 0
	v_lshlrev_b64 v[4:5], 4, v[1:2]
	v_mov_b32_e32 v1, v2
	v_mov_b32_e32 v3, v2
	v_add_co_u32 v6, vcc_lo, s8, v4
	v_add_co_ci_u32_e64 v7, null, s9, v5, vcc_lo
	v_mov_b32_e32 v4, v2
	global_store_dwordx4 v[6:7], v[1:4], off
.LBB1983_12:
	s_or_b32 exec_lo, exec_lo, s0
	s_mov_b32 s0, exec_lo
	v_cmpx_gt_u32_e32 32, v0
	s_cbranch_execz .LBB1983_14
; %bb.13:
	v_mov_b32_e32 v1, 0
	v_mov_b32_e32 v3, 0xff
	v_lshlrev_b64 v[4:5], 4, v[0:1]
	v_mov_b32_e32 v0, v1
	v_mov_b32_e32 v2, v1
	v_add_co_u32 v4, vcc_lo, s8, v4
	v_add_co_ci_u32_e64 v5, null, s9, v5, vcc_lo
	global_store_dwordx4 v[4:5], v[0:3], off
.LBB1983_14:
	s_endpgm
	.section	.rodata,"a",@progbits
	.p2align	6, 0x0
	.amdhsa_kernel _ZN7rocprim17ROCPRIM_400000_NS6detail30init_device_scan_by_key_kernelINS1_19lookback_scan_stateINS0_5tupleIJ11FixedVectorIiLj2EEbEEELb0ELb1EEENS1_16block_id_wrapperIjLb1EEEEEvT_jjPNSB_10value_typeET0_
		.amdhsa_group_segment_fixed_size 0
		.amdhsa_private_segment_fixed_size 0
		.amdhsa_kernarg_size 288
		.amdhsa_user_sgpr_count 6
		.amdhsa_user_sgpr_private_segment_buffer 1
		.amdhsa_user_sgpr_dispatch_ptr 0
		.amdhsa_user_sgpr_queue_ptr 0
		.amdhsa_user_sgpr_kernarg_segment_ptr 1
		.amdhsa_user_sgpr_dispatch_id 0
		.amdhsa_user_sgpr_flat_scratch_init 0
		.amdhsa_user_sgpr_private_segment_size 0
		.amdhsa_wavefront_size32 1
		.amdhsa_uses_dynamic_stack 0
		.amdhsa_system_sgpr_private_segment_wavefront_offset 0
		.amdhsa_system_sgpr_workgroup_id_x 1
		.amdhsa_system_sgpr_workgroup_id_y 0
		.amdhsa_system_sgpr_workgroup_id_z 0
		.amdhsa_system_sgpr_workgroup_info 0
		.amdhsa_system_vgpr_workitem_id 0
		.amdhsa_next_free_vgpr 9
		.amdhsa_next_free_sgpr 16
		.amdhsa_reserve_vcc 1
		.amdhsa_reserve_flat_scratch 0
		.amdhsa_float_round_mode_32 0
		.amdhsa_float_round_mode_16_64 0
		.amdhsa_float_denorm_mode_32 3
		.amdhsa_float_denorm_mode_16_64 3
		.amdhsa_dx10_clamp 1
		.amdhsa_ieee_mode 1
		.amdhsa_fp16_overflow 0
		.amdhsa_workgroup_processor_mode 1
		.amdhsa_memory_ordered 1
		.amdhsa_forward_progress 1
		.amdhsa_shared_vgpr_count 0
		.amdhsa_exception_fp_ieee_invalid_op 0
		.amdhsa_exception_fp_denorm_src 0
		.amdhsa_exception_fp_ieee_div_zero 0
		.amdhsa_exception_fp_ieee_overflow 0
		.amdhsa_exception_fp_ieee_underflow 0
		.amdhsa_exception_fp_ieee_inexact 0
		.amdhsa_exception_int_div_zero 0
	.end_amdhsa_kernel
	.section	.text._ZN7rocprim17ROCPRIM_400000_NS6detail30init_device_scan_by_key_kernelINS1_19lookback_scan_stateINS0_5tupleIJ11FixedVectorIiLj2EEbEEELb0ELb1EEENS1_16block_id_wrapperIjLb1EEEEEvT_jjPNSB_10value_typeET0_,"axG",@progbits,_ZN7rocprim17ROCPRIM_400000_NS6detail30init_device_scan_by_key_kernelINS1_19lookback_scan_stateINS0_5tupleIJ11FixedVectorIiLj2EEbEEELb0ELb1EEENS1_16block_id_wrapperIjLb1EEEEEvT_jjPNSB_10value_typeET0_,comdat
.Lfunc_end1983:
	.size	_ZN7rocprim17ROCPRIM_400000_NS6detail30init_device_scan_by_key_kernelINS1_19lookback_scan_stateINS0_5tupleIJ11FixedVectorIiLj2EEbEEELb0ELb1EEENS1_16block_id_wrapperIjLb1EEEEEvT_jjPNSB_10value_typeET0_, .Lfunc_end1983-_ZN7rocprim17ROCPRIM_400000_NS6detail30init_device_scan_by_key_kernelINS1_19lookback_scan_stateINS0_5tupleIJ11FixedVectorIiLj2EEbEEELb0ELb1EEENS1_16block_id_wrapperIjLb1EEEEEvT_jjPNSB_10value_typeET0_
                                        ; -- End function
	.set _ZN7rocprim17ROCPRIM_400000_NS6detail30init_device_scan_by_key_kernelINS1_19lookback_scan_stateINS0_5tupleIJ11FixedVectorIiLj2EEbEEELb0ELb1EEENS1_16block_id_wrapperIjLb1EEEEEvT_jjPNSB_10value_typeET0_.num_vgpr, 9
	.set _ZN7rocprim17ROCPRIM_400000_NS6detail30init_device_scan_by_key_kernelINS1_19lookback_scan_stateINS0_5tupleIJ11FixedVectorIiLj2EEbEEELb0ELb1EEENS1_16block_id_wrapperIjLb1EEEEEvT_jjPNSB_10value_typeET0_.num_agpr, 0
	.set _ZN7rocprim17ROCPRIM_400000_NS6detail30init_device_scan_by_key_kernelINS1_19lookback_scan_stateINS0_5tupleIJ11FixedVectorIiLj2EEbEEELb0ELb1EEENS1_16block_id_wrapperIjLb1EEEEEvT_jjPNSB_10value_typeET0_.numbered_sgpr, 16
	.set _ZN7rocprim17ROCPRIM_400000_NS6detail30init_device_scan_by_key_kernelINS1_19lookback_scan_stateINS0_5tupleIJ11FixedVectorIiLj2EEbEEELb0ELb1EEENS1_16block_id_wrapperIjLb1EEEEEvT_jjPNSB_10value_typeET0_.num_named_barrier, 0
	.set _ZN7rocprim17ROCPRIM_400000_NS6detail30init_device_scan_by_key_kernelINS1_19lookback_scan_stateINS0_5tupleIJ11FixedVectorIiLj2EEbEEELb0ELb1EEENS1_16block_id_wrapperIjLb1EEEEEvT_jjPNSB_10value_typeET0_.private_seg_size, 0
	.set _ZN7rocprim17ROCPRIM_400000_NS6detail30init_device_scan_by_key_kernelINS1_19lookback_scan_stateINS0_5tupleIJ11FixedVectorIiLj2EEbEEELb0ELb1EEENS1_16block_id_wrapperIjLb1EEEEEvT_jjPNSB_10value_typeET0_.uses_vcc, 1
	.set _ZN7rocprim17ROCPRIM_400000_NS6detail30init_device_scan_by_key_kernelINS1_19lookback_scan_stateINS0_5tupleIJ11FixedVectorIiLj2EEbEEELb0ELb1EEENS1_16block_id_wrapperIjLb1EEEEEvT_jjPNSB_10value_typeET0_.uses_flat_scratch, 0
	.set _ZN7rocprim17ROCPRIM_400000_NS6detail30init_device_scan_by_key_kernelINS1_19lookback_scan_stateINS0_5tupleIJ11FixedVectorIiLj2EEbEEELb0ELb1EEENS1_16block_id_wrapperIjLb1EEEEEvT_jjPNSB_10value_typeET0_.has_dyn_sized_stack, 0
	.set _ZN7rocprim17ROCPRIM_400000_NS6detail30init_device_scan_by_key_kernelINS1_19lookback_scan_stateINS0_5tupleIJ11FixedVectorIiLj2EEbEEELb0ELb1EEENS1_16block_id_wrapperIjLb1EEEEEvT_jjPNSB_10value_typeET0_.has_recursion, 0
	.set _ZN7rocprim17ROCPRIM_400000_NS6detail30init_device_scan_by_key_kernelINS1_19lookback_scan_stateINS0_5tupleIJ11FixedVectorIiLj2EEbEEELb0ELb1EEENS1_16block_id_wrapperIjLb1EEEEEvT_jjPNSB_10value_typeET0_.has_indirect_call, 0
	.section	.AMDGPU.csdata,"",@progbits
; Kernel info:
; codeLenInByte = 440
; TotalNumSgprs: 18
; NumVgprs: 9
; ScratchSize: 0
; MemoryBound: 0
; FloatMode: 240
; IeeeMode: 1
; LDSByteSize: 0 bytes/workgroup (compile time only)
; SGPRBlocks: 0
; VGPRBlocks: 1
; NumSGPRsForWavesPerEU: 18
; NumVGPRsForWavesPerEU: 9
; Occupancy: 16
; WaveLimiterHint : 0
; COMPUTE_PGM_RSRC2:SCRATCH_EN: 0
; COMPUTE_PGM_RSRC2:USER_SGPR: 6
; COMPUTE_PGM_RSRC2:TRAP_HANDLER: 0
; COMPUTE_PGM_RSRC2:TGID_X_EN: 1
; COMPUTE_PGM_RSRC2:TGID_Y_EN: 0
; COMPUTE_PGM_RSRC2:TGID_Z_EN: 0
; COMPUTE_PGM_RSRC2:TIDIG_COMP_CNT: 0
	.section	.text._ZN7rocprim17ROCPRIM_400000_NS6detail17trampoline_kernelINS0_14default_configENS1_27scan_by_key_config_selectorIj11FixedVectorIiLj2EEEEZZNS1_16scan_by_key_implILNS1_25lookback_scan_determinismE0ELb0ES3_N6thrust23THRUST_200600_302600_NS6detail15normal_iteratorINSB_10device_ptrIjEEEENSD_INSE_IS6_EEEESI_S6_NSB_4plusIvEENSB_8equal_toIvEES6_EE10hipError_tPvRmT2_T3_T4_T5_mT6_T7_P12ihipStream_tbENKUlT_T0_E_clISt17integral_constantIbLb0EES12_IbLb1EEEEDaSY_SZ_EUlSY_E_NS1_11comp_targetILNS1_3genE0ELNS1_11target_archE4294967295ELNS1_3gpuE0ELNS1_3repE0EEENS1_30default_config_static_selectorELNS0_4arch9wavefront6targetE0EEEvT1_,"axG",@progbits,_ZN7rocprim17ROCPRIM_400000_NS6detail17trampoline_kernelINS0_14default_configENS1_27scan_by_key_config_selectorIj11FixedVectorIiLj2EEEEZZNS1_16scan_by_key_implILNS1_25lookback_scan_determinismE0ELb0ES3_N6thrust23THRUST_200600_302600_NS6detail15normal_iteratorINSB_10device_ptrIjEEEENSD_INSE_IS6_EEEESI_S6_NSB_4plusIvEENSB_8equal_toIvEES6_EE10hipError_tPvRmT2_T3_T4_T5_mT6_T7_P12ihipStream_tbENKUlT_T0_E_clISt17integral_constantIbLb0EES12_IbLb1EEEEDaSY_SZ_EUlSY_E_NS1_11comp_targetILNS1_3genE0ELNS1_11target_archE4294967295ELNS1_3gpuE0ELNS1_3repE0EEENS1_30default_config_static_selectorELNS0_4arch9wavefront6targetE0EEEvT1_,comdat
	.protected	_ZN7rocprim17ROCPRIM_400000_NS6detail17trampoline_kernelINS0_14default_configENS1_27scan_by_key_config_selectorIj11FixedVectorIiLj2EEEEZZNS1_16scan_by_key_implILNS1_25lookback_scan_determinismE0ELb0ES3_N6thrust23THRUST_200600_302600_NS6detail15normal_iteratorINSB_10device_ptrIjEEEENSD_INSE_IS6_EEEESI_S6_NSB_4plusIvEENSB_8equal_toIvEES6_EE10hipError_tPvRmT2_T3_T4_T5_mT6_T7_P12ihipStream_tbENKUlT_T0_E_clISt17integral_constantIbLb0EES12_IbLb1EEEEDaSY_SZ_EUlSY_E_NS1_11comp_targetILNS1_3genE0ELNS1_11target_archE4294967295ELNS1_3gpuE0ELNS1_3repE0EEENS1_30default_config_static_selectorELNS0_4arch9wavefront6targetE0EEEvT1_ ; -- Begin function _ZN7rocprim17ROCPRIM_400000_NS6detail17trampoline_kernelINS0_14default_configENS1_27scan_by_key_config_selectorIj11FixedVectorIiLj2EEEEZZNS1_16scan_by_key_implILNS1_25lookback_scan_determinismE0ELb0ES3_N6thrust23THRUST_200600_302600_NS6detail15normal_iteratorINSB_10device_ptrIjEEEENSD_INSE_IS6_EEEESI_S6_NSB_4plusIvEENSB_8equal_toIvEES6_EE10hipError_tPvRmT2_T3_T4_T5_mT6_T7_P12ihipStream_tbENKUlT_T0_E_clISt17integral_constantIbLb0EES12_IbLb1EEEEDaSY_SZ_EUlSY_E_NS1_11comp_targetILNS1_3genE0ELNS1_11target_archE4294967295ELNS1_3gpuE0ELNS1_3repE0EEENS1_30default_config_static_selectorELNS0_4arch9wavefront6targetE0EEEvT1_
	.globl	_ZN7rocprim17ROCPRIM_400000_NS6detail17trampoline_kernelINS0_14default_configENS1_27scan_by_key_config_selectorIj11FixedVectorIiLj2EEEEZZNS1_16scan_by_key_implILNS1_25lookback_scan_determinismE0ELb0ES3_N6thrust23THRUST_200600_302600_NS6detail15normal_iteratorINSB_10device_ptrIjEEEENSD_INSE_IS6_EEEESI_S6_NSB_4plusIvEENSB_8equal_toIvEES6_EE10hipError_tPvRmT2_T3_T4_T5_mT6_T7_P12ihipStream_tbENKUlT_T0_E_clISt17integral_constantIbLb0EES12_IbLb1EEEEDaSY_SZ_EUlSY_E_NS1_11comp_targetILNS1_3genE0ELNS1_11target_archE4294967295ELNS1_3gpuE0ELNS1_3repE0EEENS1_30default_config_static_selectorELNS0_4arch9wavefront6targetE0EEEvT1_
	.p2align	8
	.type	_ZN7rocprim17ROCPRIM_400000_NS6detail17trampoline_kernelINS0_14default_configENS1_27scan_by_key_config_selectorIj11FixedVectorIiLj2EEEEZZNS1_16scan_by_key_implILNS1_25lookback_scan_determinismE0ELb0ES3_N6thrust23THRUST_200600_302600_NS6detail15normal_iteratorINSB_10device_ptrIjEEEENSD_INSE_IS6_EEEESI_S6_NSB_4plusIvEENSB_8equal_toIvEES6_EE10hipError_tPvRmT2_T3_T4_T5_mT6_T7_P12ihipStream_tbENKUlT_T0_E_clISt17integral_constantIbLb0EES12_IbLb1EEEEDaSY_SZ_EUlSY_E_NS1_11comp_targetILNS1_3genE0ELNS1_11target_archE4294967295ELNS1_3gpuE0ELNS1_3repE0EEENS1_30default_config_static_selectorELNS0_4arch9wavefront6targetE0EEEvT1_,@function
_ZN7rocprim17ROCPRIM_400000_NS6detail17trampoline_kernelINS0_14default_configENS1_27scan_by_key_config_selectorIj11FixedVectorIiLj2EEEEZZNS1_16scan_by_key_implILNS1_25lookback_scan_determinismE0ELb0ES3_N6thrust23THRUST_200600_302600_NS6detail15normal_iteratorINSB_10device_ptrIjEEEENSD_INSE_IS6_EEEESI_S6_NSB_4plusIvEENSB_8equal_toIvEES6_EE10hipError_tPvRmT2_T3_T4_T5_mT6_T7_P12ihipStream_tbENKUlT_T0_E_clISt17integral_constantIbLb0EES12_IbLb1EEEEDaSY_SZ_EUlSY_E_NS1_11comp_targetILNS1_3genE0ELNS1_11target_archE4294967295ELNS1_3gpuE0ELNS1_3repE0EEENS1_30default_config_static_selectorELNS0_4arch9wavefront6targetE0EEEvT1_: ; @_ZN7rocprim17ROCPRIM_400000_NS6detail17trampoline_kernelINS0_14default_configENS1_27scan_by_key_config_selectorIj11FixedVectorIiLj2EEEEZZNS1_16scan_by_key_implILNS1_25lookback_scan_determinismE0ELb0ES3_N6thrust23THRUST_200600_302600_NS6detail15normal_iteratorINSB_10device_ptrIjEEEENSD_INSE_IS6_EEEESI_S6_NSB_4plusIvEENSB_8equal_toIvEES6_EE10hipError_tPvRmT2_T3_T4_T5_mT6_T7_P12ihipStream_tbENKUlT_T0_E_clISt17integral_constantIbLb0EES12_IbLb1EEEEDaSY_SZ_EUlSY_E_NS1_11comp_targetILNS1_3genE0ELNS1_11target_archE4294967295ELNS1_3gpuE0ELNS1_3repE0EEENS1_30default_config_static_selectorELNS0_4arch9wavefront6targetE0EEEvT1_
; %bb.0:
	.section	.rodata,"a",@progbits
	.p2align	6, 0x0
	.amdhsa_kernel _ZN7rocprim17ROCPRIM_400000_NS6detail17trampoline_kernelINS0_14default_configENS1_27scan_by_key_config_selectorIj11FixedVectorIiLj2EEEEZZNS1_16scan_by_key_implILNS1_25lookback_scan_determinismE0ELb0ES3_N6thrust23THRUST_200600_302600_NS6detail15normal_iteratorINSB_10device_ptrIjEEEENSD_INSE_IS6_EEEESI_S6_NSB_4plusIvEENSB_8equal_toIvEES6_EE10hipError_tPvRmT2_T3_T4_T5_mT6_T7_P12ihipStream_tbENKUlT_T0_E_clISt17integral_constantIbLb0EES12_IbLb1EEEEDaSY_SZ_EUlSY_E_NS1_11comp_targetILNS1_3genE0ELNS1_11target_archE4294967295ELNS1_3gpuE0ELNS1_3repE0EEENS1_30default_config_static_selectorELNS0_4arch9wavefront6targetE0EEEvT1_
		.amdhsa_group_segment_fixed_size 0
		.amdhsa_private_segment_fixed_size 0
		.amdhsa_kernarg_size 120
		.amdhsa_user_sgpr_count 6
		.amdhsa_user_sgpr_private_segment_buffer 1
		.amdhsa_user_sgpr_dispatch_ptr 0
		.amdhsa_user_sgpr_queue_ptr 0
		.amdhsa_user_sgpr_kernarg_segment_ptr 1
		.amdhsa_user_sgpr_dispatch_id 0
		.amdhsa_user_sgpr_flat_scratch_init 0
		.amdhsa_user_sgpr_private_segment_size 0
		.amdhsa_wavefront_size32 1
		.amdhsa_uses_dynamic_stack 0
		.amdhsa_system_sgpr_private_segment_wavefront_offset 0
		.amdhsa_system_sgpr_workgroup_id_x 1
		.amdhsa_system_sgpr_workgroup_id_y 0
		.amdhsa_system_sgpr_workgroup_id_z 0
		.amdhsa_system_sgpr_workgroup_info 0
		.amdhsa_system_vgpr_workitem_id 0
		.amdhsa_next_free_vgpr 1
		.amdhsa_next_free_sgpr 1
		.amdhsa_reserve_vcc 0
		.amdhsa_reserve_flat_scratch 0
		.amdhsa_float_round_mode_32 0
		.amdhsa_float_round_mode_16_64 0
		.amdhsa_float_denorm_mode_32 3
		.amdhsa_float_denorm_mode_16_64 3
		.amdhsa_dx10_clamp 1
		.amdhsa_ieee_mode 1
		.amdhsa_fp16_overflow 0
		.amdhsa_workgroup_processor_mode 1
		.amdhsa_memory_ordered 1
		.amdhsa_forward_progress 1
		.amdhsa_shared_vgpr_count 0
		.amdhsa_exception_fp_ieee_invalid_op 0
		.amdhsa_exception_fp_denorm_src 0
		.amdhsa_exception_fp_ieee_div_zero 0
		.amdhsa_exception_fp_ieee_overflow 0
		.amdhsa_exception_fp_ieee_underflow 0
		.amdhsa_exception_fp_ieee_inexact 0
		.amdhsa_exception_int_div_zero 0
	.end_amdhsa_kernel
	.section	.text._ZN7rocprim17ROCPRIM_400000_NS6detail17trampoline_kernelINS0_14default_configENS1_27scan_by_key_config_selectorIj11FixedVectorIiLj2EEEEZZNS1_16scan_by_key_implILNS1_25lookback_scan_determinismE0ELb0ES3_N6thrust23THRUST_200600_302600_NS6detail15normal_iteratorINSB_10device_ptrIjEEEENSD_INSE_IS6_EEEESI_S6_NSB_4plusIvEENSB_8equal_toIvEES6_EE10hipError_tPvRmT2_T3_T4_T5_mT6_T7_P12ihipStream_tbENKUlT_T0_E_clISt17integral_constantIbLb0EES12_IbLb1EEEEDaSY_SZ_EUlSY_E_NS1_11comp_targetILNS1_3genE0ELNS1_11target_archE4294967295ELNS1_3gpuE0ELNS1_3repE0EEENS1_30default_config_static_selectorELNS0_4arch9wavefront6targetE0EEEvT1_,"axG",@progbits,_ZN7rocprim17ROCPRIM_400000_NS6detail17trampoline_kernelINS0_14default_configENS1_27scan_by_key_config_selectorIj11FixedVectorIiLj2EEEEZZNS1_16scan_by_key_implILNS1_25lookback_scan_determinismE0ELb0ES3_N6thrust23THRUST_200600_302600_NS6detail15normal_iteratorINSB_10device_ptrIjEEEENSD_INSE_IS6_EEEESI_S6_NSB_4plusIvEENSB_8equal_toIvEES6_EE10hipError_tPvRmT2_T3_T4_T5_mT6_T7_P12ihipStream_tbENKUlT_T0_E_clISt17integral_constantIbLb0EES12_IbLb1EEEEDaSY_SZ_EUlSY_E_NS1_11comp_targetILNS1_3genE0ELNS1_11target_archE4294967295ELNS1_3gpuE0ELNS1_3repE0EEENS1_30default_config_static_selectorELNS0_4arch9wavefront6targetE0EEEvT1_,comdat
.Lfunc_end1984:
	.size	_ZN7rocprim17ROCPRIM_400000_NS6detail17trampoline_kernelINS0_14default_configENS1_27scan_by_key_config_selectorIj11FixedVectorIiLj2EEEEZZNS1_16scan_by_key_implILNS1_25lookback_scan_determinismE0ELb0ES3_N6thrust23THRUST_200600_302600_NS6detail15normal_iteratorINSB_10device_ptrIjEEEENSD_INSE_IS6_EEEESI_S6_NSB_4plusIvEENSB_8equal_toIvEES6_EE10hipError_tPvRmT2_T3_T4_T5_mT6_T7_P12ihipStream_tbENKUlT_T0_E_clISt17integral_constantIbLb0EES12_IbLb1EEEEDaSY_SZ_EUlSY_E_NS1_11comp_targetILNS1_3genE0ELNS1_11target_archE4294967295ELNS1_3gpuE0ELNS1_3repE0EEENS1_30default_config_static_selectorELNS0_4arch9wavefront6targetE0EEEvT1_, .Lfunc_end1984-_ZN7rocprim17ROCPRIM_400000_NS6detail17trampoline_kernelINS0_14default_configENS1_27scan_by_key_config_selectorIj11FixedVectorIiLj2EEEEZZNS1_16scan_by_key_implILNS1_25lookback_scan_determinismE0ELb0ES3_N6thrust23THRUST_200600_302600_NS6detail15normal_iteratorINSB_10device_ptrIjEEEENSD_INSE_IS6_EEEESI_S6_NSB_4plusIvEENSB_8equal_toIvEES6_EE10hipError_tPvRmT2_T3_T4_T5_mT6_T7_P12ihipStream_tbENKUlT_T0_E_clISt17integral_constantIbLb0EES12_IbLb1EEEEDaSY_SZ_EUlSY_E_NS1_11comp_targetILNS1_3genE0ELNS1_11target_archE4294967295ELNS1_3gpuE0ELNS1_3repE0EEENS1_30default_config_static_selectorELNS0_4arch9wavefront6targetE0EEEvT1_
                                        ; -- End function
	.set _ZN7rocprim17ROCPRIM_400000_NS6detail17trampoline_kernelINS0_14default_configENS1_27scan_by_key_config_selectorIj11FixedVectorIiLj2EEEEZZNS1_16scan_by_key_implILNS1_25lookback_scan_determinismE0ELb0ES3_N6thrust23THRUST_200600_302600_NS6detail15normal_iteratorINSB_10device_ptrIjEEEENSD_INSE_IS6_EEEESI_S6_NSB_4plusIvEENSB_8equal_toIvEES6_EE10hipError_tPvRmT2_T3_T4_T5_mT6_T7_P12ihipStream_tbENKUlT_T0_E_clISt17integral_constantIbLb0EES12_IbLb1EEEEDaSY_SZ_EUlSY_E_NS1_11comp_targetILNS1_3genE0ELNS1_11target_archE4294967295ELNS1_3gpuE0ELNS1_3repE0EEENS1_30default_config_static_selectorELNS0_4arch9wavefront6targetE0EEEvT1_.num_vgpr, 0
	.set _ZN7rocprim17ROCPRIM_400000_NS6detail17trampoline_kernelINS0_14default_configENS1_27scan_by_key_config_selectorIj11FixedVectorIiLj2EEEEZZNS1_16scan_by_key_implILNS1_25lookback_scan_determinismE0ELb0ES3_N6thrust23THRUST_200600_302600_NS6detail15normal_iteratorINSB_10device_ptrIjEEEENSD_INSE_IS6_EEEESI_S6_NSB_4plusIvEENSB_8equal_toIvEES6_EE10hipError_tPvRmT2_T3_T4_T5_mT6_T7_P12ihipStream_tbENKUlT_T0_E_clISt17integral_constantIbLb0EES12_IbLb1EEEEDaSY_SZ_EUlSY_E_NS1_11comp_targetILNS1_3genE0ELNS1_11target_archE4294967295ELNS1_3gpuE0ELNS1_3repE0EEENS1_30default_config_static_selectorELNS0_4arch9wavefront6targetE0EEEvT1_.num_agpr, 0
	.set _ZN7rocprim17ROCPRIM_400000_NS6detail17trampoline_kernelINS0_14default_configENS1_27scan_by_key_config_selectorIj11FixedVectorIiLj2EEEEZZNS1_16scan_by_key_implILNS1_25lookback_scan_determinismE0ELb0ES3_N6thrust23THRUST_200600_302600_NS6detail15normal_iteratorINSB_10device_ptrIjEEEENSD_INSE_IS6_EEEESI_S6_NSB_4plusIvEENSB_8equal_toIvEES6_EE10hipError_tPvRmT2_T3_T4_T5_mT6_T7_P12ihipStream_tbENKUlT_T0_E_clISt17integral_constantIbLb0EES12_IbLb1EEEEDaSY_SZ_EUlSY_E_NS1_11comp_targetILNS1_3genE0ELNS1_11target_archE4294967295ELNS1_3gpuE0ELNS1_3repE0EEENS1_30default_config_static_selectorELNS0_4arch9wavefront6targetE0EEEvT1_.numbered_sgpr, 0
	.set _ZN7rocprim17ROCPRIM_400000_NS6detail17trampoline_kernelINS0_14default_configENS1_27scan_by_key_config_selectorIj11FixedVectorIiLj2EEEEZZNS1_16scan_by_key_implILNS1_25lookback_scan_determinismE0ELb0ES3_N6thrust23THRUST_200600_302600_NS6detail15normal_iteratorINSB_10device_ptrIjEEEENSD_INSE_IS6_EEEESI_S6_NSB_4plusIvEENSB_8equal_toIvEES6_EE10hipError_tPvRmT2_T3_T4_T5_mT6_T7_P12ihipStream_tbENKUlT_T0_E_clISt17integral_constantIbLb0EES12_IbLb1EEEEDaSY_SZ_EUlSY_E_NS1_11comp_targetILNS1_3genE0ELNS1_11target_archE4294967295ELNS1_3gpuE0ELNS1_3repE0EEENS1_30default_config_static_selectorELNS0_4arch9wavefront6targetE0EEEvT1_.num_named_barrier, 0
	.set _ZN7rocprim17ROCPRIM_400000_NS6detail17trampoline_kernelINS0_14default_configENS1_27scan_by_key_config_selectorIj11FixedVectorIiLj2EEEEZZNS1_16scan_by_key_implILNS1_25lookback_scan_determinismE0ELb0ES3_N6thrust23THRUST_200600_302600_NS6detail15normal_iteratorINSB_10device_ptrIjEEEENSD_INSE_IS6_EEEESI_S6_NSB_4plusIvEENSB_8equal_toIvEES6_EE10hipError_tPvRmT2_T3_T4_T5_mT6_T7_P12ihipStream_tbENKUlT_T0_E_clISt17integral_constantIbLb0EES12_IbLb1EEEEDaSY_SZ_EUlSY_E_NS1_11comp_targetILNS1_3genE0ELNS1_11target_archE4294967295ELNS1_3gpuE0ELNS1_3repE0EEENS1_30default_config_static_selectorELNS0_4arch9wavefront6targetE0EEEvT1_.private_seg_size, 0
	.set _ZN7rocprim17ROCPRIM_400000_NS6detail17trampoline_kernelINS0_14default_configENS1_27scan_by_key_config_selectorIj11FixedVectorIiLj2EEEEZZNS1_16scan_by_key_implILNS1_25lookback_scan_determinismE0ELb0ES3_N6thrust23THRUST_200600_302600_NS6detail15normal_iteratorINSB_10device_ptrIjEEEENSD_INSE_IS6_EEEESI_S6_NSB_4plusIvEENSB_8equal_toIvEES6_EE10hipError_tPvRmT2_T3_T4_T5_mT6_T7_P12ihipStream_tbENKUlT_T0_E_clISt17integral_constantIbLb0EES12_IbLb1EEEEDaSY_SZ_EUlSY_E_NS1_11comp_targetILNS1_3genE0ELNS1_11target_archE4294967295ELNS1_3gpuE0ELNS1_3repE0EEENS1_30default_config_static_selectorELNS0_4arch9wavefront6targetE0EEEvT1_.uses_vcc, 0
	.set _ZN7rocprim17ROCPRIM_400000_NS6detail17trampoline_kernelINS0_14default_configENS1_27scan_by_key_config_selectorIj11FixedVectorIiLj2EEEEZZNS1_16scan_by_key_implILNS1_25lookback_scan_determinismE0ELb0ES3_N6thrust23THRUST_200600_302600_NS6detail15normal_iteratorINSB_10device_ptrIjEEEENSD_INSE_IS6_EEEESI_S6_NSB_4plusIvEENSB_8equal_toIvEES6_EE10hipError_tPvRmT2_T3_T4_T5_mT6_T7_P12ihipStream_tbENKUlT_T0_E_clISt17integral_constantIbLb0EES12_IbLb1EEEEDaSY_SZ_EUlSY_E_NS1_11comp_targetILNS1_3genE0ELNS1_11target_archE4294967295ELNS1_3gpuE0ELNS1_3repE0EEENS1_30default_config_static_selectorELNS0_4arch9wavefront6targetE0EEEvT1_.uses_flat_scratch, 0
	.set _ZN7rocprim17ROCPRIM_400000_NS6detail17trampoline_kernelINS0_14default_configENS1_27scan_by_key_config_selectorIj11FixedVectorIiLj2EEEEZZNS1_16scan_by_key_implILNS1_25lookback_scan_determinismE0ELb0ES3_N6thrust23THRUST_200600_302600_NS6detail15normal_iteratorINSB_10device_ptrIjEEEENSD_INSE_IS6_EEEESI_S6_NSB_4plusIvEENSB_8equal_toIvEES6_EE10hipError_tPvRmT2_T3_T4_T5_mT6_T7_P12ihipStream_tbENKUlT_T0_E_clISt17integral_constantIbLb0EES12_IbLb1EEEEDaSY_SZ_EUlSY_E_NS1_11comp_targetILNS1_3genE0ELNS1_11target_archE4294967295ELNS1_3gpuE0ELNS1_3repE0EEENS1_30default_config_static_selectorELNS0_4arch9wavefront6targetE0EEEvT1_.has_dyn_sized_stack, 0
	.set _ZN7rocprim17ROCPRIM_400000_NS6detail17trampoline_kernelINS0_14default_configENS1_27scan_by_key_config_selectorIj11FixedVectorIiLj2EEEEZZNS1_16scan_by_key_implILNS1_25lookback_scan_determinismE0ELb0ES3_N6thrust23THRUST_200600_302600_NS6detail15normal_iteratorINSB_10device_ptrIjEEEENSD_INSE_IS6_EEEESI_S6_NSB_4plusIvEENSB_8equal_toIvEES6_EE10hipError_tPvRmT2_T3_T4_T5_mT6_T7_P12ihipStream_tbENKUlT_T0_E_clISt17integral_constantIbLb0EES12_IbLb1EEEEDaSY_SZ_EUlSY_E_NS1_11comp_targetILNS1_3genE0ELNS1_11target_archE4294967295ELNS1_3gpuE0ELNS1_3repE0EEENS1_30default_config_static_selectorELNS0_4arch9wavefront6targetE0EEEvT1_.has_recursion, 0
	.set _ZN7rocprim17ROCPRIM_400000_NS6detail17trampoline_kernelINS0_14default_configENS1_27scan_by_key_config_selectorIj11FixedVectorIiLj2EEEEZZNS1_16scan_by_key_implILNS1_25lookback_scan_determinismE0ELb0ES3_N6thrust23THRUST_200600_302600_NS6detail15normal_iteratorINSB_10device_ptrIjEEEENSD_INSE_IS6_EEEESI_S6_NSB_4plusIvEENSB_8equal_toIvEES6_EE10hipError_tPvRmT2_T3_T4_T5_mT6_T7_P12ihipStream_tbENKUlT_T0_E_clISt17integral_constantIbLb0EES12_IbLb1EEEEDaSY_SZ_EUlSY_E_NS1_11comp_targetILNS1_3genE0ELNS1_11target_archE4294967295ELNS1_3gpuE0ELNS1_3repE0EEENS1_30default_config_static_selectorELNS0_4arch9wavefront6targetE0EEEvT1_.has_indirect_call, 0
	.section	.AMDGPU.csdata,"",@progbits
; Kernel info:
; codeLenInByte = 0
; TotalNumSgprs: 0
; NumVgprs: 0
; ScratchSize: 0
; MemoryBound: 0
; FloatMode: 240
; IeeeMode: 1
; LDSByteSize: 0 bytes/workgroup (compile time only)
; SGPRBlocks: 0
; VGPRBlocks: 0
; NumSGPRsForWavesPerEU: 1
; NumVGPRsForWavesPerEU: 1
; Occupancy: 16
; WaveLimiterHint : 0
; COMPUTE_PGM_RSRC2:SCRATCH_EN: 0
; COMPUTE_PGM_RSRC2:USER_SGPR: 6
; COMPUTE_PGM_RSRC2:TRAP_HANDLER: 0
; COMPUTE_PGM_RSRC2:TGID_X_EN: 1
; COMPUTE_PGM_RSRC2:TGID_Y_EN: 0
; COMPUTE_PGM_RSRC2:TGID_Z_EN: 0
; COMPUTE_PGM_RSRC2:TIDIG_COMP_CNT: 0
	.section	.text._ZN7rocprim17ROCPRIM_400000_NS6detail17trampoline_kernelINS0_14default_configENS1_27scan_by_key_config_selectorIj11FixedVectorIiLj2EEEEZZNS1_16scan_by_key_implILNS1_25lookback_scan_determinismE0ELb0ES3_N6thrust23THRUST_200600_302600_NS6detail15normal_iteratorINSB_10device_ptrIjEEEENSD_INSE_IS6_EEEESI_S6_NSB_4plusIvEENSB_8equal_toIvEES6_EE10hipError_tPvRmT2_T3_T4_T5_mT6_T7_P12ihipStream_tbENKUlT_T0_E_clISt17integral_constantIbLb0EES12_IbLb1EEEEDaSY_SZ_EUlSY_E_NS1_11comp_targetILNS1_3genE10ELNS1_11target_archE1201ELNS1_3gpuE5ELNS1_3repE0EEENS1_30default_config_static_selectorELNS0_4arch9wavefront6targetE0EEEvT1_,"axG",@progbits,_ZN7rocprim17ROCPRIM_400000_NS6detail17trampoline_kernelINS0_14default_configENS1_27scan_by_key_config_selectorIj11FixedVectorIiLj2EEEEZZNS1_16scan_by_key_implILNS1_25lookback_scan_determinismE0ELb0ES3_N6thrust23THRUST_200600_302600_NS6detail15normal_iteratorINSB_10device_ptrIjEEEENSD_INSE_IS6_EEEESI_S6_NSB_4plusIvEENSB_8equal_toIvEES6_EE10hipError_tPvRmT2_T3_T4_T5_mT6_T7_P12ihipStream_tbENKUlT_T0_E_clISt17integral_constantIbLb0EES12_IbLb1EEEEDaSY_SZ_EUlSY_E_NS1_11comp_targetILNS1_3genE10ELNS1_11target_archE1201ELNS1_3gpuE5ELNS1_3repE0EEENS1_30default_config_static_selectorELNS0_4arch9wavefront6targetE0EEEvT1_,comdat
	.protected	_ZN7rocprim17ROCPRIM_400000_NS6detail17trampoline_kernelINS0_14default_configENS1_27scan_by_key_config_selectorIj11FixedVectorIiLj2EEEEZZNS1_16scan_by_key_implILNS1_25lookback_scan_determinismE0ELb0ES3_N6thrust23THRUST_200600_302600_NS6detail15normal_iteratorINSB_10device_ptrIjEEEENSD_INSE_IS6_EEEESI_S6_NSB_4plusIvEENSB_8equal_toIvEES6_EE10hipError_tPvRmT2_T3_T4_T5_mT6_T7_P12ihipStream_tbENKUlT_T0_E_clISt17integral_constantIbLb0EES12_IbLb1EEEEDaSY_SZ_EUlSY_E_NS1_11comp_targetILNS1_3genE10ELNS1_11target_archE1201ELNS1_3gpuE5ELNS1_3repE0EEENS1_30default_config_static_selectorELNS0_4arch9wavefront6targetE0EEEvT1_ ; -- Begin function _ZN7rocprim17ROCPRIM_400000_NS6detail17trampoline_kernelINS0_14default_configENS1_27scan_by_key_config_selectorIj11FixedVectorIiLj2EEEEZZNS1_16scan_by_key_implILNS1_25lookback_scan_determinismE0ELb0ES3_N6thrust23THRUST_200600_302600_NS6detail15normal_iteratorINSB_10device_ptrIjEEEENSD_INSE_IS6_EEEESI_S6_NSB_4plusIvEENSB_8equal_toIvEES6_EE10hipError_tPvRmT2_T3_T4_T5_mT6_T7_P12ihipStream_tbENKUlT_T0_E_clISt17integral_constantIbLb0EES12_IbLb1EEEEDaSY_SZ_EUlSY_E_NS1_11comp_targetILNS1_3genE10ELNS1_11target_archE1201ELNS1_3gpuE5ELNS1_3repE0EEENS1_30default_config_static_selectorELNS0_4arch9wavefront6targetE0EEEvT1_
	.globl	_ZN7rocprim17ROCPRIM_400000_NS6detail17trampoline_kernelINS0_14default_configENS1_27scan_by_key_config_selectorIj11FixedVectorIiLj2EEEEZZNS1_16scan_by_key_implILNS1_25lookback_scan_determinismE0ELb0ES3_N6thrust23THRUST_200600_302600_NS6detail15normal_iteratorINSB_10device_ptrIjEEEENSD_INSE_IS6_EEEESI_S6_NSB_4plusIvEENSB_8equal_toIvEES6_EE10hipError_tPvRmT2_T3_T4_T5_mT6_T7_P12ihipStream_tbENKUlT_T0_E_clISt17integral_constantIbLb0EES12_IbLb1EEEEDaSY_SZ_EUlSY_E_NS1_11comp_targetILNS1_3genE10ELNS1_11target_archE1201ELNS1_3gpuE5ELNS1_3repE0EEENS1_30default_config_static_selectorELNS0_4arch9wavefront6targetE0EEEvT1_
	.p2align	8
	.type	_ZN7rocprim17ROCPRIM_400000_NS6detail17trampoline_kernelINS0_14default_configENS1_27scan_by_key_config_selectorIj11FixedVectorIiLj2EEEEZZNS1_16scan_by_key_implILNS1_25lookback_scan_determinismE0ELb0ES3_N6thrust23THRUST_200600_302600_NS6detail15normal_iteratorINSB_10device_ptrIjEEEENSD_INSE_IS6_EEEESI_S6_NSB_4plusIvEENSB_8equal_toIvEES6_EE10hipError_tPvRmT2_T3_T4_T5_mT6_T7_P12ihipStream_tbENKUlT_T0_E_clISt17integral_constantIbLb0EES12_IbLb1EEEEDaSY_SZ_EUlSY_E_NS1_11comp_targetILNS1_3genE10ELNS1_11target_archE1201ELNS1_3gpuE5ELNS1_3repE0EEENS1_30default_config_static_selectorELNS0_4arch9wavefront6targetE0EEEvT1_,@function
_ZN7rocprim17ROCPRIM_400000_NS6detail17trampoline_kernelINS0_14default_configENS1_27scan_by_key_config_selectorIj11FixedVectorIiLj2EEEEZZNS1_16scan_by_key_implILNS1_25lookback_scan_determinismE0ELb0ES3_N6thrust23THRUST_200600_302600_NS6detail15normal_iteratorINSB_10device_ptrIjEEEENSD_INSE_IS6_EEEESI_S6_NSB_4plusIvEENSB_8equal_toIvEES6_EE10hipError_tPvRmT2_T3_T4_T5_mT6_T7_P12ihipStream_tbENKUlT_T0_E_clISt17integral_constantIbLb0EES12_IbLb1EEEEDaSY_SZ_EUlSY_E_NS1_11comp_targetILNS1_3genE10ELNS1_11target_archE1201ELNS1_3gpuE5ELNS1_3repE0EEENS1_30default_config_static_selectorELNS0_4arch9wavefront6targetE0EEEvT1_: ; @_ZN7rocprim17ROCPRIM_400000_NS6detail17trampoline_kernelINS0_14default_configENS1_27scan_by_key_config_selectorIj11FixedVectorIiLj2EEEEZZNS1_16scan_by_key_implILNS1_25lookback_scan_determinismE0ELb0ES3_N6thrust23THRUST_200600_302600_NS6detail15normal_iteratorINSB_10device_ptrIjEEEENSD_INSE_IS6_EEEESI_S6_NSB_4plusIvEENSB_8equal_toIvEES6_EE10hipError_tPvRmT2_T3_T4_T5_mT6_T7_P12ihipStream_tbENKUlT_T0_E_clISt17integral_constantIbLb0EES12_IbLb1EEEEDaSY_SZ_EUlSY_E_NS1_11comp_targetILNS1_3genE10ELNS1_11target_archE1201ELNS1_3gpuE5ELNS1_3repE0EEENS1_30default_config_static_selectorELNS0_4arch9wavefront6targetE0EEEvT1_
; %bb.0:
	.section	.rodata,"a",@progbits
	.p2align	6, 0x0
	.amdhsa_kernel _ZN7rocprim17ROCPRIM_400000_NS6detail17trampoline_kernelINS0_14default_configENS1_27scan_by_key_config_selectorIj11FixedVectorIiLj2EEEEZZNS1_16scan_by_key_implILNS1_25lookback_scan_determinismE0ELb0ES3_N6thrust23THRUST_200600_302600_NS6detail15normal_iteratorINSB_10device_ptrIjEEEENSD_INSE_IS6_EEEESI_S6_NSB_4plusIvEENSB_8equal_toIvEES6_EE10hipError_tPvRmT2_T3_T4_T5_mT6_T7_P12ihipStream_tbENKUlT_T0_E_clISt17integral_constantIbLb0EES12_IbLb1EEEEDaSY_SZ_EUlSY_E_NS1_11comp_targetILNS1_3genE10ELNS1_11target_archE1201ELNS1_3gpuE5ELNS1_3repE0EEENS1_30default_config_static_selectorELNS0_4arch9wavefront6targetE0EEEvT1_
		.amdhsa_group_segment_fixed_size 0
		.amdhsa_private_segment_fixed_size 0
		.amdhsa_kernarg_size 120
		.amdhsa_user_sgpr_count 6
		.amdhsa_user_sgpr_private_segment_buffer 1
		.amdhsa_user_sgpr_dispatch_ptr 0
		.amdhsa_user_sgpr_queue_ptr 0
		.amdhsa_user_sgpr_kernarg_segment_ptr 1
		.amdhsa_user_sgpr_dispatch_id 0
		.amdhsa_user_sgpr_flat_scratch_init 0
		.amdhsa_user_sgpr_private_segment_size 0
		.amdhsa_wavefront_size32 1
		.amdhsa_uses_dynamic_stack 0
		.amdhsa_system_sgpr_private_segment_wavefront_offset 0
		.amdhsa_system_sgpr_workgroup_id_x 1
		.amdhsa_system_sgpr_workgroup_id_y 0
		.amdhsa_system_sgpr_workgroup_id_z 0
		.amdhsa_system_sgpr_workgroup_info 0
		.amdhsa_system_vgpr_workitem_id 0
		.amdhsa_next_free_vgpr 1
		.amdhsa_next_free_sgpr 1
		.amdhsa_reserve_vcc 0
		.amdhsa_reserve_flat_scratch 0
		.amdhsa_float_round_mode_32 0
		.amdhsa_float_round_mode_16_64 0
		.amdhsa_float_denorm_mode_32 3
		.amdhsa_float_denorm_mode_16_64 3
		.amdhsa_dx10_clamp 1
		.amdhsa_ieee_mode 1
		.amdhsa_fp16_overflow 0
		.amdhsa_workgroup_processor_mode 1
		.amdhsa_memory_ordered 1
		.amdhsa_forward_progress 1
		.amdhsa_shared_vgpr_count 0
		.amdhsa_exception_fp_ieee_invalid_op 0
		.amdhsa_exception_fp_denorm_src 0
		.amdhsa_exception_fp_ieee_div_zero 0
		.amdhsa_exception_fp_ieee_overflow 0
		.amdhsa_exception_fp_ieee_underflow 0
		.amdhsa_exception_fp_ieee_inexact 0
		.amdhsa_exception_int_div_zero 0
	.end_amdhsa_kernel
	.section	.text._ZN7rocprim17ROCPRIM_400000_NS6detail17trampoline_kernelINS0_14default_configENS1_27scan_by_key_config_selectorIj11FixedVectorIiLj2EEEEZZNS1_16scan_by_key_implILNS1_25lookback_scan_determinismE0ELb0ES3_N6thrust23THRUST_200600_302600_NS6detail15normal_iteratorINSB_10device_ptrIjEEEENSD_INSE_IS6_EEEESI_S6_NSB_4plusIvEENSB_8equal_toIvEES6_EE10hipError_tPvRmT2_T3_T4_T5_mT6_T7_P12ihipStream_tbENKUlT_T0_E_clISt17integral_constantIbLb0EES12_IbLb1EEEEDaSY_SZ_EUlSY_E_NS1_11comp_targetILNS1_3genE10ELNS1_11target_archE1201ELNS1_3gpuE5ELNS1_3repE0EEENS1_30default_config_static_selectorELNS0_4arch9wavefront6targetE0EEEvT1_,"axG",@progbits,_ZN7rocprim17ROCPRIM_400000_NS6detail17trampoline_kernelINS0_14default_configENS1_27scan_by_key_config_selectorIj11FixedVectorIiLj2EEEEZZNS1_16scan_by_key_implILNS1_25lookback_scan_determinismE0ELb0ES3_N6thrust23THRUST_200600_302600_NS6detail15normal_iteratorINSB_10device_ptrIjEEEENSD_INSE_IS6_EEEESI_S6_NSB_4plusIvEENSB_8equal_toIvEES6_EE10hipError_tPvRmT2_T3_T4_T5_mT6_T7_P12ihipStream_tbENKUlT_T0_E_clISt17integral_constantIbLb0EES12_IbLb1EEEEDaSY_SZ_EUlSY_E_NS1_11comp_targetILNS1_3genE10ELNS1_11target_archE1201ELNS1_3gpuE5ELNS1_3repE0EEENS1_30default_config_static_selectorELNS0_4arch9wavefront6targetE0EEEvT1_,comdat
.Lfunc_end1985:
	.size	_ZN7rocprim17ROCPRIM_400000_NS6detail17trampoline_kernelINS0_14default_configENS1_27scan_by_key_config_selectorIj11FixedVectorIiLj2EEEEZZNS1_16scan_by_key_implILNS1_25lookback_scan_determinismE0ELb0ES3_N6thrust23THRUST_200600_302600_NS6detail15normal_iteratorINSB_10device_ptrIjEEEENSD_INSE_IS6_EEEESI_S6_NSB_4plusIvEENSB_8equal_toIvEES6_EE10hipError_tPvRmT2_T3_T4_T5_mT6_T7_P12ihipStream_tbENKUlT_T0_E_clISt17integral_constantIbLb0EES12_IbLb1EEEEDaSY_SZ_EUlSY_E_NS1_11comp_targetILNS1_3genE10ELNS1_11target_archE1201ELNS1_3gpuE5ELNS1_3repE0EEENS1_30default_config_static_selectorELNS0_4arch9wavefront6targetE0EEEvT1_, .Lfunc_end1985-_ZN7rocprim17ROCPRIM_400000_NS6detail17trampoline_kernelINS0_14default_configENS1_27scan_by_key_config_selectorIj11FixedVectorIiLj2EEEEZZNS1_16scan_by_key_implILNS1_25lookback_scan_determinismE0ELb0ES3_N6thrust23THRUST_200600_302600_NS6detail15normal_iteratorINSB_10device_ptrIjEEEENSD_INSE_IS6_EEEESI_S6_NSB_4plusIvEENSB_8equal_toIvEES6_EE10hipError_tPvRmT2_T3_T4_T5_mT6_T7_P12ihipStream_tbENKUlT_T0_E_clISt17integral_constantIbLb0EES12_IbLb1EEEEDaSY_SZ_EUlSY_E_NS1_11comp_targetILNS1_3genE10ELNS1_11target_archE1201ELNS1_3gpuE5ELNS1_3repE0EEENS1_30default_config_static_selectorELNS0_4arch9wavefront6targetE0EEEvT1_
                                        ; -- End function
	.set _ZN7rocprim17ROCPRIM_400000_NS6detail17trampoline_kernelINS0_14default_configENS1_27scan_by_key_config_selectorIj11FixedVectorIiLj2EEEEZZNS1_16scan_by_key_implILNS1_25lookback_scan_determinismE0ELb0ES3_N6thrust23THRUST_200600_302600_NS6detail15normal_iteratorINSB_10device_ptrIjEEEENSD_INSE_IS6_EEEESI_S6_NSB_4plusIvEENSB_8equal_toIvEES6_EE10hipError_tPvRmT2_T3_T4_T5_mT6_T7_P12ihipStream_tbENKUlT_T0_E_clISt17integral_constantIbLb0EES12_IbLb1EEEEDaSY_SZ_EUlSY_E_NS1_11comp_targetILNS1_3genE10ELNS1_11target_archE1201ELNS1_3gpuE5ELNS1_3repE0EEENS1_30default_config_static_selectorELNS0_4arch9wavefront6targetE0EEEvT1_.num_vgpr, 0
	.set _ZN7rocprim17ROCPRIM_400000_NS6detail17trampoline_kernelINS0_14default_configENS1_27scan_by_key_config_selectorIj11FixedVectorIiLj2EEEEZZNS1_16scan_by_key_implILNS1_25lookback_scan_determinismE0ELb0ES3_N6thrust23THRUST_200600_302600_NS6detail15normal_iteratorINSB_10device_ptrIjEEEENSD_INSE_IS6_EEEESI_S6_NSB_4plusIvEENSB_8equal_toIvEES6_EE10hipError_tPvRmT2_T3_T4_T5_mT6_T7_P12ihipStream_tbENKUlT_T0_E_clISt17integral_constantIbLb0EES12_IbLb1EEEEDaSY_SZ_EUlSY_E_NS1_11comp_targetILNS1_3genE10ELNS1_11target_archE1201ELNS1_3gpuE5ELNS1_3repE0EEENS1_30default_config_static_selectorELNS0_4arch9wavefront6targetE0EEEvT1_.num_agpr, 0
	.set _ZN7rocprim17ROCPRIM_400000_NS6detail17trampoline_kernelINS0_14default_configENS1_27scan_by_key_config_selectorIj11FixedVectorIiLj2EEEEZZNS1_16scan_by_key_implILNS1_25lookback_scan_determinismE0ELb0ES3_N6thrust23THRUST_200600_302600_NS6detail15normal_iteratorINSB_10device_ptrIjEEEENSD_INSE_IS6_EEEESI_S6_NSB_4plusIvEENSB_8equal_toIvEES6_EE10hipError_tPvRmT2_T3_T4_T5_mT6_T7_P12ihipStream_tbENKUlT_T0_E_clISt17integral_constantIbLb0EES12_IbLb1EEEEDaSY_SZ_EUlSY_E_NS1_11comp_targetILNS1_3genE10ELNS1_11target_archE1201ELNS1_3gpuE5ELNS1_3repE0EEENS1_30default_config_static_selectorELNS0_4arch9wavefront6targetE0EEEvT1_.numbered_sgpr, 0
	.set _ZN7rocprim17ROCPRIM_400000_NS6detail17trampoline_kernelINS0_14default_configENS1_27scan_by_key_config_selectorIj11FixedVectorIiLj2EEEEZZNS1_16scan_by_key_implILNS1_25lookback_scan_determinismE0ELb0ES3_N6thrust23THRUST_200600_302600_NS6detail15normal_iteratorINSB_10device_ptrIjEEEENSD_INSE_IS6_EEEESI_S6_NSB_4plusIvEENSB_8equal_toIvEES6_EE10hipError_tPvRmT2_T3_T4_T5_mT6_T7_P12ihipStream_tbENKUlT_T0_E_clISt17integral_constantIbLb0EES12_IbLb1EEEEDaSY_SZ_EUlSY_E_NS1_11comp_targetILNS1_3genE10ELNS1_11target_archE1201ELNS1_3gpuE5ELNS1_3repE0EEENS1_30default_config_static_selectorELNS0_4arch9wavefront6targetE0EEEvT1_.num_named_barrier, 0
	.set _ZN7rocprim17ROCPRIM_400000_NS6detail17trampoline_kernelINS0_14default_configENS1_27scan_by_key_config_selectorIj11FixedVectorIiLj2EEEEZZNS1_16scan_by_key_implILNS1_25lookback_scan_determinismE0ELb0ES3_N6thrust23THRUST_200600_302600_NS6detail15normal_iteratorINSB_10device_ptrIjEEEENSD_INSE_IS6_EEEESI_S6_NSB_4plusIvEENSB_8equal_toIvEES6_EE10hipError_tPvRmT2_T3_T4_T5_mT6_T7_P12ihipStream_tbENKUlT_T0_E_clISt17integral_constantIbLb0EES12_IbLb1EEEEDaSY_SZ_EUlSY_E_NS1_11comp_targetILNS1_3genE10ELNS1_11target_archE1201ELNS1_3gpuE5ELNS1_3repE0EEENS1_30default_config_static_selectorELNS0_4arch9wavefront6targetE0EEEvT1_.private_seg_size, 0
	.set _ZN7rocprim17ROCPRIM_400000_NS6detail17trampoline_kernelINS0_14default_configENS1_27scan_by_key_config_selectorIj11FixedVectorIiLj2EEEEZZNS1_16scan_by_key_implILNS1_25lookback_scan_determinismE0ELb0ES3_N6thrust23THRUST_200600_302600_NS6detail15normal_iteratorINSB_10device_ptrIjEEEENSD_INSE_IS6_EEEESI_S6_NSB_4plusIvEENSB_8equal_toIvEES6_EE10hipError_tPvRmT2_T3_T4_T5_mT6_T7_P12ihipStream_tbENKUlT_T0_E_clISt17integral_constantIbLb0EES12_IbLb1EEEEDaSY_SZ_EUlSY_E_NS1_11comp_targetILNS1_3genE10ELNS1_11target_archE1201ELNS1_3gpuE5ELNS1_3repE0EEENS1_30default_config_static_selectorELNS0_4arch9wavefront6targetE0EEEvT1_.uses_vcc, 0
	.set _ZN7rocprim17ROCPRIM_400000_NS6detail17trampoline_kernelINS0_14default_configENS1_27scan_by_key_config_selectorIj11FixedVectorIiLj2EEEEZZNS1_16scan_by_key_implILNS1_25lookback_scan_determinismE0ELb0ES3_N6thrust23THRUST_200600_302600_NS6detail15normal_iteratorINSB_10device_ptrIjEEEENSD_INSE_IS6_EEEESI_S6_NSB_4plusIvEENSB_8equal_toIvEES6_EE10hipError_tPvRmT2_T3_T4_T5_mT6_T7_P12ihipStream_tbENKUlT_T0_E_clISt17integral_constantIbLb0EES12_IbLb1EEEEDaSY_SZ_EUlSY_E_NS1_11comp_targetILNS1_3genE10ELNS1_11target_archE1201ELNS1_3gpuE5ELNS1_3repE0EEENS1_30default_config_static_selectorELNS0_4arch9wavefront6targetE0EEEvT1_.uses_flat_scratch, 0
	.set _ZN7rocprim17ROCPRIM_400000_NS6detail17trampoline_kernelINS0_14default_configENS1_27scan_by_key_config_selectorIj11FixedVectorIiLj2EEEEZZNS1_16scan_by_key_implILNS1_25lookback_scan_determinismE0ELb0ES3_N6thrust23THRUST_200600_302600_NS6detail15normal_iteratorINSB_10device_ptrIjEEEENSD_INSE_IS6_EEEESI_S6_NSB_4plusIvEENSB_8equal_toIvEES6_EE10hipError_tPvRmT2_T3_T4_T5_mT6_T7_P12ihipStream_tbENKUlT_T0_E_clISt17integral_constantIbLb0EES12_IbLb1EEEEDaSY_SZ_EUlSY_E_NS1_11comp_targetILNS1_3genE10ELNS1_11target_archE1201ELNS1_3gpuE5ELNS1_3repE0EEENS1_30default_config_static_selectorELNS0_4arch9wavefront6targetE0EEEvT1_.has_dyn_sized_stack, 0
	.set _ZN7rocprim17ROCPRIM_400000_NS6detail17trampoline_kernelINS0_14default_configENS1_27scan_by_key_config_selectorIj11FixedVectorIiLj2EEEEZZNS1_16scan_by_key_implILNS1_25lookback_scan_determinismE0ELb0ES3_N6thrust23THRUST_200600_302600_NS6detail15normal_iteratorINSB_10device_ptrIjEEEENSD_INSE_IS6_EEEESI_S6_NSB_4plusIvEENSB_8equal_toIvEES6_EE10hipError_tPvRmT2_T3_T4_T5_mT6_T7_P12ihipStream_tbENKUlT_T0_E_clISt17integral_constantIbLb0EES12_IbLb1EEEEDaSY_SZ_EUlSY_E_NS1_11comp_targetILNS1_3genE10ELNS1_11target_archE1201ELNS1_3gpuE5ELNS1_3repE0EEENS1_30default_config_static_selectorELNS0_4arch9wavefront6targetE0EEEvT1_.has_recursion, 0
	.set _ZN7rocprim17ROCPRIM_400000_NS6detail17trampoline_kernelINS0_14default_configENS1_27scan_by_key_config_selectorIj11FixedVectorIiLj2EEEEZZNS1_16scan_by_key_implILNS1_25lookback_scan_determinismE0ELb0ES3_N6thrust23THRUST_200600_302600_NS6detail15normal_iteratorINSB_10device_ptrIjEEEENSD_INSE_IS6_EEEESI_S6_NSB_4plusIvEENSB_8equal_toIvEES6_EE10hipError_tPvRmT2_T3_T4_T5_mT6_T7_P12ihipStream_tbENKUlT_T0_E_clISt17integral_constantIbLb0EES12_IbLb1EEEEDaSY_SZ_EUlSY_E_NS1_11comp_targetILNS1_3genE10ELNS1_11target_archE1201ELNS1_3gpuE5ELNS1_3repE0EEENS1_30default_config_static_selectorELNS0_4arch9wavefront6targetE0EEEvT1_.has_indirect_call, 0
	.section	.AMDGPU.csdata,"",@progbits
; Kernel info:
; codeLenInByte = 0
; TotalNumSgprs: 0
; NumVgprs: 0
; ScratchSize: 0
; MemoryBound: 0
; FloatMode: 240
; IeeeMode: 1
; LDSByteSize: 0 bytes/workgroup (compile time only)
; SGPRBlocks: 0
; VGPRBlocks: 0
; NumSGPRsForWavesPerEU: 1
; NumVGPRsForWavesPerEU: 1
; Occupancy: 16
; WaveLimiterHint : 0
; COMPUTE_PGM_RSRC2:SCRATCH_EN: 0
; COMPUTE_PGM_RSRC2:USER_SGPR: 6
; COMPUTE_PGM_RSRC2:TRAP_HANDLER: 0
; COMPUTE_PGM_RSRC2:TGID_X_EN: 1
; COMPUTE_PGM_RSRC2:TGID_Y_EN: 0
; COMPUTE_PGM_RSRC2:TGID_Z_EN: 0
; COMPUTE_PGM_RSRC2:TIDIG_COMP_CNT: 0
	.section	.text._ZN7rocprim17ROCPRIM_400000_NS6detail17trampoline_kernelINS0_14default_configENS1_27scan_by_key_config_selectorIj11FixedVectorIiLj2EEEEZZNS1_16scan_by_key_implILNS1_25lookback_scan_determinismE0ELb0ES3_N6thrust23THRUST_200600_302600_NS6detail15normal_iteratorINSB_10device_ptrIjEEEENSD_INSE_IS6_EEEESI_S6_NSB_4plusIvEENSB_8equal_toIvEES6_EE10hipError_tPvRmT2_T3_T4_T5_mT6_T7_P12ihipStream_tbENKUlT_T0_E_clISt17integral_constantIbLb0EES12_IbLb1EEEEDaSY_SZ_EUlSY_E_NS1_11comp_targetILNS1_3genE5ELNS1_11target_archE942ELNS1_3gpuE9ELNS1_3repE0EEENS1_30default_config_static_selectorELNS0_4arch9wavefront6targetE0EEEvT1_,"axG",@progbits,_ZN7rocprim17ROCPRIM_400000_NS6detail17trampoline_kernelINS0_14default_configENS1_27scan_by_key_config_selectorIj11FixedVectorIiLj2EEEEZZNS1_16scan_by_key_implILNS1_25lookback_scan_determinismE0ELb0ES3_N6thrust23THRUST_200600_302600_NS6detail15normal_iteratorINSB_10device_ptrIjEEEENSD_INSE_IS6_EEEESI_S6_NSB_4plusIvEENSB_8equal_toIvEES6_EE10hipError_tPvRmT2_T3_T4_T5_mT6_T7_P12ihipStream_tbENKUlT_T0_E_clISt17integral_constantIbLb0EES12_IbLb1EEEEDaSY_SZ_EUlSY_E_NS1_11comp_targetILNS1_3genE5ELNS1_11target_archE942ELNS1_3gpuE9ELNS1_3repE0EEENS1_30default_config_static_selectorELNS0_4arch9wavefront6targetE0EEEvT1_,comdat
	.protected	_ZN7rocprim17ROCPRIM_400000_NS6detail17trampoline_kernelINS0_14default_configENS1_27scan_by_key_config_selectorIj11FixedVectorIiLj2EEEEZZNS1_16scan_by_key_implILNS1_25lookback_scan_determinismE0ELb0ES3_N6thrust23THRUST_200600_302600_NS6detail15normal_iteratorINSB_10device_ptrIjEEEENSD_INSE_IS6_EEEESI_S6_NSB_4plusIvEENSB_8equal_toIvEES6_EE10hipError_tPvRmT2_T3_T4_T5_mT6_T7_P12ihipStream_tbENKUlT_T0_E_clISt17integral_constantIbLb0EES12_IbLb1EEEEDaSY_SZ_EUlSY_E_NS1_11comp_targetILNS1_3genE5ELNS1_11target_archE942ELNS1_3gpuE9ELNS1_3repE0EEENS1_30default_config_static_selectorELNS0_4arch9wavefront6targetE0EEEvT1_ ; -- Begin function _ZN7rocprim17ROCPRIM_400000_NS6detail17trampoline_kernelINS0_14default_configENS1_27scan_by_key_config_selectorIj11FixedVectorIiLj2EEEEZZNS1_16scan_by_key_implILNS1_25lookback_scan_determinismE0ELb0ES3_N6thrust23THRUST_200600_302600_NS6detail15normal_iteratorINSB_10device_ptrIjEEEENSD_INSE_IS6_EEEESI_S6_NSB_4plusIvEENSB_8equal_toIvEES6_EE10hipError_tPvRmT2_T3_T4_T5_mT6_T7_P12ihipStream_tbENKUlT_T0_E_clISt17integral_constantIbLb0EES12_IbLb1EEEEDaSY_SZ_EUlSY_E_NS1_11comp_targetILNS1_3genE5ELNS1_11target_archE942ELNS1_3gpuE9ELNS1_3repE0EEENS1_30default_config_static_selectorELNS0_4arch9wavefront6targetE0EEEvT1_
	.globl	_ZN7rocprim17ROCPRIM_400000_NS6detail17trampoline_kernelINS0_14default_configENS1_27scan_by_key_config_selectorIj11FixedVectorIiLj2EEEEZZNS1_16scan_by_key_implILNS1_25lookback_scan_determinismE0ELb0ES3_N6thrust23THRUST_200600_302600_NS6detail15normal_iteratorINSB_10device_ptrIjEEEENSD_INSE_IS6_EEEESI_S6_NSB_4plusIvEENSB_8equal_toIvEES6_EE10hipError_tPvRmT2_T3_T4_T5_mT6_T7_P12ihipStream_tbENKUlT_T0_E_clISt17integral_constantIbLb0EES12_IbLb1EEEEDaSY_SZ_EUlSY_E_NS1_11comp_targetILNS1_3genE5ELNS1_11target_archE942ELNS1_3gpuE9ELNS1_3repE0EEENS1_30default_config_static_selectorELNS0_4arch9wavefront6targetE0EEEvT1_
	.p2align	8
	.type	_ZN7rocprim17ROCPRIM_400000_NS6detail17trampoline_kernelINS0_14default_configENS1_27scan_by_key_config_selectorIj11FixedVectorIiLj2EEEEZZNS1_16scan_by_key_implILNS1_25lookback_scan_determinismE0ELb0ES3_N6thrust23THRUST_200600_302600_NS6detail15normal_iteratorINSB_10device_ptrIjEEEENSD_INSE_IS6_EEEESI_S6_NSB_4plusIvEENSB_8equal_toIvEES6_EE10hipError_tPvRmT2_T3_T4_T5_mT6_T7_P12ihipStream_tbENKUlT_T0_E_clISt17integral_constantIbLb0EES12_IbLb1EEEEDaSY_SZ_EUlSY_E_NS1_11comp_targetILNS1_3genE5ELNS1_11target_archE942ELNS1_3gpuE9ELNS1_3repE0EEENS1_30default_config_static_selectorELNS0_4arch9wavefront6targetE0EEEvT1_,@function
_ZN7rocprim17ROCPRIM_400000_NS6detail17trampoline_kernelINS0_14default_configENS1_27scan_by_key_config_selectorIj11FixedVectorIiLj2EEEEZZNS1_16scan_by_key_implILNS1_25lookback_scan_determinismE0ELb0ES3_N6thrust23THRUST_200600_302600_NS6detail15normal_iteratorINSB_10device_ptrIjEEEENSD_INSE_IS6_EEEESI_S6_NSB_4plusIvEENSB_8equal_toIvEES6_EE10hipError_tPvRmT2_T3_T4_T5_mT6_T7_P12ihipStream_tbENKUlT_T0_E_clISt17integral_constantIbLb0EES12_IbLb1EEEEDaSY_SZ_EUlSY_E_NS1_11comp_targetILNS1_3genE5ELNS1_11target_archE942ELNS1_3gpuE9ELNS1_3repE0EEENS1_30default_config_static_selectorELNS0_4arch9wavefront6targetE0EEEvT1_: ; @_ZN7rocprim17ROCPRIM_400000_NS6detail17trampoline_kernelINS0_14default_configENS1_27scan_by_key_config_selectorIj11FixedVectorIiLj2EEEEZZNS1_16scan_by_key_implILNS1_25lookback_scan_determinismE0ELb0ES3_N6thrust23THRUST_200600_302600_NS6detail15normal_iteratorINSB_10device_ptrIjEEEENSD_INSE_IS6_EEEESI_S6_NSB_4plusIvEENSB_8equal_toIvEES6_EE10hipError_tPvRmT2_T3_T4_T5_mT6_T7_P12ihipStream_tbENKUlT_T0_E_clISt17integral_constantIbLb0EES12_IbLb1EEEEDaSY_SZ_EUlSY_E_NS1_11comp_targetILNS1_3genE5ELNS1_11target_archE942ELNS1_3gpuE9ELNS1_3repE0EEENS1_30default_config_static_selectorELNS0_4arch9wavefront6targetE0EEEvT1_
; %bb.0:
	.section	.rodata,"a",@progbits
	.p2align	6, 0x0
	.amdhsa_kernel _ZN7rocprim17ROCPRIM_400000_NS6detail17trampoline_kernelINS0_14default_configENS1_27scan_by_key_config_selectorIj11FixedVectorIiLj2EEEEZZNS1_16scan_by_key_implILNS1_25lookback_scan_determinismE0ELb0ES3_N6thrust23THRUST_200600_302600_NS6detail15normal_iteratorINSB_10device_ptrIjEEEENSD_INSE_IS6_EEEESI_S6_NSB_4plusIvEENSB_8equal_toIvEES6_EE10hipError_tPvRmT2_T3_T4_T5_mT6_T7_P12ihipStream_tbENKUlT_T0_E_clISt17integral_constantIbLb0EES12_IbLb1EEEEDaSY_SZ_EUlSY_E_NS1_11comp_targetILNS1_3genE5ELNS1_11target_archE942ELNS1_3gpuE9ELNS1_3repE0EEENS1_30default_config_static_selectorELNS0_4arch9wavefront6targetE0EEEvT1_
		.amdhsa_group_segment_fixed_size 0
		.amdhsa_private_segment_fixed_size 0
		.amdhsa_kernarg_size 120
		.amdhsa_user_sgpr_count 6
		.amdhsa_user_sgpr_private_segment_buffer 1
		.amdhsa_user_sgpr_dispatch_ptr 0
		.amdhsa_user_sgpr_queue_ptr 0
		.amdhsa_user_sgpr_kernarg_segment_ptr 1
		.amdhsa_user_sgpr_dispatch_id 0
		.amdhsa_user_sgpr_flat_scratch_init 0
		.amdhsa_user_sgpr_private_segment_size 0
		.amdhsa_wavefront_size32 1
		.amdhsa_uses_dynamic_stack 0
		.amdhsa_system_sgpr_private_segment_wavefront_offset 0
		.amdhsa_system_sgpr_workgroup_id_x 1
		.amdhsa_system_sgpr_workgroup_id_y 0
		.amdhsa_system_sgpr_workgroup_id_z 0
		.amdhsa_system_sgpr_workgroup_info 0
		.amdhsa_system_vgpr_workitem_id 0
		.amdhsa_next_free_vgpr 1
		.amdhsa_next_free_sgpr 1
		.amdhsa_reserve_vcc 0
		.amdhsa_reserve_flat_scratch 0
		.amdhsa_float_round_mode_32 0
		.amdhsa_float_round_mode_16_64 0
		.amdhsa_float_denorm_mode_32 3
		.amdhsa_float_denorm_mode_16_64 3
		.amdhsa_dx10_clamp 1
		.amdhsa_ieee_mode 1
		.amdhsa_fp16_overflow 0
		.amdhsa_workgroup_processor_mode 1
		.amdhsa_memory_ordered 1
		.amdhsa_forward_progress 1
		.amdhsa_shared_vgpr_count 0
		.amdhsa_exception_fp_ieee_invalid_op 0
		.amdhsa_exception_fp_denorm_src 0
		.amdhsa_exception_fp_ieee_div_zero 0
		.amdhsa_exception_fp_ieee_overflow 0
		.amdhsa_exception_fp_ieee_underflow 0
		.amdhsa_exception_fp_ieee_inexact 0
		.amdhsa_exception_int_div_zero 0
	.end_amdhsa_kernel
	.section	.text._ZN7rocprim17ROCPRIM_400000_NS6detail17trampoline_kernelINS0_14default_configENS1_27scan_by_key_config_selectorIj11FixedVectorIiLj2EEEEZZNS1_16scan_by_key_implILNS1_25lookback_scan_determinismE0ELb0ES3_N6thrust23THRUST_200600_302600_NS6detail15normal_iteratorINSB_10device_ptrIjEEEENSD_INSE_IS6_EEEESI_S6_NSB_4plusIvEENSB_8equal_toIvEES6_EE10hipError_tPvRmT2_T3_T4_T5_mT6_T7_P12ihipStream_tbENKUlT_T0_E_clISt17integral_constantIbLb0EES12_IbLb1EEEEDaSY_SZ_EUlSY_E_NS1_11comp_targetILNS1_3genE5ELNS1_11target_archE942ELNS1_3gpuE9ELNS1_3repE0EEENS1_30default_config_static_selectorELNS0_4arch9wavefront6targetE0EEEvT1_,"axG",@progbits,_ZN7rocprim17ROCPRIM_400000_NS6detail17trampoline_kernelINS0_14default_configENS1_27scan_by_key_config_selectorIj11FixedVectorIiLj2EEEEZZNS1_16scan_by_key_implILNS1_25lookback_scan_determinismE0ELb0ES3_N6thrust23THRUST_200600_302600_NS6detail15normal_iteratorINSB_10device_ptrIjEEEENSD_INSE_IS6_EEEESI_S6_NSB_4plusIvEENSB_8equal_toIvEES6_EE10hipError_tPvRmT2_T3_T4_T5_mT6_T7_P12ihipStream_tbENKUlT_T0_E_clISt17integral_constantIbLb0EES12_IbLb1EEEEDaSY_SZ_EUlSY_E_NS1_11comp_targetILNS1_3genE5ELNS1_11target_archE942ELNS1_3gpuE9ELNS1_3repE0EEENS1_30default_config_static_selectorELNS0_4arch9wavefront6targetE0EEEvT1_,comdat
.Lfunc_end1986:
	.size	_ZN7rocprim17ROCPRIM_400000_NS6detail17trampoline_kernelINS0_14default_configENS1_27scan_by_key_config_selectorIj11FixedVectorIiLj2EEEEZZNS1_16scan_by_key_implILNS1_25lookback_scan_determinismE0ELb0ES3_N6thrust23THRUST_200600_302600_NS6detail15normal_iteratorINSB_10device_ptrIjEEEENSD_INSE_IS6_EEEESI_S6_NSB_4plusIvEENSB_8equal_toIvEES6_EE10hipError_tPvRmT2_T3_T4_T5_mT6_T7_P12ihipStream_tbENKUlT_T0_E_clISt17integral_constantIbLb0EES12_IbLb1EEEEDaSY_SZ_EUlSY_E_NS1_11comp_targetILNS1_3genE5ELNS1_11target_archE942ELNS1_3gpuE9ELNS1_3repE0EEENS1_30default_config_static_selectorELNS0_4arch9wavefront6targetE0EEEvT1_, .Lfunc_end1986-_ZN7rocprim17ROCPRIM_400000_NS6detail17trampoline_kernelINS0_14default_configENS1_27scan_by_key_config_selectorIj11FixedVectorIiLj2EEEEZZNS1_16scan_by_key_implILNS1_25lookback_scan_determinismE0ELb0ES3_N6thrust23THRUST_200600_302600_NS6detail15normal_iteratorINSB_10device_ptrIjEEEENSD_INSE_IS6_EEEESI_S6_NSB_4plusIvEENSB_8equal_toIvEES6_EE10hipError_tPvRmT2_T3_T4_T5_mT6_T7_P12ihipStream_tbENKUlT_T0_E_clISt17integral_constantIbLb0EES12_IbLb1EEEEDaSY_SZ_EUlSY_E_NS1_11comp_targetILNS1_3genE5ELNS1_11target_archE942ELNS1_3gpuE9ELNS1_3repE0EEENS1_30default_config_static_selectorELNS0_4arch9wavefront6targetE0EEEvT1_
                                        ; -- End function
	.set _ZN7rocprim17ROCPRIM_400000_NS6detail17trampoline_kernelINS0_14default_configENS1_27scan_by_key_config_selectorIj11FixedVectorIiLj2EEEEZZNS1_16scan_by_key_implILNS1_25lookback_scan_determinismE0ELb0ES3_N6thrust23THRUST_200600_302600_NS6detail15normal_iteratorINSB_10device_ptrIjEEEENSD_INSE_IS6_EEEESI_S6_NSB_4plusIvEENSB_8equal_toIvEES6_EE10hipError_tPvRmT2_T3_T4_T5_mT6_T7_P12ihipStream_tbENKUlT_T0_E_clISt17integral_constantIbLb0EES12_IbLb1EEEEDaSY_SZ_EUlSY_E_NS1_11comp_targetILNS1_3genE5ELNS1_11target_archE942ELNS1_3gpuE9ELNS1_3repE0EEENS1_30default_config_static_selectorELNS0_4arch9wavefront6targetE0EEEvT1_.num_vgpr, 0
	.set _ZN7rocprim17ROCPRIM_400000_NS6detail17trampoline_kernelINS0_14default_configENS1_27scan_by_key_config_selectorIj11FixedVectorIiLj2EEEEZZNS1_16scan_by_key_implILNS1_25lookback_scan_determinismE0ELb0ES3_N6thrust23THRUST_200600_302600_NS6detail15normal_iteratorINSB_10device_ptrIjEEEENSD_INSE_IS6_EEEESI_S6_NSB_4plusIvEENSB_8equal_toIvEES6_EE10hipError_tPvRmT2_T3_T4_T5_mT6_T7_P12ihipStream_tbENKUlT_T0_E_clISt17integral_constantIbLb0EES12_IbLb1EEEEDaSY_SZ_EUlSY_E_NS1_11comp_targetILNS1_3genE5ELNS1_11target_archE942ELNS1_3gpuE9ELNS1_3repE0EEENS1_30default_config_static_selectorELNS0_4arch9wavefront6targetE0EEEvT1_.num_agpr, 0
	.set _ZN7rocprim17ROCPRIM_400000_NS6detail17trampoline_kernelINS0_14default_configENS1_27scan_by_key_config_selectorIj11FixedVectorIiLj2EEEEZZNS1_16scan_by_key_implILNS1_25lookback_scan_determinismE0ELb0ES3_N6thrust23THRUST_200600_302600_NS6detail15normal_iteratorINSB_10device_ptrIjEEEENSD_INSE_IS6_EEEESI_S6_NSB_4plusIvEENSB_8equal_toIvEES6_EE10hipError_tPvRmT2_T3_T4_T5_mT6_T7_P12ihipStream_tbENKUlT_T0_E_clISt17integral_constantIbLb0EES12_IbLb1EEEEDaSY_SZ_EUlSY_E_NS1_11comp_targetILNS1_3genE5ELNS1_11target_archE942ELNS1_3gpuE9ELNS1_3repE0EEENS1_30default_config_static_selectorELNS0_4arch9wavefront6targetE0EEEvT1_.numbered_sgpr, 0
	.set _ZN7rocprim17ROCPRIM_400000_NS6detail17trampoline_kernelINS0_14default_configENS1_27scan_by_key_config_selectorIj11FixedVectorIiLj2EEEEZZNS1_16scan_by_key_implILNS1_25lookback_scan_determinismE0ELb0ES3_N6thrust23THRUST_200600_302600_NS6detail15normal_iteratorINSB_10device_ptrIjEEEENSD_INSE_IS6_EEEESI_S6_NSB_4plusIvEENSB_8equal_toIvEES6_EE10hipError_tPvRmT2_T3_T4_T5_mT6_T7_P12ihipStream_tbENKUlT_T0_E_clISt17integral_constantIbLb0EES12_IbLb1EEEEDaSY_SZ_EUlSY_E_NS1_11comp_targetILNS1_3genE5ELNS1_11target_archE942ELNS1_3gpuE9ELNS1_3repE0EEENS1_30default_config_static_selectorELNS0_4arch9wavefront6targetE0EEEvT1_.num_named_barrier, 0
	.set _ZN7rocprim17ROCPRIM_400000_NS6detail17trampoline_kernelINS0_14default_configENS1_27scan_by_key_config_selectorIj11FixedVectorIiLj2EEEEZZNS1_16scan_by_key_implILNS1_25lookback_scan_determinismE0ELb0ES3_N6thrust23THRUST_200600_302600_NS6detail15normal_iteratorINSB_10device_ptrIjEEEENSD_INSE_IS6_EEEESI_S6_NSB_4plusIvEENSB_8equal_toIvEES6_EE10hipError_tPvRmT2_T3_T4_T5_mT6_T7_P12ihipStream_tbENKUlT_T0_E_clISt17integral_constantIbLb0EES12_IbLb1EEEEDaSY_SZ_EUlSY_E_NS1_11comp_targetILNS1_3genE5ELNS1_11target_archE942ELNS1_3gpuE9ELNS1_3repE0EEENS1_30default_config_static_selectorELNS0_4arch9wavefront6targetE0EEEvT1_.private_seg_size, 0
	.set _ZN7rocprim17ROCPRIM_400000_NS6detail17trampoline_kernelINS0_14default_configENS1_27scan_by_key_config_selectorIj11FixedVectorIiLj2EEEEZZNS1_16scan_by_key_implILNS1_25lookback_scan_determinismE0ELb0ES3_N6thrust23THRUST_200600_302600_NS6detail15normal_iteratorINSB_10device_ptrIjEEEENSD_INSE_IS6_EEEESI_S6_NSB_4plusIvEENSB_8equal_toIvEES6_EE10hipError_tPvRmT2_T3_T4_T5_mT6_T7_P12ihipStream_tbENKUlT_T0_E_clISt17integral_constantIbLb0EES12_IbLb1EEEEDaSY_SZ_EUlSY_E_NS1_11comp_targetILNS1_3genE5ELNS1_11target_archE942ELNS1_3gpuE9ELNS1_3repE0EEENS1_30default_config_static_selectorELNS0_4arch9wavefront6targetE0EEEvT1_.uses_vcc, 0
	.set _ZN7rocprim17ROCPRIM_400000_NS6detail17trampoline_kernelINS0_14default_configENS1_27scan_by_key_config_selectorIj11FixedVectorIiLj2EEEEZZNS1_16scan_by_key_implILNS1_25lookback_scan_determinismE0ELb0ES3_N6thrust23THRUST_200600_302600_NS6detail15normal_iteratorINSB_10device_ptrIjEEEENSD_INSE_IS6_EEEESI_S6_NSB_4plusIvEENSB_8equal_toIvEES6_EE10hipError_tPvRmT2_T3_T4_T5_mT6_T7_P12ihipStream_tbENKUlT_T0_E_clISt17integral_constantIbLb0EES12_IbLb1EEEEDaSY_SZ_EUlSY_E_NS1_11comp_targetILNS1_3genE5ELNS1_11target_archE942ELNS1_3gpuE9ELNS1_3repE0EEENS1_30default_config_static_selectorELNS0_4arch9wavefront6targetE0EEEvT1_.uses_flat_scratch, 0
	.set _ZN7rocprim17ROCPRIM_400000_NS6detail17trampoline_kernelINS0_14default_configENS1_27scan_by_key_config_selectorIj11FixedVectorIiLj2EEEEZZNS1_16scan_by_key_implILNS1_25lookback_scan_determinismE0ELb0ES3_N6thrust23THRUST_200600_302600_NS6detail15normal_iteratorINSB_10device_ptrIjEEEENSD_INSE_IS6_EEEESI_S6_NSB_4plusIvEENSB_8equal_toIvEES6_EE10hipError_tPvRmT2_T3_T4_T5_mT6_T7_P12ihipStream_tbENKUlT_T0_E_clISt17integral_constantIbLb0EES12_IbLb1EEEEDaSY_SZ_EUlSY_E_NS1_11comp_targetILNS1_3genE5ELNS1_11target_archE942ELNS1_3gpuE9ELNS1_3repE0EEENS1_30default_config_static_selectorELNS0_4arch9wavefront6targetE0EEEvT1_.has_dyn_sized_stack, 0
	.set _ZN7rocprim17ROCPRIM_400000_NS6detail17trampoline_kernelINS0_14default_configENS1_27scan_by_key_config_selectorIj11FixedVectorIiLj2EEEEZZNS1_16scan_by_key_implILNS1_25lookback_scan_determinismE0ELb0ES3_N6thrust23THRUST_200600_302600_NS6detail15normal_iteratorINSB_10device_ptrIjEEEENSD_INSE_IS6_EEEESI_S6_NSB_4plusIvEENSB_8equal_toIvEES6_EE10hipError_tPvRmT2_T3_T4_T5_mT6_T7_P12ihipStream_tbENKUlT_T0_E_clISt17integral_constantIbLb0EES12_IbLb1EEEEDaSY_SZ_EUlSY_E_NS1_11comp_targetILNS1_3genE5ELNS1_11target_archE942ELNS1_3gpuE9ELNS1_3repE0EEENS1_30default_config_static_selectorELNS0_4arch9wavefront6targetE0EEEvT1_.has_recursion, 0
	.set _ZN7rocprim17ROCPRIM_400000_NS6detail17trampoline_kernelINS0_14default_configENS1_27scan_by_key_config_selectorIj11FixedVectorIiLj2EEEEZZNS1_16scan_by_key_implILNS1_25lookback_scan_determinismE0ELb0ES3_N6thrust23THRUST_200600_302600_NS6detail15normal_iteratorINSB_10device_ptrIjEEEENSD_INSE_IS6_EEEESI_S6_NSB_4plusIvEENSB_8equal_toIvEES6_EE10hipError_tPvRmT2_T3_T4_T5_mT6_T7_P12ihipStream_tbENKUlT_T0_E_clISt17integral_constantIbLb0EES12_IbLb1EEEEDaSY_SZ_EUlSY_E_NS1_11comp_targetILNS1_3genE5ELNS1_11target_archE942ELNS1_3gpuE9ELNS1_3repE0EEENS1_30default_config_static_selectorELNS0_4arch9wavefront6targetE0EEEvT1_.has_indirect_call, 0
	.section	.AMDGPU.csdata,"",@progbits
; Kernel info:
; codeLenInByte = 0
; TotalNumSgprs: 0
; NumVgprs: 0
; ScratchSize: 0
; MemoryBound: 0
; FloatMode: 240
; IeeeMode: 1
; LDSByteSize: 0 bytes/workgroup (compile time only)
; SGPRBlocks: 0
; VGPRBlocks: 0
; NumSGPRsForWavesPerEU: 1
; NumVGPRsForWavesPerEU: 1
; Occupancy: 16
; WaveLimiterHint : 0
; COMPUTE_PGM_RSRC2:SCRATCH_EN: 0
; COMPUTE_PGM_RSRC2:USER_SGPR: 6
; COMPUTE_PGM_RSRC2:TRAP_HANDLER: 0
; COMPUTE_PGM_RSRC2:TGID_X_EN: 1
; COMPUTE_PGM_RSRC2:TGID_Y_EN: 0
; COMPUTE_PGM_RSRC2:TGID_Z_EN: 0
; COMPUTE_PGM_RSRC2:TIDIG_COMP_CNT: 0
	.section	.text._ZN7rocprim17ROCPRIM_400000_NS6detail17trampoline_kernelINS0_14default_configENS1_27scan_by_key_config_selectorIj11FixedVectorIiLj2EEEEZZNS1_16scan_by_key_implILNS1_25lookback_scan_determinismE0ELb0ES3_N6thrust23THRUST_200600_302600_NS6detail15normal_iteratorINSB_10device_ptrIjEEEENSD_INSE_IS6_EEEESI_S6_NSB_4plusIvEENSB_8equal_toIvEES6_EE10hipError_tPvRmT2_T3_T4_T5_mT6_T7_P12ihipStream_tbENKUlT_T0_E_clISt17integral_constantIbLb0EES12_IbLb1EEEEDaSY_SZ_EUlSY_E_NS1_11comp_targetILNS1_3genE4ELNS1_11target_archE910ELNS1_3gpuE8ELNS1_3repE0EEENS1_30default_config_static_selectorELNS0_4arch9wavefront6targetE0EEEvT1_,"axG",@progbits,_ZN7rocprim17ROCPRIM_400000_NS6detail17trampoline_kernelINS0_14default_configENS1_27scan_by_key_config_selectorIj11FixedVectorIiLj2EEEEZZNS1_16scan_by_key_implILNS1_25lookback_scan_determinismE0ELb0ES3_N6thrust23THRUST_200600_302600_NS6detail15normal_iteratorINSB_10device_ptrIjEEEENSD_INSE_IS6_EEEESI_S6_NSB_4plusIvEENSB_8equal_toIvEES6_EE10hipError_tPvRmT2_T3_T4_T5_mT6_T7_P12ihipStream_tbENKUlT_T0_E_clISt17integral_constantIbLb0EES12_IbLb1EEEEDaSY_SZ_EUlSY_E_NS1_11comp_targetILNS1_3genE4ELNS1_11target_archE910ELNS1_3gpuE8ELNS1_3repE0EEENS1_30default_config_static_selectorELNS0_4arch9wavefront6targetE0EEEvT1_,comdat
	.protected	_ZN7rocprim17ROCPRIM_400000_NS6detail17trampoline_kernelINS0_14default_configENS1_27scan_by_key_config_selectorIj11FixedVectorIiLj2EEEEZZNS1_16scan_by_key_implILNS1_25lookback_scan_determinismE0ELb0ES3_N6thrust23THRUST_200600_302600_NS6detail15normal_iteratorINSB_10device_ptrIjEEEENSD_INSE_IS6_EEEESI_S6_NSB_4plusIvEENSB_8equal_toIvEES6_EE10hipError_tPvRmT2_T3_T4_T5_mT6_T7_P12ihipStream_tbENKUlT_T0_E_clISt17integral_constantIbLb0EES12_IbLb1EEEEDaSY_SZ_EUlSY_E_NS1_11comp_targetILNS1_3genE4ELNS1_11target_archE910ELNS1_3gpuE8ELNS1_3repE0EEENS1_30default_config_static_selectorELNS0_4arch9wavefront6targetE0EEEvT1_ ; -- Begin function _ZN7rocprim17ROCPRIM_400000_NS6detail17trampoline_kernelINS0_14default_configENS1_27scan_by_key_config_selectorIj11FixedVectorIiLj2EEEEZZNS1_16scan_by_key_implILNS1_25lookback_scan_determinismE0ELb0ES3_N6thrust23THRUST_200600_302600_NS6detail15normal_iteratorINSB_10device_ptrIjEEEENSD_INSE_IS6_EEEESI_S6_NSB_4plusIvEENSB_8equal_toIvEES6_EE10hipError_tPvRmT2_T3_T4_T5_mT6_T7_P12ihipStream_tbENKUlT_T0_E_clISt17integral_constantIbLb0EES12_IbLb1EEEEDaSY_SZ_EUlSY_E_NS1_11comp_targetILNS1_3genE4ELNS1_11target_archE910ELNS1_3gpuE8ELNS1_3repE0EEENS1_30default_config_static_selectorELNS0_4arch9wavefront6targetE0EEEvT1_
	.globl	_ZN7rocprim17ROCPRIM_400000_NS6detail17trampoline_kernelINS0_14default_configENS1_27scan_by_key_config_selectorIj11FixedVectorIiLj2EEEEZZNS1_16scan_by_key_implILNS1_25lookback_scan_determinismE0ELb0ES3_N6thrust23THRUST_200600_302600_NS6detail15normal_iteratorINSB_10device_ptrIjEEEENSD_INSE_IS6_EEEESI_S6_NSB_4plusIvEENSB_8equal_toIvEES6_EE10hipError_tPvRmT2_T3_T4_T5_mT6_T7_P12ihipStream_tbENKUlT_T0_E_clISt17integral_constantIbLb0EES12_IbLb1EEEEDaSY_SZ_EUlSY_E_NS1_11comp_targetILNS1_3genE4ELNS1_11target_archE910ELNS1_3gpuE8ELNS1_3repE0EEENS1_30default_config_static_selectorELNS0_4arch9wavefront6targetE0EEEvT1_
	.p2align	8
	.type	_ZN7rocprim17ROCPRIM_400000_NS6detail17trampoline_kernelINS0_14default_configENS1_27scan_by_key_config_selectorIj11FixedVectorIiLj2EEEEZZNS1_16scan_by_key_implILNS1_25lookback_scan_determinismE0ELb0ES3_N6thrust23THRUST_200600_302600_NS6detail15normal_iteratorINSB_10device_ptrIjEEEENSD_INSE_IS6_EEEESI_S6_NSB_4plusIvEENSB_8equal_toIvEES6_EE10hipError_tPvRmT2_T3_T4_T5_mT6_T7_P12ihipStream_tbENKUlT_T0_E_clISt17integral_constantIbLb0EES12_IbLb1EEEEDaSY_SZ_EUlSY_E_NS1_11comp_targetILNS1_3genE4ELNS1_11target_archE910ELNS1_3gpuE8ELNS1_3repE0EEENS1_30default_config_static_selectorELNS0_4arch9wavefront6targetE0EEEvT1_,@function
_ZN7rocprim17ROCPRIM_400000_NS6detail17trampoline_kernelINS0_14default_configENS1_27scan_by_key_config_selectorIj11FixedVectorIiLj2EEEEZZNS1_16scan_by_key_implILNS1_25lookback_scan_determinismE0ELb0ES3_N6thrust23THRUST_200600_302600_NS6detail15normal_iteratorINSB_10device_ptrIjEEEENSD_INSE_IS6_EEEESI_S6_NSB_4plusIvEENSB_8equal_toIvEES6_EE10hipError_tPvRmT2_T3_T4_T5_mT6_T7_P12ihipStream_tbENKUlT_T0_E_clISt17integral_constantIbLb0EES12_IbLb1EEEEDaSY_SZ_EUlSY_E_NS1_11comp_targetILNS1_3genE4ELNS1_11target_archE910ELNS1_3gpuE8ELNS1_3repE0EEENS1_30default_config_static_selectorELNS0_4arch9wavefront6targetE0EEEvT1_: ; @_ZN7rocprim17ROCPRIM_400000_NS6detail17trampoline_kernelINS0_14default_configENS1_27scan_by_key_config_selectorIj11FixedVectorIiLj2EEEEZZNS1_16scan_by_key_implILNS1_25lookback_scan_determinismE0ELb0ES3_N6thrust23THRUST_200600_302600_NS6detail15normal_iteratorINSB_10device_ptrIjEEEENSD_INSE_IS6_EEEESI_S6_NSB_4plusIvEENSB_8equal_toIvEES6_EE10hipError_tPvRmT2_T3_T4_T5_mT6_T7_P12ihipStream_tbENKUlT_T0_E_clISt17integral_constantIbLb0EES12_IbLb1EEEEDaSY_SZ_EUlSY_E_NS1_11comp_targetILNS1_3genE4ELNS1_11target_archE910ELNS1_3gpuE8ELNS1_3repE0EEENS1_30default_config_static_selectorELNS0_4arch9wavefront6targetE0EEEvT1_
; %bb.0:
	.section	.rodata,"a",@progbits
	.p2align	6, 0x0
	.amdhsa_kernel _ZN7rocprim17ROCPRIM_400000_NS6detail17trampoline_kernelINS0_14default_configENS1_27scan_by_key_config_selectorIj11FixedVectorIiLj2EEEEZZNS1_16scan_by_key_implILNS1_25lookback_scan_determinismE0ELb0ES3_N6thrust23THRUST_200600_302600_NS6detail15normal_iteratorINSB_10device_ptrIjEEEENSD_INSE_IS6_EEEESI_S6_NSB_4plusIvEENSB_8equal_toIvEES6_EE10hipError_tPvRmT2_T3_T4_T5_mT6_T7_P12ihipStream_tbENKUlT_T0_E_clISt17integral_constantIbLb0EES12_IbLb1EEEEDaSY_SZ_EUlSY_E_NS1_11comp_targetILNS1_3genE4ELNS1_11target_archE910ELNS1_3gpuE8ELNS1_3repE0EEENS1_30default_config_static_selectorELNS0_4arch9wavefront6targetE0EEEvT1_
		.amdhsa_group_segment_fixed_size 0
		.amdhsa_private_segment_fixed_size 0
		.amdhsa_kernarg_size 120
		.amdhsa_user_sgpr_count 6
		.amdhsa_user_sgpr_private_segment_buffer 1
		.amdhsa_user_sgpr_dispatch_ptr 0
		.amdhsa_user_sgpr_queue_ptr 0
		.amdhsa_user_sgpr_kernarg_segment_ptr 1
		.amdhsa_user_sgpr_dispatch_id 0
		.amdhsa_user_sgpr_flat_scratch_init 0
		.amdhsa_user_sgpr_private_segment_size 0
		.amdhsa_wavefront_size32 1
		.amdhsa_uses_dynamic_stack 0
		.amdhsa_system_sgpr_private_segment_wavefront_offset 0
		.amdhsa_system_sgpr_workgroup_id_x 1
		.amdhsa_system_sgpr_workgroup_id_y 0
		.amdhsa_system_sgpr_workgroup_id_z 0
		.amdhsa_system_sgpr_workgroup_info 0
		.amdhsa_system_vgpr_workitem_id 0
		.amdhsa_next_free_vgpr 1
		.amdhsa_next_free_sgpr 1
		.amdhsa_reserve_vcc 0
		.amdhsa_reserve_flat_scratch 0
		.amdhsa_float_round_mode_32 0
		.amdhsa_float_round_mode_16_64 0
		.amdhsa_float_denorm_mode_32 3
		.amdhsa_float_denorm_mode_16_64 3
		.amdhsa_dx10_clamp 1
		.amdhsa_ieee_mode 1
		.amdhsa_fp16_overflow 0
		.amdhsa_workgroup_processor_mode 1
		.amdhsa_memory_ordered 1
		.amdhsa_forward_progress 1
		.amdhsa_shared_vgpr_count 0
		.amdhsa_exception_fp_ieee_invalid_op 0
		.amdhsa_exception_fp_denorm_src 0
		.amdhsa_exception_fp_ieee_div_zero 0
		.amdhsa_exception_fp_ieee_overflow 0
		.amdhsa_exception_fp_ieee_underflow 0
		.amdhsa_exception_fp_ieee_inexact 0
		.amdhsa_exception_int_div_zero 0
	.end_amdhsa_kernel
	.section	.text._ZN7rocprim17ROCPRIM_400000_NS6detail17trampoline_kernelINS0_14default_configENS1_27scan_by_key_config_selectorIj11FixedVectorIiLj2EEEEZZNS1_16scan_by_key_implILNS1_25lookback_scan_determinismE0ELb0ES3_N6thrust23THRUST_200600_302600_NS6detail15normal_iteratorINSB_10device_ptrIjEEEENSD_INSE_IS6_EEEESI_S6_NSB_4plusIvEENSB_8equal_toIvEES6_EE10hipError_tPvRmT2_T3_T4_T5_mT6_T7_P12ihipStream_tbENKUlT_T0_E_clISt17integral_constantIbLb0EES12_IbLb1EEEEDaSY_SZ_EUlSY_E_NS1_11comp_targetILNS1_3genE4ELNS1_11target_archE910ELNS1_3gpuE8ELNS1_3repE0EEENS1_30default_config_static_selectorELNS0_4arch9wavefront6targetE0EEEvT1_,"axG",@progbits,_ZN7rocprim17ROCPRIM_400000_NS6detail17trampoline_kernelINS0_14default_configENS1_27scan_by_key_config_selectorIj11FixedVectorIiLj2EEEEZZNS1_16scan_by_key_implILNS1_25lookback_scan_determinismE0ELb0ES3_N6thrust23THRUST_200600_302600_NS6detail15normal_iteratorINSB_10device_ptrIjEEEENSD_INSE_IS6_EEEESI_S6_NSB_4plusIvEENSB_8equal_toIvEES6_EE10hipError_tPvRmT2_T3_T4_T5_mT6_T7_P12ihipStream_tbENKUlT_T0_E_clISt17integral_constantIbLb0EES12_IbLb1EEEEDaSY_SZ_EUlSY_E_NS1_11comp_targetILNS1_3genE4ELNS1_11target_archE910ELNS1_3gpuE8ELNS1_3repE0EEENS1_30default_config_static_selectorELNS0_4arch9wavefront6targetE0EEEvT1_,comdat
.Lfunc_end1987:
	.size	_ZN7rocprim17ROCPRIM_400000_NS6detail17trampoline_kernelINS0_14default_configENS1_27scan_by_key_config_selectorIj11FixedVectorIiLj2EEEEZZNS1_16scan_by_key_implILNS1_25lookback_scan_determinismE0ELb0ES3_N6thrust23THRUST_200600_302600_NS6detail15normal_iteratorINSB_10device_ptrIjEEEENSD_INSE_IS6_EEEESI_S6_NSB_4plusIvEENSB_8equal_toIvEES6_EE10hipError_tPvRmT2_T3_T4_T5_mT6_T7_P12ihipStream_tbENKUlT_T0_E_clISt17integral_constantIbLb0EES12_IbLb1EEEEDaSY_SZ_EUlSY_E_NS1_11comp_targetILNS1_3genE4ELNS1_11target_archE910ELNS1_3gpuE8ELNS1_3repE0EEENS1_30default_config_static_selectorELNS0_4arch9wavefront6targetE0EEEvT1_, .Lfunc_end1987-_ZN7rocprim17ROCPRIM_400000_NS6detail17trampoline_kernelINS0_14default_configENS1_27scan_by_key_config_selectorIj11FixedVectorIiLj2EEEEZZNS1_16scan_by_key_implILNS1_25lookback_scan_determinismE0ELb0ES3_N6thrust23THRUST_200600_302600_NS6detail15normal_iteratorINSB_10device_ptrIjEEEENSD_INSE_IS6_EEEESI_S6_NSB_4plusIvEENSB_8equal_toIvEES6_EE10hipError_tPvRmT2_T3_T4_T5_mT6_T7_P12ihipStream_tbENKUlT_T0_E_clISt17integral_constantIbLb0EES12_IbLb1EEEEDaSY_SZ_EUlSY_E_NS1_11comp_targetILNS1_3genE4ELNS1_11target_archE910ELNS1_3gpuE8ELNS1_3repE0EEENS1_30default_config_static_selectorELNS0_4arch9wavefront6targetE0EEEvT1_
                                        ; -- End function
	.set _ZN7rocprim17ROCPRIM_400000_NS6detail17trampoline_kernelINS0_14default_configENS1_27scan_by_key_config_selectorIj11FixedVectorIiLj2EEEEZZNS1_16scan_by_key_implILNS1_25lookback_scan_determinismE0ELb0ES3_N6thrust23THRUST_200600_302600_NS6detail15normal_iteratorINSB_10device_ptrIjEEEENSD_INSE_IS6_EEEESI_S6_NSB_4plusIvEENSB_8equal_toIvEES6_EE10hipError_tPvRmT2_T3_T4_T5_mT6_T7_P12ihipStream_tbENKUlT_T0_E_clISt17integral_constantIbLb0EES12_IbLb1EEEEDaSY_SZ_EUlSY_E_NS1_11comp_targetILNS1_3genE4ELNS1_11target_archE910ELNS1_3gpuE8ELNS1_3repE0EEENS1_30default_config_static_selectorELNS0_4arch9wavefront6targetE0EEEvT1_.num_vgpr, 0
	.set _ZN7rocprim17ROCPRIM_400000_NS6detail17trampoline_kernelINS0_14default_configENS1_27scan_by_key_config_selectorIj11FixedVectorIiLj2EEEEZZNS1_16scan_by_key_implILNS1_25lookback_scan_determinismE0ELb0ES3_N6thrust23THRUST_200600_302600_NS6detail15normal_iteratorINSB_10device_ptrIjEEEENSD_INSE_IS6_EEEESI_S6_NSB_4plusIvEENSB_8equal_toIvEES6_EE10hipError_tPvRmT2_T3_T4_T5_mT6_T7_P12ihipStream_tbENKUlT_T0_E_clISt17integral_constantIbLb0EES12_IbLb1EEEEDaSY_SZ_EUlSY_E_NS1_11comp_targetILNS1_3genE4ELNS1_11target_archE910ELNS1_3gpuE8ELNS1_3repE0EEENS1_30default_config_static_selectorELNS0_4arch9wavefront6targetE0EEEvT1_.num_agpr, 0
	.set _ZN7rocprim17ROCPRIM_400000_NS6detail17trampoline_kernelINS0_14default_configENS1_27scan_by_key_config_selectorIj11FixedVectorIiLj2EEEEZZNS1_16scan_by_key_implILNS1_25lookback_scan_determinismE0ELb0ES3_N6thrust23THRUST_200600_302600_NS6detail15normal_iteratorINSB_10device_ptrIjEEEENSD_INSE_IS6_EEEESI_S6_NSB_4plusIvEENSB_8equal_toIvEES6_EE10hipError_tPvRmT2_T3_T4_T5_mT6_T7_P12ihipStream_tbENKUlT_T0_E_clISt17integral_constantIbLb0EES12_IbLb1EEEEDaSY_SZ_EUlSY_E_NS1_11comp_targetILNS1_3genE4ELNS1_11target_archE910ELNS1_3gpuE8ELNS1_3repE0EEENS1_30default_config_static_selectorELNS0_4arch9wavefront6targetE0EEEvT1_.numbered_sgpr, 0
	.set _ZN7rocprim17ROCPRIM_400000_NS6detail17trampoline_kernelINS0_14default_configENS1_27scan_by_key_config_selectorIj11FixedVectorIiLj2EEEEZZNS1_16scan_by_key_implILNS1_25lookback_scan_determinismE0ELb0ES3_N6thrust23THRUST_200600_302600_NS6detail15normal_iteratorINSB_10device_ptrIjEEEENSD_INSE_IS6_EEEESI_S6_NSB_4plusIvEENSB_8equal_toIvEES6_EE10hipError_tPvRmT2_T3_T4_T5_mT6_T7_P12ihipStream_tbENKUlT_T0_E_clISt17integral_constantIbLb0EES12_IbLb1EEEEDaSY_SZ_EUlSY_E_NS1_11comp_targetILNS1_3genE4ELNS1_11target_archE910ELNS1_3gpuE8ELNS1_3repE0EEENS1_30default_config_static_selectorELNS0_4arch9wavefront6targetE0EEEvT1_.num_named_barrier, 0
	.set _ZN7rocprim17ROCPRIM_400000_NS6detail17trampoline_kernelINS0_14default_configENS1_27scan_by_key_config_selectorIj11FixedVectorIiLj2EEEEZZNS1_16scan_by_key_implILNS1_25lookback_scan_determinismE0ELb0ES3_N6thrust23THRUST_200600_302600_NS6detail15normal_iteratorINSB_10device_ptrIjEEEENSD_INSE_IS6_EEEESI_S6_NSB_4plusIvEENSB_8equal_toIvEES6_EE10hipError_tPvRmT2_T3_T4_T5_mT6_T7_P12ihipStream_tbENKUlT_T0_E_clISt17integral_constantIbLb0EES12_IbLb1EEEEDaSY_SZ_EUlSY_E_NS1_11comp_targetILNS1_3genE4ELNS1_11target_archE910ELNS1_3gpuE8ELNS1_3repE0EEENS1_30default_config_static_selectorELNS0_4arch9wavefront6targetE0EEEvT1_.private_seg_size, 0
	.set _ZN7rocprim17ROCPRIM_400000_NS6detail17trampoline_kernelINS0_14default_configENS1_27scan_by_key_config_selectorIj11FixedVectorIiLj2EEEEZZNS1_16scan_by_key_implILNS1_25lookback_scan_determinismE0ELb0ES3_N6thrust23THRUST_200600_302600_NS6detail15normal_iteratorINSB_10device_ptrIjEEEENSD_INSE_IS6_EEEESI_S6_NSB_4plusIvEENSB_8equal_toIvEES6_EE10hipError_tPvRmT2_T3_T4_T5_mT6_T7_P12ihipStream_tbENKUlT_T0_E_clISt17integral_constantIbLb0EES12_IbLb1EEEEDaSY_SZ_EUlSY_E_NS1_11comp_targetILNS1_3genE4ELNS1_11target_archE910ELNS1_3gpuE8ELNS1_3repE0EEENS1_30default_config_static_selectorELNS0_4arch9wavefront6targetE0EEEvT1_.uses_vcc, 0
	.set _ZN7rocprim17ROCPRIM_400000_NS6detail17trampoline_kernelINS0_14default_configENS1_27scan_by_key_config_selectorIj11FixedVectorIiLj2EEEEZZNS1_16scan_by_key_implILNS1_25lookback_scan_determinismE0ELb0ES3_N6thrust23THRUST_200600_302600_NS6detail15normal_iteratorINSB_10device_ptrIjEEEENSD_INSE_IS6_EEEESI_S6_NSB_4plusIvEENSB_8equal_toIvEES6_EE10hipError_tPvRmT2_T3_T4_T5_mT6_T7_P12ihipStream_tbENKUlT_T0_E_clISt17integral_constantIbLb0EES12_IbLb1EEEEDaSY_SZ_EUlSY_E_NS1_11comp_targetILNS1_3genE4ELNS1_11target_archE910ELNS1_3gpuE8ELNS1_3repE0EEENS1_30default_config_static_selectorELNS0_4arch9wavefront6targetE0EEEvT1_.uses_flat_scratch, 0
	.set _ZN7rocprim17ROCPRIM_400000_NS6detail17trampoline_kernelINS0_14default_configENS1_27scan_by_key_config_selectorIj11FixedVectorIiLj2EEEEZZNS1_16scan_by_key_implILNS1_25lookback_scan_determinismE0ELb0ES3_N6thrust23THRUST_200600_302600_NS6detail15normal_iteratorINSB_10device_ptrIjEEEENSD_INSE_IS6_EEEESI_S6_NSB_4plusIvEENSB_8equal_toIvEES6_EE10hipError_tPvRmT2_T3_T4_T5_mT6_T7_P12ihipStream_tbENKUlT_T0_E_clISt17integral_constantIbLb0EES12_IbLb1EEEEDaSY_SZ_EUlSY_E_NS1_11comp_targetILNS1_3genE4ELNS1_11target_archE910ELNS1_3gpuE8ELNS1_3repE0EEENS1_30default_config_static_selectorELNS0_4arch9wavefront6targetE0EEEvT1_.has_dyn_sized_stack, 0
	.set _ZN7rocprim17ROCPRIM_400000_NS6detail17trampoline_kernelINS0_14default_configENS1_27scan_by_key_config_selectorIj11FixedVectorIiLj2EEEEZZNS1_16scan_by_key_implILNS1_25lookback_scan_determinismE0ELb0ES3_N6thrust23THRUST_200600_302600_NS6detail15normal_iteratorINSB_10device_ptrIjEEEENSD_INSE_IS6_EEEESI_S6_NSB_4plusIvEENSB_8equal_toIvEES6_EE10hipError_tPvRmT2_T3_T4_T5_mT6_T7_P12ihipStream_tbENKUlT_T0_E_clISt17integral_constantIbLb0EES12_IbLb1EEEEDaSY_SZ_EUlSY_E_NS1_11comp_targetILNS1_3genE4ELNS1_11target_archE910ELNS1_3gpuE8ELNS1_3repE0EEENS1_30default_config_static_selectorELNS0_4arch9wavefront6targetE0EEEvT1_.has_recursion, 0
	.set _ZN7rocprim17ROCPRIM_400000_NS6detail17trampoline_kernelINS0_14default_configENS1_27scan_by_key_config_selectorIj11FixedVectorIiLj2EEEEZZNS1_16scan_by_key_implILNS1_25lookback_scan_determinismE0ELb0ES3_N6thrust23THRUST_200600_302600_NS6detail15normal_iteratorINSB_10device_ptrIjEEEENSD_INSE_IS6_EEEESI_S6_NSB_4plusIvEENSB_8equal_toIvEES6_EE10hipError_tPvRmT2_T3_T4_T5_mT6_T7_P12ihipStream_tbENKUlT_T0_E_clISt17integral_constantIbLb0EES12_IbLb1EEEEDaSY_SZ_EUlSY_E_NS1_11comp_targetILNS1_3genE4ELNS1_11target_archE910ELNS1_3gpuE8ELNS1_3repE0EEENS1_30default_config_static_selectorELNS0_4arch9wavefront6targetE0EEEvT1_.has_indirect_call, 0
	.section	.AMDGPU.csdata,"",@progbits
; Kernel info:
; codeLenInByte = 0
; TotalNumSgprs: 0
; NumVgprs: 0
; ScratchSize: 0
; MemoryBound: 0
; FloatMode: 240
; IeeeMode: 1
; LDSByteSize: 0 bytes/workgroup (compile time only)
; SGPRBlocks: 0
; VGPRBlocks: 0
; NumSGPRsForWavesPerEU: 1
; NumVGPRsForWavesPerEU: 1
; Occupancy: 16
; WaveLimiterHint : 0
; COMPUTE_PGM_RSRC2:SCRATCH_EN: 0
; COMPUTE_PGM_RSRC2:USER_SGPR: 6
; COMPUTE_PGM_RSRC2:TRAP_HANDLER: 0
; COMPUTE_PGM_RSRC2:TGID_X_EN: 1
; COMPUTE_PGM_RSRC2:TGID_Y_EN: 0
; COMPUTE_PGM_RSRC2:TGID_Z_EN: 0
; COMPUTE_PGM_RSRC2:TIDIG_COMP_CNT: 0
	.section	.text._ZN7rocprim17ROCPRIM_400000_NS6detail17trampoline_kernelINS0_14default_configENS1_27scan_by_key_config_selectorIj11FixedVectorIiLj2EEEEZZNS1_16scan_by_key_implILNS1_25lookback_scan_determinismE0ELb0ES3_N6thrust23THRUST_200600_302600_NS6detail15normal_iteratorINSB_10device_ptrIjEEEENSD_INSE_IS6_EEEESI_S6_NSB_4plusIvEENSB_8equal_toIvEES6_EE10hipError_tPvRmT2_T3_T4_T5_mT6_T7_P12ihipStream_tbENKUlT_T0_E_clISt17integral_constantIbLb0EES12_IbLb1EEEEDaSY_SZ_EUlSY_E_NS1_11comp_targetILNS1_3genE3ELNS1_11target_archE908ELNS1_3gpuE7ELNS1_3repE0EEENS1_30default_config_static_selectorELNS0_4arch9wavefront6targetE0EEEvT1_,"axG",@progbits,_ZN7rocprim17ROCPRIM_400000_NS6detail17trampoline_kernelINS0_14default_configENS1_27scan_by_key_config_selectorIj11FixedVectorIiLj2EEEEZZNS1_16scan_by_key_implILNS1_25lookback_scan_determinismE0ELb0ES3_N6thrust23THRUST_200600_302600_NS6detail15normal_iteratorINSB_10device_ptrIjEEEENSD_INSE_IS6_EEEESI_S6_NSB_4plusIvEENSB_8equal_toIvEES6_EE10hipError_tPvRmT2_T3_T4_T5_mT6_T7_P12ihipStream_tbENKUlT_T0_E_clISt17integral_constantIbLb0EES12_IbLb1EEEEDaSY_SZ_EUlSY_E_NS1_11comp_targetILNS1_3genE3ELNS1_11target_archE908ELNS1_3gpuE7ELNS1_3repE0EEENS1_30default_config_static_selectorELNS0_4arch9wavefront6targetE0EEEvT1_,comdat
	.protected	_ZN7rocprim17ROCPRIM_400000_NS6detail17trampoline_kernelINS0_14default_configENS1_27scan_by_key_config_selectorIj11FixedVectorIiLj2EEEEZZNS1_16scan_by_key_implILNS1_25lookback_scan_determinismE0ELb0ES3_N6thrust23THRUST_200600_302600_NS6detail15normal_iteratorINSB_10device_ptrIjEEEENSD_INSE_IS6_EEEESI_S6_NSB_4plusIvEENSB_8equal_toIvEES6_EE10hipError_tPvRmT2_T3_T4_T5_mT6_T7_P12ihipStream_tbENKUlT_T0_E_clISt17integral_constantIbLb0EES12_IbLb1EEEEDaSY_SZ_EUlSY_E_NS1_11comp_targetILNS1_3genE3ELNS1_11target_archE908ELNS1_3gpuE7ELNS1_3repE0EEENS1_30default_config_static_selectorELNS0_4arch9wavefront6targetE0EEEvT1_ ; -- Begin function _ZN7rocprim17ROCPRIM_400000_NS6detail17trampoline_kernelINS0_14default_configENS1_27scan_by_key_config_selectorIj11FixedVectorIiLj2EEEEZZNS1_16scan_by_key_implILNS1_25lookback_scan_determinismE0ELb0ES3_N6thrust23THRUST_200600_302600_NS6detail15normal_iteratorINSB_10device_ptrIjEEEENSD_INSE_IS6_EEEESI_S6_NSB_4plusIvEENSB_8equal_toIvEES6_EE10hipError_tPvRmT2_T3_T4_T5_mT6_T7_P12ihipStream_tbENKUlT_T0_E_clISt17integral_constantIbLb0EES12_IbLb1EEEEDaSY_SZ_EUlSY_E_NS1_11comp_targetILNS1_3genE3ELNS1_11target_archE908ELNS1_3gpuE7ELNS1_3repE0EEENS1_30default_config_static_selectorELNS0_4arch9wavefront6targetE0EEEvT1_
	.globl	_ZN7rocprim17ROCPRIM_400000_NS6detail17trampoline_kernelINS0_14default_configENS1_27scan_by_key_config_selectorIj11FixedVectorIiLj2EEEEZZNS1_16scan_by_key_implILNS1_25lookback_scan_determinismE0ELb0ES3_N6thrust23THRUST_200600_302600_NS6detail15normal_iteratorINSB_10device_ptrIjEEEENSD_INSE_IS6_EEEESI_S6_NSB_4plusIvEENSB_8equal_toIvEES6_EE10hipError_tPvRmT2_T3_T4_T5_mT6_T7_P12ihipStream_tbENKUlT_T0_E_clISt17integral_constantIbLb0EES12_IbLb1EEEEDaSY_SZ_EUlSY_E_NS1_11comp_targetILNS1_3genE3ELNS1_11target_archE908ELNS1_3gpuE7ELNS1_3repE0EEENS1_30default_config_static_selectorELNS0_4arch9wavefront6targetE0EEEvT1_
	.p2align	8
	.type	_ZN7rocprim17ROCPRIM_400000_NS6detail17trampoline_kernelINS0_14default_configENS1_27scan_by_key_config_selectorIj11FixedVectorIiLj2EEEEZZNS1_16scan_by_key_implILNS1_25lookback_scan_determinismE0ELb0ES3_N6thrust23THRUST_200600_302600_NS6detail15normal_iteratorINSB_10device_ptrIjEEEENSD_INSE_IS6_EEEESI_S6_NSB_4plusIvEENSB_8equal_toIvEES6_EE10hipError_tPvRmT2_T3_T4_T5_mT6_T7_P12ihipStream_tbENKUlT_T0_E_clISt17integral_constantIbLb0EES12_IbLb1EEEEDaSY_SZ_EUlSY_E_NS1_11comp_targetILNS1_3genE3ELNS1_11target_archE908ELNS1_3gpuE7ELNS1_3repE0EEENS1_30default_config_static_selectorELNS0_4arch9wavefront6targetE0EEEvT1_,@function
_ZN7rocprim17ROCPRIM_400000_NS6detail17trampoline_kernelINS0_14default_configENS1_27scan_by_key_config_selectorIj11FixedVectorIiLj2EEEEZZNS1_16scan_by_key_implILNS1_25lookback_scan_determinismE0ELb0ES3_N6thrust23THRUST_200600_302600_NS6detail15normal_iteratorINSB_10device_ptrIjEEEENSD_INSE_IS6_EEEESI_S6_NSB_4plusIvEENSB_8equal_toIvEES6_EE10hipError_tPvRmT2_T3_T4_T5_mT6_T7_P12ihipStream_tbENKUlT_T0_E_clISt17integral_constantIbLb0EES12_IbLb1EEEEDaSY_SZ_EUlSY_E_NS1_11comp_targetILNS1_3genE3ELNS1_11target_archE908ELNS1_3gpuE7ELNS1_3repE0EEENS1_30default_config_static_selectorELNS0_4arch9wavefront6targetE0EEEvT1_: ; @_ZN7rocprim17ROCPRIM_400000_NS6detail17trampoline_kernelINS0_14default_configENS1_27scan_by_key_config_selectorIj11FixedVectorIiLj2EEEEZZNS1_16scan_by_key_implILNS1_25lookback_scan_determinismE0ELb0ES3_N6thrust23THRUST_200600_302600_NS6detail15normal_iteratorINSB_10device_ptrIjEEEENSD_INSE_IS6_EEEESI_S6_NSB_4plusIvEENSB_8equal_toIvEES6_EE10hipError_tPvRmT2_T3_T4_T5_mT6_T7_P12ihipStream_tbENKUlT_T0_E_clISt17integral_constantIbLb0EES12_IbLb1EEEEDaSY_SZ_EUlSY_E_NS1_11comp_targetILNS1_3genE3ELNS1_11target_archE908ELNS1_3gpuE7ELNS1_3repE0EEENS1_30default_config_static_selectorELNS0_4arch9wavefront6targetE0EEEvT1_
; %bb.0:
	.section	.rodata,"a",@progbits
	.p2align	6, 0x0
	.amdhsa_kernel _ZN7rocprim17ROCPRIM_400000_NS6detail17trampoline_kernelINS0_14default_configENS1_27scan_by_key_config_selectorIj11FixedVectorIiLj2EEEEZZNS1_16scan_by_key_implILNS1_25lookback_scan_determinismE0ELb0ES3_N6thrust23THRUST_200600_302600_NS6detail15normal_iteratorINSB_10device_ptrIjEEEENSD_INSE_IS6_EEEESI_S6_NSB_4plusIvEENSB_8equal_toIvEES6_EE10hipError_tPvRmT2_T3_T4_T5_mT6_T7_P12ihipStream_tbENKUlT_T0_E_clISt17integral_constantIbLb0EES12_IbLb1EEEEDaSY_SZ_EUlSY_E_NS1_11comp_targetILNS1_3genE3ELNS1_11target_archE908ELNS1_3gpuE7ELNS1_3repE0EEENS1_30default_config_static_selectorELNS0_4arch9wavefront6targetE0EEEvT1_
		.amdhsa_group_segment_fixed_size 0
		.amdhsa_private_segment_fixed_size 0
		.amdhsa_kernarg_size 120
		.amdhsa_user_sgpr_count 6
		.amdhsa_user_sgpr_private_segment_buffer 1
		.amdhsa_user_sgpr_dispatch_ptr 0
		.amdhsa_user_sgpr_queue_ptr 0
		.amdhsa_user_sgpr_kernarg_segment_ptr 1
		.amdhsa_user_sgpr_dispatch_id 0
		.amdhsa_user_sgpr_flat_scratch_init 0
		.amdhsa_user_sgpr_private_segment_size 0
		.amdhsa_wavefront_size32 1
		.amdhsa_uses_dynamic_stack 0
		.amdhsa_system_sgpr_private_segment_wavefront_offset 0
		.amdhsa_system_sgpr_workgroup_id_x 1
		.amdhsa_system_sgpr_workgroup_id_y 0
		.amdhsa_system_sgpr_workgroup_id_z 0
		.amdhsa_system_sgpr_workgroup_info 0
		.amdhsa_system_vgpr_workitem_id 0
		.amdhsa_next_free_vgpr 1
		.amdhsa_next_free_sgpr 1
		.amdhsa_reserve_vcc 0
		.amdhsa_reserve_flat_scratch 0
		.amdhsa_float_round_mode_32 0
		.amdhsa_float_round_mode_16_64 0
		.amdhsa_float_denorm_mode_32 3
		.amdhsa_float_denorm_mode_16_64 3
		.amdhsa_dx10_clamp 1
		.amdhsa_ieee_mode 1
		.amdhsa_fp16_overflow 0
		.amdhsa_workgroup_processor_mode 1
		.amdhsa_memory_ordered 1
		.amdhsa_forward_progress 1
		.amdhsa_shared_vgpr_count 0
		.amdhsa_exception_fp_ieee_invalid_op 0
		.amdhsa_exception_fp_denorm_src 0
		.amdhsa_exception_fp_ieee_div_zero 0
		.amdhsa_exception_fp_ieee_overflow 0
		.amdhsa_exception_fp_ieee_underflow 0
		.amdhsa_exception_fp_ieee_inexact 0
		.amdhsa_exception_int_div_zero 0
	.end_amdhsa_kernel
	.section	.text._ZN7rocprim17ROCPRIM_400000_NS6detail17trampoline_kernelINS0_14default_configENS1_27scan_by_key_config_selectorIj11FixedVectorIiLj2EEEEZZNS1_16scan_by_key_implILNS1_25lookback_scan_determinismE0ELb0ES3_N6thrust23THRUST_200600_302600_NS6detail15normal_iteratorINSB_10device_ptrIjEEEENSD_INSE_IS6_EEEESI_S6_NSB_4plusIvEENSB_8equal_toIvEES6_EE10hipError_tPvRmT2_T3_T4_T5_mT6_T7_P12ihipStream_tbENKUlT_T0_E_clISt17integral_constantIbLb0EES12_IbLb1EEEEDaSY_SZ_EUlSY_E_NS1_11comp_targetILNS1_3genE3ELNS1_11target_archE908ELNS1_3gpuE7ELNS1_3repE0EEENS1_30default_config_static_selectorELNS0_4arch9wavefront6targetE0EEEvT1_,"axG",@progbits,_ZN7rocprim17ROCPRIM_400000_NS6detail17trampoline_kernelINS0_14default_configENS1_27scan_by_key_config_selectorIj11FixedVectorIiLj2EEEEZZNS1_16scan_by_key_implILNS1_25lookback_scan_determinismE0ELb0ES3_N6thrust23THRUST_200600_302600_NS6detail15normal_iteratorINSB_10device_ptrIjEEEENSD_INSE_IS6_EEEESI_S6_NSB_4plusIvEENSB_8equal_toIvEES6_EE10hipError_tPvRmT2_T3_T4_T5_mT6_T7_P12ihipStream_tbENKUlT_T0_E_clISt17integral_constantIbLb0EES12_IbLb1EEEEDaSY_SZ_EUlSY_E_NS1_11comp_targetILNS1_3genE3ELNS1_11target_archE908ELNS1_3gpuE7ELNS1_3repE0EEENS1_30default_config_static_selectorELNS0_4arch9wavefront6targetE0EEEvT1_,comdat
.Lfunc_end1988:
	.size	_ZN7rocprim17ROCPRIM_400000_NS6detail17trampoline_kernelINS0_14default_configENS1_27scan_by_key_config_selectorIj11FixedVectorIiLj2EEEEZZNS1_16scan_by_key_implILNS1_25lookback_scan_determinismE0ELb0ES3_N6thrust23THRUST_200600_302600_NS6detail15normal_iteratorINSB_10device_ptrIjEEEENSD_INSE_IS6_EEEESI_S6_NSB_4plusIvEENSB_8equal_toIvEES6_EE10hipError_tPvRmT2_T3_T4_T5_mT6_T7_P12ihipStream_tbENKUlT_T0_E_clISt17integral_constantIbLb0EES12_IbLb1EEEEDaSY_SZ_EUlSY_E_NS1_11comp_targetILNS1_3genE3ELNS1_11target_archE908ELNS1_3gpuE7ELNS1_3repE0EEENS1_30default_config_static_selectorELNS0_4arch9wavefront6targetE0EEEvT1_, .Lfunc_end1988-_ZN7rocprim17ROCPRIM_400000_NS6detail17trampoline_kernelINS0_14default_configENS1_27scan_by_key_config_selectorIj11FixedVectorIiLj2EEEEZZNS1_16scan_by_key_implILNS1_25lookback_scan_determinismE0ELb0ES3_N6thrust23THRUST_200600_302600_NS6detail15normal_iteratorINSB_10device_ptrIjEEEENSD_INSE_IS6_EEEESI_S6_NSB_4plusIvEENSB_8equal_toIvEES6_EE10hipError_tPvRmT2_T3_T4_T5_mT6_T7_P12ihipStream_tbENKUlT_T0_E_clISt17integral_constantIbLb0EES12_IbLb1EEEEDaSY_SZ_EUlSY_E_NS1_11comp_targetILNS1_3genE3ELNS1_11target_archE908ELNS1_3gpuE7ELNS1_3repE0EEENS1_30default_config_static_selectorELNS0_4arch9wavefront6targetE0EEEvT1_
                                        ; -- End function
	.set _ZN7rocprim17ROCPRIM_400000_NS6detail17trampoline_kernelINS0_14default_configENS1_27scan_by_key_config_selectorIj11FixedVectorIiLj2EEEEZZNS1_16scan_by_key_implILNS1_25lookback_scan_determinismE0ELb0ES3_N6thrust23THRUST_200600_302600_NS6detail15normal_iteratorINSB_10device_ptrIjEEEENSD_INSE_IS6_EEEESI_S6_NSB_4plusIvEENSB_8equal_toIvEES6_EE10hipError_tPvRmT2_T3_T4_T5_mT6_T7_P12ihipStream_tbENKUlT_T0_E_clISt17integral_constantIbLb0EES12_IbLb1EEEEDaSY_SZ_EUlSY_E_NS1_11comp_targetILNS1_3genE3ELNS1_11target_archE908ELNS1_3gpuE7ELNS1_3repE0EEENS1_30default_config_static_selectorELNS0_4arch9wavefront6targetE0EEEvT1_.num_vgpr, 0
	.set _ZN7rocprim17ROCPRIM_400000_NS6detail17trampoline_kernelINS0_14default_configENS1_27scan_by_key_config_selectorIj11FixedVectorIiLj2EEEEZZNS1_16scan_by_key_implILNS1_25lookback_scan_determinismE0ELb0ES3_N6thrust23THRUST_200600_302600_NS6detail15normal_iteratorINSB_10device_ptrIjEEEENSD_INSE_IS6_EEEESI_S6_NSB_4plusIvEENSB_8equal_toIvEES6_EE10hipError_tPvRmT2_T3_T4_T5_mT6_T7_P12ihipStream_tbENKUlT_T0_E_clISt17integral_constantIbLb0EES12_IbLb1EEEEDaSY_SZ_EUlSY_E_NS1_11comp_targetILNS1_3genE3ELNS1_11target_archE908ELNS1_3gpuE7ELNS1_3repE0EEENS1_30default_config_static_selectorELNS0_4arch9wavefront6targetE0EEEvT1_.num_agpr, 0
	.set _ZN7rocprim17ROCPRIM_400000_NS6detail17trampoline_kernelINS0_14default_configENS1_27scan_by_key_config_selectorIj11FixedVectorIiLj2EEEEZZNS1_16scan_by_key_implILNS1_25lookback_scan_determinismE0ELb0ES3_N6thrust23THRUST_200600_302600_NS6detail15normal_iteratorINSB_10device_ptrIjEEEENSD_INSE_IS6_EEEESI_S6_NSB_4plusIvEENSB_8equal_toIvEES6_EE10hipError_tPvRmT2_T3_T4_T5_mT6_T7_P12ihipStream_tbENKUlT_T0_E_clISt17integral_constantIbLb0EES12_IbLb1EEEEDaSY_SZ_EUlSY_E_NS1_11comp_targetILNS1_3genE3ELNS1_11target_archE908ELNS1_3gpuE7ELNS1_3repE0EEENS1_30default_config_static_selectorELNS0_4arch9wavefront6targetE0EEEvT1_.numbered_sgpr, 0
	.set _ZN7rocprim17ROCPRIM_400000_NS6detail17trampoline_kernelINS0_14default_configENS1_27scan_by_key_config_selectorIj11FixedVectorIiLj2EEEEZZNS1_16scan_by_key_implILNS1_25lookback_scan_determinismE0ELb0ES3_N6thrust23THRUST_200600_302600_NS6detail15normal_iteratorINSB_10device_ptrIjEEEENSD_INSE_IS6_EEEESI_S6_NSB_4plusIvEENSB_8equal_toIvEES6_EE10hipError_tPvRmT2_T3_T4_T5_mT6_T7_P12ihipStream_tbENKUlT_T0_E_clISt17integral_constantIbLb0EES12_IbLb1EEEEDaSY_SZ_EUlSY_E_NS1_11comp_targetILNS1_3genE3ELNS1_11target_archE908ELNS1_3gpuE7ELNS1_3repE0EEENS1_30default_config_static_selectorELNS0_4arch9wavefront6targetE0EEEvT1_.num_named_barrier, 0
	.set _ZN7rocprim17ROCPRIM_400000_NS6detail17trampoline_kernelINS0_14default_configENS1_27scan_by_key_config_selectorIj11FixedVectorIiLj2EEEEZZNS1_16scan_by_key_implILNS1_25lookback_scan_determinismE0ELb0ES3_N6thrust23THRUST_200600_302600_NS6detail15normal_iteratorINSB_10device_ptrIjEEEENSD_INSE_IS6_EEEESI_S6_NSB_4plusIvEENSB_8equal_toIvEES6_EE10hipError_tPvRmT2_T3_T4_T5_mT6_T7_P12ihipStream_tbENKUlT_T0_E_clISt17integral_constantIbLb0EES12_IbLb1EEEEDaSY_SZ_EUlSY_E_NS1_11comp_targetILNS1_3genE3ELNS1_11target_archE908ELNS1_3gpuE7ELNS1_3repE0EEENS1_30default_config_static_selectorELNS0_4arch9wavefront6targetE0EEEvT1_.private_seg_size, 0
	.set _ZN7rocprim17ROCPRIM_400000_NS6detail17trampoline_kernelINS0_14default_configENS1_27scan_by_key_config_selectorIj11FixedVectorIiLj2EEEEZZNS1_16scan_by_key_implILNS1_25lookback_scan_determinismE0ELb0ES3_N6thrust23THRUST_200600_302600_NS6detail15normal_iteratorINSB_10device_ptrIjEEEENSD_INSE_IS6_EEEESI_S6_NSB_4plusIvEENSB_8equal_toIvEES6_EE10hipError_tPvRmT2_T3_T4_T5_mT6_T7_P12ihipStream_tbENKUlT_T0_E_clISt17integral_constantIbLb0EES12_IbLb1EEEEDaSY_SZ_EUlSY_E_NS1_11comp_targetILNS1_3genE3ELNS1_11target_archE908ELNS1_3gpuE7ELNS1_3repE0EEENS1_30default_config_static_selectorELNS0_4arch9wavefront6targetE0EEEvT1_.uses_vcc, 0
	.set _ZN7rocprim17ROCPRIM_400000_NS6detail17trampoline_kernelINS0_14default_configENS1_27scan_by_key_config_selectorIj11FixedVectorIiLj2EEEEZZNS1_16scan_by_key_implILNS1_25lookback_scan_determinismE0ELb0ES3_N6thrust23THRUST_200600_302600_NS6detail15normal_iteratorINSB_10device_ptrIjEEEENSD_INSE_IS6_EEEESI_S6_NSB_4plusIvEENSB_8equal_toIvEES6_EE10hipError_tPvRmT2_T3_T4_T5_mT6_T7_P12ihipStream_tbENKUlT_T0_E_clISt17integral_constantIbLb0EES12_IbLb1EEEEDaSY_SZ_EUlSY_E_NS1_11comp_targetILNS1_3genE3ELNS1_11target_archE908ELNS1_3gpuE7ELNS1_3repE0EEENS1_30default_config_static_selectorELNS0_4arch9wavefront6targetE0EEEvT1_.uses_flat_scratch, 0
	.set _ZN7rocprim17ROCPRIM_400000_NS6detail17trampoline_kernelINS0_14default_configENS1_27scan_by_key_config_selectorIj11FixedVectorIiLj2EEEEZZNS1_16scan_by_key_implILNS1_25lookback_scan_determinismE0ELb0ES3_N6thrust23THRUST_200600_302600_NS6detail15normal_iteratorINSB_10device_ptrIjEEEENSD_INSE_IS6_EEEESI_S6_NSB_4plusIvEENSB_8equal_toIvEES6_EE10hipError_tPvRmT2_T3_T4_T5_mT6_T7_P12ihipStream_tbENKUlT_T0_E_clISt17integral_constantIbLb0EES12_IbLb1EEEEDaSY_SZ_EUlSY_E_NS1_11comp_targetILNS1_3genE3ELNS1_11target_archE908ELNS1_3gpuE7ELNS1_3repE0EEENS1_30default_config_static_selectorELNS0_4arch9wavefront6targetE0EEEvT1_.has_dyn_sized_stack, 0
	.set _ZN7rocprim17ROCPRIM_400000_NS6detail17trampoline_kernelINS0_14default_configENS1_27scan_by_key_config_selectorIj11FixedVectorIiLj2EEEEZZNS1_16scan_by_key_implILNS1_25lookback_scan_determinismE0ELb0ES3_N6thrust23THRUST_200600_302600_NS6detail15normal_iteratorINSB_10device_ptrIjEEEENSD_INSE_IS6_EEEESI_S6_NSB_4plusIvEENSB_8equal_toIvEES6_EE10hipError_tPvRmT2_T3_T4_T5_mT6_T7_P12ihipStream_tbENKUlT_T0_E_clISt17integral_constantIbLb0EES12_IbLb1EEEEDaSY_SZ_EUlSY_E_NS1_11comp_targetILNS1_3genE3ELNS1_11target_archE908ELNS1_3gpuE7ELNS1_3repE0EEENS1_30default_config_static_selectorELNS0_4arch9wavefront6targetE0EEEvT1_.has_recursion, 0
	.set _ZN7rocprim17ROCPRIM_400000_NS6detail17trampoline_kernelINS0_14default_configENS1_27scan_by_key_config_selectorIj11FixedVectorIiLj2EEEEZZNS1_16scan_by_key_implILNS1_25lookback_scan_determinismE0ELb0ES3_N6thrust23THRUST_200600_302600_NS6detail15normal_iteratorINSB_10device_ptrIjEEEENSD_INSE_IS6_EEEESI_S6_NSB_4plusIvEENSB_8equal_toIvEES6_EE10hipError_tPvRmT2_T3_T4_T5_mT6_T7_P12ihipStream_tbENKUlT_T0_E_clISt17integral_constantIbLb0EES12_IbLb1EEEEDaSY_SZ_EUlSY_E_NS1_11comp_targetILNS1_3genE3ELNS1_11target_archE908ELNS1_3gpuE7ELNS1_3repE0EEENS1_30default_config_static_selectorELNS0_4arch9wavefront6targetE0EEEvT1_.has_indirect_call, 0
	.section	.AMDGPU.csdata,"",@progbits
; Kernel info:
; codeLenInByte = 0
; TotalNumSgprs: 0
; NumVgprs: 0
; ScratchSize: 0
; MemoryBound: 0
; FloatMode: 240
; IeeeMode: 1
; LDSByteSize: 0 bytes/workgroup (compile time only)
; SGPRBlocks: 0
; VGPRBlocks: 0
; NumSGPRsForWavesPerEU: 1
; NumVGPRsForWavesPerEU: 1
; Occupancy: 16
; WaveLimiterHint : 0
; COMPUTE_PGM_RSRC2:SCRATCH_EN: 0
; COMPUTE_PGM_RSRC2:USER_SGPR: 6
; COMPUTE_PGM_RSRC2:TRAP_HANDLER: 0
; COMPUTE_PGM_RSRC2:TGID_X_EN: 1
; COMPUTE_PGM_RSRC2:TGID_Y_EN: 0
; COMPUTE_PGM_RSRC2:TGID_Z_EN: 0
; COMPUTE_PGM_RSRC2:TIDIG_COMP_CNT: 0
	.section	.text._ZN7rocprim17ROCPRIM_400000_NS6detail17trampoline_kernelINS0_14default_configENS1_27scan_by_key_config_selectorIj11FixedVectorIiLj2EEEEZZNS1_16scan_by_key_implILNS1_25lookback_scan_determinismE0ELb0ES3_N6thrust23THRUST_200600_302600_NS6detail15normal_iteratorINSB_10device_ptrIjEEEENSD_INSE_IS6_EEEESI_S6_NSB_4plusIvEENSB_8equal_toIvEES6_EE10hipError_tPvRmT2_T3_T4_T5_mT6_T7_P12ihipStream_tbENKUlT_T0_E_clISt17integral_constantIbLb0EES12_IbLb1EEEEDaSY_SZ_EUlSY_E_NS1_11comp_targetILNS1_3genE2ELNS1_11target_archE906ELNS1_3gpuE6ELNS1_3repE0EEENS1_30default_config_static_selectorELNS0_4arch9wavefront6targetE0EEEvT1_,"axG",@progbits,_ZN7rocprim17ROCPRIM_400000_NS6detail17trampoline_kernelINS0_14default_configENS1_27scan_by_key_config_selectorIj11FixedVectorIiLj2EEEEZZNS1_16scan_by_key_implILNS1_25lookback_scan_determinismE0ELb0ES3_N6thrust23THRUST_200600_302600_NS6detail15normal_iteratorINSB_10device_ptrIjEEEENSD_INSE_IS6_EEEESI_S6_NSB_4plusIvEENSB_8equal_toIvEES6_EE10hipError_tPvRmT2_T3_T4_T5_mT6_T7_P12ihipStream_tbENKUlT_T0_E_clISt17integral_constantIbLb0EES12_IbLb1EEEEDaSY_SZ_EUlSY_E_NS1_11comp_targetILNS1_3genE2ELNS1_11target_archE906ELNS1_3gpuE6ELNS1_3repE0EEENS1_30default_config_static_selectorELNS0_4arch9wavefront6targetE0EEEvT1_,comdat
	.protected	_ZN7rocprim17ROCPRIM_400000_NS6detail17trampoline_kernelINS0_14default_configENS1_27scan_by_key_config_selectorIj11FixedVectorIiLj2EEEEZZNS1_16scan_by_key_implILNS1_25lookback_scan_determinismE0ELb0ES3_N6thrust23THRUST_200600_302600_NS6detail15normal_iteratorINSB_10device_ptrIjEEEENSD_INSE_IS6_EEEESI_S6_NSB_4plusIvEENSB_8equal_toIvEES6_EE10hipError_tPvRmT2_T3_T4_T5_mT6_T7_P12ihipStream_tbENKUlT_T0_E_clISt17integral_constantIbLb0EES12_IbLb1EEEEDaSY_SZ_EUlSY_E_NS1_11comp_targetILNS1_3genE2ELNS1_11target_archE906ELNS1_3gpuE6ELNS1_3repE0EEENS1_30default_config_static_selectorELNS0_4arch9wavefront6targetE0EEEvT1_ ; -- Begin function _ZN7rocprim17ROCPRIM_400000_NS6detail17trampoline_kernelINS0_14default_configENS1_27scan_by_key_config_selectorIj11FixedVectorIiLj2EEEEZZNS1_16scan_by_key_implILNS1_25lookback_scan_determinismE0ELb0ES3_N6thrust23THRUST_200600_302600_NS6detail15normal_iteratorINSB_10device_ptrIjEEEENSD_INSE_IS6_EEEESI_S6_NSB_4plusIvEENSB_8equal_toIvEES6_EE10hipError_tPvRmT2_T3_T4_T5_mT6_T7_P12ihipStream_tbENKUlT_T0_E_clISt17integral_constantIbLb0EES12_IbLb1EEEEDaSY_SZ_EUlSY_E_NS1_11comp_targetILNS1_3genE2ELNS1_11target_archE906ELNS1_3gpuE6ELNS1_3repE0EEENS1_30default_config_static_selectorELNS0_4arch9wavefront6targetE0EEEvT1_
	.globl	_ZN7rocprim17ROCPRIM_400000_NS6detail17trampoline_kernelINS0_14default_configENS1_27scan_by_key_config_selectorIj11FixedVectorIiLj2EEEEZZNS1_16scan_by_key_implILNS1_25lookback_scan_determinismE0ELb0ES3_N6thrust23THRUST_200600_302600_NS6detail15normal_iteratorINSB_10device_ptrIjEEEENSD_INSE_IS6_EEEESI_S6_NSB_4plusIvEENSB_8equal_toIvEES6_EE10hipError_tPvRmT2_T3_T4_T5_mT6_T7_P12ihipStream_tbENKUlT_T0_E_clISt17integral_constantIbLb0EES12_IbLb1EEEEDaSY_SZ_EUlSY_E_NS1_11comp_targetILNS1_3genE2ELNS1_11target_archE906ELNS1_3gpuE6ELNS1_3repE0EEENS1_30default_config_static_selectorELNS0_4arch9wavefront6targetE0EEEvT1_
	.p2align	8
	.type	_ZN7rocprim17ROCPRIM_400000_NS6detail17trampoline_kernelINS0_14default_configENS1_27scan_by_key_config_selectorIj11FixedVectorIiLj2EEEEZZNS1_16scan_by_key_implILNS1_25lookback_scan_determinismE0ELb0ES3_N6thrust23THRUST_200600_302600_NS6detail15normal_iteratorINSB_10device_ptrIjEEEENSD_INSE_IS6_EEEESI_S6_NSB_4plusIvEENSB_8equal_toIvEES6_EE10hipError_tPvRmT2_T3_T4_T5_mT6_T7_P12ihipStream_tbENKUlT_T0_E_clISt17integral_constantIbLb0EES12_IbLb1EEEEDaSY_SZ_EUlSY_E_NS1_11comp_targetILNS1_3genE2ELNS1_11target_archE906ELNS1_3gpuE6ELNS1_3repE0EEENS1_30default_config_static_selectorELNS0_4arch9wavefront6targetE0EEEvT1_,@function
_ZN7rocprim17ROCPRIM_400000_NS6detail17trampoline_kernelINS0_14default_configENS1_27scan_by_key_config_selectorIj11FixedVectorIiLj2EEEEZZNS1_16scan_by_key_implILNS1_25lookback_scan_determinismE0ELb0ES3_N6thrust23THRUST_200600_302600_NS6detail15normal_iteratorINSB_10device_ptrIjEEEENSD_INSE_IS6_EEEESI_S6_NSB_4plusIvEENSB_8equal_toIvEES6_EE10hipError_tPvRmT2_T3_T4_T5_mT6_T7_P12ihipStream_tbENKUlT_T0_E_clISt17integral_constantIbLb0EES12_IbLb1EEEEDaSY_SZ_EUlSY_E_NS1_11comp_targetILNS1_3genE2ELNS1_11target_archE906ELNS1_3gpuE6ELNS1_3repE0EEENS1_30default_config_static_selectorELNS0_4arch9wavefront6targetE0EEEvT1_: ; @_ZN7rocprim17ROCPRIM_400000_NS6detail17trampoline_kernelINS0_14default_configENS1_27scan_by_key_config_selectorIj11FixedVectorIiLj2EEEEZZNS1_16scan_by_key_implILNS1_25lookback_scan_determinismE0ELb0ES3_N6thrust23THRUST_200600_302600_NS6detail15normal_iteratorINSB_10device_ptrIjEEEENSD_INSE_IS6_EEEESI_S6_NSB_4plusIvEENSB_8equal_toIvEES6_EE10hipError_tPvRmT2_T3_T4_T5_mT6_T7_P12ihipStream_tbENKUlT_T0_E_clISt17integral_constantIbLb0EES12_IbLb1EEEEDaSY_SZ_EUlSY_E_NS1_11comp_targetILNS1_3genE2ELNS1_11target_archE906ELNS1_3gpuE6ELNS1_3repE0EEENS1_30default_config_static_selectorELNS0_4arch9wavefront6targetE0EEEvT1_
; %bb.0:
	.section	.rodata,"a",@progbits
	.p2align	6, 0x0
	.amdhsa_kernel _ZN7rocprim17ROCPRIM_400000_NS6detail17trampoline_kernelINS0_14default_configENS1_27scan_by_key_config_selectorIj11FixedVectorIiLj2EEEEZZNS1_16scan_by_key_implILNS1_25lookback_scan_determinismE0ELb0ES3_N6thrust23THRUST_200600_302600_NS6detail15normal_iteratorINSB_10device_ptrIjEEEENSD_INSE_IS6_EEEESI_S6_NSB_4plusIvEENSB_8equal_toIvEES6_EE10hipError_tPvRmT2_T3_T4_T5_mT6_T7_P12ihipStream_tbENKUlT_T0_E_clISt17integral_constantIbLb0EES12_IbLb1EEEEDaSY_SZ_EUlSY_E_NS1_11comp_targetILNS1_3genE2ELNS1_11target_archE906ELNS1_3gpuE6ELNS1_3repE0EEENS1_30default_config_static_selectorELNS0_4arch9wavefront6targetE0EEEvT1_
		.amdhsa_group_segment_fixed_size 0
		.amdhsa_private_segment_fixed_size 0
		.amdhsa_kernarg_size 120
		.amdhsa_user_sgpr_count 6
		.amdhsa_user_sgpr_private_segment_buffer 1
		.amdhsa_user_sgpr_dispatch_ptr 0
		.amdhsa_user_sgpr_queue_ptr 0
		.amdhsa_user_sgpr_kernarg_segment_ptr 1
		.amdhsa_user_sgpr_dispatch_id 0
		.amdhsa_user_sgpr_flat_scratch_init 0
		.amdhsa_user_sgpr_private_segment_size 0
		.amdhsa_wavefront_size32 1
		.amdhsa_uses_dynamic_stack 0
		.amdhsa_system_sgpr_private_segment_wavefront_offset 0
		.amdhsa_system_sgpr_workgroup_id_x 1
		.amdhsa_system_sgpr_workgroup_id_y 0
		.amdhsa_system_sgpr_workgroup_id_z 0
		.amdhsa_system_sgpr_workgroup_info 0
		.amdhsa_system_vgpr_workitem_id 0
		.amdhsa_next_free_vgpr 1
		.amdhsa_next_free_sgpr 1
		.amdhsa_reserve_vcc 0
		.amdhsa_reserve_flat_scratch 0
		.amdhsa_float_round_mode_32 0
		.amdhsa_float_round_mode_16_64 0
		.amdhsa_float_denorm_mode_32 3
		.amdhsa_float_denorm_mode_16_64 3
		.amdhsa_dx10_clamp 1
		.amdhsa_ieee_mode 1
		.amdhsa_fp16_overflow 0
		.amdhsa_workgroup_processor_mode 1
		.amdhsa_memory_ordered 1
		.amdhsa_forward_progress 1
		.amdhsa_shared_vgpr_count 0
		.amdhsa_exception_fp_ieee_invalid_op 0
		.amdhsa_exception_fp_denorm_src 0
		.amdhsa_exception_fp_ieee_div_zero 0
		.amdhsa_exception_fp_ieee_overflow 0
		.amdhsa_exception_fp_ieee_underflow 0
		.amdhsa_exception_fp_ieee_inexact 0
		.amdhsa_exception_int_div_zero 0
	.end_amdhsa_kernel
	.section	.text._ZN7rocprim17ROCPRIM_400000_NS6detail17trampoline_kernelINS0_14default_configENS1_27scan_by_key_config_selectorIj11FixedVectorIiLj2EEEEZZNS1_16scan_by_key_implILNS1_25lookback_scan_determinismE0ELb0ES3_N6thrust23THRUST_200600_302600_NS6detail15normal_iteratorINSB_10device_ptrIjEEEENSD_INSE_IS6_EEEESI_S6_NSB_4plusIvEENSB_8equal_toIvEES6_EE10hipError_tPvRmT2_T3_T4_T5_mT6_T7_P12ihipStream_tbENKUlT_T0_E_clISt17integral_constantIbLb0EES12_IbLb1EEEEDaSY_SZ_EUlSY_E_NS1_11comp_targetILNS1_3genE2ELNS1_11target_archE906ELNS1_3gpuE6ELNS1_3repE0EEENS1_30default_config_static_selectorELNS0_4arch9wavefront6targetE0EEEvT1_,"axG",@progbits,_ZN7rocprim17ROCPRIM_400000_NS6detail17trampoline_kernelINS0_14default_configENS1_27scan_by_key_config_selectorIj11FixedVectorIiLj2EEEEZZNS1_16scan_by_key_implILNS1_25lookback_scan_determinismE0ELb0ES3_N6thrust23THRUST_200600_302600_NS6detail15normal_iteratorINSB_10device_ptrIjEEEENSD_INSE_IS6_EEEESI_S6_NSB_4plusIvEENSB_8equal_toIvEES6_EE10hipError_tPvRmT2_T3_T4_T5_mT6_T7_P12ihipStream_tbENKUlT_T0_E_clISt17integral_constantIbLb0EES12_IbLb1EEEEDaSY_SZ_EUlSY_E_NS1_11comp_targetILNS1_3genE2ELNS1_11target_archE906ELNS1_3gpuE6ELNS1_3repE0EEENS1_30default_config_static_selectorELNS0_4arch9wavefront6targetE0EEEvT1_,comdat
.Lfunc_end1989:
	.size	_ZN7rocprim17ROCPRIM_400000_NS6detail17trampoline_kernelINS0_14default_configENS1_27scan_by_key_config_selectorIj11FixedVectorIiLj2EEEEZZNS1_16scan_by_key_implILNS1_25lookback_scan_determinismE0ELb0ES3_N6thrust23THRUST_200600_302600_NS6detail15normal_iteratorINSB_10device_ptrIjEEEENSD_INSE_IS6_EEEESI_S6_NSB_4plusIvEENSB_8equal_toIvEES6_EE10hipError_tPvRmT2_T3_T4_T5_mT6_T7_P12ihipStream_tbENKUlT_T0_E_clISt17integral_constantIbLb0EES12_IbLb1EEEEDaSY_SZ_EUlSY_E_NS1_11comp_targetILNS1_3genE2ELNS1_11target_archE906ELNS1_3gpuE6ELNS1_3repE0EEENS1_30default_config_static_selectorELNS0_4arch9wavefront6targetE0EEEvT1_, .Lfunc_end1989-_ZN7rocprim17ROCPRIM_400000_NS6detail17trampoline_kernelINS0_14default_configENS1_27scan_by_key_config_selectorIj11FixedVectorIiLj2EEEEZZNS1_16scan_by_key_implILNS1_25lookback_scan_determinismE0ELb0ES3_N6thrust23THRUST_200600_302600_NS6detail15normal_iteratorINSB_10device_ptrIjEEEENSD_INSE_IS6_EEEESI_S6_NSB_4plusIvEENSB_8equal_toIvEES6_EE10hipError_tPvRmT2_T3_T4_T5_mT6_T7_P12ihipStream_tbENKUlT_T0_E_clISt17integral_constantIbLb0EES12_IbLb1EEEEDaSY_SZ_EUlSY_E_NS1_11comp_targetILNS1_3genE2ELNS1_11target_archE906ELNS1_3gpuE6ELNS1_3repE0EEENS1_30default_config_static_selectorELNS0_4arch9wavefront6targetE0EEEvT1_
                                        ; -- End function
	.set _ZN7rocprim17ROCPRIM_400000_NS6detail17trampoline_kernelINS0_14default_configENS1_27scan_by_key_config_selectorIj11FixedVectorIiLj2EEEEZZNS1_16scan_by_key_implILNS1_25lookback_scan_determinismE0ELb0ES3_N6thrust23THRUST_200600_302600_NS6detail15normal_iteratorINSB_10device_ptrIjEEEENSD_INSE_IS6_EEEESI_S6_NSB_4plusIvEENSB_8equal_toIvEES6_EE10hipError_tPvRmT2_T3_T4_T5_mT6_T7_P12ihipStream_tbENKUlT_T0_E_clISt17integral_constantIbLb0EES12_IbLb1EEEEDaSY_SZ_EUlSY_E_NS1_11comp_targetILNS1_3genE2ELNS1_11target_archE906ELNS1_3gpuE6ELNS1_3repE0EEENS1_30default_config_static_selectorELNS0_4arch9wavefront6targetE0EEEvT1_.num_vgpr, 0
	.set _ZN7rocprim17ROCPRIM_400000_NS6detail17trampoline_kernelINS0_14default_configENS1_27scan_by_key_config_selectorIj11FixedVectorIiLj2EEEEZZNS1_16scan_by_key_implILNS1_25lookback_scan_determinismE0ELb0ES3_N6thrust23THRUST_200600_302600_NS6detail15normal_iteratorINSB_10device_ptrIjEEEENSD_INSE_IS6_EEEESI_S6_NSB_4plusIvEENSB_8equal_toIvEES6_EE10hipError_tPvRmT2_T3_T4_T5_mT6_T7_P12ihipStream_tbENKUlT_T0_E_clISt17integral_constantIbLb0EES12_IbLb1EEEEDaSY_SZ_EUlSY_E_NS1_11comp_targetILNS1_3genE2ELNS1_11target_archE906ELNS1_3gpuE6ELNS1_3repE0EEENS1_30default_config_static_selectorELNS0_4arch9wavefront6targetE0EEEvT1_.num_agpr, 0
	.set _ZN7rocprim17ROCPRIM_400000_NS6detail17trampoline_kernelINS0_14default_configENS1_27scan_by_key_config_selectorIj11FixedVectorIiLj2EEEEZZNS1_16scan_by_key_implILNS1_25lookback_scan_determinismE0ELb0ES3_N6thrust23THRUST_200600_302600_NS6detail15normal_iteratorINSB_10device_ptrIjEEEENSD_INSE_IS6_EEEESI_S6_NSB_4plusIvEENSB_8equal_toIvEES6_EE10hipError_tPvRmT2_T3_T4_T5_mT6_T7_P12ihipStream_tbENKUlT_T0_E_clISt17integral_constantIbLb0EES12_IbLb1EEEEDaSY_SZ_EUlSY_E_NS1_11comp_targetILNS1_3genE2ELNS1_11target_archE906ELNS1_3gpuE6ELNS1_3repE0EEENS1_30default_config_static_selectorELNS0_4arch9wavefront6targetE0EEEvT1_.numbered_sgpr, 0
	.set _ZN7rocprim17ROCPRIM_400000_NS6detail17trampoline_kernelINS0_14default_configENS1_27scan_by_key_config_selectorIj11FixedVectorIiLj2EEEEZZNS1_16scan_by_key_implILNS1_25lookback_scan_determinismE0ELb0ES3_N6thrust23THRUST_200600_302600_NS6detail15normal_iteratorINSB_10device_ptrIjEEEENSD_INSE_IS6_EEEESI_S6_NSB_4plusIvEENSB_8equal_toIvEES6_EE10hipError_tPvRmT2_T3_T4_T5_mT6_T7_P12ihipStream_tbENKUlT_T0_E_clISt17integral_constantIbLb0EES12_IbLb1EEEEDaSY_SZ_EUlSY_E_NS1_11comp_targetILNS1_3genE2ELNS1_11target_archE906ELNS1_3gpuE6ELNS1_3repE0EEENS1_30default_config_static_selectorELNS0_4arch9wavefront6targetE0EEEvT1_.num_named_barrier, 0
	.set _ZN7rocprim17ROCPRIM_400000_NS6detail17trampoline_kernelINS0_14default_configENS1_27scan_by_key_config_selectorIj11FixedVectorIiLj2EEEEZZNS1_16scan_by_key_implILNS1_25lookback_scan_determinismE0ELb0ES3_N6thrust23THRUST_200600_302600_NS6detail15normal_iteratorINSB_10device_ptrIjEEEENSD_INSE_IS6_EEEESI_S6_NSB_4plusIvEENSB_8equal_toIvEES6_EE10hipError_tPvRmT2_T3_T4_T5_mT6_T7_P12ihipStream_tbENKUlT_T0_E_clISt17integral_constantIbLb0EES12_IbLb1EEEEDaSY_SZ_EUlSY_E_NS1_11comp_targetILNS1_3genE2ELNS1_11target_archE906ELNS1_3gpuE6ELNS1_3repE0EEENS1_30default_config_static_selectorELNS0_4arch9wavefront6targetE0EEEvT1_.private_seg_size, 0
	.set _ZN7rocprim17ROCPRIM_400000_NS6detail17trampoline_kernelINS0_14default_configENS1_27scan_by_key_config_selectorIj11FixedVectorIiLj2EEEEZZNS1_16scan_by_key_implILNS1_25lookback_scan_determinismE0ELb0ES3_N6thrust23THRUST_200600_302600_NS6detail15normal_iteratorINSB_10device_ptrIjEEEENSD_INSE_IS6_EEEESI_S6_NSB_4plusIvEENSB_8equal_toIvEES6_EE10hipError_tPvRmT2_T3_T4_T5_mT6_T7_P12ihipStream_tbENKUlT_T0_E_clISt17integral_constantIbLb0EES12_IbLb1EEEEDaSY_SZ_EUlSY_E_NS1_11comp_targetILNS1_3genE2ELNS1_11target_archE906ELNS1_3gpuE6ELNS1_3repE0EEENS1_30default_config_static_selectorELNS0_4arch9wavefront6targetE0EEEvT1_.uses_vcc, 0
	.set _ZN7rocprim17ROCPRIM_400000_NS6detail17trampoline_kernelINS0_14default_configENS1_27scan_by_key_config_selectorIj11FixedVectorIiLj2EEEEZZNS1_16scan_by_key_implILNS1_25lookback_scan_determinismE0ELb0ES3_N6thrust23THRUST_200600_302600_NS6detail15normal_iteratorINSB_10device_ptrIjEEEENSD_INSE_IS6_EEEESI_S6_NSB_4plusIvEENSB_8equal_toIvEES6_EE10hipError_tPvRmT2_T3_T4_T5_mT6_T7_P12ihipStream_tbENKUlT_T0_E_clISt17integral_constantIbLb0EES12_IbLb1EEEEDaSY_SZ_EUlSY_E_NS1_11comp_targetILNS1_3genE2ELNS1_11target_archE906ELNS1_3gpuE6ELNS1_3repE0EEENS1_30default_config_static_selectorELNS0_4arch9wavefront6targetE0EEEvT1_.uses_flat_scratch, 0
	.set _ZN7rocprim17ROCPRIM_400000_NS6detail17trampoline_kernelINS0_14default_configENS1_27scan_by_key_config_selectorIj11FixedVectorIiLj2EEEEZZNS1_16scan_by_key_implILNS1_25lookback_scan_determinismE0ELb0ES3_N6thrust23THRUST_200600_302600_NS6detail15normal_iteratorINSB_10device_ptrIjEEEENSD_INSE_IS6_EEEESI_S6_NSB_4plusIvEENSB_8equal_toIvEES6_EE10hipError_tPvRmT2_T3_T4_T5_mT6_T7_P12ihipStream_tbENKUlT_T0_E_clISt17integral_constantIbLb0EES12_IbLb1EEEEDaSY_SZ_EUlSY_E_NS1_11comp_targetILNS1_3genE2ELNS1_11target_archE906ELNS1_3gpuE6ELNS1_3repE0EEENS1_30default_config_static_selectorELNS0_4arch9wavefront6targetE0EEEvT1_.has_dyn_sized_stack, 0
	.set _ZN7rocprim17ROCPRIM_400000_NS6detail17trampoline_kernelINS0_14default_configENS1_27scan_by_key_config_selectorIj11FixedVectorIiLj2EEEEZZNS1_16scan_by_key_implILNS1_25lookback_scan_determinismE0ELb0ES3_N6thrust23THRUST_200600_302600_NS6detail15normal_iteratorINSB_10device_ptrIjEEEENSD_INSE_IS6_EEEESI_S6_NSB_4plusIvEENSB_8equal_toIvEES6_EE10hipError_tPvRmT2_T3_T4_T5_mT6_T7_P12ihipStream_tbENKUlT_T0_E_clISt17integral_constantIbLb0EES12_IbLb1EEEEDaSY_SZ_EUlSY_E_NS1_11comp_targetILNS1_3genE2ELNS1_11target_archE906ELNS1_3gpuE6ELNS1_3repE0EEENS1_30default_config_static_selectorELNS0_4arch9wavefront6targetE0EEEvT1_.has_recursion, 0
	.set _ZN7rocprim17ROCPRIM_400000_NS6detail17trampoline_kernelINS0_14default_configENS1_27scan_by_key_config_selectorIj11FixedVectorIiLj2EEEEZZNS1_16scan_by_key_implILNS1_25lookback_scan_determinismE0ELb0ES3_N6thrust23THRUST_200600_302600_NS6detail15normal_iteratorINSB_10device_ptrIjEEEENSD_INSE_IS6_EEEESI_S6_NSB_4plusIvEENSB_8equal_toIvEES6_EE10hipError_tPvRmT2_T3_T4_T5_mT6_T7_P12ihipStream_tbENKUlT_T0_E_clISt17integral_constantIbLb0EES12_IbLb1EEEEDaSY_SZ_EUlSY_E_NS1_11comp_targetILNS1_3genE2ELNS1_11target_archE906ELNS1_3gpuE6ELNS1_3repE0EEENS1_30default_config_static_selectorELNS0_4arch9wavefront6targetE0EEEvT1_.has_indirect_call, 0
	.section	.AMDGPU.csdata,"",@progbits
; Kernel info:
; codeLenInByte = 0
; TotalNumSgprs: 0
; NumVgprs: 0
; ScratchSize: 0
; MemoryBound: 0
; FloatMode: 240
; IeeeMode: 1
; LDSByteSize: 0 bytes/workgroup (compile time only)
; SGPRBlocks: 0
; VGPRBlocks: 0
; NumSGPRsForWavesPerEU: 1
; NumVGPRsForWavesPerEU: 1
; Occupancy: 16
; WaveLimiterHint : 0
; COMPUTE_PGM_RSRC2:SCRATCH_EN: 0
; COMPUTE_PGM_RSRC2:USER_SGPR: 6
; COMPUTE_PGM_RSRC2:TRAP_HANDLER: 0
; COMPUTE_PGM_RSRC2:TGID_X_EN: 1
; COMPUTE_PGM_RSRC2:TGID_Y_EN: 0
; COMPUTE_PGM_RSRC2:TGID_Z_EN: 0
; COMPUTE_PGM_RSRC2:TIDIG_COMP_CNT: 0
	.section	.text._ZN7rocprim17ROCPRIM_400000_NS6detail17trampoline_kernelINS0_14default_configENS1_27scan_by_key_config_selectorIj11FixedVectorIiLj2EEEEZZNS1_16scan_by_key_implILNS1_25lookback_scan_determinismE0ELb0ES3_N6thrust23THRUST_200600_302600_NS6detail15normal_iteratorINSB_10device_ptrIjEEEENSD_INSE_IS6_EEEESI_S6_NSB_4plusIvEENSB_8equal_toIvEES6_EE10hipError_tPvRmT2_T3_T4_T5_mT6_T7_P12ihipStream_tbENKUlT_T0_E_clISt17integral_constantIbLb0EES12_IbLb1EEEEDaSY_SZ_EUlSY_E_NS1_11comp_targetILNS1_3genE10ELNS1_11target_archE1200ELNS1_3gpuE4ELNS1_3repE0EEENS1_30default_config_static_selectorELNS0_4arch9wavefront6targetE0EEEvT1_,"axG",@progbits,_ZN7rocprim17ROCPRIM_400000_NS6detail17trampoline_kernelINS0_14default_configENS1_27scan_by_key_config_selectorIj11FixedVectorIiLj2EEEEZZNS1_16scan_by_key_implILNS1_25lookback_scan_determinismE0ELb0ES3_N6thrust23THRUST_200600_302600_NS6detail15normal_iteratorINSB_10device_ptrIjEEEENSD_INSE_IS6_EEEESI_S6_NSB_4plusIvEENSB_8equal_toIvEES6_EE10hipError_tPvRmT2_T3_T4_T5_mT6_T7_P12ihipStream_tbENKUlT_T0_E_clISt17integral_constantIbLb0EES12_IbLb1EEEEDaSY_SZ_EUlSY_E_NS1_11comp_targetILNS1_3genE10ELNS1_11target_archE1200ELNS1_3gpuE4ELNS1_3repE0EEENS1_30default_config_static_selectorELNS0_4arch9wavefront6targetE0EEEvT1_,comdat
	.protected	_ZN7rocprim17ROCPRIM_400000_NS6detail17trampoline_kernelINS0_14default_configENS1_27scan_by_key_config_selectorIj11FixedVectorIiLj2EEEEZZNS1_16scan_by_key_implILNS1_25lookback_scan_determinismE0ELb0ES3_N6thrust23THRUST_200600_302600_NS6detail15normal_iteratorINSB_10device_ptrIjEEEENSD_INSE_IS6_EEEESI_S6_NSB_4plusIvEENSB_8equal_toIvEES6_EE10hipError_tPvRmT2_T3_T4_T5_mT6_T7_P12ihipStream_tbENKUlT_T0_E_clISt17integral_constantIbLb0EES12_IbLb1EEEEDaSY_SZ_EUlSY_E_NS1_11comp_targetILNS1_3genE10ELNS1_11target_archE1200ELNS1_3gpuE4ELNS1_3repE0EEENS1_30default_config_static_selectorELNS0_4arch9wavefront6targetE0EEEvT1_ ; -- Begin function _ZN7rocprim17ROCPRIM_400000_NS6detail17trampoline_kernelINS0_14default_configENS1_27scan_by_key_config_selectorIj11FixedVectorIiLj2EEEEZZNS1_16scan_by_key_implILNS1_25lookback_scan_determinismE0ELb0ES3_N6thrust23THRUST_200600_302600_NS6detail15normal_iteratorINSB_10device_ptrIjEEEENSD_INSE_IS6_EEEESI_S6_NSB_4plusIvEENSB_8equal_toIvEES6_EE10hipError_tPvRmT2_T3_T4_T5_mT6_T7_P12ihipStream_tbENKUlT_T0_E_clISt17integral_constantIbLb0EES12_IbLb1EEEEDaSY_SZ_EUlSY_E_NS1_11comp_targetILNS1_3genE10ELNS1_11target_archE1200ELNS1_3gpuE4ELNS1_3repE0EEENS1_30default_config_static_selectorELNS0_4arch9wavefront6targetE0EEEvT1_
	.globl	_ZN7rocprim17ROCPRIM_400000_NS6detail17trampoline_kernelINS0_14default_configENS1_27scan_by_key_config_selectorIj11FixedVectorIiLj2EEEEZZNS1_16scan_by_key_implILNS1_25lookback_scan_determinismE0ELb0ES3_N6thrust23THRUST_200600_302600_NS6detail15normal_iteratorINSB_10device_ptrIjEEEENSD_INSE_IS6_EEEESI_S6_NSB_4plusIvEENSB_8equal_toIvEES6_EE10hipError_tPvRmT2_T3_T4_T5_mT6_T7_P12ihipStream_tbENKUlT_T0_E_clISt17integral_constantIbLb0EES12_IbLb1EEEEDaSY_SZ_EUlSY_E_NS1_11comp_targetILNS1_3genE10ELNS1_11target_archE1200ELNS1_3gpuE4ELNS1_3repE0EEENS1_30default_config_static_selectorELNS0_4arch9wavefront6targetE0EEEvT1_
	.p2align	8
	.type	_ZN7rocprim17ROCPRIM_400000_NS6detail17trampoline_kernelINS0_14default_configENS1_27scan_by_key_config_selectorIj11FixedVectorIiLj2EEEEZZNS1_16scan_by_key_implILNS1_25lookback_scan_determinismE0ELb0ES3_N6thrust23THRUST_200600_302600_NS6detail15normal_iteratorINSB_10device_ptrIjEEEENSD_INSE_IS6_EEEESI_S6_NSB_4plusIvEENSB_8equal_toIvEES6_EE10hipError_tPvRmT2_T3_T4_T5_mT6_T7_P12ihipStream_tbENKUlT_T0_E_clISt17integral_constantIbLb0EES12_IbLb1EEEEDaSY_SZ_EUlSY_E_NS1_11comp_targetILNS1_3genE10ELNS1_11target_archE1200ELNS1_3gpuE4ELNS1_3repE0EEENS1_30default_config_static_selectorELNS0_4arch9wavefront6targetE0EEEvT1_,@function
_ZN7rocprim17ROCPRIM_400000_NS6detail17trampoline_kernelINS0_14default_configENS1_27scan_by_key_config_selectorIj11FixedVectorIiLj2EEEEZZNS1_16scan_by_key_implILNS1_25lookback_scan_determinismE0ELb0ES3_N6thrust23THRUST_200600_302600_NS6detail15normal_iteratorINSB_10device_ptrIjEEEENSD_INSE_IS6_EEEESI_S6_NSB_4plusIvEENSB_8equal_toIvEES6_EE10hipError_tPvRmT2_T3_T4_T5_mT6_T7_P12ihipStream_tbENKUlT_T0_E_clISt17integral_constantIbLb0EES12_IbLb1EEEEDaSY_SZ_EUlSY_E_NS1_11comp_targetILNS1_3genE10ELNS1_11target_archE1200ELNS1_3gpuE4ELNS1_3repE0EEENS1_30default_config_static_selectorELNS0_4arch9wavefront6targetE0EEEvT1_: ; @_ZN7rocprim17ROCPRIM_400000_NS6detail17trampoline_kernelINS0_14default_configENS1_27scan_by_key_config_selectorIj11FixedVectorIiLj2EEEEZZNS1_16scan_by_key_implILNS1_25lookback_scan_determinismE0ELb0ES3_N6thrust23THRUST_200600_302600_NS6detail15normal_iteratorINSB_10device_ptrIjEEEENSD_INSE_IS6_EEEESI_S6_NSB_4plusIvEENSB_8equal_toIvEES6_EE10hipError_tPvRmT2_T3_T4_T5_mT6_T7_P12ihipStream_tbENKUlT_T0_E_clISt17integral_constantIbLb0EES12_IbLb1EEEEDaSY_SZ_EUlSY_E_NS1_11comp_targetILNS1_3genE10ELNS1_11target_archE1200ELNS1_3gpuE4ELNS1_3repE0EEENS1_30default_config_static_selectorELNS0_4arch9wavefront6targetE0EEEvT1_
; %bb.0:
	.section	.rodata,"a",@progbits
	.p2align	6, 0x0
	.amdhsa_kernel _ZN7rocprim17ROCPRIM_400000_NS6detail17trampoline_kernelINS0_14default_configENS1_27scan_by_key_config_selectorIj11FixedVectorIiLj2EEEEZZNS1_16scan_by_key_implILNS1_25lookback_scan_determinismE0ELb0ES3_N6thrust23THRUST_200600_302600_NS6detail15normal_iteratorINSB_10device_ptrIjEEEENSD_INSE_IS6_EEEESI_S6_NSB_4plusIvEENSB_8equal_toIvEES6_EE10hipError_tPvRmT2_T3_T4_T5_mT6_T7_P12ihipStream_tbENKUlT_T0_E_clISt17integral_constantIbLb0EES12_IbLb1EEEEDaSY_SZ_EUlSY_E_NS1_11comp_targetILNS1_3genE10ELNS1_11target_archE1200ELNS1_3gpuE4ELNS1_3repE0EEENS1_30default_config_static_selectorELNS0_4arch9wavefront6targetE0EEEvT1_
		.amdhsa_group_segment_fixed_size 0
		.amdhsa_private_segment_fixed_size 0
		.amdhsa_kernarg_size 120
		.amdhsa_user_sgpr_count 6
		.amdhsa_user_sgpr_private_segment_buffer 1
		.amdhsa_user_sgpr_dispatch_ptr 0
		.amdhsa_user_sgpr_queue_ptr 0
		.amdhsa_user_sgpr_kernarg_segment_ptr 1
		.amdhsa_user_sgpr_dispatch_id 0
		.amdhsa_user_sgpr_flat_scratch_init 0
		.amdhsa_user_sgpr_private_segment_size 0
		.amdhsa_wavefront_size32 1
		.amdhsa_uses_dynamic_stack 0
		.amdhsa_system_sgpr_private_segment_wavefront_offset 0
		.amdhsa_system_sgpr_workgroup_id_x 1
		.amdhsa_system_sgpr_workgroup_id_y 0
		.amdhsa_system_sgpr_workgroup_id_z 0
		.amdhsa_system_sgpr_workgroup_info 0
		.amdhsa_system_vgpr_workitem_id 0
		.amdhsa_next_free_vgpr 1
		.amdhsa_next_free_sgpr 1
		.amdhsa_reserve_vcc 0
		.amdhsa_reserve_flat_scratch 0
		.amdhsa_float_round_mode_32 0
		.amdhsa_float_round_mode_16_64 0
		.amdhsa_float_denorm_mode_32 3
		.amdhsa_float_denorm_mode_16_64 3
		.amdhsa_dx10_clamp 1
		.amdhsa_ieee_mode 1
		.amdhsa_fp16_overflow 0
		.amdhsa_workgroup_processor_mode 1
		.amdhsa_memory_ordered 1
		.amdhsa_forward_progress 1
		.amdhsa_shared_vgpr_count 0
		.amdhsa_exception_fp_ieee_invalid_op 0
		.amdhsa_exception_fp_denorm_src 0
		.amdhsa_exception_fp_ieee_div_zero 0
		.amdhsa_exception_fp_ieee_overflow 0
		.amdhsa_exception_fp_ieee_underflow 0
		.amdhsa_exception_fp_ieee_inexact 0
		.amdhsa_exception_int_div_zero 0
	.end_amdhsa_kernel
	.section	.text._ZN7rocprim17ROCPRIM_400000_NS6detail17trampoline_kernelINS0_14default_configENS1_27scan_by_key_config_selectorIj11FixedVectorIiLj2EEEEZZNS1_16scan_by_key_implILNS1_25lookback_scan_determinismE0ELb0ES3_N6thrust23THRUST_200600_302600_NS6detail15normal_iteratorINSB_10device_ptrIjEEEENSD_INSE_IS6_EEEESI_S6_NSB_4plusIvEENSB_8equal_toIvEES6_EE10hipError_tPvRmT2_T3_T4_T5_mT6_T7_P12ihipStream_tbENKUlT_T0_E_clISt17integral_constantIbLb0EES12_IbLb1EEEEDaSY_SZ_EUlSY_E_NS1_11comp_targetILNS1_3genE10ELNS1_11target_archE1200ELNS1_3gpuE4ELNS1_3repE0EEENS1_30default_config_static_selectorELNS0_4arch9wavefront6targetE0EEEvT1_,"axG",@progbits,_ZN7rocprim17ROCPRIM_400000_NS6detail17trampoline_kernelINS0_14default_configENS1_27scan_by_key_config_selectorIj11FixedVectorIiLj2EEEEZZNS1_16scan_by_key_implILNS1_25lookback_scan_determinismE0ELb0ES3_N6thrust23THRUST_200600_302600_NS6detail15normal_iteratorINSB_10device_ptrIjEEEENSD_INSE_IS6_EEEESI_S6_NSB_4plusIvEENSB_8equal_toIvEES6_EE10hipError_tPvRmT2_T3_T4_T5_mT6_T7_P12ihipStream_tbENKUlT_T0_E_clISt17integral_constantIbLb0EES12_IbLb1EEEEDaSY_SZ_EUlSY_E_NS1_11comp_targetILNS1_3genE10ELNS1_11target_archE1200ELNS1_3gpuE4ELNS1_3repE0EEENS1_30default_config_static_selectorELNS0_4arch9wavefront6targetE0EEEvT1_,comdat
.Lfunc_end1990:
	.size	_ZN7rocprim17ROCPRIM_400000_NS6detail17trampoline_kernelINS0_14default_configENS1_27scan_by_key_config_selectorIj11FixedVectorIiLj2EEEEZZNS1_16scan_by_key_implILNS1_25lookback_scan_determinismE0ELb0ES3_N6thrust23THRUST_200600_302600_NS6detail15normal_iteratorINSB_10device_ptrIjEEEENSD_INSE_IS6_EEEESI_S6_NSB_4plusIvEENSB_8equal_toIvEES6_EE10hipError_tPvRmT2_T3_T4_T5_mT6_T7_P12ihipStream_tbENKUlT_T0_E_clISt17integral_constantIbLb0EES12_IbLb1EEEEDaSY_SZ_EUlSY_E_NS1_11comp_targetILNS1_3genE10ELNS1_11target_archE1200ELNS1_3gpuE4ELNS1_3repE0EEENS1_30default_config_static_selectorELNS0_4arch9wavefront6targetE0EEEvT1_, .Lfunc_end1990-_ZN7rocprim17ROCPRIM_400000_NS6detail17trampoline_kernelINS0_14default_configENS1_27scan_by_key_config_selectorIj11FixedVectorIiLj2EEEEZZNS1_16scan_by_key_implILNS1_25lookback_scan_determinismE0ELb0ES3_N6thrust23THRUST_200600_302600_NS6detail15normal_iteratorINSB_10device_ptrIjEEEENSD_INSE_IS6_EEEESI_S6_NSB_4plusIvEENSB_8equal_toIvEES6_EE10hipError_tPvRmT2_T3_T4_T5_mT6_T7_P12ihipStream_tbENKUlT_T0_E_clISt17integral_constantIbLb0EES12_IbLb1EEEEDaSY_SZ_EUlSY_E_NS1_11comp_targetILNS1_3genE10ELNS1_11target_archE1200ELNS1_3gpuE4ELNS1_3repE0EEENS1_30default_config_static_selectorELNS0_4arch9wavefront6targetE0EEEvT1_
                                        ; -- End function
	.set _ZN7rocprim17ROCPRIM_400000_NS6detail17trampoline_kernelINS0_14default_configENS1_27scan_by_key_config_selectorIj11FixedVectorIiLj2EEEEZZNS1_16scan_by_key_implILNS1_25lookback_scan_determinismE0ELb0ES3_N6thrust23THRUST_200600_302600_NS6detail15normal_iteratorINSB_10device_ptrIjEEEENSD_INSE_IS6_EEEESI_S6_NSB_4plusIvEENSB_8equal_toIvEES6_EE10hipError_tPvRmT2_T3_T4_T5_mT6_T7_P12ihipStream_tbENKUlT_T0_E_clISt17integral_constantIbLb0EES12_IbLb1EEEEDaSY_SZ_EUlSY_E_NS1_11comp_targetILNS1_3genE10ELNS1_11target_archE1200ELNS1_3gpuE4ELNS1_3repE0EEENS1_30default_config_static_selectorELNS0_4arch9wavefront6targetE0EEEvT1_.num_vgpr, 0
	.set _ZN7rocprim17ROCPRIM_400000_NS6detail17trampoline_kernelINS0_14default_configENS1_27scan_by_key_config_selectorIj11FixedVectorIiLj2EEEEZZNS1_16scan_by_key_implILNS1_25lookback_scan_determinismE0ELb0ES3_N6thrust23THRUST_200600_302600_NS6detail15normal_iteratorINSB_10device_ptrIjEEEENSD_INSE_IS6_EEEESI_S6_NSB_4plusIvEENSB_8equal_toIvEES6_EE10hipError_tPvRmT2_T3_T4_T5_mT6_T7_P12ihipStream_tbENKUlT_T0_E_clISt17integral_constantIbLb0EES12_IbLb1EEEEDaSY_SZ_EUlSY_E_NS1_11comp_targetILNS1_3genE10ELNS1_11target_archE1200ELNS1_3gpuE4ELNS1_3repE0EEENS1_30default_config_static_selectorELNS0_4arch9wavefront6targetE0EEEvT1_.num_agpr, 0
	.set _ZN7rocprim17ROCPRIM_400000_NS6detail17trampoline_kernelINS0_14default_configENS1_27scan_by_key_config_selectorIj11FixedVectorIiLj2EEEEZZNS1_16scan_by_key_implILNS1_25lookback_scan_determinismE0ELb0ES3_N6thrust23THRUST_200600_302600_NS6detail15normal_iteratorINSB_10device_ptrIjEEEENSD_INSE_IS6_EEEESI_S6_NSB_4plusIvEENSB_8equal_toIvEES6_EE10hipError_tPvRmT2_T3_T4_T5_mT6_T7_P12ihipStream_tbENKUlT_T0_E_clISt17integral_constantIbLb0EES12_IbLb1EEEEDaSY_SZ_EUlSY_E_NS1_11comp_targetILNS1_3genE10ELNS1_11target_archE1200ELNS1_3gpuE4ELNS1_3repE0EEENS1_30default_config_static_selectorELNS0_4arch9wavefront6targetE0EEEvT1_.numbered_sgpr, 0
	.set _ZN7rocprim17ROCPRIM_400000_NS6detail17trampoline_kernelINS0_14default_configENS1_27scan_by_key_config_selectorIj11FixedVectorIiLj2EEEEZZNS1_16scan_by_key_implILNS1_25lookback_scan_determinismE0ELb0ES3_N6thrust23THRUST_200600_302600_NS6detail15normal_iteratorINSB_10device_ptrIjEEEENSD_INSE_IS6_EEEESI_S6_NSB_4plusIvEENSB_8equal_toIvEES6_EE10hipError_tPvRmT2_T3_T4_T5_mT6_T7_P12ihipStream_tbENKUlT_T0_E_clISt17integral_constantIbLb0EES12_IbLb1EEEEDaSY_SZ_EUlSY_E_NS1_11comp_targetILNS1_3genE10ELNS1_11target_archE1200ELNS1_3gpuE4ELNS1_3repE0EEENS1_30default_config_static_selectorELNS0_4arch9wavefront6targetE0EEEvT1_.num_named_barrier, 0
	.set _ZN7rocprim17ROCPRIM_400000_NS6detail17trampoline_kernelINS0_14default_configENS1_27scan_by_key_config_selectorIj11FixedVectorIiLj2EEEEZZNS1_16scan_by_key_implILNS1_25lookback_scan_determinismE0ELb0ES3_N6thrust23THRUST_200600_302600_NS6detail15normal_iteratorINSB_10device_ptrIjEEEENSD_INSE_IS6_EEEESI_S6_NSB_4plusIvEENSB_8equal_toIvEES6_EE10hipError_tPvRmT2_T3_T4_T5_mT6_T7_P12ihipStream_tbENKUlT_T0_E_clISt17integral_constantIbLb0EES12_IbLb1EEEEDaSY_SZ_EUlSY_E_NS1_11comp_targetILNS1_3genE10ELNS1_11target_archE1200ELNS1_3gpuE4ELNS1_3repE0EEENS1_30default_config_static_selectorELNS0_4arch9wavefront6targetE0EEEvT1_.private_seg_size, 0
	.set _ZN7rocprim17ROCPRIM_400000_NS6detail17trampoline_kernelINS0_14default_configENS1_27scan_by_key_config_selectorIj11FixedVectorIiLj2EEEEZZNS1_16scan_by_key_implILNS1_25lookback_scan_determinismE0ELb0ES3_N6thrust23THRUST_200600_302600_NS6detail15normal_iteratorINSB_10device_ptrIjEEEENSD_INSE_IS6_EEEESI_S6_NSB_4plusIvEENSB_8equal_toIvEES6_EE10hipError_tPvRmT2_T3_T4_T5_mT6_T7_P12ihipStream_tbENKUlT_T0_E_clISt17integral_constantIbLb0EES12_IbLb1EEEEDaSY_SZ_EUlSY_E_NS1_11comp_targetILNS1_3genE10ELNS1_11target_archE1200ELNS1_3gpuE4ELNS1_3repE0EEENS1_30default_config_static_selectorELNS0_4arch9wavefront6targetE0EEEvT1_.uses_vcc, 0
	.set _ZN7rocprim17ROCPRIM_400000_NS6detail17trampoline_kernelINS0_14default_configENS1_27scan_by_key_config_selectorIj11FixedVectorIiLj2EEEEZZNS1_16scan_by_key_implILNS1_25lookback_scan_determinismE0ELb0ES3_N6thrust23THRUST_200600_302600_NS6detail15normal_iteratorINSB_10device_ptrIjEEEENSD_INSE_IS6_EEEESI_S6_NSB_4plusIvEENSB_8equal_toIvEES6_EE10hipError_tPvRmT2_T3_T4_T5_mT6_T7_P12ihipStream_tbENKUlT_T0_E_clISt17integral_constantIbLb0EES12_IbLb1EEEEDaSY_SZ_EUlSY_E_NS1_11comp_targetILNS1_3genE10ELNS1_11target_archE1200ELNS1_3gpuE4ELNS1_3repE0EEENS1_30default_config_static_selectorELNS0_4arch9wavefront6targetE0EEEvT1_.uses_flat_scratch, 0
	.set _ZN7rocprim17ROCPRIM_400000_NS6detail17trampoline_kernelINS0_14default_configENS1_27scan_by_key_config_selectorIj11FixedVectorIiLj2EEEEZZNS1_16scan_by_key_implILNS1_25lookback_scan_determinismE0ELb0ES3_N6thrust23THRUST_200600_302600_NS6detail15normal_iteratorINSB_10device_ptrIjEEEENSD_INSE_IS6_EEEESI_S6_NSB_4plusIvEENSB_8equal_toIvEES6_EE10hipError_tPvRmT2_T3_T4_T5_mT6_T7_P12ihipStream_tbENKUlT_T0_E_clISt17integral_constantIbLb0EES12_IbLb1EEEEDaSY_SZ_EUlSY_E_NS1_11comp_targetILNS1_3genE10ELNS1_11target_archE1200ELNS1_3gpuE4ELNS1_3repE0EEENS1_30default_config_static_selectorELNS0_4arch9wavefront6targetE0EEEvT1_.has_dyn_sized_stack, 0
	.set _ZN7rocprim17ROCPRIM_400000_NS6detail17trampoline_kernelINS0_14default_configENS1_27scan_by_key_config_selectorIj11FixedVectorIiLj2EEEEZZNS1_16scan_by_key_implILNS1_25lookback_scan_determinismE0ELb0ES3_N6thrust23THRUST_200600_302600_NS6detail15normal_iteratorINSB_10device_ptrIjEEEENSD_INSE_IS6_EEEESI_S6_NSB_4plusIvEENSB_8equal_toIvEES6_EE10hipError_tPvRmT2_T3_T4_T5_mT6_T7_P12ihipStream_tbENKUlT_T0_E_clISt17integral_constantIbLb0EES12_IbLb1EEEEDaSY_SZ_EUlSY_E_NS1_11comp_targetILNS1_3genE10ELNS1_11target_archE1200ELNS1_3gpuE4ELNS1_3repE0EEENS1_30default_config_static_selectorELNS0_4arch9wavefront6targetE0EEEvT1_.has_recursion, 0
	.set _ZN7rocprim17ROCPRIM_400000_NS6detail17trampoline_kernelINS0_14default_configENS1_27scan_by_key_config_selectorIj11FixedVectorIiLj2EEEEZZNS1_16scan_by_key_implILNS1_25lookback_scan_determinismE0ELb0ES3_N6thrust23THRUST_200600_302600_NS6detail15normal_iteratorINSB_10device_ptrIjEEEENSD_INSE_IS6_EEEESI_S6_NSB_4plusIvEENSB_8equal_toIvEES6_EE10hipError_tPvRmT2_T3_T4_T5_mT6_T7_P12ihipStream_tbENKUlT_T0_E_clISt17integral_constantIbLb0EES12_IbLb1EEEEDaSY_SZ_EUlSY_E_NS1_11comp_targetILNS1_3genE10ELNS1_11target_archE1200ELNS1_3gpuE4ELNS1_3repE0EEENS1_30default_config_static_selectorELNS0_4arch9wavefront6targetE0EEEvT1_.has_indirect_call, 0
	.section	.AMDGPU.csdata,"",@progbits
; Kernel info:
; codeLenInByte = 0
; TotalNumSgprs: 0
; NumVgprs: 0
; ScratchSize: 0
; MemoryBound: 0
; FloatMode: 240
; IeeeMode: 1
; LDSByteSize: 0 bytes/workgroup (compile time only)
; SGPRBlocks: 0
; VGPRBlocks: 0
; NumSGPRsForWavesPerEU: 1
; NumVGPRsForWavesPerEU: 1
; Occupancy: 16
; WaveLimiterHint : 0
; COMPUTE_PGM_RSRC2:SCRATCH_EN: 0
; COMPUTE_PGM_RSRC2:USER_SGPR: 6
; COMPUTE_PGM_RSRC2:TRAP_HANDLER: 0
; COMPUTE_PGM_RSRC2:TGID_X_EN: 1
; COMPUTE_PGM_RSRC2:TGID_Y_EN: 0
; COMPUTE_PGM_RSRC2:TGID_Z_EN: 0
; COMPUTE_PGM_RSRC2:TIDIG_COMP_CNT: 0
	.section	.text._ZN7rocprim17ROCPRIM_400000_NS6detail17trampoline_kernelINS0_14default_configENS1_27scan_by_key_config_selectorIj11FixedVectorIiLj2EEEEZZNS1_16scan_by_key_implILNS1_25lookback_scan_determinismE0ELb0ES3_N6thrust23THRUST_200600_302600_NS6detail15normal_iteratorINSB_10device_ptrIjEEEENSD_INSE_IS6_EEEESI_S6_NSB_4plusIvEENSB_8equal_toIvEES6_EE10hipError_tPvRmT2_T3_T4_T5_mT6_T7_P12ihipStream_tbENKUlT_T0_E_clISt17integral_constantIbLb0EES12_IbLb1EEEEDaSY_SZ_EUlSY_E_NS1_11comp_targetILNS1_3genE9ELNS1_11target_archE1100ELNS1_3gpuE3ELNS1_3repE0EEENS1_30default_config_static_selectorELNS0_4arch9wavefront6targetE0EEEvT1_,"axG",@progbits,_ZN7rocprim17ROCPRIM_400000_NS6detail17trampoline_kernelINS0_14default_configENS1_27scan_by_key_config_selectorIj11FixedVectorIiLj2EEEEZZNS1_16scan_by_key_implILNS1_25lookback_scan_determinismE0ELb0ES3_N6thrust23THRUST_200600_302600_NS6detail15normal_iteratorINSB_10device_ptrIjEEEENSD_INSE_IS6_EEEESI_S6_NSB_4plusIvEENSB_8equal_toIvEES6_EE10hipError_tPvRmT2_T3_T4_T5_mT6_T7_P12ihipStream_tbENKUlT_T0_E_clISt17integral_constantIbLb0EES12_IbLb1EEEEDaSY_SZ_EUlSY_E_NS1_11comp_targetILNS1_3genE9ELNS1_11target_archE1100ELNS1_3gpuE3ELNS1_3repE0EEENS1_30default_config_static_selectorELNS0_4arch9wavefront6targetE0EEEvT1_,comdat
	.protected	_ZN7rocprim17ROCPRIM_400000_NS6detail17trampoline_kernelINS0_14default_configENS1_27scan_by_key_config_selectorIj11FixedVectorIiLj2EEEEZZNS1_16scan_by_key_implILNS1_25lookback_scan_determinismE0ELb0ES3_N6thrust23THRUST_200600_302600_NS6detail15normal_iteratorINSB_10device_ptrIjEEEENSD_INSE_IS6_EEEESI_S6_NSB_4plusIvEENSB_8equal_toIvEES6_EE10hipError_tPvRmT2_T3_T4_T5_mT6_T7_P12ihipStream_tbENKUlT_T0_E_clISt17integral_constantIbLb0EES12_IbLb1EEEEDaSY_SZ_EUlSY_E_NS1_11comp_targetILNS1_3genE9ELNS1_11target_archE1100ELNS1_3gpuE3ELNS1_3repE0EEENS1_30default_config_static_selectorELNS0_4arch9wavefront6targetE0EEEvT1_ ; -- Begin function _ZN7rocprim17ROCPRIM_400000_NS6detail17trampoline_kernelINS0_14default_configENS1_27scan_by_key_config_selectorIj11FixedVectorIiLj2EEEEZZNS1_16scan_by_key_implILNS1_25lookback_scan_determinismE0ELb0ES3_N6thrust23THRUST_200600_302600_NS6detail15normal_iteratorINSB_10device_ptrIjEEEENSD_INSE_IS6_EEEESI_S6_NSB_4plusIvEENSB_8equal_toIvEES6_EE10hipError_tPvRmT2_T3_T4_T5_mT6_T7_P12ihipStream_tbENKUlT_T0_E_clISt17integral_constantIbLb0EES12_IbLb1EEEEDaSY_SZ_EUlSY_E_NS1_11comp_targetILNS1_3genE9ELNS1_11target_archE1100ELNS1_3gpuE3ELNS1_3repE0EEENS1_30default_config_static_selectorELNS0_4arch9wavefront6targetE0EEEvT1_
	.globl	_ZN7rocprim17ROCPRIM_400000_NS6detail17trampoline_kernelINS0_14default_configENS1_27scan_by_key_config_selectorIj11FixedVectorIiLj2EEEEZZNS1_16scan_by_key_implILNS1_25lookback_scan_determinismE0ELb0ES3_N6thrust23THRUST_200600_302600_NS6detail15normal_iteratorINSB_10device_ptrIjEEEENSD_INSE_IS6_EEEESI_S6_NSB_4plusIvEENSB_8equal_toIvEES6_EE10hipError_tPvRmT2_T3_T4_T5_mT6_T7_P12ihipStream_tbENKUlT_T0_E_clISt17integral_constantIbLb0EES12_IbLb1EEEEDaSY_SZ_EUlSY_E_NS1_11comp_targetILNS1_3genE9ELNS1_11target_archE1100ELNS1_3gpuE3ELNS1_3repE0EEENS1_30default_config_static_selectorELNS0_4arch9wavefront6targetE0EEEvT1_
	.p2align	8
	.type	_ZN7rocprim17ROCPRIM_400000_NS6detail17trampoline_kernelINS0_14default_configENS1_27scan_by_key_config_selectorIj11FixedVectorIiLj2EEEEZZNS1_16scan_by_key_implILNS1_25lookback_scan_determinismE0ELb0ES3_N6thrust23THRUST_200600_302600_NS6detail15normal_iteratorINSB_10device_ptrIjEEEENSD_INSE_IS6_EEEESI_S6_NSB_4plusIvEENSB_8equal_toIvEES6_EE10hipError_tPvRmT2_T3_T4_T5_mT6_T7_P12ihipStream_tbENKUlT_T0_E_clISt17integral_constantIbLb0EES12_IbLb1EEEEDaSY_SZ_EUlSY_E_NS1_11comp_targetILNS1_3genE9ELNS1_11target_archE1100ELNS1_3gpuE3ELNS1_3repE0EEENS1_30default_config_static_selectorELNS0_4arch9wavefront6targetE0EEEvT1_,@function
_ZN7rocprim17ROCPRIM_400000_NS6detail17trampoline_kernelINS0_14default_configENS1_27scan_by_key_config_selectorIj11FixedVectorIiLj2EEEEZZNS1_16scan_by_key_implILNS1_25lookback_scan_determinismE0ELb0ES3_N6thrust23THRUST_200600_302600_NS6detail15normal_iteratorINSB_10device_ptrIjEEEENSD_INSE_IS6_EEEESI_S6_NSB_4plusIvEENSB_8equal_toIvEES6_EE10hipError_tPvRmT2_T3_T4_T5_mT6_T7_P12ihipStream_tbENKUlT_T0_E_clISt17integral_constantIbLb0EES12_IbLb1EEEEDaSY_SZ_EUlSY_E_NS1_11comp_targetILNS1_3genE9ELNS1_11target_archE1100ELNS1_3gpuE3ELNS1_3repE0EEENS1_30default_config_static_selectorELNS0_4arch9wavefront6targetE0EEEvT1_: ; @_ZN7rocprim17ROCPRIM_400000_NS6detail17trampoline_kernelINS0_14default_configENS1_27scan_by_key_config_selectorIj11FixedVectorIiLj2EEEEZZNS1_16scan_by_key_implILNS1_25lookback_scan_determinismE0ELb0ES3_N6thrust23THRUST_200600_302600_NS6detail15normal_iteratorINSB_10device_ptrIjEEEENSD_INSE_IS6_EEEESI_S6_NSB_4plusIvEENSB_8equal_toIvEES6_EE10hipError_tPvRmT2_T3_T4_T5_mT6_T7_P12ihipStream_tbENKUlT_T0_E_clISt17integral_constantIbLb0EES12_IbLb1EEEEDaSY_SZ_EUlSY_E_NS1_11comp_targetILNS1_3genE9ELNS1_11target_archE1100ELNS1_3gpuE3ELNS1_3repE0EEENS1_30default_config_static_selectorELNS0_4arch9wavefront6targetE0EEEvT1_
; %bb.0:
	.section	.rodata,"a",@progbits
	.p2align	6, 0x0
	.amdhsa_kernel _ZN7rocprim17ROCPRIM_400000_NS6detail17trampoline_kernelINS0_14default_configENS1_27scan_by_key_config_selectorIj11FixedVectorIiLj2EEEEZZNS1_16scan_by_key_implILNS1_25lookback_scan_determinismE0ELb0ES3_N6thrust23THRUST_200600_302600_NS6detail15normal_iteratorINSB_10device_ptrIjEEEENSD_INSE_IS6_EEEESI_S6_NSB_4plusIvEENSB_8equal_toIvEES6_EE10hipError_tPvRmT2_T3_T4_T5_mT6_T7_P12ihipStream_tbENKUlT_T0_E_clISt17integral_constantIbLb0EES12_IbLb1EEEEDaSY_SZ_EUlSY_E_NS1_11comp_targetILNS1_3genE9ELNS1_11target_archE1100ELNS1_3gpuE3ELNS1_3repE0EEENS1_30default_config_static_selectorELNS0_4arch9wavefront6targetE0EEEvT1_
		.amdhsa_group_segment_fixed_size 0
		.amdhsa_private_segment_fixed_size 0
		.amdhsa_kernarg_size 120
		.amdhsa_user_sgpr_count 6
		.amdhsa_user_sgpr_private_segment_buffer 1
		.amdhsa_user_sgpr_dispatch_ptr 0
		.amdhsa_user_sgpr_queue_ptr 0
		.amdhsa_user_sgpr_kernarg_segment_ptr 1
		.amdhsa_user_sgpr_dispatch_id 0
		.amdhsa_user_sgpr_flat_scratch_init 0
		.amdhsa_user_sgpr_private_segment_size 0
		.amdhsa_wavefront_size32 1
		.amdhsa_uses_dynamic_stack 0
		.amdhsa_system_sgpr_private_segment_wavefront_offset 0
		.amdhsa_system_sgpr_workgroup_id_x 1
		.amdhsa_system_sgpr_workgroup_id_y 0
		.amdhsa_system_sgpr_workgroup_id_z 0
		.amdhsa_system_sgpr_workgroup_info 0
		.amdhsa_system_vgpr_workitem_id 0
		.amdhsa_next_free_vgpr 1
		.amdhsa_next_free_sgpr 1
		.amdhsa_reserve_vcc 0
		.amdhsa_reserve_flat_scratch 0
		.amdhsa_float_round_mode_32 0
		.amdhsa_float_round_mode_16_64 0
		.amdhsa_float_denorm_mode_32 3
		.amdhsa_float_denorm_mode_16_64 3
		.amdhsa_dx10_clamp 1
		.amdhsa_ieee_mode 1
		.amdhsa_fp16_overflow 0
		.amdhsa_workgroup_processor_mode 1
		.amdhsa_memory_ordered 1
		.amdhsa_forward_progress 1
		.amdhsa_shared_vgpr_count 0
		.amdhsa_exception_fp_ieee_invalid_op 0
		.amdhsa_exception_fp_denorm_src 0
		.amdhsa_exception_fp_ieee_div_zero 0
		.amdhsa_exception_fp_ieee_overflow 0
		.amdhsa_exception_fp_ieee_underflow 0
		.amdhsa_exception_fp_ieee_inexact 0
		.amdhsa_exception_int_div_zero 0
	.end_amdhsa_kernel
	.section	.text._ZN7rocprim17ROCPRIM_400000_NS6detail17trampoline_kernelINS0_14default_configENS1_27scan_by_key_config_selectorIj11FixedVectorIiLj2EEEEZZNS1_16scan_by_key_implILNS1_25lookback_scan_determinismE0ELb0ES3_N6thrust23THRUST_200600_302600_NS6detail15normal_iteratorINSB_10device_ptrIjEEEENSD_INSE_IS6_EEEESI_S6_NSB_4plusIvEENSB_8equal_toIvEES6_EE10hipError_tPvRmT2_T3_T4_T5_mT6_T7_P12ihipStream_tbENKUlT_T0_E_clISt17integral_constantIbLb0EES12_IbLb1EEEEDaSY_SZ_EUlSY_E_NS1_11comp_targetILNS1_3genE9ELNS1_11target_archE1100ELNS1_3gpuE3ELNS1_3repE0EEENS1_30default_config_static_selectorELNS0_4arch9wavefront6targetE0EEEvT1_,"axG",@progbits,_ZN7rocprim17ROCPRIM_400000_NS6detail17trampoline_kernelINS0_14default_configENS1_27scan_by_key_config_selectorIj11FixedVectorIiLj2EEEEZZNS1_16scan_by_key_implILNS1_25lookback_scan_determinismE0ELb0ES3_N6thrust23THRUST_200600_302600_NS6detail15normal_iteratorINSB_10device_ptrIjEEEENSD_INSE_IS6_EEEESI_S6_NSB_4plusIvEENSB_8equal_toIvEES6_EE10hipError_tPvRmT2_T3_T4_T5_mT6_T7_P12ihipStream_tbENKUlT_T0_E_clISt17integral_constantIbLb0EES12_IbLb1EEEEDaSY_SZ_EUlSY_E_NS1_11comp_targetILNS1_3genE9ELNS1_11target_archE1100ELNS1_3gpuE3ELNS1_3repE0EEENS1_30default_config_static_selectorELNS0_4arch9wavefront6targetE0EEEvT1_,comdat
.Lfunc_end1991:
	.size	_ZN7rocprim17ROCPRIM_400000_NS6detail17trampoline_kernelINS0_14default_configENS1_27scan_by_key_config_selectorIj11FixedVectorIiLj2EEEEZZNS1_16scan_by_key_implILNS1_25lookback_scan_determinismE0ELb0ES3_N6thrust23THRUST_200600_302600_NS6detail15normal_iteratorINSB_10device_ptrIjEEEENSD_INSE_IS6_EEEESI_S6_NSB_4plusIvEENSB_8equal_toIvEES6_EE10hipError_tPvRmT2_T3_T4_T5_mT6_T7_P12ihipStream_tbENKUlT_T0_E_clISt17integral_constantIbLb0EES12_IbLb1EEEEDaSY_SZ_EUlSY_E_NS1_11comp_targetILNS1_3genE9ELNS1_11target_archE1100ELNS1_3gpuE3ELNS1_3repE0EEENS1_30default_config_static_selectorELNS0_4arch9wavefront6targetE0EEEvT1_, .Lfunc_end1991-_ZN7rocprim17ROCPRIM_400000_NS6detail17trampoline_kernelINS0_14default_configENS1_27scan_by_key_config_selectorIj11FixedVectorIiLj2EEEEZZNS1_16scan_by_key_implILNS1_25lookback_scan_determinismE0ELb0ES3_N6thrust23THRUST_200600_302600_NS6detail15normal_iteratorINSB_10device_ptrIjEEEENSD_INSE_IS6_EEEESI_S6_NSB_4plusIvEENSB_8equal_toIvEES6_EE10hipError_tPvRmT2_T3_T4_T5_mT6_T7_P12ihipStream_tbENKUlT_T0_E_clISt17integral_constantIbLb0EES12_IbLb1EEEEDaSY_SZ_EUlSY_E_NS1_11comp_targetILNS1_3genE9ELNS1_11target_archE1100ELNS1_3gpuE3ELNS1_3repE0EEENS1_30default_config_static_selectorELNS0_4arch9wavefront6targetE0EEEvT1_
                                        ; -- End function
	.set _ZN7rocprim17ROCPRIM_400000_NS6detail17trampoline_kernelINS0_14default_configENS1_27scan_by_key_config_selectorIj11FixedVectorIiLj2EEEEZZNS1_16scan_by_key_implILNS1_25lookback_scan_determinismE0ELb0ES3_N6thrust23THRUST_200600_302600_NS6detail15normal_iteratorINSB_10device_ptrIjEEEENSD_INSE_IS6_EEEESI_S6_NSB_4plusIvEENSB_8equal_toIvEES6_EE10hipError_tPvRmT2_T3_T4_T5_mT6_T7_P12ihipStream_tbENKUlT_T0_E_clISt17integral_constantIbLb0EES12_IbLb1EEEEDaSY_SZ_EUlSY_E_NS1_11comp_targetILNS1_3genE9ELNS1_11target_archE1100ELNS1_3gpuE3ELNS1_3repE0EEENS1_30default_config_static_selectorELNS0_4arch9wavefront6targetE0EEEvT1_.num_vgpr, 0
	.set _ZN7rocprim17ROCPRIM_400000_NS6detail17trampoline_kernelINS0_14default_configENS1_27scan_by_key_config_selectorIj11FixedVectorIiLj2EEEEZZNS1_16scan_by_key_implILNS1_25lookback_scan_determinismE0ELb0ES3_N6thrust23THRUST_200600_302600_NS6detail15normal_iteratorINSB_10device_ptrIjEEEENSD_INSE_IS6_EEEESI_S6_NSB_4plusIvEENSB_8equal_toIvEES6_EE10hipError_tPvRmT2_T3_T4_T5_mT6_T7_P12ihipStream_tbENKUlT_T0_E_clISt17integral_constantIbLb0EES12_IbLb1EEEEDaSY_SZ_EUlSY_E_NS1_11comp_targetILNS1_3genE9ELNS1_11target_archE1100ELNS1_3gpuE3ELNS1_3repE0EEENS1_30default_config_static_selectorELNS0_4arch9wavefront6targetE0EEEvT1_.num_agpr, 0
	.set _ZN7rocprim17ROCPRIM_400000_NS6detail17trampoline_kernelINS0_14default_configENS1_27scan_by_key_config_selectorIj11FixedVectorIiLj2EEEEZZNS1_16scan_by_key_implILNS1_25lookback_scan_determinismE0ELb0ES3_N6thrust23THRUST_200600_302600_NS6detail15normal_iteratorINSB_10device_ptrIjEEEENSD_INSE_IS6_EEEESI_S6_NSB_4plusIvEENSB_8equal_toIvEES6_EE10hipError_tPvRmT2_T3_T4_T5_mT6_T7_P12ihipStream_tbENKUlT_T0_E_clISt17integral_constantIbLb0EES12_IbLb1EEEEDaSY_SZ_EUlSY_E_NS1_11comp_targetILNS1_3genE9ELNS1_11target_archE1100ELNS1_3gpuE3ELNS1_3repE0EEENS1_30default_config_static_selectorELNS0_4arch9wavefront6targetE0EEEvT1_.numbered_sgpr, 0
	.set _ZN7rocprim17ROCPRIM_400000_NS6detail17trampoline_kernelINS0_14default_configENS1_27scan_by_key_config_selectorIj11FixedVectorIiLj2EEEEZZNS1_16scan_by_key_implILNS1_25lookback_scan_determinismE0ELb0ES3_N6thrust23THRUST_200600_302600_NS6detail15normal_iteratorINSB_10device_ptrIjEEEENSD_INSE_IS6_EEEESI_S6_NSB_4plusIvEENSB_8equal_toIvEES6_EE10hipError_tPvRmT2_T3_T4_T5_mT6_T7_P12ihipStream_tbENKUlT_T0_E_clISt17integral_constantIbLb0EES12_IbLb1EEEEDaSY_SZ_EUlSY_E_NS1_11comp_targetILNS1_3genE9ELNS1_11target_archE1100ELNS1_3gpuE3ELNS1_3repE0EEENS1_30default_config_static_selectorELNS0_4arch9wavefront6targetE0EEEvT1_.num_named_barrier, 0
	.set _ZN7rocprim17ROCPRIM_400000_NS6detail17trampoline_kernelINS0_14default_configENS1_27scan_by_key_config_selectorIj11FixedVectorIiLj2EEEEZZNS1_16scan_by_key_implILNS1_25lookback_scan_determinismE0ELb0ES3_N6thrust23THRUST_200600_302600_NS6detail15normal_iteratorINSB_10device_ptrIjEEEENSD_INSE_IS6_EEEESI_S6_NSB_4plusIvEENSB_8equal_toIvEES6_EE10hipError_tPvRmT2_T3_T4_T5_mT6_T7_P12ihipStream_tbENKUlT_T0_E_clISt17integral_constantIbLb0EES12_IbLb1EEEEDaSY_SZ_EUlSY_E_NS1_11comp_targetILNS1_3genE9ELNS1_11target_archE1100ELNS1_3gpuE3ELNS1_3repE0EEENS1_30default_config_static_selectorELNS0_4arch9wavefront6targetE0EEEvT1_.private_seg_size, 0
	.set _ZN7rocprim17ROCPRIM_400000_NS6detail17trampoline_kernelINS0_14default_configENS1_27scan_by_key_config_selectorIj11FixedVectorIiLj2EEEEZZNS1_16scan_by_key_implILNS1_25lookback_scan_determinismE0ELb0ES3_N6thrust23THRUST_200600_302600_NS6detail15normal_iteratorINSB_10device_ptrIjEEEENSD_INSE_IS6_EEEESI_S6_NSB_4plusIvEENSB_8equal_toIvEES6_EE10hipError_tPvRmT2_T3_T4_T5_mT6_T7_P12ihipStream_tbENKUlT_T0_E_clISt17integral_constantIbLb0EES12_IbLb1EEEEDaSY_SZ_EUlSY_E_NS1_11comp_targetILNS1_3genE9ELNS1_11target_archE1100ELNS1_3gpuE3ELNS1_3repE0EEENS1_30default_config_static_selectorELNS0_4arch9wavefront6targetE0EEEvT1_.uses_vcc, 0
	.set _ZN7rocprim17ROCPRIM_400000_NS6detail17trampoline_kernelINS0_14default_configENS1_27scan_by_key_config_selectorIj11FixedVectorIiLj2EEEEZZNS1_16scan_by_key_implILNS1_25lookback_scan_determinismE0ELb0ES3_N6thrust23THRUST_200600_302600_NS6detail15normal_iteratorINSB_10device_ptrIjEEEENSD_INSE_IS6_EEEESI_S6_NSB_4plusIvEENSB_8equal_toIvEES6_EE10hipError_tPvRmT2_T3_T4_T5_mT6_T7_P12ihipStream_tbENKUlT_T0_E_clISt17integral_constantIbLb0EES12_IbLb1EEEEDaSY_SZ_EUlSY_E_NS1_11comp_targetILNS1_3genE9ELNS1_11target_archE1100ELNS1_3gpuE3ELNS1_3repE0EEENS1_30default_config_static_selectorELNS0_4arch9wavefront6targetE0EEEvT1_.uses_flat_scratch, 0
	.set _ZN7rocprim17ROCPRIM_400000_NS6detail17trampoline_kernelINS0_14default_configENS1_27scan_by_key_config_selectorIj11FixedVectorIiLj2EEEEZZNS1_16scan_by_key_implILNS1_25lookback_scan_determinismE0ELb0ES3_N6thrust23THRUST_200600_302600_NS6detail15normal_iteratorINSB_10device_ptrIjEEEENSD_INSE_IS6_EEEESI_S6_NSB_4plusIvEENSB_8equal_toIvEES6_EE10hipError_tPvRmT2_T3_T4_T5_mT6_T7_P12ihipStream_tbENKUlT_T0_E_clISt17integral_constantIbLb0EES12_IbLb1EEEEDaSY_SZ_EUlSY_E_NS1_11comp_targetILNS1_3genE9ELNS1_11target_archE1100ELNS1_3gpuE3ELNS1_3repE0EEENS1_30default_config_static_selectorELNS0_4arch9wavefront6targetE0EEEvT1_.has_dyn_sized_stack, 0
	.set _ZN7rocprim17ROCPRIM_400000_NS6detail17trampoline_kernelINS0_14default_configENS1_27scan_by_key_config_selectorIj11FixedVectorIiLj2EEEEZZNS1_16scan_by_key_implILNS1_25lookback_scan_determinismE0ELb0ES3_N6thrust23THRUST_200600_302600_NS6detail15normal_iteratorINSB_10device_ptrIjEEEENSD_INSE_IS6_EEEESI_S6_NSB_4plusIvEENSB_8equal_toIvEES6_EE10hipError_tPvRmT2_T3_T4_T5_mT6_T7_P12ihipStream_tbENKUlT_T0_E_clISt17integral_constantIbLb0EES12_IbLb1EEEEDaSY_SZ_EUlSY_E_NS1_11comp_targetILNS1_3genE9ELNS1_11target_archE1100ELNS1_3gpuE3ELNS1_3repE0EEENS1_30default_config_static_selectorELNS0_4arch9wavefront6targetE0EEEvT1_.has_recursion, 0
	.set _ZN7rocprim17ROCPRIM_400000_NS6detail17trampoline_kernelINS0_14default_configENS1_27scan_by_key_config_selectorIj11FixedVectorIiLj2EEEEZZNS1_16scan_by_key_implILNS1_25lookback_scan_determinismE0ELb0ES3_N6thrust23THRUST_200600_302600_NS6detail15normal_iteratorINSB_10device_ptrIjEEEENSD_INSE_IS6_EEEESI_S6_NSB_4plusIvEENSB_8equal_toIvEES6_EE10hipError_tPvRmT2_T3_T4_T5_mT6_T7_P12ihipStream_tbENKUlT_T0_E_clISt17integral_constantIbLb0EES12_IbLb1EEEEDaSY_SZ_EUlSY_E_NS1_11comp_targetILNS1_3genE9ELNS1_11target_archE1100ELNS1_3gpuE3ELNS1_3repE0EEENS1_30default_config_static_selectorELNS0_4arch9wavefront6targetE0EEEvT1_.has_indirect_call, 0
	.section	.AMDGPU.csdata,"",@progbits
; Kernel info:
; codeLenInByte = 0
; TotalNumSgprs: 0
; NumVgprs: 0
; ScratchSize: 0
; MemoryBound: 0
; FloatMode: 240
; IeeeMode: 1
; LDSByteSize: 0 bytes/workgroup (compile time only)
; SGPRBlocks: 0
; VGPRBlocks: 0
; NumSGPRsForWavesPerEU: 1
; NumVGPRsForWavesPerEU: 1
; Occupancy: 16
; WaveLimiterHint : 0
; COMPUTE_PGM_RSRC2:SCRATCH_EN: 0
; COMPUTE_PGM_RSRC2:USER_SGPR: 6
; COMPUTE_PGM_RSRC2:TRAP_HANDLER: 0
; COMPUTE_PGM_RSRC2:TGID_X_EN: 1
; COMPUTE_PGM_RSRC2:TGID_Y_EN: 0
; COMPUTE_PGM_RSRC2:TGID_Z_EN: 0
; COMPUTE_PGM_RSRC2:TIDIG_COMP_CNT: 0
	.section	.text._ZN7rocprim17ROCPRIM_400000_NS6detail17trampoline_kernelINS0_14default_configENS1_27scan_by_key_config_selectorIj11FixedVectorIiLj2EEEEZZNS1_16scan_by_key_implILNS1_25lookback_scan_determinismE0ELb0ES3_N6thrust23THRUST_200600_302600_NS6detail15normal_iteratorINSB_10device_ptrIjEEEENSD_INSE_IS6_EEEESI_S6_NSB_4plusIvEENSB_8equal_toIvEES6_EE10hipError_tPvRmT2_T3_T4_T5_mT6_T7_P12ihipStream_tbENKUlT_T0_E_clISt17integral_constantIbLb0EES12_IbLb1EEEEDaSY_SZ_EUlSY_E_NS1_11comp_targetILNS1_3genE8ELNS1_11target_archE1030ELNS1_3gpuE2ELNS1_3repE0EEENS1_30default_config_static_selectorELNS0_4arch9wavefront6targetE0EEEvT1_,"axG",@progbits,_ZN7rocprim17ROCPRIM_400000_NS6detail17trampoline_kernelINS0_14default_configENS1_27scan_by_key_config_selectorIj11FixedVectorIiLj2EEEEZZNS1_16scan_by_key_implILNS1_25lookback_scan_determinismE0ELb0ES3_N6thrust23THRUST_200600_302600_NS6detail15normal_iteratorINSB_10device_ptrIjEEEENSD_INSE_IS6_EEEESI_S6_NSB_4plusIvEENSB_8equal_toIvEES6_EE10hipError_tPvRmT2_T3_T4_T5_mT6_T7_P12ihipStream_tbENKUlT_T0_E_clISt17integral_constantIbLb0EES12_IbLb1EEEEDaSY_SZ_EUlSY_E_NS1_11comp_targetILNS1_3genE8ELNS1_11target_archE1030ELNS1_3gpuE2ELNS1_3repE0EEENS1_30default_config_static_selectorELNS0_4arch9wavefront6targetE0EEEvT1_,comdat
	.protected	_ZN7rocprim17ROCPRIM_400000_NS6detail17trampoline_kernelINS0_14default_configENS1_27scan_by_key_config_selectorIj11FixedVectorIiLj2EEEEZZNS1_16scan_by_key_implILNS1_25lookback_scan_determinismE0ELb0ES3_N6thrust23THRUST_200600_302600_NS6detail15normal_iteratorINSB_10device_ptrIjEEEENSD_INSE_IS6_EEEESI_S6_NSB_4plusIvEENSB_8equal_toIvEES6_EE10hipError_tPvRmT2_T3_T4_T5_mT6_T7_P12ihipStream_tbENKUlT_T0_E_clISt17integral_constantIbLb0EES12_IbLb1EEEEDaSY_SZ_EUlSY_E_NS1_11comp_targetILNS1_3genE8ELNS1_11target_archE1030ELNS1_3gpuE2ELNS1_3repE0EEENS1_30default_config_static_selectorELNS0_4arch9wavefront6targetE0EEEvT1_ ; -- Begin function _ZN7rocprim17ROCPRIM_400000_NS6detail17trampoline_kernelINS0_14default_configENS1_27scan_by_key_config_selectorIj11FixedVectorIiLj2EEEEZZNS1_16scan_by_key_implILNS1_25lookback_scan_determinismE0ELb0ES3_N6thrust23THRUST_200600_302600_NS6detail15normal_iteratorINSB_10device_ptrIjEEEENSD_INSE_IS6_EEEESI_S6_NSB_4plusIvEENSB_8equal_toIvEES6_EE10hipError_tPvRmT2_T3_T4_T5_mT6_T7_P12ihipStream_tbENKUlT_T0_E_clISt17integral_constantIbLb0EES12_IbLb1EEEEDaSY_SZ_EUlSY_E_NS1_11comp_targetILNS1_3genE8ELNS1_11target_archE1030ELNS1_3gpuE2ELNS1_3repE0EEENS1_30default_config_static_selectorELNS0_4arch9wavefront6targetE0EEEvT1_
	.globl	_ZN7rocprim17ROCPRIM_400000_NS6detail17trampoline_kernelINS0_14default_configENS1_27scan_by_key_config_selectorIj11FixedVectorIiLj2EEEEZZNS1_16scan_by_key_implILNS1_25lookback_scan_determinismE0ELb0ES3_N6thrust23THRUST_200600_302600_NS6detail15normal_iteratorINSB_10device_ptrIjEEEENSD_INSE_IS6_EEEESI_S6_NSB_4plusIvEENSB_8equal_toIvEES6_EE10hipError_tPvRmT2_T3_T4_T5_mT6_T7_P12ihipStream_tbENKUlT_T0_E_clISt17integral_constantIbLb0EES12_IbLb1EEEEDaSY_SZ_EUlSY_E_NS1_11comp_targetILNS1_3genE8ELNS1_11target_archE1030ELNS1_3gpuE2ELNS1_3repE0EEENS1_30default_config_static_selectorELNS0_4arch9wavefront6targetE0EEEvT1_
	.p2align	8
	.type	_ZN7rocprim17ROCPRIM_400000_NS6detail17trampoline_kernelINS0_14default_configENS1_27scan_by_key_config_selectorIj11FixedVectorIiLj2EEEEZZNS1_16scan_by_key_implILNS1_25lookback_scan_determinismE0ELb0ES3_N6thrust23THRUST_200600_302600_NS6detail15normal_iteratorINSB_10device_ptrIjEEEENSD_INSE_IS6_EEEESI_S6_NSB_4plusIvEENSB_8equal_toIvEES6_EE10hipError_tPvRmT2_T3_T4_T5_mT6_T7_P12ihipStream_tbENKUlT_T0_E_clISt17integral_constantIbLb0EES12_IbLb1EEEEDaSY_SZ_EUlSY_E_NS1_11comp_targetILNS1_3genE8ELNS1_11target_archE1030ELNS1_3gpuE2ELNS1_3repE0EEENS1_30default_config_static_selectorELNS0_4arch9wavefront6targetE0EEEvT1_,@function
_ZN7rocprim17ROCPRIM_400000_NS6detail17trampoline_kernelINS0_14default_configENS1_27scan_by_key_config_selectorIj11FixedVectorIiLj2EEEEZZNS1_16scan_by_key_implILNS1_25lookback_scan_determinismE0ELb0ES3_N6thrust23THRUST_200600_302600_NS6detail15normal_iteratorINSB_10device_ptrIjEEEENSD_INSE_IS6_EEEESI_S6_NSB_4plusIvEENSB_8equal_toIvEES6_EE10hipError_tPvRmT2_T3_T4_T5_mT6_T7_P12ihipStream_tbENKUlT_T0_E_clISt17integral_constantIbLb0EES12_IbLb1EEEEDaSY_SZ_EUlSY_E_NS1_11comp_targetILNS1_3genE8ELNS1_11target_archE1030ELNS1_3gpuE2ELNS1_3repE0EEENS1_30default_config_static_selectorELNS0_4arch9wavefront6targetE0EEEvT1_: ; @_ZN7rocprim17ROCPRIM_400000_NS6detail17trampoline_kernelINS0_14default_configENS1_27scan_by_key_config_selectorIj11FixedVectorIiLj2EEEEZZNS1_16scan_by_key_implILNS1_25lookback_scan_determinismE0ELb0ES3_N6thrust23THRUST_200600_302600_NS6detail15normal_iteratorINSB_10device_ptrIjEEEENSD_INSE_IS6_EEEESI_S6_NSB_4plusIvEENSB_8equal_toIvEES6_EE10hipError_tPvRmT2_T3_T4_T5_mT6_T7_P12ihipStream_tbENKUlT_T0_E_clISt17integral_constantIbLb0EES12_IbLb1EEEEDaSY_SZ_EUlSY_E_NS1_11comp_targetILNS1_3genE8ELNS1_11target_archE1030ELNS1_3gpuE2ELNS1_3repE0EEENS1_30default_config_static_selectorELNS0_4arch9wavefront6targetE0EEEvT1_
; %bb.0:
	s_clause 0x1
	s_load_dwordx4 s[24:27], s[4:5], 0x30
	s_load_dwordx2 s[28:29], s[4:5], 0x40
	v_cmp_ne_u32_e64 s1, 0, v0
	v_cmp_eq_u32_e64 s0, 0, v0
	s_and_saveexec_b32 s2, s0
	s_cbranch_execz .LBB1992_4
; %bb.1:
	s_mov_b32 s6, exec_lo
	s_mov_b32 s3, exec_lo
	v_mbcnt_lo_u32_b32 v1, s6, 0
                                        ; implicit-def: $vgpr2
	v_cmpx_eq_u32_e32 0, v1
	s_cbranch_execz .LBB1992_3
; %bb.2:
	s_load_dwordx2 s[8:9], s[4:5], 0x70
	s_bcnt1_i32_b32 s6, s6
	v_mov_b32_e32 v2, 0
	v_mov_b32_e32 v3, s6
	s_waitcnt lgkmcnt(0)
	global_atomic_add v2, v2, v3, s[8:9] glc
.LBB1992_3:
	s_or_b32 exec_lo, exec_lo, s3
	s_waitcnt vmcnt(0)
	v_readfirstlane_b32 s3, v2
	v_mov_b32_e32 v2, 0
	v_add_nc_u32_e32 v1, s3, v1
	ds_write_b32 v2, v1
.LBB1992_4:
	s_or_b32 exec_lo, exec_lo, s2
	v_mov_b32_e32 v1, 0
	s_clause 0x2
	s_load_dwordx8 s[8:15], s[4:5], 0x0
	s_load_dword s30, s[4:5], 0x48
	s_load_dwordx8 s[16:23], s[4:5], 0x50
	s_waitcnt lgkmcnt(0)
	s_barrier
	buffer_gl0_inv
	ds_read_b32 v1, v1
	s_mov_b32 s3, 0
	s_waitcnt lgkmcnt(0)
	s_barrier
	buffer_gl0_inv
	s_barrier
	buffer_gl0_inv
	s_lshl_b64 s[4:5], s[10:11], 2
	s_mul_i32 s2, s29, s30
	s_add_u32 s7, s8, s4
	s_addc_u32 s33, s9, s5
	s_lshl_b64 s[8:9], s[10:11], 3
	s_mul_hi_u32 s6, s28, s30
	v_readfirstlane_b32 s27, v1
	s_add_u32 s12, s12, s8
	s_addc_u32 s13, s13, s9
	s_add_i32 s34, s6, s2
	s_cmp_lg_u64 s[20:21], 0
	s_mul_i32 s2, s27, 0x300
	s_cselect_b32 s31, -1, 0
	s_lshl_b64 s[4:5], s[2:3], 2
	s_add_u32 s6, s7, s4
	s_addc_u32 s7, s33, s5
	s_lshl_b64 s[10:11], s[2:3], 3
	s_mul_i32 s2, s28, s30
	s_add_u32 s5, s12, s10
	s_addc_u32 s30, s13, s11
	s_add_u32 s12, s2, s27
	s_addc_u32 s13, s34, 0
	s_add_u32 s16, s16, -1
	s_addc_u32 s17, s17, -1
	s_mul_i32 s21, s16, 0xfffffd00
	v_cmp_ge_u64_e64 s20, s[12:13], s[16:17]
	s_and_b32 vcc_lo, exec_lo, s20
	s_cbranch_vccz .LBB1992_28
; %bb.5:
	v_mov_b32_e32 v1, s6
	v_mov_b32_e32 v2, s7
	s_add_i32 s33, s21, s26
	v_cmp_gt_u32_e64 s2, s33, v0
	flat_load_dword v1, v[1:2]
	s_waitcnt vmcnt(0) lgkmcnt(0)
	v_mov_b32_e32 v2, v1
	s_and_saveexec_b32 s3, s2
	s_cbranch_execz .LBB1992_7
; %bb.6:
	v_lshlrev_b32_e32 v2, 2, v0
	v_add_co_u32 v2, s4, s6, v2
	v_add_co_ci_u32_e64 v3, null, s7, 0, s4
	flat_load_dword v2, v[2:3]
.LBB1992_7:
	s_or_b32 exec_lo, exec_lo, s3
	v_or_b32_e32 v5, 0x100, v0
	v_mov_b32_e32 v3, v1
	v_cmp_gt_u32_e64 s3, s33, v5
	s_and_saveexec_b32 s4, s3
	s_cbranch_execz .LBB1992_9
; %bb.8:
	v_lshlrev_b32_e32 v3, 2, v0
	v_add_co_u32 v3, s16, s6, v3
	v_add_co_ci_u32_e64 v4, null, s7, 0, s16
	flat_load_dword v3, v[3:4] offset:1024
.LBB1992_9:
	s_or_b32 exec_lo, exec_lo, s4
	v_or_b32_e32 v10, 0x200, v0
	v_cmp_gt_u32_e64 s4, s33, v10
	s_and_saveexec_b32 s16, s4
	s_cbranch_execz .LBB1992_11
; %bb.10:
	v_lshlrev_b32_e32 v1, 2, v10
	v_add_co_u32 v6, s17, s6, v1
	v_add_co_ci_u32_e64 v7, null, s7, 0, s17
	flat_load_dword v1, v[6:7]
.LBB1992_11:
	s_or_b32 exec_lo, exec_lo, s16
	v_lshlrev_b32_e32 v4, 2, v0
	v_lshlrev_b32_e32 v6, 3, v0
	s_cmp_eq_u64 s[12:13], 0
	s_mov_b64 s[16:17], s[6:7]
	s_waitcnt vmcnt(0) lgkmcnt(0)
	ds_write2st64_b32 v4, v2, v3 offset1:4
	v_add_nc_u32_e32 v2, v4, v6
	ds_write_b32 v4, v1 offset:2048
	s_waitcnt lgkmcnt(0)
	s_barrier
	buffer_gl0_inv
	ds_read2_b32 v[7:8], v2 offset1:1
	ds_read_b32 v9, v2 offset:8
	s_cbranch_scc1 .LBB1992_15
; %bb.12:
	s_andn2_b32 vcc_lo, exec_lo, s31
	s_cbranch_vccnz .LBB1992_249
; %bb.13:
	s_lshl_b64 s[16:17], s[12:13], 2
	s_add_u32 s16, s22, s16
	s_addc_u32 s17, s23, s17
	s_add_u32 s16, s16, -4
	s_addc_u32 s17, s17, -1
	s_cbranch_execnz .LBB1992_15
.LBB1992_14:
	s_add_u32 s16, s6, -4
	s_addc_u32 s17, s7, -1
.LBB1992_15:
	v_mov_b32_e32 v3, s16
	v_mov_b32_e32 v4, s17
	v_sub_nc_u32_e32 v12, v2, v6
	flat_load_dword v11, v[3:4]
	s_waitcnt lgkmcnt(1)
	ds_write_b32 v12, v9 offset:3072
	s_waitcnt vmcnt(0) lgkmcnt(0)
	s_barrier
	buffer_gl0_inv
	s_and_saveexec_b32 s16, s1
; %bb.16:
	ds_read_b32 v11, v12 offset:3068
; %bb.17:
	s_or_b32 exec_lo, exec_lo, s16
	v_mov_b32_e32 v3, 0
	v_mov_b32_e32 v1, 0
	;; [unrolled: 1-line block ×4, first 2 shown]
	s_waitcnt lgkmcnt(0)
	s_barrier
	buffer_gl0_inv
	s_and_saveexec_b32 s16, s2
	s_cbranch_execz .LBB1992_19
; %bb.18:
	v_add_co_u32 v1, s2, s5, v6
	v_add_co_ci_u32_e64 v2, null, s30, 0, s2
	flat_load_dwordx2 v[1:2], v[1:2]
.LBB1992_19:
	s_or_b32 exec_lo, exec_lo, s16
	s_and_saveexec_b32 s2, s3
	s_cbranch_execz .LBB1992_21
; %bb.20:
	v_lshlrev_b32_e32 v3, 3, v5
	v_add_co_u32 v3, s3, s5, v3
	v_add_co_ci_u32_e64 v4, null, s30, 0, s3
	flat_load_dwordx2 v[3:4], v[3:4]
.LBB1992_21:
	s_or_b32 exec_lo, exec_lo, s2
	v_mov_b32_e32 v5, 0
	v_mov_b32_e32 v6, 0
	s_and_saveexec_b32 s2, s4
	s_cbranch_execz .LBB1992_23
; %bb.22:
	v_lshlrev_b32_e32 v5, 3, v10
	v_add_co_u32 v5, s3, s5, v5
	v_add_co_ci_u32_e64 v6, null, s30, 0, s3
	flat_load_dwordx2 v[5:6], v[5:6]
.LBB1992_23:
	s_or_b32 exec_lo, exec_lo, s2
	v_lshl_add_u32 v13, v0, 2, v12
	v_mul_u32_u24_e32 v10, 3, v0
	v_mov_b32_e32 v22, 0
	v_mov_b32_e32 v25, 0
	;; [unrolled: 1-line block ×3, first 2 shown]
	s_waitcnt vmcnt(0) lgkmcnt(0)
	ds_write2st64_b64 v13, v[1:2], v[3:4] offset1:4
	ds_write_b64 v13, v[5:6] offset:4096
	v_mov_b32_e32 v2, 0
	v_mov_b32_e32 v1, 0
	;; [unrolled: 1-line block ×4, first 2 shown]
	s_mov_b32 s16, 0
	s_mov_b32 s3, 0
	s_mov_b32 s17, exec_lo
	s_waitcnt lgkmcnt(0)
	s_barrier
	buffer_gl0_inv
                                        ; implicit-def: $sgpr4
                                        ; implicit-def: $vgpr5_vgpr6
	v_cmpx_gt_u32_e64 s33, v10
	s_cbranch_execz .LBB1992_27
; %bb.24:
	v_lshlrev_b32_e32 v1, 4, v0
	v_add_nc_u32_e32 v3, 1, v10
	v_mov_b32_e32 v4, 0
	v_mov_b32_e32 v25, 0
	v_cmp_ne_u32_e32 vcc_lo, v11, v7
	v_add_nc_u32_e32 v12, v13, v1
	v_cmp_gt_u32_e64 s2, s33, v3
	v_mov_b32_e32 v3, 0
                                        ; implicit-def: $sgpr4
                                        ; implicit-def: $vgpr5_vgpr6
	ds_read_b64 v[1:2], v12
	s_and_saveexec_b32 s34, s2
	s_xor_b32 s34, exec_lo, s34
	s_cbranch_execz .LBB1992_26
; %bb.25:
	ds_read2_b64 v[3:6], v12 offset0:1 offset1:2
	v_add_nc_u32_e32 v10, 2, v10
	v_cmp_ne_u32_e64 s2, v7, v8
	v_cmp_ne_u32_e64 s4, v8, v9
	v_cndmask_b32_e64 v25, 0, 1, s2
	v_cmp_gt_u32_e64 s2, s33, v10
	s_and_b32 s3, s2, exec_lo
.LBB1992_26:
	s_or_b32 exec_lo, exec_lo, s34
	v_cndmask_b32_e64 v22, 0, 1, vcc_lo
	s_waitcnt lgkmcnt(0)
	v_mov_b32_e32 v12, v1
	s_and_b32 s3, s3, exec_lo
.LBB1992_27:
	s_or_b32 exec_lo, exec_lo, s17
	v_lshlrev_b32_e32 v21, 3, v0
	s_and_b32 vcc_lo, exec_lo, s16
	s_cbranch_vccnz .LBB1992_29
	s_branch .LBB1992_37
.LBB1992_28:
                                        ; implicit-def: $sgpr4
                                        ; implicit-def: $vgpr5_vgpr6
                                        ; implicit-def: $vgpr22
                                        ; implicit-def: $vgpr2
                                        ; implicit-def: $vgpr25
                                        ; implicit-def: $vgpr12
	v_lshlrev_b32_e32 v21, 3, v0
	s_cbranch_execz .LBB1992_37
.LBB1992_29:
	v_lshlrev_b32_e32 v5, 2, v0
	s_cmp_eq_u64 s[12:13], 0
	v_add_co_u32 v1, s2, s6, v5
	v_add_co_ci_u32_e64 v2, null, s7, 0, s2
	v_add_co_u32 v3, vcc_lo, 0x800, v1
	v_add_co_ci_u32_e64 v4, null, 0, v2, vcc_lo
	s_clause 0x2
	flat_load_dword v6, v[1:2]
	flat_load_dword v2, v[1:2] offset:1024
	flat_load_dword v3, v[3:4]
	v_add_nc_u32_e32 v1, v5, v21
	s_waitcnt vmcnt(1) lgkmcnt(1)
	ds_write2st64_b32 v5, v6, v2 offset1:4
	s_waitcnt vmcnt(0) lgkmcnt(1)
	ds_write_b32 v5, v3 offset:2048
	s_waitcnt lgkmcnt(0)
	s_barrier
	buffer_gl0_inv
	ds_read2_b32 v[7:8], v1 offset1:1
	ds_read_b32 v9, v1 offset:8
	s_cbranch_scc1 .LBB1992_34
; %bb.30:
	s_andn2_b32 vcc_lo, exec_lo, s31
	s_cbranch_vccnz .LBB1992_250
; %bb.31:
	s_lshl_b64 s[2:3], s[12:13], 2
	s_add_u32 s2, s22, s2
	s_addc_u32 s3, s23, s3
	s_add_u32 s2, s2, -4
	s_addc_u32 s3, s3, -1
	s_cbranch_execnz .LBB1992_33
.LBB1992_32:
	s_add_u32 s2, s6, -4
	s_addc_u32 s3, s7, -1
.LBB1992_33:
	s_mov_b64 s[6:7], s[2:3]
.LBB1992_34:
	v_mov_b32_e32 v2, s6
	v_mov_b32_e32 v3, s7
	v_sub_nc_u32_e32 v1, v1, v21
	flat_load_dword v10, v[2:3]
	s_waitcnt lgkmcnt(1)
	ds_write_b32 v1, v9 offset:3072
	s_waitcnt vmcnt(0) lgkmcnt(0)
	s_barrier
	buffer_gl0_inv
	s_and_saveexec_b32 s2, s1
; %bb.35:
	ds_read_b32 v10, v1 offset:3068
; %bb.36:
	s_or_b32 exec_lo, exec_lo, s2
	v_add_co_u32 v2, s2, s5, v21
	v_add_co_ci_u32_e64 v3, null, s30, 0, s2
	s_waitcnt lgkmcnt(0)
	v_add_co_u32 v4, vcc_lo, 0x800, v2
	v_add_co_ci_u32_e64 v5, null, 0, v3, vcc_lo
	v_add_co_u32 v11, vcc_lo, 0x1000, v2
	v_add_co_ci_u32_e64 v12, null, 0, v3, vcc_lo
	s_barrier
	buffer_gl0_inv
	s_clause 0x2
	flat_load_dwordx2 v[2:3], v[2:3]
	flat_load_dwordx2 v[4:5], v[4:5]
	;; [unrolled: 1-line block ×3, first 2 shown]
	v_lshl_add_u32 v1, v0, 2, v1
	v_cmp_ne_u32_e32 vcc_lo, v7, v8
	v_cmp_ne_u32_e64 s4, v8, v9
	s_mov_b32 s3, -1
	s_waitcnt vmcnt(1) lgkmcnt(1)
	ds_write2st64_b64 v1, v[2:3], v[4:5] offset1:4
	s_waitcnt vmcnt(0) lgkmcnt(1)
	ds_write_b64 v1, v[11:12] offset:4096
	v_lshl_add_u32 v6, v0, 4, v1
	s_waitcnt lgkmcnt(0)
	s_barrier
	buffer_gl0_inv
	ds_read2_b64 v[1:4], v6 offset1:1
	ds_read_b64 v[5:6], v6 offset:16
	v_cndmask_b32_e64 v25, 0, 1, vcc_lo
	v_cmp_ne_u32_e32 vcc_lo, v10, v7
	v_cndmask_b32_e64 v22, 0, 1, vcc_lo
	s_waitcnt lgkmcnt(1)
	v_mov_b32_e32 v12, v1
.LBB1992_37:
	v_mov_b32_e32 v26, 0
	v_mov_b32_e32 v23, 0
	;; [unrolled: 1-line block ×3, first 2 shown]
	s_and_saveexec_b32 s2, s3
	s_cbranch_execz .LBB1992_39
; %bb.38:
	v_cndmask_b32_e64 v26, 0, 1, s4
	v_mov_b32_e32 v12, v1
	s_waitcnt lgkmcnt(0)
	v_mov_b32_e32 v23, v5
	v_mov_b32_e32 v24, v6
.LBB1992_39:
	s_or_b32 exec_lo, exec_lo, s2
	v_and_b32_e32 v27, 1, v26
	v_cmp_eq_u16_e64 s2, 0, v26
	v_mbcnt_lo_u32_b32 v1, -1, 0
	s_cmp_lg_u32 s27, 0
	s_waitcnt lgkmcnt(0)
	v_cmp_eq_u32_e32 vcc_lo, 1, v27
	s_barrier
	buffer_gl0_inv
	s_cbranch_scc0 .LBB1992_161
; %bb.40:
	v_mov_b32_e32 v5, 0
	v_add_nc_u32_e32 v6, v3, v12
	v_add_nc_u32_e32 v7, v4, v2
	v_or_b32_e32 v8, v25, v22
	v_cmp_eq_u16_sdwa s3, v25, v5 src0_sel:BYTE_0 src1_sel:DWORD
	v_cmp_ne_u16_sdwa s4, v8, v5 src0_sel:BYTE_0 src1_sel:DWORD
	v_cndmask_b32_e64 v6, v3, v6, s3
	v_cndmask_b32_e64 v7, v4, v7, s3
	s_or_b32 s5, s4, vcc_lo
	s_mov_b32 s4, exec_lo
	v_add_nc_u32_e32 v5, v23, v6
	v_add_nc_u32_e32 v6, v24, v7
	v_cndmask_b32_e64 v9, 0, 1, s5
	v_cndmask_b32_e64 v7, v23, v5, s2
	;; [unrolled: 1-line block ×3, first 2 shown]
	v_and_b32_e32 v5, 15, v1
	v_mov_b32_dpp v6, v9 row_shr:1 row_mask:0xf bank_mask:0xf
	v_mov_b32_dpp v10, v7 row_shr:1 row_mask:0xf bank_mask:0xf
	;; [unrolled: 1-line block ×3, first 2 shown]
	v_cmpx_ne_u32_e32 0, v5
	s_cbranch_execz .LBB1992_44
; %bb.41:
	s_xor_b32 s6, s5, -1
	s_and_saveexec_b32 s5, s6
; %bb.42:
	v_add_nc_u32_e32 v7, v7, v10
	v_add_nc_u32_e32 v8, v8, v11
; %bb.43:
	s_or_b32 exec_lo, exec_lo, s5
	v_and_or_b32 v9, v6, 1, v9
.LBB1992_44:
	s_or_b32 exec_lo, exec_lo, s4
	v_mov_b32_dpp v10, v7 row_shr:2 row_mask:0xf bank_mask:0xf
	v_mov_b32_dpp v11, v8 row_shr:2 row_mask:0xf bank_mask:0xf
	v_mov_b32_dpp v6, v9 row_shr:2 row_mask:0xf bank_mask:0xf
	s_mov_b32 s4, exec_lo
	v_cmpx_lt_u32_e32 1, v5
	s_cbranch_execz .LBB1992_50
; %bb.45:
	s_mov_b32 s5, exec_lo
	v_cmpx_ne_u32_e32 0, v9
	s_xor_b32 s5, exec_lo, s5
; %bb.46:
                                        ; implicit-def: $vgpr10
                                        ; implicit-def: $vgpr11
; %bb.47:
	s_andn2_saveexec_b32 s5, s5
; %bb.48:
	v_add_nc_u32_e32 v7, v7, v10
	v_add_nc_u32_e32 v8, v8, v11
; %bb.49:
	s_or_b32 exec_lo, exec_lo, s5
	v_or_b32_e32 v6, v6, v9
	v_and_b32_e32 v9, 1, v6
.LBB1992_50:
	s_or_b32 exec_lo, exec_lo, s4
	v_mov_b32_dpp v10, v7 row_shr:4 row_mask:0xf bank_mask:0xf
	v_mov_b32_dpp v11, v8 row_shr:4 row_mask:0xf bank_mask:0xf
	v_mov_b32_dpp v6, v9 row_shr:4 row_mask:0xf bank_mask:0xf
	s_mov_b32 s4, exec_lo
	v_cmpx_lt_u32_e32 3, v5
	s_cbranch_execz .LBB1992_56
; %bb.51:
	s_mov_b32 s5, exec_lo
	v_cmpx_ne_u32_e32 0, v9
	s_xor_b32 s5, exec_lo, s5
; %bb.52:
                                        ; implicit-def: $vgpr10
                                        ; implicit-def: $vgpr11
; %bb.53:
	s_andn2_saveexec_b32 s5, s5
; %bb.54:
	v_add_nc_u32_e32 v7, v7, v10
	v_add_nc_u32_e32 v8, v8, v11
; %bb.55:
	s_or_b32 exec_lo, exec_lo, s5
	v_or_b32_e32 v6, v6, v9
	v_and_b32_e32 v9, 1, v6
.LBB1992_56:
	;; [unrolled: 24-line block ×3, first 2 shown]
	s_or_b32 exec_lo, exec_lo, s4
	ds_swizzle_b32 v6, v7 offset:swizzle(BROADCAST,32,15)
	ds_swizzle_b32 v10, v8 offset:swizzle(BROADCAST,32,15)
	ds_swizzle_b32 v5, v9 offset:swizzle(BROADCAST,32,15)
	v_and_b32_e32 v11, 16, v1
	v_cmp_ne_u32_e32 vcc_lo, 0, v11
	v_mov_b32_e32 v11, v9
	s_and_saveexec_b32 s4, vcc_lo
	s_cbranch_execz .LBB1992_68
; %bb.63:
	s_mov_b32 s5, exec_lo
	v_cmpx_ne_u32_e32 0, v9
	s_xor_b32 s5, exec_lo, s5
; %bb.64:
                                        ; implicit-def: $vgpr6
                                        ; implicit-def: $vgpr10
; %bb.65:
	s_andn2_saveexec_b32 s5, s5
	s_cbranch_execz .LBB1992_67
; %bb.66:
	s_waitcnt lgkmcnt(2)
	v_add_nc_u32_e32 v7, v7, v6
	s_waitcnt lgkmcnt(1)
	v_add_nc_u32_e32 v8, v8, v10
.LBB1992_67:
	s_or_b32 exec_lo, exec_lo, s5
	s_waitcnt lgkmcnt(0)
	v_or_b32_e32 v5, v5, v9
	v_and_b32_e32 v11, 1, v5
	v_and_b32_e32 v9, 1, v5
.LBB1992_68:
	s_or_b32 exec_lo, exec_lo, s4
	s_waitcnt lgkmcnt(0)
	v_or_b32_e32 v5, 31, v0
	v_lshrrev_b32_e32 v10, 5, v0
	s_mov_b32 s4, exec_lo
	v_cmpx_eq_u32_e64 v0, v5
	s_cbranch_execz .LBB1992_70
; %bb.69:
	v_mul_u32_u24_e32 v5, 12, v10
	ds_write2_b32 v5, v7, v8 offset1:1
	ds_write_b8 v5, v11 offset:8
.LBB1992_70:
	s_or_b32 exec_lo, exec_lo, s4
	s_mov_b32 s4, exec_lo
	s_waitcnt lgkmcnt(0)
	s_barrier
	buffer_gl0_inv
	v_cmpx_gt_u32_e32 8, v0
	s_cbranch_execz .LBB1992_88
; %bb.71:
	v_mul_u32_u24_e32 v11, 12, v0
	v_and_b32_e32 v14, 7, v1
	s_mov_b32 s5, exec_lo
	ds_read2_b32 v[5:6], v11 offset1:1
	ds_read_b32 v13, v11 offset:8
	s_waitcnt lgkmcnt(1)
	v_mov_b32_dpp v16, v5 row_shr:1 row_mask:0xf bank_mask:0xf
	v_mov_b32_dpp v17, v6 row_shr:1 row_mask:0xf bank_mask:0xf
	s_waitcnt lgkmcnt(0)
	v_mov_b32_dpp v15, v13 row_shr:1 row_mask:0xf bank_mask:0xf
	v_cmpx_ne_u32_e32 0, v14
	s_cbranch_execz .LBB1992_75
; %bb.72:
	v_mov_b32_e32 v18, 0
	v_cmp_eq_u32_sdwa s7, v13, v18 src0_sel:BYTE_0 src1_sel:DWORD
	s_and_saveexec_b32 s6, s7
; %bb.73:
	v_add_nc_u32_e32 v5, v5, v16
	v_add_nc_u32_e32 v6, v6, v17
; %bb.74:
	s_or_b32 exec_lo, exec_lo, s6
	v_and_b32_e32 v15, 1, v15
	v_and_or_b32 v13, 0xffffff01, v13, v15
.LBB1992_75:
	s_or_b32 exec_lo, exec_lo, s5
	v_mov_b32_dpp v16, v5 row_shr:2 row_mask:0xf bank_mask:0xf
	v_mov_b32_dpp v17, v6 row_shr:2 row_mask:0xf bank_mask:0xf
	v_mov_b32_dpp v15, v13 row_shr:2 row_mask:0xf bank_mask:0xf
	s_mov_b32 s5, exec_lo
	v_cmpx_lt_u32_e32 1, v14
	s_cbranch_execz .LBB1992_81
; %bb.76:
	v_mov_b32_e32 v18, 0
	v_cmp_ne_u32_sdwa s6, v13, v18 src0_sel:BYTE_0 src1_sel:DWORD
	s_and_saveexec_b32 s7, s6
	s_xor_b32 s6, exec_lo, s7
; %bb.77:
                                        ; implicit-def: $vgpr16
                                        ; implicit-def: $vgpr17
; %bb.78:
	s_andn2_saveexec_b32 s6, s6
; %bb.79:
	v_add_nc_u32_e32 v5, v5, v16
	v_add_nc_u32_e32 v6, v6, v17
; %bb.80:
	s_or_b32 exec_lo, exec_lo, s6
	v_and_b32_e32 v15, 1, v15
	v_and_or_b32 v13, 0xffffff01, v13, v15
.LBB1992_81:
	s_or_b32 exec_lo, exec_lo, s5
	v_mov_b32_dpp v16, v5 row_shr:4 row_mask:0xf bank_mask:0xf
	v_mov_b32_dpp v17, v6 row_shr:4 row_mask:0xf bank_mask:0xf
	;; [unrolled: 1-line block ×3, first 2 shown]
	s_mov_b32 s5, exec_lo
	v_cmpx_lt_u32_e32 3, v14
	s_cbranch_execz .LBB1992_87
; %bb.82:
	v_mov_b32_e32 v14, 0
	v_cmp_ne_u32_sdwa s6, v13, v14 src0_sel:BYTE_0 src1_sel:DWORD
	s_and_saveexec_b32 s7, s6
	s_xor_b32 s6, exec_lo, s7
; %bb.83:
                                        ; implicit-def: $vgpr16
                                        ; implicit-def: $vgpr17
; %bb.84:
	s_andn2_saveexec_b32 s6, s6
; %bb.85:
	v_add_nc_u32_e32 v5, v5, v16
	v_add_nc_u32_e32 v6, v6, v17
; %bb.86:
	s_or_b32 exec_lo, exec_lo, s6
	v_or_b32_e32 v13, v15, v13
	v_and_b32_e32 v13, 1, v13
.LBB1992_87:
	s_or_b32 exec_lo, exec_lo, s5
	ds_write2_b32 v11, v5, v6 offset1:1
	ds_write_b8 v11, v13 offset:8
.LBB1992_88:
	s_or_b32 exec_lo, exec_lo, s4
	v_mov_b32_e32 v14, 0
	v_mov_b32_e32 v15, 0
	;; [unrolled: 1-line block ×3, first 2 shown]
	s_mov_b32 s5, exec_lo
	v_cmp_gt_u32_e32 vcc_lo, 32, v0
	s_waitcnt lgkmcnt(0)
	s_barrier
	buffer_gl0_inv
	v_cmpx_lt_u32_e32 31, v0
	s_cbranch_execz .LBB1992_90
; %bb.89:
	v_mad_u32_u24 v5, v10, 12, -12
	v_mad_u32_u24 v6, v10, 12, -4
	v_cmp_eq_u32_e64 s4, 0, v9
	ds_read2_b32 v[14:15], v5 offset1:1
	ds_read_u8 v5, v6
	s_waitcnt lgkmcnt(1)
	v_add_nc_u32_e32 v6, v14, v7
	v_add_nc_u32_e32 v10, v15, v8
	s_waitcnt lgkmcnt(0)
	v_or_b32_e32 v9, v5, v9
	v_and_b32_e32 v28, 1, v5
	v_cndmask_b32_e64 v7, v7, v6, s4
	v_cndmask_b32_e64 v8, v8, v10, s4
	v_and_b32_e32 v9, 1, v9
.LBB1992_90:
	s_or_b32 exec_lo, exec_lo, s5
	v_sub_co_u32 v5, s4, v1, 1
	v_cmp_gt_i32_e64 s5, 0, v5
	v_cndmask_b32_e64 v5, v5, v1, s5
	v_lshlrev_b32_e32 v5, 2, v5
	ds_bpermute_b32 v30, v5, v7
	ds_bpermute_b32 v29, v5, v8
	;; [unrolled: 1-line block ×3, first 2 shown]
	s_and_saveexec_b32 s7, vcc_lo
	s_cbranch_execz .LBB1992_166
; %bb.91:
	v_mov_b32_e32 v18, 0
	ds_read_b32 v5, v18 offset:84
	ds_read_b64 v[6:7], v18 offset:88
	s_and_saveexec_b32 s5, s4
	s_cbranch_execz .LBB1992_93
; %bb.92:
	s_add_i32 s12, s27, 32
	s_mov_b32 s13, 0
	v_mov_b32_e32 v8, 1
	s_lshl_b64 s[12:13], s[12:13], 4
	s_add_u32 s12, s24, s12
	s_addc_u32 s13, s25, s13
	v_mov_b32_e32 v9, s12
	v_mov_b32_e32 v10, s13
	s_waitcnt lgkmcnt(0)
	;;#ASMSTART
	global_store_dwordx4 v[9:10], v[5:8] off	
s_waitcnt vmcnt(0)
	;;#ASMEND
.LBB1992_93:
	s_or_b32 exec_lo, exec_lo, s5
	v_xad_u32 v16, v1, -1, s27
	s_mov_b32 s6, 0
	v_add_nc_u32_e32 v17, 32, v16
	v_lshlrev_b64 v[8:9], 4, v[17:18]
	v_add_co_u32 v19, vcc_lo, s24, v8
	v_add_co_ci_u32_e64 v20, null, s25, v9, vcc_lo
	;;#ASMSTART
	global_load_dwordx4 v[8:11], v[19:20] off glc dlc	
s_waitcnt vmcnt(0)
	;;#ASMEND
	v_alignbit_b32 v34, v9, v8, 8
	v_alignbit_b32 v35, v9, v8, 16
	;; [unrolled: 1-line block ×3, first 2 shown]
	v_perm_b32 v17, v9, v10, 0x70605
	v_perm_b32 v33, v9, v10, 0x1000706
	;; [unrolled: 1-line block ×3, first 2 shown]
	v_cmp_eq_u16_sdwa s12, v11, v18 src0_sel:BYTE_0 src1_sel:DWORD
	s_and_saveexec_b32 s5, s12
	s_cbranch_execz .LBB1992_97
; %bb.94:
	v_mov_b32_e32 v13, 0
.LBB1992_95:                            ; =>This Inner Loop Header: Depth=1
	;;#ASMSTART
	global_load_dwordx4 v[8:11], v[19:20] off glc dlc	
s_waitcnt vmcnt(0)
	;;#ASMEND
	v_cmp_ne_u16_sdwa s12, v11, v13 src0_sel:BYTE_0 src1_sel:DWORD
	s_or_b32 s6, s12, s6
	s_andn2_b32 exec_lo, exec_lo, s6
	s_cbranch_execnz .LBB1992_95
; %bb.96:
	s_or_b32 exec_lo, exec_lo, s6
	v_perm_b32 v13, v9, v10, 0x2010007
	v_perm_b32 v33, v9, v10, 0x1000706
	v_perm_b32 v17, v9, v10, 0x70605
	v_alignbit_b32 v32, v9, v8, 24
	v_alignbit_b32 v35, v9, v8, 16
	v_alignbit_b32 v34, v9, v8, 8
.LBB1992_97:
	s_or_b32 exec_lo, exec_lo, s5
	v_lshlrev_b32_e32 v18, 16, v35
	v_lshlrev_b32_e32 v19, 8, v34
	;; [unrolled: 1-line block ×4, first 2 shown]
	v_cmp_ne_u32_e32 vcc_lo, 31, v1
	v_perm_b32 v18, v32, v18, 0x4020c0c
	v_and_b32_e32 v19, 0xff00, v19
	v_and_b32_e32 v8, 0xff, v8
	v_perm_b32 v20, v13, v20, 0x4020c0c
	v_and_b32_e32 v17, 0xff00, v17
	v_add_co_ci_u32_e64 v13, null, 0, v1, vcc_lo
	v_and_b32_e32 v9, 0xff, v9
	v_mov_b32_e32 v32, 2
	v_or3_b32 v8, v18, v19, v8
	v_lshlrev_b32_e32 v13, 2, v13
	v_and_b32_e32 v18, 0xff, v10
	v_or3_b32 v9, v20, v17, v9
	v_cmp_eq_u16_sdwa s5, v11, v32 src0_sel:BYTE_0 src1_sel:DWORD
	v_lshlrev_b32_e64 v20, v1, -1
	ds_bpermute_b32 v32, v13, v8
	ds_bpermute_b32 v19, v13, v18
	;; [unrolled: 1-line block ×3, first 2 shown]
	v_and_or_b32 v17, s5, v20, 0x80000000
	s_mov_b32 s5, exec_lo
	v_ffbl_b32_e32 v17, v17
	v_cmpx_lt_u32_e64 v1, v17
	s_cbranch_execz .LBB1992_101
; %bb.98:
	s_mov_b32 s6, exec_lo
	v_cmpx_eq_u32_e32 0, v18
	s_cbranch_execz .LBB1992_100
; %bb.99:
	s_waitcnt lgkmcnt(2)
	v_add_nc_u32_e32 v8, v8, v32
	s_waitcnt lgkmcnt(0)
	v_add_nc_u32_e32 v9, v9, v33
.LBB1992_100:
	s_or_b32 exec_lo, exec_lo, s6
	s_waitcnt lgkmcnt(1)
	v_or_b32_e32 v10, v19, v10
	v_and_b32_e32 v18, 1, v10
.LBB1992_101:
	s_or_b32 exec_lo, exec_lo, s5
	v_cmp_gt_u32_e32 vcc_lo, 30, v1
	s_waitcnt lgkmcnt(0)
	v_add_nc_u32_e32 v33, 2, v1
	s_mov_b32 s5, exec_lo
	v_cndmask_b32_e64 v10, 0, 2, vcc_lo
	v_add_lshl_u32 v32, v10, v1, 2
	ds_bpermute_b32 v19, v32, v8
	ds_bpermute_b32 v34, v32, v9
	;; [unrolled: 1-line block ×3, first 2 shown]
	v_cmpx_le_u32_e64 v33, v17
	s_cbranch_execz .LBB1992_107
; %bb.102:
	s_mov_b32 s6, exec_lo
	v_cmpx_ne_u32_e32 0, v18
	s_xor_b32 s6, exec_lo, s6
; %bb.103:
                                        ; implicit-def: $vgpr19
                                        ; implicit-def: $vgpr34
; %bb.104:
	s_andn2_saveexec_b32 s6, s6
	s_cbranch_execz .LBB1992_106
; %bb.105:
	s_waitcnt lgkmcnt(2)
	v_add_nc_u32_e32 v8, v8, v19
	s_waitcnt lgkmcnt(1)
	v_add_nc_u32_e32 v9, v9, v34
.LBB1992_106:
	s_or_b32 exec_lo, exec_lo, s6
	s_waitcnt lgkmcnt(0)
	v_or_b32_e32 v10, v10, v18
	v_and_b32_e32 v18, 1, v10
.LBB1992_107:
	s_or_b32 exec_lo, exec_lo, s5
	v_cmp_gt_u32_e32 vcc_lo, 28, v1
	v_add_nc_u32_e32 v35, 4, v1
	s_mov_b32 s5, exec_lo
	s_waitcnt lgkmcnt(0)
	v_cndmask_b32_e64 v10, 0, 4, vcc_lo
	v_add_lshl_u32 v34, v10, v1, 2
	ds_bpermute_b32 v19, v34, v8
	ds_bpermute_b32 v36, v34, v9
	;; [unrolled: 1-line block ×3, first 2 shown]
	v_cmpx_le_u32_e64 v35, v17
	s_cbranch_execz .LBB1992_113
; %bb.108:
	s_mov_b32 s6, exec_lo
	v_cmpx_ne_u32_e32 0, v18
	s_xor_b32 s6, exec_lo, s6
; %bb.109:
                                        ; implicit-def: $vgpr19
                                        ; implicit-def: $vgpr36
; %bb.110:
	s_andn2_saveexec_b32 s6, s6
	s_cbranch_execz .LBB1992_112
; %bb.111:
	s_waitcnt lgkmcnt(2)
	v_add_nc_u32_e32 v8, v8, v19
	s_waitcnt lgkmcnt(1)
	v_add_nc_u32_e32 v9, v9, v36
.LBB1992_112:
	s_or_b32 exec_lo, exec_lo, s6
	s_waitcnt lgkmcnt(0)
	v_or_b32_e32 v10, v10, v18
	v_and_b32_e32 v18, 1, v10
.LBB1992_113:
	s_or_b32 exec_lo, exec_lo, s5
	v_cmp_gt_u32_e32 vcc_lo, 24, v1
	v_add_nc_u32_e32 v37, 8, v1
	s_mov_b32 s5, exec_lo
	s_waitcnt lgkmcnt(0)
	v_cndmask_b32_e64 v10, 0, 8, vcc_lo
	v_add_lshl_u32 v36, v10, v1, 2
	ds_bpermute_b32 v19, v36, v8
	ds_bpermute_b32 v38, v36, v9
	;; [unrolled: 1-line block ×3, first 2 shown]
	v_cmpx_le_u32_e64 v37, v17
	s_cbranch_execz .LBB1992_119
; %bb.114:
	s_mov_b32 s6, exec_lo
	v_cmpx_ne_u32_e32 0, v18
	s_xor_b32 s6, exec_lo, s6
; %bb.115:
                                        ; implicit-def: $vgpr19
                                        ; implicit-def: $vgpr38
; %bb.116:
	s_andn2_saveexec_b32 s6, s6
	s_cbranch_execz .LBB1992_118
; %bb.117:
	s_waitcnt lgkmcnt(2)
	v_add_nc_u32_e32 v8, v8, v19
	s_waitcnt lgkmcnt(1)
	v_add_nc_u32_e32 v9, v9, v38
.LBB1992_118:
	s_or_b32 exec_lo, exec_lo, s6
	s_waitcnt lgkmcnt(0)
	v_or_b32_e32 v10, v10, v18
	v_and_b32_e32 v18, 1, v10
.LBB1992_119:
	s_or_b32 exec_lo, exec_lo, s5
	s_waitcnt lgkmcnt(1)
	v_lshl_or_b32 v38, v1, 2, 64
	v_add_nc_u32_e32 v39, 16, v1
	s_mov_b32 s5, exec_lo
	ds_bpermute_b32 v19, v38, v8
	ds_bpermute_b32 v40, v38, v9
	s_waitcnt lgkmcnt(2)
	ds_bpermute_b32 v10, v38, v18
	v_cmpx_le_u32_e64 v39, v17
	s_cbranch_execz .LBB1992_125
; %bb.120:
	s_mov_b32 s6, exec_lo
	v_cmpx_ne_u32_e32 0, v18
	s_xor_b32 s6, exec_lo, s6
; %bb.121:
                                        ; implicit-def: $vgpr19
                                        ; implicit-def: $vgpr40
; %bb.122:
	s_andn2_saveexec_b32 s6, s6
	s_cbranch_execz .LBB1992_124
; %bb.123:
	s_waitcnt lgkmcnt(2)
	v_add_nc_u32_e32 v8, v8, v19
	s_waitcnt lgkmcnt(1)
	v_add_nc_u32_e32 v9, v9, v40
.LBB1992_124:
	s_or_b32 exec_lo, exec_lo, s6
	s_waitcnt lgkmcnt(0)
	v_or_b32_e32 v10, v10, v18
	v_and_b32_e32 v18, 1, v10
.LBB1992_125:
	s_or_b32 exec_lo, exec_lo, s5
	v_mov_b32_e32 v17, 0
	v_mov_b32_e32 v43, 2
	s_branch .LBB1992_129
.LBB1992_126:                           ;   in Loop: Header=BB1992_129 Depth=1
	s_or_b32 exec_lo, exec_lo, s6
	s_waitcnt lgkmcnt(0)
	v_or_b32_e32 v18, v10, v18
.LBB1992_127:                           ;   in Loop: Header=BB1992_129 Depth=1
	s_or_b32 exec_lo, exec_lo, s5
	s_waitcnt lgkmcnt(0)
	v_and_b32_e32 v10, 1, v41
	v_and_b32_e32 v18, 1, v18
	v_add_nc_u32_e32 v9, v9, v40
	v_cmp_eq_u16_sdwa vcc_lo, v41, v17 src0_sel:BYTE_0 src1_sel:DWORD
	v_add_nc_u32_e32 v19, v8, v42
	v_cmp_eq_u32_e64 s5, 1, v10
	v_cmp_eq_u32_e64 s6, 1, v18
	v_subrev_nc_u32_e32 v16, 32, v16
	v_cndmask_b32_e32 v8, v40, v9, vcc_lo
	v_cndmask_b32_e32 v9, v42, v19, vcc_lo
	s_or_b32 s5, s5, s6
	v_cndmask_b32_e64 v18, 0, 1, s5
	s_mov_b32 s5, 0
.LBB1992_128:                           ;   in Loop: Header=BB1992_129 Depth=1
	s_and_b32 vcc_lo, exec_lo, s5
	s_cbranch_vccnz .LBB1992_162
.LBB1992_129:                           ; =>This Loop Header: Depth=1
                                        ;     Child Loop BB1992_132 Depth 2
	v_cmp_ne_u16_sdwa s5, v11, v43 src0_sel:BYTE_0 src1_sel:DWORD
	s_waitcnt lgkmcnt(1)
	v_mov_b32_e32 v40, v8
	v_mov_b32_e32 v42, v9
	;; [unrolled: 1-line block ×3, first 2 shown]
                                        ; implicit-def: $vgpr8
                                        ; implicit-def: $vgpr11
                                        ; implicit-def: $vgpr18
                                        ; implicit-def: $vgpr9
	s_cmp_lg_u32 s5, exec_lo
	s_mov_b32 s5, -1
	s_cbranch_scc1 .LBB1992_128
; %bb.130:                              ;   in Loop: Header=BB1992_129 Depth=1
	v_lshlrev_b64 v[8:9], 4, v[16:17]
	v_add_co_u32 v18, vcc_lo, s24, v8
	v_add_co_ci_u32_e64 v19, null, s25, v9, vcc_lo
	s_waitcnt lgkmcnt(0)
	;;#ASMSTART
	global_load_dwordx4 v[8:11], v[18:19] off glc dlc	
s_waitcnt vmcnt(0)
	;;#ASMEND
	v_alignbit_b32 v48, v9, v8, 8
	v_alignbit_b32 v49, v9, v8, 16
	;; [unrolled: 1-line block ×3, first 2 shown]
	v_perm_b32 v45, v9, v10, 0x70605
	v_perm_b32 v47, v9, v10, 0x1000706
	;; [unrolled: 1-line block ×3, first 2 shown]
	v_cmp_eq_u16_sdwa s6, v11, v17 src0_sel:BYTE_0 src1_sel:DWORD
	s_and_saveexec_b32 s5, s6
	s_cbranch_execz .LBB1992_134
; %bb.131:                              ;   in Loop: Header=BB1992_129 Depth=1
	s_mov_b32 s6, 0
.LBB1992_132:                           ;   Parent Loop BB1992_129 Depth=1
                                        ; =>  This Inner Loop Header: Depth=2
	;;#ASMSTART
	global_load_dwordx4 v[8:11], v[18:19] off glc dlc	
s_waitcnt vmcnt(0)
	;;#ASMEND
	v_cmp_ne_u16_sdwa s12, v11, v17 src0_sel:BYTE_0 src1_sel:DWORD
	s_or_b32 s6, s12, s6
	s_andn2_b32 exec_lo, exec_lo, s6
	s_cbranch_execnz .LBB1992_132
; %bb.133:                              ;   in Loop: Header=BB1992_129 Depth=1
	s_or_b32 exec_lo, exec_lo, s6
	v_perm_b32 v44, v9, v10, 0x2010007
	v_perm_b32 v47, v9, v10, 0x1000706
	;; [unrolled: 1-line block ×3, first 2 shown]
	v_alignbit_b32 v46, v9, v8, 24
	v_alignbit_b32 v49, v9, v8, 16
	;; [unrolled: 1-line block ×3, first 2 shown]
.LBB1992_134:                           ;   in Loop: Header=BB1992_129 Depth=1
	s_or_b32 exec_lo, exec_lo, s5
	v_lshlrev_b32_e32 v18, 16, v49
	v_lshlrev_b32_e32 v19, 8, v48
	;; [unrolled: 1-line block ×4, first 2 shown]
	v_and_b32_e32 v8, 0xff, v8
	v_perm_b32 v18, v46, v18, 0x4020c0c
	v_and_b32_e32 v19, 0xff00, v19
	v_perm_b32 v44, v44, v47, 0x4020c0c
	v_and_b32_e32 v46, 0xff, v9
	v_and_b32_e32 v45, 0xff00, v45
	v_cmp_eq_u16_sdwa s5, v11, v43 src0_sel:BYTE_0 src1_sel:DWORD
	v_or3_b32 v9, v18, v19, v8
	v_and_b32_e32 v18, 0xff, v10
	v_or3_b32 v8, v44, v45, v46
	v_and_or_b32 v19, s5, v20, 0x80000000
	ds_bpermute_b32 v45, v13, v9
	ds_bpermute_b32 v44, v13, v18
	s_mov_b32 s5, exec_lo
	ds_bpermute_b32 v46, v13, v8
	v_ffbl_b32_e32 v19, v19
	v_cmpx_lt_u32_e64 v1, v19
	s_cbranch_execz .LBB1992_138
; %bb.135:                              ;   in Loop: Header=BB1992_129 Depth=1
	s_mov_b32 s6, exec_lo
	v_cmpx_eq_u32_e32 0, v18
	s_cbranch_execz .LBB1992_137
; %bb.136:                              ;   in Loop: Header=BB1992_129 Depth=1
	s_waitcnt lgkmcnt(2)
	v_add_nc_u32_e32 v9, v9, v45
	s_waitcnt lgkmcnt(0)
	v_add_nc_u32_e32 v8, v8, v46
.LBB1992_137:                           ;   in Loop: Header=BB1992_129 Depth=1
	s_or_b32 exec_lo, exec_lo, s6
	s_waitcnt lgkmcnt(1)
	v_or_b32_e32 v10, v44, v10
	v_and_b32_e32 v18, 1, v10
.LBB1992_138:                           ;   in Loop: Header=BB1992_129 Depth=1
	s_or_b32 exec_lo, exec_lo, s5
	s_waitcnt lgkmcnt(1)
	ds_bpermute_b32 v44, v32, v9
	ds_bpermute_b32 v45, v32, v8
	;; [unrolled: 1-line block ×3, first 2 shown]
	s_mov_b32 s5, exec_lo
	v_cmpx_le_u32_e64 v33, v19
	s_cbranch_execz .LBB1992_144
; %bb.139:                              ;   in Loop: Header=BB1992_129 Depth=1
	s_mov_b32 s6, exec_lo
	v_cmpx_ne_u32_e32 0, v18
	s_xor_b32 s6, exec_lo, s6
; %bb.140:                              ;   in Loop: Header=BB1992_129 Depth=1
                                        ; implicit-def: $vgpr44
                                        ; implicit-def: $vgpr45
; %bb.141:                              ;   in Loop: Header=BB1992_129 Depth=1
	s_andn2_saveexec_b32 s6, s6
	s_cbranch_execz .LBB1992_143
; %bb.142:                              ;   in Loop: Header=BB1992_129 Depth=1
	s_waitcnt lgkmcnt(2)
	v_add_nc_u32_e32 v9, v9, v44
	s_waitcnt lgkmcnt(1)
	v_add_nc_u32_e32 v8, v8, v45
.LBB1992_143:                           ;   in Loop: Header=BB1992_129 Depth=1
	s_or_b32 exec_lo, exec_lo, s6
	s_waitcnt lgkmcnt(0)
	v_or_b32_e32 v10, v10, v18
	v_and_b32_e32 v18, 1, v10
.LBB1992_144:                           ;   in Loop: Header=BB1992_129 Depth=1
	s_or_b32 exec_lo, exec_lo, s5
	s_waitcnt lgkmcnt(2)
	ds_bpermute_b32 v44, v34, v9
	s_waitcnt lgkmcnt(2)
	ds_bpermute_b32 v45, v34, v8
	s_waitcnt lgkmcnt(2)
	ds_bpermute_b32 v10, v34, v18
	s_mov_b32 s5, exec_lo
	v_cmpx_le_u32_e64 v35, v19
	s_cbranch_execz .LBB1992_150
; %bb.145:                              ;   in Loop: Header=BB1992_129 Depth=1
	s_mov_b32 s6, exec_lo
	v_cmpx_ne_u32_e32 0, v18
	s_xor_b32 s6, exec_lo, s6
; %bb.146:                              ;   in Loop: Header=BB1992_129 Depth=1
                                        ; implicit-def: $vgpr44
                                        ; implicit-def: $vgpr45
; %bb.147:                              ;   in Loop: Header=BB1992_129 Depth=1
	s_andn2_saveexec_b32 s6, s6
	s_cbranch_execz .LBB1992_149
; %bb.148:                              ;   in Loop: Header=BB1992_129 Depth=1
	s_waitcnt lgkmcnt(2)
	v_add_nc_u32_e32 v9, v9, v44
	s_waitcnt lgkmcnt(1)
	v_add_nc_u32_e32 v8, v8, v45
.LBB1992_149:                           ;   in Loop: Header=BB1992_129 Depth=1
	s_or_b32 exec_lo, exec_lo, s6
	s_waitcnt lgkmcnt(0)
	v_or_b32_e32 v10, v10, v18
	v_and_b32_e32 v18, 1, v10
.LBB1992_150:                           ;   in Loop: Header=BB1992_129 Depth=1
	s_or_b32 exec_lo, exec_lo, s5
	s_waitcnt lgkmcnt(2)
	ds_bpermute_b32 v44, v36, v9
	s_waitcnt lgkmcnt(2)
	ds_bpermute_b32 v45, v36, v8
	s_waitcnt lgkmcnt(2)
	ds_bpermute_b32 v10, v36, v18
	;; [unrolled: 31-line block ×3, first 2 shown]
	s_mov_b32 s5, exec_lo
	v_cmpx_le_u32_e64 v39, v19
	s_cbranch_execz .LBB1992_127
; %bb.157:                              ;   in Loop: Header=BB1992_129 Depth=1
	s_mov_b32 s6, exec_lo
	v_cmpx_ne_u32_e32 0, v18
	s_xor_b32 s6, exec_lo, s6
; %bb.158:                              ;   in Loop: Header=BB1992_129 Depth=1
                                        ; implicit-def: $vgpr44
                                        ; implicit-def: $vgpr45
; %bb.159:                              ;   in Loop: Header=BB1992_129 Depth=1
	s_andn2_saveexec_b32 s6, s6
	s_cbranch_execz .LBB1992_126
; %bb.160:                              ;   in Loop: Header=BB1992_129 Depth=1
	s_waitcnt lgkmcnt(2)
	v_add_nc_u32_e32 v9, v9, v44
	s_waitcnt lgkmcnt(1)
	v_add_nc_u32_e32 v8, v8, v45
	s_branch .LBB1992_126
.LBB1992_161:
                                        ; implicit-def: $vgpr8
                                        ; implicit-def: $vgpr6
                                        ; implicit-def: $vgpr9_vgpr10
	s_cbranch_execnz .LBB1992_173
	s_branch .LBB1992_232
.LBB1992_162:
	s_and_saveexec_b32 s12, s4
	s_cbranch_execz .LBB1992_164
; %bb.163:
	v_and_b32_e32 v9, 0xff, v7
	v_and_b32_e32 v7, 1, v7
	s_waitcnt lgkmcnt(0)
	v_and_b32_e32 v10, 1, v41
	v_mov_b32_e32 v8, 0
	s_mov_b32 s17, 0
	s_add_i32 s16, s27, 32
	v_cmp_eq_u32_e64 s5, 1, v7
	v_cmp_eq_u32_e64 s6, 1, v10
	v_cmp_eq_u64_e32 vcc_lo, 0, v[8:9]
	v_add_nc_u32_e32 v11, v40, v5
	v_add_nc_u32_e32 v8, v42, v6
	s_lshl_b64 s[16:17], s[16:17], 4
	s_or_b32 s5, s5, s6
	s_add_u32 s16, s24, s16
	s_addc_u32 s17, s25, s17
	v_mov_b32_e32 v9, s16
	v_cndmask_b32_e32 v5, v5, v11, vcc_lo
	v_cndmask_b32_e32 v6, v6, v8, vcc_lo
	v_cndmask_b32_e64 v7, 0, 1, s5
	v_mov_b32_e32 v8, 2
	v_mov_b32_e32 v10, s17
	;;#ASMSTART
	global_store_dwordx4 v[9:10], v[5:8] off	
s_waitcnt vmcnt(0)
	;;#ASMEND
.LBB1992_164:
	s_or_b32 exec_lo, exec_lo, s12
	s_and_b32 exec_lo, exec_lo, s0
	s_cbranch_execz .LBB1992_166
; %bb.165:
	v_mov_b32_e32 v5, 0
	ds_write2_b32 v5, v40, v42 offset0:21 offset1:22
	ds_write_b8 v5, v41 offset:92
.LBB1992_166:
	s_or_b32 exec_lo, exec_lo, s7
	v_mov_b32_e32 v11, 0
	s_waitcnt lgkmcnt(0)
	s_barrier
	buffer_gl0_inv
	v_mov_b32_e32 v13, v2
	ds_read2_b32 v[5:6], v11 offset0:21 offset1:22
	v_mov_b32_e32 v9, v12
	v_mov_b32_e32 v7, v12
	;; [unrolled: 1-line block ×5, first 2 shown]
	s_and_saveexec_b32 s6, s1
	s_cbranch_execz .LBB1992_168
; %bb.167:
	v_cndmask_b32_e64 v8, v31, v28, s4
	v_cndmask_b32_e64 v9, v29, v15, s4
	;; [unrolled: 1-line block ×3, first 2 shown]
	v_and_b32_e32 v10, 1, v22
	v_cmp_eq_u16_sdwa vcc_lo, v22, v11 src0_sel:BYTE_0 src1_sel:DWORD
	v_and_b32_e32 v8, 1, v8
	v_add_nc_u32_e32 v9, v2, v9
	v_add_nc_u32_e32 v7, v12, v7
	v_cmp_eq_u32_e64 s4, 1, v10
	v_cmp_eq_u32_e64 s5, 1, v8
	v_cndmask_b32_e32 v8, v2, v9, vcc_lo
	v_cndmask_b32_e32 v7, v12, v7, vcc_lo
	s_or_b32 s4, s4, s5
	v_mov_b32_e32 v10, v8
	v_cndmask_b32_e64 v13, 0, 1, s4
	v_mov_b32_e32 v9, v7
.LBB1992_168:
	s_or_b32 exec_lo, exec_lo, s6
	v_cmp_ne_u16_sdwa s4, v13, v11 src0_sel:BYTE_0 src1_sel:DWORD
	s_and_saveexec_b32 s5, s4
	s_xor_b32 s4, exec_lo, s5
; %bb.169:
                                        ; implicit-def: $vgpr7
                                        ; implicit-def: $vgpr5_vgpr6
; %bb.170:
	s_andn2_saveexec_b32 s4, s4
	s_cbranch_execz .LBB1992_172
; %bb.171:
	s_waitcnt lgkmcnt(0)
	v_add_nc_u32_e32 v9, v7, v5
	v_add_nc_u32_e32 v10, v8, v6
.LBB1992_172:
	s_or_b32 exec_lo, exec_lo, s4
	s_waitcnt lgkmcnt(0)
	v_add_nc_u32_e32 v5, v3, v9
	v_add_nc_u32_e32 v6, v4, v10
	v_cndmask_b32_e64 v5, v3, v5, s3
	v_cndmask_b32_e64 v6, v4, v6, s3
	v_add_nc_u32_e32 v7, v23, v5
	v_add_nc_u32_e32 v8, v24, v6
	v_cndmask_b32_e64 v7, v23, v7, s2
	v_cndmask_b32_e64 v8, v24, v8, s2
	s_branch .LBB1992_232
.LBB1992_173:
	s_cmp_lg_u64 s[28:29], 0
	s_cselect_b32 s2, -1, 0
	s_cmp_lg_u64 s[18:19], 0
	s_cselect_b32 s3, -1, 0
	s_and_b32 s2, s2, s3
	s_and_b32 s3, s0, s2
	s_and_saveexec_b32 s2, s3
	s_cbranch_execz .LBB1992_177
; %bb.174:
	v_mov_b32_e32 v5, 0
	v_cmp_eq_u16_sdwa s4, v22, v5 src0_sel:BYTE_0 src1_sel:DWORD
	s_and_saveexec_b32 s3, s4
	s_cbranch_execz .LBB1992_176
; %bb.175:
	global_load_dwordx2 v[6:7], v5, s[18:19]
	s_waitcnt vmcnt(0)
	v_add_nc_u32_e32 v12, v12, v6
	v_add_nc_u32_e32 v2, v2, v7
.LBB1992_176:
	s_or_b32 exec_lo, exec_lo, s3
	global_load_ubyte v5, v5, s[18:19] offset:8
	s_waitcnt vmcnt(0)
	v_or_b32_e32 v5, v22, v5
	v_and_b32_e32 v22, 1, v5
.LBB1992_177:
	s_or_b32 exec_lo, exec_lo, s2
	v_mov_b32_e32 v7, 0
	v_add_nc_u32_e32 v6, v4, v2
	v_add_nc_u32_e32 v5, v3, v12
	v_or_b32_e32 v8, v25, v22
	v_cmp_eq_u32_e64 s3, 1, v27
	v_cmp_eq_u16_sdwa vcc_lo, v25, v7 src0_sel:BYTE_0 src1_sel:DWORD
	v_cmp_eq_u16_e64 s2, 0, v26
	v_and_b32_e32 v17, 15, v1
	v_cmp_ne_u16_sdwa s4, v8, v7 src0_sel:BYTE_0 src1_sel:DWORD
	v_cndmask_b32_e32 v6, v4, v6, vcc_lo
	v_cndmask_b32_e32 v5, v3, v5, vcc_lo
	s_or_b32 s5, s4, s3
	s_mov_b32 s4, exec_lo
	v_add_nc_u32_e32 v8, v24, v6
	v_add_nc_u32_e32 v7, v23, v5
	v_cndmask_b32_e64 v11, 0, 1, s5
	v_cndmask_b32_e64 v8, v24, v8, s2
	;; [unrolled: 1-line block ×3, first 2 shown]
	v_mov_b32_dpp v18, v11 row_shr:1 row_mask:0xf bank_mask:0xf
	v_mov_b32_e32 v10, v8
	v_mov_b32_dpp v19, v7 row_shr:1 row_mask:0xf bank_mask:0xf
	v_mov_b32_e32 v13, v7
	;; [unrolled: 2-line block ×3, first 2 shown]
	v_mov_b32_e32 v14, v8
	v_mov_b32_e32 v15, v8
	;; [unrolled: 1-line block ×3, first 2 shown]
	v_cmpx_ne_u32_e32 0, v17
	s_cbranch_execz .LBB1992_181
; %bb.178:
	v_mov_b32_e32 v10, v8
	v_mov_b32_e32 v9, v7
	;; [unrolled: 1-line block ×4, first 2 shown]
	s_xor_b32 s5, s5, -1
	s_and_saveexec_b32 s3, s5
; %bb.179:
	v_add_nc_u32_e32 v9, v7, v19
	v_add_nc_u32_e32 v10, v8, v20
	v_mov_b32_e32 v13, v9
	v_mov_b32_e32 v14, v10
; %bb.180:
	s_or_b32 exec_lo, exec_lo, s3
	v_and_or_b32 v11, v18, 1, v11
	v_mov_b32_e32 v15, v10
	v_mov_b32_e32 v16, v9
.LBB1992_181:
	s_or_b32 exec_lo, exec_lo, s4
	v_mov_b32_dpp v19, v13 row_shr:2 row_mask:0xf bank_mask:0xf
	v_mov_b32_dpp v20, v14 row_shr:2 row_mask:0xf bank_mask:0xf
	;; [unrolled: 1-line block ×3, first 2 shown]
	s_mov_b32 s4, exec_lo
	v_cmpx_lt_u32_e32 1, v17
	s_cbranch_execz .LBB1992_187
; %bb.182:
	v_cmp_ne_u32_e64 s3, 0, v11
	s_and_saveexec_b32 s5, s3
	s_xor_b32 s3, exec_lo, s5
; %bb.183:
                                        ; implicit-def: $vgpr16
                                        ; implicit-def: $vgpr19
                                        ; implicit-def: $vgpr15
                                        ; implicit-def: $vgpr20
; %bb.184:
	s_andn2_saveexec_b32 s3, s3
; %bb.185:
	v_add_nc_u32_e32 v9, v16, v19
	v_add_nc_u32_e32 v10, v15, v20
; %bb.186:
	s_or_b32 exec_lo, exec_lo, s3
	v_or_b32_e32 v11, v18, v11
	v_mov_b32_e32 v13, v9
	v_mov_b32_e32 v14, v10
	;; [unrolled: 1-line block ×4, first 2 shown]
	v_and_b32_e32 v11, 1, v11
.LBB1992_187:
	s_or_b32 exec_lo, exec_lo, s4
	v_mov_b32_dpp v19, v13 row_shr:4 row_mask:0xf bank_mask:0xf
	v_mov_b32_dpp v20, v14 row_shr:4 row_mask:0xf bank_mask:0xf
	v_mov_b32_dpp v18, v11 row_shr:4 row_mask:0xf bank_mask:0xf
	s_mov_b32 s4, exec_lo
	v_cmpx_lt_u32_e32 3, v17
	s_cbranch_execz .LBB1992_193
; %bb.188:
	v_cmp_ne_u32_e64 s3, 0, v11
	s_and_saveexec_b32 s5, s3
	s_xor_b32 s3, exec_lo, s5
; %bb.189:
                                        ; implicit-def: $vgpr16
                                        ; implicit-def: $vgpr19
                                        ; implicit-def: $vgpr15
                                        ; implicit-def: $vgpr20
; %bb.190:
	s_andn2_saveexec_b32 s3, s3
; %bb.191:
	v_add_nc_u32_e32 v9, v16, v19
	v_add_nc_u32_e32 v10, v15, v20
; %bb.192:
	s_or_b32 exec_lo, exec_lo, s3
	v_or_b32_e32 v11, v18, v11
	v_mov_b32_e32 v13, v9
	v_mov_b32_e32 v14, v10
	;; [unrolled: 1-line block ×4, first 2 shown]
	v_and_b32_e32 v11, 1, v11
.LBB1992_193:
	s_or_b32 exec_lo, exec_lo, s4
	v_mov_b32_dpp v19, v13 row_shr:8 row_mask:0xf bank_mask:0xf
	v_mov_b32_dpp v20, v14 row_shr:8 row_mask:0xf bank_mask:0xf
	;; [unrolled: 1-line block ×3, first 2 shown]
	s_mov_b32 s4, exec_lo
	v_cmpx_lt_u32_e32 7, v17
	s_cbranch_execz .LBB1992_199
; %bb.194:
	v_cmp_ne_u32_e64 s3, 0, v11
                                        ; implicit-def: $vgpr14
	s_and_saveexec_b32 s5, s3
	s_xor_b32 s3, exec_lo, s5
; %bb.195:
	v_mov_b32_e32 v14, v10
	v_mov_b32_e32 v13, v9
                                        ; implicit-def: $vgpr16
                                        ; implicit-def: $vgpr19
                                        ; implicit-def: $vgpr15
                                        ; implicit-def: $vgpr20
; %bb.196:
	s_andn2_saveexec_b32 s3, s3
; %bb.197:
	v_add_nc_u32_e32 v13, v16, v19
	v_add_nc_u32_e32 v14, v15, v20
; %bb.198:
	s_or_b32 exec_lo, exec_lo, s3
	v_or_b32_e32 v11, v18, v11
	v_mov_b32_e32 v9, v13
	v_mov_b32_e32 v10, v14
	v_mov_b32_e32 v15, v14
	v_mov_b32_e32 v16, v13
	v_and_b32_e32 v11, 1, v11
.LBB1992_199:
	s_or_b32 exec_lo, exec_lo, s4
	ds_swizzle_b32 v17, v13 offset:swizzle(BROADCAST,32,15)
	ds_swizzle_b32 v14, v14 offset:swizzle(BROADCAST,32,15)
	;; [unrolled: 1-line block ×3, first 2 shown]
	v_and_b32_e32 v18, 16, v1
	v_cmp_ne_u32_e64 s3, 0, v18
	v_mov_b32_e32 v18, v11
	s_and_saveexec_b32 s4, s3
	s_cbranch_execz .LBB1992_205
; %bb.200:
	v_cmp_ne_u32_e64 s3, 0, v11
	s_and_saveexec_b32 s5, s3
	s_xor_b32 s3, exec_lo, s5
; %bb.201:
                                        ; implicit-def: $vgpr16
                                        ; implicit-def: $vgpr17
                                        ; implicit-def: $vgpr15
                                        ; implicit-def: $vgpr14
; %bb.202:
	s_andn2_saveexec_b32 s3, s3
	s_cbranch_execz .LBB1992_204
; %bb.203:
	s_waitcnt lgkmcnt(2)
	v_add_nc_u32_e32 v9, v16, v17
	s_waitcnt lgkmcnt(1)
	v_add_nc_u32_e32 v10, v15, v14
.LBB1992_204:
	s_or_b32 exec_lo, exec_lo, s3
	s_waitcnt lgkmcnt(0)
	v_or_b32_e32 v11, v13, v11
	v_mov_b32_e32 v15, v10
	v_mov_b32_e32 v16, v9
	v_and_b32_e32 v18, 1, v11
	v_and_b32_e32 v11, 1, v11
.LBB1992_205:
	s_or_b32 exec_lo, exec_lo, s4
	s_waitcnt lgkmcnt(1)
	v_or_b32_e32 v14, 31, v0
	s_waitcnt lgkmcnt(0)
	v_lshrrev_b32_e32 v13, 5, v0
	s_mov_b32 s4, exec_lo
	v_cmpx_eq_u32_e64 v0, v14
	s_cbranch_execz .LBB1992_207
; %bb.206:
	v_mul_u32_u24_e32 v14, 12, v13
	ds_write2_b32 v14, v9, v10 offset1:1
	ds_write_b8 v14, v18 offset:8
.LBB1992_207:
	s_or_b32 exec_lo, exec_lo, s4
	s_mov_b32 s4, exec_lo
	s_waitcnt lgkmcnt(0)
	s_barrier
	buffer_gl0_inv
	v_cmpx_gt_u32_e32 8, v0
	s_cbranch_execz .LBB1992_225
; %bb.208:
	v_mul_u32_u24_e32 v14, 12, v0
	v_and_b32_e32 v18, 7, v1
	s_mov_b32 s5, exec_lo
	ds_read2_b32 v[9:10], v14 offset1:1
	ds_read_b32 v17, v14 offset:8
	s_waitcnt lgkmcnt(1)
	v_mov_b32_dpp v20, v9 row_shr:1 row_mask:0xf bank_mask:0xf
	v_mov_b32_dpp v25, v10 row_shr:1 row_mask:0xf bank_mask:0xf
	s_waitcnt lgkmcnt(0)
	v_mov_b32_dpp v19, v17 row_shr:1 row_mask:0xf bank_mask:0xf
	v_cmpx_ne_u32_e32 0, v18
	s_cbranch_execz .LBB1992_212
; %bb.209:
	v_mov_b32_e32 v26, 0
	v_cmp_eq_u32_sdwa s6, v17, v26 src0_sel:BYTE_0 src1_sel:DWORD
	s_and_saveexec_b32 s3, s6
; %bb.210:
	v_add_nc_u32_e32 v9, v9, v20
	v_add_nc_u32_e32 v10, v10, v25
; %bb.211:
	s_or_b32 exec_lo, exec_lo, s3
	v_and_b32_e32 v19, 1, v19
	v_and_or_b32 v17, 0xffffff01, v17, v19
.LBB1992_212:
	s_or_b32 exec_lo, exec_lo, s5
	v_mov_b32_dpp v20, v9 row_shr:2 row_mask:0xf bank_mask:0xf
	v_mov_b32_dpp v25, v10 row_shr:2 row_mask:0xf bank_mask:0xf
	;; [unrolled: 1-line block ×3, first 2 shown]
	s_mov_b32 s5, exec_lo
	v_cmpx_lt_u32_e32 1, v18
	s_cbranch_execz .LBB1992_218
; %bb.213:
	v_mov_b32_e32 v26, 0
	v_cmp_ne_u32_sdwa s3, v17, v26 src0_sel:BYTE_0 src1_sel:DWORD
	s_and_saveexec_b32 s6, s3
	s_xor_b32 s3, exec_lo, s6
; %bb.214:
                                        ; implicit-def: $vgpr20
                                        ; implicit-def: $vgpr25
; %bb.215:
	s_andn2_saveexec_b32 s3, s3
; %bb.216:
	v_add_nc_u32_e32 v9, v9, v20
	v_add_nc_u32_e32 v10, v10, v25
; %bb.217:
	s_or_b32 exec_lo, exec_lo, s3
	v_and_b32_e32 v19, 1, v19
	v_and_or_b32 v17, 0xffffff01, v17, v19
.LBB1992_218:
	s_or_b32 exec_lo, exec_lo, s5
	v_mov_b32_dpp v20, v9 row_shr:4 row_mask:0xf bank_mask:0xf
	v_mov_b32_dpp v25, v10 row_shr:4 row_mask:0xf bank_mask:0xf
	;; [unrolled: 1-line block ×3, first 2 shown]
	s_mov_b32 s5, exec_lo
	v_cmpx_lt_u32_e32 3, v18
	s_cbranch_execz .LBB1992_224
; %bb.219:
	v_mov_b32_e32 v18, 0
	v_cmp_ne_u32_sdwa s3, v17, v18 src0_sel:BYTE_0 src1_sel:DWORD
	s_and_saveexec_b32 s6, s3
	s_xor_b32 s3, exec_lo, s6
; %bb.220:
                                        ; implicit-def: $vgpr20
                                        ; implicit-def: $vgpr25
; %bb.221:
	s_andn2_saveexec_b32 s3, s3
; %bb.222:
	v_add_nc_u32_e32 v9, v9, v20
	v_add_nc_u32_e32 v10, v10, v25
; %bb.223:
	s_or_b32 exec_lo, exec_lo, s3
	v_or_b32_e32 v17, v19, v17
	v_and_b32_e32 v17, 1, v17
.LBB1992_224:
	s_or_b32 exec_lo, exec_lo, s5
	ds_write2_b32 v14, v9, v10 offset1:1
	ds_write_b8 v14, v17 offset:8
.LBB1992_225:
	s_or_b32 exec_lo, exec_lo, s4
	v_mov_b32_e32 v9, 0
	v_mov_b32_e32 v10, 0
	s_mov_b32 s4, exec_lo
	s_waitcnt lgkmcnt(0)
	s_barrier
	buffer_gl0_inv
	v_cmpx_lt_u32_e32 31, v0
	s_cbranch_execz .LBB1992_227
; %bb.226:
	v_mad_u32_u24 v9, v13, 12, -12
	v_cmp_eq_u32_e64 s3, 0, v11
	ds_read2_b32 v[9:10], v9 offset1:1
	s_waitcnt lgkmcnt(0)
	v_add_nc_u32_e32 v13, v9, v16
	v_add_nc_u32_e32 v14, v10, v15
	v_cndmask_b32_e64 v16, v16, v13, s3
	v_cndmask_b32_e64 v15, v15, v14, s3
.LBB1992_227:
	s_or_b32 exec_lo, exec_lo, s4
	v_sub_co_u32 v11, s3, v1, 1
	v_cmp_gt_i32_e64 s4, 0, v11
	v_cndmask_b32_e64 v1, v11, v1, s4
	v_lshlrev_b32_e32 v11, 2, v1
	ds_bpermute_b32 v1, v11, v16
	ds_bpermute_b32 v11, v11, v15
	s_and_saveexec_b32 s4, s1
	s_cbranch_execz .LBB1992_229
; %bb.228:
	s_waitcnt lgkmcnt(1)
	v_cndmask_b32_e64 v1, v1, v9, s3
	s_waitcnt lgkmcnt(0)
	v_cndmask_b32_e64 v5, v11, v10, s3
	v_mov_b32_e32 v6, 0
	;;#ASMSTART
	;;#ASMEND
	v_add_nc_u32_e32 v1, v1, v12
	v_add_nc_u32_e32 v5, v5, v2
	v_cmp_eq_u16_sdwa s1, v22, v6 src0_sel:BYTE_0 src1_sel:DWORD
	v_cndmask_b32_e64 v12, v12, v1, s1
	v_cndmask_b32_e64 v2, v2, v5, s1
	v_add_nc_u32_e32 v1, v3, v12
	v_add_nc_u32_e32 v6, v4, v2
	v_cndmask_b32_e32 v5, v3, v1, vcc_lo
	v_cndmask_b32_e32 v6, v4, v6, vcc_lo
	v_add_nc_u32_e32 v1, v23, v5
	v_add_nc_u32_e32 v3, v24, v6
	v_cndmask_b32_e64 v7, v23, v1, s2
	v_cndmask_b32_e64 v8, v24, v3, s2
.LBB1992_229:
	s_or_b32 exec_lo, exec_lo, s4
	s_and_saveexec_b32 s1, s0
	s_cbranch_execz .LBB1992_231
; %bb.230:
	s_waitcnt lgkmcnt(1)
	v_mov_b32_e32 v1, 0
	s_add_u32 s2, s24, 0x200
	s_addc_u32 s3, s25, 0
	v_mov_b32_e32 v16, 2
	v_mov_b32_e32 v4, s3
	ds_read2_b32 v[13:14], v1 offset0:21 offset1:22
	ds_read_u8 v15, v1 offset:92
	v_mov_b32_e32 v3, s2
	s_waitcnt lgkmcnt(0)
	;;#ASMSTART
	global_store_dwordx4 v[3:4], v[13:16] off	
s_waitcnt vmcnt(0)
	;;#ASMEND
.LBB1992_231:
	s_or_b32 exec_lo, exec_lo, s1
	v_mov_b32_e32 v10, v2
	v_mov_b32_e32 v9, v12
.LBB1992_232:
	s_add_u32 s0, s14, s8
	s_addc_u32 s1, s15, s9
	s_add_u32 s0, s0, s10
	s_addc_u32 s1, s1, s11
	s_and_b32 vcc_lo, exec_lo, s20
	s_cbranch_vccz .LBB1992_244
; %bb.233:
	s_waitcnt lgkmcnt(1)
	v_mov_b32_e32 v1, 0
	v_mov_b32_e32 v2, 0
	;; [unrolled: 1-line block ×3, first 2 shown]
	v_mul_u32_u24_e32 v13, 3, v0
	v_mov_b32_e32 v4, 0
	s_add_i32 s21, s21, s26
	s_waitcnt lgkmcnt(0)
	v_mov_b32_e32 v12, v2
	v_mov_b32_e32 v11, v1
	s_mov_b32 s2, exec_lo
	v_cmpx_gt_u32_e64 s21, v13
	s_cbranch_execz .LBB1992_239
; %bb.234:
	v_mov_b32_e32 v3, 0
	v_mov_b32_e32 v1, 0
	v_add_nc_u32_e32 v11, 1, v13
	v_mov_b32_e32 v4, 0
	v_mov_b32_e32 v2, 0
	s_mov_b32 s3, exec_lo
	v_cmpx_gt_u32_e64 s21, v11
	s_cbranch_execz .LBB1992_238
; %bb.235:
	v_mov_b32_e32 v1, 0
	v_add_nc_u32_e32 v3, 2, v13
	v_mov_b32_e32 v2, 0
	s_mov_b32 s4, exec_lo
	v_cmpx_gt_u32_e64 s21, v3
; %bb.236:
	v_mov_b32_e32 v1, v7
	v_mov_b32_e32 v2, v8
; %bb.237:
	s_or_b32 exec_lo, exec_lo, s4
	v_mov_b32_e32 v3, v5
	v_mov_b32_e32 v4, v6
.LBB1992_238:
	s_or_b32 exec_lo, exec_lo, s3
	v_mov_b32_e32 v12, v10
	v_mov_b32_e32 v11, v9
.LBB1992_239:
	s_or_b32 exec_lo, exec_lo, s2
	v_lshlrev_b32_e32 v13, 3, v13
	v_lshlrev_b32_e32 v14, 4, v0
	s_barrier
	buffer_gl0_inv
	ds_write2_b64 v13, v[11:12], v[3:4] offset1:1
	v_sub_nc_u32_e32 v3, v13, v14
	ds_write_b64 v13, v[1:2] offset:16
	s_waitcnt lgkmcnt(0)
	s_barrier
	buffer_gl0_inv
	ds_read2st64_b64 v[1:4], v3 offset0:4 offset1:8
	v_add_co_u32 v11, s2, s0, v21
	v_add_co_ci_u32_e64 v12, null, s1, 0, s2
	s_mov_b32 s2, exec_lo
	v_cmpx_gt_u32_e64 s21, v0
	s_cbranch_execz .LBB1992_241
; %bb.240:
	v_sub_nc_u32_e32 v14, 0, v14
	v_add_nc_u32_e32 v13, v13, v14
	ds_read_b64 v[13:14], v13
	s_waitcnt lgkmcnt(0)
	flat_store_dwordx2 v[11:12], v[13:14]
.LBB1992_241:
	s_or_b32 exec_lo, exec_lo, s2
	v_or_b32_e32 v13, 0x100, v0
	s_mov_b32 s2, exec_lo
	v_cmpx_gt_u32_e64 s21, v13
	s_cbranch_execz .LBB1992_243
; %bb.242:
	v_add_co_u32 v11, vcc_lo, 0x800, v11
	v_add_co_ci_u32_e64 v12, null, 0, v12, vcc_lo
	s_waitcnt lgkmcnt(0)
	flat_store_dwordx2 v[11:12], v[1:2]
.LBB1992_243:
	s_or_b32 exec_lo, exec_lo, s2
	s_waitcnt lgkmcnt(0)
	v_or_b32_e32 v1, 0x200, v0
	v_cmp_gt_u32_e64 s2, s21, v1
	s_branch .LBB1992_246
.LBB1992_244:
	s_mov_b32 s2, 0
                                        ; implicit-def: $vgpr3_vgpr4
	s_cbranch_execz .LBB1992_246
; %bb.245:
	s_waitcnt lgkmcnt(1)
	v_mul_u32_u24_e32 v1, 24, v0
	v_lshlrev_b32_e32 v2, 4, v0
	s_waitcnt lgkmcnt(0)
	s_waitcnt_vscnt null, 0x0
	s_barrier
	buffer_gl0_inv
	ds_write2_b64 v1, v[9:10], v[5:6] offset1:1
	v_sub_nc_u32_e32 v2, v1, v2
	ds_write_b64 v1, v[7:8] offset:16
	s_waitcnt lgkmcnt(0)
	s_barrier
	buffer_gl0_inv
	ds_read2st64_b64 v[5:8], v2 offset1:4
	ds_read_b64 v[3:4], v2 offset:4096
	v_add_co_u32 v1, s3, s0, v21
	v_add_co_ci_u32_e64 v2, null, s1, 0, s3
	s_or_b32 s2, s2, exec_lo
	v_add_co_u32 v9, vcc_lo, 0x800, v1
	v_add_co_ci_u32_e64 v10, null, 0, v2, vcc_lo
	s_waitcnt lgkmcnt(1)
	flat_store_dwordx2 v[1:2], v[5:6]
	flat_store_dwordx2 v[9:10], v[7:8]
.LBB1992_246:
	s_and_saveexec_b32 s3, s2
	s_cbranch_execnz .LBB1992_248
; %bb.247:
	s_endpgm
.LBB1992_248:
	v_lshlrev_b32_e32 v0, 3, v0
	v_add_co_u32 v0, s0, s0, v0
	s_waitcnt lgkmcnt(1)
	v_add_co_ci_u32_e64 v1, null, s1, 0, s0
	v_add_co_u32 v0, vcc_lo, 0x1000, v0
	v_add_co_ci_u32_e64 v1, null, 0, v1, vcc_lo
	flat_store_dwordx2 v[0:1], v[3:4]
	s_endpgm
.LBB1992_249:
                                        ; implicit-def: $sgpr16_sgpr17
	s_branch .LBB1992_14
.LBB1992_250:
                                        ; implicit-def: $sgpr2_sgpr3
	s_branch .LBB1992_32
	.section	.rodata,"a",@progbits
	.p2align	6, 0x0
	.amdhsa_kernel _ZN7rocprim17ROCPRIM_400000_NS6detail17trampoline_kernelINS0_14default_configENS1_27scan_by_key_config_selectorIj11FixedVectorIiLj2EEEEZZNS1_16scan_by_key_implILNS1_25lookback_scan_determinismE0ELb0ES3_N6thrust23THRUST_200600_302600_NS6detail15normal_iteratorINSB_10device_ptrIjEEEENSD_INSE_IS6_EEEESI_S6_NSB_4plusIvEENSB_8equal_toIvEES6_EE10hipError_tPvRmT2_T3_T4_T5_mT6_T7_P12ihipStream_tbENKUlT_T0_E_clISt17integral_constantIbLb0EES12_IbLb1EEEEDaSY_SZ_EUlSY_E_NS1_11comp_targetILNS1_3genE8ELNS1_11target_archE1030ELNS1_3gpuE2ELNS1_3repE0EEENS1_30default_config_static_selectorELNS0_4arch9wavefront6targetE0EEEvT1_
		.amdhsa_group_segment_fixed_size 6144
		.amdhsa_private_segment_fixed_size 0
		.amdhsa_kernarg_size 120
		.amdhsa_user_sgpr_count 6
		.amdhsa_user_sgpr_private_segment_buffer 1
		.amdhsa_user_sgpr_dispatch_ptr 0
		.amdhsa_user_sgpr_queue_ptr 0
		.amdhsa_user_sgpr_kernarg_segment_ptr 1
		.amdhsa_user_sgpr_dispatch_id 0
		.amdhsa_user_sgpr_flat_scratch_init 0
		.amdhsa_user_sgpr_private_segment_size 0
		.amdhsa_wavefront_size32 1
		.amdhsa_uses_dynamic_stack 0
		.amdhsa_system_sgpr_private_segment_wavefront_offset 0
		.amdhsa_system_sgpr_workgroup_id_x 1
		.amdhsa_system_sgpr_workgroup_id_y 0
		.amdhsa_system_sgpr_workgroup_id_z 0
		.amdhsa_system_sgpr_workgroup_info 0
		.amdhsa_system_vgpr_workitem_id 0
		.amdhsa_next_free_vgpr 50
		.amdhsa_next_free_sgpr 35
		.amdhsa_reserve_vcc 1
		.amdhsa_reserve_flat_scratch 1
		.amdhsa_float_round_mode_32 0
		.amdhsa_float_round_mode_16_64 0
		.amdhsa_float_denorm_mode_32 3
		.amdhsa_float_denorm_mode_16_64 3
		.amdhsa_dx10_clamp 1
		.amdhsa_ieee_mode 1
		.amdhsa_fp16_overflow 0
		.amdhsa_workgroup_processor_mode 1
		.amdhsa_memory_ordered 1
		.amdhsa_forward_progress 1
		.amdhsa_shared_vgpr_count 0
		.amdhsa_exception_fp_ieee_invalid_op 0
		.amdhsa_exception_fp_denorm_src 0
		.amdhsa_exception_fp_ieee_div_zero 0
		.amdhsa_exception_fp_ieee_overflow 0
		.amdhsa_exception_fp_ieee_underflow 0
		.amdhsa_exception_fp_ieee_inexact 0
		.amdhsa_exception_int_div_zero 0
	.end_amdhsa_kernel
	.section	.text._ZN7rocprim17ROCPRIM_400000_NS6detail17trampoline_kernelINS0_14default_configENS1_27scan_by_key_config_selectorIj11FixedVectorIiLj2EEEEZZNS1_16scan_by_key_implILNS1_25lookback_scan_determinismE0ELb0ES3_N6thrust23THRUST_200600_302600_NS6detail15normal_iteratorINSB_10device_ptrIjEEEENSD_INSE_IS6_EEEESI_S6_NSB_4plusIvEENSB_8equal_toIvEES6_EE10hipError_tPvRmT2_T3_T4_T5_mT6_T7_P12ihipStream_tbENKUlT_T0_E_clISt17integral_constantIbLb0EES12_IbLb1EEEEDaSY_SZ_EUlSY_E_NS1_11comp_targetILNS1_3genE8ELNS1_11target_archE1030ELNS1_3gpuE2ELNS1_3repE0EEENS1_30default_config_static_selectorELNS0_4arch9wavefront6targetE0EEEvT1_,"axG",@progbits,_ZN7rocprim17ROCPRIM_400000_NS6detail17trampoline_kernelINS0_14default_configENS1_27scan_by_key_config_selectorIj11FixedVectorIiLj2EEEEZZNS1_16scan_by_key_implILNS1_25lookback_scan_determinismE0ELb0ES3_N6thrust23THRUST_200600_302600_NS6detail15normal_iteratorINSB_10device_ptrIjEEEENSD_INSE_IS6_EEEESI_S6_NSB_4plusIvEENSB_8equal_toIvEES6_EE10hipError_tPvRmT2_T3_T4_T5_mT6_T7_P12ihipStream_tbENKUlT_T0_E_clISt17integral_constantIbLb0EES12_IbLb1EEEEDaSY_SZ_EUlSY_E_NS1_11comp_targetILNS1_3genE8ELNS1_11target_archE1030ELNS1_3gpuE2ELNS1_3repE0EEENS1_30default_config_static_selectorELNS0_4arch9wavefront6targetE0EEEvT1_,comdat
.Lfunc_end1992:
	.size	_ZN7rocprim17ROCPRIM_400000_NS6detail17trampoline_kernelINS0_14default_configENS1_27scan_by_key_config_selectorIj11FixedVectorIiLj2EEEEZZNS1_16scan_by_key_implILNS1_25lookback_scan_determinismE0ELb0ES3_N6thrust23THRUST_200600_302600_NS6detail15normal_iteratorINSB_10device_ptrIjEEEENSD_INSE_IS6_EEEESI_S6_NSB_4plusIvEENSB_8equal_toIvEES6_EE10hipError_tPvRmT2_T3_T4_T5_mT6_T7_P12ihipStream_tbENKUlT_T0_E_clISt17integral_constantIbLb0EES12_IbLb1EEEEDaSY_SZ_EUlSY_E_NS1_11comp_targetILNS1_3genE8ELNS1_11target_archE1030ELNS1_3gpuE2ELNS1_3repE0EEENS1_30default_config_static_selectorELNS0_4arch9wavefront6targetE0EEEvT1_, .Lfunc_end1992-_ZN7rocprim17ROCPRIM_400000_NS6detail17trampoline_kernelINS0_14default_configENS1_27scan_by_key_config_selectorIj11FixedVectorIiLj2EEEEZZNS1_16scan_by_key_implILNS1_25lookback_scan_determinismE0ELb0ES3_N6thrust23THRUST_200600_302600_NS6detail15normal_iteratorINSB_10device_ptrIjEEEENSD_INSE_IS6_EEEESI_S6_NSB_4plusIvEENSB_8equal_toIvEES6_EE10hipError_tPvRmT2_T3_T4_T5_mT6_T7_P12ihipStream_tbENKUlT_T0_E_clISt17integral_constantIbLb0EES12_IbLb1EEEEDaSY_SZ_EUlSY_E_NS1_11comp_targetILNS1_3genE8ELNS1_11target_archE1030ELNS1_3gpuE2ELNS1_3repE0EEENS1_30default_config_static_selectorELNS0_4arch9wavefront6targetE0EEEvT1_
                                        ; -- End function
	.set _ZN7rocprim17ROCPRIM_400000_NS6detail17trampoline_kernelINS0_14default_configENS1_27scan_by_key_config_selectorIj11FixedVectorIiLj2EEEEZZNS1_16scan_by_key_implILNS1_25lookback_scan_determinismE0ELb0ES3_N6thrust23THRUST_200600_302600_NS6detail15normal_iteratorINSB_10device_ptrIjEEEENSD_INSE_IS6_EEEESI_S6_NSB_4plusIvEENSB_8equal_toIvEES6_EE10hipError_tPvRmT2_T3_T4_T5_mT6_T7_P12ihipStream_tbENKUlT_T0_E_clISt17integral_constantIbLb0EES12_IbLb1EEEEDaSY_SZ_EUlSY_E_NS1_11comp_targetILNS1_3genE8ELNS1_11target_archE1030ELNS1_3gpuE2ELNS1_3repE0EEENS1_30default_config_static_selectorELNS0_4arch9wavefront6targetE0EEEvT1_.num_vgpr, 50
	.set _ZN7rocprim17ROCPRIM_400000_NS6detail17trampoline_kernelINS0_14default_configENS1_27scan_by_key_config_selectorIj11FixedVectorIiLj2EEEEZZNS1_16scan_by_key_implILNS1_25lookback_scan_determinismE0ELb0ES3_N6thrust23THRUST_200600_302600_NS6detail15normal_iteratorINSB_10device_ptrIjEEEENSD_INSE_IS6_EEEESI_S6_NSB_4plusIvEENSB_8equal_toIvEES6_EE10hipError_tPvRmT2_T3_T4_T5_mT6_T7_P12ihipStream_tbENKUlT_T0_E_clISt17integral_constantIbLb0EES12_IbLb1EEEEDaSY_SZ_EUlSY_E_NS1_11comp_targetILNS1_3genE8ELNS1_11target_archE1030ELNS1_3gpuE2ELNS1_3repE0EEENS1_30default_config_static_selectorELNS0_4arch9wavefront6targetE0EEEvT1_.num_agpr, 0
	.set _ZN7rocprim17ROCPRIM_400000_NS6detail17trampoline_kernelINS0_14default_configENS1_27scan_by_key_config_selectorIj11FixedVectorIiLj2EEEEZZNS1_16scan_by_key_implILNS1_25lookback_scan_determinismE0ELb0ES3_N6thrust23THRUST_200600_302600_NS6detail15normal_iteratorINSB_10device_ptrIjEEEENSD_INSE_IS6_EEEESI_S6_NSB_4plusIvEENSB_8equal_toIvEES6_EE10hipError_tPvRmT2_T3_T4_T5_mT6_T7_P12ihipStream_tbENKUlT_T0_E_clISt17integral_constantIbLb0EES12_IbLb1EEEEDaSY_SZ_EUlSY_E_NS1_11comp_targetILNS1_3genE8ELNS1_11target_archE1030ELNS1_3gpuE2ELNS1_3repE0EEENS1_30default_config_static_selectorELNS0_4arch9wavefront6targetE0EEEvT1_.numbered_sgpr, 35
	.set _ZN7rocprim17ROCPRIM_400000_NS6detail17trampoline_kernelINS0_14default_configENS1_27scan_by_key_config_selectorIj11FixedVectorIiLj2EEEEZZNS1_16scan_by_key_implILNS1_25lookback_scan_determinismE0ELb0ES3_N6thrust23THRUST_200600_302600_NS6detail15normal_iteratorINSB_10device_ptrIjEEEENSD_INSE_IS6_EEEESI_S6_NSB_4plusIvEENSB_8equal_toIvEES6_EE10hipError_tPvRmT2_T3_T4_T5_mT6_T7_P12ihipStream_tbENKUlT_T0_E_clISt17integral_constantIbLb0EES12_IbLb1EEEEDaSY_SZ_EUlSY_E_NS1_11comp_targetILNS1_3genE8ELNS1_11target_archE1030ELNS1_3gpuE2ELNS1_3repE0EEENS1_30default_config_static_selectorELNS0_4arch9wavefront6targetE0EEEvT1_.num_named_barrier, 0
	.set _ZN7rocprim17ROCPRIM_400000_NS6detail17trampoline_kernelINS0_14default_configENS1_27scan_by_key_config_selectorIj11FixedVectorIiLj2EEEEZZNS1_16scan_by_key_implILNS1_25lookback_scan_determinismE0ELb0ES3_N6thrust23THRUST_200600_302600_NS6detail15normal_iteratorINSB_10device_ptrIjEEEENSD_INSE_IS6_EEEESI_S6_NSB_4plusIvEENSB_8equal_toIvEES6_EE10hipError_tPvRmT2_T3_T4_T5_mT6_T7_P12ihipStream_tbENKUlT_T0_E_clISt17integral_constantIbLb0EES12_IbLb1EEEEDaSY_SZ_EUlSY_E_NS1_11comp_targetILNS1_3genE8ELNS1_11target_archE1030ELNS1_3gpuE2ELNS1_3repE0EEENS1_30default_config_static_selectorELNS0_4arch9wavefront6targetE0EEEvT1_.private_seg_size, 0
	.set _ZN7rocprim17ROCPRIM_400000_NS6detail17trampoline_kernelINS0_14default_configENS1_27scan_by_key_config_selectorIj11FixedVectorIiLj2EEEEZZNS1_16scan_by_key_implILNS1_25lookback_scan_determinismE0ELb0ES3_N6thrust23THRUST_200600_302600_NS6detail15normal_iteratorINSB_10device_ptrIjEEEENSD_INSE_IS6_EEEESI_S6_NSB_4plusIvEENSB_8equal_toIvEES6_EE10hipError_tPvRmT2_T3_T4_T5_mT6_T7_P12ihipStream_tbENKUlT_T0_E_clISt17integral_constantIbLb0EES12_IbLb1EEEEDaSY_SZ_EUlSY_E_NS1_11comp_targetILNS1_3genE8ELNS1_11target_archE1030ELNS1_3gpuE2ELNS1_3repE0EEENS1_30default_config_static_selectorELNS0_4arch9wavefront6targetE0EEEvT1_.uses_vcc, 1
	.set _ZN7rocprim17ROCPRIM_400000_NS6detail17trampoline_kernelINS0_14default_configENS1_27scan_by_key_config_selectorIj11FixedVectorIiLj2EEEEZZNS1_16scan_by_key_implILNS1_25lookback_scan_determinismE0ELb0ES3_N6thrust23THRUST_200600_302600_NS6detail15normal_iteratorINSB_10device_ptrIjEEEENSD_INSE_IS6_EEEESI_S6_NSB_4plusIvEENSB_8equal_toIvEES6_EE10hipError_tPvRmT2_T3_T4_T5_mT6_T7_P12ihipStream_tbENKUlT_T0_E_clISt17integral_constantIbLb0EES12_IbLb1EEEEDaSY_SZ_EUlSY_E_NS1_11comp_targetILNS1_3genE8ELNS1_11target_archE1030ELNS1_3gpuE2ELNS1_3repE0EEENS1_30default_config_static_selectorELNS0_4arch9wavefront6targetE0EEEvT1_.uses_flat_scratch, 1
	.set _ZN7rocprim17ROCPRIM_400000_NS6detail17trampoline_kernelINS0_14default_configENS1_27scan_by_key_config_selectorIj11FixedVectorIiLj2EEEEZZNS1_16scan_by_key_implILNS1_25lookback_scan_determinismE0ELb0ES3_N6thrust23THRUST_200600_302600_NS6detail15normal_iteratorINSB_10device_ptrIjEEEENSD_INSE_IS6_EEEESI_S6_NSB_4plusIvEENSB_8equal_toIvEES6_EE10hipError_tPvRmT2_T3_T4_T5_mT6_T7_P12ihipStream_tbENKUlT_T0_E_clISt17integral_constantIbLb0EES12_IbLb1EEEEDaSY_SZ_EUlSY_E_NS1_11comp_targetILNS1_3genE8ELNS1_11target_archE1030ELNS1_3gpuE2ELNS1_3repE0EEENS1_30default_config_static_selectorELNS0_4arch9wavefront6targetE0EEEvT1_.has_dyn_sized_stack, 0
	.set _ZN7rocprim17ROCPRIM_400000_NS6detail17trampoline_kernelINS0_14default_configENS1_27scan_by_key_config_selectorIj11FixedVectorIiLj2EEEEZZNS1_16scan_by_key_implILNS1_25lookback_scan_determinismE0ELb0ES3_N6thrust23THRUST_200600_302600_NS6detail15normal_iteratorINSB_10device_ptrIjEEEENSD_INSE_IS6_EEEESI_S6_NSB_4plusIvEENSB_8equal_toIvEES6_EE10hipError_tPvRmT2_T3_T4_T5_mT6_T7_P12ihipStream_tbENKUlT_T0_E_clISt17integral_constantIbLb0EES12_IbLb1EEEEDaSY_SZ_EUlSY_E_NS1_11comp_targetILNS1_3genE8ELNS1_11target_archE1030ELNS1_3gpuE2ELNS1_3repE0EEENS1_30default_config_static_selectorELNS0_4arch9wavefront6targetE0EEEvT1_.has_recursion, 0
	.set _ZN7rocprim17ROCPRIM_400000_NS6detail17trampoline_kernelINS0_14default_configENS1_27scan_by_key_config_selectorIj11FixedVectorIiLj2EEEEZZNS1_16scan_by_key_implILNS1_25lookback_scan_determinismE0ELb0ES3_N6thrust23THRUST_200600_302600_NS6detail15normal_iteratorINSB_10device_ptrIjEEEENSD_INSE_IS6_EEEESI_S6_NSB_4plusIvEENSB_8equal_toIvEES6_EE10hipError_tPvRmT2_T3_T4_T5_mT6_T7_P12ihipStream_tbENKUlT_T0_E_clISt17integral_constantIbLb0EES12_IbLb1EEEEDaSY_SZ_EUlSY_E_NS1_11comp_targetILNS1_3genE8ELNS1_11target_archE1030ELNS1_3gpuE2ELNS1_3repE0EEENS1_30default_config_static_selectorELNS0_4arch9wavefront6targetE0EEEvT1_.has_indirect_call, 0
	.section	.AMDGPU.csdata,"",@progbits
; Kernel info:
; codeLenInByte = 7468
; TotalNumSgprs: 37
; NumVgprs: 50
; ScratchSize: 0
; MemoryBound: 0
; FloatMode: 240
; IeeeMode: 1
; LDSByteSize: 6144 bytes/workgroup (compile time only)
; SGPRBlocks: 0
; VGPRBlocks: 6
; NumSGPRsForWavesPerEU: 37
; NumVGPRsForWavesPerEU: 50
; Occupancy: 16
; WaveLimiterHint : 1
; COMPUTE_PGM_RSRC2:SCRATCH_EN: 0
; COMPUTE_PGM_RSRC2:USER_SGPR: 6
; COMPUTE_PGM_RSRC2:TRAP_HANDLER: 0
; COMPUTE_PGM_RSRC2:TGID_X_EN: 1
; COMPUTE_PGM_RSRC2:TGID_Y_EN: 0
; COMPUTE_PGM_RSRC2:TGID_Z_EN: 0
; COMPUTE_PGM_RSRC2:TIDIG_COMP_CNT: 0
	.section	.text._ZN7rocprim17ROCPRIM_400000_NS6detail17trampoline_kernelINS0_14default_configENS1_27scan_by_key_config_selectorIj11FixedVectorIiLj2EEEEZZNS1_16scan_by_key_implILNS1_25lookback_scan_determinismE0ELb1ES3_N6thrust23THRUST_200600_302600_NS6detail15normal_iteratorINSB_10device_ptrIjEEEENSD_INSE_IS6_EEEESI_S6_NSB_4plusIvEENSB_8equal_toIvEES6_EE10hipError_tPvRmT2_T3_T4_T5_mT6_T7_P12ihipStream_tbENKUlT_T0_E_clISt17integral_constantIbLb0EES13_EEDaSY_SZ_EUlSY_E_NS1_11comp_targetILNS1_3genE0ELNS1_11target_archE4294967295ELNS1_3gpuE0ELNS1_3repE0EEENS1_30default_config_static_selectorELNS0_4arch9wavefront6targetE0EEEvT1_,"axG",@progbits,_ZN7rocprim17ROCPRIM_400000_NS6detail17trampoline_kernelINS0_14default_configENS1_27scan_by_key_config_selectorIj11FixedVectorIiLj2EEEEZZNS1_16scan_by_key_implILNS1_25lookback_scan_determinismE0ELb1ES3_N6thrust23THRUST_200600_302600_NS6detail15normal_iteratorINSB_10device_ptrIjEEEENSD_INSE_IS6_EEEESI_S6_NSB_4plusIvEENSB_8equal_toIvEES6_EE10hipError_tPvRmT2_T3_T4_T5_mT6_T7_P12ihipStream_tbENKUlT_T0_E_clISt17integral_constantIbLb0EES13_EEDaSY_SZ_EUlSY_E_NS1_11comp_targetILNS1_3genE0ELNS1_11target_archE4294967295ELNS1_3gpuE0ELNS1_3repE0EEENS1_30default_config_static_selectorELNS0_4arch9wavefront6targetE0EEEvT1_,comdat
	.protected	_ZN7rocprim17ROCPRIM_400000_NS6detail17trampoline_kernelINS0_14default_configENS1_27scan_by_key_config_selectorIj11FixedVectorIiLj2EEEEZZNS1_16scan_by_key_implILNS1_25lookback_scan_determinismE0ELb1ES3_N6thrust23THRUST_200600_302600_NS6detail15normal_iteratorINSB_10device_ptrIjEEEENSD_INSE_IS6_EEEESI_S6_NSB_4plusIvEENSB_8equal_toIvEES6_EE10hipError_tPvRmT2_T3_T4_T5_mT6_T7_P12ihipStream_tbENKUlT_T0_E_clISt17integral_constantIbLb0EES13_EEDaSY_SZ_EUlSY_E_NS1_11comp_targetILNS1_3genE0ELNS1_11target_archE4294967295ELNS1_3gpuE0ELNS1_3repE0EEENS1_30default_config_static_selectorELNS0_4arch9wavefront6targetE0EEEvT1_ ; -- Begin function _ZN7rocprim17ROCPRIM_400000_NS6detail17trampoline_kernelINS0_14default_configENS1_27scan_by_key_config_selectorIj11FixedVectorIiLj2EEEEZZNS1_16scan_by_key_implILNS1_25lookback_scan_determinismE0ELb1ES3_N6thrust23THRUST_200600_302600_NS6detail15normal_iteratorINSB_10device_ptrIjEEEENSD_INSE_IS6_EEEESI_S6_NSB_4plusIvEENSB_8equal_toIvEES6_EE10hipError_tPvRmT2_T3_T4_T5_mT6_T7_P12ihipStream_tbENKUlT_T0_E_clISt17integral_constantIbLb0EES13_EEDaSY_SZ_EUlSY_E_NS1_11comp_targetILNS1_3genE0ELNS1_11target_archE4294967295ELNS1_3gpuE0ELNS1_3repE0EEENS1_30default_config_static_selectorELNS0_4arch9wavefront6targetE0EEEvT1_
	.globl	_ZN7rocprim17ROCPRIM_400000_NS6detail17trampoline_kernelINS0_14default_configENS1_27scan_by_key_config_selectorIj11FixedVectorIiLj2EEEEZZNS1_16scan_by_key_implILNS1_25lookback_scan_determinismE0ELb1ES3_N6thrust23THRUST_200600_302600_NS6detail15normal_iteratorINSB_10device_ptrIjEEEENSD_INSE_IS6_EEEESI_S6_NSB_4plusIvEENSB_8equal_toIvEES6_EE10hipError_tPvRmT2_T3_T4_T5_mT6_T7_P12ihipStream_tbENKUlT_T0_E_clISt17integral_constantIbLb0EES13_EEDaSY_SZ_EUlSY_E_NS1_11comp_targetILNS1_3genE0ELNS1_11target_archE4294967295ELNS1_3gpuE0ELNS1_3repE0EEENS1_30default_config_static_selectorELNS0_4arch9wavefront6targetE0EEEvT1_
	.p2align	8
	.type	_ZN7rocprim17ROCPRIM_400000_NS6detail17trampoline_kernelINS0_14default_configENS1_27scan_by_key_config_selectorIj11FixedVectorIiLj2EEEEZZNS1_16scan_by_key_implILNS1_25lookback_scan_determinismE0ELb1ES3_N6thrust23THRUST_200600_302600_NS6detail15normal_iteratorINSB_10device_ptrIjEEEENSD_INSE_IS6_EEEESI_S6_NSB_4plusIvEENSB_8equal_toIvEES6_EE10hipError_tPvRmT2_T3_T4_T5_mT6_T7_P12ihipStream_tbENKUlT_T0_E_clISt17integral_constantIbLb0EES13_EEDaSY_SZ_EUlSY_E_NS1_11comp_targetILNS1_3genE0ELNS1_11target_archE4294967295ELNS1_3gpuE0ELNS1_3repE0EEENS1_30default_config_static_selectorELNS0_4arch9wavefront6targetE0EEEvT1_,@function
_ZN7rocprim17ROCPRIM_400000_NS6detail17trampoline_kernelINS0_14default_configENS1_27scan_by_key_config_selectorIj11FixedVectorIiLj2EEEEZZNS1_16scan_by_key_implILNS1_25lookback_scan_determinismE0ELb1ES3_N6thrust23THRUST_200600_302600_NS6detail15normal_iteratorINSB_10device_ptrIjEEEENSD_INSE_IS6_EEEESI_S6_NSB_4plusIvEENSB_8equal_toIvEES6_EE10hipError_tPvRmT2_T3_T4_T5_mT6_T7_P12ihipStream_tbENKUlT_T0_E_clISt17integral_constantIbLb0EES13_EEDaSY_SZ_EUlSY_E_NS1_11comp_targetILNS1_3genE0ELNS1_11target_archE4294967295ELNS1_3gpuE0ELNS1_3repE0EEENS1_30default_config_static_selectorELNS0_4arch9wavefront6targetE0EEEvT1_: ; @_ZN7rocprim17ROCPRIM_400000_NS6detail17trampoline_kernelINS0_14default_configENS1_27scan_by_key_config_selectorIj11FixedVectorIiLj2EEEEZZNS1_16scan_by_key_implILNS1_25lookback_scan_determinismE0ELb1ES3_N6thrust23THRUST_200600_302600_NS6detail15normal_iteratorINSB_10device_ptrIjEEEENSD_INSE_IS6_EEEESI_S6_NSB_4plusIvEENSB_8equal_toIvEES6_EE10hipError_tPvRmT2_T3_T4_T5_mT6_T7_P12ihipStream_tbENKUlT_T0_E_clISt17integral_constantIbLb0EES13_EEDaSY_SZ_EUlSY_E_NS1_11comp_targetILNS1_3genE0ELNS1_11target_archE4294967295ELNS1_3gpuE0ELNS1_3repE0EEENS1_30default_config_static_selectorELNS0_4arch9wavefront6targetE0EEEvT1_
; %bb.0:
	.section	.rodata,"a",@progbits
	.p2align	6, 0x0
	.amdhsa_kernel _ZN7rocprim17ROCPRIM_400000_NS6detail17trampoline_kernelINS0_14default_configENS1_27scan_by_key_config_selectorIj11FixedVectorIiLj2EEEEZZNS1_16scan_by_key_implILNS1_25lookback_scan_determinismE0ELb1ES3_N6thrust23THRUST_200600_302600_NS6detail15normal_iteratorINSB_10device_ptrIjEEEENSD_INSE_IS6_EEEESI_S6_NSB_4plusIvEENSB_8equal_toIvEES6_EE10hipError_tPvRmT2_T3_T4_T5_mT6_T7_P12ihipStream_tbENKUlT_T0_E_clISt17integral_constantIbLb0EES13_EEDaSY_SZ_EUlSY_E_NS1_11comp_targetILNS1_3genE0ELNS1_11target_archE4294967295ELNS1_3gpuE0ELNS1_3repE0EEENS1_30default_config_static_selectorELNS0_4arch9wavefront6targetE0EEEvT1_
		.amdhsa_group_segment_fixed_size 0
		.amdhsa_private_segment_fixed_size 0
		.amdhsa_kernarg_size 120
		.amdhsa_user_sgpr_count 6
		.amdhsa_user_sgpr_private_segment_buffer 1
		.amdhsa_user_sgpr_dispatch_ptr 0
		.amdhsa_user_sgpr_queue_ptr 0
		.amdhsa_user_sgpr_kernarg_segment_ptr 1
		.amdhsa_user_sgpr_dispatch_id 0
		.amdhsa_user_sgpr_flat_scratch_init 0
		.amdhsa_user_sgpr_private_segment_size 0
		.amdhsa_wavefront_size32 1
		.amdhsa_uses_dynamic_stack 0
		.amdhsa_system_sgpr_private_segment_wavefront_offset 0
		.amdhsa_system_sgpr_workgroup_id_x 1
		.amdhsa_system_sgpr_workgroup_id_y 0
		.amdhsa_system_sgpr_workgroup_id_z 0
		.amdhsa_system_sgpr_workgroup_info 0
		.amdhsa_system_vgpr_workitem_id 0
		.amdhsa_next_free_vgpr 1
		.amdhsa_next_free_sgpr 1
		.amdhsa_reserve_vcc 0
		.amdhsa_reserve_flat_scratch 0
		.amdhsa_float_round_mode_32 0
		.amdhsa_float_round_mode_16_64 0
		.amdhsa_float_denorm_mode_32 3
		.amdhsa_float_denorm_mode_16_64 3
		.amdhsa_dx10_clamp 1
		.amdhsa_ieee_mode 1
		.amdhsa_fp16_overflow 0
		.amdhsa_workgroup_processor_mode 1
		.amdhsa_memory_ordered 1
		.amdhsa_forward_progress 1
		.amdhsa_shared_vgpr_count 0
		.amdhsa_exception_fp_ieee_invalid_op 0
		.amdhsa_exception_fp_denorm_src 0
		.amdhsa_exception_fp_ieee_div_zero 0
		.amdhsa_exception_fp_ieee_overflow 0
		.amdhsa_exception_fp_ieee_underflow 0
		.amdhsa_exception_fp_ieee_inexact 0
		.amdhsa_exception_int_div_zero 0
	.end_amdhsa_kernel
	.section	.text._ZN7rocprim17ROCPRIM_400000_NS6detail17trampoline_kernelINS0_14default_configENS1_27scan_by_key_config_selectorIj11FixedVectorIiLj2EEEEZZNS1_16scan_by_key_implILNS1_25lookback_scan_determinismE0ELb1ES3_N6thrust23THRUST_200600_302600_NS6detail15normal_iteratorINSB_10device_ptrIjEEEENSD_INSE_IS6_EEEESI_S6_NSB_4plusIvEENSB_8equal_toIvEES6_EE10hipError_tPvRmT2_T3_T4_T5_mT6_T7_P12ihipStream_tbENKUlT_T0_E_clISt17integral_constantIbLb0EES13_EEDaSY_SZ_EUlSY_E_NS1_11comp_targetILNS1_3genE0ELNS1_11target_archE4294967295ELNS1_3gpuE0ELNS1_3repE0EEENS1_30default_config_static_selectorELNS0_4arch9wavefront6targetE0EEEvT1_,"axG",@progbits,_ZN7rocprim17ROCPRIM_400000_NS6detail17trampoline_kernelINS0_14default_configENS1_27scan_by_key_config_selectorIj11FixedVectorIiLj2EEEEZZNS1_16scan_by_key_implILNS1_25lookback_scan_determinismE0ELb1ES3_N6thrust23THRUST_200600_302600_NS6detail15normal_iteratorINSB_10device_ptrIjEEEENSD_INSE_IS6_EEEESI_S6_NSB_4plusIvEENSB_8equal_toIvEES6_EE10hipError_tPvRmT2_T3_T4_T5_mT6_T7_P12ihipStream_tbENKUlT_T0_E_clISt17integral_constantIbLb0EES13_EEDaSY_SZ_EUlSY_E_NS1_11comp_targetILNS1_3genE0ELNS1_11target_archE4294967295ELNS1_3gpuE0ELNS1_3repE0EEENS1_30default_config_static_selectorELNS0_4arch9wavefront6targetE0EEEvT1_,comdat
.Lfunc_end1993:
	.size	_ZN7rocprim17ROCPRIM_400000_NS6detail17trampoline_kernelINS0_14default_configENS1_27scan_by_key_config_selectorIj11FixedVectorIiLj2EEEEZZNS1_16scan_by_key_implILNS1_25lookback_scan_determinismE0ELb1ES3_N6thrust23THRUST_200600_302600_NS6detail15normal_iteratorINSB_10device_ptrIjEEEENSD_INSE_IS6_EEEESI_S6_NSB_4plusIvEENSB_8equal_toIvEES6_EE10hipError_tPvRmT2_T3_T4_T5_mT6_T7_P12ihipStream_tbENKUlT_T0_E_clISt17integral_constantIbLb0EES13_EEDaSY_SZ_EUlSY_E_NS1_11comp_targetILNS1_3genE0ELNS1_11target_archE4294967295ELNS1_3gpuE0ELNS1_3repE0EEENS1_30default_config_static_selectorELNS0_4arch9wavefront6targetE0EEEvT1_, .Lfunc_end1993-_ZN7rocprim17ROCPRIM_400000_NS6detail17trampoline_kernelINS0_14default_configENS1_27scan_by_key_config_selectorIj11FixedVectorIiLj2EEEEZZNS1_16scan_by_key_implILNS1_25lookback_scan_determinismE0ELb1ES3_N6thrust23THRUST_200600_302600_NS6detail15normal_iteratorINSB_10device_ptrIjEEEENSD_INSE_IS6_EEEESI_S6_NSB_4plusIvEENSB_8equal_toIvEES6_EE10hipError_tPvRmT2_T3_T4_T5_mT6_T7_P12ihipStream_tbENKUlT_T0_E_clISt17integral_constantIbLb0EES13_EEDaSY_SZ_EUlSY_E_NS1_11comp_targetILNS1_3genE0ELNS1_11target_archE4294967295ELNS1_3gpuE0ELNS1_3repE0EEENS1_30default_config_static_selectorELNS0_4arch9wavefront6targetE0EEEvT1_
                                        ; -- End function
	.set _ZN7rocprim17ROCPRIM_400000_NS6detail17trampoline_kernelINS0_14default_configENS1_27scan_by_key_config_selectorIj11FixedVectorIiLj2EEEEZZNS1_16scan_by_key_implILNS1_25lookback_scan_determinismE0ELb1ES3_N6thrust23THRUST_200600_302600_NS6detail15normal_iteratorINSB_10device_ptrIjEEEENSD_INSE_IS6_EEEESI_S6_NSB_4plusIvEENSB_8equal_toIvEES6_EE10hipError_tPvRmT2_T3_T4_T5_mT6_T7_P12ihipStream_tbENKUlT_T0_E_clISt17integral_constantIbLb0EES13_EEDaSY_SZ_EUlSY_E_NS1_11comp_targetILNS1_3genE0ELNS1_11target_archE4294967295ELNS1_3gpuE0ELNS1_3repE0EEENS1_30default_config_static_selectorELNS0_4arch9wavefront6targetE0EEEvT1_.num_vgpr, 0
	.set _ZN7rocprim17ROCPRIM_400000_NS6detail17trampoline_kernelINS0_14default_configENS1_27scan_by_key_config_selectorIj11FixedVectorIiLj2EEEEZZNS1_16scan_by_key_implILNS1_25lookback_scan_determinismE0ELb1ES3_N6thrust23THRUST_200600_302600_NS6detail15normal_iteratorINSB_10device_ptrIjEEEENSD_INSE_IS6_EEEESI_S6_NSB_4plusIvEENSB_8equal_toIvEES6_EE10hipError_tPvRmT2_T3_T4_T5_mT6_T7_P12ihipStream_tbENKUlT_T0_E_clISt17integral_constantIbLb0EES13_EEDaSY_SZ_EUlSY_E_NS1_11comp_targetILNS1_3genE0ELNS1_11target_archE4294967295ELNS1_3gpuE0ELNS1_3repE0EEENS1_30default_config_static_selectorELNS0_4arch9wavefront6targetE0EEEvT1_.num_agpr, 0
	.set _ZN7rocprim17ROCPRIM_400000_NS6detail17trampoline_kernelINS0_14default_configENS1_27scan_by_key_config_selectorIj11FixedVectorIiLj2EEEEZZNS1_16scan_by_key_implILNS1_25lookback_scan_determinismE0ELb1ES3_N6thrust23THRUST_200600_302600_NS6detail15normal_iteratorINSB_10device_ptrIjEEEENSD_INSE_IS6_EEEESI_S6_NSB_4plusIvEENSB_8equal_toIvEES6_EE10hipError_tPvRmT2_T3_T4_T5_mT6_T7_P12ihipStream_tbENKUlT_T0_E_clISt17integral_constantIbLb0EES13_EEDaSY_SZ_EUlSY_E_NS1_11comp_targetILNS1_3genE0ELNS1_11target_archE4294967295ELNS1_3gpuE0ELNS1_3repE0EEENS1_30default_config_static_selectorELNS0_4arch9wavefront6targetE0EEEvT1_.numbered_sgpr, 0
	.set _ZN7rocprim17ROCPRIM_400000_NS6detail17trampoline_kernelINS0_14default_configENS1_27scan_by_key_config_selectorIj11FixedVectorIiLj2EEEEZZNS1_16scan_by_key_implILNS1_25lookback_scan_determinismE0ELb1ES3_N6thrust23THRUST_200600_302600_NS6detail15normal_iteratorINSB_10device_ptrIjEEEENSD_INSE_IS6_EEEESI_S6_NSB_4plusIvEENSB_8equal_toIvEES6_EE10hipError_tPvRmT2_T3_T4_T5_mT6_T7_P12ihipStream_tbENKUlT_T0_E_clISt17integral_constantIbLb0EES13_EEDaSY_SZ_EUlSY_E_NS1_11comp_targetILNS1_3genE0ELNS1_11target_archE4294967295ELNS1_3gpuE0ELNS1_3repE0EEENS1_30default_config_static_selectorELNS0_4arch9wavefront6targetE0EEEvT1_.num_named_barrier, 0
	.set _ZN7rocprim17ROCPRIM_400000_NS6detail17trampoline_kernelINS0_14default_configENS1_27scan_by_key_config_selectorIj11FixedVectorIiLj2EEEEZZNS1_16scan_by_key_implILNS1_25lookback_scan_determinismE0ELb1ES3_N6thrust23THRUST_200600_302600_NS6detail15normal_iteratorINSB_10device_ptrIjEEEENSD_INSE_IS6_EEEESI_S6_NSB_4plusIvEENSB_8equal_toIvEES6_EE10hipError_tPvRmT2_T3_T4_T5_mT6_T7_P12ihipStream_tbENKUlT_T0_E_clISt17integral_constantIbLb0EES13_EEDaSY_SZ_EUlSY_E_NS1_11comp_targetILNS1_3genE0ELNS1_11target_archE4294967295ELNS1_3gpuE0ELNS1_3repE0EEENS1_30default_config_static_selectorELNS0_4arch9wavefront6targetE0EEEvT1_.private_seg_size, 0
	.set _ZN7rocprim17ROCPRIM_400000_NS6detail17trampoline_kernelINS0_14default_configENS1_27scan_by_key_config_selectorIj11FixedVectorIiLj2EEEEZZNS1_16scan_by_key_implILNS1_25lookback_scan_determinismE0ELb1ES3_N6thrust23THRUST_200600_302600_NS6detail15normal_iteratorINSB_10device_ptrIjEEEENSD_INSE_IS6_EEEESI_S6_NSB_4plusIvEENSB_8equal_toIvEES6_EE10hipError_tPvRmT2_T3_T4_T5_mT6_T7_P12ihipStream_tbENKUlT_T0_E_clISt17integral_constantIbLb0EES13_EEDaSY_SZ_EUlSY_E_NS1_11comp_targetILNS1_3genE0ELNS1_11target_archE4294967295ELNS1_3gpuE0ELNS1_3repE0EEENS1_30default_config_static_selectorELNS0_4arch9wavefront6targetE0EEEvT1_.uses_vcc, 0
	.set _ZN7rocprim17ROCPRIM_400000_NS6detail17trampoline_kernelINS0_14default_configENS1_27scan_by_key_config_selectorIj11FixedVectorIiLj2EEEEZZNS1_16scan_by_key_implILNS1_25lookback_scan_determinismE0ELb1ES3_N6thrust23THRUST_200600_302600_NS6detail15normal_iteratorINSB_10device_ptrIjEEEENSD_INSE_IS6_EEEESI_S6_NSB_4plusIvEENSB_8equal_toIvEES6_EE10hipError_tPvRmT2_T3_T4_T5_mT6_T7_P12ihipStream_tbENKUlT_T0_E_clISt17integral_constantIbLb0EES13_EEDaSY_SZ_EUlSY_E_NS1_11comp_targetILNS1_3genE0ELNS1_11target_archE4294967295ELNS1_3gpuE0ELNS1_3repE0EEENS1_30default_config_static_selectorELNS0_4arch9wavefront6targetE0EEEvT1_.uses_flat_scratch, 0
	.set _ZN7rocprim17ROCPRIM_400000_NS6detail17trampoline_kernelINS0_14default_configENS1_27scan_by_key_config_selectorIj11FixedVectorIiLj2EEEEZZNS1_16scan_by_key_implILNS1_25lookback_scan_determinismE0ELb1ES3_N6thrust23THRUST_200600_302600_NS6detail15normal_iteratorINSB_10device_ptrIjEEEENSD_INSE_IS6_EEEESI_S6_NSB_4plusIvEENSB_8equal_toIvEES6_EE10hipError_tPvRmT2_T3_T4_T5_mT6_T7_P12ihipStream_tbENKUlT_T0_E_clISt17integral_constantIbLb0EES13_EEDaSY_SZ_EUlSY_E_NS1_11comp_targetILNS1_3genE0ELNS1_11target_archE4294967295ELNS1_3gpuE0ELNS1_3repE0EEENS1_30default_config_static_selectorELNS0_4arch9wavefront6targetE0EEEvT1_.has_dyn_sized_stack, 0
	.set _ZN7rocprim17ROCPRIM_400000_NS6detail17trampoline_kernelINS0_14default_configENS1_27scan_by_key_config_selectorIj11FixedVectorIiLj2EEEEZZNS1_16scan_by_key_implILNS1_25lookback_scan_determinismE0ELb1ES3_N6thrust23THRUST_200600_302600_NS6detail15normal_iteratorINSB_10device_ptrIjEEEENSD_INSE_IS6_EEEESI_S6_NSB_4plusIvEENSB_8equal_toIvEES6_EE10hipError_tPvRmT2_T3_T4_T5_mT6_T7_P12ihipStream_tbENKUlT_T0_E_clISt17integral_constantIbLb0EES13_EEDaSY_SZ_EUlSY_E_NS1_11comp_targetILNS1_3genE0ELNS1_11target_archE4294967295ELNS1_3gpuE0ELNS1_3repE0EEENS1_30default_config_static_selectorELNS0_4arch9wavefront6targetE0EEEvT1_.has_recursion, 0
	.set _ZN7rocprim17ROCPRIM_400000_NS6detail17trampoline_kernelINS0_14default_configENS1_27scan_by_key_config_selectorIj11FixedVectorIiLj2EEEEZZNS1_16scan_by_key_implILNS1_25lookback_scan_determinismE0ELb1ES3_N6thrust23THRUST_200600_302600_NS6detail15normal_iteratorINSB_10device_ptrIjEEEENSD_INSE_IS6_EEEESI_S6_NSB_4plusIvEENSB_8equal_toIvEES6_EE10hipError_tPvRmT2_T3_T4_T5_mT6_T7_P12ihipStream_tbENKUlT_T0_E_clISt17integral_constantIbLb0EES13_EEDaSY_SZ_EUlSY_E_NS1_11comp_targetILNS1_3genE0ELNS1_11target_archE4294967295ELNS1_3gpuE0ELNS1_3repE0EEENS1_30default_config_static_selectorELNS0_4arch9wavefront6targetE0EEEvT1_.has_indirect_call, 0
	.section	.AMDGPU.csdata,"",@progbits
; Kernel info:
; codeLenInByte = 0
; TotalNumSgprs: 0
; NumVgprs: 0
; ScratchSize: 0
; MemoryBound: 0
; FloatMode: 240
; IeeeMode: 1
; LDSByteSize: 0 bytes/workgroup (compile time only)
; SGPRBlocks: 0
; VGPRBlocks: 0
; NumSGPRsForWavesPerEU: 1
; NumVGPRsForWavesPerEU: 1
; Occupancy: 16
; WaveLimiterHint : 0
; COMPUTE_PGM_RSRC2:SCRATCH_EN: 0
; COMPUTE_PGM_RSRC2:USER_SGPR: 6
; COMPUTE_PGM_RSRC2:TRAP_HANDLER: 0
; COMPUTE_PGM_RSRC2:TGID_X_EN: 1
; COMPUTE_PGM_RSRC2:TGID_Y_EN: 0
; COMPUTE_PGM_RSRC2:TGID_Z_EN: 0
; COMPUTE_PGM_RSRC2:TIDIG_COMP_CNT: 0
	.section	.text._ZN7rocprim17ROCPRIM_400000_NS6detail17trampoline_kernelINS0_14default_configENS1_27scan_by_key_config_selectorIj11FixedVectorIiLj2EEEEZZNS1_16scan_by_key_implILNS1_25lookback_scan_determinismE0ELb1ES3_N6thrust23THRUST_200600_302600_NS6detail15normal_iteratorINSB_10device_ptrIjEEEENSD_INSE_IS6_EEEESI_S6_NSB_4plusIvEENSB_8equal_toIvEES6_EE10hipError_tPvRmT2_T3_T4_T5_mT6_T7_P12ihipStream_tbENKUlT_T0_E_clISt17integral_constantIbLb0EES13_EEDaSY_SZ_EUlSY_E_NS1_11comp_targetILNS1_3genE10ELNS1_11target_archE1201ELNS1_3gpuE5ELNS1_3repE0EEENS1_30default_config_static_selectorELNS0_4arch9wavefront6targetE0EEEvT1_,"axG",@progbits,_ZN7rocprim17ROCPRIM_400000_NS6detail17trampoline_kernelINS0_14default_configENS1_27scan_by_key_config_selectorIj11FixedVectorIiLj2EEEEZZNS1_16scan_by_key_implILNS1_25lookback_scan_determinismE0ELb1ES3_N6thrust23THRUST_200600_302600_NS6detail15normal_iteratorINSB_10device_ptrIjEEEENSD_INSE_IS6_EEEESI_S6_NSB_4plusIvEENSB_8equal_toIvEES6_EE10hipError_tPvRmT2_T3_T4_T5_mT6_T7_P12ihipStream_tbENKUlT_T0_E_clISt17integral_constantIbLb0EES13_EEDaSY_SZ_EUlSY_E_NS1_11comp_targetILNS1_3genE10ELNS1_11target_archE1201ELNS1_3gpuE5ELNS1_3repE0EEENS1_30default_config_static_selectorELNS0_4arch9wavefront6targetE0EEEvT1_,comdat
	.protected	_ZN7rocprim17ROCPRIM_400000_NS6detail17trampoline_kernelINS0_14default_configENS1_27scan_by_key_config_selectorIj11FixedVectorIiLj2EEEEZZNS1_16scan_by_key_implILNS1_25lookback_scan_determinismE0ELb1ES3_N6thrust23THRUST_200600_302600_NS6detail15normal_iteratorINSB_10device_ptrIjEEEENSD_INSE_IS6_EEEESI_S6_NSB_4plusIvEENSB_8equal_toIvEES6_EE10hipError_tPvRmT2_T3_T4_T5_mT6_T7_P12ihipStream_tbENKUlT_T0_E_clISt17integral_constantIbLb0EES13_EEDaSY_SZ_EUlSY_E_NS1_11comp_targetILNS1_3genE10ELNS1_11target_archE1201ELNS1_3gpuE5ELNS1_3repE0EEENS1_30default_config_static_selectorELNS0_4arch9wavefront6targetE0EEEvT1_ ; -- Begin function _ZN7rocprim17ROCPRIM_400000_NS6detail17trampoline_kernelINS0_14default_configENS1_27scan_by_key_config_selectorIj11FixedVectorIiLj2EEEEZZNS1_16scan_by_key_implILNS1_25lookback_scan_determinismE0ELb1ES3_N6thrust23THRUST_200600_302600_NS6detail15normal_iteratorINSB_10device_ptrIjEEEENSD_INSE_IS6_EEEESI_S6_NSB_4plusIvEENSB_8equal_toIvEES6_EE10hipError_tPvRmT2_T3_T4_T5_mT6_T7_P12ihipStream_tbENKUlT_T0_E_clISt17integral_constantIbLb0EES13_EEDaSY_SZ_EUlSY_E_NS1_11comp_targetILNS1_3genE10ELNS1_11target_archE1201ELNS1_3gpuE5ELNS1_3repE0EEENS1_30default_config_static_selectorELNS0_4arch9wavefront6targetE0EEEvT1_
	.globl	_ZN7rocprim17ROCPRIM_400000_NS6detail17trampoline_kernelINS0_14default_configENS1_27scan_by_key_config_selectorIj11FixedVectorIiLj2EEEEZZNS1_16scan_by_key_implILNS1_25lookback_scan_determinismE0ELb1ES3_N6thrust23THRUST_200600_302600_NS6detail15normal_iteratorINSB_10device_ptrIjEEEENSD_INSE_IS6_EEEESI_S6_NSB_4plusIvEENSB_8equal_toIvEES6_EE10hipError_tPvRmT2_T3_T4_T5_mT6_T7_P12ihipStream_tbENKUlT_T0_E_clISt17integral_constantIbLb0EES13_EEDaSY_SZ_EUlSY_E_NS1_11comp_targetILNS1_3genE10ELNS1_11target_archE1201ELNS1_3gpuE5ELNS1_3repE0EEENS1_30default_config_static_selectorELNS0_4arch9wavefront6targetE0EEEvT1_
	.p2align	8
	.type	_ZN7rocprim17ROCPRIM_400000_NS6detail17trampoline_kernelINS0_14default_configENS1_27scan_by_key_config_selectorIj11FixedVectorIiLj2EEEEZZNS1_16scan_by_key_implILNS1_25lookback_scan_determinismE0ELb1ES3_N6thrust23THRUST_200600_302600_NS6detail15normal_iteratorINSB_10device_ptrIjEEEENSD_INSE_IS6_EEEESI_S6_NSB_4plusIvEENSB_8equal_toIvEES6_EE10hipError_tPvRmT2_T3_T4_T5_mT6_T7_P12ihipStream_tbENKUlT_T0_E_clISt17integral_constantIbLb0EES13_EEDaSY_SZ_EUlSY_E_NS1_11comp_targetILNS1_3genE10ELNS1_11target_archE1201ELNS1_3gpuE5ELNS1_3repE0EEENS1_30default_config_static_selectorELNS0_4arch9wavefront6targetE0EEEvT1_,@function
_ZN7rocprim17ROCPRIM_400000_NS6detail17trampoline_kernelINS0_14default_configENS1_27scan_by_key_config_selectorIj11FixedVectorIiLj2EEEEZZNS1_16scan_by_key_implILNS1_25lookback_scan_determinismE0ELb1ES3_N6thrust23THRUST_200600_302600_NS6detail15normal_iteratorINSB_10device_ptrIjEEEENSD_INSE_IS6_EEEESI_S6_NSB_4plusIvEENSB_8equal_toIvEES6_EE10hipError_tPvRmT2_T3_T4_T5_mT6_T7_P12ihipStream_tbENKUlT_T0_E_clISt17integral_constantIbLb0EES13_EEDaSY_SZ_EUlSY_E_NS1_11comp_targetILNS1_3genE10ELNS1_11target_archE1201ELNS1_3gpuE5ELNS1_3repE0EEENS1_30default_config_static_selectorELNS0_4arch9wavefront6targetE0EEEvT1_: ; @_ZN7rocprim17ROCPRIM_400000_NS6detail17trampoline_kernelINS0_14default_configENS1_27scan_by_key_config_selectorIj11FixedVectorIiLj2EEEEZZNS1_16scan_by_key_implILNS1_25lookback_scan_determinismE0ELb1ES3_N6thrust23THRUST_200600_302600_NS6detail15normal_iteratorINSB_10device_ptrIjEEEENSD_INSE_IS6_EEEESI_S6_NSB_4plusIvEENSB_8equal_toIvEES6_EE10hipError_tPvRmT2_T3_T4_T5_mT6_T7_P12ihipStream_tbENKUlT_T0_E_clISt17integral_constantIbLb0EES13_EEDaSY_SZ_EUlSY_E_NS1_11comp_targetILNS1_3genE10ELNS1_11target_archE1201ELNS1_3gpuE5ELNS1_3repE0EEENS1_30default_config_static_selectorELNS0_4arch9wavefront6targetE0EEEvT1_
; %bb.0:
	.section	.rodata,"a",@progbits
	.p2align	6, 0x0
	.amdhsa_kernel _ZN7rocprim17ROCPRIM_400000_NS6detail17trampoline_kernelINS0_14default_configENS1_27scan_by_key_config_selectorIj11FixedVectorIiLj2EEEEZZNS1_16scan_by_key_implILNS1_25lookback_scan_determinismE0ELb1ES3_N6thrust23THRUST_200600_302600_NS6detail15normal_iteratorINSB_10device_ptrIjEEEENSD_INSE_IS6_EEEESI_S6_NSB_4plusIvEENSB_8equal_toIvEES6_EE10hipError_tPvRmT2_T3_T4_T5_mT6_T7_P12ihipStream_tbENKUlT_T0_E_clISt17integral_constantIbLb0EES13_EEDaSY_SZ_EUlSY_E_NS1_11comp_targetILNS1_3genE10ELNS1_11target_archE1201ELNS1_3gpuE5ELNS1_3repE0EEENS1_30default_config_static_selectorELNS0_4arch9wavefront6targetE0EEEvT1_
		.amdhsa_group_segment_fixed_size 0
		.amdhsa_private_segment_fixed_size 0
		.amdhsa_kernarg_size 120
		.amdhsa_user_sgpr_count 6
		.amdhsa_user_sgpr_private_segment_buffer 1
		.amdhsa_user_sgpr_dispatch_ptr 0
		.amdhsa_user_sgpr_queue_ptr 0
		.amdhsa_user_sgpr_kernarg_segment_ptr 1
		.amdhsa_user_sgpr_dispatch_id 0
		.amdhsa_user_sgpr_flat_scratch_init 0
		.amdhsa_user_sgpr_private_segment_size 0
		.amdhsa_wavefront_size32 1
		.amdhsa_uses_dynamic_stack 0
		.amdhsa_system_sgpr_private_segment_wavefront_offset 0
		.amdhsa_system_sgpr_workgroup_id_x 1
		.amdhsa_system_sgpr_workgroup_id_y 0
		.amdhsa_system_sgpr_workgroup_id_z 0
		.amdhsa_system_sgpr_workgroup_info 0
		.amdhsa_system_vgpr_workitem_id 0
		.amdhsa_next_free_vgpr 1
		.amdhsa_next_free_sgpr 1
		.amdhsa_reserve_vcc 0
		.amdhsa_reserve_flat_scratch 0
		.amdhsa_float_round_mode_32 0
		.amdhsa_float_round_mode_16_64 0
		.amdhsa_float_denorm_mode_32 3
		.amdhsa_float_denorm_mode_16_64 3
		.amdhsa_dx10_clamp 1
		.amdhsa_ieee_mode 1
		.amdhsa_fp16_overflow 0
		.amdhsa_workgroup_processor_mode 1
		.amdhsa_memory_ordered 1
		.amdhsa_forward_progress 1
		.amdhsa_shared_vgpr_count 0
		.amdhsa_exception_fp_ieee_invalid_op 0
		.amdhsa_exception_fp_denorm_src 0
		.amdhsa_exception_fp_ieee_div_zero 0
		.amdhsa_exception_fp_ieee_overflow 0
		.amdhsa_exception_fp_ieee_underflow 0
		.amdhsa_exception_fp_ieee_inexact 0
		.amdhsa_exception_int_div_zero 0
	.end_amdhsa_kernel
	.section	.text._ZN7rocprim17ROCPRIM_400000_NS6detail17trampoline_kernelINS0_14default_configENS1_27scan_by_key_config_selectorIj11FixedVectorIiLj2EEEEZZNS1_16scan_by_key_implILNS1_25lookback_scan_determinismE0ELb1ES3_N6thrust23THRUST_200600_302600_NS6detail15normal_iteratorINSB_10device_ptrIjEEEENSD_INSE_IS6_EEEESI_S6_NSB_4plusIvEENSB_8equal_toIvEES6_EE10hipError_tPvRmT2_T3_T4_T5_mT6_T7_P12ihipStream_tbENKUlT_T0_E_clISt17integral_constantIbLb0EES13_EEDaSY_SZ_EUlSY_E_NS1_11comp_targetILNS1_3genE10ELNS1_11target_archE1201ELNS1_3gpuE5ELNS1_3repE0EEENS1_30default_config_static_selectorELNS0_4arch9wavefront6targetE0EEEvT1_,"axG",@progbits,_ZN7rocprim17ROCPRIM_400000_NS6detail17trampoline_kernelINS0_14default_configENS1_27scan_by_key_config_selectorIj11FixedVectorIiLj2EEEEZZNS1_16scan_by_key_implILNS1_25lookback_scan_determinismE0ELb1ES3_N6thrust23THRUST_200600_302600_NS6detail15normal_iteratorINSB_10device_ptrIjEEEENSD_INSE_IS6_EEEESI_S6_NSB_4plusIvEENSB_8equal_toIvEES6_EE10hipError_tPvRmT2_T3_T4_T5_mT6_T7_P12ihipStream_tbENKUlT_T0_E_clISt17integral_constantIbLb0EES13_EEDaSY_SZ_EUlSY_E_NS1_11comp_targetILNS1_3genE10ELNS1_11target_archE1201ELNS1_3gpuE5ELNS1_3repE0EEENS1_30default_config_static_selectorELNS0_4arch9wavefront6targetE0EEEvT1_,comdat
.Lfunc_end1994:
	.size	_ZN7rocprim17ROCPRIM_400000_NS6detail17trampoline_kernelINS0_14default_configENS1_27scan_by_key_config_selectorIj11FixedVectorIiLj2EEEEZZNS1_16scan_by_key_implILNS1_25lookback_scan_determinismE0ELb1ES3_N6thrust23THRUST_200600_302600_NS6detail15normal_iteratorINSB_10device_ptrIjEEEENSD_INSE_IS6_EEEESI_S6_NSB_4plusIvEENSB_8equal_toIvEES6_EE10hipError_tPvRmT2_T3_T4_T5_mT6_T7_P12ihipStream_tbENKUlT_T0_E_clISt17integral_constantIbLb0EES13_EEDaSY_SZ_EUlSY_E_NS1_11comp_targetILNS1_3genE10ELNS1_11target_archE1201ELNS1_3gpuE5ELNS1_3repE0EEENS1_30default_config_static_selectorELNS0_4arch9wavefront6targetE0EEEvT1_, .Lfunc_end1994-_ZN7rocprim17ROCPRIM_400000_NS6detail17trampoline_kernelINS0_14default_configENS1_27scan_by_key_config_selectorIj11FixedVectorIiLj2EEEEZZNS1_16scan_by_key_implILNS1_25lookback_scan_determinismE0ELb1ES3_N6thrust23THRUST_200600_302600_NS6detail15normal_iteratorINSB_10device_ptrIjEEEENSD_INSE_IS6_EEEESI_S6_NSB_4plusIvEENSB_8equal_toIvEES6_EE10hipError_tPvRmT2_T3_T4_T5_mT6_T7_P12ihipStream_tbENKUlT_T0_E_clISt17integral_constantIbLb0EES13_EEDaSY_SZ_EUlSY_E_NS1_11comp_targetILNS1_3genE10ELNS1_11target_archE1201ELNS1_3gpuE5ELNS1_3repE0EEENS1_30default_config_static_selectorELNS0_4arch9wavefront6targetE0EEEvT1_
                                        ; -- End function
	.set _ZN7rocprim17ROCPRIM_400000_NS6detail17trampoline_kernelINS0_14default_configENS1_27scan_by_key_config_selectorIj11FixedVectorIiLj2EEEEZZNS1_16scan_by_key_implILNS1_25lookback_scan_determinismE0ELb1ES3_N6thrust23THRUST_200600_302600_NS6detail15normal_iteratorINSB_10device_ptrIjEEEENSD_INSE_IS6_EEEESI_S6_NSB_4plusIvEENSB_8equal_toIvEES6_EE10hipError_tPvRmT2_T3_T4_T5_mT6_T7_P12ihipStream_tbENKUlT_T0_E_clISt17integral_constantIbLb0EES13_EEDaSY_SZ_EUlSY_E_NS1_11comp_targetILNS1_3genE10ELNS1_11target_archE1201ELNS1_3gpuE5ELNS1_3repE0EEENS1_30default_config_static_selectorELNS0_4arch9wavefront6targetE0EEEvT1_.num_vgpr, 0
	.set _ZN7rocprim17ROCPRIM_400000_NS6detail17trampoline_kernelINS0_14default_configENS1_27scan_by_key_config_selectorIj11FixedVectorIiLj2EEEEZZNS1_16scan_by_key_implILNS1_25lookback_scan_determinismE0ELb1ES3_N6thrust23THRUST_200600_302600_NS6detail15normal_iteratorINSB_10device_ptrIjEEEENSD_INSE_IS6_EEEESI_S6_NSB_4plusIvEENSB_8equal_toIvEES6_EE10hipError_tPvRmT2_T3_T4_T5_mT6_T7_P12ihipStream_tbENKUlT_T0_E_clISt17integral_constantIbLb0EES13_EEDaSY_SZ_EUlSY_E_NS1_11comp_targetILNS1_3genE10ELNS1_11target_archE1201ELNS1_3gpuE5ELNS1_3repE0EEENS1_30default_config_static_selectorELNS0_4arch9wavefront6targetE0EEEvT1_.num_agpr, 0
	.set _ZN7rocprim17ROCPRIM_400000_NS6detail17trampoline_kernelINS0_14default_configENS1_27scan_by_key_config_selectorIj11FixedVectorIiLj2EEEEZZNS1_16scan_by_key_implILNS1_25lookback_scan_determinismE0ELb1ES3_N6thrust23THRUST_200600_302600_NS6detail15normal_iteratorINSB_10device_ptrIjEEEENSD_INSE_IS6_EEEESI_S6_NSB_4plusIvEENSB_8equal_toIvEES6_EE10hipError_tPvRmT2_T3_T4_T5_mT6_T7_P12ihipStream_tbENKUlT_T0_E_clISt17integral_constantIbLb0EES13_EEDaSY_SZ_EUlSY_E_NS1_11comp_targetILNS1_3genE10ELNS1_11target_archE1201ELNS1_3gpuE5ELNS1_3repE0EEENS1_30default_config_static_selectorELNS0_4arch9wavefront6targetE0EEEvT1_.numbered_sgpr, 0
	.set _ZN7rocprim17ROCPRIM_400000_NS6detail17trampoline_kernelINS0_14default_configENS1_27scan_by_key_config_selectorIj11FixedVectorIiLj2EEEEZZNS1_16scan_by_key_implILNS1_25lookback_scan_determinismE0ELb1ES3_N6thrust23THRUST_200600_302600_NS6detail15normal_iteratorINSB_10device_ptrIjEEEENSD_INSE_IS6_EEEESI_S6_NSB_4plusIvEENSB_8equal_toIvEES6_EE10hipError_tPvRmT2_T3_T4_T5_mT6_T7_P12ihipStream_tbENKUlT_T0_E_clISt17integral_constantIbLb0EES13_EEDaSY_SZ_EUlSY_E_NS1_11comp_targetILNS1_3genE10ELNS1_11target_archE1201ELNS1_3gpuE5ELNS1_3repE0EEENS1_30default_config_static_selectorELNS0_4arch9wavefront6targetE0EEEvT1_.num_named_barrier, 0
	.set _ZN7rocprim17ROCPRIM_400000_NS6detail17trampoline_kernelINS0_14default_configENS1_27scan_by_key_config_selectorIj11FixedVectorIiLj2EEEEZZNS1_16scan_by_key_implILNS1_25lookback_scan_determinismE0ELb1ES3_N6thrust23THRUST_200600_302600_NS6detail15normal_iteratorINSB_10device_ptrIjEEEENSD_INSE_IS6_EEEESI_S6_NSB_4plusIvEENSB_8equal_toIvEES6_EE10hipError_tPvRmT2_T3_T4_T5_mT6_T7_P12ihipStream_tbENKUlT_T0_E_clISt17integral_constantIbLb0EES13_EEDaSY_SZ_EUlSY_E_NS1_11comp_targetILNS1_3genE10ELNS1_11target_archE1201ELNS1_3gpuE5ELNS1_3repE0EEENS1_30default_config_static_selectorELNS0_4arch9wavefront6targetE0EEEvT1_.private_seg_size, 0
	.set _ZN7rocprim17ROCPRIM_400000_NS6detail17trampoline_kernelINS0_14default_configENS1_27scan_by_key_config_selectorIj11FixedVectorIiLj2EEEEZZNS1_16scan_by_key_implILNS1_25lookback_scan_determinismE0ELb1ES3_N6thrust23THRUST_200600_302600_NS6detail15normal_iteratorINSB_10device_ptrIjEEEENSD_INSE_IS6_EEEESI_S6_NSB_4plusIvEENSB_8equal_toIvEES6_EE10hipError_tPvRmT2_T3_T4_T5_mT6_T7_P12ihipStream_tbENKUlT_T0_E_clISt17integral_constantIbLb0EES13_EEDaSY_SZ_EUlSY_E_NS1_11comp_targetILNS1_3genE10ELNS1_11target_archE1201ELNS1_3gpuE5ELNS1_3repE0EEENS1_30default_config_static_selectorELNS0_4arch9wavefront6targetE0EEEvT1_.uses_vcc, 0
	.set _ZN7rocprim17ROCPRIM_400000_NS6detail17trampoline_kernelINS0_14default_configENS1_27scan_by_key_config_selectorIj11FixedVectorIiLj2EEEEZZNS1_16scan_by_key_implILNS1_25lookback_scan_determinismE0ELb1ES3_N6thrust23THRUST_200600_302600_NS6detail15normal_iteratorINSB_10device_ptrIjEEEENSD_INSE_IS6_EEEESI_S6_NSB_4plusIvEENSB_8equal_toIvEES6_EE10hipError_tPvRmT2_T3_T4_T5_mT6_T7_P12ihipStream_tbENKUlT_T0_E_clISt17integral_constantIbLb0EES13_EEDaSY_SZ_EUlSY_E_NS1_11comp_targetILNS1_3genE10ELNS1_11target_archE1201ELNS1_3gpuE5ELNS1_3repE0EEENS1_30default_config_static_selectorELNS0_4arch9wavefront6targetE0EEEvT1_.uses_flat_scratch, 0
	.set _ZN7rocprim17ROCPRIM_400000_NS6detail17trampoline_kernelINS0_14default_configENS1_27scan_by_key_config_selectorIj11FixedVectorIiLj2EEEEZZNS1_16scan_by_key_implILNS1_25lookback_scan_determinismE0ELb1ES3_N6thrust23THRUST_200600_302600_NS6detail15normal_iteratorINSB_10device_ptrIjEEEENSD_INSE_IS6_EEEESI_S6_NSB_4plusIvEENSB_8equal_toIvEES6_EE10hipError_tPvRmT2_T3_T4_T5_mT6_T7_P12ihipStream_tbENKUlT_T0_E_clISt17integral_constantIbLb0EES13_EEDaSY_SZ_EUlSY_E_NS1_11comp_targetILNS1_3genE10ELNS1_11target_archE1201ELNS1_3gpuE5ELNS1_3repE0EEENS1_30default_config_static_selectorELNS0_4arch9wavefront6targetE0EEEvT1_.has_dyn_sized_stack, 0
	.set _ZN7rocprim17ROCPRIM_400000_NS6detail17trampoline_kernelINS0_14default_configENS1_27scan_by_key_config_selectorIj11FixedVectorIiLj2EEEEZZNS1_16scan_by_key_implILNS1_25lookback_scan_determinismE0ELb1ES3_N6thrust23THRUST_200600_302600_NS6detail15normal_iteratorINSB_10device_ptrIjEEEENSD_INSE_IS6_EEEESI_S6_NSB_4plusIvEENSB_8equal_toIvEES6_EE10hipError_tPvRmT2_T3_T4_T5_mT6_T7_P12ihipStream_tbENKUlT_T0_E_clISt17integral_constantIbLb0EES13_EEDaSY_SZ_EUlSY_E_NS1_11comp_targetILNS1_3genE10ELNS1_11target_archE1201ELNS1_3gpuE5ELNS1_3repE0EEENS1_30default_config_static_selectorELNS0_4arch9wavefront6targetE0EEEvT1_.has_recursion, 0
	.set _ZN7rocprim17ROCPRIM_400000_NS6detail17trampoline_kernelINS0_14default_configENS1_27scan_by_key_config_selectorIj11FixedVectorIiLj2EEEEZZNS1_16scan_by_key_implILNS1_25lookback_scan_determinismE0ELb1ES3_N6thrust23THRUST_200600_302600_NS6detail15normal_iteratorINSB_10device_ptrIjEEEENSD_INSE_IS6_EEEESI_S6_NSB_4plusIvEENSB_8equal_toIvEES6_EE10hipError_tPvRmT2_T3_T4_T5_mT6_T7_P12ihipStream_tbENKUlT_T0_E_clISt17integral_constantIbLb0EES13_EEDaSY_SZ_EUlSY_E_NS1_11comp_targetILNS1_3genE10ELNS1_11target_archE1201ELNS1_3gpuE5ELNS1_3repE0EEENS1_30default_config_static_selectorELNS0_4arch9wavefront6targetE0EEEvT1_.has_indirect_call, 0
	.section	.AMDGPU.csdata,"",@progbits
; Kernel info:
; codeLenInByte = 0
; TotalNumSgprs: 0
; NumVgprs: 0
; ScratchSize: 0
; MemoryBound: 0
; FloatMode: 240
; IeeeMode: 1
; LDSByteSize: 0 bytes/workgroup (compile time only)
; SGPRBlocks: 0
; VGPRBlocks: 0
; NumSGPRsForWavesPerEU: 1
; NumVGPRsForWavesPerEU: 1
; Occupancy: 16
; WaveLimiterHint : 0
; COMPUTE_PGM_RSRC2:SCRATCH_EN: 0
; COMPUTE_PGM_RSRC2:USER_SGPR: 6
; COMPUTE_PGM_RSRC2:TRAP_HANDLER: 0
; COMPUTE_PGM_RSRC2:TGID_X_EN: 1
; COMPUTE_PGM_RSRC2:TGID_Y_EN: 0
; COMPUTE_PGM_RSRC2:TGID_Z_EN: 0
; COMPUTE_PGM_RSRC2:TIDIG_COMP_CNT: 0
	.section	.text._ZN7rocprim17ROCPRIM_400000_NS6detail17trampoline_kernelINS0_14default_configENS1_27scan_by_key_config_selectorIj11FixedVectorIiLj2EEEEZZNS1_16scan_by_key_implILNS1_25lookback_scan_determinismE0ELb1ES3_N6thrust23THRUST_200600_302600_NS6detail15normal_iteratorINSB_10device_ptrIjEEEENSD_INSE_IS6_EEEESI_S6_NSB_4plusIvEENSB_8equal_toIvEES6_EE10hipError_tPvRmT2_T3_T4_T5_mT6_T7_P12ihipStream_tbENKUlT_T0_E_clISt17integral_constantIbLb0EES13_EEDaSY_SZ_EUlSY_E_NS1_11comp_targetILNS1_3genE5ELNS1_11target_archE942ELNS1_3gpuE9ELNS1_3repE0EEENS1_30default_config_static_selectorELNS0_4arch9wavefront6targetE0EEEvT1_,"axG",@progbits,_ZN7rocprim17ROCPRIM_400000_NS6detail17trampoline_kernelINS0_14default_configENS1_27scan_by_key_config_selectorIj11FixedVectorIiLj2EEEEZZNS1_16scan_by_key_implILNS1_25lookback_scan_determinismE0ELb1ES3_N6thrust23THRUST_200600_302600_NS6detail15normal_iteratorINSB_10device_ptrIjEEEENSD_INSE_IS6_EEEESI_S6_NSB_4plusIvEENSB_8equal_toIvEES6_EE10hipError_tPvRmT2_T3_T4_T5_mT6_T7_P12ihipStream_tbENKUlT_T0_E_clISt17integral_constantIbLb0EES13_EEDaSY_SZ_EUlSY_E_NS1_11comp_targetILNS1_3genE5ELNS1_11target_archE942ELNS1_3gpuE9ELNS1_3repE0EEENS1_30default_config_static_selectorELNS0_4arch9wavefront6targetE0EEEvT1_,comdat
	.protected	_ZN7rocprim17ROCPRIM_400000_NS6detail17trampoline_kernelINS0_14default_configENS1_27scan_by_key_config_selectorIj11FixedVectorIiLj2EEEEZZNS1_16scan_by_key_implILNS1_25lookback_scan_determinismE0ELb1ES3_N6thrust23THRUST_200600_302600_NS6detail15normal_iteratorINSB_10device_ptrIjEEEENSD_INSE_IS6_EEEESI_S6_NSB_4plusIvEENSB_8equal_toIvEES6_EE10hipError_tPvRmT2_T3_T4_T5_mT6_T7_P12ihipStream_tbENKUlT_T0_E_clISt17integral_constantIbLb0EES13_EEDaSY_SZ_EUlSY_E_NS1_11comp_targetILNS1_3genE5ELNS1_11target_archE942ELNS1_3gpuE9ELNS1_3repE0EEENS1_30default_config_static_selectorELNS0_4arch9wavefront6targetE0EEEvT1_ ; -- Begin function _ZN7rocprim17ROCPRIM_400000_NS6detail17trampoline_kernelINS0_14default_configENS1_27scan_by_key_config_selectorIj11FixedVectorIiLj2EEEEZZNS1_16scan_by_key_implILNS1_25lookback_scan_determinismE0ELb1ES3_N6thrust23THRUST_200600_302600_NS6detail15normal_iteratorINSB_10device_ptrIjEEEENSD_INSE_IS6_EEEESI_S6_NSB_4plusIvEENSB_8equal_toIvEES6_EE10hipError_tPvRmT2_T3_T4_T5_mT6_T7_P12ihipStream_tbENKUlT_T0_E_clISt17integral_constantIbLb0EES13_EEDaSY_SZ_EUlSY_E_NS1_11comp_targetILNS1_3genE5ELNS1_11target_archE942ELNS1_3gpuE9ELNS1_3repE0EEENS1_30default_config_static_selectorELNS0_4arch9wavefront6targetE0EEEvT1_
	.globl	_ZN7rocprim17ROCPRIM_400000_NS6detail17trampoline_kernelINS0_14default_configENS1_27scan_by_key_config_selectorIj11FixedVectorIiLj2EEEEZZNS1_16scan_by_key_implILNS1_25lookback_scan_determinismE0ELb1ES3_N6thrust23THRUST_200600_302600_NS6detail15normal_iteratorINSB_10device_ptrIjEEEENSD_INSE_IS6_EEEESI_S6_NSB_4plusIvEENSB_8equal_toIvEES6_EE10hipError_tPvRmT2_T3_T4_T5_mT6_T7_P12ihipStream_tbENKUlT_T0_E_clISt17integral_constantIbLb0EES13_EEDaSY_SZ_EUlSY_E_NS1_11comp_targetILNS1_3genE5ELNS1_11target_archE942ELNS1_3gpuE9ELNS1_3repE0EEENS1_30default_config_static_selectorELNS0_4arch9wavefront6targetE0EEEvT1_
	.p2align	8
	.type	_ZN7rocprim17ROCPRIM_400000_NS6detail17trampoline_kernelINS0_14default_configENS1_27scan_by_key_config_selectorIj11FixedVectorIiLj2EEEEZZNS1_16scan_by_key_implILNS1_25lookback_scan_determinismE0ELb1ES3_N6thrust23THRUST_200600_302600_NS6detail15normal_iteratorINSB_10device_ptrIjEEEENSD_INSE_IS6_EEEESI_S6_NSB_4plusIvEENSB_8equal_toIvEES6_EE10hipError_tPvRmT2_T3_T4_T5_mT6_T7_P12ihipStream_tbENKUlT_T0_E_clISt17integral_constantIbLb0EES13_EEDaSY_SZ_EUlSY_E_NS1_11comp_targetILNS1_3genE5ELNS1_11target_archE942ELNS1_3gpuE9ELNS1_3repE0EEENS1_30default_config_static_selectorELNS0_4arch9wavefront6targetE0EEEvT1_,@function
_ZN7rocprim17ROCPRIM_400000_NS6detail17trampoline_kernelINS0_14default_configENS1_27scan_by_key_config_selectorIj11FixedVectorIiLj2EEEEZZNS1_16scan_by_key_implILNS1_25lookback_scan_determinismE0ELb1ES3_N6thrust23THRUST_200600_302600_NS6detail15normal_iteratorINSB_10device_ptrIjEEEENSD_INSE_IS6_EEEESI_S6_NSB_4plusIvEENSB_8equal_toIvEES6_EE10hipError_tPvRmT2_T3_T4_T5_mT6_T7_P12ihipStream_tbENKUlT_T0_E_clISt17integral_constantIbLb0EES13_EEDaSY_SZ_EUlSY_E_NS1_11comp_targetILNS1_3genE5ELNS1_11target_archE942ELNS1_3gpuE9ELNS1_3repE0EEENS1_30default_config_static_selectorELNS0_4arch9wavefront6targetE0EEEvT1_: ; @_ZN7rocprim17ROCPRIM_400000_NS6detail17trampoline_kernelINS0_14default_configENS1_27scan_by_key_config_selectorIj11FixedVectorIiLj2EEEEZZNS1_16scan_by_key_implILNS1_25lookback_scan_determinismE0ELb1ES3_N6thrust23THRUST_200600_302600_NS6detail15normal_iteratorINSB_10device_ptrIjEEEENSD_INSE_IS6_EEEESI_S6_NSB_4plusIvEENSB_8equal_toIvEES6_EE10hipError_tPvRmT2_T3_T4_T5_mT6_T7_P12ihipStream_tbENKUlT_T0_E_clISt17integral_constantIbLb0EES13_EEDaSY_SZ_EUlSY_E_NS1_11comp_targetILNS1_3genE5ELNS1_11target_archE942ELNS1_3gpuE9ELNS1_3repE0EEENS1_30default_config_static_selectorELNS0_4arch9wavefront6targetE0EEEvT1_
; %bb.0:
	.section	.rodata,"a",@progbits
	.p2align	6, 0x0
	.amdhsa_kernel _ZN7rocprim17ROCPRIM_400000_NS6detail17trampoline_kernelINS0_14default_configENS1_27scan_by_key_config_selectorIj11FixedVectorIiLj2EEEEZZNS1_16scan_by_key_implILNS1_25lookback_scan_determinismE0ELb1ES3_N6thrust23THRUST_200600_302600_NS6detail15normal_iteratorINSB_10device_ptrIjEEEENSD_INSE_IS6_EEEESI_S6_NSB_4plusIvEENSB_8equal_toIvEES6_EE10hipError_tPvRmT2_T3_T4_T5_mT6_T7_P12ihipStream_tbENKUlT_T0_E_clISt17integral_constantIbLb0EES13_EEDaSY_SZ_EUlSY_E_NS1_11comp_targetILNS1_3genE5ELNS1_11target_archE942ELNS1_3gpuE9ELNS1_3repE0EEENS1_30default_config_static_selectorELNS0_4arch9wavefront6targetE0EEEvT1_
		.amdhsa_group_segment_fixed_size 0
		.amdhsa_private_segment_fixed_size 0
		.amdhsa_kernarg_size 120
		.amdhsa_user_sgpr_count 6
		.amdhsa_user_sgpr_private_segment_buffer 1
		.amdhsa_user_sgpr_dispatch_ptr 0
		.amdhsa_user_sgpr_queue_ptr 0
		.amdhsa_user_sgpr_kernarg_segment_ptr 1
		.amdhsa_user_sgpr_dispatch_id 0
		.amdhsa_user_sgpr_flat_scratch_init 0
		.amdhsa_user_sgpr_private_segment_size 0
		.amdhsa_wavefront_size32 1
		.amdhsa_uses_dynamic_stack 0
		.amdhsa_system_sgpr_private_segment_wavefront_offset 0
		.amdhsa_system_sgpr_workgroup_id_x 1
		.amdhsa_system_sgpr_workgroup_id_y 0
		.amdhsa_system_sgpr_workgroup_id_z 0
		.amdhsa_system_sgpr_workgroup_info 0
		.amdhsa_system_vgpr_workitem_id 0
		.amdhsa_next_free_vgpr 1
		.amdhsa_next_free_sgpr 1
		.amdhsa_reserve_vcc 0
		.amdhsa_reserve_flat_scratch 0
		.amdhsa_float_round_mode_32 0
		.amdhsa_float_round_mode_16_64 0
		.amdhsa_float_denorm_mode_32 3
		.amdhsa_float_denorm_mode_16_64 3
		.amdhsa_dx10_clamp 1
		.amdhsa_ieee_mode 1
		.amdhsa_fp16_overflow 0
		.amdhsa_workgroup_processor_mode 1
		.amdhsa_memory_ordered 1
		.amdhsa_forward_progress 1
		.amdhsa_shared_vgpr_count 0
		.amdhsa_exception_fp_ieee_invalid_op 0
		.amdhsa_exception_fp_denorm_src 0
		.amdhsa_exception_fp_ieee_div_zero 0
		.amdhsa_exception_fp_ieee_overflow 0
		.amdhsa_exception_fp_ieee_underflow 0
		.amdhsa_exception_fp_ieee_inexact 0
		.amdhsa_exception_int_div_zero 0
	.end_amdhsa_kernel
	.section	.text._ZN7rocprim17ROCPRIM_400000_NS6detail17trampoline_kernelINS0_14default_configENS1_27scan_by_key_config_selectorIj11FixedVectorIiLj2EEEEZZNS1_16scan_by_key_implILNS1_25lookback_scan_determinismE0ELb1ES3_N6thrust23THRUST_200600_302600_NS6detail15normal_iteratorINSB_10device_ptrIjEEEENSD_INSE_IS6_EEEESI_S6_NSB_4plusIvEENSB_8equal_toIvEES6_EE10hipError_tPvRmT2_T3_T4_T5_mT6_T7_P12ihipStream_tbENKUlT_T0_E_clISt17integral_constantIbLb0EES13_EEDaSY_SZ_EUlSY_E_NS1_11comp_targetILNS1_3genE5ELNS1_11target_archE942ELNS1_3gpuE9ELNS1_3repE0EEENS1_30default_config_static_selectorELNS0_4arch9wavefront6targetE0EEEvT1_,"axG",@progbits,_ZN7rocprim17ROCPRIM_400000_NS6detail17trampoline_kernelINS0_14default_configENS1_27scan_by_key_config_selectorIj11FixedVectorIiLj2EEEEZZNS1_16scan_by_key_implILNS1_25lookback_scan_determinismE0ELb1ES3_N6thrust23THRUST_200600_302600_NS6detail15normal_iteratorINSB_10device_ptrIjEEEENSD_INSE_IS6_EEEESI_S6_NSB_4plusIvEENSB_8equal_toIvEES6_EE10hipError_tPvRmT2_T3_T4_T5_mT6_T7_P12ihipStream_tbENKUlT_T0_E_clISt17integral_constantIbLb0EES13_EEDaSY_SZ_EUlSY_E_NS1_11comp_targetILNS1_3genE5ELNS1_11target_archE942ELNS1_3gpuE9ELNS1_3repE0EEENS1_30default_config_static_selectorELNS0_4arch9wavefront6targetE0EEEvT1_,comdat
.Lfunc_end1995:
	.size	_ZN7rocprim17ROCPRIM_400000_NS6detail17trampoline_kernelINS0_14default_configENS1_27scan_by_key_config_selectorIj11FixedVectorIiLj2EEEEZZNS1_16scan_by_key_implILNS1_25lookback_scan_determinismE0ELb1ES3_N6thrust23THRUST_200600_302600_NS6detail15normal_iteratorINSB_10device_ptrIjEEEENSD_INSE_IS6_EEEESI_S6_NSB_4plusIvEENSB_8equal_toIvEES6_EE10hipError_tPvRmT2_T3_T4_T5_mT6_T7_P12ihipStream_tbENKUlT_T0_E_clISt17integral_constantIbLb0EES13_EEDaSY_SZ_EUlSY_E_NS1_11comp_targetILNS1_3genE5ELNS1_11target_archE942ELNS1_3gpuE9ELNS1_3repE0EEENS1_30default_config_static_selectorELNS0_4arch9wavefront6targetE0EEEvT1_, .Lfunc_end1995-_ZN7rocprim17ROCPRIM_400000_NS6detail17trampoline_kernelINS0_14default_configENS1_27scan_by_key_config_selectorIj11FixedVectorIiLj2EEEEZZNS1_16scan_by_key_implILNS1_25lookback_scan_determinismE0ELb1ES3_N6thrust23THRUST_200600_302600_NS6detail15normal_iteratorINSB_10device_ptrIjEEEENSD_INSE_IS6_EEEESI_S6_NSB_4plusIvEENSB_8equal_toIvEES6_EE10hipError_tPvRmT2_T3_T4_T5_mT6_T7_P12ihipStream_tbENKUlT_T0_E_clISt17integral_constantIbLb0EES13_EEDaSY_SZ_EUlSY_E_NS1_11comp_targetILNS1_3genE5ELNS1_11target_archE942ELNS1_3gpuE9ELNS1_3repE0EEENS1_30default_config_static_selectorELNS0_4arch9wavefront6targetE0EEEvT1_
                                        ; -- End function
	.set _ZN7rocprim17ROCPRIM_400000_NS6detail17trampoline_kernelINS0_14default_configENS1_27scan_by_key_config_selectorIj11FixedVectorIiLj2EEEEZZNS1_16scan_by_key_implILNS1_25lookback_scan_determinismE0ELb1ES3_N6thrust23THRUST_200600_302600_NS6detail15normal_iteratorINSB_10device_ptrIjEEEENSD_INSE_IS6_EEEESI_S6_NSB_4plusIvEENSB_8equal_toIvEES6_EE10hipError_tPvRmT2_T3_T4_T5_mT6_T7_P12ihipStream_tbENKUlT_T0_E_clISt17integral_constantIbLb0EES13_EEDaSY_SZ_EUlSY_E_NS1_11comp_targetILNS1_3genE5ELNS1_11target_archE942ELNS1_3gpuE9ELNS1_3repE0EEENS1_30default_config_static_selectorELNS0_4arch9wavefront6targetE0EEEvT1_.num_vgpr, 0
	.set _ZN7rocprim17ROCPRIM_400000_NS6detail17trampoline_kernelINS0_14default_configENS1_27scan_by_key_config_selectorIj11FixedVectorIiLj2EEEEZZNS1_16scan_by_key_implILNS1_25lookback_scan_determinismE0ELb1ES3_N6thrust23THRUST_200600_302600_NS6detail15normal_iteratorINSB_10device_ptrIjEEEENSD_INSE_IS6_EEEESI_S6_NSB_4plusIvEENSB_8equal_toIvEES6_EE10hipError_tPvRmT2_T3_T4_T5_mT6_T7_P12ihipStream_tbENKUlT_T0_E_clISt17integral_constantIbLb0EES13_EEDaSY_SZ_EUlSY_E_NS1_11comp_targetILNS1_3genE5ELNS1_11target_archE942ELNS1_3gpuE9ELNS1_3repE0EEENS1_30default_config_static_selectorELNS0_4arch9wavefront6targetE0EEEvT1_.num_agpr, 0
	.set _ZN7rocprim17ROCPRIM_400000_NS6detail17trampoline_kernelINS0_14default_configENS1_27scan_by_key_config_selectorIj11FixedVectorIiLj2EEEEZZNS1_16scan_by_key_implILNS1_25lookback_scan_determinismE0ELb1ES3_N6thrust23THRUST_200600_302600_NS6detail15normal_iteratorINSB_10device_ptrIjEEEENSD_INSE_IS6_EEEESI_S6_NSB_4plusIvEENSB_8equal_toIvEES6_EE10hipError_tPvRmT2_T3_T4_T5_mT6_T7_P12ihipStream_tbENKUlT_T0_E_clISt17integral_constantIbLb0EES13_EEDaSY_SZ_EUlSY_E_NS1_11comp_targetILNS1_3genE5ELNS1_11target_archE942ELNS1_3gpuE9ELNS1_3repE0EEENS1_30default_config_static_selectorELNS0_4arch9wavefront6targetE0EEEvT1_.numbered_sgpr, 0
	.set _ZN7rocprim17ROCPRIM_400000_NS6detail17trampoline_kernelINS0_14default_configENS1_27scan_by_key_config_selectorIj11FixedVectorIiLj2EEEEZZNS1_16scan_by_key_implILNS1_25lookback_scan_determinismE0ELb1ES3_N6thrust23THRUST_200600_302600_NS6detail15normal_iteratorINSB_10device_ptrIjEEEENSD_INSE_IS6_EEEESI_S6_NSB_4plusIvEENSB_8equal_toIvEES6_EE10hipError_tPvRmT2_T3_T4_T5_mT6_T7_P12ihipStream_tbENKUlT_T0_E_clISt17integral_constantIbLb0EES13_EEDaSY_SZ_EUlSY_E_NS1_11comp_targetILNS1_3genE5ELNS1_11target_archE942ELNS1_3gpuE9ELNS1_3repE0EEENS1_30default_config_static_selectorELNS0_4arch9wavefront6targetE0EEEvT1_.num_named_barrier, 0
	.set _ZN7rocprim17ROCPRIM_400000_NS6detail17trampoline_kernelINS0_14default_configENS1_27scan_by_key_config_selectorIj11FixedVectorIiLj2EEEEZZNS1_16scan_by_key_implILNS1_25lookback_scan_determinismE0ELb1ES3_N6thrust23THRUST_200600_302600_NS6detail15normal_iteratorINSB_10device_ptrIjEEEENSD_INSE_IS6_EEEESI_S6_NSB_4plusIvEENSB_8equal_toIvEES6_EE10hipError_tPvRmT2_T3_T4_T5_mT6_T7_P12ihipStream_tbENKUlT_T0_E_clISt17integral_constantIbLb0EES13_EEDaSY_SZ_EUlSY_E_NS1_11comp_targetILNS1_3genE5ELNS1_11target_archE942ELNS1_3gpuE9ELNS1_3repE0EEENS1_30default_config_static_selectorELNS0_4arch9wavefront6targetE0EEEvT1_.private_seg_size, 0
	.set _ZN7rocprim17ROCPRIM_400000_NS6detail17trampoline_kernelINS0_14default_configENS1_27scan_by_key_config_selectorIj11FixedVectorIiLj2EEEEZZNS1_16scan_by_key_implILNS1_25lookback_scan_determinismE0ELb1ES3_N6thrust23THRUST_200600_302600_NS6detail15normal_iteratorINSB_10device_ptrIjEEEENSD_INSE_IS6_EEEESI_S6_NSB_4plusIvEENSB_8equal_toIvEES6_EE10hipError_tPvRmT2_T3_T4_T5_mT6_T7_P12ihipStream_tbENKUlT_T0_E_clISt17integral_constantIbLb0EES13_EEDaSY_SZ_EUlSY_E_NS1_11comp_targetILNS1_3genE5ELNS1_11target_archE942ELNS1_3gpuE9ELNS1_3repE0EEENS1_30default_config_static_selectorELNS0_4arch9wavefront6targetE0EEEvT1_.uses_vcc, 0
	.set _ZN7rocprim17ROCPRIM_400000_NS6detail17trampoline_kernelINS0_14default_configENS1_27scan_by_key_config_selectorIj11FixedVectorIiLj2EEEEZZNS1_16scan_by_key_implILNS1_25lookback_scan_determinismE0ELb1ES3_N6thrust23THRUST_200600_302600_NS6detail15normal_iteratorINSB_10device_ptrIjEEEENSD_INSE_IS6_EEEESI_S6_NSB_4plusIvEENSB_8equal_toIvEES6_EE10hipError_tPvRmT2_T3_T4_T5_mT6_T7_P12ihipStream_tbENKUlT_T0_E_clISt17integral_constantIbLb0EES13_EEDaSY_SZ_EUlSY_E_NS1_11comp_targetILNS1_3genE5ELNS1_11target_archE942ELNS1_3gpuE9ELNS1_3repE0EEENS1_30default_config_static_selectorELNS0_4arch9wavefront6targetE0EEEvT1_.uses_flat_scratch, 0
	.set _ZN7rocprim17ROCPRIM_400000_NS6detail17trampoline_kernelINS0_14default_configENS1_27scan_by_key_config_selectorIj11FixedVectorIiLj2EEEEZZNS1_16scan_by_key_implILNS1_25lookback_scan_determinismE0ELb1ES3_N6thrust23THRUST_200600_302600_NS6detail15normal_iteratorINSB_10device_ptrIjEEEENSD_INSE_IS6_EEEESI_S6_NSB_4plusIvEENSB_8equal_toIvEES6_EE10hipError_tPvRmT2_T3_T4_T5_mT6_T7_P12ihipStream_tbENKUlT_T0_E_clISt17integral_constantIbLb0EES13_EEDaSY_SZ_EUlSY_E_NS1_11comp_targetILNS1_3genE5ELNS1_11target_archE942ELNS1_3gpuE9ELNS1_3repE0EEENS1_30default_config_static_selectorELNS0_4arch9wavefront6targetE0EEEvT1_.has_dyn_sized_stack, 0
	.set _ZN7rocprim17ROCPRIM_400000_NS6detail17trampoline_kernelINS0_14default_configENS1_27scan_by_key_config_selectorIj11FixedVectorIiLj2EEEEZZNS1_16scan_by_key_implILNS1_25lookback_scan_determinismE0ELb1ES3_N6thrust23THRUST_200600_302600_NS6detail15normal_iteratorINSB_10device_ptrIjEEEENSD_INSE_IS6_EEEESI_S6_NSB_4plusIvEENSB_8equal_toIvEES6_EE10hipError_tPvRmT2_T3_T4_T5_mT6_T7_P12ihipStream_tbENKUlT_T0_E_clISt17integral_constantIbLb0EES13_EEDaSY_SZ_EUlSY_E_NS1_11comp_targetILNS1_3genE5ELNS1_11target_archE942ELNS1_3gpuE9ELNS1_3repE0EEENS1_30default_config_static_selectorELNS0_4arch9wavefront6targetE0EEEvT1_.has_recursion, 0
	.set _ZN7rocprim17ROCPRIM_400000_NS6detail17trampoline_kernelINS0_14default_configENS1_27scan_by_key_config_selectorIj11FixedVectorIiLj2EEEEZZNS1_16scan_by_key_implILNS1_25lookback_scan_determinismE0ELb1ES3_N6thrust23THRUST_200600_302600_NS6detail15normal_iteratorINSB_10device_ptrIjEEEENSD_INSE_IS6_EEEESI_S6_NSB_4plusIvEENSB_8equal_toIvEES6_EE10hipError_tPvRmT2_T3_T4_T5_mT6_T7_P12ihipStream_tbENKUlT_T0_E_clISt17integral_constantIbLb0EES13_EEDaSY_SZ_EUlSY_E_NS1_11comp_targetILNS1_3genE5ELNS1_11target_archE942ELNS1_3gpuE9ELNS1_3repE0EEENS1_30default_config_static_selectorELNS0_4arch9wavefront6targetE0EEEvT1_.has_indirect_call, 0
	.section	.AMDGPU.csdata,"",@progbits
; Kernel info:
; codeLenInByte = 0
; TotalNumSgprs: 0
; NumVgprs: 0
; ScratchSize: 0
; MemoryBound: 0
; FloatMode: 240
; IeeeMode: 1
; LDSByteSize: 0 bytes/workgroup (compile time only)
; SGPRBlocks: 0
; VGPRBlocks: 0
; NumSGPRsForWavesPerEU: 1
; NumVGPRsForWavesPerEU: 1
; Occupancy: 16
; WaveLimiterHint : 0
; COMPUTE_PGM_RSRC2:SCRATCH_EN: 0
; COMPUTE_PGM_RSRC2:USER_SGPR: 6
; COMPUTE_PGM_RSRC2:TRAP_HANDLER: 0
; COMPUTE_PGM_RSRC2:TGID_X_EN: 1
; COMPUTE_PGM_RSRC2:TGID_Y_EN: 0
; COMPUTE_PGM_RSRC2:TGID_Z_EN: 0
; COMPUTE_PGM_RSRC2:TIDIG_COMP_CNT: 0
	.section	.text._ZN7rocprim17ROCPRIM_400000_NS6detail17trampoline_kernelINS0_14default_configENS1_27scan_by_key_config_selectorIj11FixedVectorIiLj2EEEEZZNS1_16scan_by_key_implILNS1_25lookback_scan_determinismE0ELb1ES3_N6thrust23THRUST_200600_302600_NS6detail15normal_iteratorINSB_10device_ptrIjEEEENSD_INSE_IS6_EEEESI_S6_NSB_4plusIvEENSB_8equal_toIvEES6_EE10hipError_tPvRmT2_T3_T4_T5_mT6_T7_P12ihipStream_tbENKUlT_T0_E_clISt17integral_constantIbLb0EES13_EEDaSY_SZ_EUlSY_E_NS1_11comp_targetILNS1_3genE4ELNS1_11target_archE910ELNS1_3gpuE8ELNS1_3repE0EEENS1_30default_config_static_selectorELNS0_4arch9wavefront6targetE0EEEvT1_,"axG",@progbits,_ZN7rocprim17ROCPRIM_400000_NS6detail17trampoline_kernelINS0_14default_configENS1_27scan_by_key_config_selectorIj11FixedVectorIiLj2EEEEZZNS1_16scan_by_key_implILNS1_25lookback_scan_determinismE0ELb1ES3_N6thrust23THRUST_200600_302600_NS6detail15normal_iteratorINSB_10device_ptrIjEEEENSD_INSE_IS6_EEEESI_S6_NSB_4plusIvEENSB_8equal_toIvEES6_EE10hipError_tPvRmT2_T3_T4_T5_mT6_T7_P12ihipStream_tbENKUlT_T0_E_clISt17integral_constantIbLb0EES13_EEDaSY_SZ_EUlSY_E_NS1_11comp_targetILNS1_3genE4ELNS1_11target_archE910ELNS1_3gpuE8ELNS1_3repE0EEENS1_30default_config_static_selectorELNS0_4arch9wavefront6targetE0EEEvT1_,comdat
	.protected	_ZN7rocprim17ROCPRIM_400000_NS6detail17trampoline_kernelINS0_14default_configENS1_27scan_by_key_config_selectorIj11FixedVectorIiLj2EEEEZZNS1_16scan_by_key_implILNS1_25lookback_scan_determinismE0ELb1ES3_N6thrust23THRUST_200600_302600_NS6detail15normal_iteratorINSB_10device_ptrIjEEEENSD_INSE_IS6_EEEESI_S6_NSB_4plusIvEENSB_8equal_toIvEES6_EE10hipError_tPvRmT2_T3_T4_T5_mT6_T7_P12ihipStream_tbENKUlT_T0_E_clISt17integral_constantIbLb0EES13_EEDaSY_SZ_EUlSY_E_NS1_11comp_targetILNS1_3genE4ELNS1_11target_archE910ELNS1_3gpuE8ELNS1_3repE0EEENS1_30default_config_static_selectorELNS0_4arch9wavefront6targetE0EEEvT1_ ; -- Begin function _ZN7rocprim17ROCPRIM_400000_NS6detail17trampoline_kernelINS0_14default_configENS1_27scan_by_key_config_selectorIj11FixedVectorIiLj2EEEEZZNS1_16scan_by_key_implILNS1_25lookback_scan_determinismE0ELb1ES3_N6thrust23THRUST_200600_302600_NS6detail15normal_iteratorINSB_10device_ptrIjEEEENSD_INSE_IS6_EEEESI_S6_NSB_4plusIvEENSB_8equal_toIvEES6_EE10hipError_tPvRmT2_T3_T4_T5_mT6_T7_P12ihipStream_tbENKUlT_T0_E_clISt17integral_constantIbLb0EES13_EEDaSY_SZ_EUlSY_E_NS1_11comp_targetILNS1_3genE4ELNS1_11target_archE910ELNS1_3gpuE8ELNS1_3repE0EEENS1_30default_config_static_selectorELNS0_4arch9wavefront6targetE0EEEvT1_
	.globl	_ZN7rocprim17ROCPRIM_400000_NS6detail17trampoline_kernelINS0_14default_configENS1_27scan_by_key_config_selectorIj11FixedVectorIiLj2EEEEZZNS1_16scan_by_key_implILNS1_25lookback_scan_determinismE0ELb1ES3_N6thrust23THRUST_200600_302600_NS6detail15normal_iteratorINSB_10device_ptrIjEEEENSD_INSE_IS6_EEEESI_S6_NSB_4plusIvEENSB_8equal_toIvEES6_EE10hipError_tPvRmT2_T3_T4_T5_mT6_T7_P12ihipStream_tbENKUlT_T0_E_clISt17integral_constantIbLb0EES13_EEDaSY_SZ_EUlSY_E_NS1_11comp_targetILNS1_3genE4ELNS1_11target_archE910ELNS1_3gpuE8ELNS1_3repE0EEENS1_30default_config_static_selectorELNS0_4arch9wavefront6targetE0EEEvT1_
	.p2align	8
	.type	_ZN7rocprim17ROCPRIM_400000_NS6detail17trampoline_kernelINS0_14default_configENS1_27scan_by_key_config_selectorIj11FixedVectorIiLj2EEEEZZNS1_16scan_by_key_implILNS1_25lookback_scan_determinismE0ELb1ES3_N6thrust23THRUST_200600_302600_NS6detail15normal_iteratorINSB_10device_ptrIjEEEENSD_INSE_IS6_EEEESI_S6_NSB_4plusIvEENSB_8equal_toIvEES6_EE10hipError_tPvRmT2_T3_T4_T5_mT6_T7_P12ihipStream_tbENKUlT_T0_E_clISt17integral_constantIbLb0EES13_EEDaSY_SZ_EUlSY_E_NS1_11comp_targetILNS1_3genE4ELNS1_11target_archE910ELNS1_3gpuE8ELNS1_3repE0EEENS1_30default_config_static_selectorELNS0_4arch9wavefront6targetE0EEEvT1_,@function
_ZN7rocprim17ROCPRIM_400000_NS6detail17trampoline_kernelINS0_14default_configENS1_27scan_by_key_config_selectorIj11FixedVectorIiLj2EEEEZZNS1_16scan_by_key_implILNS1_25lookback_scan_determinismE0ELb1ES3_N6thrust23THRUST_200600_302600_NS6detail15normal_iteratorINSB_10device_ptrIjEEEENSD_INSE_IS6_EEEESI_S6_NSB_4plusIvEENSB_8equal_toIvEES6_EE10hipError_tPvRmT2_T3_T4_T5_mT6_T7_P12ihipStream_tbENKUlT_T0_E_clISt17integral_constantIbLb0EES13_EEDaSY_SZ_EUlSY_E_NS1_11comp_targetILNS1_3genE4ELNS1_11target_archE910ELNS1_3gpuE8ELNS1_3repE0EEENS1_30default_config_static_selectorELNS0_4arch9wavefront6targetE0EEEvT1_: ; @_ZN7rocprim17ROCPRIM_400000_NS6detail17trampoline_kernelINS0_14default_configENS1_27scan_by_key_config_selectorIj11FixedVectorIiLj2EEEEZZNS1_16scan_by_key_implILNS1_25lookback_scan_determinismE0ELb1ES3_N6thrust23THRUST_200600_302600_NS6detail15normal_iteratorINSB_10device_ptrIjEEEENSD_INSE_IS6_EEEESI_S6_NSB_4plusIvEENSB_8equal_toIvEES6_EE10hipError_tPvRmT2_T3_T4_T5_mT6_T7_P12ihipStream_tbENKUlT_T0_E_clISt17integral_constantIbLb0EES13_EEDaSY_SZ_EUlSY_E_NS1_11comp_targetILNS1_3genE4ELNS1_11target_archE910ELNS1_3gpuE8ELNS1_3repE0EEENS1_30default_config_static_selectorELNS0_4arch9wavefront6targetE0EEEvT1_
; %bb.0:
	.section	.rodata,"a",@progbits
	.p2align	6, 0x0
	.amdhsa_kernel _ZN7rocprim17ROCPRIM_400000_NS6detail17trampoline_kernelINS0_14default_configENS1_27scan_by_key_config_selectorIj11FixedVectorIiLj2EEEEZZNS1_16scan_by_key_implILNS1_25lookback_scan_determinismE0ELb1ES3_N6thrust23THRUST_200600_302600_NS6detail15normal_iteratorINSB_10device_ptrIjEEEENSD_INSE_IS6_EEEESI_S6_NSB_4plusIvEENSB_8equal_toIvEES6_EE10hipError_tPvRmT2_T3_T4_T5_mT6_T7_P12ihipStream_tbENKUlT_T0_E_clISt17integral_constantIbLb0EES13_EEDaSY_SZ_EUlSY_E_NS1_11comp_targetILNS1_3genE4ELNS1_11target_archE910ELNS1_3gpuE8ELNS1_3repE0EEENS1_30default_config_static_selectorELNS0_4arch9wavefront6targetE0EEEvT1_
		.amdhsa_group_segment_fixed_size 0
		.amdhsa_private_segment_fixed_size 0
		.amdhsa_kernarg_size 120
		.amdhsa_user_sgpr_count 6
		.amdhsa_user_sgpr_private_segment_buffer 1
		.amdhsa_user_sgpr_dispatch_ptr 0
		.amdhsa_user_sgpr_queue_ptr 0
		.amdhsa_user_sgpr_kernarg_segment_ptr 1
		.amdhsa_user_sgpr_dispatch_id 0
		.amdhsa_user_sgpr_flat_scratch_init 0
		.amdhsa_user_sgpr_private_segment_size 0
		.amdhsa_wavefront_size32 1
		.amdhsa_uses_dynamic_stack 0
		.amdhsa_system_sgpr_private_segment_wavefront_offset 0
		.amdhsa_system_sgpr_workgroup_id_x 1
		.amdhsa_system_sgpr_workgroup_id_y 0
		.amdhsa_system_sgpr_workgroup_id_z 0
		.amdhsa_system_sgpr_workgroup_info 0
		.amdhsa_system_vgpr_workitem_id 0
		.amdhsa_next_free_vgpr 1
		.amdhsa_next_free_sgpr 1
		.amdhsa_reserve_vcc 0
		.amdhsa_reserve_flat_scratch 0
		.amdhsa_float_round_mode_32 0
		.amdhsa_float_round_mode_16_64 0
		.amdhsa_float_denorm_mode_32 3
		.amdhsa_float_denorm_mode_16_64 3
		.amdhsa_dx10_clamp 1
		.amdhsa_ieee_mode 1
		.amdhsa_fp16_overflow 0
		.amdhsa_workgroup_processor_mode 1
		.amdhsa_memory_ordered 1
		.amdhsa_forward_progress 1
		.amdhsa_shared_vgpr_count 0
		.amdhsa_exception_fp_ieee_invalid_op 0
		.amdhsa_exception_fp_denorm_src 0
		.amdhsa_exception_fp_ieee_div_zero 0
		.amdhsa_exception_fp_ieee_overflow 0
		.amdhsa_exception_fp_ieee_underflow 0
		.amdhsa_exception_fp_ieee_inexact 0
		.amdhsa_exception_int_div_zero 0
	.end_amdhsa_kernel
	.section	.text._ZN7rocprim17ROCPRIM_400000_NS6detail17trampoline_kernelINS0_14default_configENS1_27scan_by_key_config_selectorIj11FixedVectorIiLj2EEEEZZNS1_16scan_by_key_implILNS1_25lookback_scan_determinismE0ELb1ES3_N6thrust23THRUST_200600_302600_NS6detail15normal_iteratorINSB_10device_ptrIjEEEENSD_INSE_IS6_EEEESI_S6_NSB_4plusIvEENSB_8equal_toIvEES6_EE10hipError_tPvRmT2_T3_T4_T5_mT6_T7_P12ihipStream_tbENKUlT_T0_E_clISt17integral_constantIbLb0EES13_EEDaSY_SZ_EUlSY_E_NS1_11comp_targetILNS1_3genE4ELNS1_11target_archE910ELNS1_3gpuE8ELNS1_3repE0EEENS1_30default_config_static_selectorELNS0_4arch9wavefront6targetE0EEEvT1_,"axG",@progbits,_ZN7rocprim17ROCPRIM_400000_NS6detail17trampoline_kernelINS0_14default_configENS1_27scan_by_key_config_selectorIj11FixedVectorIiLj2EEEEZZNS1_16scan_by_key_implILNS1_25lookback_scan_determinismE0ELb1ES3_N6thrust23THRUST_200600_302600_NS6detail15normal_iteratorINSB_10device_ptrIjEEEENSD_INSE_IS6_EEEESI_S6_NSB_4plusIvEENSB_8equal_toIvEES6_EE10hipError_tPvRmT2_T3_T4_T5_mT6_T7_P12ihipStream_tbENKUlT_T0_E_clISt17integral_constantIbLb0EES13_EEDaSY_SZ_EUlSY_E_NS1_11comp_targetILNS1_3genE4ELNS1_11target_archE910ELNS1_3gpuE8ELNS1_3repE0EEENS1_30default_config_static_selectorELNS0_4arch9wavefront6targetE0EEEvT1_,comdat
.Lfunc_end1996:
	.size	_ZN7rocprim17ROCPRIM_400000_NS6detail17trampoline_kernelINS0_14default_configENS1_27scan_by_key_config_selectorIj11FixedVectorIiLj2EEEEZZNS1_16scan_by_key_implILNS1_25lookback_scan_determinismE0ELb1ES3_N6thrust23THRUST_200600_302600_NS6detail15normal_iteratorINSB_10device_ptrIjEEEENSD_INSE_IS6_EEEESI_S6_NSB_4plusIvEENSB_8equal_toIvEES6_EE10hipError_tPvRmT2_T3_T4_T5_mT6_T7_P12ihipStream_tbENKUlT_T0_E_clISt17integral_constantIbLb0EES13_EEDaSY_SZ_EUlSY_E_NS1_11comp_targetILNS1_3genE4ELNS1_11target_archE910ELNS1_3gpuE8ELNS1_3repE0EEENS1_30default_config_static_selectorELNS0_4arch9wavefront6targetE0EEEvT1_, .Lfunc_end1996-_ZN7rocprim17ROCPRIM_400000_NS6detail17trampoline_kernelINS0_14default_configENS1_27scan_by_key_config_selectorIj11FixedVectorIiLj2EEEEZZNS1_16scan_by_key_implILNS1_25lookback_scan_determinismE0ELb1ES3_N6thrust23THRUST_200600_302600_NS6detail15normal_iteratorINSB_10device_ptrIjEEEENSD_INSE_IS6_EEEESI_S6_NSB_4plusIvEENSB_8equal_toIvEES6_EE10hipError_tPvRmT2_T3_T4_T5_mT6_T7_P12ihipStream_tbENKUlT_T0_E_clISt17integral_constantIbLb0EES13_EEDaSY_SZ_EUlSY_E_NS1_11comp_targetILNS1_3genE4ELNS1_11target_archE910ELNS1_3gpuE8ELNS1_3repE0EEENS1_30default_config_static_selectorELNS0_4arch9wavefront6targetE0EEEvT1_
                                        ; -- End function
	.set _ZN7rocprim17ROCPRIM_400000_NS6detail17trampoline_kernelINS0_14default_configENS1_27scan_by_key_config_selectorIj11FixedVectorIiLj2EEEEZZNS1_16scan_by_key_implILNS1_25lookback_scan_determinismE0ELb1ES3_N6thrust23THRUST_200600_302600_NS6detail15normal_iteratorINSB_10device_ptrIjEEEENSD_INSE_IS6_EEEESI_S6_NSB_4plusIvEENSB_8equal_toIvEES6_EE10hipError_tPvRmT2_T3_T4_T5_mT6_T7_P12ihipStream_tbENKUlT_T0_E_clISt17integral_constantIbLb0EES13_EEDaSY_SZ_EUlSY_E_NS1_11comp_targetILNS1_3genE4ELNS1_11target_archE910ELNS1_3gpuE8ELNS1_3repE0EEENS1_30default_config_static_selectorELNS0_4arch9wavefront6targetE0EEEvT1_.num_vgpr, 0
	.set _ZN7rocprim17ROCPRIM_400000_NS6detail17trampoline_kernelINS0_14default_configENS1_27scan_by_key_config_selectorIj11FixedVectorIiLj2EEEEZZNS1_16scan_by_key_implILNS1_25lookback_scan_determinismE0ELb1ES3_N6thrust23THRUST_200600_302600_NS6detail15normal_iteratorINSB_10device_ptrIjEEEENSD_INSE_IS6_EEEESI_S6_NSB_4plusIvEENSB_8equal_toIvEES6_EE10hipError_tPvRmT2_T3_T4_T5_mT6_T7_P12ihipStream_tbENKUlT_T0_E_clISt17integral_constantIbLb0EES13_EEDaSY_SZ_EUlSY_E_NS1_11comp_targetILNS1_3genE4ELNS1_11target_archE910ELNS1_3gpuE8ELNS1_3repE0EEENS1_30default_config_static_selectorELNS0_4arch9wavefront6targetE0EEEvT1_.num_agpr, 0
	.set _ZN7rocprim17ROCPRIM_400000_NS6detail17trampoline_kernelINS0_14default_configENS1_27scan_by_key_config_selectorIj11FixedVectorIiLj2EEEEZZNS1_16scan_by_key_implILNS1_25lookback_scan_determinismE0ELb1ES3_N6thrust23THRUST_200600_302600_NS6detail15normal_iteratorINSB_10device_ptrIjEEEENSD_INSE_IS6_EEEESI_S6_NSB_4plusIvEENSB_8equal_toIvEES6_EE10hipError_tPvRmT2_T3_T4_T5_mT6_T7_P12ihipStream_tbENKUlT_T0_E_clISt17integral_constantIbLb0EES13_EEDaSY_SZ_EUlSY_E_NS1_11comp_targetILNS1_3genE4ELNS1_11target_archE910ELNS1_3gpuE8ELNS1_3repE0EEENS1_30default_config_static_selectorELNS0_4arch9wavefront6targetE0EEEvT1_.numbered_sgpr, 0
	.set _ZN7rocprim17ROCPRIM_400000_NS6detail17trampoline_kernelINS0_14default_configENS1_27scan_by_key_config_selectorIj11FixedVectorIiLj2EEEEZZNS1_16scan_by_key_implILNS1_25lookback_scan_determinismE0ELb1ES3_N6thrust23THRUST_200600_302600_NS6detail15normal_iteratorINSB_10device_ptrIjEEEENSD_INSE_IS6_EEEESI_S6_NSB_4plusIvEENSB_8equal_toIvEES6_EE10hipError_tPvRmT2_T3_T4_T5_mT6_T7_P12ihipStream_tbENKUlT_T0_E_clISt17integral_constantIbLb0EES13_EEDaSY_SZ_EUlSY_E_NS1_11comp_targetILNS1_3genE4ELNS1_11target_archE910ELNS1_3gpuE8ELNS1_3repE0EEENS1_30default_config_static_selectorELNS0_4arch9wavefront6targetE0EEEvT1_.num_named_barrier, 0
	.set _ZN7rocprim17ROCPRIM_400000_NS6detail17trampoline_kernelINS0_14default_configENS1_27scan_by_key_config_selectorIj11FixedVectorIiLj2EEEEZZNS1_16scan_by_key_implILNS1_25lookback_scan_determinismE0ELb1ES3_N6thrust23THRUST_200600_302600_NS6detail15normal_iteratorINSB_10device_ptrIjEEEENSD_INSE_IS6_EEEESI_S6_NSB_4plusIvEENSB_8equal_toIvEES6_EE10hipError_tPvRmT2_T3_T4_T5_mT6_T7_P12ihipStream_tbENKUlT_T0_E_clISt17integral_constantIbLb0EES13_EEDaSY_SZ_EUlSY_E_NS1_11comp_targetILNS1_3genE4ELNS1_11target_archE910ELNS1_3gpuE8ELNS1_3repE0EEENS1_30default_config_static_selectorELNS0_4arch9wavefront6targetE0EEEvT1_.private_seg_size, 0
	.set _ZN7rocprim17ROCPRIM_400000_NS6detail17trampoline_kernelINS0_14default_configENS1_27scan_by_key_config_selectorIj11FixedVectorIiLj2EEEEZZNS1_16scan_by_key_implILNS1_25lookback_scan_determinismE0ELb1ES3_N6thrust23THRUST_200600_302600_NS6detail15normal_iteratorINSB_10device_ptrIjEEEENSD_INSE_IS6_EEEESI_S6_NSB_4plusIvEENSB_8equal_toIvEES6_EE10hipError_tPvRmT2_T3_T4_T5_mT6_T7_P12ihipStream_tbENKUlT_T0_E_clISt17integral_constantIbLb0EES13_EEDaSY_SZ_EUlSY_E_NS1_11comp_targetILNS1_3genE4ELNS1_11target_archE910ELNS1_3gpuE8ELNS1_3repE0EEENS1_30default_config_static_selectorELNS0_4arch9wavefront6targetE0EEEvT1_.uses_vcc, 0
	.set _ZN7rocprim17ROCPRIM_400000_NS6detail17trampoline_kernelINS0_14default_configENS1_27scan_by_key_config_selectorIj11FixedVectorIiLj2EEEEZZNS1_16scan_by_key_implILNS1_25lookback_scan_determinismE0ELb1ES3_N6thrust23THRUST_200600_302600_NS6detail15normal_iteratorINSB_10device_ptrIjEEEENSD_INSE_IS6_EEEESI_S6_NSB_4plusIvEENSB_8equal_toIvEES6_EE10hipError_tPvRmT2_T3_T4_T5_mT6_T7_P12ihipStream_tbENKUlT_T0_E_clISt17integral_constantIbLb0EES13_EEDaSY_SZ_EUlSY_E_NS1_11comp_targetILNS1_3genE4ELNS1_11target_archE910ELNS1_3gpuE8ELNS1_3repE0EEENS1_30default_config_static_selectorELNS0_4arch9wavefront6targetE0EEEvT1_.uses_flat_scratch, 0
	.set _ZN7rocprim17ROCPRIM_400000_NS6detail17trampoline_kernelINS0_14default_configENS1_27scan_by_key_config_selectorIj11FixedVectorIiLj2EEEEZZNS1_16scan_by_key_implILNS1_25lookback_scan_determinismE0ELb1ES3_N6thrust23THRUST_200600_302600_NS6detail15normal_iteratorINSB_10device_ptrIjEEEENSD_INSE_IS6_EEEESI_S6_NSB_4plusIvEENSB_8equal_toIvEES6_EE10hipError_tPvRmT2_T3_T4_T5_mT6_T7_P12ihipStream_tbENKUlT_T0_E_clISt17integral_constantIbLb0EES13_EEDaSY_SZ_EUlSY_E_NS1_11comp_targetILNS1_3genE4ELNS1_11target_archE910ELNS1_3gpuE8ELNS1_3repE0EEENS1_30default_config_static_selectorELNS0_4arch9wavefront6targetE0EEEvT1_.has_dyn_sized_stack, 0
	.set _ZN7rocprim17ROCPRIM_400000_NS6detail17trampoline_kernelINS0_14default_configENS1_27scan_by_key_config_selectorIj11FixedVectorIiLj2EEEEZZNS1_16scan_by_key_implILNS1_25lookback_scan_determinismE0ELb1ES3_N6thrust23THRUST_200600_302600_NS6detail15normal_iteratorINSB_10device_ptrIjEEEENSD_INSE_IS6_EEEESI_S6_NSB_4plusIvEENSB_8equal_toIvEES6_EE10hipError_tPvRmT2_T3_T4_T5_mT6_T7_P12ihipStream_tbENKUlT_T0_E_clISt17integral_constantIbLb0EES13_EEDaSY_SZ_EUlSY_E_NS1_11comp_targetILNS1_3genE4ELNS1_11target_archE910ELNS1_3gpuE8ELNS1_3repE0EEENS1_30default_config_static_selectorELNS0_4arch9wavefront6targetE0EEEvT1_.has_recursion, 0
	.set _ZN7rocprim17ROCPRIM_400000_NS6detail17trampoline_kernelINS0_14default_configENS1_27scan_by_key_config_selectorIj11FixedVectorIiLj2EEEEZZNS1_16scan_by_key_implILNS1_25lookback_scan_determinismE0ELb1ES3_N6thrust23THRUST_200600_302600_NS6detail15normal_iteratorINSB_10device_ptrIjEEEENSD_INSE_IS6_EEEESI_S6_NSB_4plusIvEENSB_8equal_toIvEES6_EE10hipError_tPvRmT2_T3_T4_T5_mT6_T7_P12ihipStream_tbENKUlT_T0_E_clISt17integral_constantIbLb0EES13_EEDaSY_SZ_EUlSY_E_NS1_11comp_targetILNS1_3genE4ELNS1_11target_archE910ELNS1_3gpuE8ELNS1_3repE0EEENS1_30default_config_static_selectorELNS0_4arch9wavefront6targetE0EEEvT1_.has_indirect_call, 0
	.section	.AMDGPU.csdata,"",@progbits
; Kernel info:
; codeLenInByte = 0
; TotalNumSgprs: 0
; NumVgprs: 0
; ScratchSize: 0
; MemoryBound: 0
; FloatMode: 240
; IeeeMode: 1
; LDSByteSize: 0 bytes/workgroup (compile time only)
; SGPRBlocks: 0
; VGPRBlocks: 0
; NumSGPRsForWavesPerEU: 1
; NumVGPRsForWavesPerEU: 1
; Occupancy: 16
; WaveLimiterHint : 0
; COMPUTE_PGM_RSRC2:SCRATCH_EN: 0
; COMPUTE_PGM_RSRC2:USER_SGPR: 6
; COMPUTE_PGM_RSRC2:TRAP_HANDLER: 0
; COMPUTE_PGM_RSRC2:TGID_X_EN: 1
; COMPUTE_PGM_RSRC2:TGID_Y_EN: 0
; COMPUTE_PGM_RSRC2:TGID_Z_EN: 0
; COMPUTE_PGM_RSRC2:TIDIG_COMP_CNT: 0
	.section	.text._ZN7rocprim17ROCPRIM_400000_NS6detail17trampoline_kernelINS0_14default_configENS1_27scan_by_key_config_selectorIj11FixedVectorIiLj2EEEEZZNS1_16scan_by_key_implILNS1_25lookback_scan_determinismE0ELb1ES3_N6thrust23THRUST_200600_302600_NS6detail15normal_iteratorINSB_10device_ptrIjEEEENSD_INSE_IS6_EEEESI_S6_NSB_4plusIvEENSB_8equal_toIvEES6_EE10hipError_tPvRmT2_T3_T4_T5_mT6_T7_P12ihipStream_tbENKUlT_T0_E_clISt17integral_constantIbLb0EES13_EEDaSY_SZ_EUlSY_E_NS1_11comp_targetILNS1_3genE3ELNS1_11target_archE908ELNS1_3gpuE7ELNS1_3repE0EEENS1_30default_config_static_selectorELNS0_4arch9wavefront6targetE0EEEvT1_,"axG",@progbits,_ZN7rocprim17ROCPRIM_400000_NS6detail17trampoline_kernelINS0_14default_configENS1_27scan_by_key_config_selectorIj11FixedVectorIiLj2EEEEZZNS1_16scan_by_key_implILNS1_25lookback_scan_determinismE0ELb1ES3_N6thrust23THRUST_200600_302600_NS6detail15normal_iteratorINSB_10device_ptrIjEEEENSD_INSE_IS6_EEEESI_S6_NSB_4plusIvEENSB_8equal_toIvEES6_EE10hipError_tPvRmT2_T3_T4_T5_mT6_T7_P12ihipStream_tbENKUlT_T0_E_clISt17integral_constantIbLb0EES13_EEDaSY_SZ_EUlSY_E_NS1_11comp_targetILNS1_3genE3ELNS1_11target_archE908ELNS1_3gpuE7ELNS1_3repE0EEENS1_30default_config_static_selectorELNS0_4arch9wavefront6targetE0EEEvT1_,comdat
	.protected	_ZN7rocprim17ROCPRIM_400000_NS6detail17trampoline_kernelINS0_14default_configENS1_27scan_by_key_config_selectorIj11FixedVectorIiLj2EEEEZZNS1_16scan_by_key_implILNS1_25lookback_scan_determinismE0ELb1ES3_N6thrust23THRUST_200600_302600_NS6detail15normal_iteratorINSB_10device_ptrIjEEEENSD_INSE_IS6_EEEESI_S6_NSB_4plusIvEENSB_8equal_toIvEES6_EE10hipError_tPvRmT2_T3_T4_T5_mT6_T7_P12ihipStream_tbENKUlT_T0_E_clISt17integral_constantIbLb0EES13_EEDaSY_SZ_EUlSY_E_NS1_11comp_targetILNS1_3genE3ELNS1_11target_archE908ELNS1_3gpuE7ELNS1_3repE0EEENS1_30default_config_static_selectorELNS0_4arch9wavefront6targetE0EEEvT1_ ; -- Begin function _ZN7rocprim17ROCPRIM_400000_NS6detail17trampoline_kernelINS0_14default_configENS1_27scan_by_key_config_selectorIj11FixedVectorIiLj2EEEEZZNS1_16scan_by_key_implILNS1_25lookback_scan_determinismE0ELb1ES3_N6thrust23THRUST_200600_302600_NS6detail15normal_iteratorINSB_10device_ptrIjEEEENSD_INSE_IS6_EEEESI_S6_NSB_4plusIvEENSB_8equal_toIvEES6_EE10hipError_tPvRmT2_T3_T4_T5_mT6_T7_P12ihipStream_tbENKUlT_T0_E_clISt17integral_constantIbLb0EES13_EEDaSY_SZ_EUlSY_E_NS1_11comp_targetILNS1_3genE3ELNS1_11target_archE908ELNS1_3gpuE7ELNS1_3repE0EEENS1_30default_config_static_selectorELNS0_4arch9wavefront6targetE0EEEvT1_
	.globl	_ZN7rocprim17ROCPRIM_400000_NS6detail17trampoline_kernelINS0_14default_configENS1_27scan_by_key_config_selectorIj11FixedVectorIiLj2EEEEZZNS1_16scan_by_key_implILNS1_25lookback_scan_determinismE0ELb1ES3_N6thrust23THRUST_200600_302600_NS6detail15normal_iteratorINSB_10device_ptrIjEEEENSD_INSE_IS6_EEEESI_S6_NSB_4plusIvEENSB_8equal_toIvEES6_EE10hipError_tPvRmT2_T3_T4_T5_mT6_T7_P12ihipStream_tbENKUlT_T0_E_clISt17integral_constantIbLb0EES13_EEDaSY_SZ_EUlSY_E_NS1_11comp_targetILNS1_3genE3ELNS1_11target_archE908ELNS1_3gpuE7ELNS1_3repE0EEENS1_30default_config_static_selectorELNS0_4arch9wavefront6targetE0EEEvT1_
	.p2align	8
	.type	_ZN7rocprim17ROCPRIM_400000_NS6detail17trampoline_kernelINS0_14default_configENS1_27scan_by_key_config_selectorIj11FixedVectorIiLj2EEEEZZNS1_16scan_by_key_implILNS1_25lookback_scan_determinismE0ELb1ES3_N6thrust23THRUST_200600_302600_NS6detail15normal_iteratorINSB_10device_ptrIjEEEENSD_INSE_IS6_EEEESI_S6_NSB_4plusIvEENSB_8equal_toIvEES6_EE10hipError_tPvRmT2_T3_T4_T5_mT6_T7_P12ihipStream_tbENKUlT_T0_E_clISt17integral_constantIbLb0EES13_EEDaSY_SZ_EUlSY_E_NS1_11comp_targetILNS1_3genE3ELNS1_11target_archE908ELNS1_3gpuE7ELNS1_3repE0EEENS1_30default_config_static_selectorELNS0_4arch9wavefront6targetE0EEEvT1_,@function
_ZN7rocprim17ROCPRIM_400000_NS6detail17trampoline_kernelINS0_14default_configENS1_27scan_by_key_config_selectorIj11FixedVectorIiLj2EEEEZZNS1_16scan_by_key_implILNS1_25lookback_scan_determinismE0ELb1ES3_N6thrust23THRUST_200600_302600_NS6detail15normal_iteratorINSB_10device_ptrIjEEEENSD_INSE_IS6_EEEESI_S6_NSB_4plusIvEENSB_8equal_toIvEES6_EE10hipError_tPvRmT2_T3_T4_T5_mT6_T7_P12ihipStream_tbENKUlT_T0_E_clISt17integral_constantIbLb0EES13_EEDaSY_SZ_EUlSY_E_NS1_11comp_targetILNS1_3genE3ELNS1_11target_archE908ELNS1_3gpuE7ELNS1_3repE0EEENS1_30default_config_static_selectorELNS0_4arch9wavefront6targetE0EEEvT1_: ; @_ZN7rocprim17ROCPRIM_400000_NS6detail17trampoline_kernelINS0_14default_configENS1_27scan_by_key_config_selectorIj11FixedVectorIiLj2EEEEZZNS1_16scan_by_key_implILNS1_25lookback_scan_determinismE0ELb1ES3_N6thrust23THRUST_200600_302600_NS6detail15normal_iteratorINSB_10device_ptrIjEEEENSD_INSE_IS6_EEEESI_S6_NSB_4plusIvEENSB_8equal_toIvEES6_EE10hipError_tPvRmT2_T3_T4_T5_mT6_T7_P12ihipStream_tbENKUlT_T0_E_clISt17integral_constantIbLb0EES13_EEDaSY_SZ_EUlSY_E_NS1_11comp_targetILNS1_3genE3ELNS1_11target_archE908ELNS1_3gpuE7ELNS1_3repE0EEENS1_30default_config_static_selectorELNS0_4arch9wavefront6targetE0EEEvT1_
; %bb.0:
	.section	.rodata,"a",@progbits
	.p2align	6, 0x0
	.amdhsa_kernel _ZN7rocprim17ROCPRIM_400000_NS6detail17trampoline_kernelINS0_14default_configENS1_27scan_by_key_config_selectorIj11FixedVectorIiLj2EEEEZZNS1_16scan_by_key_implILNS1_25lookback_scan_determinismE0ELb1ES3_N6thrust23THRUST_200600_302600_NS6detail15normal_iteratorINSB_10device_ptrIjEEEENSD_INSE_IS6_EEEESI_S6_NSB_4plusIvEENSB_8equal_toIvEES6_EE10hipError_tPvRmT2_T3_T4_T5_mT6_T7_P12ihipStream_tbENKUlT_T0_E_clISt17integral_constantIbLb0EES13_EEDaSY_SZ_EUlSY_E_NS1_11comp_targetILNS1_3genE3ELNS1_11target_archE908ELNS1_3gpuE7ELNS1_3repE0EEENS1_30default_config_static_selectorELNS0_4arch9wavefront6targetE0EEEvT1_
		.amdhsa_group_segment_fixed_size 0
		.amdhsa_private_segment_fixed_size 0
		.amdhsa_kernarg_size 120
		.amdhsa_user_sgpr_count 6
		.amdhsa_user_sgpr_private_segment_buffer 1
		.amdhsa_user_sgpr_dispatch_ptr 0
		.amdhsa_user_sgpr_queue_ptr 0
		.amdhsa_user_sgpr_kernarg_segment_ptr 1
		.amdhsa_user_sgpr_dispatch_id 0
		.amdhsa_user_sgpr_flat_scratch_init 0
		.amdhsa_user_sgpr_private_segment_size 0
		.amdhsa_wavefront_size32 1
		.amdhsa_uses_dynamic_stack 0
		.amdhsa_system_sgpr_private_segment_wavefront_offset 0
		.amdhsa_system_sgpr_workgroup_id_x 1
		.amdhsa_system_sgpr_workgroup_id_y 0
		.amdhsa_system_sgpr_workgroup_id_z 0
		.amdhsa_system_sgpr_workgroup_info 0
		.amdhsa_system_vgpr_workitem_id 0
		.amdhsa_next_free_vgpr 1
		.amdhsa_next_free_sgpr 1
		.amdhsa_reserve_vcc 0
		.amdhsa_reserve_flat_scratch 0
		.amdhsa_float_round_mode_32 0
		.amdhsa_float_round_mode_16_64 0
		.amdhsa_float_denorm_mode_32 3
		.amdhsa_float_denorm_mode_16_64 3
		.amdhsa_dx10_clamp 1
		.amdhsa_ieee_mode 1
		.amdhsa_fp16_overflow 0
		.amdhsa_workgroup_processor_mode 1
		.amdhsa_memory_ordered 1
		.amdhsa_forward_progress 1
		.amdhsa_shared_vgpr_count 0
		.amdhsa_exception_fp_ieee_invalid_op 0
		.amdhsa_exception_fp_denorm_src 0
		.amdhsa_exception_fp_ieee_div_zero 0
		.amdhsa_exception_fp_ieee_overflow 0
		.amdhsa_exception_fp_ieee_underflow 0
		.amdhsa_exception_fp_ieee_inexact 0
		.amdhsa_exception_int_div_zero 0
	.end_amdhsa_kernel
	.section	.text._ZN7rocprim17ROCPRIM_400000_NS6detail17trampoline_kernelINS0_14default_configENS1_27scan_by_key_config_selectorIj11FixedVectorIiLj2EEEEZZNS1_16scan_by_key_implILNS1_25lookback_scan_determinismE0ELb1ES3_N6thrust23THRUST_200600_302600_NS6detail15normal_iteratorINSB_10device_ptrIjEEEENSD_INSE_IS6_EEEESI_S6_NSB_4plusIvEENSB_8equal_toIvEES6_EE10hipError_tPvRmT2_T3_T4_T5_mT6_T7_P12ihipStream_tbENKUlT_T0_E_clISt17integral_constantIbLb0EES13_EEDaSY_SZ_EUlSY_E_NS1_11comp_targetILNS1_3genE3ELNS1_11target_archE908ELNS1_3gpuE7ELNS1_3repE0EEENS1_30default_config_static_selectorELNS0_4arch9wavefront6targetE0EEEvT1_,"axG",@progbits,_ZN7rocprim17ROCPRIM_400000_NS6detail17trampoline_kernelINS0_14default_configENS1_27scan_by_key_config_selectorIj11FixedVectorIiLj2EEEEZZNS1_16scan_by_key_implILNS1_25lookback_scan_determinismE0ELb1ES3_N6thrust23THRUST_200600_302600_NS6detail15normal_iteratorINSB_10device_ptrIjEEEENSD_INSE_IS6_EEEESI_S6_NSB_4plusIvEENSB_8equal_toIvEES6_EE10hipError_tPvRmT2_T3_T4_T5_mT6_T7_P12ihipStream_tbENKUlT_T0_E_clISt17integral_constantIbLb0EES13_EEDaSY_SZ_EUlSY_E_NS1_11comp_targetILNS1_3genE3ELNS1_11target_archE908ELNS1_3gpuE7ELNS1_3repE0EEENS1_30default_config_static_selectorELNS0_4arch9wavefront6targetE0EEEvT1_,comdat
.Lfunc_end1997:
	.size	_ZN7rocprim17ROCPRIM_400000_NS6detail17trampoline_kernelINS0_14default_configENS1_27scan_by_key_config_selectorIj11FixedVectorIiLj2EEEEZZNS1_16scan_by_key_implILNS1_25lookback_scan_determinismE0ELb1ES3_N6thrust23THRUST_200600_302600_NS6detail15normal_iteratorINSB_10device_ptrIjEEEENSD_INSE_IS6_EEEESI_S6_NSB_4plusIvEENSB_8equal_toIvEES6_EE10hipError_tPvRmT2_T3_T4_T5_mT6_T7_P12ihipStream_tbENKUlT_T0_E_clISt17integral_constantIbLb0EES13_EEDaSY_SZ_EUlSY_E_NS1_11comp_targetILNS1_3genE3ELNS1_11target_archE908ELNS1_3gpuE7ELNS1_3repE0EEENS1_30default_config_static_selectorELNS0_4arch9wavefront6targetE0EEEvT1_, .Lfunc_end1997-_ZN7rocprim17ROCPRIM_400000_NS6detail17trampoline_kernelINS0_14default_configENS1_27scan_by_key_config_selectorIj11FixedVectorIiLj2EEEEZZNS1_16scan_by_key_implILNS1_25lookback_scan_determinismE0ELb1ES3_N6thrust23THRUST_200600_302600_NS6detail15normal_iteratorINSB_10device_ptrIjEEEENSD_INSE_IS6_EEEESI_S6_NSB_4plusIvEENSB_8equal_toIvEES6_EE10hipError_tPvRmT2_T3_T4_T5_mT6_T7_P12ihipStream_tbENKUlT_T0_E_clISt17integral_constantIbLb0EES13_EEDaSY_SZ_EUlSY_E_NS1_11comp_targetILNS1_3genE3ELNS1_11target_archE908ELNS1_3gpuE7ELNS1_3repE0EEENS1_30default_config_static_selectorELNS0_4arch9wavefront6targetE0EEEvT1_
                                        ; -- End function
	.set _ZN7rocprim17ROCPRIM_400000_NS6detail17trampoline_kernelINS0_14default_configENS1_27scan_by_key_config_selectorIj11FixedVectorIiLj2EEEEZZNS1_16scan_by_key_implILNS1_25lookback_scan_determinismE0ELb1ES3_N6thrust23THRUST_200600_302600_NS6detail15normal_iteratorINSB_10device_ptrIjEEEENSD_INSE_IS6_EEEESI_S6_NSB_4plusIvEENSB_8equal_toIvEES6_EE10hipError_tPvRmT2_T3_T4_T5_mT6_T7_P12ihipStream_tbENKUlT_T0_E_clISt17integral_constantIbLb0EES13_EEDaSY_SZ_EUlSY_E_NS1_11comp_targetILNS1_3genE3ELNS1_11target_archE908ELNS1_3gpuE7ELNS1_3repE0EEENS1_30default_config_static_selectorELNS0_4arch9wavefront6targetE0EEEvT1_.num_vgpr, 0
	.set _ZN7rocprim17ROCPRIM_400000_NS6detail17trampoline_kernelINS0_14default_configENS1_27scan_by_key_config_selectorIj11FixedVectorIiLj2EEEEZZNS1_16scan_by_key_implILNS1_25lookback_scan_determinismE0ELb1ES3_N6thrust23THRUST_200600_302600_NS6detail15normal_iteratorINSB_10device_ptrIjEEEENSD_INSE_IS6_EEEESI_S6_NSB_4plusIvEENSB_8equal_toIvEES6_EE10hipError_tPvRmT2_T3_T4_T5_mT6_T7_P12ihipStream_tbENKUlT_T0_E_clISt17integral_constantIbLb0EES13_EEDaSY_SZ_EUlSY_E_NS1_11comp_targetILNS1_3genE3ELNS1_11target_archE908ELNS1_3gpuE7ELNS1_3repE0EEENS1_30default_config_static_selectorELNS0_4arch9wavefront6targetE0EEEvT1_.num_agpr, 0
	.set _ZN7rocprim17ROCPRIM_400000_NS6detail17trampoline_kernelINS0_14default_configENS1_27scan_by_key_config_selectorIj11FixedVectorIiLj2EEEEZZNS1_16scan_by_key_implILNS1_25lookback_scan_determinismE0ELb1ES3_N6thrust23THRUST_200600_302600_NS6detail15normal_iteratorINSB_10device_ptrIjEEEENSD_INSE_IS6_EEEESI_S6_NSB_4plusIvEENSB_8equal_toIvEES6_EE10hipError_tPvRmT2_T3_T4_T5_mT6_T7_P12ihipStream_tbENKUlT_T0_E_clISt17integral_constantIbLb0EES13_EEDaSY_SZ_EUlSY_E_NS1_11comp_targetILNS1_3genE3ELNS1_11target_archE908ELNS1_3gpuE7ELNS1_3repE0EEENS1_30default_config_static_selectorELNS0_4arch9wavefront6targetE0EEEvT1_.numbered_sgpr, 0
	.set _ZN7rocprim17ROCPRIM_400000_NS6detail17trampoline_kernelINS0_14default_configENS1_27scan_by_key_config_selectorIj11FixedVectorIiLj2EEEEZZNS1_16scan_by_key_implILNS1_25lookback_scan_determinismE0ELb1ES3_N6thrust23THRUST_200600_302600_NS6detail15normal_iteratorINSB_10device_ptrIjEEEENSD_INSE_IS6_EEEESI_S6_NSB_4plusIvEENSB_8equal_toIvEES6_EE10hipError_tPvRmT2_T3_T4_T5_mT6_T7_P12ihipStream_tbENKUlT_T0_E_clISt17integral_constantIbLb0EES13_EEDaSY_SZ_EUlSY_E_NS1_11comp_targetILNS1_3genE3ELNS1_11target_archE908ELNS1_3gpuE7ELNS1_3repE0EEENS1_30default_config_static_selectorELNS0_4arch9wavefront6targetE0EEEvT1_.num_named_barrier, 0
	.set _ZN7rocprim17ROCPRIM_400000_NS6detail17trampoline_kernelINS0_14default_configENS1_27scan_by_key_config_selectorIj11FixedVectorIiLj2EEEEZZNS1_16scan_by_key_implILNS1_25lookback_scan_determinismE0ELb1ES3_N6thrust23THRUST_200600_302600_NS6detail15normal_iteratorINSB_10device_ptrIjEEEENSD_INSE_IS6_EEEESI_S6_NSB_4plusIvEENSB_8equal_toIvEES6_EE10hipError_tPvRmT2_T3_T4_T5_mT6_T7_P12ihipStream_tbENKUlT_T0_E_clISt17integral_constantIbLb0EES13_EEDaSY_SZ_EUlSY_E_NS1_11comp_targetILNS1_3genE3ELNS1_11target_archE908ELNS1_3gpuE7ELNS1_3repE0EEENS1_30default_config_static_selectorELNS0_4arch9wavefront6targetE0EEEvT1_.private_seg_size, 0
	.set _ZN7rocprim17ROCPRIM_400000_NS6detail17trampoline_kernelINS0_14default_configENS1_27scan_by_key_config_selectorIj11FixedVectorIiLj2EEEEZZNS1_16scan_by_key_implILNS1_25lookback_scan_determinismE0ELb1ES3_N6thrust23THRUST_200600_302600_NS6detail15normal_iteratorINSB_10device_ptrIjEEEENSD_INSE_IS6_EEEESI_S6_NSB_4plusIvEENSB_8equal_toIvEES6_EE10hipError_tPvRmT2_T3_T4_T5_mT6_T7_P12ihipStream_tbENKUlT_T0_E_clISt17integral_constantIbLb0EES13_EEDaSY_SZ_EUlSY_E_NS1_11comp_targetILNS1_3genE3ELNS1_11target_archE908ELNS1_3gpuE7ELNS1_3repE0EEENS1_30default_config_static_selectorELNS0_4arch9wavefront6targetE0EEEvT1_.uses_vcc, 0
	.set _ZN7rocprim17ROCPRIM_400000_NS6detail17trampoline_kernelINS0_14default_configENS1_27scan_by_key_config_selectorIj11FixedVectorIiLj2EEEEZZNS1_16scan_by_key_implILNS1_25lookback_scan_determinismE0ELb1ES3_N6thrust23THRUST_200600_302600_NS6detail15normal_iteratorINSB_10device_ptrIjEEEENSD_INSE_IS6_EEEESI_S6_NSB_4plusIvEENSB_8equal_toIvEES6_EE10hipError_tPvRmT2_T3_T4_T5_mT6_T7_P12ihipStream_tbENKUlT_T0_E_clISt17integral_constantIbLb0EES13_EEDaSY_SZ_EUlSY_E_NS1_11comp_targetILNS1_3genE3ELNS1_11target_archE908ELNS1_3gpuE7ELNS1_3repE0EEENS1_30default_config_static_selectorELNS0_4arch9wavefront6targetE0EEEvT1_.uses_flat_scratch, 0
	.set _ZN7rocprim17ROCPRIM_400000_NS6detail17trampoline_kernelINS0_14default_configENS1_27scan_by_key_config_selectorIj11FixedVectorIiLj2EEEEZZNS1_16scan_by_key_implILNS1_25lookback_scan_determinismE0ELb1ES3_N6thrust23THRUST_200600_302600_NS6detail15normal_iteratorINSB_10device_ptrIjEEEENSD_INSE_IS6_EEEESI_S6_NSB_4plusIvEENSB_8equal_toIvEES6_EE10hipError_tPvRmT2_T3_T4_T5_mT6_T7_P12ihipStream_tbENKUlT_T0_E_clISt17integral_constantIbLb0EES13_EEDaSY_SZ_EUlSY_E_NS1_11comp_targetILNS1_3genE3ELNS1_11target_archE908ELNS1_3gpuE7ELNS1_3repE0EEENS1_30default_config_static_selectorELNS0_4arch9wavefront6targetE0EEEvT1_.has_dyn_sized_stack, 0
	.set _ZN7rocprim17ROCPRIM_400000_NS6detail17trampoline_kernelINS0_14default_configENS1_27scan_by_key_config_selectorIj11FixedVectorIiLj2EEEEZZNS1_16scan_by_key_implILNS1_25lookback_scan_determinismE0ELb1ES3_N6thrust23THRUST_200600_302600_NS6detail15normal_iteratorINSB_10device_ptrIjEEEENSD_INSE_IS6_EEEESI_S6_NSB_4plusIvEENSB_8equal_toIvEES6_EE10hipError_tPvRmT2_T3_T4_T5_mT6_T7_P12ihipStream_tbENKUlT_T0_E_clISt17integral_constantIbLb0EES13_EEDaSY_SZ_EUlSY_E_NS1_11comp_targetILNS1_3genE3ELNS1_11target_archE908ELNS1_3gpuE7ELNS1_3repE0EEENS1_30default_config_static_selectorELNS0_4arch9wavefront6targetE0EEEvT1_.has_recursion, 0
	.set _ZN7rocprim17ROCPRIM_400000_NS6detail17trampoline_kernelINS0_14default_configENS1_27scan_by_key_config_selectorIj11FixedVectorIiLj2EEEEZZNS1_16scan_by_key_implILNS1_25lookback_scan_determinismE0ELb1ES3_N6thrust23THRUST_200600_302600_NS6detail15normal_iteratorINSB_10device_ptrIjEEEENSD_INSE_IS6_EEEESI_S6_NSB_4plusIvEENSB_8equal_toIvEES6_EE10hipError_tPvRmT2_T3_T4_T5_mT6_T7_P12ihipStream_tbENKUlT_T0_E_clISt17integral_constantIbLb0EES13_EEDaSY_SZ_EUlSY_E_NS1_11comp_targetILNS1_3genE3ELNS1_11target_archE908ELNS1_3gpuE7ELNS1_3repE0EEENS1_30default_config_static_selectorELNS0_4arch9wavefront6targetE0EEEvT1_.has_indirect_call, 0
	.section	.AMDGPU.csdata,"",@progbits
; Kernel info:
; codeLenInByte = 0
; TotalNumSgprs: 0
; NumVgprs: 0
; ScratchSize: 0
; MemoryBound: 0
; FloatMode: 240
; IeeeMode: 1
; LDSByteSize: 0 bytes/workgroup (compile time only)
; SGPRBlocks: 0
; VGPRBlocks: 0
; NumSGPRsForWavesPerEU: 1
; NumVGPRsForWavesPerEU: 1
; Occupancy: 16
; WaveLimiterHint : 0
; COMPUTE_PGM_RSRC2:SCRATCH_EN: 0
; COMPUTE_PGM_RSRC2:USER_SGPR: 6
; COMPUTE_PGM_RSRC2:TRAP_HANDLER: 0
; COMPUTE_PGM_RSRC2:TGID_X_EN: 1
; COMPUTE_PGM_RSRC2:TGID_Y_EN: 0
; COMPUTE_PGM_RSRC2:TGID_Z_EN: 0
; COMPUTE_PGM_RSRC2:TIDIG_COMP_CNT: 0
	.section	.text._ZN7rocprim17ROCPRIM_400000_NS6detail17trampoline_kernelINS0_14default_configENS1_27scan_by_key_config_selectorIj11FixedVectorIiLj2EEEEZZNS1_16scan_by_key_implILNS1_25lookback_scan_determinismE0ELb1ES3_N6thrust23THRUST_200600_302600_NS6detail15normal_iteratorINSB_10device_ptrIjEEEENSD_INSE_IS6_EEEESI_S6_NSB_4plusIvEENSB_8equal_toIvEES6_EE10hipError_tPvRmT2_T3_T4_T5_mT6_T7_P12ihipStream_tbENKUlT_T0_E_clISt17integral_constantIbLb0EES13_EEDaSY_SZ_EUlSY_E_NS1_11comp_targetILNS1_3genE2ELNS1_11target_archE906ELNS1_3gpuE6ELNS1_3repE0EEENS1_30default_config_static_selectorELNS0_4arch9wavefront6targetE0EEEvT1_,"axG",@progbits,_ZN7rocprim17ROCPRIM_400000_NS6detail17trampoline_kernelINS0_14default_configENS1_27scan_by_key_config_selectorIj11FixedVectorIiLj2EEEEZZNS1_16scan_by_key_implILNS1_25lookback_scan_determinismE0ELb1ES3_N6thrust23THRUST_200600_302600_NS6detail15normal_iteratorINSB_10device_ptrIjEEEENSD_INSE_IS6_EEEESI_S6_NSB_4plusIvEENSB_8equal_toIvEES6_EE10hipError_tPvRmT2_T3_T4_T5_mT6_T7_P12ihipStream_tbENKUlT_T0_E_clISt17integral_constantIbLb0EES13_EEDaSY_SZ_EUlSY_E_NS1_11comp_targetILNS1_3genE2ELNS1_11target_archE906ELNS1_3gpuE6ELNS1_3repE0EEENS1_30default_config_static_selectorELNS0_4arch9wavefront6targetE0EEEvT1_,comdat
	.protected	_ZN7rocprim17ROCPRIM_400000_NS6detail17trampoline_kernelINS0_14default_configENS1_27scan_by_key_config_selectorIj11FixedVectorIiLj2EEEEZZNS1_16scan_by_key_implILNS1_25lookback_scan_determinismE0ELb1ES3_N6thrust23THRUST_200600_302600_NS6detail15normal_iteratorINSB_10device_ptrIjEEEENSD_INSE_IS6_EEEESI_S6_NSB_4plusIvEENSB_8equal_toIvEES6_EE10hipError_tPvRmT2_T3_T4_T5_mT6_T7_P12ihipStream_tbENKUlT_T0_E_clISt17integral_constantIbLb0EES13_EEDaSY_SZ_EUlSY_E_NS1_11comp_targetILNS1_3genE2ELNS1_11target_archE906ELNS1_3gpuE6ELNS1_3repE0EEENS1_30default_config_static_selectorELNS0_4arch9wavefront6targetE0EEEvT1_ ; -- Begin function _ZN7rocprim17ROCPRIM_400000_NS6detail17trampoline_kernelINS0_14default_configENS1_27scan_by_key_config_selectorIj11FixedVectorIiLj2EEEEZZNS1_16scan_by_key_implILNS1_25lookback_scan_determinismE0ELb1ES3_N6thrust23THRUST_200600_302600_NS6detail15normal_iteratorINSB_10device_ptrIjEEEENSD_INSE_IS6_EEEESI_S6_NSB_4plusIvEENSB_8equal_toIvEES6_EE10hipError_tPvRmT2_T3_T4_T5_mT6_T7_P12ihipStream_tbENKUlT_T0_E_clISt17integral_constantIbLb0EES13_EEDaSY_SZ_EUlSY_E_NS1_11comp_targetILNS1_3genE2ELNS1_11target_archE906ELNS1_3gpuE6ELNS1_3repE0EEENS1_30default_config_static_selectorELNS0_4arch9wavefront6targetE0EEEvT1_
	.globl	_ZN7rocprim17ROCPRIM_400000_NS6detail17trampoline_kernelINS0_14default_configENS1_27scan_by_key_config_selectorIj11FixedVectorIiLj2EEEEZZNS1_16scan_by_key_implILNS1_25lookback_scan_determinismE0ELb1ES3_N6thrust23THRUST_200600_302600_NS6detail15normal_iteratorINSB_10device_ptrIjEEEENSD_INSE_IS6_EEEESI_S6_NSB_4plusIvEENSB_8equal_toIvEES6_EE10hipError_tPvRmT2_T3_T4_T5_mT6_T7_P12ihipStream_tbENKUlT_T0_E_clISt17integral_constantIbLb0EES13_EEDaSY_SZ_EUlSY_E_NS1_11comp_targetILNS1_3genE2ELNS1_11target_archE906ELNS1_3gpuE6ELNS1_3repE0EEENS1_30default_config_static_selectorELNS0_4arch9wavefront6targetE0EEEvT1_
	.p2align	8
	.type	_ZN7rocprim17ROCPRIM_400000_NS6detail17trampoline_kernelINS0_14default_configENS1_27scan_by_key_config_selectorIj11FixedVectorIiLj2EEEEZZNS1_16scan_by_key_implILNS1_25lookback_scan_determinismE0ELb1ES3_N6thrust23THRUST_200600_302600_NS6detail15normal_iteratorINSB_10device_ptrIjEEEENSD_INSE_IS6_EEEESI_S6_NSB_4plusIvEENSB_8equal_toIvEES6_EE10hipError_tPvRmT2_T3_T4_T5_mT6_T7_P12ihipStream_tbENKUlT_T0_E_clISt17integral_constantIbLb0EES13_EEDaSY_SZ_EUlSY_E_NS1_11comp_targetILNS1_3genE2ELNS1_11target_archE906ELNS1_3gpuE6ELNS1_3repE0EEENS1_30default_config_static_selectorELNS0_4arch9wavefront6targetE0EEEvT1_,@function
_ZN7rocprim17ROCPRIM_400000_NS6detail17trampoline_kernelINS0_14default_configENS1_27scan_by_key_config_selectorIj11FixedVectorIiLj2EEEEZZNS1_16scan_by_key_implILNS1_25lookback_scan_determinismE0ELb1ES3_N6thrust23THRUST_200600_302600_NS6detail15normal_iteratorINSB_10device_ptrIjEEEENSD_INSE_IS6_EEEESI_S6_NSB_4plusIvEENSB_8equal_toIvEES6_EE10hipError_tPvRmT2_T3_T4_T5_mT6_T7_P12ihipStream_tbENKUlT_T0_E_clISt17integral_constantIbLb0EES13_EEDaSY_SZ_EUlSY_E_NS1_11comp_targetILNS1_3genE2ELNS1_11target_archE906ELNS1_3gpuE6ELNS1_3repE0EEENS1_30default_config_static_selectorELNS0_4arch9wavefront6targetE0EEEvT1_: ; @_ZN7rocprim17ROCPRIM_400000_NS6detail17trampoline_kernelINS0_14default_configENS1_27scan_by_key_config_selectorIj11FixedVectorIiLj2EEEEZZNS1_16scan_by_key_implILNS1_25lookback_scan_determinismE0ELb1ES3_N6thrust23THRUST_200600_302600_NS6detail15normal_iteratorINSB_10device_ptrIjEEEENSD_INSE_IS6_EEEESI_S6_NSB_4plusIvEENSB_8equal_toIvEES6_EE10hipError_tPvRmT2_T3_T4_T5_mT6_T7_P12ihipStream_tbENKUlT_T0_E_clISt17integral_constantIbLb0EES13_EEDaSY_SZ_EUlSY_E_NS1_11comp_targetILNS1_3genE2ELNS1_11target_archE906ELNS1_3gpuE6ELNS1_3repE0EEENS1_30default_config_static_selectorELNS0_4arch9wavefront6targetE0EEEvT1_
; %bb.0:
	.section	.rodata,"a",@progbits
	.p2align	6, 0x0
	.amdhsa_kernel _ZN7rocprim17ROCPRIM_400000_NS6detail17trampoline_kernelINS0_14default_configENS1_27scan_by_key_config_selectorIj11FixedVectorIiLj2EEEEZZNS1_16scan_by_key_implILNS1_25lookback_scan_determinismE0ELb1ES3_N6thrust23THRUST_200600_302600_NS6detail15normal_iteratorINSB_10device_ptrIjEEEENSD_INSE_IS6_EEEESI_S6_NSB_4plusIvEENSB_8equal_toIvEES6_EE10hipError_tPvRmT2_T3_T4_T5_mT6_T7_P12ihipStream_tbENKUlT_T0_E_clISt17integral_constantIbLb0EES13_EEDaSY_SZ_EUlSY_E_NS1_11comp_targetILNS1_3genE2ELNS1_11target_archE906ELNS1_3gpuE6ELNS1_3repE0EEENS1_30default_config_static_selectorELNS0_4arch9wavefront6targetE0EEEvT1_
		.amdhsa_group_segment_fixed_size 0
		.amdhsa_private_segment_fixed_size 0
		.amdhsa_kernarg_size 120
		.amdhsa_user_sgpr_count 6
		.amdhsa_user_sgpr_private_segment_buffer 1
		.amdhsa_user_sgpr_dispatch_ptr 0
		.amdhsa_user_sgpr_queue_ptr 0
		.amdhsa_user_sgpr_kernarg_segment_ptr 1
		.amdhsa_user_sgpr_dispatch_id 0
		.amdhsa_user_sgpr_flat_scratch_init 0
		.amdhsa_user_sgpr_private_segment_size 0
		.amdhsa_wavefront_size32 1
		.amdhsa_uses_dynamic_stack 0
		.amdhsa_system_sgpr_private_segment_wavefront_offset 0
		.amdhsa_system_sgpr_workgroup_id_x 1
		.amdhsa_system_sgpr_workgroup_id_y 0
		.amdhsa_system_sgpr_workgroup_id_z 0
		.amdhsa_system_sgpr_workgroup_info 0
		.amdhsa_system_vgpr_workitem_id 0
		.amdhsa_next_free_vgpr 1
		.amdhsa_next_free_sgpr 1
		.amdhsa_reserve_vcc 0
		.amdhsa_reserve_flat_scratch 0
		.amdhsa_float_round_mode_32 0
		.amdhsa_float_round_mode_16_64 0
		.amdhsa_float_denorm_mode_32 3
		.amdhsa_float_denorm_mode_16_64 3
		.amdhsa_dx10_clamp 1
		.amdhsa_ieee_mode 1
		.amdhsa_fp16_overflow 0
		.amdhsa_workgroup_processor_mode 1
		.amdhsa_memory_ordered 1
		.amdhsa_forward_progress 1
		.amdhsa_shared_vgpr_count 0
		.amdhsa_exception_fp_ieee_invalid_op 0
		.amdhsa_exception_fp_denorm_src 0
		.amdhsa_exception_fp_ieee_div_zero 0
		.amdhsa_exception_fp_ieee_overflow 0
		.amdhsa_exception_fp_ieee_underflow 0
		.amdhsa_exception_fp_ieee_inexact 0
		.amdhsa_exception_int_div_zero 0
	.end_amdhsa_kernel
	.section	.text._ZN7rocprim17ROCPRIM_400000_NS6detail17trampoline_kernelINS0_14default_configENS1_27scan_by_key_config_selectorIj11FixedVectorIiLj2EEEEZZNS1_16scan_by_key_implILNS1_25lookback_scan_determinismE0ELb1ES3_N6thrust23THRUST_200600_302600_NS6detail15normal_iteratorINSB_10device_ptrIjEEEENSD_INSE_IS6_EEEESI_S6_NSB_4plusIvEENSB_8equal_toIvEES6_EE10hipError_tPvRmT2_T3_T4_T5_mT6_T7_P12ihipStream_tbENKUlT_T0_E_clISt17integral_constantIbLb0EES13_EEDaSY_SZ_EUlSY_E_NS1_11comp_targetILNS1_3genE2ELNS1_11target_archE906ELNS1_3gpuE6ELNS1_3repE0EEENS1_30default_config_static_selectorELNS0_4arch9wavefront6targetE0EEEvT1_,"axG",@progbits,_ZN7rocprim17ROCPRIM_400000_NS6detail17trampoline_kernelINS0_14default_configENS1_27scan_by_key_config_selectorIj11FixedVectorIiLj2EEEEZZNS1_16scan_by_key_implILNS1_25lookback_scan_determinismE0ELb1ES3_N6thrust23THRUST_200600_302600_NS6detail15normal_iteratorINSB_10device_ptrIjEEEENSD_INSE_IS6_EEEESI_S6_NSB_4plusIvEENSB_8equal_toIvEES6_EE10hipError_tPvRmT2_T3_T4_T5_mT6_T7_P12ihipStream_tbENKUlT_T0_E_clISt17integral_constantIbLb0EES13_EEDaSY_SZ_EUlSY_E_NS1_11comp_targetILNS1_3genE2ELNS1_11target_archE906ELNS1_3gpuE6ELNS1_3repE0EEENS1_30default_config_static_selectorELNS0_4arch9wavefront6targetE0EEEvT1_,comdat
.Lfunc_end1998:
	.size	_ZN7rocprim17ROCPRIM_400000_NS6detail17trampoline_kernelINS0_14default_configENS1_27scan_by_key_config_selectorIj11FixedVectorIiLj2EEEEZZNS1_16scan_by_key_implILNS1_25lookback_scan_determinismE0ELb1ES3_N6thrust23THRUST_200600_302600_NS6detail15normal_iteratorINSB_10device_ptrIjEEEENSD_INSE_IS6_EEEESI_S6_NSB_4plusIvEENSB_8equal_toIvEES6_EE10hipError_tPvRmT2_T3_T4_T5_mT6_T7_P12ihipStream_tbENKUlT_T0_E_clISt17integral_constantIbLb0EES13_EEDaSY_SZ_EUlSY_E_NS1_11comp_targetILNS1_3genE2ELNS1_11target_archE906ELNS1_3gpuE6ELNS1_3repE0EEENS1_30default_config_static_selectorELNS0_4arch9wavefront6targetE0EEEvT1_, .Lfunc_end1998-_ZN7rocprim17ROCPRIM_400000_NS6detail17trampoline_kernelINS0_14default_configENS1_27scan_by_key_config_selectorIj11FixedVectorIiLj2EEEEZZNS1_16scan_by_key_implILNS1_25lookback_scan_determinismE0ELb1ES3_N6thrust23THRUST_200600_302600_NS6detail15normal_iteratorINSB_10device_ptrIjEEEENSD_INSE_IS6_EEEESI_S6_NSB_4plusIvEENSB_8equal_toIvEES6_EE10hipError_tPvRmT2_T3_T4_T5_mT6_T7_P12ihipStream_tbENKUlT_T0_E_clISt17integral_constantIbLb0EES13_EEDaSY_SZ_EUlSY_E_NS1_11comp_targetILNS1_3genE2ELNS1_11target_archE906ELNS1_3gpuE6ELNS1_3repE0EEENS1_30default_config_static_selectorELNS0_4arch9wavefront6targetE0EEEvT1_
                                        ; -- End function
	.set _ZN7rocprim17ROCPRIM_400000_NS6detail17trampoline_kernelINS0_14default_configENS1_27scan_by_key_config_selectorIj11FixedVectorIiLj2EEEEZZNS1_16scan_by_key_implILNS1_25lookback_scan_determinismE0ELb1ES3_N6thrust23THRUST_200600_302600_NS6detail15normal_iteratorINSB_10device_ptrIjEEEENSD_INSE_IS6_EEEESI_S6_NSB_4plusIvEENSB_8equal_toIvEES6_EE10hipError_tPvRmT2_T3_T4_T5_mT6_T7_P12ihipStream_tbENKUlT_T0_E_clISt17integral_constantIbLb0EES13_EEDaSY_SZ_EUlSY_E_NS1_11comp_targetILNS1_3genE2ELNS1_11target_archE906ELNS1_3gpuE6ELNS1_3repE0EEENS1_30default_config_static_selectorELNS0_4arch9wavefront6targetE0EEEvT1_.num_vgpr, 0
	.set _ZN7rocprim17ROCPRIM_400000_NS6detail17trampoline_kernelINS0_14default_configENS1_27scan_by_key_config_selectorIj11FixedVectorIiLj2EEEEZZNS1_16scan_by_key_implILNS1_25lookback_scan_determinismE0ELb1ES3_N6thrust23THRUST_200600_302600_NS6detail15normal_iteratorINSB_10device_ptrIjEEEENSD_INSE_IS6_EEEESI_S6_NSB_4plusIvEENSB_8equal_toIvEES6_EE10hipError_tPvRmT2_T3_T4_T5_mT6_T7_P12ihipStream_tbENKUlT_T0_E_clISt17integral_constantIbLb0EES13_EEDaSY_SZ_EUlSY_E_NS1_11comp_targetILNS1_3genE2ELNS1_11target_archE906ELNS1_3gpuE6ELNS1_3repE0EEENS1_30default_config_static_selectorELNS0_4arch9wavefront6targetE0EEEvT1_.num_agpr, 0
	.set _ZN7rocprim17ROCPRIM_400000_NS6detail17trampoline_kernelINS0_14default_configENS1_27scan_by_key_config_selectorIj11FixedVectorIiLj2EEEEZZNS1_16scan_by_key_implILNS1_25lookback_scan_determinismE0ELb1ES3_N6thrust23THRUST_200600_302600_NS6detail15normal_iteratorINSB_10device_ptrIjEEEENSD_INSE_IS6_EEEESI_S6_NSB_4plusIvEENSB_8equal_toIvEES6_EE10hipError_tPvRmT2_T3_T4_T5_mT6_T7_P12ihipStream_tbENKUlT_T0_E_clISt17integral_constantIbLb0EES13_EEDaSY_SZ_EUlSY_E_NS1_11comp_targetILNS1_3genE2ELNS1_11target_archE906ELNS1_3gpuE6ELNS1_3repE0EEENS1_30default_config_static_selectorELNS0_4arch9wavefront6targetE0EEEvT1_.numbered_sgpr, 0
	.set _ZN7rocprim17ROCPRIM_400000_NS6detail17trampoline_kernelINS0_14default_configENS1_27scan_by_key_config_selectorIj11FixedVectorIiLj2EEEEZZNS1_16scan_by_key_implILNS1_25lookback_scan_determinismE0ELb1ES3_N6thrust23THRUST_200600_302600_NS6detail15normal_iteratorINSB_10device_ptrIjEEEENSD_INSE_IS6_EEEESI_S6_NSB_4plusIvEENSB_8equal_toIvEES6_EE10hipError_tPvRmT2_T3_T4_T5_mT6_T7_P12ihipStream_tbENKUlT_T0_E_clISt17integral_constantIbLb0EES13_EEDaSY_SZ_EUlSY_E_NS1_11comp_targetILNS1_3genE2ELNS1_11target_archE906ELNS1_3gpuE6ELNS1_3repE0EEENS1_30default_config_static_selectorELNS0_4arch9wavefront6targetE0EEEvT1_.num_named_barrier, 0
	.set _ZN7rocprim17ROCPRIM_400000_NS6detail17trampoline_kernelINS0_14default_configENS1_27scan_by_key_config_selectorIj11FixedVectorIiLj2EEEEZZNS1_16scan_by_key_implILNS1_25lookback_scan_determinismE0ELb1ES3_N6thrust23THRUST_200600_302600_NS6detail15normal_iteratorINSB_10device_ptrIjEEEENSD_INSE_IS6_EEEESI_S6_NSB_4plusIvEENSB_8equal_toIvEES6_EE10hipError_tPvRmT2_T3_T4_T5_mT6_T7_P12ihipStream_tbENKUlT_T0_E_clISt17integral_constantIbLb0EES13_EEDaSY_SZ_EUlSY_E_NS1_11comp_targetILNS1_3genE2ELNS1_11target_archE906ELNS1_3gpuE6ELNS1_3repE0EEENS1_30default_config_static_selectorELNS0_4arch9wavefront6targetE0EEEvT1_.private_seg_size, 0
	.set _ZN7rocprim17ROCPRIM_400000_NS6detail17trampoline_kernelINS0_14default_configENS1_27scan_by_key_config_selectorIj11FixedVectorIiLj2EEEEZZNS1_16scan_by_key_implILNS1_25lookback_scan_determinismE0ELb1ES3_N6thrust23THRUST_200600_302600_NS6detail15normal_iteratorINSB_10device_ptrIjEEEENSD_INSE_IS6_EEEESI_S6_NSB_4plusIvEENSB_8equal_toIvEES6_EE10hipError_tPvRmT2_T3_T4_T5_mT6_T7_P12ihipStream_tbENKUlT_T0_E_clISt17integral_constantIbLb0EES13_EEDaSY_SZ_EUlSY_E_NS1_11comp_targetILNS1_3genE2ELNS1_11target_archE906ELNS1_3gpuE6ELNS1_3repE0EEENS1_30default_config_static_selectorELNS0_4arch9wavefront6targetE0EEEvT1_.uses_vcc, 0
	.set _ZN7rocprim17ROCPRIM_400000_NS6detail17trampoline_kernelINS0_14default_configENS1_27scan_by_key_config_selectorIj11FixedVectorIiLj2EEEEZZNS1_16scan_by_key_implILNS1_25lookback_scan_determinismE0ELb1ES3_N6thrust23THRUST_200600_302600_NS6detail15normal_iteratorINSB_10device_ptrIjEEEENSD_INSE_IS6_EEEESI_S6_NSB_4plusIvEENSB_8equal_toIvEES6_EE10hipError_tPvRmT2_T3_T4_T5_mT6_T7_P12ihipStream_tbENKUlT_T0_E_clISt17integral_constantIbLb0EES13_EEDaSY_SZ_EUlSY_E_NS1_11comp_targetILNS1_3genE2ELNS1_11target_archE906ELNS1_3gpuE6ELNS1_3repE0EEENS1_30default_config_static_selectorELNS0_4arch9wavefront6targetE0EEEvT1_.uses_flat_scratch, 0
	.set _ZN7rocprim17ROCPRIM_400000_NS6detail17trampoline_kernelINS0_14default_configENS1_27scan_by_key_config_selectorIj11FixedVectorIiLj2EEEEZZNS1_16scan_by_key_implILNS1_25lookback_scan_determinismE0ELb1ES3_N6thrust23THRUST_200600_302600_NS6detail15normal_iteratorINSB_10device_ptrIjEEEENSD_INSE_IS6_EEEESI_S6_NSB_4plusIvEENSB_8equal_toIvEES6_EE10hipError_tPvRmT2_T3_T4_T5_mT6_T7_P12ihipStream_tbENKUlT_T0_E_clISt17integral_constantIbLb0EES13_EEDaSY_SZ_EUlSY_E_NS1_11comp_targetILNS1_3genE2ELNS1_11target_archE906ELNS1_3gpuE6ELNS1_3repE0EEENS1_30default_config_static_selectorELNS0_4arch9wavefront6targetE0EEEvT1_.has_dyn_sized_stack, 0
	.set _ZN7rocprim17ROCPRIM_400000_NS6detail17trampoline_kernelINS0_14default_configENS1_27scan_by_key_config_selectorIj11FixedVectorIiLj2EEEEZZNS1_16scan_by_key_implILNS1_25lookback_scan_determinismE0ELb1ES3_N6thrust23THRUST_200600_302600_NS6detail15normal_iteratorINSB_10device_ptrIjEEEENSD_INSE_IS6_EEEESI_S6_NSB_4plusIvEENSB_8equal_toIvEES6_EE10hipError_tPvRmT2_T3_T4_T5_mT6_T7_P12ihipStream_tbENKUlT_T0_E_clISt17integral_constantIbLb0EES13_EEDaSY_SZ_EUlSY_E_NS1_11comp_targetILNS1_3genE2ELNS1_11target_archE906ELNS1_3gpuE6ELNS1_3repE0EEENS1_30default_config_static_selectorELNS0_4arch9wavefront6targetE0EEEvT1_.has_recursion, 0
	.set _ZN7rocprim17ROCPRIM_400000_NS6detail17trampoline_kernelINS0_14default_configENS1_27scan_by_key_config_selectorIj11FixedVectorIiLj2EEEEZZNS1_16scan_by_key_implILNS1_25lookback_scan_determinismE0ELb1ES3_N6thrust23THRUST_200600_302600_NS6detail15normal_iteratorINSB_10device_ptrIjEEEENSD_INSE_IS6_EEEESI_S6_NSB_4plusIvEENSB_8equal_toIvEES6_EE10hipError_tPvRmT2_T3_T4_T5_mT6_T7_P12ihipStream_tbENKUlT_T0_E_clISt17integral_constantIbLb0EES13_EEDaSY_SZ_EUlSY_E_NS1_11comp_targetILNS1_3genE2ELNS1_11target_archE906ELNS1_3gpuE6ELNS1_3repE0EEENS1_30default_config_static_selectorELNS0_4arch9wavefront6targetE0EEEvT1_.has_indirect_call, 0
	.section	.AMDGPU.csdata,"",@progbits
; Kernel info:
; codeLenInByte = 0
; TotalNumSgprs: 0
; NumVgprs: 0
; ScratchSize: 0
; MemoryBound: 0
; FloatMode: 240
; IeeeMode: 1
; LDSByteSize: 0 bytes/workgroup (compile time only)
; SGPRBlocks: 0
; VGPRBlocks: 0
; NumSGPRsForWavesPerEU: 1
; NumVGPRsForWavesPerEU: 1
; Occupancy: 16
; WaveLimiterHint : 0
; COMPUTE_PGM_RSRC2:SCRATCH_EN: 0
; COMPUTE_PGM_RSRC2:USER_SGPR: 6
; COMPUTE_PGM_RSRC2:TRAP_HANDLER: 0
; COMPUTE_PGM_RSRC2:TGID_X_EN: 1
; COMPUTE_PGM_RSRC2:TGID_Y_EN: 0
; COMPUTE_PGM_RSRC2:TGID_Z_EN: 0
; COMPUTE_PGM_RSRC2:TIDIG_COMP_CNT: 0
	.section	.text._ZN7rocprim17ROCPRIM_400000_NS6detail17trampoline_kernelINS0_14default_configENS1_27scan_by_key_config_selectorIj11FixedVectorIiLj2EEEEZZNS1_16scan_by_key_implILNS1_25lookback_scan_determinismE0ELb1ES3_N6thrust23THRUST_200600_302600_NS6detail15normal_iteratorINSB_10device_ptrIjEEEENSD_INSE_IS6_EEEESI_S6_NSB_4plusIvEENSB_8equal_toIvEES6_EE10hipError_tPvRmT2_T3_T4_T5_mT6_T7_P12ihipStream_tbENKUlT_T0_E_clISt17integral_constantIbLb0EES13_EEDaSY_SZ_EUlSY_E_NS1_11comp_targetILNS1_3genE10ELNS1_11target_archE1200ELNS1_3gpuE4ELNS1_3repE0EEENS1_30default_config_static_selectorELNS0_4arch9wavefront6targetE0EEEvT1_,"axG",@progbits,_ZN7rocprim17ROCPRIM_400000_NS6detail17trampoline_kernelINS0_14default_configENS1_27scan_by_key_config_selectorIj11FixedVectorIiLj2EEEEZZNS1_16scan_by_key_implILNS1_25lookback_scan_determinismE0ELb1ES3_N6thrust23THRUST_200600_302600_NS6detail15normal_iteratorINSB_10device_ptrIjEEEENSD_INSE_IS6_EEEESI_S6_NSB_4plusIvEENSB_8equal_toIvEES6_EE10hipError_tPvRmT2_T3_T4_T5_mT6_T7_P12ihipStream_tbENKUlT_T0_E_clISt17integral_constantIbLb0EES13_EEDaSY_SZ_EUlSY_E_NS1_11comp_targetILNS1_3genE10ELNS1_11target_archE1200ELNS1_3gpuE4ELNS1_3repE0EEENS1_30default_config_static_selectorELNS0_4arch9wavefront6targetE0EEEvT1_,comdat
	.protected	_ZN7rocprim17ROCPRIM_400000_NS6detail17trampoline_kernelINS0_14default_configENS1_27scan_by_key_config_selectorIj11FixedVectorIiLj2EEEEZZNS1_16scan_by_key_implILNS1_25lookback_scan_determinismE0ELb1ES3_N6thrust23THRUST_200600_302600_NS6detail15normal_iteratorINSB_10device_ptrIjEEEENSD_INSE_IS6_EEEESI_S6_NSB_4plusIvEENSB_8equal_toIvEES6_EE10hipError_tPvRmT2_T3_T4_T5_mT6_T7_P12ihipStream_tbENKUlT_T0_E_clISt17integral_constantIbLb0EES13_EEDaSY_SZ_EUlSY_E_NS1_11comp_targetILNS1_3genE10ELNS1_11target_archE1200ELNS1_3gpuE4ELNS1_3repE0EEENS1_30default_config_static_selectorELNS0_4arch9wavefront6targetE0EEEvT1_ ; -- Begin function _ZN7rocprim17ROCPRIM_400000_NS6detail17trampoline_kernelINS0_14default_configENS1_27scan_by_key_config_selectorIj11FixedVectorIiLj2EEEEZZNS1_16scan_by_key_implILNS1_25lookback_scan_determinismE0ELb1ES3_N6thrust23THRUST_200600_302600_NS6detail15normal_iteratorINSB_10device_ptrIjEEEENSD_INSE_IS6_EEEESI_S6_NSB_4plusIvEENSB_8equal_toIvEES6_EE10hipError_tPvRmT2_T3_T4_T5_mT6_T7_P12ihipStream_tbENKUlT_T0_E_clISt17integral_constantIbLb0EES13_EEDaSY_SZ_EUlSY_E_NS1_11comp_targetILNS1_3genE10ELNS1_11target_archE1200ELNS1_3gpuE4ELNS1_3repE0EEENS1_30default_config_static_selectorELNS0_4arch9wavefront6targetE0EEEvT1_
	.globl	_ZN7rocprim17ROCPRIM_400000_NS6detail17trampoline_kernelINS0_14default_configENS1_27scan_by_key_config_selectorIj11FixedVectorIiLj2EEEEZZNS1_16scan_by_key_implILNS1_25lookback_scan_determinismE0ELb1ES3_N6thrust23THRUST_200600_302600_NS6detail15normal_iteratorINSB_10device_ptrIjEEEENSD_INSE_IS6_EEEESI_S6_NSB_4plusIvEENSB_8equal_toIvEES6_EE10hipError_tPvRmT2_T3_T4_T5_mT6_T7_P12ihipStream_tbENKUlT_T0_E_clISt17integral_constantIbLb0EES13_EEDaSY_SZ_EUlSY_E_NS1_11comp_targetILNS1_3genE10ELNS1_11target_archE1200ELNS1_3gpuE4ELNS1_3repE0EEENS1_30default_config_static_selectorELNS0_4arch9wavefront6targetE0EEEvT1_
	.p2align	8
	.type	_ZN7rocprim17ROCPRIM_400000_NS6detail17trampoline_kernelINS0_14default_configENS1_27scan_by_key_config_selectorIj11FixedVectorIiLj2EEEEZZNS1_16scan_by_key_implILNS1_25lookback_scan_determinismE0ELb1ES3_N6thrust23THRUST_200600_302600_NS6detail15normal_iteratorINSB_10device_ptrIjEEEENSD_INSE_IS6_EEEESI_S6_NSB_4plusIvEENSB_8equal_toIvEES6_EE10hipError_tPvRmT2_T3_T4_T5_mT6_T7_P12ihipStream_tbENKUlT_T0_E_clISt17integral_constantIbLb0EES13_EEDaSY_SZ_EUlSY_E_NS1_11comp_targetILNS1_3genE10ELNS1_11target_archE1200ELNS1_3gpuE4ELNS1_3repE0EEENS1_30default_config_static_selectorELNS0_4arch9wavefront6targetE0EEEvT1_,@function
_ZN7rocprim17ROCPRIM_400000_NS6detail17trampoline_kernelINS0_14default_configENS1_27scan_by_key_config_selectorIj11FixedVectorIiLj2EEEEZZNS1_16scan_by_key_implILNS1_25lookback_scan_determinismE0ELb1ES3_N6thrust23THRUST_200600_302600_NS6detail15normal_iteratorINSB_10device_ptrIjEEEENSD_INSE_IS6_EEEESI_S6_NSB_4plusIvEENSB_8equal_toIvEES6_EE10hipError_tPvRmT2_T3_T4_T5_mT6_T7_P12ihipStream_tbENKUlT_T0_E_clISt17integral_constantIbLb0EES13_EEDaSY_SZ_EUlSY_E_NS1_11comp_targetILNS1_3genE10ELNS1_11target_archE1200ELNS1_3gpuE4ELNS1_3repE0EEENS1_30default_config_static_selectorELNS0_4arch9wavefront6targetE0EEEvT1_: ; @_ZN7rocprim17ROCPRIM_400000_NS6detail17trampoline_kernelINS0_14default_configENS1_27scan_by_key_config_selectorIj11FixedVectorIiLj2EEEEZZNS1_16scan_by_key_implILNS1_25lookback_scan_determinismE0ELb1ES3_N6thrust23THRUST_200600_302600_NS6detail15normal_iteratorINSB_10device_ptrIjEEEENSD_INSE_IS6_EEEESI_S6_NSB_4plusIvEENSB_8equal_toIvEES6_EE10hipError_tPvRmT2_T3_T4_T5_mT6_T7_P12ihipStream_tbENKUlT_T0_E_clISt17integral_constantIbLb0EES13_EEDaSY_SZ_EUlSY_E_NS1_11comp_targetILNS1_3genE10ELNS1_11target_archE1200ELNS1_3gpuE4ELNS1_3repE0EEENS1_30default_config_static_selectorELNS0_4arch9wavefront6targetE0EEEvT1_
; %bb.0:
	.section	.rodata,"a",@progbits
	.p2align	6, 0x0
	.amdhsa_kernel _ZN7rocprim17ROCPRIM_400000_NS6detail17trampoline_kernelINS0_14default_configENS1_27scan_by_key_config_selectorIj11FixedVectorIiLj2EEEEZZNS1_16scan_by_key_implILNS1_25lookback_scan_determinismE0ELb1ES3_N6thrust23THRUST_200600_302600_NS6detail15normal_iteratorINSB_10device_ptrIjEEEENSD_INSE_IS6_EEEESI_S6_NSB_4plusIvEENSB_8equal_toIvEES6_EE10hipError_tPvRmT2_T3_T4_T5_mT6_T7_P12ihipStream_tbENKUlT_T0_E_clISt17integral_constantIbLb0EES13_EEDaSY_SZ_EUlSY_E_NS1_11comp_targetILNS1_3genE10ELNS1_11target_archE1200ELNS1_3gpuE4ELNS1_3repE0EEENS1_30default_config_static_selectorELNS0_4arch9wavefront6targetE0EEEvT1_
		.amdhsa_group_segment_fixed_size 0
		.amdhsa_private_segment_fixed_size 0
		.amdhsa_kernarg_size 120
		.amdhsa_user_sgpr_count 6
		.amdhsa_user_sgpr_private_segment_buffer 1
		.amdhsa_user_sgpr_dispatch_ptr 0
		.amdhsa_user_sgpr_queue_ptr 0
		.amdhsa_user_sgpr_kernarg_segment_ptr 1
		.amdhsa_user_sgpr_dispatch_id 0
		.amdhsa_user_sgpr_flat_scratch_init 0
		.amdhsa_user_sgpr_private_segment_size 0
		.amdhsa_wavefront_size32 1
		.amdhsa_uses_dynamic_stack 0
		.amdhsa_system_sgpr_private_segment_wavefront_offset 0
		.amdhsa_system_sgpr_workgroup_id_x 1
		.amdhsa_system_sgpr_workgroup_id_y 0
		.amdhsa_system_sgpr_workgroup_id_z 0
		.amdhsa_system_sgpr_workgroup_info 0
		.amdhsa_system_vgpr_workitem_id 0
		.amdhsa_next_free_vgpr 1
		.amdhsa_next_free_sgpr 1
		.amdhsa_reserve_vcc 0
		.amdhsa_reserve_flat_scratch 0
		.amdhsa_float_round_mode_32 0
		.amdhsa_float_round_mode_16_64 0
		.amdhsa_float_denorm_mode_32 3
		.amdhsa_float_denorm_mode_16_64 3
		.amdhsa_dx10_clamp 1
		.amdhsa_ieee_mode 1
		.amdhsa_fp16_overflow 0
		.amdhsa_workgroup_processor_mode 1
		.amdhsa_memory_ordered 1
		.amdhsa_forward_progress 1
		.amdhsa_shared_vgpr_count 0
		.amdhsa_exception_fp_ieee_invalid_op 0
		.amdhsa_exception_fp_denorm_src 0
		.amdhsa_exception_fp_ieee_div_zero 0
		.amdhsa_exception_fp_ieee_overflow 0
		.amdhsa_exception_fp_ieee_underflow 0
		.amdhsa_exception_fp_ieee_inexact 0
		.amdhsa_exception_int_div_zero 0
	.end_amdhsa_kernel
	.section	.text._ZN7rocprim17ROCPRIM_400000_NS6detail17trampoline_kernelINS0_14default_configENS1_27scan_by_key_config_selectorIj11FixedVectorIiLj2EEEEZZNS1_16scan_by_key_implILNS1_25lookback_scan_determinismE0ELb1ES3_N6thrust23THRUST_200600_302600_NS6detail15normal_iteratorINSB_10device_ptrIjEEEENSD_INSE_IS6_EEEESI_S6_NSB_4plusIvEENSB_8equal_toIvEES6_EE10hipError_tPvRmT2_T3_T4_T5_mT6_T7_P12ihipStream_tbENKUlT_T0_E_clISt17integral_constantIbLb0EES13_EEDaSY_SZ_EUlSY_E_NS1_11comp_targetILNS1_3genE10ELNS1_11target_archE1200ELNS1_3gpuE4ELNS1_3repE0EEENS1_30default_config_static_selectorELNS0_4arch9wavefront6targetE0EEEvT1_,"axG",@progbits,_ZN7rocprim17ROCPRIM_400000_NS6detail17trampoline_kernelINS0_14default_configENS1_27scan_by_key_config_selectorIj11FixedVectorIiLj2EEEEZZNS1_16scan_by_key_implILNS1_25lookback_scan_determinismE0ELb1ES3_N6thrust23THRUST_200600_302600_NS6detail15normal_iteratorINSB_10device_ptrIjEEEENSD_INSE_IS6_EEEESI_S6_NSB_4plusIvEENSB_8equal_toIvEES6_EE10hipError_tPvRmT2_T3_T4_T5_mT6_T7_P12ihipStream_tbENKUlT_T0_E_clISt17integral_constantIbLb0EES13_EEDaSY_SZ_EUlSY_E_NS1_11comp_targetILNS1_3genE10ELNS1_11target_archE1200ELNS1_3gpuE4ELNS1_3repE0EEENS1_30default_config_static_selectorELNS0_4arch9wavefront6targetE0EEEvT1_,comdat
.Lfunc_end1999:
	.size	_ZN7rocprim17ROCPRIM_400000_NS6detail17trampoline_kernelINS0_14default_configENS1_27scan_by_key_config_selectorIj11FixedVectorIiLj2EEEEZZNS1_16scan_by_key_implILNS1_25lookback_scan_determinismE0ELb1ES3_N6thrust23THRUST_200600_302600_NS6detail15normal_iteratorINSB_10device_ptrIjEEEENSD_INSE_IS6_EEEESI_S6_NSB_4plusIvEENSB_8equal_toIvEES6_EE10hipError_tPvRmT2_T3_T4_T5_mT6_T7_P12ihipStream_tbENKUlT_T0_E_clISt17integral_constantIbLb0EES13_EEDaSY_SZ_EUlSY_E_NS1_11comp_targetILNS1_3genE10ELNS1_11target_archE1200ELNS1_3gpuE4ELNS1_3repE0EEENS1_30default_config_static_selectorELNS0_4arch9wavefront6targetE0EEEvT1_, .Lfunc_end1999-_ZN7rocprim17ROCPRIM_400000_NS6detail17trampoline_kernelINS0_14default_configENS1_27scan_by_key_config_selectorIj11FixedVectorIiLj2EEEEZZNS1_16scan_by_key_implILNS1_25lookback_scan_determinismE0ELb1ES3_N6thrust23THRUST_200600_302600_NS6detail15normal_iteratorINSB_10device_ptrIjEEEENSD_INSE_IS6_EEEESI_S6_NSB_4plusIvEENSB_8equal_toIvEES6_EE10hipError_tPvRmT2_T3_T4_T5_mT6_T7_P12ihipStream_tbENKUlT_T0_E_clISt17integral_constantIbLb0EES13_EEDaSY_SZ_EUlSY_E_NS1_11comp_targetILNS1_3genE10ELNS1_11target_archE1200ELNS1_3gpuE4ELNS1_3repE0EEENS1_30default_config_static_selectorELNS0_4arch9wavefront6targetE0EEEvT1_
                                        ; -- End function
	.set _ZN7rocprim17ROCPRIM_400000_NS6detail17trampoline_kernelINS0_14default_configENS1_27scan_by_key_config_selectorIj11FixedVectorIiLj2EEEEZZNS1_16scan_by_key_implILNS1_25lookback_scan_determinismE0ELb1ES3_N6thrust23THRUST_200600_302600_NS6detail15normal_iteratorINSB_10device_ptrIjEEEENSD_INSE_IS6_EEEESI_S6_NSB_4plusIvEENSB_8equal_toIvEES6_EE10hipError_tPvRmT2_T3_T4_T5_mT6_T7_P12ihipStream_tbENKUlT_T0_E_clISt17integral_constantIbLb0EES13_EEDaSY_SZ_EUlSY_E_NS1_11comp_targetILNS1_3genE10ELNS1_11target_archE1200ELNS1_3gpuE4ELNS1_3repE0EEENS1_30default_config_static_selectorELNS0_4arch9wavefront6targetE0EEEvT1_.num_vgpr, 0
	.set _ZN7rocprim17ROCPRIM_400000_NS6detail17trampoline_kernelINS0_14default_configENS1_27scan_by_key_config_selectorIj11FixedVectorIiLj2EEEEZZNS1_16scan_by_key_implILNS1_25lookback_scan_determinismE0ELb1ES3_N6thrust23THRUST_200600_302600_NS6detail15normal_iteratorINSB_10device_ptrIjEEEENSD_INSE_IS6_EEEESI_S6_NSB_4plusIvEENSB_8equal_toIvEES6_EE10hipError_tPvRmT2_T3_T4_T5_mT6_T7_P12ihipStream_tbENKUlT_T0_E_clISt17integral_constantIbLb0EES13_EEDaSY_SZ_EUlSY_E_NS1_11comp_targetILNS1_3genE10ELNS1_11target_archE1200ELNS1_3gpuE4ELNS1_3repE0EEENS1_30default_config_static_selectorELNS0_4arch9wavefront6targetE0EEEvT1_.num_agpr, 0
	.set _ZN7rocprim17ROCPRIM_400000_NS6detail17trampoline_kernelINS0_14default_configENS1_27scan_by_key_config_selectorIj11FixedVectorIiLj2EEEEZZNS1_16scan_by_key_implILNS1_25lookback_scan_determinismE0ELb1ES3_N6thrust23THRUST_200600_302600_NS6detail15normal_iteratorINSB_10device_ptrIjEEEENSD_INSE_IS6_EEEESI_S6_NSB_4plusIvEENSB_8equal_toIvEES6_EE10hipError_tPvRmT2_T3_T4_T5_mT6_T7_P12ihipStream_tbENKUlT_T0_E_clISt17integral_constantIbLb0EES13_EEDaSY_SZ_EUlSY_E_NS1_11comp_targetILNS1_3genE10ELNS1_11target_archE1200ELNS1_3gpuE4ELNS1_3repE0EEENS1_30default_config_static_selectorELNS0_4arch9wavefront6targetE0EEEvT1_.numbered_sgpr, 0
	.set _ZN7rocprim17ROCPRIM_400000_NS6detail17trampoline_kernelINS0_14default_configENS1_27scan_by_key_config_selectorIj11FixedVectorIiLj2EEEEZZNS1_16scan_by_key_implILNS1_25lookback_scan_determinismE0ELb1ES3_N6thrust23THRUST_200600_302600_NS6detail15normal_iteratorINSB_10device_ptrIjEEEENSD_INSE_IS6_EEEESI_S6_NSB_4plusIvEENSB_8equal_toIvEES6_EE10hipError_tPvRmT2_T3_T4_T5_mT6_T7_P12ihipStream_tbENKUlT_T0_E_clISt17integral_constantIbLb0EES13_EEDaSY_SZ_EUlSY_E_NS1_11comp_targetILNS1_3genE10ELNS1_11target_archE1200ELNS1_3gpuE4ELNS1_3repE0EEENS1_30default_config_static_selectorELNS0_4arch9wavefront6targetE0EEEvT1_.num_named_barrier, 0
	.set _ZN7rocprim17ROCPRIM_400000_NS6detail17trampoline_kernelINS0_14default_configENS1_27scan_by_key_config_selectorIj11FixedVectorIiLj2EEEEZZNS1_16scan_by_key_implILNS1_25lookback_scan_determinismE0ELb1ES3_N6thrust23THRUST_200600_302600_NS6detail15normal_iteratorINSB_10device_ptrIjEEEENSD_INSE_IS6_EEEESI_S6_NSB_4plusIvEENSB_8equal_toIvEES6_EE10hipError_tPvRmT2_T3_T4_T5_mT6_T7_P12ihipStream_tbENKUlT_T0_E_clISt17integral_constantIbLb0EES13_EEDaSY_SZ_EUlSY_E_NS1_11comp_targetILNS1_3genE10ELNS1_11target_archE1200ELNS1_3gpuE4ELNS1_3repE0EEENS1_30default_config_static_selectorELNS0_4arch9wavefront6targetE0EEEvT1_.private_seg_size, 0
	.set _ZN7rocprim17ROCPRIM_400000_NS6detail17trampoline_kernelINS0_14default_configENS1_27scan_by_key_config_selectorIj11FixedVectorIiLj2EEEEZZNS1_16scan_by_key_implILNS1_25lookback_scan_determinismE0ELb1ES3_N6thrust23THRUST_200600_302600_NS6detail15normal_iteratorINSB_10device_ptrIjEEEENSD_INSE_IS6_EEEESI_S6_NSB_4plusIvEENSB_8equal_toIvEES6_EE10hipError_tPvRmT2_T3_T4_T5_mT6_T7_P12ihipStream_tbENKUlT_T0_E_clISt17integral_constantIbLb0EES13_EEDaSY_SZ_EUlSY_E_NS1_11comp_targetILNS1_3genE10ELNS1_11target_archE1200ELNS1_3gpuE4ELNS1_3repE0EEENS1_30default_config_static_selectorELNS0_4arch9wavefront6targetE0EEEvT1_.uses_vcc, 0
	.set _ZN7rocprim17ROCPRIM_400000_NS6detail17trampoline_kernelINS0_14default_configENS1_27scan_by_key_config_selectorIj11FixedVectorIiLj2EEEEZZNS1_16scan_by_key_implILNS1_25lookback_scan_determinismE0ELb1ES3_N6thrust23THRUST_200600_302600_NS6detail15normal_iteratorINSB_10device_ptrIjEEEENSD_INSE_IS6_EEEESI_S6_NSB_4plusIvEENSB_8equal_toIvEES6_EE10hipError_tPvRmT2_T3_T4_T5_mT6_T7_P12ihipStream_tbENKUlT_T0_E_clISt17integral_constantIbLb0EES13_EEDaSY_SZ_EUlSY_E_NS1_11comp_targetILNS1_3genE10ELNS1_11target_archE1200ELNS1_3gpuE4ELNS1_3repE0EEENS1_30default_config_static_selectorELNS0_4arch9wavefront6targetE0EEEvT1_.uses_flat_scratch, 0
	.set _ZN7rocprim17ROCPRIM_400000_NS6detail17trampoline_kernelINS0_14default_configENS1_27scan_by_key_config_selectorIj11FixedVectorIiLj2EEEEZZNS1_16scan_by_key_implILNS1_25lookback_scan_determinismE0ELb1ES3_N6thrust23THRUST_200600_302600_NS6detail15normal_iteratorINSB_10device_ptrIjEEEENSD_INSE_IS6_EEEESI_S6_NSB_4plusIvEENSB_8equal_toIvEES6_EE10hipError_tPvRmT2_T3_T4_T5_mT6_T7_P12ihipStream_tbENKUlT_T0_E_clISt17integral_constantIbLb0EES13_EEDaSY_SZ_EUlSY_E_NS1_11comp_targetILNS1_3genE10ELNS1_11target_archE1200ELNS1_3gpuE4ELNS1_3repE0EEENS1_30default_config_static_selectorELNS0_4arch9wavefront6targetE0EEEvT1_.has_dyn_sized_stack, 0
	.set _ZN7rocprim17ROCPRIM_400000_NS6detail17trampoline_kernelINS0_14default_configENS1_27scan_by_key_config_selectorIj11FixedVectorIiLj2EEEEZZNS1_16scan_by_key_implILNS1_25lookback_scan_determinismE0ELb1ES3_N6thrust23THRUST_200600_302600_NS6detail15normal_iteratorINSB_10device_ptrIjEEEENSD_INSE_IS6_EEEESI_S6_NSB_4plusIvEENSB_8equal_toIvEES6_EE10hipError_tPvRmT2_T3_T4_T5_mT6_T7_P12ihipStream_tbENKUlT_T0_E_clISt17integral_constantIbLb0EES13_EEDaSY_SZ_EUlSY_E_NS1_11comp_targetILNS1_3genE10ELNS1_11target_archE1200ELNS1_3gpuE4ELNS1_3repE0EEENS1_30default_config_static_selectorELNS0_4arch9wavefront6targetE0EEEvT1_.has_recursion, 0
	.set _ZN7rocprim17ROCPRIM_400000_NS6detail17trampoline_kernelINS0_14default_configENS1_27scan_by_key_config_selectorIj11FixedVectorIiLj2EEEEZZNS1_16scan_by_key_implILNS1_25lookback_scan_determinismE0ELb1ES3_N6thrust23THRUST_200600_302600_NS6detail15normal_iteratorINSB_10device_ptrIjEEEENSD_INSE_IS6_EEEESI_S6_NSB_4plusIvEENSB_8equal_toIvEES6_EE10hipError_tPvRmT2_T3_T4_T5_mT6_T7_P12ihipStream_tbENKUlT_T0_E_clISt17integral_constantIbLb0EES13_EEDaSY_SZ_EUlSY_E_NS1_11comp_targetILNS1_3genE10ELNS1_11target_archE1200ELNS1_3gpuE4ELNS1_3repE0EEENS1_30default_config_static_selectorELNS0_4arch9wavefront6targetE0EEEvT1_.has_indirect_call, 0
	.section	.AMDGPU.csdata,"",@progbits
; Kernel info:
; codeLenInByte = 0
; TotalNumSgprs: 0
; NumVgprs: 0
; ScratchSize: 0
; MemoryBound: 0
; FloatMode: 240
; IeeeMode: 1
; LDSByteSize: 0 bytes/workgroup (compile time only)
; SGPRBlocks: 0
; VGPRBlocks: 0
; NumSGPRsForWavesPerEU: 1
; NumVGPRsForWavesPerEU: 1
; Occupancy: 16
; WaveLimiterHint : 0
; COMPUTE_PGM_RSRC2:SCRATCH_EN: 0
; COMPUTE_PGM_RSRC2:USER_SGPR: 6
; COMPUTE_PGM_RSRC2:TRAP_HANDLER: 0
; COMPUTE_PGM_RSRC2:TGID_X_EN: 1
; COMPUTE_PGM_RSRC2:TGID_Y_EN: 0
; COMPUTE_PGM_RSRC2:TGID_Z_EN: 0
; COMPUTE_PGM_RSRC2:TIDIG_COMP_CNT: 0
	.section	.text._ZN7rocprim17ROCPRIM_400000_NS6detail17trampoline_kernelINS0_14default_configENS1_27scan_by_key_config_selectorIj11FixedVectorIiLj2EEEEZZNS1_16scan_by_key_implILNS1_25lookback_scan_determinismE0ELb1ES3_N6thrust23THRUST_200600_302600_NS6detail15normal_iteratorINSB_10device_ptrIjEEEENSD_INSE_IS6_EEEESI_S6_NSB_4plusIvEENSB_8equal_toIvEES6_EE10hipError_tPvRmT2_T3_T4_T5_mT6_T7_P12ihipStream_tbENKUlT_T0_E_clISt17integral_constantIbLb0EES13_EEDaSY_SZ_EUlSY_E_NS1_11comp_targetILNS1_3genE9ELNS1_11target_archE1100ELNS1_3gpuE3ELNS1_3repE0EEENS1_30default_config_static_selectorELNS0_4arch9wavefront6targetE0EEEvT1_,"axG",@progbits,_ZN7rocprim17ROCPRIM_400000_NS6detail17trampoline_kernelINS0_14default_configENS1_27scan_by_key_config_selectorIj11FixedVectorIiLj2EEEEZZNS1_16scan_by_key_implILNS1_25lookback_scan_determinismE0ELb1ES3_N6thrust23THRUST_200600_302600_NS6detail15normal_iteratorINSB_10device_ptrIjEEEENSD_INSE_IS6_EEEESI_S6_NSB_4plusIvEENSB_8equal_toIvEES6_EE10hipError_tPvRmT2_T3_T4_T5_mT6_T7_P12ihipStream_tbENKUlT_T0_E_clISt17integral_constantIbLb0EES13_EEDaSY_SZ_EUlSY_E_NS1_11comp_targetILNS1_3genE9ELNS1_11target_archE1100ELNS1_3gpuE3ELNS1_3repE0EEENS1_30default_config_static_selectorELNS0_4arch9wavefront6targetE0EEEvT1_,comdat
	.protected	_ZN7rocprim17ROCPRIM_400000_NS6detail17trampoline_kernelINS0_14default_configENS1_27scan_by_key_config_selectorIj11FixedVectorIiLj2EEEEZZNS1_16scan_by_key_implILNS1_25lookback_scan_determinismE0ELb1ES3_N6thrust23THRUST_200600_302600_NS6detail15normal_iteratorINSB_10device_ptrIjEEEENSD_INSE_IS6_EEEESI_S6_NSB_4plusIvEENSB_8equal_toIvEES6_EE10hipError_tPvRmT2_T3_T4_T5_mT6_T7_P12ihipStream_tbENKUlT_T0_E_clISt17integral_constantIbLb0EES13_EEDaSY_SZ_EUlSY_E_NS1_11comp_targetILNS1_3genE9ELNS1_11target_archE1100ELNS1_3gpuE3ELNS1_3repE0EEENS1_30default_config_static_selectorELNS0_4arch9wavefront6targetE0EEEvT1_ ; -- Begin function _ZN7rocprim17ROCPRIM_400000_NS6detail17trampoline_kernelINS0_14default_configENS1_27scan_by_key_config_selectorIj11FixedVectorIiLj2EEEEZZNS1_16scan_by_key_implILNS1_25lookback_scan_determinismE0ELb1ES3_N6thrust23THRUST_200600_302600_NS6detail15normal_iteratorINSB_10device_ptrIjEEEENSD_INSE_IS6_EEEESI_S6_NSB_4plusIvEENSB_8equal_toIvEES6_EE10hipError_tPvRmT2_T3_T4_T5_mT6_T7_P12ihipStream_tbENKUlT_T0_E_clISt17integral_constantIbLb0EES13_EEDaSY_SZ_EUlSY_E_NS1_11comp_targetILNS1_3genE9ELNS1_11target_archE1100ELNS1_3gpuE3ELNS1_3repE0EEENS1_30default_config_static_selectorELNS0_4arch9wavefront6targetE0EEEvT1_
	.globl	_ZN7rocprim17ROCPRIM_400000_NS6detail17trampoline_kernelINS0_14default_configENS1_27scan_by_key_config_selectorIj11FixedVectorIiLj2EEEEZZNS1_16scan_by_key_implILNS1_25lookback_scan_determinismE0ELb1ES3_N6thrust23THRUST_200600_302600_NS6detail15normal_iteratorINSB_10device_ptrIjEEEENSD_INSE_IS6_EEEESI_S6_NSB_4plusIvEENSB_8equal_toIvEES6_EE10hipError_tPvRmT2_T3_T4_T5_mT6_T7_P12ihipStream_tbENKUlT_T0_E_clISt17integral_constantIbLb0EES13_EEDaSY_SZ_EUlSY_E_NS1_11comp_targetILNS1_3genE9ELNS1_11target_archE1100ELNS1_3gpuE3ELNS1_3repE0EEENS1_30default_config_static_selectorELNS0_4arch9wavefront6targetE0EEEvT1_
	.p2align	8
	.type	_ZN7rocprim17ROCPRIM_400000_NS6detail17trampoline_kernelINS0_14default_configENS1_27scan_by_key_config_selectorIj11FixedVectorIiLj2EEEEZZNS1_16scan_by_key_implILNS1_25lookback_scan_determinismE0ELb1ES3_N6thrust23THRUST_200600_302600_NS6detail15normal_iteratorINSB_10device_ptrIjEEEENSD_INSE_IS6_EEEESI_S6_NSB_4plusIvEENSB_8equal_toIvEES6_EE10hipError_tPvRmT2_T3_T4_T5_mT6_T7_P12ihipStream_tbENKUlT_T0_E_clISt17integral_constantIbLb0EES13_EEDaSY_SZ_EUlSY_E_NS1_11comp_targetILNS1_3genE9ELNS1_11target_archE1100ELNS1_3gpuE3ELNS1_3repE0EEENS1_30default_config_static_selectorELNS0_4arch9wavefront6targetE0EEEvT1_,@function
_ZN7rocprim17ROCPRIM_400000_NS6detail17trampoline_kernelINS0_14default_configENS1_27scan_by_key_config_selectorIj11FixedVectorIiLj2EEEEZZNS1_16scan_by_key_implILNS1_25lookback_scan_determinismE0ELb1ES3_N6thrust23THRUST_200600_302600_NS6detail15normal_iteratorINSB_10device_ptrIjEEEENSD_INSE_IS6_EEEESI_S6_NSB_4plusIvEENSB_8equal_toIvEES6_EE10hipError_tPvRmT2_T3_T4_T5_mT6_T7_P12ihipStream_tbENKUlT_T0_E_clISt17integral_constantIbLb0EES13_EEDaSY_SZ_EUlSY_E_NS1_11comp_targetILNS1_3genE9ELNS1_11target_archE1100ELNS1_3gpuE3ELNS1_3repE0EEENS1_30default_config_static_selectorELNS0_4arch9wavefront6targetE0EEEvT1_: ; @_ZN7rocprim17ROCPRIM_400000_NS6detail17trampoline_kernelINS0_14default_configENS1_27scan_by_key_config_selectorIj11FixedVectorIiLj2EEEEZZNS1_16scan_by_key_implILNS1_25lookback_scan_determinismE0ELb1ES3_N6thrust23THRUST_200600_302600_NS6detail15normal_iteratorINSB_10device_ptrIjEEEENSD_INSE_IS6_EEEESI_S6_NSB_4plusIvEENSB_8equal_toIvEES6_EE10hipError_tPvRmT2_T3_T4_T5_mT6_T7_P12ihipStream_tbENKUlT_T0_E_clISt17integral_constantIbLb0EES13_EEDaSY_SZ_EUlSY_E_NS1_11comp_targetILNS1_3genE9ELNS1_11target_archE1100ELNS1_3gpuE3ELNS1_3repE0EEENS1_30default_config_static_selectorELNS0_4arch9wavefront6targetE0EEEvT1_
; %bb.0:
	.section	.rodata,"a",@progbits
	.p2align	6, 0x0
	.amdhsa_kernel _ZN7rocprim17ROCPRIM_400000_NS6detail17trampoline_kernelINS0_14default_configENS1_27scan_by_key_config_selectorIj11FixedVectorIiLj2EEEEZZNS1_16scan_by_key_implILNS1_25lookback_scan_determinismE0ELb1ES3_N6thrust23THRUST_200600_302600_NS6detail15normal_iteratorINSB_10device_ptrIjEEEENSD_INSE_IS6_EEEESI_S6_NSB_4plusIvEENSB_8equal_toIvEES6_EE10hipError_tPvRmT2_T3_T4_T5_mT6_T7_P12ihipStream_tbENKUlT_T0_E_clISt17integral_constantIbLb0EES13_EEDaSY_SZ_EUlSY_E_NS1_11comp_targetILNS1_3genE9ELNS1_11target_archE1100ELNS1_3gpuE3ELNS1_3repE0EEENS1_30default_config_static_selectorELNS0_4arch9wavefront6targetE0EEEvT1_
		.amdhsa_group_segment_fixed_size 0
		.amdhsa_private_segment_fixed_size 0
		.amdhsa_kernarg_size 120
		.amdhsa_user_sgpr_count 6
		.amdhsa_user_sgpr_private_segment_buffer 1
		.amdhsa_user_sgpr_dispatch_ptr 0
		.amdhsa_user_sgpr_queue_ptr 0
		.amdhsa_user_sgpr_kernarg_segment_ptr 1
		.amdhsa_user_sgpr_dispatch_id 0
		.amdhsa_user_sgpr_flat_scratch_init 0
		.amdhsa_user_sgpr_private_segment_size 0
		.amdhsa_wavefront_size32 1
		.amdhsa_uses_dynamic_stack 0
		.amdhsa_system_sgpr_private_segment_wavefront_offset 0
		.amdhsa_system_sgpr_workgroup_id_x 1
		.amdhsa_system_sgpr_workgroup_id_y 0
		.amdhsa_system_sgpr_workgroup_id_z 0
		.amdhsa_system_sgpr_workgroup_info 0
		.amdhsa_system_vgpr_workitem_id 0
		.amdhsa_next_free_vgpr 1
		.amdhsa_next_free_sgpr 1
		.amdhsa_reserve_vcc 0
		.amdhsa_reserve_flat_scratch 0
		.amdhsa_float_round_mode_32 0
		.amdhsa_float_round_mode_16_64 0
		.amdhsa_float_denorm_mode_32 3
		.amdhsa_float_denorm_mode_16_64 3
		.amdhsa_dx10_clamp 1
		.amdhsa_ieee_mode 1
		.amdhsa_fp16_overflow 0
		.amdhsa_workgroup_processor_mode 1
		.amdhsa_memory_ordered 1
		.amdhsa_forward_progress 1
		.amdhsa_shared_vgpr_count 0
		.amdhsa_exception_fp_ieee_invalid_op 0
		.amdhsa_exception_fp_denorm_src 0
		.amdhsa_exception_fp_ieee_div_zero 0
		.amdhsa_exception_fp_ieee_overflow 0
		.amdhsa_exception_fp_ieee_underflow 0
		.amdhsa_exception_fp_ieee_inexact 0
		.amdhsa_exception_int_div_zero 0
	.end_amdhsa_kernel
	.section	.text._ZN7rocprim17ROCPRIM_400000_NS6detail17trampoline_kernelINS0_14default_configENS1_27scan_by_key_config_selectorIj11FixedVectorIiLj2EEEEZZNS1_16scan_by_key_implILNS1_25lookback_scan_determinismE0ELb1ES3_N6thrust23THRUST_200600_302600_NS6detail15normal_iteratorINSB_10device_ptrIjEEEENSD_INSE_IS6_EEEESI_S6_NSB_4plusIvEENSB_8equal_toIvEES6_EE10hipError_tPvRmT2_T3_T4_T5_mT6_T7_P12ihipStream_tbENKUlT_T0_E_clISt17integral_constantIbLb0EES13_EEDaSY_SZ_EUlSY_E_NS1_11comp_targetILNS1_3genE9ELNS1_11target_archE1100ELNS1_3gpuE3ELNS1_3repE0EEENS1_30default_config_static_selectorELNS0_4arch9wavefront6targetE0EEEvT1_,"axG",@progbits,_ZN7rocprim17ROCPRIM_400000_NS6detail17trampoline_kernelINS0_14default_configENS1_27scan_by_key_config_selectorIj11FixedVectorIiLj2EEEEZZNS1_16scan_by_key_implILNS1_25lookback_scan_determinismE0ELb1ES3_N6thrust23THRUST_200600_302600_NS6detail15normal_iteratorINSB_10device_ptrIjEEEENSD_INSE_IS6_EEEESI_S6_NSB_4plusIvEENSB_8equal_toIvEES6_EE10hipError_tPvRmT2_T3_T4_T5_mT6_T7_P12ihipStream_tbENKUlT_T0_E_clISt17integral_constantIbLb0EES13_EEDaSY_SZ_EUlSY_E_NS1_11comp_targetILNS1_3genE9ELNS1_11target_archE1100ELNS1_3gpuE3ELNS1_3repE0EEENS1_30default_config_static_selectorELNS0_4arch9wavefront6targetE0EEEvT1_,comdat
.Lfunc_end2000:
	.size	_ZN7rocprim17ROCPRIM_400000_NS6detail17trampoline_kernelINS0_14default_configENS1_27scan_by_key_config_selectorIj11FixedVectorIiLj2EEEEZZNS1_16scan_by_key_implILNS1_25lookback_scan_determinismE0ELb1ES3_N6thrust23THRUST_200600_302600_NS6detail15normal_iteratorINSB_10device_ptrIjEEEENSD_INSE_IS6_EEEESI_S6_NSB_4plusIvEENSB_8equal_toIvEES6_EE10hipError_tPvRmT2_T3_T4_T5_mT6_T7_P12ihipStream_tbENKUlT_T0_E_clISt17integral_constantIbLb0EES13_EEDaSY_SZ_EUlSY_E_NS1_11comp_targetILNS1_3genE9ELNS1_11target_archE1100ELNS1_3gpuE3ELNS1_3repE0EEENS1_30default_config_static_selectorELNS0_4arch9wavefront6targetE0EEEvT1_, .Lfunc_end2000-_ZN7rocprim17ROCPRIM_400000_NS6detail17trampoline_kernelINS0_14default_configENS1_27scan_by_key_config_selectorIj11FixedVectorIiLj2EEEEZZNS1_16scan_by_key_implILNS1_25lookback_scan_determinismE0ELb1ES3_N6thrust23THRUST_200600_302600_NS6detail15normal_iteratorINSB_10device_ptrIjEEEENSD_INSE_IS6_EEEESI_S6_NSB_4plusIvEENSB_8equal_toIvEES6_EE10hipError_tPvRmT2_T3_T4_T5_mT6_T7_P12ihipStream_tbENKUlT_T0_E_clISt17integral_constantIbLb0EES13_EEDaSY_SZ_EUlSY_E_NS1_11comp_targetILNS1_3genE9ELNS1_11target_archE1100ELNS1_3gpuE3ELNS1_3repE0EEENS1_30default_config_static_selectorELNS0_4arch9wavefront6targetE0EEEvT1_
                                        ; -- End function
	.set _ZN7rocprim17ROCPRIM_400000_NS6detail17trampoline_kernelINS0_14default_configENS1_27scan_by_key_config_selectorIj11FixedVectorIiLj2EEEEZZNS1_16scan_by_key_implILNS1_25lookback_scan_determinismE0ELb1ES3_N6thrust23THRUST_200600_302600_NS6detail15normal_iteratorINSB_10device_ptrIjEEEENSD_INSE_IS6_EEEESI_S6_NSB_4plusIvEENSB_8equal_toIvEES6_EE10hipError_tPvRmT2_T3_T4_T5_mT6_T7_P12ihipStream_tbENKUlT_T0_E_clISt17integral_constantIbLb0EES13_EEDaSY_SZ_EUlSY_E_NS1_11comp_targetILNS1_3genE9ELNS1_11target_archE1100ELNS1_3gpuE3ELNS1_3repE0EEENS1_30default_config_static_selectorELNS0_4arch9wavefront6targetE0EEEvT1_.num_vgpr, 0
	.set _ZN7rocprim17ROCPRIM_400000_NS6detail17trampoline_kernelINS0_14default_configENS1_27scan_by_key_config_selectorIj11FixedVectorIiLj2EEEEZZNS1_16scan_by_key_implILNS1_25lookback_scan_determinismE0ELb1ES3_N6thrust23THRUST_200600_302600_NS6detail15normal_iteratorINSB_10device_ptrIjEEEENSD_INSE_IS6_EEEESI_S6_NSB_4plusIvEENSB_8equal_toIvEES6_EE10hipError_tPvRmT2_T3_T4_T5_mT6_T7_P12ihipStream_tbENKUlT_T0_E_clISt17integral_constantIbLb0EES13_EEDaSY_SZ_EUlSY_E_NS1_11comp_targetILNS1_3genE9ELNS1_11target_archE1100ELNS1_3gpuE3ELNS1_3repE0EEENS1_30default_config_static_selectorELNS0_4arch9wavefront6targetE0EEEvT1_.num_agpr, 0
	.set _ZN7rocprim17ROCPRIM_400000_NS6detail17trampoline_kernelINS0_14default_configENS1_27scan_by_key_config_selectorIj11FixedVectorIiLj2EEEEZZNS1_16scan_by_key_implILNS1_25lookback_scan_determinismE0ELb1ES3_N6thrust23THRUST_200600_302600_NS6detail15normal_iteratorINSB_10device_ptrIjEEEENSD_INSE_IS6_EEEESI_S6_NSB_4plusIvEENSB_8equal_toIvEES6_EE10hipError_tPvRmT2_T3_T4_T5_mT6_T7_P12ihipStream_tbENKUlT_T0_E_clISt17integral_constantIbLb0EES13_EEDaSY_SZ_EUlSY_E_NS1_11comp_targetILNS1_3genE9ELNS1_11target_archE1100ELNS1_3gpuE3ELNS1_3repE0EEENS1_30default_config_static_selectorELNS0_4arch9wavefront6targetE0EEEvT1_.numbered_sgpr, 0
	.set _ZN7rocprim17ROCPRIM_400000_NS6detail17trampoline_kernelINS0_14default_configENS1_27scan_by_key_config_selectorIj11FixedVectorIiLj2EEEEZZNS1_16scan_by_key_implILNS1_25lookback_scan_determinismE0ELb1ES3_N6thrust23THRUST_200600_302600_NS6detail15normal_iteratorINSB_10device_ptrIjEEEENSD_INSE_IS6_EEEESI_S6_NSB_4plusIvEENSB_8equal_toIvEES6_EE10hipError_tPvRmT2_T3_T4_T5_mT6_T7_P12ihipStream_tbENKUlT_T0_E_clISt17integral_constantIbLb0EES13_EEDaSY_SZ_EUlSY_E_NS1_11comp_targetILNS1_3genE9ELNS1_11target_archE1100ELNS1_3gpuE3ELNS1_3repE0EEENS1_30default_config_static_selectorELNS0_4arch9wavefront6targetE0EEEvT1_.num_named_barrier, 0
	.set _ZN7rocprim17ROCPRIM_400000_NS6detail17trampoline_kernelINS0_14default_configENS1_27scan_by_key_config_selectorIj11FixedVectorIiLj2EEEEZZNS1_16scan_by_key_implILNS1_25lookback_scan_determinismE0ELb1ES3_N6thrust23THRUST_200600_302600_NS6detail15normal_iteratorINSB_10device_ptrIjEEEENSD_INSE_IS6_EEEESI_S6_NSB_4plusIvEENSB_8equal_toIvEES6_EE10hipError_tPvRmT2_T3_T4_T5_mT6_T7_P12ihipStream_tbENKUlT_T0_E_clISt17integral_constantIbLb0EES13_EEDaSY_SZ_EUlSY_E_NS1_11comp_targetILNS1_3genE9ELNS1_11target_archE1100ELNS1_3gpuE3ELNS1_3repE0EEENS1_30default_config_static_selectorELNS0_4arch9wavefront6targetE0EEEvT1_.private_seg_size, 0
	.set _ZN7rocprim17ROCPRIM_400000_NS6detail17trampoline_kernelINS0_14default_configENS1_27scan_by_key_config_selectorIj11FixedVectorIiLj2EEEEZZNS1_16scan_by_key_implILNS1_25lookback_scan_determinismE0ELb1ES3_N6thrust23THRUST_200600_302600_NS6detail15normal_iteratorINSB_10device_ptrIjEEEENSD_INSE_IS6_EEEESI_S6_NSB_4plusIvEENSB_8equal_toIvEES6_EE10hipError_tPvRmT2_T3_T4_T5_mT6_T7_P12ihipStream_tbENKUlT_T0_E_clISt17integral_constantIbLb0EES13_EEDaSY_SZ_EUlSY_E_NS1_11comp_targetILNS1_3genE9ELNS1_11target_archE1100ELNS1_3gpuE3ELNS1_3repE0EEENS1_30default_config_static_selectorELNS0_4arch9wavefront6targetE0EEEvT1_.uses_vcc, 0
	.set _ZN7rocprim17ROCPRIM_400000_NS6detail17trampoline_kernelINS0_14default_configENS1_27scan_by_key_config_selectorIj11FixedVectorIiLj2EEEEZZNS1_16scan_by_key_implILNS1_25lookback_scan_determinismE0ELb1ES3_N6thrust23THRUST_200600_302600_NS6detail15normal_iteratorINSB_10device_ptrIjEEEENSD_INSE_IS6_EEEESI_S6_NSB_4plusIvEENSB_8equal_toIvEES6_EE10hipError_tPvRmT2_T3_T4_T5_mT6_T7_P12ihipStream_tbENKUlT_T0_E_clISt17integral_constantIbLb0EES13_EEDaSY_SZ_EUlSY_E_NS1_11comp_targetILNS1_3genE9ELNS1_11target_archE1100ELNS1_3gpuE3ELNS1_3repE0EEENS1_30default_config_static_selectorELNS0_4arch9wavefront6targetE0EEEvT1_.uses_flat_scratch, 0
	.set _ZN7rocprim17ROCPRIM_400000_NS6detail17trampoline_kernelINS0_14default_configENS1_27scan_by_key_config_selectorIj11FixedVectorIiLj2EEEEZZNS1_16scan_by_key_implILNS1_25lookback_scan_determinismE0ELb1ES3_N6thrust23THRUST_200600_302600_NS6detail15normal_iteratorINSB_10device_ptrIjEEEENSD_INSE_IS6_EEEESI_S6_NSB_4plusIvEENSB_8equal_toIvEES6_EE10hipError_tPvRmT2_T3_T4_T5_mT6_T7_P12ihipStream_tbENKUlT_T0_E_clISt17integral_constantIbLb0EES13_EEDaSY_SZ_EUlSY_E_NS1_11comp_targetILNS1_3genE9ELNS1_11target_archE1100ELNS1_3gpuE3ELNS1_3repE0EEENS1_30default_config_static_selectorELNS0_4arch9wavefront6targetE0EEEvT1_.has_dyn_sized_stack, 0
	.set _ZN7rocprim17ROCPRIM_400000_NS6detail17trampoline_kernelINS0_14default_configENS1_27scan_by_key_config_selectorIj11FixedVectorIiLj2EEEEZZNS1_16scan_by_key_implILNS1_25lookback_scan_determinismE0ELb1ES3_N6thrust23THRUST_200600_302600_NS6detail15normal_iteratorINSB_10device_ptrIjEEEENSD_INSE_IS6_EEEESI_S6_NSB_4plusIvEENSB_8equal_toIvEES6_EE10hipError_tPvRmT2_T3_T4_T5_mT6_T7_P12ihipStream_tbENKUlT_T0_E_clISt17integral_constantIbLb0EES13_EEDaSY_SZ_EUlSY_E_NS1_11comp_targetILNS1_3genE9ELNS1_11target_archE1100ELNS1_3gpuE3ELNS1_3repE0EEENS1_30default_config_static_selectorELNS0_4arch9wavefront6targetE0EEEvT1_.has_recursion, 0
	.set _ZN7rocprim17ROCPRIM_400000_NS6detail17trampoline_kernelINS0_14default_configENS1_27scan_by_key_config_selectorIj11FixedVectorIiLj2EEEEZZNS1_16scan_by_key_implILNS1_25lookback_scan_determinismE0ELb1ES3_N6thrust23THRUST_200600_302600_NS6detail15normal_iteratorINSB_10device_ptrIjEEEENSD_INSE_IS6_EEEESI_S6_NSB_4plusIvEENSB_8equal_toIvEES6_EE10hipError_tPvRmT2_T3_T4_T5_mT6_T7_P12ihipStream_tbENKUlT_T0_E_clISt17integral_constantIbLb0EES13_EEDaSY_SZ_EUlSY_E_NS1_11comp_targetILNS1_3genE9ELNS1_11target_archE1100ELNS1_3gpuE3ELNS1_3repE0EEENS1_30default_config_static_selectorELNS0_4arch9wavefront6targetE0EEEvT1_.has_indirect_call, 0
	.section	.AMDGPU.csdata,"",@progbits
; Kernel info:
; codeLenInByte = 0
; TotalNumSgprs: 0
; NumVgprs: 0
; ScratchSize: 0
; MemoryBound: 0
; FloatMode: 240
; IeeeMode: 1
; LDSByteSize: 0 bytes/workgroup (compile time only)
; SGPRBlocks: 0
; VGPRBlocks: 0
; NumSGPRsForWavesPerEU: 1
; NumVGPRsForWavesPerEU: 1
; Occupancy: 16
; WaveLimiterHint : 0
; COMPUTE_PGM_RSRC2:SCRATCH_EN: 0
; COMPUTE_PGM_RSRC2:USER_SGPR: 6
; COMPUTE_PGM_RSRC2:TRAP_HANDLER: 0
; COMPUTE_PGM_RSRC2:TGID_X_EN: 1
; COMPUTE_PGM_RSRC2:TGID_Y_EN: 0
; COMPUTE_PGM_RSRC2:TGID_Z_EN: 0
; COMPUTE_PGM_RSRC2:TIDIG_COMP_CNT: 0
	.section	.text._ZN7rocprim17ROCPRIM_400000_NS6detail17trampoline_kernelINS0_14default_configENS1_27scan_by_key_config_selectorIj11FixedVectorIiLj2EEEEZZNS1_16scan_by_key_implILNS1_25lookback_scan_determinismE0ELb1ES3_N6thrust23THRUST_200600_302600_NS6detail15normal_iteratorINSB_10device_ptrIjEEEENSD_INSE_IS6_EEEESI_S6_NSB_4plusIvEENSB_8equal_toIvEES6_EE10hipError_tPvRmT2_T3_T4_T5_mT6_T7_P12ihipStream_tbENKUlT_T0_E_clISt17integral_constantIbLb0EES13_EEDaSY_SZ_EUlSY_E_NS1_11comp_targetILNS1_3genE8ELNS1_11target_archE1030ELNS1_3gpuE2ELNS1_3repE0EEENS1_30default_config_static_selectorELNS0_4arch9wavefront6targetE0EEEvT1_,"axG",@progbits,_ZN7rocprim17ROCPRIM_400000_NS6detail17trampoline_kernelINS0_14default_configENS1_27scan_by_key_config_selectorIj11FixedVectorIiLj2EEEEZZNS1_16scan_by_key_implILNS1_25lookback_scan_determinismE0ELb1ES3_N6thrust23THRUST_200600_302600_NS6detail15normal_iteratorINSB_10device_ptrIjEEEENSD_INSE_IS6_EEEESI_S6_NSB_4plusIvEENSB_8equal_toIvEES6_EE10hipError_tPvRmT2_T3_T4_T5_mT6_T7_P12ihipStream_tbENKUlT_T0_E_clISt17integral_constantIbLb0EES13_EEDaSY_SZ_EUlSY_E_NS1_11comp_targetILNS1_3genE8ELNS1_11target_archE1030ELNS1_3gpuE2ELNS1_3repE0EEENS1_30default_config_static_selectorELNS0_4arch9wavefront6targetE0EEEvT1_,comdat
	.protected	_ZN7rocprim17ROCPRIM_400000_NS6detail17trampoline_kernelINS0_14default_configENS1_27scan_by_key_config_selectorIj11FixedVectorIiLj2EEEEZZNS1_16scan_by_key_implILNS1_25lookback_scan_determinismE0ELb1ES3_N6thrust23THRUST_200600_302600_NS6detail15normal_iteratorINSB_10device_ptrIjEEEENSD_INSE_IS6_EEEESI_S6_NSB_4plusIvEENSB_8equal_toIvEES6_EE10hipError_tPvRmT2_T3_T4_T5_mT6_T7_P12ihipStream_tbENKUlT_T0_E_clISt17integral_constantIbLb0EES13_EEDaSY_SZ_EUlSY_E_NS1_11comp_targetILNS1_3genE8ELNS1_11target_archE1030ELNS1_3gpuE2ELNS1_3repE0EEENS1_30default_config_static_selectorELNS0_4arch9wavefront6targetE0EEEvT1_ ; -- Begin function _ZN7rocprim17ROCPRIM_400000_NS6detail17trampoline_kernelINS0_14default_configENS1_27scan_by_key_config_selectorIj11FixedVectorIiLj2EEEEZZNS1_16scan_by_key_implILNS1_25lookback_scan_determinismE0ELb1ES3_N6thrust23THRUST_200600_302600_NS6detail15normal_iteratorINSB_10device_ptrIjEEEENSD_INSE_IS6_EEEESI_S6_NSB_4plusIvEENSB_8equal_toIvEES6_EE10hipError_tPvRmT2_T3_T4_T5_mT6_T7_P12ihipStream_tbENKUlT_T0_E_clISt17integral_constantIbLb0EES13_EEDaSY_SZ_EUlSY_E_NS1_11comp_targetILNS1_3genE8ELNS1_11target_archE1030ELNS1_3gpuE2ELNS1_3repE0EEENS1_30default_config_static_selectorELNS0_4arch9wavefront6targetE0EEEvT1_
	.globl	_ZN7rocprim17ROCPRIM_400000_NS6detail17trampoline_kernelINS0_14default_configENS1_27scan_by_key_config_selectorIj11FixedVectorIiLj2EEEEZZNS1_16scan_by_key_implILNS1_25lookback_scan_determinismE0ELb1ES3_N6thrust23THRUST_200600_302600_NS6detail15normal_iteratorINSB_10device_ptrIjEEEENSD_INSE_IS6_EEEESI_S6_NSB_4plusIvEENSB_8equal_toIvEES6_EE10hipError_tPvRmT2_T3_T4_T5_mT6_T7_P12ihipStream_tbENKUlT_T0_E_clISt17integral_constantIbLb0EES13_EEDaSY_SZ_EUlSY_E_NS1_11comp_targetILNS1_3genE8ELNS1_11target_archE1030ELNS1_3gpuE2ELNS1_3repE0EEENS1_30default_config_static_selectorELNS0_4arch9wavefront6targetE0EEEvT1_
	.p2align	8
	.type	_ZN7rocprim17ROCPRIM_400000_NS6detail17trampoline_kernelINS0_14default_configENS1_27scan_by_key_config_selectorIj11FixedVectorIiLj2EEEEZZNS1_16scan_by_key_implILNS1_25lookback_scan_determinismE0ELb1ES3_N6thrust23THRUST_200600_302600_NS6detail15normal_iteratorINSB_10device_ptrIjEEEENSD_INSE_IS6_EEEESI_S6_NSB_4plusIvEENSB_8equal_toIvEES6_EE10hipError_tPvRmT2_T3_T4_T5_mT6_T7_P12ihipStream_tbENKUlT_T0_E_clISt17integral_constantIbLb0EES13_EEDaSY_SZ_EUlSY_E_NS1_11comp_targetILNS1_3genE8ELNS1_11target_archE1030ELNS1_3gpuE2ELNS1_3repE0EEENS1_30default_config_static_selectorELNS0_4arch9wavefront6targetE0EEEvT1_,@function
_ZN7rocprim17ROCPRIM_400000_NS6detail17trampoline_kernelINS0_14default_configENS1_27scan_by_key_config_selectorIj11FixedVectorIiLj2EEEEZZNS1_16scan_by_key_implILNS1_25lookback_scan_determinismE0ELb1ES3_N6thrust23THRUST_200600_302600_NS6detail15normal_iteratorINSB_10device_ptrIjEEEENSD_INSE_IS6_EEEESI_S6_NSB_4plusIvEENSB_8equal_toIvEES6_EE10hipError_tPvRmT2_T3_T4_T5_mT6_T7_P12ihipStream_tbENKUlT_T0_E_clISt17integral_constantIbLb0EES13_EEDaSY_SZ_EUlSY_E_NS1_11comp_targetILNS1_3genE8ELNS1_11target_archE1030ELNS1_3gpuE2ELNS1_3repE0EEENS1_30default_config_static_selectorELNS0_4arch9wavefront6targetE0EEEvT1_: ; @_ZN7rocprim17ROCPRIM_400000_NS6detail17trampoline_kernelINS0_14default_configENS1_27scan_by_key_config_selectorIj11FixedVectorIiLj2EEEEZZNS1_16scan_by_key_implILNS1_25lookback_scan_determinismE0ELb1ES3_N6thrust23THRUST_200600_302600_NS6detail15normal_iteratorINSB_10device_ptrIjEEEENSD_INSE_IS6_EEEESI_S6_NSB_4plusIvEENSB_8equal_toIvEES6_EE10hipError_tPvRmT2_T3_T4_T5_mT6_T7_P12ihipStream_tbENKUlT_T0_E_clISt17integral_constantIbLb0EES13_EEDaSY_SZ_EUlSY_E_NS1_11comp_targetILNS1_3genE8ELNS1_11target_archE1030ELNS1_3gpuE2ELNS1_3repE0EEENS1_30default_config_static_selectorELNS0_4arch9wavefront6targetE0EEEvT1_
; %bb.0:
	s_clause 0x3
	s_load_dwordx8 s[8:15], s[4:5], 0x0
	s_load_dwordx2 s[22:23], s[4:5], 0x40
	s_load_dword s7, s[4:5], 0x48
	s_load_dwordx4 s[16:19], s[4:5], 0x50
	s_mov_b32 s1, 0
	s_mul_i32 s0, s6, 0x300
	s_waitcnt lgkmcnt(0)
	s_lshl_b64 s[20:21], s[10:11], 3
	s_mul_i32 s24, s23, s7
	s_mul_hi_u32 s25, s22, s7
	s_add_u32 s26, s12, s20
	s_addc_u32 s27, s13, s21
	s_lshl_b64 s[2:3], s[10:11], 2
	s_add_i32 s29, s25, s24
	s_add_u32 s24, s8, s2
	s_addc_u32 s25, s9, s3
	s_lshl_b64 s[2:3], s[0:1], 2
	s_clause 0x1
	s_load_dwordx2 s[12:13], s[4:5], 0x20
	s_load_dwordx4 s[8:11], s[4:5], 0x30
	s_add_u32 s24, s24, s2
	s_addc_u32 s25, s25, s3
	s_lshl_b64 s[4:5], s[0:1], 3
	s_mul_i32 s0, s22, s7
	s_add_u32 s3, s26, s4
	s_addc_u32 s26, s27, s5
	s_add_u32 s28, s0, s6
	s_addc_u32 s29, s29, 0
	s_add_u32 s16, s16, -1
	s_addc_u32 s17, s17, -1
	s_mul_i32 s7, s16, 0xfffffd00
	s_waitcnt lgkmcnt(0)
	v_cmp_ge_u64_e64 s11, s[28:29], s[16:17]
	s_barrier
	buffer_gl0_inv
	s_and_b32 vcc_lo, exec_lo, s11
	s_cbranch_vccz .LBB2001_20
; %bb.1:
	v_mov_b32_e32 v1, s24
	v_mov_b32_e32 v2, s25
	s_add_i32 s16, s7, s10
	v_cmp_gt_u32_e32 vcc_lo, s16, v0
	flat_load_dword v1, v[1:2]
	s_waitcnt vmcnt(0) lgkmcnt(0)
	v_mov_b32_e32 v2, v1
	s_and_saveexec_b32 s0, vcc_lo
	s_cbranch_execz .LBB2001_3
; %bb.2:
	v_lshlrev_b32_e32 v2, 2, v0
	v_add_co_u32 v2, s1, s24, v2
	v_add_co_ci_u32_e64 v3, null, s25, 0, s1
	flat_load_dword v2, v[2:3]
.LBB2001_3:
	s_or_b32 exec_lo, exec_lo, s0
	v_or_b32_e32 v7, 0x100, v0
	v_mov_b32_e32 v3, v1
	v_cmp_gt_u32_e64 s1, s16, v7
	s_and_saveexec_b32 s0, s1
	s_cbranch_execz .LBB2001_5
; %bb.4:
	v_lshlrev_b32_e32 v3, 2, v0
	v_add_co_u32 v3, s2, s24, v3
	v_add_co_ci_u32_e64 v4, null, s25, 0, s2
	flat_load_dword v3, v[3:4] offset:1024
.LBB2001_5:
	s_or_b32 exec_lo, exec_lo, s0
	v_or_b32_e32 v11, 0x200, v0
	v_cmp_gt_u32_e64 s0, s16, v11
	s_and_saveexec_b32 s2, s0
	s_cbranch_execz .LBB2001_7
; %bb.6:
	v_lshlrev_b32_e32 v1, 2, v11
	v_add_co_u32 v4, s17, s24, v1
	v_add_co_ci_u32_e64 v5, null, s25, 0, s17
	flat_load_dword v1, v[4:5]
.LBB2001_7:
	s_or_b32 exec_lo, exec_lo, s2
	v_mov_b32_e32 v4, s24
	v_lshlrev_b32_e32 v12, 2, v0
	v_mov_b32_e32 v5, s25
	s_mov_b32 s17, exec_lo
	s_waitcnt vmcnt(0) lgkmcnt(0)
	ds_write2st64_b32 v12, v2, v3 offset1:4
	ds_write_b32 v12, v1 offset:2048
	s_waitcnt lgkmcnt(0)
	s_barrier
	buffer_gl0_inv
	flat_load_dword v9, v[4:5]
	v_lshl_add_u32 v1, v0, 3, v12
	ds_read_b32 v10, v1
	ds_read2_b32 v[5:6], v1 offset0:1 offset1:2
	s_waitcnt lgkmcnt(1)
	ds_write_b32 v12, v10 offset:4096
	s_waitcnt vmcnt(0) lgkmcnt(0)
	s_barrier
	buffer_gl0_inv
	v_cmpx_ne_u32_e32 0xff, v0
; %bb.8:
	ds_read_b32 v9, v12 offset:4100
; %bb.9:
	s_or_b32 exec_lo, exec_lo, s17
	v_mov_b32_e32 v1, 0
	v_mov_b32_e32 v3, 0
	;; [unrolled: 1-line block ×4, first 2 shown]
	s_waitcnt lgkmcnt(0)
	s_barrier
	buffer_gl0_inv
	s_and_saveexec_b32 s2, vcc_lo
	s_cbranch_execz .LBB2001_11
; %bb.10:
	v_lshlrev_b32_e32 v3, 3, v0
	v_add_co_u32 v3, s17, s3, v3
	v_add_co_ci_u32_e64 v4, null, s26, 0, s17
	flat_load_dwordx2 v[3:4], v[3:4]
.LBB2001_11:
	s_or_b32 exec_lo, exec_lo, s2
	s_and_saveexec_b32 s2, s1
	s_cbranch_execz .LBB2001_13
; %bb.12:
	v_lshlrev_b32_e32 v1, 3, v7
	v_add_co_u32 v1, s1, s3, v1
	v_add_co_ci_u32_e64 v2, null, s26, 0, s1
	flat_load_dwordx2 v[1:2], v[1:2]
.LBB2001_13:
	s_or_b32 exec_lo, exec_lo, s2
	v_mov_b32_e32 v7, 0
	v_mov_b32_e32 v8, 0
	v_mul_u32_u24_e32 v13, 3, v0
	s_and_saveexec_b32 s1, s0
	s_cbranch_execz .LBB2001_15
; %bb.14:
	v_lshlrev_b32_e32 v7, 3, v11
	v_add_co_u32 v7, s0, s3, v7
	v_add_co_ci_u32_e64 v8, null, s26, 0, s0
	flat_load_dwordx2 v[7:8], v[7:8]
.LBB2001_15:
	s_or_b32 exec_lo, exec_lo, s1
	v_lshl_add_u32 v11, v0, 2, v12
	v_mov_b32_e32 v21, 0
	v_mov_b32_e32 v17, 0
	;; [unrolled: 1-line block ×4, first 2 shown]
	s_waitcnt vmcnt(0) lgkmcnt(0)
	ds_write2st64_b64 v11, v[3:4], v[1:2] offset1:4
	ds_write_b64 v11, v[7:8] offset:4096
	v_mov_b32_e32 v1, 0
	v_mov_b32_e32 v7, 0
	;; [unrolled: 1-line block ×4, first 2 shown]
	s_mov_b32 s17, 0
	s_mov_b32 s1, 0
	s_mov_b32 s27, exec_lo
	s_waitcnt lgkmcnt(0)
	s_barrier
	buffer_gl0_inv
                                        ; implicit-def: $sgpr2
                                        ; implicit-def: $vgpr3_vgpr4
	v_cmpx_gt_u32_e64 s16, v13
	s_cbranch_execz .LBB2001_19
; %bb.16:
	v_lshlrev_b32_e32 v1, 4, v0
	v_add_nc_u32_e32 v2, 1, v13
	v_mov_b32_e32 v15, 0
	v_mov_b32_e32 v21, 0
	;; [unrolled: 1-line block ×3, first 2 shown]
	v_add_nc_u32_e32 v1, v11, v1
	s_mov_b32 s28, exec_lo
	v_cmp_ne_u32_e32 vcc_lo, v10, v5
                                        ; implicit-def: $sgpr2
                                        ; implicit-def: $vgpr3_vgpr4
	ds_read_b64 v[7:8], v1
	v_cmpx_gt_u32_e64 s16, v2
	s_xor_b32 s28, exec_lo, s28
	s_cbranch_execz .LBB2001_18
; %bb.17:
	ds_read2_b64 v[1:4], v1 offset0:1 offset1:2
	v_add_nc_u32_e32 v10, 2, v13
	v_cmp_ne_u32_e64 s0, v5, v6
	v_cmp_ne_u32_e64 s2, v6, v9
	v_cmp_gt_u32_e64 s1, s16, v10
	v_cndmask_b32_e64 v21, 0, 1, s0
	s_and_b32 s1, s1, exec_lo
	s_waitcnt lgkmcnt(0)
	v_cndmask_b32_e64 v16, v1, s12, s0
	v_cndmask_b32_e64 v15, v2, s13, s0
.LBB2001_18:
	s_or_b32 exec_lo, exec_lo, s28
	s_waitcnt lgkmcnt(0)
	v_cndmask_b32_e64 v1, v8, s13, vcc_lo
	v_cndmask_b32_e64 v7, v7, s12, vcc_lo
	;; [unrolled: 1-line block ×3, first 2 shown]
	s_and_b32 s1, s1, exec_lo
	v_mov_b32_e32 v18, v1
	v_mov_b32_e32 v19, v7
.LBB2001_19:
	s_or_b32 exec_lo, exec_lo, s27
	s_and_b32 vcc_lo, exec_lo, s17
	s_cbranch_vccnz .LBB2001_21
	s_branch .LBB2001_24
.LBB2001_20:
                                        ; implicit-def: $sgpr2
                                        ; implicit-def: $vgpr3_vgpr4
                                        ; implicit-def: $vgpr17
                                        ; implicit-def: $vgpr1
                                        ; implicit-def: $vgpr7
                                        ; implicit-def: $vgpr21
                                        ; implicit-def: $vgpr15
                                        ; implicit-def: $vgpr16
                                        ; implicit-def: $vgpr18
                                        ; implicit-def: $vgpr19
	s_cbranch_execz .LBB2001_24
.LBB2001_21:
	v_lshlrev_b32_e32 v3, 2, v0
	v_add_co_u32 v1, s0, s24, v3
	v_add_co_ci_u32_e64 v2, null, s25, 0, s0
	v_add_co_u32 v4, vcc_lo, 0x800, v1
	v_add_co_ci_u32_e64 v5, null, 0, v2, vcc_lo
	s_clause 0x2
	flat_load_dword v6, v[1:2]
	flat_load_dword v7, v[1:2] offset:1024
	flat_load_dword v4, v[4:5]
	v_add_co_u32 v1, s0, 0x800, s24
	v_add_co_ci_u32_e64 v2, null, 0, s25, s0
	s_mov_b32 s0, exec_lo
	s_waitcnt vmcnt(1) lgkmcnt(1)
	ds_write2st64_b32 v3, v6, v7 offset1:4
	s_waitcnt vmcnt(0) lgkmcnt(1)
	ds_write_b32 v3, v4 offset:2048
	s_waitcnt lgkmcnt(0)
	s_barrier
	buffer_gl0_inv
	flat_load_dword v5, v[1:2] offset:1024
	v_lshl_add_u32 v1, v0, 3, v3
	ds_read_b32 v6, v1
	ds_read2_b32 v[1:2], v1 offset0:1 offset1:2
	s_waitcnt lgkmcnt(1)
	ds_write_b32 v3, v6 offset:4096
	s_waitcnt vmcnt(0) lgkmcnt(0)
	s_barrier
	buffer_gl0_inv
	v_cmpx_ne_u32_e32 0xff, v0
; %bb.22:
	ds_read_b32 v5, v3 offset:4100
; %bb.23:
	s_or_b32 exec_lo, exec_lo, s0
	v_lshlrev_b32_e32 v4, 3, v0
	s_waitcnt lgkmcnt(0)
	s_barrier
	buffer_gl0_inv
	v_lshl_add_u32 v3, v0, 2, v3
	v_add_co_u32 v7, s0, s3, v4
	v_add_co_ci_u32_e64 v8, null, s26, 0, s0
	v_lshl_add_u32 v4, v0, 4, v3
	v_add_co_u32 v9, vcc_lo, 0x800, v7
	v_add_co_ci_u32_e64 v10, null, 0, v8, vcc_lo
	v_add_co_u32 v11, vcc_lo, 0x1000, v7
	v_add_co_ci_u32_e64 v12, null, 0, v8, vcc_lo
	s_clause 0x2
	flat_load_dwordx2 v[7:8], v[7:8]
	flat_load_dwordx2 v[9:10], v[9:10]
	flat_load_dwordx2 v[11:12], v[11:12]
	v_cmp_ne_u32_e32 vcc_lo, v6, v1
	v_cmp_ne_u32_e64 s0, v1, v2
	v_cmp_ne_u32_e64 s2, v2, v5
	s_mov_b32 s1, -1
	s_waitcnt vmcnt(1) lgkmcnt(1)
	ds_write2st64_b64 v3, v[7:8], v[9:10] offset1:4
	s_waitcnt vmcnt(0) lgkmcnt(1)
	ds_write_b64 v3, v[11:12] offset:4096
	s_waitcnt lgkmcnt(0)
	s_barrier
	buffer_gl0_inv
	ds_read2_b64 v[7:10], v4 offset1:1
	ds_read_b64 v[3:4], v4 offset:16
	v_cndmask_b32_e64 v21, 0, 1, s0
	v_cndmask_b32_e64 v17, 0, 1, vcc_lo
	s_waitcnt lgkmcnt(1)
	v_cndmask_b32_e64 v7, v7, s12, vcc_lo
	v_cndmask_b32_e64 v1, v8, s13, vcc_lo
	v_cndmask_b32_e64 v16, v9, s12, s0
	v_cndmask_b32_e64 v15, v10, s13, s0
	v_mov_b32_e32 v19, v7
	v_mov_b32_e32 v18, v1
.LBB2001_24:
	v_mov_b32_e32 v24, 0
	v_mov_b32_e32 v23, 0
	;; [unrolled: 1-line block ×3, first 2 shown]
	s_and_saveexec_b32 s0, s1
	s_cbranch_execz .LBB2001_26
; %bb.25:
	v_cndmask_b32_e64 v24, 0, 1, s2
	s_waitcnt lgkmcnt(0)
	v_cndmask_b32_e64 v23, v3, s12, s2
	v_cndmask_b32_e64 v25, v4, s13, s2
	v_mov_b32_e32 v19, v7
	v_mov_b32_e32 v18, v1
.LBB2001_26:
	s_or_b32 exec_lo, exec_lo, s0
	v_add_nc_u32_e32 v28, v16, v19
	v_add_nc_u32_e32 v29, v15, v18
	v_or_b32_e32 v26, v24, v21
	v_and_b32_e32 v27, 1, v17
	v_and_b32_e32 v22, 0xffffff00, v17
	v_mbcnt_lo_u32_b32 v20, -1, 0
	s_cmp_lg_u32 s6, 0
	v_cmp_eq_u16_e32 vcc_lo, 0, v24
	s_waitcnt lgkmcnt(0)
	s_barrier
	buffer_gl0_inv
	s_cbranch_scc0 .LBB2001_148
; %bb.27:
	v_mov_b32_e32 v1, 0
	v_cmp_eq_u16_sdwa s0, v21, v1 src0_sel:BYTE_0 src1_sel:DWORD
	v_cmp_eq_u16_sdwa s1, v26, v1 src0_sel:BYTE_0 src1_sel:DWORD
	v_cndmask_b32_e64 v3, v16, v28, s0
	v_cndmask_b32_e64 v4, v15, v29, s0
	v_cndmask_b32_e64 v2, 1, v27, s1
	s_mov_b32 s1, exec_lo
	v_add_nc_u32_e32 v1, v23, v3
	v_add_nc_u32_e32 v4, v25, v4
	v_or_b32_e32 v5, v2, v22
	v_cndmask_b32_e32 v3, v23, v1, vcc_lo
	v_cndmask_b32_e32 v4, v25, v4, vcc_lo
	v_and_b32_e32 v1, 15, v20
	v_mov_b32_dpp v6, v5 row_shr:1 row_mask:0xf bank_mask:0xf
	v_mov_b32_dpp v7, v3 row_shr:1 row_mask:0xf bank_mask:0xf
	;; [unrolled: 1-line block ×3, first 2 shown]
	v_cmpx_ne_u32_e32 0, v1
	s_cbranch_execz .LBB2001_31
; %bb.28:
	s_mov_b32 s2, exec_lo
	v_cmpx_eq_u32_e32 0, v2
; %bb.29:
	v_add_nc_u32_e32 v3, v3, v7
	v_add_nc_u32_e32 v4, v4, v8
; %bb.30:
	s_or_b32 exec_lo, exec_lo, s2
	v_and_b32_e32 v5, 1, v6
	v_or3_b32 v5, v22, v5, v2
.LBB2001_31:
	s_or_b32 exec_lo, exec_lo, s1
	v_mov_b32_dpp v6, v3 row_shr:2 row_mask:0xf bank_mask:0xf
	v_mov_b32_dpp v7, v4 row_shr:2 row_mask:0xf bank_mask:0xf
	v_mov_b32_dpp v2, v5 row_shr:2 row_mask:0xf bank_mask:0xf
	s_mov_b32 s1, exec_lo
	v_cmpx_lt_u32_e32 1, v1
	s_cbranch_execz .LBB2001_37
; %bb.32:
	v_mov_b32_e32 v8, 0
	v_cmp_ne_u32_sdwa s2, v5, v8 src0_sel:BYTE_0 src1_sel:DWORD
	s_and_saveexec_b32 s3, s2
	s_xor_b32 s2, exec_lo, s3
; %bb.33:
                                        ; implicit-def: $vgpr6
                                        ; implicit-def: $vgpr7
; %bb.34:
	s_andn2_saveexec_b32 s2, s2
; %bb.35:
	v_add_nc_u32_e32 v3, v3, v6
	v_add_nc_u32_e32 v4, v4, v7
; %bb.36:
	s_or_b32 exec_lo, exec_lo, s2
	v_and_b32_e32 v2, 1, v2
	v_and_or_b32 v5, 0xffffff01, v5, v2
.LBB2001_37:
	s_or_b32 exec_lo, exec_lo, s1
	v_mov_b32_dpp v6, v3 row_shr:4 row_mask:0xf bank_mask:0xf
	v_mov_b32_dpp v7, v4 row_shr:4 row_mask:0xf bank_mask:0xf
	v_mov_b32_dpp v2, v5 row_shr:4 row_mask:0xf bank_mask:0xf
	s_mov_b32 s1, exec_lo
	v_cmpx_lt_u32_e32 3, v1
	s_cbranch_execz .LBB2001_43
; %bb.38:
	v_mov_b32_e32 v8, 0
	v_cmp_ne_u32_sdwa s2, v5, v8 src0_sel:BYTE_0 src1_sel:DWORD
	s_and_saveexec_b32 s3, s2
	s_xor_b32 s2, exec_lo, s3
; %bb.39:
                                        ; implicit-def: $vgpr6
                                        ; implicit-def: $vgpr7
; %bb.40:
	s_andn2_saveexec_b32 s2, s2
; %bb.41:
	v_add_nc_u32_e32 v3, v3, v6
	v_add_nc_u32_e32 v4, v4, v7
; %bb.42:
	s_or_b32 exec_lo, exec_lo, s2
	v_and_b32_e32 v2, 1, v2
	v_and_or_b32 v5, 0xffffff01, v5, v2
.LBB2001_43:
	;; [unrolled: 25-line block ×3, first 2 shown]
	s_or_b32 exec_lo, exec_lo, s1
	ds_swizzle_b32 v2, v3 offset:swizzle(BROADCAST,32,15)
	ds_swizzle_b32 v6, v4 offset:swizzle(BROADCAST,32,15)
	;; [unrolled: 1-line block ×3, first 2 shown]
	v_and_b32_e32 v7, 16, v20
	v_cmp_ne_u32_e32 vcc_lo, 0, v7
	v_mov_b32_e32 v7, v5
	s_and_saveexec_b32 s1, vcc_lo
	s_cbranch_execz .LBB2001_55
; %bb.50:
	v_mov_b32_e32 v7, 0
	v_cmp_ne_u32_sdwa s2, v5, v7 src0_sel:BYTE_0 src1_sel:DWORD
	s_and_saveexec_b32 s3, s2
	s_xor_b32 s2, exec_lo, s3
; %bb.51:
                                        ; implicit-def: $vgpr2
                                        ; implicit-def: $vgpr6
; %bb.52:
	s_andn2_saveexec_b32 s2, s2
	s_cbranch_execz .LBB2001_54
; %bb.53:
	s_waitcnt lgkmcnt(2)
	v_add_nc_u32_e32 v3, v3, v2
	s_waitcnt lgkmcnt(1)
	v_add_nc_u32_e32 v4, v4, v6
.LBB2001_54:
	s_or_b32 exec_lo, exec_lo, s2
	s_waitcnt lgkmcnt(0)
	v_or_b32_e32 v2, v1, v5
	v_and_b32_e32 v1, 1, v1
	v_and_b32_e32 v7, 1, v2
	v_and_or_b32 v5, 0xffffff01, v5, v1
.LBB2001_55:
	s_or_b32 exec_lo, exec_lo, s1
	s_waitcnt lgkmcnt(0)
	v_or_b32_e32 v1, 31, v0
	v_lshrrev_b32_e32 v6, 5, v0
	s_mov_b32 s1, exec_lo
	v_cmpx_eq_u32_e64 v0, v1
	s_cbranch_execz .LBB2001_57
; %bb.56:
	v_mul_u32_u24_e32 v1, 12, v6
	ds_write2_b32 v1, v3, v4 offset1:1
	ds_write_b8 v1, v7 offset:8
.LBB2001_57:
	s_or_b32 exec_lo, exec_lo, s1
	s_mov_b32 s1, exec_lo
	s_waitcnt lgkmcnt(0)
	s_barrier
	buffer_gl0_inv
	v_cmpx_gt_u32_e32 8, v0
	s_cbranch_execz .LBB2001_75
; %bb.58:
	v_mul_u32_u24_e32 v7, 12, v0
	v_and_b32_e32 v9, 7, v20
	s_mov_b32 s2, exec_lo
	ds_read2_b32 v[1:2], v7 offset1:1
	ds_read_b32 v8, v7 offset:8
	s_waitcnt lgkmcnt(1)
	v_mov_b32_dpp v11, v1 row_shr:1 row_mask:0xf bank_mask:0xf
	v_mov_b32_dpp v12, v2 row_shr:1 row_mask:0xf bank_mask:0xf
	s_waitcnt lgkmcnt(0)
	v_mov_b32_dpp v10, v8 row_shr:1 row_mask:0xf bank_mask:0xf
	v_cmpx_ne_u32_e32 0, v9
	s_cbranch_execz .LBB2001_62
; %bb.59:
	v_mov_b32_e32 v13, 0
	v_cmp_eq_u32_sdwa s16, v8, v13 src0_sel:BYTE_0 src1_sel:DWORD
	s_and_saveexec_b32 s3, s16
; %bb.60:
	v_add_nc_u32_e32 v1, v1, v11
	v_add_nc_u32_e32 v2, v2, v12
; %bb.61:
	s_or_b32 exec_lo, exec_lo, s3
	v_and_b32_e32 v10, 1, v10
	v_and_or_b32 v8, 0xffffff01, v8, v10
.LBB2001_62:
	s_or_b32 exec_lo, exec_lo, s2
	v_mov_b32_dpp v11, v1 row_shr:2 row_mask:0xf bank_mask:0xf
	v_mov_b32_dpp v12, v2 row_shr:2 row_mask:0xf bank_mask:0xf
	;; [unrolled: 1-line block ×3, first 2 shown]
	s_mov_b32 s2, exec_lo
	v_cmpx_lt_u32_e32 1, v9
	s_cbranch_execz .LBB2001_68
; %bb.63:
	v_mov_b32_e32 v13, 0
	v_cmp_ne_u32_sdwa s3, v8, v13 src0_sel:BYTE_0 src1_sel:DWORD
	s_and_saveexec_b32 s16, s3
	s_xor_b32 s3, exec_lo, s16
; %bb.64:
                                        ; implicit-def: $vgpr11
                                        ; implicit-def: $vgpr12
; %bb.65:
	s_andn2_saveexec_b32 s3, s3
; %bb.66:
	v_add_nc_u32_e32 v1, v1, v11
	v_add_nc_u32_e32 v2, v2, v12
; %bb.67:
	s_or_b32 exec_lo, exec_lo, s3
	v_and_b32_e32 v10, 1, v10
	v_and_or_b32 v8, 0xffffff01, v8, v10
.LBB2001_68:
	s_or_b32 exec_lo, exec_lo, s2
	v_mov_b32_dpp v11, v1 row_shr:4 row_mask:0xf bank_mask:0xf
	v_mov_b32_dpp v12, v2 row_shr:4 row_mask:0xf bank_mask:0xf
	;; [unrolled: 1-line block ×3, first 2 shown]
	s_mov_b32 s2, exec_lo
	v_cmpx_lt_u32_e32 3, v9
	s_cbranch_execz .LBB2001_74
; %bb.69:
	v_mov_b32_e32 v9, 0
	v_cmp_ne_u32_sdwa s3, v8, v9 src0_sel:BYTE_0 src1_sel:DWORD
	s_and_saveexec_b32 s16, s3
	s_xor_b32 s3, exec_lo, s16
; %bb.70:
                                        ; implicit-def: $vgpr11
                                        ; implicit-def: $vgpr12
; %bb.71:
	s_andn2_saveexec_b32 s3, s3
; %bb.72:
	v_add_nc_u32_e32 v1, v1, v11
	v_add_nc_u32_e32 v2, v2, v12
; %bb.73:
	s_or_b32 exec_lo, exec_lo, s3
	v_or_b32_e32 v8, v10, v8
	v_and_b32_e32 v8, 1, v8
.LBB2001_74:
	s_or_b32 exec_lo, exec_lo, s2
	ds_write2_b32 v7, v1, v2 offset1:1
	ds_write_b8 v7, v8 offset:8
.LBB2001_75:
	s_or_b32 exec_lo, exec_lo, s1
	v_mov_b32_e32 v8, 0
	v_mov_b32_e32 v9, 0
	;; [unrolled: 1-line block ×3, first 2 shown]
	s_mov_b32 s2, exec_lo
	v_cmp_gt_u32_e32 vcc_lo, 32, v0
	s_waitcnt lgkmcnt(0)
	s_barrier
	buffer_gl0_inv
	v_cmpx_lt_u32_e32 31, v0
	s_cbranch_execz .LBB2001_77
; %bb.76:
	v_mad_u32_u24 v1, v6, 12, -12
	v_mad_u32_u24 v2, v6, 12, -4
	ds_read2_b32 v[8:9], v1 offset1:1
	ds_read_u8 v1, v2
	v_mov_b32_e32 v2, 0
	v_cmp_eq_u16_sdwa s1, v5, v2 src0_sel:BYTE_0 src1_sel:DWORD
	s_waitcnt lgkmcnt(1)
	v_add_nc_u32_e32 v6, v8, v3
	v_add_nc_u32_e32 v2, v9, v4
	s_waitcnt lgkmcnt(0)
	v_or_b32_e32 v7, v1, v5
	v_and_b32_e32 v30, 1, v1
	v_cndmask_b32_e64 v3, v3, v6, s1
	v_cndmask_b32_e64 v4, v4, v2, s1
	v_perm_b32 v5, v5, v7, 0x7060500
.LBB2001_77:
	s_or_b32 exec_lo, exec_lo, s2
	v_sub_co_u32 v1, s1, v20, 1
	v_cmp_gt_i32_e64 s2, 0, v1
	v_cndmask_b32_e64 v1, v1, v20, s2
	v_lshlrev_b32_e32 v1, 2, v1
	ds_bpermute_b32 v31, v1, v3
	ds_bpermute_b32 v32, v1, v4
	;; [unrolled: 1-line block ×3, first 2 shown]
	s_and_saveexec_b32 s16, vcc_lo
	s_cbranch_execz .LBB2001_153
; %bb.78:
	v_mov_b32_e32 v12, 0
	ds_read_b32 v1, v12 offset:84
	ds_read_b64 v[2:3], v12 offset:88
	s_and_saveexec_b32 s2, s1
	s_cbranch_execz .LBB2001_80
; %bb.79:
	s_add_i32 s24, s6, 32
	s_mov_b32 s25, 0
	v_mov_b32_e32 v4, 1
	s_lshl_b64 s[24:25], s[24:25], 4
	s_add_u32 s24, s8, s24
	s_addc_u32 s25, s9, s25
	v_mov_b32_e32 v5, s24
	v_mov_b32_e32 v6, s25
	s_waitcnt lgkmcnt(0)
	;;#ASMSTART
	global_store_dwordx4 v[5:6], v[1:4] off	
s_waitcnt vmcnt(0)
	;;#ASMEND
.LBB2001_80:
	s_or_b32 exec_lo, exec_lo, s2
	v_xad_u32 v10, v20, -1, s6
	s_mov_b32 s3, 0
	v_add_nc_u32_e32 v11, 32, v10
	v_lshlrev_b64 v[4:5], 4, v[11:12]
	v_add_co_u32 v13, vcc_lo, s8, v4
	v_add_co_ci_u32_e64 v14, null, s9, v5, vcc_lo
	;;#ASMSTART
	global_load_dwordx4 v[4:7], v[13:14] off glc dlc	
s_waitcnt vmcnt(0)
	;;#ASMEND
	v_alignbit_b32 v37, v5, v4, 8
	v_alignbit_b32 v38, v5, v4, 16
	;; [unrolled: 1-line block ×3, first 2 shown]
	v_perm_b32 v34, v5, v6, 0x70605
	v_perm_b32 v36, v5, v6, 0x1000706
	;; [unrolled: 1-line block ×3, first 2 shown]
	v_cmp_eq_u16_sdwa s17, v7, v12 src0_sel:BYTE_0 src1_sel:DWORD
	s_and_saveexec_b32 s2, s17
	s_cbranch_execz .LBB2001_84
; %bb.81:
	v_mov_b32_e32 v11, 0
.LBB2001_82:                            ; =>This Inner Loop Header: Depth=1
	;;#ASMSTART
	global_load_dwordx4 v[4:7], v[13:14] off glc dlc	
s_waitcnt vmcnt(0)
	;;#ASMEND
	v_cmp_ne_u16_sdwa s17, v7, v11 src0_sel:BYTE_0 src1_sel:DWORD
	s_or_b32 s3, s17, s3
	s_andn2_b32 exec_lo, exec_lo, s3
	s_cbranch_execnz .LBB2001_82
; %bb.83:
	s_or_b32 exec_lo, exec_lo, s3
	v_perm_b32 v11, v5, v6, 0x2010007
	v_perm_b32 v36, v5, v6, 0x1000706
	;; [unrolled: 1-line block ×3, first 2 shown]
	v_alignbit_b32 v35, v5, v4, 24
	v_alignbit_b32 v38, v5, v4, 16
	v_alignbit_b32 v37, v5, v4, 8
.LBB2001_84:
	s_or_b32 exec_lo, exec_lo, s2
	v_lshlrev_b32_e32 v12, 16, v38
	v_lshlrev_b32_e32 v13, 8, v37
	;; [unrolled: 1-line block ×4, first 2 shown]
	v_cmp_ne_u32_e32 vcc_lo, 31, v20
	v_perm_b32 v12, v35, v12, 0x4020c0c
	v_and_b32_e32 v13, 0xff00, v13
	v_and_b32_e32 v4, 0xff, v4
	v_perm_b32 v11, v11, v14, 0x4020c0c
	v_and_b32_e32 v34, 0xff00, v34
	v_add_co_ci_u32_e64 v14, null, 0, v20, vcc_lo
	v_and_b32_e32 v5, 0xff, v5
	v_mov_b32_e32 v35, 2
	v_or3_b32 v4, v12, v13, v4
	v_lshlrev_b32_e32 v14, 2, v14
	v_and_b32_e32 v12, 0xff, v6
	v_or3_b32 v5, v11, v34, v5
	v_cmp_eq_u16_sdwa s2, v7, v35 src0_sel:BYTE_0 src1_sel:DWORD
	v_lshlrev_b32_e64 v34, v20, -1
	ds_bpermute_b32 v35, v14, v4
	ds_bpermute_b32 v13, v14, v12
	;; [unrolled: 1-line block ×3, first 2 shown]
	v_and_or_b32 v11, s2, v34, 0x80000000
	s_mov_b32 s2, exec_lo
	v_ffbl_b32_e32 v11, v11
	v_cmpx_lt_u32_e64 v20, v11
	s_cbranch_execz .LBB2001_88
; %bb.85:
	s_mov_b32 s3, exec_lo
	v_cmpx_eq_u32_e32 0, v12
	s_cbranch_execz .LBB2001_87
; %bb.86:
	s_waitcnt lgkmcnt(2)
	v_add_nc_u32_e32 v4, v4, v35
	s_waitcnt lgkmcnt(0)
	v_add_nc_u32_e32 v5, v5, v36
.LBB2001_87:
	s_or_b32 exec_lo, exec_lo, s3
	s_waitcnt lgkmcnt(1)
	v_or_b32_e32 v6, v13, v6
	v_and_b32_e32 v12, 1, v6
.LBB2001_88:
	s_or_b32 exec_lo, exec_lo, s2
	v_cmp_gt_u32_e32 vcc_lo, 30, v20
	s_waitcnt lgkmcnt(0)
	v_add_nc_u32_e32 v36, 2, v20
	s_mov_b32 s2, exec_lo
	v_cndmask_b32_e64 v6, 0, 2, vcc_lo
	v_add_lshl_u32 v35, v6, v20, 2
	ds_bpermute_b32 v13, v35, v4
	ds_bpermute_b32 v37, v35, v5
	ds_bpermute_b32 v6, v35, v12
	v_cmpx_le_u32_e64 v36, v11
	s_cbranch_execz .LBB2001_94
; %bb.89:
	s_mov_b32 s3, exec_lo
	v_cmpx_ne_u32_e32 0, v12
	s_xor_b32 s3, exec_lo, s3
; %bb.90:
                                        ; implicit-def: $vgpr13
                                        ; implicit-def: $vgpr37
; %bb.91:
	s_andn2_saveexec_b32 s3, s3
	s_cbranch_execz .LBB2001_93
; %bb.92:
	s_waitcnt lgkmcnt(2)
	v_add_nc_u32_e32 v4, v4, v13
	s_waitcnt lgkmcnt(1)
	v_add_nc_u32_e32 v5, v5, v37
.LBB2001_93:
	s_or_b32 exec_lo, exec_lo, s3
	s_waitcnt lgkmcnt(0)
	v_or_b32_e32 v6, v6, v12
	v_and_b32_e32 v12, 1, v6
.LBB2001_94:
	s_or_b32 exec_lo, exec_lo, s2
	v_cmp_gt_u32_e32 vcc_lo, 28, v20
	v_add_nc_u32_e32 v38, 4, v20
	s_mov_b32 s2, exec_lo
	s_waitcnt lgkmcnt(0)
	v_cndmask_b32_e64 v6, 0, 4, vcc_lo
	v_add_lshl_u32 v37, v6, v20, 2
	ds_bpermute_b32 v13, v37, v4
	ds_bpermute_b32 v39, v37, v5
	;; [unrolled: 1-line block ×3, first 2 shown]
	v_cmpx_le_u32_e64 v38, v11
	s_cbranch_execz .LBB2001_100
; %bb.95:
	s_mov_b32 s3, exec_lo
	v_cmpx_ne_u32_e32 0, v12
	s_xor_b32 s3, exec_lo, s3
; %bb.96:
                                        ; implicit-def: $vgpr13
                                        ; implicit-def: $vgpr39
; %bb.97:
	s_andn2_saveexec_b32 s3, s3
	s_cbranch_execz .LBB2001_99
; %bb.98:
	s_waitcnt lgkmcnt(2)
	v_add_nc_u32_e32 v4, v4, v13
	s_waitcnt lgkmcnt(1)
	v_add_nc_u32_e32 v5, v5, v39
.LBB2001_99:
	s_or_b32 exec_lo, exec_lo, s3
	s_waitcnt lgkmcnt(0)
	v_or_b32_e32 v6, v6, v12
	v_and_b32_e32 v12, 1, v6
.LBB2001_100:
	s_or_b32 exec_lo, exec_lo, s2
	v_cmp_gt_u32_e32 vcc_lo, 24, v20
	v_add_nc_u32_e32 v40, 8, v20
	s_mov_b32 s2, exec_lo
	s_waitcnt lgkmcnt(0)
	v_cndmask_b32_e64 v6, 0, 8, vcc_lo
	v_add_lshl_u32 v39, v6, v20, 2
	ds_bpermute_b32 v13, v39, v4
	ds_bpermute_b32 v41, v39, v5
	;; [unrolled: 1-line block ×3, first 2 shown]
	v_cmpx_le_u32_e64 v40, v11
	s_cbranch_execz .LBB2001_106
; %bb.101:
	s_mov_b32 s3, exec_lo
	v_cmpx_ne_u32_e32 0, v12
	s_xor_b32 s3, exec_lo, s3
; %bb.102:
                                        ; implicit-def: $vgpr13
                                        ; implicit-def: $vgpr41
; %bb.103:
	s_andn2_saveexec_b32 s3, s3
	s_cbranch_execz .LBB2001_105
; %bb.104:
	s_waitcnt lgkmcnt(2)
	v_add_nc_u32_e32 v4, v4, v13
	s_waitcnt lgkmcnt(1)
	v_add_nc_u32_e32 v5, v5, v41
.LBB2001_105:
	s_or_b32 exec_lo, exec_lo, s3
	s_waitcnt lgkmcnt(0)
	v_or_b32_e32 v6, v6, v12
	v_and_b32_e32 v12, 1, v6
.LBB2001_106:
	s_or_b32 exec_lo, exec_lo, s2
	s_waitcnt lgkmcnt(1)
	v_lshl_or_b32 v41, v20, 2, 64
	v_add_nc_u32_e32 v42, 16, v20
	s_mov_b32 s2, exec_lo
	ds_bpermute_b32 v13, v41, v4
	ds_bpermute_b32 v43, v41, v5
	s_waitcnt lgkmcnt(2)
	ds_bpermute_b32 v6, v41, v12
	v_cmpx_le_u32_e64 v42, v11
	s_cbranch_execz .LBB2001_112
; %bb.107:
	s_mov_b32 s3, exec_lo
	v_cmpx_ne_u32_e32 0, v12
	s_xor_b32 s3, exec_lo, s3
; %bb.108:
                                        ; implicit-def: $vgpr13
                                        ; implicit-def: $vgpr43
; %bb.109:
	s_andn2_saveexec_b32 s3, s3
	s_cbranch_execz .LBB2001_111
; %bb.110:
	s_waitcnt lgkmcnt(2)
	v_add_nc_u32_e32 v4, v4, v13
	s_waitcnt lgkmcnt(1)
	v_add_nc_u32_e32 v5, v5, v43
.LBB2001_111:
	s_or_b32 exec_lo, exec_lo, s3
	s_waitcnt lgkmcnt(0)
	v_or_b32_e32 v6, v6, v12
	v_and_b32_e32 v12, 1, v6
.LBB2001_112:
	s_or_b32 exec_lo, exec_lo, s2
	v_mov_b32_e32 v11, 0
	v_mov_b32_e32 v46, 2
	s_branch .LBB2001_116
.LBB2001_113:                           ;   in Loop: Header=BB2001_116 Depth=1
	s_or_b32 exec_lo, exec_lo, s3
	s_waitcnt lgkmcnt(0)
	v_or_b32_e32 v12, v6, v12
.LBB2001_114:                           ;   in Loop: Header=BB2001_116 Depth=1
	s_or_b32 exec_lo, exec_lo, s2
	s_waitcnt lgkmcnt(0)
	v_and_b32_e32 v6, 1, v44
	v_and_b32_e32 v12, 1, v12
	v_add_nc_u32_e32 v5, v5, v43
	v_cmp_eq_u16_sdwa vcc_lo, v44, v11 src0_sel:BYTE_0 src1_sel:DWORD
	v_add_nc_u32_e32 v13, v4, v45
	v_cmp_eq_u32_e64 s2, 1, v6
	v_cmp_eq_u32_e64 s3, 1, v12
	v_subrev_nc_u32_e32 v10, 32, v10
	v_cndmask_b32_e32 v4, v43, v5, vcc_lo
	v_cndmask_b32_e32 v5, v45, v13, vcc_lo
	s_or_b32 s2, s2, s3
	v_cndmask_b32_e64 v12, 0, 1, s2
	s_mov_b32 s2, 0
.LBB2001_115:                           ;   in Loop: Header=BB2001_116 Depth=1
	s_and_b32 vcc_lo, exec_lo, s2
	s_cbranch_vccnz .LBB2001_149
.LBB2001_116:                           ; =>This Loop Header: Depth=1
                                        ;     Child Loop BB2001_119 Depth 2
	v_cmp_ne_u16_sdwa s2, v7, v46 src0_sel:BYTE_0 src1_sel:DWORD
	s_waitcnt lgkmcnt(1)
	v_mov_b32_e32 v43, v4
	v_mov_b32_e32 v45, v5
	;; [unrolled: 1-line block ×3, first 2 shown]
                                        ; implicit-def: $vgpr4
                                        ; implicit-def: $vgpr7
                                        ; implicit-def: $vgpr12
                                        ; implicit-def: $vgpr5
	s_cmp_lg_u32 s2, exec_lo
	s_mov_b32 s2, -1
	s_cbranch_scc1 .LBB2001_115
; %bb.117:                              ;   in Loop: Header=BB2001_116 Depth=1
	v_lshlrev_b64 v[4:5], 4, v[10:11]
	v_add_co_u32 v12, vcc_lo, s8, v4
	v_add_co_ci_u32_e64 v13, null, s9, v5, vcc_lo
	s_waitcnt lgkmcnt(0)
	;;#ASMSTART
	global_load_dwordx4 v[4:7], v[12:13] off glc dlc	
s_waitcnt vmcnt(0)
	;;#ASMEND
	v_alignbit_b32 v51, v5, v4, 8
	v_alignbit_b32 v52, v5, v4, 16
	;; [unrolled: 1-line block ×3, first 2 shown]
	v_perm_b32 v48, v5, v6, 0x70605
	v_perm_b32 v50, v5, v6, 0x1000706
	;; [unrolled: 1-line block ×3, first 2 shown]
	v_cmp_eq_u16_sdwa s3, v7, v11 src0_sel:BYTE_0 src1_sel:DWORD
	s_and_saveexec_b32 s2, s3
	s_cbranch_execz .LBB2001_121
; %bb.118:                              ;   in Loop: Header=BB2001_116 Depth=1
	s_mov_b32 s3, 0
.LBB2001_119:                           ;   Parent Loop BB2001_116 Depth=1
                                        ; =>  This Inner Loop Header: Depth=2
	;;#ASMSTART
	global_load_dwordx4 v[4:7], v[12:13] off glc dlc	
s_waitcnt vmcnt(0)
	;;#ASMEND
	v_cmp_ne_u16_sdwa s17, v7, v11 src0_sel:BYTE_0 src1_sel:DWORD
	s_or_b32 s3, s17, s3
	s_andn2_b32 exec_lo, exec_lo, s3
	s_cbranch_execnz .LBB2001_119
; %bb.120:                              ;   in Loop: Header=BB2001_116 Depth=1
	s_or_b32 exec_lo, exec_lo, s3
	v_perm_b32 v47, v5, v6, 0x2010007
	v_perm_b32 v50, v5, v6, 0x1000706
	;; [unrolled: 1-line block ×3, first 2 shown]
	v_alignbit_b32 v49, v5, v4, 24
	v_alignbit_b32 v52, v5, v4, 16
	;; [unrolled: 1-line block ×3, first 2 shown]
.LBB2001_121:                           ;   in Loop: Header=BB2001_116 Depth=1
	s_or_b32 exec_lo, exec_lo, s2
	v_lshlrev_b32_e32 v12, 16, v52
	v_lshlrev_b32_e32 v13, 8, v51
	;; [unrolled: 1-line block ×4, first 2 shown]
	v_and_b32_e32 v4, 0xff, v4
	v_perm_b32 v12, v49, v12, 0x4020c0c
	v_and_b32_e32 v13, 0xff00, v13
	v_perm_b32 v47, v47, v50, 0x4020c0c
	v_and_b32_e32 v49, 0xff, v5
	v_and_b32_e32 v48, 0xff00, v48
	v_cmp_eq_u16_sdwa s2, v7, v46 src0_sel:BYTE_0 src1_sel:DWORD
	v_or3_b32 v5, v12, v13, v4
	v_and_b32_e32 v12, 0xff, v6
	v_or3_b32 v4, v47, v48, v49
	v_and_or_b32 v13, s2, v34, 0x80000000
	ds_bpermute_b32 v48, v14, v5
	ds_bpermute_b32 v47, v14, v12
	s_mov_b32 s2, exec_lo
	ds_bpermute_b32 v49, v14, v4
	v_ffbl_b32_e32 v13, v13
	v_cmpx_lt_u32_e64 v20, v13
	s_cbranch_execz .LBB2001_125
; %bb.122:                              ;   in Loop: Header=BB2001_116 Depth=1
	s_mov_b32 s3, exec_lo
	v_cmpx_eq_u32_e32 0, v12
	s_cbranch_execz .LBB2001_124
; %bb.123:                              ;   in Loop: Header=BB2001_116 Depth=1
	s_waitcnt lgkmcnt(2)
	v_add_nc_u32_e32 v5, v5, v48
	s_waitcnt lgkmcnt(0)
	v_add_nc_u32_e32 v4, v4, v49
.LBB2001_124:                           ;   in Loop: Header=BB2001_116 Depth=1
	s_or_b32 exec_lo, exec_lo, s3
	s_waitcnt lgkmcnt(1)
	v_or_b32_e32 v6, v47, v6
	v_and_b32_e32 v12, 1, v6
.LBB2001_125:                           ;   in Loop: Header=BB2001_116 Depth=1
	s_or_b32 exec_lo, exec_lo, s2
	s_waitcnt lgkmcnt(1)
	ds_bpermute_b32 v47, v35, v5
	ds_bpermute_b32 v48, v35, v4
	;; [unrolled: 1-line block ×3, first 2 shown]
	s_mov_b32 s2, exec_lo
	v_cmpx_le_u32_e64 v36, v13
	s_cbranch_execz .LBB2001_131
; %bb.126:                              ;   in Loop: Header=BB2001_116 Depth=1
	s_mov_b32 s3, exec_lo
	v_cmpx_ne_u32_e32 0, v12
	s_xor_b32 s3, exec_lo, s3
; %bb.127:                              ;   in Loop: Header=BB2001_116 Depth=1
                                        ; implicit-def: $vgpr47
                                        ; implicit-def: $vgpr48
; %bb.128:                              ;   in Loop: Header=BB2001_116 Depth=1
	s_andn2_saveexec_b32 s3, s3
	s_cbranch_execz .LBB2001_130
; %bb.129:                              ;   in Loop: Header=BB2001_116 Depth=1
	s_waitcnt lgkmcnt(2)
	v_add_nc_u32_e32 v5, v5, v47
	s_waitcnt lgkmcnt(1)
	v_add_nc_u32_e32 v4, v4, v48
.LBB2001_130:                           ;   in Loop: Header=BB2001_116 Depth=1
	s_or_b32 exec_lo, exec_lo, s3
	s_waitcnt lgkmcnt(0)
	v_or_b32_e32 v6, v6, v12
	v_and_b32_e32 v12, 1, v6
.LBB2001_131:                           ;   in Loop: Header=BB2001_116 Depth=1
	s_or_b32 exec_lo, exec_lo, s2
	s_waitcnt lgkmcnt(2)
	ds_bpermute_b32 v47, v37, v5
	s_waitcnt lgkmcnt(2)
	ds_bpermute_b32 v48, v37, v4
	s_waitcnt lgkmcnt(2)
	ds_bpermute_b32 v6, v37, v12
	s_mov_b32 s2, exec_lo
	v_cmpx_le_u32_e64 v38, v13
	s_cbranch_execz .LBB2001_137
; %bb.132:                              ;   in Loop: Header=BB2001_116 Depth=1
	s_mov_b32 s3, exec_lo
	v_cmpx_ne_u32_e32 0, v12
	s_xor_b32 s3, exec_lo, s3
; %bb.133:                              ;   in Loop: Header=BB2001_116 Depth=1
                                        ; implicit-def: $vgpr47
                                        ; implicit-def: $vgpr48
; %bb.134:                              ;   in Loop: Header=BB2001_116 Depth=1
	s_andn2_saveexec_b32 s3, s3
	s_cbranch_execz .LBB2001_136
; %bb.135:                              ;   in Loop: Header=BB2001_116 Depth=1
	s_waitcnt lgkmcnt(2)
	v_add_nc_u32_e32 v5, v5, v47
	s_waitcnt lgkmcnt(1)
	v_add_nc_u32_e32 v4, v4, v48
.LBB2001_136:                           ;   in Loop: Header=BB2001_116 Depth=1
	s_or_b32 exec_lo, exec_lo, s3
	s_waitcnt lgkmcnt(0)
	v_or_b32_e32 v6, v6, v12
	v_and_b32_e32 v12, 1, v6
.LBB2001_137:                           ;   in Loop: Header=BB2001_116 Depth=1
	s_or_b32 exec_lo, exec_lo, s2
	s_waitcnt lgkmcnt(2)
	ds_bpermute_b32 v47, v39, v5
	s_waitcnt lgkmcnt(2)
	ds_bpermute_b32 v48, v39, v4
	s_waitcnt lgkmcnt(2)
	ds_bpermute_b32 v6, v39, v12
	s_mov_b32 s2, exec_lo
	v_cmpx_le_u32_e64 v40, v13
	s_cbranch_execz .LBB2001_143
; %bb.138:                              ;   in Loop: Header=BB2001_116 Depth=1
	s_mov_b32 s3, exec_lo
	v_cmpx_ne_u32_e32 0, v12
	s_xor_b32 s3, exec_lo, s3
; %bb.139:                              ;   in Loop: Header=BB2001_116 Depth=1
                                        ; implicit-def: $vgpr47
                                        ; implicit-def: $vgpr48
; %bb.140:                              ;   in Loop: Header=BB2001_116 Depth=1
	s_andn2_saveexec_b32 s3, s3
	s_cbranch_execz .LBB2001_142
; %bb.141:                              ;   in Loop: Header=BB2001_116 Depth=1
	s_waitcnt lgkmcnt(2)
	v_add_nc_u32_e32 v5, v5, v47
	s_waitcnt lgkmcnt(1)
	v_add_nc_u32_e32 v4, v4, v48
.LBB2001_142:                           ;   in Loop: Header=BB2001_116 Depth=1
	s_or_b32 exec_lo, exec_lo, s3
	s_waitcnt lgkmcnt(0)
	v_or_b32_e32 v6, v6, v12
	v_and_b32_e32 v12, 1, v6
.LBB2001_143:                           ;   in Loop: Header=BB2001_116 Depth=1
	s_or_b32 exec_lo, exec_lo, s2
	s_waitcnt lgkmcnt(2)
	ds_bpermute_b32 v47, v41, v5
	s_waitcnt lgkmcnt(2)
	ds_bpermute_b32 v48, v41, v4
	s_waitcnt lgkmcnt(2)
	ds_bpermute_b32 v6, v41, v12
	s_mov_b32 s2, exec_lo
	v_cmpx_le_u32_e64 v42, v13
	s_cbranch_execz .LBB2001_114
; %bb.144:                              ;   in Loop: Header=BB2001_116 Depth=1
	s_mov_b32 s3, exec_lo
	v_cmpx_ne_u32_e32 0, v12
	s_xor_b32 s3, exec_lo, s3
; %bb.145:                              ;   in Loop: Header=BB2001_116 Depth=1
                                        ; implicit-def: $vgpr47
                                        ; implicit-def: $vgpr48
; %bb.146:                              ;   in Loop: Header=BB2001_116 Depth=1
	s_andn2_saveexec_b32 s3, s3
	s_cbranch_execz .LBB2001_113
; %bb.147:                              ;   in Loop: Header=BB2001_116 Depth=1
	s_waitcnt lgkmcnt(2)
	v_add_nc_u32_e32 v5, v5, v47
	s_waitcnt lgkmcnt(1)
	v_add_nc_u32_e32 v4, v4, v48
	s_branch .LBB2001_113
.LBB2001_148:
                                        ; implicit-def: $vgpr11
                                        ; implicit-def: $vgpr9
                                        ; implicit-def: $vgpr6_vgpr7
	s_cbranch_execnz .LBB2001_156
	s_branch .LBB2001_218
.LBB2001_149:
	s_and_saveexec_b32 s17, s1
	s_cbranch_execz .LBB2001_151
; %bb.150:
	v_and_b32_e32 v5, 0xff, v3
	v_and_b32_e32 v3, 1, v3
	s_waitcnt lgkmcnt(0)
	v_and_b32_e32 v6, 1, v44
	v_mov_b32_e32 v4, 0
	s_mov_b32 s25, 0
	s_add_i32 s24, s6, 32
	v_cmp_eq_u32_e64 s2, 1, v3
	v_cmp_eq_u32_e64 s3, 1, v6
	v_cmp_eq_u64_e32 vcc_lo, 0, v[4:5]
	s_lshl_b64 s[24:25], s[24:25], 4
	v_add_nc_u32_e32 v7, v43, v1
	v_add_nc_u32_e32 v4, v45, v2
	s_or_b32 s6, s2, s3
	s_add_u32 s2, s8, s24
	s_addc_u32 s3, s9, s25
	v_cndmask_b32_e32 v1, v1, v7, vcc_lo
	v_mov_b32_e32 v6, s3
	v_cndmask_b32_e32 v2, v2, v4, vcc_lo
	v_cndmask_b32_e64 v3, 0, 1, s6
	v_mov_b32_e32 v4, 2
	v_mov_b32_e32 v5, s2
	;;#ASMSTART
	global_store_dwordx4 v[5:6], v[1:4] off	
s_waitcnt vmcnt(0)
	;;#ASMEND
.LBB2001_151:
	s_or_b32 exec_lo, exec_lo, s17
	v_cmp_eq_u32_e32 vcc_lo, 0, v0
	s_and_b32 exec_lo, exec_lo, vcc_lo
	s_cbranch_execz .LBB2001_153
; %bb.152:
	v_mov_b32_e32 v1, 0
	ds_write2_b32 v1, v43, v45 offset0:21 offset1:22
	ds_write_b8 v1, v44 offset:92
.LBB2001_153:
	s_or_b32 exec_lo, exec_lo, s16
	v_mov_b32_e32 v1, 0
	s_waitcnt lgkmcnt(0)
	s_barrier
	buffer_gl0_inv
	s_mov_b32 s2, 0
	ds_read2_b32 v[6:7], v1 offset0:21 offset1:22
	s_mov_b32 s3, exec_lo
	v_cmpx_ne_u32_e32 0, v0
	s_cbranch_execz .LBB2001_155
; %bb.154:
	v_cndmask_b32_e64 v2, v31, v8, s1
	v_cndmask_b32_e64 v3, v32, v9, s1
	;; [unrolled: 1-line block ×3, first 2 shown]
	s_waitcnt lgkmcnt(0)
	v_add_nc_u32_e32 v5, v2, v6
	v_add_nc_u32_e32 v7, v3, v7
	v_cmp_eq_u32_sdwa vcc_lo, v4, v1 src0_sel:BYTE_0 src1_sel:DWORD
	v_cndmask_b32_e32 v6, v2, v5, vcc_lo
	v_cndmask_b32_e32 v7, v3, v7, vcc_lo
.LBB2001_155:
	s_or_b32 exec_lo, exec_lo, s3
	s_waitcnt lgkmcnt(0)
	v_add_nc_u32_e32 v1, v19, v6
	v_add_nc_u32_e32 v2, v18, v7
	v_cmp_eq_u32_e32 vcc_lo, 0, v17
	v_cndmask_b32_e32 v8, v19, v1, vcc_lo
	v_cndmask_b32_e32 v9, v18, v2, vcc_lo
	v_add_nc_u32_e32 v1, v16, v8
	v_add_nc_u32_e32 v2, v15, v9
	v_cndmask_b32_e64 v10, v16, v1, s0
	v_cndmask_b32_e64 v11, v15, v2, s0
	s_and_b32 vcc_lo, exec_lo, s2
	s_cbranch_vccz .LBB2001_218
.LBB2001_156:
	s_cmp_eq_u64 s[22:23], 0
	v_mov_b32_e32 v4, s12
	s_cselect_b32 s0, -1, 0
	s_cmp_eq_u64 s[18:19], 0
	v_mov_b32_e32 v5, s13
	s_cselect_b32 s1, -1, 0
	s_or_b32 s0, s0, s1
	s_and_b32 vcc_lo, exec_lo, s0
	s_cbranch_vccnz .LBB2001_158
; %bb.157:
	v_mov_b32_e32 v1, 0
	global_load_dwordx2 v[4:5], v1, s[18:19]
.LBB2001_158:
	v_mov_b32_e32 v1, 0
	s_mov_b32 s1, exec_lo
	v_cmp_eq_u16_sdwa s0, v21, v1 src0_sel:BYTE_0 src1_sel:DWORD
	v_cmp_eq_u16_sdwa vcc_lo, v26, v1 src0_sel:BYTE_0 src1_sel:DWORD
	v_cndmask_b32_e64 v3, v16, v28, s0
	v_cndmask_b32_e64 v6, v15, v29, s0
	v_cndmask_b32_e32 v2, 1, v27, vcc_lo
	v_cmp_eq_u16_e32 vcc_lo, 0, v24
	v_add_nc_u32_e32 v1, v23, v3
	v_add_nc_u32_e32 v3, v25, v6
	v_or_b32_e32 v9, v2, v22
	v_cndmask_b32_e32 v8, v23, v1, vcc_lo
	v_cndmask_b32_e32 v3, v25, v3, vcc_lo
	v_and_b32_e32 v1, 15, v20
	v_mov_b32_dpp v6, v9 row_shr:1 row_mask:0xf bank_mask:0xf
	v_mov_b32_dpp v7, v8 row_shr:1 row_mask:0xf bank_mask:0xf
	;; [unrolled: 1-line block ×3, first 2 shown]
	v_cmpx_ne_u32_e32 0, v1
	s_cbranch_execz .LBB2001_162
; %bb.159:
	s_mov_b32 s2, exec_lo
	v_cmpx_eq_u32_e32 0, v2
; %bb.160:
	v_add_nc_u32_e32 v8, v8, v7
	v_add_nc_u32_e32 v3, v3, v10
; %bb.161:
	s_or_b32 exec_lo, exec_lo, s2
	v_and_b32_e32 v6, 1, v6
	v_or3_b32 v9, v22, v6, v2
.LBB2001_162:
	s_or_b32 exec_lo, exec_lo, s1
	v_mov_b32_dpp v6, v8 row_shr:2 row_mask:0xf bank_mask:0xf
	v_mov_b32_dpp v7, v3 row_shr:2 row_mask:0xf bank_mask:0xf
	v_mov_b32_dpp v2, v9 row_shr:2 row_mask:0xf bank_mask:0xf
	s_mov_b32 s1, exec_lo
	v_cmpx_lt_u32_e32 1, v1
	s_cbranch_execz .LBB2001_168
; %bb.163:
	v_mov_b32_e32 v10, 0
	v_cmp_ne_u32_sdwa s2, v9, v10 src0_sel:BYTE_0 src1_sel:DWORD
	s_and_saveexec_b32 s3, s2
	s_xor_b32 s2, exec_lo, s3
; %bb.164:
                                        ; implicit-def: $vgpr6
                                        ; implicit-def: $vgpr7
; %bb.165:
	s_andn2_saveexec_b32 s2, s2
; %bb.166:
	v_add_nc_u32_e32 v8, v8, v6
	v_add_nc_u32_e32 v3, v3, v7
; %bb.167:
	s_or_b32 exec_lo, exec_lo, s2
	v_and_b32_e32 v2, 1, v2
	v_and_or_b32 v9, 0xffffff01, v9, v2
.LBB2001_168:
	s_or_b32 exec_lo, exec_lo, s1
	v_mov_b32_dpp v6, v8 row_shr:4 row_mask:0xf bank_mask:0xf
	v_mov_b32_dpp v7, v3 row_shr:4 row_mask:0xf bank_mask:0xf
	v_mov_b32_dpp v2, v9 row_shr:4 row_mask:0xf bank_mask:0xf
	s_mov_b32 s1, exec_lo
	v_cmpx_lt_u32_e32 3, v1
	s_cbranch_execz .LBB2001_174
; %bb.169:
	v_mov_b32_e32 v10, 0
	v_cmp_ne_u32_sdwa s2, v9, v10 src0_sel:BYTE_0 src1_sel:DWORD
	s_and_saveexec_b32 s3, s2
	s_xor_b32 s2, exec_lo, s3
; %bb.170:
                                        ; implicit-def: $vgpr6
                                        ; implicit-def: $vgpr7
; %bb.171:
	s_andn2_saveexec_b32 s2, s2
; %bb.172:
	v_add_nc_u32_e32 v8, v8, v6
	v_add_nc_u32_e32 v3, v3, v7
; %bb.173:
	s_or_b32 exec_lo, exec_lo, s2
	v_and_b32_e32 v2, 1, v2
	v_and_or_b32 v9, 0xffffff01, v9, v2
.LBB2001_174:
	s_or_b32 exec_lo, exec_lo, s1
	v_mov_b32_dpp v6, v8 row_shr:8 row_mask:0xf bank_mask:0xf
	v_mov_b32_dpp v7, v3 row_shr:8 row_mask:0xf bank_mask:0xf
	v_mov_b32_dpp v2, v9 row_shr:8 row_mask:0xf bank_mask:0xf
	s_mov_b32 s1, exec_lo
	v_cmpx_lt_u32_e32 7, v1
	s_cbranch_execz .LBB2001_180
; %bb.175:
	v_mov_b32_e32 v1, 0
	v_cmp_ne_u32_sdwa s2, v9, v1 src0_sel:BYTE_0 src1_sel:DWORD
	s_and_saveexec_b32 s3, s2
	s_xor_b32 s2, exec_lo, s3
; %bb.176:
                                        ; implicit-def: $vgpr6
                                        ; implicit-def: $vgpr7
; %bb.177:
	s_andn2_saveexec_b32 s2, s2
; %bb.178:
	v_add_nc_u32_e32 v8, v8, v6
	v_add_nc_u32_e32 v3, v3, v7
; %bb.179:
	s_or_b32 exec_lo, exec_lo, s2
	v_and_b32_e32 v1, 1, v2
	v_and_or_b32 v9, 0xffffff01, v9, v1
.LBB2001_180:
	s_or_b32 exec_lo, exec_lo, s1
	ds_swizzle_b32 v2, v8 offset:swizzle(BROADCAST,32,15)
	ds_swizzle_b32 v6, v3 offset:swizzle(BROADCAST,32,15)
	;; [unrolled: 1-line block ×3, first 2 shown]
	v_and_b32_e32 v7, 16, v20
	v_cmp_ne_u32_e32 vcc_lo, 0, v7
	v_mov_b32_e32 v7, v9
	s_and_saveexec_b32 s1, vcc_lo
	s_cbranch_execz .LBB2001_186
; %bb.181:
	v_mov_b32_e32 v7, 0
	v_cmp_ne_u32_sdwa s2, v9, v7 src0_sel:BYTE_0 src1_sel:DWORD
	s_and_saveexec_b32 s3, s2
	s_xor_b32 s2, exec_lo, s3
; %bb.182:
                                        ; implicit-def: $vgpr2
                                        ; implicit-def: $vgpr6
; %bb.183:
	s_andn2_saveexec_b32 s2, s2
	s_cbranch_execz .LBB2001_185
; %bb.184:
	s_waitcnt lgkmcnt(2)
	v_add_nc_u32_e32 v8, v8, v2
	s_waitcnt lgkmcnt(1)
	v_add_nc_u32_e32 v3, v3, v6
.LBB2001_185:
	s_or_b32 exec_lo, exec_lo, s2
	s_waitcnt lgkmcnt(0)
	v_or_b32_e32 v2, v1, v9
	v_and_b32_e32 v1, 1, v1
	v_and_b32_e32 v7, 1, v2
	v_and_or_b32 v9, 0xffffff01, v9, v1
.LBB2001_186:
	s_or_b32 exec_lo, exec_lo, s1
	s_waitcnt lgkmcnt(0)
	v_or_b32_e32 v1, 31, v0
	v_lshrrev_b32_e32 v10, 5, v0
	s_mov_b32 s1, exec_lo
	v_cmpx_eq_u32_e64 v0, v1
	s_cbranch_execz .LBB2001_188
; %bb.187:
	v_mul_u32_u24_e32 v1, 12, v10
	ds_write2_b32 v1, v8, v3 offset1:1
	ds_write_b8 v1, v7 offset:8
.LBB2001_188:
	s_or_b32 exec_lo, exec_lo, s1
	s_mov_b32 s1, exec_lo
	s_waitcnt vmcnt(0) lgkmcnt(0)
	s_barrier
	buffer_gl0_inv
	v_cmpx_gt_u32_e32 8, v0
	s_cbranch_execz .LBB2001_206
; %bb.189:
	v_mul_u32_u24_e32 v6, 12, v0
	v_and_b32_e32 v11, 7, v20
	s_mov_b32 s2, exec_lo
	ds_read2_b32 v[1:2], v6 offset1:1
	ds_read_b32 v7, v6 offset:8
	s_waitcnt lgkmcnt(1)
	v_mov_b32_dpp v13, v1 row_shr:1 row_mask:0xf bank_mask:0xf
	v_mov_b32_dpp v14, v2 row_shr:1 row_mask:0xf bank_mask:0xf
	s_waitcnt lgkmcnt(0)
	v_mov_b32_dpp v12, v7 row_shr:1 row_mask:0xf bank_mask:0xf
	v_cmpx_ne_u32_e32 0, v11
	s_cbranch_execz .LBB2001_193
; %bb.190:
	v_mov_b32_e32 v21, 0
	v_cmp_eq_u32_sdwa s6, v7, v21 src0_sel:BYTE_0 src1_sel:DWORD
	s_and_saveexec_b32 s3, s6
; %bb.191:
	v_add_nc_u32_e32 v1, v1, v13
	v_add_nc_u32_e32 v2, v2, v14
; %bb.192:
	s_or_b32 exec_lo, exec_lo, s3
	v_and_b32_e32 v12, 1, v12
	v_and_or_b32 v7, 0xffffff01, v7, v12
.LBB2001_193:
	s_or_b32 exec_lo, exec_lo, s2
	v_mov_b32_dpp v13, v1 row_shr:2 row_mask:0xf bank_mask:0xf
	v_mov_b32_dpp v14, v2 row_shr:2 row_mask:0xf bank_mask:0xf
	;; [unrolled: 1-line block ×3, first 2 shown]
	s_mov_b32 s2, exec_lo
	v_cmpx_lt_u32_e32 1, v11
	s_cbranch_execz .LBB2001_199
; %bb.194:
	v_mov_b32_e32 v21, 0
	v_cmp_ne_u32_sdwa s3, v7, v21 src0_sel:BYTE_0 src1_sel:DWORD
	s_and_saveexec_b32 s6, s3
	s_xor_b32 s3, exec_lo, s6
; %bb.195:
                                        ; implicit-def: $vgpr13
                                        ; implicit-def: $vgpr14
; %bb.196:
	s_andn2_saveexec_b32 s3, s3
; %bb.197:
	v_add_nc_u32_e32 v1, v1, v13
	v_add_nc_u32_e32 v2, v2, v14
; %bb.198:
	s_or_b32 exec_lo, exec_lo, s3
	v_and_b32_e32 v12, 1, v12
	v_and_or_b32 v7, 0xffffff01, v7, v12
.LBB2001_199:
	s_or_b32 exec_lo, exec_lo, s2
	v_mov_b32_dpp v13, v1 row_shr:4 row_mask:0xf bank_mask:0xf
	v_mov_b32_dpp v14, v2 row_shr:4 row_mask:0xf bank_mask:0xf
	;; [unrolled: 1-line block ×3, first 2 shown]
	s_mov_b32 s2, exec_lo
	v_cmpx_lt_u32_e32 3, v11
	s_cbranch_execz .LBB2001_205
; %bb.200:
	v_mov_b32_e32 v11, 0
	v_cmp_ne_u32_sdwa s3, v7, v11 src0_sel:BYTE_0 src1_sel:DWORD
	s_and_saveexec_b32 s6, s3
	s_xor_b32 s3, exec_lo, s6
; %bb.201:
                                        ; implicit-def: $vgpr13
                                        ; implicit-def: $vgpr14
; %bb.202:
	s_andn2_saveexec_b32 s3, s3
; %bb.203:
	v_add_nc_u32_e32 v1, v1, v13
	v_add_nc_u32_e32 v2, v2, v14
; %bb.204:
	s_or_b32 exec_lo, exec_lo, s3
	v_or_b32_e32 v7, v12, v7
	v_and_b32_e32 v7, 1, v7
.LBB2001_205:
	s_or_b32 exec_lo, exec_lo, s2
	ds_write2_b32 v6, v1, v2 offset1:1
	ds_write_b8 v6, v7 offset:8
.LBB2001_206:
	s_or_b32 exec_lo, exec_lo, s1
	v_mov_b32_e32 v7, v5
	v_mov_b32_e32 v6, v4
	s_mov_b32 s1, exec_lo
	s_waitcnt lgkmcnt(0)
	s_barrier
	buffer_gl0_inv
	v_cmpx_lt_u32_e32 31, v0
	s_cbranch_execz .LBB2001_212
; %bb.207:
	v_mad_u32_u24 v1, v10, 12, -4
	s_mov_b32 s2, exec_lo
                                        ; implicit-def: $vgpr6
	ds_read_u8 v2, v1
	v_mad_u32_u24 v1, v10, 12, -12
	s_waitcnt lgkmcnt(0)
	v_cmpx_ne_u16_e32 0, v2
	s_xor_b32 s2, exec_lo, s2
; %bb.208:
	ds_read2_b32 v[6:7], v1 offset1:1
                                        ; implicit-def: $vgpr1
; %bb.209:
	s_andn2_saveexec_b32 s2, s2
	s_cbranch_execz .LBB2001_211
; %bb.210:
	ds_read2_b32 v[1:2], v1 offset1:1
	s_waitcnt lgkmcnt(0)
	v_add_nc_u32_e32 v6, v1, v4
	v_add_nc_u32_e32 v7, v2, v5
.LBB2001_211:
	s_or_b32 exec_lo, exec_lo, s2
.LBB2001_212:
	s_or_b32 exec_lo, exec_lo, s1
	v_sub_co_u32 v2, s1, v20, 1
	v_mov_b32_e32 v1, 0
	s_waitcnt lgkmcnt(0)
	v_add_nc_u32_e32 v10, v8, v6
	v_add_nc_u32_e32 v11, v3, v7
	v_cmp_gt_i32_e32 vcc_lo, 0, v2
	ds_read_u8 v12, v1 offset:92
	v_cndmask_b32_e32 v2, v2, v20, vcc_lo
	v_cmp_eq_u32_sdwa vcc_lo, v9, v1 src0_sel:BYTE_0 src1_sel:DWORD
	v_lshlrev_b32_e32 v2, 2, v2
	v_cndmask_b32_e32 v8, v8, v10, vcc_lo
	v_cndmask_b32_e32 v3, v3, v11, vcc_lo
	ds_bpermute_b32 v8, v2, v8
	ds_bpermute_b32 v9, v2, v3
	s_waitcnt lgkmcnt(2)
	v_cmp_ne_u32_sdwa s2, v12, v1 src0_sel:WORD_0 src1_sel:DWORD
	v_and_b32_e32 v3, 0xffff, v12
	s_and_b32 vcc_lo, exec_lo, s2
	s_mov_b32 s2, 0
	s_cbranch_vccz .LBB2001_235
; %bb.213:
	ds_read2_b32 v[1:2], v1 offset0:21 offset1:22
	s_andn2_b32 vcc_lo, exec_lo, s2
	s_cbranch_vccnz .LBB2001_215
.LBB2001_214:
	s_waitcnt lgkmcnt(0)
	v_mov_b32_e32 v1, 0
	ds_read2_b32 v[1:2], v1 offset0:21 offset1:22
	s_waitcnt lgkmcnt(0)
	v_add_nc_u32_e32 v1, v1, v4
	v_add_nc_u32_e32 v2, v2, v5
.LBB2001_215:
	s_waitcnt lgkmcnt(0)
	v_cndmask_b32_e64 v7, v9, v7, s1
	v_cndmask_b32_e64 v6, v8, v6, s1
	v_cmp_eq_u32_e32 vcc_lo, 0, v0
	v_cmp_eq_u32_e64 s1, 0, v17
	v_cndmask_b32_e32 v6, v6, v4, vcc_lo
	v_cndmask_b32_e32 v7, v7, v5, vcc_lo
	v_add_nc_u32_e32 v4, v19, v6
	v_add_nc_u32_e32 v5, v18, v7
	v_cndmask_b32_e64 v8, v19, v4, s1
	v_cndmask_b32_e64 v9, v18, v5, s1
	v_add_nc_u32_e32 v5, v16, v8
	v_add_nc_u32_e32 v11, v15, v9
	s_and_saveexec_b32 s1, vcc_lo
	s_cbranch_execz .LBB2001_217
; %bb.216:
	s_add_u32 s2, s8, 0x200
	s_addc_u32 s3, s9, 0
	v_mov_b32_e32 v4, 2
	v_mov_b32_e32 v13, s3
	;; [unrolled: 1-line block ×3, first 2 shown]
	;;#ASMSTART
	global_store_dwordx4 v[12:13], v[1:4] off	
s_waitcnt vmcnt(0)
	;;#ASMEND
.LBB2001_217:
	s_or_b32 exec_lo, exec_lo, s1
	v_cndmask_b32_e64 v10, v16, v5, s0
	v_cndmask_b32_e64 v11, v15, v11, s0
.LBB2001_218:
	s_add_u32 s0, s14, s20
	s_addc_u32 s1, s15, s21
	s_add_u32 s0, s0, s4
	s_addc_u32 s1, s1, s5
	s_and_b32 vcc_lo, exec_lo, s11
	s_cbranch_vccz .LBB2001_230
; %bb.219:
	v_mov_b32_e32 v1, 0
	v_mov_b32_e32 v2, 0
	;; [unrolled: 1-line block ×3, first 2 shown]
	v_mul_u32_u24_e32 v5, 3, v0
	v_mov_b32_e32 v4, 0
	s_add_i32 s7, s7, s10
	v_mov_b32_e32 v13, v2
	v_mov_b32_e32 v12, v1
	s_mov_b32 s2, exec_lo
	v_cmpx_gt_u32_e64 s7, v5
	s_cbranch_execz .LBB2001_225
; %bb.220:
	v_mov_b32_e32 v3, 0
	v_mov_b32_e32 v1, 0
	v_add_nc_u32_e32 v12, 1, v5
	v_mov_b32_e32 v4, 0
	v_mov_b32_e32 v2, 0
	s_mov_b32 s3, exec_lo
	v_cmpx_gt_u32_e64 s7, v12
	s_cbranch_execz .LBB2001_224
; %bb.221:
	v_mov_b32_e32 v1, 0
	v_add_nc_u32_e32 v3, 2, v5
	v_mov_b32_e32 v2, 0
	s_mov_b32 s4, exec_lo
	v_cmpx_gt_u32_e64 s7, v3
; %bb.222:
	v_mov_b32_e32 v1, v10
	v_mov_b32_e32 v2, v11
; %bb.223:
	s_or_b32 exec_lo, exec_lo, s4
	v_mov_b32_e32 v3, v8
	v_mov_b32_e32 v4, v9
.LBB2001_224:
	s_or_b32 exec_lo, exec_lo, s3
	v_mov_b32_e32 v13, v7
	v_mov_b32_e32 v12, v6
.LBB2001_225:
	s_or_b32 exec_lo, exec_lo, s2
	v_lshlrev_b32_e32 v5, 3, v5
	v_lshlrev_b32_e32 v14, 4, v0
	s_barrier
	buffer_gl0_inv
	ds_write2_b64 v5, v[12:13], v[3:4] offset1:1
	v_sub_nc_u32_e32 v3, v5, v14
	ds_write_b64 v5, v[1:2] offset:16
	s_waitcnt lgkmcnt(0)
	s_barrier
	buffer_gl0_inv
	ds_read2st64_b64 v[1:4], v3 offset0:4 offset1:8
	v_lshlrev_b32_e32 v12, 3, v0
	v_add_co_u32 v12, s2, s0, v12
	v_add_co_ci_u32_e64 v13, null, s1, 0, s2
	s_mov_b32 s2, exec_lo
	v_cmpx_gt_u32_e64 s7, v0
	s_cbranch_execz .LBB2001_227
; %bb.226:
	v_sub_nc_u32_e32 v14, 0, v14
	v_add_nc_u32_e32 v5, v5, v14
	ds_read_b64 v[14:15], v5
	s_waitcnt lgkmcnt(0)
	flat_store_dwordx2 v[12:13], v[14:15]
.LBB2001_227:
	s_or_b32 exec_lo, exec_lo, s2
	v_or_b32_e32 v5, 0x100, v0
	s_mov_b32 s2, exec_lo
	v_cmpx_gt_u32_e64 s7, v5
	s_cbranch_execz .LBB2001_229
; %bb.228:
	v_add_co_u32 v12, vcc_lo, 0x800, v12
	v_add_co_ci_u32_e64 v13, null, 0, v13, vcc_lo
	s_waitcnt lgkmcnt(0)
	flat_store_dwordx2 v[12:13], v[1:2]
.LBB2001_229:
	s_or_b32 exec_lo, exec_lo, s2
	s_waitcnt lgkmcnt(0)
	v_or_b32_e32 v1, 0x200, v0
	v_cmp_gt_u32_e64 s2, s7, v1
	s_branch .LBB2001_232
.LBB2001_230:
	s_mov_b32 s2, 0
                                        ; implicit-def: $vgpr3_vgpr4
	s_cbranch_execz .LBB2001_232
; %bb.231:
	v_mul_u32_u24_e32 v1, 24, v0
	v_lshlrev_b32_e32 v2, 4, v0
	s_waitcnt_vscnt null, 0x0
	s_barrier
	buffer_gl0_inv
	ds_write2_b64 v1, v[6:7], v[8:9] offset1:1
	v_sub_nc_u32_e32 v2, v1, v2
	ds_write_b64 v1, v[10:11] offset:16
	s_waitcnt lgkmcnt(0)
	s_barrier
	buffer_gl0_inv
	ds_read2st64_b64 v[5:8], v2 offset1:4
	ds_read_b64 v[3:4], v2 offset:4096
	v_lshlrev_b32_e32 v1, 3, v0
	s_or_b32 s2, s2, exec_lo
	v_add_co_u32 v1, s3, s0, v1
	v_add_co_ci_u32_e64 v2, null, s1, 0, s3
	v_add_co_u32 v9, vcc_lo, 0x800, v1
	v_add_co_ci_u32_e64 v10, null, 0, v2, vcc_lo
	s_waitcnt lgkmcnt(1)
	flat_store_dwordx2 v[1:2], v[5:6]
	flat_store_dwordx2 v[9:10], v[7:8]
.LBB2001_232:
	s_and_saveexec_b32 s3, s2
	s_cbranch_execnz .LBB2001_234
; %bb.233:
	s_endpgm
.LBB2001_234:
	v_lshlrev_b32_e32 v0, 3, v0
	v_add_co_u32 v0, s0, s0, v0
	v_add_co_ci_u32_e64 v1, null, s1, 0, s0
	v_add_co_u32 v0, vcc_lo, 0x1000, v0
	v_add_co_ci_u32_e64 v1, null, 0, v1, vcc_lo
	s_waitcnt lgkmcnt(2)
	flat_store_dwordx2 v[0:1], v[3:4]
	s_endpgm
.LBB2001_235:
	s_branch .LBB2001_214
	.section	.rodata,"a",@progbits
	.p2align	6, 0x0
	.amdhsa_kernel _ZN7rocprim17ROCPRIM_400000_NS6detail17trampoline_kernelINS0_14default_configENS1_27scan_by_key_config_selectorIj11FixedVectorIiLj2EEEEZZNS1_16scan_by_key_implILNS1_25lookback_scan_determinismE0ELb1ES3_N6thrust23THRUST_200600_302600_NS6detail15normal_iteratorINSB_10device_ptrIjEEEENSD_INSE_IS6_EEEESI_S6_NSB_4plusIvEENSB_8equal_toIvEES6_EE10hipError_tPvRmT2_T3_T4_T5_mT6_T7_P12ihipStream_tbENKUlT_T0_E_clISt17integral_constantIbLb0EES13_EEDaSY_SZ_EUlSY_E_NS1_11comp_targetILNS1_3genE8ELNS1_11target_archE1030ELNS1_3gpuE2ELNS1_3repE0EEENS1_30default_config_static_selectorELNS0_4arch9wavefront6targetE0EEEvT1_
		.amdhsa_group_segment_fixed_size 6144
		.amdhsa_private_segment_fixed_size 0
		.amdhsa_kernarg_size 120
		.amdhsa_user_sgpr_count 6
		.amdhsa_user_sgpr_private_segment_buffer 1
		.amdhsa_user_sgpr_dispatch_ptr 0
		.amdhsa_user_sgpr_queue_ptr 0
		.amdhsa_user_sgpr_kernarg_segment_ptr 1
		.amdhsa_user_sgpr_dispatch_id 0
		.amdhsa_user_sgpr_flat_scratch_init 0
		.amdhsa_user_sgpr_private_segment_size 0
		.amdhsa_wavefront_size32 1
		.amdhsa_uses_dynamic_stack 0
		.amdhsa_system_sgpr_private_segment_wavefront_offset 0
		.amdhsa_system_sgpr_workgroup_id_x 1
		.amdhsa_system_sgpr_workgroup_id_y 0
		.amdhsa_system_sgpr_workgroup_id_z 0
		.amdhsa_system_sgpr_workgroup_info 0
		.amdhsa_system_vgpr_workitem_id 0
		.amdhsa_next_free_vgpr 53
		.amdhsa_next_free_sgpr 30
		.amdhsa_reserve_vcc 1
		.amdhsa_reserve_flat_scratch 1
		.amdhsa_float_round_mode_32 0
		.amdhsa_float_round_mode_16_64 0
		.amdhsa_float_denorm_mode_32 3
		.amdhsa_float_denorm_mode_16_64 3
		.amdhsa_dx10_clamp 1
		.amdhsa_ieee_mode 1
		.amdhsa_fp16_overflow 0
		.amdhsa_workgroup_processor_mode 1
		.amdhsa_memory_ordered 1
		.amdhsa_forward_progress 1
		.amdhsa_shared_vgpr_count 0
		.amdhsa_exception_fp_ieee_invalid_op 0
		.amdhsa_exception_fp_denorm_src 0
		.amdhsa_exception_fp_ieee_div_zero 0
		.amdhsa_exception_fp_ieee_overflow 0
		.amdhsa_exception_fp_ieee_underflow 0
		.amdhsa_exception_fp_ieee_inexact 0
		.amdhsa_exception_int_div_zero 0
	.end_amdhsa_kernel
	.section	.text._ZN7rocprim17ROCPRIM_400000_NS6detail17trampoline_kernelINS0_14default_configENS1_27scan_by_key_config_selectorIj11FixedVectorIiLj2EEEEZZNS1_16scan_by_key_implILNS1_25lookback_scan_determinismE0ELb1ES3_N6thrust23THRUST_200600_302600_NS6detail15normal_iteratorINSB_10device_ptrIjEEEENSD_INSE_IS6_EEEESI_S6_NSB_4plusIvEENSB_8equal_toIvEES6_EE10hipError_tPvRmT2_T3_T4_T5_mT6_T7_P12ihipStream_tbENKUlT_T0_E_clISt17integral_constantIbLb0EES13_EEDaSY_SZ_EUlSY_E_NS1_11comp_targetILNS1_3genE8ELNS1_11target_archE1030ELNS1_3gpuE2ELNS1_3repE0EEENS1_30default_config_static_selectorELNS0_4arch9wavefront6targetE0EEEvT1_,"axG",@progbits,_ZN7rocprim17ROCPRIM_400000_NS6detail17trampoline_kernelINS0_14default_configENS1_27scan_by_key_config_selectorIj11FixedVectorIiLj2EEEEZZNS1_16scan_by_key_implILNS1_25lookback_scan_determinismE0ELb1ES3_N6thrust23THRUST_200600_302600_NS6detail15normal_iteratorINSB_10device_ptrIjEEEENSD_INSE_IS6_EEEESI_S6_NSB_4plusIvEENSB_8equal_toIvEES6_EE10hipError_tPvRmT2_T3_T4_T5_mT6_T7_P12ihipStream_tbENKUlT_T0_E_clISt17integral_constantIbLb0EES13_EEDaSY_SZ_EUlSY_E_NS1_11comp_targetILNS1_3genE8ELNS1_11target_archE1030ELNS1_3gpuE2ELNS1_3repE0EEENS1_30default_config_static_selectorELNS0_4arch9wavefront6targetE0EEEvT1_,comdat
.Lfunc_end2001:
	.size	_ZN7rocprim17ROCPRIM_400000_NS6detail17trampoline_kernelINS0_14default_configENS1_27scan_by_key_config_selectorIj11FixedVectorIiLj2EEEEZZNS1_16scan_by_key_implILNS1_25lookback_scan_determinismE0ELb1ES3_N6thrust23THRUST_200600_302600_NS6detail15normal_iteratorINSB_10device_ptrIjEEEENSD_INSE_IS6_EEEESI_S6_NSB_4plusIvEENSB_8equal_toIvEES6_EE10hipError_tPvRmT2_T3_T4_T5_mT6_T7_P12ihipStream_tbENKUlT_T0_E_clISt17integral_constantIbLb0EES13_EEDaSY_SZ_EUlSY_E_NS1_11comp_targetILNS1_3genE8ELNS1_11target_archE1030ELNS1_3gpuE2ELNS1_3repE0EEENS1_30default_config_static_selectorELNS0_4arch9wavefront6targetE0EEEvT1_, .Lfunc_end2001-_ZN7rocprim17ROCPRIM_400000_NS6detail17trampoline_kernelINS0_14default_configENS1_27scan_by_key_config_selectorIj11FixedVectorIiLj2EEEEZZNS1_16scan_by_key_implILNS1_25lookback_scan_determinismE0ELb1ES3_N6thrust23THRUST_200600_302600_NS6detail15normal_iteratorINSB_10device_ptrIjEEEENSD_INSE_IS6_EEEESI_S6_NSB_4plusIvEENSB_8equal_toIvEES6_EE10hipError_tPvRmT2_T3_T4_T5_mT6_T7_P12ihipStream_tbENKUlT_T0_E_clISt17integral_constantIbLb0EES13_EEDaSY_SZ_EUlSY_E_NS1_11comp_targetILNS1_3genE8ELNS1_11target_archE1030ELNS1_3gpuE2ELNS1_3repE0EEENS1_30default_config_static_selectorELNS0_4arch9wavefront6targetE0EEEvT1_
                                        ; -- End function
	.set _ZN7rocprim17ROCPRIM_400000_NS6detail17trampoline_kernelINS0_14default_configENS1_27scan_by_key_config_selectorIj11FixedVectorIiLj2EEEEZZNS1_16scan_by_key_implILNS1_25lookback_scan_determinismE0ELb1ES3_N6thrust23THRUST_200600_302600_NS6detail15normal_iteratorINSB_10device_ptrIjEEEENSD_INSE_IS6_EEEESI_S6_NSB_4plusIvEENSB_8equal_toIvEES6_EE10hipError_tPvRmT2_T3_T4_T5_mT6_T7_P12ihipStream_tbENKUlT_T0_E_clISt17integral_constantIbLb0EES13_EEDaSY_SZ_EUlSY_E_NS1_11comp_targetILNS1_3genE8ELNS1_11target_archE1030ELNS1_3gpuE2ELNS1_3repE0EEENS1_30default_config_static_selectorELNS0_4arch9wavefront6targetE0EEEvT1_.num_vgpr, 53
	.set _ZN7rocprim17ROCPRIM_400000_NS6detail17trampoline_kernelINS0_14default_configENS1_27scan_by_key_config_selectorIj11FixedVectorIiLj2EEEEZZNS1_16scan_by_key_implILNS1_25lookback_scan_determinismE0ELb1ES3_N6thrust23THRUST_200600_302600_NS6detail15normal_iteratorINSB_10device_ptrIjEEEENSD_INSE_IS6_EEEESI_S6_NSB_4plusIvEENSB_8equal_toIvEES6_EE10hipError_tPvRmT2_T3_T4_T5_mT6_T7_P12ihipStream_tbENKUlT_T0_E_clISt17integral_constantIbLb0EES13_EEDaSY_SZ_EUlSY_E_NS1_11comp_targetILNS1_3genE8ELNS1_11target_archE1030ELNS1_3gpuE2ELNS1_3repE0EEENS1_30default_config_static_selectorELNS0_4arch9wavefront6targetE0EEEvT1_.num_agpr, 0
	.set _ZN7rocprim17ROCPRIM_400000_NS6detail17trampoline_kernelINS0_14default_configENS1_27scan_by_key_config_selectorIj11FixedVectorIiLj2EEEEZZNS1_16scan_by_key_implILNS1_25lookback_scan_determinismE0ELb1ES3_N6thrust23THRUST_200600_302600_NS6detail15normal_iteratorINSB_10device_ptrIjEEEENSD_INSE_IS6_EEEESI_S6_NSB_4plusIvEENSB_8equal_toIvEES6_EE10hipError_tPvRmT2_T3_T4_T5_mT6_T7_P12ihipStream_tbENKUlT_T0_E_clISt17integral_constantIbLb0EES13_EEDaSY_SZ_EUlSY_E_NS1_11comp_targetILNS1_3genE8ELNS1_11target_archE1030ELNS1_3gpuE2ELNS1_3repE0EEENS1_30default_config_static_selectorELNS0_4arch9wavefront6targetE0EEEvT1_.numbered_sgpr, 30
	.set _ZN7rocprim17ROCPRIM_400000_NS6detail17trampoline_kernelINS0_14default_configENS1_27scan_by_key_config_selectorIj11FixedVectorIiLj2EEEEZZNS1_16scan_by_key_implILNS1_25lookback_scan_determinismE0ELb1ES3_N6thrust23THRUST_200600_302600_NS6detail15normal_iteratorINSB_10device_ptrIjEEEENSD_INSE_IS6_EEEESI_S6_NSB_4plusIvEENSB_8equal_toIvEES6_EE10hipError_tPvRmT2_T3_T4_T5_mT6_T7_P12ihipStream_tbENKUlT_T0_E_clISt17integral_constantIbLb0EES13_EEDaSY_SZ_EUlSY_E_NS1_11comp_targetILNS1_3genE8ELNS1_11target_archE1030ELNS1_3gpuE2ELNS1_3repE0EEENS1_30default_config_static_selectorELNS0_4arch9wavefront6targetE0EEEvT1_.num_named_barrier, 0
	.set _ZN7rocprim17ROCPRIM_400000_NS6detail17trampoline_kernelINS0_14default_configENS1_27scan_by_key_config_selectorIj11FixedVectorIiLj2EEEEZZNS1_16scan_by_key_implILNS1_25lookback_scan_determinismE0ELb1ES3_N6thrust23THRUST_200600_302600_NS6detail15normal_iteratorINSB_10device_ptrIjEEEENSD_INSE_IS6_EEEESI_S6_NSB_4plusIvEENSB_8equal_toIvEES6_EE10hipError_tPvRmT2_T3_T4_T5_mT6_T7_P12ihipStream_tbENKUlT_T0_E_clISt17integral_constantIbLb0EES13_EEDaSY_SZ_EUlSY_E_NS1_11comp_targetILNS1_3genE8ELNS1_11target_archE1030ELNS1_3gpuE2ELNS1_3repE0EEENS1_30default_config_static_selectorELNS0_4arch9wavefront6targetE0EEEvT1_.private_seg_size, 0
	.set _ZN7rocprim17ROCPRIM_400000_NS6detail17trampoline_kernelINS0_14default_configENS1_27scan_by_key_config_selectorIj11FixedVectorIiLj2EEEEZZNS1_16scan_by_key_implILNS1_25lookback_scan_determinismE0ELb1ES3_N6thrust23THRUST_200600_302600_NS6detail15normal_iteratorINSB_10device_ptrIjEEEENSD_INSE_IS6_EEEESI_S6_NSB_4plusIvEENSB_8equal_toIvEES6_EE10hipError_tPvRmT2_T3_T4_T5_mT6_T7_P12ihipStream_tbENKUlT_T0_E_clISt17integral_constantIbLb0EES13_EEDaSY_SZ_EUlSY_E_NS1_11comp_targetILNS1_3genE8ELNS1_11target_archE1030ELNS1_3gpuE2ELNS1_3repE0EEENS1_30default_config_static_selectorELNS0_4arch9wavefront6targetE0EEEvT1_.uses_vcc, 1
	.set _ZN7rocprim17ROCPRIM_400000_NS6detail17trampoline_kernelINS0_14default_configENS1_27scan_by_key_config_selectorIj11FixedVectorIiLj2EEEEZZNS1_16scan_by_key_implILNS1_25lookback_scan_determinismE0ELb1ES3_N6thrust23THRUST_200600_302600_NS6detail15normal_iteratorINSB_10device_ptrIjEEEENSD_INSE_IS6_EEEESI_S6_NSB_4plusIvEENSB_8equal_toIvEES6_EE10hipError_tPvRmT2_T3_T4_T5_mT6_T7_P12ihipStream_tbENKUlT_T0_E_clISt17integral_constantIbLb0EES13_EEDaSY_SZ_EUlSY_E_NS1_11comp_targetILNS1_3genE8ELNS1_11target_archE1030ELNS1_3gpuE2ELNS1_3repE0EEENS1_30default_config_static_selectorELNS0_4arch9wavefront6targetE0EEEvT1_.uses_flat_scratch, 1
	.set _ZN7rocprim17ROCPRIM_400000_NS6detail17trampoline_kernelINS0_14default_configENS1_27scan_by_key_config_selectorIj11FixedVectorIiLj2EEEEZZNS1_16scan_by_key_implILNS1_25lookback_scan_determinismE0ELb1ES3_N6thrust23THRUST_200600_302600_NS6detail15normal_iteratorINSB_10device_ptrIjEEEENSD_INSE_IS6_EEEESI_S6_NSB_4plusIvEENSB_8equal_toIvEES6_EE10hipError_tPvRmT2_T3_T4_T5_mT6_T7_P12ihipStream_tbENKUlT_T0_E_clISt17integral_constantIbLb0EES13_EEDaSY_SZ_EUlSY_E_NS1_11comp_targetILNS1_3genE8ELNS1_11target_archE1030ELNS1_3gpuE2ELNS1_3repE0EEENS1_30default_config_static_selectorELNS0_4arch9wavefront6targetE0EEEvT1_.has_dyn_sized_stack, 0
	.set _ZN7rocprim17ROCPRIM_400000_NS6detail17trampoline_kernelINS0_14default_configENS1_27scan_by_key_config_selectorIj11FixedVectorIiLj2EEEEZZNS1_16scan_by_key_implILNS1_25lookback_scan_determinismE0ELb1ES3_N6thrust23THRUST_200600_302600_NS6detail15normal_iteratorINSB_10device_ptrIjEEEENSD_INSE_IS6_EEEESI_S6_NSB_4plusIvEENSB_8equal_toIvEES6_EE10hipError_tPvRmT2_T3_T4_T5_mT6_T7_P12ihipStream_tbENKUlT_T0_E_clISt17integral_constantIbLb0EES13_EEDaSY_SZ_EUlSY_E_NS1_11comp_targetILNS1_3genE8ELNS1_11target_archE1030ELNS1_3gpuE2ELNS1_3repE0EEENS1_30default_config_static_selectorELNS0_4arch9wavefront6targetE0EEEvT1_.has_recursion, 0
	.set _ZN7rocprim17ROCPRIM_400000_NS6detail17trampoline_kernelINS0_14default_configENS1_27scan_by_key_config_selectorIj11FixedVectorIiLj2EEEEZZNS1_16scan_by_key_implILNS1_25lookback_scan_determinismE0ELb1ES3_N6thrust23THRUST_200600_302600_NS6detail15normal_iteratorINSB_10device_ptrIjEEEENSD_INSE_IS6_EEEESI_S6_NSB_4plusIvEENSB_8equal_toIvEES6_EE10hipError_tPvRmT2_T3_T4_T5_mT6_T7_P12ihipStream_tbENKUlT_T0_E_clISt17integral_constantIbLb0EES13_EEDaSY_SZ_EUlSY_E_NS1_11comp_targetILNS1_3genE8ELNS1_11target_archE1030ELNS1_3gpuE2ELNS1_3repE0EEENS1_30default_config_static_selectorELNS0_4arch9wavefront6targetE0EEEvT1_.has_indirect_call, 0
	.section	.AMDGPU.csdata,"",@progbits
; Kernel info:
; codeLenInByte = 7224
; TotalNumSgprs: 32
; NumVgprs: 53
; ScratchSize: 0
; MemoryBound: 0
; FloatMode: 240
; IeeeMode: 1
; LDSByteSize: 6144 bytes/workgroup (compile time only)
; SGPRBlocks: 0
; VGPRBlocks: 6
; NumSGPRsForWavesPerEU: 32
; NumVGPRsForWavesPerEU: 53
; Occupancy: 16
; WaveLimiterHint : 1
; COMPUTE_PGM_RSRC2:SCRATCH_EN: 0
; COMPUTE_PGM_RSRC2:USER_SGPR: 6
; COMPUTE_PGM_RSRC2:TRAP_HANDLER: 0
; COMPUTE_PGM_RSRC2:TGID_X_EN: 1
; COMPUTE_PGM_RSRC2:TGID_Y_EN: 0
; COMPUTE_PGM_RSRC2:TGID_Z_EN: 0
; COMPUTE_PGM_RSRC2:TIDIG_COMP_CNT: 0
	.section	.text._ZN7rocprim17ROCPRIM_400000_NS6detail17trampoline_kernelINS0_14default_configENS1_27scan_by_key_config_selectorIj11FixedVectorIiLj2EEEEZZNS1_16scan_by_key_implILNS1_25lookback_scan_determinismE0ELb1ES3_N6thrust23THRUST_200600_302600_NS6detail15normal_iteratorINSB_10device_ptrIjEEEENSD_INSE_IS6_EEEESI_S6_NSB_4plusIvEENSB_8equal_toIvEES6_EE10hipError_tPvRmT2_T3_T4_T5_mT6_T7_P12ihipStream_tbENKUlT_T0_E_clISt17integral_constantIbLb1EES13_EEDaSY_SZ_EUlSY_E_NS1_11comp_targetILNS1_3genE0ELNS1_11target_archE4294967295ELNS1_3gpuE0ELNS1_3repE0EEENS1_30default_config_static_selectorELNS0_4arch9wavefront6targetE0EEEvT1_,"axG",@progbits,_ZN7rocprim17ROCPRIM_400000_NS6detail17trampoline_kernelINS0_14default_configENS1_27scan_by_key_config_selectorIj11FixedVectorIiLj2EEEEZZNS1_16scan_by_key_implILNS1_25lookback_scan_determinismE0ELb1ES3_N6thrust23THRUST_200600_302600_NS6detail15normal_iteratorINSB_10device_ptrIjEEEENSD_INSE_IS6_EEEESI_S6_NSB_4plusIvEENSB_8equal_toIvEES6_EE10hipError_tPvRmT2_T3_T4_T5_mT6_T7_P12ihipStream_tbENKUlT_T0_E_clISt17integral_constantIbLb1EES13_EEDaSY_SZ_EUlSY_E_NS1_11comp_targetILNS1_3genE0ELNS1_11target_archE4294967295ELNS1_3gpuE0ELNS1_3repE0EEENS1_30default_config_static_selectorELNS0_4arch9wavefront6targetE0EEEvT1_,comdat
	.protected	_ZN7rocprim17ROCPRIM_400000_NS6detail17trampoline_kernelINS0_14default_configENS1_27scan_by_key_config_selectorIj11FixedVectorIiLj2EEEEZZNS1_16scan_by_key_implILNS1_25lookback_scan_determinismE0ELb1ES3_N6thrust23THRUST_200600_302600_NS6detail15normal_iteratorINSB_10device_ptrIjEEEENSD_INSE_IS6_EEEESI_S6_NSB_4plusIvEENSB_8equal_toIvEES6_EE10hipError_tPvRmT2_T3_T4_T5_mT6_T7_P12ihipStream_tbENKUlT_T0_E_clISt17integral_constantIbLb1EES13_EEDaSY_SZ_EUlSY_E_NS1_11comp_targetILNS1_3genE0ELNS1_11target_archE4294967295ELNS1_3gpuE0ELNS1_3repE0EEENS1_30default_config_static_selectorELNS0_4arch9wavefront6targetE0EEEvT1_ ; -- Begin function _ZN7rocprim17ROCPRIM_400000_NS6detail17trampoline_kernelINS0_14default_configENS1_27scan_by_key_config_selectorIj11FixedVectorIiLj2EEEEZZNS1_16scan_by_key_implILNS1_25lookback_scan_determinismE0ELb1ES3_N6thrust23THRUST_200600_302600_NS6detail15normal_iteratorINSB_10device_ptrIjEEEENSD_INSE_IS6_EEEESI_S6_NSB_4plusIvEENSB_8equal_toIvEES6_EE10hipError_tPvRmT2_T3_T4_T5_mT6_T7_P12ihipStream_tbENKUlT_T0_E_clISt17integral_constantIbLb1EES13_EEDaSY_SZ_EUlSY_E_NS1_11comp_targetILNS1_3genE0ELNS1_11target_archE4294967295ELNS1_3gpuE0ELNS1_3repE0EEENS1_30default_config_static_selectorELNS0_4arch9wavefront6targetE0EEEvT1_
	.globl	_ZN7rocprim17ROCPRIM_400000_NS6detail17trampoline_kernelINS0_14default_configENS1_27scan_by_key_config_selectorIj11FixedVectorIiLj2EEEEZZNS1_16scan_by_key_implILNS1_25lookback_scan_determinismE0ELb1ES3_N6thrust23THRUST_200600_302600_NS6detail15normal_iteratorINSB_10device_ptrIjEEEENSD_INSE_IS6_EEEESI_S6_NSB_4plusIvEENSB_8equal_toIvEES6_EE10hipError_tPvRmT2_T3_T4_T5_mT6_T7_P12ihipStream_tbENKUlT_T0_E_clISt17integral_constantIbLb1EES13_EEDaSY_SZ_EUlSY_E_NS1_11comp_targetILNS1_3genE0ELNS1_11target_archE4294967295ELNS1_3gpuE0ELNS1_3repE0EEENS1_30default_config_static_selectorELNS0_4arch9wavefront6targetE0EEEvT1_
	.p2align	8
	.type	_ZN7rocprim17ROCPRIM_400000_NS6detail17trampoline_kernelINS0_14default_configENS1_27scan_by_key_config_selectorIj11FixedVectorIiLj2EEEEZZNS1_16scan_by_key_implILNS1_25lookback_scan_determinismE0ELb1ES3_N6thrust23THRUST_200600_302600_NS6detail15normal_iteratorINSB_10device_ptrIjEEEENSD_INSE_IS6_EEEESI_S6_NSB_4plusIvEENSB_8equal_toIvEES6_EE10hipError_tPvRmT2_T3_T4_T5_mT6_T7_P12ihipStream_tbENKUlT_T0_E_clISt17integral_constantIbLb1EES13_EEDaSY_SZ_EUlSY_E_NS1_11comp_targetILNS1_3genE0ELNS1_11target_archE4294967295ELNS1_3gpuE0ELNS1_3repE0EEENS1_30default_config_static_selectorELNS0_4arch9wavefront6targetE0EEEvT1_,@function
_ZN7rocprim17ROCPRIM_400000_NS6detail17trampoline_kernelINS0_14default_configENS1_27scan_by_key_config_selectorIj11FixedVectorIiLj2EEEEZZNS1_16scan_by_key_implILNS1_25lookback_scan_determinismE0ELb1ES3_N6thrust23THRUST_200600_302600_NS6detail15normal_iteratorINSB_10device_ptrIjEEEENSD_INSE_IS6_EEEESI_S6_NSB_4plusIvEENSB_8equal_toIvEES6_EE10hipError_tPvRmT2_T3_T4_T5_mT6_T7_P12ihipStream_tbENKUlT_T0_E_clISt17integral_constantIbLb1EES13_EEDaSY_SZ_EUlSY_E_NS1_11comp_targetILNS1_3genE0ELNS1_11target_archE4294967295ELNS1_3gpuE0ELNS1_3repE0EEENS1_30default_config_static_selectorELNS0_4arch9wavefront6targetE0EEEvT1_: ; @_ZN7rocprim17ROCPRIM_400000_NS6detail17trampoline_kernelINS0_14default_configENS1_27scan_by_key_config_selectorIj11FixedVectorIiLj2EEEEZZNS1_16scan_by_key_implILNS1_25lookback_scan_determinismE0ELb1ES3_N6thrust23THRUST_200600_302600_NS6detail15normal_iteratorINSB_10device_ptrIjEEEENSD_INSE_IS6_EEEESI_S6_NSB_4plusIvEENSB_8equal_toIvEES6_EE10hipError_tPvRmT2_T3_T4_T5_mT6_T7_P12ihipStream_tbENKUlT_T0_E_clISt17integral_constantIbLb1EES13_EEDaSY_SZ_EUlSY_E_NS1_11comp_targetILNS1_3genE0ELNS1_11target_archE4294967295ELNS1_3gpuE0ELNS1_3repE0EEENS1_30default_config_static_selectorELNS0_4arch9wavefront6targetE0EEEvT1_
; %bb.0:
	.section	.rodata,"a",@progbits
	.p2align	6, 0x0
	.amdhsa_kernel _ZN7rocprim17ROCPRIM_400000_NS6detail17trampoline_kernelINS0_14default_configENS1_27scan_by_key_config_selectorIj11FixedVectorIiLj2EEEEZZNS1_16scan_by_key_implILNS1_25lookback_scan_determinismE0ELb1ES3_N6thrust23THRUST_200600_302600_NS6detail15normal_iteratorINSB_10device_ptrIjEEEENSD_INSE_IS6_EEEESI_S6_NSB_4plusIvEENSB_8equal_toIvEES6_EE10hipError_tPvRmT2_T3_T4_T5_mT6_T7_P12ihipStream_tbENKUlT_T0_E_clISt17integral_constantIbLb1EES13_EEDaSY_SZ_EUlSY_E_NS1_11comp_targetILNS1_3genE0ELNS1_11target_archE4294967295ELNS1_3gpuE0ELNS1_3repE0EEENS1_30default_config_static_selectorELNS0_4arch9wavefront6targetE0EEEvT1_
		.amdhsa_group_segment_fixed_size 0
		.amdhsa_private_segment_fixed_size 0
		.amdhsa_kernarg_size 120
		.amdhsa_user_sgpr_count 6
		.amdhsa_user_sgpr_private_segment_buffer 1
		.amdhsa_user_sgpr_dispatch_ptr 0
		.amdhsa_user_sgpr_queue_ptr 0
		.amdhsa_user_sgpr_kernarg_segment_ptr 1
		.amdhsa_user_sgpr_dispatch_id 0
		.amdhsa_user_sgpr_flat_scratch_init 0
		.amdhsa_user_sgpr_private_segment_size 0
		.amdhsa_wavefront_size32 1
		.amdhsa_uses_dynamic_stack 0
		.amdhsa_system_sgpr_private_segment_wavefront_offset 0
		.amdhsa_system_sgpr_workgroup_id_x 1
		.amdhsa_system_sgpr_workgroup_id_y 0
		.amdhsa_system_sgpr_workgroup_id_z 0
		.amdhsa_system_sgpr_workgroup_info 0
		.amdhsa_system_vgpr_workitem_id 0
		.amdhsa_next_free_vgpr 1
		.amdhsa_next_free_sgpr 1
		.amdhsa_reserve_vcc 0
		.amdhsa_reserve_flat_scratch 0
		.amdhsa_float_round_mode_32 0
		.amdhsa_float_round_mode_16_64 0
		.amdhsa_float_denorm_mode_32 3
		.amdhsa_float_denorm_mode_16_64 3
		.amdhsa_dx10_clamp 1
		.amdhsa_ieee_mode 1
		.amdhsa_fp16_overflow 0
		.amdhsa_workgroup_processor_mode 1
		.amdhsa_memory_ordered 1
		.amdhsa_forward_progress 1
		.amdhsa_shared_vgpr_count 0
		.amdhsa_exception_fp_ieee_invalid_op 0
		.amdhsa_exception_fp_denorm_src 0
		.amdhsa_exception_fp_ieee_div_zero 0
		.amdhsa_exception_fp_ieee_overflow 0
		.amdhsa_exception_fp_ieee_underflow 0
		.amdhsa_exception_fp_ieee_inexact 0
		.amdhsa_exception_int_div_zero 0
	.end_amdhsa_kernel
	.section	.text._ZN7rocprim17ROCPRIM_400000_NS6detail17trampoline_kernelINS0_14default_configENS1_27scan_by_key_config_selectorIj11FixedVectorIiLj2EEEEZZNS1_16scan_by_key_implILNS1_25lookback_scan_determinismE0ELb1ES3_N6thrust23THRUST_200600_302600_NS6detail15normal_iteratorINSB_10device_ptrIjEEEENSD_INSE_IS6_EEEESI_S6_NSB_4plusIvEENSB_8equal_toIvEES6_EE10hipError_tPvRmT2_T3_T4_T5_mT6_T7_P12ihipStream_tbENKUlT_T0_E_clISt17integral_constantIbLb1EES13_EEDaSY_SZ_EUlSY_E_NS1_11comp_targetILNS1_3genE0ELNS1_11target_archE4294967295ELNS1_3gpuE0ELNS1_3repE0EEENS1_30default_config_static_selectorELNS0_4arch9wavefront6targetE0EEEvT1_,"axG",@progbits,_ZN7rocprim17ROCPRIM_400000_NS6detail17trampoline_kernelINS0_14default_configENS1_27scan_by_key_config_selectorIj11FixedVectorIiLj2EEEEZZNS1_16scan_by_key_implILNS1_25lookback_scan_determinismE0ELb1ES3_N6thrust23THRUST_200600_302600_NS6detail15normal_iteratorINSB_10device_ptrIjEEEENSD_INSE_IS6_EEEESI_S6_NSB_4plusIvEENSB_8equal_toIvEES6_EE10hipError_tPvRmT2_T3_T4_T5_mT6_T7_P12ihipStream_tbENKUlT_T0_E_clISt17integral_constantIbLb1EES13_EEDaSY_SZ_EUlSY_E_NS1_11comp_targetILNS1_3genE0ELNS1_11target_archE4294967295ELNS1_3gpuE0ELNS1_3repE0EEENS1_30default_config_static_selectorELNS0_4arch9wavefront6targetE0EEEvT1_,comdat
.Lfunc_end2002:
	.size	_ZN7rocprim17ROCPRIM_400000_NS6detail17trampoline_kernelINS0_14default_configENS1_27scan_by_key_config_selectorIj11FixedVectorIiLj2EEEEZZNS1_16scan_by_key_implILNS1_25lookback_scan_determinismE0ELb1ES3_N6thrust23THRUST_200600_302600_NS6detail15normal_iteratorINSB_10device_ptrIjEEEENSD_INSE_IS6_EEEESI_S6_NSB_4plusIvEENSB_8equal_toIvEES6_EE10hipError_tPvRmT2_T3_T4_T5_mT6_T7_P12ihipStream_tbENKUlT_T0_E_clISt17integral_constantIbLb1EES13_EEDaSY_SZ_EUlSY_E_NS1_11comp_targetILNS1_3genE0ELNS1_11target_archE4294967295ELNS1_3gpuE0ELNS1_3repE0EEENS1_30default_config_static_selectorELNS0_4arch9wavefront6targetE0EEEvT1_, .Lfunc_end2002-_ZN7rocprim17ROCPRIM_400000_NS6detail17trampoline_kernelINS0_14default_configENS1_27scan_by_key_config_selectorIj11FixedVectorIiLj2EEEEZZNS1_16scan_by_key_implILNS1_25lookback_scan_determinismE0ELb1ES3_N6thrust23THRUST_200600_302600_NS6detail15normal_iteratorINSB_10device_ptrIjEEEENSD_INSE_IS6_EEEESI_S6_NSB_4plusIvEENSB_8equal_toIvEES6_EE10hipError_tPvRmT2_T3_T4_T5_mT6_T7_P12ihipStream_tbENKUlT_T0_E_clISt17integral_constantIbLb1EES13_EEDaSY_SZ_EUlSY_E_NS1_11comp_targetILNS1_3genE0ELNS1_11target_archE4294967295ELNS1_3gpuE0ELNS1_3repE0EEENS1_30default_config_static_selectorELNS0_4arch9wavefront6targetE0EEEvT1_
                                        ; -- End function
	.set _ZN7rocprim17ROCPRIM_400000_NS6detail17trampoline_kernelINS0_14default_configENS1_27scan_by_key_config_selectorIj11FixedVectorIiLj2EEEEZZNS1_16scan_by_key_implILNS1_25lookback_scan_determinismE0ELb1ES3_N6thrust23THRUST_200600_302600_NS6detail15normal_iteratorINSB_10device_ptrIjEEEENSD_INSE_IS6_EEEESI_S6_NSB_4plusIvEENSB_8equal_toIvEES6_EE10hipError_tPvRmT2_T3_T4_T5_mT6_T7_P12ihipStream_tbENKUlT_T0_E_clISt17integral_constantIbLb1EES13_EEDaSY_SZ_EUlSY_E_NS1_11comp_targetILNS1_3genE0ELNS1_11target_archE4294967295ELNS1_3gpuE0ELNS1_3repE0EEENS1_30default_config_static_selectorELNS0_4arch9wavefront6targetE0EEEvT1_.num_vgpr, 0
	.set _ZN7rocprim17ROCPRIM_400000_NS6detail17trampoline_kernelINS0_14default_configENS1_27scan_by_key_config_selectorIj11FixedVectorIiLj2EEEEZZNS1_16scan_by_key_implILNS1_25lookback_scan_determinismE0ELb1ES3_N6thrust23THRUST_200600_302600_NS6detail15normal_iteratorINSB_10device_ptrIjEEEENSD_INSE_IS6_EEEESI_S6_NSB_4plusIvEENSB_8equal_toIvEES6_EE10hipError_tPvRmT2_T3_T4_T5_mT6_T7_P12ihipStream_tbENKUlT_T0_E_clISt17integral_constantIbLb1EES13_EEDaSY_SZ_EUlSY_E_NS1_11comp_targetILNS1_3genE0ELNS1_11target_archE4294967295ELNS1_3gpuE0ELNS1_3repE0EEENS1_30default_config_static_selectorELNS0_4arch9wavefront6targetE0EEEvT1_.num_agpr, 0
	.set _ZN7rocprim17ROCPRIM_400000_NS6detail17trampoline_kernelINS0_14default_configENS1_27scan_by_key_config_selectorIj11FixedVectorIiLj2EEEEZZNS1_16scan_by_key_implILNS1_25lookback_scan_determinismE0ELb1ES3_N6thrust23THRUST_200600_302600_NS6detail15normal_iteratorINSB_10device_ptrIjEEEENSD_INSE_IS6_EEEESI_S6_NSB_4plusIvEENSB_8equal_toIvEES6_EE10hipError_tPvRmT2_T3_T4_T5_mT6_T7_P12ihipStream_tbENKUlT_T0_E_clISt17integral_constantIbLb1EES13_EEDaSY_SZ_EUlSY_E_NS1_11comp_targetILNS1_3genE0ELNS1_11target_archE4294967295ELNS1_3gpuE0ELNS1_3repE0EEENS1_30default_config_static_selectorELNS0_4arch9wavefront6targetE0EEEvT1_.numbered_sgpr, 0
	.set _ZN7rocprim17ROCPRIM_400000_NS6detail17trampoline_kernelINS0_14default_configENS1_27scan_by_key_config_selectorIj11FixedVectorIiLj2EEEEZZNS1_16scan_by_key_implILNS1_25lookback_scan_determinismE0ELb1ES3_N6thrust23THRUST_200600_302600_NS6detail15normal_iteratorINSB_10device_ptrIjEEEENSD_INSE_IS6_EEEESI_S6_NSB_4plusIvEENSB_8equal_toIvEES6_EE10hipError_tPvRmT2_T3_T4_T5_mT6_T7_P12ihipStream_tbENKUlT_T0_E_clISt17integral_constantIbLb1EES13_EEDaSY_SZ_EUlSY_E_NS1_11comp_targetILNS1_3genE0ELNS1_11target_archE4294967295ELNS1_3gpuE0ELNS1_3repE0EEENS1_30default_config_static_selectorELNS0_4arch9wavefront6targetE0EEEvT1_.num_named_barrier, 0
	.set _ZN7rocprim17ROCPRIM_400000_NS6detail17trampoline_kernelINS0_14default_configENS1_27scan_by_key_config_selectorIj11FixedVectorIiLj2EEEEZZNS1_16scan_by_key_implILNS1_25lookback_scan_determinismE0ELb1ES3_N6thrust23THRUST_200600_302600_NS6detail15normal_iteratorINSB_10device_ptrIjEEEENSD_INSE_IS6_EEEESI_S6_NSB_4plusIvEENSB_8equal_toIvEES6_EE10hipError_tPvRmT2_T3_T4_T5_mT6_T7_P12ihipStream_tbENKUlT_T0_E_clISt17integral_constantIbLb1EES13_EEDaSY_SZ_EUlSY_E_NS1_11comp_targetILNS1_3genE0ELNS1_11target_archE4294967295ELNS1_3gpuE0ELNS1_3repE0EEENS1_30default_config_static_selectorELNS0_4arch9wavefront6targetE0EEEvT1_.private_seg_size, 0
	.set _ZN7rocprim17ROCPRIM_400000_NS6detail17trampoline_kernelINS0_14default_configENS1_27scan_by_key_config_selectorIj11FixedVectorIiLj2EEEEZZNS1_16scan_by_key_implILNS1_25lookback_scan_determinismE0ELb1ES3_N6thrust23THRUST_200600_302600_NS6detail15normal_iteratorINSB_10device_ptrIjEEEENSD_INSE_IS6_EEEESI_S6_NSB_4plusIvEENSB_8equal_toIvEES6_EE10hipError_tPvRmT2_T3_T4_T5_mT6_T7_P12ihipStream_tbENKUlT_T0_E_clISt17integral_constantIbLb1EES13_EEDaSY_SZ_EUlSY_E_NS1_11comp_targetILNS1_3genE0ELNS1_11target_archE4294967295ELNS1_3gpuE0ELNS1_3repE0EEENS1_30default_config_static_selectorELNS0_4arch9wavefront6targetE0EEEvT1_.uses_vcc, 0
	.set _ZN7rocprim17ROCPRIM_400000_NS6detail17trampoline_kernelINS0_14default_configENS1_27scan_by_key_config_selectorIj11FixedVectorIiLj2EEEEZZNS1_16scan_by_key_implILNS1_25lookback_scan_determinismE0ELb1ES3_N6thrust23THRUST_200600_302600_NS6detail15normal_iteratorINSB_10device_ptrIjEEEENSD_INSE_IS6_EEEESI_S6_NSB_4plusIvEENSB_8equal_toIvEES6_EE10hipError_tPvRmT2_T3_T4_T5_mT6_T7_P12ihipStream_tbENKUlT_T0_E_clISt17integral_constantIbLb1EES13_EEDaSY_SZ_EUlSY_E_NS1_11comp_targetILNS1_3genE0ELNS1_11target_archE4294967295ELNS1_3gpuE0ELNS1_3repE0EEENS1_30default_config_static_selectorELNS0_4arch9wavefront6targetE0EEEvT1_.uses_flat_scratch, 0
	.set _ZN7rocprim17ROCPRIM_400000_NS6detail17trampoline_kernelINS0_14default_configENS1_27scan_by_key_config_selectorIj11FixedVectorIiLj2EEEEZZNS1_16scan_by_key_implILNS1_25lookback_scan_determinismE0ELb1ES3_N6thrust23THRUST_200600_302600_NS6detail15normal_iteratorINSB_10device_ptrIjEEEENSD_INSE_IS6_EEEESI_S6_NSB_4plusIvEENSB_8equal_toIvEES6_EE10hipError_tPvRmT2_T3_T4_T5_mT6_T7_P12ihipStream_tbENKUlT_T0_E_clISt17integral_constantIbLb1EES13_EEDaSY_SZ_EUlSY_E_NS1_11comp_targetILNS1_3genE0ELNS1_11target_archE4294967295ELNS1_3gpuE0ELNS1_3repE0EEENS1_30default_config_static_selectorELNS0_4arch9wavefront6targetE0EEEvT1_.has_dyn_sized_stack, 0
	.set _ZN7rocprim17ROCPRIM_400000_NS6detail17trampoline_kernelINS0_14default_configENS1_27scan_by_key_config_selectorIj11FixedVectorIiLj2EEEEZZNS1_16scan_by_key_implILNS1_25lookback_scan_determinismE0ELb1ES3_N6thrust23THRUST_200600_302600_NS6detail15normal_iteratorINSB_10device_ptrIjEEEENSD_INSE_IS6_EEEESI_S6_NSB_4plusIvEENSB_8equal_toIvEES6_EE10hipError_tPvRmT2_T3_T4_T5_mT6_T7_P12ihipStream_tbENKUlT_T0_E_clISt17integral_constantIbLb1EES13_EEDaSY_SZ_EUlSY_E_NS1_11comp_targetILNS1_3genE0ELNS1_11target_archE4294967295ELNS1_3gpuE0ELNS1_3repE0EEENS1_30default_config_static_selectorELNS0_4arch9wavefront6targetE0EEEvT1_.has_recursion, 0
	.set _ZN7rocprim17ROCPRIM_400000_NS6detail17trampoline_kernelINS0_14default_configENS1_27scan_by_key_config_selectorIj11FixedVectorIiLj2EEEEZZNS1_16scan_by_key_implILNS1_25lookback_scan_determinismE0ELb1ES3_N6thrust23THRUST_200600_302600_NS6detail15normal_iteratorINSB_10device_ptrIjEEEENSD_INSE_IS6_EEEESI_S6_NSB_4plusIvEENSB_8equal_toIvEES6_EE10hipError_tPvRmT2_T3_T4_T5_mT6_T7_P12ihipStream_tbENKUlT_T0_E_clISt17integral_constantIbLb1EES13_EEDaSY_SZ_EUlSY_E_NS1_11comp_targetILNS1_3genE0ELNS1_11target_archE4294967295ELNS1_3gpuE0ELNS1_3repE0EEENS1_30default_config_static_selectorELNS0_4arch9wavefront6targetE0EEEvT1_.has_indirect_call, 0
	.section	.AMDGPU.csdata,"",@progbits
; Kernel info:
; codeLenInByte = 0
; TotalNumSgprs: 0
; NumVgprs: 0
; ScratchSize: 0
; MemoryBound: 0
; FloatMode: 240
; IeeeMode: 1
; LDSByteSize: 0 bytes/workgroup (compile time only)
; SGPRBlocks: 0
; VGPRBlocks: 0
; NumSGPRsForWavesPerEU: 1
; NumVGPRsForWavesPerEU: 1
; Occupancy: 16
; WaveLimiterHint : 0
; COMPUTE_PGM_RSRC2:SCRATCH_EN: 0
; COMPUTE_PGM_RSRC2:USER_SGPR: 6
; COMPUTE_PGM_RSRC2:TRAP_HANDLER: 0
; COMPUTE_PGM_RSRC2:TGID_X_EN: 1
; COMPUTE_PGM_RSRC2:TGID_Y_EN: 0
; COMPUTE_PGM_RSRC2:TGID_Z_EN: 0
; COMPUTE_PGM_RSRC2:TIDIG_COMP_CNT: 0
	.section	.text._ZN7rocprim17ROCPRIM_400000_NS6detail17trampoline_kernelINS0_14default_configENS1_27scan_by_key_config_selectorIj11FixedVectorIiLj2EEEEZZNS1_16scan_by_key_implILNS1_25lookback_scan_determinismE0ELb1ES3_N6thrust23THRUST_200600_302600_NS6detail15normal_iteratorINSB_10device_ptrIjEEEENSD_INSE_IS6_EEEESI_S6_NSB_4plusIvEENSB_8equal_toIvEES6_EE10hipError_tPvRmT2_T3_T4_T5_mT6_T7_P12ihipStream_tbENKUlT_T0_E_clISt17integral_constantIbLb1EES13_EEDaSY_SZ_EUlSY_E_NS1_11comp_targetILNS1_3genE10ELNS1_11target_archE1201ELNS1_3gpuE5ELNS1_3repE0EEENS1_30default_config_static_selectorELNS0_4arch9wavefront6targetE0EEEvT1_,"axG",@progbits,_ZN7rocprim17ROCPRIM_400000_NS6detail17trampoline_kernelINS0_14default_configENS1_27scan_by_key_config_selectorIj11FixedVectorIiLj2EEEEZZNS1_16scan_by_key_implILNS1_25lookback_scan_determinismE0ELb1ES3_N6thrust23THRUST_200600_302600_NS6detail15normal_iteratorINSB_10device_ptrIjEEEENSD_INSE_IS6_EEEESI_S6_NSB_4plusIvEENSB_8equal_toIvEES6_EE10hipError_tPvRmT2_T3_T4_T5_mT6_T7_P12ihipStream_tbENKUlT_T0_E_clISt17integral_constantIbLb1EES13_EEDaSY_SZ_EUlSY_E_NS1_11comp_targetILNS1_3genE10ELNS1_11target_archE1201ELNS1_3gpuE5ELNS1_3repE0EEENS1_30default_config_static_selectorELNS0_4arch9wavefront6targetE0EEEvT1_,comdat
	.protected	_ZN7rocprim17ROCPRIM_400000_NS6detail17trampoline_kernelINS0_14default_configENS1_27scan_by_key_config_selectorIj11FixedVectorIiLj2EEEEZZNS1_16scan_by_key_implILNS1_25lookback_scan_determinismE0ELb1ES3_N6thrust23THRUST_200600_302600_NS6detail15normal_iteratorINSB_10device_ptrIjEEEENSD_INSE_IS6_EEEESI_S6_NSB_4plusIvEENSB_8equal_toIvEES6_EE10hipError_tPvRmT2_T3_T4_T5_mT6_T7_P12ihipStream_tbENKUlT_T0_E_clISt17integral_constantIbLb1EES13_EEDaSY_SZ_EUlSY_E_NS1_11comp_targetILNS1_3genE10ELNS1_11target_archE1201ELNS1_3gpuE5ELNS1_3repE0EEENS1_30default_config_static_selectorELNS0_4arch9wavefront6targetE0EEEvT1_ ; -- Begin function _ZN7rocprim17ROCPRIM_400000_NS6detail17trampoline_kernelINS0_14default_configENS1_27scan_by_key_config_selectorIj11FixedVectorIiLj2EEEEZZNS1_16scan_by_key_implILNS1_25lookback_scan_determinismE0ELb1ES3_N6thrust23THRUST_200600_302600_NS6detail15normal_iteratorINSB_10device_ptrIjEEEENSD_INSE_IS6_EEEESI_S6_NSB_4plusIvEENSB_8equal_toIvEES6_EE10hipError_tPvRmT2_T3_T4_T5_mT6_T7_P12ihipStream_tbENKUlT_T0_E_clISt17integral_constantIbLb1EES13_EEDaSY_SZ_EUlSY_E_NS1_11comp_targetILNS1_3genE10ELNS1_11target_archE1201ELNS1_3gpuE5ELNS1_3repE0EEENS1_30default_config_static_selectorELNS0_4arch9wavefront6targetE0EEEvT1_
	.globl	_ZN7rocprim17ROCPRIM_400000_NS6detail17trampoline_kernelINS0_14default_configENS1_27scan_by_key_config_selectorIj11FixedVectorIiLj2EEEEZZNS1_16scan_by_key_implILNS1_25lookback_scan_determinismE0ELb1ES3_N6thrust23THRUST_200600_302600_NS6detail15normal_iteratorINSB_10device_ptrIjEEEENSD_INSE_IS6_EEEESI_S6_NSB_4plusIvEENSB_8equal_toIvEES6_EE10hipError_tPvRmT2_T3_T4_T5_mT6_T7_P12ihipStream_tbENKUlT_T0_E_clISt17integral_constantIbLb1EES13_EEDaSY_SZ_EUlSY_E_NS1_11comp_targetILNS1_3genE10ELNS1_11target_archE1201ELNS1_3gpuE5ELNS1_3repE0EEENS1_30default_config_static_selectorELNS0_4arch9wavefront6targetE0EEEvT1_
	.p2align	8
	.type	_ZN7rocprim17ROCPRIM_400000_NS6detail17trampoline_kernelINS0_14default_configENS1_27scan_by_key_config_selectorIj11FixedVectorIiLj2EEEEZZNS1_16scan_by_key_implILNS1_25lookback_scan_determinismE0ELb1ES3_N6thrust23THRUST_200600_302600_NS6detail15normal_iteratorINSB_10device_ptrIjEEEENSD_INSE_IS6_EEEESI_S6_NSB_4plusIvEENSB_8equal_toIvEES6_EE10hipError_tPvRmT2_T3_T4_T5_mT6_T7_P12ihipStream_tbENKUlT_T0_E_clISt17integral_constantIbLb1EES13_EEDaSY_SZ_EUlSY_E_NS1_11comp_targetILNS1_3genE10ELNS1_11target_archE1201ELNS1_3gpuE5ELNS1_3repE0EEENS1_30default_config_static_selectorELNS0_4arch9wavefront6targetE0EEEvT1_,@function
_ZN7rocprim17ROCPRIM_400000_NS6detail17trampoline_kernelINS0_14default_configENS1_27scan_by_key_config_selectorIj11FixedVectorIiLj2EEEEZZNS1_16scan_by_key_implILNS1_25lookback_scan_determinismE0ELb1ES3_N6thrust23THRUST_200600_302600_NS6detail15normal_iteratorINSB_10device_ptrIjEEEENSD_INSE_IS6_EEEESI_S6_NSB_4plusIvEENSB_8equal_toIvEES6_EE10hipError_tPvRmT2_T3_T4_T5_mT6_T7_P12ihipStream_tbENKUlT_T0_E_clISt17integral_constantIbLb1EES13_EEDaSY_SZ_EUlSY_E_NS1_11comp_targetILNS1_3genE10ELNS1_11target_archE1201ELNS1_3gpuE5ELNS1_3repE0EEENS1_30default_config_static_selectorELNS0_4arch9wavefront6targetE0EEEvT1_: ; @_ZN7rocprim17ROCPRIM_400000_NS6detail17trampoline_kernelINS0_14default_configENS1_27scan_by_key_config_selectorIj11FixedVectorIiLj2EEEEZZNS1_16scan_by_key_implILNS1_25lookback_scan_determinismE0ELb1ES3_N6thrust23THRUST_200600_302600_NS6detail15normal_iteratorINSB_10device_ptrIjEEEENSD_INSE_IS6_EEEESI_S6_NSB_4plusIvEENSB_8equal_toIvEES6_EE10hipError_tPvRmT2_T3_T4_T5_mT6_T7_P12ihipStream_tbENKUlT_T0_E_clISt17integral_constantIbLb1EES13_EEDaSY_SZ_EUlSY_E_NS1_11comp_targetILNS1_3genE10ELNS1_11target_archE1201ELNS1_3gpuE5ELNS1_3repE0EEENS1_30default_config_static_selectorELNS0_4arch9wavefront6targetE0EEEvT1_
; %bb.0:
	.section	.rodata,"a",@progbits
	.p2align	6, 0x0
	.amdhsa_kernel _ZN7rocprim17ROCPRIM_400000_NS6detail17trampoline_kernelINS0_14default_configENS1_27scan_by_key_config_selectorIj11FixedVectorIiLj2EEEEZZNS1_16scan_by_key_implILNS1_25lookback_scan_determinismE0ELb1ES3_N6thrust23THRUST_200600_302600_NS6detail15normal_iteratorINSB_10device_ptrIjEEEENSD_INSE_IS6_EEEESI_S6_NSB_4plusIvEENSB_8equal_toIvEES6_EE10hipError_tPvRmT2_T3_T4_T5_mT6_T7_P12ihipStream_tbENKUlT_T0_E_clISt17integral_constantIbLb1EES13_EEDaSY_SZ_EUlSY_E_NS1_11comp_targetILNS1_3genE10ELNS1_11target_archE1201ELNS1_3gpuE5ELNS1_3repE0EEENS1_30default_config_static_selectorELNS0_4arch9wavefront6targetE0EEEvT1_
		.amdhsa_group_segment_fixed_size 0
		.amdhsa_private_segment_fixed_size 0
		.amdhsa_kernarg_size 120
		.amdhsa_user_sgpr_count 6
		.amdhsa_user_sgpr_private_segment_buffer 1
		.amdhsa_user_sgpr_dispatch_ptr 0
		.amdhsa_user_sgpr_queue_ptr 0
		.amdhsa_user_sgpr_kernarg_segment_ptr 1
		.amdhsa_user_sgpr_dispatch_id 0
		.amdhsa_user_sgpr_flat_scratch_init 0
		.amdhsa_user_sgpr_private_segment_size 0
		.amdhsa_wavefront_size32 1
		.amdhsa_uses_dynamic_stack 0
		.amdhsa_system_sgpr_private_segment_wavefront_offset 0
		.amdhsa_system_sgpr_workgroup_id_x 1
		.amdhsa_system_sgpr_workgroup_id_y 0
		.amdhsa_system_sgpr_workgroup_id_z 0
		.amdhsa_system_sgpr_workgroup_info 0
		.amdhsa_system_vgpr_workitem_id 0
		.amdhsa_next_free_vgpr 1
		.amdhsa_next_free_sgpr 1
		.amdhsa_reserve_vcc 0
		.amdhsa_reserve_flat_scratch 0
		.amdhsa_float_round_mode_32 0
		.amdhsa_float_round_mode_16_64 0
		.amdhsa_float_denorm_mode_32 3
		.amdhsa_float_denorm_mode_16_64 3
		.amdhsa_dx10_clamp 1
		.amdhsa_ieee_mode 1
		.amdhsa_fp16_overflow 0
		.amdhsa_workgroup_processor_mode 1
		.amdhsa_memory_ordered 1
		.amdhsa_forward_progress 1
		.amdhsa_shared_vgpr_count 0
		.amdhsa_exception_fp_ieee_invalid_op 0
		.amdhsa_exception_fp_denorm_src 0
		.amdhsa_exception_fp_ieee_div_zero 0
		.amdhsa_exception_fp_ieee_overflow 0
		.amdhsa_exception_fp_ieee_underflow 0
		.amdhsa_exception_fp_ieee_inexact 0
		.amdhsa_exception_int_div_zero 0
	.end_amdhsa_kernel
	.section	.text._ZN7rocprim17ROCPRIM_400000_NS6detail17trampoline_kernelINS0_14default_configENS1_27scan_by_key_config_selectorIj11FixedVectorIiLj2EEEEZZNS1_16scan_by_key_implILNS1_25lookback_scan_determinismE0ELb1ES3_N6thrust23THRUST_200600_302600_NS6detail15normal_iteratorINSB_10device_ptrIjEEEENSD_INSE_IS6_EEEESI_S6_NSB_4plusIvEENSB_8equal_toIvEES6_EE10hipError_tPvRmT2_T3_T4_T5_mT6_T7_P12ihipStream_tbENKUlT_T0_E_clISt17integral_constantIbLb1EES13_EEDaSY_SZ_EUlSY_E_NS1_11comp_targetILNS1_3genE10ELNS1_11target_archE1201ELNS1_3gpuE5ELNS1_3repE0EEENS1_30default_config_static_selectorELNS0_4arch9wavefront6targetE0EEEvT1_,"axG",@progbits,_ZN7rocprim17ROCPRIM_400000_NS6detail17trampoline_kernelINS0_14default_configENS1_27scan_by_key_config_selectorIj11FixedVectorIiLj2EEEEZZNS1_16scan_by_key_implILNS1_25lookback_scan_determinismE0ELb1ES3_N6thrust23THRUST_200600_302600_NS6detail15normal_iteratorINSB_10device_ptrIjEEEENSD_INSE_IS6_EEEESI_S6_NSB_4plusIvEENSB_8equal_toIvEES6_EE10hipError_tPvRmT2_T3_T4_T5_mT6_T7_P12ihipStream_tbENKUlT_T0_E_clISt17integral_constantIbLb1EES13_EEDaSY_SZ_EUlSY_E_NS1_11comp_targetILNS1_3genE10ELNS1_11target_archE1201ELNS1_3gpuE5ELNS1_3repE0EEENS1_30default_config_static_selectorELNS0_4arch9wavefront6targetE0EEEvT1_,comdat
.Lfunc_end2003:
	.size	_ZN7rocprim17ROCPRIM_400000_NS6detail17trampoline_kernelINS0_14default_configENS1_27scan_by_key_config_selectorIj11FixedVectorIiLj2EEEEZZNS1_16scan_by_key_implILNS1_25lookback_scan_determinismE0ELb1ES3_N6thrust23THRUST_200600_302600_NS6detail15normal_iteratorINSB_10device_ptrIjEEEENSD_INSE_IS6_EEEESI_S6_NSB_4plusIvEENSB_8equal_toIvEES6_EE10hipError_tPvRmT2_T3_T4_T5_mT6_T7_P12ihipStream_tbENKUlT_T0_E_clISt17integral_constantIbLb1EES13_EEDaSY_SZ_EUlSY_E_NS1_11comp_targetILNS1_3genE10ELNS1_11target_archE1201ELNS1_3gpuE5ELNS1_3repE0EEENS1_30default_config_static_selectorELNS0_4arch9wavefront6targetE0EEEvT1_, .Lfunc_end2003-_ZN7rocprim17ROCPRIM_400000_NS6detail17trampoline_kernelINS0_14default_configENS1_27scan_by_key_config_selectorIj11FixedVectorIiLj2EEEEZZNS1_16scan_by_key_implILNS1_25lookback_scan_determinismE0ELb1ES3_N6thrust23THRUST_200600_302600_NS6detail15normal_iteratorINSB_10device_ptrIjEEEENSD_INSE_IS6_EEEESI_S6_NSB_4plusIvEENSB_8equal_toIvEES6_EE10hipError_tPvRmT2_T3_T4_T5_mT6_T7_P12ihipStream_tbENKUlT_T0_E_clISt17integral_constantIbLb1EES13_EEDaSY_SZ_EUlSY_E_NS1_11comp_targetILNS1_3genE10ELNS1_11target_archE1201ELNS1_3gpuE5ELNS1_3repE0EEENS1_30default_config_static_selectorELNS0_4arch9wavefront6targetE0EEEvT1_
                                        ; -- End function
	.set _ZN7rocprim17ROCPRIM_400000_NS6detail17trampoline_kernelINS0_14default_configENS1_27scan_by_key_config_selectorIj11FixedVectorIiLj2EEEEZZNS1_16scan_by_key_implILNS1_25lookback_scan_determinismE0ELb1ES3_N6thrust23THRUST_200600_302600_NS6detail15normal_iteratorINSB_10device_ptrIjEEEENSD_INSE_IS6_EEEESI_S6_NSB_4plusIvEENSB_8equal_toIvEES6_EE10hipError_tPvRmT2_T3_T4_T5_mT6_T7_P12ihipStream_tbENKUlT_T0_E_clISt17integral_constantIbLb1EES13_EEDaSY_SZ_EUlSY_E_NS1_11comp_targetILNS1_3genE10ELNS1_11target_archE1201ELNS1_3gpuE5ELNS1_3repE0EEENS1_30default_config_static_selectorELNS0_4arch9wavefront6targetE0EEEvT1_.num_vgpr, 0
	.set _ZN7rocprim17ROCPRIM_400000_NS6detail17trampoline_kernelINS0_14default_configENS1_27scan_by_key_config_selectorIj11FixedVectorIiLj2EEEEZZNS1_16scan_by_key_implILNS1_25lookback_scan_determinismE0ELb1ES3_N6thrust23THRUST_200600_302600_NS6detail15normal_iteratorINSB_10device_ptrIjEEEENSD_INSE_IS6_EEEESI_S6_NSB_4plusIvEENSB_8equal_toIvEES6_EE10hipError_tPvRmT2_T3_T4_T5_mT6_T7_P12ihipStream_tbENKUlT_T0_E_clISt17integral_constantIbLb1EES13_EEDaSY_SZ_EUlSY_E_NS1_11comp_targetILNS1_3genE10ELNS1_11target_archE1201ELNS1_3gpuE5ELNS1_3repE0EEENS1_30default_config_static_selectorELNS0_4arch9wavefront6targetE0EEEvT1_.num_agpr, 0
	.set _ZN7rocprim17ROCPRIM_400000_NS6detail17trampoline_kernelINS0_14default_configENS1_27scan_by_key_config_selectorIj11FixedVectorIiLj2EEEEZZNS1_16scan_by_key_implILNS1_25lookback_scan_determinismE0ELb1ES3_N6thrust23THRUST_200600_302600_NS6detail15normal_iteratorINSB_10device_ptrIjEEEENSD_INSE_IS6_EEEESI_S6_NSB_4plusIvEENSB_8equal_toIvEES6_EE10hipError_tPvRmT2_T3_T4_T5_mT6_T7_P12ihipStream_tbENKUlT_T0_E_clISt17integral_constantIbLb1EES13_EEDaSY_SZ_EUlSY_E_NS1_11comp_targetILNS1_3genE10ELNS1_11target_archE1201ELNS1_3gpuE5ELNS1_3repE0EEENS1_30default_config_static_selectorELNS0_4arch9wavefront6targetE0EEEvT1_.numbered_sgpr, 0
	.set _ZN7rocprim17ROCPRIM_400000_NS6detail17trampoline_kernelINS0_14default_configENS1_27scan_by_key_config_selectorIj11FixedVectorIiLj2EEEEZZNS1_16scan_by_key_implILNS1_25lookback_scan_determinismE0ELb1ES3_N6thrust23THRUST_200600_302600_NS6detail15normal_iteratorINSB_10device_ptrIjEEEENSD_INSE_IS6_EEEESI_S6_NSB_4plusIvEENSB_8equal_toIvEES6_EE10hipError_tPvRmT2_T3_T4_T5_mT6_T7_P12ihipStream_tbENKUlT_T0_E_clISt17integral_constantIbLb1EES13_EEDaSY_SZ_EUlSY_E_NS1_11comp_targetILNS1_3genE10ELNS1_11target_archE1201ELNS1_3gpuE5ELNS1_3repE0EEENS1_30default_config_static_selectorELNS0_4arch9wavefront6targetE0EEEvT1_.num_named_barrier, 0
	.set _ZN7rocprim17ROCPRIM_400000_NS6detail17trampoline_kernelINS0_14default_configENS1_27scan_by_key_config_selectorIj11FixedVectorIiLj2EEEEZZNS1_16scan_by_key_implILNS1_25lookback_scan_determinismE0ELb1ES3_N6thrust23THRUST_200600_302600_NS6detail15normal_iteratorINSB_10device_ptrIjEEEENSD_INSE_IS6_EEEESI_S6_NSB_4plusIvEENSB_8equal_toIvEES6_EE10hipError_tPvRmT2_T3_T4_T5_mT6_T7_P12ihipStream_tbENKUlT_T0_E_clISt17integral_constantIbLb1EES13_EEDaSY_SZ_EUlSY_E_NS1_11comp_targetILNS1_3genE10ELNS1_11target_archE1201ELNS1_3gpuE5ELNS1_3repE0EEENS1_30default_config_static_selectorELNS0_4arch9wavefront6targetE0EEEvT1_.private_seg_size, 0
	.set _ZN7rocprim17ROCPRIM_400000_NS6detail17trampoline_kernelINS0_14default_configENS1_27scan_by_key_config_selectorIj11FixedVectorIiLj2EEEEZZNS1_16scan_by_key_implILNS1_25lookback_scan_determinismE0ELb1ES3_N6thrust23THRUST_200600_302600_NS6detail15normal_iteratorINSB_10device_ptrIjEEEENSD_INSE_IS6_EEEESI_S6_NSB_4plusIvEENSB_8equal_toIvEES6_EE10hipError_tPvRmT2_T3_T4_T5_mT6_T7_P12ihipStream_tbENKUlT_T0_E_clISt17integral_constantIbLb1EES13_EEDaSY_SZ_EUlSY_E_NS1_11comp_targetILNS1_3genE10ELNS1_11target_archE1201ELNS1_3gpuE5ELNS1_3repE0EEENS1_30default_config_static_selectorELNS0_4arch9wavefront6targetE0EEEvT1_.uses_vcc, 0
	.set _ZN7rocprim17ROCPRIM_400000_NS6detail17trampoline_kernelINS0_14default_configENS1_27scan_by_key_config_selectorIj11FixedVectorIiLj2EEEEZZNS1_16scan_by_key_implILNS1_25lookback_scan_determinismE0ELb1ES3_N6thrust23THRUST_200600_302600_NS6detail15normal_iteratorINSB_10device_ptrIjEEEENSD_INSE_IS6_EEEESI_S6_NSB_4plusIvEENSB_8equal_toIvEES6_EE10hipError_tPvRmT2_T3_T4_T5_mT6_T7_P12ihipStream_tbENKUlT_T0_E_clISt17integral_constantIbLb1EES13_EEDaSY_SZ_EUlSY_E_NS1_11comp_targetILNS1_3genE10ELNS1_11target_archE1201ELNS1_3gpuE5ELNS1_3repE0EEENS1_30default_config_static_selectorELNS0_4arch9wavefront6targetE0EEEvT1_.uses_flat_scratch, 0
	.set _ZN7rocprim17ROCPRIM_400000_NS6detail17trampoline_kernelINS0_14default_configENS1_27scan_by_key_config_selectorIj11FixedVectorIiLj2EEEEZZNS1_16scan_by_key_implILNS1_25lookback_scan_determinismE0ELb1ES3_N6thrust23THRUST_200600_302600_NS6detail15normal_iteratorINSB_10device_ptrIjEEEENSD_INSE_IS6_EEEESI_S6_NSB_4plusIvEENSB_8equal_toIvEES6_EE10hipError_tPvRmT2_T3_T4_T5_mT6_T7_P12ihipStream_tbENKUlT_T0_E_clISt17integral_constantIbLb1EES13_EEDaSY_SZ_EUlSY_E_NS1_11comp_targetILNS1_3genE10ELNS1_11target_archE1201ELNS1_3gpuE5ELNS1_3repE0EEENS1_30default_config_static_selectorELNS0_4arch9wavefront6targetE0EEEvT1_.has_dyn_sized_stack, 0
	.set _ZN7rocprim17ROCPRIM_400000_NS6detail17trampoline_kernelINS0_14default_configENS1_27scan_by_key_config_selectorIj11FixedVectorIiLj2EEEEZZNS1_16scan_by_key_implILNS1_25lookback_scan_determinismE0ELb1ES3_N6thrust23THRUST_200600_302600_NS6detail15normal_iteratorINSB_10device_ptrIjEEEENSD_INSE_IS6_EEEESI_S6_NSB_4plusIvEENSB_8equal_toIvEES6_EE10hipError_tPvRmT2_T3_T4_T5_mT6_T7_P12ihipStream_tbENKUlT_T0_E_clISt17integral_constantIbLb1EES13_EEDaSY_SZ_EUlSY_E_NS1_11comp_targetILNS1_3genE10ELNS1_11target_archE1201ELNS1_3gpuE5ELNS1_3repE0EEENS1_30default_config_static_selectorELNS0_4arch9wavefront6targetE0EEEvT1_.has_recursion, 0
	.set _ZN7rocprim17ROCPRIM_400000_NS6detail17trampoline_kernelINS0_14default_configENS1_27scan_by_key_config_selectorIj11FixedVectorIiLj2EEEEZZNS1_16scan_by_key_implILNS1_25lookback_scan_determinismE0ELb1ES3_N6thrust23THRUST_200600_302600_NS6detail15normal_iteratorINSB_10device_ptrIjEEEENSD_INSE_IS6_EEEESI_S6_NSB_4plusIvEENSB_8equal_toIvEES6_EE10hipError_tPvRmT2_T3_T4_T5_mT6_T7_P12ihipStream_tbENKUlT_T0_E_clISt17integral_constantIbLb1EES13_EEDaSY_SZ_EUlSY_E_NS1_11comp_targetILNS1_3genE10ELNS1_11target_archE1201ELNS1_3gpuE5ELNS1_3repE0EEENS1_30default_config_static_selectorELNS0_4arch9wavefront6targetE0EEEvT1_.has_indirect_call, 0
	.section	.AMDGPU.csdata,"",@progbits
; Kernel info:
; codeLenInByte = 0
; TotalNumSgprs: 0
; NumVgprs: 0
; ScratchSize: 0
; MemoryBound: 0
; FloatMode: 240
; IeeeMode: 1
; LDSByteSize: 0 bytes/workgroup (compile time only)
; SGPRBlocks: 0
; VGPRBlocks: 0
; NumSGPRsForWavesPerEU: 1
; NumVGPRsForWavesPerEU: 1
; Occupancy: 16
; WaveLimiterHint : 0
; COMPUTE_PGM_RSRC2:SCRATCH_EN: 0
; COMPUTE_PGM_RSRC2:USER_SGPR: 6
; COMPUTE_PGM_RSRC2:TRAP_HANDLER: 0
; COMPUTE_PGM_RSRC2:TGID_X_EN: 1
; COMPUTE_PGM_RSRC2:TGID_Y_EN: 0
; COMPUTE_PGM_RSRC2:TGID_Z_EN: 0
; COMPUTE_PGM_RSRC2:TIDIG_COMP_CNT: 0
	.section	.text._ZN7rocprim17ROCPRIM_400000_NS6detail17trampoline_kernelINS0_14default_configENS1_27scan_by_key_config_selectorIj11FixedVectorIiLj2EEEEZZNS1_16scan_by_key_implILNS1_25lookback_scan_determinismE0ELb1ES3_N6thrust23THRUST_200600_302600_NS6detail15normal_iteratorINSB_10device_ptrIjEEEENSD_INSE_IS6_EEEESI_S6_NSB_4plusIvEENSB_8equal_toIvEES6_EE10hipError_tPvRmT2_T3_T4_T5_mT6_T7_P12ihipStream_tbENKUlT_T0_E_clISt17integral_constantIbLb1EES13_EEDaSY_SZ_EUlSY_E_NS1_11comp_targetILNS1_3genE5ELNS1_11target_archE942ELNS1_3gpuE9ELNS1_3repE0EEENS1_30default_config_static_selectorELNS0_4arch9wavefront6targetE0EEEvT1_,"axG",@progbits,_ZN7rocprim17ROCPRIM_400000_NS6detail17trampoline_kernelINS0_14default_configENS1_27scan_by_key_config_selectorIj11FixedVectorIiLj2EEEEZZNS1_16scan_by_key_implILNS1_25lookback_scan_determinismE0ELb1ES3_N6thrust23THRUST_200600_302600_NS6detail15normal_iteratorINSB_10device_ptrIjEEEENSD_INSE_IS6_EEEESI_S6_NSB_4plusIvEENSB_8equal_toIvEES6_EE10hipError_tPvRmT2_T3_T4_T5_mT6_T7_P12ihipStream_tbENKUlT_T0_E_clISt17integral_constantIbLb1EES13_EEDaSY_SZ_EUlSY_E_NS1_11comp_targetILNS1_3genE5ELNS1_11target_archE942ELNS1_3gpuE9ELNS1_3repE0EEENS1_30default_config_static_selectorELNS0_4arch9wavefront6targetE0EEEvT1_,comdat
	.protected	_ZN7rocprim17ROCPRIM_400000_NS6detail17trampoline_kernelINS0_14default_configENS1_27scan_by_key_config_selectorIj11FixedVectorIiLj2EEEEZZNS1_16scan_by_key_implILNS1_25lookback_scan_determinismE0ELb1ES3_N6thrust23THRUST_200600_302600_NS6detail15normal_iteratorINSB_10device_ptrIjEEEENSD_INSE_IS6_EEEESI_S6_NSB_4plusIvEENSB_8equal_toIvEES6_EE10hipError_tPvRmT2_T3_T4_T5_mT6_T7_P12ihipStream_tbENKUlT_T0_E_clISt17integral_constantIbLb1EES13_EEDaSY_SZ_EUlSY_E_NS1_11comp_targetILNS1_3genE5ELNS1_11target_archE942ELNS1_3gpuE9ELNS1_3repE0EEENS1_30default_config_static_selectorELNS0_4arch9wavefront6targetE0EEEvT1_ ; -- Begin function _ZN7rocprim17ROCPRIM_400000_NS6detail17trampoline_kernelINS0_14default_configENS1_27scan_by_key_config_selectorIj11FixedVectorIiLj2EEEEZZNS1_16scan_by_key_implILNS1_25lookback_scan_determinismE0ELb1ES3_N6thrust23THRUST_200600_302600_NS6detail15normal_iteratorINSB_10device_ptrIjEEEENSD_INSE_IS6_EEEESI_S6_NSB_4plusIvEENSB_8equal_toIvEES6_EE10hipError_tPvRmT2_T3_T4_T5_mT6_T7_P12ihipStream_tbENKUlT_T0_E_clISt17integral_constantIbLb1EES13_EEDaSY_SZ_EUlSY_E_NS1_11comp_targetILNS1_3genE5ELNS1_11target_archE942ELNS1_3gpuE9ELNS1_3repE0EEENS1_30default_config_static_selectorELNS0_4arch9wavefront6targetE0EEEvT1_
	.globl	_ZN7rocprim17ROCPRIM_400000_NS6detail17trampoline_kernelINS0_14default_configENS1_27scan_by_key_config_selectorIj11FixedVectorIiLj2EEEEZZNS1_16scan_by_key_implILNS1_25lookback_scan_determinismE0ELb1ES3_N6thrust23THRUST_200600_302600_NS6detail15normal_iteratorINSB_10device_ptrIjEEEENSD_INSE_IS6_EEEESI_S6_NSB_4plusIvEENSB_8equal_toIvEES6_EE10hipError_tPvRmT2_T3_T4_T5_mT6_T7_P12ihipStream_tbENKUlT_T0_E_clISt17integral_constantIbLb1EES13_EEDaSY_SZ_EUlSY_E_NS1_11comp_targetILNS1_3genE5ELNS1_11target_archE942ELNS1_3gpuE9ELNS1_3repE0EEENS1_30default_config_static_selectorELNS0_4arch9wavefront6targetE0EEEvT1_
	.p2align	8
	.type	_ZN7rocprim17ROCPRIM_400000_NS6detail17trampoline_kernelINS0_14default_configENS1_27scan_by_key_config_selectorIj11FixedVectorIiLj2EEEEZZNS1_16scan_by_key_implILNS1_25lookback_scan_determinismE0ELb1ES3_N6thrust23THRUST_200600_302600_NS6detail15normal_iteratorINSB_10device_ptrIjEEEENSD_INSE_IS6_EEEESI_S6_NSB_4plusIvEENSB_8equal_toIvEES6_EE10hipError_tPvRmT2_T3_T4_T5_mT6_T7_P12ihipStream_tbENKUlT_T0_E_clISt17integral_constantIbLb1EES13_EEDaSY_SZ_EUlSY_E_NS1_11comp_targetILNS1_3genE5ELNS1_11target_archE942ELNS1_3gpuE9ELNS1_3repE0EEENS1_30default_config_static_selectorELNS0_4arch9wavefront6targetE0EEEvT1_,@function
_ZN7rocprim17ROCPRIM_400000_NS6detail17trampoline_kernelINS0_14default_configENS1_27scan_by_key_config_selectorIj11FixedVectorIiLj2EEEEZZNS1_16scan_by_key_implILNS1_25lookback_scan_determinismE0ELb1ES3_N6thrust23THRUST_200600_302600_NS6detail15normal_iteratorINSB_10device_ptrIjEEEENSD_INSE_IS6_EEEESI_S6_NSB_4plusIvEENSB_8equal_toIvEES6_EE10hipError_tPvRmT2_T3_T4_T5_mT6_T7_P12ihipStream_tbENKUlT_T0_E_clISt17integral_constantIbLb1EES13_EEDaSY_SZ_EUlSY_E_NS1_11comp_targetILNS1_3genE5ELNS1_11target_archE942ELNS1_3gpuE9ELNS1_3repE0EEENS1_30default_config_static_selectorELNS0_4arch9wavefront6targetE0EEEvT1_: ; @_ZN7rocprim17ROCPRIM_400000_NS6detail17trampoline_kernelINS0_14default_configENS1_27scan_by_key_config_selectorIj11FixedVectorIiLj2EEEEZZNS1_16scan_by_key_implILNS1_25lookback_scan_determinismE0ELb1ES3_N6thrust23THRUST_200600_302600_NS6detail15normal_iteratorINSB_10device_ptrIjEEEENSD_INSE_IS6_EEEESI_S6_NSB_4plusIvEENSB_8equal_toIvEES6_EE10hipError_tPvRmT2_T3_T4_T5_mT6_T7_P12ihipStream_tbENKUlT_T0_E_clISt17integral_constantIbLb1EES13_EEDaSY_SZ_EUlSY_E_NS1_11comp_targetILNS1_3genE5ELNS1_11target_archE942ELNS1_3gpuE9ELNS1_3repE0EEENS1_30default_config_static_selectorELNS0_4arch9wavefront6targetE0EEEvT1_
; %bb.0:
	.section	.rodata,"a",@progbits
	.p2align	6, 0x0
	.amdhsa_kernel _ZN7rocprim17ROCPRIM_400000_NS6detail17trampoline_kernelINS0_14default_configENS1_27scan_by_key_config_selectorIj11FixedVectorIiLj2EEEEZZNS1_16scan_by_key_implILNS1_25lookback_scan_determinismE0ELb1ES3_N6thrust23THRUST_200600_302600_NS6detail15normal_iteratorINSB_10device_ptrIjEEEENSD_INSE_IS6_EEEESI_S6_NSB_4plusIvEENSB_8equal_toIvEES6_EE10hipError_tPvRmT2_T3_T4_T5_mT6_T7_P12ihipStream_tbENKUlT_T0_E_clISt17integral_constantIbLb1EES13_EEDaSY_SZ_EUlSY_E_NS1_11comp_targetILNS1_3genE5ELNS1_11target_archE942ELNS1_3gpuE9ELNS1_3repE0EEENS1_30default_config_static_selectorELNS0_4arch9wavefront6targetE0EEEvT1_
		.amdhsa_group_segment_fixed_size 0
		.amdhsa_private_segment_fixed_size 0
		.amdhsa_kernarg_size 120
		.amdhsa_user_sgpr_count 6
		.amdhsa_user_sgpr_private_segment_buffer 1
		.amdhsa_user_sgpr_dispatch_ptr 0
		.amdhsa_user_sgpr_queue_ptr 0
		.amdhsa_user_sgpr_kernarg_segment_ptr 1
		.amdhsa_user_sgpr_dispatch_id 0
		.amdhsa_user_sgpr_flat_scratch_init 0
		.amdhsa_user_sgpr_private_segment_size 0
		.amdhsa_wavefront_size32 1
		.amdhsa_uses_dynamic_stack 0
		.amdhsa_system_sgpr_private_segment_wavefront_offset 0
		.amdhsa_system_sgpr_workgroup_id_x 1
		.amdhsa_system_sgpr_workgroup_id_y 0
		.amdhsa_system_sgpr_workgroup_id_z 0
		.amdhsa_system_sgpr_workgroup_info 0
		.amdhsa_system_vgpr_workitem_id 0
		.amdhsa_next_free_vgpr 1
		.amdhsa_next_free_sgpr 1
		.amdhsa_reserve_vcc 0
		.amdhsa_reserve_flat_scratch 0
		.amdhsa_float_round_mode_32 0
		.amdhsa_float_round_mode_16_64 0
		.amdhsa_float_denorm_mode_32 3
		.amdhsa_float_denorm_mode_16_64 3
		.amdhsa_dx10_clamp 1
		.amdhsa_ieee_mode 1
		.amdhsa_fp16_overflow 0
		.amdhsa_workgroup_processor_mode 1
		.amdhsa_memory_ordered 1
		.amdhsa_forward_progress 1
		.amdhsa_shared_vgpr_count 0
		.amdhsa_exception_fp_ieee_invalid_op 0
		.amdhsa_exception_fp_denorm_src 0
		.amdhsa_exception_fp_ieee_div_zero 0
		.amdhsa_exception_fp_ieee_overflow 0
		.amdhsa_exception_fp_ieee_underflow 0
		.amdhsa_exception_fp_ieee_inexact 0
		.amdhsa_exception_int_div_zero 0
	.end_amdhsa_kernel
	.section	.text._ZN7rocprim17ROCPRIM_400000_NS6detail17trampoline_kernelINS0_14default_configENS1_27scan_by_key_config_selectorIj11FixedVectorIiLj2EEEEZZNS1_16scan_by_key_implILNS1_25lookback_scan_determinismE0ELb1ES3_N6thrust23THRUST_200600_302600_NS6detail15normal_iteratorINSB_10device_ptrIjEEEENSD_INSE_IS6_EEEESI_S6_NSB_4plusIvEENSB_8equal_toIvEES6_EE10hipError_tPvRmT2_T3_T4_T5_mT6_T7_P12ihipStream_tbENKUlT_T0_E_clISt17integral_constantIbLb1EES13_EEDaSY_SZ_EUlSY_E_NS1_11comp_targetILNS1_3genE5ELNS1_11target_archE942ELNS1_3gpuE9ELNS1_3repE0EEENS1_30default_config_static_selectorELNS0_4arch9wavefront6targetE0EEEvT1_,"axG",@progbits,_ZN7rocprim17ROCPRIM_400000_NS6detail17trampoline_kernelINS0_14default_configENS1_27scan_by_key_config_selectorIj11FixedVectorIiLj2EEEEZZNS1_16scan_by_key_implILNS1_25lookback_scan_determinismE0ELb1ES3_N6thrust23THRUST_200600_302600_NS6detail15normal_iteratorINSB_10device_ptrIjEEEENSD_INSE_IS6_EEEESI_S6_NSB_4plusIvEENSB_8equal_toIvEES6_EE10hipError_tPvRmT2_T3_T4_T5_mT6_T7_P12ihipStream_tbENKUlT_T0_E_clISt17integral_constantIbLb1EES13_EEDaSY_SZ_EUlSY_E_NS1_11comp_targetILNS1_3genE5ELNS1_11target_archE942ELNS1_3gpuE9ELNS1_3repE0EEENS1_30default_config_static_selectorELNS0_4arch9wavefront6targetE0EEEvT1_,comdat
.Lfunc_end2004:
	.size	_ZN7rocprim17ROCPRIM_400000_NS6detail17trampoline_kernelINS0_14default_configENS1_27scan_by_key_config_selectorIj11FixedVectorIiLj2EEEEZZNS1_16scan_by_key_implILNS1_25lookback_scan_determinismE0ELb1ES3_N6thrust23THRUST_200600_302600_NS6detail15normal_iteratorINSB_10device_ptrIjEEEENSD_INSE_IS6_EEEESI_S6_NSB_4plusIvEENSB_8equal_toIvEES6_EE10hipError_tPvRmT2_T3_T4_T5_mT6_T7_P12ihipStream_tbENKUlT_T0_E_clISt17integral_constantIbLb1EES13_EEDaSY_SZ_EUlSY_E_NS1_11comp_targetILNS1_3genE5ELNS1_11target_archE942ELNS1_3gpuE9ELNS1_3repE0EEENS1_30default_config_static_selectorELNS0_4arch9wavefront6targetE0EEEvT1_, .Lfunc_end2004-_ZN7rocprim17ROCPRIM_400000_NS6detail17trampoline_kernelINS0_14default_configENS1_27scan_by_key_config_selectorIj11FixedVectorIiLj2EEEEZZNS1_16scan_by_key_implILNS1_25lookback_scan_determinismE0ELb1ES3_N6thrust23THRUST_200600_302600_NS6detail15normal_iteratorINSB_10device_ptrIjEEEENSD_INSE_IS6_EEEESI_S6_NSB_4plusIvEENSB_8equal_toIvEES6_EE10hipError_tPvRmT2_T3_T4_T5_mT6_T7_P12ihipStream_tbENKUlT_T0_E_clISt17integral_constantIbLb1EES13_EEDaSY_SZ_EUlSY_E_NS1_11comp_targetILNS1_3genE5ELNS1_11target_archE942ELNS1_3gpuE9ELNS1_3repE0EEENS1_30default_config_static_selectorELNS0_4arch9wavefront6targetE0EEEvT1_
                                        ; -- End function
	.set _ZN7rocprim17ROCPRIM_400000_NS6detail17trampoline_kernelINS0_14default_configENS1_27scan_by_key_config_selectorIj11FixedVectorIiLj2EEEEZZNS1_16scan_by_key_implILNS1_25lookback_scan_determinismE0ELb1ES3_N6thrust23THRUST_200600_302600_NS6detail15normal_iteratorINSB_10device_ptrIjEEEENSD_INSE_IS6_EEEESI_S6_NSB_4plusIvEENSB_8equal_toIvEES6_EE10hipError_tPvRmT2_T3_T4_T5_mT6_T7_P12ihipStream_tbENKUlT_T0_E_clISt17integral_constantIbLb1EES13_EEDaSY_SZ_EUlSY_E_NS1_11comp_targetILNS1_3genE5ELNS1_11target_archE942ELNS1_3gpuE9ELNS1_3repE0EEENS1_30default_config_static_selectorELNS0_4arch9wavefront6targetE0EEEvT1_.num_vgpr, 0
	.set _ZN7rocprim17ROCPRIM_400000_NS6detail17trampoline_kernelINS0_14default_configENS1_27scan_by_key_config_selectorIj11FixedVectorIiLj2EEEEZZNS1_16scan_by_key_implILNS1_25lookback_scan_determinismE0ELb1ES3_N6thrust23THRUST_200600_302600_NS6detail15normal_iteratorINSB_10device_ptrIjEEEENSD_INSE_IS6_EEEESI_S6_NSB_4plusIvEENSB_8equal_toIvEES6_EE10hipError_tPvRmT2_T3_T4_T5_mT6_T7_P12ihipStream_tbENKUlT_T0_E_clISt17integral_constantIbLb1EES13_EEDaSY_SZ_EUlSY_E_NS1_11comp_targetILNS1_3genE5ELNS1_11target_archE942ELNS1_3gpuE9ELNS1_3repE0EEENS1_30default_config_static_selectorELNS0_4arch9wavefront6targetE0EEEvT1_.num_agpr, 0
	.set _ZN7rocprim17ROCPRIM_400000_NS6detail17trampoline_kernelINS0_14default_configENS1_27scan_by_key_config_selectorIj11FixedVectorIiLj2EEEEZZNS1_16scan_by_key_implILNS1_25lookback_scan_determinismE0ELb1ES3_N6thrust23THRUST_200600_302600_NS6detail15normal_iteratorINSB_10device_ptrIjEEEENSD_INSE_IS6_EEEESI_S6_NSB_4plusIvEENSB_8equal_toIvEES6_EE10hipError_tPvRmT2_T3_T4_T5_mT6_T7_P12ihipStream_tbENKUlT_T0_E_clISt17integral_constantIbLb1EES13_EEDaSY_SZ_EUlSY_E_NS1_11comp_targetILNS1_3genE5ELNS1_11target_archE942ELNS1_3gpuE9ELNS1_3repE0EEENS1_30default_config_static_selectorELNS0_4arch9wavefront6targetE0EEEvT1_.numbered_sgpr, 0
	.set _ZN7rocprim17ROCPRIM_400000_NS6detail17trampoline_kernelINS0_14default_configENS1_27scan_by_key_config_selectorIj11FixedVectorIiLj2EEEEZZNS1_16scan_by_key_implILNS1_25lookback_scan_determinismE0ELb1ES3_N6thrust23THRUST_200600_302600_NS6detail15normal_iteratorINSB_10device_ptrIjEEEENSD_INSE_IS6_EEEESI_S6_NSB_4plusIvEENSB_8equal_toIvEES6_EE10hipError_tPvRmT2_T3_T4_T5_mT6_T7_P12ihipStream_tbENKUlT_T0_E_clISt17integral_constantIbLb1EES13_EEDaSY_SZ_EUlSY_E_NS1_11comp_targetILNS1_3genE5ELNS1_11target_archE942ELNS1_3gpuE9ELNS1_3repE0EEENS1_30default_config_static_selectorELNS0_4arch9wavefront6targetE0EEEvT1_.num_named_barrier, 0
	.set _ZN7rocprim17ROCPRIM_400000_NS6detail17trampoline_kernelINS0_14default_configENS1_27scan_by_key_config_selectorIj11FixedVectorIiLj2EEEEZZNS1_16scan_by_key_implILNS1_25lookback_scan_determinismE0ELb1ES3_N6thrust23THRUST_200600_302600_NS6detail15normal_iteratorINSB_10device_ptrIjEEEENSD_INSE_IS6_EEEESI_S6_NSB_4plusIvEENSB_8equal_toIvEES6_EE10hipError_tPvRmT2_T3_T4_T5_mT6_T7_P12ihipStream_tbENKUlT_T0_E_clISt17integral_constantIbLb1EES13_EEDaSY_SZ_EUlSY_E_NS1_11comp_targetILNS1_3genE5ELNS1_11target_archE942ELNS1_3gpuE9ELNS1_3repE0EEENS1_30default_config_static_selectorELNS0_4arch9wavefront6targetE0EEEvT1_.private_seg_size, 0
	.set _ZN7rocprim17ROCPRIM_400000_NS6detail17trampoline_kernelINS0_14default_configENS1_27scan_by_key_config_selectorIj11FixedVectorIiLj2EEEEZZNS1_16scan_by_key_implILNS1_25lookback_scan_determinismE0ELb1ES3_N6thrust23THRUST_200600_302600_NS6detail15normal_iteratorINSB_10device_ptrIjEEEENSD_INSE_IS6_EEEESI_S6_NSB_4plusIvEENSB_8equal_toIvEES6_EE10hipError_tPvRmT2_T3_T4_T5_mT6_T7_P12ihipStream_tbENKUlT_T0_E_clISt17integral_constantIbLb1EES13_EEDaSY_SZ_EUlSY_E_NS1_11comp_targetILNS1_3genE5ELNS1_11target_archE942ELNS1_3gpuE9ELNS1_3repE0EEENS1_30default_config_static_selectorELNS0_4arch9wavefront6targetE0EEEvT1_.uses_vcc, 0
	.set _ZN7rocprim17ROCPRIM_400000_NS6detail17trampoline_kernelINS0_14default_configENS1_27scan_by_key_config_selectorIj11FixedVectorIiLj2EEEEZZNS1_16scan_by_key_implILNS1_25lookback_scan_determinismE0ELb1ES3_N6thrust23THRUST_200600_302600_NS6detail15normal_iteratorINSB_10device_ptrIjEEEENSD_INSE_IS6_EEEESI_S6_NSB_4plusIvEENSB_8equal_toIvEES6_EE10hipError_tPvRmT2_T3_T4_T5_mT6_T7_P12ihipStream_tbENKUlT_T0_E_clISt17integral_constantIbLb1EES13_EEDaSY_SZ_EUlSY_E_NS1_11comp_targetILNS1_3genE5ELNS1_11target_archE942ELNS1_3gpuE9ELNS1_3repE0EEENS1_30default_config_static_selectorELNS0_4arch9wavefront6targetE0EEEvT1_.uses_flat_scratch, 0
	.set _ZN7rocprim17ROCPRIM_400000_NS6detail17trampoline_kernelINS0_14default_configENS1_27scan_by_key_config_selectorIj11FixedVectorIiLj2EEEEZZNS1_16scan_by_key_implILNS1_25lookback_scan_determinismE0ELb1ES3_N6thrust23THRUST_200600_302600_NS6detail15normal_iteratorINSB_10device_ptrIjEEEENSD_INSE_IS6_EEEESI_S6_NSB_4plusIvEENSB_8equal_toIvEES6_EE10hipError_tPvRmT2_T3_T4_T5_mT6_T7_P12ihipStream_tbENKUlT_T0_E_clISt17integral_constantIbLb1EES13_EEDaSY_SZ_EUlSY_E_NS1_11comp_targetILNS1_3genE5ELNS1_11target_archE942ELNS1_3gpuE9ELNS1_3repE0EEENS1_30default_config_static_selectorELNS0_4arch9wavefront6targetE0EEEvT1_.has_dyn_sized_stack, 0
	.set _ZN7rocprim17ROCPRIM_400000_NS6detail17trampoline_kernelINS0_14default_configENS1_27scan_by_key_config_selectorIj11FixedVectorIiLj2EEEEZZNS1_16scan_by_key_implILNS1_25lookback_scan_determinismE0ELb1ES3_N6thrust23THRUST_200600_302600_NS6detail15normal_iteratorINSB_10device_ptrIjEEEENSD_INSE_IS6_EEEESI_S6_NSB_4plusIvEENSB_8equal_toIvEES6_EE10hipError_tPvRmT2_T3_T4_T5_mT6_T7_P12ihipStream_tbENKUlT_T0_E_clISt17integral_constantIbLb1EES13_EEDaSY_SZ_EUlSY_E_NS1_11comp_targetILNS1_3genE5ELNS1_11target_archE942ELNS1_3gpuE9ELNS1_3repE0EEENS1_30default_config_static_selectorELNS0_4arch9wavefront6targetE0EEEvT1_.has_recursion, 0
	.set _ZN7rocprim17ROCPRIM_400000_NS6detail17trampoline_kernelINS0_14default_configENS1_27scan_by_key_config_selectorIj11FixedVectorIiLj2EEEEZZNS1_16scan_by_key_implILNS1_25lookback_scan_determinismE0ELb1ES3_N6thrust23THRUST_200600_302600_NS6detail15normal_iteratorINSB_10device_ptrIjEEEENSD_INSE_IS6_EEEESI_S6_NSB_4plusIvEENSB_8equal_toIvEES6_EE10hipError_tPvRmT2_T3_T4_T5_mT6_T7_P12ihipStream_tbENKUlT_T0_E_clISt17integral_constantIbLb1EES13_EEDaSY_SZ_EUlSY_E_NS1_11comp_targetILNS1_3genE5ELNS1_11target_archE942ELNS1_3gpuE9ELNS1_3repE0EEENS1_30default_config_static_selectorELNS0_4arch9wavefront6targetE0EEEvT1_.has_indirect_call, 0
	.section	.AMDGPU.csdata,"",@progbits
; Kernel info:
; codeLenInByte = 0
; TotalNumSgprs: 0
; NumVgprs: 0
; ScratchSize: 0
; MemoryBound: 0
; FloatMode: 240
; IeeeMode: 1
; LDSByteSize: 0 bytes/workgroup (compile time only)
; SGPRBlocks: 0
; VGPRBlocks: 0
; NumSGPRsForWavesPerEU: 1
; NumVGPRsForWavesPerEU: 1
; Occupancy: 16
; WaveLimiterHint : 0
; COMPUTE_PGM_RSRC2:SCRATCH_EN: 0
; COMPUTE_PGM_RSRC2:USER_SGPR: 6
; COMPUTE_PGM_RSRC2:TRAP_HANDLER: 0
; COMPUTE_PGM_RSRC2:TGID_X_EN: 1
; COMPUTE_PGM_RSRC2:TGID_Y_EN: 0
; COMPUTE_PGM_RSRC2:TGID_Z_EN: 0
; COMPUTE_PGM_RSRC2:TIDIG_COMP_CNT: 0
	.section	.text._ZN7rocprim17ROCPRIM_400000_NS6detail17trampoline_kernelINS0_14default_configENS1_27scan_by_key_config_selectorIj11FixedVectorIiLj2EEEEZZNS1_16scan_by_key_implILNS1_25lookback_scan_determinismE0ELb1ES3_N6thrust23THRUST_200600_302600_NS6detail15normal_iteratorINSB_10device_ptrIjEEEENSD_INSE_IS6_EEEESI_S6_NSB_4plusIvEENSB_8equal_toIvEES6_EE10hipError_tPvRmT2_T3_T4_T5_mT6_T7_P12ihipStream_tbENKUlT_T0_E_clISt17integral_constantIbLb1EES13_EEDaSY_SZ_EUlSY_E_NS1_11comp_targetILNS1_3genE4ELNS1_11target_archE910ELNS1_3gpuE8ELNS1_3repE0EEENS1_30default_config_static_selectorELNS0_4arch9wavefront6targetE0EEEvT1_,"axG",@progbits,_ZN7rocprim17ROCPRIM_400000_NS6detail17trampoline_kernelINS0_14default_configENS1_27scan_by_key_config_selectorIj11FixedVectorIiLj2EEEEZZNS1_16scan_by_key_implILNS1_25lookback_scan_determinismE0ELb1ES3_N6thrust23THRUST_200600_302600_NS6detail15normal_iteratorINSB_10device_ptrIjEEEENSD_INSE_IS6_EEEESI_S6_NSB_4plusIvEENSB_8equal_toIvEES6_EE10hipError_tPvRmT2_T3_T4_T5_mT6_T7_P12ihipStream_tbENKUlT_T0_E_clISt17integral_constantIbLb1EES13_EEDaSY_SZ_EUlSY_E_NS1_11comp_targetILNS1_3genE4ELNS1_11target_archE910ELNS1_3gpuE8ELNS1_3repE0EEENS1_30default_config_static_selectorELNS0_4arch9wavefront6targetE0EEEvT1_,comdat
	.protected	_ZN7rocprim17ROCPRIM_400000_NS6detail17trampoline_kernelINS0_14default_configENS1_27scan_by_key_config_selectorIj11FixedVectorIiLj2EEEEZZNS1_16scan_by_key_implILNS1_25lookback_scan_determinismE0ELb1ES3_N6thrust23THRUST_200600_302600_NS6detail15normal_iteratorINSB_10device_ptrIjEEEENSD_INSE_IS6_EEEESI_S6_NSB_4plusIvEENSB_8equal_toIvEES6_EE10hipError_tPvRmT2_T3_T4_T5_mT6_T7_P12ihipStream_tbENKUlT_T0_E_clISt17integral_constantIbLb1EES13_EEDaSY_SZ_EUlSY_E_NS1_11comp_targetILNS1_3genE4ELNS1_11target_archE910ELNS1_3gpuE8ELNS1_3repE0EEENS1_30default_config_static_selectorELNS0_4arch9wavefront6targetE0EEEvT1_ ; -- Begin function _ZN7rocprim17ROCPRIM_400000_NS6detail17trampoline_kernelINS0_14default_configENS1_27scan_by_key_config_selectorIj11FixedVectorIiLj2EEEEZZNS1_16scan_by_key_implILNS1_25lookback_scan_determinismE0ELb1ES3_N6thrust23THRUST_200600_302600_NS6detail15normal_iteratorINSB_10device_ptrIjEEEENSD_INSE_IS6_EEEESI_S6_NSB_4plusIvEENSB_8equal_toIvEES6_EE10hipError_tPvRmT2_T3_T4_T5_mT6_T7_P12ihipStream_tbENKUlT_T0_E_clISt17integral_constantIbLb1EES13_EEDaSY_SZ_EUlSY_E_NS1_11comp_targetILNS1_3genE4ELNS1_11target_archE910ELNS1_3gpuE8ELNS1_3repE0EEENS1_30default_config_static_selectorELNS0_4arch9wavefront6targetE0EEEvT1_
	.globl	_ZN7rocprim17ROCPRIM_400000_NS6detail17trampoline_kernelINS0_14default_configENS1_27scan_by_key_config_selectorIj11FixedVectorIiLj2EEEEZZNS1_16scan_by_key_implILNS1_25lookback_scan_determinismE0ELb1ES3_N6thrust23THRUST_200600_302600_NS6detail15normal_iteratorINSB_10device_ptrIjEEEENSD_INSE_IS6_EEEESI_S6_NSB_4plusIvEENSB_8equal_toIvEES6_EE10hipError_tPvRmT2_T3_T4_T5_mT6_T7_P12ihipStream_tbENKUlT_T0_E_clISt17integral_constantIbLb1EES13_EEDaSY_SZ_EUlSY_E_NS1_11comp_targetILNS1_3genE4ELNS1_11target_archE910ELNS1_3gpuE8ELNS1_3repE0EEENS1_30default_config_static_selectorELNS0_4arch9wavefront6targetE0EEEvT1_
	.p2align	8
	.type	_ZN7rocprim17ROCPRIM_400000_NS6detail17trampoline_kernelINS0_14default_configENS1_27scan_by_key_config_selectorIj11FixedVectorIiLj2EEEEZZNS1_16scan_by_key_implILNS1_25lookback_scan_determinismE0ELb1ES3_N6thrust23THRUST_200600_302600_NS6detail15normal_iteratorINSB_10device_ptrIjEEEENSD_INSE_IS6_EEEESI_S6_NSB_4plusIvEENSB_8equal_toIvEES6_EE10hipError_tPvRmT2_T3_T4_T5_mT6_T7_P12ihipStream_tbENKUlT_T0_E_clISt17integral_constantIbLb1EES13_EEDaSY_SZ_EUlSY_E_NS1_11comp_targetILNS1_3genE4ELNS1_11target_archE910ELNS1_3gpuE8ELNS1_3repE0EEENS1_30default_config_static_selectorELNS0_4arch9wavefront6targetE0EEEvT1_,@function
_ZN7rocprim17ROCPRIM_400000_NS6detail17trampoline_kernelINS0_14default_configENS1_27scan_by_key_config_selectorIj11FixedVectorIiLj2EEEEZZNS1_16scan_by_key_implILNS1_25lookback_scan_determinismE0ELb1ES3_N6thrust23THRUST_200600_302600_NS6detail15normal_iteratorINSB_10device_ptrIjEEEENSD_INSE_IS6_EEEESI_S6_NSB_4plusIvEENSB_8equal_toIvEES6_EE10hipError_tPvRmT2_T3_T4_T5_mT6_T7_P12ihipStream_tbENKUlT_T0_E_clISt17integral_constantIbLb1EES13_EEDaSY_SZ_EUlSY_E_NS1_11comp_targetILNS1_3genE4ELNS1_11target_archE910ELNS1_3gpuE8ELNS1_3repE0EEENS1_30default_config_static_selectorELNS0_4arch9wavefront6targetE0EEEvT1_: ; @_ZN7rocprim17ROCPRIM_400000_NS6detail17trampoline_kernelINS0_14default_configENS1_27scan_by_key_config_selectorIj11FixedVectorIiLj2EEEEZZNS1_16scan_by_key_implILNS1_25lookback_scan_determinismE0ELb1ES3_N6thrust23THRUST_200600_302600_NS6detail15normal_iteratorINSB_10device_ptrIjEEEENSD_INSE_IS6_EEEESI_S6_NSB_4plusIvEENSB_8equal_toIvEES6_EE10hipError_tPvRmT2_T3_T4_T5_mT6_T7_P12ihipStream_tbENKUlT_T0_E_clISt17integral_constantIbLb1EES13_EEDaSY_SZ_EUlSY_E_NS1_11comp_targetILNS1_3genE4ELNS1_11target_archE910ELNS1_3gpuE8ELNS1_3repE0EEENS1_30default_config_static_selectorELNS0_4arch9wavefront6targetE0EEEvT1_
; %bb.0:
	.section	.rodata,"a",@progbits
	.p2align	6, 0x0
	.amdhsa_kernel _ZN7rocprim17ROCPRIM_400000_NS6detail17trampoline_kernelINS0_14default_configENS1_27scan_by_key_config_selectorIj11FixedVectorIiLj2EEEEZZNS1_16scan_by_key_implILNS1_25lookback_scan_determinismE0ELb1ES3_N6thrust23THRUST_200600_302600_NS6detail15normal_iteratorINSB_10device_ptrIjEEEENSD_INSE_IS6_EEEESI_S6_NSB_4plusIvEENSB_8equal_toIvEES6_EE10hipError_tPvRmT2_T3_T4_T5_mT6_T7_P12ihipStream_tbENKUlT_T0_E_clISt17integral_constantIbLb1EES13_EEDaSY_SZ_EUlSY_E_NS1_11comp_targetILNS1_3genE4ELNS1_11target_archE910ELNS1_3gpuE8ELNS1_3repE0EEENS1_30default_config_static_selectorELNS0_4arch9wavefront6targetE0EEEvT1_
		.amdhsa_group_segment_fixed_size 0
		.amdhsa_private_segment_fixed_size 0
		.amdhsa_kernarg_size 120
		.amdhsa_user_sgpr_count 6
		.amdhsa_user_sgpr_private_segment_buffer 1
		.amdhsa_user_sgpr_dispatch_ptr 0
		.amdhsa_user_sgpr_queue_ptr 0
		.amdhsa_user_sgpr_kernarg_segment_ptr 1
		.amdhsa_user_sgpr_dispatch_id 0
		.amdhsa_user_sgpr_flat_scratch_init 0
		.amdhsa_user_sgpr_private_segment_size 0
		.amdhsa_wavefront_size32 1
		.amdhsa_uses_dynamic_stack 0
		.amdhsa_system_sgpr_private_segment_wavefront_offset 0
		.amdhsa_system_sgpr_workgroup_id_x 1
		.amdhsa_system_sgpr_workgroup_id_y 0
		.amdhsa_system_sgpr_workgroup_id_z 0
		.amdhsa_system_sgpr_workgroup_info 0
		.amdhsa_system_vgpr_workitem_id 0
		.amdhsa_next_free_vgpr 1
		.amdhsa_next_free_sgpr 1
		.amdhsa_reserve_vcc 0
		.amdhsa_reserve_flat_scratch 0
		.amdhsa_float_round_mode_32 0
		.amdhsa_float_round_mode_16_64 0
		.amdhsa_float_denorm_mode_32 3
		.amdhsa_float_denorm_mode_16_64 3
		.amdhsa_dx10_clamp 1
		.amdhsa_ieee_mode 1
		.amdhsa_fp16_overflow 0
		.amdhsa_workgroup_processor_mode 1
		.amdhsa_memory_ordered 1
		.amdhsa_forward_progress 1
		.amdhsa_shared_vgpr_count 0
		.amdhsa_exception_fp_ieee_invalid_op 0
		.amdhsa_exception_fp_denorm_src 0
		.amdhsa_exception_fp_ieee_div_zero 0
		.amdhsa_exception_fp_ieee_overflow 0
		.amdhsa_exception_fp_ieee_underflow 0
		.amdhsa_exception_fp_ieee_inexact 0
		.amdhsa_exception_int_div_zero 0
	.end_amdhsa_kernel
	.section	.text._ZN7rocprim17ROCPRIM_400000_NS6detail17trampoline_kernelINS0_14default_configENS1_27scan_by_key_config_selectorIj11FixedVectorIiLj2EEEEZZNS1_16scan_by_key_implILNS1_25lookback_scan_determinismE0ELb1ES3_N6thrust23THRUST_200600_302600_NS6detail15normal_iteratorINSB_10device_ptrIjEEEENSD_INSE_IS6_EEEESI_S6_NSB_4plusIvEENSB_8equal_toIvEES6_EE10hipError_tPvRmT2_T3_T4_T5_mT6_T7_P12ihipStream_tbENKUlT_T0_E_clISt17integral_constantIbLb1EES13_EEDaSY_SZ_EUlSY_E_NS1_11comp_targetILNS1_3genE4ELNS1_11target_archE910ELNS1_3gpuE8ELNS1_3repE0EEENS1_30default_config_static_selectorELNS0_4arch9wavefront6targetE0EEEvT1_,"axG",@progbits,_ZN7rocprim17ROCPRIM_400000_NS6detail17trampoline_kernelINS0_14default_configENS1_27scan_by_key_config_selectorIj11FixedVectorIiLj2EEEEZZNS1_16scan_by_key_implILNS1_25lookback_scan_determinismE0ELb1ES3_N6thrust23THRUST_200600_302600_NS6detail15normal_iteratorINSB_10device_ptrIjEEEENSD_INSE_IS6_EEEESI_S6_NSB_4plusIvEENSB_8equal_toIvEES6_EE10hipError_tPvRmT2_T3_T4_T5_mT6_T7_P12ihipStream_tbENKUlT_T0_E_clISt17integral_constantIbLb1EES13_EEDaSY_SZ_EUlSY_E_NS1_11comp_targetILNS1_3genE4ELNS1_11target_archE910ELNS1_3gpuE8ELNS1_3repE0EEENS1_30default_config_static_selectorELNS0_4arch9wavefront6targetE0EEEvT1_,comdat
.Lfunc_end2005:
	.size	_ZN7rocprim17ROCPRIM_400000_NS6detail17trampoline_kernelINS0_14default_configENS1_27scan_by_key_config_selectorIj11FixedVectorIiLj2EEEEZZNS1_16scan_by_key_implILNS1_25lookback_scan_determinismE0ELb1ES3_N6thrust23THRUST_200600_302600_NS6detail15normal_iteratorINSB_10device_ptrIjEEEENSD_INSE_IS6_EEEESI_S6_NSB_4plusIvEENSB_8equal_toIvEES6_EE10hipError_tPvRmT2_T3_T4_T5_mT6_T7_P12ihipStream_tbENKUlT_T0_E_clISt17integral_constantIbLb1EES13_EEDaSY_SZ_EUlSY_E_NS1_11comp_targetILNS1_3genE4ELNS1_11target_archE910ELNS1_3gpuE8ELNS1_3repE0EEENS1_30default_config_static_selectorELNS0_4arch9wavefront6targetE0EEEvT1_, .Lfunc_end2005-_ZN7rocprim17ROCPRIM_400000_NS6detail17trampoline_kernelINS0_14default_configENS1_27scan_by_key_config_selectorIj11FixedVectorIiLj2EEEEZZNS1_16scan_by_key_implILNS1_25lookback_scan_determinismE0ELb1ES3_N6thrust23THRUST_200600_302600_NS6detail15normal_iteratorINSB_10device_ptrIjEEEENSD_INSE_IS6_EEEESI_S6_NSB_4plusIvEENSB_8equal_toIvEES6_EE10hipError_tPvRmT2_T3_T4_T5_mT6_T7_P12ihipStream_tbENKUlT_T0_E_clISt17integral_constantIbLb1EES13_EEDaSY_SZ_EUlSY_E_NS1_11comp_targetILNS1_3genE4ELNS1_11target_archE910ELNS1_3gpuE8ELNS1_3repE0EEENS1_30default_config_static_selectorELNS0_4arch9wavefront6targetE0EEEvT1_
                                        ; -- End function
	.set _ZN7rocprim17ROCPRIM_400000_NS6detail17trampoline_kernelINS0_14default_configENS1_27scan_by_key_config_selectorIj11FixedVectorIiLj2EEEEZZNS1_16scan_by_key_implILNS1_25lookback_scan_determinismE0ELb1ES3_N6thrust23THRUST_200600_302600_NS6detail15normal_iteratorINSB_10device_ptrIjEEEENSD_INSE_IS6_EEEESI_S6_NSB_4plusIvEENSB_8equal_toIvEES6_EE10hipError_tPvRmT2_T3_T4_T5_mT6_T7_P12ihipStream_tbENKUlT_T0_E_clISt17integral_constantIbLb1EES13_EEDaSY_SZ_EUlSY_E_NS1_11comp_targetILNS1_3genE4ELNS1_11target_archE910ELNS1_3gpuE8ELNS1_3repE0EEENS1_30default_config_static_selectorELNS0_4arch9wavefront6targetE0EEEvT1_.num_vgpr, 0
	.set _ZN7rocprim17ROCPRIM_400000_NS6detail17trampoline_kernelINS0_14default_configENS1_27scan_by_key_config_selectorIj11FixedVectorIiLj2EEEEZZNS1_16scan_by_key_implILNS1_25lookback_scan_determinismE0ELb1ES3_N6thrust23THRUST_200600_302600_NS6detail15normal_iteratorINSB_10device_ptrIjEEEENSD_INSE_IS6_EEEESI_S6_NSB_4plusIvEENSB_8equal_toIvEES6_EE10hipError_tPvRmT2_T3_T4_T5_mT6_T7_P12ihipStream_tbENKUlT_T0_E_clISt17integral_constantIbLb1EES13_EEDaSY_SZ_EUlSY_E_NS1_11comp_targetILNS1_3genE4ELNS1_11target_archE910ELNS1_3gpuE8ELNS1_3repE0EEENS1_30default_config_static_selectorELNS0_4arch9wavefront6targetE0EEEvT1_.num_agpr, 0
	.set _ZN7rocprim17ROCPRIM_400000_NS6detail17trampoline_kernelINS0_14default_configENS1_27scan_by_key_config_selectorIj11FixedVectorIiLj2EEEEZZNS1_16scan_by_key_implILNS1_25lookback_scan_determinismE0ELb1ES3_N6thrust23THRUST_200600_302600_NS6detail15normal_iteratorINSB_10device_ptrIjEEEENSD_INSE_IS6_EEEESI_S6_NSB_4plusIvEENSB_8equal_toIvEES6_EE10hipError_tPvRmT2_T3_T4_T5_mT6_T7_P12ihipStream_tbENKUlT_T0_E_clISt17integral_constantIbLb1EES13_EEDaSY_SZ_EUlSY_E_NS1_11comp_targetILNS1_3genE4ELNS1_11target_archE910ELNS1_3gpuE8ELNS1_3repE0EEENS1_30default_config_static_selectorELNS0_4arch9wavefront6targetE0EEEvT1_.numbered_sgpr, 0
	.set _ZN7rocprim17ROCPRIM_400000_NS6detail17trampoline_kernelINS0_14default_configENS1_27scan_by_key_config_selectorIj11FixedVectorIiLj2EEEEZZNS1_16scan_by_key_implILNS1_25lookback_scan_determinismE0ELb1ES3_N6thrust23THRUST_200600_302600_NS6detail15normal_iteratorINSB_10device_ptrIjEEEENSD_INSE_IS6_EEEESI_S6_NSB_4plusIvEENSB_8equal_toIvEES6_EE10hipError_tPvRmT2_T3_T4_T5_mT6_T7_P12ihipStream_tbENKUlT_T0_E_clISt17integral_constantIbLb1EES13_EEDaSY_SZ_EUlSY_E_NS1_11comp_targetILNS1_3genE4ELNS1_11target_archE910ELNS1_3gpuE8ELNS1_3repE0EEENS1_30default_config_static_selectorELNS0_4arch9wavefront6targetE0EEEvT1_.num_named_barrier, 0
	.set _ZN7rocprim17ROCPRIM_400000_NS6detail17trampoline_kernelINS0_14default_configENS1_27scan_by_key_config_selectorIj11FixedVectorIiLj2EEEEZZNS1_16scan_by_key_implILNS1_25lookback_scan_determinismE0ELb1ES3_N6thrust23THRUST_200600_302600_NS6detail15normal_iteratorINSB_10device_ptrIjEEEENSD_INSE_IS6_EEEESI_S6_NSB_4plusIvEENSB_8equal_toIvEES6_EE10hipError_tPvRmT2_T3_T4_T5_mT6_T7_P12ihipStream_tbENKUlT_T0_E_clISt17integral_constantIbLb1EES13_EEDaSY_SZ_EUlSY_E_NS1_11comp_targetILNS1_3genE4ELNS1_11target_archE910ELNS1_3gpuE8ELNS1_3repE0EEENS1_30default_config_static_selectorELNS0_4arch9wavefront6targetE0EEEvT1_.private_seg_size, 0
	.set _ZN7rocprim17ROCPRIM_400000_NS6detail17trampoline_kernelINS0_14default_configENS1_27scan_by_key_config_selectorIj11FixedVectorIiLj2EEEEZZNS1_16scan_by_key_implILNS1_25lookback_scan_determinismE0ELb1ES3_N6thrust23THRUST_200600_302600_NS6detail15normal_iteratorINSB_10device_ptrIjEEEENSD_INSE_IS6_EEEESI_S6_NSB_4plusIvEENSB_8equal_toIvEES6_EE10hipError_tPvRmT2_T3_T4_T5_mT6_T7_P12ihipStream_tbENKUlT_T0_E_clISt17integral_constantIbLb1EES13_EEDaSY_SZ_EUlSY_E_NS1_11comp_targetILNS1_3genE4ELNS1_11target_archE910ELNS1_3gpuE8ELNS1_3repE0EEENS1_30default_config_static_selectorELNS0_4arch9wavefront6targetE0EEEvT1_.uses_vcc, 0
	.set _ZN7rocprim17ROCPRIM_400000_NS6detail17trampoline_kernelINS0_14default_configENS1_27scan_by_key_config_selectorIj11FixedVectorIiLj2EEEEZZNS1_16scan_by_key_implILNS1_25lookback_scan_determinismE0ELb1ES3_N6thrust23THRUST_200600_302600_NS6detail15normal_iteratorINSB_10device_ptrIjEEEENSD_INSE_IS6_EEEESI_S6_NSB_4plusIvEENSB_8equal_toIvEES6_EE10hipError_tPvRmT2_T3_T4_T5_mT6_T7_P12ihipStream_tbENKUlT_T0_E_clISt17integral_constantIbLb1EES13_EEDaSY_SZ_EUlSY_E_NS1_11comp_targetILNS1_3genE4ELNS1_11target_archE910ELNS1_3gpuE8ELNS1_3repE0EEENS1_30default_config_static_selectorELNS0_4arch9wavefront6targetE0EEEvT1_.uses_flat_scratch, 0
	.set _ZN7rocprim17ROCPRIM_400000_NS6detail17trampoline_kernelINS0_14default_configENS1_27scan_by_key_config_selectorIj11FixedVectorIiLj2EEEEZZNS1_16scan_by_key_implILNS1_25lookback_scan_determinismE0ELb1ES3_N6thrust23THRUST_200600_302600_NS6detail15normal_iteratorINSB_10device_ptrIjEEEENSD_INSE_IS6_EEEESI_S6_NSB_4plusIvEENSB_8equal_toIvEES6_EE10hipError_tPvRmT2_T3_T4_T5_mT6_T7_P12ihipStream_tbENKUlT_T0_E_clISt17integral_constantIbLb1EES13_EEDaSY_SZ_EUlSY_E_NS1_11comp_targetILNS1_3genE4ELNS1_11target_archE910ELNS1_3gpuE8ELNS1_3repE0EEENS1_30default_config_static_selectorELNS0_4arch9wavefront6targetE0EEEvT1_.has_dyn_sized_stack, 0
	.set _ZN7rocprim17ROCPRIM_400000_NS6detail17trampoline_kernelINS0_14default_configENS1_27scan_by_key_config_selectorIj11FixedVectorIiLj2EEEEZZNS1_16scan_by_key_implILNS1_25lookback_scan_determinismE0ELb1ES3_N6thrust23THRUST_200600_302600_NS6detail15normal_iteratorINSB_10device_ptrIjEEEENSD_INSE_IS6_EEEESI_S6_NSB_4plusIvEENSB_8equal_toIvEES6_EE10hipError_tPvRmT2_T3_T4_T5_mT6_T7_P12ihipStream_tbENKUlT_T0_E_clISt17integral_constantIbLb1EES13_EEDaSY_SZ_EUlSY_E_NS1_11comp_targetILNS1_3genE4ELNS1_11target_archE910ELNS1_3gpuE8ELNS1_3repE0EEENS1_30default_config_static_selectorELNS0_4arch9wavefront6targetE0EEEvT1_.has_recursion, 0
	.set _ZN7rocprim17ROCPRIM_400000_NS6detail17trampoline_kernelINS0_14default_configENS1_27scan_by_key_config_selectorIj11FixedVectorIiLj2EEEEZZNS1_16scan_by_key_implILNS1_25lookback_scan_determinismE0ELb1ES3_N6thrust23THRUST_200600_302600_NS6detail15normal_iteratorINSB_10device_ptrIjEEEENSD_INSE_IS6_EEEESI_S6_NSB_4plusIvEENSB_8equal_toIvEES6_EE10hipError_tPvRmT2_T3_T4_T5_mT6_T7_P12ihipStream_tbENKUlT_T0_E_clISt17integral_constantIbLb1EES13_EEDaSY_SZ_EUlSY_E_NS1_11comp_targetILNS1_3genE4ELNS1_11target_archE910ELNS1_3gpuE8ELNS1_3repE0EEENS1_30default_config_static_selectorELNS0_4arch9wavefront6targetE0EEEvT1_.has_indirect_call, 0
	.section	.AMDGPU.csdata,"",@progbits
; Kernel info:
; codeLenInByte = 0
; TotalNumSgprs: 0
; NumVgprs: 0
; ScratchSize: 0
; MemoryBound: 0
; FloatMode: 240
; IeeeMode: 1
; LDSByteSize: 0 bytes/workgroup (compile time only)
; SGPRBlocks: 0
; VGPRBlocks: 0
; NumSGPRsForWavesPerEU: 1
; NumVGPRsForWavesPerEU: 1
; Occupancy: 16
; WaveLimiterHint : 0
; COMPUTE_PGM_RSRC2:SCRATCH_EN: 0
; COMPUTE_PGM_RSRC2:USER_SGPR: 6
; COMPUTE_PGM_RSRC2:TRAP_HANDLER: 0
; COMPUTE_PGM_RSRC2:TGID_X_EN: 1
; COMPUTE_PGM_RSRC2:TGID_Y_EN: 0
; COMPUTE_PGM_RSRC2:TGID_Z_EN: 0
; COMPUTE_PGM_RSRC2:TIDIG_COMP_CNT: 0
	.section	.text._ZN7rocprim17ROCPRIM_400000_NS6detail17trampoline_kernelINS0_14default_configENS1_27scan_by_key_config_selectorIj11FixedVectorIiLj2EEEEZZNS1_16scan_by_key_implILNS1_25lookback_scan_determinismE0ELb1ES3_N6thrust23THRUST_200600_302600_NS6detail15normal_iteratorINSB_10device_ptrIjEEEENSD_INSE_IS6_EEEESI_S6_NSB_4plusIvEENSB_8equal_toIvEES6_EE10hipError_tPvRmT2_T3_T4_T5_mT6_T7_P12ihipStream_tbENKUlT_T0_E_clISt17integral_constantIbLb1EES13_EEDaSY_SZ_EUlSY_E_NS1_11comp_targetILNS1_3genE3ELNS1_11target_archE908ELNS1_3gpuE7ELNS1_3repE0EEENS1_30default_config_static_selectorELNS0_4arch9wavefront6targetE0EEEvT1_,"axG",@progbits,_ZN7rocprim17ROCPRIM_400000_NS6detail17trampoline_kernelINS0_14default_configENS1_27scan_by_key_config_selectorIj11FixedVectorIiLj2EEEEZZNS1_16scan_by_key_implILNS1_25lookback_scan_determinismE0ELb1ES3_N6thrust23THRUST_200600_302600_NS6detail15normal_iteratorINSB_10device_ptrIjEEEENSD_INSE_IS6_EEEESI_S6_NSB_4plusIvEENSB_8equal_toIvEES6_EE10hipError_tPvRmT2_T3_T4_T5_mT6_T7_P12ihipStream_tbENKUlT_T0_E_clISt17integral_constantIbLb1EES13_EEDaSY_SZ_EUlSY_E_NS1_11comp_targetILNS1_3genE3ELNS1_11target_archE908ELNS1_3gpuE7ELNS1_3repE0EEENS1_30default_config_static_selectorELNS0_4arch9wavefront6targetE0EEEvT1_,comdat
	.protected	_ZN7rocprim17ROCPRIM_400000_NS6detail17trampoline_kernelINS0_14default_configENS1_27scan_by_key_config_selectorIj11FixedVectorIiLj2EEEEZZNS1_16scan_by_key_implILNS1_25lookback_scan_determinismE0ELb1ES3_N6thrust23THRUST_200600_302600_NS6detail15normal_iteratorINSB_10device_ptrIjEEEENSD_INSE_IS6_EEEESI_S6_NSB_4plusIvEENSB_8equal_toIvEES6_EE10hipError_tPvRmT2_T3_T4_T5_mT6_T7_P12ihipStream_tbENKUlT_T0_E_clISt17integral_constantIbLb1EES13_EEDaSY_SZ_EUlSY_E_NS1_11comp_targetILNS1_3genE3ELNS1_11target_archE908ELNS1_3gpuE7ELNS1_3repE0EEENS1_30default_config_static_selectorELNS0_4arch9wavefront6targetE0EEEvT1_ ; -- Begin function _ZN7rocprim17ROCPRIM_400000_NS6detail17trampoline_kernelINS0_14default_configENS1_27scan_by_key_config_selectorIj11FixedVectorIiLj2EEEEZZNS1_16scan_by_key_implILNS1_25lookback_scan_determinismE0ELb1ES3_N6thrust23THRUST_200600_302600_NS6detail15normal_iteratorINSB_10device_ptrIjEEEENSD_INSE_IS6_EEEESI_S6_NSB_4plusIvEENSB_8equal_toIvEES6_EE10hipError_tPvRmT2_T3_T4_T5_mT6_T7_P12ihipStream_tbENKUlT_T0_E_clISt17integral_constantIbLb1EES13_EEDaSY_SZ_EUlSY_E_NS1_11comp_targetILNS1_3genE3ELNS1_11target_archE908ELNS1_3gpuE7ELNS1_3repE0EEENS1_30default_config_static_selectorELNS0_4arch9wavefront6targetE0EEEvT1_
	.globl	_ZN7rocprim17ROCPRIM_400000_NS6detail17trampoline_kernelINS0_14default_configENS1_27scan_by_key_config_selectorIj11FixedVectorIiLj2EEEEZZNS1_16scan_by_key_implILNS1_25lookback_scan_determinismE0ELb1ES3_N6thrust23THRUST_200600_302600_NS6detail15normal_iteratorINSB_10device_ptrIjEEEENSD_INSE_IS6_EEEESI_S6_NSB_4plusIvEENSB_8equal_toIvEES6_EE10hipError_tPvRmT2_T3_T4_T5_mT6_T7_P12ihipStream_tbENKUlT_T0_E_clISt17integral_constantIbLb1EES13_EEDaSY_SZ_EUlSY_E_NS1_11comp_targetILNS1_3genE3ELNS1_11target_archE908ELNS1_3gpuE7ELNS1_3repE0EEENS1_30default_config_static_selectorELNS0_4arch9wavefront6targetE0EEEvT1_
	.p2align	8
	.type	_ZN7rocprim17ROCPRIM_400000_NS6detail17trampoline_kernelINS0_14default_configENS1_27scan_by_key_config_selectorIj11FixedVectorIiLj2EEEEZZNS1_16scan_by_key_implILNS1_25lookback_scan_determinismE0ELb1ES3_N6thrust23THRUST_200600_302600_NS6detail15normal_iteratorINSB_10device_ptrIjEEEENSD_INSE_IS6_EEEESI_S6_NSB_4plusIvEENSB_8equal_toIvEES6_EE10hipError_tPvRmT2_T3_T4_T5_mT6_T7_P12ihipStream_tbENKUlT_T0_E_clISt17integral_constantIbLb1EES13_EEDaSY_SZ_EUlSY_E_NS1_11comp_targetILNS1_3genE3ELNS1_11target_archE908ELNS1_3gpuE7ELNS1_3repE0EEENS1_30default_config_static_selectorELNS0_4arch9wavefront6targetE0EEEvT1_,@function
_ZN7rocprim17ROCPRIM_400000_NS6detail17trampoline_kernelINS0_14default_configENS1_27scan_by_key_config_selectorIj11FixedVectorIiLj2EEEEZZNS1_16scan_by_key_implILNS1_25lookback_scan_determinismE0ELb1ES3_N6thrust23THRUST_200600_302600_NS6detail15normal_iteratorINSB_10device_ptrIjEEEENSD_INSE_IS6_EEEESI_S6_NSB_4plusIvEENSB_8equal_toIvEES6_EE10hipError_tPvRmT2_T3_T4_T5_mT6_T7_P12ihipStream_tbENKUlT_T0_E_clISt17integral_constantIbLb1EES13_EEDaSY_SZ_EUlSY_E_NS1_11comp_targetILNS1_3genE3ELNS1_11target_archE908ELNS1_3gpuE7ELNS1_3repE0EEENS1_30default_config_static_selectorELNS0_4arch9wavefront6targetE0EEEvT1_: ; @_ZN7rocprim17ROCPRIM_400000_NS6detail17trampoline_kernelINS0_14default_configENS1_27scan_by_key_config_selectorIj11FixedVectorIiLj2EEEEZZNS1_16scan_by_key_implILNS1_25lookback_scan_determinismE0ELb1ES3_N6thrust23THRUST_200600_302600_NS6detail15normal_iteratorINSB_10device_ptrIjEEEENSD_INSE_IS6_EEEESI_S6_NSB_4plusIvEENSB_8equal_toIvEES6_EE10hipError_tPvRmT2_T3_T4_T5_mT6_T7_P12ihipStream_tbENKUlT_T0_E_clISt17integral_constantIbLb1EES13_EEDaSY_SZ_EUlSY_E_NS1_11comp_targetILNS1_3genE3ELNS1_11target_archE908ELNS1_3gpuE7ELNS1_3repE0EEENS1_30default_config_static_selectorELNS0_4arch9wavefront6targetE0EEEvT1_
; %bb.0:
	.section	.rodata,"a",@progbits
	.p2align	6, 0x0
	.amdhsa_kernel _ZN7rocprim17ROCPRIM_400000_NS6detail17trampoline_kernelINS0_14default_configENS1_27scan_by_key_config_selectorIj11FixedVectorIiLj2EEEEZZNS1_16scan_by_key_implILNS1_25lookback_scan_determinismE0ELb1ES3_N6thrust23THRUST_200600_302600_NS6detail15normal_iteratorINSB_10device_ptrIjEEEENSD_INSE_IS6_EEEESI_S6_NSB_4plusIvEENSB_8equal_toIvEES6_EE10hipError_tPvRmT2_T3_T4_T5_mT6_T7_P12ihipStream_tbENKUlT_T0_E_clISt17integral_constantIbLb1EES13_EEDaSY_SZ_EUlSY_E_NS1_11comp_targetILNS1_3genE3ELNS1_11target_archE908ELNS1_3gpuE7ELNS1_3repE0EEENS1_30default_config_static_selectorELNS0_4arch9wavefront6targetE0EEEvT1_
		.amdhsa_group_segment_fixed_size 0
		.amdhsa_private_segment_fixed_size 0
		.amdhsa_kernarg_size 120
		.amdhsa_user_sgpr_count 6
		.amdhsa_user_sgpr_private_segment_buffer 1
		.amdhsa_user_sgpr_dispatch_ptr 0
		.amdhsa_user_sgpr_queue_ptr 0
		.amdhsa_user_sgpr_kernarg_segment_ptr 1
		.amdhsa_user_sgpr_dispatch_id 0
		.amdhsa_user_sgpr_flat_scratch_init 0
		.amdhsa_user_sgpr_private_segment_size 0
		.amdhsa_wavefront_size32 1
		.amdhsa_uses_dynamic_stack 0
		.amdhsa_system_sgpr_private_segment_wavefront_offset 0
		.amdhsa_system_sgpr_workgroup_id_x 1
		.amdhsa_system_sgpr_workgroup_id_y 0
		.amdhsa_system_sgpr_workgroup_id_z 0
		.amdhsa_system_sgpr_workgroup_info 0
		.amdhsa_system_vgpr_workitem_id 0
		.amdhsa_next_free_vgpr 1
		.amdhsa_next_free_sgpr 1
		.amdhsa_reserve_vcc 0
		.amdhsa_reserve_flat_scratch 0
		.amdhsa_float_round_mode_32 0
		.amdhsa_float_round_mode_16_64 0
		.amdhsa_float_denorm_mode_32 3
		.amdhsa_float_denorm_mode_16_64 3
		.amdhsa_dx10_clamp 1
		.amdhsa_ieee_mode 1
		.amdhsa_fp16_overflow 0
		.amdhsa_workgroup_processor_mode 1
		.amdhsa_memory_ordered 1
		.amdhsa_forward_progress 1
		.amdhsa_shared_vgpr_count 0
		.amdhsa_exception_fp_ieee_invalid_op 0
		.amdhsa_exception_fp_denorm_src 0
		.amdhsa_exception_fp_ieee_div_zero 0
		.amdhsa_exception_fp_ieee_overflow 0
		.amdhsa_exception_fp_ieee_underflow 0
		.amdhsa_exception_fp_ieee_inexact 0
		.amdhsa_exception_int_div_zero 0
	.end_amdhsa_kernel
	.section	.text._ZN7rocprim17ROCPRIM_400000_NS6detail17trampoline_kernelINS0_14default_configENS1_27scan_by_key_config_selectorIj11FixedVectorIiLj2EEEEZZNS1_16scan_by_key_implILNS1_25lookback_scan_determinismE0ELb1ES3_N6thrust23THRUST_200600_302600_NS6detail15normal_iteratorINSB_10device_ptrIjEEEENSD_INSE_IS6_EEEESI_S6_NSB_4plusIvEENSB_8equal_toIvEES6_EE10hipError_tPvRmT2_T3_T4_T5_mT6_T7_P12ihipStream_tbENKUlT_T0_E_clISt17integral_constantIbLb1EES13_EEDaSY_SZ_EUlSY_E_NS1_11comp_targetILNS1_3genE3ELNS1_11target_archE908ELNS1_3gpuE7ELNS1_3repE0EEENS1_30default_config_static_selectorELNS0_4arch9wavefront6targetE0EEEvT1_,"axG",@progbits,_ZN7rocprim17ROCPRIM_400000_NS6detail17trampoline_kernelINS0_14default_configENS1_27scan_by_key_config_selectorIj11FixedVectorIiLj2EEEEZZNS1_16scan_by_key_implILNS1_25lookback_scan_determinismE0ELb1ES3_N6thrust23THRUST_200600_302600_NS6detail15normal_iteratorINSB_10device_ptrIjEEEENSD_INSE_IS6_EEEESI_S6_NSB_4plusIvEENSB_8equal_toIvEES6_EE10hipError_tPvRmT2_T3_T4_T5_mT6_T7_P12ihipStream_tbENKUlT_T0_E_clISt17integral_constantIbLb1EES13_EEDaSY_SZ_EUlSY_E_NS1_11comp_targetILNS1_3genE3ELNS1_11target_archE908ELNS1_3gpuE7ELNS1_3repE0EEENS1_30default_config_static_selectorELNS0_4arch9wavefront6targetE0EEEvT1_,comdat
.Lfunc_end2006:
	.size	_ZN7rocprim17ROCPRIM_400000_NS6detail17trampoline_kernelINS0_14default_configENS1_27scan_by_key_config_selectorIj11FixedVectorIiLj2EEEEZZNS1_16scan_by_key_implILNS1_25lookback_scan_determinismE0ELb1ES3_N6thrust23THRUST_200600_302600_NS6detail15normal_iteratorINSB_10device_ptrIjEEEENSD_INSE_IS6_EEEESI_S6_NSB_4plusIvEENSB_8equal_toIvEES6_EE10hipError_tPvRmT2_T3_T4_T5_mT6_T7_P12ihipStream_tbENKUlT_T0_E_clISt17integral_constantIbLb1EES13_EEDaSY_SZ_EUlSY_E_NS1_11comp_targetILNS1_3genE3ELNS1_11target_archE908ELNS1_3gpuE7ELNS1_3repE0EEENS1_30default_config_static_selectorELNS0_4arch9wavefront6targetE0EEEvT1_, .Lfunc_end2006-_ZN7rocprim17ROCPRIM_400000_NS6detail17trampoline_kernelINS0_14default_configENS1_27scan_by_key_config_selectorIj11FixedVectorIiLj2EEEEZZNS1_16scan_by_key_implILNS1_25lookback_scan_determinismE0ELb1ES3_N6thrust23THRUST_200600_302600_NS6detail15normal_iteratorINSB_10device_ptrIjEEEENSD_INSE_IS6_EEEESI_S6_NSB_4plusIvEENSB_8equal_toIvEES6_EE10hipError_tPvRmT2_T3_T4_T5_mT6_T7_P12ihipStream_tbENKUlT_T0_E_clISt17integral_constantIbLb1EES13_EEDaSY_SZ_EUlSY_E_NS1_11comp_targetILNS1_3genE3ELNS1_11target_archE908ELNS1_3gpuE7ELNS1_3repE0EEENS1_30default_config_static_selectorELNS0_4arch9wavefront6targetE0EEEvT1_
                                        ; -- End function
	.set _ZN7rocprim17ROCPRIM_400000_NS6detail17trampoline_kernelINS0_14default_configENS1_27scan_by_key_config_selectorIj11FixedVectorIiLj2EEEEZZNS1_16scan_by_key_implILNS1_25lookback_scan_determinismE0ELb1ES3_N6thrust23THRUST_200600_302600_NS6detail15normal_iteratorINSB_10device_ptrIjEEEENSD_INSE_IS6_EEEESI_S6_NSB_4plusIvEENSB_8equal_toIvEES6_EE10hipError_tPvRmT2_T3_T4_T5_mT6_T7_P12ihipStream_tbENKUlT_T0_E_clISt17integral_constantIbLb1EES13_EEDaSY_SZ_EUlSY_E_NS1_11comp_targetILNS1_3genE3ELNS1_11target_archE908ELNS1_3gpuE7ELNS1_3repE0EEENS1_30default_config_static_selectorELNS0_4arch9wavefront6targetE0EEEvT1_.num_vgpr, 0
	.set _ZN7rocprim17ROCPRIM_400000_NS6detail17trampoline_kernelINS0_14default_configENS1_27scan_by_key_config_selectorIj11FixedVectorIiLj2EEEEZZNS1_16scan_by_key_implILNS1_25lookback_scan_determinismE0ELb1ES3_N6thrust23THRUST_200600_302600_NS6detail15normal_iteratorINSB_10device_ptrIjEEEENSD_INSE_IS6_EEEESI_S6_NSB_4plusIvEENSB_8equal_toIvEES6_EE10hipError_tPvRmT2_T3_T4_T5_mT6_T7_P12ihipStream_tbENKUlT_T0_E_clISt17integral_constantIbLb1EES13_EEDaSY_SZ_EUlSY_E_NS1_11comp_targetILNS1_3genE3ELNS1_11target_archE908ELNS1_3gpuE7ELNS1_3repE0EEENS1_30default_config_static_selectorELNS0_4arch9wavefront6targetE0EEEvT1_.num_agpr, 0
	.set _ZN7rocprim17ROCPRIM_400000_NS6detail17trampoline_kernelINS0_14default_configENS1_27scan_by_key_config_selectorIj11FixedVectorIiLj2EEEEZZNS1_16scan_by_key_implILNS1_25lookback_scan_determinismE0ELb1ES3_N6thrust23THRUST_200600_302600_NS6detail15normal_iteratorINSB_10device_ptrIjEEEENSD_INSE_IS6_EEEESI_S6_NSB_4plusIvEENSB_8equal_toIvEES6_EE10hipError_tPvRmT2_T3_T4_T5_mT6_T7_P12ihipStream_tbENKUlT_T0_E_clISt17integral_constantIbLb1EES13_EEDaSY_SZ_EUlSY_E_NS1_11comp_targetILNS1_3genE3ELNS1_11target_archE908ELNS1_3gpuE7ELNS1_3repE0EEENS1_30default_config_static_selectorELNS0_4arch9wavefront6targetE0EEEvT1_.numbered_sgpr, 0
	.set _ZN7rocprim17ROCPRIM_400000_NS6detail17trampoline_kernelINS0_14default_configENS1_27scan_by_key_config_selectorIj11FixedVectorIiLj2EEEEZZNS1_16scan_by_key_implILNS1_25lookback_scan_determinismE0ELb1ES3_N6thrust23THRUST_200600_302600_NS6detail15normal_iteratorINSB_10device_ptrIjEEEENSD_INSE_IS6_EEEESI_S6_NSB_4plusIvEENSB_8equal_toIvEES6_EE10hipError_tPvRmT2_T3_T4_T5_mT6_T7_P12ihipStream_tbENKUlT_T0_E_clISt17integral_constantIbLb1EES13_EEDaSY_SZ_EUlSY_E_NS1_11comp_targetILNS1_3genE3ELNS1_11target_archE908ELNS1_3gpuE7ELNS1_3repE0EEENS1_30default_config_static_selectorELNS0_4arch9wavefront6targetE0EEEvT1_.num_named_barrier, 0
	.set _ZN7rocprim17ROCPRIM_400000_NS6detail17trampoline_kernelINS0_14default_configENS1_27scan_by_key_config_selectorIj11FixedVectorIiLj2EEEEZZNS1_16scan_by_key_implILNS1_25lookback_scan_determinismE0ELb1ES3_N6thrust23THRUST_200600_302600_NS6detail15normal_iteratorINSB_10device_ptrIjEEEENSD_INSE_IS6_EEEESI_S6_NSB_4plusIvEENSB_8equal_toIvEES6_EE10hipError_tPvRmT2_T3_T4_T5_mT6_T7_P12ihipStream_tbENKUlT_T0_E_clISt17integral_constantIbLb1EES13_EEDaSY_SZ_EUlSY_E_NS1_11comp_targetILNS1_3genE3ELNS1_11target_archE908ELNS1_3gpuE7ELNS1_3repE0EEENS1_30default_config_static_selectorELNS0_4arch9wavefront6targetE0EEEvT1_.private_seg_size, 0
	.set _ZN7rocprim17ROCPRIM_400000_NS6detail17trampoline_kernelINS0_14default_configENS1_27scan_by_key_config_selectorIj11FixedVectorIiLj2EEEEZZNS1_16scan_by_key_implILNS1_25lookback_scan_determinismE0ELb1ES3_N6thrust23THRUST_200600_302600_NS6detail15normal_iteratorINSB_10device_ptrIjEEEENSD_INSE_IS6_EEEESI_S6_NSB_4plusIvEENSB_8equal_toIvEES6_EE10hipError_tPvRmT2_T3_T4_T5_mT6_T7_P12ihipStream_tbENKUlT_T0_E_clISt17integral_constantIbLb1EES13_EEDaSY_SZ_EUlSY_E_NS1_11comp_targetILNS1_3genE3ELNS1_11target_archE908ELNS1_3gpuE7ELNS1_3repE0EEENS1_30default_config_static_selectorELNS0_4arch9wavefront6targetE0EEEvT1_.uses_vcc, 0
	.set _ZN7rocprim17ROCPRIM_400000_NS6detail17trampoline_kernelINS0_14default_configENS1_27scan_by_key_config_selectorIj11FixedVectorIiLj2EEEEZZNS1_16scan_by_key_implILNS1_25lookback_scan_determinismE0ELb1ES3_N6thrust23THRUST_200600_302600_NS6detail15normal_iteratorINSB_10device_ptrIjEEEENSD_INSE_IS6_EEEESI_S6_NSB_4plusIvEENSB_8equal_toIvEES6_EE10hipError_tPvRmT2_T3_T4_T5_mT6_T7_P12ihipStream_tbENKUlT_T0_E_clISt17integral_constantIbLb1EES13_EEDaSY_SZ_EUlSY_E_NS1_11comp_targetILNS1_3genE3ELNS1_11target_archE908ELNS1_3gpuE7ELNS1_3repE0EEENS1_30default_config_static_selectorELNS0_4arch9wavefront6targetE0EEEvT1_.uses_flat_scratch, 0
	.set _ZN7rocprim17ROCPRIM_400000_NS6detail17trampoline_kernelINS0_14default_configENS1_27scan_by_key_config_selectorIj11FixedVectorIiLj2EEEEZZNS1_16scan_by_key_implILNS1_25lookback_scan_determinismE0ELb1ES3_N6thrust23THRUST_200600_302600_NS6detail15normal_iteratorINSB_10device_ptrIjEEEENSD_INSE_IS6_EEEESI_S6_NSB_4plusIvEENSB_8equal_toIvEES6_EE10hipError_tPvRmT2_T3_T4_T5_mT6_T7_P12ihipStream_tbENKUlT_T0_E_clISt17integral_constantIbLb1EES13_EEDaSY_SZ_EUlSY_E_NS1_11comp_targetILNS1_3genE3ELNS1_11target_archE908ELNS1_3gpuE7ELNS1_3repE0EEENS1_30default_config_static_selectorELNS0_4arch9wavefront6targetE0EEEvT1_.has_dyn_sized_stack, 0
	.set _ZN7rocprim17ROCPRIM_400000_NS6detail17trampoline_kernelINS0_14default_configENS1_27scan_by_key_config_selectorIj11FixedVectorIiLj2EEEEZZNS1_16scan_by_key_implILNS1_25lookback_scan_determinismE0ELb1ES3_N6thrust23THRUST_200600_302600_NS6detail15normal_iteratorINSB_10device_ptrIjEEEENSD_INSE_IS6_EEEESI_S6_NSB_4plusIvEENSB_8equal_toIvEES6_EE10hipError_tPvRmT2_T3_T4_T5_mT6_T7_P12ihipStream_tbENKUlT_T0_E_clISt17integral_constantIbLb1EES13_EEDaSY_SZ_EUlSY_E_NS1_11comp_targetILNS1_3genE3ELNS1_11target_archE908ELNS1_3gpuE7ELNS1_3repE0EEENS1_30default_config_static_selectorELNS0_4arch9wavefront6targetE0EEEvT1_.has_recursion, 0
	.set _ZN7rocprim17ROCPRIM_400000_NS6detail17trampoline_kernelINS0_14default_configENS1_27scan_by_key_config_selectorIj11FixedVectorIiLj2EEEEZZNS1_16scan_by_key_implILNS1_25lookback_scan_determinismE0ELb1ES3_N6thrust23THRUST_200600_302600_NS6detail15normal_iteratorINSB_10device_ptrIjEEEENSD_INSE_IS6_EEEESI_S6_NSB_4plusIvEENSB_8equal_toIvEES6_EE10hipError_tPvRmT2_T3_T4_T5_mT6_T7_P12ihipStream_tbENKUlT_T0_E_clISt17integral_constantIbLb1EES13_EEDaSY_SZ_EUlSY_E_NS1_11comp_targetILNS1_3genE3ELNS1_11target_archE908ELNS1_3gpuE7ELNS1_3repE0EEENS1_30default_config_static_selectorELNS0_4arch9wavefront6targetE0EEEvT1_.has_indirect_call, 0
	.section	.AMDGPU.csdata,"",@progbits
; Kernel info:
; codeLenInByte = 0
; TotalNumSgprs: 0
; NumVgprs: 0
; ScratchSize: 0
; MemoryBound: 0
; FloatMode: 240
; IeeeMode: 1
; LDSByteSize: 0 bytes/workgroup (compile time only)
; SGPRBlocks: 0
; VGPRBlocks: 0
; NumSGPRsForWavesPerEU: 1
; NumVGPRsForWavesPerEU: 1
; Occupancy: 16
; WaveLimiterHint : 0
; COMPUTE_PGM_RSRC2:SCRATCH_EN: 0
; COMPUTE_PGM_RSRC2:USER_SGPR: 6
; COMPUTE_PGM_RSRC2:TRAP_HANDLER: 0
; COMPUTE_PGM_RSRC2:TGID_X_EN: 1
; COMPUTE_PGM_RSRC2:TGID_Y_EN: 0
; COMPUTE_PGM_RSRC2:TGID_Z_EN: 0
; COMPUTE_PGM_RSRC2:TIDIG_COMP_CNT: 0
	.section	.text._ZN7rocprim17ROCPRIM_400000_NS6detail17trampoline_kernelINS0_14default_configENS1_27scan_by_key_config_selectorIj11FixedVectorIiLj2EEEEZZNS1_16scan_by_key_implILNS1_25lookback_scan_determinismE0ELb1ES3_N6thrust23THRUST_200600_302600_NS6detail15normal_iteratorINSB_10device_ptrIjEEEENSD_INSE_IS6_EEEESI_S6_NSB_4plusIvEENSB_8equal_toIvEES6_EE10hipError_tPvRmT2_T3_T4_T5_mT6_T7_P12ihipStream_tbENKUlT_T0_E_clISt17integral_constantIbLb1EES13_EEDaSY_SZ_EUlSY_E_NS1_11comp_targetILNS1_3genE2ELNS1_11target_archE906ELNS1_3gpuE6ELNS1_3repE0EEENS1_30default_config_static_selectorELNS0_4arch9wavefront6targetE0EEEvT1_,"axG",@progbits,_ZN7rocprim17ROCPRIM_400000_NS6detail17trampoline_kernelINS0_14default_configENS1_27scan_by_key_config_selectorIj11FixedVectorIiLj2EEEEZZNS1_16scan_by_key_implILNS1_25lookback_scan_determinismE0ELb1ES3_N6thrust23THRUST_200600_302600_NS6detail15normal_iteratorINSB_10device_ptrIjEEEENSD_INSE_IS6_EEEESI_S6_NSB_4plusIvEENSB_8equal_toIvEES6_EE10hipError_tPvRmT2_T3_T4_T5_mT6_T7_P12ihipStream_tbENKUlT_T0_E_clISt17integral_constantIbLb1EES13_EEDaSY_SZ_EUlSY_E_NS1_11comp_targetILNS1_3genE2ELNS1_11target_archE906ELNS1_3gpuE6ELNS1_3repE0EEENS1_30default_config_static_selectorELNS0_4arch9wavefront6targetE0EEEvT1_,comdat
	.protected	_ZN7rocprim17ROCPRIM_400000_NS6detail17trampoline_kernelINS0_14default_configENS1_27scan_by_key_config_selectorIj11FixedVectorIiLj2EEEEZZNS1_16scan_by_key_implILNS1_25lookback_scan_determinismE0ELb1ES3_N6thrust23THRUST_200600_302600_NS6detail15normal_iteratorINSB_10device_ptrIjEEEENSD_INSE_IS6_EEEESI_S6_NSB_4plusIvEENSB_8equal_toIvEES6_EE10hipError_tPvRmT2_T3_T4_T5_mT6_T7_P12ihipStream_tbENKUlT_T0_E_clISt17integral_constantIbLb1EES13_EEDaSY_SZ_EUlSY_E_NS1_11comp_targetILNS1_3genE2ELNS1_11target_archE906ELNS1_3gpuE6ELNS1_3repE0EEENS1_30default_config_static_selectorELNS0_4arch9wavefront6targetE0EEEvT1_ ; -- Begin function _ZN7rocprim17ROCPRIM_400000_NS6detail17trampoline_kernelINS0_14default_configENS1_27scan_by_key_config_selectorIj11FixedVectorIiLj2EEEEZZNS1_16scan_by_key_implILNS1_25lookback_scan_determinismE0ELb1ES3_N6thrust23THRUST_200600_302600_NS6detail15normal_iteratorINSB_10device_ptrIjEEEENSD_INSE_IS6_EEEESI_S6_NSB_4plusIvEENSB_8equal_toIvEES6_EE10hipError_tPvRmT2_T3_T4_T5_mT6_T7_P12ihipStream_tbENKUlT_T0_E_clISt17integral_constantIbLb1EES13_EEDaSY_SZ_EUlSY_E_NS1_11comp_targetILNS1_3genE2ELNS1_11target_archE906ELNS1_3gpuE6ELNS1_3repE0EEENS1_30default_config_static_selectorELNS0_4arch9wavefront6targetE0EEEvT1_
	.globl	_ZN7rocprim17ROCPRIM_400000_NS6detail17trampoline_kernelINS0_14default_configENS1_27scan_by_key_config_selectorIj11FixedVectorIiLj2EEEEZZNS1_16scan_by_key_implILNS1_25lookback_scan_determinismE0ELb1ES3_N6thrust23THRUST_200600_302600_NS6detail15normal_iteratorINSB_10device_ptrIjEEEENSD_INSE_IS6_EEEESI_S6_NSB_4plusIvEENSB_8equal_toIvEES6_EE10hipError_tPvRmT2_T3_T4_T5_mT6_T7_P12ihipStream_tbENKUlT_T0_E_clISt17integral_constantIbLb1EES13_EEDaSY_SZ_EUlSY_E_NS1_11comp_targetILNS1_3genE2ELNS1_11target_archE906ELNS1_3gpuE6ELNS1_3repE0EEENS1_30default_config_static_selectorELNS0_4arch9wavefront6targetE0EEEvT1_
	.p2align	8
	.type	_ZN7rocprim17ROCPRIM_400000_NS6detail17trampoline_kernelINS0_14default_configENS1_27scan_by_key_config_selectorIj11FixedVectorIiLj2EEEEZZNS1_16scan_by_key_implILNS1_25lookback_scan_determinismE0ELb1ES3_N6thrust23THRUST_200600_302600_NS6detail15normal_iteratorINSB_10device_ptrIjEEEENSD_INSE_IS6_EEEESI_S6_NSB_4plusIvEENSB_8equal_toIvEES6_EE10hipError_tPvRmT2_T3_T4_T5_mT6_T7_P12ihipStream_tbENKUlT_T0_E_clISt17integral_constantIbLb1EES13_EEDaSY_SZ_EUlSY_E_NS1_11comp_targetILNS1_3genE2ELNS1_11target_archE906ELNS1_3gpuE6ELNS1_3repE0EEENS1_30default_config_static_selectorELNS0_4arch9wavefront6targetE0EEEvT1_,@function
_ZN7rocprim17ROCPRIM_400000_NS6detail17trampoline_kernelINS0_14default_configENS1_27scan_by_key_config_selectorIj11FixedVectorIiLj2EEEEZZNS1_16scan_by_key_implILNS1_25lookback_scan_determinismE0ELb1ES3_N6thrust23THRUST_200600_302600_NS6detail15normal_iteratorINSB_10device_ptrIjEEEENSD_INSE_IS6_EEEESI_S6_NSB_4plusIvEENSB_8equal_toIvEES6_EE10hipError_tPvRmT2_T3_T4_T5_mT6_T7_P12ihipStream_tbENKUlT_T0_E_clISt17integral_constantIbLb1EES13_EEDaSY_SZ_EUlSY_E_NS1_11comp_targetILNS1_3genE2ELNS1_11target_archE906ELNS1_3gpuE6ELNS1_3repE0EEENS1_30default_config_static_selectorELNS0_4arch9wavefront6targetE0EEEvT1_: ; @_ZN7rocprim17ROCPRIM_400000_NS6detail17trampoline_kernelINS0_14default_configENS1_27scan_by_key_config_selectorIj11FixedVectorIiLj2EEEEZZNS1_16scan_by_key_implILNS1_25lookback_scan_determinismE0ELb1ES3_N6thrust23THRUST_200600_302600_NS6detail15normal_iteratorINSB_10device_ptrIjEEEENSD_INSE_IS6_EEEESI_S6_NSB_4plusIvEENSB_8equal_toIvEES6_EE10hipError_tPvRmT2_T3_T4_T5_mT6_T7_P12ihipStream_tbENKUlT_T0_E_clISt17integral_constantIbLb1EES13_EEDaSY_SZ_EUlSY_E_NS1_11comp_targetILNS1_3genE2ELNS1_11target_archE906ELNS1_3gpuE6ELNS1_3repE0EEENS1_30default_config_static_selectorELNS0_4arch9wavefront6targetE0EEEvT1_
; %bb.0:
	.section	.rodata,"a",@progbits
	.p2align	6, 0x0
	.amdhsa_kernel _ZN7rocprim17ROCPRIM_400000_NS6detail17trampoline_kernelINS0_14default_configENS1_27scan_by_key_config_selectorIj11FixedVectorIiLj2EEEEZZNS1_16scan_by_key_implILNS1_25lookback_scan_determinismE0ELb1ES3_N6thrust23THRUST_200600_302600_NS6detail15normal_iteratorINSB_10device_ptrIjEEEENSD_INSE_IS6_EEEESI_S6_NSB_4plusIvEENSB_8equal_toIvEES6_EE10hipError_tPvRmT2_T3_T4_T5_mT6_T7_P12ihipStream_tbENKUlT_T0_E_clISt17integral_constantIbLb1EES13_EEDaSY_SZ_EUlSY_E_NS1_11comp_targetILNS1_3genE2ELNS1_11target_archE906ELNS1_3gpuE6ELNS1_3repE0EEENS1_30default_config_static_selectorELNS0_4arch9wavefront6targetE0EEEvT1_
		.amdhsa_group_segment_fixed_size 0
		.amdhsa_private_segment_fixed_size 0
		.amdhsa_kernarg_size 120
		.amdhsa_user_sgpr_count 6
		.amdhsa_user_sgpr_private_segment_buffer 1
		.amdhsa_user_sgpr_dispatch_ptr 0
		.amdhsa_user_sgpr_queue_ptr 0
		.amdhsa_user_sgpr_kernarg_segment_ptr 1
		.amdhsa_user_sgpr_dispatch_id 0
		.amdhsa_user_sgpr_flat_scratch_init 0
		.amdhsa_user_sgpr_private_segment_size 0
		.amdhsa_wavefront_size32 1
		.amdhsa_uses_dynamic_stack 0
		.amdhsa_system_sgpr_private_segment_wavefront_offset 0
		.amdhsa_system_sgpr_workgroup_id_x 1
		.amdhsa_system_sgpr_workgroup_id_y 0
		.amdhsa_system_sgpr_workgroup_id_z 0
		.amdhsa_system_sgpr_workgroup_info 0
		.amdhsa_system_vgpr_workitem_id 0
		.amdhsa_next_free_vgpr 1
		.amdhsa_next_free_sgpr 1
		.amdhsa_reserve_vcc 0
		.amdhsa_reserve_flat_scratch 0
		.amdhsa_float_round_mode_32 0
		.amdhsa_float_round_mode_16_64 0
		.amdhsa_float_denorm_mode_32 3
		.amdhsa_float_denorm_mode_16_64 3
		.amdhsa_dx10_clamp 1
		.amdhsa_ieee_mode 1
		.amdhsa_fp16_overflow 0
		.amdhsa_workgroup_processor_mode 1
		.amdhsa_memory_ordered 1
		.amdhsa_forward_progress 1
		.amdhsa_shared_vgpr_count 0
		.amdhsa_exception_fp_ieee_invalid_op 0
		.amdhsa_exception_fp_denorm_src 0
		.amdhsa_exception_fp_ieee_div_zero 0
		.amdhsa_exception_fp_ieee_overflow 0
		.amdhsa_exception_fp_ieee_underflow 0
		.amdhsa_exception_fp_ieee_inexact 0
		.amdhsa_exception_int_div_zero 0
	.end_amdhsa_kernel
	.section	.text._ZN7rocprim17ROCPRIM_400000_NS6detail17trampoline_kernelINS0_14default_configENS1_27scan_by_key_config_selectorIj11FixedVectorIiLj2EEEEZZNS1_16scan_by_key_implILNS1_25lookback_scan_determinismE0ELb1ES3_N6thrust23THRUST_200600_302600_NS6detail15normal_iteratorINSB_10device_ptrIjEEEENSD_INSE_IS6_EEEESI_S6_NSB_4plusIvEENSB_8equal_toIvEES6_EE10hipError_tPvRmT2_T3_T4_T5_mT6_T7_P12ihipStream_tbENKUlT_T0_E_clISt17integral_constantIbLb1EES13_EEDaSY_SZ_EUlSY_E_NS1_11comp_targetILNS1_3genE2ELNS1_11target_archE906ELNS1_3gpuE6ELNS1_3repE0EEENS1_30default_config_static_selectorELNS0_4arch9wavefront6targetE0EEEvT1_,"axG",@progbits,_ZN7rocprim17ROCPRIM_400000_NS6detail17trampoline_kernelINS0_14default_configENS1_27scan_by_key_config_selectorIj11FixedVectorIiLj2EEEEZZNS1_16scan_by_key_implILNS1_25lookback_scan_determinismE0ELb1ES3_N6thrust23THRUST_200600_302600_NS6detail15normal_iteratorINSB_10device_ptrIjEEEENSD_INSE_IS6_EEEESI_S6_NSB_4plusIvEENSB_8equal_toIvEES6_EE10hipError_tPvRmT2_T3_T4_T5_mT6_T7_P12ihipStream_tbENKUlT_T0_E_clISt17integral_constantIbLb1EES13_EEDaSY_SZ_EUlSY_E_NS1_11comp_targetILNS1_3genE2ELNS1_11target_archE906ELNS1_3gpuE6ELNS1_3repE0EEENS1_30default_config_static_selectorELNS0_4arch9wavefront6targetE0EEEvT1_,comdat
.Lfunc_end2007:
	.size	_ZN7rocprim17ROCPRIM_400000_NS6detail17trampoline_kernelINS0_14default_configENS1_27scan_by_key_config_selectorIj11FixedVectorIiLj2EEEEZZNS1_16scan_by_key_implILNS1_25lookback_scan_determinismE0ELb1ES3_N6thrust23THRUST_200600_302600_NS6detail15normal_iteratorINSB_10device_ptrIjEEEENSD_INSE_IS6_EEEESI_S6_NSB_4plusIvEENSB_8equal_toIvEES6_EE10hipError_tPvRmT2_T3_T4_T5_mT6_T7_P12ihipStream_tbENKUlT_T0_E_clISt17integral_constantIbLb1EES13_EEDaSY_SZ_EUlSY_E_NS1_11comp_targetILNS1_3genE2ELNS1_11target_archE906ELNS1_3gpuE6ELNS1_3repE0EEENS1_30default_config_static_selectorELNS0_4arch9wavefront6targetE0EEEvT1_, .Lfunc_end2007-_ZN7rocprim17ROCPRIM_400000_NS6detail17trampoline_kernelINS0_14default_configENS1_27scan_by_key_config_selectorIj11FixedVectorIiLj2EEEEZZNS1_16scan_by_key_implILNS1_25lookback_scan_determinismE0ELb1ES3_N6thrust23THRUST_200600_302600_NS6detail15normal_iteratorINSB_10device_ptrIjEEEENSD_INSE_IS6_EEEESI_S6_NSB_4plusIvEENSB_8equal_toIvEES6_EE10hipError_tPvRmT2_T3_T4_T5_mT6_T7_P12ihipStream_tbENKUlT_T0_E_clISt17integral_constantIbLb1EES13_EEDaSY_SZ_EUlSY_E_NS1_11comp_targetILNS1_3genE2ELNS1_11target_archE906ELNS1_3gpuE6ELNS1_3repE0EEENS1_30default_config_static_selectorELNS0_4arch9wavefront6targetE0EEEvT1_
                                        ; -- End function
	.set _ZN7rocprim17ROCPRIM_400000_NS6detail17trampoline_kernelINS0_14default_configENS1_27scan_by_key_config_selectorIj11FixedVectorIiLj2EEEEZZNS1_16scan_by_key_implILNS1_25lookback_scan_determinismE0ELb1ES3_N6thrust23THRUST_200600_302600_NS6detail15normal_iteratorINSB_10device_ptrIjEEEENSD_INSE_IS6_EEEESI_S6_NSB_4plusIvEENSB_8equal_toIvEES6_EE10hipError_tPvRmT2_T3_T4_T5_mT6_T7_P12ihipStream_tbENKUlT_T0_E_clISt17integral_constantIbLb1EES13_EEDaSY_SZ_EUlSY_E_NS1_11comp_targetILNS1_3genE2ELNS1_11target_archE906ELNS1_3gpuE6ELNS1_3repE0EEENS1_30default_config_static_selectorELNS0_4arch9wavefront6targetE0EEEvT1_.num_vgpr, 0
	.set _ZN7rocprim17ROCPRIM_400000_NS6detail17trampoline_kernelINS0_14default_configENS1_27scan_by_key_config_selectorIj11FixedVectorIiLj2EEEEZZNS1_16scan_by_key_implILNS1_25lookback_scan_determinismE0ELb1ES3_N6thrust23THRUST_200600_302600_NS6detail15normal_iteratorINSB_10device_ptrIjEEEENSD_INSE_IS6_EEEESI_S6_NSB_4plusIvEENSB_8equal_toIvEES6_EE10hipError_tPvRmT2_T3_T4_T5_mT6_T7_P12ihipStream_tbENKUlT_T0_E_clISt17integral_constantIbLb1EES13_EEDaSY_SZ_EUlSY_E_NS1_11comp_targetILNS1_3genE2ELNS1_11target_archE906ELNS1_3gpuE6ELNS1_3repE0EEENS1_30default_config_static_selectorELNS0_4arch9wavefront6targetE0EEEvT1_.num_agpr, 0
	.set _ZN7rocprim17ROCPRIM_400000_NS6detail17trampoline_kernelINS0_14default_configENS1_27scan_by_key_config_selectorIj11FixedVectorIiLj2EEEEZZNS1_16scan_by_key_implILNS1_25lookback_scan_determinismE0ELb1ES3_N6thrust23THRUST_200600_302600_NS6detail15normal_iteratorINSB_10device_ptrIjEEEENSD_INSE_IS6_EEEESI_S6_NSB_4plusIvEENSB_8equal_toIvEES6_EE10hipError_tPvRmT2_T3_T4_T5_mT6_T7_P12ihipStream_tbENKUlT_T0_E_clISt17integral_constantIbLb1EES13_EEDaSY_SZ_EUlSY_E_NS1_11comp_targetILNS1_3genE2ELNS1_11target_archE906ELNS1_3gpuE6ELNS1_3repE0EEENS1_30default_config_static_selectorELNS0_4arch9wavefront6targetE0EEEvT1_.numbered_sgpr, 0
	.set _ZN7rocprim17ROCPRIM_400000_NS6detail17trampoline_kernelINS0_14default_configENS1_27scan_by_key_config_selectorIj11FixedVectorIiLj2EEEEZZNS1_16scan_by_key_implILNS1_25lookback_scan_determinismE0ELb1ES3_N6thrust23THRUST_200600_302600_NS6detail15normal_iteratorINSB_10device_ptrIjEEEENSD_INSE_IS6_EEEESI_S6_NSB_4plusIvEENSB_8equal_toIvEES6_EE10hipError_tPvRmT2_T3_T4_T5_mT6_T7_P12ihipStream_tbENKUlT_T0_E_clISt17integral_constantIbLb1EES13_EEDaSY_SZ_EUlSY_E_NS1_11comp_targetILNS1_3genE2ELNS1_11target_archE906ELNS1_3gpuE6ELNS1_3repE0EEENS1_30default_config_static_selectorELNS0_4arch9wavefront6targetE0EEEvT1_.num_named_barrier, 0
	.set _ZN7rocprim17ROCPRIM_400000_NS6detail17trampoline_kernelINS0_14default_configENS1_27scan_by_key_config_selectorIj11FixedVectorIiLj2EEEEZZNS1_16scan_by_key_implILNS1_25lookback_scan_determinismE0ELb1ES3_N6thrust23THRUST_200600_302600_NS6detail15normal_iteratorINSB_10device_ptrIjEEEENSD_INSE_IS6_EEEESI_S6_NSB_4plusIvEENSB_8equal_toIvEES6_EE10hipError_tPvRmT2_T3_T4_T5_mT6_T7_P12ihipStream_tbENKUlT_T0_E_clISt17integral_constantIbLb1EES13_EEDaSY_SZ_EUlSY_E_NS1_11comp_targetILNS1_3genE2ELNS1_11target_archE906ELNS1_3gpuE6ELNS1_3repE0EEENS1_30default_config_static_selectorELNS0_4arch9wavefront6targetE0EEEvT1_.private_seg_size, 0
	.set _ZN7rocprim17ROCPRIM_400000_NS6detail17trampoline_kernelINS0_14default_configENS1_27scan_by_key_config_selectorIj11FixedVectorIiLj2EEEEZZNS1_16scan_by_key_implILNS1_25lookback_scan_determinismE0ELb1ES3_N6thrust23THRUST_200600_302600_NS6detail15normal_iteratorINSB_10device_ptrIjEEEENSD_INSE_IS6_EEEESI_S6_NSB_4plusIvEENSB_8equal_toIvEES6_EE10hipError_tPvRmT2_T3_T4_T5_mT6_T7_P12ihipStream_tbENKUlT_T0_E_clISt17integral_constantIbLb1EES13_EEDaSY_SZ_EUlSY_E_NS1_11comp_targetILNS1_3genE2ELNS1_11target_archE906ELNS1_3gpuE6ELNS1_3repE0EEENS1_30default_config_static_selectorELNS0_4arch9wavefront6targetE0EEEvT1_.uses_vcc, 0
	.set _ZN7rocprim17ROCPRIM_400000_NS6detail17trampoline_kernelINS0_14default_configENS1_27scan_by_key_config_selectorIj11FixedVectorIiLj2EEEEZZNS1_16scan_by_key_implILNS1_25lookback_scan_determinismE0ELb1ES3_N6thrust23THRUST_200600_302600_NS6detail15normal_iteratorINSB_10device_ptrIjEEEENSD_INSE_IS6_EEEESI_S6_NSB_4plusIvEENSB_8equal_toIvEES6_EE10hipError_tPvRmT2_T3_T4_T5_mT6_T7_P12ihipStream_tbENKUlT_T0_E_clISt17integral_constantIbLb1EES13_EEDaSY_SZ_EUlSY_E_NS1_11comp_targetILNS1_3genE2ELNS1_11target_archE906ELNS1_3gpuE6ELNS1_3repE0EEENS1_30default_config_static_selectorELNS0_4arch9wavefront6targetE0EEEvT1_.uses_flat_scratch, 0
	.set _ZN7rocprim17ROCPRIM_400000_NS6detail17trampoline_kernelINS0_14default_configENS1_27scan_by_key_config_selectorIj11FixedVectorIiLj2EEEEZZNS1_16scan_by_key_implILNS1_25lookback_scan_determinismE0ELb1ES3_N6thrust23THRUST_200600_302600_NS6detail15normal_iteratorINSB_10device_ptrIjEEEENSD_INSE_IS6_EEEESI_S6_NSB_4plusIvEENSB_8equal_toIvEES6_EE10hipError_tPvRmT2_T3_T4_T5_mT6_T7_P12ihipStream_tbENKUlT_T0_E_clISt17integral_constantIbLb1EES13_EEDaSY_SZ_EUlSY_E_NS1_11comp_targetILNS1_3genE2ELNS1_11target_archE906ELNS1_3gpuE6ELNS1_3repE0EEENS1_30default_config_static_selectorELNS0_4arch9wavefront6targetE0EEEvT1_.has_dyn_sized_stack, 0
	.set _ZN7rocprim17ROCPRIM_400000_NS6detail17trampoline_kernelINS0_14default_configENS1_27scan_by_key_config_selectorIj11FixedVectorIiLj2EEEEZZNS1_16scan_by_key_implILNS1_25lookback_scan_determinismE0ELb1ES3_N6thrust23THRUST_200600_302600_NS6detail15normal_iteratorINSB_10device_ptrIjEEEENSD_INSE_IS6_EEEESI_S6_NSB_4plusIvEENSB_8equal_toIvEES6_EE10hipError_tPvRmT2_T3_T4_T5_mT6_T7_P12ihipStream_tbENKUlT_T0_E_clISt17integral_constantIbLb1EES13_EEDaSY_SZ_EUlSY_E_NS1_11comp_targetILNS1_3genE2ELNS1_11target_archE906ELNS1_3gpuE6ELNS1_3repE0EEENS1_30default_config_static_selectorELNS0_4arch9wavefront6targetE0EEEvT1_.has_recursion, 0
	.set _ZN7rocprim17ROCPRIM_400000_NS6detail17trampoline_kernelINS0_14default_configENS1_27scan_by_key_config_selectorIj11FixedVectorIiLj2EEEEZZNS1_16scan_by_key_implILNS1_25lookback_scan_determinismE0ELb1ES3_N6thrust23THRUST_200600_302600_NS6detail15normal_iteratorINSB_10device_ptrIjEEEENSD_INSE_IS6_EEEESI_S6_NSB_4plusIvEENSB_8equal_toIvEES6_EE10hipError_tPvRmT2_T3_T4_T5_mT6_T7_P12ihipStream_tbENKUlT_T0_E_clISt17integral_constantIbLb1EES13_EEDaSY_SZ_EUlSY_E_NS1_11comp_targetILNS1_3genE2ELNS1_11target_archE906ELNS1_3gpuE6ELNS1_3repE0EEENS1_30default_config_static_selectorELNS0_4arch9wavefront6targetE0EEEvT1_.has_indirect_call, 0
	.section	.AMDGPU.csdata,"",@progbits
; Kernel info:
; codeLenInByte = 0
; TotalNumSgprs: 0
; NumVgprs: 0
; ScratchSize: 0
; MemoryBound: 0
; FloatMode: 240
; IeeeMode: 1
; LDSByteSize: 0 bytes/workgroup (compile time only)
; SGPRBlocks: 0
; VGPRBlocks: 0
; NumSGPRsForWavesPerEU: 1
; NumVGPRsForWavesPerEU: 1
; Occupancy: 16
; WaveLimiterHint : 0
; COMPUTE_PGM_RSRC2:SCRATCH_EN: 0
; COMPUTE_PGM_RSRC2:USER_SGPR: 6
; COMPUTE_PGM_RSRC2:TRAP_HANDLER: 0
; COMPUTE_PGM_RSRC2:TGID_X_EN: 1
; COMPUTE_PGM_RSRC2:TGID_Y_EN: 0
; COMPUTE_PGM_RSRC2:TGID_Z_EN: 0
; COMPUTE_PGM_RSRC2:TIDIG_COMP_CNT: 0
	.section	.text._ZN7rocprim17ROCPRIM_400000_NS6detail17trampoline_kernelINS0_14default_configENS1_27scan_by_key_config_selectorIj11FixedVectorIiLj2EEEEZZNS1_16scan_by_key_implILNS1_25lookback_scan_determinismE0ELb1ES3_N6thrust23THRUST_200600_302600_NS6detail15normal_iteratorINSB_10device_ptrIjEEEENSD_INSE_IS6_EEEESI_S6_NSB_4plusIvEENSB_8equal_toIvEES6_EE10hipError_tPvRmT2_T3_T4_T5_mT6_T7_P12ihipStream_tbENKUlT_T0_E_clISt17integral_constantIbLb1EES13_EEDaSY_SZ_EUlSY_E_NS1_11comp_targetILNS1_3genE10ELNS1_11target_archE1200ELNS1_3gpuE4ELNS1_3repE0EEENS1_30default_config_static_selectorELNS0_4arch9wavefront6targetE0EEEvT1_,"axG",@progbits,_ZN7rocprim17ROCPRIM_400000_NS6detail17trampoline_kernelINS0_14default_configENS1_27scan_by_key_config_selectorIj11FixedVectorIiLj2EEEEZZNS1_16scan_by_key_implILNS1_25lookback_scan_determinismE0ELb1ES3_N6thrust23THRUST_200600_302600_NS6detail15normal_iteratorINSB_10device_ptrIjEEEENSD_INSE_IS6_EEEESI_S6_NSB_4plusIvEENSB_8equal_toIvEES6_EE10hipError_tPvRmT2_T3_T4_T5_mT6_T7_P12ihipStream_tbENKUlT_T0_E_clISt17integral_constantIbLb1EES13_EEDaSY_SZ_EUlSY_E_NS1_11comp_targetILNS1_3genE10ELNS1_11target_archE1200ELNS1_3gpuE4ELNS1_3repE0EEENS1_30default_config_static_selectorELNS0_4arch9wavefront6targetE0EEEvT1_,comdat
	.protected	_ZN7rocprim17ROCPRIM_400000_NS6detail17trampoline_kernelINS0_14default_configENS1_27scan_by_key_config_selectorIj11FixedVectorIiLj2EEEEZZNS1_16scan_by_key_implILNS1_25lookback_scan_determinismE0ELb1ES3_N6thrust23THRUST_200600_302600_NS6detail15normal_iteratorINSB_10device_ptrIjEEEENSD_INSE_IS6_EEEESI_S6_NSB_4plusIvEENSB_8equal_toIvEES6_EE10hipError_tPvRmT2_T3_T4_T5_mT6_T7_P12ihipStream_tbENKUlT_T0_E_clISt17integral_constantIbLb1EES13_EEDaSY_SZ_EUlSY_E_NS1_11comp_targetILNS1_3genE10ELNS1_11target_archE1200ELNS1_3gpuE4ELNS1_3repE0EEENS1_30default_config_static_selectorELNS0_4arch9wavefront6targetE0EEEvT1_ ; -- Begin function _ZN7rocprim17ROCPRIM_400000_NS6detail17trampoline_kernelINS0_14default_configENS1_27scan_by_key_config_selectorIj11FixedVectorIiLj2EEEEZZNS1_16scan_by_key_implILNS1_25lookback_scan_determinismE0ELb1ES3_N6thrust23THRUST_200600_302600_NS6detail15normal_iteratorINSB_10device_ptrIjEEEENSD_INSE_IS6_EEEESI_S6_NSB_4plusIvEENSB_8equal_toIvEES6_EE10hipError_tPvRmT2_T3_T4_T5_mT6_T7_P12ihipStream_tbENKUlT_T0_E_clISt17integral_constantIbLb1EES13_EEDaSY_SZ_EUlSY_E_NS1_11comp_targetILNS1_3genE10ELNS1_11target_archE1200ELNS1_3gpuE4ELNS1_3repE0EEENS1_30default_config_static_selectorELNS0_4arch9wavefront6targetE0EEEvT1_
	.globl	_ZN7rocprim17ROCPRIM_400000_NS6detail17trampoline_kernelINS0_14default_configENS1_27scan_by_key_config_selectorIj11FixedVectorIiLj2EEEEZZNS1_16scan_by_key_implILNS1_25lookback_scan_determinismE0ELb1ES3_N6thrust23THRUST_200600_302600_NS6detail15normal_iteratorINSB_10device_ptrIjEEEENSD_INSE_IS6_EEEESI_S6_NSB_4plusIvEENSB_8equal_toIvEES6_EE10hipError_tPvRmT2_T3_T4_T5_mT6_T7_P12ihipStream_tbENKUlT_T0_E_clISt17integral_constantIbLb1EES13_EEDaSY_SZ_EUlSY_E_NS1_11comp_targetILNS1_3genE10ELNS1_11target_archE1200ELNS1_3gpuE4ELNS1_3repE0EEENS1_30default_config_static_selectorELNS0_4arch9wavefront6targetE0EEEvT1_
	.p2align	8
	.type	_ZN7rocprim17ROCPRIM_400000_NS6detail17trampoline_kernelINS0_14default_configENS1_27scan_by_key_config_selectorIj11FixedVectorIiLj2EEEEZZNS1_16scan_by_key_implILNS1_25lookback_scan_determinismE0ELb1ES3_N6thrust23THRUST_200600_302600_NS6detail15normal_iteratorINSB_10device_ptrIjEEEENSD_INSE_IS6_EEEESI_S6_NSB_4plusIvEENSB_8equal_toIvEES6_EE10hipError_tPvRmT2_T3_T4_T5_mT6_T7_P12ihipStream_tbENKUlT_T0_E_clISt17integral_constantIbLb1EES13_EEDaSY_SZ_EUlSY_E_NS1_11comp_targetILNS1_3genE10ELNS1_11target_archE1200ELNS1_3gpuE4ELNS1_3repE0EEENS1_30default_config_static_selectorELNS0_4arch9wavefront6targetE0EEEvT1_,@function
_ZN7rocprim17ROCPRIM_400000_NS6detail17trampoline_kernelINS0_14default_configENS1_27scan_by_key_config_selectorIj11FixedVectorIiLj2EEEEZZNS1_16scan_by_key_implILNS1_25lookback_scan_determinismE0ELb1ES3_N6thrust23THRUST_200600_302600_NS6detail15normal_iteratorINSB_10device_ptrIjEEEENSD_INSE_IS6_EEEESI_S6_NSB_4plusIvEENSB_8equal_toIvEES6_EE10hipError_tPvRmT2_T3_T4_T5_mT6_T7_P12ihipStream_tbENKUlT_T0_E_clISt17integral_constantIbLb1EES13_EEDaSY_SZ_EUlSY_E_NS1_11comp_targetILNS1_3genE10ELNS1_11target_archE1200ELNS1_3gpuE4ELNS1_3repE0EEENS1_30default_config_static_selectorELNS0_4arch9wavefront6targetE0EEEvT1_: ; @_ZN7rocprim17ROCPRIM_400000_NS6detail17trampoline_kernelINS0_14default_configENS1_27scan_by_key_config_selectorIj11FixedVectorIiLj2EEEEZZNS1_16scan_by_key_implILNS1_25lookback_scan_determinismE0ELb1ES3_N6thrust23THRUST_200600_302600_NS6detail15normal_iteratorINSB_10device_ptrIjEEEENSD_INSE_IS6_EEEESI_S6_NSB_4plusIvEENSB_8equal_toIvEES6_EE10hipError_tPvRmT2_T3_T4_T5_mT6_T7_P12ihipStream_tbENKUlT_T0_E_clISt17integral_constantIbLb1EES13_EEDaSY_SZ_EUlSY_E_NS1_11comp_targetILNS1_3genE10ELNS1_11target_archE1200ELNS1_3gpuE4ELNS1_3repE0EEENS1_30default_config_static_selectorELNS0_4arch9wavefront6targetE0EEEvT1_
; %bb.0:
	.section	.rodata,"a",@progbits
	.p2align	6, 0x0
	.amdhsa_kernel _ZN7rocprim17ROCPRIM_400000_NS6detail17trampoline_kernelINS0_14default_configENS1_27scan_by_key_config_selectorIj11FixedVectorIiLj2EEEEZZNS1_16scan_by_key_implILNS1_25lookback_scan_determinismE0ELb1ES3_N6thrust23THRUST_200600_302600_NS6detail15normal_iteratorINSB_10device_ptrIjEEEENSD_INSE_IS6_EEEESI_S6_NSB_4plusIvEENSB_8equal_toIvEES6_EE10hipError_tPvRmT2_T3_T4_T5_mT6_T7_P12ihipStream_tbENKUlT_T0_E_clISt17integral_constantIbLb1EES13_EEDaSY_SZ_EUlSY_E_NS1_11comp_targetILNS1_3genE10ELNS1_11target_archE1200ELNS1_3gpuE4ELNS1_3repE0EEENS1_30default_config_static_selectorELNS0_4arch9wavefront6targetE0EEEvT1_
		.amdhsa_group_segment_fixed_size 0
		.amdhsa_private_segment_fixed_size 0
		.amdhsa_kernarg_size 120
		.amdhsa_user_sgpr_count 6
		.amdhsa_user_sgpr_private_segment_buffer 1
		.amdhsa_user_sgpr_dispatch_ptr 0
		.amdhsa_user_sgpr_queue_ptr 0
		.amdhsa_user_sgpr_kernarg_segment_ptr 1
		.amdhsa_user_sgpr_dispatch_id 0
		.amdhsa_user_sgpr_flat_scratch_init 0
		.amdhsa_user_sgpr_private_segment_size 0
		.amdhsa_wavefront_size32 1
		.amdhsa_uses_dynamic_stack 0
		.amdhsa_system_sgpr_private_segment_wavefront_offset 0
		.amdhsa_system_sgpr_workgroup_id_x 1
		.amdhsa_system_sgpr_workgroup_id_y 0
		.amdhsa_system_sgpr_workgroup_id_z 0
		.amdhsa_system_sgpr_workgroup_info 0
		.amdhsa_system_vgpr_workitem_id 0
		.amdhsa_next_free_vgpr 1
		.amdhsa_next_free_sgpr 1
		.amdhsa_reserve_vcc 0
		.amdhsa_reserve_flat_scratch 0
		.amdhsa_float_round_mode_32 0
		.amdhsa_float_round_mode_16_64 0
		.amdhsa_float_denorm_mode_32 3
		.amdhsa_float_denorm_mode_16_64 3
		.amdhsa_dx10_clamp 1
		.amdhsa_ieee_mode 1
		.amdhsa_fp16_overflow 0
		.amdhsa_workgroup_processor_mode 1
		.amdhsa_memory_ordered 1
		.amdhsa_forward_progress 1
		.amdhsa_shared_vgpr_count 0
		.amdhsa_exception_fp_ieee_invalid_op 0
		.amdhsa_exception_fp_denorm_src 0
		.amdhsa_exception_fp_ieee_div_zero 0
		.amdhsa_exception_fp_ieee_overflow 0
		.amdhsa_exception_fp_ieee_underflow 0
		.amdhsa_exception_fp_ieee_inexact 0
		.amdhsa_exception_int_div_zero 0
	.end_amdhsa_kernel
	.section	.text._ZN7rocprim17ROCPRIM_400000_NS6detail17trampoline_kernelINS0_14default_configENS1_27scan_by_key_config_selectorIj11FixedVectorIiLj2EEEEZZNS1_16scan_by_key_implILNS1_25lookback_scan_determinismE0ELb1ES3_N6thrust23THRUST_200600_302600_NS6detail15normal_iteratorINSB_10device_ptrIjEEEENSD_INSE_IS6_EEEESI_S6_NSB_4plusIvEENSB_8equal_toIvEES6_EE10hipError_tPvRmT2_T3_T4_T5_mT6_T7_P12ihipStream_tbENKUlT_T0_E_clISt17integral_constantIbLb1EES13_EEDaSY_SZ_EUlSY_E_NS1_11comp_targetILNS1_3genE10ELNS1_11target_archE1200ELNS1_3gpuE4ELNS1_3repE0EEENS1_30default_config_static_selectorELNS0_4arch9wavefront6targetE0EEEvT1_,"axG",@progbits,_ZN7rocprim17ROCPRIM_400000_NS6detail17trampoline_kernelINS0_14default_configENS1_27scan_by_key_config_selectorIj11FixedVectorIiLj2EEEEZZNS1_16scan_by_key_implILNS1_25lookback_scan_determinismE0ELb1ES3_N6thrust23THRUST_200600_302600_NS6detail15normal_iteratorINSB_10device_ptrIjEEEENSD_INSE_IS6_EEEESI_S6_NSB_4plusIvEENSB_8equal_toIvEES6_EE10hipError_tPvRmT2_T3_T4_T5_mT6_T7_P12ihipStream_tbENKUlT_T0_E_clISt17integral_constantIbLb1EES13_EEDaSY_SZ_EUlSY_E_NS1_11comp_targetILNS1_3genE10ELNS1_11target_archE1200ELNS1_3gpuE4ELNS1_3repE0EEENS1_30default_config_static_selectorELNS0_4arch9wavefront6targetE0EEEvT1_,comdat
.Lfunc_end2008:
	.size	_ZN7rocprim17ROCPRIM_400000_NS6detail17trampoline_kernelINS0_14default_configENS1_27scan_by_key_config_selectorIj11FixedVectorIiLj2EEEEZZNS1_16scan_by_key_implILNS1_25lookback_scan_determinismE0ELb1ES3_N6thrust23THRUST_200600_302600_NS6detail15normal_iteratorINSB_10device_ptrIjEEEENSD_INSE_IS6_EEEESI_S6_NSB_4plusIvEENSB_8equal_toIvEES6_EE10hipError_tPvRmT2_T3_T4_T5_mT6_T7_P12ihipStream_tbENKUlT_T0_E_clISt17integral_constantIbLb1EES13_EEDaSY_SZ_EUlSY_E_NS1_11comp_targetILNS1_3genE10ELNS1_11target_archE1200ELNS1_3gpuE4ELNS1_3repE0EEENS1_30default_config_static_selectorELNS0_4arch9wavefront6targetE0EEEvT1_, .Lfunc_end2008-_ZN7rocprim17ROCPRIM_400000_NS6detail17trampoline_kernelINS0_14default_configENS1_27scan_by_key_config_selectorIj11FixedVectorIiLj2EEEEZZNS1_16scan_by_key_implILNS1_25lookback_scan_determinismE0ELb1ES3_N6thrust23THRUST_200600_302600_NS6detail15normal_iteratorINSB_10device_ptrIjEEEENSD_INSE_IS6_EEEESI_S6_NSB_4plusIvEENSB_8equal_toIvEES6_EE10hipError_tPvRmT2_T3_T4_T5_mT6_T7_P12ihipStream_tbENKUlT_T0_E_clISt17integral_constantIbLb1EES13_EEDaSY_SZ_EUlSY_E_NS1_11comp_targetILNS1_3genE10ELNS1_11target_archE1200ELNS1_3gpuE4ELNS1_3repE0EEENS1_30default_config_static_selectorELNS0_4arch9wavefront6targetE0EEEvT1_
                                        ; -- End function
	.set _ZN7rocprim17ROCPRIM_400000_NS6detail17trampoline_kernelINS0_14default_configENS1_27scan_by_key_config_selectorIj11FixedVectorIiLj2EEEEZZNS1_16scan_by_key_implILNS1_25lookback_scan_determinismE0ELb1ES3_N6thrust23THRUST_200600_302600_NS6detail15normal_iteratorINSB_10device_ptrIjEEEENSD_INSE_IS6_EEEESI_S6_NSB_4plusIvEENSB_8equal_toIvEES6_EE10hipError_tPvRmT2_T3_T4_T5_mT6_T7_P12ihipStream_tbENKUlT_T0_E_clISt17integral_constantIbLb1EES13_EEDaSY_SZ_EUlSY_E_NS1_11comp_targetILNS1_3genE10ELNS1_11target_archE1200ELNS1_3gpuE4ELNS1_3repE0EEENS1_30default_config_static_selectorELNS0_4arch9wavefront6targetE0EEEvT1_.num_vgpr, 0
	.set _ZN7rocprim17ROCPRIM_400000_NS6detail17trampoline_kernelINS0_14default_configENS1_27scan_by_key_config_selectorIj11FixedVectorIiLj2EEEEZZNS1_16scan_by_key_implILNS1_25lookback_scan_determinismE0ELb1ES3_N6thrust23THRUST_200600_302600_NS6detail15normal_iteratorINSB_10device_ptrIjEEEENSD_INSE_IS6_EEEESI_S6_NSB_4plusIvEENSB_8equal_toIvEES6_EE10hipError_tPvRmT2_T3_T4_T5_mT6_T7_P12ihipStream_tbENKUlT_T0_E_clISt17integral_constantIbLb1EES13_EEDaSY_SZ_EUlSY_E_NS1_11comp_targetILNS1_3genE10ELNS1_11target_archE1200ELNS1_3gpuE4ELNS1_3repE0EEENS1_30default_config_static_selectorELNS0_4arch9wavefront6targetE0EEEvT1_.num_agpr, 0
	.set _ZN7rocprim17ROCPRIM_400000_NS6detail17trampoline_kernelINS0_14default_configENS1_27scan_by_key_config_selectorIj11FixedVectorIiLj2EEEEZZNS1_16scan_by_key_implILNS1_25lookback_scan_determinismE0ELb1ES3_N6thrust23THRUST_200600_302600_NS6detail15normal_iteratorINSB_10device_ptrIjEEEENSD_INSE_IS6_EEEESI_S6_NSB_4plusIvEENSB_8equal_toIvEES6_EE10hipError_tPvRmT2_T3_T4_T5_mT6_T7_P12ihipStream_tbENKUlT_T0_E_clISt17integral_constantIbLb1EES13_EEDaSY_SZ_EUlSY_E_NS1_11comp_targetILNS1_3genE10ELNS1_11target_archE1200ELNS1_3gpuE4ELNS1_3repE0EEENS1_30default_config_static_selectorELNS0_4arch9wavefront6targetE0EEEvT1_.numbered_sgpr, 0
	.set _ZN7rocprim17ROCPRIM_400000_NS6detail17trampoline_kernelINS0_14default_configENS1_27scan_by_key_config_selectorIj11FixedVectorIiLj2EEEEZZNS1_16scan_by_key_implILNS1_25lookback_scan_determinismE0ELb1ES3_N6thrust23THRUST_200600_302600_NS6detail15normal_iteratorINSB_10device_ptrIjEEEENSD_INSE_IS6_EEEESI_S6_NSB_4plusIvEENSB_8equal_toIvEES6_EE10hipError_tPvRmT2_T3_T4_T5_mT6_T7_P12ihipStream_tbENKUlT_T0_E_clISt17integral_constantIbLb1EES13_EEDaSY_SZ_EUlSY_E_NS1_11comp_targetILNS1_3genE10ELNS1_11target_archE1200ELNS1_3gpuE4ELNS1_3repE0EEENS1_30default_config_static_selectorELNS0_4arch9wavefront6targetE0EEEvT1_.num_named_barrier, 0
	.set _ZN7rocprim17ROCPRIM_400000_NS6detail17trampoline_kernelINS0_14default_configENS1_27scan_by_key_config_selectorIj11FixedVectorIiLj2EEEEZZNS1_16scan_by_key_implILNS1_25lookback_scan_determinismE0ELb1ES3_N6thrust23THRUST_200600_302600_NS6detail15normal_iteratorINSB_10device_ptrIjEEEENSD_INSE_IS6_EEEESI_S6_NSB_4plusIvEENSB_8equal_toIvEES6_EE10hipError_tPvRmT2_T3_T4_T5_mT6_T7_P12ihipStream_tbENKUlT_T0_E_clISt17integral_constantIbLb1EES13_EEDaSY_SZ_EUlSY_E_NS1_11comp_targetILNS1_3genE10ELNS1_11target_archE1200ELNS1_3gpuE4ELNS1_3repE0EEENS1_30default_config_static_selectorELNS0_4arch9wavefront6targetE0EEEvT1_.private_seg_size, 0
	.set _ZN7rocprim17ROCPRIM_400000_NS6detail17trampoline_kernelINS0_14default_configENS1_27scan_by_key_config_selectorIj11FixedVectorIiLj2EEEEZZNS1_16scan_by_key_implILNS1_25lookback_scan_determinismE0ELb1ES3_N6thrust23THRUST_200600_302600_NS6detail15normal_iteratorINSB_10device_ptrIjEEEENSD_INSE_IS6_EEEESI_S6_NSB_4plusIvEENSB_8equal_toIvEES6_EE10hipError_tPvRmT2_T3_T4_T5_mT6_T7_P12ihipStream_tbENKUlT_T0_E_clISt17integral_constantIbLb1EES13_EEDaSY_SZ_EUlSY_E_NS1_11comp_targetILNS1_3genE10ELNS1_11target_archE1200ELNS1_3gpuE4ELNS1_3repE0EEENS1_30default_config_static_selectorELNS0_4arch9wavefront6targetE0EEEvT1_.uses_vcc, 0
	.set _ZN7rocprim17ROCPRIM_400000_NS6detail17trampoline_kernelINS0_14default_configENS1_27scan_by_key_config_selectorIj11FixedVectorIiLj2EEEEZZNS1_16scan_by_key_implILNS1_25lookback_scan_determinismE0ELb1ES3_N6thrust23THRUST_200600_302600_NS6detail15normal_iteratorINSB_10device_ptrIjEEEENSD_INSE_IS6_EEEESI_S6_NSB_4plusIvEENSB_8equal_toIvEES6_EE10hipError_tPvRmT2_T3_T4_T5_mT6_T7_P12ihipStream_tbENKUlT_T0_E_clISt17integral_constantIbLb1EES13_EEDaSY_SZ_EUlSY_E_NS1_11comp_targetILNS1_3genE10ELNS1_11target_archE1200ELNS1_3gpuE4ELNS1_3repE0EEENS1_30default_config_static_selectorELNS0_4arch9wavefront6targetE0EEEvT1_.uses_flat_scratch, 0
	.set _ZN7rocprim17ROCPRIM_400000_NS6detail17trampoline_kernelINS0_14default_configENS1_27scan_by_key_config_selectorIj11FixedVectorIiLj2EEEEZZNS1_16scan_by_key_implILNS1_25lookback_scan_determinismE0ELb1ES3_N6thrust23THRUST_200600_302600_NS6detail15normal_iteratorINSB_10device_ptrIjEEEENSD_INSE_IS6_EEEESI_S6_NSB_4plusIvEENSB_8equal_toIvEES6_EE10hipError_tPvRmT2_T3_T4_T5_mT6_T7_P12ihipStream_tbENKUlT_T0_E_clISt17integral_constantIbLb1EES13_EEDaSY_SZ_EUlSY_E_NS1_11comp_targetILNS1_3genE10ELNS1_11target_archE1200ELNS1_3gpuE4ELNS1_3repE0EEENS1_30default_config_static_selectorELNS0_4arch9wavefront6targetE0EEEvT1_.has_dyn_sized_stack, 0
	.set _ZN7rocprim17ROCPRIM_400000_NS6detail17trampoline_kernelINS0_14default_configENS1_27scan_by_key_config_selectorIj11FixedVectorIiLj2EEEEZZNS1_16scan_by_key_implILNS1_25lookback_scan_determinismE0ELb1ES3_N6thrust23THRUST_200600_302600_NS6detail15normal_iteratorINSB_10device_ptrIjEEEENSD_INSE_IS6_EEEESI_S6_NSB_4plusIvEENSB_8equal_toIvEES6_EE10hipError_tPvRmT2_T3_T4_T5_mT6_T7_P12ihipStream_tbENKUlT_T0_E_clISt17integral_constantIbLb1EES13_EEDaSY_SZ_EUlSY_E_NS1_11comp_targetILNS1_3genE10ELNS1_11target_archE1200ELNS1_3gpuE4ELNS1_3repE0EEENS1_30default_config_static_selectorELNS0_4arch9wavefront6targetE0EEEvT1_.has_recursion, 0
	.set _ZN7rocprim17ROCPRIM_400000_NS6detail17trampoline_kernelINS0_14default_configENS1_27scan_by_key_config_selectorIj11FixedVectorIiLj2EEEEZZNS1_16scan_by_key_implILNS1_25lookback_scan_determinismE0ELb1ES3_N6thrust23THRUST_200600_302600_NS6detail15normal_iteratorINSB_10device_ptrIjEEEENSD_INSE_IS6_EEEESI_S6_NSB_4plusIvEENSB_8equal_toIvEES6_EE10hipError_tPvRmT2_T3_T4_T5_mT6_T7_P12ihipStream_tbENKUlT_T0_E_clISt17integral_constantIbLb1EES13_EEDaSY_SZ_EUlSY_E_NS1_11comp_targetILNS1_3genE10ELNS1_11target_archE1200ELNS1_3gpuE4ELNS1_3repE0EEENS1_30default_config_static_selectorELNS0_4arch9wavefront6targetE0EEEvT1_.has_indirect_call, 0
	.section	.AMDGPU.csdata,"",@progbits
; Kernel info:
; codeLenInByte = 0
; TotalNumSgprs: 0
; NumVgprs: 0
; ScratchSize: 0
; MemoryBound: 0
; FloatMode: 240
; IeeeMode: 1
; LDSByteSize: 0 bytes/workgroup (compile time only)
; SGPRBlocks: 0
; VGPRBlocks: 0
; NumSGPRsForWavesPerEU: 1
; NumVGPRsForWavesPerEU: 1
; Occupancy: 16
; WaveLimiterHint : 0
; COMPUTE_PGM_RSRC2:SCRATCH_EN: 0
; COMPUTE_PGM_RSRC2:USER_SGPR: 6
; COMPUTE_PGM_RSRC2:TRAP_HANDLER: 0
; COMPUTE_PGM_RSRC2:TGID_X_EN: 1
; COMPUTE_PGM_RSRC2:TGID_Y_EN: 0
; COMPUTE_PGM_RSRC2:TGID_Z_EN: 0
; COMPUTE_PGM_RSRC2:TIDIG_COMP_CNT: 0
	.section	.text._ZN7rocprim17ROCPRIM_400000_NS6detail17trampoline_kernelINS0_14default_configENS1_27scan_by_key_config_selectorIj11FixedVectorIiLj2EEEEZZNS1_16scan_by_key_implILNS1_25lookback_scan_determinismE0ELb1ES3_N6thrust23THRUST_200600_302600_NS6detail15normal_iteratorINSB_10device_ptrIjEEEENSD_INSE_IS6_EEEESI_S6_NSB_4plusIvEENSB_8equal_toIvEES6_EE10hipError_tPvRmT2_T3_T4_T5_mT6_T7_P12ihipStream_tbENKUlT_T0_E_clISt17integral_constantIbLb1EES13_EEDaSY_SZ_EUlSY_E_NS1_11comp_targetILNS1_3genE9ELNS1_11target_archE1100ELNS1_3gpuE3ELNS1_3repE0EEENS1_30default_config_static_selectorELNS0_4arch9wavefront6targetE0EEEvT1_,"axG",@progbits,_ZN7rocprim17ROCPRIM_400000_NS6detail17trampoline_kernelINS0_14default_configENS1_27scan_by_key_config_selectorIj11FixedVectorIiLj2EEEEZZNS1_16scan_by_key_implILNS1_25lookback_scan_determinismE0ELb1ES3_N6thrust23THRUST_200600_302600_NS6detail15normal_iteratorINSB_10device_ptrIjEEEENSD_INSE_IS6_EEEESI_S6_NSB_4plusIvEENSB_8equal_toIvEES6_EE10hipError_tPvRmT2_T3_T4_T5_mT6_T7_P12ihipStream_tbENKUlT_T0_E_clISt17integral_constantIbLb1EES13_EEDaSY_SZ_EUlSY_E_NS1_11comp_targetILNS1_3genE9ELNS1_11target_archE1100ELNS1_3gpuE3ELNS1_3repE0EEENS1_30default_config_static_selectorELNS0_4arch9wavefront6targetE0EEEvT1_,comdat
	.protected	_ZN7rocprim17ROCPRIM_400000_NS6detail17trampoline_kernelINS0_14default_configENS1_27scan_by_key_config_selectorIj11FixedVectorIiLj2EEEEZZNS1_16scan_by_key_implILNS1_25lookback_scan_determinismE0ELb1ES3_N6thrust23THRUST_200600_302600_NS6detail15normal_iteratorINSB_10device_ptrIjEEEENSD_INSE_IS6_EEEESI_S6_NSB_4plusIvEENSB_8equal_toIvEES6_EE10hipError_tPvRmT2_T3_T4_T5_mT6_T7_P12ihipStream_tbENKUlT_T0_E_clISt17integral_constantIbLb1EES13_EEDaSY_SZ_EUlSY_E_NS1_11comp_targetILNS1_3genE9ELNS1_11target_archE1100ELNS1_3gpuE3ELNS1_3repE0EEENS1_30default_config_static_selectorELNS0_4arch9wavefront6targetE0EEEvT1_ ; -- Begin function _ZN7rocprim17ROCPRIM_400000_NS6detail17trampoline_kernelINS0_14default_configENS1_27scan_by_key_config_selectorIj11FixedVectorIiLj2EEEEZZNS1_16scan_by_key_implILNS1_25lookback_scan_determinismE0ELb1ES3_N6thrust23THRUST_200600_302600_NS6detail15normal_iteratorINSB_10device_ptrIjEEEENSD_INSE_IS6_EEEESI_S6_NSB_4plusIvEENSB_8equal_toIvEES6_EE10hipError_tPvRmT2_T3_T4_T5_mT6_T7_P12ihipStream_tbENKUlT_T0_E_clISt17integral_constantIbLb1EES13_EEDaSY_SZ_EUlSY_E_NS1_11comp_targetILNS1_3genE9ELNS1_11target_archE1100ELNS1_3gpuE3ELNS1_3repE0EEENS1_30default_config_static_selectorELNS0_4arch9wavefront6targetE0EEEvT1_
	.globl	_ZN7rocprim17ROCPRIM_400000_NS6detail17trampoline_kernelINS0_14default_configENS1_27scan_by_key_config_selectorIj11FixedVectorIiLj2EEEEZZNS1_16scan_by_key_implILNS1_25lookback_scan_determinismE0ELb1ES3_N6thrust23THRUST_200600_302600_NS6detail15normal_iteratorINSB_10device_ptrIjEEEENSD_INSE_IS6_EEEESI_S6_NSB_4plusIvEENSB_8equal_toIvEES6_EE10hipError_tPvRmT2_T3_T4_T5_mT6_T7_P12ihipStream_tbENKUlT_T0_E_clISt17integral_constantIbLb1EES13_EEDaSY_SZ_EUlSY_E_NS1_11comp_targetILNS1_3genE9ELNS1_11target_archE1100ELNS1_3gpuE3ELNS1_3repE0EEENS1_30default_config_static_selectorELNS0_4arch9wavefront6targetE0EEEvT1_
	.p2align	8
	.type	_ZN7rocprim17ROCPRIM_400000_NS6detail17trampoline_kernelINS0_14default_configENS1_27scan_by_key_config_selectorIj11FixedVectorIiLj2EEEEZZNS1_16scan_by_key_implILNS1_25lookback_scan_determinismE0ELb1ES3_N6thrust23THRUST_200600_302600_NS6detail15normal_iteratorINSB_10device_ptrIjEEEENSD_INSE_IS6_EEEESI_S6_NSB_4plusIvEENSB_8equal_toIvEES6_EE10hipError_tPvRmT2_T3_T4_T5_mT6_T7_P12ihipStream_tbENKUlT_T0_E_clISt17integral_constantIbLb1EES13_EEDaSY_SZ_EUlSY_E_NS1_11comp_targetILNS1_3genE9ELNS1_11target_archE1100ELNS1_3gpuE3ELNS1_3repE0EEENS1_30default_config_static_selectorELNS0_4arch9wavefront6targetE0EEEvT1_,@function
_ZN7rocprim17ROCPRIM_400000_NS6detail17trampoline_kernelINS0_14default_configENS1_27scan_by_key_config_selectorIj11FixedVectorIiLj2EEEEZZNS1_16scan_by_key_implILNS1_25lookback_scan_determinismE0ELb1ES3_N6thrust23THRUST_200600_302600_NS6detail15normal_iteratorINSB_10device_ptrIjEEEENSD_INSE_IS6_EEEESI_S6_NSB_4plusIvEENSB_8equal_toIvEES6_EE10hipError_tPvRmT2_T3_T4_T5_mT6_T7_P12ihipStream_tbENKUlT_T0_E_clISt17integral_constantIbLb1EES13_EEDaSY_SZ_EUlSY_E_NS1_11comp_targetILNS1_3genE9ELNS1_11target_archE1100ELNS1_3gpuE3ELNS1_3repE0EEENS1_30default_config_static_selectorELNS0_4arch9wavefront6targetE0EEEvT1_: ; @_ZN7rocprim17ROCPRIM_400000_NS6detail17trampoline_kernelINS0_14default_configENS1_27scan_by_key_config_selectorIj11FixedVectorIiLj2EEEEZZNS1_16scan_by_key_implILNS1_25lookback_scan_determinismE0ELb1ES3_N6thrust23THRUST_200600_302600_NS6detail15normal_iteratorINSB_10device_ptrIjEEEENSD_INSE_IS6_EEEESI_S6_NSB_4plusIvEENSB_8equal_toIvEES6_EE10hipError_tPvRmT2_T3_T4_T5_mT6_T7_P12ihipStream_tbENKUlT_T0_E_clISt17integral_constantIbLb1EES13_EEDaSY_SZ_EUlSY_E_NS1_11comp_targetILNS1_3genE9ELNS1_11target_archE1100ELNS1_3gpuE3ELNS1_3repE0EEENS1_30default_config_static_selectorELNS0_4arch9wavefront6targetE0EEEvT1_
; %bb.0:
	.section	.rodata,"a",@progbits
	.p2align	6, 0x0
	.amdhsa_kernel _ZN7rocprim17ROCPRIM_400000_NS6detail17trampoline_kernelINS0_14default_configENS1_27scan_by_key_config_selectorIj11FixedVectorIiLj2EEEEZZNS1_16scan_by_key_implILNS1_25lookback_scan_determinismE0ELb1ES3_N6thrust23THRUST_200600_302600_NS6detail15normal_iteratorINSB_10device_ptrIjEEEENSD_INSE_IS6_EEEESI_S6_NSB_4plusIvEENSB_8equal_toIvEES6_EE10hipError_tPvRmT2_T3_T4_T5_mT6_T7_P12ihipStream_tbENKUlT_T0_E_clISt17integral_constantIbLb1EES13_EEDaSY_SZ_EUlSY_E_NS1_11comp_targetILNS1_3genE9ELNS1_11target_archE1100ELNS1_3gpuE3ELNS1_3repE0EEENS1_30default_config_static_selectorELNS0_4arch9wavefront6targetE0EEEvT1_
		.amdhsa_group_segment_fixed_size 0
		.amdhsa_private_segment_fixed_size 0
		.amdhsa_kernarg_size 120
		.amdhsa_user_sgpr_count 6
		.amdhsa_user_sgpr_private_segment_buffer 1
		.amdhsa_user_sgpr_dispatch_ptr 0
		.amdhsa_user_sgpr_queue_ptr 0
		.amdhsa_user_sgpr_kernarg_segment_ptr 1
		.amdhsa_user_sgpr_dispatch_id 0
		.amdhsa_user_sgpr_flat_scratch_init 0
		.amdhsa_user_sgpr_private_segment_size 0
		.amdhsa_wavefront_size32 1
		.amdhsa_uses_dynamic_stack 0
		.amdhsa_system_sgpr_private_segment_wavefront_offset 0
		.amdhsa_system_sgpr_workgroup_id_x 1
		.amdhsa_system_sgpr_workgroup_id_y 0
		.amdhsa_system_sgpr_workgroup_id_z 0
		.amdhsa_system_sgpr_workgroup_info 0
		.amdhsa_system_vgpr_workitem_id 0
		.amdhsa_next_free_vgpr 1
		.amdhsa_next_free_sgpr 1
		.amdhsa_reserve_vcc 0
		.amdhsa_reserve_flat_scratch 0
		.amdhsa_float_round_mode_32 0
		.amdhsa_float_round_mode_16_64 0
		.amdhsa_float_denorm_mode_32 3
		.amdhsa_float_denorm_mode_16_64 3
		.amdhsa_dx10_clamp 1
		.amdhsa_ieee_mode 1
		.amdhsa_fp16_overflow 0
		.amdhsa_workgroup_processor_mode 1
		.amdhsa_memory_ordered 1
		.amdhsa_forward_progress 1
		.amdhsa_shared_vgpr_count 0
		.amdhsa_exception_fp_ieee_invalid_op 0
		.amdhsa_exception_fp_denorm_src 0
		.amdhsa_exception_fp_ieee_div_zero 0
		.amdhsa_exception_fp_ieee_overflow 0
		.amdhsa_exception_fp_ieee_underflow 0
		.amdhsa_exception_fp_ieee_inexact 0
		.amdhsa_exception_int_div_zero 0
	.end_amdhsa_kernel
	.section	.text._ZN7rocprim17ROCPRIM_400000_NS6detail17trampoline_kernelINS0_14default_configENS1_27scan_by_key_config_selectorIj11FixedVectorIiLj2EEEEZZNS1_16scan_by_key_implILNS1_25lookback_scan_determinismE0ELb1ES3_N6thrust23THRUST_200600_302600_NS6detail15normal_iteratorINSB_10device_ptrIjEEEENSD_INSE_IS6_EEEESI_S6_NSB_4plusIvEENSB_8equal_toIvEES6_EE10hipError_tPvRmT2_T3_T4_T5_mT6_T7_P12ihipStream_tbENKUlT_T0_E_clISt17integral_constantIbLb1EES13_EEDaSY_SZ_EUlSY_E_NS1_11comp_targetILNS1_3genE9ELNS1_11target_archE1100ELNS1_3gpuE3ELNS1_3repE0EEENS1_30default_config_static_selectorELNS0_4arch9wavefront6targetE0EEEvT1_,"axG",@progbits,_ZN7rocprim17ROCPRIM_400000_NS6detail17trampoline_kernelINS0_14default_configENS1_27scan_by_key_config_selectorIj11FixedVectorIiLj2EEEEZZNS1_16scan_by_key_implILNS1_25lookback_scan_determinismE0ELb1ES3_N6thrust23THRUST_200600_302600_NS6detail15normal_iteratorINSB_10device_ptrIjEEEENSD_INSE_IS6_EEEESI_S6_NSB_4plusIvEENSB_8equal_toIvEES6_EE10hipError_tPvRmT2_T3_T4_T5_mT6_T7_P12ihipStream_tbENKUlT_T0_E_clISt17integral_constantIbLb1EES13_EEDaSY_SZ_EUlSY_E_NS1_11comp_targetILNS1_3genE9ELNS1_11target_archE1100ELNS1_3gpuE3ELNS1_3repE0EEENS1_30default_config_static_selectorELNS0_4arch9wavefront6targetE0EEEvT1_,comdat
.Lfunc_end2009:
	.size	_ZN7rocprim17ROCPRIM_400000_NS6detail17trampoline_kernelINS0_14default_configENS1_27scan_by_key_config_selectorIj11FixedVectorIiLj2EEEEZZNS1_16scan_by_key_implILNS1_25lookback_scan_determinismE0ELb1ES3_N6thrust23THRUST_200600_302600_NS6detail15normal_iteratorINSB_10device_ptrIjEEEENSD_INSE_IS6_EEEESI_S6_NSB_4plusIvEENSB_8equal_toIvEES6_EE10hipError_tPvRmT2_T3_T4_T5_mT6_T7_P12ihipStream_tbENKUlT_T0_E_clISt17integral_constantIbLb1EES13_EEDaSY_SZ_EUlSY_E_NS1_11comp_targetILNS1_3genE9ELNS1_11target_archE1100ELNS1_3gpuE3ELNS1_3repE0EEENS1_30default_config_static_selectorELNS0_4arch9wavefront6targetE0EEEvT1_, .Lfunc_end2009-_ZN7rocprim17ROCPRIM_400000_NS6detail17trampoline_kernelINS0_14default_configENS1_27scan_by_key_config_selectorIj11FixedVectorIiLj2EEEEZZNS1_16scan_by_key_implILNS1_25lookback_scan_determinismE0ELb1ES3_N6thrust23THRUST_200600_302600_NS6detail15normal_iteratorINSB_10device_ptrIjEEEENSD_INSE_IS6_EEEESI_S6_NSB_4plusIvEENSB_8equal_toIvEES6_EE10hipError_tPvRmT2_T3_T4_T5_mT6_T7_P12ihipStream_tbENKUlT_T0_E_clISt17integral_constantIbLb1EES13_EEDaSY_SZ_EUlSY_E_NS1_11comp_targetILNS1_3genE9ELNS1_11target_archE1100ELNS1_3gpuE3ELNS1_3repE0EEENS1_30default_config_static_selectorELNS0_4arch9wavefront6targetE0EEEvT1_
                                        ; -- End function
	.set _ZN7rocprim17ROCPRIM_400000_NS6detail17trampoline_kernelINS0_14default_configENS1_27scan_by_key_config_selectorIj11FixedVectorIiLj2EEEEZZNS1_16scan_by_key_implILNS1_25lookback_scan_determinismE0ELb1ES3_N6thrust23THRUST_200600_302600_NS6detail15normal_iteratorINSB_10device_ptrIjEEEENSD_INSE_IS6_EEEESI_S6_NSB_4plusIvEENSB_8equal_toIvEES6_EE10hipError_tPvRmT2_T3_T4_T5_mT6_T7_P12ihipStream_tbENKUlT_T0_E_clISt17integral_constantIbLb1EES13_EEDaSY_SZ_EUlSY_E_NS1_11comp_targetILNS1_3genE9ELNS1_11target_archE1100ELNS1_3gpuE3ELNS1_3repE0EEENS1_30default_config_static_selectorELNS0_4arch9wavefront6targetE0EEEvT1_.num_vgpr, 0
	.set _ZN7rocprim17ROCPRIM_400000_NS6detail17trampoline_kernelINS0_14default_configENS1_27scan_by_key_config_selectorIj11FixedVectorIiLj2EEEEZZNS1_16scan_by_key_implILNS1_25lookback_scan_determinismE0ELb1ES3_N6thrust23THRUST_200600_302600_NS6detail15normal_iteratorINSB_10device_ptrIjEEEENSD_INSE_IS6_EEEESI_S6_NSB_4plusIvEENSB_8equal_toIvEES6_EE10hipError_tPvRmT2_T3_T4_T5_mT6_T7_P12ihipStream_tbENKUlT_T0_E_clISt17integral_constantIbLb1EES13_EEDaSY_SZ_EUlSY_E_NS1_11comp_targetILNS1_3genE9ELNS1_11target_archE1100ELNS1_3gpuE3ELNS1_3repE0EEENS1_30default_config_static_selectorELNS0_4arch9wavefront6targetE0EEEvT1_.num_agpr, 0
	.set _ZN7rocprim17ROCPRIM_400000_NS6detail17trampoline_kernelINS0_14default_configENS1_27scan_by_key_config_selectorIj11FixedVectorIiLj2EEEEZZNS1_16scan_by_key_implILNS1_25lookback_scan_determinismE0ELb1ES3_N6thrust23THRUST_200600_302600_NS6detail15normal_iteratorINSB_10device_ptrIjEEEENSD_INSE_IS6_EEEESI_S6_NSB_4plusIvEENSB_8equal_toIvEES6_EE10hipError_tPvRmT2_T3_T4_T5_mT6_T7_P12ihipStream_tbENKUlT_T0_E_clISt17integral_constantIbLb1EES13_EEDaSY_SZ_EUlSY_E_NS1_11comp_targetILNS1_3genE9ELNS1_11target_archE1100ELNS1_3gpuE3ELNS1_3repE0EEENS1_30default_config_static_selectorELNS0_4arch9wavefront6targetE0EEEvT1_.numbered_sgpr, 0
	.set _ZN7rocprim17ROCPRIM_400000_NS6detail17trampoline_kernelINS0_14default_configENS1_27scan_by_key_config_selectorIj11FixedVectorIiLj2EEEEZZNS1_16scan_by_key_implILNS1_25lookback_scan_determinismE0ELb1ES3_N6thrust23THRUST_200600_302600_NS6detail15normal_iteratorINSB_10device_ptrIjEEEENSD_INSE_IS6_EEEESI_S6_NSB_4plusIvEENSB_8equal_toIvEES6_EE10hipError_tPvRmT2_T3_T4_T5_mT6_T7_P12ihipStream_tbENKUlT_T0_E_clISt17integral_constantIbLb1EES13_EEDaSY_SZ_EUlSY_E_NS1_11comp_targetILNS1_3genE9ELNS1_11target_archE1100ELNS1_3gpuE3ELNS1_3repE0EEENS1_30default_config_static_selectorELNS0_4arch9wavefront6targetE0EEEvT1_.num_named_barrier, 0
	.set _ZN7rocprim17ROCPRIM_400000_NS6detail17trampoline_kernelINS0_14default_configENS1_27scan_by_key_config_selectorIj11FixedVectorIiLj2EEEEZZNS1_16scan_by_key_implILNS1_25lookback_scan_determinismE0ELb1ES3_N6thrust23THRUST_200600_302600_NS6detail15normal_iteratorINSB_10device_ptrIjEEEENSD_INSE_IS6_EEEESI_S6_NSB_4plusIvEENSB_8equal_toIvEES6_EE10hipError_tPvRmT2_T3_T4_T5_mT6_T7_P12ihipStream_tbENKUlT_T0_E_clISt17integral_constantIbLb1EES13_EEDaSY_SZ_EUlSY_E_NS1_11comp_targetILNS1_3genE9ELNS1_11target_archE1100ELNS1_3gpuE3ELNS1_3repE0EEENS1_30default_config_static_selectorELNS0_4arch9wavefront6targetE0EEEvT1_.private_seg_size, 0
	.set _ZN7rocprim17ROCPRIM_400000_NS6detail17trampoline_kernelINS0_14default_configENS1_27scan_by_key_config_selectorIj11FixedVectorIiLj2EEEEZZNS1_16scan_by_key_implILNS1_25lookback_scan_determinismE0ELb1ES3_N6thrust23THRUST_200600_302600_NS6detail15normal_iteratorINSB_10device_ptrIjEEEENSD_INSE_IS6_EEEESI_S6_NSB_4plusIvEENSB_8equal_toIvEES6_EE10hipError_tPvRmT2_T3_T4_T5_mT6_T7_P12ihipStream_tbENKUlT_T0_E_clISt17integral_constantIbLb1EES13_EEDaSY_SZ_EUlSY_E_NS1_11comp_targetILNS1_3genE9ELNS1_11target_archE1100ELNS1_3gpuE3ELNS1_3repE0EEENS1_30default_config_static_selectorELNS0_4arch9wavefront6targetE0EEEvT1_.uses_vcc, 0
	.set _ZN7rocprim17ROCPRIM_400000_NS6detail17trampoline_kernelINS0_14default_configENS1_27scan_by_key_config_selectorIj11FixedVectorIiLj2EEEEZZNS1_16scan_by_key_implILNS1_25lookback_scan_determinismE0ELb1ES3_N6thrust23THRUST_200600_302600_NS6detail15normal_iteratorINSB_10device_ptrIjEEEENSD_INSE_IS6_EEEESI_S6_NSB_4plusIvEENSB_8equal_toIvEES6_EE10hipError_tPvRmT2_T3_T4_T5_mT6_T7_P12ihipStream_tbENKUlT_T0_E_clISt17integral_constantIbLb1EES13_EEDaSY_SZ_EUlSY_E_NS1_11comp_targetILNS1_3genE9ELNS1_11target_archE1100ELNS1_3gpuE3ELNS1_3repE0EEENS1_30default_config_static_selectorELNS0_4arch9wavefront6targetE0EEEvT1_.uses_flat_scratch, 0
	.set _ZN7rocprim17ROCPRIM_400000_NS6detail17trampoline_kernelINS0_14default_configENS1_27scan_by_key_config_selectorIj11FixedVectorIiLj2EEEEZZNS1_16scan_by_key_implILNS1_25lookback_scan_determinismE0ELb1ES3_N6thrust23THRUST_200600_302600_NS6detail15normal_iteratorINSB_10device_ptrIjEEEENSD_INSE_IS6_EEEESI_S6_NSB_4plusIvEENSB_8equal_toIvEES6_EE10hipError_tPvRmT2_T3_T4_T5_mT6_T7_P12ihipStream_tbENKUlT_T0_E_clISt17integral_constantIbLb1EES13_EEDaSY_SZ_EUlSY_E_NS1_11comp_targetILNS1_3genE9ELNS1_11target_archE1100ELNS1_3gpuE3ELNS1_3repE0EEENS1_30default_config_static_selectorELNS0_4arch9wavefront6targetE0EEEvT1_.has_dyn_sized_stack, 0
	.set _ZN7rocprim17ROCPRIM_400000_NS6detail17trampoline_kernelINS0_14default_configENS1_27scan_by_key_config_selectorIj11FixedVectorIiLj2EEEEZZNS1_16scan_by_key_implILNS1_25lookback_scan_determinismE0ELb1ES3_N6thrust23THRUST_200600_302600_NS6detail15normal_iteratorINSB_10device_ptrIjEEEENSD_INSE_IS6_EEEESI_S6_NSB_4plusIvEENSB_8equal_toIvEES6_EE10hipError_tPvRmT2_T3_T4_T5_mT6_T7_P12ihipStream_tbENKUlT_T0_E_clISt17integral_constantIbLb1EES13_EEDaSY_SZ_EUlSY_E_NS1_11comp_targetILNS1_3genE9ELNS1_11target_archE1100ELNS1_3gpuE3ELNS1_3repE0EEENS1_30default_config_static_selectorELNS0_4arch9wavefront6targetE0EEEvT1_.has_recursion, 0
	.set _ZN7rocprim17ROCPRIM_400000_NS6detail17trampoline_kernelINS0_14default_configENS1_27scan_by_key_config_selectorIj11FixedVectorIiLj2EEEEZZNS1_16scan_by_key_implILNS1_25lookback_scan_determinismE0ELb1ES3_N6thrust23THRUST_200600_302600_NS6detail15normal_iteratorINSB_10device_ptrIjEEEENSD_INSE_IS6_EEEESI_S6_NSB_4plusIvEENSB_8equal_toIvEES6_EE10hipError_tPvRmT2_T3_T4_T5_mT6_T7_P12ihipStream_tbENKUlT_T0_E_clISt17integral_constantIbLb1EES13_EEDaSY_SZ_EUlSY_E_NS1_11comp_targetILNS1_3genE9ELNS1_11target_archE1100ELNS1_3gpuE3ELNS1_3repE0EEENS1_30default_config_static_selectorELNS0_4arch9wavefront6targetE0EEEvT1_.has_indirect_call, 0
	.section	.AMDGPU.csdata,"",@progbits
; Kernel info:
; codeLenInByte = 0
; TotalNumSgprs: 0
; NumVgprs: 0
; ScratchSize: 0
; MemoryBound: 0
; FloatMode: 240
; IeeeMode: 1
; LDSByteSize: 0 bytes/workgroup (compile time only)
; SGPRBlocks: 0
; VGPRBlocks: 0
; NumSGPRsForWavesPerEU: 1
; NumVGPRsForWavesPerEU: 1
; Occupancy: 16
; WaveLimiterHint : 0
; COMPUTE_PGM_RSRC2:SCRATCH_EN: 0
; COMPUTE_PGM_RSRC2:USER_SGPR: 6
; COMPUTE_PGM_RSRC2:TRAP_HANDLER: 0
; COMPUTE_PGM_RSRC2:TGID_X_EN: 1
; COMPUTE_PGM_RSRC2:TGID_Y_EN: 0
; COMPUTE_PGM_RSRC2:TGID_Z_EN: 0
; COMPUTE_PGM_RSRC2:TIDIG_COMP_CNT: 0
	.section	.text._ZN7rocprim17ROCPRIM_400000_NS6detail17trampoline_kernelINS0_14default_configENS1_27scan_by_key_config_selectorIj11FixedVectorIiLj2EEEEZZNS1_16scan_by_key_implILNS1_25lookback_scan_determinismE0ELb1ES3_N6thrust23THRUST_200600_302600_NS6detail15normal_iteratorINSB_10device_ptrIjEEEENSD_INSE_IS6_EEEESI_S6_NSB_4plusIvEENSB_8equal_toIvEES6_EE10hipError_tPvRmT2_T3_T4_T5_mT6_T7_P12ihipStream_tbENKUlT_T0_E_clISt17integral_constantIbLb1EES13_EEDaSY_SZ_EUlSY_E_NS1_11comp_targetILNS1_3genE8ELNS1_11target_archE1030ELNS1_3gpuE2ELNS1_3repE0EEENS1_30default_config_static_selectorELNS0_4arch9wavefront6targetE0EEEvT1_,"axG",@progbits,_ZN7rocprim17ROCPRIM_400000_NS6detail17trampoline_kernelINS0_14default_configENS1_27scan_by_key_config_selectorIj11FixedVectorIiLj2EEEEZZNS1_16scan_by_key_implILNS1_25lookback_scan_determinismE0ELb1ES3_N6thrust23THRUST_200600_302600_NS6detail15normal_iteratorINSB_10device_ptrIjEEEENSD_INSE_IS6_EEEESI_S6_NSB_4plusIvEENSB_8equal_toIvEES6_EE10hipError_tPvRmT2_T3_T4_T5_mT6_T7_P12ihipStream_tbENKUlT_T0_E_clISt17integral_constantIbLb1EES13_EEDaSY_SZ_EUlSY_E_NS1_11comp_targetILNS1_3genE8ELNS1_11target_archE1030ELNS1_3gpuE2ELNS1_3repE0EEENS1_30default_config_static_selectorELNS0_4arch9wavefront6targetE0EEEvT1_,comdat
	.protected	_ZN7rocprim17ROCPRIM_400000_NS6detail17trampoline_kernelINS0_14default_configENS1_27scan_by_key_config_selectorIj11FixedVectorIiLj2EEEEZZNS1_16scan_by_key_implILNS1_25lookback_scan_determinismE0ELb1ES3_N6thrust23THRUST_200600_302600_NS6detail15normal_iteratorINSB_10device_ptrIjEEEENSD_INSE_IS6_EEEESI_S6_NSB_4plusIvEENSB_8equal_toIvEES6_EE10hipError_tPvRmT2_T3_T4_T5_mT6_T7_P12ihipStream_tbENKUlT_T0_E_clISt17integral_constantIbLb1EES13_EEDaSY_SZ_EUlSY_E_NS1_11comp_targetILNS1_3genE8ELNS1_11target_archE1030ELNS1_3gpuE2ELNS1_3repE0EEENS1_30default_config_static_selectorELNS0_4arch9wavefront6targetE0EEEvT1_ ; -- Begin function _ZN7rocprim17ROCPRIM_400000_NS6detail17trampoline_kernelINS0_14default_configENS1_27scan_by_key_config_selectorIj11FixedVectorIiLj2EEEEZZNS1_16scan_by_key_implILNS1_25lookback_scan_determinismE0ELb1ES3_N6thrust23THRUST_200600_302600_NS6detail15normal_iteratorINSB_10device_ptrIjEEEENSD_INSE_IS6_EEEESI_S6_NSB_4plusIvEENSB_8equal_toIvEES6_EE10hipError_tPvRmT2_T3_T4_T5_mT6_T7_P12ihipStream_tbENKUlT_T0_E_clISt17integral_constantIbLb1EES13_EEDaSY_SZ_EUlSY_E_NS1_11comp_targetILNS1_3genE8ELNS1_11target_archE1030ELNS1_3gpuE2ELNS1_3repE0EEENS1_30default_config_static_selectorELNS0_4arch9wavefront6targetE0EEEvT1_
	.globl	_ZN7rocprim17ROCPRIM_400000_NS6detail17trampoline_kernelINS0_14default_configENS1_27scan_by_key_config_selectorIj11FixedVectorIiLj2EEEEZZNS1_16scan_by_key_implILNS1_25lookback_scan_determinismE0ELb1ES3_N6thrust23THRUST_200600_302600_NS6detail15normal_iteratorINSB_10device_ptrIjEEEENSD_INSE_IS6_EEEESI_S6_NSB_4plusIvEENSB_8equal_toIvEES6_EE10hipError_tPvRmT2_T3_T4_T5_mT6_T7_P12ihipStream_tbENKUlT_T0_E_clISt17integral_constantIbLb1EES13_EEDaSY_SZ_EUlSY_E_NS1_11comp_targetILNS1_3genE8ELNS1_11target_archE1030ELNS1_3gpuE2ELNS1_3repE0EEENS1_30default_config_static_selectorELNS0_4arch9wavefront6targetE0EEEvT1_
	.p2align	8
	.type	_ZN7rocprim17ROCPRIM_400000_NS6detail17trampoline_kernelINS0_14default_configENS1_27scan_by_key_config_selectorIj11FixedVectorIiLj2EEEEZZNS1_16scan_by_key_implILNS1_25lookback_scan_determinismE0ELb1ES3_N6thrust23THRUST_200600_302600_NS6detail15normal_iteratorINSB_10device_ptrIjEEEENSD_INSE_IS6_EEEESI_S6_NSB_4plusIvEENSB_8equal_toIvEES6_EE10hipError_tPvRmT2_T3_T4_T5_mT6_T7_P12ihipStream_tbENKUlT_T0_E_clISt17integral_constantIbLb1EES13_EEDaSY_SZ_EUlSY_E_NS1_11comp_targetILNS1_3genE8ELNS1_11target_archE1030ELNS1_3gpuE2ELNS1_3repE0EEENS1_30default_config_static_selectorELNS0_4arch9wavefront6targetE0EEEvT1_,@function
_ZN7rocprim17ROCPRIM_400000_NS6detail17trampoline_kernelINS0_14default_configENS1_27scan_by_key_config_selectorIj11FixedVectorIiLj2EEEEZZNS1_16scan_by_key_implILNS1_25lookback_scan_determinismE0ELb1ES3_N6thrust23THRUST_200600_302600_NS6detail15normal_iteratorINSB_10device_ptrIjEEEENSD_INSE_IS6_EEEESI_S6_NSB_4plusIvEENSB_8equal_toIvEES6_EE10hipError_tPvRmT2_T3_T4_T5_mT6_T7_P12ihipStream_tbENKUlT_T0_E_clISt17integral_constantIbLb1EES13_EEDaSY_SZ_EUlSY_E_NS1_11comp_targetILNS1_3genE8ELNS1_11target_archE1030ELNS1_3gpuE2ELNS1_3repE0EEENS1_30default_config_static_selectorELNS0_4arch9wavefront6targetE0EEEvT1_: ; @_ZN7rocprim17ROCPRIM_400000_NS6detail17trampoline_kernelINS0_14default_configENS1_27scan_by_key_config_selectorIj11FixedVectorIiLj2EEEEZZNS1_16scan_by_key_implILNS1_25lookback_scan_determinismE0ELb1ES3_N6thrust23THRUST_200600_302600_NS6detail15normal_iteratorINSB_10device_ptrIjEEEENSD_INSE_IS6_EEEESI_S6_NSB_4plusIvEENSB_8equal_toIvEES6_EE10hipError_tPvRmT2_T3_T4_T5_mT6_T7_P12ihipStream_tbENKUlT_T0_E_clISt17integral_constantIbLb1EES13_EEDaSY_SZ_EUlSY_E_NS1_11comp_targetILNS1_3genE8ELNS1_11target_archE1030ELNS1_3gpuE2ELNS1_3repE0EEENS1_30default_config_static_selectorELNS0_4arch9wavefront6targetE0EEEvT1_
; %bb.0:
	s_endpgm
	.section	.rodata,"a",@progbits
	.p2align	6, 0x0
	.amdhsa_kernel _ZN7rocprim17ROCPRIM_400000_NS6detail17trampoline_kernelINS0_14default_configENS1_27scan_by_key_config_selectorIj11FixedVectorIiLj2EEEEZZNS1_16scan_by_key_implILNS1_25lookback_scan_determinismE0ELb1ES3_N6thrust23THRUST_200600_302600_NS6detail15normal_iteratorINSB_10device_ptrIjEEEENSD_INSE_IS6_EEEESI_S6_NSB_4plusIvEENSB_8equal_toIvEES6_EE10hipError_tPvRmT2_T3_T4_T5_mT6_T7_P12ihipStream_tbENKUlT_T0_E_clISt17integral_constantIbLb1EES13_EEDaSY_SZ_EUlSY_E_NS1_11comp_targetILNS1_3genE8ELNS1_11target_archE1030ELNS1_3gpuE2ELNS1_3repE0EEENS1_30default_config_static_selectorELNS0_4arch9wavefront6targetE0EEEvT1_
		.amdhsa_group_segment_fixed_size 0
		.amdhsa_private_segment_fixed_size 0
		.amdhsa_kernarg_size 120
		.amdhsa_user_sgpr_count 6
		.amdhsa_user_sgpr_private_segment_buffer 1
		.amdhsa_user_sgpr_dispatch_ptr 0
		.amdhsa_user_sgpr_queue_ptr 0
		.amdhsa_user_sgpr_kernarg_segment_ptr 1
		.amdhsa_user_sgpr_dispatch_id 0
		.amdhsa_user_sgpr_flat_scratch_init 0
		.amdhsa_user_sgpr_private_segment_size 0
		.amdhsa_wavefront_size32 1
		.amdhsa_uses_dynamic_stack 0
		.amdhsa_system_sgpr_private_segment_wavefront_offset 0
		.amdhsa_system_sgpr_workgroup_id_x 1
		.amdhsa_system_sgpr_workgroup_id_y 0
		.amdhsa_system_sgpr_workgroup_id_z 0
		.amdhsa_system_sgpr_workgroup_info 0
		.amdhsa_system_vgpr_workitem_id 0
		.amdhsa_next_free_vgpr 1
		.amdhsa_next_free_sgpr 1
		.amdhsa_reserve_vcc 0
		.amdhsa_reserve_flat_scratch 0
		.amdhsa_float_round_mode_32 0
		.amdhsa_float_round_mode_16_64 0
		.amdhsa_float_denorm_mode_32 3
		.amdhsa_float_denorm_mode_16_64 3
		.amdhsa_dx10_clamp 1
		.amdhsa_ieee_mode 1
		.amdhsa_fp16_overflow 0
		.amdhsa_workgroup_processor_mode 1
		.amdhsa_memory_ordered 1
		.amdhsa_forward_progress 1
		.amdhsa_shared_vgpr_count 0
		.amdhsa_exception_fp_ieee_invalid_op 0
		.amdhsa_exception_fp_denorm_src 0
		.amdhsa_exception_fp_ieee_div_zero 0
		.amdhsa_exception_fp_ieee_overflow 0
		.amdhsa_exception_fp_ieee_underflow 0
		.amdhsa_exception_fp_ieee_inexact 0
		.amdhsa_exception_int_div_zero 0
	.end_amdhsa_kernel
	.section	.text._ZN7rocprim17ROCPRIM_400000_NS6detail17trampoline_kernelINS0_14default_configENS1_27scan_by_key_config_selectorIj11FixedVectorIiLj2EEEEZZNS1_16scan_by_key_implILNS1_25lookback_scan_determinismE0ELb1ES3_N6thrust23THRUST_200600_302600_NS6detail15normal_iteratorINSB_10device_ptrIjEEEENSD_INSE_IS6_EEEESI_S6_NSB_4plusIvEENSB_8equal_toIvEES6_EE10hipError_tPvRmT2_T3_T4_T5_mT6_T7_P12ihipStream_tbENKUlT_T0_E_clISt17integral_constantIbLb1EES13_EEDaSY_SZ_EUlSY_E_NS1_11comp_targetILNS1_3genE8ELNS1_11target_archE1030ELNS1_3gpuE2ELNS1_3repE0EEENS1_30default_config_static_selectorELNS0_4arch9wavefront6targetE0EEEvT1_,"axG",@progbits,_ZN7rocprim17ROCPRIM_400000_NS6detail17trampoline_kernelINS0_14default_configENS1_27scan_by_key_config_selectorIj11FixedVectorIiLj2EEEEZZNS1_16scan_by_key_implILNS1_25lookback_scan_determinismE0ELb1ES3_N6thrust23THRUST_200600_302600_NS6detail15normal_iteratorINSB_10device_ptrIjEEEENSD_INSE_IS6_EEEESI_S6_NSB_4plusIvEENSB_8equal_toIvEES6_EE10hipError_tPvRmT2_T3_T4_T5_mT6_T7_P12ihipStream_tbENKUlT_T0_E_clISt17integral_constantIbLb1EES13_EEDaSY_SZ_EUlSY_E_NS1_11comp_targetILNS1_3genE8ELNS1_11target_archE1030ELNS1_3gpuE2ELNS1_3repE0EEENS1_30default_config_static_selectorELNS0_4arch9wavefront6targetE0EEEvT1_,comdat
.Lfunc_end2010:
	.size	_ZN7rocprim17ROCPRIM_400000_NS6detail17trampoline_kernelINS0_14default_configENS1_27scan_by_key_config_selectorIj11FixedVectorIiLj2EEEEZZNS1_16scan_by_key_implILNS1_25lookback_scan_determinismE0ELb1ES3_N6thrust23THRUST_200600_302600_NS6detail15normal_iteratorINSB_10device_ptrIjEEEENSD_INSE_IS6_EEEESI_S6_NSB_4plusIvEENSB_8equal_toIvEES6_EE10hipError_tPvRmT2_T3_T4_T5_mT6_T7_P12ihipStream_tbENKUlT_T0_E_clISt17integral_constantIbLb1EES13_EEDaSY_SZ_EUlSY_E_NS1_11comp_targetILNS1_3genE8ELNS1_11target_archE1030ELNS1_3gpuE2ELNS1_3repE0EEENS1_30default_config_static_selectorELNS0_4arch9wavefront6targetE0EEEvT1_, .Lfunc_end2010-_ZN7rocprim17ROCPRIM_400000_NS6detail17trampoline_kernelINS0_14default_configENS1_27scan_by_key_config_selectorIj11FixedVectorIiLj2EEEEZZNS1_16scan_by_key_implILNS1_25lookback_scan_determinismE0ELb1ES3_N6thrust23THRUST_200600_302600_NS6detail15normal_iteratorINSB_10device_ptrIjEEEENSD_INSE_IS6_EEEESI_S6_NSB_4plusIvEENSB_8equal_toIvEES6_EE10hipError_tPvRmT2_T3_T4_T5_mT6_T7_P12ihipStream_tbENKUlT_T0_E_clISt17integral_constantIbLb1EES13_EEDaSY_SZ_EUlSY_E_NS1_11comp_targetILNS1_3genE8ELNS1_11target_archE1030ELNS1_3gpuE2ELNS1_3repE0EEENS1_30default_config_static_selectorELNS0_4arch9wavefront6targetE0EEEvT1_
                                        ; -- End function
	.set _ZN7rocprim17ROCPRIM_400000_NS6detail17trampoline_kernelINS0_14default_configENS1_27scan_by_key_config_selectorIj11FixedVectorIiLj2EEEEZZNS1_16scan_by_key_implILNS1_25lookback_scan_determinismE0ELb1ES3_N6thrust23THRUST_200600_302600_NS6detail15normal_iteratorINSB_10device_ptrIjEEEENSD_INSE_IS6_EEEESI_S6_NSB_4plusIvEENSB_8equal_toIvEES6_EE10hipError_tPvRmT2_T3_T4_T5_mT6_T7_P12ihipStream_tbENKUlT_T0_E_clISt17integral_constantIbLb1EES13_EEDaSY_SZ_EUlSY_E_NS1_11comp_targetILNS1_3genE8ELNS1_11target_archE1030ELNS1_3gpuE2ELNS1_3repE0EEENS1_30default_config_static_selectorELNS0_4arch9wavefront6targetE0EEEvT1_.num_vgpr, 0
	.set _ZN7rocprim17ROCPRIM_400000_NS6detail17trampoline_kernelINS0_14default_configENS1_27scan_by_key_config_selectorIj11FixedVectorIiLj2EEEEZZNS1_16scan_by_key_implILNS1_25lookback_scan_determinismE0ELb1ES3_N6thrust23THRUST_200600_302600_NS6detail15normal_iteratorINSB_10device_ptrIjEEEENSD_INSE_IS6_EEEESI_S6_NSB_4plusIvEENSB_8equal_toIvEES6_EE10hipError_tPvRmT2_T3_T4_T5_mT6_T7_P12ihipStream_tbENKUlT_T0_E_clISt17integral_constantIbLb1EES13_EEDaSY_SZ_EUlSY_E_NS1_11comp_targetILNS1_3genE8ELNS1_11target_archE1030ELNS1_3gpuE2ELNS1_3repE0EEENS1_30default_config_static_selectorELNS0_4arch9wavefront6targetE0EEEvT1_.num_agpr, 0
	.set _ZN7rocprim17ROCPRIM_400000_NS6detail17trampoline_kernelINS0_14default_configENS1_27scan_by_key_config_selectorIj11FixedVectorIiLj2EEEEZZNS1_16scan_by_key_implILNS1_25lookback_scan_determinismE0ELb1ES3_N6thrust23THRUST_200600_302600_NS6detail15normal_iteratorINSB_10device_ptrIjEEEENSD_INSE_IS6_EEEESI_S6_NSB_4plusIvEENSB_8equal_toIvEES6_EE10hipError_tPvRmT2_T3_T4_T5_mT6_T7_P12ihipStream_tbENKUlT_T0_E_clISt17integral_constantIbLb1EES13_EEDaSY_SZ_EUlSY_E_NS1_11comp_targetILNS1_3genE8ELNS1_11target_archE1030ELNS1_3gpuE2ELNS1_3repE0EEENS1_30default_config_static_selectorELNS0_4arch9wavefront6targetE0EEEvT1_.numbered_sgpr, 0
	.set _ZN7rocprim17ROCPRIM_400000_NS6detail17trampoline_kernelINS0_14default_configENS1_27scan_by_key_config_selectorIj11FixedVectorIiLj2EEEEZZNS1_16scan_by_key_implILNS1_25lookback_scan_determinismE0ELb1ES3_N6thrust23THRUST_200600_302600_NS6detail15normal_iteratorINSB_10device_ptrIjEEEENSD_INSE_IS6_EEEESI_S6_NSB_4plusIvEENSB_8equal_toIvEES6_EE10hipError_tPvRmT2_T3_T4_T5_mT6_T7_P12ihipStream_tbENKUlT_T0_E_clISt17integral_constantIbLb1EES13_EEDaSY_SZ_EUlSY_E_NS1_11comp_targetILNS1_3genE8ELNS1_11target_archE1030ELNS1_3gpuE2ELNS1_3repE0EEENS1_30default_config_static_selectorELNS0_4arch9wavefront6targetE0EEEvT1_.num_named_barrier, 0
	.set _ZN7rocprim17ROCPRIM_400000_NS6detail17trampoline_kernelINS0_14default_configENS1_27scan_by_key_config_selectorIj11FixedVectorIiLj2EEEEZZNS1_16scan_by_key_implILNS1_25lookback_scan_determinismE0ELb1ES3_N6thrust23THRUST_200600_302600_NS6detail15normal_iteratorINSB_10device_ptrIjEEEENSD_INSE_IS6_EEEESI_S6_NSB_4plusIvEENSB_8equal_toIvEES6_EE10hipError_tPvRmT2_T3_T4_T5_mT6_T7_P12ihipStream_tbENKUlT_T0_E_clISt17integral_constantIbLb1EES13_EEDaSY_SZ_EUlSY_E_NS1_11comp_targetILNS1_3genE8ELNS1_11target_archE1030ELNS1_3gpuE2ELNS1_3repE0EEENS1_30default_config_static_selectorELNS0_4arch9wavefront6targetE0EEEvT1_.private_seg_size, 0
	.set _ZN7rocprim17ROCPRIM_400000_NS6detail17trampoline_kernelINS0_14default_configENS1_27scan_by_key_config_selectorIj11FixedVectorIiLj2EEEEZZNS1_16scan_by_key_implILNS1_25lookback_scan_determinismE0ELb1ES3_N6thrust23THRUST_200600_302600_NS6detail15normal_iteratorINSB_10device_ptrIjEEEENSD_INSE_IS6_EEEESI_S6_NSB_4plusIvEENSB_8equal_toIvEES6_EE10hipError_tPvRmT2_T3_T4_T5_mT6_T7_P12ihipStream_tbENKUlT_T0_E_clISt17integral_constantIbLb1EES13_EEDaSY_SZ_EUlSY_E_NS1_11comp_targetILNS1_3genE8ELNS1_11target_archE1030ELNS1_3gpuE2ELNS1_3repE0EEENS1_30default_config_static_selectorELNS0_4arch9wavefront6targetE0EEEvT1_.uses_vcc, 0
	.set _ZN7rocprim17ROCPRIM_400000_NS6detail17trampoline_kernelINS0_14default_configENS1_27scan_by_key_config_selectorIj11FixedVectorIiLj2EEEEZZNS1_16scan_by_key_implILNS1_25lookback_scan_determinismE0ELb1ES3_N6thrust23THRUST_200600_302600_NS6detail15normal_iteratorINSB_10device_ptrIjEEEENSD_INSE_IS6_EEEESI_S6_NSB_4plusIvEENSB_8equal_toIvEES6_EE10hipError_tPvRmT2_T3_T4_T5_mT6_T7_P12ihipStream_tbENKUlT_T0_E_clISt17integral_constantIbLb1EES13_EEDaSY_SZ_EUlSY_E_NS1_11comp_targetILNS1_3genE8ELNS1_11target_archE1030ELNS1_3gpuE2ELNS1_3repE0EEENS1_30default_config_static_selectorELNS0_4arch9wavefront6targetE0EEEvT1_.uses_flat_scratch, 0
	.set _ZN7rocprim17ROCPRIM_400000_NS6detail17trampoline_kernelINS0_14default_configENS1_27scan_by_key_config_selectorIj11FixedVectorIiLj2EEEEZZNS1_16scan_by_key_implILNS1_25lookback_scan_determinismE0ELb1ES3_N6thrust23THRUST_200600_302600_NS6detail15normal_iteratorINSB_10device_ptrIjEEEENSD_INSE_IS6_EEEESI_S6_NSB_4plusIvEENSB_8equal_toIvEES6_EE10hipError_tPvRmT2_T3_T4_T5_mT6_T7_P12ihipStream_tbENKUlT_T0_E_clISt17integral_constantIbLb1EES13_EEDaSY_SZ_EUlSY_E_NS1_11comp_targetILNS1_3genE8ELNS1_11target_archE1030ELNS1_3gpuE2ELNS1_3repE0EEENS1_30default_config_static_selectorELNS0_4arch9wavefront6targetE0EEEvT1_.has_dyn_sized_stack, 0
	.set _ZN7rocprim17ROCPRIM_400000_NS6detail17trampoline_kernelINS0_14default_configENS1_27scan_by_key_config_selectorIj11FixedVectorIiLj2EEEEZZNS1_16scan_by_key_implILNS1_25lookback_scan_determinismE0ELb1ES3_N6thrust23THRUST_200600_302600_NS6detail15normal_iteratorINSB_10device_ptrIjEEEENSD_INSE_IS6_EEEESI_S6_NSB_4plusIvEENSB_8equal_toIvEES6_EE10hipError_tPvRmT2_T3_T4_T5_mT6_T7_P12ihipStream_tbENKUlT_T0_E_clISt17integral_constantIbLb1EES13_EEDaSY_SZ_EUlSY_E_NS1_11comp_targetILNS1_3genE8ELNS1_11target_archE1030ELNS1_3gpuE2ELNS1_3repE0EEENS1_30default_config_static_selectorELNS0_4arch9wavefront6targetE0EEEvT1_.has_recursion, 0
	.set _ZN7rocprim17ROCPRIM_400000_NS6detail17trampoline_kernelINS0_14default_configENS1_27scan_by_key_config_selectorIj11FixedVectorIiLj2EEEEZZNS1_16scan_by_key_implILNS1_25lookback_scan_determinismE0ELb1ES3_N6thrust23THRUST_200600_302600_NS6detail15normal_iteratorINSB_10device_ptrIjEEEENSD_INSE_IS6_EEEESI_S6_NSB_4plusIvEENSB_8equal_toIvEES6_EE10hipError_tPvRmT2_T3_T4_T5_mT6_T7_P12ihipStream_tbENKUlT_T0_E_clISt17integral_constantIbLb1EES13_EEDaSY_SZ_EUlSY_E_NS1_11comp_targetILNS1_3genE8ELNS1_11target_archE1030ELNS1_3gpuE2ELNS1_3repE0EEENS1_30default_config_static_selectorELNS0_4arch9wavefront6targetE0EEEvT1_.has_indirect_call, 0
	.section	.AMDGPU.csdata,"",@progbits
; Kernel info:
; codeLenInByte = 4
; TotalNumSgprs: 0
; NumVgprs: 0
; ScratchSize: 0
; MemoryBound: 0
; FloatMode: 240
; IeeeMode: 1
; LDSByteSize: 0 bytes/workgroup (compile time only)
; SGPRBlocks: 0
; VGPRBlocks: 0
; NumSGPRsForWavesPerEU: 1
; NumVGPRsForWavesPerEU: 1
; Occupancy: 16
; WaveLimiterHint : 0
; COMPUTE_PGM_RSRC2:SCRATCH_EN: 0
; COMPUTE_PGM_RSRC2:USER_SGPR: 6
; COMPUTE_PGM_RSRC2:TRAP_HANDLER: 0
; COMPUTE_PGM_RSRC2:TGID_X_EN: 1
; COMPUTE_PGM_RSRC2:TGID_Y_EN: 0
; COMPUTE_PGM_RSRC2:TGID_Z_EN: 0
; COMPUTE_PGM_RSRC2:TIDIG_COMP_CNT: 0
	.section	.text._ZN7rocprim17ROCPRIM_400000_NS6detail17trampoline_kernelINS0_14default_configENS1_27scan_by_key_config_selectorIj11FixedVectorIiLj2EEEEZZNS1_16scan_by_key_implILNS1_25lookback_scan_determinismE0ELb1ES3_N6thrust23THRUST_200600_302600_NS6detail15normal_iteratorINSB_10device_ptrIjEEEENSD_INSE_IS6_EEEESI_S6_NSB_4plusIvEENSB_8equal_toIvEES6_EE10hipError_tPvRmT2_T3_T4_T5_mT6_T7_P12ihipStream_tbENKUlT_T0_E_clISt17integral_constantIbLb1EES12_IbLb0EEEEDaSY_SZ_EUlSY_E_NS1_11comp_targetILNS1_3genE0ELNS1_11target_archE4294967295ELNS1_3gpuE0ELNS1_3repE0EEENS1_30default_config_static_selectorELNS0_4arch9wavefront6targetE0EEEvT1_,"axG",@progbits,_ZN7rocprim17ROCPRIM_400000_NS6detail17trampoline_kernelINS0_14default_configENS1_27scan_by_key_config_selectorIj11FixedVectorIiLj2EEEEZZNS1_16scan_by_key_implILNS1_25lookback_scan_determinismE0ELb1ES3_N6thrust23THRUST_200600_302600_NS6detail15normal_iteratorINSB_10device_ptrIjEEEENSD_INSE_IS6_EEEESI_S6_NSB_4plusIvEENSB_8equal_toIvEES6_EE10hipError_tPvRmT2_T3_T4_T5_mT6_T7_P12ihipStream_tbENKUlT_T0_E_clISt17integral_constantIbLb1EES12_IbLb0EEEEDaSY_SZ_EUlSY_E_NS1_11comp_targetILNS1_3genE0ELNS1_11target_archE4294967295ELNS1_3gpuE0ELNS1_3repE0EEENS1_30default_config_static_selectorELNS0_4arch9wavefront6targetE0EEEvT1_,comdat
	.protected	_ZN7rocprim17ROCPRIM_400000_NS6detail17trampoline_kernelINS0_14default_configENS1_27scan_by_key_config_selectorIj11FixedVectorIiLj2EEEEZZNS1_16scan_by_key_implILNS1_25lookback_scan_determinismE0ELb1ES3_N6thrust23THRUST_200600_302600_NS6detail15normal_iteratorINSB_10device_ptrIjEEEENSD_INSE_IS6_EEEESI_S6_NSB_4plusIvEENSB_8equal_toIvEES6_EE10hipError_tPvRmT2_T3_T4_T5_mT6_T7_P12ihipStream_tbENKUlT_T0_E_clISt17integral_constantIbLb1EES12_IbLb0EEEEDaSY_SZ_EUlSY_E_NS1_11comp_targetILNS1_3genE0ELNS1_11target_archE4294967295ELNS1_3gpuE0ELNS1_3repE0EEENS1_30default_config_static_selectorELNS0_4arch9wavefront6targetE0EEEvT1_ ; -- Begin function _ZN7rocprim17ROCPRIM_400000_NS6detail17trampoline_kernelINS0_14default_configENS1_27scan_by_key_config_selectorIj11FixedVectorIiLj2EEEEZZNS1_16scan_by_key_implILNS1_25lookback_scan_determinismE0ELb1ES3_N6thrust23THRUST_200600_302600_NS6detail15normal_iteratorINSB_10device_ptrIjEEEENSD_INSE_IS6_EEEESI_S6_NSB_4plusIvEENSB_8equal_toIvEES6_EE10hipError_tPvRmT2_T3_T4_T5_mT6_T7_P12ihipStream_tbENKUlT_T0_E_clISt17integral_constantIbLb1EES12_IbLb0EEEEDaSY_SZ_EUlSY_E_NS1_11comp_targetILNS1_3genE0ELNS1_11target_archE4294967295ELNS1_3gpuE0ELNS1_3repE0EEENS1_30default_config_static_selectorELNS0_4arch9wavefront6targetE0EEEvT1_
	.globl	_ZN7rocprim17ROCPRIM_400000_NS6detail17trampoline_kernelINS0_14default_configENS1_27scan_by_key_config_selectorIj11FixedVectorIiLj2EEEEZZNS1_16scan_by_key_implILNS1_25lookback_scan_determinismE0ELb1ES3_N6thrust23THRUST_200600_302600_NS6detail15normal_iteratorINSB_10device_ptrIjEEEENSD_INSE_IS6_EEEESI_S6_NSB_4plusIvEENSB_8equal_toIvEES6_EE10hipError_tPvRmT2_T3_T4_T5_mT6_T7_P12ihipStream_tbENKUlT_T0_E_clISt17integral_constantIbLb1EES12_IbLb0EEEEDaSY_SZ_EUlSY_E_NS1_11comp_targetILNS1_3genE0ELNS1_11target_archE4294967295ELNS1_3gpuE0ELNS1_3repE0EEENS1_30default_config_static_selectorELNS0_4arch9wavefront6targetE0EEEvT1_
	.p2align	8
	.type	_ZN7rocprim17ROCPRIM_400000_NS6detail17trampoline_kernelINS0_14default_configENS1_27scan_by_key_config_selectorIj11FixedVectorIiLj2EEEEZZNS1_16scan_by_key_implILNS1_25lookback_scan_determinismE0ELb1ES3_N6thrust23THRUST_200600_302600_NS6detail15normal_iteratorINSB_10device_ptrIjEEEENSD_INSE_IS6_EEEESI_S6_NSB_4plusIvEENSB_8equal_toIvEES6_EE10hipError_tPvRmT2_T3_T4_T5_mT6_T7_P12ihipStream_tbENKUlT_T0_E_clISt17integral_constantIbLb1EES12_IbLb0EEEEDaSY_SZ_EUlSY_E_NS1_11comp_targetILNS1_3genE0ELNS1_11target_archE4294967295ELNS1_3gpuE0ELNS1_3repE0EEENS1_30default_config_static_selectorELNS0_4arch9wavefront6targetE0EEEvT1_,@function
_ZN7rocprim17ROCPRIM_400000_NS6detail17trampoline_kernelINS0_14default_configENS1_27scan_by_key_config_selectorIj11FixedVectorIiLj2EEEEZZNS1_16scan_by_key_implILNS1_25lookback_scan_determinismE0ELb1ES3_N6thrust23THRUST_200600_302600_NS6detail15normal_iteratorINSB_10device_ptrIjEEEENSD_INSE_IS6_EEEESI_S6_NSB_4plusIvEENSB_8equal_toIvEES6_EE10hipError_tPvRmT2_T3_T4_T5_mT6_T7_P12ihipStream_tbENKUlT_T0_E_clISt17integral_constantIbLb1EES12_IbLb0EEEEDaSY_SZ_EUlSY_E_NS1_11comp_targetILNS1_3genE0ELNS1_11target_archE4294967295ELNS1_3gpuE0ELNS1_3repE0EEENS1_30default_config_static_selectorELNS0_4arch9wavefront6targetE0EEEvT1_: ; @_ZN7rocprim17ROCPRIM_400000_NS6detail17trampoline_kernelINS0_14default_configENS1_27scan_by_key_config_selectorIj11FixedVectorIiLj2EEEEZZNS1_16scan_by_key_implILNS1_25lookback_scan_determinismE0ELb1ES3_N6thrust23THRUST_200600_302600_NS6detail15normal_iteratorINSB_10device_ptrIjEEEENSD_INSE_IS6_EEEESI_S6_NSB_4plusIvEENSB_8equal_toIvEES6_EE10hipError_tPvRmT2_T3_T4_T5_mT6_T7_P12ihipStream_tbENKUlT_T0_E_clISt17integral_constantIbLb1EES12_IbLb0EEEEDaSY_SZ_EUlSY_E_NS1_11comp_targetILNS1_3genE0ELNS1_11target_archE4294967295ELNS1_3gpuE0ELNS1_3repE0EEENS1_30default_config_static_selectorELNS0_4arch9wavefront6targetE0EEEvT1_
; %bb.0:
	.section	.rodata,"a",@progbits
	.p2align	6, 0x0
	.amdhsa_kernel _ZN7rocprim17ROCPRIM_400000_NS6detail17trampoline_kernelINS0_14default_configENS1_27scan_by_key_config_selectorIj11FixedVectorIiLj2EEEEZZNS1_16scan_by_key_implILNS1_25lookback_scan_determinismE0ELb1ES3_N6thrust23THRUST_200600_302600_NS6detail15normal_iteratorINSB_10device_ptrIjEEEENSD_INSE_IS6_EEEESI_S6_NSB_4plusIvEENSB_8equal_toIvEES6_EE10hipError_tPvRmT2_T3_T4_T5_mT6_T7_P12ihipStream_tbENKUlT_T0_E_clISt17integral_constantIbLb1EES12_IbLb0EEEEDaSY_SZ_EUlSY_E_NS1_11comp_targetILNS1_3genE0ELNS1_11target_archE4294967295ELNS1_3gpuE0ELNS1_3repE0EEENS1_30default_config_static_selectorELNS0_4arch9wavefront6targetE0EEEvT1_
		.amdhsa_group_segment_fixed_size 0
		.amdhsa_private_segment_fixed_size 0
		.amdhsa_kernarg_size 120
		.amdhsa_user_sgpr_count 6
		.amdhsa_user_sgpr_private_segment_buffer 1
		.amdhsa_user_sgpr_dispatch_ptr 0
		.amdhsa_user_sgpr_queue_ptr 0
		.amdhsa_user_sgpr_kernarg_segment_ptr 1
		.amdhsa_user_sgpr_dispatch_id 0
		.amdhsa_user_sgpr_flat_scratch_init 0
		.amdhsa_user_sgpr_private_segment_size 0
		.amdhsa_wavefront_size32 1
		.amdhsa_uses_dynamic_stack 0
		.amdhsa_system_sgpr_private_segment_wavefront_offset 0
		.amdhsa_system_sgpr_workgroup_id_x 1
		.amdhsa_system_sgpr_workgroup_id_y 0
		.amdhsa_system_sgpr_workgroup_id_z 0
		.amdhsa_system_sgpr_workgroup_info 0
		.amdhsa_system_vgpr_workitem_id 0
		.amdhsa_next_free_vgpr 1
		.amdhsa_next_free_sgpr 1
		.amdhsa_reserve_vcc 0
		.amdhsa_reserve_flat_scratch 0
		.amdhsa_float_round_mode_32 0
		.amdhsa_float_round_mode_16_64 0
		.amdhsa_float_denorm_mode_32 3
		.amdhsa_float_denorm_mode_16_64 3
		.amdhsa_dx10_clamp 1
		.amdhsa_ieee_mode 1
		.amdhsa_fp16_overflow 0
		.amdhsa_workgroup_processor_mode 1
		.amdhsa_memory_ordered 1
		.amdhsa_forward_progress 1
		.amdhsa_shared_vgpr_count 0
		.amdhsa_exception_fp_ieee_invalid_op 0
		.amdhsa_exception_fp_denorm_src 0
		.amdhsa_exception_fp_ieee_div_zero 0
		.amdhsa_exception_fp_ieee_overflow 0
		.amdhsa_exception_fp_ieee_underflow 0
		.amdhsa_exception_fp_ieee_inexact 0
		.amdhsa_exception_int_div_zero 0
	.end_amdhsa_kernel
	.section	.text._ZN7rocprim17ROCPRIM_400000_NS6detail17trampoline_kernelINS0_14default_configENS1_27scan_by_key_config_selectorIj11FixedVectorIiLj2EEEEZZNS1_16scan_by_key_implILNS1_25lookback_scan_determinismE0ELb1ES3_N6thrust23THRUST_200600_302600_NS6detail15normal_iteratorINSB_10device_ptrIjEEEENSD_INSE_IS6_EEEESI_S6_NSB_4plusIvEENSB_8equal_toIvEES6_EE10hipError_tPvRmT2_T3_T4_T5_mT6_T7_P12ihipStream_tbENKUlT_T0_E_clISt17integral_constantIbLb1EES12_IbLb0EEEEDaSY_SZ_EUlSY_E_NS1_11comp_targetILNS1_3genE0ELNS1_11target_archE4294967295ELNS1_3gpuE0ELNS1_3repE0EEENS1_30default_config_static_selectorELNS0_4arch9wavefront6targetE0EEEvT1_,"axG",@progbits,_ZN7rocprim17ROCPRIM_400000_NS6detail17trampoline_kernelINS0_14default_configENS1_27scan_by_key_config_selectorIj11FixedVectorIiLj2EEEEZZNS1_16scan_by_key_implILNS1_25lookback_scan_determinismE0ELb1ES3_N6thrust23THRUST_200600_302600_NS6detail15normal_iteratorINSB_10device_ptrIjEEEENSD_INSE_IS6_EEEESI_S6_NSB_4plusIvEENSB_8equal_toIvEES6_EE10hipError_tPvRmT2_T3_T4_T5_mT6_T7_P12ihipStream_tbENKUlT_T0_E_clISt17integral_constantIbLb1EES12_IbLb0EEEEDaSY_SZ_EUlSY_E_NS1_11comp_targetILNS1_3genE0ELNS1_11target_archE4294967295ELNS1_3gpuE0ELNS1_3repE0EEENS1_30default_config_static_selectorELNS0_4arch9wavefront6targetE0EEEvT1_,comdat
.Lfunc_end2011:
	.size	_ZN7rocprim17ROCPRIM_400000_NS6detail17trampoline_kernelINS0_14default_configENS1_27scan_by_key_config_selectorIj11FixedVectorIiLj2EEEEZZNS1_16scan_by_key_implILNS1_25lookback_scan_determinismE0ELb1ES3_N6thrust23THRUST_200600_302600_NS6detail15normal_iteratorINSB_10device_ptrIjEEEENSD_INSE_IS6_EEEESI_S6_NSB_4plusIvEENSB_8equal_toIvEES6_EE10hipError_tPvRmT2_T3_T4_T5_mT6_T7_P12ihipStream_tbENKUlT_T0_E_clISt17integral_constantIbLb1EES12_IbLb0EEEEDaSY_SZ_EUlSY_E_NS1_11comp_targetILNS1_3genE0ELNS1_11target_archE4294967295ELNS1_3gpuE0ELNS1_3repE0EEENS1_30default_config_static_selectorELNS0_4arch9wavefront6targetE0EEEvT1_, .Lfunc_end2011-_ZN7rocprim17ROCPRIM_400000_NS6detail17trampoline_kernelINS0_14default_configENS1_27scan_by_key_config_selectorIj11FixedVectorIiLj2EEEEZZNS1_16scan_by_key_implILNS1_25lookback_scan_determinismE0ELb1ES3_N6thrust23THRUST_200600_302600_NS6detail15normal_iteratorINSB_10device_ptrIjEEEENSD_INSE_IS6_EEEESI_S6_NSB_4plusIvEENSB_8equal_toIvEES6_EE10hipError_tPvRmT2_T3_T4_T5_mT6_T7_P12ihipStream_tbENKUlT_T0_E_clISt17integral_constantIbLb1EES12_IbLb0EEEEDaSY_SZ_EUlSY_E_NS1_11comp_targetILNS1_3genE0ELNS1_11target_archE4294967295ELNS1_3gpuE0ELNS1_3repE0EEENS1_30default_config_static_selectorELNS0_4arch9wavefront6targetE0EEEvT1_
                                        ; -- End function
	.set _ZN7rocprim17ROCPRIM_400000_NS6detail17trampoline_kernelINS0_14default_configENS1_27scan_by_key_config_selectorIj11FixedVectorIiLj2EEEEZZNS1_16scan_by_key_implILNS1_25lookback_scan_determinismE0ELb1ES3_N6thrust23THRUST_200600_302600_NS6detail15normal_iteratorINSB_10device_ptrIjEEEENSD_INSE_IS6_EEEESI_S6_NSB_4plusIvEENSB_8equal_toIvEES6_EE10hipError_tPvRmT2_T3_T4_T5_mT6_T7_P12ihipStream_tbENKUlT_T0_E_clISt17integral_constantIbLb1EES12_IbLb0EEEEDaSY_SZ_EUlSY_E_NS1_11comp_targetILNS1_3genE0ELNS1_11target_archE4294967295ELNS1_3gpuE0ELNS1_3repE0EEENS1_30default_config_static_selectorELNS0_4arch9wavefront6targetE0EEEvT1_.num_vgpr, 0
	.set _ZN7rocprim17ROCPRIM_400000_NS6detail17trampoline_kernelINS0_14default_configENS1_27scan_by_key_config_selectorIj11FixedVectorIiLj2EEEEZZNS1_16scan_by_key_implILNS1_25lookback_scan_determinismE0ELb1ES3_N6thrust23THRUST_200600_302600_NS6detail15normal_iteratorINSB_10device_ptrIjEEEENSD_INSE_IS6_EEEESI_S6_NSB_4plusIvEENSB_8equal_toIvEES6_EE10hipError_tPvRmT2_T3_T4_T5_mT6_T7_P12ihipStream_tbENKUlT_T0_E_clISt17integral_constantIbLb1EES12_IbLb0EEEEDaSY_SZ_EUlSY_E_NS1_11comp_targetILNS1_3genE0ELNS1_11target_archE4294967295ELNS1_3gpuE0ELNS1_3repE0EEENS1_30default_config_static_selectorELNS0_4arch9wavefront6targetE0EEEvT1_.num_agpr, 0
	.set _ZN7rocprim17ROCPRIM_400000_NS6detail17trampoline_kernelINS0_14default_configENS1_27scan_by_key_config_selectorIj11FixedVectorIiLj2EEEEZZNS1_16scan_by_key_implILNS1_25lookback_scan_determinismE0ELb1ES3_N6thrust23THRUST_200600_302600_NS6detail15normal_iteratorINSB_10device_ptrIjEEEENSD_INSE_IS6_EEEESI_S6_NSB_4plusIvEENSB_8equal_toIvEES6_EE10hipError_tPvRmT2_T3_T4_T5_mT6_T7_P12ihipStream_tbENKUlT_T0_E_clISt17integral_constantIbLb1EES12_IbLb0EEEEDaSY_SZ_EUlSY_E_NS1_11comp_targetILNS1_3genE0ELNS1_11target_archE4294967295ELNS1_3gpuE0ELNS1_3repE0EEENS1_30default_config_static_selectorELNS0_4arch9wavefront6targetE0EEEvT1_.numbered_sgpr, 0
	.set _ZN7rocprim17ROCPRIM_400000_NS6detail17trampoline_kernelINS0_14default_configENS1_27scan_by_key_config_selectorIj11FixedVectorIiLj2EEEEZZNS1_16scan_by_key_implILNS1_25lookback_scan_determinismE0ELb1ES3_N6thrust23THRUST_200600_302600_NS6detail15normal_iteratorINSB_10device_ptrIjEEEENSD_INSE_IS6_EEEESI_S6_NSB_4plusIvEENSB_8equal_toIvEES6_EE10hipError_tPvRmT2_T3_T4_T5_mT6_T7_P12ihipStream_tbENKUlT_T0_E_clISt17integral_constantIbLb1EES12_IbLb0EEEEDaSY_SZ_EUlSY_E_NS1_11comp_targetILNS1_3genE0ELNS1_11target_archE4294967295ELNS1_3gpuE0ELNS1_3repE0EEENS1_30default_config_static_selectorELNS0_4arch9wavefront6targetE0EEEvT1_.num_named_barrier, 0
	.set _ZN7rocprim17ROCPRIM_400000_NS6detail17trampoline_kernelINS0_14default_configENS1_27scan_by_key_config_selectorIj11FixedVectorIiLj2EEEEZZNS1_16scan_by_key_implILNS1_25lookback_scan_determinismE0ELb1ES3_N6thrust23THRUST_200600_302600_NS6detail15normal_iteratorINSB_10device_ptrIjEEEENSD_INSE_IS6_EEEESI_S6_NSB_4plusIvEENSB_8equal_toIvEES6_EE10hipError_tPvRmT2_T3_T4_T5_mT6_T7_P12ihipStream_tbENKUlT_T0_E_clISt17integral_constantIbLb1EES12_IbLb0EEEEDaSY_SZ_EUlSY_E_NS1_11comp_targetILNS1_3genE0ELNS1_11target_archE4294967295ELNS1_3gpuE0ELNS1_3repE0EEENS1_30default_config_static_selectorELNS0_4arch9wavefront6targetE0EEEvT1_.private_seg_size, 0
	.set _ZN7rocprim17ROCPRIM_400000_NS6detail17trampoline_kernelINS0_14default_configENS1_27scan_by_key_config_selectorIj11FixedVectorIiLj2EEEEZZNS1_16scan_by_key_implILNS1_25lookback_scan_determinismE0ELb1ES3_N6thrust23THRUST_200600_302600_NS6detail15normal_iteratorINSB_10device_ptrIjEEEENSD_INSE_IS6_EEEESI_S6_NSB_4plusIvEENSB_8equal_toIvEES6_EE10hipError_tPvRmT2_T3_T4_T5_mT6_T7_P12ihipStream_tbENKUlT_T0_E_clISt17integral_constantIbLb1EES12_IbLb0EEEEDaSY_SZ_EUlSY_E_NS1_11comp_targetILNS1_3genE0ELNS1_11target_archE4294967295ELNS1_3gpuE0ELNS1_3repE0EEENS1_30default_config_static_selectorELNS0_4arch9wavefront6targetE0EEEvT1_.uses_vcc, 0
	.set _ZN7rocprim17ROCPRIM_400000_NS6detail17trampoline_kernelINS0_14default_configENS1_27scan_by_key_config_selectorIj11FixedVectorIiLj2EEEEZZNS1_16scan_by_key_implILNS1_25lookback_scan_determinismE0ELb1ES3_N6thrust23THRUST_200600_302600_NS6detail15normal_iteratorINSB_10device_ptrIjEEEENSD_INSE_IS6_EEEESI_S6_NSB_4plusIvEENSB_8equal_toIvEES6_EE10hipError_tPvRmT2_T3_T4_T5_mT6_T7_P12ihipStream_tbENKUlT_T0_E_clISt17integral_constantIbLb1EES12_IbLb0EEEEDaSY_SZ_EUlSY_E_NS1_11comp_targetILNS1_3genE0ELNS1_11target_archE4294967295ELNS1_3gpuE0ELNS1_3repE0EEENS1_30default_config_static_selectorELNS0_4arch9wavefront6targetE0EEEvT1_.uses_flat_scratch, 0
	.set _ZN7rocprim17ROCPRIM_400000_NS6detail17trampoline_kernelINS0_14default_configENS1_27scan_by_key_config_selectorIj11FixedVectorIiLj2EEEEZZNS1_16scan_by_key_implILNS1_25lookback_scan_determinismE0ELb1ES3_N6thrust23THRUST_200600_302600_NS6detail15normal_iteratorINSB_10device_ptrIjEEEENSD_INSE_IS6_EEEESI_S6_NSB_4plusIvEENSB_8equal_toIvEES6_EE10hipError_tPvRmT2_T3_T4_T5_mT6_T7_P12ihipStream_tbENKUlT_T0_E_clISt17integral_constantIbLb1EES12_IbLb0EEEEDaSY_SZ_EUlSY_E_NS1_11comp_targetILNS1_3genE0ELNS1_11target_archE4294967295ELNS1_3gpuE0ELNS1_3repE0EEENS1_30default_config_static_selectorELNS0_4arch9wavefront6targetE0EEEvT1_.has_dyn_sized_stack, 0
	.set _ZN7rocprim17ROCPRIM_400000_NS6detail17trampoline_kernelINS0_14default_configENS1_27scan_by_key_config_selectorIj11FixedVectorIiLj2EEEEZZNS1_16scan_by_key_implILNS1_25lookback_scan_determinismE0ELb1ES3_N6thrust23THRUST_200600_302600_NS6detail15normal_iteratorINSB_10device_ptrIjEEEENSD_INSE_IS6_EEEESI_S6_NSB_4plusIvEENSB_8equal_toIvEES6_EE10hipError_tPvRmT2_T3_T4_T5_mT6_T7_P12ihipStream_tbENKUlT_T0_E_clISt17integral_constantIbLb1EES12_IbLb0EEEEDaSY_SZ_EUlSY_E_NS1_11comp_targetILNS1_3genE0ELNS1_11target_archE4294967295ELNS1_3gpuE0ELNS1_3repE0EEENS1_30default_config_static_selectorELNS0_4arch9wavefront6targetE0EEEvT1_.has_recursion, 0
	.set _ZN7rocprim17ROCPRIM_400000_NS6detail17trampoline_kernelINS0_14default_configENS1_27scan_by_key_config_selectorIj11FixedVectorIiLj2EEEEZZNS1_16scan_by_key_implILNS1_25lookback_scan_determinismE0ELb1ES3_N6thrust23THRUST_200600_302600_NS6detail15normal_iteratorINSB_10device_ptrIjEEEENSD_INSE_IS6_EEEESI_S6_NSB_4plusIvEENSB_8equal_toIvEES6_EE10hipError_tPvRmT2_T3_T4_T5_mT6_T7_P12ihipStream_tbENKUlT_T0_E_clISt17integral_constantIbLb1EES12_IbLb0EEEEDaSY_SZ_EUlSY_E_NS1_11comp_targetILNS1_3genE0ELNS1_11target_archE4294967295ELNS1_3gpuE0ELNS1_3repE0EEENS1_30default_config_static_selectorELNS0_4arch9wavefront6targetE0EEEvT1_.has_indirect_call, 0
	.section	.AMDGPU.csdata,"",@progbits
; Kernel info:
; codeLenInByte = 0
; TotalNumSgprs: 0
; NumVgprs: 0
; ScratchSize: 0
; MemoryBound: 0
; FloatMode: 240
; IeeeMode: 1
; LDSByteSize: 0 bytes/workgroup (compile time only)
; SGPRBlocks: 0
; VGPRBlocks: 0
; NumSGPRsForWavesPerEU: 1
; NumVGPRsForWavesPerEU: 1
; Occupancy: 16
; WaveLimiterHint : 0
; COMPUTE_PGM_RSRC2:SCRATCH_EN: 0
; COMPUTE_PGM_RSRC2:USER_SGPR: 6
; COMPUTE_PGM_RSRC2:TRAP_HANDLER: 0
; COMPUTE_PGM_RSRC2:TGID_X_EN: 1
; COMPUTE_PGM_RSRC2:TGID_Y_EN: 0
; COMPUTE_PGM_RSRC2:TGID_Z_EN: 0
; COMPUTE_PGM_RSRC2:TIDIG_COMP_CNT: 0
	.section	.text._ZN7rocprim17ROCPRIM_400000_NS6detail17trampoline_kernelINS0_14default_configENS1_27scan_by_key_config_selectorIj11FixedVectorIiLj2EEEEZZNS1_16scan_by_key_implILNS1_25lookback_scan_determinismE0ELb1ES3_N6thrust23THRUST_200600_302600_NS6detail15normal_iteratorINSB_10device_ptrIjEEEENSD_INSE_IS6_EEEESI_S6_NSB_4plusIvEENSB_8equal_toIvEES6_EE10hipError_tPvRmT2_T3_T4_T5_mT6_T7_P12ihipStream_tbENKUlT_T0_E_clISt17integral_constantIbLb1EES12_IbLb0EEEEDaSY_SZ_EUlSY_E_NS1_11comp_targetILNS1_3genE10ELNS1_11target_archE1201ELNS1_3gpuE5ELNS1_3repE0EEENS1_30default_config_static_selectorELNS0_4arch9wavefront6targetE0EEEvT1_,"axG",@progbits,_ZN7rocprim17ROCPRIM_400000_NS6detail17trampoline_kernelINS0_14default_configENS1_27scan_by_key_config_selectorIj11FixedVectorIiLj2EEEEZZNS1_16scan_by_key_implILNS1_25lookback_scan_determinismE0ELb1ES3_N6thrust23THRUST_200600_302600_NS6detail15normal_iteratorINSB_10device_ptrIjEEEENSD_INSE_IS6_EEEESI_S6_NSB_4plusIvEENSB_8equal_toIvEES6_EE10hipError_tPvRmT2_T3_T4_T5_mT6_T7_P12ihipStream_tbENKUlT_T0_E_clISt17integral_constantIbLb1EES12_IbLb0EEEEDaSY_SZ_EUlSY_E_NS1_11comp_targetILNS1_3genE10ELNS1_11target_archE1201ELNS1_3gpuE5ELNS1_3repE0EEENS1_30default_config_static_selectorELNS0_4arch9wavefront6targetE0EEEvT1_,comdat
	.protected	_ZN7rocprim17ROCPRIM_400000_NS6detail17trampoline_kernelINS0_14default_configENS1_27scan_by_key_config_selectorIj11FixedVectorIiLj2EEEEZZNS1_16scan_by_key_implILNS1_25lookback_scan_determinismE0ELb1ES3_N6thrust23THRUST_200600_302600_NS6detail15normal_iteratorINSB_10device_ptrIjEEEENSD_INSE_IS6_EEEESI_S6_NSB_4plusIvEENSB_8equal_toIvEES6_EE10hipError_tPvRmT2_T3_T4_T5_mT6_T7_P12ihipStream_tbENKUlT_T0_E_clISt17integral_constantIbLb1EES12_IbLb0EEEEDaSY_SZ_EUlSY_E_NS1_11comp_targetILNS1_3genE10ELNS1_11target_archE1201ELNS1_3gpuE5ELNS1_3repE0EEENS1_30default_config_static_selectorELNS0_4arch9wavefront6targetE0EEEvT1_ ; -- Begin function _ZN7rocprim17ROCPRIM_400000_NS6detail17trampoline_kernelINS0_14default_configENS1_27scan_by_key_config_selectorIj11FixedVectorIiLj2EEEEZZNS1_16scan_by_key_implILNS1_25lookback_scan_determinismE0ELb1ES3_N6thrust23THRUST_200600_302600_NS6detail15normal_iteratorINSB_10device_ptrIjEEEENSD_INSE_IS6_EEEESI_S6_NSB_4plusIvEENSB_8equal_toIvEES6_EE10hipError_tPvRmT2_T3_T4_T5_mT6_T7_P12ihipStream_tbENKUlT_T0_E_clISt17integral_constantIbLb1EES12_IbLb0EEEEDaSY_SZ_EUlSY_E_NS1_11comp_targetILNS1_3genE10ELNS1_11target_archE1201ELNS1_3gpuE5ELNS1_3repE0EEENS1_30default_config_static_selectorELNS0_4arch9wavefront6targetE0EEEvT1_
	.globl	_ZN7rocprim17ROCPRIM_400000_NS6detail17trampoline_kernelINS0_14default_configENS1_27scan_by_key_config_selectorIj11FixedVectorIiLj2EEEEZZNS1_16scan_by_key_implILNS1_25lookback_scan_determinismE0ELb1ES3_N6thrust23THRUST_200600_302600_NS6detail15normal_iteratorINSB_10device_ptrIjEEEENSD_INSE_IS6_EEEESI_S6_NSB_4plusIvEENSB_8equal_toIvEES6_EE10hipError_tPvRmT2_T3_T4_T5_mT6_T7_P12ihipStream_tbENKUlT_T0_E_clISt17integral_constantIbLb1EES12_IbLb0EEEEDaSY_SZ_EUlSY_E_NS1_11comp_targetILNS1_3genE10ELNS1_11target_archE1201ELNS1_3gpuE5ELNS1_3repE0EEENS1_30default_config_static_selectorELNS0_4arch9wavefront6targetE0EEEvT1_
	.p2align	8
	.type	_ZN7rocprim17ROCPRIM_400000_NS6detail17trampoline_kernelINS0_14default_configENS1_27scan_by_key_config_selectorIj11FixedVectorIiLj2EEEEZZNS1_16scan_by_key_implILNS1_25lookback_scan_determinismE0ELb1ES3_N6thrust23THRUST_200600_302600_NS6detail15normal_iteratorINSB_10device_ptrIjEEEENSD_INSE_IS6_EEEESI_S6_NSB_4plusIvEENSB_8equal_toIvEES6_EE10hipError_tPvRmT2_T3_T4_T5_mT6_T7_P12ihipStream_tbENKUlT_T0_E_clISt17integral_constantIbLb1EES12_IbLb0EEEEDaSY_SZ_EUlSY_E_NS1_11comp_targetILNS1_3genE10ELNS1_11target_archE1201ELNS1_3gpuE5ELNS1_3repE0EEENS1_30default_config_static_selectorELNS0_4arch9wavefront6targetE0EEEvT1_,@function
_ZN7rocprim17ROCPRIM_400000_NS6detail17trampoline_kernelINS0_14default_configENS1_27scan_by_key_config_selectorIj11FixedVectorIiLj2EEEEZZNS1_16scan_by_key_implILNS1_25lookback_scan_determinismE0ELb1ES3_N6thrust23THRUST_200600_302600_NS6detail15normal_iteratorINSB_10device_ptrIjEEEENSD_INSE_IS6_EEEESI_S6_NSB_4plusIvEENSB_8equal_toIvEES6_EE10hipError_tPvRmT2_T3_T4_T5_mT6_T7_P12ihipStream_tbENKUlT_T0_E_clISt17integral_constantIbLb1EES12_IbLb0EEEEDaSY_SZ_EUlSY_E_NS1_11comp_targetILNS1_3genE10ELNS1_11target_archE1201ELNS1_3gpuE5ELNS1_3repE0EEENS1_30default_config_static_selectorELNS0_4arch9wavefront6targetE0EEEvT1_: ; @_ZN7rocprim17ROCPRIM_400000_NS6detail17trampoline_kernelINS0_14default_configENS1_27scan_by_key_config_selectorIj11FixedVectorIiLj2EEEEZZNS1_16scan_by_key_implILNS1_25lookback_scan_determinismE0ELb1ES3_N6thrust23THRUST_200600_302600_NS6detail15normal_iteratorINSB_10device_ptrIjEEEENSD_INSE_IS6_EEEESI_S6_NSB_4plusIvEENSB_8equal_toIvEES6_EE10hipError_tPvRmT2_T3_T4_T5_mT6_T7_P12ihipStream_tbENKUlT_T0_E_clISt17integral_constantIbLb1EES12_IbLb0EEEEDaSY_SZ_EUlSY_E_NS1_11comp_targetILNS1_3genE10ELNS1_11target_archE1201ELNS1_3gpuE5ELNS1_3repE0EEENS1_30default_config_static_selectorELNS0_4arch9wavefront6targetE0EEEvT1_
; %bb.0:
	.section	.rodata,"a",@progbits
	.p2align	6, 0x0
	.amdhsa_kernel _ZN7rocprim17ROCPRIM_400000_NS6detail17trampoline_kernelINS0_14default_configENS1_27scan_by_key_config_selectorIj11FixedVectorIiLj2EEEEZZNS1_16scan_by_key_implILNS1_25lookback_scan_determinismE0ELb1ES3_N6thrust23THRUST_200600_302600_NS6detail15normal_iteratorINSB_10device_ptrIjEEEENSD_INSE_IS6_EEEESI_S6_NSB_4plusIvEENSB_8equal_toIvEES6_EE10hipError_tPvRmT2_T3_T4_T5_mT6_T7_P12ihipStream_tbENKUlT_T0_E_clISt17integral_constantIbLb1EES12_IbLb0EEEEDaSY_SZ_EUlSY_E_NS1_11comp_targetILNS1_3genE10ELNS1_11target_archE1201ELNS1_3gpuE5ELNS1_3repE0EEENS1_30default_config_static_selectorELNS0_4arch9wavefront6targetE0EEEvT1_
		.amdhsa_group_segment_fixed_size 0
		.amdhsa_private_segment_fixed_size 0
		.amdhsa_kernarg_size 120
		.amdhsa_user_sgpr_count 6
		.amdhsa_user_sgpr_private_segment_buffer 1
		.amdhsa_user_sgpr_dispatch_ptr 0
		.amdhsa_user_sgpr_queue_ptr 0
		.amdhsa_user_sgpr_kernarg_segment_ptr 1
		.amdhsa_user_sgpr_dispatch_id 0
		.amdhsa_user_sgpr_flat_scratch_init 0
		.amdhsa_user_sgpr_private_segment_size 0
		.amdhsa_wavefront_size32 1
		.amdhsa_uses_dynamic_stack 0
		.amdhsa_system_sgpr_private_segment_wavefront_offset 0
		.amdhsa_system_sgpr_workgroup_id_x 1
		.amdhsa_system_sgpr_workgroup_id_y 0
		.amdhsa_system_sgpr_workgroup_id_z 0
		.amdhsa_system_sgpr_workgroup_info 0
		.amdhsa_system_vgpr_workitem_id 0
		.amdhsa_next_free_vgpr 1
		.amdhsa_next_free_sgpr 1
		.amdhsa_reserve_vcc 0
		.amdhsa_reserve_flat_scratch 0
		.amdhsa_float_round_mode_32 0
		.amdhsa_float_round_mode_16_64 0
		.amdhsa_float_denorm_mode_32 3
		.amdhsa_float_denorm_mode_16_64 3
		.amdhsa_dx10_clamp 1
		.amdhsa_ieee_mode 1
		.amdhsa_fp16_overflow 0
		.amdhsa_workgroup_processor_mode 1
		.amdhsa_memory_ordered 1
		.amdhsa_forward_progress 1
		.amdhsa_shared_vgpr_count 0
		.amdhsa_exception_fp_ieee_invalid_op 0
		.amdhsa_exception_fp_denorm_src 0
		.amdhsa_exception_fp_ieee_div_zero 0
		.amdhsa_exception_fp_ieee_overflow 0
		.amdhsa_exception_fp_ieee_underflow 0
		.amdhsa_exception_fp_ieee_inexact 0
		.amdhsa_exception_int_div_zero 0
	.end_amdhsa_kernel
	.section	.text._ZN7rocprim17ROCPRIM_400000_NS6detail17trampoline_kernelINS0_14default_configENS1_27scan_by_key_config_selectorIj11FixedVectorIiLj2EEEEZZNS1_16scan_by_key_implILNS1_25lookback_scan_determinismE0ELb1ES3_N6thrust23THRUST_200600_302600_NS6detail15normal_iteratorINSB_10device_ptrIjEEEENSD_INSE_IS6_EEEESI_S6_NSB_4plusIvEENSB_8equal_toIvEES6_EE10hipError_tPvRmT2_T3_T4_T5_mT6_T7_P12ihipStream_tbENKUlT_T0_E_clISt17integral_constantIbLb1EES12_IbLb0EEEEDaSY_SZ_EUlSY_E_NS1_11comp_targetILNS1_3genE10ELNS1_11target_archE1201ELNS1_3gpuE5ELNS1_3repE0EEENS1_30default_config_static_selectorELNS0_4arch9wavefront6targetE0EEEvT1_,"axG",@progbits,_ZN7rocprim17ROCPRIM_400000_NS6detail17trampoline_kernelINS0_14default_configENS1_27scan_by_key_config_selectorIj11FixedVectorIiLj2EEEEZZNS1_16scan_by_key_implILNS1_25lookback_scan_determinismE0ELb1ES3_N6thrust23THRUST_200600_302600_NS6detail15normal_iteratorINSB_10device_ptrIjEEEENSD_INSE_IS6_EEEESI_S6_NSB_4plusIvEENSB_8equal_toIvEES6_EE10hipError_tPvRmT2_T3_T4_T5_mT6_T7_P12ihipStream_tbENKUlT_T0_E_clISt17integral_constantIbLb1EES12_IbLb0EEEEDaSY_SZ_EUlSY_E_NS1_11comp_targetILNS1_3genE10ELNS1_11target_archE1201ELNS1_3gpuE5ELNS1_3repE0EEENS1_30default_config_static_selectorELNS0_4arch9wavefront6targetE0EEEvT1_,comdat
.Lfunc_end2012:
	.size	_ZN7rocprim17ROCPRIM_400000_NS6detail17trampoline_kernelINS0_14default_configENS1_27scan_by_key_config_selectorIj11FixedVectorIiLj2EEEEZZNS1_16scan_by_key_implILNS1_25lookback_scan_determinismE0ELb1ES3_N6thrust23THRUST_200600_302600_NS6detail15normal_iteratorINSB_10device_ptrIjEEEENSD_INSE_IS6_EEEESI_S6_NSB_4plusIvEENSB_8equal_toIvEES6_EE10hipError_tPvRmT2_T3_T4_T5_mT6_T7_P12ihipStream_tbENKUlT_T0_E_clISt17integral_constantIbLb1EES12_IbLb0EEEEDaSY_SZ_EUlSY_E_NS1_11comp_targetILNS1_3genE10ELNS1_11target_archE1201ELNS1_3gpuE5ELNS1_3repE0EEENS1_30default_config_static_selectorELNS0_4arch9wavefront6targetE0EEEvT1_, .Lfunc_end2012-_ZN7rocprim17ROCPRIM_400000_NS6detail17trampoline_kernelINS0_14default_configENS1_27scan_by_key_config_selectorIj11FixedVectorIiLj2EEEEZZNS1_16scan_by_key_implILNS1_25lookback_scan_determinismE0ELb1ES3_N6thrust23THRUST_200600_302600_NS6detail15normal_iteratorINSB_10device_ptrIjEEEENSD_INSE_IS6_EEEESI_S6_NSB_4plusIvEENSB_8equal_toIvEES6_EE10hipError_tPvRmT2_T3_T4_T5_mT6_T7_P12ihipStream_tbENKUlT_T0_E_clISt17integral_constantIbLb1EES12_IbLb0EEEEDaSY_SZ_EUlSY_E_NS1_11comp_targetILNS1_3genE10ELNS1_11target_archE1201ELNS1_3gpuE5ELNS1_3repE0EEENS1_30default_config_static_selectorELNS0_4arch9wavefront6targetE0EEEvT1_
                                        ; -- End function
	.set _ZN7rocprim17ROCPRIM_400000_NS6detail17trampoline_kernelINS0_14default_configENS1_27scan_by_key_config_selectorIj11FixedVectorIiLj2EEEEZZNS1_16scan_by_key_implILNS1_25lookback_scan_determinismE0ELb1ES3_N6thrust23THRUST_200600_302600_NS6detail15normal_iteratorINSB_10device_ptrIjEEEENSD_INSE_IS6_EEEESI_S6_NSB_4plusIvEENSB_8equal_toIvEES6_EE10hipError_tPvRmT2_T3_T4_T5_mT6_T7_P12ihipStream_tbENKUlT_T0_E_clISt17integral_constantIbLb1EES12_IbLb0EEEEDaSY_SZ_EUlSY_E_NS1_11comp_targetILNS1_3genE10ELNS1_11target_archE1201ELNS1_3gpuE5ELNS1_3repE0EEENS1_30default_config_static_selectorELNS0_4arch9wavefront6targetE0EEEvT1_.num_vgpr, 0
	.set _ZN7rocprim17ROCPRIM_400000_NS6detail17trampoline_kernelINS0_14default_configENS1_27scan_by_key_config_selectorIj11FixedVectorIiLj2EEEEZZNS1_16scan_by_key_implILNS1_25lookback_scan_determinismE0ELb1ES3_N6thrust23THRUST_200600_302600_NS6detail15normal_iteratorINSB_10device_ptrIjEEEENSD_INSE_IS6_EEEESI_S6_NSB_4plusIvEENSB_8equal_toIvEES6_EE10hipError_tPvRmT2_T3_T4_T5_mT6_T7_P12ihipStream_tbENKUlT_T0_E_clISt17integral_constantIbLb1EES12_IbLb0EEEEDaSY_SZ_EUlSY_E_NS1_11comp_targetILNS1_3genE10ELNS1_11target_archE1201ELNS1_3gpuE5ELNS1_3repE0EEENS1_30default_config_static_selectorELNS0_4arch9wavefront6targetE0EEEvT1_.num_agpr, 0
	.set _ZN7rocprim17ROCPRIM_400000_NS6detail17trampoline_kernelINS0_14default_configENS1_27scan_by_key_config_selectorIj11FixedVectorIiLj2EEEEZZNS1_16scan_by_key_implILNS1_25lookback_scan_determinismE0ELb1ES3_N6thrust23THRUST_200600_302600_NS6detail15normal_iteratorINSB_10device_ptrIjEEEENSD_INSE_IS6_EEEESI_S6_NSB_4plusIvEENSB_8equal_toIvEES6_EE10hipError_tPvRmT2_T3_T4_T5_mT6_T7_P12ihipStream_tbENKUlT_T0_E_clISt17integral_constantIbLb1EES12_IbLb0EEEEDaSY_SZ_EUlSY_E_NS1_11comp_targetILNS1_3genE10ELNS1_11target_archE1201ELNS1_3gpuE5ELNS1_3repE0EEENS1_30default_config_static_selectorELNS0_4arch9wavefront6targetE0EEEvT1_.numbered_sgpr, 0
	.set _ZN7rocprim17ROCPRIM_400000_NS6detail17trampoline_kernelINS0_14default_configENS1_27scan_by_key_config_selectorIj11FixedVectorIiLj2EEEEZZNS1_16scan_by_key_implILNS1_25lookback_scan_determinismE0ELb1ES3_N6thrust23THRUST_200600_302600_NS6detail15normal_iteratorINSB_10device_ptrIjEEEENSD_INSE_IS6_EEEESI_S6_NSB_4plusIvEENSB_8equal_toIvEES6_EE10hipError_tPvRmT2_T3_T4_T5_mT6_T7_P12ihipStream_tbENKUlT_T0_E_clISt17integral_constantIbLb1EES12_IbLb0EEEEDaSY_SZ_EUlSY_E_NS1_11comp_targetILNS1_3genE10ELNS1_11target_archE1201ELNS1_3gpuE5ELNS1_3repE0EEENS1_30default_config_static_selectorELNS0_4arch9wavefront6targetE0EEEvT1_.num_named_barrier, 0
	.set _ZN7rocprim17ROCPRIM_400000_NS6detail17trampoline_kernelINS0_14default_configENS1_27scan_by_key_config_selectorIj11FixedVectorIiLj2EEEEZZNS1_16scan_by_key_implILNS1_25lookback_scan_determinismE0ELb1ES3_N6thrust23THRUST_200600_302600_NS6detail15normal_iteratorINSB_10device_ptrIjEEEENSD_INSE_IS6_EEEESI_S6_NSB_4plusIvEENSB_8equal_toIvEES6_EE10hipError_tPvRmT2_T3_T4_T5_mT6_T7_P12ihipStream_tbENKUlT_T0_E_clISt17integral_constantIbLb1EES12_IbLb0EEEEDaSY_SZ_EUlSY_E_NS1_11comp_targetILNS1_3genE10ELNS1_11target_archE1201ELNS1_3gpuE5ELNS1_3repE0EEENS1_30default_config_static_selectorELNS0_4arch9wavefront6targetE0EEEvT1_.private_seg_size, 0
	.set _ZN7rocprim17ROCPRIM_400000_NS6detail17trampoline_kernelINS0_14default_configENS1_27scan_by_key_config_selectorIj11FixedVectorIiLj2EEEEZZNS1_16scan_by_key_implILNS1_25lookback_scan_determinismE0ELb1ES3_N6thrust23THRUST_200600_302600_NS6detail15normal_iteratorINSB_10device_ptrIjEEEENSD_INSE_IS6_EEEESI_S6_NSB_4plusIvEENSB_8equal_toIvEES6_EE10hipError_tPvRmT2_T3_T4_T5_mT6_T7_P12ihipStream_tbENKUlT_T0_E_clISt17integral_constantIbLb1EES12_IbLb0EEEEDaSY_SZ_EUlSY_E_NS1_11comp_targetILNS1_3genE10ELNS1_11target_archE1201ELNS1_3gpuE5ELNS1_3repE0EEENS1_30default_config_static_selectorELNS0_4arch9wavefront6targetE0EEEvT1_.uses_vcc, 0
	.set _ZN7rocprim17ROCPRIM_400000_NS6detail17trampoline_kernelINS0_14default_configENS1_27scan_by_key_config_selectorIj11FixedVectorIiLj2EEEEZZNS1_16scan_by_key_implILNS1_25lookback_scan_determinismE0ELb1ES3_N6thrust23THRUST_200600_302600_NS6detail15normal_iteratorINSB_10device_ptrIjEEEENSD_INSE_IS6_EEEESI_S6_NSB_4plusIvEENSB_8equal_toIvEES6_EE10hipError_tPvRmT2_T3_T4_T5_mT6_T7_P12ihipStream_tbENKUlT_T0_E_clISt17integral_constantIbLb1EES12_IbLb0EEEEDaSY_SZ_EUlSY_E_NS1_11comp_targetILNS1_3genE10ELNS1_11target_archE1201ELNS1_3gpuE5ELNS1_3repE0EEENS1_30default_config_static_selectorELNS0_4arch9wavefront6targetE0EEEvT1_.uses_flat_scratch, 0
	.set _ZN7rocprim17ROCPRIM_400000_NS6detail17trampoline_kernelINS0_14default_configENS1_27scan_by_key_config_selectorIj11FixedVectorIiLj2EEEEZZNS1_16scan_by_key_implILNS1_25lookback_scan_determinismE0ELb1ES3_N6thrust23THRUST_200600_302600_NS6detail15normal_iteratorINSB_10device_ptrIjEEEENSD_INSE_IS6_EEEESI_S6_NSB_4plusIvEENSB_8equal_toIvEES6_EE10hipError_tPvRmT2_T3_T4_T5_mT6_T7_P12ihipStream_tbENKUlT_T0_E_clISt17integral_constantIbLb1EES12_IbLb0EEEEDaSY_SZ_EUlSY_E_NS1_11comp_targetILNS1_3genE10ELNS1_11target_archE1201ELNS1_3gpuE5ELNS1_3repE0EEENS1_30default_config_static_selectorELNS0_4arch9wavefront6targetE0EEEvT1_.has_dyn_sized_stack, 0
	.set _ZN7rocprim17ROCPRIM_400000_NS6detail17trampoline_kernelINS0_14default_configENS1_27scan_by_key_config_selectorIj11FixedVectorIiLj2EEEEZZNS1_16scan_by_key_implILNS1_25lookback_scan_determinismE0ELb1ES3_N6thrust23THRUST_200600_302600_NS6detail15normal_iteratorINSB_10device_ptrIjEEEENSD_INSE_IS6_EEEESI_S6_NSB_4plusIvEENSB_8equal_toIvEES6_EE10hipError_tPvRmT2_T3_T4_T5_mT6_T7_P12ihipStream_tbENKUlT_T0_E_clISt17integral_constantIbLb1EES12_IbLb0EEEEDaSY_SZ_EUlSY_E_NS1_11comp_targetILNS1_3genE10ELNS1_11target_archE1201ELNS1_3gpuE5ELNS1_3repE0EEENS1_30default_config_static_selectorELNS0_4arch9wavefront6targetE0EEEvT1_.has_recursion, 0
	.set _ZN7rocprim17ROCPRIM_400000_NS6detail17trampoline_kernelINS0_14default_configENS1_27scan_by_key_config_selectorIj11FixedVectorIiLj2EEEEZZNS1_16scan_by_key_implILNS1_25lookback_scan_determinismE0ELb1ES3_N6thrust23THRUST_200600_302600_NS6detail15normal_iteratorINSB_10device_ptrIjEEEENSD_INSE_IS6_EEEESI_S6_NSB_4plusIvEENSB_8equal_toIvEES6_EE10hipError_tPvRmT2_T3_T4_T5_mT6_T7_P12ihipStream_tbENKUlT_T0_E_clISt17integral_constantIbLb1EES12_IbLb0EEEEDaSY_SZ_EUlSY_E_NS1_11comp_targetILNS1_3genE10ELNS1_11target_archE1201ELNS1_3gpuE5ELNS1_3repE0EEENS1_30default_config_static_selectorELNS0_4arch9wavefront6targetE0EEEvT1_.has_indirect_call, 0
	.section	.AMDGPU.csdata,"",@progbits
; Kernel info:
; codeLenInByte = 0
; TotalNumSgprs: 0
; NumVgprs: 0
; ScratchSize: 0
; MemoryBound: 0
; FloatMode: 240
; IeeeMode: 1
; LDSByteSize: 0 bytes/workgroup (compile time only)
; SGPRBlocks: 0
; VGPRBlocks: 0
; NumSGPRsForWavesPerEU: 1
; NumVGPRsForWavesPerEU: 1
; Occupancy: 16
; WaveLimiterHint : 0
; COMPUTE_PGM_RSRC2:SCRATCH_EN: 0
; COMPUTE_PGM_RSRC2:USER_SGPR: 6
; COMPUTE_PGM_RSRC2:TRAP_HANDLER: 0
; COMPUTE_PGM_RSRC2:TGID_X_EN: 1
; COMPUTE_PGM_RSRC2:TGID_Y_EN: 0
; COMPUTE_PGM_RSRC2:TGID_Z_EN: 0
; COMPUTE_PGM_RSRC2:TIDIG_COMP_CNT: 0
	.section	.text._ZN7rocprim17ROCPRIM_400000_NS6detail17trampoline_kernelINS0_14default_configENS1_27scan_by_key_config_selectorIj11FixedVectorIiLj2EEEEZZNS1_16scan_by_key_implILNS1_25lookback_scan_determinismE0ELb1ES3_N6thrust23THRUST_200600_302600_NS6detail15normal_iteratorINSB_10device_ptrIjEEEENSD_INSE_IS6_EEEESI_S6_NSB_4plusIvEENSB_8equal_toIvEES6_EE10hipError_tPvRmT2_T3_T4_T5_mT6_T7_P12ihipStream_tbENKUlT_T0_E_clISt17integral_constantIbLb1EES12_IbLb0EEEEDaSY_SZ_EUlSY_E_NS1_11comp_targetILNS1_3genE5ELNS1_11target_archE942ELNS1_3gpuE9ELNS1_3repE0EEENS1_30default_config_static_selectorELNS0_4arch9wavefront6targetE0EEEvT1_,"axG",@progbits,_ZN7rocprim17ROCPRIM_400000_NS6detail17trampoline_kernelINS0_14default_configENS1_27scan_by_key_config_selectorIj11FixedVectorIiLj2EEEEZZNS1_16scan_by_key_implILNS1_25lookback_scan_determinismE0ELb1ES3_N6thrust23THRUST_200600_302600_NS6detail15normal_iteratorINSB_10device_ptrIjEEEENSD_INSE_IS6_EEEESI_S6_NSB_4plusIvEENSB_8equal_toIvEES6_EE10hipError_tPvRmT2_T3_T4_T5_mT6_T7_P12ihipStream_tbENKUlT_T0_E_clISt17integral_constantIbLb1EES12_IbLb0EEEEDaSY_SZ_EUlSY_E_NS1_11comp_targetILNS1_3genE5ELNS1_11target_archE942ELNS1_3gpuE9ELNS1_3repE0EEENS1_30default_config_static_selectorELNS0_4arch9wavefront6targetE0EEEvT1_,comdat
	.protected	_ZN7rocprim17ROCPRIM_400000_NS6detail17trampoline_kernelINS0_14default_configENS1_27scan_by_key_config_selectorIj11FixedVectorIiLj2EEEEZZNS1_16scan_by_key_implILNS1_25lookback_scan_determinismE0ELb1ES3_N6thrust23THRUST_200600_302600_NS6detail15normal_iteratorINSB_10device_ptrIjEEEENSD_INSE_IS6_EEEESI_S6_NSB_4plusIvEENSB_8equal_toIvEES6_EE10hipError_tPvRmT2_T3_T4_T5_mT6_T7_P12ihipStream_tbENKUlT_T0_E_clISt17integral_constantIbLb1EES12_IbLb0EEEEDaSY_SZ_EUlSY_E_NS1_11comp_targetILNS1_3genE5ELNS1_11target_archE942ELNS1_3gpuE9ELNS1_3repE0EEENS1_30default_config_static_selectorELNS0_4arch9wavefront6targetE0EEEvT1_ ; -- Begin function _ZN7rocprim17ROCPRIM_400000_NS6detail17trampoline_kernelINS0_14default_configENS1_27scan_by_key_config_selectorIj11FixedVectorIiLj2EEEEZZNS1_16scan_by_key_implILNS1_25lookback_scan_determinismE0ELb1ES3_N6thrust23THRUST_200600_302600_NS6detail15normal_iteratorINSB_10device_ptrIjEEEENSD_INSE_IS6_EEEESI_S6_NSB_4plusIvEENSB_8equal_toIvEES6_EE10hipError_tPvRmT2_T3_T4_T5_mT6_T7_P12ihipStream_tbENKUlT_T0_E_clISt17integral_constantIbLb1EES12_IbLb0EEEEDaSY_SZ_EUlSY_E_NS1_11comp_targetILNS1_3genE5ELNS1_11target_archE942ELNS1_3gpuE9ELNS1_3repE0EEENS1_30default_config_static_selectorELNS0_4arch9wavefront6targetE0EEEvT1_
	.globl	_ZN7rocprim17ROCPRIM_400000_NS6detail17trampoline_kernelINS0_14default_configENS1_27scan_by_key_config_selectorIj11FixedVectorIiLj2EEEEZZNS1_16scan_by_key_implILNS1_25lookback_scan_determinismE0ELb1ES3_N6thrust23THRUST_200600_302600_NS6detail15normal_iteratorINSB_10device_ptrIjEEEENSD_INSE_IS6_EEEESI_S6_NSB_4plusIvEENSB_8equal_toIvEES6_EE10hipError_tPvRmT2_T3_T4_T5_mT6_T7_P12ihipStream_tbENKUlT_T0_E_clISt17integral_constantIbLb1EES12_IbLb0EEEEDaSY_SZ_EUlSY_E_NS1_11comp_targetILNS1_3genE5ELNS1_11target_archE942ELNS1_3gpuE9ELNS1_3repE0EEENS1_30default_config_static_selectorELNS0_4arch9wavefront6targetE0EEEvT1_
	.p2align	8
	.type	_ZN7rocprim17ROCPRIM_400000_NS6detail17trampoline_kernelINS0_14default_configENS1_27scan_by_key_config_selectorIj11FixedVectorIiLj2EEEEZZNS1_16scan_by_key_implILNS1_25lookback_scan_determinismE0ELb1ES3_N6thrust23THRUST_200600_302600_NS6detail15normal_iteratorINSB_10device_ptrIjEEEENSD_INSE_IS6_EEEESI_S6_NSB_4plusIvEENSB_8equal_toIvEES6_EE10hipError_tPvRmT2_T3_T4_T5_mT6_T7_P12ihipStream_tbENKUlT_T0_E_clISt17integral_constantIbLb1EES12_IbLb0EEEEDaSY_SZ_EUlSY_E_NS1_11comp_targetILNS1_3genE5ELNS1_11target_archE942ELNS1_3gpuE9ELNS1_3repE0EEENS1_30default_config_static_selectorELNS0_4arch9wavefront6targetE0EEEvT1_,@function
_ZN7rocprim17ROCPRIM_400000_NS6detail17trampoline_kernelINS0_14default_configENS1_27scan_by_key_config_selectorIj11FixedVectorIiLj2EEEEZZNS1_16scan_by_key_implILNS1_25lookback_scan_determinismE0ELb1ES3_N6thrust23THRUST_200600_302600_NS6detail15normal_iteratorINSB_10device_ptrIjEEEENSD_INSE_IS6_EEEESI_S6_NSB_4plusIvEENSB_8equal_toIvEES6_EE10hipError_tPvRmT2_T3_T4_T5_mT6_T7_P12ihipStream_tbENKUlT_T0_E_clISt17integral_constantIbLb1EES12_IbLb0EEEEDaSY_SZ_EUlSY_E_NS1_11comp_targetILNS1_3genE5ELNS1_11target_archE942ELNS1_3gpuE9ELNS1_3repE0EEENS1_30default_config_static_selectorELNS0_4arch9wavefront6targetE0EEEvT1_: ; @_ZN7rocprim17ROCPRIM_400000_NS6detail17trampoline_kernelINS0_14default_configENS1_27scan_by_key_config_selectorIj11FixedVectorIiLj2EEEEZZNS1_16scan_by_key_implILNS1_25lookback_scan_determinismE0ELb1ES3_N6thrust23THRUST_200600_302600_NS6detail15normal_iteratorINSB_10device_ptrIjEEEENSD_INSE_IS6_EEEESI_S6_NSB_4plusIvEENSB_8equal_toIvEES6_EE10hipError_tPvRmT2_T3_T4_T5_mT6_T7_P12ihipStream_tbENKUlT_T0_E_clISt17integral_constantIbLb1EES12_IbLb0EEEEDaSY_SZ_EUlSY_E_NS1_11comp_targetILNS1_3genE5ELNS1_11target_archE942ELNS1_3gpuE9ELNS1_3repE0EEENS1_30default_config_static_selectorELNS0_4arch9wavefront6targetE0EEEvT1_
; %bb.0:
	.section	.rodata,"a",@progbits
	.p2align	6, 0x0
	.amdhsa_kernel _ZN7rocprim17ROCPRIM_400000_NS6detail17trampoline_kernelINS0_14default_configENS1_27scan_by_key_config_selectorIj11FixedVectorIiLj2EEEEZZNS1_16scan_by_key_implILNS1_25lookback_scan_determinismE0ELb1ES3_N6thrust23THRUST_200600_302600_NS6detail15normal_iteratorINSB_10device_ptrIjEEEENSD_INSE_IS6_EEEESI_S6_NSB_4plusIvEENSB_8equal_toIvEES6_EE10hipError_tPvRmT2_T3_T4_T5_mT6_T7_P12ihipStream_tbENKUlT_T0_E_clISt17integral_constantIbLb1EES12_IbLb0EEEEDaSY_SZ_EUlSY_E_NS1_11comp_targetILNS1_3genE5ELNS1_11target_archE942ELNS1_3gpuE9ELNS1_3repE0EEENS1_30default_config_static_selectorELNS0_4arch9wavefront6targetE0EEEvT1_
		.amdhsa_group_segment_fixed_size 0
		.amdhsa_private_segment_fixed_size 0
		.amdhsa_kernarg_size 120
		.amdhsa_user_sgpr_count 6
		.amdhsa_user_sgpr_private_segment_buffer 1
		.amdhsa_user_sgpr_dispatch_ptr 0
		.amdhsa_user_sgpr_queue_ptr 0
		.amdhsa_user_sgpr_kernarg_segment_ptr 1
		.amdhsa_user_sgpr_dispatch_id 0
		.amdhsa_user_sgpr_flat_scratch_init 0
		.amdhsa_user_sgpr_private_segment_size 0
		.amdhsa_wavefront_size32 1
		.amdhsa_uses_dynamic_stack 0
		.amdhsa_system_sgpr_private_segment_wavefront_offset 0
		.amdhsa_system_sgpr_workgroup_id_x 1
		.amdhsa_system_sgpr_workgroup_id_y 0
		.amdhsa_system_sgpr_workgroup_id_z 0
		.amdhsa_system_sgpr_workgroup_info 0
		.amdhsa_system_vgpr_workitem_id 0
		.amdhsa_next_free_vgpr 1
		.amdhsa_next_free_sgpr 1
		.amdhsa_reserve_vcc 0
		.amdhsa_reserve_flat_scratch 0
		.amdhsa_float_round_mode_32 0
		.amdhsa_float_round_mode_16_64 0
		.amdhsa_float_denorm_mode_32 3
		.amdhsa_float_denorm_mode_16_64 3
		.amdhsa_dx10_clamp 1
		.amdhsa_ieee_mode 1
		.amdhsa_fp16_overflow 0
		.amdhsa_workgroup_processor_mode 1
		.amdhsa_memory_ordered 1
		.amdhsa_forward_progress 1
		.amdhsa_shared_vgpr_count 0
		.amdhsa_exception_fp_ieee_invalid_op 0
		.amdhsa_exception_fp_denorm_src 0
		.amdhsa_exception_fp_ieee_div_zero 0
		.amdhsa_exception_fp_ieee_overflow 0
		.amdhsa_exception_fp_ieee_underflow 0
		.amdhsa_exception_fp_ieee_inexact 0
		.amdhsa_exception_int_div_zero 0
	.end_amdhsa_kernel
	.section	.text._ZN7rocprim17ROCPRIM_400000_NS6detail17trampoline_kernelINS0_14default_configENS1_27scan_by_key_config_selectorIj11FixedVectorIiLj2EEEEZZNS1_16scan_by_key_implILNS1_25lookback_scan_determinismE0ELb1ES3_N6thrust23THRUST_200600_302600_NS6detail15normal_iteratorINSB_10device_ptrIjEEEENSD_INSE_IS6_EEEESI_S6_NSB_4plusIvEENSB_8equal_toIvEES6_EE10hipError_tPvRmT2_T3_T4_T5_mT6_T7_P12ihipStream_tbENKUlT_T0_E_clISt17integral_constantIbLb1EES12_IbLb0EEEEDaSY_SZ_EUlSY_E_NS1_11comp_targetILNS1_3genE5ELNS1_11target_archE942ELNS1_3gpuE9ELNS1_3repE0EEENS1_30default_config_static_selectorELNS0_4arch9wavefront6targetE0EEEvT1_,"axG",@progbits,_ZN7rocprim17ROCPRIM_400000_NS6detail17trampoline_kernelINS0_14default_configENS1_27scan_by_key_config_selectorIj11FixedVectorIiLj2EEEEZZNS1_16scan_by_key_implILNS1_25lookback_scan_determinismE0ELb1ES3_N6thrust23THRUST_200600_302600_NS6detail15normal_iteratorINSB_10device_ptrIjEEEENSD_INSE_IS6_EEEESI_S6_NSB_4plusIvEENSB_8equal_toIvEES6_EE10hipError_tPvRmT2_T3_T4_T5_mT6_T7_P12ihipStream_tbENKUlT_T0_E_clISt17integral_constantIbLb1EES12_IbLb0EEEEDaSY_SZ_EUlSY_E_NS1_11comp_targetILNS1_3genE5ELNS1_11target_archE942ELNS1_3gpuE9ELNS1_3repE0EEENS1_30default_config_static_selectorELNS0_4arch9wavefront6targetE0EEEvT1_,comdat
.Lfunc_end2013:
	.size	_ZN7rocprim17ROCPRIM_400000_NS6detail17trampoline_kernelINS0_14default_configENS1_27scan_by_key_config_selectorIj11FixedVectorIiLj2EEEEZZNS1_16scan_by_key_implILNS1_25lookback_scan_determinismE0ELb1ES3_N6thrust23THRUST_200600_302600_NS6detail15normal_iteratorINSB_10device_ptrIjEEEENSD_INSE_IS6_EEEESI_S6_NSB_4plusIvEENSB_8equal_toIvEES6_EE10hipError_tPvRmT2_T3_T4_T5_mT6_T7_P12ihipStream_tbENKUlT_T0_E_clISt17integral_constantIbLb1EES12_IbLb0EEEEDaSY_SZ_EUlSY_E_NS1_11comp_targetILNS1_3genE5ELNS1_11target_archE942ELNS1_3gpuE9ELNS1_3repE0EEENS1_30default_config_static_selectorELNS0_4arch9wavefront6targetE0EEEvT1_, .Lfunc_end2013-_ZN7rocprim17ROCPRIM_400000_NS6detail17trampoline_kernelINS0_14default_configENS1_27scan_by_key_config_selectorIj11FixedVectorIiLj2EEEEZZNS1_16scan_by_key_implILNS1_25lookback_scan_determinismE0ELb1ES3_N6thrust23THRUST_200600_302600_NS6detail15normal_iteratorINSB_10device_ptrIjEEEENSD_INSE_IS6_EEEESI_S6_NSB_4plusIvEENSB_8equal_toIvEES6_EE10hipError_tPvRmT2_T3_T4_T5_mT6_T7_P12ihipStream_tbENKUlT_T0_E_clISt17integral_constantIbLb1EES12_IbLb0EEEEDaSY_SZ_EUlSY_E_NS1_11comp_targetILNS1_3genE5ELNS1_11target_archE942ELNS1_3gpuE9ELNS1_3repE0EEENS1_30default_config_static_selectorELNS0_4arch9wavefront6targetE0EEEvT1_
                                        ; -- End function
	.set _ZN7rocprim17ROCPRIM_400000_NS6detail17trampoline_kernelINS0_14default_configENS1_27scan_by_key_config_selectorIj11FixedVectorIiLj2EEEEZZNS1_16scan_by_key_implILNS1_25lookback_scan_determinismE0ELb1ES3_N6thrust23THRUST_200600_302600_NS6detail15normal_iteratorINSB_10device_ptrIjEEEENSD_INSE_IS6_EEEESI_S6_NSB_4plusIvEENSB_8equal_toIvEES6_EE10hipError_tPvRmT2_T3_T4_T5_mT6_T7_P12ihipStream_tbENKUlT_T0_E_clISt17integral_constantIbLb1EES12_IbLb0EEEEDaSY_SZ_EUlSY_E_NS1_11comp_targetILNS1_3genE5ELNS1_11target_archE942ELNS1_3gpuE9ELNS1_3repE0EEENS1_30default_config_static_selectorELNS0_4arch9wavefront6targetE0EEEvT1_.num_vgpr, 0
	.set _ZN7rocprim17ROCPRIM_400000_NS6detail17trampoline_kernelINS0_14default_configENS1_27scan_by_key_config_selectorIj11FixedVectorIiLj2EEEEZZNS1_16scan_by_key_implILNS1_25lookback_scan_determinismE0ELb1ES3_N6thrust23THRUST_200600_302600_NS6detail15normal_iteratorINSB_10device_ptrIjEEEENSD_INSE_IS6_EEEESI_S6_NSB_4plusIvEENSB_8equal_toIvEES6_EE10hipError_tPvRmT2_T3_T4_T5_mT6_T7_P12ihipStream_tbENKUlT_T0_E_clISt17integral_constantIbLb1EES12_IbLb0EEEEDaSY_SZ_EUlSY_E_NS1_11comp_targetILNS1_3genE5ELNS1_11target_archE942ELNS1_3gpuE9ELNS1_3repE0EEENS1_30default_config_static_selectorELNS0_4arch9wavefront6targetE0EEEvT1_.num_agpr, 0
	.set _ZN7rocprim17ROCPRIM_400000_NS6detail17trampoline_kernelINS0_14default_configENS1_27scan_by_key_config_selectorIj11FixedVectorIiLj2EEEEZZNS1_16scan_by_key_implILNS1_25lookback_scan_determinismE0ELb1ES3_N6thrust23THRUST_200600_302600_NS6detail15normal_iteratorINSB_10device_ptrIjEEEENSD_INSE_IS6_EEEESI_S6_NSB_4plusIvEENSB_8equal_toIvEES6_EE10hipError_tPvRmT2_T3_T4_T5_mT6_T7_P12ihipStream_tbENKUlT_T0_E_clISt17integral_constantIbLb1EES12_IbLb0EEEEDaSY_SZ_EUlSY_E_NS1_11comp_targetILNS1_3genE5ELNS1_11target_archE942ELNS1_3gpuE9ELNS1_3repE0EEENS1_30default_config_static_selectorELNS0_4arch9wavefront6targetE0EEEvT1_.numbered_sgpr, 0
	.set _ZN7rocprim17ROCPRIM_400000_NS6detail17trampoline_kernelINS0_14default_configENS1_27scan_by_key_config_selectorIj11FixedVectorIiLj2EEEEZZNS1_16scan_by_key_implILNS1_25lookback_scan_determinismE0ELb1ES3_N6thrust23THRUST_200600_302600_NS6detail15normal_iteratorINSB_10device_ptrIjEEEENSD_INSE_IS6_EEEESI_S6_NSB_4plusIvEENSB_8equal_toIvEES6_EE10hipError_tPvRmT2_T3_T4_T5_mT6_T7_P12ihipStream_tbENKUlT_T0_E_clISt17integral_constantIbLb1EES12_IbLb0EEEEDaSY_SZ_EUlSY_E_NS1_11comp_targetILNS1_3genE5ELNS1_11target_archE942ELNS1_3gpuE9ELNS1_3repE0EEENS1_30default_config_static_selectorELNS0_4arch9wavefront6targetE0EEEvT1_.num_named_barrier, 0
	.set _ZN7rocprim17ROCPRIM_400000_NS6detail17trampoline_kernelINS0_14default_configENS1_27scan_by_key_config_selectorIj11FixedVectorIiLj2EEEEZZNS1_16scan_by_key_implILNS1_25lookback_scan_determinismE0ELb1ES3_N6thrust23THRUST_200600_302600_NS6detail15normal_iteratorINSB_10device_ptrIjEEEENSD_INSE_IS6_EEEESI_S6_NSB_4plusIvEENSB_8equal_toIvEES6_EE10hipError_tPvRmT2_T3_T4_T5_mT6_T7_P12ihipStream_tbENKUlT_T0_E_clISt17integral_constantIbLb1EES12_IbLb0EEEEDaSY_SZ_EUlSY_E_NS1_11comp_targetILNS1_3genE5ELNS1_11target_archE942ELNS1_3gpuE9ELNS1_3repE0EEENS1_30default_config_static_selectorELNS0_4arch9wavefront6targetE0EEEvT1_.private_seg_size, 0
	.set _ZN7rocprim17ROCPRIM_400000_NS6detail17trampoline_kernelINS0_14default_configENS1_27scan_by_key_config_selectorIj11FixedVectorIiLj2EEEEZZNS1_16scan_by_key_implILNS1_25lookback_scan_determinismE0ELb1ES3_N6thrust23THRUST_200600_302600_NS6detail15normal_iteratorINSB_10device_ptrIjEEEENSD_INSE_IS6_EEEESI_S6_NSB_4plusIvEENSB_8equal_toIvEES6_EE10hipError_tPvRmT2_T3_T4_T5_mT6_T7_P12ihipStream_tbENKUlT_T0_E_clISt17integral_constantIbLb1EES12_IbLb0EEEEDaSY_SZ_EUlSY_E_NS1_11comp_targetILNS1_3genE5ELNS1_11target_archE942ELNS1_3gpuE9ELNS1_3repE0EEENS1_30default_config_static_selectorELNS0_4arch9wavefront6targetE0EEEvT1_.uses_vcc, 0
	.set _ZN7rocprim17ROCPRIM_400000_NS6detail17trampoline_kernelINS0_14default_configENS1_27scan_by_key_config_selectorIj11FixedVectorIiLj2EEEEZZNS1_16scan_by_key_implILNS1_25lookback_scan_determinismE0ELb1ES3_N6thrust23THRUST_200600_302600_NS6detail15normal_iteratorINSB_10device_ptrIjEEEENSD_INSE_IS6_EEEESI_S6_NSB_4plusIvEENSB_8equal_toIvEES6_EE10hipError_tPvRmT2_T3_T4_T5_mT6_T7_P12ihipStream_tbENKUlT_T0_E_clISt17integral_constantIbLb1EES12_IbLb0EEEEDaSY_SZ_EUlSY_E_NS1_11comp_targetILNS1_3genE5ELNS1_11target_archE942ELNS1_3gpuE9ELNS1_3repE0EEENS1_30default_config_static_selectorELNS0_4arch9wavefront6targetE0EEEvT1_.uses_flat_scratch, 0
	.set _ZN7rocprim17ROCPRIM_400000_NS6detail17trampoline_kernelINS0_14default_configENS1_27scan_by_key_config_selectorIj11FixedVectorIiLj2EEEEZZNS1_16scan_by_key_implILNS1_25lookback_scan_determinismE0ELb1ES3_N6thrust23THRUST_200600_302600_NS6detail15normal_iteratorINSB_10device_ptrIjEEEENSD_INSE_IS6_EEEESI_S6_NSB_4plusIvEENSB_8equal_toIvEES6_EE10hipError_tPvRmT2_T3_T4_T5_mT6_T7_P12ihipStream_tbENKUlT_T0_E_clISt17integral_constantIbLb1EES12_IbLb0EEEEDaSY_SZ_EUlSY_E_NS1_11comp_targetILNS1_3genE5ELNS1_11target_archE942ELNS1_3gpuE9ELNS1_3repE0EEENS1_30default_config_static_selectorELNS0_4arch9wavefront6targetE0EEEvT1_.has_dyn_sized_stack, 0
	.set _ZN7rocprim17ROCPRIM_400000_NS6detail17trampoline_kernelINS0_14default_configENS1_27scan_by_key_config_selectorIj11FixedVectorIiLj2EEEEZZNS1_16scan_by_key_implILNS1_25lookback_scan_determinismE0ELb1ES3_N6thrust23THRUST_200600_302600_NS6detail15normal_iteratorINSB_10device_ptrIjEEEENSD_INSE_IS6_EEEESI_S6_NSB_4plusIvEENSB_8equal_toIvEES6_EE10hipError_tPvRmT2_T3_T4_T5_mT6_T7_P12ihipStream_tbENKUlT_T0_E_clISt17integral_constantIbLb1EES12_IbLb0EEEEDaSY_SZ_EUlSY_E_NS1_11comp_targetILNS1_3genE5ELNS1_11target_archE942ELNS1_3gpuE9ELNS1_3repE0EEENS1_30default_config_static_selectorELNS0_4arch9wavefront6targetE0EEEvT1_.has_recursion, 0
	.set _ZN7rocprim17ROCPRIM_400000_NS6detail17trampoline_kernelINS0_14default_configENS1_27scan_by_key_config_selectorIj11FixedVectorIiLj2EEEEZZNS1_16scan_by_key_implILNS1_25lookback_scan_determinismE0ELb1ES3_N6thrust23THRUST_200600_302600_NS6detail15normal_iteratorINSB_10device_ptrIjEEEENSD_INSE_IS6_EEEESI_S6_NSB_4plusIvEENSB_8equal_toIvEES6_EE10hipError_tPvRmT2_T3_T4_T5_mT6_T7_P12ihipStream_tbENKUlT_T0_E_clISt17integral_constantIbLb1EES12_IbLb0EEEEDaSY_SZ_EUlSY_E_NS1_11comp_targetILNS1_3genE5ELNS1_11target_archE942ELNS1_3gpuE9ELNS1_3repE0EEENS1_30default_config_static_selectorELNS0_4arch9wavefront6targetE0EEEvT1_.has_indirect_call, 0
	.section	.AMDGPU.csdata,"",@progbits
; Kernel info:
; codeLenInByte = 0
; TotalNumSgprs: 0
; NumVgprs: 0
; ScratchSize: 0
; MemoryBound: 0
; FloatMode: 240
; IeeeMode: 1
; LDSByteSize: 0 bytes/workgroup (compile time only)
; SGPRBlocks: 0
; VGPRBlocks: 0
; NumSGPRsForWavesPerEU: 1
; NumVGPRsForWavesPerEU: 1
; Occupancy: 16
; WaveLimiterHint : 0
; COMPUTE_PGM_RSRC2:SCRATCH_EN: 0
; COMPUTE_PGM_RSRC2:USER_SGPR: 6
; COMPUTE_PGM_RSRC2:TRAP_HANDLER: 0
; COMPUTE_PGM_RSRC2:TGID_X_EN: 1
; COMPUTE_PGM_RSRC2:TGID_Y_EN: 0
; COMPUTE_PGM_RSRC2:TGID_Z_EN: 0
; COMPUTE_PGM_RSRC2:TIDIG_COMP_CNT: 0
	.section	.text._ZN7rocprim17ROCPRIM_400000_NS6detail17trampoline_kernelINS0_14default_configENS1_27scan_by_key_config_selectorIj11FixedVectorIiLj2EEEEZZNS1_16scan_by_key_implILNS1_25lookback_scan_determinismE0ELb1ES3_N6thrust23THRUST_200600_302600_NS6detail15normal_iteratorINSB_10device_ptrIjEEEENSD_INSE_IS6_EEEESI_S6_NSB_4plusIvEENSB_8equal_toIvEES6_EE10hipError_tPvRmT2_T3_T4_T5_mT6_T7_P12ihipStream_tbENKUlT_T0_E_clISt17integral_constantIbLb1EES12_IbLb0EEEEDaSY_SZ_EUlSY_E_NS1_11comp_targetILNS1_3genE4ELNS1_11target_archE910ELNS1_3gpuE8ELNS1_3repE0EEENS1_30default_config_static_selectorELNS0_4arch9wavefront6targetE0EEEvT1_,"axG",@progbits,_ZN7rocprim17ROCPRIM_400000_NS6detail17trampoline_kernelINS0_14default_configENS1_27scan_by_key_config_selectorIj11FixedVectorIiLj2EEEEZZNS1_16scan_by_key_implILNS1_25lookback_scan_determinismE0ELb1ES3_N6thrust23THRUST_200600_302600_NS6detail15normal_iteratorINSB_10device_ptrIjEEEENSD_INSE_IS6_EEEESI_S6_NSB_4plusIvEENSB_8equal_toIvEES6_EE10hipError_tPvRmT2_T3_T4_T5_mT6_T7_P12ihipStream_tbENKUlT_T0_E_clISt17integral_constantIbLb1EES12_IbLb0EEEEDaSY_SZ_EUlSY_E_NS1_11comp_targetILNS1_3genE4ELNS1_11target_archE910ELNS1_3gpuE8ELNS1_3repE0EEENS1_30default_config_static_selectorELNS0_4arch9wavefront6targetE0EEEvT1_,comdat
	.protected	_ZN7rocprim17ROCPRIM_400000_NS6detail17trampoline_kernelINS0_14default_configENS1_27scan_by_key_config_selectorIj11FixedVectorIiLj2EEEEZZNS1_16scan_by_key_implILNS1_25lookback_scan_determinismE0ELb1ES3_N6thrust23THRUST_200600_302600_NS6detail15normal_iteratorINSB_10device_ptrIjEEEENSD_INSE_IS6_EEEESI_S6_NSB_4plusIvEENSB_8equal_toIvEES6_EE10hipError_tPvRmT2_T3_T4_T5_mT6_T7_P12ihipStream_tbENKUlT_T0_E_clISt17integral_constantIbLb1EES12_IbLb0EEEEDaSY_SZ_EUlSY_E_NS1_11comp_targetILNS1_3genE4ELNS1_11target_archE910ELNS1_3gpuE8ELNS1_3repE0EEENS1_30default_config_static_selectorELNS0_4arch9wavefront6targetE0EEEvT1_ ; -- Begin function _ZN7rocprim17ROCPRIM_400000_NS6detail17trampoline_kernelINS0_14default_configENS1_27scan_by_key_config_selectorIj11FixedVectorIiLj2EEEEZZNS1_16scan_by_key_implILNS1_25lookback_scan_determinismE0ELb1ES3_N6thrust23THRUST_200600_302600_NS6detail15normal_iteratorINSB_10device_ptrIjEEEENSD_INSE_IS6_EEEESI_S6_NSB_4plusIvEENSB_8equal_toIvEES6_EE10hipError_tPvRmT2_T3_T4_T5_mT6_T7_P12ihipStream_tbENKUlT_T0_E_clISt17integral_constantIbLb1EES12_IbLb0EEEEDaSY_SZ_EUlSY_E_NS1_11comp_targetILNS1_3genE4ELNS1_11target_archE910ELNS1_3gpuE8ELNS1_3repE0EEENS1_30default_config_static_selectorELNS0_4arch9wavefront6targetE0EEEvT1_
	.globl	_ZN7rocprim17ROCPRIM_400000_NS6detail17trampoline_kernelINS0_14default_configENS1_27scan_by_key_config_selectorIj11FixedVectorIiLj2EEEEZZNS1_16scan_by_key_implILNS1_25lookback_scan_determinismE0ELb1ES3_N6thrust23THRUST_200600_302600_NS6detail15normal_iteratorINSB_10device_ptrIjEEEENSD_INSE_IS6_EEEESI_S6_NSB_4plusIvEENSB_8equal_toIvEES6_EE10hipError_tPvRmT2_T3_T4_T5_mT6_T7_P12ihipStream_tbENKUlT_T0_E_clISt17integral_constantIbLb1EES12_IbLb0EEEEDaSY_SZ_EUlSY_E_NS1_11comp_targetILNS1_3genE4ELNS1_11target_archE910ELNS1_3gpuE8ELNS1_3repE0EEENS1_30default_config_static_selectorELNS0_4arch9wavefront6targetE0EEEvT1_
	.p2align	8
	.type	_ZN7rocprim17ROCPRIM_400000_NS6detail17trampoline_kernelINS0_14default_configENS1_27scan_by_key_config_selectorIj11FixedVectorIiLj2EEEEZZNS1_16scan_by_key_implILNS1_25lookback_scan_determinismE0ELb1ES3_N6thrust23THRUST_200600_302600_NS6detail15normal_iteratorINSB_10device_ptrIjEEEENSD_INSE_IS6_EEEESI_S6_NSB_4plusIvEENSB_8equal_toIvEES6_EE10hipError_tPvRmT2_T3_T4_T5_mT6_T7_P12ihipStream_tbENKUlT_T0_E_clISt17integral_constantIbLb1EES12_IbLb0EEEEDaSY_SZ_EUlSY_E_NS1_11comp_targetILNS1_3genE4ELNS1_11target_archE910ELNS1_3gpuE8ELNS1_3repE0EEENS1_30default_config_static_selectorELNS0_4arch9wavefront6targetE0EEEvT1_,@function
_ZN7rocprim17ROCPRIM_400000_NS6detail17trampoline_kernelINS0_14default_configENS1_27scan_by_key_config_selectorIj11FixedVectorIiLj2EEEEZZNS1_16scan_by_key_implILNS1_25lookback_scan_determinismE0ELb1ES3_N6thrust23THRUST_200600_302600_NS6detail15normal_iteratorINSB_10device_ptrIjEEEENSD_INSE_IS6_EEEESI_S6_NSB_4plusIvEENSB_8equal_toIvEES6_EE10hipError_tPvRmT2_T3_T4_T5_mT6_T7_P12ihipStream_tbENKUlT_T0_E_clISt17integral_constantIbLb1EES12_IbLb0EEEEDaSY_SZ_EUlSY_E_NS1_11comp_targetILNS1_3genE4ELNS1_11target_archE910ELNS1_3gpuE8ELNS1_3repE0EEENS1_30default_config_static_selectorELNS0_4arch9wavefront6targetE0EEEvT1_: ; @_ZN7rocprim17ROCPRIM_400000_NS6detail17trampoline_kernelINS0_14default_configENS1_27scan_by_key_config_selectorIj11FixedVectorIiLj2EEEEZZNS1_16scan_by_key_implILNS1_25lookback_scan_determinismE0ELb1ES3_N6thrust23THRUST_200600_302600_NS6detail15normal_iteratorINSB_10device_ptrIjEEEENSD_INSE_IS6_EEEESI_S6_NSB_4plusIvEENSB_8equal_toIvEES6_EE10hipError_tPvRmT2_T3_T4_T5_mT6_T7_P12ihipStream_tbENKUlT_T0_E_clISt17integral_constantIbLb1EES12_IbLb0EEEEDaSY_SZ_EUlSY_E_NS1_11comp_targetILNS1_3genE4ELNS1_11target_archE910ELNS1_3gpuE8ELNS1_3repE0EEENS1_30default_config_static_selectorELNS0_4arch9wavefront6targetE0EEEvT1_
; %bb.0:
	.section	.rodata,"a",@progbits
	.p2align	6, 0x0
	.amdhsa_kernel _ZN7rocprim17ROCPRIM_400000_NS6detail17trampoline_kernelINS0_14default_configENS1_27scan_by_key_config_selectorIj11FixedVectorIiLj2EEEEZZNS1_16scan_by_key_implILNS1_25lookback_scan_determinismE0ELb1ES3_N6thrust23THRUST_200600_302600_NS6detail15normal_iteratorINSB_10device_ptrIjEEEENSD_INSE_IS6_EEEESI_S6_NSB_4plusIvEENSB_8equal_toIvEES6_EE10hipError_tPvRmT2_T3_T4_T5_mT6_T7_P12ihipStream_tbENKUlT_T0_E_clISt17integral_constantIbLb1EES12_IbLb0EEEEDaSY_SZ_EUlSY_E_NS1_11comp_targetILNS1_3genE4ELNS1_11target_archE910ELNS1_3gpuE8ELNS1_3repE0EEENS1_30default_config_static_selectorELNS0_4arch9wavefront6targetE0EEEvT1_
		.amdhsa_group_segment_fixed_size 0
		.amdhsa_private_segment_fixed_size 0
		.amdhsa_kernarg_size 120
		.amdhsa_user_sgpr_count 6
		.amdhsa_user_sgpr_private_segment_buffer 1
		.amdhsa_user_sgpr_dispatch_ptr 0
		.amdhsa_user_sgpr_queue_ptr 0
		.amdhsa_user_sgpr_kernarg_segment_ptr 1
		.amdhsa_user_sgpr_dispatch_id 0
		.amdhsa_user_sgpr_flat_scratch_init 0
		.amdhsa_user_sgpr_private_segment_size 0
		.amdhsa_wavefront_size32 1
		.amdhsa_uses_dynamic_stack 0
		.amdhsa_system_sgpr_private_segment_wavefront_offset 0
		.amdhsa_system_sgpr_workgroup_id_x 1
		.amdhsa_system_sgpr_workgroup_id_y 0
		.amdhsa_system_sgpr_workgroup_id_z 0
		.amdhsa_system_sgpr_workgroup_info 0
		.amdhsa_system_vgpr_workitem_id 0
		.amdhsa_next_free_vgpr 1
		.amdhsa_next_free_sgpr 1
		.amdhsa_reserve_vcc 0
		.amdhsa_reserve_flat_scratch 0
		.amdhsa_float_round_mode_32 0
		.amdhsa_float_round_mode_16_64 0
		.amdhsa_float_denorm_mode_32 3
		.amdhsa_float_denorm_mode_16_64 3
		.amdhsa_dx10_clamp 1
		.amdhsa_ieee_mode 1
		.amdhsa_fp16_overflow 0
		.amdhsa_workgroup_processor_mode 1
		.amdhsa_memory_ordered 1
		.amdhsa_forward_progress 1
		.amdhsa_shared_vgpr_count 0
		.amdhsa_exception_fp_ieee_invalid_op 0
		.amdhsa_exception_fp_denorm_src 0
		.amdhsa_exception_fp_ieee_div_zero 0
		.amdhsa_exception_fp_ieee_overflow 0
		.amdhsa_exception_fp_ieee_underflow 0
		.amdhsa_exception_fp_ieee_inexact 0
		.amdhsa_exception_int_div_zero 0
	.end_amdhsa_kernel
	.section	.text._ZN7rocprim17ROCPRIM_400000_NS6detail17trampoline_kernelINS0_14default_configENS1_27scan_by_key_config_selectorIj11FixedVectorIiLj2EEEEZZNS1_16scan_by_key_implILNS1_25lookback_scan_determinismE0ELb1ES3_N6thrust23THRUST_200600_302600_NS6detail15normal_iteratorINSB_10device_ptrIjEEEENSD_INSE_IS6_EEEESI_S6_NSB_4plusIvEENSB_8equal_toIvEES6_EE10hipError_tPvRmT2_T3_T4_T5_mT6_T7_P12ihipStream_tbENKUlT_T0_E_clISt17integral_constantIbLb1EES12_IbLb0EEEEDaSY_SZ_EUlSY_E_NS1_11comp_targetILNS1_3genE4ELNS1_11target_archE910ELNS1_3gpuE8ELNS1_3repE0EEENS1_30default_config_static_selectorELNS0_4arch9wavefront6targetE0EEEvT1_,"axG",@progbits,_ZN7rocprim17ROCPRIM_400000_NS6detail17trampoline_kernelINS0_14default_configENS1_27scan_by_key_config_selectorIj11FixedVectorIiLj2EEEEZZNS1_16scan_by_key_implILNS1_25lookback_scan_determinismE0ELb1ES3_N6thrust23THRUST_200600_302600_NS6detail15normal_iteratorINSB_10device_ptrIjEEEENSD_INSE_IS6_EEEESI_S6_NSB_4plusIvEENSB_8equal_toIvEES6_EE10hipError_tPvRmT2_T3_T4_T5_mT6_T7_P12ihipStream_tbENKUlT_T0_E_clISt17integral_constantIbLb1EES12_IbLb0EEEEDaSY_SZ_EUlSY_E_NS1_11comp_targetILNS1_3genE4ELNS1_11target_archE910ELNS1_3gpuE8ELNS1_3repE0EEENS1_30default_config_static_selectorELNS0_4arch9wavefront6targetE0EEEvT1_,comdat
.Lfunc_end2014:
	.size	_ZN7rocprim17ROCPRIM_400000_NS6detail17trampoline_kernelINS0_14default_configENS1_27scan_by_key_config_selectorIj11FixedVectorIiLj2EEEEZZNS1_16scan_by_key_implILNS1_25lookback_scan_determinismE0ELb1ES3_N6thrust23THRUST_200600_302600_NS6detail15normal_iteratorINSB_10device_ptrIjEEEENSD_INSE_IS6_EEEESI_S6_NSB_4plusIvEENSB_8equal_toIvEES6_EE10hipError_tPvRmT2_T3_T4_T5_mT6_T7_P12ihipStream_tbENKUlT_T0_E_clISt17integral_constantIbLb1EES12_IbLb0EEEEDaSY_SZ_EUlSY_E_NS1_11comp_targetILNS1_3genE4ELNS1_11target_archE910ELNS1_3gpuE8ELNS1_3repE0EEENS1_30default_config_static_selectorELNS0_4arch9wavefront6targetE0EEEvT1_, .Lfunc_end2014-_ZN7rocprim17ROCPRIM_400000_NS6detail17trampoline_kernelINS0_14default_configENS1_27scan_by_key_config_selectorIj11FixedVectorIiLj2EEEEZZNS1_16scan_by_key_implILNS1_25lookback_scan_determinismE0ELb1ES3_N6thrust23THRUST_200600_302600_NS6detail15normal_iteratorINSB_10device_ptrIjEEEENSD_INSE_IS6_EEEESI_S6_NSB_4plusIvEENSB_8equal_toIvEES6_EE10hipError_tPvRmT2_T3_T4_T5_mT6_T7_P12ihipStream_tbENKUlT_T0_E_clISt17integral_constantIbLb1EES12_IbLb0EEEEDaSY_SZ_EUlSY_E_NS1_11comp_targetILNS1_3genE4ELNS1_11target_archE910ELNS1_3gpuE8ELNS1_3repE0EEENS1_30default_config_static_selectorELNS0_4arch9wavefront6targetE0EEEvT1_
                                        ; -- End function
	.set _ZN7rocprim17ROCPRIM_400000_NS6detail17trampoline_kernelINS0_14default_configENS1_27scan_by_key_config_selectorIj11FixedVectorIiLj2EEEEZZNS1_16scan_by_key_implILNS1_25lookback_scan_determinismE0ELb1ES3_N6thrust23THRUST_200600_302600_NS6detail15normal_iteratorINSB_10device_ptrIjEEEENSD_INSE_IS6_EEEESI_S6_NSB_4plusIvEENSB_8equal_toIvEES6_EE10hipError_tPvRmT2_T3_T4_T5_mT6_T7_P12ihipStream_tbENKUlT_T0_E_clISt17integral_constantIbLb1EES12_IbLb0EEEEDaSY_SZ_EUlSY_E_NS1_11comp_targetILNS1_3genE4ELNS1_11target_archE910ELNS1_3gpuE8ELNS1_3repE0EEENS1_30default_config_static_selectorELNS0_4arch9wavefront6targetE0EEEvT1_.num_vgpr, 0
	.set _ZN7rocprim17ROCPRIM_400000_NS6detail17trampoline_kernelINS0_14default_configENS1_27scan_by_key_config_selectorIj11FixedVectorIiLj2EEEEZZNS1_16scan_by_key_implILNS1_25lookback_scan_determinismE0ELb1ES3_N6thrust23THRUST_200600_302600_NS6detail15normal_iteratorINSB_10device_ptrIjEEEENSD_INSE_IS6_EEEESI_S6_NSB_4plusIvEENSB_8equal_toIvEES6_EE10hipError_tPvRmT2_T3_T4_T5_mT6_T7_P12ihipStream_tbENKUlT_T0_E_clISt17integral_constantIbLb1EES12_IbLb0EEEEDaSY_SZ_EUlSY_E_NS1_11comp_targetILNS1_3genE4ELNS1_11target_archE910ELNS1_3gpuE8ELNS1_3repE0EEENS1_30default_config_static_selectorELNS0_4arch9wavefront6targetE0EEEvT1_.num_agpr, 0
	.set _ZN7rocprim17ROCPRIM_400000_NS6detail17trampoline_kernelINS0_14default_configENS1_27scan_by_key_config_selectorIj11FixedVectorIiLj2EEEEZZNS1_16scan_by_key_implILNS1_25lookback_scan_determinismE0ELb1ES3_N6thrust23THRUST_200600_302600_NS6detail15normal_iteratorINSB_10device_ptrIjEEEENSD_INSE_IS6_EEEESI_S6_NSB_4plusIvEENSB_8equal_toIvEES6_EE10hipError_tPvRmT2_T3_T4_T5_mT6_T7_P12ihipStream_tbENKUlT_T0_E_clISt17integral_constantIbLb1EES12_IbLb0EEEEDaSY_SZ_EUlSY_E_NS1_11comp_targetILNS1_3genE4ELNS1_11target_archE910ELNS1_3gpuE8ELNS1_3repE0EEENS1_30default_config_static_selectorELNS0_4arch9wavefront6targetE0EEEvT1_.numbered_sgpr, 0
	.set _ZN7rocprim17ROCPRIM_400000_NS6detail17trampoline_kernelINS0_14default_configENS1_27scan_by_key_config_selectorIj11FixedVectorIiLj2EEEEZZNS1_16scan_by_key_implILNS1_25lookback_scan_determinismE0ELb1ES3_N6thrust23THRUST_200600_302600_NS6detail15normal_iteratorINSB_10device_ptrIjEEEENSD_INSE_IS6_EEEESI_S6_NSB_4plusIvEENSB_8equal_toIvEES6_EE10hipError_tPvRmT2_T3_T4_T5_mT6_T7_P12ihipStream_tbENKUlT_T0_E_clISt17integral_constantIbLb1EES12_IbLb0EEEEDaSY_SZ_EUlSY_E_NS1_11comp_targetILNS1_3genE4ELNS1_11target_archE910ELNS1_3gpuE8ELNS1_3repE0EEENS1_30default_config_static_selectorELNS0_4arch9wavefront6targetE0EEEvT1_.num_named_barrier, 0
	.set _ZN7rocprim17ROCPRIM_400000_NS6detail17trampoline_kernelINS0_14default_configENS1_27scan_by_key_config_selectorIj11FixedVectorIiLj2EEEEZZNS1_16scan_by_key_implILNS1_25lookback_scan_determinismE0ELb1ES3_N6thrust23THRUST_200600_302600_NS6detail15normal_iteratorINSB_10device_ptrIjEEEENSD_INSE_IS6_EEEESI_S6_NSB_4plusIvEENSB_8equal_toIvEES6_EE10hipError_tPvRmT2_T3_T4_T5_mT6_T7_P12ihipStream_tbENKUlT_T0_E_clISt17integral_constantIbLb1EES12_IbLb0EEEEDaSY_SZ_EUlSY_E_NS1_11comp_targetILNS1_3genE4ELNS1_11target_archE910ELNS1_3gpuE8ELNS1_3repE0EEENS1_30default_config_static_selectorELNS0_4arch9wavefront6targetE0EEEvT1_.private_seg_size, 0
	.set _ZN7rocprim17ROCPRIM_400000_NS6detail17trampoline_kernelINS0_14default_configENS1_27scan_by_key_config_selectorIj11FixedVectorIiLj2EEEEZZNS1_16scan_by_key_implILNS1_25lookback_scan_determinismE0ELb1ES3_N6thrust23THRUST_200600_302600_NS6detail15normal_iteratorINSB_10device_ptrIjEEEENSD_INSE_IS6_EEEESI_S6_NSB_4plusIvEENSB_8equal_toIvEES6_EE10hipError_tPvRmT2_T3_T4_T5_mT6_T7_P12ihipStream_tbENKUlT_T0_E_clISt17integral_constantIbLb1EES12_IbLb0EEEEDaSY_SZ_EUlSY_E_NS1_11comp_targetILNS1_3genE4ELNS1_11target_archE910ELNS1_3gpuE8ELNS1_3repE0EEENS1_30default_config_static_selectorELNS0_4arch9wavefront6targetE0EEEvT1_.uses_vcc, 0
	.set _ZN7rocprim17ROCPRIM_400000_NS6detail17trampoline_kernelINS0_14default_configENS1_27scan_by_key_config_selectorIj11FixedVectorIiLj2EEEEZZNS1_16scan_by_key_implILNS1_25lookback_scan_determinismE0ELb1ES3_N6thrust23THRUST_200600_302600_NS6detail15normal_iteratorINSB_10device_ptrIjEEEENSD_INSE_IS6_EEEESI_S6_NSB_4plusIvEENSB_8equal_toIvEES6_EE10hipError_tPvRmT2_T3_T4_T5_mT6_T7_P12ihipStream_tbENKUlT_T0_E_clISt17integral_constantIbLb1EES12_IbLb0EEEEDaSY_SZ_EUlSY_E_NS1_11comp_targetILNS1_3genE4ELNS1_11target_archE910ELNS1_3gpuE8ELNS1_3repE0EEENS1_30default_config_static_selectorELNS0_4arch9wavefront6targetE0EEEvT1_.uses_flat_scratch, 0
	.set _ZN7rocprim17ROCPRIM_400000_NS6detail17trampoline_kernelINS0_14default_configENS1_27scan_by_key_config_selectorIj11FixedVectorIiLj2EEEEZZNS1_16scan_by_key_implILNS1_25lookback_scan_determinismE0ELb1ES3_N6thrust23THRUST_200600_302600_NS6detail15normal_iteratorINSB_10device_ptrIjEEEENSD_INSE_IS6_EEEESI_S6_NSB_4plusIvEENSB_8equal_toIvEES6_EE10hipError_tPvRmT2_T3_T4_T5_mT6_T7_P12ihipStream_tbENKUlT_T0_E_clISt17integral_constantIbLb1EES12_IbLb0EEEEDaSY_SZ_EUlSY_E_NS1_11comp_targetILNS1_3genE4ELNS1_11target_archE910ELNS1_3gpuE8ELNS1_3repE0EEENS1_30default_config_static_selectorELNS0_4arch9wavefront6targetE0EEEvT1_.has_dyn_sized_stack, 0
	.set _ZN7rocprim17ROCPRIM_400000_NS6detail17trampoline_kernelINS0_14default_configENS1_27scan_by_key_config_selectorIj11FixedVectorIiLj2EEEEZZNS1_16scan_by_key_implILNS1_25lookback_scan_determinismE0ELb1ES3_N6thrust23THRUST_200600_302600_NS6detail15normal_iteratorINSB_10device_ptrIjEEEENSD_INSE_IS6_EEEESI_S6_NSB_4plusIvEENSB_8equal_toIvEES6_EE10hipError_tPvRmT2_T3_T4_T5_mT6_T7_P12ihipStream_tbENKUlT_T0_E_clISt17integral_constantIbLb1EES12_IbLb0EEEEDaSY_SZ_EUlSY_E_NS1_11comp_targetILNS1_3genE4ELNS1_11target_archE910ELNS1_3gpuE8ELNS1_3repE0EEENS1_30default_config_static_selectorELNS0_4arch9wavefront6targetE0EEEvT1_.has_recursion, 0
	.set _ZN7rocprim17ROCPRIM_400000_NS6detail17trampoline_kernelINS0_14default_configENS1_27scan_by_key_config_selectorIj11FixedVectorIiLj2EEEEZZNS1_16scan_by_key_implILNS1_25lookback_scan_determinismE0ELb1ES3_N6thrust23THRUST_200600_302600_NS6detail15normal_iteratorINSB_10device_ptrIjEEEENSD_INSE_IS6_EEEESI_S6_NSB_4plusIvEENSB_8equal_toIvEES6_EE10hipError_tPvRmT2_T3_T4_T5_mT6_T7_P12ihipStream_tbENKUlT_T0_E_clISt17integral_constantIbLb1EES12_IbLb0EEEEDaSY_SZ_EUlSY_E_NS1_11comp_targetILNS1_3genE4ELNS1_11target_archE910ELNS1_3gpuE8ELNS1_3repE0EEENS1_30default_config_static_selectorELNS0_4arch9wavefront6targetE0EEEvT1_.has_indirect_call, 0
	.section	.AMDGPU.csdata,"",@progbits
; Kernel info:
; codeLenInByte = 0
; TotalNumSgprs: 0
; NumVgprs: 0
; ScratchSize: 0
; MemoryBound: 0
; FloatMode: 240
; IeeeMode: 1
; LDSByteSize: 0 bytes/workgroup (compile time only)
; SGPRBlocks: 0
; VGPRBlocks: 0
; NumSGPRsForWavesPerEU: 1
; NumVGPRsForWavesPerEU: 1
; Occupancy: 16
; WaveLimiterHint : 0
; COMPUTE_PGM_RSRC2:SCRATCH_EN: 0
; COMPUTE_PGM_RSRC2:USER_SGPR: 6
; COMPUTE_PGM_RSRC2:TRAP_HANDLER: 0
; COMPUTE_PGM_RSRC2:TGID_X_EN: 1
; COMPUTE_PGM_RSRC2:TGID_Y_EN: 0
; COMPUTE_PGM_RSRC2:TGID_Z_EN: 0
; COMPUTE_PGM_RSRC2:TIDIG_COMP_CNT: 0
	.section	.text._ZN7rocprim17ROCPRIM_400000_NS6detail17trampoline_kernelINS0_14default_configENS1_27scan_by_key_config_selectorIj11FixedVectorIiLj2EEEEZZNS1_16scan_by_key_implILNS1_25lookback_scan_determinismE0ELb1ES3_N6thrust23THRUST_200600_302600_NS6detail15normal_iteratorINSB_10device_ptrIjEEEENSD_INSE_IS6_EEEESI_S6_NSB_4plusIvEENSB_8equal_toIvEES6_EE10hipError_tPvRmT2_T3_T4_T5_mT6_T7_P12ihipStream_tbENKUlT_T0_E_clISt17integral_constantIbLb1EES12_IbLb0EEEEDaSY_SZ_EUlSY_E_NS1_11comp_targetILNS1_3genE3ELNS1_11target_archE908ELNS1_3gpuE7ELNS1_3repE0EEENS1_30default_config_static_selectorELNS0_4arch9wavefront6targetE0EEEvT1_,"axG",@progbits,_ZN7rocprim17ROCPRIM_400000_NS6detail17trampoline_kernelINS0_14default_configENS1_27scan_by_key_config_selectorIj11FixedVectorIiLj2EEEEZZNS1_16scan_by_key_implILNS1_25lookback_scan_determinismE0ELb1ES3_N6thrust23THRUST_200600_302600_NS6detail15normal_iteratorINSB_10device_ptrIjEEEENSD_INSE_IS6_EEEESI_S6_NSB_4plusIvEENSB_8equal_toIvEES6_EE10hipError_tPvRmT2_T3_T4_T5_mT6_T7_P12ihipStream_tbENKUlT_T0_E_clISt17integral_constantIbLb1EES12_IbLb0EEEEDaSY_SZ_EUlSY_E_NS1_11comp_targetILNS1_3genE3ELNS1_11target_archE908ELNS1_3gpuE7ELNS1_3repE0EEENS1_30default_config_static_selectorELNS0_4arch9wavefront6targetE0EEEvT1_,comdat
	.protected	_ZN7rocprim17ROCPRIM_400000_NS6detail17trampoline_kernelINS0_14default_configENS1_27scan_by_key_config_selectorIj11FixedVectorIiLj2EEEEZZNS1_16scan_by_key_implILNS1_25lookback_scan_determinismE0ELb1ES3_N6thrust23THRUST_200600_302600_NS6detail15normal_iteratorINSB_10device_ptrIjEEEENSD_INSE_IS6_EEEESI_S6_NSB_4plusIvEENSB_8equal_toIvEES6_EE10hipError_tPvRmT2_T3_T4_T5_mT6_T7_P12ihipStream_tbENKUlT_T0_E_clISt17integral_constantIbLb1EES12_IbLb0EEEEDaSY_SZ_EUlSY_E_NS1_11comp_targetILNS1_3genE3ELNS1_11target_archE908ELNS1_3gpuE7ELNS1_3repE0EEENS1_30default_config_static_selectorELNS0_4arch9wavefront6targetE0EEEvT1_ ; -- Begin function _ZN7rocprim17ROCPRIM_400000_NS6detail17trampoline_kernelINS0_14default_configENS1_27scan_by_key_config_selectorIj11FixedVectorIiLj2EEEEZZNS1_16scan_by_key_implILNS1_25lookback_scan_determinismE0ELb1ES3_N6thrust23THRUST_200600_302600_NS6detail15normal_iteratorINSB_10device_ptrIjEEEENSD_INSE_IS6_EEEESI_S6_NSB_4plusIvEENSB_8equal_toIvEES6_EE10hipError_tPvRmT2_T3_T4_T5_mT6_T7_P12ihipStream_tbENKUlT_T0_E_clISt17integral_constantIbLb1EES12_IbLb0EEEEDaSY_SZ_EUlSY_E_NS1_11comp_targetILNS1_3genE3ELNS1_11target_archE908ELNS1_3gpuE7ELNS1_3repE0EEENS1_30default_config_static_selectorELNS0_4arch9wavefront6targetE0EEEvT1_
	.globl	_ZN7rocprim17ROCPRIM_400000_NS6detail17trampoline_kernelINS0_14default_configENS1_27scan_by_key_config_selectorIj11FixedVectorIiLj2EEEEZZNS1_16scan_by_key_implILNS1_25lookback_scan_determinismE0ELb1ES3_N6thrust23THRUST_200600_302600_NS6detail15normal_iteratorINSB_10device_ptrIjEEEENSD_INSE_IS6_EEEESI_S6_NSB_4plusIvEENSB_8equal_toIvEES6_EE10hipError_tPvRmT2_T3_T4_T5_mT6_T7_P12ihipStream_tbENKUlT_T0_E_clISt17integral_constantIbLb1EES12_IbLb0EEEEDaSY_SZ_EUlSY_E_NS1_11comp_targetILNS1_3genE3ELNS1_11target_archE908ELNS1_3gpuE7ELNS1_3repE0EEENS1_30default_config_static_selectorELNS0_4arch9wavefront6targetE0EEEvT1_
	.p2align	8
	.type	_ZN7rocprim17ROCPRIM_400000_NS6detail17trampoline_kernelINS0_14default_configENS1_27scan_by_key_config_selectorIj11FixedVectorIiLj2EEEEZZNS1_16scan_by_key_implILNS1_25lookback_scan_determinismE0ELb1ES3_N6thrust23THRUST_200600_302600_NS6detail15normal_iteratorINSB_10device_ptrIjEEEENSD_INSE_IS6_EEEESI_S6_NSB_4plusIvEENSB_8equal_toIvEES6_EE10hipError_tPvRmT2_T3_T4_T5_mT6_T7_P12ihipStream_tbENKUlT_T0_E_clISt17integral_constantIbLb1EES12_IbLb0EEEEDaSY_SZ_EUlSY_E_NS1_11comp_targetILNS1_3genE3ELNS1_11target_archE908ELNS1_3gpuE7ELNS1_3repE0EEENS1_30default_config_static_selectorELNS0_4arch9wavefront6targetE0EEEvT1_,@function
_ZN7rocprim17ROCPRIM_400000_NS6detail17trampoline_kernelINS0_14default_configENS1_27scan_by_key_config_selectorIj11FixedVectorIiLj2EEEEZZNS1_16scan_by_key_implILNS1_25lookback_scan_determinismE0ELb1ES3_N6thrust23THRUST_200600_302600_NS6detail15normal_iteratorINSB_10device_ptrIjEEEENSD_INSE_IS6_EEEESI_S6_NSB_4plusIvEENSB_8equal_toIvEES6_EE10hipError_tPvRmT2_T3_T4_T5_mT6_T7_P12ihipStream_tbENKUlT_T0_E_clISt17integral_constantIbLb1EES12_IbLb0EEEEDaSY_SZ_EUlSY_E_NS1_11comp_targetILNS1_3genE3ELNS1_11target_archE908ELNS1_3gpuE7ELNS1_3repE0EEENS1_30default_config_static_selectorELNS0_4arch9wavefront6targetE0EEEvT1_: ; @_ZN7rocprim17ROCPRIM_400000_NS6detail17trampoline_kernelINS0_14default_configENS1_27scan_by_key_config_selectorIj11FixedVectorIiLj2EEEEZZNS1_16scan_by_key_implILNS1_25lookback_scan_determinismE0ELb1ES3_N6thrust23THRUST_200600_302600_NS6detail15normal_iteratorINSB_10device_ptrIjEEEENSD_INSE_IS6_EEEESI_S6_NSB_4plusIvEENSB_8equal_toIvEES6_EE10hipError_tPvRmT2_T3_T4_T5_mT6_T7_P12ihipStream_tbENKUlT_T0_E_clISt17integral_constantIbLb1EES12_IbLb0EEEEDaSY_SZ_EUlSY_E_NS1_11comp_targetILNS1_3genE3ELNS1_11target_archE908ELNS1_3gpuE7ELNS1_3repE0EEENS1_30default_config_static_selectorELNS0_4arch9wavefront6targetE0EEEvT1_
; %bb.0:
	.section	.rodata,"a",@progbits
	.p2align	6, 0x0
	.amdhsa_kernel _ZN7rocprim17ROCPRIM_400000_NS6detail17trampoline_kernelINS0_14default_configENS1_27scan_by_key_config_selectorIj11FixedVectorIiLj2EEEEZZNS1_16scan_by_key_implILNS1_25lookback_scan_determinismE0ELb1ES3_N6thrust23THRUST_200600_302600_NS6detail15normal_iteratorINSB_10device_ptrIjEEEENSD_INSE_IS6_EEEESI_S6_NSB_4plusIvEENSB_8equal_toIvEES6_EE10hipError_tPvRmT2_T3_T4_T5_mT6_T7_P12ihipStream_tbENKUlT_T0_E_clISt17integral_constantIbLb1EES12_IbLb0EEEEDaSY_SZ_EUlSY_E_NS1_11comp_targetILNS1_3genE3ELNS1_11target_archE908ELNS1_3gpuE7ELNS1_3repE0EEENS1_30default_config_static_selectorELNS0_4arch9wavefront6targetE0EEEvT1_
		.amdhsa_group_segment_fixed_size 0
		.amdhsa_private_segment_fixed_size 0
		.amdhsa_kernarg_size 120
		.amdhsa_user_sgpr_count 6
		.amdhsa_user_sgpr_private_segment_buffer 1
		.amdhsa_user_sgpr_dispatch_ptr 0
		.amdhsa_user_sgpr_queue_ptr 0
		.amdhsa_user_sgpr_kernarg_segment_ptr 1
		.amdhsa_user_sgpr_dispatch_id 0
		.amdhsa_user_sgpr_flat_scratch_init 0
		.amdhsa_user_sgpr_private_segment_size 0
		.amdhsa_wavefront_size32 1
		.amdhsa_uses_dynamic_stack 0
		.amdhsa_system_sgpr_private_segment_wavefront_offset 0
		.amdhsa_system_sgpr_workgroup_id_x 1
		.amdhsa_system_sgpr_workgroup_id_y 0
		.amdhsa_system_sgpr_workgroup_id_z 0
		.amdhsa_system_sgpr_workgroup_info 0
		.amdhsa_system_vgpr_workitem_id 0
		.amdhsa_next_free_vgpr 1
		.amdhsa_next_free_sgpr 1
		.amdhsa_reserve_vcc 0
		.amdhsa_reserve_flat_scratch 0
		.amdhsa_float_round_mode_32 0
		.amdhsa_float_round_mode_16_64 0
		.amdhsa_float_denorm_mode_32 3
		.amdhsa_float_denorm_mode_16_64 3
		.amdhsa_dx10_clamp 1
		.amdhsa_ieee_mode 1
		.amdhsa_fp16_overflow 0
		.amdhsa_workgroup_processor_mode 1
		.amdhsa_memory_ordered 1
		.amdhsa_forward_progress 1
		.amdhsa_shared_vgpr_count 0
		.amdhsa_exception_fp_ieee_invalid_op 0
		.amdhsa_exception_fp_denorm_src 0
		.amdhsa_exception_fp_ieee_div_zero 0
		.amdhsa_exception_fp_ieee_overflow 0
		.amdhsa_exception_fp_ieee_underflow 0
		.amdhsa_exception_fp_ieee_inexact 0
		.amdhsa_exception_int_div_zero 0
	.end_amdhsa_kernel
	.section	.text._ZN7rocprim17ROCPRIM_400000_NS6detail17trampoline_kernelINS0_14default_configENS1_27scan_by_key_config_selectorIj11FixedVectorIiLj2EEEEZZNS1_16scan_by_key_implILNS1_25lookback_scan_determinismE0ELb1ES3_N6thrust23THRUST_200600_302600_NS6detail15normal_iteratorINSB_10device_ptrIjEEEENSD_INSE_IS6_EEEESI_S6_NSB_4plusIvEENSB_8equal_toIvEES6_EE10hipError_tPvRmT2_T3_T4_T5_mT6_T7_P12ihipStream_tbENKUlT_T0_E_clISt17integral_constantIbLb1EES12_IbLb0EEEEDaSY_SZ_EUlSY_E_NS1_11comp_targetILNS1_3genE3ELNS1_11target_archE908ELNS1_3gpuE7ELNS1_3repE0EEENS1_30default_config_static_selectorELNS0_4arch9wavefront6targetE0EEEvT1_,"axG",@progbits,_ZN7rocprim17ROCPRIM_400000_NS6detail17trampoline_kernelINS0_14default_configENS1_27scan_by_key_config_selectorIj11FixedVectorIiLj2EEEEZZNS1_16scan_by_key_implILNS1_25lookback_scan_determinismE0ELb1ES3_N6thrust23THRUST_200600_302600_NS6detail15normal_iteratorINSB_10device_ptrIjEEEENSD_INSE_IS6_EEEESI_S6_NSB_4plusIvEENSB_8equal_toIvEES6_EE10hipError_tPvRmT2_T3_T4_T5_mT6_T7_P12ihipStream_tbENKUlT_T0_E_clISt17integral_constantIbLb1EES12_IbLb0EEEEDaSY_SZ_EUlSY_E_NS1_11comp_targetILNS1_3genE3ELNS1_11target_archE908ELNS1_3gpuE7ELNS1_3repE0EEENS1_30default_config_static_selectorELNS0_4arch9wavefront6targetE0EEEvT1_,comdat
.Lfunc_end2015:
	.size	_ZN7rocprim17ROCPRIM_400000_NS6detail17trampoline_kernelINS0_14default_configENS1_27scan_by_key_config_selectorIj11FixedVectorIiLj2EEEEZZNS1_16scan_by_key_implILNS1_25lookback_scan_determinismE0ELb1ES3_N6thrust23THRUST_200600_302600_NS6detail15normal_iteratorINSB_10device_ptrIjEEEENSD_INSE_IS6_EEEESI_S6_NSB_4plusIvEENSB_8equal_toIvEES6_EE10hipError_tPvRmT2_T3_T4_T5_mT6_T7_P12ihipStream_tbENKUlT_T0_E_clISt17integral_constantIbLb1EES12_IbLb0EEEEDaSY_SZ_EUlSY_E_NS1_11comp_targetILNS1_3genE3ELNS1_11target_archE908ELNS1_3gpuE7ELNS1_3repE0EEENS1_30default_config_static_selectorELNS0_4arch9wavefront6targetE0EEEvT1_, .Lfunc_end2015-_ZN7rocprim17ROCPRIM_400000_NS6detail17trampoline_kernelINS0_14default_configENS1_27scan_by_key_config_selectorIj11FixedVectorIiLj2EEEEZZNS1_16scan_by_key_implILNS1_25lookback_scan_determinismE0ELb1ES3_N6thrust23THRUST_200600_302600_NS6detail15normal_iteratorINSB_10device_ptrIjEEEENSD_INSE_IS6_EEEESI_S6_NSB_4plusIvEENSB_8equal_toIvEES6_EE10hipError_tPvRmT2_T3_T4_T5_mT6_T7_P12ihipStream_tbENKUlT_T0_E_clISt17integral_constantIbLb1EES12_IbLb0EEEEDaSY_SZ_EUlSY_E_NS1_11comp_targetILNS1_3genE3ELNS1_11target_archE908ELNS1_3gpuE7ELNS1_3repE0EEENS1_30default_config_static_selectorELNS0_4arch9wavefront6targetE0EEEvT1_
                                        ; -- End function
	.set _ZN7rocprim17ROCPRIM_400000_NS6detail17trampoline_kernelINS0_14default_configENS1_27scan_by_key_config_selectorIj11FixedVectorIiLj2EEEEZZNS1_16scan_by_key_implILNS1_25lookback_scan_determinismE0ELb1ES3_N6thrust23THRUST_200600_302600_NS6detail15normal_iteratorINSB_10device_ptrIjEEEENSD_INSE_IS6_EEEESI_S6_NSB_4plusIvEENSB_8equal_toIvEES6_EE10hipError_tPvRmT2_T3_T4_T5_mT6_T7_P12ihipStream_tbENKUlT_T0_E_clISt17integral_constantIbLb1EES12_IbLb0EEEEDaSY_SZ_EUlSY_E_NS1_11comp_targetILNS1_3genE3ELNS1_11target_archE908ELNS1_3gpuE7ELNS1_3repE0EEENS1_30default_config_static_selectorELNS0_4arch9wavefront6targetE0EEEvT1_.num_vgpr, 0
	.set _ZN7rocprim17ROCPRIM_400000_NS6detail17trampoline_kernelINS0_14default_configENS1_27scan_by_key_config_selectorIj11FixedVectorIiLj2EEEEZZNS1_16scan_by_key_implILNS1_25lookback_scan_determinismE0ELb1ES3_N6thrust23THRUST_200600_302600_NS6detail15normal_iteratorINSB_10device_ptrIjEEEENSD_INSE_IS6_EEEESI_S6_NSB_4plusIvEENSB_8equal_toIvEES6_EE10hipError_tPvRmT2_T3_T4_T5_mT6_T7_P12ihipStream_tbENKUlT_T0_E_clISt17integral_constantIbLb1EES12_IbLb0EEEEDaSY_SZ_EUlSY_E_NS1_11comp_targetILNS1_3genE3ELNS1_11target_archE908ELNS1_3gpuE7ELNS1_3repE0EEENS1_30default_config_static_selectorELNS0_4arch9wavefront6targetE0EEEvT1_.num_agpr, 0
	.set _ZN7rocprim17ROCPRIM_400000_NS6detail17trampoline_kernelINS0_14default_configENS1_27scan_by_key_config_selectorIj11FixedVectorIiLj2EEEEZZNS1_16scan_by_key_implILNS1_25lookback_scan_determinismE0ELb1ES3_N6thrust23THRUST_200600_302600_NS6detail15normal_iteratorINSB_10device_ptrIjEEEENSD_INSE_IS6_EEEESI_S6_NSB_4plusIvEENSB_8equal_toIvEES6_EE10hipError_tPvRmT2_T3_T4_T5_mT6_T7_P12ihipStream_tbENKUlT_T0_E_clISt17integral_constantIbLb1EES12_IbLb0EEEEDaSY_SZ_EUlSY_E_NS1_11comp_targetILNS1_3genE3ELNS1_11target_archE908ELNS1_3gpuE7ELNS1_3repE0EEENS1_30default_config_static_selectorELNS0_4arch9wavefront6targetE0EEEvT1_.numbered_sgpr, 0
	.set _ZN7rocprim17ROCPRIM_400000_NS6detail17trampoline_kernelINS0_14default_configENS1_27scan_by_key_config_selectorIj11FixedVectorIiLj2EEEEZZNS1_16scan_by_key_implILNS1_25lookback_scan_determinismE0ELb1ES3_N6thrust23THRUST_200600_302600_NS6detail15normal_iteratorINSB_10device_ptrIjEEEENSD_INSE_IS6_EEEESI_S6_NSB_4plusIvEENSB_8equal_toIvEES6_EE10hipError_tPvRmT2_T3_T4_T5_mT6_T7_P12ihipStream_tbENKUlT_T0_E_clISt17integral_constantIbLb1EES12_IbLb0EEEEDaSY_SZ_EUlSY_E_NS1_11comp_targetILNS1_3genE3ELNS1_11target_archE908ELNS1_3gpuE7ELNS1_3repE0EEENS1_30default_config_static_selectorELNS0_4arch9wavefront6targetE0EEEvT1_.num_named_barrier, 0
	.set _ZN7rocprim17ROCPRIM_400000_NS6detail17trampoline_kernelINS0_14default_configENS1_27scan_by_key_config_selectorIj11FixedVectorIiLj2EEEEZZNS1_16scan_by_key_implILNS1_25lookback_scan_determinismE0ELb1ES3_N6thrust23THRUST_200600_302600_NS6detail15normal_iteratorINSB_10device_ptrIjEEEENSD_INSE_IS6_EEEESI_S6_NSB_4plusIvEENSB_8equal_toIvEES6_EE10hipError_tPvRmT2_T3_T4_T5_mT6_T7_P12ihipStream_tbENKUlT_T0_E_clISt17integral_constantIbLb1EES12_IbLb0EEEEDaSY_SZ_EUlSY_E_NS1_11comp_targetILNS1_3genE3ELNS1_11target_archE908ELNS1_3gpuE7ELNS1_3repE0EEENS1_30default_config_static_selectorELNS0_4arch9wavefront6targetE0EEEvT1_.private_seg_size, 0
	.set _ZN7rocprim17ROCPRIM_400000_NS6detail17trampoline_kernelINS0_14default_configENS1_27scan_by_key_config_selectorIj11FixedVectorIiLj2EEEEZZNS1_16scan_by_key_implILNS1_25lookback_scan_determinismE0ELb1ES3_N6thrust23THRUST_200600_302600_NS6detail15normal_iteratorINSB_10device_ptrIjEEEENSD_INSE_IS6_EEEESI_S6_NSB_4plusIvEENSB_8equal_toIvEES6_EE10hipError_tPvRmT2_T3_T4_T5_mT6_T7_P12ihipStream_tbENKUlT_T0_E_clISt17integral_constantIbLb1EES12_IbLb0EEEEDaSY_SZ_EUlSY_E_NS1_11comp_targetILNS1_3genE3ELNS1_11target_archE908ELNS1_3gpuE7ELNS1_3repE0EEENS1_30default_config_static_selectorELNS0_4arch9wavefront6targetE0EEEvT1_.uses_vcc, 0
	.set _ZN7rocprim17ROCPRIM_400000_NS6detail17trampoline_kernelINS0_14default_configENS1_27scan_by_key_config_selectorIj11FixedVectorIiLj2EEEEZZNS1_16scan_by_key_implILNS1_25lookback_scan_determinismE0ELb1ES3_N6thrust23THRUST_200600_302600_NS6detail15normal_iteratorINSB_10device_ptrIjEEEENSD_INSE_IS6_EEEESI_S6_NSB_4plusIvEENSB_8equal_toIvEES6_EE10hipError_tPvRmT2_T3_T4_T5_mT6_T7_P12ihipStream_tbENKUlT_T0_E_clISt17integral_constantIbLb1EES12_IbLb0EEEEDaSY_SZ_EUlSY_E_NS1_11comp_targetILNS1_3genE3ELNS1_11target_archE908ELNS1_3gpuE7ELNS1_3repE0EEENS1_30default_config_static_selectorELNS0_4arch9wavefront6targetE0EEEvT1_.uses_flat_scratch, 0
	.set _ZN7rocprim17ROCPRIM_400000_NS6detail17trampoline_kernelINS0_14default_configENS1_27scan_by_key_config_selectorIj11FixedVectorIiLj2EEEEZZNS1_16scan_by_key_implILNS1_25lookback_scan_determinismE0ELb1ES3_N6thrust23THRUST_200600_302600_NS6detail15normal_iteratorINSB_10device_ptrIjEEEENSD_INSE_IS6_EEEESI_S6_NSB_4plusIvEENSB_8equal_toIvEES6_EE10hipError_tPvRmT2_T3_T4_T5_mT6_T7_P12ihipStream_tbENKUlT_T0_E_clISt17integral_constantIbLb1EES12_IbLb0EEEEDaSY_SZ_EUlSY_E_NS1_11comp_targetILNS1_3genE3ELNS1_11target_archE908ELNS1_3gpuE7ELNS1_3repE0EEENS1_30default_config_static_selectorELNS0_4arch9wavefront6targetE0EEEvT1_.has_dyn_sized_stack, 0
	.set _ZN7rocprim17ROCPRIM_400000_NS6detail17trampoline_kernelINS0_14default_configENS1_27scan_by_key_config_selectorIj11FixedVectorIiLj2EEEEZZNS1_16scan_by_key_implILNS1_25lookback_scan_determinismE0ELb1ES3_N6thrust23THRUST_200600_302600_NS6detail15normal_iteratorINSB_10device_ptrIjEEEENSD_INSE_IS6_EEEESI_S6_NSB_4plusIvEENSB_8equal_toIvEES6_EE10hipError_tPvRmT2_T3_T4_T5_mT6_T7_P12ihipStream_tbENKUlT_T0_E_clISt17integral_constantIbLb1EES12_IbLb0EEEEDaSY_SZ_EUlSY_E_NS1_11comp_targetILNS1_3genE3ELNS1_11target_archE908ELNS1_3gpuE7ELNS1_3repE0EEENS1_30default_config_static_selectorELNS0_4arch9wavefront6targetE0EEEvT1_.has_recursion, 0
	.set _ZN7rocprim17ROCPRIM_400000_NS6detail17trampoline_kernelINS0_14default_configENS1_27scan_by_key_config_selectorIj11FixedVectorIiLj2EEEEZZNS1_16scan_by_key_implILNS1_25lookback_scan_determinismE0ELb1ES3_N6thrust23THRUST_200600_302600_NS6detail15normal_iteratorINSB_10device_ptrIjEEEENSD_INSE_IS6_EEEESI_S6_NSB_4plusIvEENSB_8equal_toIvEES6_EE10hipError_tPvRmT2_T3_T4_T5_mT6_T7_P12ihipStream_tbENKUlT_T0_E_clISt17integral_constantIbLb1EES12_IbLb0EEEEDaSY_SZ_EUlSY_E_NS1_11comp_targetILNS1_3genE3ELNS1_11target_archE908ELNS1_3gpuE7ELNS1_3repE0EEENS1_30default_config_static_selectorELNS0_4arch9wavefront6targetE0EEEvT1_.has_indirect_call, 0
	.section	.AMDGPU.csdata,"",@progbits
; Kernel info:
; codeLenInByte = 0
; TotalNumSgprs: 0
; NumVgprs: 0
; ScratchSize: 0
; MemoryBound: 0
; FloatMode: 240
; IeeeMode: 1
; LDSByteSize: 0 bytes/workgroup (compile time only)
; SGPRBlocks: 0
; VGPRBlocks: 0
; NumSGPRsForWavesPerEU: 1
; NumVGPRsForWavesPerEU: 1
; Occupancy: 16
; WaveLimiterHint : 0
; COMPUTE_PGM_RSRC2:SCRATCH_EN: 0
; COMPUTE_PGM_RSRC2:USER_SGPR: 6
; COMPUTE_PGM_RSRC2:TRAP_HANDLER: 0
; COMPUTE_PGM_RSRC2:TGID_X_EN: 1
; COMPUTE_PGM_RSRC2:TGID_Y_EN: 0
; COMPUTE_PGM_RSRC2:TGID_Z_EN: 0
; COMPUTE_PGM_RSRC2:TIDIG_COMP_CNT: 0
	.section	.text._ZN7rocprim17ROCPRIM_400000_NS6detail17trampoline_kernelINS0_14default_configENS1_27scan_by_key_config_selectorIj11FixedVectorIiLj2EEEEZZNS1_16scan_by_key_implILNS1_25lookback_scan_determinismE0ELb1ES3_N6thrust23THRUST_200600_302600_NS6detail15normal_iteratorINSB_10device_ptrIjEEEENSD_INSE_IS6_EEEESI_S6_NSB_4plusIvEENSB_8equal_toIvEES6_EE10hipError_tPvRmT2_T3_T4_T5_mT6_T7_P12ihipStream_tbENKUlT_T0_E_clISt17integral_constantIbLb1EES12_IbLb0EEEEDaSY_SZ_EUlSY_E_NS1_11comp_targetILNS1_3genE2ELNS1_11target_archE906ELNS1_3gpuE6ELNS1_3repE0EEENS1_30default_config_static_selectorELNS0_4arch9wavefront6targetE0EEEvT1_,"axG",@progbits,_ZN7rocprim17ROCPRIM_400000_NS6detail17trampoline_kernelINS0_14default_configENS1_27scan_by_key_config_selectorIj11FixedVectorIiLj2EEEEZZNS1_16scan_by_key_implILNS1_25lookback_scan_determinismE0ELb1ES3_N6thrust23THRUST_200600_302600_NS6detail15normal_iteratorINSB_10device_ptrIjEEEENSD_INSE_IS6_EEEESI_S6_NSB_4plusIvEENSB_8equal_toIvEES6_EE10hipError_tPvRmT2_T3_T4_T5_mT6_T7_P12ihipStream_tbENKUlT_T0_E_clISt17integral_constantIbLb1EES12_IbLb0EEEEDaSY_SZ_EUlSY_E_NS1_11comp_targetILNS1_3genE2ELNS1_11target_archE906ELNS1_3gpuE6ELNS1_3repE0EEENS1_30default_config_static_selectorELNS0_4arch9wavefront6targetE0EEEvT1_,comdat
	.protected	_ZN7rocprim17ROCPRIM_400000_NS6detail17trampoline_kernelINS0_14default_configENS1_27scan_by_key_config_selectorIj11FixedVectorIiLj2EEEEZZNS1_16scan_by_key_implILNS1_25lookback_scan_determinismE0ELb1ES3_N6thrust23THRUST_200600_302600_NS6detail15normal_iteratorINSB_10device_ptrIjEEEENSD_INSE_IS6_EEEESI_S6_NSB_4plusIvEENSB_8equal_toIvEES6_EE10hipError_tPvRmT2_T3_T4_T5_mT6_T7_P12ihipStream_tbENKUlT_T0_E_clISt17integral_constantIbLb1EES12_IbLb0EEEEDaSY_SZ_EUlSY_E_NS1_11comp_targetILNS1_3genE2ELNS1_11target_archE906ELNS1_3gpuE6ELNS1_3repE0EEENS1_30default_config_static_selectorELNS0_4arch9wavefront6targetE0EEEvT1_ ; -- Begin function _ZN7rocprim17ROCPRIM_400000_NS6detail17trampoline_kernelINS0_14default_configENS1_27scan_by_key_config_selectorIj11FixedVectorIiLj2EEEEZZNS1_16scan_by_key_implILNS1_25lookback_scan_determinismE0ELb1ES3_N6thrust23THRUST_200600_302600_NS6detail15normal_iteratorINSB_10device_ptrIjEEEENSD_INSE_IS6_EEEESI_S6_NSB_4plusIvEENSB_8equal_toIvEES6_EE10hipError_tPvRmT2_T3_T4_T5_mT6_T7_P12ihipStream_tbENKUlT_T0_E_clISt17integral_constantIbLb1EES12_IbLb0EEEEDaSY_SZ_EUlSY_E_NS1_11comp_targetILNS1_3genE2ELNS1_11target_archE906ELNS1_3gpuE6ELNS1_3repE0EEENS1_30default_config_static_selectorELNS0_4arch9wavefront6targetE0EEEvT1_
	.globl	_ZN7rocprim17ROCPRIM_400000_NS6detail17trampoline_kernelINS0_14default_configENS1_27scan_by_key_config_selectorIj11FixedVectorIiLj2EEEEZZNS1_16scan_by_key_implILNS1_25lookback_scan_determinismE0ELb1ES3_N6thrust23THRUST_200600_302600_NS6detail15normal_iteratorINSB_10device_ptrIjEEEENSD_INSE_IS6_EEEESI_S6_NSB_4plusIvEENSB_8equal_toIvEES6_EE10hipError_tPvRmT2_T3_T4_T5_mT6_T7_P12ihipStream_tbENKUlT_T0_E_clISt17integral_constantIbLb1EES12_IbLb0EEEEDaSY_SZ_EUlSY_E_NS1_11comp_targetILNS1_3genE2ELNS1_11target_archE906ELNS1_3gpuE6ELNS1_3repE0EEENS1_30default_config_static_selectorELNS0_4arch9wavefront6targetE0EEEvT1_
	.p2align	8
	.type	_ZN7rocprim17ROCPRIM_400000_NS6detail17trampoline_kernelINS0_14default_configENS1_27scan_by_key_config_selectorIj11FixedVectorIiLj2EEEEZZNS1_16scan_by_key_implILNS1_25lookback_scan_determinismE0ELb1ES3_N6thrust23THRUST_200600_302600_NS6detail15normal_iteratorINSB_10device_ptrIjEEEENSD_INSE_IS6_EEEESI_S6_NSB_4plusIvEENSB_8equal_toIvEES6_EE10hipError_tPvRmT2_T3_T4_T5_mT6_T7_P12ihipStream_tbENKUlT_T0_E_clISt17integral_constantIbLb1EES12_IbLb0EEEEDaSY_SZ_EUlSY_E_NS1_11comp_targetILNS1_3genE2ELNS1_11target_archE906ELNS1_3gpuE6ELNS1_3repE0EEENS1_30default_config_static_selectorELNS0_4arch9wavefront6targetE0EEEvT1_,@function
_ZN7rocprim17ROCPRIM_400000_NS6detail17trampoline_kernelINS0_14default_configENS1_27scan_by_key_config_selectorIj11FixedVectorIiLj2EEEEZZNS1_16scan_by_key_implILNS1_25lookback_scan_determinismE0ELb1ES3_N6thrust23THRUST_200600_302600_NS6detail15normal_iteratorINSB_10device_ptrIjEEEENSD_INSE_IS6_EEEESI_S6_NSB_4plusIvEENSB_8equal_toIvEES6_EE10hipError_tPvRmT2_T3_T4_T5_mT6_T7_P12ihipStream_tbENKUlT_T0_E_clISt17integral_constantIbLb1EES12_IbLb0EEEEDaSY_SZ_EUlSY_E_NS1_11comp_targetILNS1_3genE2ELNS1_11target_archE906ELNS1_3gpuE6ELNS1_3repE0EEENS1_30default_config_static_selectorELNS0_4arch9wavefront6targetE0EEEvT1_: ; @_ZN7rocprim17ROCPRIM_400000_NS6detail17trampoline_kernelINS0_14default_configENS1_27scan_by_key_config_selectorIj11FixedVectorIiLj2EEEEZZNS1_16scan_by_key_implILNS1_25lookback_scan_determinismE0ELb1ES3_N6thrust23THRUST_200600_302600_NS6detail15normal_iteratorINSB_10device_ptrIjEEEENSD_INSE_IS6_EEEESI_S6_NSB_4plusIvEENSB_8equal_toIvEES6_EE10hipError_tPvRmT2_T3_T4_T5_mT6_T7_P12ihipStream_tbENKUlT_T0_E_clISt17integral_constantIbLb1EES12_IbLb0EEEEDaSY_SZ_EUlSY_E_NS1_11comp_targetILNS1_3genE2ELNS1_11target_archE906ELNS1_3gpuE6ELNS1_3repE0EEENS1_30default_config_static_selectorELNS0_4arch9wavefront6targetE0EEEvT1_
; %bb.0:
	.section	.rodata,"a",@progbits
	.p2align	6, 0x0
	.amdhsa_kernel _ZN7rocprim17ROCPRIM_400000_NS6detail17trampoline_kernelINS0_14default_configENS1_27scan_by_key_config_selectorIj11FixedVectorIiLj2EEEEZZNS1_16scan_by_key_implILNS1_25lookback_scan_determinismE0ELb1ES3_N6thrust23THRUST_200600_302600_NS6detail15normal_iteratorINSB_10device_ptrIjEEEENSD_INSE_IS6_EEEESI_S6_NSB_4plusIvEENSB_8equal_toIvEES6_EE10hipError_tPvRmT2_T3_T4_T5_mT6_T7_P12ihipStream_tbENKUlT_T0_E_clISt17integral_constantIbLb1EES12_IbLb0EEEEDaSY_SZ_EUlSY_E_NS1_11comp_targetILNS1_3genE2ELNS1_11target_archE906ELNS1_3gpuE6ELNS1_3repE0EEENS1_30default_config_static_selectorELNS0_4arch9wavefront6targetE0EEEvT1_
		.amdhsa_group_segment_fixed_size 0
		.amdhsa_private_segment_fixed_size 0
		.amdhsa_kernarg_size 120
		.amdhsa_user_sgpr_count 6
		.amdhsa_user_sgpr_private_segment_buffer 1
		.amdhsa_user_sgpr_dispatch_ptr 0
		.amdhsa_user_sgpr_queue_ptr 0
		.amdhsa_user_sgpr_kernarg_segment_ptr 1
		.amdhsa_user_sgpr_dispatch_id 0
		.amdhsa_user_sgpr_flat_scratch_init 0
		.amdhsa_user_sgpr_private_segment_size 0
		.amdhsa_wavefront_size32 1
		.amdhsa_uses_dynamic_stack 0
		.amdhsa_system_sgpr_private_segment_wavefront_offset 0
		.amdhsa_system_sgpr_workgroup_id_x 1
		.amdhsa_system_sgpr_workgroup_id_y 0
		.amdhsa_system_sgpr_workgroup_id_z 0
		.amdhsa_system_sgpr_workgroup_info 0
		.amdhsa_system_vgpr_workitem_id 0
		.amdhsa_next_free_vgpr 1
		.amdhsa_next_free_sgpr 1
		.amdhsa_reserve_vcc 0
		.amdhsa_reserve_flat_scratch 0
		.amdhsa_float_round_mode_32 0
		.amdhsa_float_round_mode_16_64 0
		.amdhsa_float_denorm_mode_32 3
		.amdhsa_float_denorm_mode_16_64 3
		.amdhsa_dx10_clamp 1
		.amdhsa_ieee_mode 1
		.amdhsa_fp16_overflow 0
		.amdhsa_workgroup_processor_mode 1
		.amdhsa_memory_ordered 1
		.amdhsa_forward_progress 1
		.amdhsa_shared_vgpr_count 0
		.amdhsa_exception_fp_ieee_invalid_op 0
		.amdhsa_exception_fp_denorm_src 0
		.amdhsa_exception_fp_ieee_div_zero 0
		.amdhsa_exception_fp_ieee_overflow 0
		.amdhsa_exception_fp_ieee_underflow 0
		.amdhsa_exception_fp_ieee_inexact 0
		.amdhsa_exception_int_div_zero 0
	.end_amdhsa_kernel
	.section	.text._ZN7rocprim17ROCPRIM_400000_NS6detail17trampoline_kernelINS0_14default_configENS1_27scan_by_key_config_selectorIj11FixedVectorIiLj2EEEEZZNS1_16scan_by_key_implILNS1_25lookback_scan_determinismE0ELb1ES3_N6thrust23THRUST_200600_302600_NS6detail15normal_iteratorINSB_10device_ptrIjEEEENSD_INSE_IS6_EEEESI_S6_NSB_4plusIvEENSB_8equal_toIvEES6_EE10hipError_tPvRmT2_T3_T4_T5_mT6_T7_P12ihipStream_tbENKUlT_T0_E_clISt17integral_constantIbLb1EES12_IbLb0EEEEDaSY_SZ_EUlSY_E_NS1_11comp_targetILNS1_3genE2ELNS1_11target_archE906ELNS1_3gpuE6ELNS1_3repE0EEENS1_30default_config_static_selectorELNS0_4arch9wavefront6targetE0EEEvT1_,"axG",@progbits,_ZN7rocprim17ROCPRIM_400000_NS6detail17trampoline_kernelINS0_14default_configENS1_27scan_by_key_config_selectorIj11FixedVectorIiLj2EEEEZZNS1_16scan_by_key_implILNS1_25lookback_scan_determinismE0ELb1ES3_N6thrust23THRUST_200600_302600_NS6detail15normal_iteratorINSB_10device_ptrIjEEEENSD_INSE_IS6_EEEESI_S6_NSB_4plusIvEENSB_8equal_toIvEES6_EE10hipError_tPvRmT2_T3_T4_T5_mT6_T7_P12ihipStream_tbENKUlT_T0_E_clISt17integral_constantIbLb1EES12_IbLb0EEEEDaSY_SZ_EUlSY_E_NS1_11comp_targetILNS1_3genE2ELNS1_11target_archE906ELNS1_3gpuE6ELNS1_3repE0EEENS1_30default_config_static_selectorELNS0_4arch9wavefront6targetE0EEEvT1_,comdat
.Lfunc_end2016:
	.size	_ZN7rocprim17ROCPRIM_400000_NS6detail17trampoline_kernelINS0_14default_configENS1_27scan_by_key_config_selectorIj11FixedVectorIiLj2EEEEZZNS1_16scan_by_key_implILNS1_25lookback_scan_determinismE0ELb1ES3_N6thrust23THRUST_200600_302600_NS6detail15normal_iteratorINSB_10device_ptrIjEEEENSD_INSE_IS6_EEEESI_S6_NSB_4plusIvEENSB_8equal_toIvEES6_EE10hipError_tPvRmT2_T3_T4_T5_mT6_T7_P12ihipStream_tbENKUlT_T0_E_clISt17integral_constantIbLb1EES12_IbLb0EEEEDaSY_SZ_EUlSY_E_NS1_11comp_targetILNS1_3genE2ELNS1_11target_archE906ELNS1_3gpuE6ELNS1_3repE0EEENS1_30default_config_static_selectorELNS0_4arch9wavefront6targetE0EEEvT1_, .Lfunc_end2016-_ZN7rocprim17ROCPRIM_400000_NS6detail17trampoline_kernelINS0_14default_configENS1_27scan_by_key_config_selectorIj11FixedVectorIiLj2EEEEZZNS1_16scan_by_key_implILNS1_25lookback_scan_determinismE0ELb1ES3_N6thrust23THRUST_200600_302600_NS6detail15normal_iteratorINSB_10device_ptrIjEEEENSD_INSE_IS6_EEEESI_S6_NSB_4plusIvEENSB_8equal_toIvEES6_EE10hipError_tPvRmT2_T3_T4_T5_mT6_T7_P12ihipStream_tbENKUlT_T0_E_clISt17integral_constantIbLb1EES12_IbLb0EEEEDaSY_SZ_EUlSY_E_NS1_11comp_targetILNS1_3genE2ELNS1_11target_archE906ELNS1_3gpuE6ELNS1_3repE0EEENS1_30default_config_static_selectorELNS0_4arch9wavefront6targetE0EEEvT1_
                                        ; -- End function
	.set _ZN7rocprim17ROCPRIM_400000_NS6detail17trampoline_kernelINS0_14default_configENS1_27scan_by_key_config_selectorIj11FixedVectorIiLj2EEEEZZNS1_16scan_by_key_implILNS1_25lookback_scan_determinismE0ELb1ES3_N6thrust23THRUST_200600_302600_NS6detail15normal_iteratorINSB_10device_ptrIjEEEENSD_INSE_IS6_EEEESI_S6_NSB_4plusIvEENSB_8equal_toIvEES6_EE10hipError_tPvRmT2_T3_T4_T5_mT6_T7_P12ihipStream_tbENKUlT_T0_E_clISt17integral_constantIbLb1EES12_IbLb0EEEEDaSY_SZ_EUlSY_E_NS1_11comp_targetILNS1_3genE2ELNS1_11target_archE906ELNS1_3gpuE6ELNS1_3repE0EEENS1_30default_config_static_selectorELNS0_4arch9wavefront6targetE0EEEvT1_.num_vgpr, 0
	.set _ZN7rocprim17ROCPRIM_400000_NS6detail17trampoline_kernelINS0_14default_configENS1_27scan_by_key_config_selectorIj11FixedVectorIiLj2EEEEZZNS1_16scan_by_key_implILNS1_25lookback_scan_determinismE0ELb1ES3_N6thrust23THRUST_200600_302600_NS6detail15normal_iteratorINSB_10device_ptrIjEEEENSD_INSE_IS6_EEEESI_S6_NSB_4plusIvEENSB_8equal_toIvEES6_EE10hipError_tPvRmT2_T3_T4_T5_mT6_T7_P12ihipStream_tbENKUlT_T0_E_clISt17integral_constantIbLb1EES12_IbLb0EEEEDaSY_SZ_EUlSY_E_NS1_11comp_targetILNS1_3genE2ELNS1_11target_archE906ELNS1_3gpuE6ELNS1_3repE0EEENS1_30default_config_static_selectorELNS0_4arch9wavefront6targetE0EEEvT1_.num_agpr, 0
	.set _ZN7rocprim17ROCPRIM_400000_NS6detail17trampoline_kernelINS0_14default_configENS1_27scan_by_key_config_selectorIj11FixedVectorIiLj2EEEEZZNS1_16scan_by_key_implILNS1_25lookback_scan_determinismE0ELb1ES3_N6thrust23THRUST_200600_302600_NS6detail15normal_iteratorINSB_10device_ptrIjEEEENSD_INSE_IS6_EEEESI_S6_NSB_4plusIvEENSB_8equal_toIvEES6_EE10hipError_tPvRmT2_T3_T4_T5_mT6_T7_P12ihipStream_tbENKUlT_T0_E_clISt17integral_constantIbLb1EES12_IbLb0EEEEDaSY_SZ_EUlSY_E_NS1_11comp_targetILNS1_3genE2ELNS1_11target_archE906ELNS1_3gpuE6ELNS1_3repE0EEENS1_30default_config_static_selectorELNS0_4arch9wavefront6targetE0EEEvT1_.numbered_sgpr, 0
	.set _ZN7rocprim17ROCPRIM_400000_NS6detail17trampoline_kernelINS0_14default_configENS1_27scan_by_key_config_selectorIj11FixedVectorIiLj2EEEEZZNS1_16scan_by_key_implILNS1_25lookback_scan_determinismE0ELb1ES3_N6thrust23THRUST_200600_302600_NS6detail15normal_iteratorINSB_10device_ptrIjEEEENSD_INSE_IS6_EEEESI_S6_NSB_4plusIvEENSB_8equal_toIvEES6_EE10hipError_tPvRmT2_T3_T4_T5_mT6_T7_P12ihipStream_tbENKUlT_T0_E_clISt17integral_constantIbLb1EES12_IbLb0EEEEDaSY_SZ_EUlSY_E_NS1_11comp_targetILNS1_3genE2ELNS1_11target_archE906ELNS1_3gpuE6ELNS1_3repE0EEENS1_30default_config_static_selectorELNS0_4arch9wavefront6targetE0EEEvT1_.num_named_barrier, 0
	.set _ZN7rocprim17ROCPRIM_400000_NS6detail17trampoline_kernelINS0_14default_configENS1_27scan_by_key_config_selectorIj11FixedVectorIiLj2EEEEZZNS1_16scan_by_key_implILNS1_25lookback_scan_determinismE0ELb1ES3_N6thrust23THRUST_200600_302600_NS6detail15normal_iteratorINSB_10device_ptrIjEEEENSD_INSE_IS6_EEEESI_S6_NSB_4plusIvEENSB_8equal_toIvEES6_EE10hipError_tPvRmT2_T3_T4_T5_mT6_T7_P12ihipStream_tbENKUlT_T0_E_clISt17integral_constantIbLb1EES12_IbLb0EEEEDaSY_SZ_EUlSY_E_NS1_11comp_targetILNS1_3genE2ELNS1_11target_archE906ELNS1_3gpuE6ELNS1_3repE0EEENS1_30default_config_static_selectorELNS0_4arch9wavefront6targetE0EEEvT1_.private_seg_size, 0
	.set _ZN7rocprim17ROCPRIM_400000_NS6detail17trampoline_kernelINS0_14default_configENS1_27scan_by_key_config_selectorIj11FixedVectorIiLj2EEEEZZNS1_16scan_by_key_implILNS1_25lookback_scan_determinismE0ELb1ES3_N6thrust23THRUST_200600_302600_NS6detail15normal_iteratorINSB_10device_ptrIjEEEENSD_INSE_IS6_EEEESI_S6_NSB_4plusIvEENSB_8equal_toIvEES6_EE10hipError_tPvRmT2_T3_T4_T5_mT6_T7_P12ihipStream_tbENKUlT_T0_E_clISt17integral_constantIbLb1EES12_IbLb0EEEEDaSY_SZ_EUlSY_E_NS1_11comp_targetILNS1_3genE2ELNS1_11target_archE906ELNS1_3gpuE6ELNS1_3repE0EEENS1_30default_config_static_selectorELNS0_4arch9wavefront6targetE0EEEvT1_.uses_vcc, 0
	.set _ZN7rocprim17ROCPRIM_400000_NS6detail17trampoline_kernelINS0_14default_configENS1_27scan_by_key_config_selectorIj11FixedVectorIiLj2EEEEZZNS1_16scan_by_key_implILNS1_25lookback_scan_determinismE0ELb1ES3_N6thrust23THRUST_200600_302600_NS6detail15normal_iteratorINSB_10device_ptrIjEEEENSD_INSE_IS6_EEEESI_S6_NSB_4plusIvEENSB_8equal_toIvEES6_EE10hipError_tPvRmT2_T3_T4_T5_mT6_T7_P12ihipStream_tbENKUlT_T0_E_clISt17integral_constantIbLb1EES12_IbLb0EEEEDaSY_SZ_EUlSY_E_NS1_11comp_targetILNS1_3genE2ELNS1_11target_archE906ELNS1_3gpuE6ELNS1_3repE0EEENS1_30default_config_static_selectorELNS0_4arch9wavefront6targetE0EEEvT1_.uses_flat_scratch, 0
	.set _ZN7rocprim17ROCPRIM_400000_NS6detail17trampoline_kernelINS0_14default_configENS1_27scan_by_key_config_selectorIj11FixedVectorIiLj2EEEEZZNS1_16scan_by_key_implILNS1_25lookback_scan_determinismE0ELb1ES3_N6thrust23THRUST_200600_302600_NS6detail15normal_iteratorINSB_10device_ptrIjEEEENSD_INSE_IS6_EEEESI_S6_NSB_4plusIvEENSB_8equal_toIvEES6_EE10hipError_tPvRmT2_T3_T4_T5_mT6_T7_P12ihipStream_tbENKUlT_T0_E_clISt17integral_constantIbLb1EES12_IbLb0EEEEDaSY_SZ_EUlSY_E_NS1_11comp_targetILNS1_3genE2ELNS1_11target_archE906ELNS1_3gpuE6ELNS1_3repE0EEENS1_30default_config_static_selectorELNS0_4arch9wavefront6targetE0EEEvT1_.has_dyn_sized_stack, 0
	.set _ZN7rocprim17ROCPRIM_400000_NS6detail17trampoline_kernelINS0_14default_configENS1_27scan_by_key_config_selectorIj11FixedVectorIiLj2EEEEZZNS1_16scan_by_key_implILNS1_25lookback_scan_determinismE0ELb1ES3_N6thrust23THRUST_200600_302600_NS6detail15normal_iteratorINSB_10device_ptrIjEEEENSD_INSE_IS6_EEEESI_S6_NSB_4plusIvEENSB_8equal_toIvEES6_EE10hipError_tPvRmT2_T3_T4_T5_mT6_T7_P12ihipStream_tbENKUlT_T0_E_clISt17integral_constantIbLb1EES12_IbLb0EEEEDaSY_SZ_EUlSY_E_NS1_11comp_targetILNS1_3genE2ELNS1_11target_archE906ELNS1_3gpuE6ELNS1_3repE0EEENS1_30default_config_static_selectorELNS0_4arch9wavefront6targetE0EEEvT1_.has_recursion, 0
	.set _ZN7rocprim17ROCPRIM_400000_NS6detail17trampoline_kernelINS0_14default_configENS1_27scan_by_key_config_selectorIj11FixedVectorIiLj2EEEEZZNS1_16scan_by_key_implILNS1_25lookback_scan_determinismE0ELb1ES3_N6thrust23THRUST_200600_302600_NS6detail15normal_iteratorINSB_10device_ptrIjEEEENSD_INSE_IS6_EEEESI_S6_NSB_4plusIvEENSB_8equal_toIvEES6_EE10hipError_tPvRmT2_T3_T4_T5_mT6_T7_P12ihipStream_tbENKUlT_T0_E_clISt17integral_constantIbLb1EES12_IbLb0EEEEDaSY_SZ_EUlSY_E_NS1_11comp_targetILNS1_3genE2ELNS1_11target_archE906ELNS1_3gpuE6ELNS1_3repE0EEENS1_30default_config_static_selectorELNS0_4arch9wavefront6targetE0EEEvT1_.has_indirect_call, 0
	.section	.AMDGPU.csdata,"",@progbits
; Kernel info:
; codeLenInByte = 0
; TotalNumSgprs: 0
; NumVgprs: 0
; ScratchSize: 0
; MemoryBound: 0
; FloatMode: 240
; IeeeMode: 1
; LDSByteSize: 0 bytes/workgroup (compile time only)
; SGPRBlocks: 0
; VGPRBlocks: 0
; NumSGPRsForWavesPerEU: 1
; NumVGPRsForWavesPerEU: 1
; Occupancy: 16
; WaveLimiterHint : 0
; COMPUTE_PGM_RSRC2:SCRATCH_EN: 0
; COMPUTE_PGM_RSRC2:USER_SGPR: 6
; COMPUTE_PGM_RSRC2:TRAP_HANDLER: 0
; COMPUTE_PGM_RSRC2:TGID_X_EN: 1
; COMPUTE_PGM_RSRC2:TGID_Y_EN: 0
; COMPUTE_PGM_RSRC2:TGID_Z_EN: 0
; COMPUTE_PGM_RSRC2:TIDIG_COMP_CNT: 0
	.section	.text._ZN7rocprim17ROCPRIM_400000_NS6detail17trampoline_kernelINS0_14default_configENS1_27scan_by_key_config_selectorIj11FixedVectorIiLj2EEEEZZNS1_16scan_by_key_implILNS1_25lookback_scan_determinismE0ELb1ES3_N6thrust23THRUST_200600_302600_NS6detail15normal_iteratorINSB_10device_ptrIjEEEENSD_INSE_IS6_EEEESI_S6_NSB_4plusIvEENSB_8equal_toIvEES6_EE10hipError_tPvRmT2_T3_T4_T5_mT6_T7_P12ihipStream_tbENKUlT_T0_E_clISt17integral_constantIbLb1EES12_IbLb0EEEEDaSY_SZ_EUlSY_E_NS1_11comp_targetILNS1_3genE10ELNS1_11target_archE1200ELNS1_3gpuE4ELNS1_3repE0EEENS1_30default_config_static_selectorELNS0_4arch9wavefront6targetE0EEEvT1_,"axG",@progbits,_ZN7rocprim17ROCPRIM_400000_NS6detail17trampoline_kernelINS0_14default_configENS1_27scan_by_key_config_selectorIj11FixedVectorIiLj2EEEEZZNS1_16scan_by_key_implILNS1_25lookback_scan_determinismE0ELb1ES3_N6thrust23THRUST_200600_302600_NS6detail15normal_iteratorINSB_10device_ptrIjEEEENSD_INSE_IS6_EEEESI_S6_NSB_4plusIvEENSB_8equal_toIvEES6_EE10hipError_tPvRmT2_T3_T4_T5_mT6_T7_P12ihipStream_tbENKUlT_T0_E_clISt17integral_constantIbLb1EES12_IbLb0EEEEDaSY_SZ_EUlSY_E_NS1_11comp_targetILNS1_3genE10ELNS1_11target_archE1200ELNS1_3gpuE4ELNS1_3repE0EEENS1_30default_config_static_selectorELNS0_4arch9wavefront6targetE0EEEvT1_,comdat
	.protected	_ZN7rocprim17ROCPRIM_400000_NS6detail17trampoline_kernelINS0_14default_configENS1_27scan_by_key_config_selectorIj11FixedVectorIiLj2EEEEZZNS1_16scan_by_key_implILNS1_25lookback_scan_determinismE0ELb1ES3_N6thrust23THRUST_200600_302600_NS6detail15normal_iteratorINSB_10device_ptrIjEEEENSD_INSE_IS6_EEEESI_S6_NSB_4plusIvEENSB_8equal_toIvEES6_EE10hipError_tPvRmT2_T3_T4_T5_mT6_T7_P12ihipStream_tbENKUlT_T0_E_clISt17integral_constantIbLb1EES12_IbLb0EEEEDaSY_SZ_EUlSY_E_NS1_11comp_targetILNS1_3genE10ELNS1_11target_archE1200ELNS1_3gpuE4ELNS1_3repE0EEENS1_30default_config_static_selectorELNS0_4arch9wavefront6targetE0EEEvT1_ ; -- Begin function _ZN7rocprim17ROCPRIM_400000_NS6detail17trampoline_kernelINS0_14default_configENS1_27scan_by_key_config_selectorIj11FixedVectorIiLj2EEEEZZNS1_16scan_by_key_implILNS1_25lookback_scan_determinismE0ELb1ES3_N6thrust23THRUST_200600_302600_NS6detail15normal_iteratorINSB_10device_ptrIjEEEENSD_INSE_IS6_EEEESI_S6_NSB_4plusIvEENSB_8equal_toIvEES6_EE10hipError_tPvRmT2_T3_T4_T5_mT6_T7_P12ihipStream_tbENKUlT_T0_E_clISt17integral_constantIbLb1EES12_IbLb0EEEEDaSY_SZ_EUlSY_E_NS1_11comp_targetILNS1_3genE10ELNS1_11target_archE1200ELNS1_3gpuE4ELNS1_3repE0EEENS1_30default_config_static_selectorELNS0_4arch9wavefront6targetE0EEEvT1_
	.globl	_ZN7rocprim17ROCPRIM_400000_NS6detail17trampoline_kernelINS0_14default_configENS1_27scan_by_key_config_selectorIj11FixedVectorIiLj2EEEEZZNS1_16scan_by_key_implILNS1_25lookback_scan_determinismE0ELb1ES3_N6thrust23THRUST_200600_302600_NS6detail15normal_iteratorINSB_10device_ptrIjEEEENSD_INSE_IS6_EEEESI_S6_NSB_4plusIvEENSB_8equal_toIvEES6_EE10hipError_tPvRmT2_T3_T4_T5_mT6_T7_P12ihipStream_tbENKUlT_T0_E_clISt17integral_constantIbLb1EES12_IbLb0EEEEDaSY_SZ_EUlSY_E_NS1_11comp_targetILNS1_3genE10ELNS1_11target_archE1200ELNS1_3gpuE4ELNS1_3repE0EEENS1_30default_config_static_selectorELNS0_4arch9wavefront6targetE0EEEvT1_
	.p2align	8
	.type	_ZN7rocprim17ROCPRIM_400000_NS6detail17trampoline_kernelINS0_14default_configENS1_27scan_by_key_config_selectorIj11FixedVectorIiLj2EEEEZZNS1_16scan_by_key_implILNS1_25lookback_scan_determinismE0ELb1ES3_N6thrust23THRUST_200600_302600_NS6detail15normal_iteratorINSB_10device_ptrIjEEEENSD_INSE_IS6_EEEESI_S6_NSB_4plusIvEENSB_8equal_toIvEES6_EE10hipError_tPvRmT2_T3_T4_T5_mT6_T7_P12ihipStream_tbENKUlT_T0_E_clISt17integral_constantIbLb1EES12_IbLb0EEEEDaSY_SZ_EUlSY_E_NS1_11comp_targetILNS1_3genE10ELNS1_11target_archE1200ELNS1_3gpuE4ELNS1_3repE0EEENS1_30default_config_static_selectorELNS0_4arch9wavefront6targetE0EEEvT1_,@function
_ZN7rocprim17ROCPRIM_400000_NS6detail17trampoline_kernelINS0_14default_configENS1_27scan_by_key_config_selectorIj11FixedVectorIiLj2EEEEZZNS1_16scan_by_key_implILNS1_25lookback_scan_determinismE0ELb1ES3_N6thrust23THRUST_200600_302600_NS6detail15normal_iteratorINSB_10device_ptrIjEEEENSD_INSE_IS6_EEEESI_S6_NSB_4plusIvEENSB_8equal_toIvEES6_EE10hipError_tPvRmT2_T3_T4_T5_mT6_T7_P12ihipStream_tbENKUlT_T0_E_clISt17integral_constantIbLb1EES12_IbLb0EEEEDaSY_SZ_EUlSY_E_NS1_11comp_targetILNS1_3genE10ELNS1_11target_archE1200ELNS1_3gpuE4ELNS1_3repE0EEENS1_30default_config_static_selectorELNS0_4arch9wavefront6targetE0EEEvT1_: ; @_ZN7rocprim17ROCPRIM_400000_NS6detail17trampoline_kernelINS0_14default_configENS1_27scan_by_key_config_selectorIj11FixedVectorIiLj2EEEEZZNS1_16scan_by_key_implILNS1_25lookback_scan_determinismE0ELb1ES3_N6thrust23THRUST_200600_302600_NS6detail15normal_iteratorINSB_10device_ptrIjEEEENSD_INSE_IS6_EEEESI_S6_NSB_4plusIvEENSB_8equal_toIvEES6_EE10hipError_tPvRmT2_T3_T4_T5_mT6_T7_P12ihipStream_tbENKUlT_T0_E_clISt17integral_constantIbLb1EES12_IbLb0EEEEDaSY_SZ_EUlSY_E_NS1_11comp_targetILNS1_3genE10ELNS1_11target_archE1200ELNS1_3gpuE4ELNS1_3repE0EEENS1_30default_config_static_selectorELNS0_4arch9wavefront6targetE0EEEvT1_
; %bb.0:
	.section	.rodata,"a",@progbits
	.p2align	6, 0x0
	.amdhsa_kernel _ZN7rocprim17ROCPRIM_400000_NS6detail17trampoline_kernelINS0_14default_configENS1_27scan_by_key_config_selectorIj11FixedVectorIiLj2EEEEZZNS1_16scan_by_key_implILNS1_25lookback_scan_determinismE0ELb1ES3_N6thrust23THRUST_200600_302600_NS6detail15normal_iteratorINSB_10device_ptrIjEEEENSD_INSE_IS6_EEEESI_S6_NSB_4plusIvEENSB_8equal_toIvEES6_EE10hipError_tPvRmT2_T3_T4_T5_mT6_T7_P12ihipStream_tbENKUlT_T0_E_clISt17integral_constantIbLb1EES12_IbLb0EEEEDaSY_SZ_EUlSY_E_NS1_11comp_targetILNS1_3genE10ELNS1_11target_archE1200ELNS1_3gpuE4ELNS1_3repE0EEENS1_30default_config_static_selectorELNS0_4arch9wavefront6targetE0EEEvT1_
		.amdhsa_group_segment_fixed_size 0
		.amdhsa_private_segment_fixed_size 0
		.amdhsa_kernarg_size 120
		.amdhsa_user_sgpr_count 6
		.amdhsa_user_sgpr_private_segment_buffer 1
		.amdhsa_user_sgpr_dispatch_ptr 0
		.amdhsa_user_sgpr_queue_ptr 0
		.amdhsa_user_sgpr_kernarg_segment_ptr 1
		.amdhsa_user_sgpr_dispatch_id 0
		.amdhsa_user_sgpr_flat_scratch_init 0
		.amdhsa_user_sgpr_private_segment_size 0
		.amdhsa_wavefront_size32 1
		.amdhsa_uses_dynamic_stack 0
		.amdhsa_system_sgpr_private_segment_wavefront_offset 0
		.amdhsa_system_sgpr_workgroup_id_x 1
		.amdhsa_system_sgpr_workgroup_id_y 0
		.amdhsa_system_sgpr_workgroup_id_z 0
		.amdhsa_system_sgpr_workgroup_info 0
		.amdhsa_system_vgpr_workitem_id 0
		.amdhsa_next_free_vgpr 1
		.amdhsa_next_free_sgpr 1
		.amdhsa_reserve_vcc 0
		.amdhsa_reserve_flat_scratch 0
		.amdhsa_float_round_mode_32 0
		.amdhsa_float_round_mode_16_64 0
		.amdhsa_float_denorm_mode_32 3
		.amdhsa_float_denorm_mode_16_64 3
		.amdhsa_dx10_clamp 1
		.amdhsa_ieee_mode 1
		.amdhsa_fp16_overflow 0
		.amdhsa_workgroup_processor_mode 1
		.amdhsa_memory_ordered 1
		.amdhsa_forward_progress 1
		.amdhsa_shared_vgpr_count 0
		.amdhsa_exception_fp_ieee_invalid_op 0
		.amdhsa_exception_fp_denorm_src 0
		.amdhsa_exception_fp_ieee_div_zero 0
		.amdhsa_exception_fp_ieee_overflow 0
		.amdhsa_exception_fp_ieee_underflow 0
		.amdhsa_exception_fp_ieee_inexact 0
		.amdhsa_exception_int_div_zero 0
	.end_amdhsa_kernel
	.section	.text._ZN7rocprim17ROCPRIM_400000_NS6detail17trampoline_kernelINS0_14default_configENS1_27scan_by_key_config_selectorIj11FixedVectorIiLj2EEEEZZNS1_16scan_by_key_implILNS1_25lookback_scan_determinismE0ELb1ES3_N6thrust23THRUST_200600_302600_NS6detail15normal_iteratorINSB_10device_ptrIjEEEENSD_INSE_IS6_EEEESI_S6_NSB_4plusIvEENSB_8equal_toIvEES6_EE10hipError_tPvRmT2_T3_T4_T5_mT6_T7_P12ihipStream_tbENKUlT_T0_E_clISt17integral_constantIbLb1EES12_IbLb0EEEEDaSY_SZ_EUlSY_E_NS1_11comp_targetILNS1_3genE10ELNS1_11target_archE1200ELNS1_3gpuE4ELNS1_3repE0EEENS1_30default_config_static_selectorELNS0_4arch9wavefront6targetE0EEEvT1_,"axG",@progbits,_ZN7rocprim17ROCPRIM_400000_NS6detail17trampoline_kernelINS0_14default_configENS1_27scan_by_key_config_selectorIj11FixedVectorIiLj2EEEEZZNS1_16scan_by_key_implILNS1_25lookback_scan_determinismE0ELb1ES3_N6thrust23THRUST_200600_302600_NS6detail15normal_iteratorINSB_10device_ptrIjEEEENSD_INSE_IS6_EEEESI_S6_NSB_4plusIvEENSB_8equal_toIvEES6_EE10hipError_tPvRmT2_T3_T4_T5_mT6_T7_P12ihipStream_tbENKUlT_T0_E_clISt17integral_constantIbLb1EES12_IbLb0EEEEDaSY_SZ_EUlSY_E_NS1_11comp_targetILNS1_3genE10ELNS1_11target_archE1200ELNS1_3gpuE4ELNS1_3repE0EEENS1_30default_config_static_selectorELNS0_4arch9wavefront6targetE0EEEvT1_,comdat
.Lfunc_end2017:
	.size	_ZN7rocprim17ROCPRIM_400000_NS6detail17trampoline_kernelINS0_14default_configENS1_27scan_by_key_config_selectorIj11FixedVectorIiLj2EEEEZZNS1_16scan_by_key_implILNS1_25lookback_scan_determinismE0ELb1ES3_N6thrust23THRUST_200600_302600_NS6detail15normal_iteratorINSB_10device_ptrIjEEEENSD_INSE_IS6_EEEESI_S6_NSB_4plusIvEENSB_8equal_toIvEES6_EE10hipError_tPvRmT2_T3_T4_T5_mT6_T7_P12ihipStream_tbENKUlT_T0_E_clISt17integral_constantIbLb1EES12_IbLb0EEEEDaSY_SZ_EUlSY_E_NS1_11comp_targetILNS1_3genE10ELNS1_11target_archE1200ELNS1_3gpuE4ELNS1_3repE0EEENS1_30default_config_static_selectorELNS0_4arch9wavefront6targetE0EEEvT1_, .Lfunc_end2017-_ZN7rocprim17ROCPRIM_400000_NS6detail17trampoline_kernelINS0_14default_configENS1_27scan_by_key_config_selectorIj11FixedVectorIiLj2EEEEZZNS1_16scan_by_key_implILNS1_25lookback_scan_determinismE0ELb1ES3_N6thrust23THRUST_200600_302600_NS6detail15normal_iteratorINSB_10device_ptrIjEEEENSD_INSE_IS6_EEEESI_S6_NSB_4plusIvEENSB_8equal_toIvEES6_EE10hipError_tPvRmT2_T3_T4_T5_mT6_T7_P12ihipStream_tbENKUlT_T0_E_clISt17integral_constantIbLb1EES12_IbLb0EEEEDaSY_SZ_EUlSY_E_NS1_11comp_targetILNS1_3genE10ELNS1_11target_archE1200ELNS1_3gpuE4ELNS1_3repE0EEENS1_30default_config_static_selectorELNS0_4arch9wavefront6targetE0EEEvT1_
                                        ; -- End function
	.set _ZN7rocprim17ROCPRIM_400000_NS6detail17trampoline_kernelINS0_14default_configENS1_27scan_by_key_config_selectorIj11FixedVectorIiLj2EEEEZZNS1_16scan_by_key_implILNS1_25lookback_scan_determinismE0ELb1ES3_N6thrust23THRUST_200600_302600_NS6detail15normal_iteratorINSB_10device_ptrIjEEEENSD_INSE_IS6_EEEESI_S6_NSB_4plusIvEENSB_8equal_toIvEES6_EE10hipError_tPvRmT2_T3_T4_T5_mT6_T7_P12ihipStream_tbENKUlT_T0_E_clISt17integral_constantIbLb1EES12_IbLb0EEEEDaSY_SZ_EUlSY_E_NS1_11comp_targetILNS1_3genE10ELNS1_11target_archE1200ELNS1_3gpuE4ELNS1_3repE0EEENS1_30default_config_static_selectorELNS0_4arch9wavefront6targetE0EEEvT1_.num_vgpr, 0
	.set _ZN7rocprim17ROCPRIM_400000_NS6detail17trampoline_kernelINS0_14default_configENS1_27scan_by_key_config_selectorIj11FixedVectorIiLj2EEEEZZNS1_16scan_by_key_implILNS1_25lookback_scan_determinismE0ELb1ES3_N6thrust23THRUST_200600_302600_NS6detail15normal_iteratorINSB_10device_ptrIjEEEENSD_INSE_IS6_EEEESI_S6_NSB_4plusIvEENSB_8equal_toIvEES6_EE10hipError_tPvRmT2_T3_T4_T5_mT6_T7_P12ihipStream_tbENKUlT_T0_E_clISt17integral_constantIbLb1EES12_IbLb0EEEEDaSY_SZ_EUlSY_E_NS1_11comp_targetILNS1_3genE10ELNS1_11target_archE1200ELNS1_3gpuE4ELNS1_3repE0EEENS1_30default_config_static_selectorELNS0_4arch9wavefront6targetE0EEEvT1_.num_agpr, 0
	.set _ZN7rocprim17ROCPRIM_400000_NS6detail17trampoline_kernelINS0_14default_configENS1_27scan_by_key_config_selectorIj11FixedVectorIiLj2EEEEZZNS1_16scan_by_key_implILNS1_25lookback_scan_determinismE0ELb1ES3_N6thrust23THRUST_200600_302600_NS6detail15normal_iteratorINSB_10device_ptrIjEEEENSD_INSE_IS6_EEEESI_S6_NSB_4plusIvEENSB_8equal_toIvEES6_EE10hipError_tPvRmT2_T3_T4_T5_mT6_T7_P12ihipStream_tbENKUlT_T0_E_clISt17integral_constantIbLb1EES12_IbLb0EEEEDaSY_SZ_EUlSY_E_NS1_11comp_targetILNS1_3genE10ELNS1_11target_archE1200ELNS1_3gpuE4ELNS1_3repE0EEENS1_30default_config_static_selectorELNS0_4arch9wavefront6targetE0EEEvT1_.numbered_sgpr, 0
	.set _ZN7rocprim17ROCPRIM_400000_NS6detail17trampoline_kernelINS0_14default_configENS1_27scan_by_key_config_selectorIj11FixedVectorIiLj2EEEEZZNS1_16scan_by_key_implILNS1_25lookback_scan_determinismE0ELb1ES3_N6thrust23THRUST_200600_302600_NS6detail15normal_iteratorINSB_10device_ptrIjEEEENSD_INSE_IS6_EEEESI_S6_NSB_4plusIvEENSB_8equal_toIvEES6_EE10hipError_tPvRmT2_T3_T4_T5_mT6_T7_P12ihipStream_tbENKUlT_T0_E_clISt17integral_constantIbLb1EES12_IbLb0EEEEDaSY_SZ_EUlSY_E_NS1_11comp_targetILNS1_3genE10ELNS1_11target_archE1200ELNS1_3gpuE4ELNS1_3repE0EEENS1_30default_config_static_selectorELNS0_4arch9wavefront6targetE0EEEvT1_.num_named_barrier, 0
	.set _ZN7rocprim17ROCPRIM_400000_NS6detail17trampoline_kernelINS0_14default_configENS1_27scan_by_key_config_selectorIj11FixedVectorIiLj2EEEEZZNS1_16scan_by_key_implILNS1_25lookback_scan_determinismE0ELb1ES3_N6thrust23THRUST_200600_302600_NS6detail15normal_iteratorINSB_10device_ptrIjEEEENSD_INSE_IS6_EEEESI_S6_NSB_4plusIvEENSB_8equal_toIvEES6_EE10hipError_tPvRmT2_T3_T4_T5_mT6_T7_P12ihipStream_tbENKUlT_T0_E_clISt17integral_constantIbLb1EES12_IbLb0EEEEDaSY_SZ_EUlSY_E_NS1_11comp_targetILNS1_3genE10ELNS1_11target_archE1200ELNS1_3gpuE4ELNS1_3repE0EEENS1_30default_config_static_selectorELNS0_4arch9wavefront6targetE0EEEvT1_.private_seg_size, 0
	.set _ZN7rocprim17ROCPRIM_400000_NS6detail17trampoline_kernelINS0_14default_configENS1_27scan_by_key_config_selectorIj11FixedVectorIiLj2EEEEZZNS1_16scan_by_key_implILNS1_25lookback_scan_determinismE0ELb1ES3_N6thrust23THRUST_200600_302600_NS6detail15normal_iteratorINSB_10device_ptrIjEEEENSD_INSE_IS6_EEEESI_S6_NSB_4plusIvEENSB_8equal_toIvEES6_EE10hipError_tPvRmT2_T3_T4_T5_mT6_T7_P12ihipStream_tbENKUlT_T0_E_clISt17integral_constantIbLb1EES12_IbLb0EEEEDaSY_SZ_EUlSY_E_NS1_11comp_targetILNS1_3genE10ELNS1_11target_archE1200ELNS1_3gpuE4ELNS1_3repE0EEENS1_30default_config_static_selectorELNS0_4arch9wavefront6targetE0EEEvT1_.uses_vcc, 0
	.set _ZN7rocprim17ROCPRIM_400000_NS6detail17trampoline_kernelINS0_14default_configENS1_27scan_by_key_config_selectorIj11FixedVectorIiLj2EEEEZZNS1_16scan_by_key_implILNS1_25lookback_scan_determinismE0ELb1ES3_N6thrust23THRUST_200600_302600_NS6detail15normal_iteratorINSB_10device_ptrIjEEEENSD_INSE_IS6_EEEESI_S6_NSB_4plusIvEENSB_8equal_toIvEES6_EE10hipError_tPvRmT2_T3_T4_T5_mT6_T7_P12ihipStream_tbENKUlT_T0_E_clISt17integral_constantIbLb1EES12_IbLb0EEEEDaSY_SZ_EUlSY_E_NS1_11comp_targetILNS1_3genE10ELNS1_11target_archE1200ELNS1_3gpuE4ELNS1_3repE0EEENS1_30default_config_static_selectorELNS0_4arch9wavefront6targetE0EEEvT1_.uses_flat_scratch, 0
	.set _ZN7rocprim17ROCPRIM_400000_NS6detail17trampoline_kernelINS0_14default_configENS1_27scan_by_key_config_selectorIj11FixedVectorIiLj2EEEEZZNS1_16scan_by_key_implILNS1_25lookback_scan_determinismE0ELb1ES3_N6thrust23THRUST_200600_302600_NS6detail15normal_iteratorINSB_10device_ptrIjEEEENSD_INSE_IS6_EEEESI_S6_NSB_4plusIvEENSB_8equal_toIvEES6_EE10hipError_tPvRmT2_T3_T4_T5_mT6_T7_P12ihipStream_tbENKUlT_T0_E_clISt17integral_constantIbLb1EES12_IbLb0EEEEDaSY_SZ_EUlSY_E_NS1_11comp_targetILNS1_3genE10ELNS1_11target_archE1200ELNS1_3gpuE4ELNS1_3repE0EEENS1_30default_config_static_selectorELNS0_4arch9wavefront6targetE0EEEvT1_.has_dyn_sized_stack, 0
	.set _ZN7rocprim17ROCPRIM_400000_NS6detail17trampoline_kernelINS0_14default_configENS1_27scan_by_key_config_selectorIj11FixedVectorIiLj2EEEEZZNS1_16scan_by_key_implILNS1_25lookback_scan_determinismE0ELb1ES3_N6thrust23THRUST_200600_302600_NS6detail15normal_iteratorINSB_10device_ptrIjEEEENSD_INSE_IS6_EEEESI_S6_NSB_4plusIvEENSB_8equal_toIvEES6_EE10hipError_tPvRmT2_T3_T4_T5_mT6_T7_P12ihipStream_tbENKUlT_T0_E_clISt17integral_constantIbLb1EES12_IbLb0EEEEDaSY_SZ_EUlSY_E_NS1_11comp_targetILNS1_3genE10ELNS1_11target_archE1200ELNS1_3gpuE4ELNS1_3repE0EEENS1_30default_config_static_selectorELNS0_4arch9wavefront6targetE0EEEvT1_.has_recursion, 0
	.set _ZN7rocprim17ROCPRIM_400000_NS6detail17trampoline_kernelINS0_14default_configENS1_27scan_by_key_config_selectorIj11FixedVectorIiLj2EEEEZZNS1_16scan_by_key_implILNS1_25lookback_scan_determinismE0ELb1ES3_N6thrust23THRUST_200600_302600_NS6detail15normal_iteratorINSB_10device_ptrIjEEEENSD_INSE_IS6_EEEESI_S6_NSB_4plusIvEENSB_8equal_toIvEES6_EE10hipError_tPvRmT2_T3_T4_T5_mT6_T7_P12ihipStream_tbENKUlT_T0_E_clISt17integral_constantIbLb1EES12_IbLb0EEEEDaSY_SZ_EUlSY_E_NS1_11comp_targetILNS1_3genE10ELNS1_11target_archE1200ELNS1_3gpuE4ELNS1_3repE0EEENS1_30default_config_static_selectorELNS0_4arch9wavefront6targetE0EEEvT1_.has_indirect_call, 0
	.section	.AMDGPU.csdata,"",@progbits
; Kernel info:
; codeLenInByte = 0
; TotalNumSgprs: 0
; NumVgprs: 0
; ScratchSize: 0
; MemoryBound: 0
; FloatMode: 240
; IeeeMode: 1
; LDSByteSize: 0 bytes/workgroup (compile time only)
; SGPRBlocks: 0
; VGPRBlocks: 0
; NumSGPRsForWavesPerEU: 1
; NumVGPRsForWavesPerEU: 1
; Occupancy: 16
; WaveLimiterHint : 0
; COMPUTE_PGM_RSRC2:SCRATCH_EN: 0
; COMPUTE_PGM_RSRC2:USER_SGPR: 6
; COMPUTE_PGM_RSRC2:TRAP_HANDLER: 0
; COMPUTE_PGM_RSRC2:TGID_X_EN: 1
; COMPUTE_PGM_RSRC2:TGID_Y_EN: 0
; COMPUTE_PGM_RSRC2:TGID_Z_EN: 0
; COMPUTE_PGM_RSRC2:TIDIG_COMP_CNT: 0
	.section	.text._ZN7rocprim17ROCPRIM_400000_NS6detail17trampoline_kernelINS0_14default_configENS1_27scan_by_key_config_selectorIj11FixedVectorIiLj2EEEEZZNS1_16scan_by_key_implILNS1_25lookback_scan_determinismE0ELb1ES3_N6thrust23THRUST_200600_302600_NS6detail15normal_iteratorINSB_10device_ptrIjEEEENSD_INSE_IS6_EEEESI_S6_NSB_4plusIvEENSB_8equal_toIvEES6_EE10hipError_tPvRmT2_T3_T4_T5_mT6_T7_P12ihipStream_tbENKUlT_T0_E_clISt17integral_constantIbLb1EES12_IbLb0EEEEDaSY_SZ_EUlSY_E_NS1_11comp_targetILNS1_3genE9ELNS1_11target_archE1100ELNS1_3gpuE3ELNS1_3repE0EEENS1_30default_config_static_selectorELNS0_4arch9wavefront6targetE0EEEvT1_,"axG",@progbits,_ZN7rocprim17ROCPRIM_400000_NS6detail17trampoline_kernelINS0_14default_configENS1_27scan_by_key_config_selectorIj11FixedVectorIiLj2EEEEZZNS1_16scan_by_key_implILNS1_25lookback_scan_determinismE0ELb1ES3_N6thrust23THRUST_200600_302600_NS6detail15normal_iteratorINSB_10device_ptrIjEEEENSD_INSE_IS6_EEEESI_S6_NSB_4plusIvEENSB_8equal_toIvEES6_EE10hipError_tPvRmT2_T3_T4_T5_mT6_T7_P12ihipStream_tbENKUlT_T0_E_clISt17integral_constantIbLb1EES12_IbLb0EEEEDaSY_SZ_EUlSY_E_NS1_11comp_targetILNS1_3genE9ELNS1_11target_archE1100ELNS1_3gpuE3ELNS1_3repE0EEENS1_30default_config_static_selectorELNS0_4arch9wavefront6targetE0EEEvT1_,comdat
	.protected	_ZN7rocprim17ROCPRIM_400000_NS6detail17trampoline_kernelINS0_14default_configENS1_27scan_by_key_config_selectorIj11FixedVectorIiLj2EEEEZZNS1_16scan_by_key_implILNS1_25lookback_scan_determinismE0ELb1ES3_N6thrust23THRUST_200600_302600_NS6detail15normal_iteratorINSB_10device_ptrIjEEEENSD_INSE_IS6_EEEESI_S6_NSB_4plusIvEENSB_8equal_toIvEES6_EE10hipError_tPvRmT2_T3_T4_T5_mT6_T7_P12ihipStream_tbENKUlT_T0_E_clISt17integral_constantIbLb1EES12_IbLb0EEEEDaSY_SZ_EUlSY_E_NS1_11comp_targetILNS1_3genE9ELNS1_11target_archE1100ELNS1_3gpuE3ELNS1_3repE0EEENS1_30default_config_static_selectorELNS0_4arch9wavefront6targetE0EEEvT1_ ; -- Begin function _ZN7rocprim17ROCPRIM_400000_NS6detail17trampoline_kernelINS0_14default_configENS1_27scan_by_key_config_selectorIj11FixedVectorIiLj2EEEEZZNS1_16scan_by_key_implILNS1_25lookback_scan_determinismE0ELb1ES3_N6thrust23THRUST_200600_302600_NS6detail15normal_iteratorINSB_10device_ptrIjEEEENSD_INSE_IS6_EEEESI_S6_NSB_4plusIvEENSB_8equal_toIvEES6_EE10hipError_tPvRmT2_T3_T4_T5_mT6_T7_P12ihipStream_tbENKUlT_T0_E_clISt17integral_constantIbLb1EES12_IbLb0EEEEDaSY_SZ_EUlSY_E_NS1_11comp_targetILNS1_3genE9ELNS1_11target_archE1100ELNS1_3gpuE3ELNS1_3repE0EEENS1_30default_config_static_selectorELNS0_4arch9wavefront6targetE0EEEvT1_
	.globl	_ZN7rocprim17ROCPRIM_400000_NS6detail17trampoline_kernelINS0_14default_configENS1_27scan_by_key_config_selectorIj11FixedVectorIiLj2EEEEZZNS1_16scan_by_key_implILNS1_25lookback_scan_determinismE0ELb1ES3_N6thrust23THRUST_200600_302600_NS6detail15normal_iteratorINSB_10device_ptrIjEEEENSD_INSE_IS6_EEEESI_S6_NSB_4plusIvEENSB_8equal_toIvEES6_EE10hipError_tPvRmT2_T3_T4_T5_mT6_T7_P12ihipStream_tbENKUlT_T0_E_clISt17integral_constantIbLb1EES12_IbLb0EEEEDaSY_SZ_EUlSY_E_NS1_11comp_targetILNS1_3genE9ELNS1_11target_archE1100ELNS1_3gpuE3ELNS1_3repE0EEENS1_30default_config_static_selectorELNS0_4arch9wavefront6targetE0EEEvT1_
	.p2align	8
	.type	_ZN7rocprim17ROCPRIM_400000_NS6detail17trampoline_kernelINS0_14default_configENS1_27scan_by_key_config_selectorIj11FixedVectorIiLj2EEEEZZNS1_16scan_by_key_implILNS1_25lookback_scan_determinismE0ELb1ES3_N6thrust23THRUST_200600_302600_NS6detail15normal_iteratorINSB_10device_ptrIjEEEENSD_INSE_IS6_EEEESI_S6_NSB_4plusIvEENSB_8equal_toIvEES6_EE10hipError_tPvRmT2_T3_T4_T5_mT6_T7_P12ihipStream_tbENKUlT_T0_E_clISt17integral_constantIbLb1EES12_IbLb0EEEEDaSY_SZ_EUlSY_E_NS1_11comp_targetILNS1_3genE9ELNS1_11target_archE1100ELNS1_3gpuE3ELNS1_3repE0EEENS1_30default_config_static_selectorELNS0_4arch9wavefront6targetE0EEEvT1_,@function
_ZN7rocprim17ROCPRIM_400000_NS6detail17trampoline_kernelINS0_14default_configENS1_27scan_by_key_config_selectorIj11FixedVectorIiLj2EEEEZZNS1_16scan_by_key_implILNS1_25lookback_scan_determinismE0ELb1ES3_N6thrust23THRUST_200600_302600_NS6detail15normal_iteratorINSB_10device_ptrIjEEEENSD_INSE_IS6_EEEESI_S6_NSB_4plusIvEENSB_8equal_toIvEES6_EE10hipError_tPvRmT2_T3_T4_T5_mT6_T7_P12ihipStream_tbENKUlT_T0_E_clISt17integral_constantIbLb1EES12_IbLb0EEEEDaSY_SZ_EUlSY_E_NS1_11comp_targetILNS1_3genE9ELNS1_11target_archE1100ELNS1_3gpuE3ELNS1_3repE0EEENS1_30default_config_static_selectorELNS0_4arch9wavefront6targetE0EEEvT1_: ; @_ZN7rocprim17ROCPRIM_400000_NS6detail17trampoline_kernelINS0_14default_configENS1_27scan_by_key_config_selectorIj11FixedVectorIiLj2EEEEZZNS1_16scan_by_key_implILNS1_25lookback_scan_determinismE0ELb1ES3_N6thrust23THRUST_200600_302600_NS6detail15normal_iteratorINSB_10device_ptrIjEEEENSD_INSE_IS6_EEEESI_S6_NSB_4plusIvEENSB_8equal_toIvEES6_EE10hipError_tPvRmT2_T3_T4_T5_mT6_T7_P12ihipStream_tbENKUlT_T0_E_clISt17integral_constantIbLb1EES12_IbLb0EEEEDaSY_SZ_EUlSY_E_NS1_11comp_targetILNS1_3genE9ELNS1_11target_archE1100ELNS1_3gpuE3ELNS1_3repE0EEENS1_30default_config_static_selectorELNS0_4arch9wavefront6targetE0EEEvT1_
; %bb.0:
	.section	.rodata,"a",@progbits
	.p2align	6, 0x0
	.amdhsa_kernel _ZN7rocprim17ROCPRIM_400000_NS6detail17trampoline_kernelINS0_14default_configENS1_27scan_by_key_config_selectorIj11FixedVectorIiLj2EEEEZZNS1_16scan_by_key_implILNS1_25lookback_scan_determinismE0ELb1ES3_N6thrust23THRUST_200600_302600_NS6detail15normal_iteratorINSB_10device_ptrIjEEEENSD_INSE_IS6_EEEESI_S6_NSB_4plusIvEENSB_8equal_toIvEES6_EE10hipError_tPvRmT2_T3_T4_T5_mT6_T7_P12ihipStream_tbENKUlT_T0_E_clISt17integral_constantIbLb1EES12_IbLb0EEEEDaSY_SZ_EUlSY_E_NS1_11comp_targetILNS1_3genE9ELNS1_11target_archE1100ELNS1_3gpuE3ELNS1_3repE0EEENS1_30default_config_static_selectorELNS0_4arch9wavefront6targetE0EEEvT1_
		.amdhsa_group_segment_fixed_size 0
		.amdhsa_private_segment_fixed_size 0
		.amdhsa_kernarg_size 120
		.amdhsa_user_sgpr_count 6
		.amdhsa_user_sgpr_private_segment_buffer 1
		.amdhsa_user_sgpr_dispatch_ptr 0
		.amdhsa_user_sgpr_queue_ptr 0
		.amdhsa_user_sgpr_kernarg_segment_ptr 1
		.amdhsa_user_sgpr_dispatch_id 0
		.amdhsa_user_sgpr_flat_scratch_init 0
		.amdhsa_user_sgpr_private_segment_size 0
		.amdhsa_wavefront_size32 1
		.amdhsa_uses_dynamic_stack 0
		.amdhsa_system_sgpr_private_segment_wavefront_offset 0
		.amdhsa_system_sgpr_workgroup_id_x 1
		.amdhsa_system_sgpr_workgroup_id_y 0
		.amdhsa_system_sgpr_workgroup_id_z 0
		.amdhsa_system_sgpr_workgroup_info 0
		.amdhsa_system_vgpr_workitem_id 0
		.amdhsa_next_free_vgpr 1
		.amdhsa_next_free_sgpr 1
		.amdhsa_reserve_vcc 0
		.amdhsa_reserve_flat_scratch 0
		.amdhsa_float_round_mode_32 0
		.amdhsa_float_round_mode_16_64 0
		.amdhsa_float_denorm_mode_32 3
		.amdhsa_float_denorm_mode_16_64 3
		.amdhsa_dx10_clamp 1
		.amdhsa_ieee_mode 1
		.amdhsa_fp16_overflow 0
		.amdhsa_workgroup_processor_mode 1
		.amdhsa_memory_ordered 1
		.amdhsa_forward_progress 1
		.amdhsa_shared_vgpr_count 0
		.amdhsa_exception_fp_ieee_invalid_op 0
		.amdhsa_exception_fp_denorm_src 0
		.amdhsa_exception_fp_ieee_div_zero 0
		.amdhsa_exception_fp_ieee_overflow 0
		.amdhsa_exception_fp_ieee_underflow 0
		.amdhsa_exception_fp_ieee_inexact 0
		.amdhsa_exception_int_div_zero 0
	.end_amdhsa_kernel
	.section	.text._ZN7rocprim17ROCPRIM_400000_NS6detail17trampoline_kernelINS0_14default_configENS1_27scan_by_key_config_selectorIj11FixedVectorIiLj2EEEEZZNS1_16scan_by_key_implILNS1_25lookback_scan_determinismE0ELb1ES3_N6thrust23THRUST_200600_302600_NS6detail15normal_iteratorINSB_10device_ptrIjEEEENSD_INSE_IS6_EEEESI_S6_NSB_4plusIvEENSB_8equal_toIvEES6_EE10hipError_tPvRmT2_T3_T4_T5_mT6_T7_P12ihipStream_tbENKUlT_T0_E_clISt17integral_constantIbLb1EES12_IbLb0EEEEDaSY_SZ_EUlSY_E_NS1_11comp_targetILNS1_3genE9ELNS1_11target_archE1100ELNS1_3gpuE3ELNS1_3repE0EEENS1_30default_config_static_selectorELNS0_4arch9wavefront6targetE0EEEvT1_,"axG",@progbits,_ZN7rocprim17ROCPRIM_400000_NS6detail17trampoline_kernelINS0_14default_configENS1_27scan_by_key_config_selectorIj11FixedVectorIiLj2EEEEZZNS1_16scan_by_key_implILNS1_25lookback_scan_determinismE0ELb1ES3_N6thrust23THRUST_200600_302600_NS6detail15normal_iteratorINSB_10device_ptrIjEEEENSD_INSE_IS6_EEEESI_S6_NSB_4plusIvEENSB_8equal_toIvEES6_EE10hipError_tPvRmT2_T3_T4_T5_mT6_T7_P12ihipStream_tbENKUlT_T0_E_clISt17integral_constantIbLb1EES12_IbLb0EEEEDaSY_SZ_EUlSY_E_NS1_11comp_targetILNS1_3genE9ELNS1_11target_archE1100ELNS1_3gpuE3ELNS1_3repE0EEENS1_30default_config_static_selectorELNS0_4arch9wavefront6targetE0EEEvT1_,comdat
.Lfunc_end2018:
	.size	_ZN7rocprim17ROCPRIM_400000_NS6detail17trampoline_kernelINS0_14default_configENS1_27scan_by_key_config_selectorIj11FixedVectorIiLj2EEEEZZNS1_16scan_by_key_implILNS1_25lookback_scan_determinismE0ELb1ES3_N6thrust23THRUST_200600_302600_NS6detail15normal_iteratorINSB_10device_ptrIjEEEENSD_INSE_IS6_EEEESI_S6_NSB_4plusIvEENSB_8equal_toIvEES6_EE10hipError_tPvRmT2_T3_T4_T5_mT6_T7_P12ihipStream_tbENKUlT_T0_E_clISt17integral_constantIbLb1EES12_IbLb0EEEEDaSY_SZ_EUlSY_E_NS1_11comp_targetILNS1_3genE9ELNS1_11target_archE1100ELNS1_3gpuE3ELNS1_3repE0EEENS1_30default_config_static_selectorELNS0_4arch9wavefront6targetE0EEEvT1_, .Lfunc_end2018-_ZN7rocprim17ROCPRIM_400000_NS6detail17trampoline_kernelINS0_14default_configENS1_27scan_by_key_config_selectorIj11FixedVectorIiLj2EEEEZZNS1_16scan_by_key_implILNS1_25lookback_scan_determinismE0ELb1ES3_N6thrust23THRUST_200600_302600_NS6detail15normal_iteratorINSB_10device_ptrIjEEEENSD_INSE_IS6_EEEESI_S6_NSB_4plusIvEENSB_8equal_toIvEES6_EE10hipError_tPvRmT2_T3_T4_T5_mT6_T7_P12ihipStream_tbENKUlT_T0_E_clISt17integral_constantIbLb1EES12_IbLb0EEEEDaSY_SZ_EUlSY_E_NS1_11comp_targetILNS1_3genE9ELNS1_11target_archE1100ELNS1_3gpuE3ELNS1_3repE0EEENS1_30default_config_static_selectorELNS0_4arch9wavefront6targetE0EEEvT1_
                                        ; -- End function
	.set _ZN7rocprim17ROCPRIM_400000_NS6detail17trampoline_kernelINS0_14default_configENS1_27scan_by_key_config_selectorIj11FixedVectorIiLj2EEEEZZNS1_16scan_by_key_implILNS1_25lookback_scan_determinismE0ELb1ES3_N6thrust23THRUST_200600_302600_NS6detail15normal_iteratorINSB_10device_ptrIjEEEENSD_INSE_IS6_EEEESI_S6_NSB_4plusIvEENSB_8equal_toIvEES6_EE10hipError_tPvRmT2_T3_T4_T5_mT6_T7_P12ihipStream_tbENKUlT_T0_E_clISt17integral_constantIbLb1EES12_IbLb0EEEEDaSY_SZ_EUlSY_E_NS1_11comp_targetILNS1_3genE9ELNS1_11target_archE1100ELNS1_3gpuE3ELNS1_3repE0EEENS1_30default_config_static_selectorELNS0_4arch9wavefront6targetE0EEEvT1_.num_vgpr, 0
	.set _ZN7rocprim17ROCPRIM_400000_NS6detail17trampoline_kernelINS0_14default_configENS1_27scan_by_key_config_selectorIj11FixedVectorIiLj2EEEEZZNS1_16scan_by_key_implILNS1_25lookback_scan_determinismE0ELb1ES3_N6thrust23THRUST_200600_302600_NS6detail15normal_iteratorINSB_10device_ptrIjEEEENSD_INSE_IS6_EEEESI_S6_NSB_4plusIvEENSB_8equal_toIvEES6_EE10hipError_tPvRmT2_T3_T4_T5_mT6_T7_P12ihipStream_tbENKUlT_T0_E_clISt17integral_constantIbLb1EES12_IbLb0EEEEDaSY_SZ_EUlSY_E_NS1_11comp_targetILNS1_3genE9ELNS1_11target_archE1100ELNS1_3gpuE3ELNS1_3repE0EEENS1_30default_config_static_selectorELNS0_4arch9wavefront6targetE0EEEvT1_.num_agpr, 0
	.set _ZN7rocprim17ROCPRIM_400000_NS6detail17trampoline_kernelINS0_14default_configENS1_27scan_by_key_config_selectorIj11FixedVectorIiLj2EEEEZZNS1_16scan_by_key_implILNS1_25lookback_scan_determinismE0ELb1ES3_N6thrust23THRUST_200600_302600_NS6detail15normal_iteratorINSB_10device_ptrIjEEEENSD_INSE_IS6_EEEESI_S6_NSB_4plusIvEENSB_8equal_toIvEES6_EE10hipError_tPvRmT2_T3_T4_T5_mT6_T7_P12ihipStream_tbENKUlT_T0_E_clISt17integral_constantIbLb1EES12_IbLb0EEEEDaSY_SZ_EUlSY_E_NS1_11comp_targetILNS1_3genE9ELNS1_11target_archE1100ELNS1_3gpuE3ELNS1_3repE0EEENS1_30default_config_static_selectorELNS0_4arch9wavefront6targetE0EEEvT1_.numbered_sgpr, 0
	.set _ZN7rocprim17ROCPRIM_400000_NS6detail17trampoline_kernelINS0_14default_configENS1_27scan_by_key_config_selectorIj11FixedVectorIiLj2EEEEZZNS1_16scan_by_key_implILNS1_25lookback_scan_determinismE0ELb1ES3_N6thrust23THRUST_200600_302600_NS6detail15normal_iteratorINSB_10device_ptrIjEEEENSD_INSE_IS6_EEEESI_S6_NSB_4plusIvEENSB_8equal_toIvEES6_EE10hipError_tPvRmT2_T3_T4_T5_mT6_T7_P12ihipStream_tbENKUlT_T0_E_clISt17integral_constantIbLb1EES12_IbLb0EEEEDaSY_SZ_EUlSY_E_NS1_11comp_targetILNS1_3genE9ELNS1_11target_archE1100ELNS1_3gpuE3ELNS1_3repE0EEENS1_30default_config_static_selectorELNS0_4arch9wavefront6targetE0EEEvT1_.num_named_barrier, 0
	.set _ZN7rocprim17ROCPRIM_400000_NS6detail17trampoline_kernelINS0_14default_configENS1_27scan_by_key_config_selectorIj11FixedVectorIiLj2EEEEZZNS1_16scan_by_key_implILNS1_25lookback_scan_determinismE0ELb1ES3_N6thrust23THRUST_200600_302600_NS6detail15normal_iteratorINSB_10device_ptrIjEEEENSD_INSE_IS6_EEEESI_S6_NSB_4plusIvEENSB_8equal_toIvEES6_EE10hipError_tPvRmT2_T3_T4_T5_mT6_T7_P12ihipStream_tbENKUlT_T0_E_clISt17integral_constantIbLb1EES12_IbLb0EEEEDaSY_SZ_EUlSY_E_NS1_11comp_targetILNS1_3genE9ELNS1_11target_archE1100ELNS1_3gpuE3ELNS1_3repE0EEENS1_30default_config_static_selectorELNS0_4arch9wavefront6targetE0EEEvT1_.private_seg_size, 0
	.set _ZN7rocprim17ROCPRIM_400000_NS6detail17trampoline_kernelINS0_14default_configENS1_27scan_by_key_config_selectorIj11FixedVectorIiLj2EEEEZZNS1_16scan_by_key_implILNS1_25lookback_scan_determinismE0ELb1ES3_N6thrust23THRUST_200600_302600_NS6detail15normal_iteratorINSB_10device_ptrIjEEEENSD_INSE_IS6_EEEESI_S6_NSB_4plusIvEENSB_8equal_toIvEES6_EE10hipError_tPvRmT2_T3_T4_T5_mT6_T7_P12ihipStream_tbENKUlT_T0_E_clISt17integral_constantIbLb1EES12_IbLb0EEEEDaSY_SZ_EUlSY_E_NS1_11comp_targetILNS1_3genE9ELNS1_11target_archE1100ELNS1_3gpuE3ELNS1_3repE0EEENS1_30default_config_static_selectorELNS0_4arch9wavefront6targetE0EEEvT1_.uses_vcc, 0
	.set _ZN7rocprim17ROCPRIM_400000_NS6detail17trampoline_kernelINS0_14default_configENS1_27scan_by_key_config_selectorIj11FixedVectorIiLj2EEEEZZNS1_16scan_by_key_implILNS1_25lookback_scan_determinismE0ELb1ES3_N6thrust23THRUST_200600_302600_NS6detail15normal_iteratorINSB_10device_ptrIjEEEENSD_INSE_IS6_EEEESI_S6_NSB_4plusIvEENSB_8equal_toIvEES6_EE10hipError_tPvRmT2_T3_T4_T5_mT6_T7_P12ihipStream_tbENKUlT_T0_E_clISt17integral_constantIbLb1EES12_IbLb0EEEEDaSY_SZ_EUlSY_E_NS1_11comp_targetILNS1_3genE9ELNS1_11target_archE1100ELNS1_3gpuE3ELNS1_3repE0EEENS1_30default_config_static_selectorELNS0_4arch9wavefront6targetE0EEEvT1_.uses_flat_scratch, 0
	.set _ZN7rocprim17ROCPRIM_400000_NS6detail17trampoline_kernelINS0_14default_configENS1_27scan_by_key_config_selectorIj11FixedVectorIiLj2EEEEZZNS1_16scan_by_key_implILNS1_25lookback_scan_determinismE0ELb1ES3_N6thrust23THRUST_200600_302600_NS6detail15normal_iteratorINSB_10device_ptrIjEEEENSD_INSE_IS6_EEEESI_S6_NSB_4plusIvEENSB_8equal_toIvEES6_EE10hipError_tPvRmT2_T3_T4_T5_mT6_T7_P12ihipStream_tbENKUlT_T0_E_clISt17integral_constantIbLb1EES12_IbLb0EEEEDaSY_SZ_EUlSY_E_NS1_11comp_targetILNS1_3genE9ELNS1_11target_archE1100ELNS1_3gpuE3ELNS1_3repE0EEENS1_30default_config_static_selectorELNS0_4arch9wavefront6targetE0EEEvT1_.has_dyn_sized_stack, 0
	.set _ZN7rocprim17ROCPRIM_400000_NS6detail17trampoline_kernelINS0_14default_configENS1_27scan_by_key_config_selectorIj11FixedVectorIiLj2EEEEZZNS1_16scan_by_key_implILNS1_25lookback_scan_determinismE0ELb1ES3_N6thrust23THRUST_200600_302600_NS6detail15normal_iteratorINSB_10device_ptrIjEEEENSD_INSE_IS6_EEEESI_S6_NSB_4plusIvEENSB_8equal_toIvEES6_EE10hipError_tPvRmT2_T3_T4_T5_mT6_T7_P12ihipStream_tbENKUlT_T0_E_clISt17integral_constantIbLb1EES12_IbLb0EEEEDaSY_SZ_EUlSY_E_NS1_11comp_targetILNS1_3genE9ELNS1_11target_archE1100ELNS1_3gpuE3ELNS1_3repE0EEENS1_30default_config_static_selectorELNS0_4arch9wavefront6targetE0EEEvT1_.has_recursion, 0
	.set _ZN7rocprim17ROCPRIM_400000_NS6detail17trampoline_kernelINS0_14default_configENS1_27scan_by_key_config_selectorIj11FixedVectorIiLj2EEEEZZNS1_16scan_by_key_implILNS1_25lookback_scan_determinismE0ELb1ES3_N6thrust23THRUST_200600_302600_NS6detail15normal_iteratorINSB_10device_ptrIjEEEENSD_INSE_IS6_EEEESI_S6_NSB_4plusIvEENSB_8equal_toIvEES6_EE10hipError_tPvRmT2_T3_T4_T5_mT6_T7_P12ihipStream_tbENKUlT_T0_E_clISt17integral_constantIbLb1EES12_IbLb0EEEEDaSY_SZ_EUlSY_E_NS1_11comp_targetILNS1_3genE9ELNS1_11target_archE1100ELNS1_3gpuE3ELNS1_3repE0EEENS1_30default_config_static_selectorELNS0_4arch9wavefront6targetE0EEEvT1_.has_indirect_call, 0
	.section	.AMDGPU.csdata,"",@progbits
; Kernel info:
; codeLenInByte = 0
; TotalNumSgprs: 0
; NumVgprs: 0
; ScratchSize: 0
; MemoryBound: 0
; FloatMode: 240
; IeeeMode: 1
; LDSByteSize: 0 bytes/workgroup (compile time only)
; SGPRBlocks: 0
; VGPRBlocks: 0
; NumSGPRsForWavesPerEU: 1
; NumVGPRsForWavesPerEU: 1
; Occupancy: 16
; WaveLimiterHint : 0
; COMPUTE_PGM_RSRC2:SCRATCH_EN: 0
; COMPUTE_PGM_RSRC2:USER_SGPR: 6
; COMPUTE_PGM_RSRC2:TRAP_HANDLER: 0
; COMPUTE_PGM_RSRC2:TGID_X_EN: 1
; COMPUTE_PGM_RSRC2:TGID_Y_EN: 0
; COMPUTE_PGM_RSRC2:TGID_Z_EN: 0
; COMPUTE_PGM_RSRC2:TIDIG_COMP_CNT: 0
	.section	.text._ZN7rocprim17ROCPRIM_400000_NS6detail17trampoline_kernelINS0_14default_configENS1_27scan_by_key_config_selectorIj11FixedVectorIiLj2EEEEZZNS1_16scan_by_key_implILNS1_25lookback_scan_determinismE0ELb1ES3_N6thrust23THRUST_200600_302600_NS6detail15normal_iteratorINSB_10device_ptrIjEEEENSD_INSE_IS6_EEEESI_S6_NSB_4plusIvEENSB_8equal_toIvEES6_EE10hipError_tPvRmT2_T3_T4_T5_mT6_T7_P12ihipStream_tbENKUlT_T0_E_clISt17integral_constantIbLb1EES12_IbLb0EEEEDaSY_SZ_EUlSY_E_NS1_11comp_targetILNS1_3genE8ELNS1_11target_archE1030ELNS1_3gpuE2ELNS1_3repE0EEENS1_30default_config_static_selectorELNS0_4arch9wavefront6targetE0EEEvT1_,"axG",@progbits,_ZN7rocprim17ROCPRIM_400000_NS6detail17trampoline_kernelINS0_14default_configENS1_27scan_by_key_config_selectorIj11FixedVectorIiLj2EEEEZZNS1_16scan_by_key_implILNS1_25lookback_scan_determinismE0ELb1ES3_N6thrust23THRUST_200600_302600_NS6detail15normal_iteratorINSB_10device_ptrIjEEEENSD_INSE_IS6_EEEESI_S6_NSB_4plusIvEENSB_8equal_toIvEES6_EE10hipError_tPvRmT2_T3_T4_T5_mT6_T7_P12ihipStream_tbENKUlT_T0_E_clISt17integral_constantIbLb1EES12_IbLb0EEEEDaSY_SZ_EUlSY_E_NS1_11comp_targetILNS1_3genE8ELNS1_11target_archE1030ELNS1_3gpuE2ELNS1_3repE0EEENS1_30default_config_static_selectorELNS0_4arch9wavefront6targetE0EEEvT1_,comdat
	.protected	_ZN7rocprim17ROCPRIM_400000_NS6detail17trampoline_kernelINS0_14default_configENS1_27scan_by_key_config_selectorIj11FixedVectorIiLj2EEEEZZNS1_16scan_by_key_implILNS1_25lookback_scan_determinismE0ELb1ES3_N6thrust23THRUST_200600_302600_NS6detail15normal_iteratorINSB_10device_ptrIjEEEENSD_INSE_IS6_EEEESI_S6_NSB_4plusIvEENSB_8equal_toIvEES6_EE10hipError_tPvRmT2_T3_T4_T5_mT6_T7_P12ihipStream_tbENKUlT_T0_E_clISt17integral_constantIbLb1EES12_IbLb0EEEEDaSY_SZ_EUlSY_E_NS1_11comp_targetILNS1_3genE8ELNS1_11target_archE1030ELNS1_3gpuE2ELNS1_3repE0EEENS1_30default_config_static_selectorELNS0_4arch9wavefront6targetE0EEEvT1_ ; -- Begin function _ZN7rocprim17ROCPRIM_400000_NS6detail17trampoline_kernelINS0_14default_configENS1_27scan_by_key_config_selectorIj11FixedVectorIiLj2EEEEZZNS1_16scan_by_key_implILNS1_25lookback_scan_determinismE0ELb1ES3_N6thrust23THRUST_200600_302600_NS6detail15normal_iteratorINSB_10device_ptrIjEEEENSD_INSE_IS6_EEEESI_S6_NSB_4plusIvEENSB_8equal_toIvEES6_EE10hipError_tPvRmT2_T3_T4_T5_mT6_T7_P12ihipStream_tbENKUlT_T0_E_clISt17integral_constantIbLb1EES12_IbLb0EEEEDaSY_SZ_EUlSY_E_NS1_11comp_targetILNS1_3genE8ELNS1_11target_archE1030ELNS1_3gpuE2ELNS1_3repE0EEENS1_30default_config_static_selectorELNS0_4arch9wavefront6targetE0EEEvT1_
	.globl	_ZN7rocprim17ROCPRIM_400000_NS6detail17trampoline_kernelINS0_14default_configENS1_27scan_by_key_config_selectorIj11FixedVectorIiLj2EEEEZZNS1_16scan_by_key_implILNS1_25lookback_scan_determinismE0ELb1ES3_N6thrust23THRUST_200600_302600_NS6detail15normal_iteratorINSB_10device_ptrIjEEEENSD_INSE_IS6_EEEESI_S6_NSB_4plusIvEENSB_8equal_toIvEES6_EE10hipError_tPvRmT2_T3_T4_T5_mT6_T7_P12ihipStream_tbENKUlT_T0_E_clISt17integral_constantIbLb1EES12_IbLb0EEEEDaSY_SZ_EUlSY_E_NS1_11comp_targetILNS1_3genE8ELNS1_11target_archE1030ELNS1_3gpuE2ELNS1_3repE0EEENS1_30default_config_static_selectorELNS0_4arch9wavefront6targetE0EEEvT1_
	.p2align	8
	.type	_ZN7rocprim17ROCPRIM_400000_NS6detail17trampoline_kernelINS0_14default_configENS1_27scan_by_key_config_selectorIj11FixedVectorIiLj2EEEEZZNS1_16scan_by_key_implILNS1_25lookback_scan_determinismE0ELb1ES3_N6thrust23THRUST_200600_302600_NS6detail15normal_iteratorINSB_10device_ptrIjEEEENSD_INSE_IS6_EEEESI_S6_NSB_4plusIvEENSB_8equal_toIvEES6_EE10hipError_tPvRmT2_T3_T4_T5_mT6_T7_P12ihipStream_tbENKUlT_T0_E_clISt17integral_constantIbLb1EES12_IbLb0EEEEDaSY_SZ_EUlSY_E_NS1_11comp_targetILNS1_3genE8ELNS1_11target_archE1030ELNS1_3gpuE2ELNS1_3repE0EEENS1_30default_config_static_selectorELNS0_4arch9wavefront6targetE0EEEvT1_,@function
_ZN7rocprim17ROCPRIM_400000_NS6detail17trampoline_kernelINS0_14default_configENS1_27scan_by_key_config_selectorIj11FixedVectorIiLj2EEEEZZNS1_16scan_by_key_implILNS1_25lookback_scan_determinismE0ELb1ES3_N6thrust23THRUST_200600_302600_NS6detail15normal_iteratorINSB_10device_ptrIjEEEENSD_INSE_IS6_EEEESI_S6_NSB_4plusIvEENSB_8equal_toIvEES6_EE10hipError_tPvRmT2_T3_T4_T5_mT6_T7_P12ihipStream_tbENKUlT_T0_E_clISt17integral_constantIbLb1EES12_IbLb0EEEEDaSY_SZ_EUlSY_E_NS1_11comp_targetILNS1_3genE8ELNS1_11target_archE1030ELNS1_3gpuE2ELNS1_3repE0EEENS1_30default_config_static_selectorELNS0_4arch9wavefront6targetE0EEEvT1_: ; @_ZN7rocprim17ROCPRIM_400000_NS6detail17trampoline_kernelINS0_14default_configENS1_27scan_by_key_config_selectorIj11FixedVectorIiLj2EEEEZZNS1_16scan_by_key_implILNS1_25lookback_scan_determinismE0ELb1ES3_N6thrust23THRUST_200600_302600_NS6detail15normal_iteratorINSB_10device_ptrIjEEEENSD_INSE_IS6_EEEESI_S6_NSB_4plusIvEENSB_8equal_toIvEES6_EE10hipError_tPvRmT2_T3_T4_T5_mT6_T7_P12ihipStream_tbENKUlT_T0_E_clISt17integral_constantIbLb1EES12_IbLb0EEEEDaSY_SZ_EUlSY_E_NS1_11comp_targetILNS1_3genE8ELNS1_11target_archE1030ELNS1_3gpuE2ELNS1_3repE0EEENS1_30default_config_static_selectorELNS0_4arch9wavefront6targetE0EEEvT1_
; %bb.0:
	s_endpgm
	.section	.rodata,"a",@progbits
	.p2align	6, 0x0
	.amdhsa_kernel _ZN7rocprim17ROCPRIM_400000_NS6detail17trampoline_kernelINS0_14default_configENS1_27scan_by_key_config_selectorIj11FixedVectorIiLj2EEEEZZNS1_16scan_by_key_implILNS1_25lookback_scan_determinismE0ELb1ES3_N6thrust23THRUST_200600_302600_NS6detail15normal_iteratorINSB_10device_ptrIjEEEENSD_INSE_IS6_EEEESI_S6_NSB_4plusIvEENSB_8equal_toIvEES6_EE10hipError_tPvRmT2_T3_T4_T5_mT6_T7_P12ihipStream_tbENKUlT_T0_E_clISt17integral_constantIbLb1EES12_IbLb0EEEEDaSY_SZ_EUlSY_E_NS1_11comp_targetILNS1_3genE8ELNS1_11target_archE1030ELNS1_3gpuE2ELNS1_3repE0EEENS1_30default_config_static_selectorELNS0_4arch9wavefront6targetE0EEEvT1_
		.amdhsa_group_segment_fixed_size 0
		.amdhsa_private_segment_fixed_size 0
		.amdhsa_kernarg_size 120
		.amdhsa_user_sgpr_count 6
		.amdhsa_user_sgpr_private_segment_buffer 1
		.amdhsa_user_sgpr_dispatch_ptr 0
		.amdhsa_user_sgpr_queue_ptr 0
		.amdhsa_user_sgpr_kernarg_segment_ptr 1
		.amdhsa_user_sgpr_dispatch_id 0
		.amdhsa_user_sgpr_flat_scratch_init 0
		.amdhsa_user_sgpr_private_segment_size 0
		.amdhsa_wavefront_size32 1
		.amdhsa_uses_dynamic_stack 0
		.amdhsa_system_sgpr_private_segment_wavefront_offset 0
		.amdhsa_system_sgpr_workgroup_id_x 1
		.amdhsa_system_sgpr_workgroup_id_y 0
		.amdhsa_system_sgpr_workgroup_id_z 0
		.amdhsa_system_sgpr_workgroup_info 0
		.amdhsa_system_vgpr_workitem_id 0
		.amdhsa_next_free_vgpr 1
		.amdhsa_next_free_sgpr 1
		.amdhsa_reserve_vcc 0
		.amdhsa_reserve_flat_scratch 0
		.amdhsa_float_round_mode_32 0
		.amdhsa_float_round_mode_16_64 0
		.amdhsa_float_denorm_mode_32 3
		.amdhsa_float_denorm_mode_16_64 3
		.amdhsa_dx10_clamp 1
		.amdhsa_ieee_mode 1
		.amdhsa_fp16_overflow 0
		.amdhsa_workgroup_processor_mode 1
		.amdhsa_memory_ordered 1
		.amdhsa_forward_progress 1
		.amdhsa_shared_vgpr_count 0
		.amdhsa_exception_fp_ieee_invalid_op 0
		.amdhsa_exception_fp_denorm_src 0
		.amdhsa_exception_fp_ieee_div_zero 0
		.amdhsa_exception_fp_ieee_overflow 0
		.amdhsa_exception_fp_ieee_underflow 0
		.amdhsa_exception_fp_ieee_inexact 0
		.amdhsa_exception_int_div_zero 0
	.end_amdhsa_kernel
	.section	.text._ZN7rocprim17ROCPRIM_400000_NS6detail17trampoline_kernelINS0_14default_configENS1_27scan_by_key_config_selectorIj11FixedVectorIiLj2EEEEZZNS1_16scan_by_key_implILNS1_25lookback_scan_determinismE0ELb1ES3_N6thrust23THRUST_200600_302600_NS6detail15normal_iteratorINSB_10device_ptrIjEEEENSD_INSE_IS6_EEEESI_S6_NSB_4plusIvEENSB_8equal_toIvEES6_EE10hipError_tPvRmT2_T3_T4_T5_mT6_T7_P12ihipStream_tbENKUlT_T0_E_clISt17integral_constantIbLb1EES12_IbLb0EEEEDaSY_SZ_EUlSY_E_NS1_11comp_targetILNS1_3genE8ELNS1_11target_archE1030ELNS1_3gpuE2ELNS1_3repE0EEENS1_30default_config_static_selectorELNS0_4arch9wavefront6targetE0EEEvT1_,"axG",@progbits,_ZN7rocprim17ROCPRIM_400000_NS6detail17trampoline_kernelINS0_14default_configENS1_27scan_by_key_config_selectorIj11FixedVectorIiLj2EEEEZZNS1_16scan_by_key_implILNS1_25lookback_scan_determinismE0ELb1ES3_N6thrust23THRUST_200600_302600_NS6detail15normal_iteratorINSB_10device_ptrIjEEEENSD_INSE_IS6_EEEESI_S6_NSB_4plusIvEENSB_8equal_toIvEES6_EE10hipError_tPvRmT2_T3_T4_T5_mT6_T7_P12ihipStream_tbENKUlT_T0_E_clISt17integral_constantIbLb1EES12_IbLb0EEEEDaSY_SZ_EUlSY_E_NS1_11comp_targetILNS1_3genE8ELNS1_11target_archE1030ELNS1_3gpuE2ELNS1_3repE0EEENS1_30default_config_static_selectorELNS0_4arch9wavefront6targetE0EEEvT1_,comdat
.Lfunc_end2019:
	.size	_ZN7rocprim17ROCPRIM_400000_NS6detail17trampoline_kernelINS0_14default_configENS1_27scan_by_key_config_selectorIj11FixedVectorIiLj2EEEEZZNS1_16scan_by_key_implILNS1_25lookback_scan_determinismE0ELb1ES3_N6thrust23THRUST_200600_302600_NS6detail15normal_iteratorINSB_10device_ptrIjEEEENSD_INSE_IS6_EEEESI_S6_NSB_4plusIvEENSB_8equal_toIvEES6_EE10hipError_tPvRmT2_T3_T4_T5_mT6_T7_P12ihipStream_tbENKUlT_T0_E_clISt17integral_constantIbLb1EES12_IbLb0EEEEDaSY_SZ_EUlSY_E_NS1_11comp_targetILNS1_3genE8ELNS1_11target_archE1030ELNS1_3gpuE2ELNS1_3repE0EEENS1_30default_config_static_selectorELNS0_4arch9wavefront6targetE0EEEvT1_, .Lfunc_end2019-_ZN7rocprim17ROCPRIM_400000_NS6detail17trampoline_kernelINS0_14default_configENS1_27scan_by_key_config_selectorIj11FixedVectorIiLj2EEEEZZNS1_16scan_by_key_implILNS1_25lookback_scan_determinismE0ELb1ES3_N6thrust23THRUST_200600_302600_NS6detail15normal_iteratorINSB_10device_ptrIjEEEENSD_INSE_IS6_EEEESI_S6_NSB_4plusIvEENSB_8equal_toIvEES6_EE10hipError_tPvRmT2_T3_T4_T5_mT6_T7_P12ihipStream_tbENKUlT_T0_E_clISt17integral_constantIbLb1EES12_IbLb0EEEEDaSY_SZ_EUlSY_E_NS1_11comp_targetILNS1_3genE8ELNS1_11target_archE1030ELNS1_3gpuE2ELNS1_3repE0EEENS1_30default_config_static_selectorELNS0_4arch9wavefront6targetE0EEEvT1_
                                        ; -- End function
	.set _ZN7rocprim17ROCPRIM_400000_NS6detail17trampoline_kernelINS0_14default_configENS1_27scan_by_key_config_selectorIj11FixedVectorIiLj2EEEEZZNS1_16scan_by_key_implILNS1_25lookback_scan_determinismE0ELb1ES3_N6thrust23THRUST_200600_302600_NS6detail15normal_iteratorINSB_10device_ptrIjEEEENSD_INSE_IS6_EEEESI_S6_NSB_4plusIvEENSB_8equal_toIvEES6_EE10hipError_tPvRmT2_T3_T4_T5_mT6_T7_P12ihipStream_tbENKUlT_T0_E_clISt17integral_constantIbLb1EES12_IbLb0EEEEDaSY_SZ_EUlSY_E_NS1_11comp_targetILNS1_3genE8ELNS1_11target_archE1030ELNS1_3gpuE2ELNS1_3repE0EEENS1_30default_config_static_selectorELNS0_4arch9wavefront6targetE0EEEvT1_.num_vgpr, 0
	.set _ZN7rocprim17ROCPRIM_400000_NS6detail17trampoline_kernelINS0_14default_configENS1_27scan_by_key_config_selectorIj11FixedVectorIiLj2EEEEZZNS1_16scan_by_key_implILNS1_25lookback_scan_determinismE0ELb1ES3_N6thrust23THRUST_200600_302600_NS6detail15normal_iteratorINSB_10device_ptrIjEEEENSD_INSE_IS6_EEEESI_S6_NSB_4plusIvEENSB_8equal_toIvEES6_EE10hipError_tPvRmT2_T3_T4_T5_mT6_T7_P12ihipStream_tbENKUlT_T0_E_clISt17integral_constantIbLb1EES12_IbLb0EEEEDaSY_SZ_EUlSY_E_NS1_11comp_targetILNS1_3genE8ELNS1_11target_archE1030ELNS1_3gpuE2ELNS1_3repE0EEENS1_30default_config_static_selectorELNS0_4arch9wavefront6targetE0EEEvT1_.num_agpr, 0
	.set _ZN7rocprim17ROCPRIM_400000_NS6detail17trampoline_kernelINS0_14default_configENS1_27scan_by_key_config_selectorIj11FixedVectorIiLj2EEEEZZNS1_16scan_by_key_implILNS1_25lookback_scan_determinismE0ELb1ES3_N6thrust23THRUST_200600_302600_NS6detail15normal_iteratorINSB_10device_ptrIjEEEENSD_INSE_IS6_EEEESI_S6_NSB_4plusIvEENSB_8equal_toIvEES6_EE10hipError_tPvRmT2_T3_T4_T5_mT6_T7_P12ihipStream_tbENKUlT_T0_E_clISt17integral_constantIbLb1EES12_IbLb0EEEEDaSY_SZ_EUlSY_E_NS1_11comp_targetILNS1_3genE8ELNS1_11target_archE1030ELNS1_3gpuE2ELNS1_3repE0EEENS1_30default_config_static_selectorELNS0_4arch9wavefront6targetE0EEEvT1_.numbered_sgpr, 0
	.set _ZN7rocprim17ROCPRIM_400000_NS6detail17trampoline_kernelINS0_14default_configENS1_27scan_by_key_config_selectorIj11FixedVectorIiLj2EEEEZZNS1_16scan_by_key_implILNS1_25lookback_scan_determinismE0ELb1ES3_N6thrust23THRUST_200600_302600_NS6detail15normal_iteratorINSB_10device_ptrIjEEEENSD_INSE_IS6_EEEESI_S6_NSB_4plusIvEENSB_8equal_toIvEES6_EE10hipError_tPvRmT2_T3_T4_T5_mT6_T7_P12ihipStream_tbENKUlT_T0_E_clISt17integral_constantIbLb1EES12_IbLb0EEEEDaSY_SZ_EUlSY_E_NS1_11comp_targetILNS1_3genE8ELNS1_11target_archE1030ELNS1_3gpuE2ELNS1_3repE0EEENS1_30default_config_static_selectorELNS0_4arch9wavefront6targetE0EEEvT1_.num_named_barrier, 0
	.set _ZN7rocprim17ROCPRIM_400000_NS6detail17trampoline_kernelINS0_14default_configENS1_27scan_by_key_config_selectorIj11FixedVectorIiLj2EEEEZZNS1_16scan_by_key_implILNS1_25lookback_scan_determinismE0ELb1ES3_N6thrust23THRUST_200600_302600_NS6detail15normal_iteratorINSB_10device_ptrIjEEEENSD_INSE_IS6_EEEESI_S6_NSB_4plusIvEENSB_8equal_toIvEES6_EE10hipError_tPvRmT2_T3_T4_T5_mT6_T7_P12ihipStream_tbENKUlT_T0_E_clISt17integral_constantIbLb1EES12_IbLb0EEEEDaSY_SZ_EUlSY_E_NS1_11comp_targetILNS1_3genE8ELNS1_11target_archE1030ELNS1_3gpuE2ELNS1_3repE0EEENS1_30default_config_static_selectorELNS0_4arch9wavefront6targetE0EEEvT1_.private_seg_size, 0
	.set _ZN7rocprim17ROCPRIM_400000_NS6detail17trampoline_kernelINS0_14default_configENS1_27scan_by_key_config_selectorIj11FixedVectorIiLj2EEEEZZNS1_16scan_by_key_implILNS1_25lookback_scan_determinismE0ELb1ES3_N6thrust23THRUST_200600_302600_NS6detail15normal_iteratorINSB_10device_ptrIjEEEENSD_INSE_IS6_EEEESI_S6_NSB_4plusIvEENSB_8equal_toIvEES6_EE10hipError_tPvRmT2_T3_T4_T5_mT6_T7_P12ihipStream_tbENKUlT_T0_E_clISt17integral_constantIbLb1EES12_IbLb0EEEEDaSY_SZ_EUlSY_E_NS1_11comp_targetILNS1_3genE8ELNS1_11target_archE1030ELNS1_3gpuE2ELNS1_3repE0EEENS1_30default_config_static_selectorELNS0_4arch9wavefront6targetE0EEEvT1_.uses_vcc, 0
	.set _ZN7rocprim17ROCPRIM_400000_NS6detail17trampoline_kernelINS0_14default_configENS1_27scan_by_key_config_selectorIj11FixedVectorIiLj2EEEEZZNS1_16scan_by_key_implILNS1_25lookback_scan_determinismE0ELb1ES3_N6thrust23THRUST_200600_302600_NS6detail15normal_iteratorINSB_10device_ptrIjEEEENSD_INSE_IS6_EEEESI_S6_NSB_4plusIvEENSB_8equal_toIvEES6_EE10hipError_tPvRmT2_T3_T4_T5_mT6_T7_P12ihipStream_tbENKUlT_T0_E_clISt17integral_constantIbLb1EES12_IbLb0EEEEDaSY_SZ_EUlSY_E_NS1_11comp_targetILNS1_3genE8ELNS1_11target_archE1030ELNS1_3gpuE2ELNS1_3repE0EEENS1_30default_config_static_selectorELNS0_4arch9wavefront6targetE0EEEvT1_.uses_flat_scratch, 0
	.set _ZN7rocprim17ROCPRIM_400000_NS6detail17trampoline_kernelINS0_14default_configENS1_27scan_by_key_config_selectorIj11FixedVectorIiLj2EEEEZZNS1_16scan_by_key_implILNS1_25lookback_scan_determinismE0ELb1ES3_N6thrust23THRUST_200600_302600_NS6detail15normal_iteratorINSB_10device_ptrIjEEEENSD_INSE_IS6_EEEESI_S6_NSB_4plusIvEENSB_8equal_toIvEES6_EE10hipError_tPvRmT2_T3_T4_T5_mT6_T7_P12ihipStream_tbENKUlT_T0_E_clISt17integral_constantIbLb1EES12_IbLb0EEEEDaSY_SZ_EUlSY_E_NS1_11comp_targetILNS1_3genE8ELNS1_11target_archE1030ELNS1_3gpuE2ELNS1_3repE0EEENS1_30default_config_static_selectorELNS0_4arch9wavefront6targetE0EEEvT1_.has_dyn_sized_stack, 0
	.set _ZN7rocprim17ROCPRIM_400000_NS6detail17trampoline_kernelINS0_14default_configENS1_27scan_by_key_config_selectorIj11FixedVectorIiLj2EEEEZZNS1_16scan_by_key_implILNS1_25lookback_scan_determinismE0ELb1ES3_N6thrust23THRUST_200600_302600_NS6detail15normal_iteratorINSB_10device_ptrIjEEEENSD_INSE_IS6_EEEESI_S6_NSB_4plusIvEENSB_8equal_toIvEES6_EE10hipError_tPvRmT2_T3_T4_T5_mT6_T7_P12ihipStream_tbENKUlT_T0_E_clISt17integral_constantIbLb1EES12_IbLb0EEEEDaSY_SZ_EUlSY_E_NS1_11comp_targetILNS1_3genE8ELNS1_11target_archE1030ELNS1_3gpuE2ELNS1_3repE0EEENS1_30default_config_static_selectorELNS0_4arch9wavefront6targetE0EEEvT1_.has_recursion, 0
	.set _ZN7rocprim17ROCPRIM_400000_NS6detail17trampoline_kernelINS0_14default_configENS1_27scan_by_key_config_selectorIj11FixedVectorIiLj2EEEEZZNS1_16scan_by_key_implILNS1_25lookback_scan_determinismE0ELb1ES3_N6thrust23THRUST_200600_302600_NS6detail15normal_iteratorINSB_10device_ptrIjEEEENSD_INSE_IS6_EEEESI_S6_NSB_4plusIvEENSB_8equal_toIvEES6_EE10hipError_tPvRmT2_T3_T4_T5_mT6_T7_P12ihipStream_tbENKUlT_T0_E_clISt17integral_constantIbLb1EES12_IbLb0EEEEDaSY_SZ_EUlSY_E_NS1_11comp_targetILNS1_3genE8ELNS1_11target_archE1030ELNS1_3gpuE2ELNS1_3repE0EEENS1_30default_config_static_selectorELNS0_4arch9wavefront6targetE0EEEvT1_.has_indirect_call, 0
	.section	.AMDGPU.csdata,"",@progbits
; Kernel info:
; codeLenInByte = 4
; TotalNumSgprs: 0
; NumVgprs: 0
; ScratchSize: 0
; MemoryBound: 0
; FloatMode: 240
; IeeeMode: 1
; LDSByteSize: 0 bytes/workgroup (compile time only)
; SGPRBlocks: 0
; VGPRBlocks: 0
; NumSGPRsForWavesPerEU: 1
; NumVGPRsForWavesPerEU: 1
; Occupancy: 16
; WaveLimiterHint : 0
; COMPUTE_PGM_RSRC2:SCRATCH_EN: 0
; COMPUTE_PGM_RSRC2:USER_SGPR: 6
; COMPUTE_PGM_RSRC2:TRAP_HANDLER: 0
; COMPUTE_PGM_RSRC2:TGID_X_EN: 1
; COMPUTE_PGM_RSRC2:TGID_Y_EN: 0
; COMPUTE_PGM_RSRC2:TGID_Z_EN: 0
; COMPUTE_PGM_RSRC2:TIDIG_COMP_CNT: 0
	.section	.text._ZN7rocprim17ROCPRIM_400000_NS6detail17trampoline_kernelINS0_14default_configENS1_27scan_by_key_config_selectorIj11FixedVectorIiLj2EEEEZZNS1_16scan_by_key_implILNS1_25lookback_scan_determinismE0ELb1ES3_N6thrust23THRUST_200600_302600_NS6detail15normal_iteratorINSB_10device_ptrIjEEEENSD_INSE_IS6_EEEESI_S6_NSB_4plusIvEENSB_8equal_toIvEES6_EE10hipError_tPvRmT2_T3_T4_T5_mT6_T7_P12ihipStream_tbENKUlT_T0_E_clISt17integral_constantIbLb0EES12_IbLb1EEEEDaSY_SZ_EUlSY_E_NS1_11comp_targetILNS1_3genE0ELNS1_11target_archE4294967295ELNS1_3gpuE0ELNS1_3repE0EEENS1_30default_config_static_selectorELNS0_4arch9wavefront6targetE0EEEvT1_,"axG",@progbits,_ZN7rocprim17ROCPRIM_400000_NS6detail17trampoline_kernelINS0_14default_configENS1_27scan_by_key_config_selectorIj11FixedVectorIiLj2EEEEZZNS1_16scan_by_key_implILNS1_25lookback_scan_determinismE0ELb1ES3_N6thrust23THRUST_200600_302600_NS6detail15normal_iteratorINSB_10device_ptrIjEEEENSD_INSE_IS6_EEEESI_S6_NSB_4plusIvEENSB_8equal_toIvEES6_EE10hipError_tPvRmT2_T3_T4_T5_mT6_T7_P12ihipStream_tbENKUlT_T0_E_clISt17integral_constantIbLb0EES12_IbLb1EEEEDaSY_SZ_EUlSY_E_NS1_11comp_targetILNS1_3genE0ELNS1_11target_archE4294967295ELNS1_3gpuE0ELNS1_3repE0EEENS1_30default_config_static_selectorELNS0_4arch9wavefront6targetE0EEEvT1_,comdat
	.protected	_ZN7rocprim17ROCPRIM_400000_NS6detail17trampoline_kernelINS0_14default_configENS1_27scan_by_key_config_selectorIj11FixedVectorIiLj2EEEEZZNS1_16scan_by_key_implILNS1_25lookback_scan_determinismE0ELb1ES3_N6thrust23THRUST_200600_302600_NS6detail15normal_iteratorINSB_10device_ptrIjEEEENSD_INSE_IS6_EEEESI_S6_NSB_4plusIvEENSB_8equal_toIvEES6_EE10hipError_tPvRmT2_T3_T4_T5_mT6_T7_P12ihipStream_tbENKUlT_T0_E_clISt17integral_constantIbLb0EES12_IbLb1EEEEDaSY_SZ_EUlSY_E_NS1_11comp_targetILNS1_3genE0ELNS1_11target_archE4294967295ELNS1_3gpuE0ELNS1_3repE0EEENS1_30default_config_static_selectorELNS0_4arch9wavefront6targetE0EEEvT1_ ; -- Begin function _ZN7rocprim17ROCPRIM_400000_NS6detail17trampoline_kernelINS0_14default_configENS1_27scan_by_key_config_selectorIj11FixedVectorIiLj2EEEEZZNS1_16scan_by_key_implILNS1_25lookback_scan_determinismE0ELb1ES3_N6thrust23THRUST_200600_302600_NS6detail15normal_iteratorINSB_10device_ptrIjEEEENSD_INSE_IS6_EEEESI_S6_NSB_4plusIvEENSB_8equal_toIvEES6_EE10hipError_tPvRmT2_T3_T4_T5_mT6_T7_P12ihipStream_tbENKUlT_T0_E_clISt17integral_constantIbLb0EES12_IbLb1EEEEDaSY_SZ_EUlSY_E_NS1_11comp_targetILNS1_3genE0ELNS1_11target_archE4294967295ELNS1_3gpuE0ELNS1_3repE0EEENS1_30default_config_static_selectorELNS0_4arch9wavefront6targetE0EEEvT1_
	.globl	_ZN7rocprim17ROCPRIM_400000_NS6detail17trampoline_kernelINS0_14default_configENS1_27scan_by_key_config_selectorIj11FixedVectorIiLj2EEEEZZNS1_16scan_by_key_implILNS1_25lookback_scan_determinismE0ELb1ES3_N6thrust23THRUST_200600_302600_NS6detail15normal_iteratorINSB_10device_ptrIjEEEENSD_INSE_IS6_EEEESI_S6_NSB_4plusIvEENSB_8equal_toIvEES6_EE10hipError_tPvRmT2_T3_T4_T5_mT6_T7_P12ihipStream_tbENKUlT_T0_E_clISt17integral_constantIbLb0EES12_IbLb1EEEEDaSY_SZ_EUlSY_E_NS1_11comp_targetILNS1_3genE0ELNS1_11target_archE4294967295ELNS1_3gpuE0ELNS1_3repE0EEENS1_30default_config_static_selectorELNS0_4arch9wavefront6targetE0EEEvT1_
	.p2align	8
	.type	_ZN7rocprim17ROCPRIM_400000_NS6detail17trampoline_kernelINS0_14default_configENS1_27scan_by_key_config_selectorIj11FixedVectorIiLj2EEEEZZNS1_16scan_by_key_implILNS1_25lookback_scan_determinismE0ELb1ES3_N6thrust23THRUST_200600_302600_NS6detail15normal_iteratorINSB_10device_ptrIjEEEENSD_INSE_IS6_EEEESI_S6_NSB_4plusIvEENSB_8equal_toIvEES6_EE10hipError_tPvRmT2_T3_T4_T5_mT6_T7_P12ihipStream_tbENKUlT_T0_E_clISt17integral_constantIbLb0EES12_IbLb1EEEEDaSY_SZ_EUlSY_E_NS1_11comp_targetILNS1_3genE0ELNS1_11target_archE4294967295ELNS1_3gpuE0ELNS1_3repE0EEENS1_30default_config_static_selectorELNS0_4arch9wavefront6targetE0EEEvT1_,@function
_ZN7rocprim17ROCPRIM_400000_NS6detail17trampoline_kernelINS0_14default_configENS1_27scan_by_key_config_selectorIj11FixedVectorIiLj2EEEEZZNS1_16scan_by_key_implILNS1_25lookback_scan_determinismE0ELb1ES3_N6thrust23THRUST_200600_302600_NS6detail15normal_iteratorINSB_10device_ptrIjEEEENSD_INSE_IS6_EEEESI_S6_NSB_4plusIvEENSB_8equal_toIvEES6_EE10hipError_tPvRmT2_T3_T4_T5_mT6_T7_P12ihipStream_tbENKUlT_T0_E_clISt17integral_constantIbLb0EES12_IbLb1EEEEDaSY_SZ_EUlSY_E_NS1_11comp_targetILNS1_3genE0ELNS1_11target_archE4294967295ELNS1_3gpuE0ELNS1_3repE0EEENS1_30default_config_static_selectorELNS0_4arch9wavefront6targetE0EEEvT1_: ; @_ZN7rocprim17ROCPRIM_400000_NS6detail17trampoline_kernelINS0_14default_configENS1_27scan_by_key_config_selectorIj11FixedVectorIiLj2EEEEZZNS1_16scan_by_key_implILNS1_25lookback_scan_determinismE0ELb1ES3_N6thrust23THRUST_200600_302600_NS6detail15normal_iteratorINSB_10device_ptrIjEEEENSD_INSE_IS6_EEEESI_S6_NSB_4plusIvEENSB_8equal_toIvEES6_EE10hipError_tPvRmT2_T3_T4_T5_mT6_T7_P12ihipStream_tbENKUlT_T0_E_clISt17integral_constantIbLb0EES12_IbLb1EEEEDaSY_SZ_EUlSY_E_NS1_11comp_targetILNS1_3genE0ELNS1_11target_archE4294967295ELNS1_3gpuE0ELNS1_3repE0EEENS1_30default_config_static_selectorELNS0_4arch9wavefront6targetE0EEEvT1_
; %bb.0:
	.section	.rodata,"a",@progbits
	.p2align	6, 0x0
	.amdhsa_kernel _ZN7rocprim17ROCPRIM_400000_NS6detail17trampoline_kernelINS0_14default_configENS1_27scan_by_key_config_selectorIj11FixedVectorIiLj2EEEEZZNS1_16scan_by_key_implILNS1_25lookback_scan_determinismE0ELb1ES3_N6thrust23THRUST_200600_302600_NS6detail15normal_iteratorINSB_10device_ptrIjEEEENSD_INSE_IS6_EEEESI_S6_NSB_4plusIvEENSB_8equal_toIvEES6_EE10hipError_tPvRmT2_T3_T4_T5_mT6_T7_P12ihipStream_tbENKUlT_T0_E_clISt17integral_constantIbLb0EES12_IbLb1EEEEDaSY_SZ_EUlSY_E_NS1_11comp_targetILNS1_3genE0ELNS1_11target_archE4294967295ELNS1_3gpuE0ELNS1_3repE0EEENS1_30default_config_static_selectorELNS0_4arch9wavefront6targetE0EEEvT1_
		.amdhsa_group_segment_fixed_size 0
		.amdhsa_private_segment_fixed_size 0
		.amdhsa_kernarg_size 120
		.amdhsa_user_sgpr_count 6
		.amdhsa_user_sgpr_private_segment_buffer 1
		.amdhsa_user_sgpr_dispatch_ptr 0
		.amdhsa_user_sgpr_queue_ptr 0
		.amdhsa_user_sgpr_kernarg_segment_ptr 1
		.amdhsa_user_sgpr_dispatch_id 0
		.amdhsa_user_sgpr_flat_scratch_init 0
		.amdhsa_user_sgpr_private_segment_size 0
		.amdhsa_wavefront_size32 1
		.amdhsa_uses_dynamic_stack 0
		.amdhsa_system_sgpr_private_segment_wavefront_offset 0
		.amdhsa_system_sgpr_workgroup_id_x 1
		.amdhsa_system_sgpr_workgroup_id_y 0
		.amdhsa_system_sgpr_workgroup_id_z 0
		.amdhsa_system_sgpr_workgroup_info 0
		.amdhsa_system_vgpr_workitem_id 0
		.amdhsa_next_free_vgpr 1
		.amdhsa_next_free_sgpr 1
		.amdhsa_reserve_vcc 0
		.amdhsa_reserve_flat_scratch 0
		.amdhsa_float_round_mode_32 0
		.amdhsa_float_round_mode_16_64 0
		.amdhsa_float_denorm_mode_32 3
		.amdhsa_float_denorm_mode_16_64 3
		.amdhsa_dx10_clamp 1
		.amdhsa_ieee_mode 1
		.amdhsa_fp16_overflow 0
		.amdhsa_workgroup_processor_mode 1
		.amdhsa_memory_ordered 1
		.amdhsa_forward_progress 1
		.amdhsa_shared_vgpr_count 0
		.amdhsa_exception_fp_ieee_invalid_op 0
		.amdhsa_exception_fp_denorm_src 0
		.amdhsa_exception_fp_ieee_div_zero 0
		.amdhsa_exception_fp_ieee_overflow 0
		.amdhsa_exception_fp_ieee_underflow 0
		.amdhsa_exception_fp_ieee_inexact 0
		.amdhsa_exception_int_div_zero 0
	.end_amdhsa_kernel
	.section	.text._ZN7rocprim17ROCPRIM_400000_NS6detail17trampoline_kernelINS0_14default_configENS1_27scan_by_key_config_selectorIj11FixedVectorIiLj2EEEEZZNS1_16scan_by_key_implILNS1_25lookback_scan_determinismE0ELb1ES3_N6thrust23THRUST_200600_302600_NS6detail15normal_iteratorINSB_10device_ptrIjEEEENSD_INSE_IS6_EEEESI_S6_NSB_4plusIvEENSB_8equal_toIvEES6_EE10hipError_tPvRmT2_T3_T4_T5_mT6_T7_P12ihipStream_tbENKUlT_T0_E_clISt17integral_constantIbLb0EES12_IbLb1EEEEDaSY_SZ_EUlSY_E_NS1_11comp_targetILNS1_3genE0ELNS1_11target_archE4294967295ELNS1_3gpuE0ELNS1_3repE0EEENS1_30default_config_static_selectorELNS0_4arch9wavefront6targetE0EEEvT1_,"axG",@progbits,_ZN7rocprim17ROCPRIM_400000_NS6detail17trampoline_kernelINS0_14default_configENS1_27scan_by_key_config_selectorIj11FixedVectorIiLj2EEEEZZNS1_16scan_by_key_implILNS1_25lookback_scan_determinismE0ELb1ES3_N6thrust23THRUST_200600_302600_NS6detail15normal_iteratorINSB_10device_ptrIjEEEENSD_INSE_IS6_EEEESI_S6_NSB_4plusIvEENSB_8equal_toIvEES6_EE10hipError_tPvRmT2_T3_T4_T5_mT6_T7_P12ihipStream_tbENKUlT_T0_E_clISt17integral_constantIbLb0EES12_IbLb1EEEEDaSY_SZ_EUlSY_E_NS1_11comp_targetILNS1_3genE0ELNS1_11target_archE4294967295ELNS1_3gpuE0ELNS1_3repE0EEENS1_30default_config_static_selectorELNS0_4arch9wavefront6targetE0EEEvT1_,comdat
.Lfunc_end2020:
	.size	_ZN7rocprim17ROCPRIM_400000_NS6detail17trampoline_kernelINS0_14default_configENS1_27scan_by_key_config_selectorIj11FixedVectorIiLj2EEEEZZNS1_16scan_by_key_implILNS1_25lookback_scan_determinismE0ELb1ES3_N6thrust23THRUST_200600_302600_NS6detail15normal_iteratorINSB_10device_ptrIjEEEENSD_INSE_IS6_EEEESI_S6_NSB_4plusIvEENSB_8equal_toIvEES6_EE10hipError_tPvRmT2_T3_T4_T5_mT6_T7_P12ihipStream_tbENKUlT_T0_E_clISt17integral_constantIbLb0EES12_IbLb1EEEEDaSY_SZ_EUlSY_E_NS1_11comp_targetILNS1_3genE0ELNS1_11target_archE4294967295ELNS1_3gpuE0ELNS1_3repE0EEENS1_30default_config_static_selectorELNS0_4arch9wavefront6targetE0EEEvT1_, .Lfunc_end2020-_ZN7rocprim17ROCPRIM_400000_NS6detail17trampoline_kernelINS0_14default_configENS1_27scan_by_key_config_selectorIj11FixedVectorIiLj2EEEEZZNS1_16scan_by_key_implILNS1_25lookback_scan_determinismE0ELb1ES3_N6thrust23THRUST_200600_302600_NS6detail15normal_iteratorINSB_10device_ptrIjEEEENSD_INSE_IS6_EEEESI_S6_NSB_4plusIvEENSB_8equal_toIvEES6_EE10hipError_tPvRmT2_T3_T4_T5_mT6_T7_P12ihipStream_tbENKUlT_T0_E_clISt17integral_constantIbLb0EES12_IbLb1EEEEDaSY_SZ_EUlSY_E_NS1_11comp_targetILNS1_3genE0ELNS1_11target_archE4294967295ELNS1_3gpuE0ELNS1_3repE0EEENS1_30default_config_static_selectorELNS0_4arch9wavefront6targetE0EEEvT1_
                                        ; -- End function
	.set _ZN7rocprim17ROCPRIM_400000_NS6detail17trampoline_kernelINS0_14default_configENS1_27scan_by_key_config_selectorIj11FixedVectorIiLj2EEEEZZNS1_16scan_by_key_implILNS1_25lookback_scan_determinismE0ELb1ES3_N6thrust23THRUST_200600_302600_NS6detail15normal_iteratorINSB_10device_ptrIjEEEENSD_INSE_IS6_EEEESI_S6_NSB_4plusIvEENSB_8equal_toIvEES6_EE10hipError_tPvRmT2_T3_T4_T5_mT6_T7_P12ihipStream_tbENKUlT_T0_E_clISt17integral_constantIbLb0EES12_IbLb1EEEEDaSY_SZ_EUlSY_E_NS1_11comp_targetILNS1_3genE0ELNS1_11target_archE4294967295ELNS1_3gpuE0ELNS1_3repE0EEENS1_30default_config_static_selectorELNS0_4arch9wavefront6targetE0EEEvT1_.num_vgpr, 0
	.set _ZN7rocprim17ROCPRIM_400000_NS6detail17trampoline_kernelINS0_14default_configENS1_27scan_by_key_config_selectorIj11FixedVectorIiLj2EEEEZZNS1_16scan_by_key_implILNS1_25lookback_scan_determinismE0ELb1ES3_N6thrust23THRUST_200600_302600_NS6detail15normal_iteratorINSB_10device_ptrIjEEEENSD_INSE_IS6_EEEESI_S6_NSB_4plusIvEENSB_8equal_toIvEES6_EE10hipError_tPvRmT2_T3_T4_T5_mT6_T7_P12ihipStream_tbENKUlT_T0_E_clISt17integral_constantIbLb0EES12_IbLb1EEEEDaSY_SZ_EUlSY_E_NS1_11comp_targetILNS1_3genE0ELNS1_11target_archE4294967295ELNS1_3gpuE0ELNS1_3repE0EEENS1_30default_config_static_selectorELNS0_4arch9wavefront6targetE0EEEvT1_.num_agpr, 0
	.set _ZN7rocprim17ROCPRIM_400000_NS6detail17trampoline_kernelINS0_14default_configENS1_27scan_by_key_config_selectorIj11FixedVectorIiLj2EEEEZZNS1_16scan_by_key_implILNS1_25lookback_scan_determinismE0ELb1ES3_N6thrust23THRUST_200600_302600_NS6detail15normal_iteratorINSB_10device_ptrIjEEEENSD_INSE_IS6_EEEESI_S6_NSB_4plusIvEENSB_8equal_toIvEES6_EE10hipError_tPvRmT2_T3_T4_T5_mT6_T7_P12ihipStream_tbENKUlT_T0_E_clISt17integral_constantIbLb0EES12_IbLb1EEEEDaSY_SZ_EUlSY_E_NS1_11comp_targetILNS1_3genE0ELNS1_11target_archE4294967295ELNS1_3gpuE0ELNS1_3repE0EEENS1_30default_config_static_selectorELNS0_4arch9wavefront6targetE0EEEvT1_.numbered_sgpr, 0
	.set _ZN7rocprim17ROCPRIM_400000_NS6detail17trampoline_kernelINS0_14default_configENS1_27scan_by_key_config_selectorIj11FixedVectorIiLj2EEEEZZNS1_16scan_by_key_implILNS1_25lookback_scan_determinismE0ELb1ES3_N6thrust23THRUST_200600_302600_NS6detail15normal_iteratorINSB_10device_ptrIjEEEENSD_INSE_IS6_EEEESI_S6_NSB_4plusIvEENSB_8equal_toIvEES6_EE10hipError_tPvRmT2_T3_T4_T5_mT6_T7_P12ihipStream_tbENKUlT_T0_E_clISt17integral_constantIbLb0EES12_IbLb1EEEEDaSY_SZ_EUlSY_E_NS1_11comp_targetILNS1_3genE0ELNS1_11target_archE4294967295ELNS1_3gpuE0ELNS1_3repE0EEENS1_30default_config_static_selectorELNS0_4arch9wavefront6targetE0EEEvT1_.num_named_barrier, 0
	.set _ZN7rocprim17ROCPRIM_400000_NS6detail17trampoline_kernelINS0_14default_configENS1_27scan_by_key_config_selectorIj11FixedVectorIiLj2EEEEZZNS1_16scan_by_key_implILNS1_25lookback_scan_determinismE0ELb1ES3_N6thrust23THRUST_200600_302600_NS6detail15normal_iteratorINSB_10device_ptrIjEEEENSD_INSE_IS6_EEEESI_S6_NSB_4plusIvEENSB_8equal_toIvEES6_EE10hipError_tPvRmT2_T3_T4_T5_mT6_T7_P12ihipStream_tbENKUlT_T0_E_clISt17integral_constantIbLb0EES12_IbLb1EEEEDaSY_SZ_EUlSY_E_NS1_11comp_targetILNS1_3genE0ELNS1_11target_archE4294967295ELNS1_3gpuE0ELNS1_3repE0EEENS1_30default_config_static_selectorELNS0_4arch9wavefront6targetE0EEEvT1_.private_seg_size, 0
	.set _ZN7rocprim17ROCPRIM_400000_NS6detail17trampoline_kernelINS0_14default_configENS1_27scan_by_key_config_selectorIj11FixedVectorIiLj2EEEEZZNS1_16scan_by_key_implILNS1_25lookback_scan_determinismE0ELb1ES3_N6thrust23THRUST_200600_302600_NS6detail15normal_iteratorINSB_10device_ptrIjEEEENSD_INSE_IS6_EEEESI_S6_NSB_4plusIvEENSB_8equal_toIvEES6_EE10hipError_tPvRmT2_T3_T4_T5_mT6_T7_P12ihipStream_tbENKUlT_T0_E_clISt17integral_constantIbLb0EES12_IbLb1EEEEDaSY_SZ_EUlSY_E_NS1_11comp_targetILNS1_3genE0ELNS1_11target_archE4294967295ELNS1_3gpuE0ELNS1_3repE0EEENS1_30default_config_static_selectorELNS0_4arch9wavefront6targetE0EEEvT1_.uses_vcc, 0
	.set _ZN7rocprim17ROCPRIM_400000_NS6detail17trampoline_kernelINS0_14default_configENS1_27scan_by_key_config_selectorIj11FixedVectorIiLj2EEEEZZNS1_16scan_by_key_implILNS1_25lookback_scan_determinismE0ELb1ES3_N6thrust23THRUST_200600_302600_NS6detail15normal_iteratorINSB_10device_ptrIjEEEENSD_INSE_IS6_EEEESI_S6_NSB_4plusIvEENSB_8equal_toIvEES6_EE10hipError_tPvRmT2_T3_T4_T5_mT6_T7_P12ihipStream_tbENKUlT_T0_E_clISt17integral_constantIbLb0EES12_IbLb1EEEEDaSY_SZ_EUlSY_E_NS1_11comp_targetILNS1_3genE0ELNS1_11target_archE4294967295ELNS1_3gpuE0ELNS1_3repE0EEENS1_30default_config_static_selectorELNS0_4arch9wavefront6targetE0EEEvT1_.uses_flat_scratch, 0
	.set _ZN7rocprim17ROCPRIM_400000_NS6detail17trampoline_kernelINS0_14default_configENS1_27scan_by_key_config_selectorIj11FixedVectorIiLj2EEEEZZNS1_16scan_by_key_implILNS1_25lookback_scan_determinismE0ELb1ES3_N6thrust23THRUST_200600_302600_NS6detail15normal_iteratorINSB_10device_ptrIjEEEENSD_INSE_IS6_EEEESI_S6_NSB_4plusIvEENSB_8equal_toIvEES6_EE10hipError_tPvRmT2_T3_T4_T5_mT6_T7_P12ihipStream_tbENKUlT_T0_E_clISt17integral_constantIbLb0EES12_IbLb1EEEEDaSY_SZ_EUlSY_E_NS1_11comp_targetILNS1_3genE0ELNS1_11target_archE4294967295ELNS1_3gpuE0ELNS1_3repE0EEENS1_30default_config_static_selectorELNS0_4arch9wavefront6targetE0EEEvT1_.has_dyn_sized_stack, 0
	.set _ZN7rocprim17ROCPRIM_400000_NS6detail17trampoline_kernelINS0_14default_configENS1_27scan_by_key_config_selectorIj11FixedVectorIiLj2EEEEZZNS1_16scan_by_key_implILNS1_25lookback_scan_determinismE0ELb1ES3_N6thrust23THRUST_200600_302600_NS6detail15normal_iteratorINSB_10device_ptrIjEEEENSD_INSE_IS6_EEEESI_S6_NSB_4plusIvEENSB_8equal_toIvEES6_EE10hipError_tPvRmT2_T3_T4_T5_mT6_T7_P12ihipStream_tbENKUlT_T0_E_clISt17integral_constantIbLb0EES12_IbLb1EEEEDaSY_SZ_EUlSY_E_NS1_11comp_targetILNS1_3genE0ELNS1_11target_archE4294967295ELNS1_3gpuE0ELNS1_3repE0EEENS1_30default_config_static_selectorELNS0_4arch9wavefront6targetE0EEEvT1_.has_recursion, 0
	.set _ZN7rocprim17ROCPRIM_400000_NS6detail17trampoline_kernelINS0_14default_configENS1_27scan_by_key_config_selectorIj11FixedVectorIiLj2EEEEZZNS1_16scan_by_key_implILNS1_25lookback_scan_determinismE0ELb1ES3_N6thrust23THRUST_200600_302600_NS6detail15normal_iteratorINSB_10device_ptrIjEEEENSD_INSE_IS6_EEEESI_S6_NSB_4plusIvEENSB_8equal_toIvEES6_EE10hipError_tPvRmT2_T3_T4_T5_mT6_T7_P12ihipStream_tbENKUlT_T0_E_clISt17integral_constantIbLb0EES12_IbLb1EEEEDaSY_SZ_EUlSY_E_NS1_11comp_targetILNS1_3genE0ELNS1_11target_archE4294967295ELNS1_3gpuE0ELNS1_3repE0EEENS1_30default_config_static_selectorELNS0_4arch9wavefront6targetE0EEEvT1_.has_indirect_call, 0
	.section	.AMDGPU.csdata,"",@progbits
; Kernel info:
; codeLenInByte = 0
; TotalNumSgprs: 0
; NumVgprs: 0
; ScratchSize: 0
; MemoryBound: 0
; FloatMode: 240
; IeeeMode: 1
; LDSByteSize: 0 bytes/workgroup (compile time only)
; SGPRBlocks: 0
; VGPRBlocks: 0
; NumSGPRsForWavesPerEU: 1
; NumVGPRsForWavesPerEU: 1
; Occupancy: 16
; WaveLimiterHint : 0
; COMPUTE_PGM_RSRC2:SCRATCH_EN: 0
; COMPUTE_PGM_RSRC2:USER_SGPR: 6
; COMPUTE_PGM_RSRC2:TRAP_HANDLER: 0
; COMPUTE_PGM_RSRC2:TGID_X_EN: 1
; COMPUTE_PGM_RSRC2:TGID_Y_EN: 0
; COMPUTE_PGM_RSRC2:TGID_Z_EN: 0
; COMPUTE_PGM_RSRC2:TIDIG_COMP_CNT: 0
	.section	.text._ZN7rocprim17ROCPRIM_400000_NS6detail17trampoline_kernelINS0_14default_configENS1_27scan_by_key_config_selectorIj11FixedVectorIiLj2EEEEZZNS1_16scan_by_key_implILNS1_25lookback_scan_determinismE0ELb1ES3_N6thrust23THRUST_200600_302600_NS6detail15normal_iteratorINSB_10device_ptrIjEEEENSD_INSE_IS6_EEEESI_S6_NSB_4plusIvEENSB_8equal_toIvEES6_EE10hipError_tPvRmT2_T3_T4_T5_mT6_T7_P12ihipStream_tbENKUlT_T0_E_clISt17integral_constantIbLb0EES12_IbLb1EEEEDaSY_SZ_EUlSY_E_NS1_11comp_targetILNS1_3genE10ELNS1_11target_archE1201ELNS1_3gpuE5ELNS1_3repE0EEENS1_30default_config_static_selectorELNS0_4arch9wavefront6targetE0EEEvT1_,"axG",@progbits,_ZN7rocprim17ROCPRIM_400000_NS6detail17trampoline_kernelINS0_14default_configENS1_27scan_by_key_config_selectorIj11FixedVectorIiLj2EEEEZZNS1_16scan_by_key_implILNS1_25lookback_scan_determinismE0ELb1ES3_N6thrust23THRUST_200600_302600_NS6detail15normal_iteratorINSB_10device_ptrIjEEEENSD_INSE_IS6_EEEESI_S6_NSB_4plusIvEENSB_8equal_toIvEES6_EE10hipError_tPvRmT2_T3_T4_T5_mT6_T7_P12ihipStream_tbENKUlT_T0_E_clISt17integral_constantIbLb0EES12_IbLb1EEEEDaSY_SZ_EUlSY_E_NS1_11comp_targetILNS1_3genE10ELNS1_11target_archE1201ELNS1_3gpuE5ELNS1_3repE0EEENS1_30default_config_static_selectorELNS0_4arch9wavefront6targetE0EEEvT1_,comdat
	.protected	_ZN7rocprim17ROCPRIM_400000_NS6detail17trampoline_kernelINS0_14default_configENS1_27scan_by_key_config_selectorIj11FixedVectorIiLj2EEEEZZNS1_16scan_by_key_implILNS1_25lookback_scan_determinismE0ELb1ES3_N6thrust23THRUST_200600_302600_NS6detail15normal_iteratorINSB_10device_ptrIjEEEENSD_INSE_IS6_EEEESI_S6_NSB_4plusIvEENSB_8equal_toIvEES6_EE10hipError_tPvRmT2_T3_T4_T5_mT6_T7_P12ihipStream_tbENKUlT_T0_E_clISt17integral_constantIbLb0EES12_IbLb1EEEEDaSY_SZ_EUlSY_E_NS1_11comp_targetILNS1_3genE10ELNS1_11target_archE1201ELNS1_3gpuE5ELNS1_3repE0EEENS1_30default_config_static_selectorELNS0_4arch9wavefront6targetE0EEEvT1_ ; -- Begin function _ZN7rocprim17ROCPRIM_400000_NS6detail17trampoline_kernelINS0_14default_configENS1_27scan_by_key_config_selectorIj11FixedVectorIiLj2EEEEZZNS1_16scan_by_key_implILNS1_25lookback_scan_determinismE0ELb1ES3_N6thrust23THRUST_200600_302600_NS6detail15normal_iteratorINSB_10device_ptrIjEEEENSD_INSE_IS6_EEEESI_S6_NSB_4plusIvEENSB_8equal_toIvEES6_EE10hipError_tPvRmT2_T3_T4_T5_mT6_T7_P12ihipStream_tbENKUlT_T0_E_clISt17integral_constantIbLb0EES12_IbLb1EEEEDaSY_SZ_EUlSY_E_NS1_11comp_targetILNS1_3genE10ELNS1_11target_archE1201ELNS1_3gpuE5ELNS1_3repE0EEENS1_30default_config_static_selectorELNS0_4arch9wavefront6targetE0EEEvT1_
	.globl	_ZN7rocprim17ROCPRIM_400000_NS6detail17trampoline_kernelINS0_14default_configENS1_27scan_by_key_config_selectorIj11FixedVectorIiLj2EEEEZZNS1_16scan_by_key_implILNS1_25lookback_scan_determinismE0ELb1ES3_N6thrust23THRUST_200600_302600_NS6detail15normal_iteratorINSB_10device_ptrIjEEEENSD_INSE_IS6_EEEESI_S6_NSB_4plusIvEENSB_8equal_toIvEES6_EE10hipError_tPvRmT2_T3_T4_T5_mT6_T7_P12ihipStream_tbENKUlT_T0_E_clISt17integral_constantIbLb0EES12_IbLb1EEEEDaSY_SZ_EUlSY_E_NS1_11comp_targetILNS1_3genE10ELNS1_11target_archE1201ELNS1_3gpuE5ELNS1_3repE0EEENS1_30default_config_static_selectorELNS0_4arch9wavefront6targetE0EEEvT1_
	.p2align	8
	.type	_ZN7rocprim17ROCPRIM_400000_NS6detail17trampoline_kernelINS0_14default_configENS1_27scan_by_key_config_selectorIj11FixedVectorIiLj2EEEEZZNS1_16scan_by_key_implILNS1_25lookback_scan_determinismE0ELb1ES3_N6thrust23THRUST_200600_302600_NS6detail15normal_iteratorINSB_10device_ptrIjEEEENSD_INSE_IS6_EEEESI_S6_NSB_4plusIvEENSB_8equal_toIvEES6_EE10hipError_tPvRmT2_T3_T4_T5_mT6_T7_P12ihipStream_tbENKUlT_T0_E_clISt17integral_constantIbLb0EES12_IbLb1EEEEDaSY_SZ_EUlSY_E_NS1_11comp_targetILNS1_3genE10ELNS1_11target_archE1201ELNS1_3gpuE5ELNS1_3repE0EEENS1_30default_config_static_selectorELNS0_4arch9wavefront6targetE0EEEvT1_,@function
_ZN7rocprim17ROCPRIM_400000_NS6detail17trampoline_kernelINS0_14default_configENS1_27scan_by_key_config_selectorIj11FixedVectorIiLj2EEEEZZNS1_16scan_by_key_implILNS1_25lookback_scan_determinismE0ELb1ES3_N6thrust23THRUST_200600_302600_NS6detail15normal_iteratorINSB_10device_ptrIjEEEENSD_INSE_IS6_EEEESI_S6_NSB_4plusIvEENSB_8equal_toIvEES6_EE10hipError_tPvRmT2_T3_T4_T5_mT6_T7_P12ihipStream_tbENKUlT_T0_E_clISt17integral_constantIbLb0EES12_IbLb1EEEEDaSY_SZ_EUlSY_E_NS1_11comp_targetILNS1_3genE10ELNS1_11target_archE1201ELNS1_3gpuE5ELNS1_3repE0EEENS1_30default_config_static_selectorELNS0_4arch9wavefront6targetE0EEEvT1_: ; @_ZN7rocprim17ROCPRIM_400000_NS6detail17trampoline_kernelINS0_14default_configENS1_27scan_by_key_config_selectorIj11FixedVectorIiLj2EEEEZZNS1_16scan_by_key_implILNS1_25lookback_scan_determinismE0ELb1ES3_N6thrust23THRUST_200600_302600_NS6detail15normal_iteratorINSB_10device_ptrIjEEEENSD_INSE_IS6_EEEESI_S6_NSB_4plusIvEENSB_8equal_toIvEES6_EE10hipError_tPvRmT2_T3_T4_T5_mT6_T7_P12ihipStream_tbENKUlT_T0_E_clISt17integral_constantIbLb0EES12_IbLb1EEEEDaSY_SZ_EUlSY_E_NS1_11comp_targetILNS1_3genE10ELNS1_11target_archE1201ELNS1_3gpuE5ELNS1_3repE0EEENS1_30default_config_static_selectorELNS0_4arch9wavefront6targetE0EEEvT1_
; %bb.0:
	.section	.rodata,"a",@progbits
	.p2align	6, 0x0
	.amdhsa_kernel _ZN7rocprim17ROCPRIM_400000_NS6detail17trampoline_kernelINS0_14default_configENS1_27scan_by_key_config_selectorIj11FixedVectorIiLj2EEEEZZNS1_16scan_by_key_implILNS1_25lookback_scan_determinismE0ELb1ES3_N6thrust23THRUST_200600_302600_NS6detail15normal_iteratorINSB_10device_ptrIjEEEENSD_INSE_IS6_EEEESI_S6_NSB_4plusIvEENSB_8equal_toIvEES6_EE10hipError_tPvRmT2_T3_T4_T5_mT6_T7_P12ihipStream_tbENKUlT_T0_E_clISt17integral_constantIbLb0EES12_IbLb1EEEEDaSY_SZ_EUlSY_E_NS1_11comp_targetILNS1_3genE10ELNS1_11target_archE1201ELNS1_3gpuE5ELNS1_3repE0EEENS1_30default_config_static_selectorELNS0_4arch9wavefront6targetE0EEEvT1_
		.amdhsa_group_segment_fixed_size 0
		.amdhsa_private_segment_fixed_size 0
		.amdhsa_kernarg_size 120
		.amdhsa_user_sgpr_count 6
		.amdhsa_user_sgpr_private_segment_buffer 1
		.amdhsa_user_sgpr_dispatch_ptr 0
		.amdhsa_user_sgpr_queue_ptr 0
		.amdhsa_user_sgpr_kernarg_segment_ptr 1
		.amdhsa_user_sgpr_dispatch_id 0
		.amdhsa_user_sgpr_flat_scratch_init 0
		.amdhsa_user_sgpr_private_segment_size 0
		.amdhsa_wavefront_size32 1
		.amdhsa_uses_dynamic_stack 0
		.amdhsa_system_sgpr_private_segment_wavefront_offset 0
		.amdhsa_system_sgpr_workgroup_id_x 1
		.amdhsa_system_sgpr_workgroup_id_y 0
		.amdhsa_system_sgpr_workgroup_id_z 0
		.amdhsa_system_sgpr_workgroup_info 0
		.amdhsa_system_vgpr_workitem_id 0
		.amdhsa_next_free_vgpr 1
		.amdhsa_next_free_sgpr 1
		.amdhsa_reserve_vcc 0
		.amdhsa_reserve_flat_scratch 0
		.amdhsa_float_round_mode_32 0
		.amdhsa_float_round_mode_16_64 0
		.amdhsa_float_denorm_mode_32 3
		.amdhsa_float_denorm_mode_16_64 3
		.amdhsa_dx10_clamp 1
		.amdhsa_ieee_mode 1
		.amdhsa_fp16_overflow 0
		.amdhsa_workgroup_processor_mode 1
		.amdhsa_memory_ordered 1
		.amdhsa_forward_progress 1
		.amdhsa_shared_vgpr_count 0
		.amdhsa_exception_fp_ieee_invalid_op 0
		.amdhsa_exception_fp_denorm_src 0
		.amdhsa_exception_fp_ieee_div_zero 0
		.amdhsa_exception_fp_ieee_overflow 0
		.amdhsa_exception_fp_ieee_underflow 0
		.amdhsa_exception_fp_ieee_inexact 0
		.amdhsa_exception_int_div_zero 0
	.end_amdhsa_kernel
	.section	.text._ZN7rocprim17ROCPRIM_400000_NS6detail17trampoline_kernelINS0_14default_configENS1_27scan_by_key_config_selectorIj11FixedVectorIiLj2EEEEZZNS1_16scan_by_key_implILNS1_25lookback_scan_determinismE0ELb1ES3_N6thrust23THRUST_200600_302600_NS6detail15normal_iteratorINSB_10device_ptrIjEEEENSD_INSE_IS6_EEEESI_S6_NSB_4plusIvEENSB_8equal_toIvEES6_EE10hipError_tPvRmT2_T3_T4_T5_mT6_T7_P12ihipStream_tbENKUlT_T0_E_clISt17integral_constantIbLb0EES12_IbLb1EEEEDaSY_SZ_EUlSY_E_NS1_11comp_targetILNS1_3genE10ELNS1_11target_archE1201ELNS1_3gpuE5ELNS1_3repE0EEENS1_30default_config_static_selectorELNS0_4arch9wavefront6targetE0EEEvT1_,"axG",@progbits,_ZN7rocprim17ROCPRIM_400000_NS6detail17trampoline_kernelINS0_14default_configENS1_27scan_by_key_config_selectorIj11FixedVectorIiLj2EEEEZZNS1_16scan_by_key_implILNS1_25lookback_scan_determinismE0ELb1ES3_N6thrust23THRUST_200600_302600_NS6detail15normal_iteratorINSB_10device_ptrIjEEEENSD_INSE_IS6_EEEESI_S6_NSB_4plusIvEENSB_8equal_toIvEES6_EE10hipError_tPvRmT2_T3_T4_T5_mT6_T7_P12ihipStream_tbENKUlT_T0_E_clISt17integral_constantIbLb0EES12_IbLb1EEEEDaSY_SZ_EUlSY_E_NS1_11comp_targetILNS1_3genE10ELNS1_11target_archE1201ELNS1_3gpuE5ELNS1_3repE0EEENS1_30default_config_static_selectorELNS0_4arch9wavefront6targetE0EEEvT1_,comdat
.Lfunc_end2021:
	.size	_ZN7rocprim17ROCPRIM_400000_NS6detail17trampoline_kernelINS0_14default_configENS1_27scan_by_key_config_selectorIj11FixedVectorIiLj2EEEEZZNS1_16scan_by_key_implILNS1_25lookback_scan_determinismE0ELb1ES3_N6thrust23THRUST_200600_302600_NS6detail15normal_iteratorINSB_10device_ptrIjEEEENSD_INSE_IS6_EEEESI_S6_NSB_4plusIvEENSB_8equal_toIvEES6_EE10hipError_tPvRmT2_T3_T4_T5_mT6_T7_P12ihipStream_tbENKUlT_T0_E_clISt17integral_constantIbLb0EES12_IbLb1EEEEDaSY_SZ_EUlSY_E_NS1_11comp_targetILNS1_3genE10ELNS1_11target_archE1201ELNS1_3gpuE5ELNS1_3repE0EEENS1_30default_config_static_selectorELNS0_4arch9wavefront6targetE0EEEvT1_, .Lfunc_end2021-_ZN7rocprim17ROCPRIM_400000_NS6detail17trampoline_kernelINS0_14default_configENS1_27scan_by_key_config_selectorIj11FixedVectorIiLj2EEEEZZNS1_16scan_by_key_implILNS1_25lookback_scan_determinismE0ELb1ES3_N6thrust23THRUST_200600_302600_NS6detail15normal_iteratorINSB_10device_ptrIjEEEENSD_INSE_IS6_EEEESI_S6_NSB_4plusIvEENSB_8equal_toIvEES6_EE10hipError_tPvRmT2_T3_T4_T5_mT6_T7_P12ihipStream_tbENKUlT_T0_E_clISt17integral_constantIbLb0EES12_IbLb1EEEEDaSY_SZ_EUlSY_E_NS1_11comp_targetILNS1_3genE10ELNS1_11target_archE1201ELNS1_3gpuE5ELNS1_3repE0EEENS1_30default_config_static_selectorELNS0_4arch9wavefront6targetE0EEEvT1_
                                        ; -- End function
	.set _ZN7rocprim17ROCPRIM_400000_NS6detail17trampoline_kernelINS0_14default_configENS1_27scan_by_key_config_selectorIj11FixedVectorIiLj2EEEEZZNS1_16scan_by_key_implILNS1_25lookback_scan_determinismE0ELb1ES3_N6thrust23THRUST_200600_302600_NS6detail15normal_iteratorINSB_10device_ptrIjEEEENSD_INSE_IS6_EEEESI_S6_NSB_4plusIvEENSB_8equal_toIvEES6_EE10hipError_tPvRmT2_T3_T4_T5_mT6_T7_P12ihipStream_tbENKUlT_T0_E_clISt17integral_constantIbLb0EES12_IbLb1EEEEDaSY_SZ_EUlSY_E_NS1_11comp_targetILNS1_3genE10ELNS1_11target_archE1201ELNS1_3gpuE5ELNS1_3repE0EEENS1_30default_config_static_selectorELNS0_4arch9wavefront6targetE0EEEvT1_.num_vgpr, 0
	.set _ZN7rocprim17ROCPRIM_400000_NS6detail17trampoline_kernelINS0_14default_configENS1_27scan_by_key_config_selectorIj11FixedVectorIiLj2EEEEZZNS1_16scan_by_key_implILNS1_25lookback_scan_determinismE0ELb1ES3_N6thrust23THRUST_200600_302600_NS6detail15normal_iteratorINSB_10device_ptrIjEEEENSD_INSE_IS6_EEEESI_S6_NSB_4plusIvEENSB_8equal_toIvEES6_EE10hipError_tPvRmT2_T3_T4_T5_mT6_T7_P12ihipStream_tbENKUlT_T0_E_clISt17integral_constantIbLb0EES12_IbLb1EEEEDaSY_SZ_EUlSY_E_NS1_11comp_targetILNS1_3genE10ELNS1_11target_archE1201ELNS1_3gpuE5ELNS1_3repE0EEENS1_30default_config_static_selectorELNS0_4arch9wavefront6targetE0EEEvT1_.num_agpr, 0
	.set _ZN7rocprim17ROCPRIM_400000_NS6detail17trampoline_kernelINS0_14default_configENS1_27scan_by_key_config_selectorIj11FixedVectorIiLj2EEEEZZNS1_16scan_by_key_implILNS1_25lookback_scan_determinismE0ELb1ES3_N6thrust23THRUST_200600_302600_NS6detail15normal_iteratorINSB_10device_ptrIjEEEENSD_INSE_IS6_EEEESI_S6_NSB_4plusIvEENSB_8equal_toIvEES6_EE10hipError_tPvRmT2_T3_T4_T5_mT6_T7_P12ihipStream_tbENKUlT_T0_E_clISt17integral_constantIbLb0EES12_IbLb1EEEEDaSY_SZ_EUlSY_E_NS1_11comp_targetILNS1_3genE10ELNS1_11target_archE1201ELNS1_3gpuE5ELNS1_3repE0EEENS1_30default_config_static_selectorELNS0_4arch9wavefront6targetE0EEEvT1_.numbered_sgpr, 0
	.set _ZN7rocprim17ROCPRIM_400000_NS6detail17trampoline_kernelINS0_14default_configENS1_27scan_by_key_config_selectorIj11FixedVectorIiLj2EEEEZZNS1_16scan_by_key_implILNS1_25lookback_scan_determinismE0ELb1ES3_N6thrust23THRUST_200600_302600_NS6detail15normal_iteratorINSB_10device_ptrIjEEEENSD_INSE_IS6_EEEESI_S6_NSB_4plusIvEENSB_8equal_toIvEES6_EE10hipError_tPvRmT2_T3_T4_T5_mT6_T7_P12ihipStream_tbENKUlT_T0_E_clISt17integral_constantIbLb0EES12_IbLb1EEEEDaSY_SZ_EUlSY_E_NS1_11comp_targetILNS1_3genE10ELNS1_11target_archE1201ELNS1_3gpuE5ELNS1_3repE0EEENS1_30default_config_static_selectorELNS0_4arch9wavefront6targetE0EEEvT1_.num_named_barrier, 0
	.set _ZN7rocprim17ROCPRIM_400000_NS6detail17trampoline_kernelINS0_14default_configENS1_27scan_by_key_config_selectorIj11FixedVectorIiLj2EEEEZZNS1_16scan_by_key_implILNS1_25lookback_scan_determinismE0ELb1ES3_N6thrust23THRUST_200600_302600_NS6detail15normal_iteratorINSB_10device_ptrIjEEEENSD_INSE_IS6_EEEESI_S6_NSB_4plusIvEENSB_8equal_toIvEES6_EE10hipError_tPvRmT2_T3_T4_T5_mT6_T7_P12ihipStream_tbENKUlT_T0_E_clISt17integral_constantIbLb0EES12_IbLb1EEEEDaSY_SZ_EUlSY_E_NS1_11comp_targetILNS1_3genE10ELNS1_11target_archE1201ELNS1_3gpuE5ELNS1_3repE0EEENS1_30default_config_static_selectorELNS0_4arch9wavefront6targetE0EEEvT1_.private_seg_size, 0
	.set _ZN7rocprim17ROCPRIM_400000_NS6detail17trampoline_kernelINS0_14default_configENS1_27scan_by_key_config_selectorIj11FixedVectorIiLj2EEEEZZNS1_16scan_by_key_implILNS1_25lookback_scan_determinismE0ELb1ES3_N6thrust23THRUST_200600_302600_NS6detail15normal_iteratorINSB_10device_ptrIjEEEENSD_INSE_IS6_EEEESI_S6_NSB_4plusIvEENSB_8equal_toIvEES6_EE10hipError_tPvRmT2_T3_T4_T5_mT6_T7_P12ihipStream_tbENKUlT_T0_E_clISt17integral_constantIbLb0EES12_IbLb1EEEEDaSY_SZ_EUlSY_E_NS1_11comp_targetILNS1_3genE10ELNS1_11target_archE1201ELNS1_3gpuE5ELNS1_3repE0EEENS1_30default_config_static_selectorELNS0_4arch9wavefront6targetE0EEEvT1_.uses_vcc, 0
	.set _ZN7rocprim17ROCPRIM_400000_NS6detail17trampoline_kernelINS0_14default_configENS1_27scan_by_key_config_selectorIj11FixedVectorIiLj2EEEEZZNS1_16scan_by_key_implILNS1_25lookback_scan_determinismE0ELb1ES3_N6thrust23THRUST_200600_302600_NS6detail15normal_iteratorINSB_10device_ptrIjEEEENSD_INSE_IS6_EEEESI_S6_NSB_4plusIvEENSB_8equal_toIvEES6_EE10hipError_tPvRmT2_T3_T4_T5_mT6_T7_P12ihipStream_tbENKUlT_T0_E_clISt17integral_constantIbLb0EES12_IbLb1EEEEDaSY_SZ_EUlSY_E_NS1_11comp_targetILNS1_3genE10ELNS1_11target_archE1201ELNS1_3gpuE5ELNS1_3repE0EEENS1_30default_config_static_selectorELNS0_4arch9wavefront6targetE0EEEvT1_.uses_flat_scratch, 0
	.set _ZN7rocprim17ROCPRIM_400000_NS6detail17trampoline_kernelINS0_14default_configENS1_27scan_by_key_config_selectorIj11FixedVectorIiLj2EEEEZZNS1_16scan_by_key_implILNS1_25lookback_scan_determinismE0ELb1ES3_N6thrust23THRUST_200600_302600_NS6detail15normal_iteratorINSB_10device_ptrIjEEEENSD_INSE_IS6_EEEESI_S6_NSB_4plusIvEENSB_8equal_toIvEES6_EE10hipError_tPvRmT2_T3_T4_T5_mT6_T7_P12ihipStream_tbENKUlT_T0_E_clISt17integral_constantIbLb0EES12_IbLb1EEEEDaSY_SZ_EUlSY_E_NS1_11comp_targetILNS1_3genE10ELNS1_11target_archE1201ELNS1_3gpuE5ELNS1_3repE0EEENS1_30default_config_static_selectorELNS0_4arch9wavefront6targetE0EEEvT1_.has_dyn_sized_stack, 0
	.set _ZN7rocprim17ROCPRIM_400000_NS6detail17trampoline_kernelINS0_14default_configENS1_27scan_by_key_config_selectorIj11FixedVectorIiLj2EEEEZZNS1_16scan_by_key_implILNS1_25lookback_scan_determinismE0ELb1ES3_N6thrust23THRUST_200600_302600_NS6detail15normal_iteratorINSB_10device_ptrIjEEEENSD_INSE_IS6_EEEESI_S6_NSB_4plusIvEENSB_8equal_toIvEES6_EE10hipError_tPvRmT2_T3_T4_T5_mT6_T7_P12ihipStream_tbENKUlT_T0_E_clISt17integral_constantIbLb0EES12_IbLb1EEEEDaSY_SZ_EUlSY_E_NS1_11comp_targetILNS1_3genE10ELNS1_11target_archE1201ELNS1_3gpuE5ELNS1_3repE0EEENS1_30default_config_static_selectorELNS0_4arch9wavefront6targetE0EEEvT1_.has_recursion, 0
	.set _ZN7rocprim17ROCPRIM_400000_NS6detail17trampoline_kernelINS0_14default_configENS1_27scan_by_key_config_selectorIj11FixedVectorIiLj2EEEEZZNS1_16scan_by_key_implILNS1_25lookback_scan_determinismE0ELb1ES3_N6thrust23THRUST_200600_302600_NS6detail15normal_iteratorINSB_10device_ptrIjEEEENSD_INSE_IS6_EEEESI_S6_NSB_4plusIvEENSB_8equal_toIvEES6_EE10hipError_tPvRmT2_T3_T4_T5_mT6_T7_P12ihipStream_tbENKUlT_T0_E_clISt17integral_constantIbLb0EES12_IbLb1EEEEDaSY_SZ_EUlSY_E_NS1_11comp_targetILNS1_3genE10ELNS1_11target_archE1201ELNS1_3gpuE5ELNS1_3repE0EEENS1_30default_config_static_selectorELNS0_4arch9wavefront6targetE0EEEvT1_.has_indirect_call, 0
	.section	.AMDGPU.csdata,"",@progbits
; Kernel info:
; codeLenInByte = 0
; TotalNumSgprs: 0
; NumVgprs: 0
; ScratchSize: 0
; MemoryBound: 0
; FloatMode: 240
; IeeeMode: 1
; LDSByteSize: 0 bytes/workgroup (compile time only)
; SGPRBlocks: 0
; VGPRBlocks: 0
; NumSGPRsForWavesPerEU: 1
; NumVGPRsForWavesPerEU: 1
; Occupancy: 16
; WaveLimiterHint : 0
; COMPUTE_PGM_RSRC2:SCRATCH_EN: 0
; COMPUTE_PGM_RSRC2:USER_SGPR: 6
; COMPUTE_PGM_RSRC2:TRAP_HANDLER: 0
; COMPUTE_PGM_RSRC2:TGID_X_EN: 1
; COMPUTE_PGM_RSRC2:TGID_Y_EN: 0
; COMPUTE_PGM_RSRC2:TGID_Z_EN: 0
; COMPUTE_PGM_RSRC2:TIDIG_COMP_CNT: 0
	.section	.text._ZN7rocprim17ROCPRIM_400000_NS6detail17trampoline_kernelINS0_14default_configENS1_27scan_by_key_config_selectorIj11FixedVectorIiLj2EEEEZZNS1_16scan_by_key_implILNS1_25lookback_scan_determinismE0ELb1ES3_N6thrust23THRUST_200600_302600_NS6detail15normal_iteratorINSB_10device_ptrIjEEEENSD_INSE_IS6_EEEESI_S6_NSB_4plusIvEENSB_8equal_toIvEES6_EE10hipError_tPvRmT2_T3_T4_T5_mT6_T7_P12ihipStream_tbENKUlT_T0_E_clISt17integral_constantIbLb0EES12_IbLb1EEEEDaSY_SZ_EUlSY_E_NS1_11comp_targetILNS1_3genE5ELNS1_11target_archE942ELNS1_3gpuE9ELNS1_3repE0EEENS1_30default_config_static_selectorELNS0_4arch9wavefront6targetE0EEEvT1_,"axG",@progbits,_ZN7rocprim17ROCPRIM_400000_NS6detail17trampoline_kernelINS0_14default_configENS1_27scan_by_key_config_selectorIj11FixedVectorIiLj2EEEEZZNS1_16scan_by_key_implILNS1_25lookback_scan_determinismE0ELb1ES3_N6thrust23THRUST_200600_302600_NS6detail15normal_iteratorINSB_10device_ptrIjEEEENSD_INSE_IS6_EEEESI_S6_NSB_4plusIvEENSB_8equal_toIvEES6_EE10hipError_tPvRmT2_T3_T4_T5_mT6_T7_P12ihipStream_tbENKUlT_T0_E_clISt17integral_constantIbLb0EES12_IbLb1EEEEDaSY_SZ_EUlSY_E_NS1_11comp_targetILNS1_3genE5ELNS1_11target_archE942ELNS1_3gpuE9ELNS1_3repE0EEENS1_30default_config_static_selectorELNS0_4arch9wavefront6targetE0EEEvT1_,comdat
	.protected	_ZN7rocprim17ROCPRIM_400000_NS6detail17trampoline_kernelINS0_14default_configENS1_27scan_by_key_config_selectorIj11FixedVectorIiLj2EEEEZZNS1_16scan_by_key_implILNS1_25lookback_scan_determinismE0ELb1ES3_N6thrust23THRUST_200600_302600_NS6detail15normal_iteratorINSB_10device_ptrIjEEEENSD_INSE_IS6_EEEESI_S6_NSB_4plusIvEENSB_8equal_toIvEES6_EE10hipError_tPvRmT2_T3_T4_T5_mT6_T7_P12ihipStream_tbENKUlT_T0_E_clISt17integral_constantIbLb0EES12_IbLb1EEEEDaSY_SZ_EUlSY_E_NS1_11comp_targetILNS1_3genE5ELNS1_11target_archE942ELNS1_3gpuE9ELNS1_3repE0EEENS1_30default_config_static_selectorELNS0_4arch9wavefront6targetE0EEEvT1_ ; -- Begin function _ZN7rocprim17ROCPRIM_400000_NS6detail17trampoline_kernelINS0_14default_configENS1_27scan_by_key_config_selectorIj11FixedVectorIiLj2EEEEZZNS1_16scan_by_key_implILNS1_25lookback_scan_determinismE0ELb1ES3_N6thrust23THRUST_200600_302600_NS6detail15normal_iteratorINSB_10device_ptrIjEEEENSD_INSE_IS6_EEEESI_S6_NSB_4plusIvEENSB_8equal_toIvEES6_EE10hipError_tPvRmT2_T3_T4_T5_mT6_T7_P12ihipStream_tbENKUlT_T0_E_clISt17integral_constantIbLb0EES12_IbLb1EEEEDaSY_SZ_EUlSY_E_NS1_11comp_targetILNS1_3genE5ELNS1_11target_archE942ELNS1_3gpuE9ELNS1_3repE0EEENS1_30default_config_static_selectorELNS0_4arch9wavefront6targetE0EEEvT1_
	.globl	_ZN7rocprim17ROCPRIM_400000_NS6detail17trampoline_kernelINS0_14default_configENS1_27scan_by_key_config_selectorIj11FixedVectorIiLj2EEEEZZNS1_16scan_by_key_implILNS1_25lookback_scan_determinismE0ELb1ES3_N6thrust23THRUST_200600_302600_NS6detail15normal_iteratorINSB_10device_ptrIjEEEENSD_INSE_IS6_EEEESI_S6_NSB_4plusIvEENSB_8equal_toIvEES6_EE10hipError_tPvRmT2_T3_T4_T5_mT6_T7_P12ihipStream_tbENKUlT_T0_E_clISt17integral_constantIbLb0EES12_IbLb1EEEEDaSY_SZ_EUlSY_E_NS1_11comp_targetILNS1_3genE5ELNS1_11target_archE942ELNS1_3gpuE9ELNS1_3repE0EEENS1_30default_config_static_selectorELNS0_4arch9wavefront6targetE0EEEvT1_
	.p2align	8
	.type	_ZN7rocprim17ROCPRIM_400000_NS6detail17trampoline_kernelINS0_14default_configENS1_27scan_by_key_config_selectorIj11FixedVectorIiLj2EEEEZZNS1_16scan_by_key_implILNS1_25lookback_scan_determinismE0ELb1ES3_N6thrust23THRUST_200600_302600_NS6detail15normal_iteratorINSB_10device_ptrIjEEEENSD_INSE_IS6_EEEESI_S6_NSB_4plusIvEENSB_8equal_toIvEES6_EE10hipError_tPvRmT2_T3_T4_T5_mT6_T7_P12ihipStream_tbENKUlT_T0_E_clISt17integral_constantIbLb0EES12_IbLb1EEEEDaSY_SZ_EUlSY_E_NS1_11comp_targetILNS1_3genE5ELNS1_11target_archE942ELNS1_3gpuE9ELNS1_3repE0EEENS1_30default_config_static_selectorELNS0_4arch9wavefront6targetE0EEEvT1_,@function
_ZN7rocprim17ROCPRIM_400000_NS6detail17trampoline_kernelINS0_14default_configENS1_27scan_by_key_config_selectorIj11FixedVectorIiLj2EEEEZZNS1_16scan_by_key_implILNS1_25lookback_scan_determinismE0ELb1ES3_N6thrust23THRUST_200600_302600_NS6detail15normal_iteratorINSB_10device_ptrIjEEEENSD_INSE_IS6_EEEESI_S6_NSB_4plusIvEENSB_8equal_toIvEES6_EE10hipError_tPvRmT2_T3_T4_T5_mT6_T7_P12ihipStream_tbENKUlT_T0_E_clISt17integral_constantIbLb0EES12_IbLb1EEEEDaSY_SZ_EUlSY_E_NS1_11comp_targetILNS1_3genE5ELNS1_11target_archE942ELNS1_3gpuE9ELNS1_3repE0EEENS1_30default_config_static_selectorELNS0_4arch9wavefront6targetE0EEEvT1_: ; @_ZN7rocprim17ROCPRIM_400000_NS6detail17trampoline_kernelINS0_14default_configENS1_27scan_by_key_config_selectorIj11FixedVectorIiLj2EEEEZZNS1_16scan_by_key_implILNS1_25lookback_scan_determinismE0ELb1ES3_N6thrust23THRUST_200600_302600_NS6detail15normal_iteratorINSB_10device_ptrIjEEEENSD_INSE_IS6_EEEESI_S6_NSB_4plusIvEENSB_8equal_toIvEES6_EE10hipError_tPvRmT2_T3_T4_T5_mT6_T7_P12ihipStream_tbENKUlT_T0_E_clISt17integral_constantIbLb0EES12_IbLb1EEEEDaSY_SZ_EUlSY_E_NS1_11comp_targetILNS1_3genE5ELNS1_11target_archE942ELNS1_3gpuE9ELNS1_3repE0EEENS1_30default_config_static_selectorELNS0_4arch9wavefront6targetE0EEEvT1_
; %bb.0:
	.section	.rodata,"a",@progbits
	.p2align	6, 0x0
	.amdhsa_kernel _ZN7rocprim17ROCPRIM_400000_NS6detail17trampoline_kernelINS0_14default_configENS1_27scan_by_key_config_selectorIj11FixedVectorIiLj2EEEEZZNS1_16scan_by_key_implILNS1_25lookback_scan_determinismE0ELb1ES3_N6thrust23THRUST_200600_302600_NS6detail15normal_iteratorINSB_10device_ptrIjEEEENSD_INSE_IS6_EEEESI_S6_NSB_4plusIvEENSB_8equal_toIvEES6_EE10hipError_tPvRmT2_T3_T4_T5_mT6_T7_P12ihipStream_tbENKUlT_T0_E_clISt17integral_constantIbLb0EES12_IbLb1EEEEDaSY_SZ_EUlSY_E_NS1_11comp_targetILNS1_3genE5ELNS1_11target_archE942ELNS1_3gpuE9ELNS1_3repE0EEENS1_30default_config_static_selectorELNS0_4arch9wavefront6targetE0EEEvT1_
		.amdhsa_group_segment_fixed_size 0
		.amdhsa_private_segment_fixed_size 0
		.amdhsa_kernarg_size 120
		.amdhsa_user_sgpr_count 6
		.amdhsa_user_sgpr_private_segment_buffer 1
		.amdhsa_user_sgpr_dispatch_ptr 0
		.amdhsa_user_sgpr_queue_ptr 0
		.amdhsa_user_sgpr_kernarg_segment_ptr 1
		.amdhsa_user_sgpr_dispatch_id 0
		.amdhsa_user_sgpr_flat_scratch_init 0
		.amdhsa_user_sgpr_private_segment_size 0
		.amdhsa_wavefront_size32 1
		.amdhsa_uses_dynamic_stack 0
		.amdhsa_system_sgpr_private_segment_wavefront_offset 0
		.amdhsa_system_sgpr_workgroup_id_x 1
		.amdhsa_system_sgpr_workgroup_id_y 0
		.amdhsa_system_sgpr_workgroup_id_z 0
		.amdhsa_system_sgpr_workgroup_info 0
		.amdhsa_system_vgpr_workitem_id 0
		.amdhsa_next_free_vgpr 1
		.amdhsa_next_free_sgpr 1
		.amdhsa_reserve_vcc 0
		.amdhsa_reserve_flat_scratch 0
		.amdhsa_float_round_mode_32 0
		.amdhsa_float_round_mode_16_64 0
		.amdhsa_float_denorm_mode_32 3
		.amdhsa_float_denorm_mode_16_64 3
		.amdhsa_dx10_clamp 1
		.amdhsa_ieee_mode 1
		.amdhsa_fp16_overflow 0
		.amdhsa_workgroup_processor_mode 1
		.amdhsa_memory_ordered 1
		.amdhsa_forward_progress 1
		.amdhsa_shared_vgpr_count 0
		.amdhsa_exception_fp_ieee_invalid_op 0
		.amdhsa_exception_fp_denorm_src 0
		.amdhsa_exception_fp_ieee_div_zero 0
		.amdhsa_exception_fp_ieee_overflow 0
		.amdhsa_exception_fp_ieee_underflow 0
		.amdhsa_exception_fp_ieee_inexact 0
		.amdhsa_exception_int_div_zero 0
	.end_amdhsa_kernel
	.section	.text._ZN7rocprim17ROCPRIM_400000_NS6detail17trampoline_kernelINS0_14default_configENS1_27scan_by_key_config_selectorIj11FixedVectorIiLj2EEEEZZNS1_16scan_by_key_implILNS1_25lookback_scan_determinismE0ELb1ES3_N6thrust23THRUST_200600_302600_NS6detail15normal_iteratorINSB_10device_ptrIjEEEENSD_INSE_IS6_EEEESI_S6_NSB_4plusIvEENSB_8equal_toIvEES6_EE10hipError_tPvRmT2_T3_T4_T5_mT6_T7_P12ihipStream_tbENKUlT_T0_E_clISt17integral_constantIbLb0EES12_IbLb1EEEEDaSY_SZ_EUlSY_E_NS1_11comp_targetILNS1_3genE5ELNS1_11target_archE942ELNS1_3gpuE9ELNS1_3repE0EEENS1_30default_config_static_selectorELNS0_4arch9wavefront6targetE0EEEvT1_,"axG",@progbits,_ZN7rocprim17ROCPRIM_400000_NS6detail17trampoline_kernelINS0_14default_configENS1_27scan_by_key_config_selectorIj11FixedVectorIiLj2EEEEZZNS1_16scan_by_key_implILNS1_25lookback_scan_determinismE0ELb1ES3_N6thrust23THRUST_200600_302600_NS6detail15normal_iteratorINSB_10device_ptrIjEEEENSD_INSE_IS6_EEEESI_S6_NSB_4plusIvEENSB_8equal_toIvEES6_EE10hipError_tPvRmT2_T3_T4_T5_mT6_T7_P12ihipStream_tbENKUlT_T0_E_clISt17integral_constantIbLb0EES12_IbLb1EEEEDaSY_SZ_EUlSY_E_NS1_11comp_targetILNS1_3genE5ELNS1_11target_archE942ELNS1_3gpuE9ELNS1_3repE0EEENS1_30default_config_static_selectorELNS0_4arch9wavefront6targetE0EEEvT1_,comdat
.Lfunc_end2022:
	.size	_ZN7rocprim17ROCPRIM_400000_NS6detail17trampoline_kernelINS0_14default_configENS1_27scan_by_key_config_selectorIj11FixedVectorIiLj2EEEEZZNS1_16scan_by_key_implILNS1_25lookback_scan_determinismE0ELb1ES3_N6thrust23THRUST_200600_302600_NS6detail15normal_iteratorINSB_10device_ptrIjEEEENSD_INSE_IS6_EEEESI_S6_NSB_4plusIvEENSB_8equal_toIvEES6_EE10hipError_tPvRmT2_T3_T4_T5_mT6_T7_P12ihipStream_tbENKUlT_T0_E_clISt17integral_constantIbLb0EES12_IbLb1EEEEDaSY_SZ_EUlSY_E_NS1_11comp_targetILNS1_3genE5ELNS1_11target_archE942ELNS1_3gpuE9ELNS1_3repE0EEENS1_30default_config_static_selectorELNS0_4arch9wavefront6targetE0EEEvT1_, .Lfunc_end2022-_ZN7rocprim17ROCPRIM_400000_NS6detail17trampoline_kernelINS0_14default_configENS1_27scan_by_key_config_selectorIj11FixedVectorIiLj2EEEEZZNS1_16scan_by_key_implILNS1_25lookback_scan_determinismE0ELb1ES3_N6thrust23THRUST_200600_302600_NS6detail15normal_iteratorINSB_10device_ptrIjEEEENSD_INSE_IS6_EEEESI_S6_NSB_4plusIvEENSB_8equal_toIvEES6_EE10hipError_tPvRmT2_T3_T4_T5_mT6_T7_P12ihipStream_tbENKUlT_T0_E_clISt17integral_constantIbLb0EES12_IbLb1EEEEDaSY_SZ_EUlSY_E_NS1_11comp_targetILNS1_3genE5ELNS1_11target_archE942ELNS1_3gpuE9ELNS1_3repE0EEENS1_30default_config_static_selectorELNS0_4arch9wavefront6targetE0EEEvT1_
                                        ; -- End function
	.set _ZN7rocprim17ROCPRIM_400000_NS6detail17trampoline_kernelINS0_14default_configENS1_27scan_by_key_config_selectorIj11FixedVectorIiLj2EEEEZZNS1_16scan_by_key_implILNS1_25lookback_scan_determinismE0ELb1ES3_N6thrust23THRUST_200600_302600_NS6detail15normal_iteratorINSB_10device_ptrIjEEEENSD_INSE_IS6_EEEESI_S6_NSB_4plusIvEENSB_8equal_toIvEES6_EE10hipError_tPvRmT2_T3_T4_T5_mT6_T7_P12ihipStream_tbENKUlT_T0_E_clISt17integral_constantIbLb0EES12_IbLb1EEEEDaSY_SZ_EUlSY_E_NS1_11comp_targetILNS1_3genE5ELNS1_11target_archE942ELNS1_3gpuE9ELNS1_3repE0EEENS1_30default_config_static_selectorELNS0_4arch9wavefront6targetE0EEEvT1_.num_vgpr, 0
	.set _ZN7rocprim17ROCPRIM_400000_NS6detail17trampoline_kernelINS0_14default_configENS1_27scan_by_key_config_selectorIj11FixedVectorIiLj2EEEEZZNS1_16scan_by_key_implILNS1_25lookback_scan_determinismE0ELb1ES3_N6thrust23THRUST_200600_302600_NS6detail15normal_iteratorINSB_10device_ptrIjEEEENSD_INSE_IS6_EEEESI_S6_NSB_4plusIvEENSB_8equal_toIvEES6_EE10hipError_tPvRmT2_T3_T4_T5_mT6_T7_P12ihipStream_tbENKUlT_T0_E_clISt17integral_constantIbLb0EES12_IbLb1EEEEDaSY_SZ_EUlSY_E_NS1_11comp_targetILNS1_3genE5ELNS1_11target_archE942ELNS1_3gpuE9ELNS1_3repE0EEENS1_30default_config_static_selectorELNS0_4arch9wavefront6targetE0EEEvT1_.num_agpr, 0
	.set _ZN7rocprim17ROCPRIM_400000_NS6detail17trampoline_kernelINS0_14default_configENS1_27scan_by_key_config_selectorIj11FixedVectorIiLj2EEEEZZNS1_16scan_by_key_implILNS1_25lookback_scan_determinismE0ELb1ES3_N6thrust23THRUST_200600_302600_NS6detail15normal_iteratorINSB_10device_ptrIjEEEENSD_INSE_IS6_EEEESI_S6_NSB_4plusIvEENSB_8equal_toIvEES6_EE10hipError_tPvRmT2_T3_T4_T5_mT6_T7_P12ihipStream_tbENKUlT_T0_E_clISt17integral_constantIbLb0EES12_IbLb1EEEEDaSY_SZ_EUlSY_E_NS1_11comp_targetILNS1_3genE5ELNS1_11target_archE942ELNS1_3gpuE9ELNS1_3repE0EEENS1_30default_config_static_selectorELNS0_4arch9wavefront6targetE0EEEvT1_.numbered_sgpr, 0
	.set _ZN7rocprim17ROCPRIM_400000_NS6detail17trampoline_kernelINS0_14default_configENS1_27scan_by_key_config_selectorIj11FixedVectorIiLj2EEEEZZNS1_16scan_by_key_implILNS1_25lookback_scan_determinismE0ELb1ES3_N6thrust23THRUST_200600_302600_NS6detail15normal_iteratorINSB_10device_ptrIjEEEENSD_INSE_IS6_EEEESI_S6_NSB_4plusIvEENSB_8equal_toIvEES6_EE10hipError_tPvRmT2_T3_T4_T5_mT6_T7_P12ihipStream_tbENKUlT_T0_E_clISt17integral_constantIbLb0EES12_IbLb1EEEEDaSY_SZ_EUlSY_E_NS1_11comp_targetILNS1_3genE5ELNS1_11target_archE942ELNS1_3gpuE9ELNS1_3repE0EEENS1_30default_config_static_selectorELNS0_4arch9wavefront6targetE0EEEvT1_.num_named_barrier, 0
	.set _ZN7rocprim17ROCPRIM_400000_NS6detail17trampoline_kernelINS0_14default_configENS1_27scan_by_key_config_selectorIj11FixedVectorIiLj2EEEEZZNS1_16scan_by_key_implILNS1_25lookback_scan_determinismE0ELb1ES3_N6thrust23THRUST_200600_302600_NS6detail15normal_iteratorINSB_10device_ptrIjEEEENSD_INSE_IS6_EEEESI_S6_NSB_4plusIvEENSB_8equal_toIvEES6_EE10hipError_tPvRmT2_T3_T4_T5_mT6_T7_P12ihipStream_tbENKUlT_T0_E_clISt17integral_constantIbLb0EES12_IbLb1EEEEDaSY_SZ_EUlSY_E_NS1_11comp_targetILNS1_3genE5ELNS1_11target_archE942ELNS1_3gpuE9ELNS1_3repE0EEENS1_30default_config_static_selectorELNS0_4arch9wavefront6targetE0EEEvT1_.private_seg_size, 0
	.set _ZN7rocprim17ROCPRIM_400000_NS6detail17trampoline_kernelINS0_14default_configENS1_27scan_by_key_config_selectorIj11FixedVectorIiLj2EEEEZZNS1_16scan_by_key_implILNS1_25lookback_scan_determinismE0ELb1ES3_N6thrust23THRUST_200600_302600_NS6detail15normal_iteratorINSB_10device_ptrIjEEEENSD_INSE_IS6_EEEESI_S6_NSB_4plusIvEENSB_8equal_toIvEES6_EE10hipError_tPvRmT2_T3_T4_T5_mT6_T7_P12ihipStream_tbENKUlT_T0_E_clISt17integral_constantIbLb0EES12_IbLb1EEEEDaSY_SZ_EUlSY_E_NS1_11comp_targetILNS1_3genE5ELNS1_11target_archE942ELNS1_3gpuE9ELNS1_3repE0EEENS1_30default_config_static_selectorELNS0_4arch9wavefront6targetE0EEEvT1_.uses_vcc, 0
	.set _ZN7rocprim17ROCPRIM_400000_NS6detail17trampoline_kernelINS0_14default_configENS1_27scan_by_key_config_selectorIj11FixedVectorIiLj2EEEEZZNS1_16scan_by_key_implILNS1_25lookback_scan_determinismE0ELb1ES3_N6thrust23THRUST_200600_302600_NS6detail15normal_iteratorINSB_10device_ptrIjEEEENSD_INSE_IS6_EEEESI_S6_NSB_4plusIvEENSB_8equal_toIvEES6_EE10hipError_tPvRmT2_T3_T4_T5_mT6_T7_P12ihipStream_tbENKUlT_T0_E_clISt17integral_constantIbLb0EES12_IbLb1EEEEDaSY_SZ_EUlSY_E_NS1_11comp_targetILNS1_3genE5ELNS1_11target_archE942ELNS1_3gpuE9ELNS1_3repE0EEENS1_30default_config_static_selectorELNS0_4arch9wavefront6targetE0EEEvT1_.uses_flat_scratch, 0
	.set _ZN7rocprim17ROCPRIM_400000_NS6detail17trampoline_kernelINS0_14default_configENS1_27scan_by_key_config_selectorIj11FixedVectorIiLj2EEEEZZNS1_16scan_by_key_implILNS1_25lookback_scan_determinismE0ELb1ES3_N6thrust23THRUST_200600_302600_NS6detail15normal_iteratorINSB_10device_ptrIjEEEENSD_INSE_IS6_EEEESI_S6_NSB_4plusIvEENSB_8equal_toIvEES6_EE10hipError_tPvRmT2_T3_T4_T5_mT6_T7_P12ihipStream_tbENKUlT_T0_E_clISt17integral_constantIbLb0EES12_IbLb1EEEEDaSY_SZ_EUlSY_E_NS1_11comp_targetILNS1_3genE5ELNS1_11target_archE942ELNS1_3gpuE9ELNS1_3repE0EEENS1_30default_config_static_selectorELNS0_4arch9wavefront6targetE0EEEvT1_.has_dyn_sized_stack, 0
	.set _ZN7rocprim17ROCPRIM_400000_NS6detail17trampoline_kernelINS0_14default_configENS1_27scan_by_key_config_selectorIj11FixedVectorIiLj2EEEEZZNS1_16scan_by_key_implILNS1_25lookback_scan_determinismE0ELb1ES3_N6thrust23THRUST_200600_302600_NS6detail15normal_iteratorINSB_10device_ptrIjEEEENSD_INSE_IS6_EEEESI_S6_NSB_4plusIvEENSB_8equal_toIvEES6_EE10hipError_tPvRmT2_T3_T4_T5_mT6_T7_P12ihipStream_tbENKUlT_T0_E_clISt17integral_constantIbLb0EES12_IbLb1EEEEDaSY_SZ_EUlSY_E_NS1_11comp_targetILNS1_3genE5ELNS1_11target_archE942ELNS1_3gpuE9ELNS1_3repE0EEENS1_30default_config_static_selectorELNS0_4arch9wavefront6targetE0EEEvT1_.has_recursion, 0
	.set _ZN7rocprim17ROCPRIM_400000_NS6detail17trampoline_kernelINS0_14default_configENS1_27scan_by_key_config_selectorIj11FixedVectorIiLj2EEEEZZNS1_16scan_by_key_implILNS1_25lookback_scan_determinismE0ELb1ES3_N6thrust23THRUST_200600_302600_NS6detail15normal_iteratorINSB_10device_ptrIjEEEENSD_INSE_IS6_EEEESI_S6_NSB_4plusIvEENSB_8equal_toIvEES6_EE10hipError_tPvRmT2_T3_T4_T5_mT6_T7_P12ihipStream_tbENKUlT_T0_E_clISt17integral_constantIbLb0EES12_IbLb1EEEEDaSY_SZ_EUlSY_E_NS1_11comp_targetILNS1_3genE5ELNS1_11target_archE942ELNS1_3gpuE9ELNS1_3repE0EEENS1_30default_config_static_selectorELNS0_4arch9wavefront6targetE0EEEvT1_.has_indirect_call, 0
	.section	.AMDGPU.csdata,"",@progbits
; Kernel info:
; codeLenInByte = 0
; TotalNumSgprs: 0
; NumVgprs: 0
; ScratchSize: 0
; MemoryBound: 0
; FloatMode: 240
; IeeeMode: 1
; LDSByteSize: 0 bytes/workgroup (compile time only)
; SGPRBlocks: 0
; VGPRBlocks: 0
; NumSGPRsForWavesPerEU: 1
; NumVGPRsForWavesPerEU: 1
; Occupancy: 16
; WaveLimiterHint : 0
; COMPUTE_PGM_RSRC2:SCRATCH_EN: 0
; COMPUTE_PGM_RSRC2:USER_SGPR: 6
; COMPUTE_PGM_RSRC2:TRAP_HANDLER: 0
; COMPUTE_PGM_RSRC2:TGID_X_EN: 1
; COMPUTE_PGM_RSRC2:TGID_Y_EN: 0
; COMPUTE_PGM_RSRC2:TGID_Z_EN: 0
; COMPUTE_PGM_RSRC2:TIDIG_COMP_CNT: 0
	.section	.text._ZN7rocprim17ROCPRIM_400000_NS6detail17trampoline_kernelINS0_14default_configENS1_27scan_by_key_config_selectorIj11FixedVectorIiLj2EEEEZZNS1_16scan_by_key_implILNS1_25lookback_scan_determinismE0ELb1ES3_N6thrust23THRUST_200600_302600_NS6detail15normal_iteratorINSB_10device_ptrIjEEEENSD_INSE_IS6_EEEESI_S6_NSB_4plusIvEENSB_8equal_toIvEES6_EE10hipError_tPvRmT2_T3_T4_T5_mT6_T7_P12ihipStream_tbENKUlT_T0_E_clISt17integral_constantIbLb0EES12_IbLb1EEEEDaSY_SZ_EUlSY_E_NS1_11comp_targetILNS1_3genE4ELNS1_11target_archE910ELNS1_3gpuE8ELNS1_3repE0EEENS1_30default_config_static_selectorELNS0_4arch9wavefront6targetE0EEEvT1_,"axG",@progbits,_ZN7rocprim17ROCPRIM_400000_NS6detail17trampoline_kernelINS0_14default_configENS1_27scan_by_key_config_selectorIj11FixedVectorIiLj2EEEEZZNS1_16scan_by_key_implILNS1_25lookback_scan_determinismE0ELb1ES3_N6thrust23THRUST_200600_302600_NS6detail15normal_iteratorINSB_10device_ptrIjEEEENSD_INSE_IS6_EEEESI_S6_NSB_4plusIvEENSB_8equal_toIvEES6_EE10hipError_tPvRmT2_T3_T4_T5_mT6_T7_P12ihipStream_tbENKUlT_T0_E_clISt17integral_constantIbLb0EES12_IbLb1EEEEDaSY_SZ_EUlSY_E_NS1_11comp_targetILNS1_3genE4ELNS1_11target_archE910ELNS1_3gpuE8ELNS1_3repE0EEENS1_30default_config_static_selectorELNS0_4arch9wavefront6targetE0EEEvT1_,comdat
	.protected	_ZN7rocprim17ROCPRIM_400000_NS6detail17trampoline_kernelINS0_14default_configENS1_27scan_by_key_config_selectorIj11FixedVectorIiLj2EEEEZZNS1_16scan_by_key_implILNS1_25lookback_scan_determinismE0ELb1ES3_N6thrust23THRUST_200600_302600_NS6detail15normal_iteratorINSB_10device_ptrIjEEEENSD_INSE_IS6_EEEESI_S6_NSB_4plusIvEENSB_8equal_toIvEES6_EE10hipError_tPvRmT2_T3_T4_T5_mT6_T7_P12ihipStream_tbENKUlT_T0_E_clISt17integral_constantIbLb0EES12_IbLb1EEEEDaSY_SZ_EUlSY_E_NS1_11comp_targetILNS1_3genE4ELNS1_11target_archE910ELNS1_3gpuE8ELNS1_3repE0EEENS1_30default_config_static_selectorELNS0_4arch9wavefront6targetE0EEEvT1_ ; -- Begin function _ZN7rocprim17ROCPRIM_400000_NS6detail17trampoline_kernelINS0_14default_configENS1_27scan_by_key_config_selectorIj11FixedVectorIiLj2EEEEZZNS1_16scan_by_key_implILNS1_25lookback_scan_determinismE0ELb1ES3_N6thrust23THRUST_200600_302600_NS6detail15normal_iteratorINSB_10device_ptrIjEEEENSD_INSE_IS6_EEEESI_S6_NSB_4plusIvEENSB_8equal_toIvEES6_EE10hipError_tPvRmT2_T3_T4_T5_mT6_T7_P12ihipStream_tbENKUlT_T0_E_clISt17integral_constantIbLb0EES12_IbLb1EEEEDaSY_SZ_EUlSY_E_NS1_11comp_targetILNS1_3genE4ELNS1_11target_archE910ELNS1_3gpuE8ELNS1_3repE0EEENS1_30default_config_static_selectorELNS0_4arch9wavefront6targetE0EEEvT1_
	.globl	_ZN7rocprim17ROCPRIM_400000_NS6detail17trampoline_kernelINS0_14default_configENS1_27scan_by_key_config_selectorIj11FixedVectorIiLj2EEEEZZNS1_16scan_by_key_implILNS1_25lookback_scan_determinismE0ELb1ES3_N6thrust23THRUST_200600_302600_NS6detail15normal_iteratorINSB_10device_ptrIjEEEENSD_INSE_IS6_EEEESI_S6_NSB_4plusIvEENSB_8equal_toIvEES6_EE10hipError_tPvRmT2_T3_T4_T5_mT6_T7_P12ihipStream_tbENKUlT_T0_E_clISt17integral_constantIbLb0EES12_IbLb1EEEEDaSY_SZ_EUlSY_E_NS1_11comp_targetILNS1_3genE4ELNS1_11target_archE910ELNS1_3gpuE8ELNS1_3repE0EEENS1_30default_config_static_selectorELNS0_4arch9wavefront6targetE0EEEvT1_
	.p2align	8
	.type	_ZN7rocprim17ROCPRIM_400000_NS6detail17trampoline_kernelINS0_14default_configENS1_27scan_by_key_config_selectorIj11FixedVectorIiLj2EEEEZZNS1_16scan_by_key_implILNS1_25lookback_scan_determinismE0ELb1ES3_N6thrust23THRUST_200600_302600_NS6detail15normal_iteratorINSB_10device_ptrIjEEEENSD_INSE_IS6_EEEESI_S6_NSB_4plusIvEENSB_8equal_toIvEES6_EE10hipError_tPvRmT2_T3_T4_T5_mT6_T7_P12ihipStream_tbENKUlT_T0_E_clISt17integral_constantIbLb0EES12_IbLb1EEEEDaSY_SZ_EUlSY_E_NS1_11comp_targetILNS1_3genE4ELNS1_11target_archE910ELNS1_3gpuE8ELNS1_3repE0EEENS1_30default_config_static_selectorELNS0_4arch9wavefront6targetE0EEEvT1_,@function
_ZN7rocprim17ROCPRIM_400000_NS6detail17trampoline_kernelINS0_14default_configENS1_27scan_by_key_config_selectorIj11FixedVectorIiLj2EEEEZZNS1_16scan_by_key_implILNS1_25lookback_scan_determinismE0ELb1ES3_N6thrust23THRUST_200600_302600_NS6detail15normal_iteratorINSB_10device_ptrIjEEEENSD_INSE_IS6_EEEESI_S6_NSB_4plusIvEENSB_8equal_toIvEES6_EE10hipError_tPvRmT2_T3_T4_T5_mT6_T7_P12ihipStream_tbENKUlT_T0_E_clISt17integral_constantIbLb0EES12_IbLb1EEEEDaSY_SZ_EUlSY_E_NS1_11comp_targetILNS1_3genE4ELNS1_11target_archE910ELNS1_3gpuE8ELNS1_3repE0EEENS1_30default_config_static_selectorELNS0_4arch9wavefront6targetE0EEEvT1_: ; @_ZN7rocprim17ROCPRIM_400000_NS6detail17trampoline_kernelINS0_14default_configENS1_27scan_by_key_config_selectorIj11FixedVectorIiLj2EEEEZZNS1_16scan_by_key_implILNS1_25lookback_scan_determinismE0ELb1ES3_N6thrust23THRUST_200600_302600_NS6detail15normal_iteratorINSB_10device_ptrIjEEEENSD_INSE_IS6_EEEESI_S6_NSB_4plusIvEENSB_8equal_toIvEES6_EE10hipError_tPvRmT2_T3_T4_T5_mT6_T7_P12ihipStream_tbENKUlT_T0_E_clISt17integral_constantIbLb0EES12_IbLb1EEEEDaSY_SZ_EUlSY_E_NS1_11comp_targetILNS1_3genE4ELNS1_11target_archE910ELNS1_3gpuE8ELNS1_3repE0EEENS1_30default_config_static_selectorELNS0_4arch9wavefront6targetE0EEEvT1_
; %bb.0:
	.section	.rodata,"a",@progbits
	.p2align	6, 0x0
	.amdhsa_kernel _ZN7rocprim17ROCPRIM_400000_NS6detail17trampoline_kernelINS0_14default_configENS1_27scan_by_key_config_selectorIj11FixedVectorIiLj2EEEEZZNS1_16scan_by_key_implILNS1_25lookback_scan_determinismE0ELb1ES3_N6thrust23THRUST_200600_302600_NS6detail15normal_iteratorINSB_10device_ptrIjEEEENSD_INSE_IS6_EEEESI_S6_NSB_4plusIvEENSB_8equal_toIvEES6_EE10hipError_tPvRmT2_T3_T4_T5_mT6_T7_P12ihipStream_tbENKUlT_T0_E_clISt17integral_constantIbLb0EES12_IbLb1EEEEDaSY_SZ_EUlSY_E_NS1_11comp_targetILNS1_3genE4ELNS1_11target_archE910ELNS1_3gpuE8ELNS1_3repE0EEENS1_30default_config_static_selectorELNS0_4arch9wavefront6targetE0EEEvT1_
		.amdhsa_group_segment_fixed_size 0
		.amdhsa_private_segment_fixed_size 0
		.amdhsa_kernarg_size 120
		.amdhsa_user_sgpr_count 6
		.amdhsa_user_sgpr_private_segment_buffer 1
		.amdhsa_user_sgpr_dispatch_ptr 0
		.amdhsa_user_sgpr_queue_ptr 0
		.amdhsa_user_sgpr_kernarg_segment_ptr 1
		.amdhsa_user_sgpr_dispatch_id 0
		.amdhsa_user_sgpr_flat_scratch_init 0
		.amdhsa_user_sgpr_private_segment_size 0
		.amdhsa_wavefront_size32 1
		.amdhsa_uses_dynamic_stack 0
		.amdhsa_system_sgpr_private_segment_wavefront_offset 0
		.amdhsa_system_sgpr_workgroup_id_x 1
		.amdhsa_system_sgpr_workgroup_id_y 0
		.amdhsa_system_sgpr_workgroup_id_z 0
		.amdhsa_system_sgpr_workgroup_info 0
		.amdhsa_system_vgpr_workitem_id 0
		.amdhsa_next_free_vgpr 1
		.amdhsa_next_free_sgpr 1
		.amdhsa_reserve_vcc 0
		.amdhsa_reserve_flat_scratch 0
		.amdhsa_float_round_mode_32 0
		.amdhsa_float_round_mode_16_64 0
		.amdhsa_float_denorm_mode_32 3
		.amdhsa_float_denorm_mode_16_64 3
		.amdhsa_dx10_clamp 1
		.amdhsa_ieee_mode 1
		.amdhsa_fp16_overflow 0
		.amdhsa_workgroup_processor_mode 1
		.amdhsa_memory_ordered 1
		.amdhsa_forward_progress 1
		.amdhsa_shared_vgpr_count 0
		.amdhsa_exception_fp_ieee_invalid_op 0
		.amdhsa_exception_fp_denorm_src 0
		.amdhsa_exception_fp_ieee_div_zero 0
		.amdhsa_exception_fp_ieee_overflow 0
		.amdhsa_exception_fp_ieee_underflow 0
		.amdhsa_exception_fp_ieee_inexact 0
		.amdhsa_exception_int_div_zero 0
	.end_amdhsa_kernel
	.section	.text._ZN7rocprim17ROCPRIM_400000_NS6detail17trampoline_kernelINS0_14default_configENS1_27scan_by_key_config_selectorIj11FixedVectorIiLj2EEEEZZNS1_16scan_by_key_implILNS1_25lookback_scan_determinismE0ELb1ES3_N6thrust23THRUST_200600_302600_NS6detail15normal_iteratorINSB_10device_ptrIjEEEENSD_INSE_IS6_EEEESI_S6_NSB_4plusIvEENSB_8equal_toIvEES6_EE10hipError_tPvRmT2_T3_T4_T5_mT6_T7_P12ihipStream_tbENKUlT_T0_E_clISt17integral_constantIbLb0EES12_IbLb1EEEEDaSY_SZ_EUlSY_E_NS1_11comp_targetILNS1_3genE4ELNS1_11target_archE910ELNS1_3gpuE8ELNS1_3repE0EEENS1_30default_config_static_selectorELNS0_4arch9wavefront6targetE0EEEvT1_,"axG",@progbits,_ZN7rocprim17ROCPRIM_400000_NS6detail17trampoline_kernelINS0_14default_configENS1_27scan_by_key_config_selectorIj11FixedVectorIiLj2EEEEZZNS1_16scan_by_key_implILNS1_25lookback_scan_determinismE0ELb1ES3_N6thrust23THRUST_200600_302600_NS6detail15normal_iteratorINSB_10device_ptrIjEEEENSD_INSE_IS6_EEEESI_S6_NSB_4plusIvEENSB_8equal_toIvEES6_EE10hipError_tPvRmT2_T3_T4_T5_mT6_T7_P12ihipStream_tbENKUlT_T0_E_clISt17integral_constantIbLb0EES12_IbLb1EEEEDaSY_SZ_EUlSY_E_NS1_11comp_targetILNS1_3genE4ELNS1_11target_archE910ELNS1_3gpuE8ELNS1_3repE0EEENS1_30default_config_static_selectorELNS0_4arch9wavefront6targetE0EEEvT1_,comdat
.Lfunc_end2023:
	.size	_ZN7rocprim17ROCPRIM_400000_NS6detail17trampoline_kernelINS0_14default_configENS1_27scan_by_key_config_selectorIj11FixedVectorIiLj2EEEEZZNS1_16scan_by_key_implILNS1_25lookback_scan_determinismE0ELb1ES3_N6thrust23THRUST_200600_302600_NS6detail15normal_iteratorINSB_10device_ptrIjEEEENSD_INSE_IS6_EEEESI_S6_NSB_4plusIvEENSB_8equal_toIvEES6_EE10hipError_tPvRmT2_T3_T4_T5_mT6_T7_P12ihipStream_tbENKUlT_T0_E_clISt17integral_constantIbLb0EES12_IbLb1EEEEDaSY_SZ_EUlSY_E_NS1_11comp_targetILNS1_3genE4ELNS1_11target_archE910ELNS1_3gpuE8ELNS1_3repE0EEENS1_30default_config_static_selectorELNS0_4arch9wavefront6targetE0EEEvT1_, .Lfunc_end2023-_ZN7rocprim17ROCPRIM_400000_NS6detail17trampoline_kernelINS0_14default_configENS1_27scan_by_key_config_selectorIj11FixedVectorIiLj2EEEEZZNS1_16scan_by_key_implILNS1_25lookback_scan_determinismE0ELb1ES3_N6thrust23THRUST_200600_302600_NS6detail15normal_iteratorINSB_10device_ptrIjEEEENSD_INSE_IS6_EEEESI_S6_NSB_4plusIvEENSB_8equal_toIvEES6_EE10hipError_tPvRmT2_T3_T4_T5_mT6_T7_P12ihipStream_tbENKUlT_T0_E_clISt17integral_constantIbLb0EES12_IbLb1EEEEDaSY_SZ_EUlSY_E_NS1_11comp_targetILNS1_3genE4ELNS1_11target_archE910ELNS1_3gpuE8ELNS1_3repE0EEENS1_30default_config_static_selectorELNS0_4arch9wavefront6targetE0EEEvT1_
                                        ; -- End function
	.set _ZN7rocprim17ROCPRIM_400000_NS6detail17trampoline_kernelINS0_14default_configENS1_27scan_by_key_config_selectorIj11FixedVectorIiLj2EEEEZZNS1_16scan_by_key_implILNS1_25lookback_scan_determinismE0ELb1ES3_N6thrust23THRUST_200600_302600_NS6detail15normal_iteratorINSB_10device_ptrIjEEEENSD_INSE_IS6_EEEESI_S6_NSB_4plusIvEENSB_8equal_toIvEES6_EE10hipError_tPvRmT2_T3_T4_T5_mT6_T7_P12ihipStream_tbENKUlT_T0_E_clISt17integral_constantIbLb0EES12_IbLb1EEEEDaSY_SZ_EUlSY_E_NS1_11comp_targetILNS1_3genE4ELNS1_11target_archE910ELNS1_3gpuE8ELNS1_3repE0EEENS1_30default_config_static_selectorELNS0_4arch9wavefront6targetE0EEEvT1_.num_vgpr, 0
	.set _ZN7rocprim17ROCPRIM_400000_NS6detail17trampoline_kernelINS0_14default_configENS1_27scan_by_key_config_selectorIj11FixedVectorIiLj2EEEEZZNS1_16scan_by_key_implILNS1_25lookback_scan_determinismE0ELb1ES3_N6thrust23THRUST_200600_302600_NS6detail15normal_iteratorINSB_10device_ptrIjEEEENSD_INSE_IS6_EEEESI_S6_NSB_4plusIvEENSB_8equal_toIvEES6_EE10hipError_tPvRmT2_T3_T4_T5_mT6_T7_P12ihipStream_tbENKUlT_T0_E_clISt17integral_constantIbLb0EES12_IbLb1EEEEDaSY_SZ_EUlSY_E_NS1_11comp_targetILNS1_3genE4ELNS1_11target_archE910ELNS1_3gpuE8ELNS1_3repE0EEENS1_30default_config_static_selectorELNS0_4arch9wavefront6targetE0EEEvT1_.num_agpr, 0
	.set _ZN7rocprim17ROCPRIM_400000_NS6detail17trampoline_kernelINS0_14default_configENS1_27scan_by_key_config_selectorIj11FixedVectorIiLj2EEEEZZNS1_16scan_by_key_implILNS1_25lookback_scan_determinismE0ELb1ES3_N6thrust23THRUST_200600_302600_NS6detail15normal_iteratorINSB_10device_ptrIjEEEENSD_INSE_IS6_EEEESI_S6_NSB_4plusIvEENSB_8equal_toIvEES6_EE10hipError_tPvRmT2_T3_T4_T5_mT6_T7_P12ihipStream_tbENKUlT_T0_E_clISt17integral_constantIbLb0EES12_IbLb1EEEEDaSY_SZ_EUlSY_E_NS1_11comp_targetILNS1_3genE4ELNS1_11target_archE910ELNS1_3gpuE8ELNS1_3repE0EEENS1_30default_config_static_selectorELNS0_4arch9wavefront6targetE0EEEvT1_.numbered_sgpr, 0
	.set _ZN7rocprim17ROCPRIM_400000_NS6detail17trampoline_kernelINS0_14default_configENS1_27scan_by_key_config_selectorIj11FixedVectorIiLj2EEEEZZNS1_16scan_by_key_implILNS1_25lookback_scan_determinismE0ELb1ES3_N6thrust23THRUST_200600_302600_NS6detail15normal_iteratorINSB_10device_ptrIjEEEENSD_INSE_IS6_EEEESI_S6_NSB_4plusIvEENSB_8equal_toIvEES6_EE10hipError_tPvRmT2_T3_T4_T5_mT6_T7_P12ihipStream_tbENKUlT_T0_E_clISt17integral_constantIbLb0EES12_IbLb1EEEEDaSY_SZ_EUlSY_E_NS1_11comp_targetILNS1_3genE4ELNS1_11target_archE910ELNS1_3gpuE8ELNS1_3repE0EEENS1_30default_config_static_selectorELNS0_4arch9wavefront6targetE0EEEvT1_.num_named_barrier, 0
	.set _ZN7rocprim17ROCPRIM_400000_NS6detail17trampoline_kernelINS0_14default_configENS1_27scan_by_key_config_selectorIj11FixedVectorIiLj2EEEEZZNS1_16scan_by_key_implILNS1_25lookback_scan_determinismE0ELb1ES3_N6thrust23THRUST_200600_302600_NS6detail15normal_iteratorINSB_10device_ptrIjEEEENSD_INSE_IS6_EEEESI_S6_NSB_4plusIvEENSB_8equal_toIvEES6_EE10hipError_tPvRmT2_T3_T4_T5_mT6_T7_P12ihipStream_tbENKUlT_T0_E_clISt17integral_constantIbLb0EES12_IbLb1EEEEDaSY_SZ_EUlSY_E_NS1_11comp_targetILNS1_3genE4ELNS1_11target_archE910ELNS1_3gpuE8ELNS1_3repE0EEENS1_30default_config_static_selectorELNS0_4arch9wavefront6targetE0EEEvT1_.private_seg_size, 0
	.set _ZN7rocprim17ROCPRIM_400000_NS6detail17trampoline_kernelINS0_14default_configENS1_27scan_by_key_config_selectorIj11FixedVectorIiLj2EEEEZZNS1_16scan_by_key_implILNS1_25lookback_scan_determinismE0ELb1ES3_N6thrust23THRUST_200600_302600_NS6detail15normal_iteratorINSB_10device_ptrIjEEEENSD_INSE_IS6_EEEESI_S6_NSB_4plusIvEENSB_8equal_toIvEES6_EE10hipError_tPvRmT2_T3_T4_T5_mT6_T7_P12ihipStream_tbENKUlT_T0_E_clISt17integral_constantIbLb0EES12_IbLb1EEEEDaSY_SZ_EUlSY_E_NS1_11comp_targetILNS1_3genE4ELNS1_11target_archE910ELNS1_3gpuE8ELNS1_3repE0EEENS1_30default_config_static_selectorELNS0_4arch9wavefront6targetE0EEEvT1_.uses_vcc, 0
	.set _ZN7rocprim17ROCPRIM_400000_NS6detail17trampoline_kernelINS0_14default_configENS1_27scan_by_key_config_selectorIj11FixedVectorIiLj2EEEEZZNS1_16scan_by_key_implILNS1_25lookback_scan_determinismE0ELb1ES3_N6thrust23THRUST_200600_302600_NS6detail15normal_iteratorINSB_10device_ptrIjEEEENSD_INSE_IS6_EEEESI_S6_NSB_4plusIvEENSB_8equal_toIvEES6_EE10hipError_tPvRmT2_T3_T4_T5_mT6_T7_P12ihipStream_tbENKUlT_T0_E_clISt17integral_constantIbLb0EES12_IbLb1EEEEDaSY_SZ_EUlSY_E_NS1_11comp_targetILNS1_3genE4ELNS1_11target_archE910ELNS1_3gpuE8ELNS1_3repE0EEENS1_30default_config_static_selectorELNS0_4arch9wavefront6targetE0EEEvT1_.uses_flat_scratch, 0
	.set _ZN7rocprim17ROCPRIM_400000_NS6detail17trampoline_kernelINS0_14default_configENS1_27scan_by_key_config_selectorIj11FixedVectorIiLj2EEEEZZNS1_16scan_by_key_implILNS1_25lookback_scan_determinismE0ELb1ES3_N6thrust23THRUST_200600_302600_NS6detail15normal_iteratorINSB_10device_ptrIjEEEENSD_INSE_IS6_EEEESI_S6_NSB_4plusIvEENSB_8equal_toIvEES6_EE10hipError_tPvRmT2_T3_T4_T5_mT6_T7_P12ihipStream_tbENKUlT_T0_E_clISt17integral_constantIbLb0EES12_IbLb1EEEEDaSY_SZ_EUlSY_E_NS1_11comp_targetILNS1_3genE4ELNS1_11target_archE910ELNS1_3gpuE8ELNS1_3repE0EEENS1_30default_config_static_selectorELNS0_4arch9wavefront6targetE0EEEvT1_.has_dyn_sized_stack, 0
	.set _ZN7rocprim17ROCPRIM_400000_NS6detail17trampoline_kernelINS0_14default_configENS1_27scan_by_key_config_selectorIj11FixedVectorIiLj2EEEEZZNS1_16scan_by_key_implILNS1_25lookback_scan_determinismE0ELb1ES3_N6thrust23THRUST_200600_302600_NS6detail15normal_iteratorINSB_10device_ptrIjEEEENSD_INSE_IS6_EEEESI_S6_NSB_4plusIvEENSB_8equal_toIvEES6_EE10hipError_tPvRmT2_T3_T4_T5_mT6_T7_P12ihipStream_tbENKUlT_T0_E_clISt17integral_constantIbLb0EES12_IbLb1EEEEDaSY_SZ_EUlSY_E_NS1_11comp_targetILNS1_3genE4ELNS1_11target_archE910ELNS1_3gpuE8ELNS1_3repE0EEENS1_30default_config_static_selectorELNS0_4arch9wavefront6targetE0EEEvT1_.has_recursion, 0
	.set _ZN7rocprim17ROCPRIM_400000_NS6detail17trampoline_kernelINS0_14default_configENS1_27scan_by_key_config_selectorIj11FixedVectorIiLj2EEEEZZNS1_16scan_by_key_implILNS1_25lookback_scan_determinismE0ELb1ES3_N6thrust23THRUST_200600_302600_NS6detail15normal_iteratorINSB_10device_ptrIjEEEENSD_INSE_IS6_EEEESI_S6_NSB_4plusIvEENSB_8equal_toIvEES6_EE10hipError_tPvRmT2_T3_T4_T5_mT6_T7_P12ihipStream_tbENKUlT_T0_E_clISt17integral_constantIbLb0EES12_IbLb1EEEEDaSY_SZ_EUlSY_E_NS1_11comp_targetILNS1_3genE4ELNS1_11target_archE910ELNS1_3gpuE8ELNS1_3repE0EEENS1_30default_config_static_selectorELNS0_4arch9wavefront6targetE0EEEvT1_.has_indirect_call, 0
	.section	.AMDGPU.csdata,"",@progbits
; Kernel info:
; codeLenInByte = 0
; TotalNumSgprs: 0
; NumVgprs: 0
; ScratchSize: 0
; MemoryBound: 0
; FloatMode: 240
; IeeeMode: 1
; LDSByteSize: 0 bytes/workgroup (compile time only)
; SGPRBlocks: 0
; VGPRBlocks: 0
; NumSGPRsForWavesPerEU: 1
; NumVGPRsForWavesPerEU: 1
; Occupancy: 16
; WaveLimiterHint : 0
; COMPUTE_PGM_RSRC2:SCRATCH_EN: 0
; COMPUTE_PGM_RSRC2:USER_SGPR: 6
; COMPUTE_PGM_RSRC2:TRAP_HANDLER: 0
; COMPUTE_PGM_RSRC2:TGID_X_EN: 1
; COMPUTE_PGM_RSRC2:TGID_Y_EN: 0
; COMPUTE_PGM_RSRC2:TGID_Z_EN: 0
; COMPUTE_PGM_RSRC2:TIDIG_COMP_CNT: 0
	.section	.text._ZN7rocprim17ROCPRIM_400000_NS6detail17trampoline_kernelINS0_14default_configENS1_27scan_by_key_config_selectorIj11FixedVectorIiLj2EEEEZZNS1_16scan_by_key_implILNS1_25lookback_scan_determinismE0ELb1ES3_N6thrust23THRUST_200600_302600_NS6detail15normal_iteratorINSB_10device_ptrIjEEEENSD_INSE_IS6_EEEESI_S6_NSB_4plusIvEENSB_8equal_toIvEES6_EE10hipError_tPvRmT2_T3_T4_T5_mT6_T7_P12ihipStream_tbENKUlT_T0_E_clISt17integral_constantIbLb0EES12_IbLb1EEEEDaSY_SZ_EUlSY_E_NS1_11comp_targetILNS1_3genE3ELNS1_11target_archE908ELNS1_3gpuE7ELNS1_3repE0EEENS1_30default_config_static_selectorELNS0_4arch9wavefront6targetE0EEEvT1_,"axG",@progbits,_ZN7rocprim17ROCPRIM_400000_NS6detail17trampoline_kernelINS0_14default_configENS1_27scan_by_key_config_selectorIj11FixedVectorIiLj2EEEEZZNS1_16scan_by_key_implILNS1_25lookback_scan_determinismE0ELb1ES3_N6thrust23THRUST_200600_302600_NS6detail15normal_iteratorINSB_10device_ptrIjEEEENSD_INSE_IS6_EEEESI_S6_NSB_4plusIvEENSB_8equal_toIvEES6_EE10hipError_tPvRmT2_T3_T4_T5_mT6_T7_P12ihipStream_tbENKUlT_T0_E_clISt17integral_constantIbLb0EES12_IbLb1EEEEDaSY_SZ_EUlSY_E_NS1_11comp_targetILNS1_3genE3ELNS1_11target_archE908ELNS1_3gpuE7ELNS1_3repE0EEENS1_30default_config_static_selectorELNS0_4arch9wavefront6targetE0EEEvT1_,comdat
	.protected	_ZN7rocprim17ROCPRIM_400000_NS6detail17trampoline_kernelINS0_14default_configENS1_27scan_by_key_config_selectorIj11FixedVectorIiLj2EEEEZZNS1_16scan_by_key_implILNS1_25lookback_scan_determinismE0ELb1ES3_N6thrust23THRUST_200600_302600_NS6detail15normal_iteratorINSB_10device_ptrIjEEEENSD_INSE_IS6_EEEESI_S6_NSB_4plusIvEENSB_8equal_toIvEES6_EE10hipError_tPvRmT2_T3_T4_T5_mT6_T7_P12ihipStream_tbENKUlT_T0_E_clISt17integral_constantIbLb0EES12_IbLb1EEEEDaSY_SZ_EUlSY_E_NS1_11comp_targetILNS1_3genE3ELNS1_11target_archE908ELNS1_3gpuE7ELNS1_3repE0EEENS1_30default_config_static_selectorELNS0_4arch9wavefront6targetE0EEEvT1_ ; -- Begin function _ZN7rocprim17ROCPRIM_400000_NS6detail17trampoline_kernelINS0_14default_configENS1_27scan_by_key_config_selectorIj11FixedVectorIiLj2EEEEZZNS1_16scan_by_key_implILNS1_25lookback_scan_determinismE0ELb1ES3_N6thrust23THRUST_200600_302600_NS6detail15normal_iteratorINSB_10device_ptrIjEEEENSD_INSE_IS6_EEEESI_S6_NSB_4plusIvEENSB_8equal_toIvEES6_EE10hipError_tPvRmT2_T3_T4_T5_mT6_T7_P12ihipStream_tbENKUlT_T0_E_clISt17integral_constantIbLb0EES12_IbLb1EEEEDaSY_SZ_EUlSY_E_NS1_11comp_targetILNS1_3genE3ELNS1_11target_archE908ELNS1_3gpuE7ELNS1_3repE0EEENS1_30default_config_static_selectorELNS0_4arch9wavefront6targetE0EEEvT1_
	.globl	_ZN7rocprim17ROCPRIM_400000_NS6detail17trampoline_kernelINS0_14default_configENS1_27scan_by_key_config_selectorIj11FixedVectorIiLj2EEEEZZNS1_16scan_by_key_implILNS1_25lookback_scan_determinismE0ELb1ES3_N6thrust23THRUST_200600_302600_NS6detail15normal_iteratorINSB_10device_ptrIjEEEENSD_INSE_IS6_EEEESI_S6_NSB_4plusIvEENSB_8equal_toIvEES6_EE10hipError_tPvRmT2_T3_T4_T5_mT6_T7_P12ihipStream_tbENKUlT_T0_E_clISt17integral_constantIbLb0EES12_IbLb1EEEEDaSY_SZ_EUlSY_E_NS1_11comp_targetILNS1_3genE3ELNS1_11target_archE908ELNS1_3gpuE7ELNS1_3repE0EEENS1_30default_config_static_selectorELNS0_4arch9wavefront6targetE0EEEvT1_
	.p2align	8
	.type	_ZN7rocprim17ROCPRIM_400000_NS6detail17trampoline_kernelINS0_14default_configENS1_27scan_by_key_config_selectorIj11FixedVectorIiLj2EEEEZZNS1_16scan_by_key_implILNS1_25lookback_scan_determinismE0ELb1ES3_N6thrust23THRUST_200600_302600_NS6detail15normal_iteratorINSB_10device_ptrIjEEEENSD_INSE_IS6_EEEESI_S6_NSB_4plusIvEENSB_8equal_toIvEES6_EE10hipError_tPvRmT2_T3_T4_T5_mT6_T7_P12ihipStream_tbENKUlT_T0_E_clISt17integral_constantIbLb0EES12_IbLb1EEEEDaSY_SZ_EUlSY_E_NS1_11comp_targetILNS1_3genE3ELNS1_11target_archE908ELNS1_3gpuE7ELNS1_3repE0EEENS1_30default_config_static_selectorELNS0_4arch9wavefront6targetE0EEEvT1_,@function
_ZN7rocprim17ROCPRIM_400000_NS6detail17trampoline_kernelINS0_14default_configENS1_27scan_by_key_config_selectorIj11FixedVectorIiLj2EEEEZZNS1_16scan_by_key_implILNS1_25lookback_scan_determinismE0ELb1ES3_N6thrust23THRUST_200600_302600_NS6detail15normal_iteratorINSB_10device_ptrIjEEEENSD_INSE_IS6_EEEESI_S6_NSB_4plusIvEENSB_8equal_toIvEES6_EE10hipError_tPvRmT2_T3_T4_T5_mT6_T7_P12ihipStream_tbENKUlT_T0_E_clISt17integral_constantIbLb0EES12_IbLb1EEEEDaSY_SZ_EUlSY_E_NS1_11comp_targetILNS1_3genE3ELNS1_11target_archE908ELNS1_3gpuE7ELNS1_3repE0EEENS1_30default_config_static_selectorELNS0_4arch9wavefront6targetE0EEEvT1_: ; @_ZN7rocprim17ROCPRIM_400000_NS6detail17trampoline_kernelINS0_14default_configENS1_27scan_by_key_config_selectorIj11FixedVectorIiLj2EEEEZZNS1_16scan_by_key_implILNS1_25lookback_scan_determinismE0ELb1ES3_N6thrust23THRUST_200600_302600_NS6detail15normal_iteratorINSB_10device_ptrIjEEEENSD_INSE_IS6_EEEESI_S6_NSB_4plusIvEENSB_8equal_toIvEES6_EE10hipError_tPvRmT2_T3_T4_T5_mT6_T7_P12ihipStream_tbENKUlT_T0_E_clISt17integral_constantIbLb0EES12_IbLb1EEEEDaSY_SZ_EUlSY_E_NS1_11comp_targetILNS1_3genE3ELNS1_11target_archE908ELNS1_3gpuE7ELNS1_3repE0EEENS1_30default_config_static_selectorELNS0_4arch9wavefront6targetE0EEEvT1_
; %bb.0:
	.section	.rodata,"a",@progbits
	.p2align	6, 0x0
	.amdhsa_kernel _ZN7rocprim17ROCPRIM_400000_NS6detail17trampoline_kernelINS0_14default_configENS1_27scan_by_key_config_selectorIj11FixedVectorIiLj2EEEEZZNS1_16scan_by_key_implILNS1_25lookback_scan_determinismE0ELb1ES3_N6thrust23THRUST_200600_302600_NS6detail15normal_iteratorINSB_10device_ptrIjEEEENSD_INSE_IS6_EEEESI_S6_NSB_4plusIvEENSB_8equal_toIvEES6_EE10hipError_tPvRmT2_T3_T4_T5_mT6_T7_P12ihipStream_tbENKUlT_T0_E_clISt17integral_constantIbLb0EES12_IbLb1EEEEDaSY_SZ_EUlSY_E_NS1_11comp_targetILNS1_3genE3ELNS1_11target_archE908ELNS1_3gpuE7ELNS1_3repE0EEENS1_30default_config_static_selectorELNS0_4arch9wavefront6targetE0EEEvT1_
		.amdhsa_group_segment_fixed_size 0
		.amdhsa_private_segment_fixed_size 0
		.amdhsa_kernarg_size 120
		.amdhsa_user_sgpr_count 6
		.amdhsa_user_sgpr_private_segment_buffer 1
		.amdhsa_user_sgpr_dispatch_ptr 0
		.amdhsa_user_sgpr_queue_ptr 0
		.amdhsa_user_sgpr_kernarg_segment_ptr 1
		.amdhsa_user_sgpr_dispatch_id 0
		.amdhsa_user_sgpr_flat_scratch_init 0
		.amdhsa_user_sgpr_private_segment_size 0
		.amdhsa_wavefront_size32 1
		.amdhsa_uses_dynamic_stack 0
		.amdhsa_system_sgpr_private_segment_wavefront_offset 0
		.amdhsa_system_sgpr_workgroup_id_x 1
		.amdhsa_system_sgpr_workgroup_id_y 0
		.amdhsa_system_sgpr_workgroup_id_z 0
		.amdhsa_system_sgpr_workgroup_info 0
		.amdhsa_system_vgpr_workitem_id 0
		.amdhsa_next_free_vgpr 1
		.amdhsa_next_free_sgpr 1
		.amdhsa_reserve_vcc 0
		.amdhsa_reserve_flat_scratch 0
		.amdhsa_float_round_mode_32 0
		.amdhsa_float_round_mode_16_64 0
		.amdhsa_float_denorm_mode_32 3
		.amdhsa_float_denorm_mode_16_64 3
		.amdhsa_dx10_clamp 1
		.amdhsa_ieee_mode 1
		.amdhsa_fp16_overflow 0
		.amdhsa_workgroup_processor_mode 1
		.amdhsa_memory_ordered 1
		.amdhsa_forward_progress 1
		.amdhsa_shared_vgpr_count 0
		.amdhsa_exception_fp_ieee_invalid_op 0
		.amdhsa_exception_fp_denorm_src 0
		.amdhsa_exception_fp_ieee_div_zero 0
		.amdhsa_exception_fp_ieee_overflow 0
		.amdhsa_exception_fp_ieee_underflow 0
		.amdhsa_exception_fp_ieee_inexact 0
		.amdhsa_exception_int_div_zero 0
	.end_amdhsa_kernel
	.section	.text._ZN7rocprim17ROCPRIM_400000_NS6detail17trampoline_kernelINS0_14default_configENS1_27scan_by_key_config_selectorIj11FixedVectorIiLj2EEEEZZNS1_16scan_by_key_implILNS1_25lookback_scan_determinismE0ELb1ES3_N6thrust23THRUST_200600_302600_NS6detail15normal_iteratorINSB_10device_ptrIjEEEENSD_INSE_IS6_EEEESI_S6_NSB_4plusIvEENSB_8equal_toIvEES6_EE10hipError_tPvRmT2_T3_T4_T5_mT6_T7_P12ihipStream_tbENKUlT_T0_E_clISt17integral_constantIbLb0EES12_IbLb1EEEEDaSY_SZ_EUlSY_E_NS1_11comp_targetILNS1_3genE3ELNS1_11target_archE908ELNS1_3gpuE7ELNS1_3repE0EEENS1_30default_config_static_selectorELNS0_4arch9wavefront6targetE0EEEvT1_,"axG",@progbits,_ZN7rocprim17ROCPRIM_400000_NS6detail17trampoline_kernelINS0_14default_configENS1_27scan_by_key_config_selectorIj11FixedVectorIiLj2EEEEZZNS1_16scan_by_key_implILNS1_25lookback_scan_determinismE0ELb1ES3_N6thrust23THRUST_200600_302600_NS6detail15normal_iteratorINSB_10device_ptrIjEEEENSD_INSE_IS6_EEEESI_S6_NSB_4plusIvEENSB_8equal_toIvEES6_EE10hipError_tPvRmT2_T3_T4_T5_mT6_T7_P12ihipStream_tbENKUlT_T0_E_clISt17integral_constantIbLb0EES12_IbLb1EEEEDaSY_SZ_EUlSY_E_NS1_11comp_targetILNS1_3genE3ELNS1_11target_archE908ELNS1_3gpuE7ELNS1_3repE0EEENS1_30default_config_static_selectorELNS0_4arch9wavefront6targetE0EEEvT1_,comdat
.Lfunc_end2024:
	.size	_ZN7rocprim17ROCPRIM_400000_NS6detail17trampoline_kernelINS0_14default_configENS1_27scan_by_key_config_selectorIj11FixedVectorIiLj2EEEEZZNS1_16scan_by_key_implILNS1_25lookback_scan_determinismE0ELb1ES3_N6thrust23THRUST_200600_302600_NS6detail15normal_iteratorINSB_10device_ptrIjEEEENSD_INSE_IS6_EEEESI_S6_NSB_4plusIvEENSB_8equal_toIvEES6_EE10hipError_tPvRmT2_T3_T4_T5_mT6_T7_P12ihipStream_tbENKUlT_T0_E_clISt17integral_constantIbLb0EES12_IbLb1EEEEDaSY_SZ_EUlSY_E_NS1_11comp_targetILNS1_3genE3ELNS1_11target_archE908ELNS1_3gpuE7ELNS1_3repE0EEENS1_30default_config_static_selectorELNS0_4arch9wavefront6targetE0EEEvT1_, .Lfunc_end2024-_ZN7rocprim17ROCPRIM_400000_NS6detail17trampoline_kernelINS0_14default_configENS1_27scan_by_key_config_selectorIj11FixedVectorIiLj2EEEEZZNS1_16scan_by_key_implILNS1_25lookback_scan_determinismE0ELb1ES3_N6thrust23THRUST_200600_302600_NS6detail15normal_iteratorINSB_10device_ptrIjEEEENSD_INSE_IS6_EEEESI_S6_NSB_4plusIvEENSB_8equal_toIvEES6_EE10hipError_tPvRmT2_T3_T4_T5_mT6_T7_P12ihipStream_tbENKUlT_T0_E_clISt17integral_constantIbLb0EES12_IbLb1EEEEDaSY_SZ_EUlSY_E_NS1_11comp_targetILNS1_3genE3ELNS1_11target_archE908ELNS1_3gpuE7ELNS1_3repE0EEENS1_30default_config_static_selectorELNS0_4arch9wavefront6targetE0EEEvT1_
                                        ; -- End function
	.set _ZN7rocprim17ROCPRIM_400000_NS6detail17trampoline_kernelINS0_14default_configENS1_27scan_by_key_config_selectorIj11FixedVectorIiLj2EEEEZZNS1_16scan_by_key_implILNS1_25lookback_scan_determinismE0ELb1ES3_N6thrust23THRUST_200600_302600_NS6detail15normal_iteratorINSB_10device_ptrIjEEEENSD_INSE_IS6_EEEESI_S6_NSB_4plusIvEENSB_8equal_toIvEES6_EE10hipError_tPvRmT2_T3_T4_T5_mT6_T7_P12ihipStream_tbENKUlT_T0_E_clISt17integral_constantIbLb0EES12_IbLb1EEEEDaSY_SZ_EUlSY_E_NS1_11comp_targetILNS1_3genE3ELNS1_11target_archE908ELNS1_3gpuE7ELNS1_3repE0EEENS1_30default_config_static_selectorELNS0_4arch9wavefront6targetE0EEEvT1_.num_vgpr, 0
	.set _ZN7rocprim17ROCPRIM_400000_NS6detail17trampoline_kernelINS0_14default_configENS1_27scan_by_key_config_selectorIj11FixedVectorIiLj2EEEEZZNS1_16scan_by_key_implILNS1_25lookback_scan_determinismE0ELb1ES3_N6thrust23THRUST_200600_302600_NS6detail15normal_iteratorINSB_10device_ptrIjEEEENSD_INSE_IS6_EEEESI_S6_NSB_4plusIvEENSB_8equal_toIvEES6_EE10hipError_tPvRmT2_T3_T4_T5_mT6_T7_P12ihipStream_tbENKUlT_T0_E_clISt17integral_constantIbLb0EES12_IbLb1EEEEDaSY_SZ_EUlSY_E_NS1_11comp_targetILNS1_3genE3ELNS1_11target_archE908ELNS1_3gpuE7ELNS1_3repE0EEENS1_30default_config_static_selectorELNS0_4arch9wavefront6targetE0EEEvT1_.num_agpr, 0
	.set _ZN7rocprim17ROCPRIM_400000_NS6detail17trampoline_kernelINS0_14default_configENS1_27scan_by_key_config_selectorIj11FixedVectorIiLj2EEEEZZNS1_16scan_by_key_implILNS1_25lookback_scan_determinismE0ELb1ES3_N6thrust23THRUST_200600_302600_NS6detail15normal_iteratorINSB_10device_ptrIjEEEENSD_INSE_IS6_EEEESI_S6_NSB_4plusIvEENSB_8equal_toIvEES6_EE10hipError_tPvRmT2_T3_T4_T5_mT6_T7_P12ihipStream_tbENKUlT_T0_E_clISt17integral_constantIbLb0EES12_IbLb1EEEEDaSY_SZ_EUlSY_E_NS1_11comp_targetILNS1_3genE3ELNS1_11target_archE908ELNS1_3gpuE7ELNS1_3repE0EEENS1_30default_config_static_selectorELNS0_4arch9wavefront6targetE0EEEvT1_.numbered_sgpr, 0
	.set _ZN7rocprim17ROCPRIM_400000_NS6detail17trampoline_kernelINS0_14default_configENS1_27scan_by_key_config_selectorIj11FixedVectorIiLj2EEEEZZNS1_16scan_by_key_implILNS1_25lookback_scan_determinismE0ELb1ES3_N6thrust23THRUST_200600_302600_NS6detail15normal_iteratorINSB_10device_ptrIjEEEENSD_INSE_IS6_EEEESI_S6_NSB_4plusIvEENSB_8equal_toIvEES6_EE10hipError_tPvRmT2_T3_T4_T5_mT6_T7_P12ihipStream_tbENKUlT_T0_E_clISt17integral_constantIbLb0EES12_IbLb1EEEEDaSY_SZ_EUlSY_E_NS1_11comp_targetILNS1_3genE3ELNS1_11target_archE908ELNS1_3gpuE7ELNS1_3repE0EEENS1_30default_config_static_selectorELNS0_4arch9wavefront6targetE0EEEvT1_.num_named_barrier, 0
	.set _ZN7rocprim17ROCPRIM_400000_NS6detail17trampoline_kernelINS0_14default_configENS1_27scan_by_key_config_selectorIj11FixedVectorIiLj2EEEEZZNS1_16scan_by_key_implILNS1_25lookback_scan_determinismE0ELb1ES3_N6thrust23THRUST_200600_302600_NS6detail15normal_iteratorINSB_10device_ptrIjEEEENSD_INSE_IS6_EEEESI_S6_NSB_4plusIvEENSB_8equal_toIvEES6_EE10hipError_tPvRmT2_T3_T4_T5_mT6_T7_P12ihipStream_tbENKUlT_T0_E_clISt17integral_constantIbLb0EES12_IbLb1EEEEDaSY_SZ_EUlSY_E_NS1_11comp_targetILNS1_3genE3ELNS1_11target_archE908ELNS1_3gpuE7ELNS1_3repE0EEENS1_30default_config_static_selectorELNS0_4arch9wavefront6targetE0EEEvT1_.private_seg_size, 0
	.set _ZN7rocprim17ROCPRIM_400000_NS6detail17trampoline_kernelINS0_14default_configENS1_27scan_by_key_config_selectorIj11FixedVectorIiLj2EEEEZZNS1_16scan_by_key_implILNS1_25lookback_scan_determinismE0ELb1ES3_N6thrust23THRUST_200600_302600_NS6detail15normal_iteratorINSB_10device_ptrIjEEEENSD_INSE_IS6_EEEESI_S6_NSB_4plusIvEENSB_8equal_toIvEES6_EE10hipError_tPvRmT2_T3_T4_T5_mT6_T7_P12ihipStream_tbENKUlT_T0_E_clISt17integral_constantIbLb0EES12_IbLb1EEEEDaSY_SZ_EUlSY_E_NS1_11comp_targetILNS1_3genE3ELNS1_11target_archE908ELNS1_3gpuE7ELNS1_3repE0EEENS1_30default_config_static_selectorELNS0_4arch9wavefront6targetE0EEEvT1_.uses_vcc, 0
	.set _ZN7rocprim17ROCPRIM_400000_NS6detail17trampoline_kernelINS0_14default_configENS1_27scan_by_key_config_selectorIj11FixedVectorIiLj2EEEEZZNS1_16scan_by_key_implILNS1_25lookback_scan_determinismE0ELb1ES3_N6thrust23THRUST_200600_302600_NS6detail15normal_iteratorINSB_10device_ptrIjEEEENSD_INSE_IS6_EEEESI_S6_NSB_4plusIvEENSB_8equal_toIvEES6_EE10hipError_tPvRmT2_T3_T4_T5_mT6_T7_P12ihipStream_tbENKUlT_T0_E_clISt17integral_constantIbLb0EES12_IbLb1EEEEDaSY_SZ_EUlSY_E_NS1_11comp_targetILNS1_3genE3ELNS1_11target_archE908ELNS1_3gpuE7ELNS1_3repE0EEENS1_30default_config_static_selectorELNS0_4arch9wavefront6targetE0EEEvT1_.uses_flat_scratch, 0
	.set _ZN7rocprim17ROCPRIM_400000_NS6detail17trampoline_kernelINS0_14default_configENS1_27scan_by_key_config_selectorIj11FixedVectorIiLj2EEEEZZNS1_16scan_by_key_implILNS1_25lookback_scan_determinismE0ELb1ES3_N6thrust23THRUST_200600_302600_NS6detail15normal_iteratorINSB_10device_ptrIjEEEENSD_INSE_IS6_EEEESI_S6_NSB_4plusIvEENSB_8equal_toIvEES6_EE10hipError_tPvRmT2_T3_T4_T5_mT6_T7_P12ihipStream_tbENKUlT_T0_E_clISt17integral_constantIbLb0EES12_IbLb1EEEEDaSY_SZ_EUlSY_E_NS1_11comp_targetILNS1_3genE3ELNS1_11target_archE908ELNS1_3gpuE7ELNS1_3repE0EEENS1_30default_config_static_selectorELNS0_4arch9wavefront6targetE0EEEvT1_.has_dyn_sized_stack, 0
	.set _ZN7rocprim17ROCPRIM_400000_NS6detail17trampoline_kernelINS0_14default_configENS1_27scan_by_key_config_selectorIj11FixedVectorIiLj2EEEEZZNS1_16scan_by_key_implILNS1_25lookback_scan_determinismE0ELb1ES3_N6thrust23THRUST_200600_302600_NS6detail15normal_iteratorINSB_10device_ptrIjEEEENSD_INSE_IS6_EEEESI_S6_NSB_4plusIvEENSB_8equal_toIvEES6_EE10hipError_tPvRmT2_T3_T4_T5_mT6_T7_P12ihipStream_tbENKUlT_T0_E_clISt17integral_constantIbLb0EES12_IbLb1EEEEDaSY_SZ_EUlSY_E_NS1_11comp_targetILNS1_3genE3ELNS1_11target_archE908ELNS1_3gpuE7ELNS1_3repE0EEENS1_30default_config_static_selectorELNS0_4arch9wavefront6targetE0EEEvT1_.has_recursion, 0
	.set _ZN7rocprim17ROCPRIM_400000_NS6detail17trampoline_kernelINS0_14default_configENS1_27scan_by_key_config_selectorIj11FixedVectorIiLj2EEEEZZNS1_16scan_by_key_implILNS1_25lookback_scan_determinismE0ELb1ES3_N6thrust23THRUST_200600_302600_NS6detail15normal_iteratorINSB_10device_ptrIjEEEENSD_INSE_IS6_EEEESI_S6_NSB_4plusIvEENSB_8equal_toIvEES6_EE10hipError_tPvRmT2_T3_T4_T5_mT6_T7_P12ihipStream_tbENKUlT_T0_E_clISt17integral_constantIbLb0EES12_IbLb1EEEEDaSY_SZ_EUlSY_E_NS1_11comp_targetILNS1_3genE3ELNS1_11target_archE908ELNS1_3gpuE7ELNS1_3repE0EEENS1_30default_config_static_selectorELNS0_4arch9wavefront6targetE0EEEvT1_.has_indirect_call, 0
	.section	.AMDGPU.csdata,"",@progbits
; Kernel info:
; codeLenInByte = 0
; TotalNumSgprs: 0
; NumVgprs: 0
; ScratchSize: 0
; MemoryBound: 0
; FloatMode: 240
; IeeeMode: 1
; LDSByteSize: 0 bytes/workgroup (compile time only)
; SGPRBlocks: 0
; VGPRBlocks: 0
; NumSGPRsForWavesPerEU: 1
; NumVGPRsForWavesPerEU: 1
; Occupancy: 16
; WaveLimiterHint : 0
; COMPUTE_PGM_RSRC2:SCRATCH_EN: 0
; COMPUTE_PGM_RSRC2:USER_SGPR: 6
; COMPUTE_PGM_RSRC2:TRAP_HANDLER: 0
; COMPUTE_PGM_RSRC2:TGID_X_EN: 1
; COMPUTE_PGM_RSRC2:TGID_Y_EN: 0
; COMPUTE_PGM_RSRC2:TGID_Z_EN: 0
; COMPUTE_PGM_RSRC2:TIDIG_COMP_CNT: 0
	.section	.text._ZN7rocprim17ROCPRIM_400000_NS6detail17trampoline_kernelINS0_14default_configENS1_27scan_by_key_config_selectorIj11FixedVectorIiLj2EEEEZZNS1_16scan_by_key_implILNS1_25lookback_scan_determinismE0ELb1ES3_N6thrust23THRUST_200600_302600_NS6detail15normal_iteratorINSB_10device_ptrIjEEEENSD_INSE_IS6_EEEESI_S6_NSB_4plusIvEENSB_8equal_toIvEES6_EE10hipError_tPvRmT2_T3_T4_T5_mT6_T7_P12ihipStream_tbENKUlT_T0_E_clISt17integral_constantIbLb0EES12_IbLb1EEEEDaSY_SZ_EUlSY_E_NS1_11comp_targetILNS1_3genE2ELNS1_11target_archE906ELNS1_3gpuE6ELNS1_3repE0EEENS1_30default_config_static_selectorELNS0_4arch9wavefront6targetE0EEEvT1_,"axG",@progbits,_ZN7rocprim17ROCPRIM_400000_NS6detail17trampoline_kernelINS0_14default_configENS1_27scan_by_key_config_selectorIj11FixedVectorIiLj2EEEEZZNS1_16scan_by_key_implILNS1_25lookback_scan_determinismE0ELb1ES3_N6thrust23THRUST_200600_302600_NS6detail15normal_iteratorINSB_10device_ptrIjEEEENSD_INSE_IS6_EEEESI_S6_NSB_4plusIvEENSB_8equal_toIvEES6_EE10hipError_tPvRmT2_T3_T4_T5_mT6_T7_P12ihipStream_tbENKUlT_T0_E_clISt17integral_constantIbLb0EES12_IbLb1EEEEDaSY_SZ_EUlSY_E_NS1_11comp_targetILNS1_3genE2ELNS1_11target_archE906ELNS1_3gpuE6ELNS1_3repE0EEENS1_30default_config_static_selectorELNS0_4arch9wavefront6targetE0EEEvT1_,comdat
	.protected	_ZN7rocprim17ROCPRIM_400000_NS6detail17trampoline_kernelINS0_14default_configENS1_27scan_by_key_config_selectorIj11FixedVectorIiLj2EEEEZZNS1_16scan_by_key_implILNS1_25lookback_scan_determinismE0ELb1ES3_N6thrust23THRUST_200600_302600_NS6detail15normal_iteratorINSB_10device_ptrIjEEEENSD_INSE_IS6_EEEESI_S6_NSB_4plusIvEENSB_8equal_toIvEES6_EE10hipError_tPvRmT2_T3_T4_T5_mT6_T7_P12ihipStream_tbENKUlT_T0_E_clISt17integral_constantIbLb0EES12_IbLb1EEEEDaSY_SZ_EUlSY_E_NS1_11comp_targetILNS1_3genE2ELNS1_11target_archE906ELNS1_3gpuE6ELNS1_3repE0EEENS1_30default_config_static_selectorELNS0_4arch9wavefront6targetE0EEEvT1_ ; -- Begin function _ZN7rocprim17ROCPRIM_400000_NS6detail17trampoline_kernelINS0_14default_configENS1_27scan_by_key_config_selectorIj11FixedVectorIiLj2EEEEZZNS1_16scan_by_key_implILNS1_25lookback_scan_determinismE0ELb1ES3_N6thrust23THRUST_200600_302600_NS6detail15normal_iteratorINSB_10device_ptrIjEEEENSD_INSE_IS6_EEEESI_S6_NSB_4plusIvEENSB_8equal_toIvEES6_EE10hipError_tPvRmT2_T3_T4_T5_mT6_T7_P12ihipStream_tbENKUlT_T0_E_clISt17integral_constantIbLb0EES12_IbLb1EEEEDaSY_SZ_EUlSY_E_NS1_11comp_targetILNS1_3genE2ELNS1_11target_archE906ELNS1_3gpuE6ELNS1_3repE0EEENS1_30default_config_static_selectorELNS0_4arch9wavefront6targetE0EEEvT1_
	.globl	_ZN7rocprim17ROCPRIM_400000_NS6detail17trampoline_kernelINS0_14default_configENS1_27scan_by_key_config_selectorIj11FixedVectorIiLj2EEEEZZNS1_16scan_by_key_implILNS1_25lookback_scan_determinismE0ELb1ES3_N6thrust23THRUST_200600_302600_NS6detail15normal_iteratorINSB_10device_ptrIjEEEENSD_INSE_IS6_EEEESI_S6_NSB_4plusIvEENSB_8equal_toIvEES6_EE10hipError_tPvRmT2_T3_T4_T5_mT6_T7_P12ihipStream_tbENKUlT_T0_E_clISt17integral_constantIbLb0EES12_IbLb1EEEEDaSY_SZ_EUlSY_E_NS1_11comp_targetILNS1_3genE2ELNS1_11target_archE906ELNS1_3gpuE6ELNS1_3repE0EEENS1_30default_config_static_selectorELNS0_4arch9wavefront6targetE0EEEvT1_
	.p2align	8
	.type	_ZN7rocprim17ROCPRIM_400000_NS6detail17trampoline_kernelINS0_14default_configENS1_27scan_by_key_config_selectorIj11FixedVectorIiLj2EEEEZZNS1_16scan_by_key_implILNS1_25lookback_scan_determinismE0ELb1ES3_N6thrust23THRUST_200600_302600_NS6detail15normal_iteratorINSB_10device_ptrIjEEEENSD_INSE_IS6_EEEESI_S6_NSB_4plusIvEENSB_8equal_toIvEES6_EE10hipError_tPvRmT2_T3_T4_T5_mT6_T7_P12ihipStream_tbENKUlT_T0_E_clISt17integral_constantIbLb0EES12_IbLb1EEEEDaSY_SZ_EUlSY_E_NS1_11comp_targetILNS1_3genE2ELNS1_11target_archE906ELNS1_3gpuE6ELNS1_3repE0EEENS1_30default_config_static_selectorELNS0_4arch9wavefront6targetE0EEEvT1_,@function
_ZN7rocprim17ROCPRIM_400000_NS6detail17trampoline_kernelINS0_14default_configENS1_27scan_by_key_config_selectorIj11FixedVectorIiLj2EEEEZZNS1_16scan_by_key_implILNS1_25lookback_scan_determinismE0ELb1ES3_N6thrust23THRUST_200600_302600_NS6detail15normal_iteratorINSB_10device_ptrIjEEEENSD_INSE_IS6_EEEESI_S6_NSB_4plusIvEENSB_8equal_toIvEES6_EE10hipError_tPvRmT2_T3_T4_T5_mT6_T7_P12ihipStream_tbENKUlT_T0_E_clISt17integral_constantIbLb0EES12_IbLb1EEEEDaSY_SZ_EUlSY_E_NS1_11comp_targetILNS1_3genE2ELNS1_11target_archE906ELNS1_3gpuE6ELNS1_3repE0EEENS1_30default_config_static_selectorELNS0_4arch9wavefront6targetE0EEEvT1_: ; @_ZN7rocprim17ROCPRIM_400000_NS6detail17trampoline_kernelINS0_14default_configENS1_27scan_by_key_config_selectorIj11FixedVectorIiLj2EEEEZZNS1_16scan_by_key_implILNS1_25lookback_scan_determinismE0ELb1ES3_N6thrust23THRUST_200600_302600_NS6detail15normal_iteratorINSB_10device_ptrIjEEEENSD_INSE_IS6_EEEESI_S6_NSB_4plusIvEENSB_8equal_toIvEES6_EE10hipError_tPvRmT2_T3_T4_T5_mT6_T7_P12ihipStream_tbENKUlT_T0_E_clISt17integral_constantIbLb0EES12_IbLb1EEEEDaSY_SZ_EUlSY_E_NS1_11comp_targetILNS1_3genE2ELNS1_11target_archE906ELNS1_3gpuE6ELNS1_3repE0EEENS1_30default_config_static_selectorELNS0_4arch9wavefront6targetE0EEEvT1_
; %bb.0:
	.section	.rodata,"a",@progbits
	.p2align	6, 0x0
	.amdhsa_kernel _ZN7rocprim17ROCPRIM_400000_NS6detail17trampoline_kernelINS0_14default_configENS1_27scan_by_key_config_selectorIj11FixedVectorIiLj2EEEEZZNS1_16scan_by_key_implILNS1_25lookback_scan_determinismE0ELb1ES3_N6thrust23THRUST_200600_302600_NS6detail15normal_iteratorINSB_10device_ptrIjEEEENSD_INSE_IS6_EEEESI_S6_NSB_4plusIvEENSB_8equal_toIvEES6_EE10hipError_tPvRmT2_T3_T4_T5_mT6_T7_P12ihipStream_tbENKUlT_T0_E_clISt17integral_constantIbLb0EES12_IbLb1EEEEDaSY_SZ_EUlSY_E_NS1_11comp_targetILNS1_3genE2ELNS1_11target_archE906ELNS1_3gpuE6ELNS1_3repE0EEENS1_30default_config_static_selectorELNS0_4arch9wavefront6targetE0EEEvT1_
		.amdhsa_group_segment_fixed_size 0
		.amdhsa_private_segment_fixed_size 0
		.amdhsa_kernarg_size 120
		.amdhsa_user_sgpr_count 6
		.amdhsa_user_sgpr_private_segment_buffer 1
		.amdhsa_user_sgpr_dispatch_ptr 0
		.amdhsa_user_sgpr_queue_ptr 0
		.amdhsa_user_sgpr_kernarg_segment_ptr 1
		.amdhsa_user_sgpr_dispatch_id 0
		.amdhsa_user_sgpr_flat_scratch_init 0
		.amdhsa_user_sgpr_private_segment_size 0
		.amdhsa_wavefront_size32 1
		.amdhsa_uses_dynamic_stack 0
		.amdhsa_system_sgpr_private_segment_wavefront_offset 0
		.amdhsa_system_sgpr_workgroup_id_x 1
		.amdhsa_system_sgpr_workgroup_id_y 0
		.amdhsa_system_sgpr_workgroup_id_z 0
		.amdhsa_system_sgpr_workgroup_info 0
		.amdhsa_system_vgpr_workitem_id 0
		.amdhsa_next_free_vgpr 1
		.amdhsa_next_free_sgpr 1
		.amdhsa_reserve_vcc 0
		.amdhsa_reserve_flat_scratch 0
		.amdhsa_float_round_mode_32 0
		.amdhsa_float_round_mode_16_64 0
		.amdhsa_float_denorm_mode_32 3
		.amdhsa_float_denorm_mode_16_64 3
		.amdhsa_dx10_clamp 1
		.amdhsa_ieee_mode 1
		.amdhsa_fp16_overflow 0
		.amdhsa_workgroup_processor_mode 1
		.amdhsa_memory_ordered 1
		.amdhsa_forward_progress 1
		.amdhsa_shared_vgpr_count 0
		.amdhsa_exception_fp_ieee_invalid_op 0
		.amdhsa_exception_fp_denorm_src 0
		.amdhsa_exception_fp_ieee_div_zero 0
		.amdhsa_exception_fp_ieee_overflow 0
		.amdhsa_exception_fp_ieee_underflow 0
		.amdhsa_exception_fp_ieee_inexact 0
		.amdhsa_exception_int_div_zero 0
	.end_amdhsa_kernel
	.section	.text._ZN7rocprim17ROCPRIM_400000_NS6detail17trampoline_kernelINS0_14default_configENS1_27scan_by_key_config_selectorIj11FixedVectorIiLj2EEEEZZNS1_16scan_by_key_implILNS1_25lookback_scan_determinismE0ELb1ES3_N6thrust23THRUST_200600_302600_NS6detail15normal_iteratorINSB_10device_ptrIjEEEENSD_INSE_IS6_EEEESI_S6_NSB_4plusIvEENSB_8equal_toIvEES6_EE10hipError_tPvRmT2_T3_T4_T5_mT6_T7_P12ihipStream_tbENKUlT_T0_E_clISt17integral_constantIbLb0EES12_IbLb1EEEEDaSY_SZ_EUlSY_E_NS1_11comp_targetILNS1_3genE2ELNS1_11target_archE906ELNS1_3gpuE6ELNS1_3repE0EEENS1_30default_config_static_selectorELNS0_4arch9wavefront6targetE0EEEvT1_,"axG",@progbits,_ZN7rocprim17ROCPRIM_400000_NS6detail17trampoline_kernelINS0_14default_configENS1_27scan_by_key_config_selectorIj11FixedVectorIiLj2EEEEZZNS1_16scan_by_key_implILNS1_25lookback_scan_determinismE0ELb1ES3_N6thrust23THRUST_200600_302600_NS6detail15normal_iteratorINSB_10device_ptrIjEEEENSD_INSE_IS6_EEEESI_S6_NSB_4plusIvEENSB_8equal_toIvEES6_EE10hipError_tPvRmT2_T3_T4_T5_mT6_T7_P12ihipStream_tbENKUlT_T0_E_clISt17integral_constantIbLb0EES12_IbLb1EEEEDaSY_SZ_EUlSY_E_NS1_11comp_targetILNS1_3genE2ELNS1_11target_archE906ELNS1_3gpuE6ELNS1_3repE0EEENS1_30default_config_static_selectorELNS0_4arch9wavefront6targetE0EEEvT1_,comdat
.Lfunc_end2025:
	.size	_ZN7rocprim17ROCPRIM_400000_NS6detail17trampoline_kernelINS0_14default_configENS1_27scan_by_key_config_selectorIj11FixedVectorIiLj2EEEEZZNS1_16scan_by_key_implILNS1_25lookback_scan_determinismE0ELb1ES3_N6thrust23THRUST_200600_302600_NS6detail15normal_iteratorINSB_10device_ptrIjEEEENSD_INSE_IS6_EEEESI_S6_NSB_4plusIvEENSB_8equal_toIvEES6_EE10hipError_tPvRmT2_T3_T4_T5_mT6_T7_P12ihipStream_tbENKUlT_T0_E_clISt17integral_constantIbLb0EES12_IbLb1EEEEDaSY_SZ_EUlSY_E_NS1_11comp_targetILNS1_3genE2ELNS1_11target_archE906ELNS1_3gpuE6ELNS1_3repE0EEENS1_30default_config_static_selectorELNS0_4arch9wavefront6targetE0EEEvT1_, .Lfunc_end2025-_ZN7rocprim17ROCPRIM_400000_NS6detail17trampoline_kernelINS0_14default_configENS1_27scan_by_key_config_selectorIj11FixedVectorIiLj2EEEEZZNS1_16scan_by_key_implILNS1_25lookback_scan_determinismE0ELb1ES3_N6thrust23THRUST_200600_302600_NS6detail15normal_iteratorINSB_10device_ptrIjEEEENSD_INSE_IS6_EEEESI_S6_NSB_4plusIvEENSB_8equal_toIvEES6_EE10hipError_tPvRmT2_T3_T4_T5_mT6_T7_P12ihipStream_tbENKUlT_T0_E_clISt17integral_constantIbLb0EES12_IbLb1EEEEDaSY_SZ_EUlSY_E_NS1_11comp_targetILNS1_3genE2ELNS1_11target_archE906ELNS1_3gpuE6ELNS1_3repE0EEENS1_30default_config_static_selectorELNS0_4arch9wavefront6targetE0EEEvT1_
                                        ; -- End function
	.set _ZN7rocprim17ROCPRIM_400000_NS6detail17trampoline_kernelINS0_14default_configENS1_27scan_by_key_config_selectorIj11FixedVectorIiLj2EEEEZZNS1_16scan_by_key_implILNS1_25lookback_scan_determinismE0ELb1ES3_N6thrust23THRUST_200600_302600_NS6detail15normal_iteratorINSB_10device_ptrIjEEEENSD_INSE_IS6_EEEESI_S6_NSB_4plusIvEENSB_8equal_toIvEES6_EE10hipError_tPvRmT2_T3_T4_T5_mT6_T7_P12ihipStream_tbENKUlT_T0_E_clISt17integral_constantIbLb0EES12_IbLb1EEEEDaSY_SZ_EUlSY_E_NS1_11comp_targetILNS1_3genE2ELNS1_11target_archE906ELNS1_3gpuE6ELNS1_3repE0EEENS1_30default_config_static_selectorELNS0_4arch9wavefront6targetE0EEEvT1_.num_vgpr, 0
	.set _ZN7rocprim17ROCPRIM_400000_NS6detail17trampoline_kernelINS0_14default_configENS1_27scan_by_key_config_selectorIj11FixedVectorIiLj2EEEEZZNS1_16scan_by_key_implILNS1_25lookback_scan_determinismE0ELb1ES3_N6thrust23THRUST_200600_302600_NS6detail15normal_iteratorINSB_10device_ptrIjEEEENSD_INSE_IS6_EEEESI_S6_NSB_4plusIvEENSB_8equal_toIvEES6_EE10hipError_tPvRmT2_T3_T4_T5_mT6_T7_P12ihipStream_tbENKUlT_T0_E_clISt17integral_constantIbLb0EES12_IbLb1EEEEDaSY_SZ_EUlSY_E_NS1_11comp_targetILNS1_3genE2ELNS1_11target_archE906ELNS1_3gpuE6ELNS1_3repE0EEENS1_30default_config_static_selectorELNS0_4arch9wavefront6targetE0EEEvT1_.num_agpr, 0
	.set _ZN7rocprim17ROCPRIM_400000_NS6detail17trampoline_kernelINS0_14default_configENS1_27scan_by_key_config_selectorIj11FixedVectorIiLj2EEEEZZNS1_16scan_by_key_implILNS1_25lookback_scan_determinismE0ELb1ES3_N6thrust23THRUST_200600_302600_NS6detail15normal_iteratorINSB_10device_ptrIjEEEENSD_INSE_IS6_EEEESI_S6_NSB_4plusIvEENSB_8equal_toIvEES6_EE10hipError_tPvRmT2_T3_T4_T5_mT6_T7_P12ihipStream_tbENKUlT_T0_E_clISt17integral_constantIbLb0EES12_IbLb1EEEEDaSY_SZ_EUlSY_E_NS1_11comp_targetILNS1_3genE2ELNS1_11target_archE906ELNS1_3gpuE6ELNS1_3repE0EEENS1_30default_config_static_selectorELNS0_4arch9wavefront6targetE0EEEvT1_.numbered_sgpr, 0
	.set _ZN7rocprim17ROCPRIM_400000_NS6detail17trampoline_kernelINS0_14default_configENS1_27scan_by_key_config_selectorIj11FixedVectorIiLj2EEEEZZNS1_16scan_by_key_implILNS1_25lookback_scan_determinismE0ELb1ES3_N6thrust23THRUST_200600_302600_NS6detail15normal_iteratorINSB_10device_ptrIjEEEENSD_INSE_IS6_EEEESI_S6_NSB_4plusIvEENSB_8equal_toIvEES6_EE10hipError_tPvRmT2_T3_T4_T5_mT6_T7_P12ihipStream_tbENKUlT_T0_E_clISt17integral_constantIbLb0EES12_IbLb1EEEEDaSY_SZ_EUlSY_E_NS1_11comp_targetILNS1_3genE2ELNS1_11target_archE906ELNS1_3gpuE6ELNS1_3repE0EEENS1_30default_config_static_selectorELNS0_4arch9wavefront6targetE0EEEvT1_.num_named_barrier, 0
	.set _ZN7rocprim17ROCPRIM_400000_NS6detail17trampoline_kernelINS0_14default_configENS1_27scan_by_key_config_selectorIj11FixedVectorIiLj2EEEEZZNS1_16scan_by_key_implILNS1_25lookback_scan_determinismE0ELb1ES3_N6thrust23THRUST_200600_302600_NS6detail15normal_iteratorINSB_10device_ptrIjEEEENSD_INSE_IS6_EEEESI_S6_NSB_4plusIvEENSB_8equal_toIvEES6_EE10hipError_tPvRmT2_T3_T4_T5_mT6_T7_P12ihipStream_tbENKUlT_T0_E_clISt17integral_constantIbLb0EES12_IbLb1EEEEDaSY_SZ_EUlSY_E_NS1_11comp_targetILNS1_3genE2ELNS1_11target_archE906ELNS1_3gpuE6ELNS1_3repE0EEENS1_30default_config_static_selectorELNS0_4arch9wavefront6targetE0EEEvT1_.private_seg_size, 0
	.set _ZN7rocprim17ROCPRIM_400000_NS6detail17trampoline_kernelINS0_14default_configENS1_27scan_by_key_config_selectorIj11FixedVectorIiLj2EEEEZZNS1_16scan_by_key_implILNS1_25lookback_scan_determinismE0ELb1ES3_N6thrust23THRUST_200600_302600_NS6detail15normal_iteratorINSB_10device_ptrIjEEEENSD_INSE_IS6_EEEESI_S6_NSB_4plusIvEENSB_8equal_toIvEES6_EE10hipError_tPvRmT2_T3_T4_T5_mT6_T7_P12ihipStream_tbENKUlT_T0_E_clISt17integral_constantIbLb0EES12_IbLb1EEEEDaSY_SZ_EUlSY_E_NS1_11comp_targetILNS1_3genE2ELNS1_11target_archE906ELNS1_3gpuE6ELNS1_3repE0EEENS1_30default_config_static_selectorELNS0_4arch9wavefront6targetE0EEEvT1_.uses_vcc, 0
	.set _ZN7rocprim17ROCPRIM_400000_NS6detail17trampoline_kernelINS0_14default_configENS1_27scan_by_key_config_selectorIj11FixedVectorIiLj2EEEEZZNS1_16scan_by_key_implILNS1_25lookback_scan_determinismE0ELb1ES3_N6thrust23THRUST_200600_302600_NS6detail15normal_iteratorINSB_10device_ptrIjEEEENSD_INSE_IS6_EEEESI_S6_NSB_4plusIvEENSB_8equal_toIvEES6_EE10hipError_tPvRmT2_T3_T4_T5_mT6_T7_P12ihipStream_tbENKUlT_T0_E_clISt17integral_constantIbLb0EES12_IbLb1EEEEDaSY_SZ_EUlSY_E_NS1_11comp_targetILNS1_3genE2ELNS1_11target_archE906ELNS1_3gpuE6ELNS1_3repE0EEENS1_30default_config_static_selectorELNS0_4arch9wavefront6targetE0EEEvT1_.uses_flat_scratch, 0
	.set _ZN7rocprim17ROCPRIM_400000_NS6detail17trampoline_kernelINS0_14default_configENS1_27scan_by_key_config_selectorIj11FixedVectorIiLj2EEEEZZNS1_16scan_by_key_implILNS1_25lookback_scan_determinismE0ELb1ES3_N6thrust23THRUST_200600_302600_NS6detail15normal_iteratorINSB_10device_ptrIjEEEENSD_INSE_IS6_EEEESI_S6_NSB_4plusIvEENSB_8equal_toIvEES6_EE10hipError_tPvRmT2_T3_T4_T5_mT6_T7_P12ihipStream_tbENKUlT_T0_E_clISt17integral_constantIbLb0EES12_IbLb1EEEEDaSY_SZ_EUlSY_E_NS1_11comp_targetILNS1_3genE2ELNS1_11target_archE906ELNS1_3gpuE6ELNS1_3repE0EEENS1_30default_config_static_selectorELNS0_4arch9wavefront6targetE0EEEvT1_.has_dyn_sized_stack, 0
	.set _ZN7rocprim17ROCPRIM_400000_NS6detail17trampoline_kernelINS0_14default_configENS1_27scan_by_key_config_selectorIj11FixedVectorIiLj2EEEEZZNS1_16scan_by_key_implILNS1_25lookback_scan_determinismE0ELb1ES3_N6thrust23THRUST_200600_302600_NS6detail15normal_iteratorINSB_10device_ptrIjEEEENSD_INSE_IS6_EEEESI_S6_NSB_4plusIvEENSB_8equal_toIvEES6_EE10hipError_tPvRmT2_T3_T4_T5_mT6_T7_P12ihipStream_tbENKUlT_T0_E_clISt17integral_constantIbLb0EES12_IbLb1EEEEDaSY_SZ_EUlSY_E_NS1_11comp_targetILNS1_3genE2ELNS1_11target_archE906ELNS1_3gpuE6ELNS1_3repE0EEENS1_30default_config_static_selectorELNS0_4arch9wavefront6targetE0EEEvT1_.has_recursion, 0
	.set _ZN7rocprim17ROCPRIM_400000_NS6detail17trampoline_kernelINS0_14default_configENS1_27scan_by_key_config_selectorIj11FixedVectorIiLj2EEEEZZNS1_16scan_by_key_implILNS1_25lookback_scan_determinismE0ELb1ES3_N6thrust23THRUST_200600_302600_NS6detail15normal_iteratorINSB_10device_ptrIjEEEENSD_INSE_IS6_EEEESI_S6_NSB_4plusIvEENSB_8equal_toIvEES6_EE10hipError_tPvRmT2_T3_T4_T5_mT6_T7_P12ihipStream_tbENKUlT_T0_E_clISt17integral_constantIbLb0EES12_IbLb1EEEEDaSY_SZ_EUlSY_E_NS1_11comp_targetILNS1_3genE2ELNS1_11target_archE906ELNS1_3gpuE6ELNS1_3repE0EEENS1_30default_config_static_selectorELNS0_4arch9wavefront6targetE0EEEvT1_.has_indirect_call, 0
	.section	.AMDGPU.csdata,"",@progbits
; Kernel info:
; codeLenInByte = 0
; TotalNumSgprs: 0
; NumVgprs: 0
; ScratchSize: 0
; MemoryBound: 0
; FloatMode: 240
; IeeeMode: 1
; LDSByteSize: 0 bytes/workgroup (compile time only)
; SGPRBlocks: 0
; VGPRBlocks: 0
; NumSGPRsForWavesPerEU: 1
; NumVGPRsForWavesPerEU: 1
; Occupancy: 16
; WaveLimiterHint : 0
; COMPUTE_PGM_RSRC2:SCRATCH_EN: 0
; COMPUTE_PGM_RSRC2:USER_SGPR: 6
; COMPUTE_PGM_RSRC2:TRAP_HANDLER: 0
; COMPUTE_PGM_RSRC2:TGID_X_EN: 1
; COMPUTE_PGM_RSRC2:TGID_Y_EN: 0
; COMPUTE_PGM_RSRC2:TGID_Z_EN: 0
; COMPUTE_PGM_RSRC2:TIDIG_COMP_CNT: 0
	.section	.text._ZN7rocprim17ROCPRIM_400000_NS6detail17trampoline_kernelINS0_14default_configENS1_27scan_by_key_config_selectorIj11FixedVectorIiLj2EEEEZZNS1_16scan_by_key_implILNS1_25lookback_scan_determinismE0ELb1ES3_N6thrust23THRUST_200600_302600_NS6detail15normal_iteratorINSB_10device_ptrIjEEEENSD_INSE_IS6_EEEESI_S6_NSB_4plusIvEENSB_8equal_toIvEES6_EE10hipError_tPvRmT2_T3_T4_T5_mT6_T7_P12ihipStream_tbENKUlT_T0_E_clISt17integral_constantIbLb0EES12_IbLb1EEEEDaSY_SZ_EUlSY_E_NS1_11comp_targetILNS1_3genE10ELNS1_11target_archE1200ELNS1_3gpuE4ELNS1_3repE0EEENS1_30default_config_static_selectorELNS0_4arch9wavefront6targetE0EEEvT1_,"axG",@progbits,_ZN7rocprim17ROCPRIM_400000_NS6detail17trampoline_kernelINS0_14default_configENS1_27scan_by_key_config_selectorIj11FixedVectorIiLj2EEEEZZNS1_16scan_by_key_implILNS1_25lookback_scan_determinismE0ELb1ES3_N6thrust23THRUST_200600_302600_NS6detail15normal_iteratorINSB_10device_ptrIjEEEENSD_INSE_IS6_EEEESI_S6_NSB_4plusIvEENSB_8equal_toIvEES6_EE10hipError_tPvRmT2_T3_T4_T5_mT6_T7_P12ihipStream_tbENKUlT_T0_E_clISt17integral_constantIbLb0EES12_IbLb1EEEEDaSY_SZ_EUlSY_E_NS1_11comp_targetILNS1_3genE10ELNS1_11target_archE1200ELNS1_3gpuE4ELNS1_3repE0EEENS1_30default_config_static_selectorELNS0_4arch9wavefront6targetE0EEEvT1_,comdat
	.protected	_ZN7rocprim17ROCPRIM_400000_NS6detail17trampoline_kernelINS0_14default_configENS1_27scan_by_key_config_selectorIj11FixedVectorIiLj2EEEEZZNS1_16scan_by_key_implILNS1_25lookback_scan_determinismE0ELb1ES3_N6thrust23THRUST_200600_302600_NS6detail15normal_iteratorINSB_10device_ptrIjEEEENSD_INSE_IS6_EEEESI_S6_NSB_4plusIvEENSB_8equal_toIvEES6_EE10hipError_tPvRmT2_T3_T4_T5_mT6_T7_P12ihipStream_tbENKUlT_T0_E_clISt17integral_constantIbLb0EES12_IbLb1EEEEDaSY_SZ_EUlSY_E_NS1_11comp_targetILNS1_3genE10ELNS1_11target_archE1200ELNS1_3gpuE4ELNS1_3repE0EEENS1_30default_config_static_selectorELNS0_4arch9wavefront6targetE0EEEvT1_ ; -- Begin function _ZN7rocprim17ROCPRIM_400000_NS6detail17trampoline_kernelINS0_14default_configENS1_27scan_by_key_config_selectorIj11FixedVectorIiLj2EEEEZZNS1_16scan_by_key_implILNS1_25lookback_scan_determinismE0ELb1ES3_N6thrust23THRUST_200600_302600_NS6detail15normal_iteratorINSB_10device_ptrIjEEEENSD_INSE_IS6_EEEESI_S6_NSB_4plusIvEENSB_8equal_toIvEES6_EE10hipError_tPvRmT2_T3_T4_T5_mT6_T7_P12ihipStream_tbENKUlT_T0_E_clISt17integral_constantIbLb0EES12_IbLb1EEEEDaSY_SZ_EUlSY_E_NS1_11comp_targetILNS1_3genE10ELNS1_11target_archE1200ELNS1_3gpuE4ELNS1_3repE0EEENS1_30default_config_static_selectorELNS0_4arch9wavefront6targetE0EEEvT1_
	.globl	_ZN7rocprim17ROCPRIM_400000_NS6detail17trampoline_kernelINS0_14default_configENS1_27scan_by_key_config_selectorIj11FixedVectorIiLj2EEEEZZNS1_16scan_by_key_implILNS1_25lookback_scan_determinismE0ELb1ES3_N6thrust23THRUST_200600_302600_NS6detail15normal_iteratorINSB_10device_ptrIjEEEENSD_INSE_IS6_EEEESI_S6_NSB_4plusIvEENSB_8equal_toIvEES6_EE10hipError_tPvRmT2_T3_T4_T5_mT6_T7_P12ihipStream_tbENKUlT_T0_E_clISt17integral_constantIbLb0EES12_IbLb1EEEEDaSY_SZ_EUlSY_E_NS1_11comp_targetILNS1_3genE10ELNS1_11target_archE1200ELNS1_3gpuE4ELNS1_3repE0EEENS1_30default_config_static_selectorELNS0_4arch9wavefront6targetE0EEEvT1_
	.p2align	8
	.type	_ZN7rocprim17ROCPRIM_400000_NS6detail17trampoline_kernelINS0_14default_configENS1_27scan_by_key_config_selectorIj11FixedVectorIiLj2EEEEZZNS1_16scan_by_key_implILNS1_25lookback_scan_determinismE0ELb1ES3_N6thrust23THRUST_200600_302600_NS6detail15normal_iteratorINSB_10device_ptrIjEEEENSD_INSE_IS6_EEEESI_S6_NSB_4plusIvEENSB_8equal_toIvEES6_EE10hipError_tPvRmT2_T3_T4_T5_mT6_T7_P12ihipStream_tbENKUlT_T0_E_clISt17integral_constantIbLb0EES12_IbLb1EEEEDaSY_SZ_EUlSY_E_NS1_11comp_targetILNS1_3genE10ELNS1_11target_archE1200ELNS1_3gpuE4ELNS1_3repE0EEENS1_30default_config_static_selectorELNS0_4arch9wavefront6targetE0EEEvT1_,@function
_ZN7rocprim17ROCPRIM_400000_NS6detail17trampoline_kernelINS0_14default_configENS1_27scan_by_key_config_selectorIj11FixedVectorIiLj2EEEEZZNS1_16scan_by_key_implILNS1_25lookback_scan_determinismE0ELb1ES3_N6thrust23THRUST_200600_302600_NS6detail15normal_iteratorINSB_10device_ptrIjEEEENSD_INSE_IS6_EEEESI_S6_NSB_4plusIvEENSB_8equal_toIvEES6_EE10hipError_tPvRmT2_T3_T4_T5_mT6_T7_P12ihipStream_tbENKUlT_T0_E_clISt17integral_constantIbLb0EES12_IbLb1EEEEDaSY_SZ_EUlSY_E_NS1_11comp_targetILNS1_3genE10ELNS1_11target_archE1200ELNS1_3gpuE4ELNS1_3repE0EEENS1_30default_config_static_selectorELNS0_4arch9wavefront6targetE0EEEvT1_: ; @_ZN7rocprim17ROCPRIM_400000_NS6detail17trampoline_kernelINS0_14default_configENS1_27scan_by_key_config_selectorIj11FixedVectorIiLj2EEEEZZNS1_16scan_by_key_implILNS1_25lookback_scan_determinismE0ELb1ES3_N6thrust23THRUST_200600_302600_NS6detail15normal_iteratorINSB_10device_ptrIjEEEENSD_INSE_IS6_EEEESI_S6_NSB_4plusIvEENSB_8equal_toIvEES6_EE10hipError_tPvRmT2_T3_T4_T5_mT6_T7_P12ihipStream_tbENKUlT_T0_E_clISt17integral_constantIbLb0EES12_IbLb1EEEEDaSY_SZ_EUlSY_E_NS1_11comp_targetILNS1_3genE10ELNS1_11target_archE1200ELNS1_3gpuE4ELNS1_3repE0EEENS1_30default_config_static_selectorELNS0_4arch9wavefront6targetE0EEEvT1_
; %bb.0:
	.section	.rodata,"a",@progbits
	.p2align	6, 0x0
	.amdhsa_kernel _ZN7rocprim17ROCPRIM_400000_NS6detail17trampoline_kernelINS0_14default_configENS1_27scan_by_key_config_selectorIj11FixedVectorIiLj2EEEEZZNS1_16scan_by_key_implILNS1_25lookback_scan_determinismE0ELb1ES3_N6thrust23THRUST_200600_302600_NS6detail15normal_iteratorINSB_10device_ptrIjEEEENSD_INSE_IS6_EEEESI_S6_NSB_4plusIvEENSB_8equal_toIvEES6_EE10hipError_tPvRmT2_T3_T4_T5_mT6_T7_P12ihipStream_tbENKUlT_T0_E_clISt17integral_constantIbLb0EES12_IbLb1EEEEDaSY_SZ_EUlSY_E_NS1_11comp_targetILNS1_3genE10ELNS1_11target_archE1200ELNS1_3gpuE4ELNS1_3repE0EEENS1_30default_config_static_selectorELNS0_4arch9wavefront6targetE0EEEvT1_
		.amdhsa_group_segment_fixed_size 0
		.amdhsa_private_segment_fixed_size 0
		.amdhsa_kernarg_size 120
		.amdhsa_user_sgpr_count 6
		.amdhsa_user_sgpr_private_segment_buffer 1
		.amdhsa_user_sgpr_dispatch_ptr 0
		.amdhsa_user_sgpr_queue_ptr 0
		.amdhsa_user_sgpr_kernarg_segment_ptr 1
		.amdhsa_user_sgpr_dispatch_id 0
		.amdhsa_user_sgpr_flat_scratch_init 0
		.amdhsa_user_sgpr_private_segment_size 0
		.amdhsa_wavefront_size32 1
		.amdhsa_uses_dynamic_stack 0
		.amdhsa_system_sgpr_private_segment_wavefront_offset 0
		.amdhsa_system_sgpr_workgroup_id_x 1
		.amdhsa_system_sgpr_workgroup_id_y 0
		.amdhsa_system_sgpr_workgroup_id_z 0
		.amdhsa_system_sgpr_workgroup_info 0
		.amdhsa_system_vgpr_workitem_id 0
		.amdhsa_next_free_vgpr 1
		.amdhsa_next_free_sgpr 1
		.amdhsa_reserve_vcc 0
		.amdhsa_reserve_flat_scratch 0
		.amdhsa_float_round_mode_32 0
		.amdhsa_float_round_mode_16_64 0
		.amdhsa_float_denorm_mode_32 3
		.amdhsa_float_denorm_mode_16_64 3
		.amdhsa_dx10_clamp 1
		.amdhsa_ieee_mode 1
		.amdhsa_fp16_overflow 0
		.amdhsa_workgroup_processor_mode 1
		.amdhsa_memory_ordered 1
		.amdhsa_forward_progress 1
		.amdhsa_shared_vgpr_count 0
		.amdhsa_exception_fp_ieee_invalid_op 0
		.amdhsa_exception_fp_denorm_src 0
		.amdhsa_exception_fp_ieee_div_zero 0
		.amdhsa_exception_fp_ieee_overflow 0
		.amdhsa_exception_fp_ieee_underflow 0
		.amdhsa_exception_fp_ieee_inexact 0
		.amdhsa_exception_int_div_zero 0
	.end_amdhsa_kernel
	.section	.text._ZN7rocprim17ROCPRIM_400000_NS6detail17trampoline_kernelINS0_14default_configENS1_27scan_by_key_config_selectorIj11FixedVectorIiLj2EEEEZZNS1_16scan_by_key_implILNS1_25lookback_scan_determinismE0ELb1ES3_N6thrust23THRUST_200600_302600_NS6detail15normal_iteratorINSB_10device_ptrIjEEEENSD_INSE_IS6_EEEESI_S6_NSB_4plusIvEENSB_8equal_toIvEES6_EE10hipError_tPvRmT2_T3_T4_T5_mT6_T7_P12ihipStream_tbENKUlT_T0_E_clISt17integral_constantIbLb0EES12_IbLb1EEEEDaSY_SZ_EUlSY_E_NS1_11comp_targetILNS1_3genE10ELNS1_11target_archE1200ELNS1_3gpuE4ELNS1_3repE0EEENS1_30default_config_static_selectorELNS0_4arch9wavefront6targetE0EEEvT1_,"axG",@progbits,_ZN7rocprim17ROCPRIM_400000_NS6detail17trampoline_kernelINS0_14default_configENS1_27scan_by_key_config_selectorIj11FixedVectorIiLj2EEEEZZNS1_16scan_by_key_implILNS1_25lookback_scan_determinismE0ELb1ES3_N6thrust23THRUST_200600_302600_NS6detail15normal_iteratorINSB_10device_ptrIjEEEENSD_INSE_IS6_EEEESI_S6_NSB_4plusIvEENSB_8equal_toIvEES6_EE10hipError_tPvRmT2_T3_T4_T5_mT6_T7_P12ihipStream_tbENKUlT_T0_E_clISt17integral_constantIbLb0EES12_IbLb1EEEEDaSY_SZ_EUlSY_E_NS1_11comp_targetILNS1_3genE10ELNS1_11target_archE1200ELNS1_3gpuE4ELNS1_3repE0EEENS1_30default_config_static_selectorELNS0_4arch9wavefront6targetE0EEEvT1_,comdat
.Lfunc_end2026:
	.size	_ZN7rocprim17ROCPRIM_400000_NS6detail17trampoline_kernelINS0_14default_configENS1_27scan_by_key_config_selectorIj11FixedVectorIiLj2EEEEZZNS1_16scan_by_key_implILNS1_25lookback_scan_determinismE0ELb1ES3_N6thrust23THRUST_200600_302600_NS6detail15normal_iteratorINSB_10device_ptrIjEEEENSD_INSE_IS6_EEEESI_S6_NSB_4plusIvEENSB_8equal_toIvEES6_EE10hipError_tPvRmT2_T3_T4_T5_mT6_T7_P12ihipStream_tbENKUlT_T0_E_clISt17integral_constantIbLb0EES12_IbLb1EEEEDaSY_SZ_EUlSY_E_NS1_11comp_targetILNS1_3genE10ELNS1_11target_archE1200ELNS1_3gpuE4ELNS1_3repE0EEENS1_30default_config_static_selectorELNS0_4arch9wavefront6targetE0EEEvT1_, .Lfunc_end2026-_ZN7rocprim17ROCPRIM_400000_NS6detail17trampoline_kernelINS0_14default_configENS1_27scan_by_key_config_selectorIj11FixedVectorIiLj2EEEEZZNS1_16scan_by_key_implILNS1_25lookback_scan_determinismE0ELb1ES3_N6thrust23THRUST_200600_302600_NS6detail15normal_iteratorINSB_10device_ptrIjEEEENSD_INSE_IS6_EEEESI_S6_NSB_4plusIvEENSB_8equal_toIvEES6_EE10hipError_tPvRmT2_T3_T4_T5_mT6_T7_P12ihipStream_tbENKUlT_T0_E_clISt17integral_constantIbLb0EES12_IbLb1EEEEDaSY_SZ_EUlSY_E_NS1_11comp_targetILNS1_3genE10ELNS1_11target_archE1200ELNS1_3gpuE4ELNS1_3repE0EEENS1_30default_config_static_selectorELNS0_4arch9wavefront6targetE0EEEvT1_
                                        ; -- End function
	.set _ZN7rocprim17ROCPRIM_400000_NS6detail17trampoline_kernelINS0_14default_configENS1_27scan_by_key_config_selectorIj11FixedVectorIiLj2EEEEZZNS1_16scan_by_key_implILNS1_25lookback_scan_determinismE0ELb1ES3_N6thrust23THRUST_200600_302600_NS6detail15normal_iteratorINSB_10device_ptrIjEEEENSD_INSE_IS6_EEEESI_S6_NSB_4plusIvEENSB_8equal_toIvEES6_EE10hipError_tPvRmT2_T3_T4_T5_mT6_T7_P12ihipStream_tbENKUlT_T0_E_clISt17integral_constantIbLb0EES12_IbLb1EEEEDaSY_SZ_EUlSY_E_NS1_11comp_targetILNS1_3genE10ELNS1_11target_archE1200ELNS1_3gpuE4ELNS1_3repE0EEENS1_30default_config_static_selectorELNS0_4arch9wavefront6targetE0EEEvT1_.num_vgpr, 0
	.set _ZN7rocprim17ROCPRIM_400000_NS6detail17trampoline_kernelINS0_14default_configENS1_27scan_by_key_config_selectorIj11FixedVectorIiLj2EEEEZZNS1_16scan_by_key_implILNS1_25lookback_scan_determinismE0ELb1ES3_N6thrust23THRUST_200600_302600_NS6detail15normal_iteratorINSB_10device_ptrIjEEEENSD_INSE_IS6_EEEESI_S6_NSB_4plusIvEENSB_8equal_toIvEES6_EE10hipError_tPvRmT2_T3_T4_T5_mT6_T7_P12ihipStream_tbENKUlT_T0_E_clISt17integral_constantIbLb0EES12_IbLb1EEEEDaSY_SZ_EUlSY_E_NS1_11comp_targetILNS1_3genE10ELNS1_11target_archE1200ELNS1_3gpuE4ELNS1_3repE0EEENS1_30default_config_static_selectorELNS0_4arch9wavefront6targetE0EEEvT1_.num_agpr, 0
	.set _ZN7rocprim17ROCPRIM_400000_NS6detail17trampoline_kernelINS0_14default_configENS1_27scan_by_key_config_selectorIj11FixedVectorIiLj2EEEEZZNS1_16scan_by_key_implILNS1_25lookback_scan_determinismE0ELb1ES3_N6thrust23THRUST_200600_302600_NS6detail15normal_iteratorINSB_10device_ptrIjEEEENSD_INSE_IS6_EEEESI_S6_NSB_4plusIvEENSB_8equal_toIvEES6_EE10hipError_tPvRmT2_T3_T4_T5_mT6_T7_P12ihipStream_tbENKUlT_T0_E_clISt17integral_constantIbLb0EES12_IbLb1EEEEDaSY_SZ_EUlSY_E_NS1_11comp_targetILNS1_3genE10ELNS1_11target_archE1200ELNS1_3gpuE4ELNS1_3repE0EEENS1_30default_config_static_selectorELNS0_4arch9wavefront6targetE0EEEvT1_.numbered_sgpr, 0
	.set _ZN7rocprim17ROCPRIM_400000_NS6detail17trampoline_kernelINS0_14default_configENS1_27scan_by_key_config_selectorIj11FixedVectorIiLj2EEEEZZNS1_16scan_by_key_implILNS1_25lookback_scan_determinismE0ELb1ES3_N6thrust23THRUST_200600_302600_NS6detail15normal_iteratorINSB_10device_ptrIjEEEENSD_INSE_IS6_EEEESI_S6_NSB_4plusIvEENSB_8equal_toIvEES6_EE10hipError_tPvRmT2_T3_T4_T5_mT6_T7_P12ihipStream_tbENKUlT_T0_E_clISt17integral_constantIbLb0EES12_IbLb1EEEEDaSY_SZ_EUlSY_E_NS1_11comp_targetILNS1_3genE10ELNS1_11target_archE1200ELNS1_3gpuE4ELNS1_3repE0EEENS1_30default_config_static_selectorELNS0_4arch9wavefront6targetE0EEEvT1_.num_named_barrier, 0
	.set _ZN7rocprim17ROCPRIM_400000_NS6detail17trampoline_kernelINS0_14default_configENS1_27scan_by_key_config_selectorIj11FixedVectorIiLj2EEEEZZNS1_16scan_by_key_implILNS1_25lookback_scan_determinismE0ELb1ES3_N6thrust23THRUST_200600_302600_NS6detail15normal_iteratorINSB_10device_ptrIjEEEENSD_INSE_IS6_EEEESI_S6_NSB_4plusIvEENSB_8equal_toIvEES6_EE10hipError_tPvRmT2_T3_T4_T5_mT6_T7_P12ihipStream_tbENKUlT_T0_E_clISt17integral_constantIbLb0EES12_IbLb1EEEEDaSY_SZ_EUlSY_E_NS1_11comp_targetILNS1_3genE10ELNS1_11target_archE1200ELNS1_3gpuE4ELNS1_3repE0EEENS1_30default_config_static_selectorELNS0_4arch9wavefront6targetE0EEEvT1_.private_seg_size, 0
	.set _ZN7rocprim17ROCPRIM_400000_NS6detail17trampoline_kernelINS0_14default_configENS1_27scan_by_key_config_selectorIj11FixedVectorIiLj2EEEEZZNS1_16scan_by_key_implILNS1_25lookback_scan_determinismE0ELb1ES3_N6thrust23THRUST_200600_302600_NS6detail15normal_iteratorINSB_10device_ptrIjEEEENSD_INSE_IS6_EEEESI_S6_NSB_4plusIvEENSB_8equal_toIvEES6_EE10hipError_tPvRmT2_T3_T4_T5_mT6_T7_P12ihipStream_tbENKUlT_T0_E_clISt17integral_constantIbLb0EES12_IbLb1EEEEDaSY_SZ_EUlSY_E_NS1_11comp_targetILNS1_3genE10ELNS1_11target_archE1200ELNS1_3gpuE4ELNS1_3repE0EEENS1_30default_config_static_selectorELNS0_4arch9wavefront6targetE0EEEvT1_.uses_vcc, 0
	.set _ZN7rocprim17ROCPRIM_400000_NS6detail17trampoline_kernelINS0_14default_configENS1_27scan_by_key_config_selectorIj11FixedVectorIiLj2EEEEZZNS1_16scan_by_key_implILNS1_25lookback_scan_determinismE0ELb1ES3_N6thrust23THRUST_200600_302600_NS6detail15normal_iteratorINSB_10device_ptrIjEEEENSD_INSE_IS6_EEEESI_S6_NSB_4plusIvEENSB_8equal_toIvEES6_EE10hipError_tPvRmT2_T3_T4_T5_mT6_T7_P12ihipStream_tbENKUlT_T0_E_clISt17integral_constantIbLb0EES12_IbLb1EEEEDaSY_SZ_EUlSY_E_NS1_11comp_targetILNS1_3genE10ELNS1_11target_archE1200ELNS1_3gpuE4ELNS1_3repE0EEENS1_30default_config_static_selectorELNS0_4arch9wavefront6targetE0EEEvT1_.uses_flat_scratch, 0
	.set _ZN7rocprim17ROCPRIM_400000_NS6detail17trampoline_kernelINS0_14default_configENS1_27scan_by_key_config_selectorIj11FixedVectorIiLj2EEEEZZNS1_16scan_by_key_implILNS1_25lookback_scan_determinismE0ELb1ES3_N6thrust23THRUST_200600_302600_NS6detail15normal_iteratorINSB_10device_ptrIjEEEENSD_INSE_IS6_EEEESI_S6_NSB_4plusIvEENSB_8equal_toIvEES6_EE10hipError_tPvRmT2_T3_T4_T5_mT6_T7_P12ihipStream_tbENKUlT_T0_E_clISt17integral_constantIbLb0EES12_IbLb1EEEEDaSY_SZ_EUlSY_E_NS1_11comp_targetILNS1_3genE10ELNS1_11target_archE1200ELNS1_3gpuE4ELNS1_3repE0EEENS1_30default_config_static_selectorELNS0_4arch9wavefront6targetE0EEEvT1_.has_dyn_sized_stack, 0
	.set _ZN7rocprim17ROCPRIM_400000_NS6detail17trampoline_kernelINS0_14default_configENS1_27scan_by_key_config_selectorIj11FixedVectorIiLj2EEEEZZNS1_16scan_by_key_implILNS1_25lookback_scan_determinismE0ELb1ES3_N6thrust23THRUST_200600_302600_NS6detail15normal_iteratorINSB_10device_ptrIjEEEENSD_INSE_IS6_EEEESI_S6_NSB_4plusIvEENSB_8equal_toIvEES6_EE10hipError_tPvRmT2_T3_T4_T5_mT6_T7_P12ihipStream_tbENKUlT_T0_E_clISt17integral_constantIbLb0EES12_IbLb1EEEEDaSY_SZ_EUlSY_E_NS1_11comp_targetILNS1_3genE10ELNS1_11target_archE1200ELNS1_3gpuE4ELNS1_3repE0EEENS1_30default_config_static_selectorELNS0_4arch9wavefront6targetE0EEEvT1_.has_recursion, 0
	.set _ZN7rocprim17ROCPRIM_400000_NS6detail17trampoline_kernelINS0_14default_configENS1_27scan_by_key_config_selectorIj11FixedVectorIiLj2EEEEZZNS1_16scan_by_key_implILNS1_25lookback_scan_determinismE0ELb1ES3_N6thrust23THRUST_200600_302600_NS6detail15normal_iteratorINSB_10device_ptrIjEEEENSD_INSE_IS6_EEEESI_S6_NSB_4plusIvEENSB_8equal_toIvEES6_EE10hipError_tPvRmT2_T3_T4_T5_mT6_T7_P12ihipStream_tbENKUlT_T0_E_clISt17integral_constantIbLb0EES12_IbLb1EEEEDaSY_SZ_EUlSY_E_NS1_11comp_targetILNS1_3genE10ELNS1_11target_archE1200ELNS1_3gpuE4ELNS1_3repE0EEENS1_30default_config_static_selectorELNS0_4arch9wavefront6targetE0EEEvT1_.has_indirect_call, 0
	.section	.AMDGPU.csdata,"",@progbits
; Kernel info:
; codeLenInByte = 0
; TotalNumSgprs: 0
; NumVgprs: 0
; ScratchSize: 0
; MemoryBound: 0
; FloatMode: 240
; IeeeMode: 1
; LDSByteSize: 0 bytes/workgroup (compile time only)
; SGPRBlocks: 0
; VGPRBlocks: 0
; NumSGPRsForWavesPerEU: 1
; NumVGPRsForWavesPerEU: 1
; Occupancy: 16
; WaveLimiterHint : 0
; COMPUTE_PGM_RSRC2:SCRATCH_EN: 0
; COMPUTE_PGM_RSRC2:USER_SGPR: 6
; COMPUTE_PGM_RSRC2:TRAP_HANDLER: 0
; COMPUTE_PGM_RSRC2:TGID_X_EN: 1
; COMPUTE_PGM_RSRC2:TGID_Y_EN: 0
; COMPUTE_PGM_RSRC2:TGID_Z_EN: 0
; COMPUTE_PGM_RSRC2:TIDIG_COMP_CNT: 0
	.section	.text._ZN7rocprim17ROCPRIM_400000_NS6detail17trampoline_kernelINS0_14default_configENS1_27scan_by_key_config_selectorIj11FixedVectorIiLj2EEEEZZNS1_16scan_by_key_implILNS1_25lookback_scan_determinismE0ELb1ES3_N6thrust23THRUST_200600_302600_NS6detail15normal_iteratorINSB_10device_ptrIjEEEENSD_INSE_IS6_EEEESI_S6_NSB_4plusIvEENSB_8equal_toIvEES6_EE10hipError_tPvRmT2_T3_T4_T5_mT6_T7_P12ihipStream_tbENKUlT_T0_E_clISt17integral_constantIbLb0EES12_IbLb1EEEEDaSY_SZ_EUlSY_E_NS1_11comp_targetILNS1_3genE9ELNS1_11target_archE1100ELNS1_3gpuE3ELNS1_3repE0EEENS1_30default_config_static_selectorELNS0_4arch9wavefront6targetE0EEEvT1_,"axG",@progbits,_ZN7rocprim17ROCPRIM_400000_NS6detail17trampoline_kernelINS0_14default_configENS1_27scan_by_key_config_selectorIj11FixedVectorIiLj2EEEEZZNS1_16scan_by_key_implILNS1_25lookback_scan_determinismE0ELb1ES3_N6thrust23THRUST_200600_302600_NS6detail15normal_iteratorINSB_10device_ptrIjEEEENSD_INSE_IS6_EEEESI_S6_NSB_4plusIvEENSB_8equal_toIvEES6_EE10hipError_tPvRmT2_T3_T4_T5_mT6_T7_P12ihipStream_tbENKUlT_T0_E_clISt17integral_constantIbLb0EES12_IbLb1EEEEDaSY_SZ_EUlSY_E_NS1_11comp_targetILNS1_3genE9ELNS1_11target_archE1100ELNS1_3gpuE3ELNS1_3repE0EEENS1_30default_config_static_selectorELNS0_4arch9wavefront6targetE0EEEvT1_,comdat
	.protected	_ZN7rocprim17ROCPRIM_400000_NS6detail17trampoline_kernelINS0_14default_configENS1_27scan_by_key_config_selectorIj11FixedVectorIiLj2EEEEZZNS1_16scan_by_key_implILNS1_25lookback_scan_determinismE0ELb1ES3_N6thrust23THRUST_200600_302600_NS6detail15normal_iteratorINSB_10device_ptrIjEEEENSD_INSE_IS6_EEEESI_S6_NSB_4plusIvEENSB_8equal_toIvEES6_EE10hipError_tPvRmT2_T3_T4_T5_mT6_T7_P12ihipStream_tbENKUlT_T0_E_clISt17integral_constantIbLb0EES12_IbLb1EEEEDaSY_SZ_EUlSY_E_NS1_11comp_targetILNS1_3genE9ELNS1_11target_archE1100ELNS1_3gpuE3ELNS1_3repE0EEENS1_30default_config_static_selectorELNS0_4arch9wavefront6targetE0EEEvT1_ ; -- Begin function _ZN7rocprim17ROCPRIM_400000_NS6detail17trampoline_kernelINS0_14default_configENS1_27scan_by_key_config_selectorIj11FixedVectorIiLj2EEEEZZNS1_16scan_by_key_implILNS1_25lookback_scan_determinismE0ELb1ES3_N6thrust23THRUST_200600_302600_NS6detail15normal_iteratorINSB_10device_ptrIjEEEENSD_INSE_IS6_EEEESI_S6_NSB_4plusIvEENSB_8equal_toIvEES6_EE10hipError_tPvRmT2_T3_T4_T5_mT6_T7_P12ihipStream_tbENKUlT_T0_E_clISt17integral_constantIbLb0EES12_IbLb1EEEEDaSY_SZ_EUlSY_E_NS1_11comp_targetILNS1_3genE9ELNS1_11target_archE1100ELNS1_3gpuE3ELNS1_3repE0EEENS1_30default_config_static_selectorELNS0_4arch9wavefront6targetE0EEEvT1_
	.globl	_ZN7rocprim17ROCPRIM_400000_NS6detail17trampoline_kernelINS0_14default_configENS1_27scan_by_key_config_selectorIj11FixedVectorIiLj2EEEEZZNS1_16scan_by_key_implILNS1_25lookback_scan_determinismE0ELb1ES3_N6thrust23THRUST_200600_302600_NS6detail15normal_iteratorINSB_10device_ptrIjEEEENSD_INSE_IS6_EEEESI_S6_NSB_4plusIvEENSB_8equal_toIvEES6_EE10hipError_tPvRmT2_T3_T4_T5_mT6_T7_P12ihipStream_tbENKUlT_T0_E_clISt17integral_constantIbLb0EES12_IbLb1EEEEDaSY_SZ_EUlSY_E_NS1_11comp_targetILNS1_3genE9ELNS1_11target_archE1100ELNS1_3gpuE3ELNS1_3repE0EEENS1_30default_config_static_selectorELNS0_4arch9wavefront6targetE0EEEvT1_
	.p2align	8
	.type	_ZN7rocprim17ROCPRIM_400000_NS6detail17trampoline_kernelINS0_14default_configENS1_27scan_by_key_config_selectorIj11FixedVectorIiLj2EEEEZZNS1_16scan_by_key_implILNS1_25lookback_scan_determinismE0ELb1ES3_N6thrust23THRUST_200600_302600_NS6detail15normal_iteratorINSB_10device_ptrIjEEEENSD_INSE_IS6_EEEESI_S6_NSB_4plusIvEENSB_8equal_toIvEES6_EE10hipError_tPvRmT2_T3_T4_T5_mT6_T7_P12ihipStream_tbENKUlT_T0_E_clISt17integral_constantIbLb0EES12_IbLb1EEEEDaSY_SZ_EUlSY_E_NS1_11comp_targetILNS1_3genE9ELNS1_11target_archE1100ELNS1_3gpuE3ELNS1_3repE0EEENS1_30default_config_static_selectorELNS0_4arch9wavefront6targetE0EEEvT1_,@function
_ZN7rocprim17ROCPRIM_400000_NS6detail17trampoline_kernelINS0_14default_configENS1_27scan_by_key_config_selectorIj11FixedVectorIiLj2EEEEZZNS1_16scan_by_key_implILNS1_25lookback_scan_determinismE0ELb1ES3_N6thrust23THRUST_200600_302600_NS6detail15normal_iteratorINSB_10device_ptrIjEEEENSD_INSE_IS6_EEEESI_S6_NSB_4plusIvEENSB_8equal_toIvEES6_EE10hipError_tPvRmT2_T3_T4_T5_mT6_T7_P12ihipStream_tbENKUlT_T0_E_clISt17integral_constantIbLb0EES12_IbLb1EEEEDaSY_SZ_EUlSY_E_NS1_11comp_targetILNS1_3genE9ELNS1_11target_archE1100ELNS1_3gpuE3ELNS1_3repE0EEENS1_30default_config_static_selectorELNS0_4arch9wavefront6targetE0EEEvT1_: ; @_ZN7rocprim17ROCPRIM_400000_NS6detail17trampoline_kernelINS0_14default_configENS1_27scan_by_key_config_selectorIj11FixedVectorIiLj2EEEEZZNS1_16scan_by_key_implILNS1_25lookback_scan_determinismE0ELb1ES3_N6thrust23THRUST_200600_302600_NS6detail15normal_iteratorINSB_10device_ptrIjEEEENSD_INSE_IS6_EEEESI_S6_NSB_4plusIvEENSB_8equal_toIvEES6_EE10hipError_tPvRmT2_T3_T4_T5_mT6_T7_P12ihipStream_tbENKUlT_T0_E_clISt17integral_constantIbLb0EES12_IbLb1EEEEDaSY_SZ_EUlSY_E_NS1_11comp_targetILNS1_3genE9ELNS1_11target_archE1100ELNS1_3gpuE3ELNS1_3repE0EEENS1_30default_config_static_selectorELNS0_4arch9wavefront6targetE0EEEvT1_
; %bb.0:
	.section	.rodata,"a",@progbits
	.p2align	6, 0x0
	.amdhsa_kernel _ZN7rocprim17ROCPRIM_400000_NS6detail17trampoline_kernelINS0_14default_configENS1_27scan_by_key_config_selectorIj11FixedVectorIiLj2EEEEZZNS1_16scan_by_key_implILNS1_25lookback_scan_determinismE0ELb1ES3_N6thrust23THRUST_200600_302600_NS6detail15normal_iteratorINSB_10device_ptrIjEEEENSD_INSE_IS6_EEEESI_S6_NSB_4plusIvEENSB_8equal_toIvEES6_EE10hipError_tPvRmT2_T3_T4_T5_mT6_T7_P12ihipStream_tbENKUlT_T0_E_clISt17integral_constantIbLb0EES12_IbLb1EEEEDaSY_SZ_EUlSY_E_NS1_11comp_targetILNS1_3genE9ELNS1_11target_archE1100ELNS1_3gpuE3ELNS1_3repE0EEENS1_30default_config_static_selectorELNS0_4arch9wavefront6targetE0EEEvT1_
		.amdhsa_group_segment_fixed_size 0
		.amdhsa_private_segment_fixed_size 0
		.amdhsa_kernarg_size 120
		.amdhsa_user_sgpr_count 6
		.amdhsa_user_sgpr_private_segment_buffer 1
		.amdhsa_user_sgpr_dispatch_ptr 0
		.amdhsa_user_sgpr_queue_ptr 0
		.amdhsa_user_sgpr_kernarg_segment_ptr 1
		.amdhsa_user_sgpr_dispatch_id 0
		.amdhsa_user_sgpr_flat_scratch_init 0
		.amdhsa_user_sgpr_private_segment_size 0
		.amdhsa_wavefront_size32 1
		.amdhsa_uses_dynamic_stack 0
		.amdhsa_system_sgpr_private_segment_wavefront_offset 0
		.amdhsa_system_sgpr_workgroup_id_x 1
		.amdhsa_system_sgpr_workgroup_id_y 0
		.amdhsa_system_sgpr_workgroup_id_z 0
		.amdhsa_system_sgpr_workgroup_info 0
		.amdhsa_system_vgpr_workitem_id 0
		.amdhsa_next_free_vgpr 1
		.amdhsa_next_free_sgpr 1
		.amdhsa_reserve_vcc 0
		.amdhsa_reserve_flat_scratch 0
		.amdhsa_float_round_mode_32 0
		.amdhsa_float_round_mode_16_64 0
		.amdhsa_float_denorm_mode_32 3
		.amdhsa_float_denorm_mode_16_64 3
		.amdhsa_dx10_clamp 1
		.amdhsa_ieee_mode 1
		.amdhsa_fp16_overflow 0
		.amdhsa_workgroup_processor_mode 1
		.amdhsa_memory_ordered 1
		.amdhsa_forward_progress 1
		.amdhsa_shared_vgpr_count 0
		.amdhsa_exception_fp_ieee_invalid_op 0
		.amdhsa_exception_fp_denorm_src 0
		.amdhsa_exception_fp_ieee_div_zero 0
		.amdhsa_exception_fp_ieee_overflow 0
		.amdhsa_exception_fp_ieee_underflow 0
		.amdhsa_exception_fp_ieee_inexact 0
		.amdhsa_exception_int_div_zero 0
	.end_amdhsa_kernel
	.section	.text._ZN7rocprim17ROCPRIM_400000_NS6detail17trampoline_kernelINS0_14default_configENS1_27scan_by_key_config_selectorIj11FixedVectorIiLj2EEEEZZNS1_16scan_by_key_implILNS1_25lookback_scan_determinismE0ELb1ES3_N6thrust23THRUST_200600_302600_NS6detail15normal_iteratorINSB_10device_ptrIjEEEENSD_INSE_IS6_EEEESI_S6_NSB_4plusIvEENSB_8equal_toIvEES6_EE10hipError_tPvRmT2_T3_T4_T5_mT6_T7_P12ihipStream_tbENKUlT_T0_E_clISt17integral_constantIbLb0EES12_IbLb1EEEEDaSY_SZ_EUlSY_E_NS1_11comp_targetILNS1_3genE9ELNS1_11target_archE1100ELNS1_3gpuE3ELNS1_3repE0EEENS1_30default_config_static_selectorELNS0_4arch9wavefront6targetE0EEEvT1_,"axG",@progbits,_ZN7rocprim17ROCPRIM_400000_NS6detail17trampoline_kernelINS0_14default_configENS1_27scan_by_key_config_selectorIj11FixedVectorIiLj2EEEEZZNS1_16scan_by_key_implILNS1_25lookback_scan_determinismE0ELb1ES3_N6thrust23THRUST_200600_302600_NS6detail15normal_iteratorINSB_10device_ptrIjEEEENSD_INSE_IS6_EEEESI_S6_NSB_4plusIvEENSB_8equal_toIvEES6_EE10hipError_tPvRmT2_T3_T4_T5_mT6_T7_P12ihipStream_tbENKUlT_T0_E_clISt17integral_constantIbLb0EES12_IbLb1EEEEDaSY_SZ_EUlSY_E_NS1_11comp_targetILNS1_3genE9ELNS1_11target_archE1100ELNS1_3gpuE3ELNS1_3repE0EEENS1_30default_config_static_selectorELNS0_4arch9wavefront6targetE0EEEvT1_,comdat
.Lfunc_end2027:
	.size	_ZN7rocprim17ROCPRIM_400000_NS6detail17trampoline_kernelINS0_14default_configENS1_27scan_by_key_config_selectorIj11FixedVectorIiLj2EEEEZZNS1_16scan_by_key_implILNS1_25lookback_scan_determinismE0ELb1ES3_N6thrust23THRUST_200600_302600_NS6detail15normal_iteratorINSB_10device_ptrIjEEEENSD_INSE_IS6_EEEESI_S6_NSB_4plusIvEENSB_8equal_toIvEES6_EE10hipError_tPvRmT2_T3_T4_T5_mT6_T7_P12ihipStream_tbENKUlT_T0_E_clISt17integral_constantIbLb0EES12_IbLb1EEEEDaSY_SZ_EUlSY_E_NS1_11comp_targetILNS1_3genE9ELNS1_11target_archE1100ELNS1_3gpuE3ELNS1_3repE0EEENS1_30default_config_static_selectorELNS0_4arch9wavefront6targetE0EEEvT1_, .Lfunc_end2027-_ZN7rocprim17ROCPRIM_400000_NS6detail17trampoline_kernelINS0_14default_configENS1_27scan_by_key_config_selectorIj11FixedVectorIiLj2EEEEZZNS1_16scan_by_key_implILNS1_25lookback_scan_determinismE0ELb1ES3_N6thrust23THRUST_200600_302600_NS6detail15normal_iteratorINSB_10device_ptrIjEEEENSD_INSE_IS6_EEEESI_S6_NSB_4plusIvEENSB_8equal_toIvEES6_EE10hipError_tPvRmT2_T3_T4_T5_mT6_T7_P12ihipStream_tbENKUlT_T0_E_clISt17integral_constantIbLb0EES12_IbLb1EEEEDaSY_SZ_EUlSY_E_NS1_11comp_targetILNS1_3genE9ELNS1_11target_archE1100ELNS1_3gpuE3ELNS1_3repE0EEENS1_30default_config_static_selectorELNS0_4arch9wavefront6targetE0EEEvT1_
                                        ; -- End function
	.set _ZN7rocprim17ROCPRIM_400000_NS6detail17trampoline_kernelINS0_14default_configENS1_27scan_by_key_config_selectorIj11FixedVectorIiLj2EEEEZZNS1_16scan_by_key_implILNS1_25lookback_scan_determinismE0ELb1ES3_N6thrust23THRUST_200600_302600_NS6detail15normal_iteratorINSB_10device_ptrIjEEEENSD_INSE_IS6_EEEESI_S6_NSB_4plusIvEENSB_8equal_toIvEES6_EE10hipError_tPvRmT2_T3_T4_T5_mT6_T7_P12ihipStream_tbENKUlT_T0_E_clISt17integral_constantIbLb0EES12_IbLb1EEEEDaSY_SZ_EUlSY_E_NS1_11comp_targetILNS1_3genE9ELNS1_11target_archE1100ELNS1_3gpuE3ELNS1_3repE0EEENS1_30default_config_static_selectorELNS0_4arch9wavefront6targetE0EEEvT1_.num_vgpr, 0
	.set _ZN7rocprim17ROCPRIM_400000_NS6detail17trampoline_kernelINS0_14default_configENS1_27scan_by_key_config_selectorIj11FixedVectorIiLj2EEEEZZNS1_16scan_by_key_implILNS1_25lookback_scan_determinismE0ELb1ES3_N6thrust23THRUST_200600_302600_NS6detail15normal_iteratorINSB_10device_ptrIjEEEENSD_INSE_IS6_EEEESI_S6_NSB_4plusIvEENSB_8equal_toIvEES6_EE10hipError_tPvRmT2_T3_T4_T5_mT6_T7_P12ihipStream_tbENKUlT_T0_E_clISt17integral_constantIbLb0EES12_IbLb1EEEEDaSY_SZ_EUlSY_E_NS1_11comp_targetILNS1_3genE9ELNS1_11target_archE1100ELNS1_3gpuE3ELNS1_3repE0EEENS1_30default_config_static_selectorELNS0_4arch9wavefront6targetE0EEEvT1_.num_agpr, 0
	.set _ZN7rocprim17ROCPRIM_400000_NS6detail17trampoline_kernelINS0_14default_configENS1_27scan_by_key_config_selectorIj11FixedVectorIiLj2EEEEZZNS1_16scan_by_key_implILNS1_25lookback_scan_determinismE0ELb1ES3_N6thrust23THRUST_200600_302600_NS6detail15normal_iteratorINSB_10device_ptrIjEEEENSD_INSE_IS6_EEEESI_S6_NSB_4plusIvEENSB_8equal_toIvEES6_EE10hipError_tPvRmT2_T3_T4_T5_mT6_T7_P12ihipStream_tbENKUlT_T0_E_clISt17integral_constantIbLb0EES12_IbLb1EEEEDaSY_SZ_EUlSY_E_NS1_11comp_targetILNS1_3genE9ELNS1_11target_archE1100ELNS1_3gpuE3ELNS1_3repE0EEENS1_30default_config_static_selectorELNS0_4arch9wavefront6targetE0EEEvT1_.numbered_sgpr, 0
	.set _ZN7rocprim17ROCPRIM_400000_NS6detail17trampoline_kernelINS0_14default_configENS1_27scan_by_key_config_selectorIj11FixedVectorIiLj2EEEEZZNS1_16scan_by_key_implILNS1_25lookback_scan_determinismE0ELb1ES3_N6thrust23THRUST_200600_302600_NS6detail15normal_iteratorINSB_10device_ptrIjEEEENSD_INSE_IS6_EEEESI_S6_NSB_4plusIvEENSB_8equal_toIvEES6_EE10hipError_tPvRmT2_T3_T4_T5_mT6_T7_P12ihipStream_tbENKUlT_T0_E_clISt17integral_constantIbLb0EES12_IbLb1EEEEDaSY_SZ_EUlSY_E_NS1_11comp_targetILNS1_3genE9ELNS1_11target_archE1100ELNS1_3gpuE3ELNS1_3repE0EEENS1_30default_config_static_selectorELNS0_4arch9wavefront6targetE0EEEvT1_.num_named_barrier, 0
	.set _ZN7rocprim17ROCPRIM_400000_NS6detail17trampoline_kernelINS0_14default_configENS1_27scan_by_key_config_selectorIj11FixedVectorIiLj2EEEEZZNS1_16scan_by_key_implILNS1_25lookback_scan_determinismE0ELb1ES3_N6thrust23THRUST_200600_302600_NS6detail15normal_iteratorINSB_10device_ptrIjEEEENSD_INSE_IS6_EEEESI_S6_NSB_4plusIvEENSB_8equal_toIvEES6_EE10hipError_tPvRmT2_T3_T4_T5_mT6_T7_P12ihipStream_tbENKUlT_T0_E_clISt17integral_constantIbLb0EES12_IbLb1EEEEDaSY_SZ_EUlSY_E_NS1_11comp_targetILNS1_3genE9ELNS1_11target_archE1100ELNS1_3gpuE3ELNS1_3repE0EEENS1_30default_config_static_selectorELNS0_4arch9wavefront6targetE0EEEvT1_.private_seg_size, 0
	.set _ZN7rocprim17ROCPRIM_400000_NS6detail17trampoline_kernelINS0_14default_configENS1_27scan_by_key_config_selectorIj11FixedVectorIiLj2EEEEZZNS1_16scan_by_key_implILNS1_25lookback_scan_determinismE0ELb1ES3_N6thrust23THRUST_200600_302600_NS6detail15normal_iteratorINSB_10device_ptrIjEEEENSD_INSE_IS6_EEEESI_S6_NSB_4plusIvEENSB_8equal_toIvEES6_EE10hipError_tPvRmT2_T3_T4_T5_mT6_T7_P12ihipStream_tbENKUlT_T0_E_clISt17integral_constantIbLb0EES12_IbLb1EEEEDaSY_SZ_EUlSY_E_NS1_11comp_targetILNS1_3genE9ELNS1_11target_archE1100ELNS1_3gpuE3ELNS1_3repE0EEENS1_30default_config_static_selectorELNS0_4arch9wavefront6targetE0EEEvT1_.uses_vcc, 0
	.set _ZN7rocprim17ROCPRIM_400000_NS6detail17trampoline_kernelINS0_14default_configENS1_27scan_by_key_config_selectorIj11FixedVectorIiLj2EEEEZZNS1_16scan_by_key_implILNS1_25lookback_scan_determinismE0ELb1ES3_N6thrust23THRUST_200600_302600_NS6detail15normal_iteratorINSB_10device_ptrIjEEEENSD_INSE_IS6_EEEESI_S6_NSB_4plusIvEENSB_8equal_toIvEES6_EE10hipError_tPvRmT2_T3_T4_T5_mT6_T7_P12ihipStream_tbENKUlT_T0_E_clISt17integral_constantIbLb0EES12_IbLb1EEEEDaSY_SZ_EUlSY_E_NS1_11comp_targetILNS1_3genE9ELNS1_11target_archE1100ELNS1_3gpuE3ELNS1_3repE0EEENS1_30default_config_static_selectorELNS0_4arch9wavefront6targetE0EEEvT1_.uses_flat_scratch, 0
	.set _ZN7rocprim17ROCPRIM_400000_NS6detail17trampoline_kernelINS0_14default_configENS1_27scan_by_key_config_selectorIj11FixedVectorIiLj2EEEEZZNS1_16scan_by_key_implILNS1_25lookback_scan_determinismE0ELb1ES3_N6thrust23THRUST_200600_302600_NS6detail15normal_iteratorINSB_10device_ptrIjEEEENSD_INSE_IS6_EEEESI_S6_NSB_4plusIvEENSB_8equal_toIvEES6_EE10hipError_tPvRmT2_T3_T4_T5_mT6_T7_P12ihipStream_tbENKUlT_T0_E_clISt17integral_constantIbLb0EES12_IbLb1EEEEDaSY_SZ_EUlSY_E_NS1_11comp_targetILNS1_3genE9ELNS1_11target_archE1100ELNS1_3gpuE3ELNS1_3repE0EEENS1_30default_config_static_selectorELNS0_4arch9wavefront6targetE0EEEvT1_.has_dyn_sized_stack, 0
	.set _ZN7rocprim17ROCPRIM_400000_NS6detail17trampoline_kernelINS0_14default_configENS1_27scan_by_key_config_selectorIj11FixedVectorIiLj2EEEEZZNS1_16scan_by_key_implILNS1_25lookback_scan_determinismE0ELb1ES3_N6thrust23THRUST_200600_302600_NS6detail15normal_iteratorINSB_10device_ptrIjEEEENSD_INSE_IS6_EEEESI_S6_NSB_4plusIvEENSB_8equal_toIvEES6_EE10hipError_tPvRmT2_T3_T4_T5_mT6_T7_P12ihipStream_tbENKUlT_T0_E_clISt17integral_constantIbLb0EES12_IbLb1EEEEDaSY_SZ_EUlSY_E_NS1_11comp_targetILNS1_3genE9ELNS1_11target_archE1100ELNS1_3gpuE3ELNS1_3repE0EEENS1_30default_config_static_selectorELNS0_4arch9wavefront6targetE0EEEvT1_.has_recursion, 0
	.set _ZN7rocprim17ROCPRIM_400000_NS6detail17trampoline_kernelINS0_14default_configENS1_27scan_by_key_config_selectorIj11FixedVectorIiLj2EEEEZZNS1_16scan_by_key_implILNS1_25lookback_scan_determinismE0ELb1ES3_N6thrust23THRUST_200600_302600_NS6detail15normal_iteratorINSB_10device_ptrIjEEEENSD_INSE_IS6_EEEESI_S6_NSB_4plusIvEENSB_8equal_toIvEES6_EE10hipError_tPvRmT2_T3_T4_T5_mT6_T7_P12ihipStream_tbENKUlT_T0_E_clISt17integral_constantIbLb0EES12_IbLb1EEEEDaSY_SZ_EUlSY_E_NS1_11comp_targetILNS1_3genE9ELNS1_11target_archE1100ELNS1_3gpuE3ELNS1_3repE0EEENS1_30default_config_static_selectorELNS0_4arch9wavefront6targetE0EEEvT1_.has_indirect_call, 0
	.section	.AMDGPU.csdata,"",@progbits
; Kernel info:
; codeLenInByte = 0
; TotalNumSgprs: 0
; NumVgprs: 0
; ScratchSize: 0
; MemoryBound: 0
; FloatMode: 240
; IeeeMode: 1
; LDSByteSize: 0 bytes/workgroup (compile time only)
; SGPRBlocks: 0
; VGPRBlocks: 0
; NumSGPRsForWavesPerEU: 1
; NumVGPRsForWavesPerEU: 1
; Occupancy: 16
; WaveLimiterHint : 0
; COMPUTE_PGM_RSRC2:SCRATCH_EN: 0
; COMPUTE_PGM_RSRC2:USER_SGPR: 6
; COMPUTE_PGM_RSRC2:TRAP_HANDLER: 0
; COMPUTE_PGM_RSRC2:TGID_X_EN: 1
; COMPUTE_PGM_RSRC2:TGID_Y_EN: 0
; COMPUTE_PGM_RSRC2:TGID_Z_EN: 0
; COMPUTE_PGM_RSRC2:TIDIG_COMP_CNT: 0
	.section	.text._ZN7rocprim17ROCPRIM_400000_NS6detail17trampoline_kernelINS0_14default_configENS1_27scan_by_key_config_selectorIj11FixedVectorIiLj2EEEEZZNS1_16scan_by_key_implILNS1_25lookback_scan_determinismE0ELb1ES3_N6thrust23THRUST_200600_302600_NS6detail15normal_iteratorINSB_10device_ptrIjEEEENSD_INSE_IS6_EEEESI_S6_NSB_4plusIvEENSB_8equal_toIvEES6_EE10hipError_tPvRmT2_T3_T4_T5_mT6_T7_P12ihipStream_tbENKUlT_T0_E_clISt17integral_constantIbLb0EES12_IbLb1EEEEDaSY_SZ_EUlSY_E_NS1_11comp_targetILNS1_3genE8ELNS1_11target_archE1030ELNS1_3gpuE2ELNS1_3repE0EEENS1_30default_config_static_selectorELNS0_4arch9wavefront6targetE0EEEvT1_,"axG",@progbits,_ZN7rocprim17ROCPRIM_400000_NS6detail17trampoline_kernelINS0_14default_configENS1_27scan_by_key_config_selectorIj11FixedVectorIiLj2EEEEZZNS1_16scan_by_key_implILNS1_25lookback_scan_determinismE0ELb1ES3_N6thrust23THRUST_200600_302600_NS6detail15normal_iteratorINSB_10device_ptrIjEEEENSD_INSE_IS6_EEEESI_S6_NSB_4plusIvEENSB_8equal_toIvEES6_EE10hipError_tPvRmT2_T3_T4_T5_mT6_T7_P12ihipStream_tbENKUlT_T0_E_clISt17integral_constantIbLb0EES12_IbLb1EEEEDaSY_SZ_EUlSY_E_NS1_11comp_targetILNS1_3genE8ELNS1_11target_archE1030ELNS1_3gpuE2ELNS1_3repE0EEENS1_30default_config_static_selectorELNS0_4arch9wavefront6targetE0EEEvT1_,comdat
	.protected	_ZN7rocprim17ROCPRIM_400000_NS6detail17trampoline_kernelINS0_14default_configENS1_27scan_by_key_config_selectorIj11FixedVectorIiLj2EEEEZZNS1_16scan_by_key_implILNS1_25lookback_scan_determinismE0ELb1ES3_N6thrust23THRUST_200600_302600_NS6detail15normal_iteratorINSB_10device_ptrIjEEEENSD_INSE_IS6_EEEESI_S6_NSB_4plusIvEENSB_8equal_toIvEES6_EE10hipError_tPvRmT2_T3_T4_T5_mT6_T7_P12ihipStream_tbENKUlT_T0_E_clISt17integral_constantIbLb0EES12_IbLb1EEEEDaSY_SZ_EUlSY_E_NS1_11comp_targetILNS1_3genE8ELNS1_11target_archE1030ELNS1_3gpuE2ELNS1_3repE0EEENS1_30default_config_static_selectorELNS0_4arch9wavefront6targetE0EEEvT1_ ; -- Begin function _ZN7rocprim17ROCPRIM_400000_NS6detail17trampoline_kernelINS0_14default_configENS1_27scan_by_key_config_selectorIj11FixedVectorIiLj2EEEEZZNS1_16scan_by_key_implILNS1_25lookback_scan_determinismE0ELb1ES3_N6thrust23THRUST_200600_302600_NS6detail15normal_iteratorINSB_10device_ptrIjEEEENSD_INSE_IS6_EEEESI_S6_NSB_4plusIvEENSB_8equal_toIvEES6_EE10hipError_tPvRmT2_T3_T4_T5_mT6_T7_P12ihipStream_tbENKUlT_T0_E_clISt17integral_constantIbLb0EES12_IbLb1EEEEDaSY_SZ_EUlSY_E_NS1_11comp_targetILNS1_3genE8ELNS1_11target_archE1030ELNS1_3gpuE2ELNS1_3repE0EEENS1_30default_config_static_selectorELNS0_4arch9wavefront6targetE0EEEvT1_
	.globl	_ZN7rocprim17ROCPRIM_400000_NS6detail17trampoline_kernelINS0_14default_configENS1_27scan_by_key_config_selectorIj11FixedVectorIiLj2EEEEZZNS1_16scan_by_key_implILNS1_25lookback_scan_determinismE0ELb1ES3_N6thrust23THRUST_200600_302600_NS6detail15normal_iteratorINSB_10device_ptrIjEEEENSD_INSE_IS6_EEEESI_S6_NSB_4plusIvEENSB_8equal_toIvEES6_EE10hipError_tPvRmT2_T3_T4_T5_mT6_T7_P12ihipStream_tbENKUlT_T0_E_clISt17integral_constantIbLb0EES12_IbLb1EEEEDaSY_SZ_EUlSY_E_NS1_11comp_targetILNS1_3genE8ELNS1_11target_archE1030ELNS1_3gpuE2ELNS1_3repE0EEENS1_30default_config_static_selectorELNS0_4arch9wavefront6targetE0EEEvT1_
	.p2align	8
	.type	_ZN7rocprim17ROCPRIM_400000_NS6detail17trampoline_kernelINS0_14default_configENS1_27scan_by_key_config_selectorIj11FixedVectorIiLj2EEEEZZNS1_16scan_by_key_implILNS1_25lookback_scan_determinismE0ELb1ES3_N6thrust23THRUST_200600_302600_NS6detail15normal_iteratorINSB_10device_ptrIjEEEENSD_INSE_IS6_EEEESI_S6_NSB_4plusIvEENSB_8equal_toIvEES6_EE10hipError_tPvRmT2_T3_T4_T5_mT6_T7_P12ihipStream_tbENKUlT_T0_E_clISt17integral_constantIbLb0EES12_IbLb1EEEEDaSY_SZ_EUlSY_E_NS1_11comp_targetILNS1_3genE8ELNS1_11target_archE1030ELNS1_3gpuE2ELNS1_3repE0EEENS1_30default_config_static_selectorELNS0_4arch9wavefront6targetE0EEEvT1_,@function
_ZN7rocprim17ROCPRIM_400000_NS6detail17trampoline_kernelINS0_14default_configENS1_27scan_by_key_config_selectorIj11FixedVectorIiLj2EEEEZZNS1_16scan_by_key_implILNS1_25lookback_scan_determinismE0ELb1ES3_N6thrust23THRUST_200600_302600_NS6detail15normal_iteratorINSB_10device_ptrIjEEEENSD_INSE_IS6_EEEESI_S6_NSB_4plusIvEENSB_8equal_toIvEES6_EE10hipError_tPvRmT2_T3_T4_T5_mT6_T7_P12ihipStream_tbENKUlT_T0_E_clISt17integral_constantIbLb0EES12_IbLb1EEEEDaSY_SZ_EUlSY_E_NS1_11comp_targetILNS1_3genE8ELNS1_11target_archE1030ELNS1_3gpuE2ELNS1_3repE0EEENS1_30default_config_static_selectorELNS0_4arch9wavefront6targetE0EEEvT1_: ; @_ZN7rocprim17ROCPRIM_400000_NS6detail17trampoline_kernelINS0_14default_configENS1_27scan_by_key_config_selectorIj11FixedVectorIiLj2EEEEZZNS1_16scan_by_key_implILNS1_25lookback_scan_determinismE0ELb1ES3_N6thrust23THRUST_200600_302600_NS6detail15normal_iteratorINSB_10device_ptrIjEEEENSD_INSE_IS6_EEEESI_S6_NSB_4plusIvEENSB_8equal_toIvEES6_EE10hipError_tPvRmT2_T3_T4_T5_mT6_T7_P12ihipStream_tbENKUlT_T0_E_clISt17integral_constantIbLb0EES12_IbLb1EEEEDaSY_SZ_EUlSY_E_NS1_11comp_targetILNS1_3genE8ELNS1_11target_archE1030ELNS1_3gpuE2ELNS1_3repE0EEENS1_30default_config_static_selectorELNS0_4arch9wavefront6targetE0EEEvT1_
; %bb.0:
	s_clause 0x3
	s_load_dwordx8 s[8:15], s[4:5], 0x0
	s_load_dwordx2 s[24:25], s[4:5], 0x20
	s_load_dwordx4 s[16:19], s[4:5], 0x30
	s_load_dwordx2 s[26:27], s[4:5], 0x40
	v_cmp_ne_u32_e64 s2, 0, v0
	v_cmp_eq_u32_e64 s0, 0, v0
	s_and_saveexec_b32 s1, s0
	s_cbranch_execz .LBB2028_4
; %bb.1:
	s_mov_b32 s6, exec_lo
	s_mov_b32 s3, exec_lo
	v_mbcnt_lo_u32_b32 v1, s6, 0
                                        ; implicit-def: $vgpr2
	v_cmpx_eq_u32_e32 0, v1
	s_cbranch_execz .LBB2028_3
; %bb.2:
	s_load_dwordx2 s[20:21], s[4:5], 0x70
	s_bcnt1_i32_b32 s6, s6
	v_mov_b32_e32 v2, 0
	v_mov_b32_e32 v3, s6
	s_waitcnt lgkmcnt(0)
	global_atomic_add v2, v2, v3, s[20:21] glc
.LBB2028_3:
	s_or_b32 exec_lo, exec_lo, s3
	s_waitcnt vmcnt(0)
	v_readfirstlane_b32 s3, v2
	v_mov_b32_e32 v2, 0
	v_add_nc_u32_e32 v1, s3, v1
	ds_write_b32 v2, v1
.LBB2028_4:
	s_or_b32 exec_lo, exec_lo, s1
	v_mov_b32_e32 v1, 0
	s_clause 0x1
	s_load_dword s1, s[4:5], 0x48
	s_load_dwordx4 s[20:23], s[4:5], 0x50
	s_waitcnt lgkmcnt(0)
	s_barrier
	buffer_gl0_inv
	ds_read_b32 v1, v1
	s_lshl_b64 s[4:5], s[10:11], 2
	s_waitcnt lgkmcnt(0)
	s_add_u32 s29, s8, s4
	s_addc_u32 s30, s9, s5
	s_lshl_b64 s[8:9], s[10:11], 3
	s_mov_b32 s5, 0
	s_add_u32 s12, s12, s8
	s_addc_u32 s31, s13, s9
	s_barrier
	buffer_gl0_inv
	s_barrier
	buffer_gl0_inv
	s_mul_i32 s3, s27, s1
	s_mul_hi_u32 s28, s26, s1
	s_mul_i32 s1, s26, s1
	s_add_i32 s28, s28, s3
	v_readfirstlane_b32 s19, v1
	v_add_co_u32 v1, s1, s1, v1
	v_add_co_ci_u32_e64 v2, null, s28, 0, s1
	s_mul_i32 s4, s19, 0x300
	s_lshl_b64 s[6:7], s[4:5], 2
	s_add_u32 s6, s29, s6
	s_addc_u32 s7, s30, s7
	s_lshl_b64 s[10:11], s[4:5], 3
	s_add_u32 s13, s12, s10
	s_addc_u32 s28, s31, s11
	s_add_u32 s20, s20, -1
	s_addc_u32 s21, s21, -1
	s_mul_i32 s12, s20, 0xfffffd00
	v_cmp_le_u64_e64 s1, s[20:21], v[1:2]
	s_and_b32 vcc_lo, exec_lo, s1
	s_cbranch_vccz .LBB2028_24
; %bb.5:
	v_mov_b32_e32 v1, s6
	v_mov_b32_e32 v2, s7
	s_add_i32 s20, s12, s18
	v_cmp_gt_u32_e32 vcc_lo, s20, v0
	flat_load_dword v1, v[1:2]
	s_waitcnt vmcnt(0) lgkmcnt(0)
	v_mov_b32_e32 v2, v1
	s_and_saveexec_b32 s3, vcc_lo
	s_cbranch_execz .LBB2028_7
; %bb.6:
	v_lshlrev_b32_e32 v2, 2, v0
	v_add_co_u32 v2, s4, s6, v2
	v_add_co_ci_u32_e64 v3, null, s7, 0, s4
	flat_load_dword v2, v[2:3]
.LBB2028_7:
	s_or_b32 exec_lo, exec_lo, s3
	v_or_b32_e32 v7, 0x100, v0
	v_mov_b32_e32 v3, v1
	v_cmp_gt_u32_e64 s4, s20, v7
	s_and_saveexec_b32 s3, s4
	s_cbranch_execz .LBB2028_9
; %bb.8:
	v_lshlrev_b32_e32 v3, 2, v0
	v_add_co_u32 v3, s5, s6, v3
	v_add_co_ci_u32_e64 v4, null, s7, 0, s5
	flat_load_dword v3, v[3:4] offset:1024
.LBB2028_9:
	s_or_b32 exec_lo, exec_lo, s3
	v_or_b32_e32 v11, 0x200, v0
	v_cmp_gt_u32_e64 s3, s20, v11
	s_and_saveexec_b32 s5, s3
	s_cbranch_execz .LBB2028_11
; %bb.10:
	v_lshlrev_b32_e32 v1, 2, v11
	v_add_co_u32 v4, s21, s6, v1
	v_add_co_ci_u32_e64 v5, null, s7, 0, s21
	flat_load_dword v1, v[4:5]
.LBB2028_11:
	s_or_b32 exec_lo, exec_lo, s5
	v_mov_b32_e32 v4, s6
	v_lshlrev_b32_e32 v12, 2, v0
	v_mov_b32_e32 v5, s7
	s_mov_b32 s21, exec_lo
	s_waitcnt vmcnt(0) lgkmcnt(0)
	ds_write2st64_b32 v12, v2, v3 offset1:4
	ds_write_b32 v12, v1 offset:2048
	s_waitcnt lgkmcnt(0)
	s_barrier
	buffer_gl0_inv
	flat_load_dword v9, v[4:5]
	v_lshl_add_u32 v1, v0, 3, v12
	ds_read_b32 v10, v1
	ds_read2_b32 v[5:6], v1 offset0:1 offset1:2
	s_waitcnt lgkmcnt(1)
	ds_write_b32 v12, v10 offset:4096
	s_waitcnt vmcnt(0) lgkmcnt(0)
	s_barrier
	buffer_gl0_inv
	v_cmpx_ne_u32_e32 0xff, v0
; %bb.12:
	ds_read_b32 v9, v12 offset:4100
; %bb.13:
	s_or_b32 exec_lo, exec_lo, s21
	v_mov_b32_e32 v1, 0
	v_mov_b32_e32 v3, 0
	;; [unrolled: 1-line block ×4, first 2 shown]
	s_waitcnt lgkmcnt(0)
	s_barrier
	buffer_gl0_inv
	s_and_saveexec_b32 s5, vcc_lo
	s_cbranch_execz .LBB2028_15
; %bb.14:
	v_lshlrev_b32_e32 v3, 3, v0
	v_add_co_u32 v3, s21, s13, v3
	v_add_co_ci_u32_e64 v4, null, s28, 0, s21
	flat_load_dwordx2 v[3:4], v[3:4]
.LBB2028_15:
	s_or_b32 exec_lo, exec_lo, s5
	s_and_saveexec_b32 s5, s4
	s_cbranch_execz .LBB2028_17
; %bb.16:
	v_lshlrev_b32_e32 v1, 3, v7
	v_add_co_u32 v1, s4, s13, v1
	v_add_co_ci_u32_e64 v2, null, s28, 0, s4
	flat_load_dwordx2 v[1:2], v[1:2]
.LBB2028_17:
	s_or_b32 exec_lo, exec_lo, s5
	v_mov_b32_e32 v7, 0
	v_mov_b32_e32 v8, 0
	v_mul_u32_u24_e32 v13, 3, v0
	s_and_saveexec_b32 s4, s3
	s_cbranch_execz .LBB2028_19
; %bb.18:
	v_lshlrev_b32_e32 v7, 3, v11
	v_add_co_u32 v7, s3, s13, v7
	v_add_co_ci_u32_e64 v8, null, s28, 0, s3
	flat_load_dwordx2 v[7:8], v[7:8]
.LBB2028_19:
	s_or_b32 exec_lo, exec_lo, s4
	v_lshl_add_u32 v11, v0, 2, v12
	v_mov_b32_e32 v21, 0
	v_mov_b32_e32 v17, 0
	;; [unrolled: 1-line block ×4, first 2 shown]
	s_waitcnt vmcnt(0) lgkmcnt(0)
	ds_write2st64_b64 v11, v[3:4], v[1:2] offset1:4
	ds_write_b64 v11, v[7:8] offset:4096
	v_mov_b32_e32 v1, 0
	v_mov_b32_e32 v7, 0
	;; [unrolled: 1-line block ×4, first 2 shown]
	s_mov_b32 s29, 0
	s_mov_b32 s5, 0
	s_mov_b32 s30, exec_lo
	s_waitcnt lgkmcnt(0)
	s_barrier
	buffer_gl0_inv
                                        ; implicit-def: $sgpr21
                                        ; implicit-def: $vgpr3_vgpr4
	v_cmpx_gt_u32_e64 s20, v13
	s_cbranch_execz .LBB2028_23
; %bb.20:
	v_lshlrev_b32_e32 v1, 4, v0
	v_add_nc_u32_e32 v2, 1, v13
	v_mov_b32_e32 v15, 0
	v_mov_b32_e32 v21, 0
	;; [unrolled: 1-line block ×3, first 2 shown]
	v_add_nc_u32_e32 v1, v11, v1
	s_mov_b32 s4, 0
	s_mov_b32 s5, exec_lo
	v_cmp_ne_u32_e32 vcc_lo, v10, v5
                                        ; implicit-def: $sgpr21
                                        ; implicit-def: $vgpr3_vgpr4
	ds_read_b64 v[7:8], v1
	v_cmpx_gt_u32_e64 s20, v2
	s_xor_b32 s5, exec_lo, s5
	s_cbranch_execz .LBB2028_22
; %bb.21:
	ds_read2_b64 v[1:4], v1 offset0:1 offset1:2
	v_add_nc_u32_e32 v10, 2, v13
	v_cmp_ne_u32_e64 s3, v5, v6
	v_cmp_ne_u32_e64 s21, v6, v9
	v_cmp_gt_u32_e64 s4, s20, v10
	v_cndmask_b32_e64 v21, 0, 1, s3
	s_and_b32 s4, s4, exec_lo
	s_waitcnt lgkmcnt(0)
	v_cndmask_b32_e64 v16, v1, s24, s3
	v_cndmask_b32_e64 v15, v2, s25, s3
.LBB2028_22:
	s_or_b32 exec_lo, exec_lo, s5
	s_waitcnt lgkmcnt(0)
	v_cndmask_b32_e64 v1, v8, s25, vcc_lo
	v_cndmask_b32_e64 v7, v7, s24, vcc_lo
	;; [unrolled: 1-line block ×3, first 2 shown]
	s_and_b32 s5, s4, exec_lo
	v_mov_b32_e32 v18, v1
	v_mov_b32_e32 v19, v7
.LBB2028_23:
	s_or_b32 exec_lo, exec_lo, s30
	s_and_b32 vcc_lo, exec_lo, s29
	s_cbranch_vccnz .LBB2028_25
	s_branch .LBB2028_28
.LBB2028_24:
                                        ; implicit-def: $sgpr21
                                        ; implicit-def: $vgpr3_vgpr4
                                        ; implicit-def: $vgpr17
                                        ; implicit-def: $vgpr1
                                        ; implicit-def: $vgpr7
                                        ; implicit-def: $vgpr21
                                        ; implicit-def: $vgpr15
                                        ; implicit-def: $vgpr16
                                        ; implicit-def: $vgpr18
                                        ; implicit-def: $vgpr19
	s_cbranch_execz .LBB2028_28
.LBB2028_25:
	v_lshlrev_b32_e32 v3, 2, v0
	v_add_co_u32 v1, s3, s6, v3
	v_add_co_ci_u32_e64 v2, null, s7, 0, s3
	v_add_co_u32 v4, vcc_lo, 0x800, v1
	v_add_co_ci_u32_e64 v5, null, 0, v2, vcc_lo
	s_clause 0x2
	flat_load_dword v6, v[1:2]
	flat_load_dword v7, v[1:2] offset:1024
	flat_load_dword v4, v[4:5]
	v_add_co_u32 v1, s3, 0x800, s6
	v_add_co_ci_u32_e64 v2, null, 0, s7, s3
	s_mov_b32 s3, exec_lo
	s_waitcnt vmcnt(1) lgkmcnt(1)
	ds_write2st64_b32 v3, v6, v7 offset1:4
	s_waitcnt vmcnt(0) lgkmcnt(1)
	ds_write_b32 v3, v4 offset:2048
	s_waitcnt lgkmcnt(0)
	s_barrier
	buffer_gl0_inv
	flat_load_dword v5, v[1:2] offset:1024
	v_lshl_add_u32 v1, v0, 3, v3
	ds_read_b32 v6, v1
	ds_read2_b32 v[1:2], v1 offset0:1 offset1:2
	s_waitcnt lgkmcnt(1)
	ds_write_b32 v3, v6 offset:4096
	s_waitcnt vmcnt(0) lgkmcnt(0)
	s_barrier
	buffer_gl0_inv
	v_cmpx_ne_u32_e32 0xff, v0
; %bb.26:
	ds_read_b32 v5, v3 offset:4100
; %bb.27:
	s_or_b32 exec_lo, exec_lo, s3
	v_lshlrev_b32_e32 v4, 3, v0
	s_waitcnt lgkmcnt(0)
	s_barrier
	buffer_gl0_inv
	v_lshl_add_u32 v3, v0, 2, v3
	v_add_co_u32 v7, s3, s13, v4
	v_add_co_ci_u32_e64 v8, null, s28, 0, s3
	v_lshl_add_u32 v4, v0, 4, v3
	v_add_co_u32 v9, vcc_lo, 0x800, v7
	v_add_co_ci_u32_e64 v10, null, 0, v8, vcc_lo
	v_add_co_u32 v11, vcc_lo, 0x1000, v7
	v_add_co_ci_u32_e64 v12, null, 0, v8, vcc_lo
	s_clause 0x2
	flat_load_dwordx2 v[7:8], v[7:8]
	flat_load_dwordx2 v[9:10], v[9:10]
	;; [unrolled: 1-line block ×3, first 2 shown]
	v_cmp_ne_u32_e32 vcc_lo, v6, v1
	v_cmp_ne_u32_e64 s3, v1, v2
	v_cmp_ne_u32_e64 s21, v2, v5
	s_mov_b32 s5, -1
	s_waitcnt vmcnt(1) lgkmcnt(1)
	ds_write2st64_b64 v3, v[7:8], v[9:10] offset1:4
	s_waitcnt vmcnt(0) lgkmcnt(1)
	ds_write_b64 v3, v[11:12] offset:4096
	s_waitcnt lgkmcnt(0)
	s_barrier
	buffer_gl0_inv
	ds_read2_b64 v[7:10], v4 offset1:1
	ds_read_b64 v[3:4], v4 offset:16
	v_cndmask_b32_e64 v21, 0, 1, s3
	v_cndmask_b32_e64 v17, 0, 1, vcc_lo
	s_waitcnt lgkmcnt(1)
	v_cndmask_b32_e64 v7, v7, s24, vcc_lo
	v_cndmask_b32_e64 v1, v8, s25, vcc_lo
	v_cndmask_b32_e64 v16, v9, s24, s3
	v_cndmask_b32_e64 v15, v10, s25, s3
	v_mov_b32_e32 v19, v7
	v_mov_b32_e32 v18, v1
.LBB2028_28:
	v_mov_b32_e32 v24, 0
	v_mov_b32_e32 v23, 0
	v_mov_b32_e32 v25, 0
	s_and_saveexec_b32 s3, s5
	s_cbranch_execz .LBB2028_30
; %bb.29:
	v_cndmask_b32_e64 v24, 0, 1, s21
	s_waitcnt lgkmcnt(0)
	v_cndmask_b32_e64 v23, v3, s24, s21
	v_cndmask_b32_e64 v25, v4, s25, s21
	v_mov_b32_e32 v19, v7
	v_mov_b32_e32 v18, v1
.LBB2028_30:
	s_or_b32 exec_lo, exec_lo, s3
	v_add_nc_u32_e32 v28, v16, v19
	v_add_nc_u32_e32 v29, v15, v18
	v_or_b32_e32 v26, v24, v21
	v_and_b32_e32 v27, 1, v17
	v_and_b32_e32 v22, 0xffffff00, v17
	v_mbcnt_lo_u32_b32 v20, -1, 0
	s_cmp_lg_u32 s19, 0
	v_cmp_eq_u16_e32 vcc_lo, 0, v24
	s_waitcnt lgkmcnt(0)
	s_barrier
	buffer_gl0_inv
	s_cbranch_scc0 .LBB2028_152
; %bb.31:
	v_mov_b32_e32 v1, 0
	v_cmp_eq_u16_sdwa s3, v21, v1 src0_sel:BYTE_0 src1_sel:DWORD
	v_cmp_eq_u16_sdwa s4, v26, v1 src0_sel:BYTE_0 src1_sel:DWORD
	v_cndmask_b32_e64 v3, v16, v28, s3
	v_cndmask_b32_e64 v4, v15, v29, s3
	;; [unrolled: 1-line block ×3, first 2 shown]
	s_mov_b32 s4, exec_lo
	v_add_nc_u32_e32 v1, v23, v3
	v_add_nc_u32_e32 v4, v25, v4
	v_or_b32_e32 v5, v2, v22
	v_cndmask_b32_e32 v3, v23, v1, vcc_lo
	v_cndmask_b32_e32 v4, v25, v4, vcc_lo
	v_and_b32_e32 v1, 15, v20
	v_mov_b32_dpp v6, v5 row_shr:1 row_mask:0xf bank_mask:0xf
	v_mov_b32_dpp v7, v3 row_shr:1 row_mask:0xf bank_mask:0xf
	;; [unrolled: 1-line block ×3, first 2 shown]
	v_cmpx_ne_u32_e32 0, v1
	s_cbranch_execz .LBB2028_35
; %bb.32:
	s_mov_b32 s5, exec_lo
	v_cmpx_eq_u32_e32 0, v2
; %bb.33:
	v_add_nc_u32_e32 v3, v3, v7
	v_add_nc_u32_e32 v4, v4, v8
; %bb.34:
	s_or_b32 exec_lo, exec_lo, s5
	v_and_b32_e32 v5, 1, v6
	v_or3_b32 v5, v22, v5, v2
.LBB2028_35:
	s_or_b32 exec_lo, exec_lo, s4
	v_mov_b32_dpp v6, v3 row_shr:2 row_mask:0xf bank_mask:0xf
	v_mov_b32_dpp v7, v4 row_shr:2 row_mask:0xf bank_mask:0xf
	v_mov_b32_dpp v2, v5 row_shr:2 row_mask:0xf bank_mask:0xf
	s_mov_b32 s4, exec_lo
	v_cmpx_lt_u32_e32 1, v1
	s_cbranch_execz .LBB2028_41
; %bb.36:
	v_mov_b32_e32 v8, 0
	v_cmp_ne_u32_sdwa s5, v5, v8 src0_sel:BYTE_0 src1_sel:DWORD
	s_and_saveexec_b32 s6, s5
	s_xor_b32 s5, exec_lo, s6
; %bb.37:
                                        ; implicit-def: $vgpr6
                                        ; implicit-def: $vgpr7
; %bb.38:
	s_andn2_saveexec_b32 s5, s5
; %bb.39:
	v_add_nc_u32_e32 v3, v3, v6
	v_add_nc_u32_e32 v4, v4, v7
; %bb.40:
	s_or_b32 exec_lo, exec_lo, s5
	v_and_b32_e32 v2, 1, v2
	v_and_or_b32 v5, 0xffffff01, v5, v2
.LBB2028_41:
	s_or_b32 exec_lo, exec_lo, s4
	v_mov_b32_dpp v6, v3 row_shr:4 row_mask:0xf bank_mask:0xf
	v_mov_b32_dpp v7, v4 row_shr:4 row_mask:0xf bank_mask:0xf
	v_mov_b32_dpp v2, v5 row_shr:4 row_mask:0xf bank_mask:0xf
	s_mov_b32 s4, exec_lo
	v_cmpx_lt_u32_e32 3, v1
	s_cbranch_execz .LBB2028_47
; %bb.42:
	v_mov_b32_e32 v8, 0
	v_cmp_ne_u32_sdwa s5, v5, v8 src0_sel:BYTE_0 src1_sel:DWORD
	s_and_saveexec_b32 s6, s5
	s_xor_b32 s5, exec_lo, s6
; %bb.43:
                                        ; implicit-def: $vgpr6
                                        ; implicit-def: $vgpr7
; %bb.44:
	s_andn2_saveexec_b32 s5, s5
; %bb.45:
	v_add_nc_u32_e32 v3, v3, v6
	v_add_nc_u32_e32 v4, v4, v7
; %bb.46:
	s_or_b32 exec_lo, exec_lo, s5
	v_and_b32_e32 v2, 1, v2
	v_and_or_b32 v5, 0xffffff01, v5, v2
.LBB2028_47:
	;; [unrolled: 25-line block ×3, first 2 shown]
	s_or_b32 exec_lo, exec_lo, s4
	ds_swizzle_b32 v2, v3 offset:swizzle(BROADCAST,32,15)
	ds_swizzle_b32 v6, v4 offset:swizzle(BROADCAST,32,15)
	;; [unrolled: 1-line block ×3, first 2 shown]
	v_and_b32_e32 v7, 16, v20
	v_cmp_ne_u32_e32 vcc_lo, 0, v7
	v_mov_b32_e32 v7, v5
	s_and_saveexec_b32 s4, vcc_lo
	s_cbranch_execz .LBB2028_59
; %bb.54:
	v_mov_b32_e32 v7, 0
	v_cmp_ne_u32_sdwa s5, v5, v7 src0_sel:BYTE_0 src1_sel:DWORD
	s_and_saveexec_b32 s6, s5
	s_xor_b32 s5, exec_lo, s6
; %bb.55:
                                        ; implicit-def: $vgpr2
                                        ; implicit-def: $vgpr6
; %bb.56:
	s_andn2_saveexec_b32 s5, s5
	s_cbranch_execz .LBB2028_58
; %bb.57:
	s_waitcnt lgkmcnt(2)
	v_add_nc_u32_e32 v3, v3, v2
	s_waitcnt lgkmcnt(1)
	v_add_nc_u32_e32 v4, v4, v6
.LBB2028_58:
	s_or_b32 exec_lo, exec_lo, s5
	s_waitcnt lgkmcnt(0)
	v_or_b32_e32 v2, v1, v5
	v_and_b32_e32 v1, 1, v1
	v_and_b32_e32 v7, 1, v2
	v_and_or_b32 v5, 0xffffff01, v5, v1
.LBB2028_59:
	s_or_b32 exec_lo, exec_lo, s4
	s_waitcnt lgkmcnt(0)
	v_or_b32_e32 v1, 31, v0
	v_lshrrev_b32_e32 v6, 5, v0
	s_mov_b32 s4, exec_lo
	v_cmpx_eq_u32_e64 v0, v1
	s_cbranch_execz .LBB2028_61
; %bb.60:
	v_mul_u32_u24_e32 v1, 12, v6
	ds_write2_b32 v1, v3, v4 offset1:1
	ds_write_b8 v1, v7 offset:8
.LBB2028_61:
	s_or_b32 exec_lo, exec_lo, s4
	s_mov_b32 s4, exec_lo
	s_waitcnt lgkmcnt(0)
	s_barrier
	buffer_gl0_inv
	v_cmpx_gt_u32_e32 8, v0
	s_cbranch_execz .LBB2028_79
; %bb.62:
	v_mul_u32_u24_e32 v7, 12, v0
	v_and_b32_e32 v9, 7, v20
	s_mov_b32 s5, exec_lo
	ds_read2_b32 v[1:2], v7 offset1:1
	ds_read_b32 v8, v7 offset:8
	s_waitcnt lgkmcnt(1)
	v_mov_b32_dpp v11, v1 row_shr:1 row_mask:0xf bank_mask:0xf
	v_mov_b32_dpp v12, v2 row_shr:1 row_mask:0xf bank_mask:0xf
	s_waitcnt lgkmcnt(0)
	v_mov_b32_dpp v10, v8 row_shr:1 row_mask:0xf bank_mask:0xf
	v_cmpx_ne_u32_e32 0, v9
	s_cbranch_execz .LBB2028_66
; %bb.63:
	v_mov_b32_e32 v13, 0
	v_cmp_eq_u32_sdwa s7, v8, v13 src0_sel:BYTE_0 src1_sel:DWORD
	s_and_saveexec_b32 s6, s7
; %bb.64:
	v_add_nc_u32_e32 v1, v1, v11
	v_add_nc_u32_e32 v2, v2, v12
; %bb.65:
	s_or_b32 exec_lo, exec_lo, s6
	v_and_b32_e32 v10, 1, v10
	v_and_or_b32 v8, 0xffffff01, v8, v10
.LBB2028_66:
	s_or_b32 exec_lo, exec_lo, s5
	v_mov_b32_dpp v11, v1 row_shr:2 row_mask:0xf bank_mask:0xf
	v_mov_b32_dpp v12, v2 row_shr:2 row_mask:0xf bank_mask:0xf
	;; [unrolled: 1-line block ×3, first 2 shown]
	s_mov_b32 s5, exec_lo
	v_cmpx_lt_u32_e32 1, v9
	s_cbranch_execz .LBB2028_72
; %bb.67:
	v_mov_b32_e32 v13, 0
	v_cmp_ne_u32_sdwa s6, v8, v13 src0_sel:BYTE_0 src1_sel:DWORD
	s_and_saveexec_b32 s7, s6
	s_xor_b32 s6, exec_lo, s7
; %bb.68:
                                        ; implicit-def: $vgpr11
                                        ; implicit-def: $vgpr12
; %bb.69:
	s_andn2_saveexec_b32 s6, s6
; %bb.70:
	v_add_nc_u32_e32 v1, v1, v11
	v_add_nc_u32_e32 v2, v2, v12
; %bb.71:
	s_or_b32 exec_lo, exec_lo, s6
	v_and_b32_e32 v10, 1, v10
	v_and_or_b32 v8, 0xffffff01, v8, v10
.LBB2028_72:
	s_or_b32 exec_lo, exec_lo, s5
	v_mov_b32_dpp v11, v1 row_shr:4 row_mask:0xf bank_mask:0xf
	v_mov_b32_dpp v12, v2 row_shr:4 row_mask:0xf bank_mask:0xf
	;; [unrolled: 1-line block ×3, first 2 shown]
	s_mov_b32 s5, exec_lo
	v_cmpx_lt_u32_e32 3, v9
	s_cbranch_execz .LBB2028_78
; %bb.73:
	v_mov_b32_e32 v9, 0
	v_cmp_ne_u32_sdwa s6, v8, v9 src0_sel:BYTE_0 src1_sel:DWORD
	s_and_saveexec_b32 s7, s6
	s_xor_b32 s6, exec_lo, s7
; %bb.74:
                                        ; implicit-def: $vgpr11
                                        ; implicit-def: $vgpr12
; %bb.75:
	s_andn2_saveexec_b32 s6, s6
; %bb.76:
	v_add_nc_u32_e32 v1, v1, v11
	v_add_nc_u32_e32 v2, v2, v12
; %bb.77:
	s_or_b32 exec_lo, exec_lo, s6
	v_or_b32_e32 v8, v10, v8
	v_and_b32_e32 v8, 1, v8
.LBB2028_78:
	s_or_b32 exec_lo, exec_lo, s5
	ds_write2_b32 v7, v1, v2 offset1:1
	ds_write_b8 v7, v8 offset:8
.LBB2028_79:
	s_or_b32 exec_lo, exec_lo, s4
	v_mov_b32_e32 v8, 0
	v_mov_b32_e32 v9, 0
	;; [unrolled: 1-line block ×3, first 2 shown]
	s_mov_b32 s5, exec_lo
	v_cmp_gt_u32_e32 vcc_lo, 32, v0
	s_waitcnt lgkmcnt(0)
	s_barrier
	buffer_gl0_inv
	v_cmpx_lt_u32_e32 31, v0
	s_cbranch_execz .LBB2028_81
; %bb.80:
	v_mad_u32_u24 v1, v6, 12, -12
	v_mad_u32_u24 v2, v6, 12, -4
	ds_read2_b32 v[8:9], v1 offset1:1
	ds_read_u8 v1, v2
	v_mov_b32_e32 v2, 0
	v_cmp_eq_u16_sdwa s4, v5, v2 src0_sel:BYTE_0 src1_sel:DWORD
	s_waitcnt lgkmcnt(1)
	v_add_nc_u32_e32 v6, v8, v3
	v_add_nc_u32_e32 v2, v9, v4
	s_waitcnt lgkmcnt(0)
	v_or_b32_e32 v7, v1, v5
	v_and_b32_e32 v30, 1, v1
	v_cndmask_b32_e64 v3, v3, v6, s4
	v_cndmask_b32_e64 v4, v4, v2, s4
	v_perm_b32 v5, v5, v7, 0x7060500
.LBB2028_81:
	s_or_b32 exec_lo, exec_lo, s5
	v_sub_co_u32 v1, s4, v20, 1
	v_cmp_gt_i32_e64 s5, 0, v1
	v_cndmask_b32_e64 v1, v1, v20, s5
	v_lshlrev_b32_e32 v1, 2, v1
	ds_bpermute_b32 v31, v1, v3
	ds_bpermute_b32 v32, v1, v4
	;; [unrolled: 1-line block ×3, first 2 shown]
	s_and_saveexec_b32 s7, vcc_lo
	s_cbranch_execz .LBB2028_157
; %bb.82:
	v_mov_b32_e32 v12, 0
	ds_read_b32 v1, v12 offset:84
	ds_read_b64 v[2:3], v12 offset:88
	s_and_saveexec_b32 s5, s4
	s_cbranch_execz .LBB2028_84
; %bb.83:
	s_add_i32 s20, s19, 32
	s_mov_b32 s21, 0
	v_mov_b32_e32 v4, 1
	s_lshl_b64 s[20:21], s[20:21], 4
	s_add_u32 s20, s16, s20
	s_addc_u32 s21, s17, s21
	v_mov_b32_e32 v5, s20
	v_mov_b32_e32 v6, s21
	s_waitcnt lgkmcnt(0)
	;;#ASMSTART
	global_store_dwordx4 v[5:6], v[1:4] off	
s_waitcnt vmcnt(0)
	;;#ASMEND
.LBB2028_84:
	s_or_b32 exec_lo, exec_lo, s5
	v_xad_u32 v10, v20, -1, s19
	s_mov_b32 s6, 0
	v_add_nc_u32_e32 v11, 32, v10
	v_lshlrev_b64 v[4:5], 4, v[11:12]
	v_add_co_u32 v13, vcc_lo, s16, v4
	v_add_co_ci_u32_e64 v14, null, s17, v5, vcc_lo
	;;#ASMSTART
	global_load_dwordx4 v[4:7], v[13:14] off glc dlc	
s_waitcnt vmcnt(0)
	;;#ASMEND
	v_alignbit_b32 v37, v5, v4, 8
	v_alignbit_b32 v38, v5, v4, 16
	;; [unrolled: 1-line block ×3, first 2 shown]
	v_perm_b32 v34, v5, v6, 0x70605
	v_perm_b32 v36, v5, v6, 0x1000706
	;; [unrolled: 1-line block ×3, first 2 shown]
	v_cmp_eq_u16_sdwa s13, v7, v12 src0_sel:BYTE_0 src1_sel:DWORD
	s_and_saveexec_b32 s5, s13
	s_cbranch_execz .LBB2028_88
; %bb.85:
	v_mov_b32_e32 v11, 0
.LBB2028_86:                            ; =>This Inner Loop Header: Depth=1
	;;#ASMSTART
	global_load_dwordx4 v[4:7], v[13:14] off glc dlc	
s_waitcnt vmcnt(0)
	;;#ASMEND
	v_cmp_ne_u16_sdwa s13, v7, v11 src0_sel:BYTE_0 src1_sel:DWORD
	s_or_b32 s6, s13, s6
	s_andn2_b32 exec_lo, exec_lo, s6
	s_cbranch_execnz .LBB2028_86
; %bb.87:
	s_or_b32 exec_lo, exec_lo, s6
	v_perm_b32 v11, v5, v6, 0x2010007
	v_perm_b32 v36, v5, v6, 0x1000706
	;; [unrolled: 1-line block ×3, first 2 shown]
	v_alignbit_b32 v35, v5, v4, 24
	v_alignbit_b32 v38, v5, v4, 16
	;; [unrolled: 1-line block ×3, first 2 shown]
.LBB2028_88:
	s_or_b32 exec_lo, exec_lo, s5
	v_lshlrev_b32_e32 v12, 16, v38
	v_lshlrev_b32_e32 v13, 8, v37
	;; [unrolled: 1-line block ×4, first 2 shown]
	v_cmp_ne_u32_e32 vcc_lo, 31, v20
	v_perm_b32 v12, v35, v12, 0x4020c0c
	v_and_b32_e32 v13, 0xff00, v13
	v_and_b32_e32 v4, 0xff, v4
	v_perm_b32 v11, v11, v14, 0x4020c0c
	v_and_b32_e32 v34, 0xff00, v34
	v_add_co_ci_u32_e64 v14, null, 0, v20, vcc_lo
	v_and_b32_e32 v5, 0xff, v5
	v_mov_b32_e32 v35, 2
	v_or3_b32 v4, v12, v13, v4
	v_lshlrev_b32_e32 v14, 2, v14
	v_and_b32_e32 v12, 0xff, v6
	v_or3_b32 v5, v11, v34, v5
	v_cmp_eq_u16_sdwa s5, v7, v35 src0_sel:BYTE_0 src1_sel:DWORD
	v_lshlrev_b32_e64 v34, v20, -1
	ds_bpermute_b32 v35, v14, v4
	ds_bpermute_b32 v13, v14, v12
	ds_bpermute_b32 v36, v14, v5
	v_and_or_b32 v11, s5, v34, 0x80000000
	s_mov_b32 s5, exec_lo
	v_ffbl_b32_e32 v11, v11
	v_cmpx_lt_u32_e64 v20, v11
	s_cbranch_execz .LBB2028_92
; %bb.89:
	s_mov_b32 s6, exec_lo
	v_cmpx_eq_u32_e32 0, v12
	s_cbranch_execz .LBB2028_91
; %bb.90:
	s_waitcnt lgkmcnt(2)
	v_add_nc_u32_e32 v4, v4, v35
	s_waitcnt lgkmcnt(0)
	v_add_nc_u32_e32 v5, v5, v36
.LBB2028_91:
	s_or_b32 exec_lo, exec_lo, s6
	s_waitcnt lgkmcnt(1)
	v_or_b32_e32 v6, v13, v6
	v_and_b32_e32 v12, 1, v6
.LBB2028_92:
	s_or_b32 exec_lo, exec_lo, s5
	v_cmp_gt_u32_e32 vcc_lo, 30, v20
	s_waitcnt lgkmcnt(0)
	v_add_nc_u32_e32 v36, 2, v20
	s_mov_b32 s5, exec_lo
	v_cndmask_b32_e64 v6, 0, 2, vcc_lo
	v_add_lshl_u32 v35, v6, v20, 2
	ds_bpermute_b32 v13, v35, v4
	ds_bpermute_b32 v37, v35, v5
	;; [unrolled: 1-line block ×3, first 2 shown]
	v_cmpx_le_u32_e64 v36, v11
	s_cbranch_execz .LBB2028_98
; %bb.93:
	s_mov_b32 s6, exec_lo
	v_cmpx_ne_u32_e32 0, v12
	s_xor_b32 s6, exec_lo, s6
; %bb.94:
                                        ; implicit-def: $vgpr13
                                        ; implicit-def: $vgpr37
; %bb.95:
	s_andn2_saveexec_b32 s6, s6
	s_cbranch_execz .LBB2028_97
; %bb.96:
	s_waitcnt lgkmcnt(2)
	v_add_nc_u32_e32 v4, v4, v13
	s_waitcnt lgkmcnt(1)
	v_add_nc_u32_e32 v5, v5, v37
.LBB2028_97:
	s_or_b32 exec_lo, exec_lo, s6
	s_waitcnt lgkmcnt(0)
	v_or_b32_e32 v6, v6, v12
	v_and_b32_e32 v12, 1, v6
.LBB2028_98:
	s_or_b32 exec_lo, exec_lo, s5
	v_cmp_gt_u32_e32 vcc_lo, 28, v20
	v_add_nc_u32_e32 v38, 4, v20
	s_mov_b32 s5, exec_lo
	s_waitcnt lgkmcnt(0)
	v_cndmask_b32_e64 v6, 0, 4, vcc_lo
	v_add_lshl_u32 v37, v6, v20, 2
	ds_bpermute_b32 v13, v37, v4
	ds_bpermute_b32 v39, v37, v5
	;; [unrolled: 1-line block ×3, first 2 shown]
	v_cmpx_le_u32_e64 v38, v11
	s_cbranch_execz .LBB2028_104
; %bb.99:
	s_mov_b32 s6, exec_lo
	v_cmpx_ne_u32_e32 0, v12
	s_xor_b32 s6, exec_lo, s6
; %bb.100:
                                        ; implicit-def: $vgpr13
                                        ; implicit-def: $vgpr39
; %bb.101:
	s_andn2_saveexec_b32 s6, s6
	s_cbranch_execz .LBB2028_103
; %bb.102:
	s_waitcnt lgkmcnt(2)
	v_add_nc_u32_e32 v4, v4, v13
	s_waitcnt lgkmcnt(1)
	v_add_nc_u32_e32 v5, v5, v39
.LBB2028_103:
	s_or_b32 exec_lo, exec_lo, s6
	s_waitcnt lgkmcnt(0)
	v_or_b32_e32 v6, v6, v12
	v_and_b32_e32 v12, 1, v6
.LBB2028_104:
	s_or_b32 exec_lo, exec_lo, s5
	v_cmp_gt_u32_e32 vcc_lo, 24, v20
	v_add_nc_u32_e32 v40, 8, v20
	s_mov_b32 s5, exec_lo
	s_waitcnt lgkmcnt(0)
	v_cndmask_b32_e64 v6, 0, 8, vcc_lo
	v_add_lshl_u32 v39, v6, v20, 2
	ds_bpermute_b32 v13, v39, v4
	ds_bpermute_b32 v41, v39, v5
	ds_bpermute_b32 v6, v39, v12
	v_cmpx_le_u32_e64 v40, v11
	s_cbranch_execz .LBB2028_110
; %bb.105:
	s_mov_b32 s6, exec_lo
	v_cmpx_ne_u32_e32 0, v12
	s_xor_b32 s6, exec_lo, s6
; %bb.106:
                                        ; implicit-def: $vgpr13
                                        ; implicit-def: $vgpr41
; %bb.107:
	s_andn2_saveexec_b32 s6, s6
	s_cbranch_execz .LBB2028_109
; %bb.108:
	s_waitcnt lgkmcnt(2)
	v_add_nc_u32_e32 v4, v4, v13
	s_waitcnt lgkmcnt(1)
	v_add_nc_u32_e32 v5, v5, v41
.LBB2028_109:
	s_or_b32 exec_lo, exec_lo, s6
	s_waitcnt lgkmcnt(0)
	v_or_b32_e32 v6, v6, v12
	v_and_b32_e32 v12, 1, v6
.LBB2028_110:
	s_or_b32 exec_lo, exec_lo, s5
	s_waitcnt lgkmcnt(1)
	v_lshl_or_b32 v41, v20, 2, 64
	v_add_nc_u32_e32 v42, 16, v20
	s_mov_b32 s5, exec_lo
	ds_bpermute_b32 v13, v41, v4
	ds_bpermute_b32 v43, v41, v5
	s_waitcnt lgkmcnt(2)
	ds_bpermute_b32 v6, v41, v12
	v_cmpx_le_u32_e64 v42, v11
	s_cbranch_execz .LBB2028_116
; %bb.111:
	s_mov_b32 s6, exec_lo
	v_cmpx_ne_u32_e32 0, v12
	s_xor_b32 s6, exec_lo, s6
; %bb.112:
                                        ; implicit-def: $vgpr13
                                        ; implicit-def: $vgpr43
; %bb.113:
	s_andn2_saveexec_b32 s6, s6
	s_cbranch_execz .LBB2028_115
; %bb.114:
	s_waitcnt lgkmcnt(2)
	v_add_nc_u32_e32 v4, v4, v13
	s_waitcnt lgkmcnt(1)
	v_add_nc_u32_e32 v5, v5, v43
.LBB2028_115:
	s_or_b32 exec_lo, exec_lo, s6
	s_waitcnt lgkmcnt(0)
	v_or_b32_e32 v6, v6, v12
	v_and_b32_e32 v12, 1, v6
.LBB2028_116:
	s_or_b32 exec_lo, exec_lo, s5
	v_mov_b32_e32 v11, 0
	v_mov_b32_e32 v46, 2
	s_branch .LBB2028_120
.LBB2028_117:                           ;   in Loop: Header=BB2028_120 Depth=1
	s_or_b32 exec_lo, exec_lo, s6
	s_waitcnt lgkmcnt(0)
	v_or_b32_e32 v12, v6, v12
.LBB2028_118:                           ;   in Loop: Header=BB2028_120 Depth=1
	s_or_b32 exec_lo, exec_lo, s5
	s_waitcnt lgkmcnt(0)
	v_and_b32_e32 v6, 1, v44
	v_and_b32_e32 v12, 1, v12
	v_add_nc_u32_e32 v5, v5, v43
	v_cmp_eq_u16_sdwa vcc_lo, v44, v11 src0_sel:BYTE_0 src1_sel:DWORD
	v_add_nc_u32_e32 v13, v4, v45
	v_cmp_eq_u32_e64 s5, 1, v6
	v_cmp_eq_u32_e64 s6, 1, v12
	v_subrev_nc_u32_e32 v10, 32, v10
	v_cndmask_b32_e32 v4, v43, v5, vcc_lo
	v_cndmask_b32_e32 v5, v45, v13, vcc_lo
	s_or_b32 s5, s5, s6
	v_cndmask_b32_e64 v12, 0, 1, s5
	s_mov_b32 s5, 0
.LBB2028_119:                           ;   in Loop: Header=BB2028_120 Depth=1
	s_and_b32 vcc_lo, exec_lo, s5
	s_cbranch_vccnz .LBB2028_153
.LBB2028_120:                           ; =>This Loop Header: Depth=1
                                        ;     Child Loop BB2028_123 Depth 2
	v_cmp_ne_u16_sdwa s5, v7, v46 src0_sel:BYTE_0 src1_sel:DWORD
	s_waitcnt lgkmcnt(1)
	v_mov_b32_e32 v43, v4
	v_mov_b32_e32 v45, v5
	;; [unrolled: 1-line block ×3, first 2 shown]
                                        ; implicit-def: $vgpr4
                                        ; implicit-def: $vgpr7
                                        ; implicit-def: $vgpr12
                                        ; implicit-def: $vgpr5
	s_cmp_lg_u32 s5, exec_lo
	s_mov_b32 s5, -1
	s_cbranch_scc1 .LBB2028_119
; %bb.121:                              ;   in Loop: Header=BB2028_120 Depth=1
	v_lshlrev_b64 v[4:5], 4, v[10:11]
	v_add_co_u32 v12, vcc_lo, s16, v4
	v_add_co_ci_u32_e64 v13, null, s17, v5, vcc_lo
	s_waitcnt lgkmcnt(0)
	;;#ASMSTART
	global_load_dwordx4 v[4:7], v[12:13] off glc dlc	
s_waitcnt vmcnt(0)
	;;#ASMEND
	v_alignbit_b32 v51, v5, v4, 8
	v_alignbit_b32 v52, v5, v4, 16
	;; [unrolled: 1-line block ×3, first 2 shown]
	v_perm_b32 v48, v5, v6, 0x70605
	v_perm_b32 v50, v5, v6, 0x1000706
	;; [unrolled: 1-line block ×3, first 2 shown]
	v_cmp_eq_u16_sdwa s6, v7, v11 src0_sel:BYTE_0 src1_sel:DWORD
	s_and_saveexec_b32 s5, s6
	s_cbranch_execz .LBB2028_125
; %bb.122:                              ;   in Loop: Header=BB2028_120 Depth=1
	s_mov_b32 s6, 0
.LBB2028_123:                           ;   Parent Loop BB2028_120 Depth=1
                                        ; =>  This Inner Loop Header: Depth=2
	;;#ASMSTART
	global_load_dwordx4 v[4:7], v[12:13] off glc dlc	
s_waitcnt vmcnt(0)
	;;#ASMEND
	v_cmp_ne_u16_sdwa s13, v7, v11 src0_sel:BYTE_0 src1_sel:DWORD
	s_or_b32 s6, s13, s6
	s_andn2_b32 exec_lo, exec_lo, s6
	s_cbranch_execnz .LBB2028_123
; %bb.124:                              ;   in Loop: Header=BB2028_120 Depth=1
	s_or_b32 exec_lo, exec_lo, s6
	v_perm_b32 v47, v5, v6, 0x2010007
	v_perm_b32 v50, v5, v6, 0x1000706
	;; [unrolled: 1-line block ×3, first 2 shown]
	v_alignbit_b32 v49, v5, v4, 24
	v_alignbit_b32 v52, v5, v4, 16
	;; [unrolled: 1-line block ×3, first 2 shown]
.LBB2028_125:                           ;   in Loop: Header=BB2028_120 Depth=1
	s_or_b32 exec_lo, exec_lo, s5
	v_lshlrev_b32_e32 v12, 16, v52
	v_lshlrev_b32_e32 v13, 8, v51
	;; [unrolled: 1-line block ×4, first 2 shown]
	v_and_b32_e32 v4, 0xff, v4
	v_perm_b32 v12, v49, v12, 0x4020c0c
	v_and_b32_e32 v13, 0xff00, v13
	v_perm_b32 v47, v47, v50, 0x4020c0c
	v_and_b32_e32 v49, 0xff, v5
	v_and_b32_e32 v48, 0xff00, v48
	v_cmp_eq_u16_sdwa s5, v7, v46 src0_sel:BYTE_0 src1_sel:DWORD
	v_or3_b32 v5, v12, v13, v4
	v_and_b32_e32 v12, 0xff, v6
	v_or3_b32 v4, v47, v48, v49
	v_and_or_b32 v13, s5, v34, 0x80000000
	ds_bpermute_b32 v48, v14, v5
	ds_bpermute_b32 v47, v14, v12
	s_mov_b32 s5, exec_lo
	ds_bpermute_b32 v49, v14, v4
	v_ffbl_b32_e32 v13, v13
	v_cmpx_lt_u32_e64 v20, v13
	s_cbranch_execz .LBB2028_129
; %bb.126:                              ;   in Loop: Header=BB2028_120 Depth=1
	s_mov_b32 s6, exec_lo
	v_cmpx_eq_u32_e32 0, v12
	s_cbranch_execz .LBB2028_128
; %bb.127:                              ;   in Loop: Header=BB2028_120 Depth=1
	s_waitcnt lgkmcnt(2)
	v_add_nc_u32_e32 v5, v5, v48
	s_waitcnt lgkmcnt(0)
	v_add_nc_u32_e32 v4, v4, v49
.LBB2028_128:                           ;   in Loop: Header=BB2028_120 Depth=1
	s_or_b32 exec_lo, exec_lo, s6
	s_waitcnt lgkmcnt(1)
	v_or_b32_e32 v6, v47, v6
	v_and_b32_e32 v12, 1, v6
.LBB2028_129:                           ;   in Loop: Header=BB2028_120 Depth=1
	s_or_b32 exec_lo, exec_lo, s5
	s_waitcnt lgkmcnt(1)
	ds_bpermute_b32 v47, v35, v5
	ds_bpermute_b32 v48, v35, v4
	;; [unrolled: 1-line block ×3, first 2 shown]
	s_mov_b32 s5, exec_lo
	v_cmpx_le_u32_e64 v36, v13
	s_cbranch_execz .LBB2028_135
; %bb.130:                              ;   in Loop: Header=BB2028_120 Depth=1
	s_mov_b32 s6, exec_lo
	v_cmpx_ne_u32_e32 0, v12
	s_xor_b32 s6, exec_lo, s6
; %bb.131:                              ;   in Loop: Header=BB2028_120 Depth=1
                                        ; implicit-def: $vgpr47
                                        ; implicit-def: $vgpr48
; %bb.132:                              ;   in Loop: Header=BB2028_120 Depth=1
	s_andn2_saveexec_b32 s6, s6
	s_cbranch_execz .LBB2028_134
; %bb.133:                              ;   in Loop: Header=BB2028_120 Depth=1
	s_waitcnt lgkmcnt(2)
	v_add_nc_u32_e32 v5, v5, v47
	s_waitcnt lgkmcnt(1)
	v_add_nc_u32_e32 v4, v4, v48
.LBB2028_134:                           ;   in Loop: Header=BB2028_120 Depth=1
	s_or_b32 exec_lo, exec_lo, s6
	s_waitcnt lgkmcnt(0)
	v_or_b32_e32 v6, v6, v12
	v_and_b32_e32 v12, 1, v6
.LBB2028_135:                           ;   in Loop: Header=BB2028_120 Depth=1
	s_or_b32 exec_lo, exec_lo, s5
	s_waitcnt lgkmcnt(2)
	ds_bpermute_b32 v47, v37, v5
	s_waitcnt lgkmcnt(2)
	ds_bpermute_b32 v48, v37, v4
	s_waitcnt lgkmcnt(2)
	ds_bpermute_b32 v6, v37, v12
	s_mov_b32 s5, exec_lo
	v_cmpx_le_u32_e64 v38, v13
	s_cbranch_execz .LBB2028_141
; %bb.136:                              ;   in Loop: Header=BB2028_120 Depth=1
	s_mov_b32 s6, exec_lo
	v_cmpx_ne_u32_e32 0, v12
	s_xor_b32 s6, exec_lo, s6
; %bb.137:                              ;   in Loop: Header=BB2028_120 Depth=1
                                        ; implicit-def: $vgpr47
                                        ; implicit-def: $vgpr48
; %bb.138:                              ;   in Loop: Header=BB2028_120 Depth=1
	s_andn2_saveexec_b32 s6, s6
	s_cbranch_execz .LBB2028_140
; %bb.139:                              ;   in Loop: Header=BB2028_120 Depth=1
	s_waitcnt lgkmcnt(2)
	v_add_nc_u32_e32 v5, v5, v47
	s_waitcnt lgkmcnt(1)
	v_add_nc_u32_e32 v4, v4, v48
.LBB2028_140:                           ;   in Loop: Header=BB2028_120 Depth=1
	s_or_b32 exec_lo, exec_lo, s6
	s_waitcnt lgkmcnt(0)
	v_or_b32_e32 v6, v6, v12
	v_and_b32_e32 v12, 1, v6
.LBB2028_141:                           ;   in Loop: Header=BB2028_120 Depth=1
	s_or_b32 exec_lo, exec_lo, s5
	s_waitcnt lgkmcnt(2)
	ds_bpermute_b32 v47, v39, v5
	s_waitcnt lgkmcnt(2)
	ds_bpermute_b32 v48, v39, v4
	s_waitcnt lgkmcnt(2)
	ds_bpermute_b32 v6, v39, v12
	;; [unrolled: 31-line block ×3, first 2 shown]
	s_mov_b32 s5, exec_lo
	v_cmpx_le_u32_e64 v42, v13
	s_cbranch_execz .LBB2028_118
; %bb.148:                              ;   in Loop: Header=BB2028_120 Depth=1
	s_mov_b32 s6, exec_lo
	v_cmpx_ne_u32_e32 0, v12
	s_xor_b32 s6, exec_lo, s6
; %bb.149:                              ;   in Loop: Header=BB2028_120 Depth=1
                                        ; implicit-def: $vgpr47
                                        ; implicit-def: $vgpr48
; %bb.150:                              ;   in Loop: Header=BB2028_120 Depth=1
	s_andn2_saveexec_b32 s6, s6
	s_cbranch_execz .LBB2028_117
; %bb.151:                              ;   in Loop: Header=BB2028_120 Depth=1
	s_waitcnt lgkmcnt(2)
	v_add_nc_u32_e32 v5, v5, v47
	s_waitcnt lgkmcnt(1)
	v_add_nc_u32_e32 v4, v4, v48
	s_branch .LBB2028_117
.LBB2028_152:
                                        ; implicit-def: $vgpr11
                                        ; implicit-def: $vgpr9
                                        ; implicit-def: $vgpr6_vgpr7
	s_cbranch_execnz .LBB2028_160
	s_branch .LBB2028_222
.LBB2028_153:
	s_and_saveexec_b32 s13, s4
	s_cbranch_execz .LBB2028_155
; %bb.154:
	v_and_b32_e32 v5, 0xff, v3
	v_and_b32_e32 v3, 1, v3
	s_waitcnt lgkmcnt(0)
	v_and_b32_e32 v6, 1, v44
	v_mov_b32_e32 v4, 0
	s_mov_b32 s21, 0
	s_add_i32 s20, s19, 32
	v_cmp_eq_u32_e64 s5, 1, v3
	v_cmp_eq_u32_e64 s6, 1, v6
	v_cmp_eq_u64_e32 vcc_lo, 0, v[4:5]
	v_add_nc_u32_e32 v7, v43, v1
	v_add_nc_u32_e32 v4, v45, v2
	s_lshl_b64 s[20:21], s[20:21], 4
	s_or_b32 s5, s5, s6
	s_add_u32 s20, s16, s20
	s_addc_u32 s21, s17, s21
	v_mov_b32_e32 v5, s20
	v_cndmask_b32_e32 v1, v1, v7, vcc_lo
	v_cndmask_b32_e32 v2, v2, v4, vcc_lo
	v_cndmask_b32_e64 v3, 0, 1, s5
	v_mov_b32_e32 v4, 2
	v_mov_b32_e32 v6, s21
	;;#ASMSTART
	global_store_dwordx4 v[5:6], v[1:4] off	
s_waitcnt vmcnt(0)
	;;#ASMEND
.LBB2028_155:
	s_or_b32 exec_lo, exec_lo, s13
	s_and_b32 exec_lo, exec_lo, s0
	s_cbranch_execz .LBB2028_157
; %bb.156:
	v_mov_b32_e32 v1, 0
	ds_write2_b32 v1, v43, v45 offset0:21 offset1:22
	ds_write_b8 v1, v44 offset:92
.LBB2028_157:
	s_or_b32 exec_lo, exec_lo, s7
	v_mov_b32_e32 v1, 0
	s_waitcnt lgkmcnt(0)
	s_barrier
	buffer_gl0_inv
	ds_read2_b32 v[6:7], v1 offset0:21 offset1:22
	s_and_saveexec_b32 s5, s2
	s_cbranch_execz .LBB2028_159
; %bb.158:
	v_cndmask_b32_e64 v2, v31, v8, s4
	v_cndmask_b32_e64 v3, v32, v9, s4
	;; [unrolled: 1-line block ×3, first 2 shown]
	s_waitcnt lgkmcnt(0)
	v_add_nc_u32_e32 v5, v2, v6
	v_add_nc_u32_e32 v7, v3, v7
	v_cmp_eq_u32_sdwa vcc_lo, v4, v1 src0_sel:BYTE_0 src1_sel:DWORD
	v_cndmask_b32_e32 v6, v2, v5, vcc_lo
	v_cndmask_b32_e32 v7, v3, v7, vcc_lo
.LBB2028_159:
	s_or_b32 exec_lo, exec_lo, s5
	s_waitcnt lgkmcnt(0)
	v_add_nc_u32_e32 v1, v19, v6
	v_add_nc_u32_e32 v2, v18, v7
	v_cmp_eq_u32_e32 vcc_lo, 0, v17
	v_cndmask_b32_e32 v8, v19, v1, vcc_lo
	v_cndmask_b32_e32 v9, v18, v2, vcc_lo
	v_add_nc_u32_e32 v1, v16, v8
	v_add_nc_u32_e32 v2, v15, v9
	v_cndmask_b32_e64 v10, v16, v1, s3
	v_cndmask_b32_e64 v11, v15, v2, s3
	s_branch .LBB2028_222
.LBB2028_160:
	s_cmp_eq_u64 s[26:27], 0
	v_mov_b32_e32 v4, s24
	s_cselect_b32 s2, -1, 0
	s_cmp_eq_u64 s[22:23], 0
	v_mov_b32_e32 v5, s25
	s_cselect_b32 s3, -1, 0
	s_or_b32 s2, s2, s3
	s_and_b32 vcc_lo, exec_lo, s2
	s_cbranch_vccnz .LBB2028_162
; %bb.161:
	v_mov_b32_e32 v1, 0
	global_load_dwordx2 v[4:5], v1, s[22:23]
.LBB2028_162:
	v_mov_b32_e32 v1, 0
	s_mov_b32 s3, exec_lo
	v_cmp_eq_u16_sdwa s2, v21, v1 src0_sel:BYTE_0 src1_sel:DWORD
	v_cmp_eq_u16_sdwa vcc_lo, v26, v1 src0_sel:BYTE_0 src1_sel:DWORD
	v_cndmask_b32_e64 v3, v16, v28, s2
	v_cndmask_b32_e64 v6, v15, v29, s2
	v_cndmask_b32_e32 v2, 1, v27, vcc_lo
	v_cmp_eq_u16_e32 vcc_lo, 0, v24
	v_add_nc_u32_e32 v1, v23, v3
	v_add_nc_u32_e32 v3, v25, v6
	v_or_b32_e32 v9, v2, v22
	v_cndmask_b32_e32 v8, v23, v1, vcc_lo
	v_cndmask_b32_e32 v3, v25, v3, vcc_lo
	v_and_b32_e32 v1, 15, v20
	v_mov_b32_dpp v6, v9 row_shr:1 row_mask:0xf bank_mask:0xf
	v_mov_b32_dpp v7, v8 row_shr:1 row_mask:0xf bank_mask:0xf
	;; [unrolled: 1-line block ×3, first 2 shown]
	v_cmpx_ne_u32_e32 0, v1
	s_cbranch_execz .LBB2028_166
; %bb.163:
	s_mov_b32 s4, exec_lo
	v_cmpx_eq_u32_e32 0, v2
; %bb.164:
	v_add_nc_u32_e32 v8, v8, v7
	v_add_nc_u32_e32 v3, v3, v10
; %bb.165:
	s_or_b32 exec_lo, exec_lo, s4
	v_and_b32_e32 v6, 1, v6
	v_or3_b32 v9, v22, v6, v2
.LBB2028_166:
	s_or_b32 exec_lo, exec_lo, s3
	v_mov_b32_dpp v6, v8 row_shr:2 row_mask:0xf bank_mask:0xf
	v_mov_b32_dpp v7, v3 row_shr:2 row_mask:0xf bank_mask:0xf
	v_mov_b32_dpp v2, v9 row_shr:2 row_mask:0xf bank_mask:0xf
	s_mov_b32 s3, exec_lo
	v_cmpx_lt_u32_e32 1, v1
	s_cbranch_execz .LBB2028_172
; %bb.167:
	v_mov_b32_e32 v10, 0
	v_cmp_ne_u32_sdwa s4, v9, v10 src0_sel:BYTE_0 src1_sel:DWORD
	s_and_saveexec_b32 s5, s4
	s_xor_b32 s4, exec_lo, s5
; %bb.168:
                                        ; implicit-def: $vgpr6
                                        ; implicit-def: $vgpr7
; %bb.169:
	s_andn2_saveexec_b32 s4, s4
; %bb.170:
	v_add_nc_u32_e32 v8, v8, v6
	v_add_nc_u32_e32 v3, v3, v7
; %bb.171:
	s_or_b32 exec_lo, exec_lo, s4
	v_and_b32_e32 v2, 1, v2
	v_and_or_b32 v9, 0xffffff01, v9, v2
.LBB2028_172:
	s_or_b32 exec_lo, exec_lo, s3
	v_mov_b32_dpp v6, v8 row_shr:4 row_mask:0xf bank_mask:0xf
	v_mov_b32_dpp v7, v3 row_shr:4 row_mask:0xf bank_mask:0xf
	v_mov_b32_dpp v2, v9 row_shr:4 row_mask:0xf bank_mask:0xf
	s_mov_b32 s3, exec_lo
	v_cmpx_lt_u32_e32 3, v1
	s_cbranch_execz .LBB2028_178
; %bb.173:
	v_mov_b32_e32 v10, 0
	v_cmp_ne_u32_sdwa s4, v9, v10 src0_sel:BYTE_0 src1_sel:DWORD
	s_and_saveexec_b32 s5, s4
	s_xor_b32 s4, exec_lo, s5
; %bb.174:
                                        ; implicit-def: $vgpr6
                                        ; implicit-def: $vgpr7
; %bb.175:
	s_andn2_saveexec_b32 s4, s4
; %bb.176:
	v_add_nc_u32_e32 v8, v8, v6
	v_add_nc_u32_e32 v3, v3, v7
; %bb.177:
	s_or_b32 exec_lo, exec_lo, s4
	v_and_b32_e32 v2, 1, v2
	v_and_or_b32 v9, 0xffffff01, v9, v2
.LBB2028_178:
	;; [unrolled: 25-line block ×3, first 2 shown]
	s_or_b32 exec_lo, exec_lo, s3
	ds_swizzle_b32 v2, v8 offset:swizzle(BROADCAST,32,15)
	ds_swizzle_b32 v6, v3 offset:swizzle(BROADCAST,32,15)
	;; [unrolled: 1-line block ×3, first 2 shown]
	v_and_b32_e32 v7, 16, v20
	v_cmp_ne_u32_e32 vcc_lo, 0, v7
	v_mov_b32_e32 v7, v9
	s_and_saveexec_b32 s3, vcc_lo
	s_cbranch_execz .LBB2028_190
; %bb.185:
	v_mov_b32_e32 v7, 0
	v_cmp_ne_u32_sdwa s4, v9, v7 src0_sel:BYTE_0 src1_sel:DWORD
	s_and_saveexec_b32 s5, s4
	s_xor_b32 s4, exec_lo, s5
; %bb.186:
                                        ; implicit-def: $vgpr2
                                        ; implicit-def: $vgpr6
; %bb.187:
	s_andn2_saveexec_b32 s4, s4
	s_cbranch_execz .LBB2028_189
; %bb.188:
	s_waitcnt lgkmcnt(2)
	v_add_nc_u32_e32 v8, v8, v2
	s_waitcnt lgkmcnt(1)
	v_add_nc_u32_e32 v3, v3, v6
.LBB2028_189:
	s_or_b32 exec_lo, exec_lo, s4
	s_waitcnt lgkmcnt(0)
	v_or_b32_e32 v2, v1, v9
	v_and_b32_e32 v1, 1, v1
	v_and_b32_e32 v7, 1, v2
	v_and_or_b32 v9, 0xffffff01, v9, v1
.LBB2028_190:
	s_or_b32 exec_lo, exec_lo, s3
	s_waitcnt lgkmcnt(0)
	v_or_b32_e32 v1, 31, v0
	v_lshrrev_b32_e32 v10, 5, v0
	s_mov_b32 s3, exec_lo
	v_cmpx_eq_u32_e64 v0, v1
	s_cbranch_execz .LBB2028_192
; %bb.191:
	v_mul_u32_u24_e32 v1, 12, v10
	ds_write2_b32 v1, v8, v3 offset1:1
	ds_write_b8 v1, v7 offset:8
.LBB2028_192:
	s_or_b32 exec_lo, exec_lo, s3
	s_mov_b32 s3, exec_lo
	s_waitcnt vmcnt(0) lgkmcnt(0)
	s_barrier
	buffer_gl0_inv
	v_cmpx_gt_u32_e32 8, v0
	s_cbranch_execz .LBB2028_210
; %bb.193:
	v_mul_u32_u24_e32 v6, 12, v0
	v_and_b32_e32 v11, 7, v20
	s_mov_b32 s4, exec_lo
	ds_read2_b32 v[1:2], v6 offset1:1
	ds_read_b32 v7, v6 offset:8
	s_waitcnt lgkmcnt(1)
	v_mov_b32_dpp v13, v1 row_shr:1 row_mask:0xf bank_mask:0xf
	v_mov_b32_dpp v14, v2 row_shr:1 row_mask:0xf bank_mask:0xf
	s_waitcnt lgkmcnt(0)
	v_mov_b32_dpp v12, v7 row_shr:1 row_mask:0xf bank_mask:0xf
	v_cmpx_ne_u32_e32 0, v11
	s_cbranch_execz .LBB2028_197
; %bb.194:
	v_mov_b32_e32 v21, 0
	v_cmp_eq_u32_sdwa s6, v7, v21 src0_sel:BYTE_0 src1_sel:DWORD
	s_and_saveexec_b32 s5, s6
; %bb.195:
	v_add_nc_u32_e32 v1, v1, v13
	v_add_nc_u32_e32 v2, v2, v14
; %bb.196:
	s_or_b32 exec_lo, exec_lo, s5
	v_and_b32_e32 v12, 1, v12
	v_and_or_b32 v7, 0xffffff01, v7, v12
.LBB2028_197:
	s_or_b32 exec_lo, exec_lo, s4
	v_mov_b32_dpp v13, v1 row_shr:2 row_mask:0xf bank_mask:0xf
	v_mov_b32_dpp v14, v2 row_shr:2 row_mask:0xf bank_mask:0xf
	;; [unrolled: 1-line block ×3, first 2 shown]
	s_mov_b32 s4, exec_lo
	v_cmpx_lt_u32_e32 1, v11
	s_cbranch_execz .LBB2028_203
; %bb.198:
	v_mov_b32_e32 v21, 0
	v_cmp_ne_u32_sdwa s5, v7, v21 src0_sel:BYTE_0 src1_sel:DWORD
	s_and_saveexec_b32 s6, s5
	s_xor_b32 s5, exec_lo, s6
; %bb.199:
                                        ; implicit-def: $vgpr13
                                        ; implicit-def: $vgpr14
; %bb.200:
	s_andn2_saveexec_b32 s5, s5
; %bb.201:
	v_add_nc_u32_e32 v1, v1, v13
	v_add_nc_u32_e32 v2, v2, v14
; %bb.202:
	s_or_b32 exec_lo, exec_lo, s5
	v_and_b32_e32 v12, 1, v12
	v_and_or_b32 v7, 0xffffff01, v7, v12
.LBB2028_203:
	s_or_b32 exec_lo, exec_lo, s4
	v_mov_b32_dpp v13, v1 row_shr:4 row_mask:0xf bank_mask:0xf
	v_mov_b32_dpp v14, v2 row_shr:4 row_mask:0xf bank_mask:0xf
	;; [unrolled: 1-line block ×3, first 2 shown]
	s_mov_b32 s4, exec_lo
	v_cmpx_lt_u32_e32 3, v11
	s_cbranch_execz .LBB2028_209
; %bb.204:
	v_mov_b32_e32 v11, 0
	v_cmp_ne_u32_sdwa s5, v7, v11 src0_sel:BYTE_0 src1_sel:DWORD
	s_and_saveexec_b32 s6, s5
	s_xor_b32 s5, exec_lo, s6
; %bb.205:
                                        ; implicit-def: $vgpr13
                                        ; implicit-def: $vgpr14
; %bb.206:
	s_andn2_saveexec_b32 s5, s5
; %bb.207:
	v_add_nc_u32_e32 v1, v1, v13
	v_add_nc_u32_e32 v2, v2, v14
; %bb.208:
	s_or_b32 exec_lo, exec_lo, s5
	v_or_b32_e32 v7, v12, v7
	v_and_b32_e32 v7, 1, v7
.LBB2028_209:
	s_or_b32 exec_lo, exec_lo, s4
	ds_write2_b32 v6, v1, v2 offset1:1
	ds_write_b8 v6, v7 offset:8
.LBB2028_210:
	s_or_b32 exec_lo, exec_lo, s3
	v_mov_b32_e32 v7, v5
	v_mov_b32_e32 v6, v4
	s_mov_b32 s3, exec_lo
	s_waitcnt lgkmcnt(0)
	s_barrier
	buffer_gl0_inv
	v_cmpx_lt_u32_e32 31, v0
	s_cbranch_execz .LBB2028_216
; %bb.211:
	v_mad_u32_u24 v1, v10, 12, -4
	s_mov_b32 s4, exec_lo
                                        ; implicit-def: $vgpr6
	ds_read_u8 v2, v1
	v_mad_u32_u24 v1, v10, 12, -12
	s_waitcnt lgkmcnt(0)
	v_cmpx_ne_u16_e32 0, v2
	s_xor_b32 s4, exec_lo, s4
; %bb.212:
	ds_read2_b32 v[6:7], v1 offset1:1
                                        ; implicit-def: $vgpr1
; %bb.213:
	s_andn2_saveexec_b32 s4, s4
	s_cbranch_execz .LBB2028_215
; %bb.214:
	ds_read2_b32 v[1:2], v1 offset1:1
	s_waitcnt lgkmcnt(0)
	v_add_nc_u32_e32 v6, v1, v4
	v_add_nc_u32_e32 v7, v2, v5
.LBB2028_215:
	s_or_b32 exec_lo, exec_lo, s4
.LBB2028_216:
	s_or_b32 exec_lo, exec_lo, s3
	v_sub_co_u32 v2, s3, v20, 1
	v_mov_b32_e32 v1, 0
	s_waitcnt lgkmcnt(0)
	v_add_nc_u32_e32 v10, v8, v6
	v_add_nc_u32_e32 v11, v3, v7
	v_cmp_gt_i32_e32 vcc_lo, 0, v2
	ds_read_u8 v12, v1 offset:92
	v_cndmask_b32_e32 v2, v2, v20, vcc_lo
	v_cmp_eq_u32_sdwa vcc_lo, v9, v1 src0_sel:BYTE_0 src1_sel:DWORD
	v_lshlrev_b32_e32 v2, 2, v2
	v_cndmask_b32_e32 v8, v8, v10, vcc_lo
	v_cndmask_b32_e32 v3, v3, v11, vcc_lo
	ds_bpermute_b32 v8, v2, v8
	ds_bpermute_b32 v9, v2, v3
	s_waitcnt lgkmcnt(2)
	v_cmp_ne_u32_sdwa s4, v12, v1 src0_sel:WORD_0 src1_sel:DWORD
	v_and_b32_e32 v3, 0xffff, v12
	s_and_b32 vcc_lo, exec_lo, s4
	s_mov_b32 s4, 0
	s_cbranch_vccz .LBB2028_239
; %bb.217:
	ds_read2_b32 v[1:2], v1 offset0:21 offset1:22
	s_andn2_b32 vcc_lo, exec_lo, s4
	s_cbranch_vccnz .LBB2028_219
.LBB2028_218:
	s_waitcnt lgkmcnt(0)
	v_mov_b32_e32 v1, 0
	ds_read2_b32 v[1:2], v1 offset0:21 offset1:22
	s_waitcnt lgkmcnt(0)
	v_add_nc_u32_e32 v1, v1, v4
	v_add_nc_u32_e32 v2, v2, v5
.LBB2028_219:
	s_waitcnt lgkmcnt(1)
	v_cndmask_b32_e64 v6, v8, v6, s3
	s_waitcnt lgkmcnt(0)
	v_cndmask_b32_e64 v7, v9, v7, s3
	v_cmp_eq_u32_e32 vcc_lo, 0, v17
	v_cndmask_b32_e64 v6, v6, v4, s0
	v_cndmask_b32_e64 v7, v7, v5, s0
	v_add_nc_u32_e32 v4, v19, v6
	v_add_nc_u32_e32 v5, v18, v7
	v_cndmask_b32_e32 v8, v19, v4, vcc_lo
	v_cndmask_b32_e32 v9, v18, v5, vcc_lo
	v_add_nc_u32_e32 v5, v16, v8
	v_add_nc_u32_e32 v11, v15, v9
	s_and_saveexec_b32 s3, s0
	s_cbranch_execz .LBB2028_221
; %bb.220:
	s_add_u32 s4, s16, 0x200
	s_addc_u32 s5, s17, 0
	v_mov_b32_e32 v4, 2
	v_mov_b32_e32 v13, s5
	v_mov_b32_e32 v12, s4
	;;#ASMSTART
	global_store_dwordx4 v[12:13], v[1:4] off	
s_waitcnt vmcnt(0)
	;;#ASMEND
.LBB2028_221:
	s_or_b32 exec_lo, exec_lo, s3
	v_cndmask_b32_e64 v10, v16, v5, s2
	v_cndmask_b32_e64 v11, v15, v11, s2
.LBB2028_222:
	s_add_u32 s0, s14, s8
	s_addc_u32 s2, s15, s9
	s_add_u32 s0, s0, s10
	s_addc_u32 s2, s2, s11
	s_and_b32 vcc_lo, exec_lo, s1
	s_cbranch_vccz .LBB2028_234
; %bb.223:
	v_mov_b32_e32 v1, 0
	v_mov_b32_e32 v2, 0
	;; [unrolled: 1-line block ×3, first 2 shown]
	v_mul_u32_u24_e32 v5, 3, v0
	v_mov_b32_e32 v4, 0
	s_add_i32 s12, s12, s18
	v_mov_b32_e32 v13, v2
	v_mov_b32_e32 v12, v1
	s_mov_b32 s1, exec_lo
	v_cmpx_gt_u32_e64 s12, v5
	s_cbranch_execz .LBB2028_229
; %bb.224:
	v_mov_b32_e32 v3, 0
	v_mov_b32_e32 v1, 0
	v_add_nc_u32_e32 v12, 1, v5
	v_mov_b32_e32 v4, 0
	v_mov_b32_e32 v2, 0
	s_mov_b32 s3, exec_lo
	v_cmpx_gt_u32_e64 s12, v12
	s_cbranch_execz .LBB2028_228
; %bb.225:
	v_mov_b32_e32 v1, 0
	v_add_nc_u32_e32 v3, 2, v5
	v_mov_b32_e32 v2, 0
	s_mov_b32 s4, exec_lo
	v_cmpx_gt_u32_e64 s12, v3
; %bb.226:
	v_mov_b32_e32 v1, v10
	v_mov_b32_e32 v2, v11
; %bb.227:
	s_or_b32 exec_lo, exec_lo, s4
	v_mov_b32_e32 v3, v8
	v_mov_b32_e32 v4, v9
.LBB2028_228:
	s_or_b32 exec_lo, exec_lo, s3
	v_mov_b32_e32 v13, v7
	v_mov_b32_e32 v12, v6
.LBB2028_229:
	s_or_b32 exec_lo, exec_lo, s1
	v_lshlrev_b32_e32 v5, 3, v5
	v_lshlrev_b32_e32 v14, 4, v0
	s_barrier
	buffer_gl0_inv
	ds_write2_b64 v5, v[12:13], v[3:4] offset1:1
	v_sub_nc_u32_e32 v3, v5, v14
	ds_write_b64 v5, v[1:2] offset:16
	s_waitcnt lgkmcnt(0)
	s_barrier
	buffer_gl0_inv
	ds_read2st64_b64 v[1:4], v3 offset0:4 offset1:8
	v_lshlrev_b32_e32 v12, 3, v0
	v_add_co_u32 v12, s1, s0, v12
	v_add_co_ci_u32_e64 v13, null, s2, 0, s1
	s_mov_b32 s1, exec_lo
	v_cmpx_gt_u32_e64 s12, v0
	s_cbranch_execz .LBB2028_231
; %bb.230:
	v_sub_nc_u32_e32 v14, 0, v14
	v_add_nc_u32_e32 v5, v5, v14
	ds_read_b64 v[14:15], v5
	s_waitcnt lgkmcnt(0)
	flat_store_dwordx2 v[12:13], v[14:15]
.LBB2028_231:
	s_or_b32 exec_lo, exec_lo, s1
	v_or_b32_e32 v5, 0x100, v0
	s_mov_b32 s1, exec_lo
	v_cmpx_gt_u32_e64 s12, v5
	s_cbranch_execz .LBB2028_233
; %bb.232:
	v_add_co_u32 v12, vcc_lo, 0x800, v12
	v_add_co_ci_u32_e64 v13, null, 0, v13, vcc_lo
	s_waitcnt lgkmcnt(0)
	flat_store_dwordx2 v[12:13], v[1:2]
.LBB2028_233:
	s_or_b32 exec_lo, exec_lo, s1
	s_waitcnt lgkmcnt(0)
	v_or_b32_e32 v1, 0x200, v0
	v_cmp_gt_u32_e64 s1, s12, v1
	s_branch .LBB2028_236
.LBB2028_234:
	s_mov_b32 s1, 0
                                        ; implicit-def: $vgpr3_vgpr4
	s_cbranch_execz .LBB2028_236
; %bb.235:
	v_mul_u32_u24_e32 v1, 24, v0
	v_lshlrev_b32_e32 v2, 4, v0
	s_waitcnt_vscnt null, 0x0
	s_barrier
	buffer_gl0_inv
	ds_write2_b64 v1, v[6:7], v[8:9] offset1:1
	v_sub_nc_u32_e32 v2, v1, v2
	ds_write_b64 v1, v[10:11] offset:16
	s_waitcnt lgkmcnt(0)
	s_barrier
	buffer_gl0_inv
	ds_read2st64_b64 v[5:8], v2 offset1:4
	ds_read_b64 v[3:4], v2 offset:4096
	v_lshlrev_b32_e32 v1, 3, v0
	s_or_b32 s1, s1, exec_lo
	v_add_co_u32 v1, s3, s0, v1
	v_add_co_ci_u32_e64 v2, null, s2, 0, s3
	v_add_co_u32 v9, vcc_lo, 0x800, v1
	v_add_co_ci_u32_e64 v10, null, 0, v2, vcc_lo
	s_waitcnt lgkmcnt(1)
	flat_store_dwordx2 v[1:2], v[5:6]
	flat_store_dwordx2 v[9:10], v[7:8]
.LBB2028_236:
	s_and_saveexec_b32 s3, s1
	s_cbranch_execnz .LBB2028_238
; %bb.237:
	s_endpgm
.LBB2028_238:
	v_lshlrev_b32_e32 v0, 3, v0
	v_add_co_u32 v0, s0, s0, v0
	v_add_co_ci_u32_e64 v1, null, s2, 0, s0
	v_add_co_u32 v0, vcc_lo, 0x1000, v0
	v_add_co_ci_u32_e64 v1, null, 0, v1, vcc_lo
	s_waitcnt lgkmcnt(2)
	flat_store_dwordx2 v[0:1], v[3:4]
	s_endpgm
.LBB2028_239:
	s_branch .LBB2028_218
	.section	.rodata,"a",@progbits
	.p2align	6, 0x0
	.amdhsa_kernel _ZN7rocprim17ROCPRIM_400000_NS6detail17trampoline_kernelINS0_14default_configENS1_27scan_by_key_config_selectorIj11FixedVectorIiLj2EEEEZZNS1_16scan_by_key_implILNS1_25lookback_scan_determinismE0ELb1ES3_N6thrust23THRUST_200600_302600_NS6detail15normal_iteratorINSB_10device_ptrIjEEEENSD_INSE_IS6_EEEESI_S6_NSB_4plusIvEENSB_8equal_toIvEES6_EE10hipError_tPvRmT2_T3_T4_T5_mT6_T7_P12ihipStream_tbENKUlT_T0_E_clISt17integral_constantIbLb0EES12_IbLb1EEEEDaSY_SZ_EUlSY_E_NS1_11comp_targetILNS1_3genE8ELNS1_11target_archE1030ELNS1_3gpuE2ELNS1_3repE0EEENS1_30default_config_static_selectorELNS0_4arch9wavefront6targetE0EEEvT1_
		.amdhsa_group_segment_fixed_size 6144
		.amdhsa_private_segment_fixed_size 0
		.amdhsa_kernarg_size 120
		.amdhsa_user_sgpr_count 6
		.amdhsa_user_sgpr_private_segment_buffer 1
		.amdhsa_user_sgpr_dispatch_ptr 0
		.amdhsa_user_sgpr_queue_ptr 0
		.amdhsa_user_sgpr_kernarg_segment_ptr 1
		.amdhsa_user_sgpr_dispatch_id 0
		.amdhsa_user_sgpr_flat_scratch_init 0
		.amdhsa_user_sgpr_private_segment_size 0
		.amdhsa_wavefront_size32 1
		.amdhsa_uses_dynamic_stack 0
		.amdhsa_system_sgpr_private_segment_wavefront_offset 0
		.amdhsa_system_sgpr_workgroup_id_x 1
		.amdhsa_system_sgpr_workgroup_id_y 0
		.amdhsa_system_sgpr_workgroup_id_z 0
		.amdhsa_system_sgpr_workgroup_info 0
		.amdhsa_system_vgpr_workitem_id 0
		.amdhsa_next_free_vgpr 53
		.amdhsa_next_free_sgpr 32
		.amdhsa_reserve_vcc 1
		.amdhsa_reserve_flat_scratch 1
		.amdhsa_float_round_mode_32 0
		.amdhsa_float_round_mode_16_64 0
		.amdhsa_float_denorm_mode_32 3
		.amdhsa_float_denorm_mode_16_64 3
		.amdhsa_dx10_clamp 1
		.amdhsa_ieee_mode 1
		.amdhsa_fp16_overflow 0
		.amdhsa_workgroup_processor_mode 1
		.amdhsa_memory_ordered 1
		.amdhsa_forward_progress 1
		.amdhsa_shared_vgpr_count 0
		.amdhsa_exception_fp_ieee_invalid_op 0
		.amdhsa_exception_fp_denorm_src 0
		.amdhsa_exception_fp_ieee_div_zero 0
		.amdhsa_exception_fp_ieee_overflow 0
		.amdhsa_exception_fp_ieee_underflow 0
		.amdhsa_exception_fp_ieee_inexact 0
		.amdhsa_exception_int_div_zero 0
	.end_amdhsa_kernel
	.section	.text._ZN7rocprim17ROCPRIM_400000_NS6detail17trampoline_kernelINS0_14default_configENS1_27scan_by_key_config_selectorIj11FixedVectorIiLj2EEEEZZNS1_16scan_by_key_implILNS1_25lookback_scan_determinismE0ELb1ES3_N6thrust23THRUST_200600_302600_NS6detail15normal_iteratorINSB_10device_ptrIjEEEENSD_INSE_IS6_EEEESI_S6_NSB_4plusIvEENSB_8equal_toIvEES6_EE10hipError_tPvRmT2_T3_T4_T5_mT6_T7_P12ihipStream_tbENKUlT_T0_E_clISt17integral_constantIbLb0EES12_IbLb1EEEEDaSY_SZ_EUlSY_E_NS1_11comp_targetILNS1_3genE8ELNS1_11target_archE1030ELNS1_3gpuE2ELNS1_3repE0EEENS1_30default_config_static_selectorELNS0_4arch9wavefront6targetE0EEEvT1_,"axG",@progbits,_ZN7rocprim17ROCPRIM_400000_NS6detail17trampoline_kernelINS0_14default_configENS1_27scan_by_key_config_selectorIj11FixedVectorIiLj2EEEEZZNS1_16scan_by_key_implILNS1_25lookback_scan_determinismE0ELb1ES3_N6thrust23THRUST_200600_302600_NS6detail15normal_iteratorINSB_10device_ptrIjEEEENSD_INSE_IS6_EEEESI_S6_NSB_4plusIvEENSB_8equal_toIvEES6_EE10hipError_tPvRmT2_T3_T4_T5_mT6_T7_P12ihipStream_tbENKUlT_T0_E_clISt17integral_constantIbLb0EES12_IbLb1EEEEDaSY_SZ_EUlSY_E_NS1_11comp_targetILNS1_3genE8ELNS1_11target_archE1030ELNS1_3gpuE2ELNS1_3repE0EEENS1_30default_config_static_selectorELNS0_4arch9wavefront6targetE0EEEvT1_,comdat
.Lfunc_end2028:
	.size	_ZN7rocprim17ROCPRIM_400000_NS6detail17trampoline_kernelINS0_14default_configENS1_27scan_by_key_config_selectorIj11FixedVectorIiLj2EEEEZZNS1_16scan_by_key_implILNS1_25lookback_scan_determinismE0ELb1ES3_N6thrust23THRUST_200600_302600_NS6detail15normal_iteratorINSB_10device_ptrIjEEEENSD_INSE_IS6_EEEESI_S6_NSB_4plusIvEENSB_8equal_toIvEES6_EE10hipError_tPvRmT2_T3_T4_T5_mT6_T7_P12ihipStream_tbENKUlT_T0_E_clISt17integral_constantIbLb0EES12_IbLb1EEEEDaSY_SZ_EUlSY_E_NS1_11comp_targetILNS1_3genE8ELNS1_11target_archE1030ELNS1_3gpuE2ELNS1_3repE0EEENS1_30default_config_static_selectorELNS0_4arch9wavefront6targetE0EEEvT1_, .Lfunc_end2028-_ZN7rocprim17ROCPRIM_400000_NS6detail17trampoline_kernelINS0_14default_configENS1_27scan_by_key_config_selectorIj11FixedVectorIiLj2EEEEZZNS1_16scan_by_key_implILNS1_25lookback_scan_determinismE0ELb1ES3_N6thrust23THRUST_200600_302600_NS6detail15normal_iteratorINSB_10device_ptrIjEEEENSD_INSE_IS6_EEEESI_S6_NSB_4plusIvEENSB_8equal_toIvEES6_EE10hipError_tPvRmT2_T3_T4_T5_mT6_T7_P12ihipStream_tbENKUlT_T0_E_clISt17integral_constantIbLb0EES12_IbLb1EEEEDaSY_SZ_EUlSY_E_NS1_11comp_targetILNS1_3genE8ELNS1_11target_archE1030ELNS1_3gpuE2ELNS1_3repE0EEENS1_30default_config_static_selectorELNS0_4arch9wavefront6targetE0EEEvT1_
                                        ; -- End function
	.set _ZN7rocprim17ROCPRIM_400000_NS6detail17trampoline_kernelINS0_14default_configENS1_27scan_by_key_config_selectorIj11FixedVectorIiLj2EEEEZZNS1_16scan_by_key_implILNS1_25lookback_scan_determinismE0ELb1ES3_N6thrust23THRUST_200600_302600_NS6detail15normal_iteratorINSB_10device_ptrIjEEEENSD_INSE_IS6_EEEESI_S6_NSB_4plusIvEENSB_8equal_toIvEES6_EE10hipError_tPvRmT2_T3_T4_T5_mT6_T7_P12ihipStream_tbENKUlT_T0_E_clISt17integral_constantIbLb0EES12_IbLb1EEEEDaSY_SZ_EUlSY_E_NS1_11comp_targetILNS1_3genE8ELNS1_11target_archE1030ELNS1_3gpuE2ELNS1_3repE0EEENS1_30default_config_static_selectorELNS0_4arch9wavefront6targetE0EEEvT1_.num_vgpr, 53
	.set _ZN7rocprim17ROCPRIM_400000_NS6detail17trampoline_kernelINS0_14default_configENS1_27scan_by_key_config_selectorIj11FixedVectorIiLj2EEEEZZNS1_16scan_by_key_implILNS1_25lookback_scan_determinismE0ELb1ES3_N6thrust23THRUST_200600_302600_NS6detail15normal_iteratorINSB_10device_ptrIjEEEENSD_INSE_IS6_EEEESI_S6_NSB_4plusIvEENSB_8equal_toIvEES6_EE10hipError_tPvRmT2_T3_T4_T5_mT6_T7_P12ihipStream_tbENKUlT_T0_E_clISt17integral_constantIbLb0EES12_IbLb1EEEEDaSY_SZ_EUlSY_E_NS1_11comp_targetILNS1_3genE8ELNS1_11target_archE1030ELNS1_3gpuE2ELNS1_3repE0EEENS1_30default_config_static_selectorELNS0_4arch9wavefront6targetE0EEEvT1_.num_agpr, 0
	.set _ZN7rocprim17ROCPRIM_400000_NS6detail17trampoline_kernelINS0_14default_configENS1_27scan_by_key_config_selectorIj11FixedVectorIiLj2EEEEZZNS1_16scan_by_key_implILNS1_25lookback_scan_determinismE0ELb1ES3_N6thrust23THRUST_200600_302600_NS6detail15normal_iteratorINSB_10device_ptrIjEEEENSD_INSE_IS6_EEEESI_S6_NSB_4plusIvEENSB_8equal_toIvEES6_EE10hipError_tPvRmT2_T3_T4_T5_mT6_T7_P12ihipStream_tbENKUlT_T0_E_clISt17integral_constantIbLb0EES12_IbLb1EEEEDaSY_SZ_EUlSY_E_NS1_11comp_targetILNS1_3genE8ELNS1_11target_archE1030ELNS1_3gpuE2ELNS1_3repE0EEENS1_30default_config_static_selectorELNS0_4arch9wavefront6targetE0EEEvT1_.numbered_sgpr, 32
	.set _ZN7rocprim17ROCPRIM_400000_NS6detail17trampoline_kernelINS0_14default_configENS1_27scan_by_key_config_selectorIj11FixedVectorIiLj2EEEEZZNS1_16scan_by_key_implILNS1_25lookback_scan_determinismE0ELb1ES3_N6thrust23THRUST_200600_302600_NS6detail15normal_iteratorINSB_10device_ptrIjEEEENSD_INSE_IS6_EEEESI_S6_NSB_4plusIvEENSB_8equal_toIvEES6_EE10hipError_tPvRmT2_T3_T4_T5_mT6_T7_P12ihipStream_tbENKUlT_T0_E_clISt17integral_constantIbLb0EES12_IbLb1EEEEDaSY_SZ_EUlSY_E_NS1_11comp_targetILNS1_3genE8ELNS1_11target_archE1030ELNS1_3gpuE2ELNS1_3repE0EEENS1_30default_config_static_selectorELNS0_4arch9wavefront6targetE0EEEvT1_.num_named_barrier, 0
	.set _ZN7rocprim17ROCPRIM_400000_NS6detail17trampoline_kernelINS0_14default_configENS1_27scan_by_key_config_selectorIj11FixedVectorIiLj2EEEEZZNS1_16scan_by_key_implILNS1_25lookback_scan_determinismE0ELb1ES3_N6thrust23THRUST_200600_302600_NS6detail15normal_iteratorINSB_10device_ptrIjEEEENSD_INSE_IS6_EEEESI_S6_NSB_4plusIvEENSB_8equal_toIvEES6_EE10hipError_tPvRmT2_T3_T4_T5_mT6_T7_P12ihipStream_tbENKUlT_T0_E_clISt17integral_constantIbLb0EES12_IbLb1EEEEDaSY_SZ_EUlSY_E_NS1_11comp_targetILNS1_3genE8ELNS1_11target_archE1030ELNS1_3gpuE2ELNS1_3repE0EEENS1_30default_config_static_selectorELNS0_4arch9wavefront6targetE0EEEvT1_.private_seg_size, 0
	.set _ZN7rocprim17ROCPRIM_400000_NS6detail17trampoline_kernelINS0_14default_configENS1_27scan_by_key_config_selectorIj11FixedVectorIiLj2EEEEZZNS1_16scan_by_key_implILNS1_25lookback_scan_determinismE0ELb1ES3_N6thrust23THRUST_200600_302600_NS6detail15normal_iteratorINSB_10device_ptrIjEEEENSD_INSE_IS6_EEEESI_S6_NSB_4plusIvEENSB_8equal_toIvEES6_EE10hipError_tPvRmT2_T3_T4_T5_mT6_T7_P12ihipStream_tbENKUlT_T0_E_clISt17integral_constantIbLb0EES12_IbLb1EEEEDaSY_SZ_EUlSY_E_NS1_11comp_targetILNS1_3genE8ELNS1_11target_archE1030ELNS1_3gpuE2ELNS1_3repE0EEENS1_30default_config_static_selectorELNS0_4arch9wavefront6targetE0EEEvT1_.uses_vcc, 1
	.set _ZN7rocprim17ROCPRIM_400000_NS6detail17trampoline_kernelINS0_14default_configENS1_27scan_by_key_config_selectorIj11FixedVectorIiLj2EEEEZZNS1_16scan_by_key_implILNS1_25lookback_scan_determinismE0ELb1ES3_N6thrust23THRUST_200600_302600_NS6detail15normal_iteratorINSB_10device_ptrIjEEEENSD_INSE_IS6_EEEESI_S6_NSB_4plusIvEENSB_8equal_toIvEES6_EE10hipError_tPvRmT2_T3_T4_T5_mT6_T7_P12ihipStream_tbENKUlT_T0_E_clISt17integral_constantIbLb0EES12_IbLb1EEEEDaSY_SZ_EUlSY_E_NS1_11comp_targetILNS1_3genE8ELNS1_11target_archE1030ELNS1_3gpuE2ELNS1_3repE0EEENS1_30default_config_static_selectorELNS0_4arch9wavefront6targetE0EEEvT1_.uses_flat_scratch, 1
	.set _ZN7rocprim17ROCPRIM_400000_NS6detail17trampoline_kernelINS0_14default_configENS1_27scan_by_key_config_selectorIj11FixedVectorIiLj2EEEEZZNS1_16scan_by_key_implILNS1_25lookback_scan_determinismE0ELb1ES3_N6thrust23THRUST_200600_302600_NS6detail15normal_iteratorINSB_10device_ptrIjEEEENSD_INSE_IS6_EEEESI_S6_NSB_4plusIvEENSB_8equal_toIvEES6_EE10hipError_tPvRmT2_T3_T4_T5_mT6_T7_P12ihipStream_tbENKUlT_T0_E_clISt17integral_constantIbLb0EES12_IbLb1EEEEDaSY_SZ_EUlSY_E_NS1_11comp_targetILNS1_3genE8ELNS1_11target_archE1030ELNS1_3gpuE2ELNS1_3repE0EEENS1_30default_config_static_selectorELNS0_4arch9wavefront6targetE0EEEvT1_.has_dyn_sized_stack, 0
	.set _ZN7rocprim17ROCPRIM_400000_NS6detail17trampoline_kernelINS0_14default_configENS1_27scan_by_key_config_selectorIj11FixedVectorIiLj2EEEEZZNS1_16scan_by_key_implILNS1_25lookback_scan_determinismE0ELb1ES3_N6thrust23THRUST_200600_302600_NS6detail15normal_iteratorINSB_10device_ptrIjEEEENSD_INSE_IS6_EEEESI_S6_NSB_4plusIvEENSB_8equal_toIvEES6_EE10hipError_tPvRmT2_T3_T4_T5_mT6_T7_P12ihipStream_tbENKUlT_T0_E_clISt17integral_constantIbLb0EES12_IbLb1EEEEDaSY_SZ_EUlSY_E_NS1_11comp_targetILNS1_3genE8ELNS1_11target_archE1030ELNS1_3gpuE2ELNS1_3repE0EEENS1_30default_config_static_selectorELNS0_4arch9wavefront6targetE0EEEvT1_.has_recursion, 0
	.set _ZN7rocprim17ROCPRIM_400000_NS6detail17trampoline_kernelINS0_14default_configENS1_27scan_by_key_config_selectorIj11FixedVectorIiLj2EEEEZZNS1_16scan_by_key_implILNS1_25lookback_scan_determinismE0ELb1ES3_N6thrust23THRUST_200600_302600_NS6detail15normal_iteratorINSB_10device_ptrIjEEEENSD_INSE_IS6_EEEESI_S6_NSB_4plusIvEENSB_8equal_toIvEES6_EE10hipError_tPvRmT2_T3_T4_T5_mT6_T7_P12ihipStream_tbENKUlT_T0_E_clISt17integral_constantIbLb0EES12_IbLb1EEEEDaSY_SZ_EUlSY_E_NS1_11comp_targetILNS1_3genE8ELNS1_11target_archE1030ELNS1_3gpuE2ELNS1_3repE0EEENS1_30default_config_static_selectorELNS0_4arch9wavefront6targetE0EEEvT1_.has_indirect_call, 0
	.section	.AMDGPU.csdata,"",@progbits
; Kernel info:
; codeLenInByte = 7368
; TotalNumSgprs: 34
; NumVgprs: 53
; ScratchSize: 0
; MemoryBound: 0
; FloatMode: 240
; IeeeMode: 1
; LDSByteSize: 6144 bytes/workgroup (compile time only)
; SGPRBlocks: 0
; VGPRBlocks: 6
; NumSGPRsForWavesPerEU: 34
; NumVGPRsForWavesPerEU: 53
; Occupancy: 16
; WaveLimiterHint : 1
; COMPUTE_PGM_RSRC2:SCRATCH_EN: 0
; COMPUTE_PGM_RSRC2:USER_SGPR: 6
; COMPUTE_PGM_RSRC2:TRAP_HANDLER: 0
; COMPUTE_PGM_RSRC2:TGID_X_EN: 1
; COMPUTE_PGM_RSRC2:TGID_Y_EN: 0
; COMPUTE_PGM_RSRC2:TGID_Z_EN: 0
; COMPUTE_PGM_RSRC2:TIDIG_COMP_CNT: 0
	.section	.text._ZN6thrust23THRUST_200600_302600_NS11hip_rocprim14__parallel_for6kernelILj256ENS1_10for_each_fINS0_10device_ptrI11FixedVectorIiLj4EEEENS0_6detail16wrapped_functionINS9_23allocator_traits_detail5gozerEvEEEElLj1EEEvT0_T1_SG_,"axG",@progbits,_ZN6thrust23THRUST_200600_302600_NS11hip_rocprim14__parallel_for6kernelILj256ENS1_10for_each_fINS0_10device_ptrI11FixedVectorIiLj4EEEENS0_6detail16wrapped_functionINS9_23allocator_traits_detail5gozerEvEEEElLj1EEEvT0_T1_SG_,comdat
	.protected	_ZN6thrust23THRUST_200600_302600_NS11hip_rocprim14__parallel_for6kernelILj256ENS1_10for_each_fINS0_10device_ptrI11FixedVectorIiLj4EEEENS0_6detail16wrapped_functionINS9_23allocator_traits_detail5gozerEvEEEElLj1EEEvT0_T1_SG_ ; -- Begin function _ZN6thrust23THRUST_200600_302600_NS11hip_rocprim14__parallel_for6kernelILj256ENS1_10for_each_fINS0_10device_ptrI11FixedVectorIiLj4EEEENS0_6detail16wrapped_functionINS9_23allocator_traits_detail5gozerEvEEEElLj1EEEvT0_T1_SG_
	.globl	_ZN6thrust23THRUST_200600_302600_NS11hip_rocprim14__parallel_for6kernelILj256ENS1_10for_each_fINS0_10device_ptrI11FixedVectorIiLj4EEEENS0_6detail16wrapped_functionINS9_23allocator_traits_detail5gozerEvEEEElLj1EEEvT0_T1_SG_
	.p2align	8
	.type	_ZN6thrust23THRUST_200600_302600_NS11hip_rocprim14__parallel_for6kernelILj256ENS1_10for_each_fINS0_10device_ptrI11FixedVectorIiLj4EEEENS0_6detail16wrapped_functionINS9_23allocator_traits_detail5gozerEvEEEElLj1EEEvT0_T1_SG_,@function
_ZN6thrust23THRUST_200600_302600_NS11hip_rocprim14__parallel_for6kernelILj256ENS1_10for_each_fINS0_10device_ptrI11FixedVectorIiLj4EEEENS0_6detail16wrapped_functionINS9_23allocator_traits_detail5gozerEvEEEElLj1EEEvT0_T1_SG_: ; @_ZN6thrust23THRUST_200600_302600_NS11hip_rocprim14__parallel_for6kernelILj256ENS1_10for_each_fINS0_10device_ptrI11FixedVectorIiLj4EEEENS0_6detail16wrapped_functionINS9_23allocator_traits_detail5gozerEvEEEElLj1EEEvT0_T1_SG_
; %bb.0:
	s_endpgm
	.section	.rodata,"a",@progbits
	.p2align	6, 0x0
	.amdhsa_kernel _ZN6thrust23THRUST_200600_302600_NS11hip_rocprim14__parallel_for6kernelILj256ENS1_10for_each_fINS0_10device_ptrI11FixedVectorIiLj4EEEENS0_6detail16wrapped_functionINS9_23allocator_traits_detail5gozerEvEEEElLj1EEEvT0_T1_SG_
		.amdhsa_group_segment_fixed_size 0
		.amdhsa_private_segment_fixed_size 0
		.amdhsa_kernarg_size 32
		.amdhsa_user_sgpr_count 6
		.amdhsa_user_sgpr_private_segment_buffer 1
		.amdhsa_user_sgpr_dispatch_ptr 0
		.amdhsa_user_sgpr_queue_ptr 0
		.amdhsa_user_sgpr_kernarg_segment_ptr 1
		.amdhsa_user_sgpr_dispatch_id 0
		.amdhsa_user_sgpr_flat_scratch_init 0
		.amdhsa_user_sgpr_private_segment_size 0
		.amdhsa_wavefront_size32 1
		.amdhsa_uses_dynamic_stack 0
		.amdhsa_system_sgpr_private_segment_wavefront_offset 0
		.amdhsa_system_sgpr_workgroup_id_x 1
		.amdhsa_system_sgpr_workgroup_id_y 0
		.amdhsa_system_sgpr_workgroup_id_z 0
		.amdhsa_system_sgpr_workgroup_info 0
		.amdhsa_system_vgpr_workitem_id 0
		.amdhsa_next_free_vgpr 1
		.amdhsa_next_free_sgpr 1
		.amdhsa_reserve_vcc 0
		.amdhsa_reserve_flat_scratch 0
		.amdhsa_float_round_mode_32 0
		.amdhsa_float_round_mode_16_64 0
		.amdhsa_float_denorm_mode_32 3
		.amdhsa_float_denorm_mode_16_64 3
		.amdhsa_dx10_clamp 1
		.amdhsa_ieee_mode 1
		.amdhsa_fp16_overflow 0
		.amdhsa_workgroup_processor_mode 1
		.amdhsa_memory_ordered 1
		.amdhsa_forward_progress 1
		.amdhsa_shared_vgpr_count 0
		.amdhsa_exception_fp_ieee_invalid_op 0
		.amdhsa_exception_fp_denorm_src 0
		.amdhsa_exception_fp_ieee_div_zero 0
		.amdhsa_exception_fp_ieee_overflow 0
		.amdhsa_exception_fp_ieee_underflow 0
		.amdhsa_exception_fp_ieee_inexact 0
		.amdhsa_exception_int_div_zero 0
	.end_amdhsa_kernel
	.section	.text._ZN6thrust23THRUST_200600_302600_NS11hip_rocprim14__parallel_for6kernelILj256ENS1_10for_each_fINS0_10device_ptrI11FixedVectorIiLj4EEEENS0_6detail16wrapped_functionINS9_23allocator_traits_detail5gozerEvEEEElLj1EEEvT0_T1_SG_,"axG",@progbits,_ZN6thrust23THRUST_200600_302600_NS11hip_rocprim14__parallel_for6kernelILj256ENS1_10for_each_fINS0_10device_ptrI11FixedVectorIiLj4EEEENS0_6detail16wrapped_functionINS9_23allocator_traits_detail5gozerEvEEEElLj1EEEvT0_T1_SG_,comdat
.Lfunc_end2029:
	.size	_ZN6thrust23THRUST_200600_302600_NS11hip_rocprim14__parallel_for6kernelILj256ENS1_10for_each_fINS0_10device_ptrI11FixedVectorIiLj4EEEENS0_6detail16wrapped_functionINS9_23allocator_traits_detail5gozerEvEEEElLj1EEEvT0_T1_SG_, .Lfunc_end2029-_ZN6thrust23THRUST_200600_302600_NS11hip_rocprim14__parallel_for6kernelILj256ENS1_10for_each_fINS0_10device_ptrI11FixedVectorIiLj4EEEENS0_6detail16wrapped_functionINS9_23allocator_traits_detail5gozerEvEEEElLj1EEEvT0_T1_SG_
                                        ; -- End function
	.set _ZN6thrust23THRUST_200600_302600_NS11hip_rocprim14__parallel_for6kernelILj256ENS1_10for_each_fINS0_10device_ptrI11FixedVectorIiLj4EEEENS0_6detail16wrapped_functionINS9_23allocator_traits_detail5gozerEvEEEElLj1EEEvT0_T1_SG_.num_vgpr, 0
	.set _ZN6thrust23THRUST_200600_302600_NS11hip_rocprim14__parallel_for6kernelILj256ENS1_10for_each_fINS0_10device_ptrI11FixedVectorIiLj4EEEENS0_6detail16wrapped_functionINS9_23allocator_traits_detail5gozerEvEEEElLj1EEEvT0_T1_SG_.num_agpr, 0
	.set _ZN6thrust23THRUST_200600_302600_NS11hip_rocprim14__parallel_for6kernelILj256ENS1_10for_each_fINS0_10device_ptrI11FixedVectorIiLj4EEEENS0_6detail16wrapped_functionINS9_23allocator_traits_detail5gozerEvEEEElLj1EEEvT0_T1_SG_.numbered_sgpr, 0
	.set _ZN6thrust23THRUST_200600_302600_NS11hip_rocprim14__parallel_for6kernelILj256ENS1_10for_each_fINS0_10device_ptrI11FixedVectorIiLj4EEEENS0_6detail16wrapped_functionINS9_23allocator_traits_detail5gozerEvEEEElLj1EEEvT0_T1_SG_.num_named_barrier, 0
	.set _ZN6thrust23THRUST_200600_302600_NS11hip_rocprim14__parallel_for6kernelILj256ENS1_10for_each_fINS0_10device_ptrI11FixedVectorIiLj4EEEENS0_6detail16wrapped_functionINS9_23allocator_traits_detail5gozerEvEEEElLj1EEEvT0_T1_SG_.private_seg_size, 0
	.set _ZN6thrust23THRUST_200600_302600_NS11hip_rocprim14__parallel_for6kernelILj256ENS1_10for_each_fINS0_10device_ptrI11FixedVectorIiLj4EEEENS0_6detail16wrapped_functionINS9_23allocator_traits_detail5gozerEvEEEElLj1EEEvT0_T1_SG_.uses_vcc, 0
	.set _ZN6thrust23THRUST_200600_302600_NS11hip_rocprim14__parallel_for6kernelILj256ENS1_10for_each_fINS0_10device_ptrI11FixedVectorIiLj4EEEENS0_6detail16wrapped_functionINS9_23allocator_traits_detail5gozerEvEEEElLj1EEEvT0_T1_SG_.uses_flat_scratch, 0
	.set _ZN6thrust23THRUST_200600_302600_NS11hip_rocprim14__parallel_for6kernelILj256ENS1_10for_each_fINS0_10device_ptrI11FixedVectorIiLj4EEEENS0_6detail16wrapped_functionINS9_23allocator_traits_detail5gozerEvEEEElLj1EEEvT0_T1_SG_.has_dyn_sized_stack, 0
	.set _ZN6thrust23THRUST_200600_302600_NS11hip_rocprim14__parallel_for6kernelILj256ENS1_10for_each_fINS0_10device_ptrI11FixedVectorIiLj4EEEENS0_6detail16wrapped_functionINS9_23allocator_traits_detail5gozerEvEEEElLj1EEEvT0_T1_SG_.has_recursion, 0
	.set _ZN6thrust23THRUST_200600_302600_NS11hip_rocprim14__parallel_for6kernelILj256ENS1_10for_each_fINS0_10device_ptrI11FixedVectorIiLj4EEEENS0_6detail16wrapped_functionINS9_23allocator_traits_detail5gozerEvEEEElLj1EEEvT0_T1_SG_.has_indirect_call, 0
	.section	.AMDGPU.csdata,"",@progbits
; Kernel info:
; codeLenInByte = 4
; TotalNumSgprs: 0
; NumVgprs: 0
; ScratchSize: 0
; MemoryBound: 0
; FloatMode: 240
; IeeeMode: 1
; LDSByteSize: 0 bytes/workgroup (compile time only)
; SGPRBlocks: 0
; VGPRBlocks: 0
; NumSGPRsForWavesPerEU: 1
; NumVGPRsForWavesPerEU: 1
; Occupancy: 16
; WaveLimiterHint : 0
; COMPUTE_PGM_RSRC2:SCRATCH_EN: 0
; COMPUTE_PGM_RSRC2:USER_SGPR: 6
; COMPUTE_PGM_RSRC2:TRAP_HANDLER: 0
; COMPUTE_PGM_RSRC2:TGID_X_EN: 1
; COMPUTE_PGM_RSRC2:TGID_Y_EN: 0
; COMPUTE_PGM_RSRC2:TGID_Z_EN: 0
; COMPUTE_PGM_RSRC2:TIDIG_COMP_CNT: 0
	.section	.text._ZN6thrust23THRUST_200600_302600_NS11hip_rocprim14__parallel_for6kernelILj256ENS1_10for_each_fINS0_10device_ptrI11FixedVectorIiLj4EEEENS0_6detail16wrapped_functionINS9_23allocator_traits_detail24construct1_via_allocatorINS0_16device_allocatorIS7_EEEEvEEEEmLj1EEEvT0_T1_SJ_,"axG",@progbits,_ZN6thrust23THRUST_200600_302600_NS11hip_rocprim14__parallel_for6kernelILj256ENS1_10for_each_fINS0_10device_ptrI11FixedVectorIiLj4EEEENS0_6detail16wrapped_functionINS9_23allocator_traits_detail24construct1_via_allocatorINS0_16device_allocatorIS7_EEEEvEEEEmLj1EEEvT0_T1_SJ_,comdat
	.protected	_ZN6thrust23THRUST_200600_302600_NS11hip_rocprim14__parallel_for6kernelILj256ENS1_10for_each_fINS0_10device_ptrI11FixedVectorIiLj4EEEENS0_6detail16wrapped_functionINS9_23allocator_traits_detail24construct1_via_allocatorINS0_16device_allocatorIS7_EEEEvEEEEmLj1EEEvT0_T1_SJ_ ; -- Begin function _ZN6thrust23THRUST_200600_302600_NS11hip_rocprim14__parallel_for6kernelILj256ENS1_10for_each_fINS0_10device_ptrI11FixedVectorIiLj4EEEENS0_6detail16wrapped_functionINS9_23allocator_traits_detail24construct1_via_allocatorINS0_16device_allocatorIS7_EEEEvEEEEmLj1EEEvT0_T1_SJ_
	.globl	_ZN6thrust23THRUST_200600_302600_NS11hip_rocprim14__parallel_for6kernelILj256ENS1_10for_each_fINS0_10device_ptrI11FixedVectorIiLj4EEEENS0_6detail16wrapped_functionINS9_23allocator_traits_detail24construct1_via_allocatorINS0_16device_allocatorIS7_EEEEvEEEEmLj1EEEvT0_T1_SJ_
	.p2align	8
	.type	_ZN6thrust23THRUST_200600_302600_NS11hip_rocprim14__parallel_for6kernelILj256ENS1_10for_each_fINS0_10device_ptrI11FixedVectorIiLj4EEEENS0_6detail16wrapped_functionINS9_23allocator_traits_detail24construct1_via_allocatorINS0_16device_allocatorIS7_EEEEvEEEEmLj1EEEvT0_T1_SJ_,@function
_ZN6thrust23THRUST_200600_302600_NS11hip_rocprim14__parallel_for6kernelILj256ENS1_10for_each_fINS0_10device_ptrI11FixedVectorIiLj4EEEENS0_6detail16wrapped_functionINS9_23allocator_traits_detail24construct1_via_allocatorINS0_16device_allocatorIS7_EEEEvEEEEmLj1EEEvT0_T1_SJ_: ; @_ZN6thrust23THRUST_200600_302600_NS11hip_rocprim14__parallel_for6kernelILj256ENS1_10for_each_fINS0_10device_ptrI11FixedVectorIiLj4EEEENS0_6detail16wrapped_functionINS9_23allocator_traits_detail24construct1_via_allocatorINS0_16device_allocatorIS7_EEEEvEEEEmLj1EEEvT0_T1_SJ_
; %bb.0:
	s_clause 0x1
	s_load_dwordx4 s[8:11], s[4:5], 0x10
	s_load_dwordx2 s[0:1], s[4:5], 0x0
	s_lshl_b32 s2, s6, 8
	s_waitcnt lgkmcnt(0)
	s_add_u32 s2, s10, s2
	s_addc_u32 s3, s11, 0
	s_sub_u32 s4, s8, s2
	s_subb_u32 s5, s9, s3
	v_cmp_lt_u64_e64 s5, 0xff, s[4:5]
	s_and_b32 vcc_lo, exec_lo, s5
	s_mov_b32 s5, -1
	s_cbranch_vccnz .LBB2030_5
; %bb.1:
	s_mov_b32 s6, exec_lo
	v_cmpx_gt_u32_e64 s4, v0
	s_cbranch_execz .LBB2030_4
; %bb.2:
	v_lshlrev_b32_e32 v2, 4, v0
	s_lshl_b64 s[4:5], s[2:3], 4
	v_mov_b32_e32 v1, 0
	s_add_u32 s4, s0, s4
	s_addc_u32 s5, s1, s5
	v_add_co_u32 v2, s4, s4, v2
	v_add_co_ci_u32_e64 v3, null, s5, 0, s4
	s_mov_b64 s[4:5], 0
.LBB2030_3:                             ; =>This Inner Loop Header: Depth=1
	v_add_co_u32 v4, vcc_lo, v2, s4
	v_add_co_ci_u32_e64 v5, null, s5, v3, vcc_lo
	s_add_u32 s4, s4, 4
	s_addc_u32 s5, s5, 0
	s_cmp_lg_u32 s4, 16
	flat_store_dword v[4:5], v1
	s_cbranch_scc1 .LBB2030_3
.LBB2030_4:
	s_or_b32 exec_lo, exec_lo, s6
	s_mov_b32 s5, 0
.LBB2030_5:
	s_andn2_b32 vcc_lo, exec_lo, s5
	s_cbranch_vccnz .LBB2030_8
; %bb.6:
	v_lshlrev_b32_e32 v1, 4, v0
	s_lshl_b64 s[2:3], s[2:3], 4
	v_mov_b32_e32 v0, 0
	s_add_u32 s0, s0, s2
	s_addc_u32 s1, s1, s3
	v_add_co_u32 v1, s0, s0, v1
	v_add_co_ci_u32_e64 v2, null, s1, 0, s0
	s_mov_b64 s[0:1], 0
.LBB2030_7:                             ; =>This Inner Loop Header: Depth=1
	v_add_co_u32 v3, vcc_lo, v1, s0
	v_add_co_ci_u32_e64 v4, null, s1, v2, vcc_lo
	s_add_u32 s0, s0, 4
	s_addc_u32 s1, s1, 0
	s_cmp_eq_u32 s0, 16
	flat_store_dword v[3:4], v0
	s_cbranch_scc0 .LBB2030_7
.LBB2030_8:
	s_endpgm
	.section	.rodata,"a",@progbits
	.p2align	6, 0x0
	.amdhsa_kernel _ZN6thrust23THRUST_200600_302600_NS11hip_rocprim14__parallel_for6kernelILj256ENS1_10for_each_fINS0_10device_ptrI11FixedVectorIiLj4EEEENS0_6detail16wrapped_functionINS9_23allocator_traits_detail24construct1_via_allocatorINS0_16device_allocatorIS7_EEEEvEEEEmLj1EEEvT0_T1_SJ_
		.amdhsa_group_segment_fixed_size 0
		.amdhsa_private_segment_fixed_size 0
		.amdhsa_kernarg_size 32
		.amdhsa_user_sgpr_count 6
		.amdhsa_user_sgpr_private_segment_buffer 1
		.amdhsa_user_sgpr_dispatch_ptr 0
		.amdhsa_user_sgpr_queue_ptr 0
		.amdhsa_user_sgpr_kernarg_segment_ptr 1
		.amdhsa_user_sgpr_dispatch_id 0
		.amdhsa_user_sgpr_flat_scratch_init 0
		.amdhsa_user_sgpr_private_segment_size 0
		.amdhsa_wavefront_size32 1
		.amdhsa_uses_dynamic_stack 0
		.amdhsa_system_sgpr_private_segment_wavefront_offset 0
		.amdhsa_system_sgpr_workgroup_id_x 1
		.amdhsa_system_sgpr_workgroup_id_y 0
		.amdhsa_system_sgpr_workgroup_id_z 0
		.amdhsa_system_sgpr_workgroup_info 0
		.amdhsa_system_vgpr_workitem_id 0
		.amdhsa_next_free_vgpr 6
		.amdhsa_next_free_sgpr 12
		.amdhsa_reserve_vcc 1
		.amdhsa_reserve_flat_scratch 0
		.amdhsa_float_round_mode_32 0
		.amdhsa_float_round_mode_16_64 0
		.amdhsa_float_denorm_mode_32 3
		.amdhsa_float_denorm_mode_16_64 3
		.amdhsa_dx10_clamp 1
		.amdhsa_ieee_mode 1
		.amdhsa_fp16_overflow 0
		.amdhsa_workgroup_processor_mode 1
		.amdhsa_memory_ordered 1
		.amdhsa_forward_progress 1
		.amdhsa_shared_vgpr_count 0
		.amdhsa_exception_fp_ieee_invalid_op 0
		.amdhsa_exception_fp_denorm_src 0
		.amdhsa_exception_fp_ieee_div_zero 0
		.amdhsa_exception_fp_ieee_overflow 0
		.amdhsa_exception_fp_ieee_underflow 0
		.amdhsa_exception_fp_ieee_inexact 0
		.amdhsa_exception_int_div_zero 0
	.end_amdhsa_kernel
	.section	.text._ZN6thrust23THRUST_200600_302600_NS11hip_rocprim14__parallel_for6kernelILj256ENS1_10for_each_fINS0_10device_ptrI11FixedVectorIiLj4EEEENS0_6detail16wrapped_functionINS9_23allocator_traits_detail24construct1_via_allocatorINS0_16device_allocatorIS7_EEEEvEEEEmLj1EEEvT0_T1_SJ_,"axG",@progbits,_ZN6thrust23THRUST_200600_302600_NS11hip_rocprim14__parallel_for6kernelILj256ENS1_10for_each_fINS0_10device_ptrI11FixedVectorIiLj4EEEENS0_6detail16wrapped_functionINS9_23allocator_traits_detail24construct1_via_allocatorINS0_16device_allocatorIS7_EEEEvEEEEmLj1EEEvT0_T1_SJ_,comdat
.Lfunc_end2030:
	.size	_ZN6thrust23THRUST_200600_302600_NS11hip_rocprim14__parallel_for6kernelILj256ENS1_10for_each_fINS0_10device_ptrI11FixedVectorIiLj4EEEENS0_6detail16wrapped_functionINS9_23allocator_traits_detail24construct1_via_allocatorINS0_16device_allocatorIS7_EEEEvEEEEmLj1EEEvT0_T1_SJ_, .Lfunc_end2030-_ZN6thrust23THRUST_200600_302600_NS11hip_rocprim14__parallel_for6kernelILj256ENS1_10for_each_fINS0_10device_ptrI11FixedVectorIiLj4EEEENS0_6detail16wrapped_functionINS9_23allocator_traits_detail24construct1_via_allocatorINS0_16device_allocatorIS7_EEEEvEEEEmLj1EEEvT0_T1_SJ_
                                        ; -- End function
	.set _ZN6thrust23THRUST_200600_302600_NS11hip_rocprim14__parallel_for6kernelILj256ENS1_10for_each_fINS0_10device_ptrI11FixedVectorIiLj4EEEENS0_6detail16wrapped_functionINS9_23allocator_traits_detail24construct1_via_allocatorINS0_16device_allocatorIS7_EEEEvEEEEmLj1EEEvT0_T1_SJ_.num_vgpr, 6
	.set _ZN6thrust23THRUST_200600_302600_NS11hip_rocprim14__parallel_for6kernelILj256ENS1_10for_each_fINS0_10device_ptrI11FixedVectorIiLj4EEEENS0_6detail16wrapped_functionINS9_23allocator_traits_detail24construct1_via_allocatorINS0_16device_allocatorIS7_EEEEvEEEEmLj1EEEvT0_T1_SJ_.num_agpr, 0
	.set _ZN6thrust23THRUST_200600_302600_NS11hip_rocprim14__parallel_for6kernelILj256ENS1_10for_each_fINS0_10device_ptrI11FixedVectorIiLj4EEEENS0_6detail16wrapped_functionINS9_23allocator_traits_detail24construct1_via_allocatorINS0_16device_allocatorIS7_EEEEvEEEEmLj1EEEvT0_T1_SJ_.numbered_sgpr, 12
	.set _ZN6thrust23THRUST_200600_302600_NS11hip_rocprim14__parallel_for6kernelILj256ENS1_10for_each_fINS0_10device_ptrI11FixedVectorIiLj4EEEENS0_6detail16wrapped_functionINS9_23allocator_traits_detail24construct1_via_allocatorINS0_16device_allocatorIS7_EEEEvEEEEmLj1EEEvT0_T1_SJ_.num_named_barrier, 0
	.set _ZN6thrust23THRUST_200600_302600_NS11hip_rocprim14__parallel_for6kernelILj256ENS1_10for_each_fINS0_10device_ptrI11FixedVectorIiLj4EEEENS0_6detail16wrapped_functionINS9_23allocator_traits_detail24construct1_via_allocatorINS0_16device_allocatorIS7_EEEEvEEEEmLj1EEEvT0_T1_SJ_.private_seg_size, 0
	.set _ZN6thrust23THRUST_200600_302600_NS11hip_rocprim14__parallel_for6kernelILj256ENS1_10for_each_fINS0_10device_ptrI11FixedVectorIiLj4EEEENS0_6detail16wrapped_functionINS9_23allocator_traits_detail24construct1_via_allocatorINS0_16device_allocatorIS7_EEEEvEEEEmLj1EEEvT0_T1_SJ_.uses_vcc, 1
	.set _ZN6thrust23THRUST_200600_302600_NS11hip_rocprim14__parallel_for6kernelILj256ENS1_10for_each_fINS0_10device_ptrI11FixedVectorIiLj4EEEENS0_6detail16wrapped_functionINS9_23allocator_traits_detail24construct1_via_allocatorINS0_16device_allocatorIS7_EEEEvEEEEmLj1EEEvT0_T1_SJ_.uses_flat_scratch, 0
	.set _ZN6thrust23THRUST_200600_302600_NS11hip_rocprim14__parallel_for6kernelILj256ENS1_10for_each_fINS0_10device_ptrI11FixedVectorIiLj4EEEENS0_6detail16wrapped_functionINS9_23allocator_traits_detail24construct1_via_allocatorINS0_16device_allocatorIS7_EEEEvEEEEmLj1EEEvT0_T1_SJ_.has_dyn_sized_stack, 0
	.set _ZN6thrust23THRUST_200600_302600_NS11hip_rocprim14__parallel_for6kernelILj256ENS1_10for_each_fINS0_10device_ptrI11FixedVectorIiLj4EEEENS0_6detail16wrapped_functionINS9_23allocator_traits_detail24construct1_via_allocatorINS0_16device_allocatorIS7_EEEEvEEEEmLj1EEEvT0_T1_SJ_.has_recursion, 0
	.set _ZN6thrust23THRUST_200600_302600_NS11hip_rocprim14__parallel_for6kernelILj256ENS1_10for_each_fINS0_10device_ptrI11FixedVectorIiLj4EEEENS0_6detail16wrapped_functionINS9_23allocator_traits_detail24construct1_via_allocatorINS0_16device_allocatorIS7_EEEEvEEEEmLj1EEEvT0_T1_SJ_.has_indirect_call, 0
	.section	.AMDGPU.csdata,"",@progbits
; Kernel info:
; codeLenInByte = 264
; TotalNumSgprs: 14
; NumVgprs: 6
; ScratchSize: 0
; MemoryBound: 0
; FloatMode: 240
; IeeeMode: 1
; LDSByteSize: 0 bytes/workgroup (compile time only)
; SGPRBlocks: 0
; VGPRBlocks: 0
; NumSGPRsForWavesPerEU: 14
; NumVGPRsForWavesPerEU: 6
; Occupancy: 16
; WaveLimiterHint : 0
; COMPUTE_PGM_RSRC2:SCRATCH_EN: 0
; COMPUTE_PGM_RSRC2:USER_SGPR: 6
; COMPUTE_PGM_RSRC2:TRAP_HANDLER: 0
; COMPUTE_PGM_RSRC2:TGID_X_EN: 1
; COMPUTE_PGM_RSRC2:TGID_Y_EN: 0
; COMPUTE_PGM_RSRC2:TGID_Z_EN: 0
; COMPUTE_PGM_RSRC2:TIDIG_COMP_CNT: 0
	.section	.text._ZN7rocprim17ROCPRIM_400000_NS6detail30init_device_scan_by_key_kernelINS1_19lookback_scan_stateINS0_5tupleIJ11FixedVectorIiLj4EEbEEELb0ELb0EEEN6thrust23THRUST_200600_302600_NS6detail15normal_iteratorINSA_10device_ptrIjEEEEjNS1_16block_id_wrapperIjLb0EEEEEvT_jjPNSI_10value_typeET0_PNSt15iterator_traitsISL_E10value_typeEmT1_T2_,"axG",@progbits,_ZN7rocprim17ROCPRIM_400000_NS6detail30init_device_scan_by_key_kernelINS1_19lookback_scan_stateINS0_5tupleIJ11FixedVectorIiLj4EEbEEELb0ELb0EEEN6thrust23THRUST_200600_302600_NS6detail15normal_iteratorINSA_10device_ptrIjEEEEjNS1_16block_id_wrapperIjLb0EEEEEvT_jjPNSI_10value_typeET0_PNSt15iterator_traitsISL_E10value_typeEmT1_T2_,comdat
	.protected	_ZN7rocprim17ROCPRIM_400000_NS6detail30init_device_scan_by_key_kernelINS1_19lookback_scan_stateINS0_5tupleIJ11FixedVectorIiLj4EEbEEELb0ELb0EEEN6thrust23THRUST_200600_302600_NS6detail15normal_iteratorINSA_10device_ptrIjEEEEjNS1_16block_id_wrapperIjLb0EEEEEvT_jjPNSI_10value_typeET0_PNSt15iterator_traitsISL_E10value_typeEmT1_T2_ ; -- Begin function _ZN7rocprim17ROCPRIM_400000_NS6detail30init_device_scan_by_key_kernelINS1_19lookback_scan_stateINS0_5tupleIJ11FixedVectorIiLj4EEbEEELb0ELb0EEEN6thrust23THRUST_200600_302600_NS6detail15normal_iteratorINSA_10device_ptrIjEEEEjNS1_16block_id_wrapperIjLb0EEEEEvT_jjPNSI_10value_typeET0_PNSt15iterator_traitsISL_E10value_typeEmT1_T2_
	.globl	_ZN7rocprim17ROCPRIM_400000_NS6detail30init_device_scan_by_key_kernelINS1_19lookback_scan_stateINS0_5tupleIJ11FixedVectorIiLj4EEbEEELb0ELb0EEEN6thrust23THRUST_200600_302600_NS6detail15normal_iteratorINSA_10device_ptrIjEEEEjNS1_16block_id_wrapperIjLb0EEEEEvT_jjPNSI_10value_typeET0_PNSt15iterator_traitsISL_E10value_typeEmT1_T2_
	.p2align	8
	.type	_ZN7rocprim17ROCPRIM_400000_NS6detail30init_device_scan_by_key_kernelINS1_19lookback_scan_stateINS0_5tupleIJ11FixedVectorIiLj4EEbEEELb0ELb0EEEN6thrust23THRUST_200600_302600_NS6detail15normal_iteratorINSA_10device_ptrIjEEEEjNS1_16block_id_wrapperIjLb0EEEEEvT_jjPNSI_10value_typeET0_PNSt15iterator_traitsISL_E10value_typeEmT1_T2_,@function
_ZN7rocprim17ROCPRIM_400000_NS6detail30init_device_scan_by_key_kernelINS1_19lookback_scan_stateINS0_5tupleIJ11FixedVectorIiLj4EEbEEELb0ELb0EEEN6thrust23THRUST_200600_302600_NS6detail15normal_iteratorINSA_10device_ptrIjEEEEjNS1_16block_id_wrapperIjLb0EEEEEvT_jjPNSI_10value_typeET0_PNSt15iterator_traitsISL_E10value_typeEmT1_T2_: ; @_ZN7rocprim17ROCPRIM_400000_NS6detail30init_device_scan_by_key_kernelINS1_19lookback_scan_stateINS0_5tupleIJ11FixedVectorIiLj4EEbEEELb0ELb0EEEN6thrust23THRUST_200600_302600_NS6detail15normal_iteratorINSA_10device_ptrIjEEEEjNS1_16block_id_wrapperIjLb0EEEEEvT_jjPNSI_10value_typeET0_PNSt15iterator_traitsISL_E10value_typeEmT1_T2_
; %bb.0:
	s_clause 0x2
	s_load_dword s0, s[6:7], 0x54
	s_load_dwordx8 s[12:19], s[6:7], 0x10
	s_load_dword s9, s[6:7], 0x48
	s_waitcnt lgkmcnt(0)
	s_and_b32 s10, s0, 0xffff
	s_cmp_eq_u64 s[16:17], 0
	v_mad_u64_u32 v[3:4], null, s8, s10, v[0:1]
	s_cbranch_scc1 .LBB2031_8
; %bb.1:
	s_cmp_lt_u32 s15, s14
	s_mov_b32 s11, 0
	s_cselect_b32 s0, s15, 0
	s_mov_b32 s8, exec_lo
	v_cmpx_eq_u32_e64 s0, v3
	s_cbranch_execz .LBB2031_7
; %bb.2:
	s_load_dwordx2 s[0:1], s[4:5], 0x4
	s_waitcnt lgkmcnt(0)
	s_lshr_b32 s0, s0, 16
	v_mul_u32_u24_e32 v1, s1, v1
	s_mul_i32 s0, s0, s1
	v_mul_lo_u32 v0, s0, v0
	s_load_dwordx4 s[0:3], s[6:7], 0x0
	v_add3_u32 v0, v0, v1, v2
	v_mov_b32_e32 v1, 0
	v_mul_lo_u32 v0, v0, 20
	ds_write2_b32 v0, v1, v1 offset0:2 offset1:3
	ds_write2_b32 v0, v1, v1 offset1:1
	ds_write_b32 v0, v1 offset:16
.LBB2031_3:                             ; =>This Inner Loop Header: Depth=1
	v_add_nc_u32_e32 v2, s11, v0
	s_add_i32 s11, s11, 4
	s_cmp_lg_u32 s11, 16
	ds_write_b32 v2, v1
	s_cbranch_scc1 .LBB2031_3
; %bb.4:
	s_add_i32 s11, s15, 32
	v_mov_b32_e32 v1, 0
	v_mov_b32_e32 v2, s11
	s_add_u32 s4, s12, s11
	s_addc_u32 s5, s13, 0
	ds_write_b8 v0, v1 offset:16
	global_load_ubyte v2, v2, s[12:13] glc dlc
	s_waitcnt vmcnt(0)
	v_cmp_ne_u32_sdwa s20, v2, v1 src0_sel:WORD_0 src1_sel:DWORD
	v_readfirstlane_b32 s15, v2
	s_and_b32 vcc_lo, exec_lo, s20
	s_cbranch_vccnz .LBB2031_6
.LBB2031_5:                             ; =>This Inner Loop Header: Depth=1
	global_load_ubyte v2, v1, s[4:5] glc dlc
	s_waitcnt vmcnt(0)
	v_cmp_eq_u32_sdwa s20, v2, v1 src0_sel:WORD_0 src1_sel:DWORD
	v_readfirstlane_b32 s15, v2
	s_and_b32 vcc_lo, exec_lo, s20
	s_cbranch_vccnz .LBB2031_5
.LBB2031_6:
	s_and_b32 s4, 0xffff, s15
	v_mov_b32_e32 v1, 0
	s_cmp_eq_u32 s4, 1
	s_mul_i32 s4, s11, 20
	s_waitcnt lgkmcnt(0)
	s_cselect_b32 s0, s0, s2
	s_cselect_b32 s1, s1, s3
	s_mul_hi_u32 s2, s11, 20
	s_add_u32 s0, s0, s4
	s_addc_u32 s1, s1, s2
	buffer_gl1_inv
	buffer_gl0_inv
	s_clause 0x1
	global_load_dwordx4 v[4:7], v1, s[0:1]
	global_load_ubyte v2, v1, s[0:1] offset:16
	s_waitcnt vmcnt(1)
	ds_write2_b32 v0, v4, v5 offset1:1
	ds_write2_b32 v0, v6, v7 offset0:2 offset1:3
	global_store_dwordx4 v1, v[4:7], s[16:17]
	s_waitcnt vmcnt(0)
	global_store_byte v1, v2, s[16:17] offset:16
.LBB2031_7:
	s_or_b32 exec_lo, exec_lo, s8
.LBB2031_8:
	s_mov_b32 s0, exec_lo
	v_cmpx_gt_u32_e64 s14, v3
	s_cbranch_execz .LBB2031_10
; %bb.9:
	v_add_nc_u32_e32 v0, 32, v3
	v_mov_b32_e32 v1, 0
	global_store_byte v0, v1, s[12:13]
.LBB2031_10:
	s_or_b32 exec_lo, exec_lo, s0
	v_mov_b32_e32 v4, 0
	s_mov_b32 s0, exec_lo
	v_cmpx_gt_u32_e32 32, v3
	s_cbranch_execz .LBB2031_12
; %bb.11:
	v_add_co_u32 v0, s1, s12, v3
	v_add_co_ci_u32_e64 v1, null, s13, 0, s1
	v_mov_b32_e32 v2, 0xff
	global_store_byte v[0:1], v2, off
.LBB2031_12:
	s_or_b32 exec_lo, exec_lo, s0
	s_load_dwordx2 s[2:3], s[6:7], 0x38
	s_mov_b32 s0, exec_lo
	s_waitcnt lgkmcnt(0)
	v_cmpx_gt_u64_e64 s[2:3], v[3:4]
	s_cbranch_execz .LBB2031_15
; %bb.13:
	s_clause 0x1
	s_load_dword s5, s[6:7], 0x40
	s_load_dwordx2 s[6:7], s[6:7], 0x30
	s_mov_b32 s1, 0
	s_mul_i32 s4, s9, s10
	v_lshlrev_b64 v[5:6], 2, v[3:4]
	s_waitcnt lgkmcnt(0)
	v_mad_u64_u32 v[0:1], null, s5, v3, 0
	s_add_i32 s0, s5, -1
	s_mul_hi_u32 s9, s5, s4
	s_lshl_b64 s[10:11], s[0:1], 2
	s_mul_i32 s8, s5, s4
	s_add_u32 s0, s18, s10
	s_addc_u32 s5, s19, s11
	v_lshlrev_b64 v[0:1], 2, v[0:1]
	v_add_co_u32 v0, vcc_lo, s0, v0
	v_add_co_ci_u32_e64 v1, null, s5, v1, vcc_lo
	v_add_co_u32 v5, vcc_lo, s6, v5
	v_add_co_ci_u32_e64 v6, null, s7, v6, vcc_lo
	s_mov_b32 s5, s1
	s_lshl_b64 s[6:7], s[8:9], 2
	s_lshl_b64 s[8:9], s[4:5], 2
	.p2align	6
.LBB2031_14:                            ; =>This Inner Loop Header: Depth=1
	global_load_dword v2, v[0:1], off
	v_add_co_u32 v3, vcc_lo, v3, s4
	v_add_co_ci_u32_e64 v4, null, 0, v4, vcc_lo
	v_add_co_u32 v0, vcc_lo, v0, s6
	v_add_co_ci_u32_e64 v1, null, s7, v1, vcc_lo
	v_cmp_le_u64_e32 vcc_lo, s[2:3], v[3:4]
	s_or_b32 s1, vcc_lo, s1
	s_waitcnt vmcnt(0)
	global_store_dword v[5:6], v2, off
	v_add_co_u32 v5, s0, v5, s8
	v_add_co_ci_u32_e64 v6, null, s9, v6, s0
	s_andn2_b32 exec_lo, exec_lo, s1
	s_cbranch_execnz .LBB2031_14
.LBB2031_15:
	s_endpgm
	.section	.rodata,"a",@progbits
	.p2align	6, 0x0
	.amdhsa_kernel _ZN7rocprim17ROCPRIM_400000_NS6detail30init_device_scan_by_key_kernelINS1_19lookback_scan_stateINS0_5tupleIJ11FixedVectorIiLj4EEbEEELb0ELb0EEEN6thrust23THRUST_200600_302600_NS6detail15normal_iteratorINSA_10device_ptrIjEEEEjNS1_16block_id_wrapperIjLb0EEEEEvT_jjPNSI_10value_typeET0_PNSt15iterator_traitsISL_E10value_typeEmT1_T2_
		.amdhsa_group_segment_fixed_size 5120
		.amdhsa_private_segment_fixed_size 0
		.amdhsa_kernarg_size 328
		.amdhsa_user_sgpr_count 8
		.amdhsa_user_sgpr_private_segment_buffer 1
		.amdhsa_user_sgpr_dispatch_ptr 1
		.amdhsa_user_sgpr_queue_ptr 0
		.amdhsa_user_sgpr_kernarg_segment_ptr 1
		.amdhsa_user_sgpr_dispatch_id 0
		.amdhsa_user_sgpr_flat_scratch_init 0
		.amdhsa_user_sgpr_private_segment_size 0
		.amdhsa_wavefront_size32 1
		.amdhsa_uses_dynamic_stack 0
		.amdhsa_system_sgpr_private_segment_wavefront_offset 0
		.amdhsa_system_sgpr_workgroup_id_x 1
		.amdhsa_system_sgpr_workgroup_id_y 0
		.amdhsa_system_sgpr_workgroup_id_z 0
		.amdhsa_system_sgpr_workgroup_info 0
		.amdhsa_system_vgpr_workitem_id 2
		.amdhsa_next_free_vgpr 8
		.amdhsa_next_free_sgpr 21
		.amdhsa_reserve_vcc 1
		.amdhsa_reserve_flat_scratch 0
		.amdhsa_float_round_mode_32 0
		.amdhsa_float_round_mode_16_64 0
		.amdhsa_float_denorm_mode_32 3
		.amdhsa_float_denorm_mode_16_64 3
		.amdhsa_dx10_clamp 1
		.amdhsa_ieee_mode 1
		.amdhsa_fp16_overflow 0
		.amdhsa_workgroup_processor_mode 1
		.amdhsa_memory_ordered 1
		.amdhsa_forward_progress 1
		.amdhsa_shared_vgpr_count 0
		.amdhsa_exception_fp_ieee_invalid_op 0
		.amdhsa_exception_fp_denorm_src 0
		.amdhsa_exception_fp_ieee_div_zero 0
		.amdhsa_exception_fp_ieee_overflow 0
		.amdhsa_exception_fp_ieee_underflow 0
		.amdhsa_exception_fp_ieee_inexact 0
		.amdhsa_exception_int_div_zero 0
	.end_amdhsa_kernel
	.section	.text._ZN7rocprim17ROCPRIM_400000_NS6detail30init_device_scan_by_key_kernelINS1_19lookback_scan_stateINS0_5tupleIJ11FixedVectorIiLj4EEbEEELb0ELb0EEEN6thrust23THRUST_200600_302600_NS6detail15normal_iteratorINSA_10device_ptrIjEEEEjNS1_16block_id_wrapperIjLb0EEEEEvT_jjPNSI_10value_typeET0_PNSt15iterator_traitsISL_E10value_typeEmT1_T2_,"axG",@progbits,_ZN7rocprim17ROCPRIM_400000_NS6detail30init_device_scan_by_key_kernelINS1_19lookback_scan_stateINS0_5tupleIJ11FixedVectorIiLj4EEbEEELb0ELb0EEEN6thrust23THRUST_200600_302600_NS6detail15normal_iteratorINSA_10device_ptrIjEEEEjNS1_16block_id_wrapperIjLb0EEEEEvT_jjPNSI_10value_typeET0_PNSt15iterator_traitsISL_E10value_typeEmT1_T2_,comdat
.Lfunc_end2031:
	.size	_ZN7rocprim17ROCPRIM_400000_NS6detail30init_device_scan_by_key_kernelINS1_19lookback_scan_stateINS0_5tupleIJ11FixedVectorIiLj4EEbEEELb0ELb0EEEN6thrust23THRUST_200600_302600_NS6detail15normal_iteratorINSA_10device_ptrIjEEEEjNS1_16block_id_wrapperIjLb0EEEEEvT_jjPNSI_10value_typeET0_PNSt15iterator_traitsISL_E10value_typeEmT1_T2_, .Lfunc_end2031-_ZN7rocprim17ROCPRIM_400000_NS6detail30init_device_scan_by_key_kernelINS1_19lookback_scan_stateINS0_5tupleIJ11FixedVectorIiLj4EEbEEELb0ELb0EEEN6thrust23THRUST_200600_302600_NS6detail15normal_iteratorINSA_10device_ptrIjEEEEjNS1_16block_id_wrapperIjLb0EEEEEvT_jjPNSI_10value_typeET0_PNSt15iterator_traitsISL_E10value_typeEmT1_T2_
                                        ; -- End function
	.set _ZN7rocprim17ROCPRIM_400000_NS6detail30init_device_scan_by_key_kernelINS1_19lookback_scan_stateINS0_5tupleIJ11FixedVectorIiLj4EEbEEELb0ELb0EEEN6thrust23THRUST_200600_302600_NS6detail15normal_iteratorINSA_10device_ptrIjEEEEjNS1_16block_id_wrapperIjLb0EEEEEvT_jjPNSI_10value_typeET0_PNSt15iterator_traitsISL_E10value_typeEmT1_T2_.num_vgpr, 8
	.set _ZN7rocprim17ROCPRIM_400000_NS6detail30init_device_scan_by_key_kernelINS1_19lookback_scan_stateINS0_5tupleIJ11FixedVectorIiLj4EEbEEELb0ELb0EEEN6thrust23THRUST_200600_302600_NS6detail15normal_iteratorINSA_10device_ptrIjEEEEjNS1_16block_id_wrapperIjLb0EEEEEvT_jjPNSI_10value_typeET0_PNSt15iterator_traitsISL_E10value_typeEmT1_T2_.num_agpr, 0
	.set _ZN7rocprim17ROCPRIM_400000_NS6detail30init_device_scan_by_key_kernelINS1_19lookback_scan_stateINS0_5tupleIJ11FixedVectorIiLj4EEbEEELb0ELb0EEEN6thrust23THRUST_200600_302600_NS6detail15normal_iteratorINSA_10device_ptrIjEEEEjNS1_16block_id_wrapperIjLb0EEEEEvT_jjPNSI_10value_typeET0_PNSt15iterator_traitsISL_E10value_typeEmT1_T2_.numbered_sgpr, 21
	.set _ZN7rocprim17ROCPRIM_400000_NS6detail30init_device_scan_by_key_kernelINS1_19lookback_scan_stateINS0_5tupleIJ11FixedVectorIiLj4EEbEEELb0ELb0EEEN6thrust23THRUST_200600_302600_NS6detail15normal_iteratorINSA_10device_ptrIjEEEEjNS1_16block_id_wrapperIjLb0EEEEEvT_jjPNSI_10value_typeET0_PNSt15iterator_traitsISL_E10value_typeEmT1_T2_.num_named_barrier, 0
	.set _ZN7rocprim17ROCPRIM_400000_NS6detail30init_device_scan_by_key_kernelINS1_19lookback_scan_stateINS0_5tupleIJ11FixedVectorIiLj4EEbEEELb0ELb0EEEN6thrust23THRUST_200600_302600_NS6detail15normal_iteratorINSA_10device_ptrIjEEEEjNS1_16block_id_wrapperIjLb0EEEEEvT_jjPNSI_10value_typeET0_PNSt15iterator_traitsISL_E10value_typeEmT1_T2_.private_seg_size, 0
	.set _ZN7rocprim17ROCPRIM_400000_NS6detail30init_device_scan_by_key_kernelINS1_19lookback_scan_stateINS0_5tupleIJ11FixedVectorIiLj4EEbEEELb0ELb0EEEN6thrust23THRUST_200600_302600_NS6detail15normal_iteratorINSA_10device_ptrIjEEEEjNS1_16block_id_wrapperIjLb0EEEEEvT_jjPNSI_10value_typeET0_PNSt15iterator_traitsISL_E10value_typeEmT1_T2_.uses_vcc, 1
	.set _ZN7rocprim17ROCPRIM_400000_NS6detail30init_device_scan_by_key_kernelINS1_19lookback_scan_stateINS0_5tupleIJ11FixedVectorIiLj4EEbEEELb0ELb0EEEN6thrust23THRUST_200600_302600_NS6detail15normal_iteratorINSA_10device_ptrIjEEEEjNS1_16block_id_wrapperIjLb0EEEEEvT_jjPNSI_10value_typeET0_PNSt15iterator_traitsISL_E10value_typeEmT1_T2_.uses_flat_scratch, 0
	.set _ZN7rocprim17ROCPRIM_400000_NS6detail30init_device_scan_by_key_kernelINS1_19lookback_scan_stateINS0_5tupleIJ11FixedVectorIiLj4EEbEEELb0ELb0EEEN6thrust23THRUST_200600_302600_NS6detail15normal_iteratorINSA_10device_ptrIjEEEEjNS1_16block_id_wrapperIjLb0EEEEEvT_jjPNSI_10value_typeET0_PNSt15iterator_traitsISL_E10value_typeEmT1_T2_.has_dyn_sized_stack, 0
	.set _ZN7rocprim17ROCPRIM_400000_NS6detail30init_device_scan_by_key_kernelINS1_19lookback_scan_stateINS0_5tupleIJ11FixedVectorIiLj4EEbEEELb0ELb0EEEN6thrust23THRUST_200600_302600_NS6detail15normal_iteratorINSA_10device_ptrIjEEEEjNS1_16block_id_wrapperIjLb0EEEEEvT_jjPNSI_10value_typeET0_PNSt15iterator_traitsISL_E10value_typeEmT1_T2_.has_recursion, 0
	.set _ZN7rocprim17ROCPRIM_400000_NS6detail30init_device_scan_by_key_kernelINS1_19lookback_scan_stateINS0_5tupleIJ11FixedVectorIiLj4EEbEEELb0ELb0EEEN6thrust23THRUST_200600_302600_NS6detail15normal_iteratorINSA_10device_ptrIjEEEEjNS1_16block_id_wrapperIjLb0EEEEEvT_jjPNSI_10value_typeET0_PNSt15iterator_traitsISL_E10value_typeEmT1_T2_.has_indirect_call, 0
	.section	.AMDGPU.csdata,"",@progbits
; Kernel info:
; codeLenInByte = 792
; TotalNumSgprs: 23
; NumVgprs: 8
; ScratchSize: 0
; MemoryBound: 0
; FloatMode: 240
; IeeeMode: 1
; LDSByteSize: 5120 bytes/workgroup (compile time only)
; SGPRBlocks: 0
; VGPRBlocks: 0
; NumSGPRsForWavesPerEU: 23
; NumVGPRsForWavesPerEU: 8
; Occupancy: 16
; WaveLimiterHint : 0
; COMPUTE_PGM_RSRC2:SCRATCH_EN: 0
; COMPUTE_PGM_RSRC2:USER_SGPR: 8
; COMPUTE_PGM_RSRC2:TRAP_HANDLER: 0
; COMPUTE_PGM_RSRC2:TGID_X_EN: 1
; COMPUTE_PGM_RSRC2:TGID_Y_EN: 0
; COMPUTE_PGM_RSRC2:TGID_Z_EN: 0
; COMPUTE_PGM_RSRC2:TIDIG_COMP_CNT: 2
	.section	.text._ZN7rocprim17ROCPRIM_400000_NS6detail30init_device_scan_by_key_kernelINS1_19lookback_scan_stateINS0_5tupleIJ11FixedVectorIiLj4EEbEEELb0ELb0EEENS1_16block_id_wrapperIjLb0EEEEEvT_jjPNSB_10value_typeET0_,"axG",@progbits,_ZN7rocprim17ROCPRIM_400000_NS6detail30init_device_scan_by_key_kernelINS1_19lookback_scan_stateINS0_5tupleIJ11FixedVectorIiLj4EEbEEELb0ELb0EEENS1_16block_id_wrapperIjLb0EEEEEvT_jjPNSB_10value_typeET0_,comdat
	.protected	_ZN7rocprim17ROCPRIM_400000_NS6detail30init_device_scan_by_key_kernelINS1_19lookback_scan_stateINS0_5tupleIJ11FixedVectorIiLj4EEbEEELb0ELb0EEENS1_16block_id_wrapperIjLb0EEEEEvT_jjPNSB_10value_typeET0_ ; -- Begin function _ZN7rocprim17ROCPRIM_400000_NS6detail30init_device_scan_by_key_kernelINS1_19lookback_scan_stateINS0_5tupleIJ11FixedVectorIiLj4EEbEEELb0ELb0EEENS1_16block_id_wrapperIjLb0EEEEEvT_jjPNSB_10value_typeET0_
	.globl	_ZN7rocprim17ROCPRIM_400000_NS6detail30init_device_scan_by_key_kernelINS1_19lookback_scan_stateINS0_5tupleIJ11FixedVectorIiLj4EEbEEELb0ELb0EEENS1_16block_id_wrapperIjLb0EEEEEvT_jjPNSB_10value_typeET0_
	.p2align	8
	.type	_ZN7rocprim17ROCPRIM_400000_NS6detail30init_device_scan_by_key_kernelINS1_19lookback_scan_stateINS0_5tupleIJ11FixedVectorIiLj4EEbEEELb0ELb0EEENS1_16block_id_wrapperIjLb0EEEEEvT_jjPNSB_10value_typeET0_,@function
_ZN7rocprim17ROCPRIM_400000_NS6detail30init_device_scan_by_key_kernelINS1_19lookback_scan_stateINS0_5tupleIJ11FixedVectorIiLj4EEbEEELb0ELb0EEENS1_16block_id_wrapperIjLb0EEEEEvT_jjPNSB_10value_typeET0_: ; @_ZN7rocprim17ROCPRIM_400000_NS6detail30init_device_scan_by_key_kernelINS1_19lookback_scan_stateINS0_5tupleIJ11FixedVectorIiLj4EEbEEELb0ELb0EEENS1_16block_id_wrapperIjLb0EEEEEvT_jjPNSB_10value_typeET0_
; %bb.0:
	s_clause 0x2
	s_load_dword s9, s[6:7], 0x3c
	s_load_dwordx2 s[10:11], s[6:7], 0x20
	s_load_dwordx4 s[0:3], s[6:7], 0x10
	s_waitcnt lgkmcnt(0)
	s_and_b32 s9, s9, 0xffff
	s_cmp_eq_u64 s[10:11], 0
	v_mad_u64_u32 v[3:4], null, s8, s9, v[0:1]
	s_cbranch_scc1 .LBB2032_8
; %bb.1:
	s_cmp_lt_u32 s3, s2
	s_cselect_b32 s8, s3, 0
	v_cmp_eq_u32_e32 vcc_lo, s8, v3
	s_mov_b32 s8, 0
	s_and_saveexec_b32 s12, vcc_lo
	s_cbranch_execz .LBB2032_7
; %bb.2:
	s_load_dwordx2 s[4:5], s[4:5], 0x4
	s_waitcnt lgkmcnt(0)
	s_lshr_b32 s4, s4, 16
	v_mul_u32_u24_e32 v1, s5, v1
	s_mul_i32 s4, s4, s5
	v_mul_lo_u32 v0, s4, v0
	s_load_dwordx4 s[4:7], s[6:7], 0x0
	v_add3_u32 v0, v0, v1, v2
	v_mov_b32_e32 v1, 0
	v_mul_lo_u32 v0, v0, 20
	ds_write2_b32 v0, v1, v1 offset0:2 offset1:3
	ds_write2_b32 v0, v1, v1 offset1:1
	ds_write_b32 v0, v1 offset:16
.LBB2032_3:                             ; =>This Inner Loop Header: Depth=1
	v_add_nc_u32_e32 v2, s8, v0
	s_add_i32 s8, s8, 4
	s_cmp_lg_u32 s8, 16
	ds_write_b32 v2, v1
	s_cbranch_scc1 .LBB2032_3
; %bb.4:
	s_add_i32 s3, s3, 32
	v_mov_b32_e32 v1, 0
	v_mov_b32_e32 v2, s3
	s_add_u32 s8, s0, s3
	s_addc_u32 s9, s1, 0
	ds_write_b8 v0, v1 offset:16
	global_load_ubyte v2, v2, s[0:1] glc dlc
	s_waitcnt vmcnt(0)
	v_cmp_ne_u32_sdwa s14, v2, v1 src0_sel:WORD_0 src1_sel:DWORD
	v_readfirstlane_b32 s13, v2
	s_and_b32 vcc_lo, exec_lo, s14
	s_cbranch_vccnz .LBB2032_6
.LBB2032_5:                             ; =>This Inner Loop Header: Depth=1
	global_load_ubyte v2, v1, s[8:9] glc dlc
	s_waitcnt vmcnt(0)
	v_cmp_eq_u32_sdwa s14, v2, v1 src0_sel:WORD_0 src1_sel:DWORD
	v_readfirstlane_b32 s13, v2
	s_and_b32 vcc_lo, exec_lo, s14
	s_cbranch_vccnz .LBB2032_5
.LBB2032_6:
	s_and_b32 s8, 0xffff, s13
	v_mov_b32_e32 v1, 0
	s_cmp_eq_u32 s8, 1
	s_mul_i32 s8, s3, 20
	s_waitcnt lgkmcnt(0)
	s_cselect_b32 s4, s4, s6
	s_cselect_b32 s5, s5, s7
	s_mul_hi_u32 s3, s3, 20
	s_add_u32 s4, s4, s8
	s_addc_u32 s5, s5, s3
	buffer_gl1_inv
	buffer_gl0_inv
	s_clause 0x1
	global_load_dwordx4 v[4:7], v1, s[4:5]
	global_load_ubyte v2, v1, s[4:5] offset:16
	s_waitcnt vmcnt(1)
	ds_write2_b32 v0, v4, v5 offset1:1
	ds_write2_b32 v0, v6, v7 offset0:2 offset1:3
	global_store_dwordx4 v1, v[4:7], s[10:11]
	s_waitcnt vmcnt(0)
	global_store_byte v1, v2, s[10:11] offset:16
.LBB2032_7:
	s_or_b32 exec_lo, exec_lo, s12
.LBB2032_8:
	v_cmp_gt_u32_e32 vcc_lo, s2, v3
	s_and_saveexec_b32 s2, vcc_lo
	s_cbranch_execz .LBB2032_10
; %bb.9:
	v_add_nc_u32_e32 v0, 32, v3
	v_mov_b32_e32 v1, 0
	global_store_byte v0, v1, s[0:1]
.LBB2032_10:
	s_or_b32 exec_lo, exec_lo, s2
	s_mov_b32 s2, exec_lo
	v_cmpx_gt_u32_e32 32, v3
	s_cbranch_execz .LBB2032_12
; %bb.11:
	v_mov_b32_e32 v0, 0xff
	global_store_byte v3, v0, s[0:1]
.LBB2032_12:
	s_endpgm
	.section	.rodata,"a",@progbits
	.p2align	6, 0x0
	.amdhsa_kernel _ZN7rocprim17ROCPRIM_400000_NS6detail30init_device_scan_by_key_kernelINS1_19lookback_scan_stateINS0_5tupleIJ11FixedVectorIiLj4EEbEEELb0ELb0EEENS1_16block_id_wrapperIjLb0EEEEEvT_jjPNSB_10value_typeET0_
		.amdhsa_group_segment_fixed_size 5120
		.amdhsa_private_segment_fixed_size 0
		.amdhsa_kernarg_size 304
		.amdhsa_user_sgpr_count 8
		.amdhsa_user_sgpr_private_segment_buffer 1
		.amdhsa_user_sgpr_dispatch_ptr 1
		.amdhsa_user_sgpr_queue_ptr 0
		.amdhsa_user_sgpr_kernarg_segment_ptr 1
		.amdhsa_user_sgpr_dispatch_id 0
		.amdhsa_user_sgpr_flat_scratch_init 0
		.amdhsa_user_sgpr_private_segment_size 0
		.amdhsa_wavefront_size32 1
		.amdhsa_uses_dynamic_stack 0
		.amdhsa_system_sgpr_private_segment_wavefront_offset 0
		.amdhsa_system_sgpr_workgroup_id_x 1
		.amdhsa_system_sgpr_workgroup_id_y 0
		.amdhsa_system_sgpr_workgroup_id_z 0
		.amdhsa_system_sgpr_workgroup_info 0
		.amdhsa_system_vgpr_workitem_id 2
		.amdhsa_next_free_vgpr 8
		.amdhsa_next_free_sgpr 15
		.amdhsa_reserve_vcc 1
		.amdhsa_reserve_flat_scratch 0
		.amdhsa_float_round_mode_32 0
		.amdhsa_float_round_mode_16_64 0
		.amdhsa_float_denorm_mode_32 3
		.amdhsa_float_denorm_mode_16_64 3
		.amdhsa_dx10_clamp 1
		.amdhsa_ieee_mode 1
		.amdhsa_fp16_overflow 0
		.amdhsa_workgroup_processor_mode 1
		.amdhsa_memory_ordered 1
		.amdhsa_forward_progress 1
		.amdhsa_shared_vgpr_count 0
		.amdhsa_exception_fp_ieee_invalid_op 0
		.amdhsa_exception_fp_denorm_src 0
		.amdhsa_exception_fp_ieee_div_zero 0
		.amdhsa_exception_fp_ieee_overflow 0
		.amdhsa_exception_fp_ieee_underflow 0
		.amdhsa_exception_fp_ieee_inexact 0
		.amdhsa_exception_int_div_zero 0
	.end_amdhsa_kernel
	.section	.text._ZN7rocprim17ROCPRIM_400000_NS6detail30init_device_scan_by_key_kernelINS1_19lookback_scan_stateINS0_5tupleIJ11FixedVectorIiLj4EEbEEELb0ELb0EEENS1_16block_id_wrapperIjLb0EEEEEvT_jjPNSB_10value_typeET0_,"axG",@progbits,_ZN7rocprim17ROCPRIM_400000_NS6detail30init_device_scan_by_key_kernelINS1_19lookback_scan_stateINS0_5tupleIJ11FixedVectorIiLj4EEbEEELb0ELb0EEENS1_16block_id_wrapperIjLb0EEEEEvT_jjPNSB_10value_typeET0_,comdat
.Lfunc_end2032:
	.size	_ZN7rocprim17ROCPRIM_400000_NS6detail30init_device_scan_by_key_kernelINS1_19lookback_scan_stateINS0_5tupleIJ11FixedVectorIiLj4EEbEEELb0ELb0EEENS1_16block_id_wrapperIjLb0EEEEEvT_jjPNSB_10value_typeET0_, .Lfunc_end2032-_ZN7rocprim17ROCPRIM_400000_NS6detail30init_device_scan_by_key_kernelINS1_19lookback_scan_stateINS0_5tupleIJ11FixedVectorIiLj4EEbEEELb0ELb0EEENS1_16block_id_wrapperIjLb0EEEEEvT_jjPNSB_10value_typeET0_
                                        ; -- End function
	.set _ZN7rocprim17ROCPRIM_400000_NS6detail30init_device_scan_by_key_kernelINS1_19lookback_scan_stateINS0_5tupleIJ11FixedVectorIiLj4EEbEEELb0ELb0EEENS1_16block_id_wrapperIjLb0EEEEEvT_jjPNSB_10value_typeET0_.num_vgpr, 8
	.set _ZN7rocprim17ROCPRIM_400000_NS6detail30init_device_scan_by_key_kernelINS1_19lookback_scan_stateINS0_5tupleIJ11FixedVectorIiLj4EEbEEELb0ELb0EEENS1_16block_id_wrapperIjLb0EEEEEvT_jjPNSB_10value_typeET0_.num_agpr, 0
	.set _ZN7rocprim17ROCPRIM_400000_NS6detail30init_device_scan_by_key_kernelINS1_19lookback_scan_stateINS0_5tupleIJ11FixedVectorIiLj4EEbEEELb0ELb0EEENS1_16block_id_wrapperIjLb0EEEEEvT_jjPNSB_10value_typeET0_.numbered_sgpr, 15
	.set _ZN7rocprim17ROCPRIM_400000_NS6detail30init_device_scan_by_key_kernelINS1_19lookback_scan_stateINS0_5tupleIJ11FixedVectorIiLj4EEbEEELb0ELb0EEENS1_16block_id_wrapperIjLb0EEEEEvT_jjPNSB_10value_typeET0_.num_named_barrier, 0
	.set _ZN7rocprim17ROCPRIM_400000_NS6detail30init_device_scan_by_key_kernelINS1_19lookback_scan_stateINS0_5tupleIJ11FixedVectorIiLj4EEbEEELb0ELb0EEENS1_16block_id_wrapperIjLb0EEEEEvT_jjPNSB_10value_typeET0_.private_seg_size, 0
	.set _ZN7rocprim17ROCPRIM_400000_NS6detail30init_device_scan_by_key_kernelINS1_19lookback_scan_stateINS0_5tupleIJ11FixedVectorIiLj4EEbEEELb0ELb0EEENS1_16block_id_wrapperIjLb0EEEEEvT_jjPNSB_10value_typeET0_.uses_vcc, 1
	.set _ZN7rocprim17ROCPRIM_400000_NS6detail30init_device_scan_by_key_kernelINS1_19lookback_scan_stateINS0_5tupleIJ11FixedVectorIiLj4EEbEEELb0ELb0EEENS1_16block_id_wrapperIjLb0EEEEEvT_jjPNSB_10value_typeET0_.uses_flat_scratch, 0
	.set _ZN7rocprim17ROCPRIM_400000_NS6detail30init_device_scan_by_key_kernelINS1_19lookback_scan_stateINS0_5tupleIJ11FixedVectorIiLj4EEbEEELb0ELb0EEENS1_16block_id_wrapperIjLb0EEEEEvT_jjPNSB_10value_typeET0_.has_dyn_sized_stack, 0
	.set _ZN7rocprim17ROCPRIM_400000_NS6detail30init_device_scan_by_key_kernelINS1_19lookback_scan_stateINS0_5tupleIJ11FixedVectorIiLj4EEbEEELb0ELb0EEENS1_16block_id_wrapperIjLb0EEEEEvT_jjPNSB_10value_typeET0_.has_recursion, 0
	.set _ZN7rocprim17ROCPRIM_400000_NS6detail30init_device_scan_by_key_kernelINS1_19lookback_scan_stateINS0_5tupleIJ11FixedVectorIiLj4EEbEEELb0ELb0EEENS1_16block_id_wrapperIjLb0EEEEEvT_jjPNSB_10value_typeET0_.has_indirect_call, 0
	.section	.AMDGPU.csdata,"",@progbits
; Kernel info:
; codeLenInByte = 468
; TotalNumSgprs: 17
; NumVgprs: 8
; ScratchSize: 0
; MemoryBound: 0
; FloatMode: 240
; IeeeMode: 1
; LDSByteSize: 5120 bytes/workgroup (compile time only)
; SGPRBlocks: 0
; VGPRBlocks: 0
; NumSGPRsForWavesPerEU: 17
; NumVGPRsForWavesPerEU: 8
; Occupancy: 16
; WaveLimiterHint : 0
; COMPUTE_PGM_RSRC2:SCRATCH_EN: 0
; COMPUTE_PGM_RSRC2:USER_SGPR: 8
; COMPUTE_PGM_RSRC2:TRAP_HANDLER: 0
; COMPUTE_PGM_RSRC2:TGID_X_EN: 1
; COMPUTE_PGM_RSRC2:TGID_Y_EN: 0
; COMPUTE_PGM_RSRC2:TGID_Z_EN: 0
; COMPUTE_PGM_RSRC2:TIDIG_COMP_CNT: 2
	.section	.text._ZN7rocprim17ROCPRIM_400000_NS6detail17trampoline_kernelINS0_14default_configENS1_27scan_by_key_config_selectorIj11FixedVectorIiLj4EEEEZZNS1_16scan_by_key_implILNS1_25lookback_scan_determinismE0ELb0ES3_N6thrust23THRUST_200600_302600_NS6detail15normal_iteratorINSB_10device_ptrIjEEEENSD_INSE_IS6_EEEESI_S6_NSB_4plusIvEENSB_8equal_toIvEES6_EE10hipError_tPvRmT2_T3_T4_T5_mT6_T7_P12ihipStream_tbENKUlT_T0_E_clISt17integral_constantIbLb0EES13_EEDaSY_SZ_EUlSY_E_NS1_11comp_targetILNS1_3genE0ELNS1_11target_archE4294967295ELNS1_3gpuE0ELNS1_3repE0EEENS1_30default_config_static_selectorELNS0_4arch9wavefront6targetE0EEEvT1_,"axG",@progbits,_ZN7rocprim17ROCPRIM_400000_NS6detail17trampoline_kernelINS0_14default_configENS1_27scan_by_key_config_selectorIj11FixedVectorIiLj4EEEEZZNS1_16scan_by_key_implILNS1_25lookback_scan_determinismE0ELb0ES3_N6thrust23THRUST_200600_302600_NS6detail15normal_iteratorINSB_10device_ptrIjEEEENSD_INSE_IS6_EEEESI_S6_NSB_4plusIvEENSB_8equal_toIvEES6_EE10hipError_tPvRmT2_T3_T4_T5_mT6_T7_P12ihipStream_tbENKUlT_T0_E_clISt17integral_constantIbLb0EES13_EEDaSY_SZ_EUlSY_E_NS1_11comp_targetILNS1_3genE0ELNS1_11target_archE4294967295ELNS1_3gpuE0ELNS1_3repE0EEENS1_30default_config_static_selectorELNS0_4arch9wavefront6targetE0EEEvT1_,comdat
	.protected	_ZN7rocprim17ROCPRIM_400000_NS6detail17trampoline_kernelINS0_14default_configENS1_27scan_by_key_config_selectorIj11FixedVectorIiLj4EEEEZZNS1_16scan_by_key_implILNS1_25lookback_scan_determinismE0ELb0ES3_N6thrust23THRUST_200600_302600_NS6detail15normal_iteratorINSB_10device_ptrIjEEEENSD_INSE_IS6_EEEESI_S6_NSB_4plusIvEENSB_8equal_toIvEES6_EE10hipError_tPvRmT2_T3_T4_T5_mT6_T7_P12ihipStream_tbENKUlT_T0_E_clISt17integral_constantIbLb0EES13_EEDaSY_SZ_EUlSY_E_NS1_11comp_targetILNS1_3genE0ELNS1_11target_archE4294967295ELNS1_3gpuE0ELNS1_3repE0EEENS1_30default_config_static_selectorELNS0_4arch9wavefront6targetE0EEEvT1_ ; -- Begin function _ZN7rocprim17ROCPRIM_400000_NS6detail17trampoline_kernelINS0_14default_configENS1_27scan_by_key_config_selectorIj11FixedVectorIiLj4EEEEZZNS1_16scan_by_key_implILNS1_25lookback_scan_determinismE0ELb0ES3_N6thrust23THRUST_200600_302600_NS6detail15normal_iteratorINSB_10device_ptrIjEEEENSD_INSE_IS6_EEEESI_S6_NSB_4plusIvEENSB_8equal_toIvEES6_EE10hipError_tPvRmT2_T3_T4_T5_mT6_T7_P12ihipStream_tbENKUlT_T0_E_clISt17integral_constantIbLb0EES13_EEDaSY_SZ_EUlSY_E_NS1_11comp_targetILNS1_3genE0ELNS1_11target_archE4294967295ELNS1_3gpuE0ELNS1_3repE0EEENS1_30default_config_static_selectorELNS0_4arch9wavefront6targetE0EEEvT1_
	.globl	_ZN7rocprim17ROCPRIM_400000_NS6detail17trampoline_kernelINS0_14default_configENS1_27scan_by_key_config_selectorIj11FixedVectorIiLj4EEEEZZNS1_16scan_by_key_implILNS1_25lookback_scan_determinismE0ELb0ES3_N6thrust23THRUST_200600_302600_NS6detail15normal_iteratorINSB_10device_ptrIjEEEENSD_INSE_IS6_EEEESI_S6_NSB_4plusIvEENSB_8equal_toIvEES6_EE10hipError_tPvRmT2_T3_T4_T5_mT6_T7_P12ihipStream_tbENKUlT_T0_E_clISt17integral_constantIbLb0EES13_EEDaSY_SZ_EUlSY_E_NS1_11comp_targetILNS1_3genE0ELNS1_11target_archE4294967295ELNS1_3gpuE0ELNS1_3repE0EEENS1_30default_config_static_selectorELNS0_4arch9wavefront6targetE0EEEvT1_
	.p2align	8
	.type	_ZN7rocprim17ROCPRIM_400000_NS6detail17trampoline_kernelINS0_14default_configENS1_27scan_by_key_config_selectorIj11FixedVectorIiLj4EEEEZZNS1_16scan_by_key_implILNS1_25lookback_scan_determinismE0ELb0ES3_N6thrust23THRUST_200600_302600_NS6detail15normal_iteratorINSB_10device_ptrIjEEEENSD_INSE_IS6_EEEESI_S6_NSB_4plusIvEENSB_8equal_toIvEES6_EE10hipError_tPvRmT2_T3_T4_T5_mT6_T7_P12ihipStream_tbENKUlT_T0_E_clISt17integral_constantIbLb0EES13_EEDaSY_SZ_EUlSY_E_NS1_11comp_targetILNS1_3genE0ELNS1_11target_archE4294967295ELNS1_3gpuE0ELNS1_3repE0EEENS1_30default_config_static_selectorELNS0_4arch9wavefront6targetE0EEEvT1_,@function
_ZN7rocprim17ROCPRIM_400000_NS6detail17trampoline_kernelINS0_14default_configENS1_27scan_by_key_config_selectorIj11FixedVectorIiLj4EEEEZZNS1_16scan_by_key_implILNS1_25lookback_scan_determinismE0ELb0ES3_N6thrust23THRUST_200600_302600_NS6detail15normal_iteratorINSB_10device_ptrIjEEEENSD_INSE_IS6_EEEESI_S6_NSB_4plusIvEENSB_8equal_toIvEES6_EE10hipError_tPvRmT2_T3_T4_T5_mT6_T7_P12ihipStream_tbENKUlT_T0_E_clISt17integral_constantIbLb0EES13_EEDaSY_SZ_EUlSY_E_NS1_11comp_targetILNS1_3genE0ELNS1_11target_archE4294967295ELNS1_3gpuE0ELNS1_3repE0EEENS1_30default_config_static_selectorELNS0_4arch9wavefront6targetE0EEEvT1_: ; @_ZN7rocprim17ROCPRIM_400000_NS6detail17trampoline_kernelINS0_14default_configENS1_27scan_by_key_config_selectorIj11FixedVectorIiLj4EEEEZZNS1_16scan_by_key_implILNS1_25lookback_scan_determinismE0ELb0ES3_N6thrust23THRUST_200600_302600_NS6detail15normal_iteratorINSB_10device_ptrIjEEEENSD_INSE_IS6_EEEESI_S6_NSB_4plusIvEENSB_8equal_toIvEES6_EE10hipError_tPvRmT2_T3_T4_T5_mT6_T7_P12ihipStream_tbENKUlT_T0_E_clISt17integral_constantIbLb0EES13_EEDaSY_SZ_EUlSY_E_NS1_11comp_targetILNS1_3genE0ELNS1_11target_archE4294967295ELNS1_3gpuE0ELNS1_3repE0EEENS1_30default_config_static_selectorELNS0_4arch9wavefront6targetE0EEEvT1_
; %bb.0:
	.section	.rodata,"a",@progbits
	.p2align	6, 0x0
	.amdhsa_kernel _ZN7rocprim17ROCPRIM_400000_NS6detail17trampoline_kernelINS0_14default_configENS1_27scan_by_key_config_selectorIj11FixedVectorIiLj4EEEEZZNS1_16scan_by_key_implILNS1_25lookback_scan_determinismE0ELb0ES3_N6thrust23THRUST_200600_302600_NS6detail15normal_iteratorINSB_10device_ptrIjEEEENSD_INSE_IS6_EEEESI_S6_NSB_4plusIvEENSB_8equal_toIvEES6_EE10hipError_tPvRmT2_T3_T4_T5_mT6_T7_P12ihipStream_tbENKUlT_T0_E_clISt17integral_constantIbLb0EES13_EEDaSY_SZ_EUlSY_E_NS1_11comp_targetILNS1_3genE0ELNS1_11target_archE4294967295ELNS1_3gpuE0ELNS1_3repE0EEENS1_30default_config_static_selectorELNS0_4arch9wavefront6targetE0EEEvT1_
		.amdhsa_group_segment_fixed_size 0
		.amdhsa_private_segment_fixed_size 0
		.amdhsa_kernarg_size 144
		.amdhsa_user_sgpr_count 6
		.amdhsa_user_sgpr_private_segment_buffer 1
		.amdhsa_user_sgpr_dispatch_ptr 0
		.amdhsa_user_sgpr_queue_ptr 0
		.amdhsa_user_sgpr_kernarg_segment_ptr 1
		.amdhsa_user_sgpr_dispatch_id 0
		.amdhsa_user_sgpr_flat_scratch_init 0
		.amdhsa_user_sgpr_private_segment_size 0
		.amdhsa_wavefront_size32 1
		.amdhsa_uses_dynamic_stack 0
		.amdhsa_system_sgpr_private_segment_wavefront_offset 0
		.amdhsa_system_sgpr_workgroup_id_x 1
		.amdhsa_system_sgpr_workgroup_id_y 0
		.amdhsa_system_sgpr_workgroup_id_z 0
		.amdhsa_system_sgpr_workgroup_info 0
		.amdhsa_system_vgpr_workitem_id 0
		.amdhsa_next_free_vgpr 1
		.amdhsa_next_free_sgpr 1
		.amdhsa_reserve_vcc 0
		.amdhsa_reserve_flat_scratch 0
		.amdhsa_float_round_mode_32 0
		.amdhsa_float_round_mode_16_64 0
		.amdhsa_float_denorm_mode_32 3
		.amdhsa_float_denorm_mode_16_64 3
		.amdhsa_dx10_clamp 1
		.amdhsa_ieee_mode 1
		.amdhsa_fp16_overflow 0
		.amdhsa_workgroup_processor_mode 1
		.amdhsa_memory_ordered 1
		.amdhsa_forward_progress 1
		.amdhsa_shared_vgpr_count 0
		.amdhsa_exception_fp_ieee_invalid_op 0
		.amdhsa_exception_fp_denorm_src 0
		.amdhsa_exception_fp_ieee_div_zero 0
		.amdhsa_exception_fp_ieee_overflow 0
		.amdhsa_exception_fp_ieee_underflow 0
		.amdhsa_exception_fp_ieee_inexact 0
		.amdhsa_exception_int_div_zero 0
	.end_amdhsa_kernel
	.section	.text._ZN7rocprim17ROCPRIM_400000_NS6detail17trampoline_kernelINS0_14default_configENS1_27scan_by_key_config_selectorIj11FixedVectorIiLj4EEEEZZNS1_16scan_by_key_implILNS1_25lookback_scan_determinismE0ELb0ES3_N6thrust23THRUST_200600_302600_NS6detail15normal_iteratorINSB_10device_ptrIjEEEENSD_INSE_IS6_EEEESI_S6_NSB_4plusIvEENSB_8equal_toIvEES6_EE10hipError_tPvRmT2_T3_T4_T5_mT6_T7_P12ihipStream_tbENKUlT_T0_E_clISt17integral_constantIbLb0EES13_EEDaSY_SZ_EUlSY_E_NS1_11comp_targetILNS1_3genE0ELNS1_11target_archE4294967295ELNS1_3gpuE0ELNS1_3repE0EEENS1_30default_config_static_selectorELNS0_4arch9wavefront6targetE0EEEvT1_,"axG",@progbits,_ZN7rocprim17ROCPRIM_400000_NS6detail17trampoline_kernelINS0_14default_configENS1_27scan_by_key_config_selectorIj11FixedVectorIiLj4EEEEZZNS1_16scan_by_key_implILNS1_25lookback_scan_determinismE0ELb0ES3_N6thrust23THRUST_200600_302600_NS6detail15normal_iteratorINSB_10device_ptrIjEEEENSD_INSE_IS6_EEEESI_S6_NSB_4plusIvEENSB_8equal_toIvEES6_EE10hipError_tPvRmT2_T3_T4_T5_mT6_T7_P12ihipStream_tbENKUlT_T0_E_clISt17integral_constantIbLb0EES13_EEDaSY_SZ_EUlSY_E_NS1_11comp_targetILNS1_3genE0ELNS1_11target_archE4294967295ELNS1_3gpuE0ELNS1_3repE0EEENS1_30default_config_static_selectorELNS0_4arch9wavefront6targetE0EEEvT1_,comdat
.Lfunc_end2033:
	.size	_ZN7rocprim17ROCPRIM_400000_NS6detail17trampoline_kernelINS0_14default_configENS1_27scan_by_key_config_selectorIj11FixedVectorIiLj4EEEEZZNS1_16scan_by_key_implILNS1_25lookback_scan_determinismE0ELb0ES3_N6thrust23THRUST_200600_302600_NS6detail15normal_iteratorINSB_10device_ptrIjEEEENSD_INSE_IS6_EEEESI_S6_NSB_4plusIvEENSB_8equal_toIvEES6_EE10hipError_tPvRmT2_T3_T4_T5_mT6_T7_P12ihipStream_tbENKUlT_T0_E_clISt17integral_constantIbLb0EES13_EEDaSY_SZ_EUlSY_E_NS1_11comp_targetILNS1_3genE0ELNS1_11target_archE4294967295ELNS1_3gpuE0ELNS1_3repE0EEENS1_30default_config_static_selectorELNS0_4arch9wavefront6targetE0EEEvT1_, .Lfunc_end2033-_ZN7rocprim17ROCPRIM_400000_NS6detail17trampoline_kernelINS0_14default_configENS1_27scan_by_key_config_selectorIj11FixedVectorIiLj4EEEEZZNS1_16scan_by_key_implILNS1_25lookback_scan_determinismE0ELb0ES3_N6thrust23THRUST_200600_302600_NS6detail15normal_iteratorINSB_10device_ptrIjEEEENSD_INSE_IS6_EEEESI_S6_NSB_4plusIvEENSB_8equal_toIvEES6_EE10hipError_tPvRmT2_T3_T4_T5_mT6_T7_P12ihipStream_tbENKUlT_T0_E_clISt17integral_constantIbLb0EES13_EEDaSY_SZ_EUlSY_E_NS1_11comp_targetILNS1_3genE0ELNS1_11target_archE4294967295ELNS1_3gpuE0ELNS1_3repE0EEENS1_30default_config_static_selectorELNS0_4arch9wavefront6targetE0EEEvT1_
                                        ; -- End function
	.set _ZN7rocprim17ROCPRIM_400000_NS6detail17trampoline_kernelINS0_14default_configENS1_27scan_by_key_config_selectorIj11FixedVectorIiLj4EEEEZZNS1_16scan_by_key_implILNS1_25lookback_scan_determinismE0ELb0ES3_N6thrust23THRUST_200600_302600_NS6detail15normal_iteratorINSB_10device_ptrIjEEEENSD_INSE_IS6_EEEESI_S6_NSB_4plusIvEENSB_8equal_toIvEES6_EE10hipError_tPvRmT2_T3_T4_T5_mT6_T7_P12ihipStream_tbENKUlT_T0_E_clISt17integral_constantIbLb0EES13_EEDaSY_SZ_EUlSY_E_NS1_11comp_targetILNS1_3genE0ELNS1_11target_archE4294967295ELNS1_3gpuE0ELNS1_3repE0EEENS1_30default_config_static_selectorELNS0_4arch9wavefront6targetE0EEEvT1_.num_vgpr, 0
	.set _ZN7rocprim17ROCPRIM_400000_NS6detail17trampoline_kernelINS0_14default_configENS1_27scan_by_key_config_selectorIj11FixedVectorIiLj4EEEEZZNS1_16scan_by_key_implILNS1_25lookback_scan_determinismE0ELb0ES3_N6thrust23THRUST_200600_302600_NS6detail15normal_iteratorINSB_10device_ptrIjEEEENSD_INSE_IS6_EEEESI_S6_NSB_4plusIvEENSB_8equal_toIvEES6_EE10hipError_tPvRmT2_T3_T4_T5_mT6_T7_P12ihipStream_tbENKUlT_T0_E_clISt17integral_constantIbLb0EES13_EEDaSY_SZ_EUlSY_E_NS1_11comp_targetILNS1_3genE0ELNS1_11target_archE4294967295ELNS1_3gpuE0ELNS1_3repE0EEENS1_30default_config_static_selectorELNS0_4arch9wavefront6targetE0EEEvT1_.num_agpr, 0
	.set _ZN7rocprim17ROCPRIM_400000_NS6detail17trampoline_kernelINS0_14default_configENS1_27scan_by_key_config_selectorIj11FixedVectorIiLj4EEEEZZNS1_16scan_by_key_implILNS1_25lookback_scan_determinismE0ELb0ES3_N6thrust23THRUST_200600_302600_NS6detail15normal_iteratorINSB_10device_ptrIjEEEENSD_INSE_IS6_EEEESI_S6_NSB_4plusIvEENSB_8equal_toIvEES6_EE10hipError_tPvRmT2_T3_T4_T5_mT6_T7_P12ihipStream_tbENKUlT_T0_E_clISt17integral_constantIbLb0EES13_EEDaSY_SZ_EUlSY_E_NS1_11comp_targetILNS1_3genE0ELNS1_11target_archE4294967295ELNS1_3gpuE0ELNS1_3repE0EEENS1_30default_config_static_selectorELNS0_4arch9wavefront6targetE0EEEvT1_.numbered_sgpr, 0
	.set _ZN7rocprim17ROCPRIM_400000_NS6detail17trampoline_kernelINS0_14default_configENS1_27scan_by_key_config_selectorIj11FixedVectorIiLj4EEEEZZNS1_16scan_by_key_implILNS1_25lookback_scan_determinismE0ELb0ES3_N6thrust23THRUST_200600_302600_NS6detail15normal_iteratorINSB_10device_ptrIjEEEENSD_INSE_IS6_EEEESI_S6_NSB_4plusIvEENSB_8equal_toIvEES6_EE10hipError_tPvRmT2_T3_T4_T5_mT6_T7_P12ihipStream_tbENKUlT_T0_E_clISt17integral_constantIbLb0EES13_EEDaSY_SZ_EUlSY_E_NS1_11comp_targetILNS1_3genE0ELNS1_11target_archE4294967295ELNS1_3gpuE0ELNS1_3repE0EEENS1_30default_config_static_selectorELNS0_4arch9wavefront6targetE0EEEvT1_.num_named_barrier, 0
	.set _ZN7rocprim17ROCPRIM_400000_NS6detail17trampoline_kernelINS0_14default_configENS1_27scan_by_key_config_selectorIj11FixedVectorIiLj4EEEEZZNS1_16scan_by_key_implILNS1_25lookback_scan_determinismE0ELb0ES3_N6thrust23THRUST_200600_302600_NS6detail15normal_iteratorINSB_10device_ptrIjEEEENSD_INSE_IS6_EEEESI_S6_NSB_4plusIvEENSB_8equal_toIvEES6_EE10hipError_tPvRmT2_T3_T4_T5_mT6_T7_P12ihipStream_tbENKUlT_T0_E_clISt17integral_constantIbLb0EES13_EEDaSY_SZ_EUlSY_E_NS1_11comp_targetILNS1_3genE0ELNS1_11target_archE4294967295ELNS1_3gpuE0ELNS1_3repE0EEENS1_30default_config_static_selectorELNS0_4arch9wavefront6targetE0EEEvT1_.private_seg_size, 0
	.set _ZN7rocprim17ROCPRIM_400000_NS6detail17trampoline_kernelINS0_14default_configENS1_27scan_by_key_config_selectorIj11FixedVectorIiLj4EEEEZZNS1_16scan_by_key_implILNS1_25lookback_scan_determinismE0ELb0ES3_N6thrust23THRUST_200600_302600_NS6detail15normal_iteratorINSB_10device_ptrIjEEEENSD_INSE_IS6_EEEESI_S6_NSB_4plusIvEENSB_8equal_toIvEES6_EE10hipError_tPvRmT2_T3_T4_T5_mT6_T7_P12ihipStream_tbENKUlT_T0_E_clISt17integral_constantIbLb0EES13_EEDaSY_SZ_EUlSY_E_NS1_11comp_targetILNS1_3genE0ELNS1_11target_archE4294967295ELNS1_3gpuE0ELNS1_3repE0EEENS1_30default_config_static_selectorELNS0_4arch9wavefront6targetE0EEEvT1_.uses_vcc, 0
	.set _ZN7rocprim17ROCPRIM_400000_NS6detail17trampoline_kernelINS0_14default_configENS1_27scan_by_key_config_selectorIj11FixedVectorIiLj4EEEEZZNS1_16scan_by_key_implILNS1_25lookback_scan_determinismE0ELb0ES3_N6thrust23THRUST_200600_302600_NS6detail15normal_iteratorINSB_10device_ptrIjEEEENSD_INSE_IS6_EEEESI_S6_NSB_4plusIvEENSB_8equal_toIvEES6_EE10hipError_tPvRmT2_T3_T4_T5_mT6_T7_P12ihipStream_tbENKUlT_T0_E_clISt17integral_constantIbLb0EES13_EEDaSY_SZ_EUlSY_E_NS1_11comp_targetILNS1_3genE0ELNS1_11target_archE4294967295ELNS1_3gpuE0ELNS1_3repE0EEENS1_30default_config_static_selectorELNS0_4arch9wavefront6targetE0EEEvT1_.uses_flat_scratch, 0
	.set _ZN7rocprim17ROCPRIM_400000_NS6detail17trampoline_kernelINS0_14default_configENS1_27scan_by_key_config_selectorIj11FixedVectorIiLj4EEEEZZNS1_16scan_by_key_implILNS1_25lookback_scan_determinismE0ELb0ES3_N6thrust23THRUST_200600_302600_NS6detail15normal_iteratorINSB_10device_ptrIjEEEENSD_INSE_IS6_EEEESI_S6_NSB_4plusIvEENSB_8equal_toIvEES6_EE10hipError_tPvRmT2_T3_T4_T5_mT6_T7_P12ihipStream_tbENKUlT_T0_E_clISt17integral_constantIbLb0EES13_EEDaSY_SZ_EUlSY_E_NS1_11comp_targetILNS1_3genE0ELNS1_11target_archE4294967295ELNS1_3gpuE0ELNS1_3repE0EEENS1_30default_config_static_selectorELNS0_4arch9wavefront6targetE0EEEvT1_.has_dyn_sized_stack, 0
	.set _ZN7rocprim17ROCPRIM_400000_NS6detail17trampoline_kernelINS0_14default_configENS1_27scan_by_key_config_selectorIj11FixedVectorIiLj4EEEEZZNS1_16scan_by_key_implILNS1_25lookback_scan_determinismE0ELb0ES3_N6thrust23THRUST_200600_302600_NS6detail15normal_iteratorINSB_10device_ptrIjEEEENSD_INSE_IS6_EEEESI_S6_NSB_4plusIvEENSB_8equal_toIvEES6_EE10hipError_tPvRmT2_T3_T4_T5_mT6_T7_P12ihipStream_tbENKUlT_T0_E_clISt17integral_constantIbLb0EES13_EEDaSY_SZ_EUlSY_E_NS1_11comp_targetILNS1_3genE0ELNS1_11target_archE4294967295ELNS1_3gpuE0ELNS1_3repE0EEENS1_30default_config_static_selectorELNS0_4arch9wavefront6targetE0EEEvT1_.has_recursion, 0
	.set _ZN7rocprim17ROCPRIM_400000_NS6detail17trampoline_kernelINS0_14default_configENS1_27scan_by_key_config_selectorIj11FixedVectorIiLj4EEEEZZNS1_16scan_by_key_implILNS1_25lookback_scan_determinismE0ELb0ES3_N6thrust23THRUST_200600_302600_NS6detail15normal_iteratorINSB_10device_ptrIjEEEENSD_INSE_IS6_EEEESI_S6_NSB_4plusIvEENSB_8equal_toIvEES6_EE10hipError_tPvRmT2_T3_T4_T5_mT6_T7_P12ihipStream_tbENKUlT_T0_E_clISt17integral_constantIbLb0EES13_EEDaSY_SZ_EUlSY_E_NS1_11comp_targetILNS1_3genE0ELNS1_11target_archE4294967295ELNS1_3gpuE0ELNS1_3repE0EEENS1_30default_config_static_selectorELNS0_4arch9wavefront6targetE0EEEvT1_.has_indirect_call, 0
	.section	.AMDGPU.csdata,"",@progbits
; Kernel info:
; codeLenInByte = 0
; TotalNumSgprs: 0
; NumVgprs: 0
; ScratchSize: 0
; MemoryBound: 0
; FloatMode: 240
; IeeeMode: 1
; LDSByteSize: 0 bytes/workgroup (compile time only)
; SGPRBlocks: 0
; VGPRBlocks: 0
; NumSGPRsForWavesPerEU: 1
; NumVGPRsForWavesPerEU: 1
; Occupancy: 16
; WaveLimiterHint : 0
; COMPUTE_PGM_RSRC2:SCRATCH_EN: 0
; COMPUTE_PGM_RSRC2:USER_SGPR: 6
; COMPUTE_PGM_RSRC2:TRAP_HANDLER: 0
; COMPUTE_PGM_RSRC2:TGID_X_EN: 1
; COMPUTE_PGM_RSRC2:TGID_Y_EN: 0
; COMPUTE_PGM_RSRC2:TGID_Z_EN: 0
; COMPUTE_PGM_RSRC2:TIDIG_COMP_CNT: 0
	.section	.text._ZN7rocprim17ROCPRIM_400000_NS6detail17trampoline_kernelINS0_14default_configENS1_27scan_by_key_config_selectorIj11FixedVectorIiLj4EEEEZZNS1_16scan_by_key_implILNS1_25lookback_scan_determinismE0ELb0ES3_N6thrust23THRUST_200600_302600_NS6detail15normal_iteratorINSB_10device_ptrIjEEEENSD_INSE_IS6_EEEESI_S6_NSB_4plusIvEENSB_8equal_toIvEES6_EE10hipError_tPvRmT2_T3_T4_T5_mT6_T7_P12ihipStream_tbENKUlT_T0_E_clISt17integral_constantIbLb0EES13_EEDaSY_SZ_EUlSY_E_NS1_11comp_targetILNS1_3genE10ELNS1_11target_archE1201ELNS1_3gpuE5ELNS1_3repE0EEENS1_30default_config_static_selectorELNS0_4arch9wavefront6targetE0EEEvT1_,"axG",@progbits,_ZN7rocprim17ROCPRIM_400000_NS6detail17trampoline_kernelINS0_14default_configENS1_27scan_by_key_config_selectorIj11FixedVectorIiLj4EEEEZZNS1_16scan_by_key_implILNS1_25lookback_scan_determinismE0ELb0ES3_N6thrust23THRUST_200600_302600_NS6detail15normal_iteratorINSB_10device_ptrIjEEEENSD_INSE_IS6_EEEESI_S6_NSB_4plusIvEENSB_8equal_toIvEES6_EE10hipError_tPvRmT2_T3_T4_T5_mT6_T7_P12ihipStream_tbENKUlT_T0_E_clISt17integral_constantIbLb0EES13_EEDaSY_SZ_EUlSY_E_NS1_11comp_targetILNS1_3genE10ELNS1_11target_archE1201ELNS1_3gpuE5ELNS1_3repE0EEENS1_30default_config_static_selectorELNS0_4arch9wavefront6targetE0EEEvT1_,comdat
	.protected	_ZN7rocprim17ROCPRIM_400000_NS6detail17trampoline_kernelINS0_14default_configENS1_27scan_by_key_config_selectorIj11FixedVectorIiLj4EEEEZZNS1_16scan_by_key_implILNS1_25lookback_scan_determinismE0ELb0ES3_N6thrust23THRUST_200600_302600_NS6detail15normal_iteratorINSB_10device_ptrIjEEEENSD_INSE_IS6_EEEESI_S6_NSB_4plusIvEENSB_8equal_toIvEES6_EE10hipError_tPvRmT2_T3_T4_T5_mT6_T7_P12ihipStream_tbENKUlT_T0_E_clISt17integral_constantIbLb0EES13_EEDaSY_SZ_EUlSY_E_NS1_11comp_targetILNS1_3genE10ELNS1_11target_archE1201ELNS1_3gpuE5ELNS1_3repE0EEENS1_30default_config_static_selectorELNS0_4arch9wavefront6targetE0EEEvT1_ ; -- Begin function _ZN7rocprim17ROCPRIM_400000_NS6detail17trampoline_kernelINS0_14default_configENS1_27scan_by_key_config_selectorIj11FixedVectorIiLj4EEEEZZNS1_16scan_by_key_implILNS1_25lookback_scan_determinismE0ELb0ES3_N6thrust23THRUST_200600_302600_NS6detail15normal_iteratorINSB_10device_ptrIjEEEENSD_INSE_IS6_EEEESI_S6_NSB_4plusIvEENSB_8equal_toIvEES6_EE10hipError_tPvRmT2_T3_T4_T5_mT6_T7_P12ihipStream_tbENKUlT_T0_E_clISt17integral_constantIbLb0EES13_EEDaSY_SZ_EUlSY_E_NS1_11comp_targetILNS1_3genE10ELNS1_11target_archE1201ELNS1_3gpuE5ELNS1_3repE0EEENS1_30default_config_static_selectorELNS0_4arch9wavefront6targetE0EEEvT1_
	.globl	_ZN7rocprim17ROCPRIM_400000_NS6detail17trampoline_kernelINS0_14default_configENS1_27scan_by_key_config_selectorIj11FixedVectorIiLj4EEEEZZNS1_16scan_by_key_implILNS1_25lookback_scan_determinismE0ELb0ES3_N6thrust23THRUST_200600_302600_NS6detail15normal_iteratorINSB_10device_ptrIjEEEENSD_INSE_IS6_EEEESI_S6_NSB_4plusIvEENSB_8equal_toIvEES6_EE10hipError_tPvRmT2_T3_T4_T5_mT6_T7_P12ihipStream_tbENKUlT_T0_E_clISt17integral_constantIbLb0EES13_EEDaSY_SZ_EUlSY_E_NS1_11comp_targetILNS1_3genE10ELNS1_11target_archE1201ELNS1_3gpuE5ELNS1_3repE0EEENS1_30default_config_static_selectorELNS0_4arch9wavefront6targetE0EEEvT1_
	.p2align	8
	.type	_ZN7rocprim17ROCPRIM_400000_NS6detail17trampoline_kernelINS0_14default_configENS1_27scan_by_key_config_selectorIj11FixedVectorIiLj4EEEEZZNS1_16scan_by_key_implILNS1_25lookback_scan_determinismE0ELb0ES3_N6thrust23THRUST_200600_302600_NS6detail15normal_iteratorINSB_10device_ptrIjEEEENSD_INSE_IS6_EEEESI_S6_NSB_4plusIvEENSB_8equal_toIvEES6_EE10hipError_tPvRmT2_T3_T4_T5_mT6_T7_P12ihipStream_tbENKUlT_T0_E_clISt17integral_constantIbLb0EES13_EEDaSY_SZ_EUlSY_E_NS1_11comp_targetILNS1_3genE10ELNS1_11target_archE1201ELNS1_3gpuE5ELNS1_3repE0EEENS1_30default_config_static_selectorELNS0_4arch9wavefront6targetE0EEEvT1_,@function
_ZN7rocprim17ROCPRIM_400000_NS6detail17trampoline_kernelINS0_14default_configENS1_27scan_by_key_config_selectorIj11FixedVectorIiLj4EEEEZZNS1_16scan_by_key_implILNS1_25lookback_scan_determinismE0ELb0ES3_N6thrust23THRUST_200600_302600_NS6detail15normal_iteratorINSB_10device_ptrIjEEEENSD_INSE_IS6_EEEESI_S6_NSB_4plusIvEENSB_8equal_toIvEES6_EE10hipError_tPvRmT2_T3_T4_T5_mT6_T7_P12ihipStream_tbENKUlT_T0_E_clISt17integral_constantIbLb0EES13_EEDaSY_SZ_EUlSY_E_NS1_11comp_targetILNS1_3genE10ELNS1_11target_archE1201ELNS1_3gpuE5ELNS1_3repE0EEENS1_30default_config_static_selectorELNS0_4arch9wavefront6targetE0EEEvT1_: ; @_ZN7rocprim17ROCPRIM_400000_NS6detail17trampoline_kernelINS0_14default_configENS1_27scan_by_key_config_selectorIj11FixedVectorIiLj4EEEEZZNS1_16scan_by_key_implILNS1_25lookback_scan_determinismE0ELb0ES3_N6thrust23THRUST_200600_302600_NS6detail15normal_iteratorINSB_10device_ptrIjEEEENSD_INSE_IS6_EEEESI_S6_NSB_4plusIvEENSB_8equal_toIvEES6_EE10hipError_tPvRmT2_T3_T4_T5_mT6_T7_P12ihipStream_tbENKUlT_T0_E_clISt17integral_constantIbLb0EES13_EEDaSY_SZ_EUlSY_E_NS1_11comp_targetILNS1_3genE10ELNS1_11target_archE1201ELNS1_3gpuE5ELNS1_3repE0EEENS1_30default_config_static_selectorELNS0_4arch9wavefront6targetE0EEEvT1_
; %bb.0:
	.section	.rodata,"a",@progbits
	.p2align	6, 0x0
	.amdhsa_kernel _ZN7rocprim17ROCPRIM_400000_NS6detail17trampoline_kernelINS0_14default_configENS1_27scan_by_key_config_selectorIj11FixedVectorIiLj4EEEEZZNS1_16scan_by_key_implILNS1_25lookback_scan_determinismE0ELb0ES3_N6thrust23THRUST_200600_302600_NS6detail15normal_iteratorINSB_10device_ptrIjEEEENSD_INSE_IS6_EEEESI_S6_NSB_4plusIvEENSB_8equal_toIvEES6_EE10hipError_tPvRmT2_T3_T4_T5_mT6_T7_P12ihipStream_tbENKUlT_T0_E_clISt17integral_constantIbLb0EES13_EEDaSY_SZ_EUlSY_E_NS1_11comp_targetILNS1_3genE10ELNS1_11target_archE1201ELNS1_3gpuE5ELNS1_3repE0EEENS1_30default_config_static_selectorELNS0_4arch9wavefront6targetE0EEEvT1_
		.amdhsa_group_segment_fixed_size 0
		.amdhsa_private_segment_fixed_size 0
		.amdhsa_kernarg_size 144
		.amdhsa_user_sgpr_count 6
		.amdhsa_user_sgpr_private_segment_buffer 1
		.amdhsa_user_sgpr_dispatch_ptr 0
		.amdhsa_user_sgpr_queue_ptr 0
		.amdhsa_user_sgpr_kernarg_segment_ptr 1
		.amdhsa_user_sgpr_dispatch_id 0
		.amdhsa_user_sgpr_flat_scratch_init 0
		.amdhsa_user_sgpr_private_segment_size 0
		.amdhsa_wavefront_size32 1
		.amdhsa_uses_dynamic_stack 0
		.amdhsa_system_sgpr_private_segment_wavefront_offset 0
		.amdhsa_system_sgpr_workgroup_id_x 1
		.amdhsa_system_sgpr_workgroup_id_y 0
		.amdhsa_system_sgpr_workgroup_id_z 0
		.amdhsa_system_sgpr_workgroup_info 0
		.amdhsa_system_vgpr_workitem_id 0
		.amdhsa_next_free_vgpr 1
		.amdhsa_next_free_sgpr 1
		.amdhsa_reserve_vcc 0
		.amdhsa_reserve_flat_scratch 0
		.amdhsa_float_round_mode_32 0
		.amdhsa_float_round_mode_16_64 0
		.amdhsa_float_denorm_mode_32 3
		.amdhsa_float_denorm_mode_16_64 3
		.amdhsa_dx10_clamp 1
		.amdhsa_ieee_mode 1
		.amdhsa_fp16_overflow 0
		.amdhsa_workgroup_processor_mode 1
		.amdhsa_memory_ordered 1
		.amdhsa_forward_progress 1
		.amdhsa_shared_vgpr_count 0
		.amdhsa_exception_fp_ieee_invalid_op 0
		.amdhsa_exception_fp_denorm_src 0
		.amdhsa_exception_fp_ieee_div_zero 0
		.amdhsa_exception_fp_ieee_overflow 0
		.amdhsa_exception_fp_ieee_underflow 0
		.amdhsa_exception_fp_ieee_inexact 0
		.amdhsa_exception_int_div_zero 0
	.end_amdhsa_kernel
	.section	.text._ZN7rocprim17ROCPRIM_400000_NS6detail17trampoline_kernelINS0_14default_configENS1_27scan_by_key_config_selectorIj11FixedVectorIiLj4EEEEZZNS1_16scan_by_key_implILNS1_25lookback_scan_determinismE0ELb0ES3_N6thrust23THRUST_200600_302600_NS6detail15normal_iteratorINSB_10device_ptrIjEEEENSD_INSE_IS6_EEEESI_S6_NSB_4plusIvEENSB_8equal_toIvEES6_EE10hipError_tPvRmT2_T3_T4_T5_mT6_T7_P12ihipStream_tbENKUlT_T0_E_clISt17integral_constantIbLb0EES13_EEDaSY_SZ_EUlSY_E_NS1_11comp_targetILNS1_3genE10ELNS1_11target_archE1201ELNS1_3gpuE5ELNS1_3repE0EEENS1_30default_config_static_selectorELNS0_4arch9wavefront6targetE0EEEvT1_,"axG",@progbits,_ZN7rocprim17ROCPRIM_400000_NS6detail17trampoline_kernelINS0_14default_configENS1_27scan_by_key_config_selectorIj11FixedVectorIiLj4EEEEZZNS1_16scan_by_key_implILNS1_25lookback_scan_determinismE0ELb0ES3_N6thrust23THRUST_200600_302600_NS6detail15normal_iteratorINSB_10device_ptrIjEEEENSD_INSE_IS6_EEEESI_S6_NSB_4plusIvEENSB_8equal_toIvEES6_EE10hipError_tPvRmT2_T3_T4_T5_mT6_T7_P12ihipStream_tbENKUlT_T0_E_clISt17integral_constantIbLb0EES13_EEDaSY_SZ_EUlSY_E_NS1_11comp_targetILNS1_3genE10ELNS1_11target_archE1201ELNS1_3gpuE5ELNS1_3repE0EEENS1_30default_config_static_selectorELNS0_4arch9wavefront6targetE0EEEvT1_,comdat
.Lfunc_end2034:
	.size	_ZN7rocprim17ROCPRIM_400000_NS6detail17trampoline_kernelINS0_14default_configENS1_27scan_by_key_config_selectorIj11FixedVectorIiLj4EEEEZZNS1_16scan_by_key_implILNS1_25lookback_scan_determinismE0ELb0ES3_N6thrust23THRUST_200600_302600_NS6detail15normal_iteratorINSB_10device_ptrIjEEEENSD_INSE_IS6_EEEESI_S6_NSB_4plusIvEENSB_8equal_toIvEES6_EE10hipError_tPvRmT2_T3_T4_T5_mT6_T7_P12ihipStream_tbENKUlT_T0_E_clISt17integral_constantIbLb0EES13_EEDaSY_SZ_EUlSY_E_NS1_11comp_targetILNS1_3genE10ELNS1_11target_archE1201ELNS1_3gpuE5ELNS1_3repE0EEENS1_30default_config_static_selectorELNS0_4arch9wavefront6targetE0EEEvT1_, .Lfunc_end2034-_ZN7rocprim17ROCPRIM_400000_NS6detail17trampoline_kernelINS0_14default_configENS1_27scan_by_key_config_selectorIj11FixedVectorIiLj4EEEEZZNS1_16scan_by_key_implILNS1_25lookback_scan_determinismE0ELb0ES3_N6thrust23THRUST_200600_302600_NS6detail15normal_iteratorINSB_10device_ptrIjEEEENSD_INSE_IS6_EEEESI_S6_NSB_4plusIvEENSB_8equal_toIvEES6_EE10hipError_tPvRmT2_T3_T4_T5_mT6_T7_P12ihipStream_tbENKUlT_T0_E_clISt17integral_constantIbLb0EES13_EEDaSY_SZ_EUlSY_E_NS1_11comp_targetILNS1_3genE10ELNS1_11target_archE1201ELNS1_3gpuE5ELNS1_3repE0EEENS1_30default_config_static_selectorELNS0_4arch9wavefront6targetE0EEEvT1_
                                        ; -- End function
	.set _ZN7rocprim17ROCPRIM_400000_NS6detail17trampoline_kernelINS0_14default_configENS1_27scan_by_key_config_selectorIj11FixedVectorIiLj4EEEEZZNS1_16scan_by_key_implILNS1_25lookback_scan_determinismE0ELb0ES3_N6thrust23THRUST_200600_302600_NS6detail15normal_iteratorINSB_10device_ptrIjEEEENSD_INSE_IS6_EEEESI_S6_NSB_4plusIvEENSB_8equal_toIvEES6_EE10hipError_tPvRmT2_T3_T4_T5_mT6_T7_P12ihipStream_tbENKUlT_T0_E_clISt17integral_constantIbLb0EES13_EEDaSY_SZ_EUlSY_E_NS1_11comp_targetILNS1_3genE10ELNS1_11target_archE1201ELNS1_3gpuE5ELNS1_3repE0EEENS1_30default_config_static_selectorELNS0_4arch9wavefront6targetE0EEEvT1_.num_vgpr, 0
	.set _ZN7rocprim17ROCPRIM_400000_NS6detail17trampoline_kernelINS0_14default_configENS1_27scan_by_key_config_selectorIj11FixedVectorIiLj4EEEEZZNS1_16scan_by_key_implILNS1_25lookback_scan_determinismE0ELb0ES3_N6thrust23THRUST_200600_302600_NS6detail15normal_iteratorINSB_10device_ptrIjEEEENSD_INSE_IS6_EEEESI_S6_NSB_4plusIvEENSB_8equal_toIvEES6_EE10hipError_tPvRmT2_T3_T4_T5_mT6_T7_P12ihipStream_tbENKUlT_T0_E_clISt17integral_constantIbLb0EES13_EEDaSY_SZ_EUlSY_E_NS1_11comp_targetILNS1_3genE10ELNS1_11target_archE1201ELNS1_3gpuE5ELNS1_3repE0EEENS1_30default_config_static_selectorELNS0_4arch9wavefront6targetE0EEEvT1_.num_agpr, 0
	.set _ZN7rocprim17ROCPRIM_400000_NS6detail17trampoline_kernelINS0_14default_configENS1_27scan_by_key_config_selectorIj11FixedVectorIiLj4EEEEZZNS1_16scan_by_key_implILNS1_25lookback_scan_determinismE0ELb0ES3_N6thrust23THRUST_200600_302600_NS6detail15normal_iteratorINSB_10device_ptrIjEEEENSD_INSE_IS6_EEEESI_S6_NSB_4plusIvEENSB_8equal_toIvEES6_EE10hipError_tPvRmT2_T3_T4_T5_mT6_T7_P12ihipStream_tbENKUlT_T0_E_clISt17integral_constantIbLb0EES13_EEDaSY_SZ_EUlSY_E_NS1_11comp_targetILNS1_3genE10ELNS1_11target_archE1201ELNS1_3gpuE5ELNS1_3repE0EEENS1_30default_config_static_selectorELNS0_4arch9wavefront6targetE0EEEvT1_.numbered_sgpr, 0
	.set _ZN7rocprim17ROCPRIM_400000_NS6detail17trampoline_kernelINS0_14default_configENS1_27scan_by_key_config_selectorIj11FixedVectorIiLj4EEEEZZNS1_16scan_by_key_implILNS1_25lookback_scan_determinismE0ELb0ES3_N6thrust23THRUST_200600_302600_NS6detail15normal_iteratorINSB_10device_ptrIjEEEENSD_INSE_IS6_EEEESI_S6_NSB_4plusIvEENSB_8equal_toIvEES6_EE10hipError_tPvRmT2_T3_T4_T5_mT6_T7_P12ihipStream_tbENKUlT_T0_E_clISt17integral_constantIbLb0EES13_EEDaSY_SZ_EUlSY_E_NS1_11comp_targetILNS1_3genE10ELNS1_11target_archE1201ELNS1_3gpuE5ELNS1_3repE0EEENS1_30default_config_static_selectorELNS0_4arch9wavefront6targetE0EEEvT1_.num_named_barrier, 0
	.set _ZN7rocprim17ROCPRIM_400000_NS6detail17trampoline_kernelINS0_14default_configENS1_27scan_by_key_config_selectorIj11FixedVectorIiLj4EEEEZZNS1_16scan_by_key_implILNS1_25lookback_scan_determinismE0ELb0ES3_N6thrust23THRUST_200600_302600_NS6detail15normal_iteratorINSB_10device_ptrIjEEEENSD_INSE_IS6_EEEESI_S6_NSB_4plusIvEENSB_8equal_toIvEES6_EE10hipError_tPvRmT2_T3_T4_T5_mT6_T7_P12ihipStream_tbENKUlT_T0_E_clISt17integral_constantIbLb0EES13_EEDaSY_SZ_EUlSY_E_NS1_11comp_targetILNS1_3genE10ELNS1_11target_archE1201ELNS1_3gpuE5ELNS1_3repE0EEENS1_30default_config_static_selectorELNS0_4arch9wavefront6targetE0EEEvT1_.private_seg_size, 0
	.set _ZN7rocprim17ROCPRIM_400000_NS6detail17trampoline_kernelINS0_14default_configENS1_27scan_by_key_config_selectorIj11FixedVectorIiLj4EEEEZZNS1_16scan_by_key_implILNS1_25lookback_scan_determinismE0ELb0ES3_N6thrust23THRUST_200600_302600_NS6detail15normal_iteratorINSB_10device_ptrIjEEEENSD_INSE_IS6_EEEESI_S6_NSB_4plusIvEENSB_8equal_toIvEES6_EE10hipError_tPvRmT2_T3_T4_T5_mT6_T7_P12ihipStream_tbENKUlT_T0_E_clISt17integral_constantIbLb0EES13_EEDaSY_SZ_EUlSY_E_NS1_11comp_targetILNS1_3genE10ELNS1_11target_archE1201ELNS1_3gpuE5ELNS1_3repE0EEENS1_30default_config_static_selectorELNS0_4arch9wavefront6targetE0EEEvT1_.uses_vcc, 0
	.set _ZN7rocprim17ROCPRIM_400000_NS6detail17trampoline_kernelINS0_14default_configENS1_27scan_by_key_config_selectorIj11FixedVectorIiLj4EEEEZZNS1_16scan_by_key_implILNS1_25lookback_scan_determinismE0ELb0ES3_N6thrust23THRUST_200600_302600_NS6detail15normal_iteratorINSB_10device_ptrIjEEEENSD_INSE_IS6_EEEESI_S6_NSB_4plusIvEENSB_8equal_toIvEES6_EE10hipError_tPvRmT2_T3_T4_T5_mT6_T7_P12ihipStream_tbENKUlT_T0_E_clISt17integral_constantIbLb0EES13_EEDaSY_SZ_EUlSY_E_NS1_11comp_targetILNS1_3genE10ELNS1_11target_archE1201ELNS1_3gpuE5ELNS1_3repE0EEENS1_30default_config_static_selectorELNS0_4arch9wavefront6targetE0EEEvT1_.uses_flat_scratch, 0
	.set _ZN7rocprim17ROCPRIM_400000_NS6detail17trampoline_kernelINS0_14default_configENS1_27scan_by_key_config_selectorIj11FixedVectorIiLj4EEEEZZNS1_16scan_by_key_implILNS1_25lookback_scan_determinismE0ELb0ES3_N6thrust23THRUST_200600_302600_NS6detail15normal_iteratorINSB_10device_ptrIjEEEENSD_INSE_IS6_EEEESI_S6_NSB_4plusIvEENSB_8equal_toIvEES6_EE10hipError_tPvRmT2_T3_T4_T5_mT6_T7_P12ihipStream_tbENKUlT_T0_E_clISt17integral_constantIbLb0EES13_EEDaSY_SZ_EUlSY_E_NS1_11comp_targetILNS1_3genE10ELNS1_11target_archE1201ELNS1_3gpuE5ELNS1_3repE0EEENS1_30default_config_static_selectorELNS0_4arch9wavefront6targetE0EEEvT1_.has_dyn_sized_stack, 0
	.set _ZN7rocprim17ROCPRIM_400000_NS6detail17trampoline_kernelINS0_14default_configENS1_27scan_by_key_config_selectorIj11FixedVectorIiLj4EEEEZZNS1_16scan_by_key_implILNS1_25lookback_scan_determinismE0ELb0ES3_N6thrust23THRUST_200600_302600_NS6detail15normal_iteratorINSB_10device_ptrIjEEEENSD_INSE_IS6_EEEESI_S6_NSB_4plusIvEENSB_8equal_toIvEES6_EE10hipError_tPvRmT2_T3_T4_T5_mT6_T7_P12ihipStream_tbENKUlT_T0_E_clISt17integral_constantIbLb0EES13_EEDaSY_SZ_EUlSY_E_NS1_11comp_targetILNS1_3genE10ELNS1_11target_archE1201ELNS1_3gpuE5ELNS1_3repE0EEENS1_30default_config_static_selectorELNS0_4arch9wavefront6targetE0EEEvT1_.has_recursion, 0
	.set _ZN7rocprim17ROCPRIM_400000_NS6detail17trampoline_kernelINS0_14default_configENS1_27scan_by_key_config_selectorIj11FixedVectorIiLj4EEEEZZNS1_16scan_by_key_implILNS1_25lookback_scan_determinismE0ELb0ES3_N6thrust23THRUST_200600_302600_NS6detail15normal_iteratorINSB_10device_ptrIjEEEENSD_INSE_IS6_EEEESI_S6_NSB_4plusIvEENSB_8equal_toIvEES6_EE10hipError_tPvRmT2_T3_T4_T5_mT6_T7_P12ihipStream_tbENKUlT_T0_E_clISt17integral_constantIbLb0EES13_EEDaSY_SZ_EUlSY_E_NS1_11comp_targetILNS1_3genE10ELNS1_11target_archE1201ELNS1_3gpuE5ELNS1_3repE0EEENS1_30default_config_static_selectorELNS0_4arch9wavefront6targetE0EEEvT1_.has_indirect_call, 0
	.section	.AMDGPU.csdata,"",@progbits
; Kernel info:
; codeLenInByte = 0
; TotalNumSgprs: 0
; NumVgprs: 0
; ScratchSize: 0
; MemoryBound: 0
; FloatMode: 240
; IeeeMode: 1
; LDSByteSize: 0 bytes/workgroup (compile time only)
; SGPRBlocks: 0
; VGPRBlocks: 0
; NumSGPRsForWavesPerEU: 1
; NumVGPRsForWavesPerEU: 1
; Occupancy: 16
; WaveLimiterHint : 0
; COMPUTE_PGM_RSRC2:SCRATCH_EN: 0
; COMPUTE_PGM_RSRC2:USER_SGPR: 6
; COMPUTE_PGM_RSRC2:TRAP_HANDLER: 0
; COMPUTE_PGM_RSRC2:TGID_X_EN: 1
; COMPUTE_PGM_RSRC2:TGID_Y_EN: 0
; COMPUTE_PGM_RSRC2:TGID_Z_EN: 0
; COMPUTE_PGM_RSRC2:TIDIG_COMP_CNT: 0
	.section	.text._ZN7rocprim17ROCPRIM_400000_NS6detail17trampoline_kernelINS0_14default_configENS1_27scan_by_key_config_selectorIj11FixedVectorIiLj4EEEEZZNS1_16scan_by_key_implILNS1_25lookback_scan_determinismE0ELb0ES3_N6thrust23THRUST_200600_302600_NS6detail15normal_iteratorINSB_10device_ptrIjEEEENSD_INSE_IS6_EEEESI_S6_NSB_4plusIvEENSB_8equal_toIvEES6_EE10hipError_tPvRmT2_T3_T4_T5_mT6_T7_P12ihipStream_tbENKUlT_T0_E_clISt17integral_constantIbLb0EES13_EEDaSY_SZ_EUlSY_E_NS1_11comp_targetILNS1_3genE5ELNS1_11target_archE942ELNS1_3gpuE9ELNS1_3repE0EEENS1_30default_config_static_selectorELNS0_4arch9wavefront6targetE0EEEvT1_,"axG",@progbits,_ZN7rocprim17ROCPRIM_400000_NS6detail17trampoline_kernelINS0_14default_configENS1_27scan_by_key_config_selectorIj11FixedVectorIiLj4EEEEZZNS1_16scan_by_key_implILNS1_25lookback_scan_determinismE0ELb0ES3_N6thrust23THRUST_200600_302600_NS6detail15normal_iteratorINSB_10device_ptrIjEEEENSD_INSE_IS6_EEEESI_S6_NSB_4plusIvEENSB_8equal_toIvEES6_EE10hipError_tPvRmT2_T3_T4_T5_mT6_T7_P12ihipStream_tbENKUlT_T0_E_clISt17integral_constantIbLb0EES13_EEDaSY_SZ_EUlSY_E_NS1_11comp_targetILNS1_3genE5ELNS1_11target_archE942ELNS1_3gpuE9ELNS1_3repE0EEENS1_30default_config_static_selectorELNS0_4arch9wavefront6targetE0EEEvT1_,comdat
	.protected	_ZN7rocprim17ROCPRIM_400000_NS6detail17trampoline_kernelINS0_14default_configENS1_27scan_by_key_config_selectorIj11FixedVectorIiLj4EEEEZZNS1_16scan_by_key_implILNS1_25lookback_scan_determinismE0ELb0ES3_N6thrust23THRUST_200600_302600_NS6detail15normal_iteratorINSB_10device_ptrIjEEEENSD_INSE_IS6_EEEESI_S6_NSB_4plusIvEENSB_8equal_toIvEES6_EE10hipError_tPvRmT2_T3_T4_T5_mT6_T7_P12ihipStream_tbENKUlT_T0_E_clISt17integral_constantIbLb0EES13_EEDaSY_SZ_EUlSY_E_NS1_11comp_targetILNS1_3genE5ELNS1_11target_archE942ELNS1_3gpuE9ELNS1_3repE0EEENS1_30default_config_static_selectorELNS0_4arch9wavefront6targetE0EEEvT1_ ; -- Begin function _ZN7rocprim17ROCPRIM_400000_NS6detail17trampoline_kernelINS0_14default_configENS1_27scan_by_key_config_selectorIj11FixedVectorIiLj4EEEEZZNS1_16scan_by_key_implILNS1_25lookback_scan_determinismE0ELb0ES3_N6thrust23THRUST_200600_302600_NS6detail15normal_iteratorINSB_10device_ptrIjEEEENSD_INSE_IS6_EEEESI_S6_NSB_4plusIvEENSB_8equal_toIvEES6_EE10hipError_tPvRmT2_T3_T4_T5_mT6_T7_P12ihipStream_tbENKUlT_T0_E_clISt17integral_constantIbLb0EES13_EEDaSY_SZ_EUlSY_E_NS1_11comp_targetILNS1_3genE5ELNS1_11target_archE942ELNS1_3gpuE9ELNS1_3repE0EEENS1_30default_config_static_selectorELNS0_4arch9wavefront6targetE0EEEvT1_
	.globl	_ZN7rocprim17ROCPRIM_400000_NS6detail17trampoline_kernelINS0_14default_configENS1_27scan_by_key_config_selectorIj11FixedVectorIiLj4EEEEZZNS1_16scan_by_key_implILNS1_25lookback_scan_determinismE0ELb0ES3_N6thrust23THRUST_200600_302600_NS6detail15normal_iteratorINSB_10device_ptrIjEEEENSD_INSE_IS6_EEEESI_S6_NSB_4plusIvEENSB_8equal_toIvEES6_EE10hipError_tPvRmT2_T3_T4_T5_mT6_T7_P12ihipStream_tbENKUlT_T0_E_clISt17integral_constantIbLb0EES13_EEDaSY_SZ_EUlSY_E_NS1_11comp_targetILNS1_3genE5ELNS1_11target_archE942ELNS1_3gpuE9ELNS1_3repE0EEENS1_30default_config_static_selectorELNS0_4arch9wavefront6targetE0EEEvT1_
	.p2align	8
	.type	_ZN7rocprim17ROCPRIM_400000_NS6detail17trampoline_kernelINS0_14default_configENS1_27scan_by_key_config_selectorIj11FixedVectorIiLj4EEEEZZNS1_16scan_by_key_implILNS1_25lookback_scan_determinismE0ELb0ES3_N6thrust23THRUST_200600_302600_NS6detail15normal_iteratorINSB_10device_ptrIjEEEENSD_INSE_IS6_EEEESI_S6_NSB_4plusIvEENSB_8equal_toIvEES6_EE10hipError_tPvRmT2_T3_T4_T5_mT6_T7_P12ihipStream_tbENKUlT_T0_E_clISt17integral_constantIbLb0EES13_EEDaSY_SZ_EUlSY_E_NS1_11comp_targetILNS1_3genE5ELNS1_11target_archE942ELNS1_3gpuE9ELNS1_3repE0EEENS1_30default_config_static_selectorELNS0_4arch9wavefront6targetE0EEEvT1_,@function
_ZN7rocprim17ROCPRIM_400000_NS6detail17trampoline_kernelINS0_14default_configENS1_27scan_by_key_config_selectorIj11FixedVectorIiLj4EEEEZZNS1_16scan_by_key_implILNS1_25lookback_scan_determinismE0ELb0ES3_N6thrust23THRUST_200600_302600_NS6detail15normal_iteratorINSB_10device_ptrIjEEEENSD_INSE_IS6_EEEESI_S6_NSB_4plusIvEENSB_8equal_toIvEES6_EE10hipError_tPvRmT2_T3_T4_T5_mT6_T7_P12ihipStream_tbENKUlT_T0_E_clISt17integral_constantIbLb0EES13_EEDaSY_SZ_EUlSY_E_NS1_11comp_targetILNS1_3genE5ELNS1_11target_archE942ELNS1_3gpuE9ELNS1_3repE0EEENS1_30default_config_static_selectorELNS0_4arch9wavefront6targetE0EEEvT1_: ; @_ZN7rocprim17ROCPRIM_400000_NS6detail17trampoline_kernelINS0_14default_configENS1_27scan_by_key_config_selectorIj11FixedVectorIiLj4EEEEZZNS1_16scan_by_key_implILNS1_25lookback_scan_determinismE0ELb0ES3_N6thrust23THRUST_200600_302600_NS6detail15normal_iteratorINSB_10device_ptrIjEEEENSD_INSE_IS6_EEEESI_S6_NSB_4plusIvEENSB_8equal_toIvEES6_EE10hipError_tPvRmT2_T3_T4_T5_mT6_T7_P12ihipStream_tbENKUlT_T0_E_clISt17integral_constantIbLb0EES13_EEDaSY_SZ_EUlSY_E_NS1_11comp_targetILNS1_3genE5ELNS1_11target_archE942ELNS1_3gpuE9ELNS1_3repE0EEENS1_30default_config_static_selectorELNS0_4arch9wavefront6targetE0EEEvT1_
; %bb.0:
	.section	.rodata,"a",@progbits
	.p2align	6, 0x0
	.amdhsa_kernel _ZN7rocprim17ROCPRIM_400000_NS6detail17trampoline_kernelINS0_14default_configENS1_27scan_by_key_config_selectorIj11FixedVectorIiLj4EEEEZZNS1_16scan_by_key_implILNS1_25lookback_scan_determinismE0ELb0ES3_N6thrust23THRUST_200600_302600_NS6detail15normal_iteratorINSB_10device_ptrIjEEEENSD_INSE_IS6_EEEESI_S6_NSB_4plusIvEENSB_8equal_toIvEES6_EE10hipError_tPvRmT2_T3_T4_T5_mT6_T7_P12ihipStream_tbENKUlT_T0_E_clISt17integral_constantIbLb0EES13_EEDaSY_SZ_EUlSY_E_NS1_11comp_targetILNS1_3genE5ELNS1_11target_archE942ELNS1_3gpuE9ELNS1_3repE0EEENS1_30default_config_static_selectorELNS0_4arch9wavefront6targetE0EEEvT1_
		.amdhsa_group_segment_fixed_size 0
		.amdhsa_private_segment_fixed_size 0
		.amdhsa_kernarg_size 144
		.amdhsa_user_sgpr_count 6
		.amdhsa_user_sgpr_private_segment_buffer 1
		.amdhsa_user_sgpr_dispatch_ptr 0
		.amdhsa_user_sgpr_queue_ptr 0
		.amdhsa_user_sgpr_kernarg_segment_ptr 1
		.amdhsa_user_sgpr_dispatch_id 0
		.amdhsa_user_sgpr_flat_scratch_init 0
		.amdhsa_user_sgpr_private_segment_size 0
		.amdhsa_wavefront_size32 1
		.amdhsa_uses_dynamic_stack 0
		.amdhsa_system_sgpr_private_segment_wavefront_offset 0
		.amdhsa_system_sgpr_workgroup_id_x 1
		.amdhsa_system_sgpr_workgroup_id_y 0
		.amdhsa_system_sgpr_workgroup_id_z 0
		.amdhsa_system_sgpr_workgroup_info 0
		.amdhsa_system_vgpr_workitem_id 0
		.amdhsa_next_free_vgpr 1
		.amdhsa_next_free_sgpr 1
		.amdhsa_reserve_vcc 0
		.amdhsa_reserve_flat_scratch 0
		.amdhsa_float_round_mode_32 0
		.amdhsa_float_round_mode_16_64 0
		.amdhsa_float_denorm_mode_32 3
		.amdhsa_float_denorm_mode_16_64 3
		.amdhsa_dx10_clamp 1
		.amdhsa_ieee_mode 1
		.amdhsa_fp16_overflow 0
		.amdhsa_workgroup_processor_mode 1
		.amdhsa_memory_ordered 1
		.amdhsa_forward_progress 1
		.amdhsa_shared_vgpr_count 0
		.amdhsa_exception_fp_ieee_invalid_op 0
		.amdhsa_exception_fp_denorm_src 0
		.amdhsa_exception_fp_ieee_div_zero 0
		.amdhsa_exception_fp_ieee_overflow 0
		.amdhsa_exception_fp_ieee_underflow 0
		.amdhsa_exception_fp_ieee_inexact 0
		.amdhsa_exception_int_div_zero 0
	.end_amdhsa_kernel
	.section	.text._ZN7rocprim17ROCPRIM_400000_NS6detail17trampoline_kernelINS0_14default_configENS1_27scan_by_key_config_selectorIj11FixedVectorIiLj4EEEEZZNS1_16scan_by_key_implILNS1_25lookback_scan_determinismE0ELb0ES3_N6thrust23THRUST_200600_302600_NS6detail15normal_iteratorINSB_10device_ptrIjEEEENSD_INSE_IS6_EEEESI_S6_NSB_4plusIvEENSB_8equal_toIvEES6_EE10hipError_tPvRmT2_T3_T4_T5_mT6_T7_P12ihipStream_tbENKUlT_T0_E_clISt17integral_constantIbLb0EES13_EEDaSY_SZ_EUlSY_E_NS1_11comp_targetILNS1_3genE5ELNS1_11target_archE942ELNS1_3gpuE9ELNS1_3repE0EEENS1_30default_config_static_selectorELNS0_4arch9wavefront6targetE0EEEvT1_,"axG",@progbits,_ZN7rocprim17ROCPRIM_400000_NS6detail17trampoline_kernelINS0_14default_configENS1_27scan_by_key_config_selectorIj11FixedVectorIiLj4EEEEZZNS1_16scan_by_key_implILNS1_25lookback_scan_determinismE0ELb0ES3_N6thrust23THRUST_200600_302600_NS6detail15normal_iteratorINSB_10device_ptrIjEEEENSD_INSE_IS6_EEEESI_S6_NSB_4plusIvEENSB_8equal_toIvEES6_EE10hipError_tPvRmT2_T3_T4_T5_mT6_T7_P12ihipStream_tbENKUlT_T0_E_clISt17integral_constantIbLb0EES13_EEDaSY_SZ_EUlSY_E_NS1_11comp_targetILNS1_3genE5ELNS1_11target_archE942ELNS1_3gpuE9ELNS1_3repE0EEENS1_30default_config_static_selectorELNS0_4arch9wavefront6targetE0EEEvT1_,comdat
.Lfunc_end2035:
	.size	_ZN7rocprim17ROCPRIM_400000_NS6detail17trampoline_kernelINS0_14default_configENS1_27scan_by_key_config_selectorIj11FixedVectorIiLj4EEEEZZNS1_16scan_by_key_implILNS1_25lookback_scan_determinismE0ELb0ES3_N6thrust23THRUST_200600_302600_NS6detail15normal_iteratorINSB_10device_ptrIjEEEENSD_INSE_IS6_EEEESI_S6_NSB_4plusIvEENSB_8equal_toIvEES6_EE10hipError_tPvRmT2_T3_T4_T5_mT6_T7_P12ihipStream_tbENKUlT_T0_E_clISt17integral_constantIbLb0EES13_EEDaSY_SZ_EUlSY_E_NS1_11comp_targetILNS1_3genE5ELNS1_11target_archE942ELNS1_3gpuE9ELNS1_3repE0EEENS1_30default_config_static_selectorELNS0_4arch9wavefront6targetE0EEEvT1_, .Lfunc_end2035-_ZN7rocprim17ROCPRIM_400000_NS6detail17trampoline_kernelINS0_14default_configENS1_27scan_by_key_config_selectorIj11FixedVectorIiLj4EEEEZZNS1_16scan_by_key_implILNS1_25lookback_scan_determinismE0ELb0ES3_N6thrust23THRUST_200600_302600_NS6detail15normal_iteratorINSB_10device_ptrIjEEEENSD_INSE_IS6_EEEESI_S6_NSB_4plusIvEENSB_8equal_toIvEES6_EE10hipError_tPvRmT2_T3_T4_T5_mT6_T7_P12ihipStream_tbENKUlT_T0_E_clISt17integral_constantIbLb0EES13_EEDaSY_SZ_EUlSY_E_NS1_11comp_targetILNS1_3genE5ELNS1_11target_archE942ELNS1_3gpuE9ELNS1_3repE0EEENS1_30default_config_static_selectorELNS0_4arch9wavefront6targetE0EEEvT1_
                                        ; -- End function
	.set _ZN7rocprim17ROCPRIM_400000_NS6detail17trampoline_kernelINS0_14default_configENS1_27scan_by_key_config_selectorIj11FixedVectorIiLj4EEEEZZNS1_16scan_by_key_implILNS1_25lookback_scan_determinismE0ELb0ES3_N6thrust23THRUST_200600_302600_NS6detail15normal_iteratorINSB_10device_ptrIjEEEENSD_INSE_IS6_EEEESI_S6_NSB_4plusIvEENSB_8equal_toIvEES6_EE10hipError_tPvRmT2_T3_T4_T5_mT6_T7_P12ihipStream_tbENKUlT_T0_E_clISt17integral_constantIbLb0EES13_EEDaSY_SZ_EUlSY_E_NS1_11comp_targetILNS1_3genE5ELNS1_11target_archE942ELNS1_3gpuE9ELNS1_3repE0EEENS1_30default_config_static_selectorELNS0_4arch9wavefront6targetE0EEEvT1_.num_vgpr, 0
	.set _ZN7rocprim17ROCPRIM_400000_NS6detail17trampoline_kernelINS0_14default_configENS1_27scan_by_key_config_selectorIj11FixedVectorIiLj4EEEEZZNS1_16scan_by_key_implILNS1_25lookback_scan_determinismE0ELb0ES3_N6thrust23THRUST_200600_302600_NS6detail15normal_iteratorINSB_10device_ptrIjEEEENSD_INSE_IS6_EEEESI_S6_NSB_4plusIvEENSB_8equal_toIvEES6_EE10hipError_tPvRmT2_T3_T4_T5_mT6_T7_P12ihipStream_tbENKUlT_T0_E_clISt17integral_constantIbLb0EES13_EEDaSY_SZ_EUlSY_E_NS1_11comp_targetILNS1_3genE5ELNS1_11target_archE942ELNS1_3gpuE9ELNS1_3repE0EEENS1_30default_config_static_selectorELNS0_4arch9wavefront6targetE0EEEvT1_.num_agpr, 0
	.set _ZN7rocprim17ROCPRIM_400000_NS6detail17trampoline_kernelINS0_14default_configENS1_27scan_by_key_config_selectorIj11FixedVectorIiLj4EEEEZZNS1_16scan_by_key_implILNS1_25lookback_scan_determinismE0ELb0ES3_N6thrust23THRUST_200600_302600_NS6detail15normal_iteratorINSB_10device_ptrIjEEEENSD_INSE_IS6_EEEESI_S6_NSB_4plusIvEENSB_8equal_toIvEES6_EE10hipError_tPvRmT2_T3_T4_T5_mT6_T7_P12ihipStream_tbENKUlT_T0_E_clISt17integral_constantIbLb0EES13_EEDaSY_SZ_EUlSY_E_NS1_11comp_targetILNS1_3genE5ELNS1_11target_archE942ELNS1_3gpuE9ELNS1_3repE0EEENS1_30default_config_static_selectorELNS0_4arch9wavefront6targetE0EEEvT1_.numbered_sgpr, 0
	.set _ZN7rocprim17ROCPRIM_400000_NS6detail17trampoline_kernelINS0_14default_configENS1_27scan_by_key_config_selectorIj11FixedVectorIiLj4EEEEZZNS1_16scan_by_key_implILNS1_25lookback_scan_determinismE0ELb0ES3_N6thrust23THRUST_200600_302600_NS6detail15normal_iteratorINSB_10device_ptrIjEEEENSD_INSE_IS6_EEEESI_S6_NSB_4plusIvEENSB_8equal_toIvEES6_EE10hipError_tPvRmT2_T3_T4_T5_mT6_T7_P12ihipStream_tbENKUlT_T0_E_clISt17integral_constantIbLb0EES13_EEDaSY_SZ_EUlSY_E_NS1_11comp_targetILNS1_3genE5ELNS1_11target_archE942ELNS1_3gpuE9ELNS1_3repE0EEENS1_30default_config_static_selectorELNS0_4arch9wavefront6targetE0EEEvT1_.num_named_barrier, 0
	.set _ZN7rocprim17ROCPRIM_400000_NS6detail17trampoline_kernelINS0_14default_configENS1_27scan_by_key_config_selectorIj11FixedVectorIiLj4EEEEZZNS1_16scan_by_key_implILNS1_25lookback_scan_determinismE0ELb0ES3_N6thrust23THRUST_200600_302600_NS6detail15normal_iteratorINSB_10device_ptrIjEEEENSD_INSE_IS6_EEEESI_S6_NSB_4plusIvEENSB_8equal_toIvEES6_EE10hipError_tPvRmT2_T3_T4_T5_mT6_T7_P12ihipStream_tbENKUlT_T0_E_clISt17integral_constantIbLb0EES13_EEDaSY_SZ_EUlSY_E_NS1_11comp_targetILNS1_3genE5ELNS1_11target_archE942ELNS1_3gpuE9ELNS1_3repE0EEENS1_30default_config_static_selectorELNS0_4arch9wavefront6targetE0EEEvT1_.private_seg_size, 0
	.set _ZN7rocprim17ROCPRIM_400000_NS6detail17trampoline_kernelINS0_14default_configENS1_27scan_by_key_config_selectorIj11FixedVectorIiLj4EEEEZZNS1_16scan_by_key_implILNS1_25lookback_scan_determinismE0ELb0ES3_N6thrust23THRUST_200600_302600_NS6detail15normal_iteratorINSB_10device_ptrIjEEEENSD_INSE_IS6_EEEESI_S6_NSB_4plusIvEENSB_8equal_toIvEES6_EE10hipError_tPvRmT2_T3_T4_T5_mT6_T7_P12ihipStream_tbENKUlT_T0_E_clISt17integral_constantIbLb0EES13_EEDaSY_SZ_EUlSY_E_NS1_11comp_targetILNS1_3genE5ELNS1_11target_archE942ELNS1_3gpuE9ELNS1_3repE0EEENS1_30default_config_static_selectorELNS0_4arch9wavefront6targetE0EEEvT1_.uses_vcc, 0
	.set _ZN7rocprim17ROCPRIM_400000_NS6detail17trampoline_kernelINS0_14default_configENS1_27scan_by_key_config_selectorIj11FixedVectorIiLj4EEEEZZNS1_16scan_by_key_implILNS1_25lookback_scan_determinismE0ELb0ES3_N6thrust23THRUST_200600_302600_NS6detail15normal_iteratorINSB_10device_ptrIjEEEENSD_INSE_IS6_EEEESI_S6_NSB_4plusIvEENSB_8equal_toIvEES6_EE10hipError_tPvRmT2_T3_T4_T5_mT6_T7_P12ihipStream_tbENKUlT_T0_E_clISt17integral_constantIbLb0EES13_EEDaSY_SZ_EUlSY_E_NS1_11comp_targetILNS1_3genE5ELNS1_11target_archE942ELNS1_3gpuE9ELNS1_3repE0EEENS1_30default_config_static_selectorELNS0_4arch9wavefront6targetE0EEEvT1_.uses_flat_scratch, 0
	.set _ZN7rocprim17ROCPRIM_400000_NS6detail17trampoline_kernelINS0_14default_configENS1_27scan_by_key_config_selectorIj11FixedVectorIiLj4EEEEZZNS1_16scan_by_key_implILNS1_25lookback_scan_determinismE0ELb0ES3_N6thrust23THRUST_200600_302600_NS6detail15normal_iteratorINSB_10device_ptrIjEEEENSD_INSE_IS6_EEEESI_S6_NSB_4plusIvEENSB_8equal_toIvEES6_EE10hipError_tPvRmT2_T3_T4_T5_mT6_T7_P12ihipStream_tbENKUlT_T0_E_clISt17integral_constantIbLb0EES13_EEDaSY_SZ_EUlSY_E_NS1_11comp_targetILNS1_3genE5ELNS1_11target_archE942ELNS1_3gpuE9ELNS1_3repE0EEENS1_30default_config_static_selectorELNS0_4arch9wavefront6targetE0EEEvT1_.has_dyn_sized_stack, 0
	.set _ZN7rocprim17ROCPRIM_400000_NS6detail17trampoline_kernelINS0_14default_configENS1_27scan_by_key_config_selectorIj11FixedVectorIiLj4EEEEZZNS1_16scan_by_key_implILNS1_25lookback_scan_determinismE0ELb0ES3_N6thrust23THRUST_200600_302600_NS6detail15normal_iteratorINSB_10device_ptrIjEEEENSD_INSE_IS6_EEEESI_S6_NSB_4plusIvEENSB_8equal_toIvEES6_EE10hipError_tPvRmT2_T3_T4_T5_mT6_T7_P12ihipStream_tbENKUlT_T0_E_clISt17integral_constantIbLb0EES13_EEDaSY_SZ_EUlSY_E_NS1_11comp_targetILNS1_3genE5ELNS1_11target_archE942ELNS1_3gpuE9ELNS1_3repE0EEENS1_30default_config_static_selectorELNS0_4arch9wavefront6targetE0EEEvT1_.has_recursion, 0
	.set _ZN7rocprim17ROCPRIM_400000_NS6detail17trampoline_kernelINS0_14default_configENS1_27scan_by_key_config_selectorIj11FixedVectorIiLj4EEEEZZNS1_16scan_by_key_implILNS1_25lookback_scan_determinismE0ELb0ES3_N6thrust23THRUST_200600_302600_NS6detail15normal_iteratorINSB_10device_ptrIjEEEENSD_INSE_IS6_EEEESI_S6_NSB_4plusIvEENSB_8equal_toIvEES6_EE10hipError_tPvRmT2_T3_T4_T5_mT6_T7_P12ihipStream_tbENKUlT_T0_E_clISt17integral_constantIbLb0EES13_EEDaSY_SZ_EUlSY_E_NS1_11comp_targetILNS1_3genE5ELNS1_11target_archE942ELNS1_3gpuE9ELNS1_3repE0EEENS1_30default_config_static_selectorELNS0_4arch9wavefront6targetE0EEEvT1_.has_indirect_call, 0
	.section	.AMDGPU.csdata,"",@progbits
; Kernel info:
; codeLenInByte = 0
; TotalNumSgprs: 0
; NumVgprs: 0
; ScratchSize: 0
; MemoryBound: 0
; FloatMode: 240
; IeeeMode: 1
; LDSByteSize: 0 bytes/workgroup (compile time only)
; SGPRBlocks: 0
; VGPRBlocks: 0
; NumSGPRsForWavesPerEU: 1
; NumVGPRsForWavesPerEU: 1
; Occupancy: 16
; WaveLimiterHint : 0
; COMPUTE_PGM_RSRC2:SCRATCH_EN: 0
; COMPUTE_PGM_RSRC2:USER_SGPR: 6
; COMPUTE_PGM_RSRC2:TRAP_HANDLER: 0
; COMPUTE_PGM_RSRC2:TGID_X_EN: 1
; COMPUTE_PGM_RSRC2:TGID_Y_EN: 0
; COMPUTE_PGM_RSRC2:TGID_Z_EN: 0
; COMPUTE_PGM_RSRC2:TIDIG_COMP_CNT: 0
	.section	.text._ZN7rocprim17ROCPRIM_400000_NS6detail17trampoline_kernelINS0_14default_configENS1_27scan_by_key_config_selectorIj11FixedVectorIiLj4EEEEZZNS1_16scan_by_key_implILNS1_25lookback_scan_determinismE0ELb0ES3_N6thrust23THRUST_200600_302600_NS6detail15normal_iteratorINSB_10device_ptrIjEEEENSD_INSE_IS6_EEEESI_S6_NSB_4plusIvEENSB_8equal_toIvEES6_EE10hipError_tPvRmT2_T3_T4_T5_mT6_T7_P12ihipStream_tbENKUlT_T0_E_clISt17integral_constantIbLb0EES13_EEDaSY_SZ_EUlSY_E_NS1_11comp_targetILNS1_3genE4ELNS1_11target_archE910ELNS1_3gpuE8ELNS1_3repE0EEENS1_30default_config_static_selectorELNS0_4arch9wavefront6targetE0EEEvT1_,"axG",@progbits,_ZN7rocprim17ROCPRIM_400000_NS6detail17trampoline_kernelINS0_14default_configENS1_27scan_by_key_config_selectorIj11FixedVectorIiLj4EEEEZZNS1_16scan_by_key_implILNS1_25lookback_scan_determinismE0ELb0ES3_N6thrust23THRUST_200600_302600_NS6detail15normal_iteratorINSB_10device_ptrIjEEEENSD_INSE_IS6_EEEESI_S6_NSB_4plusIvEENSB_8equal_toIvEES6_EE10hipError_tPvRmT2_T3_T4_T5_mT6_T7_P12ihipStream_tbENKUlT_T0_E_clISt17integral_constantIbLb0EES13_EEDaSY_SZ_EUlSY_E_NS1_11comp_targetILNS1_3genE4ELNS1_11target_archE910ELNS1_3gpuE8ELNS1_3repE0EEENS1_30default_config_static_selectorELNS0_4arch9wavefront6targetE0EEEvT1_,comdat
	.protected	_ZN7rocprim17ROCPRIM_400000_NS6detail17trampoline_kernelINS0_14default_configENS1_27scan_by_key_config_selectorIj11FixedVectorIiLj4EEEEZZNS1_16scan_by_key_implILNS1_25lookback_scan_determinismE0ELb0ES3_N6thrust23THRUST_200600_302600_NS6detail15normal_iteratorINSB_10device_ptrIjEEEENSD_INSE_IS6_EEEESI_S6_NSB_4plusIvEENSB_8equal_toIvEES6_EE10hipError_tPvRmT2_T3_T4_T5_mT6_T7_P12ihipStream_tbENKUlT_T0_E_clISt17integral_constantIbLb0EES13_EEDaSY_SZ_EUlSY_E_NS1_11comp_targetILNS1_3genE4ELNS1_11target_archE910ELNS1_3gpuE8ELNS1_3repE0EEENS1_30default_config_static_selectorELNS0_4arch9wavefront6targetE0EEEvT1_ ; -- Begin function _ZN7rocprim17ROCPRIM_400000_NS6detail17trampoline_kernelINS0_14default_configENS1_27scan_by_key_config_selectorIj11FixedVectorIiLj4EEEEZZNS1_16scan_by_key_implILNS1_25lookback_scan_determinismE0ELb0ES3_N6thrust23THRUST_200600_302600_NS6detail15normal_iteratorINSB_10device_ptrIjEEEENSD_INSE_IS6_EEEESI_S6_NSB_4plusIvEENSB_8equal_toIvEES6_EE10hipError_tPvRmT2_T3_T4_T5_mT6_T7_P12ihipStream_tbENKUlT_T0_E_clISt17integral_constantIbLb0EES13_EEDaSY_SZ_EUlSY_E_NS1_11comp_targetILNS1_3genE4ELNS1_11target_archE910ELNS1_3gpuE8ELNS1_3repE0EEENS1_30default_config_static_selectorELNS0_4arch9wavefront6targetE0EEEvT1_
	.globl	_ZN7rocprim17ROCPRIM_400000_NS6detail17trampoline_kernelINS0_14default_configENS1_27scan_by_key_config_selectorIj11FixedVectorIiLj4EEEEZZNS1_16scan_by_key_implILNS1_25lookback_scan_determinismE0ELb0ES3_N6thrust23THRUST_200600_302600_NS6detail15normal_iteratorINSB_10device_ptrIjEEEENSD_INSE_IS6_EEEESI_S6_NSB_4plusIvEENSB_8equal_toIvEES6_EE10hipError_tPvRmT2_T3_T4_T5_mT6_T7_P12ihipStream_tbENKUlT_T0_E_clISt17integral_constantIbLb0EES13_EEDaSY_SZ_EUlSY_E_NS1_11comp_targetILNS1_3genE4ELNS1_11target_archE910ELNS1_3gpuE8ELNS1_3repE0EEENS1_30default_config_static_selectorELNS0_4arch9wavefront6targetE0EEEvT1_
	.p2align	8
	.type	_ZN7rocprim17ROCPRIM_400000_NS6detail17trampoline_kernelINS0_14default_configENS1_27scan_by_key_config_selectorIj11FixedVectorIiLj4EEEEZZNS1_16scan_by_key_implILNS1_25lookback_scan_determinismE0ELb0ES3_N6thrust23THRUST_200600_302600_NS6detail15normal_iteratorINSB_10device_ptrIjEEEENSD_INSE_IS6_EEEESI_S6_NSB_4plusIvEENSB_8equal_toIvEES6_EE10hipError_tPvRmT2_T3_T4_T5_mT6_T7_P12ihipStream_tbENKUlT_T0_E_clISt17integral_constantIbLb0EES13_EEDaSY_SZ_EUlSY_E_NS1_11comp_targetILNS1_3genE4ELNS1_11target_archE910ELNS1_3gpuE8ELNS1_3repE0EEENS1_30default_config_static_selectorELNS0_4arch9wavefront6targetE0EEEvT1_,@function
_ZN7rocprim17ROCPRIM_400000_NS6detail17trampoline_kernelINS0_14default_configENS1_27scan_by_key_config_selectorIj11FixedVectorIiLj4EEEEZZNS1_16scan_by_key_implILNS1_25lookback_scan_determinismE0ELb0ES3_N6thrust23THRUST_200600_302600_NS6detail15normal_iteratorINSB_10device_ptrIjEEEENSD_INSE_IS6_EEEESI_S6_NSB_4plusIvEENSB_8equal_toIvEES6_EE10hipError_tPvRmT2_T3_T4_T5_mT6_T7_P12ihipStream_tbENKUlT_T0_E_clISt17integral_constantIbLb0EES13_EEDaSY_SZ_EUlSY_E_NS1_11comp_targetILNS1_3genE4ELNS1_11target_archE910ELNS1_3gpuE8ELNS1_3repE0EEENS1_30default_config_static_selectorELNS0_4arch9wavefront6targetE0EEEvT1_: ; @_ZN7rocprim17ROCPRIM_400000_NS6detail17trampoline_kernelINS0_14default_configENS1_27scan_by_key_config_selectorIj11FixedVectorIiLj4EEEEZZNS1_16scan_by_key_implILNS1_25lookback_scan_determinismE0ELb0ES3_N6thrust23THRUST_200600_302600_NS6detail15normal_iteratorINSB_10device_ptrIjEEEENSD_INSE_IS6_EEEESI_S6_NSB_4plusIvEENSB_8equal_toIvEES6_EE10hipError_tPvRmT2_T3_T4_T5_mT6_T7_P12ihipStream_tbENKUlT_T0_E_clISt17integral_constantIbLb0EES13_EEDaSY_SZ_EUlSY_E_NS1_11comp_targetILNS1_3genE4ELNS1_11target_archE910ELNS1_3gpuE8ELNS1_3repE0EEENS1_30default_config_static_selectorELNS0_4arch9wavefront6targetE0EEEvT1_
; %bb.0:
	.section	.rodata,"a",@progbits
	.p2align	6, 0x0
	.amdhsa_kernel _ZN7rocprim17ROCPRIM_400000_NS6detail17trampoline_kernelINS0_14default_configENS1_27scan_by_key_config_selectorIj11FixedVectorIiLj4EEEEZZNS1_16scan_by_key_implILNS1_25lookback_scan_determinismE0ELb0ES3_N6thrust23THRUST_200600_302600_NS6detail15normal_iteratorINSB_10device_ptrIjEEEENSD_INSE_IS6_EEEESI_S6_NSB_4plusIvEENSB_8equal_toIvEES6_EE10hipError_tPvRmT2_T3_T4_T5_mT6_T7_P12ihipStream_tbENKUlT_T0_E_clISt17integral_constantIbLb0EES13_EEDaSY_SZ_EUlSY_E_NS1_11comp_targetILNS1_3genE4ELNS1_11target_archE910ELNS1_3gpuE8ELNS1_3repE0EEENS1_30default_config_static_selectorELNS0_4arch9wavefront6targetE0EEEvT1_
		.amdhsa_group_segment_fixed_size 0
		.amdhsa_private_segment_fixed_size 0
		.amdhsa_kernarg_size 144
		.amdhsa_user_sgpr_count 6
		.amdhsa_user_sgpr_private_segment_buffer 1
		.amdhsa_user_sgpr_dispatch_ptr 0
		.amdhsa_user_sgpr_queue_ptr 0
		.amdhsa_user_sgpr_kernarg_segment_ptr 1
		.amdhsa_user_sgpr_dispatch_id 0
		.amdhsa_user_sgpr_flat_scratch_init 0
		.amdhsa_user_sgpr_private_segment_size 0
		.amdhsa_wavefront_size32 1
		.amdhsa_uses_dynamic_stack 0
		.amdhsa_system_sgpr_private_segment_wavefront_offset 0
		.amdhsa_system_sgpr_workgroup_id_x 1
		.amdhsa_system_sgpr_workgroup_id_y 0
		.amdhsa_system_sgpr_workgroup_id_z 0
		.amdhsa_system_sgpr_workgroup_info 0
		.amdhsa_system_vgpr_workitem_id 0
		.amdhsa_next_free_vgpr 1
		.amdhsa_next_free_sgpr 1
		.amdhsa_reserve_vcc 0
		.amdhsa_reserve_flat_scratch 0
		.amdhsa_float_round_mode_32 0
		.amdhsa_float_round_mode_16_64 0
		.amdhsa_float_denorm_mode_32 3
		.amdhsa_float_denorm_mode_16_64 3
		.amdhsa_dx10_clamp 1
		.amdhsa_ieee_mode 1
		.amdhsa_fp16_overflow 0
		.amdhsa_workgroup_processor_mode 1
		.amdhsa_memory_ordered 1
		.amdhsa_forward_progress 1
		.amdhsa_shared_vgpr_count 0
		.amdhsa_exception_fp_ieee_invalid_op 0
		.amdhsa_exception_fp_denorm_src 0
		.amdhsa_exception_fp_ieee_div_zero 0
		.amdhsa_exception_fp_ieee_overflow 0
		.amdhsa_exception_fp_ieee_underflow 0
		.amdhsa_exception_fp_ieee_inexact 0
		.amdhsa_exception_int_div_zero 0
	.end_amdhsa_kernel
	.section	.text._ZN7rocprim17ROCPRIM_400000_NS6detail17trampoline_kernelINS0_14default_configENS1_27scan_by_key_config_selectorIj11FixedVectorIiLj4EEEEZZNS1_16scan_by_key_implILNS1_25lookback_scan_determinismE0ELb0ES3_N6thrust23THRUST_200600_302600_NS6detail15normal_iteratorINSB_10device_ptrIjEEEENSD_INSE_IS6_EEEESI_S6_NSB_4plusIvEENSB_8equal_toIvEES6_EE10hipError_tPvRmT2_T3_T4_T5_mT6_T7_P12ihipStream_tbENKUlT_T0_E_clISt17integral_constantIbLb0EES13_EEDaSY_SZ_EUlSY_E_NS1_11comp_targetILNS1_3genE4ELNS1_11target_archE910ELNS1_3gpuE8ELNS1_3repE0EEENS1_30default_config_static_selectorELNS0_4arch9wavefront6targetE0EEEvT1_,"axG",@progbits,_ZN7rocprim17ROCPRIM_400000_NS6detail17trampoline_kernelINS0_14default_configENS1_27scan_by_key_config_selectorIj11FixedVectorIiLj4EEEEZZNS1_16scan_by_key_implILNS1_25lookback_scan_determinismE0ELb0ES3_N6thrust23THRUST_200600_302600_NS6detail15normal_iteratorINSB_10device_ptrIjEEEENSD_INSE_IS6_EEEESI_S6_NSB_4plusIvEENSB_8equal_toIvEES6_EE10hipError_tPvRmT2_T3_T4_T5_mT6_T7_P12ihipStream_tbENKUlT_T0_E_clISt17integral_constantIbLb0EES13_EEDaSY_SZ_EUlSY_E_NS1_11comp_targetILNS1_3genE4ELNS1_11target_archE910ELNS1_3gpuE8ELNS1_3repE0EEENS1_30default_config_static_selectorELNS0_4arch9wavefront6targetE0EEEvT1_,comdat
.Lfunc_end2036:
	.size	_ZN7rocprim17ROCPRIM_400000_NS6detail17trampoline_kernelINS0_14default_configENS1_27scan_by_key_config_selectorIj11FixedVectorIiLj4EEEEZZNS1_16scan_by_key_implILNS1_25lookback_scan_determinismE0ELb0ES3_N6thrust23THRUST_200600_302600_NS6detail15normal_iteratorINSB_10device_ptrIjEEEENSD_INSE_IS6_EEEESI_S6_NSB_4plusIvEENSB_8equal_toIvEES6_EE10hipError_tPvRmT2_T3_T4_T5_mT6_T7_P12ihipStream_tbENKUlT_T0_E_clISt17integral_constantIbLb0EES13_EEDaSY_SZ_EUlSY_E_NS1_11comp_targetILNS1_3genE4ELNS1_11target_archE910ELNS1_3gpuE8ELNS1_3repE0EEENS1_30default_config_static_selectorELNS0_4arch9wavefront6targetE0EEEvT1_, .Lfunc_end2036-_ZN7rocprim17ROCPRIM_400000_NS6detail17trampoline_kernelINS0_14default_configENS1_27scan_by_key_config_selectorIj11FixedVectorIiLj4EEEEZZNS1_16scan_by_key_implILNS1_25lookback_scan_determinismE0ELb0ES3_N6thrust23THRUST_200600_302600_NS6detail15normal_iteratorINSB_10device_ptrIjEEEENSD_INSE_IS6_EEEESI_S6_NSB_4plusIvEENSB_8equal_toIvEES6_EE10hipError_tPvRmT2_T3_T4_T5_mT6_T7_P12ihipStream_tbENKUlT_T0_E_clISt17integral_constantIbLb0EES13_EEDaSY_SZ_EUlSY_E_NS1_11comp_targetILNS1_3genE4ELNS1_11target_archE910ELNS1_3gpuE8ELNS1_3repE0EEENS1_30default_config_static_selectorELNS0_4arch9wavefront6targetE0EEEvT1_
                                        ; -- End function
	.set _ZN7rocprim17ROCPRIM_400000_NS6detail17trampoline_kernelINS0_14default_configENS1_27scan_by_key_config_selectorIj11FixedVectorIiLj4EEEEZZNS1_16scan_by_key_implILNS1_25lookback_scan_determinismE0ELb0ES3_N6thrust23THRUST_200600_302600_NS6detail15normal_iteratorINSB_10device_ptrIjEEEENSD_INSE_IS6_EEEESI_S6_NSB_4plusIvEENSB_8equal_toIvEES6_EE10hipError_tPvRmT2_T3_T4_T5_mT6_T7_P12ihipStream_tbENKUlT_T0_E_clISt17integral_constantIbLb0EES13_EEDaSY_SZ_EUlSY_E_NS1_11comp_targetILNS1_3genE4ELNS1_11target_archE910ELNS1_3gpuE8ELNS1_3repE0EEENS1_30default_config_static_selectorELNS0_4arch9wavefront6targetE0EEEvT1_.num_vgpr, 0
	.set _ZN7rocprim17ROCPRIM_400000_NS6detail17trampoline_kernelINS0_14default_configENS1_27scan_by_key_config_selectorIj11FixedVectorIiLj4EEEEZZNS1_16scan_by_key_implILNS1_25lookback_scan_determinismE0ELb0ES3_N6thrust23THRUST_200600_302600_NS6detail15normal_iteratorINSB_10device_ptrIjEEEENSD_INSE_IS6_EEEESI_S6_NSB_4plusIvEENSB_8equal_toIvEES6_EE10hipError_tPvRmT2_T3_T4_T5_mT6_T7_P12ihipStream_tbENKUlT_T0_E_clISt17integral_constantIbLb0EES13_EEDaSY_SZ_EUlSY_E_NS1_11comp_targetILNS1_3genE4ELNS1_11target_archE910ELNS1_3gpuE8ELNS1_3repE0EEENS1_30default_config_static_selectorELNS0_4arch9wavefront6targetE0EEEvT1_.num_agpr, 0
	.set _ZN7rocprim17ROCPRIM_400000_NS6detail17trampoline_kernelINS0_14default_configENS1_27scan_by_key_config_selectorIj11FixedVectorIiLj4EEEEZZNS1_16scan_by_key_implILNS1_25lookback_scan_determinismE0ELb0ES3_N6thrust23THRUST_200600_302600_NS6detail15normal_iteratorINSB_10device_ptrIjEEEENSD_INSE_IS6_EEEESI_S6_NSB_4plusIvEENSB_8equal_toIvEES6_EE10hipError_tPvRmT2_T3_T4_T5_mT6_T7_P12ihipStream_tbENKUlT_T0_E_clISt17integral_constantIbLb0EES13_EEDaSY_SZ_EUlSY_E_NS1_11comp_targetILNS1_3genE4ELNS1_11target_archE910ELNS1_3gpuE8ELNS1_3repE0EEENS1_30default_config_static_selectorELNS0_4arch9wavefront6targetE0EEEvT1_.numbered_sgpr, 0
	.set _ZN7rocprim17ROCPRIM_400000_NS6detail17trampoline_kernelINS0_14default_configENS1_27scan_by_key_config_selectorIj11FixedVectorIiLj4EEEEZZNS1_16scan_by_key_implILNS1_25lookback_scan_determinismE0ELb0ES3_N6thrust23THRUST_200600_302600_NS6detail15normal_iteratorINSB_10device_ptrIjEEEENSD_INSE_IS6_EEEESI_S6_NSB_4plusIvEENSB_8equal_toIvEES6_EE10hipError_tPvRmT2_T3_T4_T5_mT6_T7_P12ihipStream_tbENKUlT_T0_E_clISt17integral_constantIbLb0EES13_EEDaSY_SZ_EUlSY_E_NS1_11comp_targetILNS1_3genE4ELNS1_11target_archE910ELNS1_3gpuE8ELNS1_3repE0EEENS1_30default_config_static_selectorELNS0_4arch9wavefront6targetE0EEEvT1_.num_named_barrier, 0
	.set _ZN7rocprim17ROCPRIM_400000_NS6detail17trampoline_kernelINS0_14default_configENS1_27scan_by_key_config_selectorIj11FixedVectorIiLj4EEEEZZNS1_16scan_by_key_implILNS1_25lookback_scan_determinismE0ELb0ES3_N6thrust23THRUST_200600_302600_NS6detail15normal_iteratorINSB_10device_ptrIjEEEENSD_INSE_IS6_EEEESI_S6_NSB_4plusIvEENSB_8equal_toIvEES6_EE10hipError_tPvRmT2_T3_T4_T5_mT6_T7_P12ihipStream_tbENKUlT_T0_E_clISt17integral_constantIbLb0EES13_EEDaSY_SZ_EUlSY_E_NS1_11comp_targetILNS1_3genE4ELNS1_11target_archE910ELNS1_3gpuE8ELNS1_3repE0EEENS1_30default_config_static_selectorELNS0_4arch9wavefront6targetE0EEEvT1_.private_seg_size, 0
	.set _ZN7rocprim17ROCPRIM_400000_NS6detail17trampoline_kernelINS0_14default_configENS1_27scan_by_key_config_selectorIj11FixedVectorIiLj4EEEEZZNS1_16scan_by_key_implILNS1_25lookback_scan_determinismE0ELb0ES3_N6thrust23THRUST_200600_302600_NS6detail15normal_iteratorINSB_10device_ptrIjEEEENSD_INSE_IS6_EEEESI_S6_NSB_4plusIvEENSB_8equal_toIvEES6_EE10hipError_tPvRmT2_T3_T4_T5_mT6_T7_P12ihipStream_tbENKUlT_T0_E_clISt17integral_constantIbLb0EES13_EEDaSY_SZ_EUlSY_E_NS1_11comp_targetILNS1_3genE4ELNS1_11target_archE910ELNS1_3gpuE8ELNS1_3repE0EEENS1_30default_config_static_selectorELNS0_4arch9wavefront6targetE0EEEvT1_.uses_vcc, 0
	.set _ZN7rocprim17ROCPRIM_400000_NS6detail17trampoline_kernelINS0_14default_configENS1_27scan_by_key_config_selectorIj11FixedVectorIiLj4EEEEZZNS1_16scan_by_key_implILNS1_25lookback_scan_determinismE0ELb0ES3_N6thrust23THRUST_200600_302600_NS6detail15normal_iteratorINSB_10device_ptrIjEEEENSD_INSE_IS6_EEEESI_S6_NSB_4plusIvEENSB_8equal_toIvEES6_EE10hipError_tPvRmT2_T3_T4_T5_mT6_T7_P12ihipStream_tbENKUlT_T0_E_clISt17integral_constantIbLb0EES13_EEDaSY_SZ_EUlSY_E_NS1_11comp_targetILNS1_3genE4ELNS1_11target_archE910ELNS1_3gpuE8ELNS1_3repE0EEENS1_30default_config_static_selectorELNS0_4arch9wavefront6targetE0EEEvT1_.uses_flat_scratch, 0
	.set _ZN7rocprim17ROCPRIM_400000_NS6detail17trampoline_kernelINS0_14default_configENS1_27scan_by_key_config_selectorIj11FixedVectorIiLj4EEEEZZNS1_16scan_by_key_implILNS1_25lookback_scan_determinismE0ELb0ES3_N6thrust23THRUST_200600_302600_NS6detail15normal_iteratorINSB_10device_ptrIjEEEENSD_INSE_IS6_EEEESI_S6_NSB_4plusIvEENSB_8equal_toIvEES6_EE10hipError_tPvRmT2_T3_T4_T5_mT6_T7_P12ihipStream_tbENKUlT_T0_E_clISt17integral_constantIbLb0EES13_EEDaSY_SZ_EUlSY_E_NS1_11comp_targetILNS1_3genE4ELNS1_11target_archE910ELNS1_3gpuE8ELNS1_3repE0EEENS1_30default_config_static_selectorELNS0_4arch9wavefront6targetE0EEEvT1_.has_dyn_sized_stack, 0
	.set _ZN7rocprim17ROCPRIM_400000_NS6detail17trampoline_kernelINS0_14default_configENS1_27scan_by_key_config_selectorIj11FixedVectorIiLj4EEEEZZNS1_16scan_by_key_implILNS1_25lookback_scan_determinismE0ELb0ES3_N6thrust23THRUST_200600_302600_NS6detail15normal_iteratorINSB_10device_ptrIjEEEENSD_INSE_IS6_EEEESI_S6_NSB_4plusIvEENSB_8equal_toIvEES6_EE10hipError_tPvRmT2_T3_T4_T5_mT6_T7_P12ihipStream_tbENKUlT_T0_E_clISt17integral_constantIbLb0EES13_EEDaSY_SZ_EUlSY_E_NS1_11comp_targetILNS1_3genE4ELNS1_11target_archE910ELNS1_3gpuE8ELNS1_3repE0EEENS1_30default_config_static_selectorELNS0_4arch9wavefront6targetE0EEEvT1_.has_recursion, 0
	.set _ZN7rocprim17ROCPRIM_400000_NS6detail17trampoline_kernelINS0_14default_configENS1_27scan_by_key_config_selectorIj11FixedVectorIiLj4EEEEZZNS1_16scan_by_key_implILNS1_25lookback_scan_determinismE0ELb0ES3_N6thrust23THRUST_200600_302600_NS6detail15normal_iteratorINSB_10device_ptrIjEEEENSD_INSE_IS6_EEEESI_S6_NSB_4plusIvEENSB_8equal_toIvEES6_EE10hipError_tPvRmT2_T3_T4_T5_mT6_T7_P12ihipStream_tbENKUlT_T0_E_clISt17integral_constantIbLb0EES13_EEDaSY_SZ_EUlSY_E_NS1_11comp_targetILNS1_3genE4ELNS1_11target_archE910ELNS1_3gpuE8ELNS1_3repE0EEENS1_30default_config_static_selectorELNS0_4arch9wavefront6targetE0EEEvT1_.has_indirect_call, 0
	.section	.AMDGPU.csdata,"",@progbits
; Kernel info:
; codeLenInByte = 0
; TotalNumSgprs: 0
; NumVgprs: 0
; ScratchSize: 0
; MemoryBound: 0
; FloatMode: 240
; IeeeMode: 1
; LDSByteSize: 0 bytes/workgroup (compile time only)
; SGPRBlocks: 0
; VGPRBlocks: 0
; NumSGPRsForWavesPerEU: 1
; NumVGPRsForWavesPerEU: 1
; Occupancy: 16
; WaveLimiterHint : 0
; COMPUTE_PGM_RSRC2:SCRATCH_EN: 0
; COMPUTE_PGM_RSRC2:USER_SGPR: 6
; COMPUTE_PGM_RSRC2:TRAP_HANDLER: 0
; COMPUTE_PGM_RSRC2:TGID_X_EN: 1
; COMPUTE_PGM_RSRC2:TGID_Y_EN: 0
; COMPUTE_PGM_RSRC2:TGID_Z_EN: 0
; COMPUTE_PGM_RSRC2:TIDIG_COMP_CNT: 0
	.section	.text._ZN7rocprim17ROCPRIM_400000_NS6detail17trampoline_kernelINS0_14default_configENS1_27scan_by_key_config_selectorIj11FixedVectorIiLj4EEEEZZNS1_16scan_by_key_implILNS1_25lookback_scan_determinismE0ELb0ES3_N6thrust23THRUST_200600_302600_NS6detail15normal_iteratorINSB_10device_ptrIjEEEENSD_INSE_IS6_EEEESI_S6_NSB_4plusIvEENSB_8equal_toIvEES6_EE10hipError_tPvRmT2_T3_T4_T5_mT6_T7_P12ihipStream_tbENKUlT_T0_E_clISt17integral_constantIbLb0EES13_EEDaSY_SZ_EUlSY_E_NS1_11comp_targetILNS1_3genE3ELNS1_11target_archE908ELNS1_3gpuE7ELNS1_3repE0EEENS1_30default_config_static_selectorELNS0_4arch9wavefront6targetE0EEEvT1_,"axG",@progbits,_ZN7rocprim17ROCPRIM_400000_NS6detail17trampoline_kernelINS0_14default_configENS1_27scan_by_key_config_selectorIj11FixedVectorIiLj4EEEEZZNS1_16scan_by_key_implILNS1_25lookback_scan_determinismE0ELb0ES3_N6thrust23THRUST_200600_302600_NS6detail15normal_iteratorINSB_10device_ptrIjEEEENSD_INSE_IS6_EEEESI_S6_NSB_4plusIvEENSB_8equal_toIvEES6_EE10hipError_tPvRmT2_T3_T4_T5_mT6_T7_P12ihipStream_tbENKUlT_T0_E_clISt17integral_constantIbLb0EES13_EEDaSY_SZ_EUlSY_E_NS1_11comp_targetILNS1_3genE3ELNS1_11target_archE908ELNS1_3gpuE7ELNS1_3repE0EEENS1_30default_config_static_selectorELNS0_4arch9wavefront6targetE0EEEvT1_,comdat
	.protected	_ZN7rocprim17ROCPRIM_400000_NS6detail17trampoline_kernelINS0_14default_configENS1_27scan_by_key_config_selectorIj11FixedVectorIiLj4EEEEZZNS1_16scan_by_key_implILNS1_25lookback_scan_determinismE0ELb0ES3_N6thrust23THRUST_200600_302600_NS6detail15normal_iteratorINSB_10device_ptrIjEEEENSD_INSE_IS6_EEEESI_S6_NSB_4plusIvEENSB_8equal_toIvEES6_EE10hipError_tPvRmT2_T3_T4_T5_mT6_T7_P12ihipStream_tbENKUlT_T0_E_clISt17integral_constantIbLb0EES13_EEDaSY_SZ_EUlSY_E_NS1_11comp_targetILNS1_3genE3ELNS1_11target_archE908ELNS1_3gpuE7ELNS1_3repE0EEENS1_30default_config_static_selectorELNS0_4arch9wavefront6targetE0EEEvT1_ ; -- Begin function _ZN7rocprim17ROCPRIM_400000_NS6detail17trampoline_kernelINS0_14default_configENS1_27scan_by_key_config_selectorIj11FixedVectorIiLj4EEEEZZNS1_16scan_by_key_implILNS1_25lookback_scan_determinismE0ELb0ES3_N6thrust23THRUST_200600_302600_NS6detail15normal_iteratorINSB_10device_ptrIjEEEENSD_INSE_IS6_EEEESI_S6_NSB_4plusIvEENSB_8equal_toIvEES6_EE10hipError_tPvRmT2_T3_T4_T5_mT6_T7_P12ihipStream_tbENKUlT_T0_E_clISt17integral_constantIbLb0EES13_EEDaSY_SZ_EUlSY_E_NS1_11comp_targetILNS1_3genE3ELNS1_11target_archE908ELNS1_3gpuE7ELNS1_3repE0EEENS1_30default_config_static_selectorELNS0_4arch9wavefront6targetE0EEEvT1_
	.globl	_ZN7rocprim17ROCPRIM_400000_NS6detail17trampoline_kernelINS0_14default_configENS1_27scan_by_key_config_selectorIj11FixedVectorIiLj4EEEEZZNS1_16scan_by_key_implILNS1_25lookback_scan_determinismE0ELb0ES3_N6thrust23THRUST_200600_302600_NS6detail15normal_iteratorINSB_10device_ptrIjEEEENSD_INSE_IS6_EEEESI_S6_NSB_4plusIvEENSB_8equal_toIvEES6_EE10hipError_tPvRmT2_T3_T4_T5_mT6_T7_P12ihipStream_tbENKUlT_T0_E_clISt17integral_constantIbLb0EES13_EEDaSY_SZ_EUlSY_E_NS1_11comp_targetILNS1_3genE3ELNS1_11target_archE908ELNS1_3gpuE7ELNS1_3repE0EEENS1_30default_config_static_selectorELNS0_4arch9wavefront6targetE0EEEvT1_
	.p2align	8
	.type	_ZN7rocprim17ROCPRIM_400000_NS6detail17trampoline_kernelINS0_14default_configENS1_27scan_by_key_config_selectorIj11FixedVectorIiLj4EEEEZZNS1_16scan_by_key_implILNS1_25lookback_scan_determinismE0ELb0ES3_N6thrust23THRUST_200600_302600_NS6detail15normal_iteratorINSB_10device_ptrIjEEEENSD_INSE_IS6_EEEESI_S6_NSB_4plusIvEENSB_8equal_toIvEES6_EE10hipError_tPvRmT2_T3_T4_T5_mT6_T7_P12ihipStream_tbENKUlT_T0_E_clISt17integral_constantIbLb0EES13_EEDaSY_SZ_EUlSY_E_NS1_11comp_targetILNS1_3genE3ELNS1_11target_archE908ELNS1_3gpuE7ELNS1_3repE0EEENS1_30default_config_static_selectorELNS0_4arch9wavefront6targetE0EEEvT1_,@function
_ZN7rocprim17ROCPRIM_400000_NS6detail17trampoline_kernelINS0_14default_configENS1_27scan_by_key_config_selectorIj11FixedVectorIiLj4EEEEZZNS1_16scan_by_key_implILNS1_25lookback_scan_determinismE0ELb0ES3_N6thrust23THRUST_200600_302600_NS6detail15normal_iteratorINSB_10device_ptrIjEEEENSD_INSE_IS6_EEEESI_S6_NSB_4plusIvEENSB_8equal_toIvEES6_EE10hipError_tPvRmT2_T3_T4_T5_mT6_T7_P12ihipStream_tbENKUlT_T0_E_clISt17integral_constantIbLb0EES13_EEDaSY_SZ_EUlSY_E_NS1_11comp_targetILNS1_3genE3ELNS1_11target_archE908ELNS1_3gpuE7ELNS1_3repE0EEENS1_30default_config_static_selectorELNS0_4arch9wavefront6targetE0EEEvT1_: ; @_ZN7rocprim17ROCPRIM_400000_NS6detail17trampoline_kernelINS0_14default_configENS1_27scan_by_key_config_selectorIj11FixedVectorIiLj4EEEEZZNS1_16scan_by_key_implILNS1_25lookback_scan_determinismE0ELb0ES3_N6thrust23THRUST_200600_302600_NS6detail15normal_iteratorINSB_10device_ptrIjEEEENSD_INSE_IS6_EEEESI_S6_NSB_4plusIvEENSB_8equal_toIvEES6_EE10hipError_tPvRmT2_T3_T4_T5_mT6_T7_P12ihipStream_tbENKUlT_T0_E_clISt17integral_constantIbLb0EES13_EEDaSY_SZ_EUlSY_E_NS1_11comp_targetILNS1_3genE3ELNS1_11target_archE908ELNS1_3gpuE7ELNS1_3repE0EEENS1_30default_config_static_selectorELNS0_4arch9wavefront6targetE0EEEvT1_
; %bb.0:
	.section	.rodata,"a",@progbits
	.p2align	6, 0x0
	.amdhsa_kernel _ZN7rocprim17ROCPRIM_400000_NS6detail17trampoline_kernelINS0_14default_configENS1_27scan_by_key_config_selectorIj11FixedVectorIiLj4EEEEZZNS1_16scan_by_key_implILNS1_25lookback_scan_determinismE0ELb0ES3_N6thrust23THRUST_200600_302600_NS6detail15normal_iteratorINSB_10device_ptrIjEEEENSD_INSE_IS6_EEEESI_S6_NSB_4plusIvEENSB_8equal_toIvEES6_EE10hipError_tPvRmT2_T3_T4_T5_mT6_T7_P12ihipStream_tbENKUlT_T0_E_clISt17integral_constantIbLb0EES13_EEDaSY_SZ_EUlSY_E_NS1_11comp_targetILNS1_3genE3ELNS1_11target_archE908ELNS1_3gpuE7ELNS1_3repE0EEENS1_30default_config_static_selectorELNS0_4arch9wavefront6targetE0EEEvT1_
		.amdhsa_group_segment_fixed_size 0
		.amdhsa_private_segment_fixed_size 0
		.amdhsa_kernarg_size 144
		.amdhsa_user_sgpr_count 6
		.amdhsa_user_sgpr_private_segment_buffer 1
		.amdhsa_user_sgpr_dispatch_ptr 0
		.amdhsa_user_sgpr_queue_ptr 0
		.amdhsa_user_sgpr_kernarg_segment_ptr 1
		.amdhsa_user_sgpr_dispatch_id 0
		.amdhsa_user_sgpr_flat_scratch_init 0
		.amdhsa_user_sgpr_private_segment_size 0
		.amdhsa_wavefront_size32 1
		.amdhsa_uses_dynamic_stack 0
		.amdhsa_system_sgpr_private_segment_wavefront_offset 0
		.amdhsa_system_sgpr_workgroup_id_x 1
		.amdhsa_system_sgpr_workgroup_id_y 0
		.amdhsa_system_sgpr_workgroup_id_z 0
		.amdhsa_system_sgpr_workgroup_info 0
		.amdhsa_system_vgpr_workitem_id 0
		.amdhsa_next_free_vgpr 1
		.amdhsa_next_free_sgpr 1
		.amdhsa_reserve_vcc 0
		.amdhsa_reserve_flat_scratch 0
		.amdhsa_float_round_mode_32 0
		.amdhsa_float_round_mode_16_64 0
		.amdhsa_float_denorm_mode_32 3
		.amdhsa_float_denorm_mode_16_64 3
		.amdhsa_dx10_clamp 1
		.amdhsa_ieee_mode 1
		.amdhsa_fp16_overflow 0
		.amdhsa_workgroup_processor_mode 1
		.amdhsa_memory_ordered 1
		.amdhsa_forward_progress 1
		.amdhsa_shared_vgpr_count 0
		.amdhsa_exception_fp_ieee_invalid_op 0
		.amdhsa_exception_fp_denorm_src 0
		.amdhsa_exception_fp_ieee_div_zero 0
		.amdhsa_exception_fp_ieee_overflow 0
		.amdhsa_exception_fp_ieee_underflow 0
		.amdhsa_exception_fp_ieee_inexact 0
		.amdhsa_exception_int_div_zero 0
	.end_amdhsa_kernel
	.section	.text._ZN7rocprim17ROCPRIM_400000_NS6detail17trampoline_kernelINS0_14default_configENS1_27scan_by_key_config_selectorIj11FixedVectorIiLj4EEEEZZNS1_16scan_by_key_implILNS1_25lookback_scan_determinismE0ELb0ES3_N6thrust23THRUST_200600_302600_NS6detail15normal_iteratorINSB_10device_ptrIjEEEENSD_INSE_IS6_EEEESI_S6_NSB_4plusIvEENSB_8equal_toIvEES6_EE10hipError_tPvRmT2_T3_T4_T5_mT6_T7_P12ihipStream_tbENKUlT_T0_E_clISt17integral_constantIbLb0EES13_EEDaSY_SZ_EUlSY_E_NS1_11comp_targetILNS1_3genE3ELNS1_11target_archE908ELNS1_3gpuE7ELNS1_3repE0EEENS1_30default_config_static_selectorELNS0_4arch9wavefront6targetE0EEEvT1_,"axG",@progbits,_ZN7rocprim17ROCPRIM_400000_NS6detail17trampoline_kernelINS0_14default_configENS1_27scan_by_key_config_selectorIj11FixedVectorIiLj4EEEEZZNS1_16scan_by_key_implILNS1_25lookback_scan_determinismE0ELb0ES3_N6thrust23THRUST_200600_302600_NS6detail15normal_iteratorINSB_10device_ptrIjEEEENSD_INSE_IS6_EEEESI_S6_NSB_4plusIvEENSB_8equal_toIvEES6_EE10hipError_tPvRmT2_T3_T4_T5_mT6_T7_P12ihipStream_tbENKUlT_T0_E_clISt17integral_constantIbLb0EES13_EEDaSY_SZ_EUlSY_E_NS1_11comp_targetILNS1_3genE3ELNS1_11target_archE908ELNS1_3gpuE7ELNS1_3repE0EEENS1_30default_config_static_selectorELNS0_4arch9wavefront6targetE0EEEvT1_,comdat
.Lfunc_end2037:
	.size	_ZN7rocprim17ROCPRIM_400000_NS6detail17trampoline_kernelINS0_14default_configENS1_27scan_by_key_config_selectorIj11FixedVectorIiLj4EEEEZZNS1_16scan_by_key_implILNS1_25lookback_scan_determinismE0ELb0ES3_N6thrust23THRUST_200600_302600_NS6detail15normal_iteratorINSB_10device_ptrIjEEEENSD_INSE_IS6_EEEESI_S6_NSB_4plusIvEENSB_8equal_toIvEES6_EE10hipError_tPvRmT2_T3_T4_T5_mT6_T7_P12ihipStream_tbENKUlT_T0_E_clISt17integral_constantIbLb0EES13_EEDaSY_SZ_EUlSY_E_NS1_11comp_targetILNS1_3genE3ELNS1_11target_archE908ELNS1_3gpuE7ELNS1_3repE0EEENS1_30default_config_static_selectorELNS0_4arch9wavefront6targetE0EEEvT1_, .Lfunc_end2037-_ZN7rocprim17ROCPRIM_400000_NS6detail17trampoline_kernelINS0_14default_configENS1_27scan_by_key_config_selectorIj11FixedVectorIiLj4EEEEZZNS1_16scan_by_key_implILNS1_25lookback_scan_determinismE0ELb0ES3_N6thrust23THRUST_200600_302600_NS6detail15normal_iteratorINSB_10device_ptrIjEEEENSD_INSE_IS6_EEEESI_S6_NSB_4plusIvEENSB_8equal_toIvEES6_EE10hipError_tPvRmT2_T3_T4_T5_mT6_T7_P12ihipStream_tbENKUlT_T0_E_clISt17integral_constantIbLb0EES13_EEDaSY_SZ_EUlSY_E_NS1_11comp_targetILNS1_3genE3ELNS1_11target_archE908ELNS1_3gpuE7ELNS1_3repE0EEENS1_30default_config_static_selectorELNS0_4arch9wavefront6targetE0EEEvT1_
                                        ; -- End function
	.set _ZN7rocprim17ROCPRIM_400000_NS6detail17trampoline_kernelINS0_14default_configENS1_27scan_by_key_config_selectorIj11FixedVectorIiLj4EEEEZZNS1_16scan_by_key_implILNS1_25lookback_scan_determinismE0ELb0ES3_N6thrust23THRUST_200600_302600_NS6detail15normal_iteratorINSB_10device_ptrIjEEEENSD_INSE_IS6_EEEESI_S6_NSB_4plusIvEENSB_8equal_toIvEES6_EE10hipError_tPvRmT2_T3_T4_T5_mT6_T7_P12ihipStream_tbENKUlT_T0_E_clISt17integral_constantIbLb0EES13_EEDaSY_SZ_EUlSY_E_NS1_11comp_targetILNS1_3genE3ELNS1_11target_archE908ELNS1_3gpuE7ELNS1_3repE0EEENS1_30default_config_static_selectorELNS0_4arch9wavefront6targetE0EEEvT1_.num_vgpr, 0
	.set _ZN7rocprim17ROCPRIM_400000_NS6detail17trampoline_kernelINS0_14default_configENS1_27scan_by_key_config_selectorIj11FixedVectorIiLj4EEEEZZNS1_16scan_by_key_implILNS1_25lookback_scan_determinismE0ELb0ES3_N6thrust23THRUST_200600_302600_NS6detail15normal_iteratorINSB_10device_ptrIjEEEENSD_INSE_IS6_EEEESI_S6_NSB_4plusIvEENSB_8equal_toIvEES6_EE10hipError_tPvRmT2_T3_T4_T5_mT6_T7_P12ihipStream_tbENKUlT_T0_E_clISt17integral_constantIbLb0EES13_EEDaSY_SZ_EUlSY_E_NS1_11comp_targetILNS1_3genE3ELNS1_11target_archE908ELNS1_3gpuE7ELNS1_3repE0EEENS1_30default_config_static_selectorELNS0_4arch9wavefront6targetE0EEEvT1_.num_agpr, 0
	.set _ZN7rocprim17ROCPRIM_400000_NS6detail17trampoline_kernelINS0_14default_configENS1_27scan_by_key_config_selectorIj11FixedVectorIiLj4EEEEZZNS1_16scan_by_key_implILNS1_25lookback_scan_determinismE0ELb0ES3_N6thrust23THRUST_200600_302600_NS6detail15normal_iteratorINSB_10device_ptrIjEEEENSD_INSE_IS6_EEEESI_S6_NSB_4plusIvEENSB_8equal_toIvEES6_EE10hipError_tPvRmT2_T3_T4_T5_mT6_T7_P12ihipStream_tbENKUlT_T0_E_clISt17integral_constantIbLb0EES13_EEDaSY_SZ_EUlSY_E_NS1_11comp_targetILNS1_3genE3ELNS1_11target_archE908ELNS1_3gpuE7ELNS1_3repE0EEENS1_30default_config_static_selectorELNS0_4arch9wavefront6targetE0EEEvT1_.numbered_sgpr, 0
	.set _ZN7rocprim17ROCPRIM_400000_NS6detail17trampoline_kernelINS0_14default_configENS1_27scan_by_key_config_selectorIj11FixedVectorIiLj4EEEEZZNS1_16scan_by_key_implILNS1_25lookback_scan_determinismE0ELb0ES3_N6thrust23THRUST_200600_302600_NS6detail15normal_iteratorINSB_10device_ptrIjEEEENSD_INSE_IS6_EEEESI_S6_NSB_4plusIvEENSB_8equal_toIvEES6_EE10hipError_tPvRmT2_T3_T4_T5_mT6_T7_P12ihipStream_tbENKUlT_T0_E_clISt17integral_constantIbLb0EES13_EEDaSY_SZ_EUlSY_E_NS1_11comp_targetILNS1_3genE3ELNS1_11target_archE908ELNS1_3gpuE7ELNS1_3repE0EEENS1_30default_config_static_selectorELNS0_4arch9wavefront6targetE0EEEvT1_.num_named_barrier, 0
	.set _ZN7rocprim17ROCPRIM_400000_NS6detail17trampoline_kernelINS0_14default_configENS1_27scan_by_key_config_selectorIj11FixedVectorIiLj4EEEEZZNS1_16scan_by_key_implILNS1_25lookback_scan_determinismE0ELb0ES3_N6thrust23THRUST_200600_302600_NS6detail15normal_iteratorINSB_10device_ptrIjEEEENSD_INSE_IS6_EEEESI_S6_NSB_4plusIvEENSB_8equal_toIvEES6_EE10hipError_tPvRmT2_T3_T4_T5_mT6_T7_P12ihipStream_tbENKUlT_T0_E_clISt17integral_constantIbLb0EES13_EEDaSY_SZ_EUlSY_E_NS1_11comp_targetILNS1_3genE3ELNS1_11target_archE908ELNS1_3gpuE7ELNS1_3repE0EEENS1_30default_config_static_selectorELNS0_4arch9wavefront6targetE0EEEvT1_.private_seg_size, 0
	.set _ZN7rocprim17ROCPRIM_400000_NS6detail17trampoline_kernelINS0_14default_configENS1_27scan_by_key_config_selectorIj11FixedVectorIiLj4EEEEZZNS1_16scan_by_key_implILNS1_25lookback_scan_determinismE0ELb0ES3_N6thrust23THRUST_200600_302600_NS6detail15normal_iteratorINSB_10device_ptrIjEEEENSD_INSE_IS6_EEEESI_S6_NSB_4plusIvEENSB_8equal_toIvEES6_EE10hipError_tPvRmT2_T3_T4_T5_mT6_T7_P12ihipStream_tbENKUlT_T0_E_clISt17integral_constantIbLb0EES13_EEDaSY_SZ_EUlSY_E_NS1_11comp_targetILNS1_3genE3ELNS1_11target_archE908ELNS1_3gpuE7ELNS1_3repE0EEENS1_30default_config_static_selectorELNS0_4arch9wavefront6targetE0EEEvT1_.uses_vcc, 0
	.set _ZN7rocprim17ROCPRIM_400000_NS6detail17trampoline_kernelINS0_14default_configENS1_27scan_by_key_config_selectorIj11FixedVectorIiLj4EEEEZZNS1_16scan_by_key_implILNS1_25lookback_scan_determinismE0ELb0ES3_N6thrust23THRUST_200600_302600_NS6detail15normal_iteratorINSB_10device_ptrIjEEEENSD_INSE_IS6_EEEESI_S6_NSB_4plusIvEENSB_8equal_toIvEES6_EE10hipError_tPvRmT2_T3_T4_T5_mT6_T7_P12ihipStream_tbENKUlT_T0_E_clISt17integral_constantIbLb0EES13_EEDaSY_SZ_EUlSY_E_NS1_11comp_targetILNS1_3genE3ELNS1_11target_archE908ELNS1_3gpuE7ELNS1_3repE0EEENS1_30default_config_static_selectorELNS0_4arch9wavefront6targetE0EEEvT1_.uses_flat_scratch, 0
	.set _ZN7rocprim17ROCPRIM_400000_NS6detail17trampoline_kernelINS0_14default_configENS1_27scan_by_key_config_selectorIj11FixedVectorIiLj4EEEEZZNS1_16scan_by_key_implILNS1_25lookback_scan_determinismE0ELb0ES3_N6thrust23THRUST_200600_302600_NS6detail15normal_iteratorINSB_10device_ptrIjEEEENSD_INSE_IS6_EEEESI_S6_NSB_4plusIvEENSB_8equal_toIvEES6_EE10hipError_tPvRmT2_T3_T4_T5_mT6_T7_P12ihipStream_tbENKUlT_T0_E_clISt17integral_constantIbLb0EES13_EEDaSY_SZ_EUlSY_E_NS1_11comp_targetILNS1_3genE3ELNS1_11target_archE908ELNS1_3gpuE7ELNS1_3repE0EEENS1_30default_config_static_selectorELNS0_4arch9wavefront6targetE0EEEvT1_.has_dyn_sized_stack, 0
	.set _ZN7rocprim17ROCPRIM_400000_NS6detail17trampoline_kernelINS0_14default_configENS1_27scan_by_key_config_selectorIj11FixedVectorIiLj4EEEEZZNS1_16scan_by_key_implILNS1_25lookback_scan_determinismE0ELb0ES3_N6thrust23THRUST_200600_302600_NS6detail15normal_iteratorINSB_10device_ptrIjEEEENSD_INSE_IS6_EEEESI_S6_NSB_4plusIvEENSB_8equal_toIvEES6_EE10hipError_tPvRmT2_T3_T4_T5_mT6_T7_P12ihipStream_tbENKUlT_T0_E_clISt17integral_constantIbLb0EES13_EEDaSY_SZ_EUlSY_E_NS1_11comp_targetILNS1_3genE3ELNS1_11target_archE908ELNS1_3gpuE7ELNS1_3repE0EEENS1_30default_config_static_selectorELNS0_4arch9wavefront6targetE0EEEvT1_.has_recursion, 0
	.set _ZN7rocprim17ROCPRIM_400000_NS6detail17trampoline_kernelINS0_14default_configENS1_27scan_by_key_config_selectorIj11FixedVectorIiLj4EEEEZZNS1_16scan_by_key_implILNS1_25lookback_scan_determinismE0ELb0ES3_N6thrust23THRUST_200600_302600_NS6detail15normal_iteratorINSB_10device_ptrIjEEEENSD_INSE_IS6_EEEESI_S6_NSB_4plusIvEENSB_8equal_toIvEES6_EE10hipError_tPvRmT2_T3_T4_T5_mT6_T7_P12ihipStream_tbENKUlT_T0_E_clISt17integral_constantIbLb0EES13_EEDaSY_SZ_EUlSY_E_NS1_11comp_targetILNS1_3genE3ELNS1_11target_archE908ELNS1_3gpuE7ELNS1_3repE0EEENS1_30default_config_static_selectorELNS0_4arch9wavefront6targetE0EEEvT1_.has_indirect_call, 0
	.section	.AMDGPU.csdata,"",@progbits
; Kernel info:
; codeLenInByte = 0
; TotalNumSgprs: 0
; NumVgprs: 0
; ScratchSize: 0
; MemoryBound: 0
; FloatMode: 240
; IeeeMode: 1
; LDSByteSize: 0 bytes/workgroup (compile time only)
; SGPRBlocks: 0
; VGPRBlocks: 0
; NumSGPRsForWavesPerEU: 1
; NumVGPRsForWavesPerEU: 1
; Occupancy: 16
; WaveLimiterHint : 0
; COMPUTE_PGM_RSRC2:SCRATCH_EN: 0
; COMPUTE_PGM_RSRC2:USER_SGPR: 6
; COMPUTE_PGM_RSRC2:TRAP_HANDLER: 0
; COMPUTE_PGM_RSRC2:TGID_X_EN: 1
; COMPUTE_PGM_RSRC2:TGID_Y_EN: 0
; COMPUTE_PGM_RSRC2:TGID_Z_EN: 0
; COMPUTE_PGM_RSRC2:TIDIG_COMP_CNT: 0
	.section	.text._ZN7rocprim17ROCPRIM_400000_NS6detail17trampoline_kernelINS0_14default_configENS1_27scan_by_key_config_selectorIj11FixedVectorIiLj4EEEEZZNS1_16scan_by_key_implILNS1_25lookback_scan_determinismE0ELb0ES3_N6thrust23THRUST_200600_302600_NS6detail15normal_iteratorINSB_10device_ptrIjEEEENSD_INSE_IS6_EEEESI_S6_NSB_4plusIvEENSB_8equal_toIvEES6_EE10hipError_tPvRmT2_T3_T4_T5_mT6_T7_P12ihipStream_tbENKUlT_T0_E_clISt17integral_constantIbLb0EES13_EEDaSY_SZ_EUlSY_E_NS1_11comp_targetILNS1_3genE2ELNS1_11target_archE906ELNS1_3gpuE6ELNS1_3repE0EEENS1_30default_config_static_selectorELNS0_4arch9wavefront6targetE0EEEvT1_,"axG",@progbits,_ZN7rocprim17ROCPRIM_400000_NS6detail17trampoline_kernelINS0_14default_configENS1_27scan_by_key_config_selectorIj11FixedVectorIiLj4EEEEZZNS1_16scan_by_key_implILNS1_25lookback_scan_determinismE0ELb0ES3_N6thrust23THRUST_200600_302600_NS6detail15normal_iteratorINSB_10device_ptrIjEEEENSD_INSE_IS6_EEEESI_S6_NSB_4plusIvEENSB_8equal_toIvEES6_EE10hipError_tPvRmT2_T3_T4_T5_mT6_T7_P12ihipStream_tbENKUlT_T0_E_clISt17integral_constantIbLb0EES13_EEDaSY_SZ_EUlSY_E_NS1_11comp_targetILNS1_3genE2ELNS1_11target_archE906ELNS1_3gpuE6ELNS1_3repE0EEENS1_30default_config_static_selectorELNS0_4arch9wavefront6targetE0EEEvT1_,comdat
	.protected	_ZN7rocprim17ROCPRIM_400000_NS6detail17trampoline_kernelINS0_14default_configENS1_27scan_by_key_config_selectorIj11FixedVectorIiLj4EEEEZZNS1_16scan_by_key_implILNS1_25lookback_scan_determinismE0ELb0ES3_N6thrust23THRUST_200600_302600_NS6detail15normal_iteratorINSB_10device_ptrIjEEEENSD_INSE_IS6_EEEESI_S6_NSB_4plusIvEENSB_8equal_toIvEES6_EE10hipError_tPvRmT2_T3_T4_T5_mT6_T7_P12ihipStream_tbENKUlT_T0_E_clISt17integral_constantIbLb0EES13_EEDaSY_SZ_EUlSY_E_NS1_11comp_targetILNS1_3genE2ELNS1_11target_archE906ELNS1_3gpuE6ELNS1_3repE0EEENS1_30default_config_static_selectorELNS0_4arch9wavefront6targetE0EEEvT1_ ; -- Begin function _ZN7rocprim17ROCPRIM_400000_NS6detail17trampoline_kernelINS0_14default_configENS1_27scan_by_key_config_selectorIj11FixedVectorIiLj4EEEEZZNS1_16scan_by_key_implILNS1_25lookback_scan_determinismE0ELb0ES3_N6thrust23THRUST_200600_302600_NS6detail15normal_iteratorINSB_10device_ptrIjEEEENSD_INSE_IS6_EEEESI_S6_NSB_4plusIvEENSB_8equal_toIvEES6_EE10hipError_tPvRmT2_T3_T4_T5_mT6_T7_P12ihipStream_tbENKUlT_T0_E_clISt17integral_constantIbLb0EES13_EEDaSY_SZ_EUlSY_E_NS1_11comp_targetILNS1_3genE2ELNS1_11target_archE906ELNS1_3gpuE6ELNS1_3repE0EEENS1_30default_config_static_selectorELNS0_4arch9wavefront6targetE0EEEvT1_
	.globl	_ZN7rocprim17ROCPRIM_400000_NS6detail17trampoline_kernelINS0_14default_configENS1_27scan_by_key_config_selectorIj11FixedVectorIiLj4EEEEZZNS1_16scan_by_key_implILNS1_25lookback_scan_determinismE0ELb0ES3_N6thrust23THRUST_200600_302600_NS6detail15normal_iteratorINSB_10device_ptrIjEEEENSD_INSE_IS6_EEEESI_S6_NSB_4plusIvEENSB_8equal_toIvEES6_EE10hipError_tPvRmT2_T3_T4_T5_mT6_T7_P12ihipStream_tbENKUlT_T0_E_clISt17integral_constantIbLb0EES13_EEDaSY_SZ_EUlSY_E_NS1_11comp_targetILNS1_3genE2ELNS1_11target_archE906ELNS1_3gpuE6ELNS1_3repE0EEENS1_30default_config_static_selectorELNS0_4arch9wavefront6targetE0EEEvT1_
	.p2align	8
	.type	_ZN7rocprim17ROCPRIM_400000_NS6detail17trampoline_kernelINS0_14default_configENS1_27scan_by_key_config_selectorIj11FixedVectorIiLj4EEEEZZNS1_16scan_by_key_implILNS1_25lookback_scan_determinismE0ELb0ES3_N6thrust23THRUST_200600_302600_NS6detail15normal_iteratorINSB_10device_ptrIjEEEENSD_INSE_IS6_EEEESI_S6_NSB_4plusIvEENSB_8equal_toIvEES6_EE10hipError_tPvRmT2_T3_T4_T5_mT6_T7_P12ihipStream_tbENKUlT_T0_E_clISt17integral_constantIbLb0EES13_EEDaSY_SZ_EUlSY_E_NS1_11comp_targetILNS1_3genE2ELNS1_11target_archE906ELNS1_3gpuE6ELNS1_3repE0EEENS1_30default_config_static_selectorELNS0_4arch9wavefront6targetE0EEEvT1_,@function
_ZN7rocprim17ROCPRIM_400000_NS6detail17trampoline_kernelINS0_14default_configENS1_27scan_by_key_config_selectorIj11FixedVectorIiLj4EEEEZZNS1_16scan_by_key_implILNS1_25lookback_scan_determinismE0ELb0ES3_N6thrust23THRUST_200600_302600_NS6detail15normal_iteratorINSB_10device_ptrIjEEEENSD_INSE_IS6_EEEESI_S6_NSB_4plusIvEENSB_8equal_toIvEES6_EE10hipError_tPvRmT2_T3_T4_T5_mT6_T7_P12ihipStream_tbENKUlT_T0_E_clISt17integral_constantIbLb0EES13_EEDaSY_SZ_EUlSY_E_NS1_11comp_targetILNS1_3genE2ELNS1_11target_archE906ELNS1_3gpuE6ELNS1_3repE0EEENS1_30default_config_static_selectorELNS0_4arch9wavefront6targetE0EEEvT1_: ; @_ZN7rocprim17ROCPRIM_400000_NS6detail17trampoline_kernelINS0_14default_configENS1_27scan_by_key_config_selectorIj11FixedVectorIiLj4EEEEZZNS1_16scan_by_key_implILNS1_25lookback_scan_determinismE0ELb0ES3_N6thrust23THRUST_200600_302600_NS6detail15normal_iteratorINSB_10device_ptrIjEEEENSD_INSE_IS6_EEEESI_S6_NSB_4plusIvEENSB_8equal_toIvEES6_EE10hipError_tPvRmT2_T3_T4_T5_mT6_T7_P12ihipStream_tbENKUlT_T0_E_clISt17integral_constantIbLb0EES13_EEDaSY_SZ_EUlSY_E_NS1_11comp_targetILNS1_3genE2ELNS1_11target_archE906ELNS1_3gpuE6ELNS1_3repE0EEENS1_30default_config_static_selectorELNS0_4arch9wavefront6targetE0EEEvT1_
; %bb.0:
	.section	.rodata,"a",@progbits
	.p2align	6, 0x0
	.amdhsa_kernel _ZN7rocprim17ROCPRIM_400000_NS6detail17trampoline_kernelINS0_14default_configENS1_27scan_by_key_config_selectorIj11FixedVectorIiLj4EEEEZZNS1_16scan_by_key_implILNS1_25lookback_scan_determinismE0ELb0ES3_N6thrust23THRUST_200600_302600_NS6detail15normal_iteratorINSB_10device_ptrIjEEEENSD_INSE_IS6_EEEESI_S6_NSB_4plusIvEENSB_8equal_toIvEES6_EE10hipError_tPvRmT2_T3_T4_T5_mT6_T7_P12ihipStream_tbENKUlT_T0_E_clISt17integral_constantIbLb0EES13_EEDaSY_SZ_EUlSY_E_NS1_11comp_targetILNS1_3genE2ELNS1_11target_archE906ELNS1_3gpuE6ELNS1_3repE0EEENS1_30default_config_static_selectorELNS0_4arch9wavefront6targetE0EEEvT1_
		.amdhsa_group_segment_fixed_size 0
		.amdhsa_private_segment_fixed_size 0
		.amdhsa_kernarg_size 144
		.amdhsa_user_sgpr_count 6
		.amdhsa_user_sgpr_private_segment_buffer 1
		.amdhsa_user_sgpr_dispatch_ptr 0
		.amdhsa_user_sgpr_queue_ptr 0
		.amdhsa_user_sgpr_kernarg_segment_ptr 1
		.amdhsa_user_sgpr_dispatch_id 0
		.amdhsa_user_sgpr_flat_scratch_init 0
		.amdhsa_user_sgpr_private_segment_size 0
		.amdhsa_wavefront_size32 1
		.amdhsa_uses_dynamic_stack 0
		.amdhsa_system_sgpr_private_segment_wavefront_offset 0
		.amdhsa_system_sgpr_workgroup_id_x 1
		.amdhsa_system_sgpr_workgroup_id_y 0
		.amdhsa_system_sgpr_workgroup_id_z 0
		.amdhsa_system_sgpr_workgroup_info 0
		.amdhsa_system_vgpr_workitem_id 0
		.amdhsa_next_free_vgpr 1
		.amdhsa_next_free_sgpr 1
		.amdhsa_reserve_vcc 0
		.amdhsa_reserve_flat_scratch 0
		.amdhsa_float_round_mode_32 0
		.amdhsa_float_round_mode_16_64 0
		.amdhsa_float_denorm_mode_32 3
		.amdhsa_float_denorm_mode_16_64 3
		.amdhsa_dx10_clamp 1
		.amdhsa_ieee_mode 1
		.amdhsa_fp16_overflow 0
		.amdhsa_workgroup_processor_mode 1
		.amdhsa_memory_ordered 1
		.amdhsa_forward_progress 1
		.amdhsa_shared_vgpr_count 0
		.amdhsa_exception_fp_ieee_invalid_op 0
		.amdhsa_exception_fp_denorm_src 0
		.amdhsa_exception_fp_ieee_div_zero 0
		.amdhsa_exception_fp_ieee_overflow 0
		.amdhsa_exception_fp_ieee_underflow 0
		.amdhsa_exception_fp_ieee_inexact 0
		.amdhsa_exception_int_div_zero 0
	.end_amdhsa_kernel
	.section	.text._ZN7rocprim17ROCPRIM_400000_NS6detail17trampoline_kernelINS0_14default_configENS1_27scan_by_key_config_selectorIj11FixedVectorIiLj4EEEEZZNS1_16scan_by_key_implILNS1_25lookback_scan_determinismE0ELb0ES3_N6thrust23THRUST_200600_302600_NS6detail15normal_iteratorINSB_10device_ptrIjEEEENSD_INSE_IS6_EEEESI_S6_NSB_4plusIvEENSB_8equal_toIvEES6_EE10hipError_tPvRmT2_T3_T4_T5_mT6_T7_P12ihipStream_tbENKUlT_T0_E_clISt17integral_constantIbLb0EES13_EEDaSY_SZ_EUlSY_E_NS1_11comp_targetILNS1_3genE2ELNS1_11target_archE906ELNS1_3gpuE6ELNS1_3repE0EEENS1_30default_config_static_selectorELNS0_4arch9wavefront6targetE0EEEvT1_,"axG",@progbits,_ZN7rocprim17ROCPRIM_400000_NS6detail17trampoline_kernelINS0_14default_configENS1_27scan_by_key_config_selectorIj11FixedVectorIiLj4EEEEZZNS1_16scan_by_key_implILNS1_25lookback_scan_determinismE0ELb0ES3_N6thrust23THRUST_200600_302600_NS6detail15normal_iteratorINSB_10device_ptrIjEEEENSD_INSE_IS6_EEEESI_S6_NSB_4plusIvEENSB_8equal_toIvEES6_EE10hipError_tPvRmT2_T3_T4_T5_mT6_T7_P12ihipStream_tbENKUlT_T0_E_clISt17integral_constantIbLb0EES13_EEDaSY_SZ_EUlSY_E_NS1_11comp_targetILNS1_3genE2ELNS1_11target_archE906ELNS1_3gpuE6ELNS1_3repE0EEENS1_30default_config_static_selectorELNS0_4arch9wavefront6targetE0EEEvT1_,comdat
.Lfunc_end2038:
	.size	_ZN7rocprim17ROCPRIM_400000_NS6detail17trampoline_kernelINS0_14default_configENS1_27scan_by_key_config_selectorIj11FixedVectorIiLj4EEEEZZNS1_16scan_by_key_implILNS1_25lookback_scan_determinismE0ELb0ES3_N6thrust23THRUST_200600_302600_NS6detail15normal_iteratorINSB_10device_ptrIjEEEENSD_INSE_IS6_EEEESI_S6_NSB_4plusIvEENSB_8equal_toIvEES6_EE10hipError_tPvRmT2_T3_T4_T5_mT6_T7_P12ihipStream_tbENKUlT_T0_E_clISt17integral_constantIbLb0EES13_EEDaSY_SZ_EUlSY_E_NS1_11comp_targetILNS1_3genE2ELNS1_11target_archE906ELNS1_3gpuE6ELNS1_3repE0EEENS1_30default_config_static_selectorELNS0_4arch9wavefront6targetE0EEEvT1_, .Lfunc_end2038-_ZN7rocprim17ROCPRIM_400000_NS6detail17trampoline_kernelINS0_14default_configENS1_27scan_by_key_config_selectorIj11FixedVectorIiLj4EEEEZZNS1_16scan_by_key_implILNS1_25lookback_scan_determinismE0ELb0ES3_N6thrust23THRUST_200600_302600_NS6detail15normal_iteratorINSB_10device_ptrIjEEEENSD_INSE_IS6_EEEESI_S6_NSB_4plusIvEENSB_8equal_toIvEES6_EE10hipError_tPvRmT2_T3_T4_T5_mT6_T7_P12ihipStream_tbENKUlT_T0_E_clISt17integral_constantIbLb0EES13_EEDaSY_SZ_EUlSY_E_NS1_11comp_targetILNS1_3genE2ELNS1_11target_archE906ELNS1_3gpuE6ELNS1_3repE0EEENS1_30default_config_static_selectorELNS0_4arch9wavefront6targetE0EEEvT1_
                                        ; -- End function
	.set _ZN7rocprim17ROCPRIM_400000_NS6detail17trampoline_kernelINS0_14default_configENS1_27scan_by_key_config_selectorIj11FixedVectorIiLj4EEEEZZNS1_16scan_by_key_implILNS1_25lookback_scan_determinismE0ELb0ES3_N6thrust23THRUST_200600_302600_NS6detail15normal_iteratorINSB_10device_ptrIjEEEENSD_INSE_IS6_EEEESI_S6_NSB_4plusIvEENSB_8equal_toIvEES6_EE10hipError_tPvRmT2_T3_T4_T5_mT6_T7_P12ihipStream_tbENKUlT_T0_E_clISt17integral_constantIbLb0EES13_EEDaSY_SZ_EUlSY_E_NS1_11comp_targetILNS1_3genE2ELNS1_11target_archE906ELNS1_3gpuE6ELNS1_3repE0EEENS1_30default_config_static_selectorELNS0_4arch9wavefront6targetE0EEEvT1_.num_vgpr, 0
	.set _ZN7rocprim17ROCPRIM_400000_NS6detail17trampoline_kernelINS0_14default_configENS1_27scan_by_key_config_selectorIj11FixedVectorIiLj4EEEEZZNS1_16scan_by_key_implILNS1_25lookback_scan_determinismE0ELb0ES3_N6thrust23THRUST_200600_302600_NS6detail15normal_iteratorINSB_10device_ptrIjEEEENSD_INSE_IS6_EEEESI_S6_NSB_4plusIvEENSB_8equal_toIvEES6_EE10hipError_tPvRmT2_T3_T4_T5_mT6_T7_P12ihipStream_tbENKUlT_T0_E_clISt17integral_constantIbLb0EES13_EEDaSY_SZ_EUlSY_E_NS1_11comp_targetILNS1_3genE2ELNS1_11target_archE906ELNS1_3gpuE6ELNS1_3repE0EEENS1_30default_config_static_selectorELNS0_4arch9wavefront6targetE0EEEvT1_.num_agpr, 0
	.set _ZN7rocprim17ROCPRIM_400000_NS6detail17trampoline_kernelINS0_14default_configENS1_27scan_by_key_config_selectorIj11FixedVectorIiLj4EEEEZZNS1_16scan_by_key_implILNS1_25lookback_scan_determinismE0ELb0ES3_N6thrust23THRUST_200600_302600_NS6detail15normal_iteratorINSB_10device_ptrIjEEEENSD_INSE_IS6_EEEESI_S6_NSB_4plusIvEENSB_8equal_toIvEES6_EE10hipError_tPvRmT2_T3_T4_T5_mT6_T7_P12ihipStream_tbENKUlT_T0_E_clISt17integral_constantIbLb0EES13_EEDaSY_SZ_EUlSY_E_NS1_11comp_targetILNS1_3genE2ELNS1_11target_archE906ELNS1_3gpuE6ELNS1_3repE0EEENS1_30default_config_static_selectorELNS0_4arch9wavefront6targetE0EEEvT1_.numbered_sgpr, 0
	.set _ZN7rocprim17ROCPRIM_400000_NS6detail17trampoline_kernelINS0_14default_configENS1_27scan_by_key_config_selectorIj11FixedVectorIiLj4EEEEZZNS1_16scan_by_key_implILNS1_25lookback_scan_determinismE0ELb0ES3_N6thrust23THRUST_200600_302600_NS6detail15normal_iteratorINSB_10device_ptrIjEEEENSD_INSE_IS6_EEEESI_S6_NSB_4plusIvEENSB_8equal_toIvEES6_EE10hipError_tPvRmT2_T3_T4_T5_mT6_T7_P12ihipStream_tbENKUlT_T0_E_clISt17integral_constantIbLb0EES13_EEDaSY_SZ_EUlSY_E_NS1_11comp_targetILNS1_3genE2ELNS1_11target_archE906ELNS1_3gpuE6ELNS1_3repE0EEENS1_30default_config_static_selectorELNS0_4arch9wavefront6targetE0EEEvT1_.num_named_barrier, 0
	.set _ZN7rocprim17ROCPRIM_400000_NS6detail17trampoline_kernelINS0_14default_configENS1_27scan_by_key_config_selectorIj11FixedVectorIiLj4EEEEZZNS1_16scan_by_key_implILNS1_25lookback_scan_determinismE0ELb0ES3_N6thrust23THRUST_200600_302600_NS6detail15normal_iteratorINSB_10device_ptrIjEEEENSD_INSE_IS6_EEEESI_S6_NSB_4plusIvEENSB_8equal_toIvEES6_EE10hipError_tPvRmT2_T3_T4_T5_mT6_T7_P12ihipStream_tbENKUlT_T0_E_clISt17integral_constantIbLb0EES13_EEDaSY_SZ_EUlSY_E_NS1_11comp_targetILNS1_3genE2ELNS1_11target_archE906ELNS1_3gpuE6ELNS1_3repE0EEENS1_30default_config_static_selectorELNS0_4arch9wavefront6targetE0EEEvT1_.private_seg_size, 0
	.set _ZN7rocprim17ROCPRIM_400000_NS6detail17trampoline_kernelINS0_14default_configENS1_27scan_by_key_config_selectorIj11FixedVectorIiLj4EEEEZZNS1_16scan_by_key_implILNS1_25lookback_scan_determinismE0ELb0ES3_N6thrust23THRUST_200600_302600_NS6detail15normal_iteratorINSB_10device_ptrIjEEEENSD_INSE_IS6_EEEESI_S6_NSB_4plusIvEENSB_8equal_toIvEES6_EE10hipError_tPvRmT2_T3_T4_T5_mT6_T7_P12ihipStream_tbENKUlT_T0_E_clISt17integral_constantIbLb0EES13_EEDaSY_SZ_EUlSY_E_NS1_11comp_targetILNS1_3genE2ELNS1_11target_archE906ELNS1_3gpuE6ELNS1_3repE0EEENS1_30default_config_static_selectorELNS0_4arch9wavefront6targetE0EEEvT1_.uses_vcc, 0
	.set _ZN7rocprim17ROCPRIM_400000_NS6detail17trampoline_kernelINS0_14default_configENS1_27scan_by_key_config_selectorIj11FixedVectorIiLj4EEEEZZNS1_16scan_by_key_implILNS1_25lookback_scan_determinismE0ELb0ES3_N6thrust23THRUST_200600_302600_NS6detail15normal_iteratorINSB_10device_ptrIjEEEENSD_INSE_IS6_EEEESI_S6_NSB_4plusIvEENSB_8equal_toIvEES6_EE10hipError_tPvRmT2_T3_T4_T5_mT6_T7_P12ihipStream_tbENKUlT_T0_E_clISt17integral_constantIbLb0EES13_EEDaSY_SZ_EUlSY_E_NS1_11comp_targetILNS1_3genE2ELNS1_11target_archE906ELNS1_3gpuE6ELNS1_3repE0EEENS1_30default_config_static_selectorELNS0_4arch9wavefront6targetE0EEEvT1_.uses_flat_scratch, 0
	.set _ZN7rocprim17ROCPRIM_400000_NS6detail17trampoline_kernelINS0_14default_configENS1_27scan_by_key_config_selectorIj11FixedVectorIiLj4EEEEZZNS1_16scan_by_key_implILNS1_25lookback_scan_determinismE0ELb0ES3_N6thrust23THRUST_200600_302600_NS6detail15normal_iteratorINSB_10device_ptrIjEEEENSD_INSE_IS6_EEEESI_S6_NSB_4plusIvEENSB_8equal_toIvEES6_EE10hipError_tPvRmT2_T3_T4_T5_mT6_T7_P12ihipStream_tbENKUlT_T0_E_clISt17integral_constantIbLb0EES13_EEDaSY_SZ_EUlSY_E_NS1_11comp_targetILNS1_3genE2ELNS1_11target_archE906ELNS1_3gpuE6ELNS1_3repE0EEENS1_30default_config_static_selectorELNS0_4arch9wavefront6targetE0EEEvT1_.has_dyn_sized_stack, 0
	.set _ZN7rocprim17ROCPRIM_400000_NS6detail17trampoline_kernelINS0_14default_configENS1_27scan_by_key_config_selectorIj11FixedVectorIiLj4EEEEZZNS1_16scan_by_key_implILNS1_25lookback_scan_determinismE0ELb0ES3_N6thrust23THRUST_200600_302600_NS6detail15normal_iteratorINSB_10device_ptrIjEEEENSD_INSE_IS6_EEEESI_S6_NSB_4plusIvEENSB_8equal_toIvEES6_EE10hipError_tPvRmT2_T3_T4_T5_mT6_T7_P12ihipStream_tbENKUlT_T0_E_clISt17integral_constantIbLb0EES13_EEDaSY_SZ_EUlSY_E_NS1_11comp_targetILNS1_3genE2ELNS1_11target_archE906ELNS1_3gpuE6ELNS1_3repE0EEENS1_30default_config_static_selectorELNS0_4arch9wavefront6targetE0EEEvT1_.has_recursion, 0
	.set _ZN7rocprim17ROCPRIM_400000_NS6detail17trampoline_kernelINS0_14default_configENS1_27scan_by_key_config_selectorIj11FixedVectorIiLj4EEEEZZNS1_16scan_by_key_implILNS1_25lookback_scan_determinismE0ELb0ES3_N6thrust23THRUST_200600_302600_NS6detail15normal_iteratorINSB_10device_ptrIjEEEENSD_INSE_IS6_EEEESI_S6_NSB_4plusIvEENSB_8equal_toIvEES6_EE10hipError_tPvRmT2_T3_T4_T5_mT6_T7_P12ihipStream_tbENKUlT_T0_E_clISt17integral_constantIbLb0EES13_EEDaSY_SZ_EUlSY_E_NS1_11comp_targetILNS1_3genE2ELNS1_11target_archE906ELNS1_3gpuE6ELNS1_3repE0EEENS1_30default_config_static_selectorELNS0_4arch9wavefront6targetE0EEEvT1_.has_indirect_call, 0
	.section	.AMDGPU.csdata,"",@progbits
; Kernel info:
; codeLenInByte = 0
; TotalNumSgprs: 0
; NumVgprs: 0
; ScratchSize: 0
; MemoryBound: 0
; FloatMode: 240
; IeeeMode: 1
; LDSByteSize: 0 bytes/workgroup (compile time only)
; SGPRBlocks: 0
; VGPRBlocks: 0
; NumSGPRsForWavesPerEU: 1
; NumVGPRsForWavesPerEU: 1
; Occupancy: 16
; WaveLimiterHint : 0
; COMPUTE_PGM_RSRC2:SCRATCH_EN: 0
; COMPUTE_PGM_RSRC2:USER_SGPR: 6
; COMPUTE_PGM_RSRC2:TRAP_HANDLER: 0
; COMPUTE_PGM_RSRC2:TGID_X_EN: 1
; COMPUTE_PGM_RSRC2:TGID_Y_EN: 0
; COMPUTE_PGM_RSRC2:TGID_Z_EN: 0
; COMPUTE_PGM_RSRC2:TIDIG_COMP_CNT: 0
	.section	.text._ZN7rocprim17ROCPRIM_400000_NS6detail17trampoline_kernelINS0_14default_configENS1_27scan_by_key_config_selectorIj11FixedVectorIiLj4EEEEZZNS1_16scan_by_key_implILNS1_25lookback_scan_determinismE0ELb0ES3_N6thrust23THRUST_200600_302600_NS6detail15normal_iteratorINSB_10device_ptrIjEEEENSD_INSE_IS6_EEEESI_S6_NSB_4plusIvEENSB_8equal_toIvEES6_EE10hipError_tPvRmT2_T3_T4_T5_mT6_T7_P12ihipStream_tbENKUlT_T0_E_clISt17integral_constantIbLb0EES13_EEDaSY_SZ_EUlSY_E_NS1_11comp_targetILNS1_3genE10ELNS1_11target_archE1200ELNS1_3gpuE4ELNS1_3repE0EEENS1_30default_config_static_selectorELNS0_4arch9wavefront6targetE0EEEvT1_,"axG",@progbits,_ZN7rocprim17ROCPRIM_400000_NS6detail17trampoline_kernelINS0_14default_configENS1_27scan_by_key_config_selectorIj11FixedVectorIiLj4EEEEZZNS1_16scan_by_key_implILNS1_25lookback_scan_determinismE0ELb0ES3_N6thrust23THRUST_200600_302600_NS6detail15normal_iteratorINSB_10device_ptrIjEEEENSD_INSE_IS6_EEEESI_S6_NSB_4plusIvEENSB_8equal_toIvEES6_EE10hipError_tPvRmT2_T3_T4_T5_mT6_T7_P12ihipStream_tbENKUlT_T0_E_clISt17integral_constantIbLb0EES13_EEDaSY_SZ_EUlSY_E_NS1_11comp_targetILNS1_3genE10ELNS1_11target_archE1200ELNS1_3gpuE4ELNS1_3repE0EEENS1_30default_config_static_selectorELNS0_4arch9wavefront6targetE0EEEvT1_,comdat
	.protected	_ZN7rocprim17ROCPRIM_400000_NS6detail17trampoline_kernelINS0_14default_configENS1_27scan_by_key_config_selectorIj11FixedVectorIiLj4EEEEZZNS1_16scan_by_key_implILNS1_25lookback_scan_determinismE0ELb0ES3_N6thrust23THRUST_200600_302600_NS6detail15normal_iteratorINSB_10device_ptrIjEEEENSD_INSE_IS6_EEEESI_S6_NSB_4plusIvEENSB_8equal_toIvEES6_EE10hipError_tPvRmT2_T3_T4_T5_mT6_T7_P12ihipStream_tbENKUlT_T0_E_clISt17integral_constantIbLb0EES13_EEDaSY_SZ_EUlSY_E_NS1_11comp_targetILNS1_3genE10ELNS1_11target_archE1200ELNS1_3gpuE4ELNS1_3repE0EEENS1_30default_config_static_selectorELNS0_4arch9wavefront6targetE0EEEvT1_ ; -- Begin function _ZN7rocprim17ROCPRIM_400000_NS6detail17trampoline_kernelINS0_14default_configENS1_27scan_by_key_config_selectorIj11FixedVectorIiLj4EEEEZZNS1_16scan_by_key_implILNS1_25lookback_scan_determinismE0ELb0ES3_N6thrust23THRUST_200600_302600_NS6detail15normal_iteratorINSB_10device_ptrIjEEEENSD_INSE_IS6_EEEESI_S6_NSB_4plusIvEENSB_8equal_toIvEES6_EE10hipError_tPvRmT2_T3_T4_T5_mT6_T7_P12ihipStream_tbENKUlT_T0_E_clISt17integral_constantIbLb0EES13_EEDaSY_SZ_EUlSY_E_NS1_11comp_targetILNS1_3genE10ELNS1_11target_archE1200ELNS1_3gpuE4ELNS1_3repE0EEENS1_30default_config_static_selectorELNS0_4arch9wavefront6targetE0EEEvT1_
	.globl	_ZN7rocprim17ROCPRIM_400000_NS6detail17trampoline_kernelINS0_14default_configENS1_27scan_by_key_config_selectorIj11FixedVectorIiLj4EEEEZZNS1_16scan_by_key_implILNS1_25lookback_scan_determinismE0ELb0ES3_N6thrust23THRUST_200600_302600_NS6detail15normal_iteratorINSB_10device_ptrIjEEEENSD_INSE_IS6_EEEESI_S6_NSB_4plusIvEENSB_8equal_toIvEES6_EE10hipError_tPvRmT2_T3_T4_T5_mT6_T7_P12ihipStream_tbENKUlT_T0_E_clISt17integral_constantIbLb0EES13_EEDaSY_SZ_EUlSY_E_NS1_11comp_targetILNS1_3genE10ELNS1_11target_archE1200ELNS1_3gpuE4ELNS1_3repE0EEENS1_30default_config_static_selectorELNS0_4arch9wavefront6targetE0EEEvT1_
	.p2align	8
	.type	_ZN7rocprim17ROCPRIM_400000_NS6detail17trampoline_kernelINS0_14default_configENS1_27scan_by_key_config_selectorIj11FixedVectorIiLj4EEEEZZNS1_16scan_by_key_implILNS1_25lookback_scan_determinismE0ELb0ES3_N6thrust23THRUST_200600_302600_NS6detail15normal_iteratorINSB_10device_ptrIjEEEENSD_INSE_IS6_EEEESI_S6_NSB_4plusIvEENSB_8equal_toIvEES6_EE10hipError_tPvRmT2_T3_T4_T5_mT6_T7_P12ihipStream_tbENKUlT_T0_E_clISt17integral_constantIbLb0EES13_EEDaSY_SZ_EUlSY_E_NS1_11comp_targetILNS1_3genE10ELNS1_11target_archE1200ELNS1_3gpuE4ELNS1_3repE0EEENS1_30default_config_static_selectorELNS0_4arch9wavefront6targetE0EEEvT1_,@function
_ZN7rocprim17ROCPRIM_400000_NS6detail17trampoline_kernelINS0_14default_configENS1_27scan_by_key_config_selectorIj11FixedVectorIiLj4EEEEZZNS1_16scan_by_key_implILNS1_25lookback_scan_determinismE0ELb0ES3_N6thrust23THRUST_200600_302600_NS6detail15normal_iteratorINSB_10device_ptrIjEEEENSD_INSE_IS6_EEEESI_S6_NSB_4plusIvEENSB_8equal_toIvEES6_EE10hipError_tPvRmT2_T3_T4_T5_mT6_T7_P12ihipStream_tbENKUlT_T0_E_clISt17integral_constantIbLb0EES13_EEDaSY_SZ_EUlSY_E_NS1_11comp_targetILNS1_3genE10ELNS1_11target_archE1200ELNS1_3gpuE4ELNS1_3repE0EEENS1_30default_config_static_selectorELNS0_4arch9wavefront6targetE0EEEvT1_: ; @_ZN7rocprim17ROCPRIM_400000_NS6detail17trampoline_kernelINS0_14default_configENS1_27scan_by_key_config_selectorIj11FixedVectorIiLj4EEEEZZNS1_16scan_by_key_implILNS1_25lookback_scan_determinismE0ELb0ES3_N6thrust23THRUST_200600_302600_NS6detail15normal_iteratorINSB_10device_ptrIjEEEENSD_INSE_IS6_EEEESI_S6_NSB_4plusIvEENSB_8equal_toIvEES6_EE10hipError_tPvRmT2_T3_T4_T5_mT6_T7_P12ihipStream_tbENKUlT_T0_E_clISt17integral_constantIbLb0EES13_EEDaSY_SZ_EUlSY_E_NS1_11comp_targetILNS1_3genE10ELNS1_11target_archE1200ELNS1_3gpuE4ELNS1_3repE0EEENS1_30default_config_static_selectorELNS0_4arch9wavefront6targetE0EEEvT1_
; %bb.0:
	.section	.rodata,"a",@progbits
	.p2align	6, 0x0
	.amdhsa_kernel _ZN7rocprim17ROCPRIM_400000_NS6detail17trampoline_kernelINS0_14default_configENS1_27scan_by_key_config_selectorIj11FixedVectorIiLj4EEEEZZNS1_16scan_by_key_implILNS1_25lookback_scan_determinismE0ELb0ES3_N6thrust23THRUST_200600_302600_NS6detail15normal_iteratorINSB_10device_ptrIjEEEENSD_INSE_IS6_EEEESI_S6_NSB_4plusIvEENSB_8equal_toIvEES6_EE10hipError_tPvRmT2_T3_T4_T5_mT6_T7_P12ihipStream_tbENKUlT_T0_E_clISt17integral_constantIbLb0EES13_EEDaSY_SZ_EUlSY_E_NS1_11comp_targetILNS1_3genE10ELNS1_11target_archE1200ELNS1_3gpuE4ELNS1_3repE0EEENS1_30default_config_static_selectorELNS0_4arch9wavefront6targetE0EEEvT1_
		.amdhsa_group_segment_fixed_size 0
		.amdhsa_private_segment_fixed_size 0
		.amdhsa_kernarg_size 144
		.amdhsa_user_sgpr_count 6
		.amdhsa_user_sgpr_private_segment_buffer 1
		.amdhsa_user_sgpr_dispatch_ptr 0
		.amdhsa_user_sgpr_queue_ptr 0
		.amdhsa_user_sgpr_kernarg_segment_ptr 1
		.amdhsa_user_sgpr_dispatch_id 0
		.amdhsa_user_sgpr_flat_scratch_init 0
		.amdhsa_user_sgpr_private_segment_size 0
		.amdhsa_wavefront_size32 1
		.amdhsa_uses_dynamic_stack 0
		.amdhsa_system_sgpr_private_segment_wavefront_offset 0
		.amdhsa_system_sgpr_workgroup_id_x 1
		.amdhsa_system_sgpr_workgroup_id_y 0
		.amdhsa_system_sgpr_workgroup_id_z 0
		.amdhsa_system_sgpr_workgroup_info 0
		.amdhsa_system_vgpr_workitem_id 0
		.amdhsa_next_free_vgpr 1
		.amdhsa_next_free_sgpr 1
		.amdhsa_reserve_vcc 0
		.amdhsa_reserve_flat_scratch 0
		.amdhsa_float_round_mode_32 0
		.amdhsa_float_round_mode_16_64 0
		.amdhsa_float_denorm_mode_32 3
		.amdhsa_float_denorm_mode_16_64 3
		.amdhsa_dx10_clamp 1
		.amdhsa_ieee_mode 1
		.amdhsa_fp16_overflow 0
		.amdhsa_workgroup_processor_mode 1
		.amdhsa_memory_ordered 1
		.amdhsa_forward_progress 1
		.amdhsa_shared_vgpr_count 0
		.amdhsa_exception_fp_ieee_invalid_op 0
		.amdhsa_exception_fp_denorm_src 0
		.amdhsa_exception_fp_ieee_div_zero 0
		.amdhsa_exception_fp_ieee_overflow 0
		.amdhsa_exception_fp_ieee_underflow 0
		.amdhsa_exception_fp_ieee_inexact 0
		.amdhsa_exception_int_div_zero 0
	.end_amdhsa_kernel
	.section	.text._ZN7rocprim17ROCPRIM_400000_NS6detail17trampoline_kernelINS0_14default_configENS1_27scan_by_key_config_selectorIj11FixedVectorIiLj4EEEEZZNS1_16scan_by_key_implILNS1_25lookback_scan_determinismE0ELb0ES3_N6thrust23THRUST_200600_302600_NS6detail15normal_iteratorINSB_10device_ptrIjEEEENSD_INSE_IS6_EEEESI_S6_NSB_4plusIvEENSB_8equal_toIvEES6_EE10hipError_tPvRmT2_T3_T4_T5_mT6_T7_P12ihipStream_tbENKUlT_T0_E_clISt17integral_constantIbLb0EES13_EEDaSY_SZ_EUlSY_E_NS1_11comp_targetILNS1_3genE10ELNS1_11target_archE1200ELNS1_3gpuE4ELNS1_3repE0EEENS1_30default_config_static_selectorELNS0_4arch9wavefront6targetE0EEEvT1_,"axG",@progbits,_ZN7rocprim17ROCPRIM_400000_NS6detail17trampoline_kernelINS0_14default_configENS1_27scan_by_key_config_selectorIj11FixedVectorIiLj4EEEEZZNS1_16scan_by_key_implILNS1_25lookback_scan_determinismE0ELb0ES3_N6thrust23THRUST_200600_302600_NS6detail15normal_iteratorINSB_10device_ptrIjEEEENSD_INSE_IS6_EEEESI_S6_NSB_4plusIvEENSB_8equal_toIvEES6_EE10hipError_tPvRmT2_T3_T4_T5_mT6_T7_P12ihipStream_tbENKUlT_T0_E_clISt17integral_constantIbLb0EES13_EEDaSY_SZ_EUlSY_E_NS1_11comp_targetILNS1_3genE10ELNS1_11target_archE1200ELNS1_3gpuE4ELNS1_3repE0EEENS1_30default_config_static_selectorELNS0_4arch9wavefront6targetE0EEEvT1_,comdat
.Lfunc_end2039:
	.size	_ZN7rocprim17ROCPRIM_400000_NS6detail17trampoline_kernelINS0_14default_configENS1_27scan_by_key_config_selectorIj11FixedVectorIiLj4EEEEZZNS1_16scan_by_key_implILNS1_25lookback_scan_determinismE0ELb0ES3_N6thrust23THRUST_200600_302600_NS6detail15normal_iteratorINSB_10device_ptrIjEEEENSD_INSE_IS6_EEEESI_S6_NSB_4plusIvEENSB_8equal_toIvEES6_EE10hipError_tPvRmT2_T3_T4_T5_mT6_T7_P12ihipStream_tbENKUlT_T0_E_clISt17integral_constantIbLb0EES13_EEDaSY_SZ_EUlSY_E_NS1_11comp_targetILNS1_3genE10ELNS1_11target_archE1200ELNS1_3gpuE4ELNS1_3repE0EEENS1_30default_config_static_selectorELNS0_4arch9wavefront6targetE0EEEvT1_, .Lfunc_end2039-_ZN7rocprim17ROCPRIM_400000_NS6detail17trampoline_kernelINS0_14default_configENS1_27scan_by_key_config_selectorIj11FixedVectorIiLj4EEEEZZNS1_16scan_by_key_implILNS1_25lookback_scan_determinismE0ELb0ES3_N6thrust23THRUST_200600_302600_NS6detail15normal_iteratorINSB_10device_ptrIjEEEENSD_INSE_IS6_EEEESI_S6_NSB_4plusIvEENSB_8equal_toIvEES6_EE10hipError_tPvRmT2_T3_T4_T5_mT6_T7_P12ihipStream_tbENKUlT_T0_E_clISt17integral_constantIbLb0EES13_EEDaSY_SZ_EUlSY_E_NS1_11comp_targetILNS1_3genE10ELNS1_11target_archE1200ELNS1_3gpuE4ELNS1_3repE0EEENS1_30default_config_static_selectorELNS0_4arch9wavefront6targetE0EEEvT1_
                                        ; -- End function
	.set _ZN7rocprim17ROCPRIM_400000_NS6detail17trampoline_kernelINS0_14default_configENS1_27scan_by_key_config_selectorIj11FixedVectorIiLj4EEEEZZNS1_16scan_by_key_implILNS1_25lookback_scan_determinismE0ELb0ES3_N6thrust23THRUST_200600_302600_NS6detail15normal_iteratorINSB_10device_ptrIjEEEENSD_INSE_IS6_EEEESI_S6_NSB_4plusIvEENSB_8equal_toIvEES6_EE10hipError_tPvRmT2_T3_T4_T5_mT6_T7_P12ihipStream_tbENKUlT_T0_E_clISt17integral_constantIbLb0EES13_EEDaSY_SZ_EUlSY_E_NS1_11comp_targetILNS1_3genE10ELNS1_11target_archE1200ELNS1_3gpuE4ELNS1_3repE0EEENS1_30default_config_static_selectorELNS0_4arch9wavefront6targetE0EEEvT1_.num_vgpr, 0
	.set _ZN7rocprim17ROCPRIM_400000_NS6detail17trampoline_kernelINS0_14default_configENS1_27scan_by_key_config_selectorIj11FixedVectorIiLj4EEEEZZNS1_16scan_by_key_implILNS1_25lookback_scan_determinismE0ELb0ES3_N6thrust23THRUST_200600_302600_NS6detail15normal_iteratorINSB_10device_ptrIjEEEENSD_INSE_IS6_EEEESI_S6_NSB_4plusIvEENSB_8equal_toIvEES6_EE10hipError_tPvRmT2_T3_T4_T5_mT6_T7_P12ihipStream_tbENKUlT_T0_E_clISt17integral_constantIbLb0EES13_EEDaSY_SZ_EUlSY_E_NS1_11comp_targetILNS1_3genE10ELNS1_11target_archE1200ELNS1_3gpuE4ELNS1_3repE0EEENS1_30default_config_static_selectorELNS0_4arch9wavefront6targetE0EEEvT1_.num_agpr, 0
	.set _ZN7rocprim17ROCPRIM_400000_NS6detail17trampoline_kernelINS0_14default_configENS1_27scan_by_key_config_selectorIj11FixedVectorIiLj4EEEEZZNS1_16scan_by_key_implILNS1_25lookback_scan_determinismE0ELb0ES3_N6thrust23THRUST_200600_302600_NS6detail15normal_iteratorINSB_10device_ptrIjEEEENSD_INSE_IS6_EEEESI_S6_NSB_4plusIvEENSB_8equal_toIvEES6_EE10hipError_tPvRmT2_T3_T4_T5_mT6_T7_P12ihipStream_tbENKUlT_T0_E_clISt17integral_constantIbLb0EES13_EEDaSY_SZ_EUlSY_E_NS1_11comp_targetILNS1_3genE10ELNS1_11target_archE1200ELNS1_3gpuE4ELNS1_3repE0EEENS1_30default_config_static_selectorELNS0_4arch9wavefront6targetE0EEEvT1_.numbered_sgpr, 0
	.set _ZN7rocprim17ROCPRIM_400000_NS6detail17trampoline_kernelINS0_14default_configENS1_27scan_by_key_config_selectorIj11FixedVectorIiLj4EEEEZZNS1_16scan_by_key_implILNS1_25lookback_scan_determinismE0ELb0ES3_N6thrust23THRUST_200600_302600_NS6detail15normal_iteratorINSB_10device_ptrIjEEEENSD_INSE_IS6_EEEESI_S6_NSB_4plusIvEENSB_8equal_toIvEES6_EE10hipError_tPvRmT2_T3_T4_T5_mT6_T7_P12ihipStream_tbENKUlT_T0_E_clISt17integral_constantIbLb0EES13_EEDaSY_SZ_EUlSY_E_NS1_11comp_targetILNS1_3genE10ELNS1_11target_archE1200ELNS1_3gpuE4ELNS1_3repE0EEENS1_30default_config_static_selectorELNS0_4arch9wavefront6targetE0EEEvT1_.num_named_barrier, 0
	.set _ZN7rocprim17ROCPRIM_400000_NS6detail17trampoline_kernelINS0_14default_configENS1_27scan_by_key_config_selectorIj11FixedVectorIiLj4EEEEZZNS1_16scan_by_key_implILNS1_25lookback_scan_determinismE0ELb0ES3_N6thrust23THRUST_200600_302600_NS6detail15normal_iteratorINSB_10device_ptrIjEEEENSD_INSE_IS6_EEEESI_S6_NSB_4plusIvEENSB_8equal_toIvEES6_EE10hipError_tPvRmT2_T3_T4_T5_mT6_T7_P12ihipStream_tbENKUlT_T0_E_clISt17integral_constantIbLb0EES13_EEDaSY_SZ_EUlSY_E_NS1_11comp_targetILNS1_3genE10ELNS1_11target_archE1200ELNS1_3gpuE4ELNS1_3repE0EEENS1_30default_config_static_selectorELNS0_4arch9wavefront6targetE0EEEvT1_.private_seg_size, 0
	.set _ZN7rocprim17ROCPRIM_400000_NS6detail17trampoline_kernelINS0_14default_configENS1_27scan_by_key_config_selectorIj11FixedVectorIiLj4EEEEZZNS1_16scan_by_key_implILNS1_25lookback_scan_determinismE0ELb0ES3_N6thrust23THRUST_200600_302600_NS6detail15normal_iteratorINSB_10device_ptrIjEEEENSD_INSE_IS6_EEEESI_S6_NSB_4plusIvEENSB_8equal_toIvEES6_EE10hipError_tPvRmT2_T3_T4_T5_mT6_T7_P12ihipStream_tbENKUlT_T0_E_clISt17integral_constantIbLb0EES13_EEDaSY_SZ_EUlSY_E_NS1_11comp_targetILNS1_3genE10ELNS1_11target_archE1200ELNS1_3gpuE4ELNS1_3repE0EEENS1_30default_config_static_selectorELNS0_4arch9wavefront6targetE0EEEvT1_.uses_vcc, 0
	.set _ZN7rocprim17ROCPRIM_400000_NS6detail17trampoline_kernelINS0_14default_configENS1_27scan_by_key_config_selectorIj11FixedVectorIiLj4EEEEZZNS1_16scan_by_key_implILNS1_25lookback_scan_determinismE0ELb0ES3_N6thrust23THRUST_200600_302600_NS6detail15normal_iteratorINSB_10device_ptrIjEEEENSD_INSE_IS6_EEEESI_S6_NSB_4plusIvEENSB_8equal_toIvEES6_EE10hipError_tPvRmT2_T3_T4_T5_mT6_T7_P12ihipStream_tbENKUlT_T0_E_clISt17integral_constantIbLb0EES13_EEDaSY_SZ_EUlSY_E_NS1_11comp_targetILNS1_3genE10ELNS1_11target_archE1200ELNS1_3gpuE4ELNS1_3repE0EEENS1_30default_config_static_selectorELNS0_4arch9wavefront6targetE0EEEvT1_.uses_flat_scratch, 0
	.set _ZN7rocprim17ROCPRIM_400000_NS6detail17trampoline_kernelINS0_14default_configENS1_27scan_by_key_config_selectorIj11FixedVectorIiLj4EEEEZZNS1_16scan_by_key_implILNS1_25lookback_scan_determinismE0ELb0ES3_N6thrust23THRUST_200600_302600_NS6detail15normal_iteratorINSB_10device_ptrIjEEEENSD_INSE_IS6_EEEESI_S6_NSB_4plusIvEENSB_8equal_toIvEES6_EE10hipError_tPvRmT2_T3_T4_T5_mT6_T7_P12ihipStream_tbENKUlT_T0_E_clISt17integral_constantIbLb0EES13_EEDaSY_SZ_EUlSY_E_NS1_11comp_targetILNS1_3genE10ELNS1_11target_archE1200ELNS1_3gpuE4ELNS1_3repE0EEENS1_30default_config_static_selectorELNS0_4arch9wavefront6targetE0EEEvT1_.has_dyn_sized_stack, 0
	.set _ZN7rocprim17ROCPRIM_400000_NS6detail17trampoline_kernelINS0_14default_configENS1_27scan_by_key_config_selectorIj11FixedVectorIiLj4EEEEZZNS1_16scan_by_key_implILNS1_25lookback_scan_determinismE0ELb0ES3_N6thrust23THRUST_200600_302600_NS6detail15normal_iteratorINSB_10device_ptrIjEEEENSD_INSE_IS6_EEEESI_S6_NSB_4plusIvEENSB_8equal_toIvEES6_EE10hipError_tPvRmT2_T3_T4_T5_mT6_T7_P12ihipStream_tbENKUlT_T0_E_clISt17integral_constantIbLb0EES13_EEDaSY_SZ_EUlSY_E_NS1_11comp_targetILNS1_3genE10ELNS1_11target_archE1200ELNS1_3gpuE4ELNS1_3repE0EEENS1_30default_config_static_selectorELNS0_4arch9wavefront6targetE0EEEvT1_.has_recursion, 0
	.set _ZN7rocprim17ROCPRIM_400000_NS6detail17trampoline_kernelINS0_14default_configENS1_27scan_by_key_config_selectorIj11FixedVectorIiLj4EEEEZZNS1_16scan_by_key_implILNS1_25lookback_scan_determinismE0ELb0ES3_N6thrust23THRUST_200600_302600_NS6detail15normal_iteratorINSB_10device_ptrIjEEEENSD_INSE_IS6_EEEESI_S6_NSB_4plusIvEENSB_8equal_toIvEES6_EE10hipError_tPvRmT2_T3_T4_T5_mT6_T7_P12ihipStream_tbENKUlT_T0_E_clISt17integral_constantIbLb0EES13_EEDaSY_SZ_EUlSY_E_NS1_11comp_targetILNS1_3genE10ELNS1_11target_archE1200ELNS1_3gpuE4ELNS1_3repE0EEENS1_30default_config_static_selectorELNS0_4arch9wavefront6targetE0EEEvT1_.has_indirect_call, 0
	.section	.AMDGPU.csdata,"",@progbits
; Kernel info:
; codeLenInByte = 0
; TotalNumSgprs: 0
; NumVgprs: 0
; ScratchSize: 0
; MemoryBound: 0
; FloatMode: 240
; IeeeMode: 1
; LDSByteSize: 0 bytes/workgroup (compile time only)
; SGPRBlocks: 0
; VGPRBlocks: 0
; NumSGPRsForWavesPerEU: 1
; NumVGPRsForWavesPerEU: 1
; Occupancy: 16
; WaveLimiterHint : 0
; COMPUTE_PGM_RSRC2:SCRATCH_EN: 0
; COMPUTE_PGM_RSRC2:USER_SGPR: 6
; COMPUTE_PGM_RSRC2:TRAP_HANDLER: 0
; COMPUTE_PGM_RSRC2:TGID_X_EN: 1
; COMPUTE_PGM_RSRC2:TGID_Y_EN: 0
; COMPUTE_PGM_RSRC2:TGID_Z_EN: 0
; COMPUTE_PGM_RSRC2:TIDIG_COMP_CNT: 0
	.section	.text._ZN7rocprim17ROCPRIM_400000_NS6detail17trampoline_kernelINS0_14default_configENS1_27scan_by_key_config_selectorIj11FixedVectorIiLj4EEEEZZNS1_16scan_by_key_implILNS1_25lookback_scan_determinismE0ELb0ES3_N6thrust23THRUST_200600_302600_NS6detail15normal_iteratorINSB_10device_ptrIjEEEENSD_INSE_IS6_EEEESI_S6_NSB_4plusIvEENSB_8equal_toIvEES6_EE10hipError_tPvRmT2_T3_T4_T5_mT6_T7_P12ihipStream_tbENKUlT_T0_E_clISt17integral_constantIbLb0EES13_EEDaSY_SZ_EUlSY_E_NS1_11comp_targetILNS1_3genE9ELNS1_11target_archE1100ELNS1_3gpuE3ELNS1_3repE0EEENS1_30default_config_static_selectorELNS0_4arch9wavefront6targetE0EEEvT1_,"axG",@progbits,_ZN7rocprim17ROCPRIM_400000_NS6detail17trampoline_kernelINS0_14default_configENS1_27scan_by_key_config_selectorIj11FixedVectorIiLj4EEEEZZNS1_16scan_by_key_implILNS1_25lookback_scan_determinismE0ELb0ES3_N6thrust23THRUST_200600_302600_NS6detail15normal_iteratorINSB_10device_ptrIjEEEENSD_INSE_IS6_EEEESI_S6_NSB_4plusIvEENSB_8equal_toIvEES6_EE10hipError_tPvRmT2_T3_T4_T5_mT6_T7_P12ihipStream_tbENKUlT_T0_E_clISt17integral_constantIbLb0EES13_EEDaSY_SZ_EUlSY_E_NS1_11comp_targetILNS1_3genE9ELNS1_11target_archE1100ELNS1_3gpuE3ELNS1_3repE0EEENS1_30default_config_static_selectorELNS0_4arch9wavefront6targetE0EEEvT1_,comdat
	.protected	_ZN7rocprim17ROCPRIM_400000_NS6detail17trampoline_kernelINS0_14default_configENS1_27scan_by_key_config_selectorIj11FixedVectorIiLj4EEEEZZNS1_16scan_by_key_implILNS1_25lookback_scan_determinismE0ELb0ES3_N6thrust23THRUST_200600_302600_NS6detail15normal_iteratorINSB_10device_ptrIjEEEENSD_INSE_IS6_EEEESI_S6_NSB_4plusIvEENSB_8equal_toIvEES6_EE10hipError_tPvRmT2_T3_T4_T5_mT6_T7_P12ihipStream_tbENKUlT_T0_E_clISt17integral_constantIbLb0EES13_EEDaSY_SZ_EUlSY_E_NS1_11comp_targetILNS1_3genE9ELNS1_11target_archE1100ELNS1_3gpuE3ELNS1_3repE0EEENS1_30default_config_static_selectorELNS0_4arch9wavefront6targetE0EEEvT1_ ; -- Begin function _ZN7rocprim17ROCPRIM_400000_NS6detail17trampoline_kernelINS0_14default_configENS1_27scan_by_key_config_selectorIj11FixedVectorIiLj4EEEEZZNS1_16scan_by_key_implILNS1_25lookback_scan_determinismE0ELb0ES3_N6thrust23THRUST_200600_302600_NS6detail15normal_iteratorINSB_10device_ptrIjEEEENSD_INSE_IS6_EEEESI_S6_NSB_4plusIvEENSB_8equal_toIvEES6_EE10hipError_tPvRmT2_T3_T4_T5_mT6_T7_P12ihipStream_tbENKUlT_T0_E_clISt17integral_constantIbLb0EES13_EEDaSY_SZ_EUlSY_E_NS1_11comp_targetILNS1_3genE9ELNS1_11target_archE1100ELNS1_3gpuE3ELNS1_3repE0EEENS1_30default_config_static_selectorELNS0_4arch9wavefront6targetE0EEEvT1_
	.globl	_ZN7rocprim17ROCPRIM_400000_NS6detail17trampoline_kernelINS0_14default_configENS1_27scan_by_key_config_selectorIj11FixedVectorIiLj4EEEEZZNS1_16scan_by_key_implILNS1_25lookback_scan_determinismE0ELb0ES3_N6thrust23THRUST_200600_302600_NS6detail15normal_iteratorINSB_10device_ptrIjEEEENSD_INSE_IS6_EEEESI_S6_NSB_4plusIvEENSB_8equal_toIvEES6_EE10hipError_tPvRmT2_T3_T4_T5_mT6_T7_P12ihipStream_tbENKUlT_T0_E_clISt17integral_constantIbLb0EES13_EEDaSY_SZ_EUlSY_E_NS1_11comp_targetILNS1_3genE9ELNS1_11target_archE1100ELNS1_3gpuE3ELNS1_3repE0EEENS1_30default_config_static_selectorELNS0_4arch9wavefront6targetE0EEEvT1_
	.p2align	8
	.type	_ZN7rocprim17ROCPRIM_400000_NS6detail17trampoline_kernelINS0_14default_configENS1_27scan_by_key_config_selectorIj11FixedVectorIiLj4EEEEZZNS1_16scan_by_key_implILNS1_25lookback_scan_determinismE0ELb0ES3_N6thrust23THRUST_200600_302600_NS6detail15normal_iteratorINSB_10device_ptrIjEEEENSD_INSE_IS6_EEEESI_S6_NSB_4plusIvEENSB_8equal_toIvEES6_EE10hipError_tPvRmT2_T3_T4_T5_mT6_T7_P12ihipStream_tbENKUlT_T0_E_clISt17integral_constantIbLb0EES13_EEDaSY_SZ_EUlSY_E_NS1_11comp_targetILNS1_3genE9ELNS1_11target_archE1100ELNS1_3gpuE3ELNS1_3repE0EEENS1_30default_config_static_selectorELNS0_4arch9wavefront6targetE0EEEvT1_,@function
_ZN7rocprim17ROCPRIM_400000_NS6detail17trampoline_kernelINS0_14default_configENS1_27scan_by_key_config_selectorIj11FixedVectorIiLj4EEEEZZNS1_16scan_by_key_implILNS1_25lookback_scan_determinismE0ELb0ES3_N6thrust23THRUST_200600_302600_NS6detail15normal_iteratorINSB_10device_ptrIjEEEENSD_INSE_IS6_EEEESI_S6_NSB_4plusIvEENSB_8equal_toIvEES6_EE10hipError_tPvRmT2_T3_T4_T5_mT6_T7_P12ihipStream_tbENKUlT_T0_E_clISt17integral_constantIbLb0EES13_EEDaSY_SZ_EUlSY_E_NS1_11comp_targetILNS1_3genE9ELNS1_11target_archE1100ELNS1_3gpuE3ELNS1_3repE0EEENS1_30default_config_static_selectorELNS0_4arch9wavefront6targetE0EEEvT1_: ; @_ZN7rocprim17ROCPRIM_400000_NS6detail17trampoline_kernelINS0_14default_configENS1_27scan_by_key_config_selectorIj11FixedVectorIiLj4EEEEZZNS1_16scan_by_key_implILNS1_25lookback_scan_determinismE0ELb0ES3_N6thrust23THRUST_200600_302600_NS6detail15normal_iteratorINSB_10device_ptrIjEEEENSD_INSE_IS6_EEEESI_S6_NSB_4plusIvEENSB_8equal_toIvEES6_EE10hipError_tPvRmT2_T3_T4_T5_mT6_T7_P12ihipStream_tbENKUlT_T0_E_clISt17integral_constantIbLb0EES13_EEDaSY_SZ_EUlSY_E_NS1_11comp_targetILNS1_3genE9ELNS1_11target_archE1100ELNS1_3gpuE3ELNS1_3repE0EEENS1_30default_config_static_selectorELNS0_4arch9wavefront6targetE0EEEvT1_
; %bb.0:
	.section	.rodata,"a",@progbits
	.p2align	6, 0x0
	.amdhsa_kernel _ZN7rocprim17ROCPRIM_400000_NS6detail17trampoline_kernelINS0_14default_configENS1_27scan_by_key_config_selectorIj11FixedVectorIiLj4EEEEZZNS1_16scan_by_key_implILNS1_25lookback_scan_determinismE0ELb0ES3_N6thrust23THRUST_200600_302600_NS6detail15normal_iteratorINSB_10device_ptrIjEEEENSD_INSE_IS6_EEEESI_S6_NSB_4plusIvEENSB_8equal_toIvEES6_EE10hipError_tPvRmT2_T3_T4_T5_mT6_T7_P12ihipStream_tbENKUlT_T0_E_clISt17integral_constantIbLb0EES13_EEDaSY_SZ_EUlSY_E_NS1_11comp_targetILNS1_3genE9ELNS1_11target_archE1100ELNS1_3gpuE3ELNS1_3repE0EEENS1_30default_config_static_selectorELNS0_4arch9wavefront6targetE0EEEvT1_
		.amdhsa_group_segment_fixed_size 0
		.amdhsa_private_segment_fixed_size 0
		.amdhsa_kernarg_size 144
		.amdhsa_user_sgpr_count 6
		.amdhsa_user_sgpr_private_segment_buffer 1
		.amdhsa_user_sgpr_dispatch_ptr 0
		.amdhsa_user_sgpr_queue_ptr 0
		.amdhsa_user_sgpr_kernarg_segment_ptr 1
		.amdhsa_user_sgpr_dispatch_id 0
		.amdhsa_user_sgpr_flat_scratch_init 0
		.amdhsa_user_sgpr_private_segment_size 0
		.amdhsa_wavefront_size32 1
		.amdhsa_uses_dynamic_stack 0
		.amdhsa_system_sgpr_private_segment_wavefront_offset 0
		.amdhsa_system_sgpr_workgroup_id_x 1
		.amdhsa_system_sgpr_workgroup_id_y 0
		.amdhsa_system_sgpr_workgroup_id_z 0
		.amdhsa_system_sgpr_workgroup_info 0
		.amdhsa_system_vgpr_workitem_id 0
		.amdhsa_next_free_vgpr 1
		.amdhsa_next_free_sgpr 1
		.amdhsa_reserve_vcc 0
		.amdhsa_reserve_flat_scratch 0
		.amdhsa_float_round_mode_32 0
		.amdhsa_float_round_mode_16_64 0
		.amdhsa_float_denorm_mode_32 3
		.amdhsa_float_denorm_mode_16_64 3
		.amdhsa_dx10_clamp 1
		.amdhsa_ieee_mode 1
		.amdhsa_fp16_overflow 0
		.amdhsa_workgroup_processor_mode 1
		.amdhsa_memory_ordered 1
		.amdhsa_forward_progress 1
		.amdhsa_shared_vgpr_count 0
		.amdhsa_exception_fp_ieee_invalid_op 0
		.amdhsa_exception_fp_denorm_src 0
		.amdhsa_exception_fp_ieee_div_zero 0
		.amdhsa_exception_fp_ieee_overflow 0
		.amdhsa_exception_fp_ieee_underflow 0
		.amdhsa_exception_fp_ieee_inexact 0
		.amdhsa_exception_int_div_zero 0
	.end_amdhsa_kernel
	.section	.text._ZN7rocprim17ROCPRIM_400000_NS6detail17trampoline_kernelINS0_14default_configENS1_27scan_by_key_config_selectorIj11FixedVectorIiLj4EEEEZZNS1_16scan_by_key_implILNS1_25lookback_scan_determinismE0ELb0ES3_N6thrust23THRUST_200600_302600_NS6detail15normal_iteratorINSB_10device_ptrIjEEEENSD_INSE_IS6_EEEESI_S6_NSB_4plusIvEENSB_8equal_toIvEES6_EE10hipError_tPvRmT2_T3_T4_T5_mT6_T7_P12ihipStream_tbENKUlT_T0_E_clISt17integral_constantIbLb0EES13_EEDaSY_SZ_EUlSY_E_NS1_11comp_targetILNS1_3genE9ELNS1_11target_archE1100ELNS1_3gpuE3ELNS1_3repE0EEENS1_30default_config_static_selectorELNS0_4arch9wavefront6targetE0EEEvT1_,"axG",@progbits,_ZN7rocprim17ROCPRIM_400000_NS6detail17trampoline_kernelINS0_14default_configENS1_27scan_by_key_config_selectorIj11FixedVectorIiLj4EEEEZZNS1_16scan_by_key_implILNS1_25lookback_scan_determinismE0ELb0ES3_N6thrust23THRUST_200600_302600_NS6detail15normal_iteratorINSB_10device_ptrIjEEEENSD_INSE_IS6_EEEESI_S6_NSB_4plusIvEENSB_8equal_toIvEES6_EE10hipError_tPvRmT2_T3_T4_T5_mT6_T7_P12ihipStream_tbENKUlT_T0_E_clISt17integral_constantIbLb0EES13_EEDaSY_SZ_EUlSY_E_NS1_11comp_targetILNS1_3genE9ELNS1_11target_archE1100ELNS1_3gpuE3ELNS1_3repE0EEENS1_30default_config_static_selectorELNS0_4arch9wavefront6targetE0EEEvT1_,comdat
.Lfunc_end2040:
	.size	_ZN7rocprim17ROCPRIM_400000_NS6detail17trampoline_kernelINS0_14default_configENS1_27scan_by_key_config_selectorIj11FixedVectorIiLj4EEEEZZNS1_16scan_by_key_implILNS1_25lookback_scan_determinismE0ELb0ES3_N6thrust23THRUST_200600_302600_NS6detail15normal_iteratorINSB_10device_ptrIjEEEENSD_INSE_IS6_EEEESI_S6_NSB_4plusIvEENSB_8equal_toIvEES6_EE10hipError_tPvRmT2_T3_T4_T5_mT6_T7_P12ihipStream_tbENKUlT_T0_E_clISt17integral_constantIbLb0EES13_EEDaSY_SZ_EUlSY_E_NS1_11comp_targetILNS1_3genE9ELNS1_11target_archE1100ELNS1_3gpuE3ELNS1_3repE0EEENS1_30default_config_static_selectorELNS0_4arch9wavefront6targetE0EEEvT1_, .Lfunc_end2040-_ZN7rocprim17ROCPRIM_400000_NS6detail17trampoline_kernelINS0_14default_configENS1_27scan_by_key_config_selectorIj11FixedVectorIiLj4EEEEZZNS1_16scan_by_key_implILNS1_25lookback_scan_determinismE0ELb0ES3_N6thrust23THRUST_200600_302600_NS6detail15normal_iteratorINSB_10device_ptrIjEEEENSD_INSE_IS6_EEEESI_S6_NSB_4plusIvEENSB_8equal_toIvEES6_EE10hipError_tPvRmT2_T3_T4_T5_mT6_T7_P12ihipStream_tbENKUlT_T0_E_clISt17integral_constantIbLb0EES13_EEDaSY_SZ_EUlSY_E_NS1_11comp_targetILNS1_3genE9ELNS1_11target_archE1100ELNS1_3gpuE3ELNS1_3repE0EEENS1_30default_config_static_selectorELNS0_4arch9wavefront6targetE0EEEvT1_
                                        ; -- End function
	.set _ZN7rocprim17ROCPRIM_400000_NS6detail17trampoline_kernelINS0_14default_configENS1_27scan_by_key_config_selectorIj11FixedVectorIiLj4EEEEZZNS1_16scan_by_key_implILNS1_25lookback_scan_determinismE0ELb0ES3_N6thrust23THRUST_200600_302600_NS6detail15normal_iteratorINSB_10device_ptrIjEEEENSD_INSE_IS6_EEEESI_S6_NSB_4plusIvEENSB_8equal_toIvEES6_EE10hipError_tPvRmT2_T3_T4_T5_mT6_T7_P12ihipStream_tbENKUlT_T0_E_clISt17integral_constantIbLb0EES13_EEDaSY_SZ_EUlSY_E_NS1_11comp_targetILNS1_3genE9ELNS1_11target_archE1100ELNS1_3gpuE3ELNS1_3repE0EEENS1_30default_config_static_selectorELNS0_4arch9wavefront6targetE0EEEvT1_.num_vgpr, 0
	.set _ZN7rocprim17ROCPRIM_400000_NS6detail17trampoline_kernelINS0_14default_configENS1_27scan_by_key_config_selectorIj11FixedVectorIiLj4EEEEZZNS1_16scan_by_key_implILNS1_25lookback_scan_determinismE0ELb0ES3_N6thrust23THRUST_200600_302600_NS6detail15normal_iteratorINSB_10device_ptrIjEEEENSD_INSE_IS6_EEEESI_S6_NSB_4plusIvEENSB_8equal_toIvEES6_EE10hipError_tPvRmT2_T3_T4_T5_mT6_T7_P12ihipStream_tbENKUlT_T0_E_clISt17integral_constantIbLb0EES13_EEDaSY_SZ_EUlSY_E_NS1_11comp_targetILNS1_3genE9ELNS1_11target_archE1100ELNS1_3gpuE3ELNS1_3repE0EEENS1_30default_config_static_selectorELNS0_4arch9wavefront6targetE0EEEvT1_.num_agpr, 0
	.set _ZN7rocprim17ROCPRIM_400000_NS6detail17trampoline_kernelINS0_14default_configENS1_27scan_by_key_config_selectorIj11FixedVectorIiLj4EEEEZZNS1_16scan_by_key_implILNS1_25lookback_scan_determinismE0ELb0ES3_N6thrust23THRUST_200600_302600_NS6detail15normal_iteratorINSB_10device_ptrIjEEEENSD_INSE_IS6_EEEESI_S6_NSB_4plusIvEENSB_8equal_toIvEES6_EE10hipError_tPvRmT2_T3_T4_T5_mT6_T7_P12ihipStream_tbENKUlT_T0_E_clISt17integral_constantIbLb0EES13_EEDaSY_SZ_EUlSY_E_NS1_11comp_targetILNS1_3genE9ELNS1_11target_archE1100ELNS1_3gpuE3ELNS1_3repE0EEENS1_30default_config_static_selectorELNS0_4arch9wavefront6targetE0EEEvT1_.numbered_sgpr, 0
	.set _ZN7rocprim17ROCPRIM_400000_NS6detail17trampoline_kernelINS0_14default_configENS1_27scan_by_key_config_selectorIj11FixedVectorIiLj4EEEEZZNS1_16scan_by_key_implILNS1_25lookback_scan_determinismE0ELb0ES3_N6thrust23THRUST_200600_302600_NS6detail15normal_iteratorINSB_10device_ptrIjEEEENSD_INSE_IS6_EEEESI_S6_NSB_4plusIvEENSB_8equal_toIvEES6_EE10hipError_tPvRmT2_T3_T4_T5_mT6_T7_P12ihipStream_tbENKUlT_T0_E_clISt17integral_constantIbLb0EES13_EEDaSY_SZ_EUlSY_E_NS1_11comp_targetILNS1_3genE9ELNS1_11target_archE1100ELNS1_3gpuE3ELNS1_3repE0EEENS1_30default_config_static_selectorELNS0_4arch9wavefront6targetE0EEEvT1_.num_named_barrier, 0
	.set _ZN7rocprim17ROCPRIM_400000_NS6detail17trampoline_kernelINS0_14default_configENS1_27scan_by_key_config_selectorIj11FixedVectorIiLj4EEEEZZNS1_16scan_by_key_implILNS1_25lookback_scan_determinismE0ELb0ES3_N6thrust23THRUST_200600_302600_NS6detail15normal_iteratorINSB_10device_ptrIjEEEENSD_INSE_IS6_EEEESI_S6_NSB_4plusIvEENSB_8equal_toIvEES6_EE10hipError_tPvRmT2_T3_T4_T5_mT6_T7_P12ihipStream_tbENKUlT_T0_E_clISt17integral_constantIbLb0EES13_EEDaSY_SZ_EUlSY_E_NS1_11comp_targetILNS1_3genE9ELNS1_11target_archE1100ELNS1_3gpuE3ELNS1_3repE0EEENS1_30default_config_static_selectorELNS0_4arch9wavefront6targetE0EEEvT1_.private_seg_size, 0
	.set _ZN7rocprim17ROCPRIM_400000_NS6detail17trampoline_kernelINS0_14default_configENS1_27scan_by_key_config_selectorIj11FixedVectorIiLj4EEEEZZNS1_16scan_by_key_implILNS1_25lookback_scan_determinismE0ELb0ES3_N6thrust23THRUST_200600_302600_NS6detail15normal_iteratorINSB_10device_ptrIjEEEENSD_INSE_IS6_EEEESI_S6_NSB_4plusIvEENSB_8equal_toIvEES6_EE10hipError_tPvRmT2_T3_T4_T5_mT6_T7_P12ihipStream_tbENKUlT_T0_E_clISt17integral_constantIbLb0EES13_EEDaSY_SZ_EUlSY_E_NS1_11comp_targetILNS1_3genE9ELNS1_11target_archE1100ELNS1_3gpuE3ELNS1_3repE0EEENS1_30default_config_static_selectorELNS0_4arch9wavefront6targetE0EEEvT1_.uses_vcc, 0
	.set _ZN7rocprim17ROCPRIM_400000_NS6detail17trampoline_kernelINS0_14default_configENS1_27scan_by_key_config_selectorIj11FixedVectorIiLj4EEEEZZNS1_16scan_by_key_implILNS1_25lookback_scan_determinismE0ELb0ES3_N6thrust23THRUST_200600_302600_NS6detail15normal_iteratorINSB_10device_ptrIjEEEENSD_INSE_IS6_EEEESI_S6_NSB_4plusIvEENSB_8equal_toIvEES6_EE10hipError_tPvRmT2_T3_T4_T5_mT6_T7_P12ihipStream_tbENKUlT_T0_E_clISt17integral_constantIbLb0EES13_EEDaSY_SZ_EUlSY_E_NS1_11comp_targetILNS1_3genE9ELNS1_11target_archE1100ELNS1_3gpuE3ELNS1_3repE0EEENS1_30default_config_static_selectorELNS0_4arch9wavefront6targetE0EEEvT1_.uses_flat_scratch, 0
	.set _ZN7rocprim17ROCPRIM_400000_NS6detail17trampoline_kernelINS0_14default_configENS1_27scan_by_key_config_selectorIj11FixedVectorIiLj4EEEEZZNS1_16scan_by_key_implILNS1_25lookback_scan_determinismE0ELb0ES3_N6thrust23THRUST_200600_302600_NS6detail15normal_iteratorINSB_10device_ptrIjEEEENSD_INSE_IS6_EEEESI_S6_NSB_4plusIvEENSB_8equal_toIvEES6_EE10hipError_tPvRmT2_T3_T4_T5_mT6_T7_P12ihipStream_tbENKUlT_T0_E_clISt17integral_constantIbLb0EES13_EEDaSY_SZ_EUlSY_E_NS1_11comp_targetILNS1_3genE9ELNS1_11target_archE1100ELNS1_3gpuE3ELNS1_3repE0EEENS1_30default_config_static_selectorELNS0_4arch9wavefront6targetE0EEEvT1_.has_dyn_sized_stack, 0
	.set _ZN7rocprim17ROCPRIM_400000_NS6detail17trampoline_kernelINS0_14default_configENS1_27scan_by_key_config_selectorIj11FixedVectorIiLj4EEEEZZNS1_16scan_by_key_implILNS1_25lookback_scan_determinismE0ELb0ES3_N6thrust23THRUST_200600_302600_NS6detail15normal_iteratorINSB_10device_ptrIjEEEENSD_INSE_IS6_EEEESI_S6_NSB_4plusIvEENSB_8equal_toIvEES6_EE10hipError_tPvRmT2_T3_T4_T5_mT6_T7_P12ihipStream_tbENKUlT_T0_E_clISt17integral_constantIbLb0EES13_EEDaSY_SZ_EUlSY_E_NS1_11comp_targetILNS1_3genE9ELNS1_11target_archE1100ELNS1_3gpuE3ELNS1_3repE0EEENS1_30default_config_static_selectorELNS0_4arch9wavefront6targetE0EEEvT1_.has_recursion, 0
	.set _ZN7rocprim17ROCPRIM_400000_NS6detail17trampoline_kernelINS0_14default_configENS1_27scan_by_key_config_selectorIj11FixedVectorIiLj4EEEEZZNS1_16scan_by_key_implILNS1_25lookback_scan_determinismE0ELb0ES3_N6thrust23THRUST_200600_302600_NS6detail15normal_iteratorINSB_10device_ptrIjEEEENSD_INSE_IS6_EEEESI_S6_NSB_4plusIvEENSB_8equal_toIvEES6_EE10hipError_tPvRmT2_T3_T4_T5_mT6_T7_P12ihipStream_tbENKUlT_T0_E_clISt17integral_constantIbLb0EES13_EEDaSY_SZ_EUlSY_E_NS1_11comp_targetILNS1_3genE9ELNS1_11target_archE1100ELNS1_3gpuE3ELNS1_3repE0EEENS1_30default_config_static_selectorELNS0_4arch9wavefront6targetE0EEEvT1_.has_indirect_call, 0
	.section	.AMDGPU.csdata,"",@progbits
; Kernel info:
; codeLenInByte = 0
; TotalNumSgprs: 0
; NumVgprs: 0
; ScratchSize: 0
; MemoryBound: 0
; FloatMode: 240
; IeeeMode: 1
; LDSByteSize: 0 bytes/workgroup (compile time only)
; SGPRBlocks: 0
; VGPRBlocks: 0
; NumSGPRsForWavesPerEU: 1
; NumVGPRsForWavesPerEU: 1
; Occupancy: 16
; WaveLimiterHint : 0
; COMPUTE_PGM_RSRC2:SCRATCH_EN: 0
; COMPUTE_PGM_RSRC2:USER_SGPR: 6
; COMPUTE_PGM_RSRC2:TRAP_HANDLER: 0
; COMPUTE_PGM_RSRC2:TGID_X_EN: 1
; COMPUTE_PGM_RSRC2:TGID_Y_EN: 0
; COMPUTE_PGM_RSRC2:TGID_Z_EN: 0
; COMPUTE_PGM_RSRC2:TIDIG_COMP_CNT: 0
	.section	.text._ZN7rocprim17ROCPRIM_400000_NS6detail17trampoline_kernelINS0_14default_configENS1_27scan_by_key_config_selectorIj11FixedVectorIiLj4EEEEZZNS1_16scan_by_key_implILNS1_25lookback_scan_determinismE0ELb0ES3_N6thrust23THRUST_200600_302600_NS6detail15normal_iteratorINSB_10device_ptrIjEEEENSD_INSE_IS6_EEEESI_S6_NSB_4plusIvEENSB_8equal_toIvEES6_EE10hipError_tPvRmT2_T3_T4_T5_mT6_T7_P12ihipStream_tbENKUlT_T0_E_clISt17integral_constantIbLb0EES13_EEDaSY_SZ_EUlSY_E_NS1_11comp_targetILNS1_3genE8ELNS1_11target_archE1030ELNS1_3gpuE2ELNS1_3repE0EEENS1_30default_config_static_selectorELNS0_4arch9wavefront6targetE0EEEvT1_,"axG",@progbits,_ZN7rocprim17ROCPRIM_400000_NS6detail17trampoline_kernelINS0_14default_configENS1_27scan_by_key_config_selectorIj11FixedVectorIiLj4EEEEZZNS1_16scan_by_key_implILNS1_25lookback_scan_determinismE0ELb0ES3_N6thrust23THRUST_200600_302600_NS6detail15normal_iteratorINSB_10device_ptrIjEEEENSD_INSE_IS6_EEEESI_S6_NSB_4plusIvEENSB_8equal_toIvEES6_EE10hipError_tPvRmT2_T3_T4_T5_mT6_T7_P12ihipStream_tbENKUlT_T0_E_clISt17integral_constantIbLb0EES13_EEDaSY_SZ_EUlSY_E_NS1_11comp_targetILNS1_3genE8ELNS1_11target_archE1030ELNS1_3gpuE2ELNS1_3repE0EEENS1_30default_config_static_selectorELNS0_4arch9wavefront6targetE0EEEvT1_,comdat
	.protected	_ZN7rocprim17ROCPRIM_400000_NS6detail17trampoline_kernelINS0_14default_configENS1_27scan_by_key_config_selectorIj11FixedVectorIiLj4EEEEZZNS1_16scan_by_key_implILNS1_25lookback_scan_determinismE0ELb0ES3_N6thrust23THRUST_200600_302600_NS6detail15normal_iteratorINSB_10device_ptrIjEEEENSD_INSE_IS6_EEEESI_S6_NSB_4plusIvEENSB_8equal_toIvEES6_EE10hipError_tPvRmT2_T3_T4_T5_mT6_T7_P12ihipStream_tbENKUlT_T0_E_clISt17integral_constantIbLb0EES13_EEDaSY_SZ_EUlSY_E_NS1_11comp_targetILNS1_3genE8ELNS1_11target_archE1030ELNS1_3gpuE2ELNS1_3repE0EEENS1_30default_config_static_selectorELNS0_4arch9wavefront6targetE0EEEvT1_ ; -- Begin function _ZN7rocprim17ROCPRIM_400000_NS6detail17trampoline_kernelINS0_14default_configENS1_27scan_by_key_config_selectorIj11FixedVectorIiLj4EEEEZZNS1_16scan_by_key_implILNS1_25lookback_scan_determinismE0ELb0ES3_N6thrust23THRUST_200600_302600_NS6detail15normal_iteratorINSB_10device_ptrIjEEEENSD_INSE_IS6_EEEESI_S6_NSB_4plusIvEENSB_8equal_toIvEES6_EE10hipError_tPvRmT2_T3_T4_T5_mT6_T7_P12ihipStream_tbENKUlT_T0_E_clISt17integral_constantIbLb0EES13_EEDaSY_SZ_EUlSY_E_NS1_11comp_targetILNS1_3genE8ELNS1_11target_archE1030ELNS1_3gpuE2ELNS1_3repE0EEENS1_30default_config_static_selectorELNS0_4arch9wavefront6targetE0EEEvT1_
	.globl	_ZN7rocprim17ROCPRIM_400000_NS6detail17trampoline_kernelINS0_14default_configENS1_27scan_by_key_config_selectorIj11FixedVectorIiLj4EEEEZZNS1_16scan_by_key_implILNS1_25lookback_scan_determinismE0ELb0ES3_N6thrust23THRUST_200600_302600_NS6detail15normal_iteratorINSB_10device_ptrIjEEEENSD_INSE_IS6_EEEESI_S6_NSB_4plusIvEENSB_8equal_toIvEES6_EE10hipError_tPvRmT2_T3_T4_T5_mT6_T7_P12ihipStream_tbENKUlT_T0_E_clISt17integral_constantIbLb0EES13_EEDaSY_SZ_EUlSY_E_NS1_11comp_targetILNS1_3genE8ELNS1_11target_archE1030ELNS1_3gpuE2ELNS1_3repE0EEENS1_30default_config_static_selectorELNS0_4arch9wavefront6targetE0EEEvT1_
	.p2align	8
	.type	_ZN7rocprim17ROCPRIM_400000_NS6detail17trampoline_kernelINS0_14default_configENS1_27scan_by_key_config_selectorIj11FixedVectorIiLj4EEEEZZNS1_16scan_by_key_implILNS1_25lookback_scan_determinismE0ELb0ES3_N6thrust23THRUST_200600_302600_NS6detail15normal_iteratorINSB_10device_ptrIjEEEENSD_INSE_IS6_EEEESI_S6_NSB_4plusIvEENSB_8equal_toIvEES6_EE10hipError_tPvRmT2_T3_T4_T5_mT6_T7_P12ihipStream_tbENKUlT_T0_E_clISt17integral_constantIbLb0EES13_EEDaSY_SZ_EUlSY_E_NS1_11comp_targetILNS1_3genE8ELNS1_11target_archE1030ELNS1_3gpuE2ELNS1_3repE0EEENS1_30default_config_static_selectorELNS0_4arch9wavefront6targetE0EEEvT1_,@function
_ZN7rocprim17ROCPRIM_400000_NS6detail17trampoline_kernelINS0_14default_configENS1_27scan_by_key_config_selectorIj11FixedVectorIiLj4EEEEZZNS1_16scan_by_key_implILNS1_25lookback_scan_determinismE0ELb0ES3_N6thrust23THRUST_200600_302600_NS6detail15normal_iteratorINSB_10device_ptrIjEEEENSD_INSE_IS6_EEEESI_S6_NSB_4plusIvEENSB_8equal_toIvEES6_EE10hipError_tPvRmT2_T3_T4_T5_mT6_T7_P12ihipStream_tbENKUlT_T0_E_clISt17integral_constantIbLb0EES13_EEDaSY_SZ_EUlSY_E_NS1_11comp_targetILNS1_3genE8ELNS1_11target_archE1030ELNS1_3gpuE2ELNS1_3repE0EEENS1_30default_config_static_selectorELNS0_4arch9wavefront6targetE0EEEvT1_: ; @_ZN7rocprim17ROCPRIM_400000_NS6detail17trampoline_kernelINS0_14default_configENS1_27scan_by_key_config_selectorIj11FixedVectorIiLj4EEEEZZNS1_16scan_by_key_implILNS1_25lookback_scan_determinismE0ELb0ES3_N6thrust23THRUST_200600_302600_NS6detail15normal_iteratorINSB_10device_ptrIjEEEENSD_INSE_IS6_EEEESI_S6_NSB_4plusIvEENSB_8equal_toIvEES6_EE10hipError_tPvRmT2_T3_T4_T5_mT6_T7_P12ihipStream_tbENKUlT_T0_E_clISt17integral_constantIbLb0EES13_EEDaSY_SZ_EUlSY_E_NS1_11comp_targetILNS1_3genE8ELNS1_11target_archE1030ELNS1_3gpuE2ELNS1_3repE0EEENS1_30default_config_static_selectorELNS0_4arch9wavefront6targetE0EEEvT1_
; %bb.0:
	s_add_u32 s0, s0, s7
	s_clause 0x4
	s_load_dwordx8 s[20:27], s[4:5], 0x0
	s_load_dwordx8 s[12:19], s[4:5], 0x38
	s_load_dwordx2 s[28:29], s[4:5], 0x58
	s_load_dword s7, s[4:5], 0x60
	s_load_dwordx8 s[36:43], s[4:5], 0x68
	v_mov_b32_e32 v1, 0
	s_addc_u32 s1, s1, 0
	s_mov_b32 s4, 0
	s_waitcnt lgkmcnt(0)
	s_barrier
	buffer_gl0_inv
	buffer_store_dword v1, off, s[0:3], 0 offset:220
	buffer_store_dword v1, off, s[0:3], 0 offset:216
	buffer_store_dword v1, off, s[0:3], 0 offset:212
	buffer_store_dword v1, off, s[0:3], 0 offset:208
	buffer_store_dword v1, off, s[0:3], 0 offset:224
.LBB2041_1:                             ; =>This Inner Loop Header: Depth=1
	v_add_nc_u32_e64 v2, 0xd0, s4
	s_add_i32 s4, s4, 4
	s_cmp_lg_u32 s4, 16
	buffer_store_dword v1, v2, s[0:3], 0 offen
	s_cbranch_scc1 .LBB2041_1
; %bb.2:
	v_mov_b32_e32 v1, 0
	s_mov_b32 s4, 20
	s_movk_i32 s19, 0xe4
	buffer_store_byte v1, off, s[0:3], 0 offset:224
	buffer_store_dword v1, off, s[0:3], 0 offset:240
	buffer_store_dword v1, off, s[0:3], 0 offset:236
	buffer_store_dword v1, off, s[0:3], 0 offset:232
	buffer_store_dword v1, off, s[0:3], 0 offset:228
	buffer_store_dword v1, off, s[0:3], 0 offset:244
.LBB2041_3:                             ; =>This Inner Loop Header: Depth=1
	v_add_nc_u32_e64 v2, 0xd0, s4
	s_add_i32 s4, s4, 4
	s_cmp_lg_u32 s4, 36
	buffer_store_dword v1, v2, s[0:3], 0 offen
	s_cbranch_scc1 .LBB2041_3
; %bb.4:
	v_mov_b32_e32 v1, 0
	s_mov_b32 s4, 40
	s_movk_i32 s33, 0xf8
	buffer_store_byte v1, off, s[0:3], 0 offset:244
	;; [unrolled: 16-line block ×3, first 2 shown]
	buffer_store_dword v1, off, s[0:3], 0 offset:280
	buffer_store_dword v1, off, s[0:3], 0 offset:276
	;; [unrolled: 1-line block ×5, first 2 shown]
.LBB2041_7:                             ; =>This Inner Loop Header: Depth=1
	v_add_nc_u32_e64 v2, 0xd0, s4
	s_add_i32 s4, s4, 4
	s_cmpk_lg_i32 s4, 0x4c
	buffer_store_dword v1, v2, s[0:3], 0 offen
	s_cbranch_scc1 .LBB2041_7
; %bb.8:
	v_mov_b32_e32 v1, 0
	s_movk_i32 s4, 0x50
	s_movk_i32 s35, 0x120
	buffer_store_byte v1, off, s[0:3], 0 offset:284
	buffer_store_dword v1, off, s[0:3], 0 offset:300
	buffer_store_dword v1, off, s[0:3], 0 offset:296
	;; [unrolled: 1-line block ×5, first 2 shown]
.LBB2041_9:                             ; =>This Inner Loop Header: Depth=1
	v_add_nc_u32_e64 v2, 0xd0, s4
	s_add_i32 s4, s4, 4
	s_cmpk_lg_i32 s4, 0x60
	buffer_store_dword v1, v2, s[0:3], 0 offen
	s_cbranch_scc1 .LBB2041_9
; %bb.10:
	v_mov_b32_e32 v1, 0
	s_mov_b32 s4, 0
	buffer_store_byte v1, off, s[0:3], 0 offset:304
.LBB2041_11:                            ; =>This Inner Loop Header: Depth=1
	v_mov_b32_e32 v2, s4
	s_add_i32 s4, s4, 4
	s_cmp_lg_u32 s4, 16
	buffer_store_dword v1, v2, s[0:3], 0 offen
	s_cbranch_scc1 .LBB2041_11
; %bb.12:
	v_mov_b32_e32 v1, 0
	s_mov_b32 s4, 16
.LBB2041_13:                            ; =>This Inner Loop Header: Depth=1
	v_mov_b32_e32 v2, s4
	s_add_i32 s4, s4, 4
	s_cmp_lg_u32 s4, 32
	buffer_store_dword v1, v2, s[0:3], 0 offen
	s_cbranch_scc1 .LBB2041_13
; %bb.14:
	v_mov_b32_e32 v1, 0
	s_mov_b32 s4, 32
	;; [unrolled: 9-line block ×4, first 2 shown]
.LBB2041_19:                            ; =>This Inner Loop Header: Depth=1
	v_mov_b32_e32 v2, s4
	s_add_i32 s4, s4, 4
	s_cmpk_lg_i32 s4, 0x50
	buffer_store_dword v1, v2, s[0:3], 0 offen
	s_cbranch_scc1 .LBB2041_19
; %bb.20:
	s_cmp_lg_u64 s[40:41], 0
	s_mul_i32 s4, s29, s7
	s_mul_hi_u32 s5, s28, s7
	s_cselect_b32 s48, -1, 0
	s_lshl_b64 s[10:11], s[22:23], 4
	s_add_i32 s30, s5, s4
	s_add_u32 s24, s24, s10
	s_addc_u32 s25, s25, s11
	s_lshl_b64 s[8:9], s[22:23], 2
	s_mul_i32 s4, s6, 0x500
	s_mov_b32 s5, 0
	s_add_u32 s20, s20, s8
	s_addc_u32 s21, s21, s9
	s_lshl_b64 s[8:9], s[4:5], 2
	s_mov_b32 s44, 64
	s_add_u32 s22, s20, s8
	s_addc_u32 s23, s21, s9
	s_lshl_b64 s[20:21], s[4:5], 4
	s_mul_i32 s4, s28, s7
	s_add_u32 s40, s24, s20
	s_addc_u32 s41, s25, s21
	s_add_u32 s24, s4, s6
	s_addc_u32 s25, s30, 0
	s_add_u32 s8, s36, -1
	s_addc_u32 s9, s37, -1
	s_mov_b32 s45, 48
	v_cmp_ge_u64_e64 s37, s[24:25], s[8:9]
	s_mov_b32 s46, 32
	s_mov_b32 s47, 16
	s_mul_i32 s36, s8, 0xfffffb00
	s_and_b32 vcc_lo, exec_lo, s37
	s_cbranch_vccz .LBB2041_52
; %bb.21:
	v_mov_b32_e32 v1, s22
	v_mov_b32_e32 v2, s23
	s_add_i32 s49, s36, s18
	v_cmp_gt_u32_e64 s4, s49, v0
	flat_load_dword v1, v[1:2]
	s_waitcnt vmcnt(0) lgkmcnt(0)
	v_mov_b32_e32 v2, v1
	s_and_saveexec_b32 s5, s4
	s_cbranch_execz .LBB2041_23
; %bb.22:
	v_lshlrev_b32_e32 v2, 2, v0
	v_add_co_u32 v2, s7, s22, v2
	v_add_co_ci_u32_e64 v3, null, s23, 0, s7
	flat_load_dword v2, v[2:3]
.LBB2041_23:
	s_or_b32 exec_lo, exec_lo, s5
	v_or_b32_e32 v7, 0x100, v0
	v_mov_b32_e32 v3, v1
	v_cmp_gt_u32_e64 s5, s49, v7
	s_and_saveexec_b32 s7, s5
	s_cbranch_execz .LBB2041_25
; %bb.24:
	v_lshlrev_b32_e32 v3, 2, v0
	v_add_co_u32 v3, s8, s22, v3
	v_add_co_ci_u32_e64 v4, null, s23, 0, s8
	flat_load_dword v3, v[3:4] offset:1024
.LBB2041_25:
	s_or_b32 exec_lo, exec_lo, s7
	v_or_b32_e32 v8, 0x200, v0
	v_mov_b32_e32 v4, v1
	v_cmp_gt_u32_e64 s7, s49, v8
	s_and_saveexec_b32 s8, s7
	s_cbranch_execz .LBB2041_27
; %bb.26:
	v_lshlrev_b32_e32 v4, 2, v8
	v_add_co_u32 v4, s9, s22, v4
	v_add_co_ci_u32_e64 v5, null, s23, 0, s9
	flat_load_dword v4, v[4:5]
.LBB2041_27:
	s_or_b32 exec_lo, exec_lo, s8
	v_or_b32_e32 v9, 0x300, v0
	v_mov_b32_e32 v5, v1
	v_cmp_gt_u32_e64 s8, s49, v9
	s_and_saveexec_b32 s9, s8
	s_cbranch_execz .LBB2041_29
; %bb.28:
	v_lshlrev_b32_e32 v5, 2, v9
	v_add_co_u32 v5, s30, s22, v5
	v_add_co_ci_u32_e64 v6, null, s23, 0, s30
	flat_load_dword v5, v[5:6]
.LBB2041_29:
	s_or_b32 exec_lo, exec_lo, s9
	v_or_b32_e32 v10, 0x400, v0
	v_cmp_gt_u32_e64 s9, s49, v10
	s_and_saveexec_b32 s30, s9
	s_cbranch_execz .LBB2041_31
; %bb.30:
	v_lshlrev_b32_e32 v1, 2, v10
	v_add_co_u32 v11, s31, s22, v1
	v_add_co_ci_u32_e64 v12, null, s23, 0, s31
	flat_load_dword v1, v[11:12]
.LBB2041_31:
	s_or_b32 exec_lo, exec_lo, s30
	v_lshlrev_b32_e32 v6, 2, v0
	v_lshlrev_b32_e32 v12, 4, v0
	s_cmp_eq_u64 s[24:25], 0
	s_mov_b64 s[30:31], s[22:23]
	s_waitcnt vmcnt(0) lgkmcnt(0)
	ds_write2st64_b32 v6, v2, v3 offset1:4
	ds_write2st64_b32 v6, v4, v5 offset0:8 offset1:12
	v_add_nc_u32_e32 v11, v6, v12
	ds_write_b32 v6, v1 offset:4096
	s_waitcnt lgkmcnt(0)
	s_waitcnt_vscnt null, 0x0
	s_barrier
	buffer_gl0_inv
	ds_read2_b32 v[3:4], v11 offset1:1
	ds_read2_b32 v[1:2], v11 offset0:2 offset1:3
	ds_read_b32 v5, v11 offset:16
	s_cbranch_scc1 .LBB2041_35
; %bb.32:
	s_andn2_b32 vcc_lo, exec_lo, s48
	s_cbranch_vccnz .LBB2041_555
; %bb.33:
	s_lshl_b64 s[30:31], s[24:25], 2
	s_add_u32 s30, s42, s30
	s_addc_u32 s31, s43, s31
	s_add_u32 s30, s30, -4
	s_addc_u32 s31, s31, -1
	s_cbranch_execnz .LBB2041_35
.LBB2041_34:
	s_add_u32 s30, s22, -4
	s_addc_u32 s31, s23, -1
.LBB2041_35:
	v_mov_b32_e32 v13, s30
	v_mov_b32_e32 v14, s31
	v_sub_nc_u32_e32 v11, v11, v12
	s_mov_b32 s30, exec_lo
	flat_load_dword v6, v[13:14]
	s_waitcnt lgkmcnt(1)
	ds_write_b32 v11, v5 offset:5120
	s_waitcnt vmcnt(0) lgkmcnt(0)
	s_barrier
	buffer_gl0_inv
	v_cmpx_ne_u32_e32 0, v0
; %bb.36:
	ds_read_b32 v6, v11 offset:5116
; %bb.37:
	s_or_b32 exec_lo, exec_lo, s30
	s_waitcnt lgkmcnt(0)
	s_barrier
	buffer_gl0_inv
	s_and_saveexec_b32 s30, s4
	s_cbranch_execnz .LBB2041_551
; %bb.38:
	s_or_b32 exec_lo, exec_lo, s30
	s_and_saveexec_b32 s4, s5
	s_cbranch_execnz .LBB2041_552
.LBB2041_39:
	s_or_b32 exec_lo, exec_lo, s4
	s_and_saveexec_b32 s4, s7
	s_cbranch_execnz .LBB2041_553
.LBB2041_40:
	s_or_b32 exec_lo, exec_lo, s4
	s_and_saveexec_b32 s4, s8
	s_cbranch_execnz .LBB2041_554
.LBB2041_41:
	s_or_b32 exec_lo, exec_lo, s4
	s_and_saveexec_b32 s4, s9
	s_cbranch_execz .LBB2041_43
.LBB2041_42:
	v_lshlrev_b32_e32 v7, 4, v10
	v_add_co_u32 v7, s5, s40, v7
	v_add_co_ci_u32_e64 v8, null, s41, 0, s5
	flat_load_dwordx4 v[7:10], v[7:8]
	s_waitcnt vmcnt(0) lgkmcnt(0)
	buffer_store_dword v7, off, s[0:3], 0 offset:64
	buffer_store_dword v8, off, s[0:3], 0 offset:68
	;; [unrolled: 1-line block ×4, first 2 shown]
.LBB2041_43:
	s_or_b32 exec_lo, exec_lo, s4
	v_mov_b32_e32 v33, s46
	v_mov_b32_e32 v32, s47
	;; [unrolled: 1-line block ×3, first 2 shown]
	s_clause 0x7
	buffer_load_dword v12, off, s[0:3], 0
	buffer_load_dword v13, off, s[0:3], 0 offset:4
	buffer_load_dword v14, off, s[0:3], 0 offset:8
	;; [unrolled: 1-line block ×3, first 2 shown]
	buffer_load_dword v16, v32, s[0:3], 0 offen
	buffer_load_dword v17, v32, s[0:3], 0 offen offset:4
	buffer_load_dword v18, v32, s[0:3], 0 offen offset:8
	;; [unrolled: 1-line block ×3, first 2 shown]
	v_mov_b32_e32 v35, s44
	s_clause 0xb
	buffer_load_dword v20, v33, s[0:3], 0 offen
	buffer_load_dword v21, v33, s[0:3], 0 offen offset:4
	buffer_load_dword v22, v33, s[0:3], 0 offen offset:8
	buffer_load_dword v23, v33, s[0:3], 0 offen offset:12
	buffer_load_dword v24, v34, s[0:3], 0 offen
	buffer_load_dword v25, v34, s[0:3], 0 offen offset:4
	buffer_load_dword v26, v34, s[0:3], 0 offen offset:8
	buffer_load_dword v27, v34, s[0:3], 0 offen offset:12
	;; [unrolled: 4-line block ×3, first 2 shown]
	v_mad_u32_u24 v8, v0, 12, v11
	s_mov_b32 s8, 0
	s_mov_b32 s5, 0
	s_mov_b32 s9, exec_lo
                                        ; implicit-def: $sgpr7
	s_waitcnt vmcnt(16)
	ds_write_b128 v8, v[12:15]
	s_waitcnt vmcnt(12)
	ds_write_b128 v8, v[16:19] offset:4096
	s_waitcnt vmcnt(8)
	ds_write_b128 v8, v[20:23] offset:8192
	s_waitcnt vmcnt(4)
	ds_write_b128 v8, v[24:27] offset:12288
	s_waitcnt vmcnt(0)
	ds_write_b128 v8, v[28:31] offset:16384
	v_lshl_add_u32 v7, v0, 6, v8
	s_waitcnt lgkmcnt(0)
	s_waitcnt_vscnt null, 0x0
	s_barrier
	buffer_gl0_inv
	ds_read_b128 v[9:12], v7 offset:16
	ds_read_b128 v[13:16], v7 offset:32
	;; [unrolled: 1-line block ×4, first 2 shown]
	v_mul_u32_u24_e32 v8, 5, v0
	s_waitcnt lgkmcnt(3)
	buffer_store_dword v12, v32, s[0:3], 0 offen offset:12
	buffer_store_dword v11, v32, s[0:3], 0 offen offset:8
	buffer_store_dword v10, v32, s[0:3], 0 offen offset:4
	buffer_store_dword v9, v32, s[0:3], 0 offen
	s_waitcnt lgkmcnt(2)
	buffer_store_dword v16, v33, s[0:3], 0 offen offset:12
	buffer_store_dword v15, v33, s[0:3], 0 offen offset:8
	buffer_store_dword v14, v33, s[0:3], 0 offen offset:4
	buffer_store_dword v13, v33, s[0:3], 0 offen
	;; [unrolled: 5-line block ×4, first 2 shown]
	v_cmpx_gt_u32_e64 s49, v8
	s_cbranch_execz .LBB2041_51
; %bb.44:
	ds_read_b128 v[9:12], v7
	v_cmp_ne_u32_e32 vcc_lo, v6, v3
	v_add_nc_u32_e32 v13, 1, v8
	s_mov_b32 s4, 0
	s_mov_b32 s5, exec_lo
                                        ; implicit-def: $sgpr7
	v_cndmask_b32_e64 v6, 0, 1, vcc_lo
	s_waitcnt lgkmcnt(0)
	buffer_store_dword v12, off, s[0:3], 0 offset:220
	buffer_store_dword v11, off, s[0:3], 0 offset:216
	buffer_store_dword v10, off, s[0:3], 0 offset:212
	buffer_store_dword v9, off, s[0:3], 0 offset:208
	buffer_store_byte v6, off, s[0:3], 0 offset:224
	v_cmpx_gt_u32_e64 s49, v13
	s_cbranch_execz .LBB2041_50
; %bb.45:
	v_add_nc_u32_e32 v6, 16, v7
	v_cmp_ne_u32_e32 vcc_lo, v3, v4
	v_mov_b32_e32 v13, s19
	s_mov_b32 s30, exec_lo
                                        ; implicit-def: $sgpr7
	ds_read2_b32 v[9:10], v6 offset0:2 offset1:3
	ds_read2_b32 v[11:12], v6 offset1:1
	v_add_nc_u32_e32 v6, 2, v8
	v_cndmask_b32_e64 v3, 0, 1, vcc_lo
	s_waitcnt lgkmcnt(1)
	buffer_store_dword v10, v13, s[0:3], 0 offen offset:12
	buffer_store_dword v9, v13, s[0:3], 0 offen offset:8
	s_waitcnt lgkmcnt(0)
	buffer_store_dword v12, v13, s[0:3], 0 offen offset:4
	buffer_store_dword v11, v13, s[0:3], 0 offen
	buffer_store_byte v3, off, s[0:3], 0 offset:244
	v_cmpx_gt_u32_e64 s49, v6
	s_cbranch_execz .LBB2041_49
; %bb.46:
	v_add_nc_u32_e32 v3, 32, v7
	v_cmp_ne_u32_e32 vcc_lo, v4, v1
	v_mov_b32_e32 v6, s33
	s_mov_b32 s31, exec_lo
                                        ; implicit-def: $sgpr7
	ds_read2_b64 v[9:12], v3 offset1:1
	v_add_nc_u32_e32 v3, 3, v8
	v_cndmask_b32_e64 v4, 0, 1, vcc_lo
	s_waitcnt lgkmcnt(0)
	buffer_store_dword v12, v6, s[0:3], 0 offen offset:12
	buffer_store_dword v11, v6, s[0:3], 0 offen offset:8
	;; [unrolled: 1-line block ×3, first 2 shown]
	buffer_store_dword v9, v6, s[0:3], 0 offen
	buffer_store_byte v4, off, s[0:3], 0 offset:264
	v_cmpx_gt_u32_e64 s49, v3
	s_xor_b32 s31, exec_lo, s31
	s_cbranch_execz .LBB2041_48
; %bb.47:
	v_add_nc_u32_e32 v6, 48, v7
	v_add_nc_u32_e32 v8, 4, v8
	v_cmp_ne_u32_e64 s4, v1, v2
	v_cmp_ne_u32_e64 s7, v2, v5
	ds_read2_b32 v[3:4], v6 offset0:2 offset1:3
	ds_read2_b32 v[6:7], v6 offset1:1
	v_cmp_gt_u32_e32 vcc_lo, s49, v8
	v_mov_b32_e32 v8, s34
	v_cndmask_b32_e64 v1, 0, 1, s4
	s_waitcnt lgkmcnt(1)
	buffer_store_dword v4, v8, s[0:3], 0 offen offset:12
	buffer_store_dword v3, v8, s[0:3], 0 offen offset:8
	s_waitcnt lgkmcnt(0)
	buffer_store_dword v7, v8, s[0:3], 0 offen offset:4
	buffer_store_dword v6, v8, s[0:3], 0 offen
	buffer_store_byte v1, off, s[0:3], 0 offset:284
	s_and_b32 s4, vcc_lo, exec_lo
.LBB2041_48:
	s_or_b32 exec_lo, exec_lo, s31
	s_and_b32 s4, s4, exec_lo
.LBB2041_49:
	s_or_b32 exec_lo, exec_lo, s30
	s_and_b32 s4, s4, exec_lo
.LBB2041_50:
	s_or_b32 exec_lo, exec_lo, s5
	s_and_b32 s5, s4, exec_lo
.LBB2041_51:
	s_or_b32 exec_lo, exec_lo, s9
	v_lshlrev_b32_e32 v9, 4, v0
	s_and_b32 vcc_lo, exec_lo, s8
	s_cbranch_vccnz .LBB2041_53
	s_branch .LBB2041_61
.LBB2041_52:
                                        ; implicit-def: $sgpr7
	v_lshlrev_b32_e32 v9, 4, v0
	s_cbranch_execz .LBB2041_61
.LBB2041_53:
	v_lshlrev_b32_e32 v8, 2, v0
	s_cmp_eq_u64 s[24:25], 0
	v_add_co_u32 v1, s4, s22, v8
	v_add_co_ci_u32_e64 v2, null, s23, 0, s4
	v_add_nc_u32_e32 v7, v8, v9
	v_add_co_u32 v3, vcc_lo, 0x800, v1
	v_add_co_ci_u32_e64 v4, null, 0, v2, vcc_lo
	v_add_co_u32 v5, vcc_lo, 0x1000, v1
	v_add_co_ci_u32_e64 v6, null, 0, v2, vcc_lo
	s_clause 0x4
	flat_load_dword v10, v[1:2]
	flat_load_dword v1, v[1:2] offset:1024
	flat_load_dword v2, v[3:4]
	flat_load_dword v3, v[3:4] offset:1024
	flat_load_dword v4, v[5:6]
	s_waitcnt vmcnt(3) lgkmcnt(3)
	ds_write2st64_b32 v8, v10, v1 offset1:4
	s_waitcnt vmcnt(1) lgkmcnt(2)
	ds_write2st64_b32 v8, v2, v3 offset0:8 offset1:12
	s_waitcnt vmcnt(0) lgkmcnt(2)
	ds_write_b32 v8, v4 offset:4096
	s_waitcnt lgkmcnt(0)
	s_waitcnt_vscnt null, 0x0
	s_barrier
	buffer_gl0_inv
	ds_read2_b32 v[1:2], v7 offset1:1
	ds_read2_b32 v[3:4], v7 offset0:2 offset1:3
	ds_read_b32 v5, v7 offset:16
	s_cbranch_scc1 .LBB2041_58
; %bb.54:
	s_andn2_b32 vcc_lo, exec_lo, s48
	s_cbranch_vccnz .LBB2041_556
; %bb.55:
	s_lshl_b64 s[4:5], s[24:25], 2
	s_add_u32 s4, s42, s4
	s_addc_u32 s5, s43, s5
	s_add_u32 s4, s4, -4
	s_addc_u32 s5, s5, -1
	s_cbranch_execnz .LBB2041_57
.LBB2041_56:
	s_add_u32 s4, s22, -4
	s_addc_u32 s5, s23, -1
.LBB2041_57:
	s_mov_b64 s[22:23], s[4:5]
.LBB2041_58:
	v_mov_b32_e32 v10, s22
	v_mov_b32_e32 v11, s23
	v_sub_nc_u32_e32 v7, v7, v9
	s_mov_b32 s4, exec_lo
	flat_load_dword v6, v[10:11]
	s_waitcnt lgkmcnt(1)
	ds_write_b32 v7, v5 offset:5120
	s_waitcnt vmcnt(0) lgkmcnt(0)
	s_barrier
	buffer_gl0_inv
	v_cmpx_ne_u32_e32 0, v0
; %bb.59:
	ds_read_b32 v6, v7 offset:5116
; %bb.60:
	s_or_b32 exec_lo, exec_lo, s4
	v_add_co_u32 v14, s4, s40, v9
	v_add_co_ci_u32_e64 v15, null, s41, 0, s4
	s_waitcnt lgkmcnt(0)
	s_barrier
	buffer_gl0_inv
	flat_load_dwordx4 v[10:13], v[14:15]
	v_add_co_u32 v16, vcc_lo, 0x1000, v14
	v_add_co_ci_u32_e64 v17, null, 0, v15, vcc_lo
	v_mov_b32_e32 v32, s44
	v_mov_b32_e32 v8, s47
	;; [unrolled: 1-line block ×4, first 2 shown]
	v_mad_u32_u24 v7, v0, 12, v7
	v_cmp_ne_u32_e64 s7, v4, v5
	s_mov_b32 s5, -1
	s_waitcnt vmcnt(0) lgkmcnt(0)
	buffer_store_dword v10, off, s[0:3], 0
	buffer_store_dword v11, off, s[0:3], 0 offset:4
	buffer_store_dword v12, off, s[0:3], 0 offset:8
	;; [unrolled: 1-line block ×3, first 2 shown]
	flat_load_dwordx4 v[10:13], v[16:17]
	v_add_co_u32 v16, vcc_lo, 0x2000, v14
	v_add_co_ci_u32_e64 v17, null, 0, v15, vcc_lo
	v_lshl_add_u32 v33, v0, 6, v7
	s_waitcnt vmcnt(0) lgkmcnt(0)
	buffer_store_dword v10, off, s[0:3], 0 offset:16
	buffer_store_dword v11, off, s[0:3], 0 offset:20
	;; [unrolled: 1-line block ×4, first 2 shown]
	flat_load_dwordx4 v[10:13], v[16:17]
	v_add_co_u32 v16, vcc_lo, 0x3000, v14
	v_add_co_ci_u32_e64 v17, null, 0, v15, vcc_lo
	v_add_co_u32 v14, vcc_lo, 0x4000, v14
	v_add_co_ci_u32_e64 v15, null, 0, v15, vcc_lo
	v_cmp_ne_u32_e32 vcc_lo, v3, v4
	s_waitcnt vmcnt(0) lgkmcnt(0)
	buffer_store_dword v10, off, s[0:3], 0 offset:32
	buffer_store_dword v11, off, s[0:3], 0 offset:36
	;; [unrolled: 1-line block ×4, first 2 shown]
	flat_load_dwordx4 v[10:13], v[16:17]
	v_cndmask_b32_e64 v5, 0, 1, vcc_lo
	v_cmp_ne_u32_e32 vcc_lo, v2, v3
	s_waitcnt vmcnt(0) lgkmcnt(0)
	buffer_store_dword v10, off, s[0:3], 0 offset:48
	buffer_store_dword v11, off, s[0:3], 0 offset:52
	buffer_store_dword v12, off, s[0:3], 0 offset:56
	buffer_store_dword v13, off, s[0:3], 0 offset:60
	flat_load_dwordx4 v[10:13], v[14:15]
	s_clause 0xf
	buffer_load_dword v14, off, s[0:3], 0
	buffer_load_dword v15, off, s[0:3], 0 offset:4
	buffer_load_dword v16, off, s[0:3], 0 offset:8
	;; [unrolled: 1-line block ×3, first 2 shown]
	buffer_load_dword v18, v8, s[0:3], 0 offen
	buffer_load_dword v19, v8, s[0:3], 0 offen offset:4
	buffer_load_dword v20, v8, s[0:3], 0 offen offset:8
	;; [unrolled: 1-line block ×4, first 2 shown]
	buffer_load_dword v26, v31, s[0:3], 0 offen
	buffer_load_dword v27, v31, s[0:3], 0 offen offset:4
	buffer_load_dword v28, v31, s[0:3], 0 offen offset:8
	;; [unrolled: 1-line block ×5, first 2 shown]
	buffer_load_dword v22, v30, s[0:3], 0 offen
	s_waitcnt vmcnt(16) lgkmcnt(0)
	buffer_store_dword v10, off, s[0:3], 0 offset:64
	buffer_store_dword v11, off, s[0:3], 0 offset:68
	;; [unrolled: 1-line block ×4, first 2 shown]
	s_clause 0x3
	buffer_load_dword v10, v32, s[0:3], 0 offen
	buffer_load_dword v11, v32, s[0:3], 0 offen offset:4
	buffer_load_dword v12, v32, s[0:3], 0 offen offset:8
	;; [unrolled: 1-line block ×3, first 2 shown]
	s_waitcnt vmcnt(16)
	ds_write_b128 v7, v[14:17]
	s_waitcnt vmcnt(12)
	ds_write_b128 v7, v[18:21] offset:4096
	s_waitcnt vmcnt(4)
	ds_write_b128 v7, v[22:25] offset:8192
	ds_write_b128 v7, v[26:29] offset:12288
	s_waitcnt vmcnt(0)
	ds_write_b128 v7, v[10:13] offset:16384
	s_waitcnt lgkmcnt(0)
	s_waitcnt_vscnt null, 0x0
	s_barrier
	buffer_gl0_inv
	ds_read_b128 v[10:13], v33
	ds_read_b128 v[14:17], v33 offset:16
	v_cndmask_b32_e64 v7, 0, 1, vcc_lo
	v_cmp_ne_u32_e32 vcc_lo, v1, v2
	ds_read_b128 v[18:21], v33 offset:32
	ds_read_b128 v[22:25], v33 offset:48
	v_mov_b32_e32 v27, s19
	v_mov_b32_e32 v28, s33
	v_cndmask_b32_e64 v26, 0, 1, vcc_lo
	v_cmp_ne_u32_e32 vcc_lo, v6, v1
	ds_read_b128 v[1:4], v33 offset:64
	v_mov_b32_e32 v29, s34
	v_cndmask_b32_e64 v6, 0, 1, vcc_lo
	buffer_store_byte v6, off, s[0:3], 0 offset:224
	buffer_store_byte v26, off, s[0:3], 0 offset:244
	;; [unrolled: 1-line block ×3, first 2 shown]
	s_waitcnt lgkmcnt(3)
	buffer_store_dword v17, v8, s[0:3], 0 offen offset:12
	buffer_store_dword v16, v8, s[0:3], 0 offen offset:8
	buffer_store_dword v15, v8, s[0:3], 0 offen offset:4
	buffer_store_dword v14, v8, s[0:3], 0 offen
	s_waitcnt lgkmcnt(2)
	buffer_store_dword v21, v30, s[0:3], 0 offen offset:12
	buffer_store_dword v20, v30, s[0:3], 0 offen offset:8
	buffer_store_dword v19, v30, s[0:3], 0 offen offset:4
	buffer_store_dword v18, v30, s[0:3], 0 offen
	;; [unrolled: 5-line block ×4, first 2 shown]
	buffer_store_dword v13, off, s[0:3], 0 offset:220
	buffer_store_dword v12, off, s[0:3], 0 offset:216
	;; [unrolled: 1-line block ×4, first 2 shown]
	buffer_store_dword v17, v27, s[0:3], 0 offen offset:12
	buffer_store_dword v16, v27, s[0:3], 0 offen offset:8
	buffer_store_dword v15, v27, s[0:3], 0 offen offset:4
	buffer_store_dword v14, v27, s[0:3], 0 offen
	buffer_store_dword v21, v28, s[0:3], 0 offen offset:12
	buffer_store_dword v20, v28, s[0:3], 0 offen offset:8
	buffer_store_dword v19, v28, s[0:3], 0 offen offset:4
	buffer_store_dword v18, v28, s[0:3], 0 offen
	;; [unrolled: 4-line block ×3, first 2 shown]
	buffer_store_byte v5, off, s[0:3], 0 offset:284
.LBB2041_61:
	s_and_saveexec_b32 s4, s5
	s_cbranch_execz .LBB2041_63
; %bb.62:
	v_mov_b32_e32 v1, s44
	v_mov_b32_e32 v5, s35
	v_cndmask_b32_e64 v6, 0, 1, s7
	s_clause 0x3
	buffer_load_dword v2, v1, s[0:3], 0 offen offset:12
	buffer_load_dword v3, v1, s[0:3], 0 offen offset:8
	;; [unrolled: 1-line block ×3, first 2 shown]
	buffer_load_dword v1, v1, s[0:3], 0 offen
	s_waitcnt vmcnt(3)
	buffer_store_dword v2, v5, s[0:3], 0 offen offset:12
	s_waitcnt vmcnt(2)
	buffer_store_dword v3, v5, s[0:3], 0 offen offset:8
	;; [unrolled: 2-line block ×3, first 2 shown]
	s_waitcnt vmcnt(0)
	buffer_store_dword v1, v5, s[0:3], 0 offen
	buffer_store_byte v6, off, s[0:3], 0 offset:304
.LBB2041_63:
	s_or_b32 exec_lo, exec_lo, s4
	s_cmp_lg_u32 s6, 0
	s_mov_b32 s4, 0
	s_waitcnt_vscnt null, 0x0
	s_barrier
	buffer_gl0_inv
	s_cbranch_scc0 .LBB2041_288
; %bb.64:
	v_mov_b32_e32 v1, 0
	buffer_store_dword v1, off, s[0:3], 0 offset:16
.LBB2041_65:                            ; =>This Inner Loop Header: Depth=1
	v_mov_b32_e32 v2, s4
	s_add_i32 s4, s4, 4
	s_cmp_lg_u32 s4, 16
	buffer_store_dword v1, v2, s[0:3], 0 offen
	s_cbranch_scc1 .LBB2041_65
; %bb.66:
	s_clause 0x5
	buffer_load_ubyte v5, off, s[0:3], 0 offset:244
	buffer_load_dword v1, off, s[0:3], 0 offset:220
	buffer_load_dword v2, off, s[0:3], 0 offset:216
	;; [unrolled: 1-line block ×4, first 2 shown]
	buffer_load_ubyte v6, off, s[0:3], 0 offset:224
	s_mov_b32 s4, exec_lo
	s_waitcnt vmcnt(4)
	buffer_store_dword v1, off, s[0:3], 0 offset:12
	s_waitcnt vmcnt(3)
	buffer_store_dword v2, off, s[0:3], 0 offset:8
	;; [unrolled: 2-line block ×3, first 2 shown]
	s_waitcnt vmcnt(1)
	buffer_store_dword v4, off, s[0:3], 0
                                        ; implicit-def: $vgpr2
                                        ; implicit-def: $vgpr1
                                        ; implicit-def: $vgpr3
                                        ; implicit-def: $vgpr4
	v_cmpx_ne_u16_e32 0, v5
	s_xor_b32 s4, exec_lo, s4
	s_cbranch_execz .LBB2041_68
; %bb.67:
	s_clause 0x3
	buffer_load_dword v1, off, s[0:3], 0 offset:228
	buffer_load_dword v3, off, s[0:3], 0 offset:232
	;; [unrolled: 1-line block ×4, first 2 shown]
.LBB2041_68:
	s_andn2_saveexec_b32 s4, s4
	s_cbranch_execz .LBB2041_74
; %bb.69:
	s_waitcnt vmcnt(3)
	v_mov_b32_e32 v1, 0
	s_mov_b32 s5, 0
.LBB2041_70:                            ; =>This Inner Loop Header: Depth=1
	s_waitcnt vmcnt(0)
	v_add_nc_u32_e64 v2, 0x60, s5
	s_add_i32 s5, s5, 4
	s_cmp_lg_u32 s5, 16
	buffer_store_dword v1, v2, s[0:3], 0 offen
	s_cbranch_scc1 .LBB2041_70
; %bb.71:
	s_mov_b32 s5, 0
	.p2align	6
.LBB2041_72:                            ; =>This Inner Loop Header: Depth=1
	v_mov_b32_e32 v1, s5
	v_add_nc_u32_e64 v2, 0xd0, s5
	v_add_nc_u32_e64 v3, 0x60, s5
	s_add_i32 s5, s5, 4
	s_clause 0x1
	buffer_load_dword v1, v1, s[0:3], 0 offen
	buffer_load_dword v2, v2, s[0:3], 0 offen offset:20
	s_cmp_lg_u32 s5, 16
	s_waitcnt vmcnt(0)
	v_add_nc_u32_e32 v1, v2, v1
	buffer_store_dword v1, v3, s[0:3], 0 offen
	s_cbranch_scc1 .LBB2041_72
; %bb.73:
	s_clause 0x3
	buffer_load_dword v1, off, s[0:3], 0 offset:96
	buffer_load_dword v3, off, s[0:3], 0 offset:100
	;; [unrolled: 1-line block ×4, first 2 shown]
.LBB2041_74:
	s_or_b32 exec_lo, exec_lo, s4
	buffer_load_ubyte v7, off, s[0:3], 0 offset:264
	s_mov_b32 s4, exec_lo
	s_waitcnt vmcnt(4)
	buffer_store_dword v1, off, s[0:3], 0
	s_waitcnt vmcnt(3)
	buffer_store_dword v3, off, s[0:3], 0 offset:4
	s_waitcnt vmcnt(2)
	buffer_store_dword v4, off, s[0:3], 0 offset:8
	;; [unrolled: 2-line block ×3, first 2 shown]
                                        ; implicit-def: $vgpr2
                                        ; implicit-def: $vgpr1
                                        ; implicit-def: $vgpr3
                                        ; implicit-def: $vgpr4
	s_waitcnt vmcnt(0)
	v_cmpx_ne_u16_e32 0, v7
	s_xor_b32 s4, exec_lo, s4
	s_cbranch_execz .LBB2041_76
; %bb.75:
	s_clause 0x3
	buffer_load_dword v1, off, s[0:3], 0 offset:248
	buffer_load_dword v3, off, s[0:3], 0 offset:252
	;; [unrolled: 1-line block ×4, first 2 shown]
.LBB2041_76:
	s_andn2_saveexec_b32 s4, s4
	s_cbranch_execz .LBB2041_82
; %bb.77:
	s_waitcnt vmcnt(3)
	v_mov_b32_e32 v1, 0
	s_mov_b32 s5, 0
.LBB2041_78:                            ; =>This Inner Loop Header: Depth=1
	s_waitcnt vmcnt(0)
	v_add_nc_u32_e64 v2, 0x60, s5
	s_add_i32 s5, s5, 4
	s_cmp_lg_u32 s5, 16
	buffer_store_dword v1, v2, s[0:3], 0 offen
	s_cbranch_scc1 .LBB2041_78
; %bb.79:
	s_mov_b32 s5, 0
	.p2align	6
.LBB2041_80:                            ; =>This Inner Loop Header: Depth=1
	v_mov_b32_e32 v1, s5
	v_add_nc_u32_e64 v2, 0xd0, s5
	v_add_nc_u32_e64 v3, 0x60, s5
	s_add_i32 s5, s5, 4
	s_clause 0x1
	buffer_load_dword v1, v1, s[0:3], 0 offen
	buffer_load_dword v2, v2, s[0:3], 0 offen offset:40
	s_cmp_lg_u32 s5, 16
	s_waitcnt vmcnt(0)
	v_add_nc_u32_e32 v1, v2, v1
	buffer_store_dword v1, v3, s[0:3], 0 offen
	s_cbranch_scc1 .LBB2041_80
; %bb.81:
	s_clause 0x3
	buffer_load_dword v1, off, s[0:3], 0 offset:96
	buffer_load_dword v3, off, s[0:3], 0 offset:100
	;; [unrolled: 1-line block ×4, first 2 shown]
.LBB2041_82:
	s_or_b32 exec_lo, exec_lo, s4
	buffer_load_ubyte v8, off, s[0:3], 0 offset:284
	s_mov_b32 s4, exec_lo
	s_waitcnt vmcnt(4)
	buffer_store_dword v1, off, s[0:3], 0
	s_waitcnt vmcnt(3)
	buffer_store_dword v3, off, s[0:3], 0 offset:4
	s_waitcnt vmcnt(2)
	buffer_store_dword v4, off, s[0:3], 0 offset:8
	;; [unrolled: 2-line block ×3, first 2 shown]
                                        ; implicit-def: $vgpr2
                                        ; implicit-def: $vgpr1
                                        ; implicit-def: $vgpr3
                                        ; implicit-def: $vgpr4
	s_waitcnt vmcnt(0)
	v_cmpx_ne_u16_e32 0, v8
	s_xor_b32 s4, exec_lo, s4
	s_cbranch_execz .LBB2041_84
; %bb.83:
	s_clause 0x3
	buffer_load_dword v1, off, s[0:3], 0 offset:268
	buffer_load_dword v3, off, s[0:3], 0 offset:272
	;; [unrolled: 1-line block ×4, first 2 shown]
.LBB2041_84:
	s_andn2_saveexec_b32 s4, s4
	s_cbranch_execz .LBB2041_90
; %bb.85:
	s_waitcnt vmcnt(3)
	v_mov_b32_e32 v1, 0
	s_mov_b32 s5, 0
.LBB2041_86:                            ; =>This Inner Loop Header: Depth=1
	s_waitcnt vmcnt(0)
	v_add_nc_u32_e64 v2, 0x60, s5
	s_add_i32 s5, s5, 4
	s_cmp_lg_u32 s5, 16
	buffer_store_dword v1, v2, s[0:3], 0 offen
	s_cbranch_scc1 .LBB2041_86
; %bb.87:
	s_mov_b32 s5, 0
	.p2align	6
.LBB2041_88:                            ; =>This Inner Loop Header: Depth=1
	v_mov_b32_e32 v1, s5
	v_add_nc_u32_e64 v2, 0xd0, s5
	v_add_nc_u32_e64 v3, 0x60, s5
	s_add_i32 s5, s5, 4
	s_clause 0x1
	buffer_load_dword v1, v1, s[0:3], 0 offen
	buffer_load_dword v2, v2, s[0:3], 0 offen offset:60
	s_cmp_lg_u32 s5, 16
	s_waitcnt vmcnt(0)
	v_add_nc_u32_e32 v1, v2, v1
	buffer_store_dword v1, v3, s[0:3], 0 offen
	s_cbranch_scc1 .LBB2041_88
; %bb.89:
	s_clause 0x3
	buffer_load_dword v1, off, s[0:3], 0 offset:96
	buffer_load_dword v3, off, s[0:3], 0 offset:100
	;; [unrolled: 1-line block ×4, first 2 shown]
.LBB2041_90:
	s_or_b32 exec_lo, exec_lo, s4
	buffer_load_ubyte v10, off, s[0:3], 0 offset:304
	s_mov_b32 s4, exec_lo
	s_waitcnt vmcnt(4)
	buffer_store_dword v1, off, s[0:3], 0
	s_waitcnt vmcnt(3)
	buffer_store_dword v3, off, s[0:3], 0 offset:4
	s_waitcnt vmcnt(2)
	buffer_store_dword v4, off, s[0:3], 0 offset:8
	s_waitcnt vmcnt(1)
	buffer_store_dword v2, off, s[0:3], 0 offset:12
                                        ; implicit-def: $vgpr4
                                        ; implicit-def: $vgpr1
                                        ; implicit-def: $vgpr2
                                        ; implicit-def: $vgpr3
	s_waitcnt vmcnt(0)
	v_cmpx_ne_u16_e32 0, v10
	s_xor_b32 s4, exec_lo, s4
	s_cbranch_execz .LBB2041_92
; %bb.91:
	s_clause 0x3
	buffer_load_dword v1, off, s[0:3], 0 offset:288
	buffer_load_dword v2, off, s[0:3], 0 offset:292
	;; [unrolled: 1-line block ×4, first 2 shown]
.LBB2041_92:
	s_andn2_saveexec_b32 s4, s4
	s_cbranch_execz .LBB2041_98
; %bb.93:
	s_waitcnt vmcnt(3)
	v_mov_b32_e32 v1, 0
	s_mov_b32 s5, 0
.LBB2041_94:                            ; =>This Inner Loop Header: Depth=1
	s_waitcnt vmcnt(2)
	v_add_nc_u32_e64 v2, 0x60, s5
	s_add_i32 s5, s5, 4
	s_cmp_lg_u32 s5, 16
	buffer_store_dword v1, v2, s[0:3], 0 offen
	s_cbranch_scc1 .LBB2041_94
; %bb.95:
	s_mov_b32 s5, 0
	.p2align	6
.LBB2041_96:                            ; =>This Inner Loop Header: Depth=1
	v_mov_b32_e32 v1, s5
	v_add_nc_u32_e64 v2, 0xd0, s5
	s_waitcnt vmcnt(1)
	v_add_nc_u32_e64 v3, 0x60, s5
	s_add_i32 s5, s5, 4
	s_clause 0x1
	buffer_load_dword v1, v1, s[0:3], 0 offen
	buffer_load_dword v2, v2, s[0:3], 0 offen offset:80
	s_cmp_lg_u32 s5, 16
	s_waitcnt vmcnt(0)
	v_add_nc_u32_e32 v1, v2, v1
	buffer_store_dword v1, v3, s[0:3], 0 offen
	s_cbranch_scc1 .LBB2041_96
; %bb.97:
	s_clause 0x3
	buffer_load_dword v1, off, s[0:3], 0 offset:96
	buffer_load_dword v2, off, s[0:3], 0 offset:100
	;; [unrolled: 1-line block ×4, first 2 shown]
.LBB2041_98:
	s_or_b32 exec_lo, exec_lo, s4
	s_clause 0x1
	buffer_load_ushort v12, off, s[0:3], 0 offset:17
	buffer_load_sbyte v13, off, s[0:3], 0 offset:19
	v_or_b32_e32 v5, v5, v6
	v_mov_b32_e32 v11, 0
	v_and_b32_e32 v6, 1, v7
	v_or_b32_e32 v7, v10, v8
	v_mbcnt_lo_u32_b32 v10, -1, 0
	s_waitcnt vmcnt(3)
	v_mov_b32_dpp v14, v3 row_shr:1 row_mask:0xf bank_mask:0xf
	v_cmp_ne_u16_sdwa s5, v5, v11 src0_sel:BYTE_0 src1_sel:DWORD
	v_cmp_eq_u32_e32 vcc_lo, 1, v6
	v_cmp_ne_u16_e64 s4, 0, v7
	s_waitcnt vmcnt(2)
	v_mov_b32_dpp v15, v4 row_shr:1 row_mask:0xf bank_mask:0xf
	buffer_store_dword v1, off, s[0:3], 0 offset:176
	buffer_store_dword v2, off, s[0:3], 0 offset:180
	;; [unrolled: 1-line block ×4, first 2 shown]
	s_or_b32 s5, s5, vcc_lo
	s_or_b32 s4, s4, s5
	v_cndmask_b32_e64 v5, 0, 1, s4
	s_mov_b32 s4, exec_lo
	s_waitcnt vmcnt(1)
	v_lshlrev_b16 v6, 8, v12
	v_or_b32_e32 v5, v5, v6
	s_waitcnt vmcnt(0)
	v_perm_b32 v6, v12, v13, 0xc0c0005
	v_mov_b32_dpp v12, v1 row_shr:1 row_mask:0xf bank_mask:0xf
	v_mov_b32_dpp v13, v2 row_shr:1 row_mask:0xf bank_mask:0xf
	v_and_b32_e32 v7, 0xffff, v5
	v_lshl_or_b32 v7, v6, 16, v7
	v_and_b32_e32 v6, 15, v10
	v_mov_b32_dpp v8, v7 row_shr:1 row_mask:0xf bank_mask:0xf
	buffer_store_dword v7, off, s[0:3], 0 offset:192
	buffer_store_dword v12, off, s[0:3], 0
	buffer_store_dword v13, off, s[0:3], 0 offset:4
	buffer_store_dword v14, off, s[0:3], 0 offset:8
	;; [unrolled: 1-line block ×4, first 2 shown]
	v_cmpx_ne_u32_e32 0, v6
	s_cbranch_execz .LBB2041_106
; %bb.99:
	v_cmp_eq_u16_sdwa s7, v5, v11 src0_sel:BYTE_0 src1_sel:DWORD
	s_and_saveexec_b32 s5, s7
	s_cbranch_execz .LBB2041_105
; %bb.100:
	v_mov_b32_e32 v1, 0
	s_mov_b32 s7, 0
.LBB2041_101:                           ; =>This Inner Loop Header: Depth=1
	v_add_nc_u32_e64 v2, 0x60, s7
	s_add_i32 s7, s7, 4
	s_cmp_lg_u32 s7, 16
	buffer_store_dword v1, v2, s[0:3], 0 offen
	s_cbranch_scc1 .LBB2041_101
; %bb.102:
	s_mov_b32 s7, 0
	.p2align	6
.LBB2041_103:                           ; =>This Inner Loop Header: Depth=1
	v_mov_b32_e32 v1, s7
	v_add_nc_u32_e64 v2, 0xb0, s7
	v_add_nc_u32_e64 v3, 0x60, s7
	s_add_i32 s7, s7, 4
	s_clause 0x1
	buffer_load_dword v1, v1, s[0:3], 0 offen
	buffer_load_dword v2, v2, s[0:3], 0 offen
	s_cmp_lg_u32 s7, 16
	s_waitcnt vmcnt(0)
	v_add_nc_u32_e32 v1, v2, v1
	buffer_store_dword v1, v3, s[0:3], 0 offen
	s_cbranch_scc1 .LBB2041_103
; %bb.104:
	s_clause 0x3
	buffer_load_dword v1, off, s[0:3], 0 offset:96
	buffer_load_dword v2, off, s[0:3], 0 offset:100
	;; [unrolled: 1-line block ×4, first 2 shown]
.LBB2041_105:
	s_or_b32 exec_lo, exec_lo, s5
	v_or_b32_e32 v5, v8, v7
	v_and_b32_e32 v5, 1, v5
	buffer_store_byte v5, off, s[0:3], 0 offset:192
	buffer_load_dword v7, off, s[0:3], 0 offset:192
	s_waitcnt vmcnt(4)
	buffer_store_dword v1, off, s[0:3], 0 offset:176
	s_waitcnt vmcnt(3)
	buffer_store_dword v2, off, s[0:3], 0 offset:180
	;; [unrolled: 2-line block ×4, first 2 shown]
	s_waitcnt vmcnt(0)
	v_mov_b32_e32 v5, v7
.LBB2041_106:
	s_or_b32 exec_lo, exec_lo, s4
	v_mov_b32_dpp v11, v1 row_shr:2 row_mask:0xf bank_mask:0xf
	v_mov_b32_dpp v8, v7 row_shr:2 row_mask:0xf bank_mask:0xf
	;; [unrolled: 1-line block ×5, first 2 shown]
	s_mov_b32 s5, exec_lo
	buffer_store_dword v11, off, s[0:3], 0
	buffer_store_dword v12, off, s[0:3], 0 offset:4
	buffer_store_dword v13, off, s[0:3], 0 offset:8
	;; [unrolled: 1-line block ×4, first 2 shown]
	v_cmpx_lt_u32_e32 1, v6
	s_cbranch_execz .LBB2041_113
; %bb.107:
	v_mov_b32_e32 v7, 0
	s_mov_b32 s7, 0
	v_cmp_eq_u16_sdwa s8, v5, v7 src0_sel:BYTE_0 src1_sel:DWORD
	s_and_saveexec_b32 s4, s8
	s_cbranch_execz .LBB2041_112
.LBB2041_108:                           ; =>This Inner Loop Header: Depth=1
	v_add_nc_u32_e64 v1, 0x60, s7
	s_add_i32 s7, s7, 4
	s_cmp_lg_u32 s7, 16
	buffer_store_dword v7, v1, s[0:3], 0 offen
	s_cbranch_scc1 .LBB2041_108
; %bb.109:
	s_mov_b32 s7, 0
	.p2align	6
.LBB2041_110:                           ; =>This Inner Loop Header: Depth=1
	v_mov_b32_e32 v1, s7
	v_add_nc_u32_e64 v2, 0xb0, s7
	v_add_nc_u32_e64 v3, 0x60, s7
	s_add_i32 s7, s7, 4
	s_clause 0x1
	buffer_load_dword v1, v1, s[0:3], 0 offen
	buffer_load_dword v2, v2, s[0:3], 0 offen
	s_cmp_lg_u32 s7, 16
	s_waitcnt vmcnt(0)
	v_add_nc_u32_e32 v1, v2, v1
	buffer_store_dword v1, v3, s[0:3], 0 offen
	s_cbranch_scc1 .LBB2041_110
; %bb.111:
	s_clause 0x3
	buffer_load_dword v1, off, s[0:3], 0 offset:96
	buffer_load_dword v2, off, s[0:3], 0 offset:100
	;; [unrolled: 1-line block ×4, first 2 shown]
.LBB2041_112:
	s_or_b32 exec_lo, exec_lo, s4
	v_and_b32_e32 v5, 1, v5
	v_and_b32_e32 v7, 1, v8
	v_cmp_eq_u32_e32 vcc_lo, 1, v5
	v_cmp_eq_u32_e64 s4, 1, v7
	s_or_b32 s4, vcc_lo, s4
	v_cndmask_b32_e64 v5, 0, 1, s4
	buffer_store_byte v5, off, s[0:3], 0 offset:192
	buffer_load_dword v7, off, s[0:3], 0 offset:192
	s_waitcnt vmcnt(4)
	buffer_store_dword v1, off, s[0:3], 0 offset:176
	s_waitcnt vmcnt(3)
	buffer_store_dword v2, off, s[0:3], 0 offset:180
	;; [unrolled: 2-line block ×4, first 2 shown]
	s_waitcnt vmcnt(0)
	v_mov_b32_e32 v5, v7
.LBB2041_113:
	s_or_b32 exec_lo, exec_lo, s5
	v_mov_b32_dpp v11, v1 row_shr:4 row_mask:0xf bank_mask:0xf
	v_mov_b32_dpp v8, v7 row_shr:4 row_mask:0xf bank_mask:0xf
	;; [unrolled: 1-line block ×5, first 2 shown]
	s_mov_b32 s5, exec_lo
	buffer_store_dword v11, off, s[0:3], 0
	buffer_store_dword v12, off, s[0:3], 0 offset:4
	buffer_store_dword v13, off, s[0:3], 0 offset:8
	;; [unrolled: 1-line block ×4, first 2 shown]
	v_cmpx_lt_u32_e32 3, v6
	s_cbranch_execz .LBB2041_120
; %bb.114:
	v_mov_b32_e32 v7, 0
	s_mov_b32 s7, 0
	v_cmp_eq_u16_sdwa s8, v5, v7 src0_sel:BYTE_0 src1_sel:DWORD
	s_and_saveexec_b32 s4, s8
	s_cbranch_execz .LBB2041_119
.LBB2041_115:                           ; =>This Inner Loop Header: Depth=1
	v_add_nc_u32_e64 v1, 0x60, s7
	s_add_i32 s7, s7, 4
	s_cmp_lg_u32 s7, 16
	buffer_store_dword v7, v1, s[0:3], 0 offen
	s_cbranch_scc1 .LBB2041_115
; %bb.116:
	s_mov_b32 s7, 0
	.p2align	6
.LBB2041_117:                           ; =>This Inner Loop Header: Depth=1
	v_mov_b32_e32 v1, s7
	v_add_nc_u32_e64 v2, 0xb0, s7
	v_add_nc_u32_e64 v3, 0x60, s7
	s_add_i32 s7, s7, 4
	s_clause 0x1
	buffer_load_dword v1, v1, s[0:3], 0 offen
	buffer_load_dword v2, v2, s[0:3], 0 offen
	s_cmp_lg_u32 s7, 16
	s_waitcnt vmcnt(0)
	v_add_nc_u32_e32 v1, v2, v1
	buffer_store_dword v1, v3, s[0:3], 0 offen
	s_cbranch_scc1 .LBB2041_117
; %bb.118:
	s_clause 0x3
	buffer_load_dword v1, off, s[0:3], 0 offset:96
	buffer_load_dword v2, off, s[0:3], 0 offset:100
	;; [unrolled: 1-line block ×4, first 2 shown]
.LBB2041_119:
	s_or_b32 exec_lo, exec_lo, s4
	v_and_b32_e32 v5, 1, v5
	v_and_b32_e32 v7, 1, v8
	v_cmp_eq_u32_e32 vcc_lo, 1, v5
	v_cmp_eq_u32_e64 s4, 1, v7
	s_or_b32 s4, vcc_lo, s4
	v_cndmask_b32_e64 v5, 0, 1, s4
	buffer_store_byte v5, off, s[0:3], 0 offset:192
	buffer_load_dword v7, off, s[0:3], 0 offset:192
	s_waitcnt vmcnt(4)
	buffer_store_dword v1, off, s[0:3], 0 offset:176
	s_waitcnt vmcnt(3)
	buffer_store_dword v2, off, s[0:3], 0 offset:180
	;; [unrolled: 2-line block ×4, first 2 shown]
	s_waitcnt vmcnt(0)
	v_mov_b32_e32 v5, v7
.LBB2041_120:
	s_or_b32 exec_lo, exec_lo, s5
	v_mov_b32_dpp v11, v1 row_shr:8 row_mask:0xf bank_mask:0xf
	v_mov_b32_dpp v8, v7 row_shr:8 row_mask:0xf bank_mask:0xf
	;; [unrolled: 1-line block ×5, first 2 shown]
	s_mov_b32 s5, exec_lo
	buffer_store_dword v11, off, s[0:3], 0
	buffer_store_dword v12, off, s[0:3], 0 offset:4
	buffer_store_dword v13, off, s[0:3], 0 offset:8
	;; [unrolled: 1-line block ×4, first 2 shown]
	v_cmpx_lt_u32_e32 7, v6
	s_cbranch_execz .LBB2041_127
; %bb.121:
	v_mov_b32_e32 v6, 0
	s_mov_b32 s7, 0
	v_cmp_eq_u16_sdwa s8, v5, v6 src0_sel:BYTE_0 src1_sel:DWORD
	s_and_saveexec_b32 s4, s8
	s_cbranch_execz .LBB2041_126
.LBB2041_122:                           ; =>This Inner Loop Header: Depth=1
	v_add_nc_u32_e64 v1, 0x60, s7
	s_add_i32 s7, s7, 4
	s_cmp_lg_u32 s7, 16
	buffer_store_dword v6, v1, s[0:3], 0 offen
	s_cbranch_scc1 .LBB2041_122
; %bb.123:
	s_mov_b32 s7, 0
	.p2align	6
.LBB2041_124:                           ; =>This Inner Loop Header: Depth=1
	v_mov_b32_e32 v1, s7
	v_add_nc_u32_e64 v2, 0xb0, s7
	v_add_nc_u32_e64 v3, 0x60, s7
	s_add_i32 s7, s7, 4
	s_clause 0x1
	buffer_load_dword v1, v1, s[0:3], 0 offen
	buffer_load_dword v2, v2, s[0:3], 0 offen
	s_cmp_lg_u32 s7, 16
	s_waitcnt vmcnt(0)
	v_add_nc_u32_e32 v1, v2, v1
	buffer_store_dword v1, v3, s[0:3], 0 offen
	s_cbranch_scc1 .LBB2041_124
; %bb.125:
	s_clause 0x3
	buffer_load_dword v1, off, s[0:3], 0 offset:96
	buffer_load_dword v2, off, s[0:3], 0 offset:100
	;; [unrolled: 1-line block ×4, first 2 shown]
.LBB2041_126:
	s_or_b32 exec_lo, exec_lo, s4
	v_and_b32_e32 v5, 1, v5
	v_and_b32_e32 v6, 1, v8
	v_cmp_eq_u32_e32 vcc_lo, 1, v5
	v_cmp_eq_u32_e64 s4, 1, v6
	s_or_b32 s4, vcc_lo, s4
	v_cndmask_b32_e64 v5, 0, 1, s4
	buffer_store_byte v5, off, s[0:3], 0 offset:192
	buffer_load_dword v7, off, s[0:3], 0 offset:192
	s_waitcnt vmcnt(4)
	buffer_store_dword v1, off, s[0:3], 0 offset:176
	s_waitcnt vmcnt(3)
	buffer_store_dword v2, off, s[0:3], 0 offset:180
	;; [unrolled: 2-line block ×4, first 2 shown]
	s_waitcnt vmcnt(0)
	v_mov_b32_e32 v5, v7
.LBB2041_127:
	s_or_b32 exec_lo, exec_lo, s5
	ds_swizzle_b32 v8, v1 offset:swizzle(BROADCAST,32,15)
	ds_swizzle_b32 v6, v7 offset:swizzle(BROADCAST,32,15)
	;; [unrolled: 1-line block ×5, first 2 shown]
	v_and_b32_e32 v7, 16, v10
	s_mov_b32 s5, exec_lo
	s_waitcnt lgkmcnt(4)
	buffer_store_dword v8, off, s[0:3], 0
	s_waitcnt lgkmcnt(2)
	buffer_store_dword v11, off, s[0:3], 0 offset:4
	s_waitcnt lgkmcnt(1)
	buffer_store_dword v12, off, s[0:3], 0 offset:8
	;; [unrolled: 2-line block ×3, first 2 shown]
	buffer_store_dword v6, off, s[0:3], 0 offset:16
	v_cmpx_ne_u32_e32 0, v7
	s_cbranch_execz .LBB2041_134
; %bb.128:
	v_mov_b32_e32 v7, 0
	s_mov_b32 s7, 0
	v_cmp_eq_u16_sdwa s8, v5, v7 src0_sel:BYTE_0 src1_sel:DWORD
	s_and_saveexec_b32 s4, s8
	s_cbranch_execz .LBB2041_133
.LBB2041_129:                           ; =>This Inner Loop Header: Depth=1
	v_add_nc_u32_e64 v1, 0x60, s7
	s_add_i32 s7, s7, 4
	s_cmp_lg_u32 s7, 16
	buffer_store_dword v7, v1, s[0:3], 0 offen
	s_cbranch_scc1 .LBB2041_129
; %bb.130:
	s_mov_b32 s7, 0
	.p2align	6
.LBB2041_131:                           ; =>This Inner Loop Header: Depth=1
	v_mov_b32_e32 v1, s7
	v_add_nc_u32_e64 v2, 0xb0, s7
	v_add_nc_u32_e64 v3, 0x60, s7
	s_add_i32 s7, s7, 4
	s_clause 0x1
	buffer_load_dword v1, v1, s[0:3], 0 offen
	buffer_load_dword v2, v2, s[0:3], 0 offen
	s_cmp_lg_u32 s7, 16
	s_waitcnt vmcnt(0)
	v_add_nc_u32_e32 v1, v2, v1
	buffer_store_dword v1, v3, s[0:3], 0 offen
	s_cbranch_scc1 .LBB2041_131
; %bb.132:
	s_clause 0x3
	buffer_load_dword v1, off, s[0:3], 0 offset:96
	buffer_load_dword v2, off, s[0:3], 0 offset:100
	;; [unrolled: 1-line block ×4, first 2 shown]
.LBB2041_133:
	s_or_b32 exec_lo, exec_lo, s4
	v_and_b32_e32 v5, 1, v5
	v_and_b32_e32 v6, 1, v6
	v_cmp_eq_u32_e32 vcc_lo, 1, v5
	v_cmp_eq_u32_e64 s4, 1, v6
	s_or_b32 s4, vcc_lo, s4
	v_cndmask_b32_e64 v5, 0, 1, s4
	s_waitcnt vmcnt(3)
	buffer_store_dword v1, off, s[0:3], 0 offset:176
	s_waitcnt vmcnt(2)
	buffer_store_dword v2, off, s[0:3], 0 offset:180
	s_waitcnt vmcnt(1)
	buffer_store_dword v3, off, s[0:3], 0 offset:184
	s_waitcnt vmcnt(0)
	buffer_store_dword v4, off, s[0:3], 0 offset:188
	buffer_store_byte v5, off, s[0:3], 0 offset:192
.LBB2041_134:
	s_or_b32 exec_lo, exec_lo, s5
	v_or_b32_e32 v7, 31, v0
	v_lshrrev_b32_e32 v6, 5, v0
	s_mov_b32 s4, exec_lo
	v_cmpx_eq_u32_e64 v0, v7
	s_cbranch_execz .LBB2041_136
; %bb.135:
	v_mul_u32_u24_e32 v7, 20, v6
	ds_write2_b32 v7, v1, v2 offset1:1
	ds_write2_b32 v7, v3, v4 offset0:2 offset1:3
	ds_write_b8 v7, v5 offset:16
.LBB2041_136:
	s_or_b32 exec_lo, exec_lo, s4
	s_mov_b32 s5, exec_lo
	s_waitcnt lgkmcnt(0)
	s_waitcnt_vscnt null, 0x0
	s_barrier
	buffer_gl0_inv
	v_cmpx_gt_u32_e32 8, v0
	s_cbranch_execz .LBB2041_160
; %bb.137:
	v_mul_u32_u24_e32 v5, 20, v0
	v_and_b32_e32 v8, 7, v10
	s_mov_b32 s4, exec_lo
	ds_read_b32 v7, v5 offset:16
	ds_read2_b32 v[1:2], v5 offset0:2 offset1:3
	ds_read2_b32 v[3:4], v5 offset1:1
	s_waitcnt lgkmcnt(2)
	buffer_store_dword v7, off, s[0:3], 0 offset:112
	s_waitcnt lgkmcnt(1)
	buffer_store_dword v2, off, s[0:3], 0 offset:108
	buffer_store_dword v1, off, s[0:3], 0 offset:104
	s_waitcnt lgkmcnt(0)
	buffer_store_dword v4, off, s[0:3], 0 offset:100
	buffer_store_dword v3, off, s[0:3], 0 offset:96
	v_mov_b32_dpp v12, v3 row_shr:1 row_mask:0xf bank_mask:0xf
	v_mov_b32_dpp v11, v7 row_shr:1 row_mask:0xf bank_mask:0xf
	;; [unrolled: 1-line block ×5, first 2 shown]
	buffer_store_dword v12, off, s[0:3], 0
	buffer_store_dword v13, off, s[0:3], 0 offset:4
	buffer_store_dword v14, off, s[0:3], 0 offset:8
	;; [unrolled: 1-line block ×4, first 2 shown]
	v_cmpx_ne_u32_e32 0, v8
	s_cbranch_execz .LBB2041_145
; %bb.138:
	v_mov_b32_e32 v12, 0
	v_cmp_eq_u16_sdwa s8, v7, v12 src0_sel:BYTE_0 src1_sel:DWORD
	s_and_saveexec_b32 s7, s8
	s_cbranch_execz .LBB2041_144
; %bb.139:
	s_mov_b32 s8, 0
.LBB2041_140:                           ; =>This Inner Loop Header: Depth=1
	v_add_nc_u32_e64 v1, 0x74, s8
	s_add_i32 s8, s8, 4
	s_cmp_lg_u32 s8, 16
	buffer_store_dword v12, v1, s[0:3], 0 offen
	s_cbranch_scc1 .LBB2041_140
; %bb.141:
	s_mov_b32 s8, 0
	.p2align	6
.LBB2041_142:                           ; =>This Inner Loop Header: Depth=1
	v_mov_b32_e32 v1, s8
	v_add_nc_u32_e64 v2, 0x60, s8
	v_add_nc_u32_e64 v3, 0x74, s8
	s_add_i32 s8, s8, 4
	s_clause 0x1
	buffer_load_dword v1, v1, s[0:3], 0 offen
	buffer_load_dword v2, v2, s[0:3], 0 offen
	s_cmp_lg_u32 s8, 16
	s_waitcnt vmcnt(0)
	v_add_nc_u32_e32 v1, v2, v1
	buffer_store_dword v1, v3, s[0:3], 0 offen
	s_cbranch_scc1 .LBB2041_142
; %bb.143:
	s_clause 0x3
	buffer_load_dword v3, off, s[0:3], 0 offset:116
	buffer_load_dword v4, off, s[0:3], 0 offset:120
	;; [unrolled: 1-line block ×4, first 2 shown]
.LBB2041_144:
	s_or_b32 exec_lo, exec_lo, s7
	v_or_b32_e32 v7, v11, v7
	v_and_b32_e32 v7, 1, v7
	buffer_store_byte v7, off, s[0:3], 0 offset:112
	buffer_load_dword v7, off, s[0:3], 0 offset:112
	s_waitcnt vmcnt(4)
	buffer_store_dword v3, off, s[0:3], 0 offset:96
	s_waitcnt vmcnt(3)
	buffer_store_dword v4, off, s[0:3], 0 offset:100
	;; [unrolled: 2-line block ×4, first 2 shown]
.LBB2041_145:
	s_or_b32 exec_lo, exec_lo, s4
	v_mov_b32_dpp v12, v3 row_shr:2 row_mask:0xf bank_mask:0xf
	s_waitcnt vmcnt(0)
	v_mov_b32_dpp v11, v7 row_shr:2 row_mask:0xf bank_mask:0xf
	v_mov_b32_dpp v13, v4 row_shr:2 row_mask:0xf bank_mask:0xf
	;; [unrolled: 1-line block ×4, first 2 shown]
	s_mov_b32 s7, exec_lo
	buffer_store_dword v12, off, s[0:3], 0
	buffer_store_dword v13, off, s[0:3], 0 offset:4
	buffer_store_dword v14, off, s[0:3], 0 offset:8
	;; [unrolled: 1-line block ×4, first 2 shown]
	v_cmpx_lt_u32_e32 1, v8
	s_cbranch_execz .LBB2041_152
; %bb.146:
	v_mov_b32_e32 v12, 0
	s_mov_b32 s8, 0
	v_cmp_eq_u16_sdwa s9, v7, v12 src0_sel:BYTE_0 src1_sel:DWORD
	s_and_saveexec_b32 s4, s9
	s_cbranch_execz .LBB2041_151
.LBB2041_147:                           ; =>This Inner Loop Header: Depth=1
	v_add_nc_u32_e64 v1, 0x74, s8
	s_add_i32 s8, s8, 4
	s_cmp_lg_u32 s8, 16
	buffer_store_dword v12, v1, s[0:3], 0 offen
	s_cbranch_scc1 .LBB2041_147
; %bb.148:
	s_mov_b32 s8, 0
	.p2align	6
.LBB2041_149:                           ; =>This Inner Loop Header: Depth=1
	v_mov_b32_e32 v1, s8
	v_add_nc_u32_e64 v2, 0x60, s8
	v_add_nc_u32_e64 v3, 0x74, s8
	s_add_i32 s8, s8, 4
	s_clause 0x1
	buffer_load_dword v1, v1, s[0:3], 0 offen
	buffer_load_dword v2, v2, s[0:3], 0 offen
	s_cmp_lg_u32 s8, 16
	s_waitcnt vmcnt(0)
	v_add_nc_u32_e32 v1, v2, v1
	buffer_store_dword v1, v3, s[0:3], 0 offen
	s_cbranch_scc1 .LBB2041_149
; %bb.150:
	s_clause 0x3
	buffer_load_dword v3, off, s[0:3], 0 offset:116
	buffer_load_dword v4, off, s[0:3], 0 offset:120
	buffer_load_dword v1, off, s[0:3], 0 offset:124
	buffer_load_dword v2, off, s[0:3], 0 offset:128
.LBB2041_151:
	s_or_b32 exec_lo, exec_lo, s4
	v_and_b32_e32 v7, 1, v7
	v_and_b32_e32 v11, 1, v11
	v_cmp_eq_u32_e32 vcc_lo, 1, v7
	v_cmp_eq_u32_e64 s4, 1, v11
	s_or_b32 s4, vcc_lo, s4
	v_cndmask_b32_e64 v7, 0, 1, s4
	buffer_store_byte v7, off, s[0:3], 0 offset:112
	buffer_load_dword v7, off, s[0:3], 0 offset:112
	s_waitcnt vmcnt(4)
	buffer_store_dword v3, off, s[0:3], 0 offset:96
	s_waitcnt vmcnt(3)
	buffer_store_dword v4, off, s[0:3], 0 offset:100
	;; [unrolled: 2-line block ×4, first 2 shown]
.LBB2041_152:
	s_or_b32 exec_lo, exec_lo, s7
	v_mov_b32_dpp v12, v3 row_shr:4 row_mask:0xf bank_mask:0xf
	s_waitcnt vmcnt(0)
	v_mov_b32_dpp v11, v7 row_shr:4 row_mask:0xf bank_mask:0xf
	v_mov_b32_dpp v13, v4 row_shr:4 row_mask:0xf bank_mask:0xf
	;; [unrolled: 1-line block ×4, first 2 shown]
	s_mov_b32 s7, exec_lo
	buffer_store_dword v12, off, s[0:3], 0
	buffer_store_dword v13, off, s[0:3], 0 offset:4
	buffer_store_dword v14, off, s[0:3], 0 offset:8
	;; [unrolled: 1-line block ×4, first 2 shown]
	v_cmpx_lt_u32_e32 3, v8
	s_cbranch_execz .LBB2041_159
; %bb.153:
	v_mov_b32_e32 v8, 0
	s_mov_b32 s8, 0
	v_cmp_eq_u16_sdwa s9, v7, v8 src0_sel:BYTE_0 src1_sel:DWORD
	s_and_saveexec_b32 s4, s9
	s_cbranch_execz .LBB2041_158
.LBB2041_154:                           ; =>This Inner Loop Header: Depth=1
	v_add_nc_u32_e64 v1, 0x74, s8
	s_add_i32 s8, s8, 4
	s_cmp_lg_u32 s8, 16
	buffer_store_dword v8, v1, s[0:3], 0 offen
	s_cbranch_scc1 .LBB2041_154
; %bb.155:
	s_mov_b32 s8, 0
	.p2align	6
.LBB2041_156:                           ; =>This Inner Loop Header: Depth=1
	v_mov_b32_e32 v1, s8
	v_add_nc_u32_e64 v2, 0x60, s8
	v_add_nc_u32_e64 v3, 0x74, s8
	s_add_i32 s8, s8, 4
	s_clause 0x1
	buffer_load_dword v1, v1, s[0:3], 0 offen
	buffer_load_dword v2, v2, s[0:3], 0 offen
	s_cmp_lg_u32 s8, 16
	s_waitcnt vmcnt(0)
	v_add_nc_u32_e32 v1, v2, v1
	buffer_store_dword v1, v3, s[0:3], 0 offen
	s_cbranch_scc1 .LBB2041_156
; %bb.157:
	s_clause 0x3
	buffer_load_dword v3, off, s[0:3], 0 offset:116
	buffer_load_dword v4, off, s[0:3], 0 offset:120
	;; [unrolled: 1-line block ×4, first 2 shown]
.LBB2041_158:
	s_or_b32 exec_lo, exec_lo, s4
	v_and_b32_e32 v7, 1, v7
	v_and_b32_e32 v8, 1, v11
	s_waitcnt vmcnt(3)
	buffer_store_dword v3, off, s[0:3], 0 offset:96
	s_waitcnt vmcnt(2)
	buffer_store_dword v4, off, s[0:3], 0 offset:100
	;; [unrolled: 2-line block ×4, first 2 shown]
	v_cmp_eq_u32_e32 vcc_lo, 1, v7
	v_cmp_eq_u32_e64 s4, 1, v8
	s_or_b32 s4, vcc_lo, s4
	v_cndmask_b32_e64 v7, 0, 1, s4
.LBB2041_159:
	s_or_b32 exec_lo, exec_lo, s7
	s_clause 0x3
	buffer_load_dword v1, off, s[0:3], 0 offset:96
	buffer_load_dword v2, off, s[0:3], 0 offset:104
	;; [unrolled: 1-line block ×4, first 2 shown]
	s_waitcnt vmcnt(1)
	ds_write2_b32 v5, v2, v3 offset0:2 offset1:3
	s_waitcnt vmcnt(0)
	ds_write2_b32 v5, v1, v4 offset1:1
	ds_write_b8 v5, v7 offset:16
.LBB2041_160:
	s_or_b32 exec_lo, exec_lo, s5
	v_mov_b32_e32 v1, 0
	s_mov_b32 s4, 0
	s_waitcnt lgkmcnt(0)
	s_waitcnt_vscnt null, 0x0
	s_barrier
	buffer_gl0_inv
	buffer_store_dword v1, off, s[0:3], 0 offset:12
	buffer_store_dword v1, off, s[0:3], 0 offset:8
	buffer_store_dword v1, off, s[0:3], 0 offset:4
	buffer_store_dword v1, off, s[0:3], 0
	buffer_store_dword v1, off, s[0:3], 0 offset:16
.LBB2041_161:                           ; =>This Inner Loop Header: Depth=1
	v_mov_b32_e32 v2, s4
	s_add_i32 s4, s4, 4
	s_cmp_lg_u32 s4, 16
	buffer_store_dword v1, v2, s[0:3], 0 offen
	s_cbranch_scc1 .LBB2041_161
; %bb.162:
	s_mov_b32 s5, exec_lo
	v_cmp_gt_u32_e32 vcc_lo, 32, v0
                                        ; implicit-def: $vgpr2
                                        ; implicit-def: $vgpr3
                                        ; implicit-def: $vgpr5
                                        ; implicit-def: $vgpr4
                                        ; implicit-def: $vgpr1
	v_cmpx_lt_u32_e32 31, v0
	s_xor_b32 s5, exec_lo, s5
	s_cbranch_execz .LBB2041_172
; %bb.163:
	buffer_load_ubyte v7, off, s[0:3], 0 offset:192
	v_mad_u32_u24 v4, v6, 20, 0xffffffec
	v_mad_u32_u24 v1, v6, 20, -4
	ds_read2_b32 v[2:3], v4 offset0:2 offset1:3
	ds_read_u8 v1, v1
	ds_read2_b32 v[4:5], v4 offset1:1
	s_waitcnt lgkmcnt(2)
	buffer_store_dword v3, off, s[0:3], 0 offset:12
	buffer_store_dword v2, off, s[0:3], 0 offset:8
	s_waitcnt lgkmcnt(0)
	buffer_store_dword v5, off, s[0:3], 0 offset:4
	buffer_store_dword v4, off, s[0:3], 0
                                        ; implicit-def: $vgpr4
                                        ; implicit-def: $vgpr2
                                        ; implicit-def: $vgpr3
                                        ; implicit-def: $vgpr5
	s_waitcnt vmcnt(0)
	v_cmp_ne_u16_e64 s4, 0, v7
	s_and_saveexec_b32 s7, s4
	s_xor_b32 s4, exec_lo, s7
	s_cbranch_execz .LBB2041_165
; %bb.164:
	s_clause 0x3
	buffer_load_dword v2, off, s[0:3], 0 offset:176
	buffer_load_dword v3, off, s[0:3], 0 offset:180
	;; [unrolled: 1-line block ×4, first 2 shown]
.LBB2041_165:
	s_andn2_saveexec_b32 s4, s4
	s_cbranch_execz .LBB2041_171
; %bb.166:
	s_waitcnt vmcnt(3)
	v_mov_b32_e32 v2, 0
	s_mov_b32 s7, 0
.LBB2041_167:                           ; =>This Inner Loop Header: Depth=1
	s_waitcnt vmcnt(2)
	v_add_nc_u32_e64 v3, 0x60, s7
	s_add_i32 s7, s7, 4
	s_cmp_lg_u32 s7, 16
	buffer_store_dword v2, v3, s[0:3], 0 offen
	s_cbranch_scc1 .LBB2041_167
; %bb.168:
	s_mov_b32 s7, 0
	.p2align	6
.LBB2041_169:                           ; =>This Inner Loop Header: Depth=1
	v_mov_b32_e32 v2, s7
	v_add_nc_u32_e64 v3, 0xb0, s7
	s_waitcnt vmcnt(0)
	v_add_nc_u32_e64 v4, 0x60, s7
	s_add_i32 s7, s7, 4
	s_clause 0x1
	buffer_load_dword v2, v2, s[0:3], 0 offen
	buffer_load_dword v3, v3, s[0:3], 0 offen
	s_cmp_lg_u32 s7, 16
	s_waitcnt vmcnt(0)
	v_add_nc_u32_e32 v2, v3, v2
	buffer_store_dword v2, v4, s[0:3], 0 offen
	s_cbranch_scc1 .LBB2041_169
; %bb.170:
	s_clause 0x3
	buffer_load_dword v2, off, s[0:3], 0 offset:96
	buffer_load_dword v3, off, s[0:3], 0 offset:100
	;; [unrolled: 1-line block ×4, first 2 shown]
.LBB2041_171:
	s_or_b32 exec_lo, exec_lo, s4
	v_or_b32_e32 v6, v7, v1
	buffer_store_byte v6, off, s[0:3], 0 offset:192
.LBB2041_172:
	s_andn2_saveexec_b32 s4, s5
	s_cbranch_execz .LBB2041_174
; %bb.173:
	s_clause 0x3
	buffer_load_dword v2, off, s[0:3], 0 offset:176
	buffer_load_dword v3, off, s[0:3], 0 offset:180
	;; [unrolled: 1-line block ×4, first 2 shown]
	v_mov_b32_e32 v1, 0
.LBB2041_174:
	s_or_b32 exec_lo, exec_lo, s4
	buffer_load_dword v6, off, s[0:3], 0 offset:192
	v_sub_co_u32 v7, s7, v10, 1
	v_cmp_gt_i32_e64 s4, 0, v7
	v_cndmask_b32_e64 v7, v7, v10, s4
	v_lshlrev_b32_e32 v7, 2, v7
	s_waitcnt vmcnt(4)
	ds_bpermute_b32 v2, v7, v2
	s_waitcnt vmcnt(3)
	ds_bpermute_b32 v3, v7, v3
	;; [unrolled: 2-line block ×5, first 2 shown]
	s_waitcnt lgkmcnt(4)
	buffer_store_dword v2, off, s[0:3], 0 offset:176
	s_waitcnt lgkmcnt(3)
	buffer_store_dword v3, off, s[0:3], 0 offset:180
	;; [unrolled: 2-line block ×4, first 2 shown]
	s_waitcnt lgkmcnt(0)
	buffer_store_byte v6, off, s[0:3], 0 offset:192
	s_and_saveexec_b32 s4, s7
	s_cbranch_execz .LBB2041_176
; %bb.175:
	s_clause 0x3
	buffer_load_dword v2, off, s[0:3], 0 offset:12
	buffer_load_dword v3, off, s[0:3], 0 offset:8
	;; [unrolled: 1-line block ×3, first 2 shown]
	buffer_load_dword v5, off, s[0:3], 0
	s_waitcnt vmcnt(3)
	buffer_store_dword v2, off, s[0:3], 0 offset:188
	s_waitcnt vmcnt(2)
	buffer_store_dword v3, off, s[0:3], 0 offset:184
	;; [unrolled: 2-line block ×4, first 2 shown]
	buffer_store_byte v1, off, s[0:3], 0 offset:192
.LBB2041_176:
	s_or_b32 exec_lo, exec_lo, s4
	s_and_saveexec_b32 s5, vcc_lo
	s_cbranch_execz .LBB2041_298
; %bb.177:
	v_mov_b32_e32 v5, 0
	ds_read2_b32 v[1:2], v5 offset0:35 offset1:36
	ds_read2_b32 v[3:4], v5 offset0:37 offset1:38
	ds_read_b32 v11, v5 offset:156
	s_waitcnt lgkmcnt(2)
	buffer_store_dword v1, off, s[0:3], 0 offset:156
	buffer_store_dword v2, off, s[0:3], 0 offset:160
	s_waitcnt lgkmcnt(1)
	buffer_store_dword v3, off, s[0:3], 0 offset:164
	buffer_store_dword v4, off, s[0:3], 0 offset:168
	s_waitcnt lgkmcnt(0)
	buffer_store_dword v11, off, s[0:3], 0 offset:172
	s_and_saveexec_b32 s4, s7
	s_cbranch_execz .LBB2041_179
; %bb.178:
	s_add_i32 s9, s6, 32
	v_mov_b32_e32 v6, 1
	s_mul_i32 s8, s9, 20
	v_mov_b32_e32 v7, s9
	s_mul_hi_u32 s22, s9, 20
	s_add_u32 s8, s12, s8
	s_addc_u32 s9, s13, s22
	global_store_dwordx4 v5, v[1:4], s[8:9]
	global_store_byte v5, v11, s[8:9] offset:16
	s_waitcnt_vscnt null, 0x0
	buffer_gl1_inv
	buffer_gl0_inv
	global_store_byte v7, v6, s[16:17]
.LBB2041_179:
	s_or_b32 exec_lo, exec_lo, s4
	s_mov_b32 s4, 0
	buffer_store_dword v5, off, s[0:3], 0 offset:148
	buffer_store_dword v5, off, s[0:3], 0 offset:144
	buffer_store_dword v5, off, s[0:3], 0 offset:140
	buffer_store_dword v5, off, s[0:3], 0 offset:136
	buffer_store_dword v5, off, s[0:3], 0 offset:152
.LBB2041_180:                           ; =>This Inner Loop Header: Depth=1
	v_add_nc_u32_e64 v6, 0x88, s4
	s_add_i32 s4, s4, 4
	s_cmp_lg_u32 s4, 16
	buffer_store_dword v5, v6, s[0:3], 0 offen
	s_cbranch_scc1 .LBB2041_180
; %bb.181:
	v_mov_b32_e32 v5, 0
	s_mov_b32 s4, 0
	buffer_store_byte v5, off, s[0:3], 0 offset:152
	buffer_store_dword v5, off, s[0:3], 0 offset:108
	buffer_store_dword v5, off, s[0:3], 0 offset:104
	;; [unrolled: 1-line block ×5, first 2 shown]
.LBB2041_182:                           ; =>This Inner Loop Header: Depth=1
	v_add_nc_u32_e64 v6, 0x60, s4
	s_add_i32 s4, s4, 4
	s_cmp_lg_u32 s4, 16
	buffer_store_dword v5, v6, s[0:3], 0 offen
	s_cbranch_scc1 .LBB2041_182
; %bb.183:
	v_xad_u32 v12, v10, -1, s6
	v_mov_b32_e32 v5, 0
	s_mov_b32 s4, exec_lo
	v_add_nc_u32_e32 v7, 32, v12
	buffer_store_byte v5, off, s[0:3], 0 offset:112
	global_load_ubyte v13, v7, s[16:17] glc dlc
	s_waitcnt vmcnt(0)
	v_cmpx_eq_u16_e32 0, v13
	s_cbranch_execz .LBB2041_187
; %bb.184:
	v_add_co_u32 v5, s8, s16, v7
	v_add_co_ci_u32_e64 v6, null, s17, 0, s8
	s_mov_b32 s8, 0
.LBB2041_185:                           ; =>This Inner Loop Header: Depth=1
	global_load_ubyte v13, v[5:6], off glc dlc
	s_waitcnt vmcnt(0)
	v_cmp_ne_u16_e32 vcc_lo, 0, v13
	s_or_b32 s8, vcc_lo, s8
	s_andn2_b32 exec_lo, exec_lo, s8
	s_cbranch_execnz .LBB2041_185
; %bb.186:
	s_or_b32 exec_lo, exec_lo, s8
.LBB2041_187:
	s_or_b32 exec_lo, exec_lo, s4
	v_mov_b32_e32 v5, s13
	v_mov_b32_e32 v8, s12
	v_cmp_eq_u16_e32 vcc_lo, 1, v13
	s_waitcnt_vscnt null, 0x0
	buffer_gl1_inv
	buffer_gl0_inv
	s_mov_b32 s4, 0
	v_cndmask_b32_e32 v6, s15, v5, vcc_lo
	v_cndmask_b32_e32 v5, s14, v8, vcc_lo
	v_mad_u64_u32 v[14:15], null, v7, 20, v[5:6]
	s_clause 0x1
	global_load_dwordx4 v[5:8], v[14:15], off
	global_load_ubyte v15, v[14:15], off offset:16
	v_mov_b32_e32 v14, 0
	s_waitcnt vmcnt(1)
	buffer_store_dword v6, off, s[0:3], 0 offset:100
	buffer_store_dword v5, off, s[0:3], 0 offset:96
	;; [unrolled: 1-line block ×8, first 2 shown]
	s_waitcnt vmcnt(0)
	buffer_store_byte v15, off, s[0:3], 0 offset:152
	buffer_store_dword v14, off, s[0:3], 0 offset:16
.LBB2041_188:                           ; =>This Inner Loop Header: Depth=1
	v_mov_b32_e32 v15, s4
	s_add_i32 s4, s4, 4
	s_cmp_lg_u32 s4, 16
	buffer_store_dword v14, v15, s[0:3], 0 offen
	s_cbranch_scc1 .LBB2041_188
; %bb.189:
	buffer_load_dword v24, off, s[0:3], 0 offset:152
	v_cmp_ne_u32_e32 vcc_lo, 31, v10
	v_lshlrev_b32_e64 v15, v10, -1
	s_mov_b32 s4, exec_lo
	v_add_co_ci_u32_e64 v14, null, 0, v10, vcc_lo
	v_cmp_eq_u16_e32 vcc_lo, 2, v13
	v_lshlrev_b32_e32 v14, 2, v14
	v_and_or_b32 v21, vcc_lo, v15, 0x80000000
	ds_bpermute_b32 v17, v14, v5
	ds_bpermute_b32 v18, v14, v6
	;; [unrolled: 1-line block ×4, first 2 shown]
	v_ffbl_b32_e32 v25, v21
	s_waitcnt lgkmcnt(3)
	buffer_store_dword v17, off, s[0:3], 0
	s_waitcnt lgkmcnt(2)
	buffer_store_dword v18, off, s[0:3], 0 offset:4
	s_waitcnt lgkmcnt(1)
	buffer_store_dword v19, off, s[0:3], 0 offset:8
	;; [unrolled: 2-line block ×3, first 2 shown]
	s_waitcnt vmcnt(0)
	ds_bpermute_b32 v16, v14, v24
	v_cmpx_lt_u32_e64 v10, v25
	s_cbranch_execz .LBB2041_197
; %bb.190:
	v_mov_b32_e32 v17, 0
	v_cmp_eq_u16_sdwa s9, v24, v17 src0_sel:BYTE_0 src1_sel:DWORD
	s_and_saveexec_b32 s8, s9
	s_cbranch_execz .LBB2041_196
; %bb.191:
	s_mov_b32 s9, 0
.LBB2041_192:                           ; =>This Inner Loop Header: Depth=1
	v_add_nc_u32_e64 v5, 0x74, s9
	s_add_i32 s9, s9, 4
	s_cmp_lg_u32 s9, 16
	buffer_store_dword v17, v5, s[0:3], 0 offen
	s_cbranch_scc1 .LBB2041_192
; %bb.193:
	s_mov_b32 s9, 0
	.p2align	6
.LBB2041_194:                           ; =>This Inner Loop Header: Depth=1
	v_mov_b32_e32 v5, s9
	v_add_nc_u32_e64 v6, 0x88, s9
	v_add_nc_u32_e64 v7, 0x74, s9
	s_add_i32 s9, s9, 4
	s_clause 0x1
	buffer_load_dword v5, v5, s[0:3], 0 offen
	buffer_load_dword v6, v6, s[0:3], 0 offen
	s_cmp_lg_u32 s9, 16
	s_waitcnt vmcnt(0)
	v_add_nc_u32_e32 v5, v6, v5
	buffer_store_dword v5, v7, s[0:3], 0 offen
	s_cbranch_scc1 .LBB2041_194
; %bb.195:
	s_clause 0x3
	buffer_load_dword v5, off, s[0:3], 0 offset:116
	buffer_load_dword v6, off, s[0:3], 0 offset:120
	;; [unrolled: 1-line block ×4, first 2 shown]
.LBB2041_196:
	s_or_b32 exec_lo, exec_lo, s8
	s_waitcnt lgkmcnt(0)
	v_or_b32_e32 v16, v16, v24
	v_and_b32_e32 v16, 1, v16
	buffer_store_byte v16, off, s[0:3], 0 offset:152
	buffer_load_dword v24, off, s[0:3], 0 offset:152
	s_waitcnt vmcnt(4)
	buffer_store_dword v5, off, s[0:3], 0 offset:136
	s_waitcnt vmcnt(3)
	buffer_store_dword v6, off, s[0:3], 0 offset:140
	s_waitcnt vmcnt(2)
	buffer_store_dword v7, off, s[0:3], 0 offset:144
	s_waitcnt vmcnt(1)
	buffer_store_dword v8, off, s[0:3], 0 offset:148
.LBB2041_197:
	s_or_b32 exec_lo, exec_lo, s4
	v_cmp_gt_u32_e32 vcc_lo, 30, v10
	v_add_nc_u32_e32 v17, 2, v10
	s_mov_b32 s8, exec_lo
	s_waitcnt lgkmcnt(0)
	v_cndmask_b32_e64 v16, 0, 2, vcc_lo
	v_add_lshl_u32 v16, v16, v10, 2
	ds_bpermute_b32 v19, v16, v5
	s_waitcnt vmcnt(0)
	ds_bpermute_b32 v18, v16, v24
	ds_bpermute_b32 v20, v16, v6
	;; [unrolled: 1-line block ×4, first 2 shown]
	s_waitcnt lgkmcnt(4)
	buffer_store_dword v19, off, s[0:3], 0
	s_waitcnt lgkmcnt(2)
	buffer_store_dword v20, off, s[0:3], 0 offset:4
	s_waitcnt lgkmcnt(1)
	buffer_store_dword v21, off, s[0:3], 0 offset:8
	;; [unrolled: 2-line block ×3, first 2 shown]
	v_cmpx_le_u32_e64 v17, v25
	s_cbranch_execz .LBB2041_205
; %bb.198:
	v_mov_b32_e32 v19, 0
	v_cmp_eq_u16_sdwa s9, v24, v19 src0_sel:BYTE_0 src1_sel:DWORD
	s_and_saveexec_b32 s4, s9
	s_cbranch_execz .LBB2041_204
; %bb.199:
	s_mov_b32 s9, 0
.LBB2041_200:                           ; =>This Inner Loop Header: Depth=1
	v_add_nc_u32_e64 v5, 0x74, s9
	s_add_i32 s9, s9, 4
	s_cmp_lg_u32 s9, 16
	buffer_store_dword v19, v5, s[0:3], 0 offen
	s_cbranch_scc1 .LBB2041_200
; %bb.201:
	s_mov_b32 s9, 0
	.p2align	6
.LBB2041_202:                           ; =>This Inner Loop Header: Depth=1
	v_mov_b32_e32 v5, s9
	v_add_nc_u32_e64 v6, 0x88, s9
	v_add_nc_u32_e64 v7, 0x74, s9
	s_add_i32 s9, s9, 4
	s_clause 0x1
	buffer_load_dword v5, v5, s[0:3], 0 offen
	buffer_load_dword v6, v6, s[0:3], 0 offen
	s_cmp_lg_u32 s9, 16
	s_waitcnt vmcnt(0)
	v_add_nc_u32_e32 v5, v6, v5
	buffer_store_dword v5, v7, s[0:3], 0 offen
	s_cbranch_scc1 .LBB2041_202
; %bb.203:
	s_clause 0x3
	buffer_load_dword v5, off, s[0:3], 0 offset:116
	buffer_load_dword v6, off, s[0:3], 0 offset:120
	;; [unrolled: 1-line block ×4, first 2 shown]
.LBB2041_204:
	s_or_b32 exec_lo, exec_lo, s4
	v_and_b32_e32 v19, 1, v24
	v_and_b32_e32 v18, 1, v18
	v_cmp_eq_u32_e32 vcc_lo, 1, v19
	v_cmp_eq_u32_e64 s4, 1, v18
	s_or_b32 s4, vcc_lo, s4
	v_cndmask_b32_e64 v18, 0, 1, s4
	buffer_store_byte v18, off, s[0:3], 0 offset:152
	buffer_load_dword v24, off, s[0:3], 0 offset:152
	s_waitcnt vmcnt(4)
	buffer_store_dword v5, off, s[0:3], 0 offset:136
	s_waitcnt vmcnt(3)
	buffer_store_dword v6, off, s[0:3], 0 offset:140
	;; [unrolled: 2-line block ×4, first 2 shown]
.LBB2041_205:
	s_or_b32 exec_lo, exec_lo, s8
	v_cmp_gt_u32_e32 vcc_lo, 28, v10
	v_add_nc_u32_e32 v19, 4, v10
	s_mov_b32 s8, exec_lo
	v_cndmask_b32_e64 v18, 0, 4, vcc_lo
	v_add_lshl_u32 v18, v18, v10, 2
	ds_bpermute_b32 v21, v18, v5
	s_waitcnt vmcnt(0)
	ds_bpermute_b32 v20, v18, v24
	ds_bpermute_b32 v22, v18, v6
	;; [unrolled: 1-line block ×4, first 2 shown]
	s_waitcnt lgkmcnt(4)
	buffer_store_dword v21, off, s[0:3], 0
	s_waitcnt lgkmcnt(2)
	buffer_store_dword v22, off, s[0:3], 0 offset:4
	s_waitcnt lgkmcnt(1)
	buffer_store_dword v23, off, s[0:3], 0 offset:8
	;; [unrolled: 2-line block ×3, first 2 shown]
	v_cmpx_le_u32_e64 v19, v25
	s_cbranch_execz .LBB2041_213
; %bb.206:
	v_mov_b32_e32 v21, 0
	v_cmp_eq_u16_sdwa s9, v24, v21 src0_sel:BYTE_0 src1_sel:DWORD
	s_and_saveexec_b32 s4, s9
	s_cbranch_execz .LBB2041_212
; %bb.207:
	s_mov_b32 s9, 0
.LBB2041_208:                           ; =>This Inner Loop Header: Depth=1
	v_add_nc_u32_e64 v5, 0x74, s9
	s_add_i32 s9, s9, 4
	s_cmp_lg_u32 s9, 16
	buffer_store_dword v21, v5, s[0:3], 0 offen
	s_cbranch_scc1 .LBB2041_208
; %bb.209:
	s_mov_b32 s9, 0
	.p2align	6
.LBB2041_210:                           ; =>This Inner Loop Header: Depth=1
	v_mov_b32_e32 v5, s9
	v_add_nc_u32_e64 v6, 0x88, s9
	v_add_nc_u32_e64 v7, 0x74, s9
	s_add_i32 s9, s9, 4
	s_clause 0x1
	buffer_load_dword v5, v5, s[0:3], 0 offen
	buffer_load_dword v6, v6, s[0:3], 0 offen
	s_cmp_lg_u32 s9, 16
	s_waitcnt vmcnt(0)
	v_add_nc_u32_e32 v5, v6, v5
	buffer_store_dword v5, v7, s[0:3], 0 offen
	s_cbranch_scc1 .LBB2041_210
; %bb.211:
	s_clause 0x3
	buffer_load_dword v5, off, s[0:3], 0 offset:116
	buffer_load_dword v6, off, s[0:3], 0 offset:120
	buffer_load_dword v7, off, s[0:3], 0 offset:124
	buffer_load_dword v8, off, s[0:3], 0 offset:128
.LBB2041_212:
	s_or_b32 exec_lo, exec_lo, s4
	v_and_b32_e32 v21, 1, v24
	v_and_b32_e32 v20, 1, v20
	v_cmp_eq_u32_e32 vcc_lo, 1, v21
	v_cmp_eq_u32_e64 s4, 1, v20
	s_or_b32 s4, vcc_lo, s4
	v_cndmask_b32_e64 v20, 0, 1, s4
	buffer_store_byte v20, off, s[0:3], 0 offset:152
	buffer_load_dword v24, off, s[0:3], 0 offset:152
	s_waitcnt vmcnt(4)
	buffer_store_dword v5, off, s[0:3], 0 offset:136
	s_waitcnt vmcnt(3)
	buffer_store_dword v6, off, s[0:3], 0 offset:140
	;; [unrolled: 2-line block ×4, first 2 shown]
.LBB2041_213:
	s_or_b32 exec_lo, exec_lo, s8
	v_cmp_gt_u32_e32 vcc_lo, 24, v10
	v_add_nc_u32_e32 v21, 8, v10
	s_mov_b32 s8, exec_lo
	v_cndmask_b32_e64 v20, 0, 8, vcc_lo
	v_add_lshl_u32 v20, v20, v10, 2
	ds_bpermute_b32 v23, v20, v5
	s_waitcnt vmcnt(0)
	ds_bpermute_b32 v22, v20, v24
	ds_bpermute_b32 v26, v20, v6
	ds_bpermute_b32 v27, v20, v7
	ds_bpermute_b32 v28, v20, v8
	s_waitcnt lgkmcnt(4)
	buffer_store_dword v23, off, s[0:3], 0
	s_waitcnt lgkmcnt(2)
	buffer_store_dword v26, off, s[0:3], 0 offset:4
	s_waitcnt lgkmcnt(1)
	buffer_store_dword v27, off, s[0:3], 0 offset:8
	;; [unrolled: 2-line block ×3, first 2 shown]
	v_cmpx_le_u32_e64 v21, v25
	s_cbranch_execz .LBB2041_221
; %bb.214:
	v_mov_b32_e32 v23, 0
	v_cmp_eq_u16_sdwa s9, v24, v23 src0_sel:BYTE_0 src1_sel:DWORD
	s_and_saveexec_b32 s4, s9
	s_cbranch_execz .LBB2041_220
; %bb.215:
	s_mov_b32 s9, 0
.LBB2041_216:                           ; =>This Inner Loop Header: Depth=1
	v_add_nc_u32_e64 v5, 0x74, s9
	s_add_i32 s9, s9, 4
	s_cmp_lg_u32 s9, 16
	buffer_store_dword v23, v5, s[0:3], 0 offen
	s_cbranch_scc1 .LBB2041_216
; %bb.217:
	s_mov_b32 s9, 0
	.p2align	6
.LBB2041_218:                           ; =>This Inner Loop Header: Depth=1
	v_mov_b32_e32 v5, s9
	v_add_nc_u32_e64 v6, 0x88, s9
	v_add_nc_u32_e64 v7, 0x74, s9
	s_add_i32 s9, s9, 4
	s_clause 0x1
	buffer_load_dword v5, v5, s[0:3], 0 offen
	buffer_load_dword v6, v6, s[0:3], 0 offen
	s_cmp_lg_u32 s9, 16
	s_waitcnt vmcnt(0)
	v_add_nc_u32_e32 v5, v6, v5
	buffer_store_dword v5, v7, s[0:3], 0 offen
	s_cbranch_scc1 .LBB2041_218
; %bb.219:
	s_clause 0x3
	buffer_load_dword v5, off, s[0:3], 0 offset:116
	buffer_load_dword v6, off, s[0:3], 0 offset:120
	;; [unrolled: 1-line block ×4, first 2 shown]
.LBB2041_220:
	s_or_b32 exec_lo, exec_lo, s4
	v_and_b32_e32 v23, 1, v24
	v_and_b32_e32 v22, 1, v22
	v_cmp_eq_u32_e32 vcc_lo, 1, v23
	v_cmp_eq_u32_e64 s4, 1, v22
	s_or_b32 s4, vcc_lo, s4
	v_cndmask_b32_e64 v22, 0, 1, s4
	buffer_store_byte v22, off, s[0:3], 0 offset:152
	buffer_load_dword v24, off, s[0:3], 0 offset:152
	s_waitcnt vmcnt(4)
	buffer_store_dword v5, off, s[0:3], 0 offset:136
	s_waitcnt vmcnt(3)
	buffer_store_dword v6, off, s[0:3], 0 offset:140
	;; [unrolled: 2-line block ×4, first 2 shown]
.LBB2041_221:
	s_or_b32 exec_lo, exec_lo, s8
	v_lshl_or_b32 v22, v10, 2, 64
	v_add_nc_u32_e32 v23, 16, v10
	s_mov_b32 s8, exec_lo
	ds_bpermute_b32 v27, v22, v5
	s_waitcnt vmcnt(0)
	ds_bpermute_b32 v26, v22, v24
	ds_bpermute_b32 v28, v22, v6
	;; [unrolled: 1-line block ×4, first 2 shown]
	s_waitcnt lgkmcnt(4)
	buffer_store_dword v27, off, s[0:3], 0
	s_waitcnt lgkmcnt(2)
	buffer_store_dword v28, off, s[0:3], 0 offset:4
	s_waitcnt lgkmcnt(1)
	buffer_store_dword v29, off, s[0:3], 0 offset:8
	;; [unrolled: 2-line block ×3, first 2 shown]
	v_cmpx_le_u32_e64 v23, v25
	s_cbranch_execz .LBB2041_228
; %bb.222:
	v_mov_b32_e32 v25, 0
	s_mov_b32 s9, 0
	v_cmp_eq_u16_sdwa s22, v24, v25 src0_sel:BYTE_0 src1_sel:DWORD
	s_and_saveexec_b32 s4, s22
	s_cbranch_execz .LBB2041_227
.LBB2041_223:                           ; =>This Inner Loop Header: Depth=1
	v_add_nc_u32_e64 v5, 0x74, s9
	s_add_i32 s9, s9, 4
	s_cmp_lg_u32 s9, 16
	buffer_store_dword v25, v5, s[0:3], 0 offen
	s_cbranch_scc1 .LBB2041_223
; %bb.224:
	s_mov_b32 s9, 0
	.p2align	6
.LBB2041_225:                           ; =>This Inner Loop Header: Depth=1
	v_mov_b32_e32 v5, s9
	v_add_nc_u32_e64 v6, 0x88, s9
	v_add_nc_u32_e64 v7, 0x74, s9
	s_add_i32 s9, s9, 4
	s_clause 0x1
	buffer_load_dword v5, v5, s[0:3], 0 offen
	buffer_load_dword v6, v6, s[0:3], 0 offen
	s_cmp_lg_u32 s9, 16
	s_waitcnt vmcnt(0)
	v_add_nc_u32_e32 v5, v6, v5
	buffer_store_dword v5, v7, s[0:3], 0 offen
	s_cbranch_scc1 .LBB2041_225
; %bb.226:
	s_clause 0x3
	buffer_load_dword v5, off, s[0:3], 0 offset:116
	buffer_load_dword v6, off, s[0:3], 0 offset:120
	;; [unrolled: 1-line block ×4, first 2 shown]
.LBB2041_227:
	s_or_b32 exec_lo, exec_lo, s4
	v_and_b32_e32 v24, 1, v24
	v_and_b32_e32 v25, 1, v26
	v_cmp_eq_u32_e32 vcc_lo, 1, v24
	v_cmp_eq_u32_e64 s4, 1, v25
	s_or_b32 s4, vcc_lo, s4
	v_cndmask_b32_e64 v24, 0, 1, s4
	s_waitcnt vmcnt(3)
	buffer_store_dword v5, off, s[0:3], 0 offset:136
	s_waitcnt vmcnt(2)
	buffer_store_dword v6, off, s[0:3], 0 offset:140
	;; [unrolled: 2-line block ×4, first 2 shown]
	buffer_store_byte v24, off, s[0:3], 0 offset:152
.LBB2041_228:
	s_or_b32 exec_lo, exec_lo, s8
	s_clause 0x4
	buffer_load_dword v5, off, s[0:3], 0 offset:148
	buffer_load_dword v6, off, s[0:3], 0 offset:144
	;; [unrolled: 1-line block ×5, first 2 shown]
	v_mov_b32_e32 v24, 0
	v_mov_b32_e32 v25, 2
	s_waitcnt vmcnt(4)
	buffer_store_dword v5, off, s[0:3], 0 offset:128
	s_waitcnt vmcnt(3)
	buffer_store_dword v6, off, s[0:3], 0 offset:124
	;; [unrolled: 2-line block ×5, first 2 shown]
	s_branch .LBB2041_232
.LBB2041_229:                           ;   in Loop: Header=BB2041_232 Depth=1
	s_clause 0x3
	buffer_load_dword v6, off, s[0:3], 0
	buffer_load_dword v8, off, s[0:3], 0 offset:4
	buffer_load_dword v26, off, s[0:3], 0 offset:8
	;; [unrolled: 1-line block ×3, first 2 shown]
.LBB2041_230:                           ;   in Loop: Header=BB2041_232 Depth=1
	s_or_b32 exec_lo, exec_lo, s8
	v_and_b32_e32 v5, 1, v5
	v_subrev_nc_u32_e32 v12, 32, v12
	s_waitcnt vmcnt(3)
	buffer_store_dword v6, off, s[0:3], 0 offset:116
	s_waitcnt vmcnt(2)
	buffer_store_dword v8, off, s[0:3], 0 offset:120
	;; [unrolled: 2-line block ×4, first 2 shown]
	v_cmp_eq_u32_e32 vcc_lo, 1, v5
	s_or_b32 s4, vcc_lo, s4
	v_cndmask_b32_e64 v5, 0, 1, s4
	s_mov_b32 s4, 0
	buffer_store_byte v5, off, s[0:3], 0 offset:132
.LBB2041_231:                           ;   in Loop: Header=BB2041_232 Depth=1
	s_and_b32 vcc_lo, exec_lo, s4
	s_cbranch_vccnz .LBB2041_289
.LBB2041_232:                           ; =>This Loop Header: Depth=1
                                        ;     Child Loop BB2041_234 Depth 2
                                        ;     Child Loop BB2041_237 Depth 2
	;; [unrolled: 1-line block ×15, first 2 shown]
	v_cmp_ne_u16_sdwa s4, v13, v25 src0_sel:BYTE_0 src1_sel:DWORD
                                        ; implicit-def: $vgpr13
	s_cmp_lg_u32 s4, exec_lo
	s_mov_b32 s4, -1
	s_cbranch_scc1 .LBB2041_231
; %bb.233:                              ;   in Loop: Header=BB2041_232 Depth=1
	s_mov_b32 s4, 0
	buffer_store_dword v24, off, s[0:3], 0 offset:108
	buffer_store_dword v24, off, s[0:3], 0 offset:104
	buffer_store_dword v24, off, s[0:3], 0 offset:100
	buffer_store_dword v24, off, s[0:3], 0 offset:96
	buffer_store_dword v24, off, s[0:3], 0 offset:112
.LBB2041_234:                           ;   Parent Loop BB2041_232 Depth=1
                                        ; =>  This Inner Loop Header: Depth=2
	v_add_nc_u32_e64 v5, 0x60, s4
	s_add_i32 s4, s4, 4
	s_cmp_lg_u32 s4, 16
	buffer_store_dword v24, v5, s[0:3], 0 offen
	s_cbranch_scc1 .LBB2041_234
; %bb.235:                              ;   in Loop: Header=BB2041_232 Depth=1
	buffer_store_byte v24, off, s[0:3], 0 offset:112
	global_load_ubyte v13, v12, s[16:17] glc dlc
	s_mov_b32 s4, exec_lo
	s_waitcnt vmcnt(0)
	v_cmpx_eq_u16_e32 0, v13
	s_cbranch_execz .LBB2041_239
; %bb.236:                              ;   in Loop: Header=BB2041_232 Depth=1
	v_add_co_u32 v5, s8, s16, v12
	v_add_co_ci_u32_e64 v6, null, s17, 0, s8
	s_mov_b32 s8, 0
.LBB2041_237:                           ;   Parent Loop BB2041_232 Depth=1
                                        ; =>  This Inner Loop Header: Depth=2
	global_load_ubyte v13, v[5:6], off glc dlc
	s_waitcnt vmcnt(0)
	v_cmp_ne_u16_e32 vcc_lo, 0, v13
	s_or_b32 s8, vcc_lo, s8
	s_andn2_b32 exec_lo, exec_lo, s8
	s_cbranch_execnz .LBB2041_237
; %bb.238:                              ;   in Loop: Header=BB2041_232 Depth=1
	s_or_b32 exec_lo, exec_lo, s8
.LBB2041_239:                           ;   in Loop: Header=BB2041_232 Depth=1
	s_or_b32 exec_lo, exec_lo, s4
	v_mov_b32_e32 v5, s13
	v_mov_b32_e32 v7, s12
	v_cmp_eq_u16_e32 vcc_lo, 1, v13
	s_waitcnt_vscnt null, 0x0
	buffer_gl1_inv
	buffer_gl0_inv
	s_mov_b32 s4, 0
	v_cndmask_b32_e32 v6, s15, v5, vcc_lo
	v_cndmask_b32_e32 v5, s14, v7, vcc_lo
	v_mad_u64_u32 v[26:27], null, v12, 20, v[5:6]
	s_clause 0x1
	global_load_dwordx4 v[5:8], v[26:27], off
	global_load_ubyte v26, v[26:27], off offset:16
	s_waitcnt vmcnt(1)
	buffer_store_dword v6, off, s[0:3], 0 offset:100
	buffer_store_dword v5, off, s[0:3], 0 offset:96
	;; [unrolled: 1-line block ×8, first 2 shown]
	s_waitcnt vmcnt(0)
	buffer_store_byte v26, off, s[0:3], 0 offset:152
	buffer_store_dword v24, off, s[0:3], 0 offset:16
.LBB2041_240:                           ;   Parent Loop BB2041_232 Depth=1
                                        ; =>  This Inner Loop Header: Depth=2
	v_mov_b32_e32 v26, s4
	s_add_i32 s4, s4, 4
	s_cmp_lg_u32 s4, 16
	buffer_store_dword v24, v26, s[0:3], 0 offen
	s_cbranch_scc1 .LBB2041_240
; %bb.241:                              ;   in Loop: Header=BB2041_232 Depth=1
	buffer_load_dword v27, off, s[0:3], 0 offset:152
	ds_bpermute_b32 v29, v14, v5
	ds_bpermute_b32 v30, v14, v6
	;; [unrolled: 1-line block ×4, first 2 shown]
	v_cmp_eq_u16_e32 vcc_lo, 2, v13
	s_mov_b32 s4, exec_lo
	s_waitcnt lgkmcnt(3)
	buffer_store_dword v29, off, s[0:3], 0
	s_waitcnt lgkmcnt(2)
	buffer_store_dword v30, off, s[0:3], 0 offset:4
	s_waitcnt lgkmcnt(1)
	buffer_store_dword v31, off, s[0:3], 0 offset:8
	;; [unrolled: 2-line block ×3, first 2 shown]
	v_and_or_b32 v26, vcc_lo, v15, 0x80000000
	v_ffbl_b32_e32 v26, v26
	s_waitcnt vmcnt(0)
	ds_bpermute_b32 v28, v14, v27
	v_cmpx_lt_u32_e64 v10, v26
	s_cbranch_execz .LBB2041_249
; %bb.242:                              ;   in Loop: Header=BB2041_232 Depth=1
	v_cmp_eq_u16_sdwa s9, v27, v24 src0_sel:BYTE_0 src1_sel:DWORD
	s_and_saveexec_b32 s8, s9
	s_cbranch_execz .LBB2041_248
; %bb.243:                              ;   in Loop: Header=BB2041_232 Depth=1
	s_mov_b32 s9, 0
.LBB2041_244:                           ;   Parent Loop BB2041_232 Depth=1
                                        ; =>  This Inner Loop Header: Depth=2
	v_add_nc_u32_e64 v5, 0x50, s9
	s_add_i32 s9, s9, 4
	s_cmp_lg_u32 s9, 16
	buffer_store_dword v24, v5, s[0:3], 0 offen
	s_cbranch_scc1 .LBB2041_244
; %bb.245:                              ;   in Loop: Header=BB2041_232 Depth=1
	s_mov_b32 s9, 0
	.p2align	6
.LBB2041_246:                           ;   Parent Loop BB2041_232 Depth=1
                                        ; =>  This Inner Loop Header: Depth=2
	v_mov_b32_e32 v5, s9
	v_add_nc_u32_e64 v6, 0x88, s9
	v_add_nc_u32_e64 v7, 0x50, s9
	s_add_i32 s9, s9, 4
	s_clause 0x1
	buffer_load_dword v5, v5, s[0:3], 0 offen
	buffer_load_dword v6, v6, s[0:3], 0 offen
	s_cmp_lg_u32 s9, 16
	s_waitcnt vmcnt(0)
	v_add_nc_u32_e32 v5, v6, v5
	buffer_store_dword v5, v7, s[0:3], 0 offen
	s_cbranch_scc1 .LBB2041_246
; %bb.247:                              ;   in Loop: Header=BB2041_232 Depth=1
	s_clause 0x3
	buffer_load_dword v5, off, s[0:3], 0 offset:80
	buffer_load_dword v6, off, s[0:3], 0 offset:84
	;; [unrolled: 1-line block ×4, first 2 shown]
.LBB2041_248:                           ;   in Loop: Header=BB2041_232 Depth=1
	s_or_b32 exec_lo, exec_lo, s8
	s_waitcnt lgkmcnt(0)
	v_or_b32_e32 v27, v28, v27
	v_and_b32_e32 v27, 1, v27
	buffer_store_byte v27, off, s[0:3], 0 offset:152
	buffer_load_dword v27, off, s[0:3], 0 offset:152
	s_waitcnt vmcnt(4)
	buffer_store_dword v5, off, s[0:3], 0 offset:136
	s_waitcnt vmcnt(3)
	buffer_store_dword v6, off, s[0:3], 0 offset:140
	;; [unrolled: 2-line block ×4, first 2 shown]
.LBB2041_249:                           ;   in Loop: Header=BB2041_232 Depth=1
	s_or_b32 exec_lo, exec_lo, s4
	ds_bpermute_b32 v29, v16, v5
	s_waitcnt vmcnt(0) lgkmcnt(1)
	ds_bpermute_b32 v28, v16, v27
	ds_bpermute_b32 v30, v16, v6
	;; [unrolled: 1-line block ×4, first 2 shown]
	s_mov_b32 s8, exec_lo
	s_waitcnt lgkmcnt(4)
	buffer_store_dword v29, off, s[0:3], 0
	s_waitcnt lgkmcnt(2)
	buffer_store_dword v30, off, s[0:3], 0 offset:4
	s_waitcnt lgkmcnt(1)
	buffer_store_dword v31, off, s[0:3], 0 offset:8
	;; [unrolled: 2-line block ×3, first 2 shown]
	v_cmpx_le_u32_e64 v17, v26
	s_cbranch_execz .LBB2041_257
; %bb.250:                              ;   in Loop: Header=BB2041_232 Depth=1
	v_cmp_eq_u16_sdwa s9, v27, v24 src0_sel:BYTE_0 src1_sel:DWORD
	s_and_saveexec_b32 s4, s9
	s_cbranch_execz .LBB2041_256
; %bb.251:                              ;   in Loop: Header=BB2041_232 Depth=1
	s_mov_b32 s9, 0
.LBB2041_252:                           ;   Parent Loop BB2041_232 Depth=1
                                        ; =>  This Inner Loop Header: Depth=2
	v_add_nc_u32_e64 v5, 0x50, s9
	s_add_i32 s9, s9, 4
	s_cmp_lg_u32 s9, 16
	buffer_store_dword v24, v5, s[0:3], 0 offen
	s_cbranch_scc1 .LBB2041_252
; %bb.253:                              ;   in Loop: Header=BB2041_232 Depth=1
	s_mov_b32 s9, 0
	.p2align	6
.LBB2041_254:                           ;   Parent Loop BB2041_232 Depth=1
                                        ; =>  This Inner Loop Header: Depth=2
	v_mov_b32_e32 v5, s9
	v_add_nc_u32_e64 v6, 0x88, s9
	v_add_nc_u32_e64 v7, 0x50, s9
	s_add_i32 s9, s9, 4
	s_clause 0x1
	buffer_load_dword v5, v5, s[0:3], 0 offen
	buffer_load_dword v6, v6, s[0:3], 0 offen
	s_cmp_lg_u32 s9, 16
	s_waitcnt vmcnt(0)
	v_add_nc_u32_e32 v5, v6, v5
	buffer_store_dword v5, v7, s[0:3], 0 offen
	s_cbranch_scc1 .LBB2041_254
; %bb.255:                              ;   in Loop: Header=BB2041_232 Depth=1
	s_clause 0x3
	buffer_load_dword v5, off, s[0:3], 0 offset:80
	buffer_load_dword v6, off, s[0:3], 0 offset:84
	;; [unrolled: 1-line block ×4, first 2 shown]
.LBB2041_256:                           ;   in Loop: Header=BB2041_232 Depth=1
	s_or_b32 exec_lo, exec_lo, s4
	v_and_b32_e32 v27, 1, v27
	v_and_b32_e32 v28, 1, v28
	v_cmp_eq_u32_e32 vcc_lo, 1, v27
	v_cmp_eq_u32_e64 s4, 1, v28
	s_or_b32 s4, vcc_lo, s4
	v_cndmask_b32_e64 v27, 0, 1, s4
	buffer_store_byte v27, off, s[0:3], 0 offset:152
	buffer_load_dword v27, off, s[0:3], 0 offset:152
	s_waitcnt vmcnt(4)
	buffer_store_dword v5, off, s[0:3], 0 offset:136
	s_waitcnt vmcnt(3)
	buffer_store_dword v6, off, s[0:3], 0 offset:140
	;; [unrolled: 2-line block ×4, first 2 shown]
.LBB2041_257:                           ;   in Loop: Header=BB2041_232 Depth=1
	s_or_b32 exec_lo, exec_lo, s8
	ds_bpermute_b32 v29, v18, v5
	s_waitcnt vmcnt(0)
	ds_bpermute_b32 v28, v18, v27
	ds_bpermute_b32 v30, v18, v6
	;; [unrolled: 1-line block ×4, first 2 shown]
	s_mov_b32 s8, exec_lo
	s_waitcnt lgkmcnt(4)
	buffer_store_dword v29, off, s[0:3], 0
	s_waitcnt lgkmcnt(2)
	buffer_store_dword v30, off, s[0:3], 0 offset:4
	s_waitcnt lgkmcnt(1)
	buffer_store_dword v31, off, s[0:3], 0 offset:8
	;; [unrolled: 2-line block ×3, first 2 shown]
	v_cmpx_le_u32_e64 v19, v26
	s_cbranch_execz .LBB2041_265
; %bb.258:                              ;   in Loop: Header=BB2041_232 Depth=1
	v_cmp_eq_u16_sdwa s9, v27, v24 src0_sel:BYTE_0 src1_sel:DWORD
	s_and_saveexec_b32 s4, s9
	s_cbranch_execz .LBB2041_264
; %bb.259:                              ;   in Loop: Header=BB2041_232 Depth=1
	s_mov_b32 s9, 0
.LBB2041_260:                           ;   Parent Loop BB2041_232 Depth=1
                                        ; =>  This Inner Loop Header: Depth=2
	v_add_nc_u32_e64 v5, 0x50, s9
	s_add_i32 s9, s9, 4
	s_cmp_lg_u32 s9, 16
	buffer_store_dword v24, v5, s[0:3], 0 offen
	s_cbranch_scc1 .LBB2041_260
; %bb.261:                              ;   in Loop: Header=BB2041_232 Depth=1
	s_mov_b32 s9, 0
	.p2align	6
.LBB2041_262:                           ;   Parent Loop BB2041_232 Depth=1
                                        ; =>  This Inner Loop Header: Depth=2
	v_mov_b32_e32 v5, s9
	v_add_nc_u32_e64 v6, 0x88, s9
	v_add_nc_u32_e64 v7, 0x50, s9
	s_add_i32 s9, s9, 4
	s_clause 0x1
	buffer_load_dword v5, v5, s[0:3], 0 offen
	buffer_load_dword v6, v6, s[0:3], 0 offen
	s_cmp_lg_u32 s9, 16
	s_waitcnt vmcnt(0)
	v_add_nc_u32_e32 v5, v6, v5
	buffer_store_dword v5, v7, s[0:3], 0 offen
	s_cbranch_scc1 .LBB2041_262
; %bb.263:                              ;   in Loop: Header=BB2041_232 Depth=1
	s_clause 0x3
	buffer_load_dword v5, off, s[0:3], 0 offset:80
	buffer_load_dword v6, off, s[0:3], 0 offset:84
	buffer_load_dword v7, off, s[0:3], 0 offset:88
	buffer_load_dword v8, off, s[0:3], 0 offset:92
.LBB2041_264:                           ;   in Loop: Header=BB2041_232 Depth=1
	s_or_b32 exec_lo, exec_lo, s4
	v_and_b32_e32 v27, 1, v27
	v_and_b32_e32 v28, 1, v28
	v_cmp_eq_u32_e32 vcc_lo, 1, v27
	v_cmp_eq_u32_e64 s4, 1, v28
	s_or_b32 s4, vcc_lo, s4
	v_cndmask_b32_e64 v27, 0, 1, s4
	buffer_store_byte v27, off, s[0:3], 0 offset:152
	buffer_load_dword v27, off, s[0:3], 0 offset:152
	s_waitcnt vmcnt(4)
	buffer_store_dword v5, off, s[0:3], 0 offset:136
	s_waitcnt vmcnt(3)
	buffer_store_dword v6, off, s[0:3], 0 offset:140
	;; [unrolled: 2-line block ×4, first 2 shown]
.LBB2041_265:                           ;   in Loop: Header=BB2041_232 Depth=1
	s_or_b32 exec_lo, exec_lo, s8
	ds_bpermute_b32 v29, v20, v5
	s_waitcnt vmcnt(0)
	ds_bpermute_b32 v28, v20, v27
	ds_bpermute_b32 v30, v20, v6
	;; [unrolled: 1-line block ×4, first 2 shown]
	s_mov_b32 s8, exec_lo
	s_waitcnt lgkmcnt(4)
	buffer_store_dword v29, off, s[0:3], 0
	s_waitcnt lgkmcnt(2)
	buffer_store_dword v30, off, s[0:3], 0 offset:4
	s_waitcnt lgkmcnt(1)
	buffer_store_dword v31, off, s[0:3], 0 offset:8
	;; [unrolled: 2-line block ×3, first 2 shown]
	v_cmpx_le_u32_e64 v21, v26
	s_cbranch_execz .LBB2041_273
; %bb.266:                              ;   in Loop: Header=BB2041_232 Depth=1
	v_cmp_eq_u16_sdwa s9, v27, v24 src0_sel:BYTE_0 src1_sel:DWORD
	s_and_saveexec_b32 s4, s9
	s_cbranch_execz .LBB2041_272
; %bb.267:                              ;   in Loop: Header=BB2041_232 Depth=1
	s_mov_b32 s9, 0
.LBB2041_268:                           ;   Parent Loop BB2041_232 Depth=1
                                        ; =>  This Inner Loop Header: Depth=2
	v_add_nc_u32_e64 v5, 0x50, s9
	s_add_i32 s9, s9, 4
	s_cmp_lg_u32 s9, 16
	buffer_store_dword v24, v5, s[0:3], 0 offen
	s_cbranch_scc1 .LBB2041_268
; %bb.269:                              ;   in Loop: Header=BB2041_232 Depth=1
	s_mov_b32 s9, 0
	.p2align	6
.LBB2041_270:                           ;   Parent Loop BB2041_232 Depth=1
                                        ; =>  This Inner Loop Header: Depth=2
	v_mov_b32_e32 v5, s9
	v_add_nc_u32_e64 v6, 0x88, s9
	v_add_nc_u32_e64 v7, 0x50, s9
	s_add_i32 s9, s9, 4
	s_clause 0x1
	buffer_load_dword v5, v5, s[0:3], 0 offen
	buffer_load_dword v6, v6, s[0:3], 0 offen
	s_cmp_lg_u32 s9, 16
	s_waitcnt vmcnt(0)
	v_add_nc_u32_e32 v5, v6, v5
	buffer_store_dword v5, v7, s[0:3], 0 offen
	s_cbranch_scc1 .LBB2041_270
; %bb.271:                              ;   in Loop: Header=BB2041_232 Depth=1
	s_clause 0x3
	buffer_load_dword v5, off, s[0:3], 0 offset:80
	buffer_load_dword v6, off, s[0:3], 0 offset:84
	;; [unrolled: 1-line block ×4, first 2 shown]
.LBB2041_272:                           ;   in Loop: Header=BB2041_232 Depth=1
	s_or_b32 exec_lo, exec_lo, s4
	v_and_b32_e32 v27, 1, v27
	v_and_b32_e32 v28, 1, v28
	v_cmp_eq_u32_e32 vcc_lo, 1, v27
	v_cmp_eq_u32_e64 s4, 1, v28
	s_or_b32 s4, vcc_lo, s4
	v_cndmask_b32_e64 v27, 0, 1, s4
	buffer_store_byte v27, off, s[0:3], 0 offset:152
	buffer_load_dword v27, off, s[0:3], 0 offset:152
	s_waitcnt vmcnt(4)
	buffer_store_dword v5, off, s[0:3], 0 offset:136
	s_waitcnt vmcnt(3)
	buffer_store_dword v6, off, s[0:3], 0 offset:140
	;; [unrolled: 2-line block ×4, first 2 shown]
.LBB2041_273:                           ;   in Loop: Header=BB2041_232 Depth=1
	s_or_b32 exec_lo, exec_lo, s8
	ds_bpermute_b32 v29, v22, v5
	s_waitcnt vmcnt(0)
	ds_bpermute_b32 v28, v22, v27
	ds_bpermute_b32 v30, v22, v6
	;; [unrolled: 1-line block ×4, first 2 shown]
	v_and_b32_e32 v33, 1, v27
	s_mov_b32 s8, exec_lo
	s_waitcnt lgkmcnt(4)
	buffer_store_dword v29, off, s[0:3], 0
	s_waitcnt lgkmcnt(2)
	buffer_store_dword v30, off, s[0:3], 0 offset:4
	s_waitcnt lgkmcnt(1)
	buffer_store_dword v31, off, s[0:3], 0 offset:8
	;; [unrolled: 2-line block ×3, first 2 shown]
	v_cmp_eq_u32_e64 s4, 1, v33
	v_cmpx_le_u32_e64 v23, v26
	s_cbranch_execz .LBB2041_281
; %bb.274:                              ;   in Loop: Header=BB2041_232 Depth=1
	v_cmp_eq_u16_sdwa s22, v27, v24 src0_sel:BYTE_0 src1_sel:DWORD
	s_and_saveexec_b32 s9, s22
	s_cbranch_execz .LBB2041_280
; %bb.275:                              ;   in Loop: Header=BB2041_232 Depth=1
	s_mov_b32 s22, 0
.LBB2041_276:                           ;   Parent Loop BB2041_232 Depth=1
                                        ; =>  This Inner Loop Header: Depth=2
	v_add_nc_u32_e64 v5, 0x50, s22
	s_add_i32 s22, s22, 4
	s_cmp_lg_u32 s22, 16
	buffer_store_dword v24, v5, s[0:3], 0 offen
	s_cbranch_scc1 .LBB2041_276
; %bb.277:                              ;   in Loop: Header=BB2041_232 Depth=1
	s_mov_b32 s22, 0
	.p2align	6
.LBB2041_278:                           ;   Parent Loop BB2041_232 Depth=1
                                        ; =>  This Inner Loop Header: Depth=2
	v_mov_b32_e32 v5, s22
	v_add_nc_u32_e64 v6, 0x88, s22
	v_add_nc_u32_e64 v7, 0x50, s22
	s_add_i32 s22, s22, 4
	s_clause 0x1
	buffer_load_dword v5, v5, s[0:3], 0 offen
	buffer_load_dword v6, v6, s[0:3], 0 offen
	s_cmp_lg_u32 s22, 16
	s_waitcnt vmcnt(0)
	v_add_nc_u32_e32 v5, v6, v5
	buffer_store_dword v5, v7, s[0:3], 0 offen
	s_cbranch_scc1 .LBB2041_278
; %bb.279:                              ;   in Loop: Header=BB2041_232 Depth=1
	s_clause 0x3
	buffer_load_dword v5, off, s[0:3], 0 offset:80
	buffer_load_dword v6, off, s[0:3], 0 offset:84
	;; [unrolled: 1-line block ×4, first 2 shown]
.LBB2041_280:                           ;   in Loop: Header=BB2041_232 Depth=1
	s_or_b32 exec_lo, exec_lo, s9
	v_and_b32_e32 v26, 1, v28
	s_waitcnt vmcnt(3)
	buffer_store_dword v5, off, s[0:3], 0 offset:136
	s_waitcnt vmcnt(2)
	buffer_store_dword v6, off, s[0:3], 0 offset:140
	;; [unrolled: 2-line block ×4, first 2 shown]
	v_cmp_eq_u32_e32 vcc_lo, 1, v26
	s_or_b32 s9, s4, vcc_lo
	s_andn2_b32 s4, s4, exec_lo
	v_cndmask_b32_e64 v5, 0, 1, s9
	s_and_b32 s9, s9, exec_lo
	s_or_b32 s4, s4, s9
	buffer_store_byte v5, off, s[0:3], 0 offset:152
.LBB2041_281:                           ;   in Loop: Header=BB2041_232 Depth=1
	s_or_b32 exec_lo, exec_lo, s8
	buffer_load_ubyte v5, off, s[0:3], 0 offset:132
	s_mov_b32 s8, exec_lo
                                        ; implicit-def: $vgpr7
                                        ; implicit-def: $vgpr6
                                        ; implicit-def: $vgpr8
                                        ; implicit-def: $vgpr26
	s_waitcnt vmcnt(0)
	v_cmpx_ne_u16_e32 0, v5
	s_xor_b32 s8, exec_lo, s8
	s_cbranch_execz .LBB2041_283
; %bb.282:                              ;   in Loop: Header=BB2041_232 Depth=1
	s_clause 0x3
	buffer_load_dword v6, off, s[0:3], 0 offset:116
	buffer_load_dword v8, off, s[0:3], 0 offset:120
	buffer_load_dword v26, off, s[0:3], 0 offset:124
	buffer_load_dword v7, off, s[0:3], 0 offset:128
.LBB2041_283:                           ;   in Loop: Header=BB2041_232 Depth=1
	s_andn2_saveexec_b32 s8, s8
	s_cbranch_execz .LBB2041_230
; %bb.284:                              ;   in Loop: Header=BB2041_232 Depth=1
	s_mov_b32 s9, 0
.LBB2041_285:                           ;   Parent Loop BB2041_232 Depth=1
                                        ; =>  This Inner Loop Header: Depth=2
	s_waitcnt vmcnt(3)
	v_mov_b32_e32 v6, s9
	s_add_i32 s9, s9, 4
	s_cmp_lg_u32 s9, 16
	buffer_store_dword v24, v6, s[0:3], 0 offen
	s_cbranch_scc1 .LBB2041_285
; %bb.286:                              ;   in Loop: Header=BB2041_232 Depth=1
	s_mov_b32 s9, 0
	.p2align	6
.LBB2041_287:                           ;   Parent Loop BB2041_232 Depth=1
                                        ; =>  This Inner Loop Header: Depth=2
	v_add_nc_u32_e64 v6, 0x88, s9
	s_waitcnt vmcnt(0)
	v_add_nc_u32_e64 v7, 0x74, s9
	v_mov_b32_e32 v8, s9
	s_add_i32 s9, s9, 4
	s_clause 0x1
	buffer_load_dword v6, v6, s[0:3], 0 offen
	buffer_load_dword v7, v7, s[0:3], 0 offen
	s_cmp_lg_u32 s9, 16
	s_waitcnt vmcnt(0)
	v_add_nc_u32_e32 v6, v7, v6
	buffer_store_dword v6, v8, s[0:3], 0 offen
	s_cbranch_scc1 .LBB2041_287
	s_branch .LBB2041_229
.LBB2041_288:
	s_cbranch_execnz .LBB2041_349
	s_branch .LBB2041_520
.LBB2041_289:
	s_clause 0x4
	buffer_load_dword v5, off, s[0:3], 0 offset:116
	buffer_load_dword v6, off, s[0:3], 0 offset:120
	;; [unrolled: 1-line block ×5, first 2 shown]
	s_waitcnt vmcnt(4)
	buffer_store_dword v5, off, s[0:3], 0
	s_waitcnt vmcnt(3)
	buffer_store_dword v6, off, s[0:3], 0 offset:4
	s_waitcnt vmcnt(2)
	buffer_store_dword v7, off, s[0:3], 0 offset:8
	;; [unrolled: 2-line block ×4, first 2 shown]
	s_and_saveexec_b32 s4, s7
	s_cbranch_execz .LBB2041_296
; %bb.290:
	v_mov_b32_e32 v12, 0
	v_cmp_ne_u32_sdwa s7, v11, v12 src0_sel:BYTE_0 src1_sel:DWORD
	s_and_b32 vcc_lo, exec_lo, s7
	s_mov_b32 s7, 0
	s_cbranch_vccnz .LBB2041_295
.LBB2041_291:                           ; =>This Inner Loop Header: Depth=1
	v_add_nc_u32_e64 v1, 0x60, s7
	s_add_i32 s7, s7, 4
	s_cmp_lg_u32 s7, 16
	buffer_store_dword v12, v1, s[0:3], 0 offen
	s_cbranch_scc1 .LBB2041_291
; %bb.292:
	s_mov_b32 s7, 0
	.p2align	6
.LBB2041_293:                           ; =>This Inner Loop Header: Depth=1
	v_mov_b32_e32 v1, s7
	v_add_nc_u32_e64 v2, 0x9c, s7
	v_add_nc_u32_e64 v3, 0x60, s7
	s_add_i32 s7, s7, 4
	s_clause 0x1
	buffer_load_dword v1, v1, s[0:3], 0 offen
	buffer_load_dword v2, v2, s[0:3], 0 offen
	s_cmp_lg_u32 s7, 16
	s_waitcnt vmcnt(0)
	v_add_nc_u32_e32 v1, v2, v1
	buffer_store_dword v1, v3, s[0:3], 0 offen
	s_cbranch_scc1 .LBB2041_293
; %bb.294:
	s_clause 0x3
	buffer_load_dword v1, off, s[0:3], 0 offset:96
	buffer_load_dword v2, off, s[0:3], 0 offset:100
	;; [unrolled: 1-line block ×4, first 2 shown]
.LBB2041_295:
	v_or_b32_e32 v11, v11, v10
	s_add_i32 s8, s6, 32
	v_mov_b32_e32 v12, 0
	s_mul_i32 s6, s8, 20
	v_mov_b32_e32 v13, 2
	v_mov_b32_e32 v14, s8
	s_mul_hi_u32 s7, s8, 20
	v_and_b32_e32 v11, 1, v11
	s_add_u32 s6, s14, s6
	s_addc_u32 s7, s15, s7
	s_waitcnt vmcnt(0)
	global_store_dwordx4 v12, v[1:4], s[6:7]
	global_store_byte v12, v11, s[6:7] offset:16
	s_waitcnt_vscnt null, 0x0
	buffer_gl1_inv
	buffer_gl0_inv
	global_store_byte v14, v13, s[16:17]
.LBB2041_296:
	s_or_b32 exec_lo, exec_lo, s4
	v_cmp_eq_u32_e32 vcc_lo, 0, v0
	s_and_b32 exec_lo, exec_lo, vcc_lo
	s_cbranch_execz .LBB2041_298
; %bb.297:
	v_mov_b32_e32 v1, 0
	ds_write2_b32 v1, v5, v6 offset0:35 offset1:36
	ds_write2_b32 v1, v7, v8 offset0:37 offset1:38
	ds_write_b8 v1, v10 offset:156
.LBB2041_298:
	s_or_b32 exec_lo, exec_lo, s5
	s_waitcnt lgkmcnt(0)
	s_waitcnt_vscnt null, 0x0
	s_barrier
	buffer_gl0_inv
	buffer_load_ubyte v1, off, s[0:3], 0 offset:224
	v_mov_b32_e32 v3, 0
	ds_read2_b32 v[4:5], v3 offset0:35 offset1:36
	ds_read2_b32 v[6:7], v3 offset0:37 offset1:38
	ds_read_b32 v2, v3 offset:156
	s_mov_b32 s4, exec_lo
	s_waitcnt lgkmcnt(2)
	buffer_store_dword v4, off, s[0:3], 0
	buffer_store_dword v5, off, s[0:3], 0 offset:4
	s_waitcnt lgkmcnt(1)
	buffer_store_dword v6, off, s[0:3], 0 offset:8
	buffer_store_dword v7, off, s[0:3], 0 offset:12
	s_waitcnt lgkmcnt(0)
	buffer_store_dword v2, off, s[0:3], 0 offset:16
	v_cmpx_ne_u32_e32 0, v0
	s_cbranch_execz .LBB2041_308
; %bb.299:
	s_waitcnt vmcnt(0)
	v_cmp_ne_u16_sdwa s5, v1, v3 src0_sel:BYTE_0 src1_sel:DWORD
                                        ; implicit-def: $vgpr4
                                        ; implicit-def: $vgpr3
                                        ; implicit-def: $vgpr5
                                        ; implicit-def: $vgpr6
	s_and_saveexec_b32 s6, s5
	s_xor_b32 s5, exec_lo, s6
	s_cbranch_execz .LBB2041_301
; %bb.300:
	s_clause 0x3
	buffer_load_dword v3, off, s[0:3], 0 offset:208
	buffer_load_dword v5, off, s[0:3], 0 offset:212
	;; [unrolled: 1-line block ×4, first 2 shown]
.LBB2041_301:
	s_andn2_saveexec_b32 s5, s5
	s_cbranch_execz .LBB2041_307
; %bb.302:
	s_waitcnt vmcnt(3)
	v_mov_b32_e32 v3, 0
	s_mov_b32 s6, 0
.LBB2041_303:                           ; =>This Inner Loop Header: Depth=1
	s_waitcnt vmcnt(0)
	v_add_nc_u32_e64 v4, 0x60, s6
	s_add_i32 s6, s6, 4
	s_cmp_lg_u32 s6, 16
	buffer_store_dword v3, v4, s[0:3], 0 offen
	s_cbranch_scc1 .LBB2041_303
; %bb.304:
	s_mov_b32 s6, 0
	.p2align	6
.LBB2041_305:                           ; =>This Inner Loop Header: Depth=1
	v_add_nc_u32_e64 v3, 0xb0, s6
	v_add_nc_u32_e64 v4, 0xd0, s6
	;; [unrolled: 1-line block ×3, first 2 shown]
	s_add_i32 s6, s6, 4
	s_clause 0x1
	buffer_load_dword v3, v3, s[0:3], 0 offen
	buffer_load_dword v4, v4, s[0:3], 0 offen
	s_cmp_lg_u32 s6, 16
	s_waitcnt vmcnt(0)
	v_add_nc_u32_e32 v3, v4, v3
	buffer_store_dword v3, v5, s[0:3], 0 offen
	s_cbranch_scc1 .LBB2041_305
; %bb.306:
	s_clause 0x3
	buffer_load_dword v3, off, s[0:3], 0 offset:96
	buffer_load_dword v5, off, s[0:3], 0 offset:100
	;; [unrolled: 1-line block ×4, first 2 shown]
.LBB2041_307:
	s_or_b32 exec_lo, exec_lo, s5
	buffer_load_ubyte v7, off, s[0:3], 0 offset:192
	s_waitcnt vmcnt(4)
	buffer_store_dword v3, off, s[0:3], 0 offset:208
	s_waitcnt vmcnt(3)
	buffer_store_dword v5, off, s[0:3], 0 offset:212
	;; [unrolled: 2-line block ×4, first 2 shown]
	s_waitcnt vmcnt(0)
	v_or_b32_e32 v1, v1, v7
	v_and_b32_e32 v1, 1, v1
.LBB2041_308:
	s_or_b32 exec_lo, exec_lo, s4
	v_mov_b32_e32 v3, 0
                                        ; implicit-def: $vgpr5
                                        ; implicit-def: $vgpr4
                                        ; implicit-def: $vgpr6
                                        ; implicit-def: $vgpr7
	s_waitcnt vmcnt(0)
	v_cmp_ne_u16_sdwa s4, v1, v3 src0_sel:BYTE_0 src1_sel:DWORD
	s_and_saveexec_b32 s5, s4
	s_xor_b32 s4, exec_lo, s5
	s_cbranch_execz .LBB2041_310
; %bb.309:
	s_clause 0x3
	buffer_load_dword v4, off, s[0:3], 0 offset:208
	buffer_load_dword v6, off, s[0:3], 0 offset:212
	;; [unrolled: 1-line block ×4, first 2 shown]
.LBB2041_310:
	s_andn2_saveexec_b32 s4, s4
	s_cbranch_execz .LBB2041_316
; %bb.311:
	v_mov_b32_e32 v3, 0
	s_mov_b32 s5, 0
.LBB2041_312:                           ; =>This Inner Loop Header: Depth=1
	s_waitcnt vmcnt(3)
	v_add_nc_u32_e64 v4, 0x60, s5
	s_add_i32 s5, s5, 4
	s_cmp_lg_u32 s5, 16
	buffer_store_dword v3, v4, s[0:3], 0 offen
	s_cbranch_scc1 .LBB2041_312
; %bb.313:
	s_mov_b32 s5, 0
	.p2align	6
.LBB2041_314:                           ; =>This Inner Loop Header: Depth=1
	v_mov_b32_e32 v3, s5
	v_add_nc_u32_e64 v4, 0xd0, s5
	s_waitcnt vmcnt(0)
	v_add_nc_u32_e64 v5, 0x60, s5
	s_add_i32 s5, s5, 4
	s_clause 0x1
	buffer_load_dword v3, v3, s[0:3], 0 offen
	buffer_load_dword v4, v4, s[0:3], 0 offen
	s_cmp_lg_u32 s5, 16
	s_waitcnt vmcnt(0)
	v_add_nc_u32_e32 v3, v4, v3
	buffer_store_dword v3, v5, s[0:3], 0 offen
	s_cbranch_scc1 .LBB2041_314
; %bb.315:
	s_clause 0x3
	buffer_load_dword v4, off, s[0:3], 0 offset:96
	buffer_load_dword v6, off, s[0:3], 0 offset:100
	;; [unrolled: 1-line block ×4, first 2 shown]
.LBB2041_316:
	s_or_b32 exec_lo, exec_lo, s4
	buffer_load_ubyte v3, off, s[0:3], 0 offset:244
	v_or_b32_e32 v1, v1, v2
	s_waitcnt vmcnt(4)
	buffer_store_dword v4, off, s[0:3], 0 offset:208
                                        ; implicit-def: $vgpr4
                                        ; implicit-def: $vgpr2
	v_and_b32_e32 v1, 1, v1
	s_waitcnt vmcnt(3)
	buffer_store_dword v6, off, s[0:3], 0 offset:212
	s_waitcnt vmcnt(2)
	buffer_store_dword v7, off, s[0:3], 0 offset:216
	;; [unrolled: 2-line block ×3, first 2 shown]
	buffer_store_byte v1, off, s[0:3], 0 offset:224
                                        ; implicit-def: $vgpr5
                                        ; implicit-def: $vgpr6
	v_cmp_eq_u32_e32 vcc_lo, 1, v1
	s_waitcnt vmcnt(0)
	v_cmp_ne_u16_e64 s4, 0, v3
	s_and_saveexec_b32 s5, s4
	s_xor_b32 s4, exec_lo, s5
	s_cbranch_execz .LBB2041_318
; %bb.317:
	s_clause 0x3
	buffer_load_dword v2, off, s[0:3], 0 offset:228
	buffer_load_dword v5, off, s[0:3], 0 offset:232
	;; [unrolled: 1-line block ×4, first 2 shown]
.LBB2041_318:
	s_andn2_saveexec_b32 s4, s4
	s_cbranch_execz .LBB2041_324
; %bb.319:
	v_mov_b32_e32 v1, 0
	s_mov_b32 s5, 0
.LBB2041_320:                           ; =>This Inner Loop Header: Depth=1
	s_waitcnt vmcnt(3)
	v_add_nc_u32_e64 v2, 0x60, s5
	s_add_i32 s5, s5, 4
	s_cmp_lg_u32 s5, 16
	buffer_store_dword v1, v2, s[0:3], 0 offen
	s_cbranch_scc1 .LBB2041_320
; %bb.321:
	s_mov_b32 s5, 0
.LBB2041_322:                           ; =>This Inner Loop Header: Depth=1
	v_add_nc_u32_e64 v1, 0xd0, s5
	s_waitcnt vmcnt(0)
	v_add_nc_u32_e64 v4, 0x60, s5
	s_add_i32 s5, s5, 4
	s_clause 0x1
	buffer_load_dword v2, v1, s[0:3], 0 offen
	buffer_load_dword v1, v1, s[0:3], 0 offen offset:20
	s_cmp_lg_u32 s5, 16
	s_waitcnt vmcnt(0)
	v_add_nc_u32_e32 v1, v1, v2
	buffer_store_dword v1, v4, s[0:3], 0 offen
	s_cbranch_scc1 .LBB2041_322
; %bb.323:
	s_clause 0x3
	buffer_load_dword v2, off, s[0:3], 0 offset:96
	buffer_load_dword v5, off, s[0:3], 0 offset:100
	buffer_load_dword v6, off, s[0:3], 0 offset:104
	buffer_load_dword v4, off, s[0:3], 0 offset:108
.LBB2041_324:
	s_or_b32 exec_lo, exec_lo, s4
	buffer_load_ubyte v1, off, s[0:3], 0 offset:264
	v_and_b32_e32 v3, 1, v3
	s_mov_b32 s5, exec_lo
	v_cmp_eq_u32_e64 s4, 1, v3
	s_or_b32 s4, s4, vcc_lo
	v_cndmask_b32_e64 v3, 0, 1, s4
	s_waitcnt vmcnt(4)
	buffer_store_dword v2, off, s[0:3], 0 offset:228
	s_waitcnt vmcnt(3)
	buffer_store_dword v5, off, s[0:3], 0 offset:232
	;; [unrolled: 2-line block ×4, first 2 shown]
	buffer_store_byte v3, off, s[0:3], 0 offset:244
                                        ; implicit-def: $vgpr4
                                        ; implicit-def: $vgpr3
                                        ; implicit-def: $vgpr5
                                        ; implicit-def: $vgpr6
	s_waitcnt vmcnt(0)
	v_cmpx_ne_u16_e32 0, v1
	s_xor_b32 s5, exec_lo, s5
	s_cbranch_execz .LBB2041_326
; %bb.325:
	s_clause 0x3
	buffer_load_dword v3, off, s[0:3], 0 offset:248
	buffer_load_dword v5, off, s[0:3], 0 offset:252
	;; [unrolled: 1-line block ×4, first 2 shown]
.LBB2041_326:
	s_andn2_saveexec_b32 s5, s5
	s_cbranch_execz .LBB2041_332
; %bb.327:
	v_mov_b32_e32 v2, 0
	s_mov_b32 s6, 0
.LBB2041_328:                           ; =>This Inner Loop Header: Depth=1
	s_waitcnt vmcnt(3)
	v_add_nc_u32_e64 v3, 0x60, s6
	s_add_i32 s6, s6, 4
	s_cmp_lg_u32 s6, 16
	buffer_store_dword v2, v3, s[0:3], 0 offen
	s_cbranch_scc1 .LBB2041_328
; %bb.329:
	s_mov_b32 s6, 0
.LBB2041_330:                           ; =>This Inner Loop Header: Depth=1
	v_add_nc_u32_e64 v2, 0xd0, s6
	s_waitcnt vmcnt(0)
	v_add_nc_u32_e64 v4, 0x60, s6
	s_add_i32 s6, s6, 4
	s_clause 0x1
	buffer_load_dword v3, v2, s[0:3], 0 offen offset:20
	buffer_load_dword v2, v2, s[0:3], 0 offen offset:40
	s_cmp_lg_u32 s6, 16
	s_waitcnt vmcnt(0)
	v_add_nc_u32_e32 v2, v2, v3
	buffer_store_dword v2, v4, s[0:3], 0 offen
	s_cbranch_scc1 .LBB2041_330
; %bb.331:
	s_clause 0x3
	buffer_load_dword v3, off, s[0:3], 0 offset:96
	buffer_load_dword v5, off, s[0:3], 0 offset:100
	;; [unrolled: 1-line block ×4, first 2 shown]
.LBB2041_332:
	s_or_b32 exec_lo, exec_lo, s5
	buffer_load_ubyte v2, off, s[0:3], 0 offset:284
	v_and_b32_e32 v1, 1, v1
	s_mov_b32 s5, exec_lo
	v_cmp_eq_u32_e32 vcc_lo, 1, v1
	s_or_b32 s4, vcc_lo, s4
	v_cndmask_b32_e64 v1, 0, 1, s4
	s_waitcnt vmcnt(4)
	buffer_store_dword v3, off, s[0:3], 0 offset:248
	s_waitcnt vmcnt(3)
	buffer_store_dword v5, off, s[0:3], 0 offset:252
	;; [unrolled: 2-line block ×4, first 2 shown]
	buffer_store_byte v1, off, s[0:3], 0 offset:264
                                        ; implicit-def: $vgpr4
                                        ; implicit-def: $vgpr3
                                        ; implicit-def: $vgpr5
                                        ; implicit-def: $vgpr6
	s_waitcnt vmcnt(0)
	v_cmpx_ne_u16_e32 0, v2
	s_xor_b32 s5, exec_lo, s5
	s_cbranch_execz .LBB2041_334
; %bb.333:
	s_clause 0x3
	buffer_load_dword v3, off, s[0:3], 0 offset:268
	buffer_load_dword v5, off, s[0:3], 0 offset:272
	;; [unrolled: 1-line block ×4, first 2 shown]
.LBB2041_334:
	s_andn2_saveexec_b32 s5, s5
	s_cbranch_execz .LBB2041_340
; %bb.335:
	v_mov_b32_e32 v1, 0
	s_mov_b32 s6, 0
.LBB2041_336:                           ; =>This Inner Loop Header: Depth=1
	s_waitcnt vmcnt(3)
	v_add_nc_u32_e64 v3, 0x60, s6
	s_add_i32 s6, s6, 4
	s_cmp_lg_u32 s6, 16
	buffer_store_dword v1, v3, s[0:3], 0 offen
	s_cbranch_scc1 .LBB2041_336
; %bb.337:
	s_mov_b32 s6, 0
.LBB2041_338:                           ; =>This Inner Loop Header: Depth=1
	v_add_nc_u32_e64 v1, 0xd0, s6
	s_waitcnt vmcnt(0)
	v_add_nc_u32_e64 v4, 0x60, s6
	s_add_i32 s6, s6, 4
	s_clause 0x1
	buffer_load_dword v3, v1, s[0:3], 0 offen offset:40
	buffer_load_dword v1, v1, s[0:3], 0 offen offset:60
	s_cmp_lg_u32 s6, 16
	s_waitcnt vmcnt(0)
	v_add_nc_u32_e32 v1, v1, v3
	buffer_store_dword v1, v4, s[0:3], 0 offen
	s_cbranch_scc1 .LBB2041_338
; %bb.339:
	s_clause 0x3
	buffer_load_dword v3, off, s[0:3], 0 offset:96
	buffer_load_dword v5, off, s[0:3], 0 offset:100
	;; [unrolled: 1-line block ×4, first 2 shown]
.LBB2041_340:
	s_or_b32 exec_lo, exec_lo, s5
	buffer_load_ubyte v1, off, s[0:3], 0 offset:304
	v_and_b32_e32 v2, 1, v2
	s_mov_b32 s5, exec_lo
	v_cmp_eq_u32_e32 vcc_lo, 1, v2
	s_or_b32 s4, vcc_lo, s4
	v_cndmask_b32_e64 v2, 0, 1, s4
	s_waitcnt vmcnt(4)
	buffer_store_dword v3, off, s[0:3], 0 offset:268
	s_waitcnt vmcnt(3)
	buffer_store_dword v5, off, s[0:3], 0 offset:272
	;; [unrolled: 2-line block ×4, first 2 shown]
	buffer_store_byte v2, off, s[0:3], 0 offset:284
                                        ; implicit-def: $vgpr3
                                        ; implicit-def: $vgpr2
                                        ; implicit-def: $vgpr4
                                        ; implicit-def: $vgpr5
	s_waitcnt vmcnt(0)
	v_cmpx_ne_u16_e32 0, v1
	s_xor_b32 s5, exec_lo, s5
	s_cbranch_execz .LBB2041_342
; %bb.341:
	s_clause 0x3
	buffer_load_dword v2, off, s[0:3], 0 offset:288
	buffer_load_dword v4, off, s[0:3], 0 offset:292
	;; [unrolled: 1-line block ×4, first 2 shown]
.LBB2041_342:
	s_andn2_saveexec_b32 s5, s5
	s_cbranch_execz .LBB2041_348
; %bb.343:
	s_waitcnt vmcnt(3)
	v_mov_b32_e32 v2, 0
	s_mov_b32 s6, 0
.LBB2041_344:                           ; =>This Inner Loop Header: Depth=1
	s_waitcnt vmcnt(0)
	v_add_nc_u32_e64 v3, 0x60, s6
	s_add_i32 s6, s6, 4
	s_cmp_lg_u32 s6, 16
	buffer_store_dword v2, v3, s[0:3], 0 offen
	s_cbranch_scc1 .LBB2041_344
; %bb.345:
	s_mov_b32 s6, 0
.LBB2041_346:                           ; =>This Inner Loop Header: Depth=1
	v_add_nc_u32_e64 v2, 0xd0, s6
	v_add_nc_u32_e64 v4, 0x60, s6
	s_add_i32 s6, s6, 4
	s_clause 0x1
	buffer_load_dword v3, v2, s[0:3], 0 offen offset:60
	buffer_load_dword v2, v2, s[0:3], 0 offen offset:80
	s_cmp_lg_u32 s6, 16
	s_waitcnt vmcnt(0)
	v_add_nc_u32_e32 v2, v2, v3
	buffer_store_dword v2, v4, s[0:3], 0 offen
	s_cbranch_scc1 .LBB2041_346
; %bb.347:
	s_clause 0x3
	buffer_load_dword v2, off, s[0:3], 0 offset:96
	buffer_load_dword v4, off, s[0:3], 0 offset:100
	;; [unrolled: 1-line block ×4, first 2 shown]
.LBB2041_348:
	s_or_b32 exec_lo, exec_lo, s5
	v_and_b32_e32 v1, 1, v1
	s_waitcnt vmcnt(3)
	buffer_store_dword v2, off, s[0:3], 0 offset:288
	s_waitcnt vmcnt(2)
	buffer_store_dword v4, off, s[0:3], 0 offset:292
	;; [unrolled: 2-line block ×4, first 2 shown]
	v_cmp_eq_u32_e32 vcc_lo, 1, v1
	s_or_b32 s4, vcc_lo, s4
	v_cndmask_b32_e64 v1, 0, 1, s4
	buffer_store_byte v1, off, s[0:3], 0 offset:304
	s_branch .LBB2041_520
.LBB2041_349:
	s_cmp_lg_u64 s[28:29], 0
	v_cmp_eq_u32_e32 vcc_lo, 0, v0
	s_cselect_b32 s5, -1, 0
	s_cmp_lg_u64 s[38:39], 0
	v_cmp_ne_u32_e64 s4, 0, v0
	s_cselect_b32 s6, -1, 0
	s_and_b32 s5, s5, s6
	s_and_b32 s5, vcc_lo, s5
	s_and_saveexec_b32 s8, s5
	s_cbranch_execz .LBB2041_359
; %bb.350:
	buffer_load_ubyte v1, off, s[0:3], 0 offset:224
                                        ; implicit-def: $vgpr3
                                        ; implicit-def: $vgpr2
                                        ; implicit-def: $vgpr4
                                        ; implicit-def: $vgpr5
	s_waitcnt vmcnt(0)
	v_cmp_ne_u16_e64 s5, 0, v1
	s_and_saveexec_b32 s6, s5
	s_xor_b32 s5, exec_lo, s6
	s_cbranch_execz .LBB2041_352
; %bb.351:
	s_clause 0x3
	buffer_load_dword v2, off, s[0:3], 0 offset:208
	buffer_load_dword v4, off, s[0:3], 0 offset:212
	;; [unrolled: 1-line block ×4, first 2 shown]
.LBB2041_352:
	s_andn2_saveexec_b32 s5, s5
	s_cbranch_execz .LBB2041_358
; %bb.353:
	s_waitcnt vmcnt(3)
	v_mov_b32_e32 v2, 0
	s_mov_b32 s6, 0
.LBB2041_354:                           ; =>This Inner Loop Header: Depth=1
	s_waitcnt vmcnt(0)
	v_mov_b32_e32 v3, s6
	s_add_i32 s6, s6, 4
	s_cmp_lg_u32 s6, 16
	buffer_store_dword v2, v3, s[0:3], 0 offen
	s_cbranch_scc1 .LBB2041_354
; %bb.355:
	v_mov_b32_e32 v2, 0
	s_mov_b32 s9, 0
	s_mov_b64 s[6:7], s[38:39]
.LBB2041_356:                           ; =>This Inner Loop Header: Depth=1
	v_add_nc_u32_e64 v3, 0xd0, s9
	global_load_dword v4, v2, s[6:7]
	v_mov_b32_e32 v5, s9
	s_add_i32 s9, s9, 4
	s_add_u32 s6, s6, 4
	buffer_load_dword v3, v3, s[0:3], 0 offen
	s_addc_u32 s7, s7, 0
	s_cmp_lg_u32 s9, 16
	s_waitcnt vmcnt(0)
	v_add_nc_u32_e32 v3, v3, v4
	buffer_store_dword v3, v5, s[0:3], 0 offen
	s_cbranch_scc1 .LBB2041_356
; %bb.357:
	s_clause 0x3
	buffer_load_dword v2, off, s[0:3], 0
	buffer_load_dword v4, off, s[0:3], 0 offset:4
	buffer_load_dword v5, off, s[0:3], 0 offset:8
	;; [unrolled: 1-line block ×3, first 2 shown]
.LBB2041_358:
	s_or_b32 exec_lo, exec_lo, s5
	v_mov_b32_e32 v6, 0
	global_load_ubyte v6, v6, s[38:39] offset:16
	s_waitcnt vmcnt(0)
	v_or_b32_e32 v1, v1, v6
	v_and_b32_e32 v1, 1, v1
	buffer_store_dword v2, off, s[0:3], 0 offset:208
	buffer_store_dword v4, off, s[0:3], 0 offset:212
	;; [unrolled: 1-line block ×4, first 2 shown]
	buffer_store_byte v1, off, s[0:3], 0 offset:224
.LBB2041_359:
	s_or_b32 exec_lo, exec_lo, s8
	v_mov_b32_e32 v1, 0
	s_mov_b32 s5, 0
	buffer_store_dword v1, off, s[0:3], 0 offset:168
	buffer_store_dword v1, off, s[0:3], 0 offset:164
	;; [unrolled: 1-line block ×5, first 2 shown]
.LBB2041_360:                           ; =>This Inner Loop Header: Depth=1
	v_add_nc_u32_e64 v2, 0x9c, s5
	s_add_i32 s5, s5, 4
	s_cmp_lg_u32 s5, 16
	buffer_store_dword v1, v2, s[0:3], 0 offen
	s_cbranch_scc1 .LBB2041_360
; %bb.361:
	v_mov_b32_e32 v1, 0
	s_mov_b32 s5, 0
	buffer_store_byte v1, off, s[0:3], 0 offset:172
	buffer_store_dword v1, off, s[0:3], 0 offset:16
.LBB2041_362:                           ; =>This Inner Loop Header: Depth=1
	v_mov_b32_e32 v2, s5
	s_add_i32 s5, s5, 4
	s_cmp_lg_u32 s5, 16
	buffer_store_dword v1, v2, s[0:3], 0 offen
	s_cbranch_scc1 .LBB2041_362
; %bb.363:
	s_clause 0x5
	buffer_load_ubyte v5, off, s[0:3], 0 offset:244
	buffer_load_dword v1, off, s[0:3], 0 offset:220
	buffer_load_dword v2, off, s[0:3], 0 offset:216
	;; [unrolled: 1-line block ×4, first 2 shown]
	buffer_load_ubyte v6, off, s[0:3], 0 offset:224
	s_waitcnt vmcnt(4)
	buffer_store_dword v1, off, s[0:3], 0 offset:12
	s_waitcnt vmcnt(3)
	buffer_store_dword v2, off, s[0:3], 0 offset:8
	;; [unrolled: 2-line block ×3, first 2 shown]
	s_waitcnt vmcnt(1)
	buffer_store_dword v4, off, s[0:3], 0
	v_cmp_ne_u16_e64 s5, 0, v5
                                        ; implicit-def: $vgpr2
                                        ; implicit-def: $vgpr1
                                        ; implicit-def: $vgpr3
                                        ; implicit-def: $vgpr4
	s_and_saveexec_b32 s6, s5
	s_xor_b32 s5, exec_lo, s6
	s_cbranch_execz .LBB2041_365
; %bb.364:
	s_clause 0x3
	buffer_load_dword v1, off, s[0:3], 0 offset:228
	buffer_load_dword v3, off, s[0:3], 0 offset:232
	;; [unrolled: 1-line block ×4, first 2 shown]
.LBB2041_365:
	s_andn2_saveexec_b32 s5, s5
	s_cbranch_execz .LBB2041_371
; %bb.366:
	s_waitcnt vmcnt(3)
	v_mov_b32_e32 v1, 0
	s_mov_b32 s6, 0
.LBB2041_367:                           ; =>This Inner Loop Header: Depth=1
	s_waitcnt vmcnt(0)
	v_add_nc_u32_e64 v2, 0x60, s6
	s_add_i32 s6, s6, 4
	s_cmp_lg_u32 s6, 16
	buffer_store_dword v1, v2, s[0:3], 0 offen
	s_cbranch_scc1 .LBB2041_367
; %bb.368:
	s_mov_b32 s6, 0
	.p2align	6
.LBB2041_369:                           ; =>This Inner Loop Header: Depth=1
	v_mov_b32_e32 v1, s6
	v_add_nc_u32_e64 v2, 0xd0, s6
	v_add_nc_u32_e64 v3, 0x60, s6
	s_add_i32 s6, s6, 4
	s_clause 0x1
	buffer_load_dword v1, v1, s[0:3], 0 offen
	buffer_load_dword v2, v2, s[0:3], 0 offen offset:20
	s_cmp_lg_u32 s6, 16
	s_waitcnt vmcnt(0)
	v_add_nc_u32_e32 v1, v2, v1
	buffer_store_dword v1, v3, s[0:3], 0 offen
	s_cbranch_scc1 .LBB2041_369
; %bb.370:
	s_clause 0x3
	buffer_load_dword v1, off, s[0:3], 0 offset:96
	buffer_load_dword v3, off, s[0:3], 0 offset:100
	;; [unrolled: 1-line block ×4, first 2 shown]
.LBB2041_371:
	s_or_b32 exec_lo, exec_lo, s5
	buffer_load_ubyte v7, off, s[0:3], 0 offset:264
	s_waitcnt vmcnt(4)
	buffer_store_dword v1, off, s[0:3], 0
	s_waitcnt vmcnt(3)
	buffer_store_dword v3, off, s[0:3], 0 offset:4
	s_waitcnt vmcnt(2)
	buffer_store_dword v4, off, s[0:3], 0 offset:8
	s_waitcnt vmcnt(1)
	buffer_store_dword v2, off, s[0:3], 0 offset:12
                                        ; implicit-def: $vgpr2
                                        ; implicit-def: $vgpr1
                                        ; implicit-def: $vgpr3
                                        ; implicit-def: $vgpr4
	s_waitcnt vmcnt(0)
	v_cmp_ne_u16_e64 s5, 0, v7
	s_and_saveexec_b32 s6, s5
	s_xor_b32 s5, exec_lo, s6
	s_cbranch_execz .LBB2041_373
; %bb.372:
	s_clause 0x3
	buffer_load_dword v1, off, s[0:3], 0 offset:248
	buffer_load_dword v3, off, s[0:3], 0 offset:252
	;; [unrolled: 1-line block ×4, first 2 shown]
.LBB2041_373:
	s_andn2_saveexec_b32 s5, s5
	s_cbranch_execz .LBB2041_379
; %bb.374:
	s_waitcnt vmcnt(3)
	v_mov_b32_e32 v1, 0
	s_mov_b32 s6, 0
.LBB2041_375:                           ; =>This Inner Loop Header: Depth=1
	s_waitcnt vmcnt(0)
	v_add_nc_u32_e64 v2, 0x60, s6
	s_add_i32 s6, s6, 4
	s_cmp_lg_u32 s6, 16
	buffer_store_dword v1, v2, s[0:3], 0 offen
	s_cbranch_scc1 .LBB2041_375
; %bb.376:
	s_mov_b32 s6, 0
	.p2align	6
.LBB2041_377:                           ; =>This Inner Loop Header: Depth=1
	v_mov_b32_e32 v1, s6
	v_add_nc_u32_e64 v2, 0xd0, s6
	v_add_nc_u32_e64 v3, 0x60, s6
	s_add_i32 s6, s6, 4
	s_clause 0x1
	buffer_load_dword v1, v1, s[0:3], 0 offen
	buffer_load_dword v2, v2, s[0:3], 0 offen offset:40
	s_cmp_lg_u32 s6, 16
	s_waitcnt vmcnt(0)
	v_add_nc_u32_e32 v1, v2, v1
	buffer_store_dword v1, v3, s[0:3], 0 offen
	s_cbranch_scc1 .LBB2041_377
; %bb.378:
	s_clause 0x3
	buffer_load_dword v1, off, s[0:3], 0 offset:96
	buffer_load_dword v3, off, s[0:3], 0 offset:100
	buffer_load_dword v4, off, s[0:3], 0 offset:104
	buffer_load_dword v2, off, s[0:3], 0 offset:108
.LBB2041_379:
	s_or_b32 exec_lo, exec_lo, s5
	buffer_load_ubyte v8, off, s[0:3], 0 offset:284
	s_waitcnt vmcnt(4)
	buffer_store_dword v1, off, s[0:3], 0
	s_waitcnt vmcnt(3)
	buffer_store_dword v3, off, s[0:3], 0 offset:4
	s_waitcnt vmcnt(2)
	buffer_store_dword v4, off, s[0:3], 0 offset:8
	;; [unrolled: 2-line block ×3, first 2 shown]
                                        ; implicit-def: $vgpr2
                                        ; implicit-def: $vgpr1
                                        ; implicit-def: $vgpr3
                                        ; implicit-def: $vgpr4
	s_waitcnt vmcnt(0)
	v_cmp_ne_u16_e64 s5, 0, v8
	s_and_saveexec_b32 s6, s5
	s_xor_b32 s5, exec_lo, s6
	s_cbranch_execz .LBB2041_381
; %bb.380:
	s_clause 0x3
	buffer_load_dword v1, off, s[0:3], 0 offset:268
	buffer_load_dword v3, off, s[0:3], 0 offset:272
	;; [unrolled: 1-line block ×4, first 2 shown]
.LBB2041_381:
	s_andn2_saveexec_b32 s5, s5
	s_cbranch_execz .LBB2041_387
; %bb.382:
	s_waitcnt vmcnt(3)
	v_mov_b32_e32 v1, 0
	s_mov_b32 s6, 0
.LBB2041_383:                           ; =>This Inner Loop Header: Depth=1
	s_waitcnt vmcnt(0)
	v_add_nc_u32_e64 v2, 0x60, s6
	s_add_i32 s6, s6, 4
	s_cmp_lg_u32 s6, 16
	buffer_store_dword v1, v2, s[0:3], 0 offen
	s_cbranch_scc1 .LBB2041_383
; %bb.384:
	s_mov_b32 s6, 0
	.p2align	6
.LBB2041_385:                           ; =>This Inner Loop Header: Depth=1
	v_mov_b32_e32 v1, s6
	v_add_nc_u32_e64 v2, 0xd0, s6
	v_add_nc_u32_e64 v3, 0x60, s6
	s_add_i32 s6, s6, 4
	s_clause 0x1
	buffer_load_dword v1, v1, s[0:3], 0 offen
	buffer_load_dword v2, v2, s[0:3], 0 offen offset:60
	s_cmp_lg_u32 s6, 16
	s_waitcnt vmcnt(0)
	v_add_nc_u32_e32 v1, v2, v1
	buffer_store_dword v1, v3, s[0:3], 0 offen
	s_cbranch_scc1 .LBB2041_385
; %bb.386:
	s_clause 0x3
	buffer_load_dword v1, off, s[0:3], 0 offset:96
	buffer_load_dword v3, off, s[0:3], 0 offset:100
	;; [unrolled: 1-line block ×4, first 2 shown]
.LBB2041_387:
	s_or_b32 exec_lo, exec_lo, s5
	buffer_load_ubyte v10, off, s[0:3], 0 offset:304
	s_waitcnt vmcnt(4)
	buffer_store_dword v1, off, s[0:3], 0
	s_waitcnt vmcnt(3)
	buffer_store_dword v3, off, s[0:3], 0 offset:4
	s_waitcnt vmcnt(2)
	buffer_store_dword v4, off, s[0:3], 0 offset:8
	;; [unrolled: 2-line block ×3, first 2 shown]
                                        ; implicit-def: $vgpr4
                                        ; implicit-def: $vgpr1
                                        ; implicit-def: $vgpr2
                                        ; implicit-def: $vgpr3
	s_waitcnt vmcnt(0)
	v_cmp_ne_u16_e64 s5, 0, v10
	s_and_saveexec_b32 s6, s5
	s_xor_b32 s5, exec_lo, s6
	s_cbranch_execz .LBB2041_389
; %bb.388:
	s_clause 0x3
	buffer_load_dword v1, off, s[0:3], 0 offset:288
	buffer_load_dword v2, off, s[0:3], 0 offset:292
	;; [unrolled: 1-line block ×4, first 2 shown]
.LBB2041_389:
	s_andn2_saveexec_b32 s5, s5
	s_cbranch_execz .LBB2041_395
; %bb.390:
	s_waitcnt vmcnt(3)
	v_mov_b32_e32 v1, 0
	s_mov_b32 s6, 0
.LBB2041_391:                           ; =>This Inner Loop Header: Depth=1
	s_waitcnt vmcnt(2)
	v_add_nc_u32_e64 v2, 0x60, s6
	s_add_i32 s6, s6, 4
	s_cmp_lg_u32 s6, 16
	buffer_store_dword v1, v2, s[0:3], 0 offen
	s_cbranch_scc1 .LBB2041_391
; %bb.392:
	s_mov_b32 s6, 0
	.p2align	6
.LBB2041_393:                           ; =>This Inner Loop Header: Depth=1
	v_mov_b32_e32 v1, s6
	v_add_nc_u32_e64 v2, 0xd0, s6
	s_waitcnt vmcnt(1)
	v_add_nc_u32_e64 v3, 0x60, s6
	s_add_i32 s6, s6, 4
	s_clause 0x1
	buffer_load_dword v1, v1, s[0:3], 0 offen
	buffer_load_dword v2, v2, s[0:3], 0 offen offset:80
	s_cmp_lg_u32 s6, 16
	s_waitcnt vmcnt(0)
	v_add_nc_u32_e32 v1, v2, v1
	buffer_store_dword v1, v3, s[0:3], 0 offen
	s_cbranch_scc1 .LBB2041_393
; %bb.394:
	s_clause 0x3
	buffer_load_dword v1, off, s[0:3], 0 offset:96
	buffer_load_dword v2, off, s[0:3], 0 offset:100
	buffer_load_dword v3, off, s[0:3], 0 offset:104
	buffer_load_dword v4, off, s[0:3], 0 offset:108
.LBB2041_395:
	s_or_b32 exec_lo, exec_lo, s5
	s_clause 0x1
	buffer_load_ushort v12, off, s[0:3], 0 offset:17
	buffer_load_sbyte v13, off, s[0:3], 0 offset:19
	v_or_b32_e32 v5, v5, v6
	v_mov_b32_e32 v11, 0
	v_and_b32_e32 v6, 1, v7
	v_or_b32_e32 v7, v10, v8
	s_waitcnt vmcnt(3)
	v_mov_b32_dpp v14, v3 row_shr:1 row_mask:0xf bank_mask:0xf
	s_waitcnt vmcnt(2)
	v_mov_b32_dpp v15, v4 row_shr:1 row_mask:0xf bank_mask:0xf
	v_cmp_ne_u16_sdwa s7, v5, v11 src0_sel:BYTE_0 src1_sel:DWORD
	v_cmp_eq_u32_e64 s5, 1, v6
	v_cmp_ne_u16_e64 s6, 0, v7
	buffer_store_dword v1, off, s[0:3], 0 offset:136
	buffer_store_dword v2, off, s[0:3], 0 offset:140
	;; [unrolled: 1-line block ×4, first 2 shown]
	s_or_b32 s5, s7, s5
	s_or_b32 s5, s6, s5
	s_mov_b32 s6, exec_lo
	v_cndmask_b32_e64 v5, 0, 1, s5
	s_waitcnt vmcnt(1)
	v_lshlrev_b16 v6, 8, v12
	s_waitcnt vmcnt(0)
	v_perm_b32 v7, v12, v13, 0xc0c0005
	v_mov_b32_dpp v12, v1 row_shr:1 row_mask:0xf bank_mask:0xf
	v_mov_b32_dpp v13, v2 row_shr:1 row_mask:0xf bank_mask:0xf
	v_or_b32_e32 v6, v5, v6
	v_mbcnt_lo_u32_b32 v5, -1, 0
	v_and_b32_e32 v8, 0xffff, v6
	v_lshl_or_b32 v8, v7, 16, v8
	v_and_b32_e32 v7, 15, v5
	v_mov_b32_dpp v10, v8 row_shr:1 row_mask:0xf bank_mask:0xf
	buffer_store_dword v8, off, s[0:3], 0 offset:152
	buffer_store_dword v12, off, s[0:3], 0
	buffer_store_dword v13, off, s[0:3], 0 offset:4
	buffer_store_dword v14, off, s[0:3], 0 offset:8
	;; [unrolled: 1-line block ×4, first 2 shown]
	v_cmpx_ne_u32_e32 0, v7
	s_cbranch_execz .LBB2041_403
; %bb.396:
	v_cmp_eq_u16_sdwa s7, v6, v11 src0_sel:BYTE_0 src1_sel:DWORD
	s_and_saveexec_b32 s5, s7
	s_cbranch_execz .LBB2041_402
; %bb.397:
	v_mov_b32_e32 v1, 0
	s_mov_b32 s7, 0
.LBB2041_398:                           ; =>This Inner Loop Header: Depth=1
	v_add_nc_u32_e64 v2, 0x60, s7
	s_add_i32 s7, s7, 4
	s_cmp_lg_u32 s7, 16
	buffer_store_dword v1, v2, s[0:3], 0 offen
	s_cbranch_scc1 .LBB2041_398
; %bb.399:
	s_mov_b32 s7, 0
	.p2align	6
.LBB2041_400:                           ; =>This Inner Loop Header: Depth=1
	v_mov_b32_e32 v1, s7
	v_add_nc_u32_e64 v2, 0x88, s7
	v_add_nc_u32_e64 v3, 0x60, s7
	s_add_i32 s7, s7, 4
	s_clause 0x1
	buffer_load_dword v1, v1, s[0:3], 0 offen
	buffer_load_dword v2, v2, s[0:3], 0 offen
	s_cmp_lg_u32 s7, 16
	s_waitcnt vmcnt(0)
	v_add_nc_u32_e32 v1, v2, v1
	buffer_store_dword v1, v3, s[0:3], 0 offen
	s_cbranch_scc1 .LBB2041_400
; %bb.401:
	s_clause 0x3
	buffer_load_dword v1, off, s[0:3], 0 offset:96
	buffer_load_dword v2, off, s[0:3], 0 offset:100
	buffer_load_dword v3, off, s[0:3], 0 offset:104
	buffer_load_dword v4, off, s[0:3], 0 offset:108
.LBB2041_402:
	s_or_b32 exec_lo, exec_lo, s5
	v_or_b32_e32 v6, v10, v8
	v_and_b32_e32 v6, 1, v6
	buffer_store_byte v6, off, s[0:3], 0 offset:152
	buffer_load_dword v8, off, s[0:3], 0 offset:152
	s_waitcnt vmcnt(4)
	buffer_store_dword v1, off, s[0:3], 0 offset:136
	s_waitcnt vmcnt(3)
	buffer_store_dword v2, off, s[0:3], 0 offset:140
	;; [unrolled: 2-line block ×4, first 2 shown]
	s_waitcnt vmcnt(0)
	v_mov_b32_e32 v6, v8
.LBB2041_403:
	s_or_b32 exec_lo, exec_lo, s6
	v_mov_b32_dpp v11, v1 row_shr:2 row_mask:0xf bank_mask:0xf
	v_mov_b32_dpp v10, v8 row_shr:2 row_mask:0xf bank_mask:0xf
	v_mov_b32_dpp v12, v2 row_shr:2 row_mask:0xf bank_mask:0xf
	v_mov_b32_dpp v13, v3 row_shr:2 row_mask:0xf bank_mask:0xf
	v_mov_b32_dpp v14, v4 row_shr:2 row_mask:0xf bank_mask:0xf
	s_mov_b32 s7, exec_lo
	buffer_store_dword v11, off, s[0:3], 0
	buffer_store_dword v12, off, s[0:3], 0 offset:4
	buffer_store_dword v13, off, s[0:3], 0 offset:8
	buffer_store_dword v14, off, s[0:3], 0 offset:12
	buffer_store_dword v10, off, s[0:3], 0 offset:16
	v_cmpx_lt_u32_e32 1, v7
	s_cbranch_execz .LBB2041_410
; %bb.404:
	v_mov_b32_e32 v8, 0
	s_mov_b32 s6, 0
	v_cmp_eq_u16_sdwa s8, v6, v8 src0_sel:BYTE_0 src1_sel:DWORD
	s_and_saveexec_b32 s5, s8
	s_cbranch_execz .LBB2041_409
.LBB2041_405:                           ; =>This Inner Loop Header: Depth=1
	v_add_nc_u32_e64 v1, 0x60, s6
	s_add_i32 s6, s6, 4
	s_cmp_lg_u32 s6, 16
	buffer_store_dword v8, v1, s[0:3], 0 offen
	s_cbranch_scc1 .LBB2041_405
; %bb.406:
	s_mov_b32 s6, 0
	.p2align	6
.LBB2041_407:                           ; =>This Inner Loop Header: Depth=1
	v_mov_b32_e32 v1, s6
	v_add_nc_u32_e64 v2, 0x88, s6
	v_add_nc_u32_e64 v3, 0x60, s6
	s_add_i32 s6, s6, 4
	s_clause 0x1
	buffer_load_dword v1, v1, s[0:3], 0 offen
	buffer_load_dword v2, v2, s[0:3], 0 offen
	s_cmp_lg_u32 s6, 16
	s_waitcnt vmcnt(0)
	v_add_nc_u32_e32 v1, v2, v1
	buffer_store_dword v1, v3, s[0:3], 0 offen
	s_cbranch_scc1 .LBB2041_407
; %bb.408:
	s_clause 0x3
	buffer_load_dword v1, off, s[0:3], 0 offset:96
	buffer_load_dword v2, off, s[0:3], 0 offset:100
	;; [unrolled: 1-line block ×4, first 2 shown]
.LBB2041_409:
	s_or_b32 exec_lo, exec_lo, s5
	v_and_b32_e32 v6, 1, v6
	v_and_b32_e32 v8, 1, v10
	v_cmp_eq_u32_e64 s5, 1, v6
	v_cmp_eq_u32_e64 s6, 1, v8
	s_or_b32 s5, s5, s6
	v_cndmask_b32_e64 v6, 0, 1, s5
	buffer_store_byte v6, off, s[0:3], 0 offset:152
	buffer_load_dword v8, off, s[0:3], 0 offset:152
	s_waitcnt vmcnt(4)
	buffer_store_dword v1, off, s[0:3], 0 offset:136
	s_waitcnt vmcnt(3)
	buffer_store_dword v2, off, s[0:3], 0 offset:140
	;; [unrolled: 2-line block ×4, first 2 shown]
	s_waitcnt vmcnt(0)
	v_mov_b32_e32 v6, v8
.LBB2041_410:
	s_or_b32 exec_lo, exec_lo, s7
	v_mov_b32_dpp v11, v1 row_shr:4 row_mask:0xf bank_mask:0xf
	v_mov_b32_dpp v10, v8 row_shr:4 row_mask:0xf bank_mask:0xf
	;; [unrolled: 1-line block ×5, first 2 shown]
	s_mov_b32 s7, exec_lo
	buffer_store_dword v11, off, s[0:3], 0
	buffer_store_dword v12, off, s[0:3], 0 offset:4
	buffer_store_dword v13, off, s[0:3], 0 offset:8
	;; [unrolled: 1-line block ×4, first 2 shown]
	v_cmpx_lt_u32_e32 3, v7
	s_cbranch_execz .LBB2041_417
; %bb.411:
	v_mov_b32_e32 v8, 0
	s_mov_b32 s6, 0
	v_cmp_eq_u16_sdwa s8, v6, v8 src0_sel:BYTE_0 src1_sel:DWORD
	s_and_saveexec_b32 s5, s8
	s_cbranch_execz .LBB2041_416
.LBB2041_412:                           ; =>This Inner Loop Header: Depth=1
	v_add_nc_u32_e64 v1, 0x60, s6
	s_add_i32 s6, s6, 4
	s_cmp_lg_u32 s6, 16
	buffer_store_dword v8, v1, s[0:3], 0 offen
	s_cbranch_scc1 .LBB2041_412
; %bb.413:
	s_mov_b32 s6, 0
	.p2align	6
.LBB2041_414:                           ; =>This Inner Loop Header: Depth=1
	v_mov_b32_e32 v1, s6
	v_add_nc_u32_e64 v2, 0x88, s6
	v_add_nc_u32_e64 v3, 0x60, s6
	s_add_i32 s6, s6, 4
	s_clause 0x1
	buffer_load_dword v1, v1, s[0:3], 0 offen
	buffer_load_dword v2, v2, s[0:3], 0 offen
	s_cmp_lg_u32 s6, 16
	s_waitcnt vmcnt(0)
	v_add_nc_u32_e32 v1, v2, v1
	buffer_store_dword v1, v3, s[0:3], 0 offen
	s_cbranch_scc1 .LBB2041_414
; %bb.415:
	s_clause 0x3
	buffer_load_dword v1, off, s[0:3], 0 offset:96
	buffer_load_dword v2, off, s[0:3], 0 offset:100
	;; [unrolled: 1-line block ×4, first 2 shown]
.LBB2041_416:
	s_or_b32 exec_lo, exec_lo, s5
	v_and_b32_e32 v6, 1, v6
	v_and_b32_e32 v8, 1, v10
	v_cmp_eq_u32_e64 s5, 1, v6
	v_cmp_eq_u32_e64 s6, 1, v8
	s_or_b32 s5, s5, s6
	v_cndmask_b32_e64 v6, 0, 1, s5
	buffer_store_byte v6, off, s[0:3], 0 offset:152
	buffer_load_dword v8, off, s[0:3], 0 offset:152
	s_waitcnt vmcnt(4)
	buffer_store_dword v1, off, s[0:3], 0 offset:136
	s_waitcnt vmcnt(3)
	buffer_store_dword v2, off, s[0:3], 0 offset:140
	;; [unrolled: 2-line block ×4, first 2 shown]
	s_waitcnt vmcnt(0)
	v_mov_b32_e32 v6, v8
.LBB2041_417:
	s_or_b32 exec_lo, exec_lo, s7
	v_mov_b32_dpp v11, v1 row_shr:8 row_mask:0xf bank_mask:0xf
	v_mov_b32_dpp v10, v8 row_shr:8 row_mask:0xf bank_mask:0xf
	;; [unrolled: 1-line block ×5, first 2 shown]
	s_mov_b32 s7, exec_lo
	buffer_store_dword v11, off, s[0:3], 0
	buffer_store_dword v12, off, s[0:3], 0 offset:4
	buffer_store_dword v13, off, s[0:3], 0 offset:8
	;; [unrolled: 1-line block ×4, first 2 shown]
	v_cmpx_lt_u32_e32 7, v7
	s_cbranch_execz .LBB2041_424
; %bb.418:
	v_mov_b32_e32 v7, 0
	s_mov_b32 s6, 0
	v_cmp_eq_u16_sdwa s8, v6, v7 src0_sel:BYTE_0 src1_sel:DWORD
	s_and_saveexec_b32 s5, s8
	s_cbranch_execz .LBB2041_423
.LBB2041_419:                           ; =>This Inner Loop Header: Depth=1
	v_add_nc_u32_e64 v1, 0x60, s6
	s_add_i32 s6, s6, 4
	s_cmp_lg_u32 s6, 16
	buffer_store_dword v7, v1, s[0:3], 0 offen
	s_cbranch_scc1 .LBB2041_419
; %bb.420:
	s_mov_b32 s6, 0
	.p2align	6
.LBB2041_421:                           ; =>This Inner Loop Header: Depth=1
	v_mov_b32_e32 v1, s6
	v_add_nc_u32_e64 v2, 0x88, s6
	v_add_nc_u32_e64 v3, 0x60, s6
	s_add_i32 s6, s6, 4
	s_clause 0x1
	buffer_load_dword v1, v1, s[0:3], 0 offen
	buffer_load_dword v2, v2, s[0:3], 0 offen
	s_cmp_lg_u32 s6, 16
	s_waitcnt vmcnt(0)
	v_add_nc_u32_e32 v1, v2, v1
	buffer_store_dword v1, v3, s[0:3], 0 offen
	s_cbranch_scc1 .LBB2041_421
; %bb.422:
	s_clause 0x3
	buffer_load_dword v1, off, s[0:3], 0 offset:96
	buffer_load_dword v2, off, s[0:3], 0 offset:100
	;; [unrolled: 1-line block ×4, first 2 shown]
.LBB2041_423:
	s_or_b32 exec_lo, exec_lo, s5
	v_and_b32_e32 v6, 1, v6
	v_and_b32_e32 v7, 1, v10
	v_cmp_eq_u32_e64 s5, 1, v6
	v_cmp_eq_u32_e64 s6, 1, v7
	s_or_b32 s5, s5, s6
	v_cndmask_b32_e64 v6, 0, 1, s5
	buffer_store_byte v6, off, s[0:3], 0 offset:152
	buffer_load_dword v8, off, s[0:3], 0 offset:152
	s_waitcnt vmcnt(4)
	buffer_store_dword v1, off, s[0:3], 0 offset:136
	s_waitcnt vmcnt(3)
	buffer_store_dword v2, off, s[0:3], 0 offset:140
	s_waitcnt vmcnt(2)
	buffer_store_dword v3, off, s[0:3], 0 offset:144
	s_waitcnt vmcnt(1)
	buffer_store_dword v4, off, s[0:3], 0 offset:148
	s_waitcnt vmcnt(0)
	v_mov_b32_e32 v6, v8
.LBB2041_424:
	s_or_b32 exec_lo, exec_lo, s7
	ds_swizzle_b32 v10, v1 offset:swizzle(BROADCAST,32,15)
	ds_swizzle_b32 v7, v8 offset:swizzle(BROADCAST,32,15)
	;; [unrolled: 1-line block ×5, first 2 shown]
	v_and_b32_e32 v8, 16, v5
	s_mov_b32 s7, exec_lo
	s_waitcnt lgkmcnt(4)
	buffer_store_dword v10, off, s[0:3], 0
	s_waitcnt lgkmcnt(2)
	buffer_store_dword v11, off, s[0:3], 0 offset:4
	s_waitcnt lgkmcnt(1)
	buffer_store_dword v12, off, s[0:3], 0 offset:8
	;; [unrolled: 2-line block ×3, first 2 shown]
	buffer_store_dword v7, off, s[0:3], 0 offset:16
	v_cmpx_ne_u32_e32 0, v8
	s_cbranch_execz .LBB2041_431
; %bb.425:
	v_mov_b32_e32 v8, 0
	s_mov_b32 s6, 0
	v_cmp_eq_u16_sdwa s8, v6, v8 src0_sel:BYTE_0 src1_sel:DWORD
	s_and_saveexec_b32 s5, s8
	s_cbranch_execz .LBB2041_430
.LBB2041_426:                           ; =>This Inner Loop Header: Depth=1
	v_add_nc_u32_e64 v1, 0x60, s6
	s_add_i32 s6, s6, 4
	s_cmp_lg_u32 s6, 16
	buffer_store_dword v8, v1, s[0:3], 0 offen
	s_cbranch_scc1 .LBB2041_426
; %bb.427:
	s_mov_b32 s6, 0
	.p2align	6
.LBB2041_428:                           ; =>This Inner Loop Header: Depth=1
	v_mov_b32_e32 v1, s6
	v_add_nc_u32_e64 v2, 0x88, s6
	v_add_nc_u32_e64 v3, 0x60, s6
	s_add_i32 s6, s6, 4
	s_clause 0x1
	buffer_load_dword v1, v1, s[0:3], 0 offen
	buffer_load_dword v2, v2, s[0:3], 0 offen
	s_cmp_lg_u32 s6, 16
	s_waitcnt vmcnt(0)
	v_add_nc_u32_e32 v1, v2, v1
	buffer_store_dword v1, v3, s[0:3], 0 offen
	s_cbranch_scc1 .LBB2041_428
; %bb.429:
	s_clause 0x3
	buffer_load_dword v1, off, s[0:3], 0 offset:96
	buffer_load_dword v2, off, s[0:3], 0 offset:100
	;; [unrolled: 1-line block ×4, first 2 shown]
.LBB2041_430:
	s_or_b32 exec_lo, exec_lo, s5
	v_and_b32_e32 v6, 1, v6
	v_and_b32_e32 v7, 1, v7
	v_cmp_eq_u32_e64 s5, 1, v6
	v_cmp_eq_u32_e64 s6, 1, v7
	s_or_b32 s5, s5, s6
	v_cndmask_b32_e64 v6, 0, 1, s5
	s_waitcnt vmcnt(3)
	buffer_store_dword v1, off, s[0:3], 0 offset:136
	s_waitcnt vmcnt(2)
	buffer_store_dword v2, off, s[0:3], 0 offset:140
	;; [unrolled: 2-line block ×4, first 2 shown]
	buffer_store_byte v6, off, s[0:3], 0 offset:152
.LBB2041_431:
	s_or_b32 exec_lo, exec_lo, s7
	v_or_b32_e32 v8, 31, v0
	v_lshrrev_b32_e32 v7, 5, v0
	s_mov_b32 s6, exec_lo
	v_cmpx_eq_u32_e64 v0, v8
	s_cbranch_execz .LBB2041_433
; %bb.432:
	v_mul_u32_u24_e32 v8, 20, v7
	ds_write2_b32 v8, v1, v2 offset1:1
	ds_write2_b32 v8, v3, v4 offset0:2 offset1:3
	ds_write_b8 v8, v6 offset:16
.LBB2041_433:
	s_or_b32 exec_lo, exec_lo, s6
	s_mov_b32 s7, exec_lo
	s_waitcnt lgkmcnt(0)
	s_waitcnt_vscnt null, 0x0
	s_barrier
	buffer_gl0_inv
	v_cmpx_gt_u32_e32 8, v0
	s_cbranch_execz .LBB2041_457
; %bb.434:
	v_mul_u32_u24_e32 v6, 20, v0
	v_and_b32_e32 v10, 7, v5
	s_mov_b32 s6, exec_lo
	ds_read_b32 v8, v6 offset:16
	ds_read2_b32 v[1:2], v6 offset0:2 offset1:3
	ds_read2_b32 v[3:4], v6 offset1:1
	s_waitcnt lgkmcnt(2)
	buffer_store_dword v8, off, s[0:3], 0 offset:112
	s_waitcnt lgkmcnt(1)
	buffer_store_dword v2, off, s[0:3], 0 offset:108
	buffer_store_dword v1, off, s[0:3], 0 offset:104
	s_waitcnt lgkmcnt(0)
	buffer_store_dword v4, off, s[0:3], 0 offset:100
	buffer_store_dword v3, off, s[0:3], 0 offset:96
	v_mov_b32_dpp v12, v3 row_shr:1 row_mask:0xf bank_mask:0xf
	v_mov_b32_dpp v11, v8 row_shr:1 row_mask:0xf bank_mask:0xf
	;; [unrolled: 1-line block ×5, first 2 shown]
	buffer_store_dword v12, off, s[0:3], 0
	buffer_store_dword v13, off, s[0:3], 0 offset:4
	buffer_store_dword v14, off, s[0:3], 0 offset:8
	;; [unrolled: 1-line block ×4, first 2 shown]
	v_cmpx_ne_u32_e32 0, v10
	s_cbranch_execz .LBB2041_442
; %bb.435:
	v_mov_b32_e32 v12, 0
	v_cmp_eq_u16_sdwa s8, v8, v12 src0_sel:BYTE_0 src1_sel:DWORD
	s_and_saveexec_b32 s5, s8
	s_cbranch_execz .LBB2041_441
; %bb.436:
	s_mov_b32 s8, 0
.LBB2041_437:                           ; =>This Inner Loop Header: Depth=1
	v_add_nc_u32_e64 v1, 0x74, s8
	s_add_i32 s8, s8, 4
	s_cmp_lg_u32 s8, 16
	buffer_store_dword v12, v1, s[0:3], 0 offen
	s_cbranch_scc1 .LBB2041_437
; %bb.438:
	s_mov_b32 s8, 0
	.p2align	6
.LBB2041_439:                           ; =>This Inner Loop Header: Depth=1
	v_mov_b32_e32 v1, s8
	v_add_nc_u32_e64 v2, 0x60, s8
	v_add_nc_u32_e64 v3, 0x74, s8
	s_add_i32 s8, s8, 4
	s_clause 0x1
	buffer_load_dword v1, v1, s[0:3], 0 offen
	buffer_load_dword v2, v2, s[0:3], 0 offen
	s_cmp_lg_u32 s8, 16
	s_waitcnt vmcnt(0)
	v_add_nc_u32_e32 v1, v2, v1
	buffer_store_dword v1, v3, s[0:3], 0 offen
	s_cbranch_scc1 .LBB2041_439
; %bb.440:
	s_clause 0x3
	buffer_load_dword v3, off, s[0:3], 0 offset:116
	buffer_load_dword v4, off, s[0:3], 0 offset:120
	buffer_load_dword v1, off, s[0:3], 0 offset:124
	buffer_load_dword v2, off, s[0:3], 0 offset:128
.LBB2041_441:
	s_or_b32 exec_lo, exec_lo, s5
	v_or_b32_e32 v8, v11, v8
	v_and_b32_e32 v8, 1, v8
	buffer_store_byte v8, off, s[0:3], 0 offset:112
	buffer_load_dword v8, off, s[0:3], 0 offset:112
	s_waitcnt vmcnt(4)
	buffer_store_dword v3, off, s[0:3], 0 offset:96
	s_waitcnt vmcnt(3)
	buffer_store_dword v4, off, s[0:3], 0 offset:100
	;; [unrolled: 2-line block ×4, first 2 shown]
.LBB2041_442:
	s_or_b32 exec_lo, exec_lo, s6
	v_mov_b32_dpp v12, v3 row_shr:2 row_mask:0xf bank_mask:0xf
	s_waitcnt vmcnt(0)
	v_mov_b32_dpp v11, v8 row_shr:2 row_mask:0xf bank_mask:0xf
	v_mov_b32_dpp v13, v4 row_shr:2 row_mask:0xf bank_mask:0xf
	;; [unrolled: 1-line block ×4, first 2 shown]
	s_mov_b32 s8, exec_lo
	buffer_store_dword v12, off, s[0:3], 0
	buffer_store_dword v13, off, s[0:3], 0 offset:4
	buffer_store_dword v14, off, s[0:3], 0 offset:8
	;; [unrolled: 1-line block ×4, first 2 shown]
	v_cmpx_lt_u32_e32 1, v10
	s_cbranch_execz .LBB2041_449
; %bb.443:
	v_mov_b32_e32 v12, 0
	s_mov_b32 s6, 0
	v_cmp_eq_u16_sdwa s9, v8, v12 src0_sel:BYTE_0 src1_sel:DWORD
	s_and_saveexec_b32 s5, s9
	s_cbranch_execz .LBB2041_448
.LBB2041_444:                           ; =>This Inner Loop Header: Depth=1
	v_add_nc_u32_e64 v1, 0x74, s6
	s_add_i32 s6, s6, 4
	s_cmp_lg_u32 s6, 16
	buffer_store_dword v12, v1, s[0:3], 0 offen
	s_cbranch_scc1 .LBB2041_444
; %bb.445:
	s_mov_b32 s6, 0
	.p2align	6
.LBB2041_446:                           ; =>This Inner Loop Header: Depth=1
	v_mov_b32_e32 v1, s6
	v_add_nc_u32_e64 v2, 0x60, s6
	v_add_nc_u32_e64 v3, 0x74, s6
	s_add_i32 s6, s6, 4
	s_clause 0x1
	buffer_load_dword v1, v1, s[0:3], 0 offen
	buffer_load_dword v2, v2, s[0:3], 0 offen
	s_cmp_lg_u32 s6, 16
	s_waitcnt vmcnt(0)
	v_add_nc_u32_e32 v1, v2, v1
	buffer_store_dword v1, v3, s[0:3], 0 offen
	s_cbranch_scc1 .LBB2041_446
; %bb.447:
	s_clause 0x3
	buffer_load_dword v3, off, s[0:3], 0 offset:116
	buffer_load_dword v4, off, s[0:3], 0 offset:120
	buffer_load_dword v1, off, s[0:3], 0 offset:124
	buffer_load_dword v2, off, s[0:3], 0 offset:128
.LBB2041_448:
	s_or_b32 exec_lo, exec_lo, s5
	v_and_b32_e32 v8, 1, v8
	v_and_b32_e32 v11, 1, v11
	v_cmp_eq_u32_e64 s5, 1, v8
	v_cmp_eq_u32_e64 s6, 1, v11
	s_or_b32 s5, s5, s6
	v_cndmask_b32_e64 v8, 0, 1, s5
	buffer_store_byte v8, off, s[0:3], 0 offset:112
	buffer_load_dword v8, off, s[0:3], 0 offset:112
	s_waitcnt vmcnt(4)
	buffer_store_dword v3, off, s[0:3], 0 offset:96
	s_waitcnt vmcnt(3)
	buffer_store_dword v4, off, s[0:3], 0 offset:100
	;; [unrolled: 2-line block ×4, first 2 shown]
.LBB2041_449:
	s_or_b32 exec_lo, exec_lo, s8
	v_mov_b32_dpp v12, v3 row_shr:4 row_mask:0xf bank_mask:0xf
	s_waitcnt vmcnt(0)
	v_mov_b32_dpp v11, v8 row_shr:4 row_mask:0xf bank_mask:0xf
	v_mov_b32_dpp v13, v4 row_shr:4 row_mask:0xf bank_mask:0xf
	;; [unrolled: 1-line block ×4, first 2 shown]
	s_mov_b32 s8, exec_lo
	buffer_store_dword v12, off, s[0:3], 0
	buffer_store_dword v13, off, s[0:3], 0 offset:4
	buffer_store_dword v14, off, s[0:3], 0 offset:8
	buffer_store_dword v15, off, s[0:3], 0 offset:12
	buffer_store_dword v11, off, s[0:3], 0 offset:16
	v_cmpx_lt_u32_e32 3, v10
	s_cbranch_execz .LBB2041_456
; %bb.450:
	v_mov_b32_e32 v10, 0
	s_mov_b32 s6, 0
	v_cmp_eq_u16_sdwa s9, v8, v10 src0_sel:BYTE_0 src1_sel:DWORD
	s_and_saveexec_b32 s5, s9
	s_cbranch_execz .LBB2041_455
.LBB2041_451:                           ; =>This Inner Loop Header: Depth=1
	v_add_nc_u32_e64 v1, 0x74, s6
	s_add_i32 s6, s6, 4
	s_cmp_lg_u32 s6, 16
	buffer_store_dword v10, v1, s[0:3], 0 offen
	s_cbranch_scc1 .LBB2041_451
; %bb.452:
	s_mov_b32 s6, 0
	.p2align	6
.LBB2041_453:                           ; =>This Inner Loop Header: Depth=1
	v_mov_b32_e32 v1, s6
	v_add_nc_u32_e64 v2, 0x60, s6
	v_add_nc_u32_e64 v3, 0x74, s6
	s_add_i32 s6, s6, 4
	s_clause 0x1
	buffer_load_dword v1, v1, s[0:3], 0 offen
	buffer_load_dword v2, v2, s[0:3], 0 offen
	s_cmp_lg_u32 s6, 16
	s_waitcnt vmcnt(0)
	v_add_nc_u32_e32 v1, v2, v1
	buffer_store_dword v1, v3, s[0:3], 0 offen
	s_cbranch_scc1 .LBB2041_453
; %bb.454:
	s_clause 0x3
	buffer_load_dword v3, off, s[0:3], 0 offset:116
	buffer_load_dword v4, off, s[0:3], 0 offset:120
	;; [unrolled: 1-line block ×4, first 2 shown]
.LBB2041_455:
	s_or_b32 exec_lo, exec_lo, s5
	v_and_b32_e32 v8, 1, v8
	v_and_b32_e32 v10, 1, v11
	s_waitcnt vmcnt(3)
	buffer_store_dword v3, off, s[0:3], 0 offset:96
	s_waitcnt vmcnt(2)
	buffer_store_dword v4, off, s[0:3], 0 offset:100
	;; [unrolled: 2-line block ×4, first 2 shown]
	v_cmp_eq_u32_e64 s5, 1, v8
	v_cmp_eq_u32_e64 s6, 1, v10
	s_or_b32 s5, s5, s6
	v_cndmask_b32_e64 v8, 0, 1, s5
.LBB2041_456:
	s_or_b32 exec_lo, exec_lo, s8
	s_clause 0x3
	buffer_load_dword v1, off, s[0:3], 0 offset:96
	buffer_load_dword v2, off, s[0:3], 0 offset:104
	;; [unrolled: 1-line block ×4, first 2 shown]
	s_waitcnt vmcnt(1)
	ds_write2_b32 v6, v2, v3 offset0:2 offset1:3
	s_waitcnt vmcnt(0)
	ds_write2_b32 v6, v1, v4 offset1:1
	ds_write_b8 v6, v8 offset:16
.LBB2041_457:
	s_or_b32 exec_lo, exec_lo, s7
	v_mov_b32_e32 v1, 0
	s_mov_b32 s5, 0
	s_waitcnt lgkmcnt(0)
	s_waitcnt_vscnt null, 0x0
	s_barrier
	buffer_gl0_inv
	buffer_store_dword v1, off, s[0:3], 0 offset:12
	buffer_store_dword v1, off, s[0:3], 0 offset:8
	;; [unrolled: 1-line block ×3, first 2 shown]
	buffer_store_dword v1, off, s[0:3], 0
	buffer_store_dword v1, off, s[0:3], 0 offset:16
.LBB2041_458:                           ; =>This Inner Loop Header: Depth=1
	v_mov_b32_e32 v2, s5
	s_add_i32 s5, s5, 4
	s_cmp_lg_u32 s5, 16
	buffer_store_dword v1, v2, s[0:3], 0 offen
	s_cbranch_scc1 .LBB2041_458
; %bb.459:
	s_mov_b32 s6, exec_lo
                                        ; implicit-def: $vgpr2
                                        ; implicit-def: $vgpr3
                                        ; implicit-def: $vgpr6
                                        ; implicit-def: $vgpr4
                                        ; implicit-def: $vgpr1
	v_cmpx_lt_u32_e32 31, v0
	s_xor_b32 s6, exec_lo, s6
	s_cbranch_execz .LBB2041_469
; %bb.460:
	buffer_load_ubyte v8, off, s[0:3], 0 offset:152
	v_mad_u32_u24 v4, v7, 20, 0xffffffec
	v_mad_u32_u24 v1, v7, 20, -4
	ds_read2_b32 v[2:3], v4 offset0:2 offset1:3
	ds_read_u8 v1, v1
	ds_read2_b32 v[6:7], v4 offset1:1
                                        ; implicit-def: $vgpr4
	s_waitcnt lgkmcnt(2)
	buffer_store_dword v3, off, s[0:3], 0 offset:12
	buffer_store_dword v2, off, s[0:3], 0 offset:8
	s_waitcnt lgkmcnt(0)
	buffer_store_dword v7, off, s[0:3], 0 offset:4
	buffer_store_dword v6, off, s[0:3], 0
                                        ; implicit-def: $vgpr2
                                        ; implicit-def: $vgpr3
                                        ; implicit-def: $vgpr6
	s_waitcnt vmcnt(0)
	v_cmp_ne_u16_e64 s5, 0, v8
	s_and_saveexec_b32 s7, s5
	s_xor_b32 s5, exec_lo, s7
	s_cbranch_execz .LBB2041_462
; %bb.461:
	s_clause 0x3
	buffer_load_dword v2, off, s[0:3], 0 offset:136
	buffer_load_dword v3, off, s[0:3], 0 offset:140
	;; [unrolled: 1-line block ×4, first 2 shown]
.LBB2041_462:
	s_andn2_saveexec_b32 s5, s5
	s_cbranch_execz .LBB2041_468
; %bb.463:
	s_waitcnt vmcnt(3)
	v_mov_b32_e32 v2, 0
	s_mov_b32 s7, 0
.LBB2041_464:                           ; =>This Inner Loop Header: Depth=1
	s_waitcnt vmcnt(2)
	v_add_nc_u32_e64 v3, 0x60, s7
	s_add_i32 s7, s7, 4
	s_cmp_lg_u32 s7, 16
	buffer_store_dword v2, v3, s[0:3], 0 offen
	s_cbranch_scc1 .LBB2041_464
; %bb.465:
	s_mov_b32 s7, 0
	.p2align	6
.LBB2041_466:                           ; =>This Inner Loop Header: Depth=1
	v_mov_b32_e32 v2, s7
	v_add_nc_u32_e64 v3, 0x88, s7
	s_waitcnt vmcnt(0)
	v_add_nc_u32_e64 v4, 0x60, s7
	s_add_i32 s7, s7, 4
	s_clause 0x1
	buffer_load_dword v2, v2, s[0:3], 0 offen
	buffer_load_dword v3, v3, s[0:3], 0 offen
	s_cmp_lg_u32 s7, 16
	s_waitcnt vmcnt(0)
	v_add_nc_u32_e32 v2, v3, v2
	buffer_store_dword v2, v4, s[0:3], 0 offen
	s_cbranch_scc1 .LBB2041_466
; %bb.467:
	s_clause 0x3
	buffer_load_dword v2, off, s[0:3], 0 offset:96
	buffer_load_dword v3, off, s[0:3], 0 offset:100
	;; [unrolled: 1-line block ×4, first 2 shown]
.LBB2041_468:
	s_or_b32 exec_lo, exec_lo, s5
	v_or_b32_e32 v7, v8, v1
	buffer_store_byte v7, off, s[0:3], 0 offset:152
.LBB2041_469:
	s_andn2_saveexec_b32 s5, s6
	s_cbranch_execz .LBB2041_471
; %bb.470:
	s_clause 0x3
	buffer_load_dword v2, off, s[0:3], 0 offset:136
	buffer_load_dword v3, off, s[0:3], 0 offset:140
	;; [unrolled: 1-line block ×4, first 2 shown]
	v_mov_b32_e32 v1, 0
.LBB2041_471:
	s_or_b32 exec_lo, exec_lo, s5
	buffer_load_dword v7, off, s[0:3], 0 offset:152
	v_sub_co_u32 v8, s6, v5, 1
	v_cmp_gt_i32_e64 s5, 0, v8
	v_cndmask_b32_e64 v5, v8, v5, s5
	v_lshlrev_b32_e32 v11, 2, v5
	s_waitcnt vmcnt(4)
	ds_bpermute_b32 v10, v11, v2
	s_waitcnt vmcnt(3)
	ds_bpermute_b32 v8, v11, v3
	;; [unrolled: 2-line block ×5, first 2 shown]
	s_waitcnt lgkmcnt(4)
	buffer_store_dword v10, off, s[0:3], 0 offset:136
	s_waitcnt lgkmcnt(3)
	buffer_store_dword v8, off, s[0:3], 0 offset:140
	;; [unrolled: 2-line block ×4, first 2 shown]
	s_waitcnt lgkmcnt(0)
	buffer_store_byte v2, off, s[0:3], 0 offset:152
	s_and_saveexec_b32 s5, s6
	s_cbranch_execz .LBB2041_473
; %bb.472:
	s_clause 0x3
	buffer_load_dword v3, off, s[0:3], 0 offset:12
	buffer_load_dword v5, off, s[0:3], 0 offset:8
	;; [unrolled: 1-line block ×3, first 2 shown]
	buffer_load_dword v10, off, s[0:3], 0
	v_mov_b32_e32 v2, v1
	s_waitcnt vmcnt(3)
	buffer_store_dword v3, off, s[0:3], 0 offset:148
	s_waitcnt vmcnt(2)
	buffer_store_dword v5, off, s[0:3], 0 offset:144
	;; [unrolled: 2-line block ×4, first 2 shown]
	buffer_store_byte v1, off, s[0:3], 0 offset:152
.LBB2041_473:
	s_or_b32 exec_lo, exec_lo, s5
	s_clause 0x4
	buffer_load_dword v4, off, s[0:3], 0 offset:220
	buffer_load_dword v6, off, s[0:3], 0 offset:216
	;; [unrolled: 1-line block ×5, first 2 shown]
	v_perm_b32 v7, v2, v7, 0x3020104
	buffer_store_dword v10, off, s[0:3], 0 offset:96
	buffer_store_dword v8, off, s[0:3], 0 offset:100
	;; [unrolled: 1-line block ×5, first 2 shown]
	s_waitcnt vmcnt(4)
	buffer_store_dword v4, off, s[0:3], 0 offset:128
	s_waitcnt vmcnt(3)
	buffer_store_dword v6, off, s[0:3], 0 offset:124
	;; [unrolled: 2-line block ×5, first 2 shown]
                                        ; implicit-def: $vgpr3
                                        ; implicit-def: $vgpr4
                                        ; implicit-def: $vgpr6
                                        ; implicit-def: $vgpr5
	s_and_saveexec_b32 s5, s4
	s_xor_b32 s4, exec_lo, s5
	s_cbranch_execz .LBB2041_483
; %bb.474:
	v_mov_b32_e32 v3, 0
                                        ; implicit-def: $vgpr5
                                        ; implicit-def: $vgpr4
                                        ; implicit-def: $vgpr6
	v_cmp_ne_u16_sdwa s5, v1, v3 src0_sel:BYTE_0 src1_sel:DWORD
                                        ; implicit-def: $vgpr3
	s_and_saveexec_b32 s6, s5
	s_xor_b32 s5, exec_lo, s6
	s_cbranch_execz .LBB2041_476
; %bb.475:
	s_clause 0x3
	buffer_load_dword v3, off, s[0:3], 0 offset:116
	buffer_load_dword v4, off, s[0:3], 0 offset:120
	;; [unrolled: 1-line block ×4, first 2 shown]
.LBB2041_476:
	s_andn2_saveexec_b32 s5, s5
	s_cbranch_execz .LBB2041_482
; %bb.477:
	s_waitcnt vmcnt(3)
	v_mov_b32_e32 v3, 0
	s_mov_b32 s6, 0
.LBB2041_478:                           ; =>This Inner Loop Header: Depth=1
	s_waitcnt vmcnt(2)
	v_mov_b32_e32 v4, s6
	s_add_i32 s6, s6, 4
	s_cmp_lg_u32 s6, 16
	buffer_store_dword v3, v4, s[0:3], 0 offen
	s_cbranch_scc1 .LBB2041_478
; %bb.479:
	s_mov_b32 s6, 0
	.p2align	6
.LBB2041_480:                           ; =>This Inner Loop Header: Depth=1
	v_add_nc_u32_e64 v3, 0x60, s6
	v_add_nc_u32_e64 v4, 0x74, s6
	s_waitcnt vmcnt(0)
	v_mov_b32_e32 v5, s6
	s_add_i32 s6, s6, 4
	s_clause 0x1
	buffer_load_dword v3, v3, s[0:3], 0 offen
	buffer_load_dword v4, v4, s[0:3], 0 offen
	s_cmp_lg_u32 s6, 16
	s_waitcnt vmcnt(0)
	v_add_nc_u32_e32 v3, v4, v3
	buffer_store_dword v3, v5, s[0:3], 0 offen
	s_cbranch_scc1 .LBB2041_480
; %bb.481:
	s_clause 0x3
	buffer_load_dword v3, off, s[0:3], 0
	buffer_load_dword v4, off, s[0:3], 0 offset:4
	buffer_load_dword v6, off, s[0:3], 0 offset:8
	;; [unrolled: 1-line block ×3, first 2 shown]
.LBB2041_482:
	s_or_b32 exec_lo, exec_lo, s5
	v_and_b32_e32 v2, 1, v2
	s_waitcnt vmcnt(3)
	buffer_store_dword v3, off, s[0:3], 0 offset:116
	s_waitcnt vmcnt(2)
	buffer_store_dword v4, off, s[0:3], 0 offset:120
	;; [unrolled: 2-line block ×4, first 2 shown]
	;;#ASMSTART
	;;#ASMEND
	v_or_b32_e32 v1, v1, v2
.LBB2041_483:
	s_andn2_saveexec_b32 s4, s4
	s_cbranch_execz .LBB2041_485
; %bb.484:
	s_clause 0x3
	buffer_load_dword v3, off, s[0:3], 0 offset:116
	buffer_load_dword v4, off, s[0:3], 0 offset:120
	buffer_load_dword v6, off, s[0:3], 0 offset:124
	buffer_load_dword v5, off, s[0:3], 0 offset:128
.LBB2041_485:
	s_or_b32 exec_lo, exec_lo, s4
	s_clause 0x6
	buffer_load_dword v7, off, s[0:3], 0 offset:128
	buffer_load_dword v8, off, s[0:3], 0 offset:124
	buffer_load_ushort v10, off, s[0:3], 0 offset:133
	buffer_load_ubyte v11, off, s[0:3], 0 offset:135
	buffer_load_dword v12, off, s[0:3], 0 offset:120
	buffer_load_dword v13, off, s[0:3], 0 offset:116
	buffer_load_ubyte v2, off, s[0:3], 0 offset:244
	s_waitcnt vmcnt(6)
	buffer_store_dword v7, off, s[0:3], 0 offset:220
	s_waitcnt vmcnt(5)
	buffer_store_dword v8, off, s[0:3], 0 offset:216
	s_waitcnt vmcnt(4)
	v_perm_b32 v7, v1, v10, 0xc0c0004
	s_waitcnt vmcnt(3)
	v_perm_b32 v8, v10, v11, 0xc0c0005
	s_waitcnt vmcnt(2)
	buffer_store_dword v12, off, s[0:3], 0 offset:212
	s_waitcnt vmcnt(1)
	buffer_store_dword v13, off, s[0:3], 0 offset:208
	buffer_store_byte v1, off, s[0:3], 0 offset:224
	buffer_store_dword v3, off, s[0:3], 0
	s_waitcnt vmcnt(0)
	v_cmp_ne_u16_e64 s4, 0, v2
	v_lshl_or_b32 v3, v8, 16, v7
                                        ; implicit-def: $vgpr7
	buffer_store_dword v4, off, s[0:3], 0 offset:4
	buffer_store_dword v6, off, s[0:3], 0 offset:8
	;; [unrolled: 1-line block ×4, first 2 shown]
                                        ; implicit-def: $vgpr4
                                        ; implicit-def: $vgpr5
                                        ; implicit-def: $vgpr6
	s_and_saveexec_b32 s5, s4
	s_xor_b32 s4, exec_lo, s5
	s_cbranch_execz .LBB2041_487
; %bb.486:
	s_clause 0x3
	buffer_load_dword v4, off, s[0:3], 0 offset:228
	buffer_load_dword v5, off, s[0:3], 0 offset:232
	;; [unrolled: 1-line block ×4, first 2 shown]
.LBB2041_487:
	s_andn2_saveexec_b32 s4, s4
	s_cbranch_execz .LBB2041_493
; %bb.488:
	v_mov_b32_e32 v3, 0
	s_mov_b32 s5, 0
.LBB2041_489:                           ; =>This Inner Loop Header: Depth=1
	s_waitcnt vmcnt(3)
	v_add_nc_u32_e64 v4, 0xb0, s5
	s_add_i32 s5, s5, 4
	s_cmp_lg_u32 s5, 16
	buffer_store_dword v3, v4, s[0:3], 0 offen
	s_cbranch_scc1 .LBB2041_489
; %bb.490:
	s_mov_b32 s5, 0
	.p2align	6
.LBB2041_491:                           ; =>This Inner Loop Header: Depth=1
	v_mov_b32_e32 v3, s5
	v_add_nc_u32_e64 v4, 0xd0, s5
	s_waitcnt vmcnt(2)
	v_add_nc_u32_e64 v5, 0xb0, s5
	s_add_i32 s5, s5, 4
	s_clause 0x1
	buffer_load_dword v3, v3, s[0:3], 0 offen
	buffer_load_dword v4, v4, s[0:3], 0 offen offset:20
	s_cmp_lg_u32 s5, 16
	s_waitcnt vmcnt(0)
	v_add_nc_u32_e32 v3, v4, v3
	buffer_store_dword v3, v5, s[0:3], 0 offen
	s_cbranch_scc1 .LBB2041_491
; %bb.492:
	s_clause 0x3
	buffer_load_dword v4, off, s[0:3], 0 offset:176
	buffer_load_dword v5, off, s[0:3], 0 offset:180
	;; [unrolled: 1-line block ×4, first 2 shown]
.LBB2041_493:
	s_or_b32 exec_lo, exec_lo, s4
	buffer_load_ubyte v3, off, s[0:3], 0 offset:264
	v_or_b32_e32 v1, v2, v1
	v_mov_b32_e32 v2, s19
	s_waitcnt vmcnt(4)
	buffer_store_dword v4, off, s[0:3], 0
	s_waitcnt vmcnt(3)
	buffer_store_dword v5, off, s[0:3], 0 offset:4
	s_waitcnt vmcnt(2)
	buffer_store_dword v6, off, s[0:3], 0 offset:8
	;; [unrolled: 2-line block ×3, first 2 shown]
	buffer_store_dword v7, v2, s[0:3], 0 offen offset:12
                                        ; implicit-def: $vgpr7
	buffer_store_dword v6, v2, s[0:3], 0 offen offset:8
	buffer_store_dword v5, v2, s[0:3], 0 offen offset:4
	buffer_store_dword v4, v2, s[0:3], 0 offen
	buffer_store_byte v1, off, s[0:3], 0 offset:244
                                        ; implicit-def: $vgpr4
                                        ; implicit-def: $vgpr5
                                        ; implicit-def: $vgpr6
	s_waitcnt vmcnt(0)
	v_cmp_ne_u16_e64 s4, 0, v3
	s_and_saveexec_b32 s5, s4
	s_xor_b32 s4, exec_lo, s5
	s_cbranch_execz .LBB2041_495
; %bb.494:
	s_clause 0x3
	buffer_load_dword v4, off, s[0:3], 0 offset:248
	buffer_load_dword v5, off, s[0:3], 0 offset:252
	;; [unrolled: 1-line block ×4, first 2 shown]
.LBB2041_495:
	s_andn2_saveexec_b32 s4, s4
	s_cbranch_execz .LBB2041_501
; %bb.496:
	v_mov_b32_e32 v2, 0
	s_mov_b32 s5, 0
.LBB2041_497:                           ; =>This Inner Loop Header: Depth=1
	s_waitcnt vmcnt(3)
	v_add_nc_u32_e64 v4, 0xb0, s5
	s_add_i32 s5, s5, 4
	s_cmp_lg_u32 s5, 16
	buffer_store_dword v2, v4, s[0:3], 0 offen
	s_cbranch_scc1 .LBB2041_497
; %bb.498:
	s_mov_b32 s5, 0
	.p2align	6
.LBB2041_499:                           ; =>This Inner Loop Header: Depth=1
	v_mov_b32_e32 v2, s5
	v_add_nc_u32_e64 v4, 0xd0, s5
	s_waitcnt vmcnt(2)
	v_add_nc_u32_e64 v5, 0xb0, s5
	s_add_i32 s5, s5, 4
	s_clause 0x1
	buffer_load_dword v2, v2, s[0:3], 0 offen
	buffer_load_dword v4, v4, s[0:3], 0 offen offset:40
	s_cmp_lg_u32 s5, 16
	s_waitcnt vmcnt(0)
	v_add_nc_u32_e32 v2, v4, v2
	buffer_store_dword v2, v5, s[0:3], 0 offen
	s_cbranch_scc1 .LBB2041_499
; %bb.500:
	s_clause 0x3
	buffer_load_dword v4, off, s[0:3], 0 offset:176
	buffer_load_dword v5, off, s[0:3], 0 offset:180
	;; [unrolled: 1-line block ×4, first 2 shown]
.LBB2041_501:
	s_or_b32 exec_lo, exec_lo, s4
	buffer_load_ubyte v2, off, s[0:3], 0 offset:284
	v_mov_b32_e32 v8, 0
	v_and_b32_e32 v3, 1, v3
	v_cmp_ne_u16_sdwa s5, v1, v8 src0_sel:BYTE_0 src1_sel:DWORD
	v_cmp_eq_u32_e64 s4, 1, v3
	v_mov_b32_e32 v3, s33
	s_waitcnt vmcnt(4)
	buffer_store_dword v4, off, s[0:3], 0
	s_waitcnt vmcnt(3)
	buffer_store_dword v5, off, s[0:3], 0 offset:4
	s_waitcnt vmcnt(2)
	buffer_store_dword v6, off, s[0:3], 0 offset:8
	;; [unrolled: 2-line block ×3, first 2 shown]
	buffer_store_dword v7, v3, s[0:3], 0 offen offset:12
	s_or_b32 s5, s5, s4
	v_cndmask_b32_e64 v1, 0, 1, s5
	buffer_store_dword v6, v3, s[0:3], 0 offen offset:8
	buffer_store_dword v5, v3, s[0:3], 0 offen offset:4
	buffer_store_dword v4, v3, s[0:3], 0 offen
	buffer_store_byte v1, off, s[0:3], 0 offset:264
                                        ; implicit-def: $vgpr6
                                        ; implicit-def: $vgpr3
                                        ; implicit-def: $vgpr4
                                        ; implicit-def: $vgpr5
	s_waitcnt vmcnt(0)
	v_cmp_ne_u16_e64 s4, 0, v2
	s_and_saveexec_b32 s6, s4
	s_xor_b32 s4, exec_lo, s6
	s_cbranch_execz .LBB2041_503
; %bb.502:
	s_clause 0x3
	buffer_load_dword v3, off, s[0:3], 0 offset:268
	buffer_load_dword v4, off, s[0:3], 0 offset:272
	;; [unrolled: 1-line block ×4, first 2 shown]
.LBB2041_503:
	s_andn2_saveexec_b32 s4, s4
	s_cbranch_execz .LBB2041_509
; %bb.504:
	v_mov_b32_e32 v1, 0
	s_mov_b32 s6, 0
.LBB2041_505:                           ; =>This Inner Loop Header: Depth=1
	s_waitcnt vmcnt(3)
	v_add_nc_u32_e64 v3, 0xb0, s6
	s_add_i32 s6, s6, 4
	s_cmp_lg_u32 s6, 16
	buffer_store_dword v1, v3, s[0:3], 0 offen
	s_cbranch_scc1 .LBB2041_505
; %bb.506:
	s_mov_b32 s6, 0
	.p2align	6
.LBB2041_507:                           ; =>This Inner Loop Header: Depth=1
	v_mov_b32_e32 v1, s6
	v_add_nc_u32_e64 v3, 0xd0, s6
	s_waitcnt vmcnt(2)
	v_add_nc_u32_e64 v4, 0xb0, s6
	s_add_i32 s6, s6, 4
	s_clause 0x1
	buffer_load_dword v1, v1, s[0:3], 0 offen
	buffer_load_dword v3, v3, s[0:3], 0 offen offset:60
	s_cmp_lg_u32 s6, 16
	s_waitcnt vmcnt(0)
	v_add_nc_u32_e32 v1, v3, v1
	buffer_store_dword v1, v4, s[0:3], 0 offen
	s_cbranch_scc1 .LBB2041_507
; %bb.508:
	s_clause 0x3
	buffer_load_dword v3, off, s[0:3], 0 offset:176
	buffer_load_dword v4, off, s[0:3], 0 offset:180
	;; [unrolled: 1-line block ×4, first 2 shown]
.LBB2041_509:
	s_or_b32 exec_lo, exec_lo, s4
	buffer_load_ubyte v1, off, s[0:3], 0 offset:304
	v_and_b32_e32 v2, 1, v2
	v_mov_b32_e32 v7, s34
	s_waitcnt vmcnt(4)
	buffer_store_dword v3, off, s[0:3], 0
	s_waitcnt vmcnt(3)
	buffer_store_dword v4, off, s[0:3], 0 offset:4
	s_waitcnt vmcnt(2)
	buffer_store_dword v5, off, s[0:3], 0 offset:8
	s_waitcnt vmcnt(1)
	buffer_store_dword v6, off, s[0:3], 0 offset:12
	buffer_store_dword v6, v7, s[0:3], 0 offen offset:12
	v_cmp_eq_u32_e64 s4, 1, v2
	s_or_b32 s5, s4, s5
	v_cndmask_b32_e64 v2, 0, 1, s5
	buffer_store_dword v5, v7, s[0:3], 0 offen offset:8
	buffer_store_dword v4, v7, s[0:3], 0 offen offset:4
	buffer_store_dword v3, v7, s[0:3], 0 offen
	buffer_store_byte v2, off, s[0:3], 0 offset:284
                                        ; implicit-def: $vgpr4
                                        ; implicit-def: $vgpr2
                                        ; implicit-def: $vgpr3
                                        ; implicit-def: $vgpr5
	s_waitcnt vmcnt(0)
	v_cmp_ne_u16_e64 s4, 0, v1
	s_and_saveexec_b32 s6, s4
	s_xor_b32 s4, exec_lo, s6
	s_cbranch_execz .LBB2041_511
; %bb.510:
	s_clause 0x3
	buffer_load_dword v2, off, s[0:3], 0 offset:288
	buffer_load_dword v3, off, s[0:3], 0 offset:292
	;; [unrolled: 1-line block ×4, first 2 shown]
.LBB2041_511:
	s_andn2_saveexec_b32 s4, s4
	s_cbranch_execz .LBB2041_517
; %bb.512:
	s_waitcnt vmcnt(3)
	v_mov_b32_e32 v2, 0
	s_mov_b32 s6, 0
.LBB2041_513:                           ; =>This Inner Loop Header: Depth=1
	s_waitcnt vmcnt(2)
	v_add_nc_u32_e64 v3, 0xb0, s6
	s_add_i32 s6, s6, 4
	s_cmp_lg_u32 s6, 16
	buffer_store_dword v2, v3, s[0:3], 0 offen
	s_cbranch_scc1 .LBB2041_513
; %bb.514:
	s_mov_b32 s6, 0
	.p2align	6
.LBB2041_515:                           ; =>This Inner Loop Header: Depth=1
	v_mov_b32_e32 v2, s6
	v_add_nc_u32_e64 v3, 0xd0, s6
	s_waitcnt vmcnt(0)
	v_add_nc_u32_e64 v4, 0xb0, s6
	s_add_i32 s6, s6, 4
	s_clause 0x1
	buffer_load_dword v2, v2, s[0:3], 0 offen
	buffer_load_dword v3, v3, s[0:3], 0 offen offset:80
	s_cmp_lg_u32 s6, 16
	s_waitcnt vmcnt(0)
	v_add_nc_u32_e32 v2, v3, v2
	buffer_store_dword v2, v4, s[0:3], 0 offen
	s_cbranch_scc1 .LBB2041_515
; %bb.516:
	s_clause 0x3
	buffer_load_dword v2, off, s[0:3], 0 offset:176
	buffer_load_dword v3, off, s[0:3], 0 offset:180
	;; [unrolled: 1-line block ×4, first 2 shown]
.LBB2041_517:
	s_or_b32 exec_lo, exec_lo, s4
	v_mov_b32_e32 v6, 0
	v_and_b32_e32 v1, 1, v1
	ds_read2_b32 v[10:11], v6 offset0:37 offset1:38
	ds_read_u8 v7, v6 offset:156
	ds_read2_b32 v[12:13], v6 offset0:35 offset1:36
	v_cmp_eq_u32_e64 s4, 1, v1
	v_mov_b32_e32 v1, s35
	s_or_b32 s4, s4, s5
	v_cndmask_b32_e64 v8, 0, 1, s4
	s_waitcnt vmcnt(0)
	buffer_store_dword v4, v1, s[0:3], 0 offen offset:12
	buffer_store_dword v5, v1, s[0:3], 0 offen offset:8
	;; [unrolled: 1-line block ×3, first 2 shown]
	buffer_store_dword v2, v1, s[0:3], 0 offen
	buffer_store_byte v8, off, s[0:3], 0 offset:304
	s_waitcnt lgkmcnt(2)
	buffer_store_dword v11, off, s[0:3], 0 offset:168
	buffer_store_dword v10, off, s[0:3], 0 offset:164
	s_waitcnt lgkmcnt(0)
	buffer_store_dword v13, off, s[0:3], 0 offset:160
	buffer_store_dword v12, off, s[0:3], 0 offset:156
	buffer_store_byte v7, off, s[0:3], 0 offset:172
	s_and_saveexec_b32 s4, vcc_lo
	s_cbranch_execz .LBB2041_519
; %bb.518:
	s_clause 0x3
	buffer_load_dword v1, off, s[0:3], 0 offset:156
	buffer_load_dword v2, off, s[0:3], 0 offset:160
	;; [unrolled: 1-line block ×4, first 2 shown]
	v_mov_b32_e32 v5, 2
	global_store_byte v6, v7, s[14:15] offset:656
	s_waitcnt vmcnt(0)
	global_store_dwordx4 v6, v[1:4], s[14:15] offset:640
	s_waitcnt_vscnt null, 0x0
	buffer_gl1_inv
	buffer_gl0_inv
	global_store_byte v6, v5, s[16:17] offset:32
.LBB2041_519:
	s_or_b32 exec_lo, exec_lo, s4
.LBB2041_520:
	v_mov_b32_e32 v1, 0
	s_mov_b32 s4, 0
.LBB2041_521:                           ; =>This Inner Loop Header: Depth=1
	v_mov_b32_e32 v2, s4
	s_add_i32 s4, s4, 4
	s_cmp_lg_u32 s4, 16
	buffer_store_dword v1, v2, s[0:3], 0 offen
	s_cbranch_scc1 .LBB2041_521
; %bb.522:
	v_mov_b32_e32 v1, 0
	s_mov_b32 s4, 16
.LBB2041_523:                           ; =>This Inner Loop Header: Depth=1
	v_mov_b32_e32 v2, s4
	s_add_i32 s4, s4, 4
	s_cmp_lg_u32 s4, 32
	buffer_store_dword v1, v2, s[0:3], 0 offen
	s_cbranch_scc1 .LBB2041_523
; %bb.524:
	;; [unrolled: 9-line block ×4, first 2 shown]
	v_mov_b32_e32 v1, 0
	s_mov_b32 s4, 64
.LBB2041_529:                           ; =>This Inner Loop Header: Depth=1
	v_mov_b32_e32 v2, s4
	s_add_i32 s4, s4, 4
	s_cmpk_lg_i32 s4, 0x50
	buffer_store_dword v1, v2, s[0:3], 0 offen
	s_cbranch_scc1 .LBB2041_529
; %bb.530:
	s_add_u32 s5, s26, s10
	s_addc_u32 s6, s27, s11
	s_add_u32 s5, s5, s20
	s_mov_b32 s4, 64
	s_mov_b32 s7, 48
	;; [unrolled: 1-line block ×4, first 2 shown]
	s_addc_u32 s6, s6, s21
	s_and_b32 vcc_lo, exec_lo, s37
	s_cbranch_vccz .LBB2041_546
; %bb.531:
	v_mul_u32_u24_e32 v1, 5, v0
	s_add_i32 s36, s36, s18
	s_mov_b32 s10, exec_lo
	v_cmpx_gt_u32_e64 s36, v1
	s_cbranch_execz .LBB2041_537
; %bb.532:
	s_clause 0x3
	buffer_load_dword v2, off, s[0:3], 0 offset:220
	buffer_load_dword v3, off, s[0:3], 0 offset:216
	;; [unrolled: 1-line block ×4, first 2 shown]
	v_add_nc_u32_e32 v6, 1, v1
	s_waitcnt vmcnt(3)
	buffer_store_dword v2, off, s[0:3], 0 offset:12
	s_waitcnt vmcnt(2)
	buffer_store_dword v3, off, s[0:3], 0 offset:8
	s_waitcnt vmcnt(1)
	buffer_store_dword v4, off, s[0:3], 0 offset:4
	s_waitcnt vmcnt(0)
	buffer_store_dword v5, off, s[0:3], 0
	v_cmp_gt_u32_e32 vcc_lo, s36, v6
	s_and_b32 exec_lo, exec_lo, vcc_lo
	s_cbranch_execz .LBB2041_537
; %bb.533:
	v_mov_b32_e32 v2, s19
	v_add_nc_u32_e32 v6, 2, v1
	v_mov_b32_e32 v7, s9
	s_clause 0x3
	buffer_load_dword v3, v2, s[0:3], 0 offen offset:12
	buffer_load_dword v4, v2, s[0:3], 0 offen offset:8
	buffer_load_dword v5, v2, s[0:3], 0 offen offset:4
	buffer_load_dword v2, v2, s[0:3], 0 offen
	v_cmp_gt_u32_e32 vcc_lo, s36, v6
	s_waitcnt vmcnt(3)
	buffer_store_dword v3, v7, s[0:3], 0 offen offset:12
	s_waitcnt vmcnt(2)
	buffer_store_dword v4, v7, s[0:3], 0 offen offset:8
	s_waitcnt vmcnt(1)
	buffer_store_dword v5, v7, s[0:3], 0 offen offset:4
	s_waitcnt vmcnt(0)
	buffer_store_dword v2, v7, s[0:3], 0 offen
	s_and_b32 exec_lo, exec_lo, vcc_lo
	s_cbranch_execz .LBB2041_537
; %bb.534:
	v_mov_b32_e32 v2, s33
	v_add_nc_u32_e32 v6, 3, v1
	v_mov_b32_e32 v7, s8
	s_clause 0x3
	buffer_load_dword v3, v2, s[0:3], 0 offen offset:12
	buffer_load_dword v4, v2, s[0:3], 0 offen offset:8
	buffer_load_dword v5, v2, s[0:3], 0 offen offset:4
	buffer_load_dword v2, v2, s[0:3], 0 offen
	v_cmp_gt_u32_e32 vcc_lo, s36, v6
	s_waitcnt vmcnt(3)
	buffer_store_dword v3, v7, s[0:3], 0 offen offset:12
	s_waitcnt vmcnt(2)
	buffer_store_dword v4, v7, s[0:3], 0 offen offset:8
	s_waitcnt vmcnt(1)
	buffer_store_dword v5, v7, s[0:3], 0 offen offset:4
	s_waitcnt vmcnt(0)
	buffer_store_dword v2, v7, s[0:3], 0 offen
	;; [unrolled: 20-line block ×3, first 2 shown]
	s_and_b32 exec_lo, exec_lo, vcc_lo
	s_cbranch_execz .LBB2041_537
; %bb.536:
	v_mov_b32_e32 v2, s35
	v_mov_b32_e32 v6, s4
	s_clause 0x3
	buffer_load_dword v3, v2, s[0:3], 0 offen offset:12
	buffer_load_dword v4, v2, s[0:3], 0 offen offset:8
	;; [unrolled: 1-line block ×3, first 2 shown]
	buffer_load_dword v2, v2, s[0:3], 0 offen
	s_waitcnt vmcnt(3)
	buffer_store_dword v3, v6, s[0:3], 0 offen offset:12
	s_waitcnt vmcnt(2)
	buffer_store_dword v4, v6, s[0:3], 0 offen offset:8
	;; [unrolled: 2-line block ×3, first 2 shown]
	s_waitcnt vmcnt(0)
	buffer_store_dword v2, v6, s[0:3], 0 offen
.LBB2041_537:
	s_or_b32 exec_lo, exec_lo, s10
	v_mov_b32_e32 v26, s8
	v_mov_b32_e32 v8, s9
	;; [unrolled: 1-line block ×3, first 2 shown]
	s_waitcnt_vscnt null, 0x0
	s_barrier
	buffer_gl0_inv
	s_clause 0x7
	buffer_load_dword v4, off, s[0:3], 0
	buffer_load_dword v5, off, s[0:3], 0 offset:4
	buffer_load_dword v6, off, s[0:3], 0 offset:8
	buffer_load_dword v7, off, s[0:3], 0 offset:12
	buffer_load_dword v10, v8, s[0:3], 0 offen
	buffer_load_dword v11, v8, s[0:3], 0 offen offset:4
	buffer_load_dword v12, v8, s[0:3], 0 offen offset:8
	;; [unrolled: 1-line block ×3, first 2 shown]
	v_mov_b32_e32 v28, s4
	s_clause 0xb
	buffer_load_dword v14, v26, s[0:3], 0 offen
	buffer_load_dword v15, v26, s[0:3], 0 offen offset:4
	buffer_load_dword v16, v26, s[0:3], 0 offen offset:8
	buffer_load_dword v17, v26, s[0:3], 0 offen offset:12
	buffer_load_dword v18, v27, s[0:3], 0 offen
	buffer_load_dword v19, v27, s[0:3], 0 offen offset:4
	buffer_load_dword v20, v27, s[0:3], 0 offen offset:8
	buffer_load_dword v21, v27, s[0:3], 0 offen offset:12
	;; [unrolled: 4-line block ×3, first 2 shown]
	v_lshlrev_b32_e32 v1, 4, v1
	v_lshlrev_b32_e32 v2, 6, v0
	s_waitcnt vmcnt(16)
	ds_write_b128 v1, v[4:7]
	s_waitcnt vmcnt(12)
	ds_write_b128 v1, v[10:13] offset:16
	s_waitcnt vmcnt(8)
	ds_write_b128 v1, v[14:17] offset:32
	;; [unrolled: 2-line block ×4, first 2 shown]
	v_sub_nc_u32_e32 v3, v1, v2
	s_waitcnt lgkmcnt(0)
	s_barrier
	buffer_gl0_inv
	ds_read_b128 v[4:7], v3 offset:4096
	ds_read_b128 v[10:13], v3 offset:8192
	ds_read_b128 v[14:17], v3 offset:12288
	ds_read_b128 v[18:21], v3 offset:16384
	v_add_co_u32 v1, s10, s5, v9
	v_add_co_ci_u32_e64 v2, null, s6, 0, s10
	s_mov_b32 s10, exec_lo
	s_waitcnt lgkmcnt(3)
	buffer_store_dword v7, v8, s[0:3], 0 offen offset:12
	buffer_store_dword v6, v8, s[0:3], 0 offen offset:8
	buffer_store_dword v5, v8, s[0:3], 0 offen offset:4
	buffer_store_dword v4, v8, s[0:3], 0 offen
	s_waitcnt lgkmcnt(2)
	buffer_store_dword v13, v26, s[0:3], 0 offen offset:12
	buffer_store_dword v12, v26, s[0:3], 0 offen offset:8
	buffer_store_dword v11, v26, s[0:3], 0 offen offset:4
	buffer_store_dword v10, v26, s[0:3], 0 offen
	;; [unrolled: 5-line block ×4, first 2 shown]
	v_cmpx_gt_u32_e64 s36, v0
	s_cbranch_execz .LBB2041_539
; %bb.538:
	ds_read2_b32 v[5:6], v3 offset0:2 offset1:3
	ds_read2_b32 v[3:4], v3 offset1:1
	s_waitcnt lgkmcnt(0)
	flat_store_dwordx4 v[1:2], v[3:6]
.LBB2041_539:
	s_or_b32 exec_lo, exec_lo, s10
	v_or_b32_e32 v3, 0x100, v0
	s_mov_b32 s10, exec_lo
	v_cmpx_gt_u32_e64 s36, v3
	s_cbranch_execz .LBB2041_541
; %bb.540:
	v_mov_b32_e32 v6, s9
	v_add_co_u32 v7, vcc_lo, 0x1000, v1
	v_add_co_ci_u32_e64 v8, null, 0, v2, vcc_lo
	s_clause 0x3
	buffer_load_dword v3, v6, s[0:3], 0 offen
	buffer_load_dword v4, v6, s[0:3], 0 offen offset:4
	buffer_load_dword v5, v6, s[0:3], 0 offen offset:8
	buffer_load_dword v6, v6, s[0:3], 0 offen offset:12
	s_waitcnt vmcnt(0)
	flat_store_dwordx4 v[7:8], v[3:6]
.LBB2041_541:
	s_or_b32 exec_lo, exec_lo, s10
	v_or_b32_e32 v3, 0x200, v0
	s_mov_b32 s10, exec_lo
	v_cmpx_gt_u32_e64 s36, v3
	s_cbranch_execz .LBB2041_543
; %bb.542:
	v_mov_b32_e32 v6, s8
	v_add_co_u32 v7, vcc_lo, 0x2000, v1
	v_add_co_ci_u32_e64 v8, null, 0, v2, vcc_lo
	s_clause 0x3
	buffer_load_dword v3, v6, s[0:3], 0 offen
	buffer_load_dword v4, v6, s[0:3], 0 offen offset:4
	buffer_load_dword v5, v6, s[0:3], 0 offen offset:8
	buffer_load_dword v6, v6, s[0:3], 0 offen offset:12
	s_waitcnt vmcnt(0)
	flat_store_dwordx4 v[7:8], v[3:6]
.LBB2041_543:
	;; [unrolled: 17-line block ×3, first 2 shown]
	s_or_b32 exec_lo, exec_lo, s10
	v_or_b32_e32 v1, 0x400, v0
	v_cmp_gt_u32_e64 s10, s36, v1
	s_branch .LBB2041_548
.LBB2041_546:
	s_mov_b32 s10, 0
	s_cbranch_execz .LBB2041_548
; %bb.547:
	v_mov_b32_e32 v2, s33
	v_mov_b32_e32 v1, s19
	;; [unrolled: 1-line block ×4, first 2 shown]
	s_clause 0x13
	buffer_load_dword v3, off, s[0:3], 0 offset:208
	buffer_load_dword v4, off, s[0:3], 0 offset:212
	;; [unrolled: 1-line block ×4, first 2 shown]
	buffer_load_dword v7, v1, s[0:3], 0 offen
	buffer_load_dword v8, v1, s[0:3], 0 offen offset:4
	buffer_load_dword v10, v1, s[0:3], 0 offen offset:12
	;; [unrolled: 1-line block ×6, first 2 shown]
	buffer_load_dword v2, v2, s[0:3], 0 offen
	buffer_load_dword v16, v11, s[0:3], 0 offen offset:12
	buffer_load_dword v17, v11, s[0:3], 0 offen offset:8
	;; [unrolled: 1-line block ×3, first 2 shown]
	buffer_load_dword v11, v11, s[0:3], 0 offen
	buffer_load_dword v19, v12, s[0:3], 0 offen offset:12
	buffer_load_dword v20, v12, s[0:3], 0 offen offset:8
	;; [unrolled: 1-line block ×3, first 2 shown]
	buffer_load_dword v12, v12, s[0:3], 0 offen
	v_mov_b32_e32 v27, s9
	v_mov_b32_e32 v28, s8
	;; [unrolled: 1-line block ×4, first 2 shown]
	v_mul_u32_u24_e32 v22, 0x50, v0
	v_lshlrev_b32_e32 v23, 6, v0
	s_or_b32 s10, s10, exec_lo
	s_waitcnt vmcnt(17)
	buffer_store_dword v5, off, s[0:3], 0 offset:12
	s_waitcnt vmcnt(16)
	buffer_store_dword v6, off, s[0:3], 0 offset:8
	buffer_store_dword v4, off, s[0:3], 0 offset:4
	buffer_store_dword v3, off, s[0:3], 0
	s_waitcnt vmcnt(13)
	buffer_store_dword v10, v27, s[0:3], 0 offen offset:12
	s_waitcnt vmcnt(12)
	buffer_store_dword v1, v27, s[0:3], 0 offen offset:8
	buffer_store_dword v8, v27, s[0:3], 0 offen offset:4
	buffer_store_dword v7, v27, s[0:3], 0 offen
	s_waitcnt vmcnt(11)
	buffer_store_dword v13, v28, s[0:3], 0 offen offset:12
	s_waitcnt vmcnt(10)
	buffer_store_dword v14, v28, s[0:3], 0 offen offset:8
	s_waitcnt vmcnt(9)
	buffer_store_dword v15, v28, s[0:3], 0 offen offset:4
	s_waitcnt vmcnt(8)
	buffer_store_dword v2, v28, s[0:3], 0 offen
	s_waitcnt vmcnt(7)
	buffer_store_dword v16, v29, s[0:3], 0 offen offset:12
	s_waitcnt vmcnt(6)
	buffer_store_dword v17, v29, s[0:3], 0 offen offset:8
	s_waitcnt vmcnt(5)
	buffer_store_dword v18, v29, s[0:3], 0 offen offset:4
	s_waitcnt vmcnt(4)
	;; [unrolled: 8-line block ×3, first 2 shown]
	buffer_store_dword v12, v30, s[0:3], 0 offen
	s_waitcnt lgkmcnt(0)
	s_waitcnt_vscnt null, 0x0
	s_barrier
	buffer_gl0_inv
	s_clause 0x13
	buffer_load_dword v1, off, s[0:3], 0
	buffer_load_dword v2, off, s[0:3], 0 offset:4
	buffer_load_dword v3, off, s[0:3], 0 offset:8
	;; [unrolled: 1-line block ×3, first 2 shown]
	buffer_load_dword v5, v27, s[0:3], 0 offen
	buffer_load_dword v6, v27, s[0:3], 0 offen offset:4
	buffer_load_dword v7, v27, s[0:3], 0 offen offset:8
	buffer_load_dword v8, v27, s[0:3], 0 offen offset:12
	buffer_load_dword v10, v28, s[0:3], 0 offen
	buffer_load_dword v11, v28, s[0:3], 0 offen offset:4
	buffer_load_dword v12, v28, s[0:3], 0 offen offset:8
	buffer_load_dword v13, v28, s[0:3], 0 offen offset:12
	;; [unrolled: 4-line block ×4, first 2 shown]
	v_sub_nc_u32_e32 v25, v22, v23
	s_waitcnt vmcnt(16)
	ds_write_b128 v22, v[1:4]
	s_waitcnt vmcnt(12)
	ds_write_b128 v22, v[5:8] offset:16
	s_waitcnt vmcnt(8)
	ds_write_b128 v22, v[10:13] offset:32
	;; [unrolled: 2-line block ×4, first 2 shown]
	s_waitcnt lgkmcnt(0)
	s_barrier
	buffer_gl0_inv
	ds_read_b128 v[1:4], v25 offset:4096
	ds_read_b128 v[5:8], v25 offset:8192
	v_add_co_u32 v21, s7, s5, v9
	ds_read_b128 v[9:12], v25 offset:12288
	ds_read_b128 v[13:16], v25 offset:16384
	ds_read2_b32 v[19:20], v25 offset0:2 offset1:3
	ds_read2_b32 v[17:18], v25 offset1:1
	v_add_co_ci_u32_e64 v22, null, s6, 0, s7
	v_add_co_u32 v23, vcc_lo, 0x1000, v21
	s_waitcnt lgkmcnt(5)
	buffer_store_dword v4, v27, s[0:3], 0 offen offset:12
	buffer_store_dword v3, v27, s[0:3], 0 offen offset:8
	buffer_store_dword v2, v27, s[0:3], 0 offen offset:4
	buffer_store_dword v1, v27, s[0:3], 0 offen
	s_waitcnt lgkmcnt(4)
	buffer_store_dword v8, v28, s[0:3], 0 offen offset:12
	buffer_store_dword v7, v28, s[0:3], 0 offen offset:8
	buffer_store_dword v6, v28, s[0:3], 0 offen offset:4
	buffer_store_dword v5, v28, s[0:3], 0 offen
	;; [unrolled: 5-line block ×4, first 2 shown]
	v_add_co_ci_u32_e64 v24, null, 0, v22, vcc_lo
	v_add_co_u32 v25, vcc_lo, 0x2000, v21
	v_add_co_ci_u32_e64 v26, null, 0, v22, vcc_lo
	s_waitcnt lgkmcnt(0)
	flat_store_dwordx4 v[21:22], v[17:20]
	flat_store_dwordx4 v[23:24], v[1:4]
	;; [unrolled: 1-line block ×3, first 2 shown]
	s_clause 0x3
	buffer_load_dword v1, v29, s[0:3], 0 offen
	buffer_load_dword v2, v29, s[0:3], 0 offen offset:4
	buffer_load_dword v3, v29, s[0:3], 0 offen offset:8
	;; [unrolled: 1-line block ×3, first 2 shown]
	v_add_co_u32 v5, vcc_lo, 0x3000, v21
	v_add_co_ci_u32_e64 v6, null, 0, v22, vcc_lo
	s_waitcnt vmcnt(0)
	flat_store_dwordx4 v[5:6], v[1:4]
.LBB2041_548:
	s_and_saveexec_b32 s7, s10
	s_cbranch_execnz .LBB2041_550
; %bb.549:
	s_endpgm
.LBB2041_550:
	v_mov_b32_e32 v4, s4
	v_lshlrev_b32_e32 v0, 4, v0
	s_clause 0x3
	buffer_load_dword v1, v4, s[0:3], 0 offen
	buffer_load_dword v2, v4, s[0:3], 0 offen offset:4
	buffer_load_dword v3, v4, s[0:3], 0 offen offset:8
	;; [unrolled: 1-line block ×3, first 2 shown]
	v_add_co_u32 v0, s4, s5, v0
	v_add_co_ci_u32_e64 v6, null, s6, 0, s4
	v_add_co_u32 v5, vcc_lo, 0x4000, v0
	v_add_co_ci_u32_e64 v6, null, 0, v6, vcc_lo
	s_waitcnt vmcnt(0)
	flat_store_dwordx4 v[5:6], v[1:4]
	s_endpgm
.LBB2041_551:
	v_add_co_u32 v12, s4, s40, v12
	v_add_co_ci_u32_e64 v13, null, s41, 0, s4
	flat_load_dwordx4 v[12:15], v[12:13]
	s_waitcnt vmcnt(0) lgkmcnt(0)
	buffer_store_dword v12, off, s[0:3], 0
	buffer_store_dword v13, off, s[0:3], 0 offset:4
	buffer_store_dword v14, off, s[0:3], 0 offset:8
	;; [unrolled: 1-line block ×3, first 2 shown]
	s_or_b32 exec_lo, exec_lo, s30
	s_and_saveexec_b32 s4, s5
	s_cbranch_execz .LBB2041_39
.LBB2041_552:
	v_lshlrev_b32_e32 v7, 4, v7
	v_add_co_u32 v12, s5, s40, v7
	v_add_co_ci_u32_e64 v13, null, s41, 0, s5
	flat_load_dwordx4 v[12:15], v[12:13]
	s_waitcnt vmcnt(0) lgkmcnt(0)
	buffer_store_dword v12, off, s[0:3], 0 offset:16
	buffer_store_dword v13, off, s[0:3], 0 offset:20
	;; [unrolled: 1-line block ×4, first 2 shown]
	s_or_b32 exec_lo, exec_lo, s4
	s_and_saveexec_b32 s4, s7
	s_cbranch_execz .LBB2041_40
.LBB2041_553:
	v_lshlrev_b32_e32 v7, 4, v8
	v_add_co_u32 v7, s5, s40, v7
	v_add_co_ci_u32_e64 v8, null, s41, 0, s5
	flat_load_dwordx4 v[12:15], v[7:8]
	s_waitcnt vmcnt(0) lgkmcnt(0)
	buffer_store_dword v12, off, s[0:3], 0 offset:32
	buffer_store_dword v13, off, s[0:3], 0 offset:36
	;; [unrolled: 1-line block ×4, first 2 shown]
	s_or_b32 exec_lo, exec_lo, s4
	s_and_saveexec_b32 s4, s8
	s_cbranch_execz .LBB2041_41
.LBB2041_554:
	v_lshlrev_b32_e32 v7, 4, v9
	v_add_co_u32 v7, s5, s40, v7
	v_add_co_ci_u32_e64 v8, null, s41, 0, s5
	flat_load_dwordx4 v[12:15], v[7:8]
	s_waitcnt vmcnt(0) lgkmcnt(0)
	buffer_store_dword v12, off, s[0:3], 0 offset:48
	buffer_store_dword v13, off, s[0:3], 0 offset:52
	;; [unrolled: 1-line block ×4, first 2 shown]
	s_or_b32 exec_lo, exec_lo, s4
	s_and_saveexec_b32 s4, s9
	s_cbranch_execnz .LBB2041_42
	s_branch .LBB2041_43
.LBB2041_555:
                                        ; implicit-def: $sgpr30_sgpr31
	s_branch .LBB2041_34
.LBB2041_556:
                                        ; implicit-def: $sgpr4_sgpr5
	s_branch .LBB2041_56
	.section	.rodata,"a",@progbits
	.p2align	6, 0x0
	.amdhsa_kernel _ZN7rocprim17ROCPRIM_400000_NS6detail17trampoline_kernelINS0_14default_configENS1_27scan_by_key_config_selectorIj11FixedVectorIiLj4EEEEZZNS1_16scan_by_key_implILNS1_25lookback_scan_determinismE0ELb0ES3_N6thrust23THRUST_200600_302600_NS6detail15normal_iteratorINSB_10device_ptrIjEEEENSD_INSE_IS6_EEEESI_S6_NSB_4plusIvEENSB_8equal_toIvEES6_EE10hipError_tPvRmT2_T3_T4_T5_mT6_T7_P12ihipStream_tbENKUlT_T0_E_clISt17integral_constantIbLb0EES13_EEDaSY_SZ_EUlSY_E_NS1_11comp_targetILNS1_3genE8ELNS1_11target_archE1030ELNS1_3gpuE2ELNS1_3repE0EEENS1_30default_config_static_selectorELNS0_4arch9wavefront6targetE0EEEvT1_
		.amdhsa_group_segment_fixed_size 20480
		.amdhsa_private_segment_fixed_size 320
		.amdhsa_kernarg_size 144
		.amdhsa_user_sgpr_count 6
		.amdhsa_user_sgpr_private_segment_buffer 1
		.amdhsa_user_sgpr_dispatch_ptr 0
		.amdhsa_user_sgpr_queue_ptr 0
		.amdhsa_user_sgpr_kernarg_segment_ptr 1
		.amdhsa_user_sgpr_dispatch_id 0
		.amdhsa_user_sgpr_flat_scratch_init 0
		.amdhsa_user_sgpr_private_segment_size 0
		.amdhsa_wavefront_size32 1
		.amdhsa_uses_dynamic_stack 0
		.amdhsa_system_sgpr_private_segment_wavefront_offset 1
		.amdhsa_system_sgpr_workgroup_id_x 1
		.amdhsa_system_sgpr_workgroup_id_y 0
		.amdhsa_system_sgpr_workgroup_id_z 0
		.amdhsa_system_sgpr_workgroup_info 0
		.amdhsa_system_vgpr_workitem_id 0
		.amdhsa_next_free_vgpr 65
		.amdhsa_next_free_sgpr 50
		.amdhsa_reserve_vcc 1
		.amdhsa_reserve_flat_scratch 1
		.amdhsa_float_round_mode_32 0
		.amdhsa_float_round_mode_16_64 0
		.amdhsa_float_denorm_mode_32 3
		.amdhsa_float_denorm_mode_16_64 3
		.amdhsa_dx10_clamp 1
		.amdhsa_ieee_mode 1
		.amdhsa_fp16_overflow 0
		.amdhsa_workgroup_processor_mode 1
		.amdhsa_memory_ordered 1
		.amdhsa_forward_progress 1
		.amdhsa_shared_vgpr_count 0
		.amdhsa_exception_fp_ieee_invalid_op 0
		.amdhsa_exception_fp_denorm_src 0
		.amdhsa_exception_fp_ieee_div_zero 0
		.amdhsa_exception_fp_ieee_overflow 0
		.amdhsa_exception_fp_ieee_underflow 0
		.amdhsa_exception_fp_ieee_inexact 0
		.amdhsa_exception_int_div_zero 0
	.end_amdhsa_kernel
	.section	.text._ZN7rocprim17ROCPRIM_400000_NS6detail17trampoline_kernelINS0_14default_configENS1_27scan_by_key_config_selectorIj11FixedVectorIiLj4EEEEZZNS1_16scan_by_key_implILNS1_25lookback_scan_determinismE0ELb0ES3_N6thrust23THRUST_200600_302600_NS6detail15normal_iteratorINSB_10device_ptrIjEEEENSD_INSE_IS6_EEEESI_S6_NSB_4plusIvEENSB_8equal_toIvEES6_EE10hipError_tPvRmT2_T3_T4_T5_mT6_T7_P12ihipStream_tbENKUlT_T0_E_clISt17integral_constantIbLb0EES13_EEDaSY_SZ_EUlSY_E_NS1_11comp_targetILNS1_3genE8ELNS1_11target_archE1030ELNS1_3gpuE2ELNS1_3repE0EEENS1_30default_config_static_selectorELNS0_4arch9wavefront6targetE0EEEvT1_,"axG",@progbits,_ZN7rocprim17ROCPRIM_400000_NS6detail17trampoline_kernelINS0_14default_configENS1_27scan_by_key_config_selectorIj11FixedVectorIiLj4EEEEZZNS1_16scan_by_key_implILNS1_25lookback_scan_determinismE0ELb0ES3_N6thrust23THRUST_200600_302600_NS6detail15normal_iteratorINSB_10device_ptrIjEEEENSD_INSE_IS6_EEEESI_S6_NSB_4plusIvEENSB_8equal_toIvEES6_EE10hipError_tPvRmT2_T3_T4_T5_mT6_T7_P12ihipStream_tbENKUlT_T0_E_clISt17integral_constantIbLb0EES13_EEDaSY_SZ_EUlSY_E_NS1_11comp_targetILNS1_3genE8ELNS1_11target_archE1030ELNS1_3gpuE2ELNS1_3repE0EEENS1_30default_config_static_selectorELNS0_4arch9wavefront6targetE0EEEvT1_,comdat
.Lfunc_end2041:
	.size	_ZN7rocprim17ROCPRIM_400000_NS6detail17trampoline_kernelINS0_14default_configENS1_27scan_by_key_config_selectorIj11FixedVectorIiLj4EEEEZZNS1_16scan_by_key_implILNS1_25lookback_scan_determinismE0ELb0ES3_N6thrust23THRUST_200600_302600_NS6detail15normal_iteratorINSB_10device_ptrIjEEEENSD_INSE_IS6_EEEESI_S6_NSB_4plusIvEENSB_8equal_toIvEES6_EE10hipError_tPvRmT2_T3_T4_T5_mT6_T7_P12ihipStream_tbENKUlT_T0_E_clISt17integral_constantIbLb0EES13_EEDaSY_SZ_EUlSY_E_NS1_11comp_targetILNS1_3genE8ELNS1_11target_archE1030ELNS1_3gpuE2ELNS1_3repE0EEENS1_30default_config_static_selectorELNS0_4arch9wavefront6targetE0EEEvT1_, .Lfunc_end2041-_ZN7rocprim17ROCPRIM_400000_NS6detail17trampoline_kernelINS0_14default_configENS1_27scan_by_key_config_selectorIj11FixedVectorIiLj4EEEEZZNS1_16scan_by_key_implILNS1_25lookback_scan_determinismE0ELb0ES3_N6thrust23THRUST_200600_302600_NS6detail15normal_iteratorINSB_10device_ptrIjEEEENSD_INSE_IS6_EEEESI_S6_NSB_4plusIvEENSB_8equal_toIvEES6_EE10hipError_tPvRmT2_T3_T4_T5_mT6_T7_P12ihipStream_tbENKUlT_T0_E_clISt17integral_constantIbLb0EES13_EEDaSY_SZ_EUlSY_E_NS1_11comp_targetILNS1_3genE8ELNS1_11target_archE1030ELNS1_3gpuE2ELNS1_3repE0EEENS1_30default_config_static_selectorELNS0_4arch9wavefront6targetE0EEEvT1_
                                        ; -- End function
	.set _ZN7rocprim17ROCPRIM_400000_NS6detail17trampoline_kernelINS0_14default_configENS1_27scan_by_key_config_selectorIj11FixedVectorIiLj4EEEEZZNS1_16scan_by_key_implILNS1_25lookback_scan_determinismE0ELb0ES3_N6thrust23THRUST_200600_302600_NS6detail15normal_iteratorINSB_10device_ptrIjEEEENSD_INSE_IS6_EEEESI_S6_NSB_4plusIvEENSB_8equal_toIvEES6_EE10hipError_tPvRmT2_T3_T4_T5_mT6_T7_P12ihipStream_tbENKUlT_T0_E_clISt17integral_constantIbLb0EES13_EEDaSY_SZ_EUlSY_E_NS1_11comp_targetILNS1_3genE8ELNS1_11target_archE1030ELNS1_3gpuE2ELNS1_3repE0EEENS1_30default_config_static_selectorELNS0_4arch9wavefront6targetE0EEEvT1_.num_vgpr, 36
	.set _ZN7rocprim17ROCPRIM_400000_NS6detail17trampoline_kernelINS0_14default_configENS1_27scan_by_key_config_selectorIj11FixedVectorIiLj4EEEEZZNS1_16scan_by_key_implILNS1_25lookback_scan_determinismE0ELb0ES3_N6thrust23THRUST_200600_302600_NS6detail15normal_iteratorINSB_10device_ptrIjEEEENSD_INSE_IS6_EEEESI_S6_NSB_4plusIvEENSB_8equal_toIvEES6_EE10hipError_tPvRmT2_T3_T4_T5_mT6_T7_P12ihipStream_tbENKUlT_T0_E_clISt17integral_constantIbLb0EES13_EEDaSY_SZ_EUlSY_E_NS1_11comp_targetILNS1_3genE8ELNS1_11target_archE1030ELNS1_3gpuE2ELNS1_3repE0EEENS1_30default_config_static_selectorELNS0_4arch9wavefront6targetE0EEEvT1_.num_agpr, 0
	.set _ZN7rocprim17ROCPRIM_400000_NS6detail17trampoline_kernelINS0_14default_configENS1_27scan_by_key_config_selectorIj11FixedVectorIiLj4EEEEZZNS1_16scan_by_key_implILNS1_25lookback_scan_determinismE0ELb0ES3_N6thrust23THRUST_200600_302600_NS6detail15normal_iteratorINSB_10device_ptrIjEEEENSD_INSE_IS6_EEEESI_S6_NSB_4plusIvEENSB_8equal_toIvEES6_EE10hipError_tPvRmT2_T3_T4_T5_mT6_T7_P12ihipStream_tbENKUlT_T0_E_clISt17integral_constantIbLb0EES13_EEDaSY_SZ_EUlSY_E_NS1_11comp_targetILNS1_3genE8ELNS1_11target_archE1030ELNS1_3gpuE2ELNS1_3repE0EEENS1_30default_config_static_selectorELNS0_4arch9wavefront6targetE0EEEvT1_.numbered_sgpr, 50
	.set _ZN7rocprim17ROCPRIM_400000_NS6detail17trampoline_kernelINS0_14default_configENS1_27scan_by_key_config_selectorIj11FixedVectorIiLj4EEEEZZNS1_16scan_by_key_implILNS1_25lookback_scan_determinismE0ELb0ES3_N6thrust23THRUST_200600_302600_NS6detail15normal_iteratorINSB_10device_ptrIjEEEENSD_INSE_IS6_EEEESI_S6_NSB_4plusIvEENSB_8equal_toIvEES6_EE10hipError_tPvRmT2_T3_T4_T5_mT6_T7_P12ihipStream_tbENKUlT_T0_E_clISt17integral_constantIbLb0EES13_EEDaSY_SZ_EUlSY_E_NS1_11comp_targetILNS1_3genE8ELNS1_11target_archE1030ELNS1_3gpuE2ELNS1_3repE0EEENS1_30default_config_static_selectorELNS0_4arch9wavefront6targetE0EEEvT1_.num_named_barrier, 0
	.set _ZN7rocprim17ROCPRIM_400000_NS6detail17trampoline_kernelINS0_14default_configENS1_27scan_by_key_config_selectorIj11FixedVectorIiLj4EEEEZZNS1_16scan_by_key_implILNS1_25lookback_scan_determinismE0ELb0ES3_N6thrust23THRUST_200600_302600_NS6detail15normal_iteratorINSB_10device_ptrIjEEEENSD_INSE_IS6_EEEESI_S6_NSB_4plusIvEENSB_8equal_toIvEES6_EE10hipError_tPvRmT2_T3_T4_T5_mT6_T7_P12ihipStream_tbENKUlT_T0_E_clISt17integral_constantIbLb0EES13_EEDaSY_SZ_EUlSY_E_NS1_11comp_targetILNS1_3genE8ELNS1_11target_archE1030ELNS1_3gpuE2ELNS1_3repE0EEENS1_30default_config_static_selectorELNS0_4arch9wavefront6targetE0EEEvT1_.private_seg_size, 320
	.set _ZN7rocprim17ROCPRIM_400000_NS6detail17trampoline_kernelINS0_14default_configENS1_27scan_by_key_config_selectorIj11FixedVectorIiLj4EEEEZZNS1_16scan_by_key_implILNS1_25lookback_scan_determinismE0ELb0ES3_N6thrust23THRUST_200600_302600_NS6detail15normal_iteratorINSB_10device_ptrIjEEEENSD_INSE_IS6_EEEESI_S6_NSB_4plusIvEENSB_8equal_toIvEES6_EE10hipError_tPvRmT2_T3_T4_T5_mT6_T7_P12ihipStream_tbENKUlT_T0_E_clISt17integral_constantIbLb0EES13_EEDaSY_SZ_EUlSY_E_NS1_11comp_targetILNS1_3genE8ELNS1_11target_archE1030ELNS1_3gpuE2ELNS1_3repE0EEENS1_30default_config_static_selectorELNS0_4arch9wavefront6targetE0EEEvT1_.uses_vcc, 1
	.set _ZN7rocprim17ROCPRIM_400000_NS6detail17trampoline_kernelINS0_14default_configENS1_27scan_by_key_config_selectorIj11FixedVectorIiLj4EEEEZZNS1_16scan_by_key_implILNS1_25lookback_scan_determinismE0ELb0ES3_N6thrust23THRUST_200600_302600_NS6detail15normal_iteratorINSB_10device_ptrIjEEEENSD_INSE_IS6_EEEESI_S6_NSB_4plusIvEENSB_8equal_toIvEES6_EE10hipError_tPvRmT2_T3_T4_T5_mT6_T7_P12ihipStream_tbENKUlT_T0_E_clISt17integral_constantIbLb0EES13_EEDaSY_SZ_EUlSY_E_NS1_11comp_targetILNS1_3genE8ELNS1_11target_archE1030ELNS1_3gpuE2ELNS1_3repE0EEENS1_30default_config_static_selectorELNS0_4arch9wavefront6targetE0EEEvT1_.uses_flat_scratch, 1
	.set _ZN7rocprim17ROCPRIM_400000_NS6detail17trampoline_kernelINS0_14default_configENS1_27scan_by_key_config_selectorIj11FixedVectorIiLj4EEEEZZNS1_16scan_by_key_implILNS1_25lookback_scan_determinismE0ELb0ES3_N6thrust23THRUST_200600_302600_NS6detail15normal_iteratorINSB_10device_ptrIjEEEENSD_INSE_IS6_EEEESI_S6_NSB_4plusIvEENSB_8equal_toIvEES6_EE10hipError_tPvRmT2_T3_T4_T5_mT6_T7_P12ihipStream_tbENKUlT_T0_E_clISt17integral_constantIbLb0EES13_EEDaSY_SZ_EUlSY_E_NS1_11comp_targetILNS1_3genE8ELNS1_11target_archE1030ELNS1_3gpuE2ELNS1_3repE0EEENS1_30default_config_static_selectorELNS0_4arch9wavefront6targetE0EEEvT1_.has_dyn_sized_stack, 0
	.set _ZN7rocprim17ROCPRIM_400000_NS6detail17trampoline_kernelINS0_14default_configENS1_27scan_by_key_config_selectorIj11FixedVectorIiLj4EEEEZZNS1_16scan_by_key_implILNS1_25lookback_scan_determinismE0ELb0ES3_N6thrust23THRUST_200600_302600_NS6detail15normal_iteratorINSB_10device_ptrIjEEEENSD_INSE_IS6_EEEESI_S6_NSB_4plusIvEENSB_8equal_toIvEES6_EE10hipError_tPvRmT2_T3_T4_T5_mT6_T7_P12ihipStream_tbENKUlT_T0_E_clISt17integral_constantIbLb0EES13_EEDaSY_SZ_EUlSY_E_NS1_11comp_targetILNS1_3genE8ELNS1_11target_archE1030ELNS1_3gpuE2ELNS1_3repE0EEENS1_30default_config_static_selectorELNS0_4arch9wavefront6targetE0EEEvT1_.has_recursion, 0
	.set _ZN7rocprim17ROCPRIM_400000_NS6detail17trampoline_kernelINS0_14default_configENS1_27scan_by_key_config_selectorIj11FixedVectorIiLj4EEEEZZNS1_16scan_by_key_implILNS1_25lookback_scan_determinismE0ELb0ES3_N6thrust23THRUST_200600_302600_NS6detail15normal_iteratorINSB_10device_ptrIjEEEENSD_INSE_IS6_EEEESI_S6_NSB_4plusIvEENSB_8equal_toIvEES6_EE10hipError_tPvRmT2_T3_T4_T5_mT6_T7_P12ihipStream_tbENKUlT_T0_E_clISt17integral_constantIbLb0EES13_EEDaSY_SZ_EUlSY_E_NS1_11comp_targetILNS1_3genE8ELNS1_11target_archE1030ELNS1_3gpuE2ELNS1_3repE0EEENS1_30default_config_static_selectorELNS0_4arch9wavefront6targetE0EEEvT1_.has_indirect_call, 0
	.section	.AMDGPU.csdata,"",@progbits
; Kernel info:
; codeLenInByte = 29608
; TotalNumSgprs: 52
; NumVgprs: 36
; ScratchSize: 320
; MemoryBound: 0
; FloatMode: 240
; IeeeMode: 1
; LDSByteSize: 20480 bytes/workgroup (compile time only)
; SGPRBlocks: 0
; VGPRBlocks: 8
; NumSGPRsForWavesPerEU: 52
; NumVGPRsForWavesPerEU: 65
; Occupancy: 12
; WaveLimiterHint : 1
; COMPUTE_PGM_RSRC2:SCRATCH_EN: 1
; COMPUTE_PGM_RSRC2:USER_SGPR: 6
; COMPUTE_PGM_RSRC2:TRAP_HANDLER: 0
; COMPUTE_PGM_RSRC2:TGID_X_EN: 1
; COMPUTE_PGM_RSRC2:TGID_Y_EN: 0
; COMPUTE_PGM_RSRC2:TGID_Z_EN: 0
; COMPUTE_PGM_RSRC2:TIDIG_COMP_CNT: 0
	.section	.text._ZN7rocprim17ROCPRIM_400000_NS6detail30init_device_scan_by_key_kernelINS1_19lookback_scan_stateINS0_5tupleIJ11FixedVectorIiLj4EEbEEELb1ELb0EEEN6thrust23THRUST_200600_302600_NS6detail15normal_iteratorINSA_10device_ptrIjEEEEjNS1_16block_id_wrapperIjLb1EEEEEvT_jjPNSI_10value_typeET0_PNSt15iterator_traitsISL_E10value_typeEmT1_T2_,"axG",@progbits,_ZN7rocprim17ROCPRIM_400000_NS6detail30init_device_scan_by_key_kernelINS1_19lookback_scan_stateINS0_5tupleIJ11FixedVectorIiLj4EEbEEELb1ELb0EEEN6thrust23THRUST_200600_302600_NS6detail15normal_iteratorINSA_10device_ptrIjEEEEjNS1_16block_id_wrapperIjLb1EEEEEvT_jjPNSI_10value_typeET0_PNSt15iterator_traitsISL_E10value_typeEmT1_T2_,comdat
	.protected	_ZN7rocprim17ROCPRIM_400000_NS6detail30init_device_scan_by_key_kernelINS1_19lookback_scan_stateINS0_5tupleIJ11FixedVectorIiLj4EEbEEELb1ELb0EEEN6thrust23THRUST_200600_302600_NS6detail15normal_iteratorINSA_10device_ptrIjEEEEjNS1_16block_id_wrapperIjLb1EEEEEvT_jjPNSI_10value_typeET0_PNSt15iterator_traitsISL_E10value_typeEmT1_T2_ ; -- Begin function _ZN7rocprim17ROCPRIM_400000_NS6detail30init_device_scan_by_key_kernelINS1_19lookback_scan_stateINS0_5tupleIJ11FixedVectorIiLj4EEbEEELb1ELb0EEEN6thrust23THRUST_200600_302600_NS6detail15normal_iteratorINSA_10device_ptrIjEEEEjNS1_16block_id_wrapperIjLb1EEEEEvT_jjPNSI_10value_typeET0_PNSt15iterator_traitsISL_E10value_typeEmT1_T2_
	.globl	_ZN7rocprim17ROCPRIM_400000_NS6detail30init_device_scan_by_key_kernelINS1_19lookback_scan_stateINS0_5tupleIJ11FixedVectorIiLj4EEbEEELb1ELb0EEEN6thrust23THRUST_200600_302600_NS6detail15normal_iteratorINSA_10device_ptrIjEEEEjNS1_16block_id_wrapperIjLb1EEEEEvT_jjPNSI_10value_typeET0_PNSt15iterator_traitsISL_E10value_typeEmT1_T2_
	.p2align	8
	.type	_ZN7rocprim17ROCPRIM_400000_NS6detail30init_device_scan_by_key_kernelINS1_19lookback_scan_stateINS0_5tupleIJ11FixedVectorIiLj4EEbEEELb1ELb0EEEN6thrust23THRUST_200600_302600_NS6detail15normal_iteratorINSA_10device_ptrIjEEEEjNS1_16block_id_wrapperIjLb1EEEEEvT_jjPNSI_10value_typeET0_PNSt15iterator_traitsISL_E10value_typeEmT1_T2_,@function
_ZN7rocprim17ROCPRIM_400000_NS6detail30init_device_scan_by_key_kernelINS1_19lookback_scan_stateINS0_5tupleIJ11FixedVectorIiLj4EEbEEELb1ELb0EEEN6thrust23THRUST_200600_302600_NS6detail15normal_iteratorINSA_10device_ptrIjEEEEjNS1_16block_id_wrapperIjLb1EEEEEvT_jjPNSI_10value_typeET0_PNSt15iterator_traitsISL_E10value_typeEmT1_T2_: ; @_ZN7rocprim17ROCPRIM_400000_NS6detail30init_device_scan_by_key_kernelINS1_19lookback_scan_stateINS0_5tupleIJ11FixedVectorIiLj4EEbEEELb1ELb0EEEN6thrust23THRUST_200600_302600_NS6detail15normal_iteratorINSA_10device_ptrIjEEEEjNS1_16block_id_wrapperIjLb1EEEEEvT_jjPNSI_10value_typeET0_PNSt15iterator_traitsISL_E10value_typeEmT1_T2_
; %bb.0:
	s_clause 0x2
	s_load_dword s0, s[6:7], 0x5c
	s_load_dwordx8 s[12:19], s[6:7], 0x10
	s_load_dword s9, s[6:7], 0x50
	s_waitcnt lgkmcnt(0)
	s_and_b32 s10, s0, 0xffff
	s_cmp_eq_u64 s[16:17], 0
	v_mad_u64_u32 v[3:4], null, s8, s10, v[0:1]
	s_cbranch_scc1 .LBB2042_11
; %bb.1:
	s_cmp_lt_u32 s15, s14
	s_mov_b32 s11, 0
	s_cselect_b32 s0, s15, 0
	s_mov_b32 s8, exec_lo
	v_cmpx_eq_u32_e64 s0, v3
	s_cbranch_execz .LBB2042_10
; %bb.2:
	s_load_dwordx2 s[0:1], s[4:5], 0x4
	s_waitcnt lgkmcnt(0)
	s_lshr_b32 s0, s0, 16
	v_mul_u32_u24_e32 v1, s1, v1
	s_mul_i32 s0, s0, s1
	v_mul_lo_u32 v0, s0, v0
	s_load_dwordx4 s[0:3], s[6:7], 0x0
	v_add3_u32 v0, v0, v1, v2
	v_mov_b32_e32 v1, 0
	v_mul_lo_u32 v0, v0, 20
	ds_write2_b32 v0, v1, v1 offset0:2 offset1:3
	ds_write2_b32 v0, v1, v1 offset1:1
	ds_write_b32 v0, v1 offset:16
.LBB2042_3:                             ; =>This Inner Loop Header: Depth=1
	v_add_nc_u32_e32 v2, s11, v0
	s_add_i32 s11, s11, 4
	s_cmp_lg_u32 s11, 16
	ds_write_b32 v2, v1
	s_cbranch_scc1 .LBB2042_3
; %bb.4:
	s_add_i32 s11, s15, 32
	v_mov_b32_e32 v1, 0
	v_mov_b32_e32 v2, s11
	s_add_u32 s4, s12, s11
	s_addc_u32 s5, s13, 0
	ds_write_b8 v0, v1 offset:16
	global_load_ubyte v2, v2, s[12:13] glc dlc
	s_waitcnt vmcnt(0)
	v_cmp_ne_u32_sdwa s15, v2, v1 src0_sel:WORD_0 src1_sel:DWORD
	v_readfirstlane_b32 s20, v2
	s_and_b32 vcc_lo, exec_lo, s15
	s_cbranch_vccnz .LBB2042_9
; %bb.5:
	s_mov_b32 s15, 1
.LBB2042_6:                             ; =>This Loop Header: Depth=1
                                        ;     Child Loop BB2042_7 Depth 2
	s_mov_b32 s20, s15
.LBB2042_7:                             ;   Parent Loop BB2042_6 Depth=1
                                        ; =>  This Inner Loop Header: Depth=2
	s_add_i32 s20, s20, -1
	s_sleep 1
	s_cmp_eq_u32 s20, 0
	s_cbranch_scc0 .LBB2042_7
; %bb.8:                                ;   in Loop: Header=BB2042_6 Depth=1
	global_load_ubyte v2, v1, s[4:5] glc dlc
	s_cmp_lt_u32 s15, 32
	s_cselect_b32 s20, -1, 0
	s_cmp_lg_u32 s20, 0
	s_addc_u32 s15, s15, 0
	s_waitcnt vmcnt(0)
	v_cmp_ne_u32_sdwa s21, v2, v1 src0_sel:WORD_0 src1_sel:DWORD
	v_readfirstlane_b32 s20, v2
	s_and_b32 vcc_lo, exec_lo, s21
	s_cbranch_vccz .LBB2042_6
.LBB2042_9:
	s_and_b32 s4, 0xffff, s20
	v_mov_b32_e32 v1, 0
	s_cmp_eq_u32 s4, 1
	s_mul_i32 s4, s11, 20
	s_waitcnt lgkmcnt(0)
	s_cselect_b32 s0, s0, s2
	s_cselect_b32 s1, s1, s3
	s_mul_hi_u32 s2, s11, 20
	s_add_u32 s0, s0, s4
	s_addc_u32 s1, s1, s2
	buffer_gl1_inv
	buffer_gl0_inv
	s_clause 0x1
	global_load_dwordx4 v[4:7], v1, s[0:1]
	global_load_ubyte v2, v1, s[0:1] offset:16
	s_waitcnt vmcnt(1)
	ds_write2_b32 v0, v4, v5 offset1:1
	ds_write2_b32 v0, v6, v7 offset0:2 offset1:3
	global_store_dwordx4 v1, v[4:7], s[16:17]
	s_waitcnt vmcnt(0)
	global_store_byte v1, v2, s[16:17] offset:16
.LBB2042_10:
	s_or_b32 exec_lo, exec_lo, s8
.LBB2042_11:
	s_mov_b32 s0, exec_lo
	v_cmpx_eq_u32_e32 0, v3
	s_cbranch_execz .LBB2042_13
; %bb.12:
	s_load_dwordx2 s[2:3], s[6:7], 0x48
	v_mov_b32_e32 v0, 0
	s_waitcnt lgkmcnt(0)
	global_store_dword v0, v0, s[2:3]
.LBB2042_13:
	s_or_b32 exec_lo, exec_lo, s0
	s_mov_b32 s0, exec_lo
	v_cmpx_gt_u32_e64 s14, v3
	s_cbranch_execz .LBB2042_15
; %bb.14:
	v_add_nc_u32_e32 v0, 32, v3
	v_mov_b32_e32 v1, 0
	global_store_byte v0, v1, s[12:13]
.LBB2042_15:
	s_or_b32 exec_lo, exec_lo, s0
	v_mov_b32_e32 v4, 0
	s_mov_b32 s0, exec_lo
	v_cmpx_gt_u32_e32 32, v3
	s_cbranch_execz .LBB2042_17
; %bb.16:
	v_add_co_u32 v0, s1, s12, v3
	v_add_co_ci_u32_e64 v1, null, s13, 0, s1
	v_mov_b32_e32 v2, 0xff
	global_store_byte v[0:1], v2, off
.LBB2042_17:
	s_or_b32 exec_lo, exec_lo, s0
	s_load_dwordx2 s[2:3], s[6:7], 0x38
	s_mov_b32 s0, exec_lo
	s_waitcnt lgkmcnt(0)
	v_cmpx_gt_u64_e64 s[2:3], v[3:4]
	s_cbranch_execz .LBB2042_20
; %bb.18:
	s_clause 0x1
	s_load_dword s5, s[6:7], 0x40
	s_load_dwordx2 s[6:7], s[6:7], 0x30
	s_mov_b32 s1, 0
	s_mul_i32 s4, s9, s10
	v_lshlrev_b64 v[5:6], 2, v[3:4]
	s_waitcnt lgkmcnt(0)
	v_mad_u64_u32 v[0:1], null, s5, v3, 0
	s_add_i32 s0, s5, -1
	s_mul_hi_u32 s9, s5, s4
	s_lshl_b64 s[10:11], s[0:1], 2
	s_mul_i32 s8, s5, s4
	s_add_u32 s0, s18, s10
	s_addc_u32 s5, s19, s11
	v_lshlrev_b64 v[0:1], 2, v[0:1]
	v_add_co_u32 v0, vcc_lo, s0, v0
	v_add_co_ci_u32_e64 v1, null, s5, v1, vcc_lo
	v_add_co_u32 v5, vcc_lo, s6, v5
	v_add_co_ci_u32_e64 v6, null, s7, v6, vcc_lo
	s_mov_b32 s5, s1
	s_lshl_b64 s[6:7], s[8:9], 2
	s_lshl_b64 s[8:9], s[4:5], 2
	.p2align	6
.LBB2042_19:                            ; =>This Inner Loop Header: Depth=1
	global_load_dword v2, v[0:1], off
	v_add_co_u32 v3, vcc_lo, v3, s4
	v_add_co_ci_u32_e64 v4, null, 0, v4, vcc_lo
	v_add_co_u32 v0, vcc_lo, v0, s6
	v_add_co_ci_u32_e64 v1, null, s7, v1, vcc_lo
	v_cmp_le_u64_e32 vcc_lo, s[2:3], v[3:4]
	s_or_b32 s1, vcc_lo, s1
	s_waitcnt vmcnt(0)
	global_store_dword v[5:6], v2, off
	v_add_co_u32 v5, s0, v5, s8
	v_add_co_ci_u32_e64 v6, null, s9, v6, s0
	s_andn2_b32 exec_lo, exec_lo, s1
	s_cbranch_execnz .LBB2042_19
.LBB2042_20:
	s_endpgm
	.section	.rodata,"a",@progbits
	.p2align	6, 0x0
	.amdhsa_kernel _ZN7rocprim17ROCPRIM_400000_NS6detail30init_device_scan_by_key_kernelINS1_19lookback_scan_stateINS0_5tupleIJ11FixedVectorIiLj4EEbEEELb1ELb0EEEN6thrust23THRUST_200600_302600_NS6detail15normal_iteratorINSA_10device_ptrIjEEEEjNS1_16block_id_wrapperIjLb1EEEEEvT_jjPNSI_10value_typeET0_PNSt15iterator_traitsISL_E10value_typeEmT1_T2_
		.amdhsa_group_segment_fixed_size 5120
		.amdhsa_private_segment_fixed_size 0
		.amdhsa_kernarg_size 336
		.amdhsa_user_sgpr_count 8
		.amdhsa_user_sgpr_private_segment_buffer 1
		.amdhsa_user_sgpr_dispatch_ptr 1
		.amdhsa_user_sgpr_queue_ptr 0
		.amdhsa_user_sgpr_kernarg_segment_ptr 1
		.amdhsa_user_sgpr_dispatch_id 0
		.amdhsa_user_sgpr_flat_scratch_init 0
		.amdhsa_user_sgpr_private_segment_size 0
		.amdhsa_wavefront_size32 1
		.amdhsa_uses_dynamic_stack 0
		.amdhsa_system_sgpr_private_segment_wavefront_offset 0
		.amdhsa_system_sgpr_workgroup_id_x 1
		.amdhsa_system_sgpr_workgroup_id_y 0
		.amdhsa_system_sgpr_workgroup_id_z 0
		.amdhsa_system_sgpr_workgroup_info 0
		.amdhsa_system_vgpr_workitem_id 2
		.amdhsa_next_free_vgpr 8
		.amdhsa_next_free_sgpr 22
		.amdhsa_reserve_vcc 1
		.amdhsa_reserve_flat_scratch 0
		.amdhsa_float_round_mode_32 0
		.amdhsa_float_round_mode_16_64 0
		.amdhsa_float_denorm_mode_32 3
		.amdhsa_float_denorm_mode_16_64 3
		.amdhsa_dx10_clamp 1
		.amdhsa_ieee_mode 1
		.amdhsa_fp16_overflow 0
		.amdhsa_workgroup_processor_mode 1
		.amdhsa_memory_ordered 1
		.amdhsa_forward_progress 1
		.amdhsa_shared_vgpr_count 0
		.amdhsa_exception_fp_ieee_invalid_op 0
		.amdhsa_exception_fp_denorm_src 0
		.amdhsa_exception_fp_ieee_div_zero 0
		.amdhsa_exception_fp_ieee_overflow 0
		.amdhsa_exception_fp_ieee_underflow 0
		.amdhsa_exception_fp_ieee_inexact 0
		.amdhsa_exception_int_div_zero 0
	.end_amdhsa_kernel
	.section	.text._ZN7rocprim17ROCPRIM_400000_NS6detail30init_device_scan_by_key_kernelINS1_19lookback_scan_stateINS0_5tupleIJ11FixedVectorIiLj4EEbEEELb1ELb0EEEN6thrust23THRUST_200600_302600_NS6detail15normal_iteratorINSA_10device_ptrIjEEEEjNS1_16block_id_wrapperIjLb1EEEEEvT_jjPNSI_10value_typeET0_PNSt15iterator_traitsISL_E10value_typeEmT1_T2_,"axG",@progbits,_ZN7rocprim17ROCPRIM_400000_NS6detail30init_device_scan_by_key_kernelINS1_19lookback_scan_stateINS0_5tupleIJ11FixedVectorIiLj4EEbEEELb1ELb0EEEN6thrust23THRUST_200600_302600_NS6detail15normal_iteratorINSA_10device_ptrIjEEEEjNS1_16block_id_wrapperIjLb1EEEEEvT_jjPNSI_10value_typeET0_PNSt15iterator_traitsISL_E10value_typeEmT1_T2_,comdat
.Lfunc_end2042:
	.size	_ZN7rocprim17ROCPRIM_400000_NS6detail30init_device_scan_by_key_kernelINS1_19lookback_scan_stateINS0_5tupleIJ11FixedVectorIiLj4EEbEEELb1ELb0EEEN6thrust23THRUST_200600_302600_NS6detail15normal_iteratorINSA_10device_ptrIjEEEEjNS1_16block_id_wrapperIjLb1EEEEEvT_jjPNSI_10value_typeET0_PNSt15iterator_traitsISL_E10value_typeEmT1_T2_, .Lfunc_end2042-_ZN7rocprim17ROCPRIM_400000_NS6detail30init_device_scan_by_key_kernelINS1_19lookback_scan_stateINS0_5tupleIJ11FixedVectorIiLj4EEbEEELb1ELb0EEEN6thrust23THRUST_200600_302600_NS6detail15normal_iteratorINSA_10device_ptrIjEEEEjNS1_16block_id_wrapperIjLb1EEEEEvT_jjPNSI_10value_typeET0_PNSt15iterator_traitsISL_E10value_typeEmT1_T2_
                                        ; -- End function
	.set _ZN7rocprim17ROCPRIM_400000_NS6detail30init_device_scan_by_key_kernelINS1_19lookback_scan_stateINS0_5tupleIJ11FixedVectorIiLj4EEbEEELb1ELb0EEEN6thrust23THRUST_200600_302600_NS6detail15normal_iteratorINSA_10device_ptrIjEEEEjNS1_16block_id_wrapperIjLb1EEEEEvT_jjPNSI_10value_typeET0_PNSt15iterator_traitsISL_E10value_typeEmT1_T2_.num_vgpr, 8
	.set _ZN7rocprim17ROCPRIM_400000_NS6detail30init_device_scan_by_key_kernelINS1_19lookback_scan_stateINS0_5tupleIJ11FixedVectorIiLj4EEbEEELb1ELb0EEEN6thrust23THRUST_200600_302600_NS6detail15normal_iteratorINSA_10device_ptrIjEEEEjNS1_16block_id_wrapperIjLb1EEEEEvT_jjPNSI_10value_typeET0_PNSt15iterator_traitsISL_E10value_typeEmT1_T2_.num_agpr, 0
	.set _ZN7rocprim17ROCPRIM_400000_NS6detail30init_device_scan_by_key_kernelINS1_19lookback_scan_stateINS0_5tupleIJ11FixedVectorIiLj4EEbEEELb1ELb0EEEN6thrust23THRUST_200600_302600_NS6detail15normal_iteratorINSA_10device_ptrIjEEEEjNS1_16block_id_wrapperIjLb1EEEEEvT_jjPNSI_10value_typeET0_PNSt15iterator_traitsISL_E10value_typeEmT1_T2_.numbered_sgpr, 22
	.set _ZN7rocprim17ROCPRIM_400000_NS6detail30init_device_scan_by_key_kernelINS1_19lookback_scan_stateINS0_5tupleIJ11FixedVectorIiLj4EEbEEELb1ELb0EEEN6thrust23THRUST_200600_302600_NS6detail15normal_iteratorINSA_10device_ptrIjEEEEjNS1_16block_id_wrapperIjLb1EEEEEvT_jjPNSI_10value_typeET0_PNSt15iterator_traitsISL_E10value_typeEmT1_T2_.num_named_barrier, 0
	.set _ZN7rocprim17ROCPRIM_400000_NS6detail30init_device_scan_by_key_kernelINS1_19lookback_scan_stateINS0_5tupleIJ11FixedVectorIiLj4EEbEEELb1ELb0EEEN6thrust23THRUST_200600_302600_NS6detail15normal_iteratorINSA_10device_ptrIjEEEEjNS1_16block_id_wrapperIjLb1EEEEEvT_jjPNSI_10value_typeET0_PNSt15iterator_traitsISL_E10value_typeEmT1_T2_.private_seg_size, 0
	.set _ZN7rocprim17ROCPRIM_400000_NS6detail30init_device_scan_by_key_kernelINS1_19lookback_scan_stateINS0_5tupleIJ11FixedVectorIiLj4EEbEEELb1ELb0EEEN6thrust23THRUST_200600_302600_NS6detail15normal_iteratorINSA_10device_ptrIjEEEEjNS1_16block_id_wrapperIjLb1EEEEEvT_jjPNSI_10value_typeET0_PNSt15iterator_traitsISL_E10value_typeEmT1_T2_.uses_vcc, 1
	.set _ZN7rocprim17ROCPRIM_400000_NS6detail30init_device_scan_by_key_kernelINS1_19lookback_scan_stateINS0_5tupleIJ11FixedVectorIiLj4EEbEEELb1ELb0EEEN6thrust23THRUST_200600_302600_NS6detail15normal_iteratorINSA_10device_ptrIjEEEEjNS1_16block_id_wrapperIjLb1EEEEEvT_jjPNSI_10value_typeET0_PNSt15iterator_traitsISL_E10value_typeEmT1_T2_.uses_flat_scratch, 0
	.set _ZN7rocprim17ROCPRIM_400000_NS6detail30init_device_scan_by_key_kernelINS1_19lookback_scan_stateINS0_5tupleIJ11FixedVectorIiLj4EEbEEELb1ELb0EEEN6thrust23THRUST_200600_302600_NS6detail15normal_iteratorINSA_10device_ptrIjEEEEjNS1_16block_id_wrapperIjLb1EEEEEvT_jjPNSI_10value_typeET0_PNSt15iterator_traitsISL_E10value_typeEmT1_T2_.has_dyn_sized_stack, 0
	.set _ZN7rocprim17ROCPRIM_400000_NS6detail30init_device_scan_by_key_kernelINS1_19lookback_scan_stateINS0_5tupleIJ11FixedVectorIiLj4EEbEEELb1ELb0EEEN6thrust23THRUST_200600_302600_NS6detail15normal_iteratorINSA_10device_ptrIjEEEEjNS1_16block_id_wrapperIjLb1EEEEEvT_jjPNSI_10value_typeET0_PNSt15iterator_traitsISL_E10value_typeEmT1_T2_.has_recursion, 0
	.set _ZN7rocprim17ROCPRIM_400000_NS6detail30init_device_scan_by_key_kernelINS1_19lookback_scan_stateINS0_5tupleIJ11FixedVectorIiLj4EEbEEELb1ELb0EEEN6thrust23THRUST_200600_302600_NS6detail15normal_iteratorINSA_10device_ptrIjEEEEjNS1_16block_id_wrapperIjLb1EEEEEvT_jjPNSI_10value_typeET0_PNSt15iterator_traitsISL_E10value_typeEmT1_T2_.has_indirect_call, 0
	.section	.AMDGPU.csdata,"",@progbits
; Kernel info:
; codeLenInByte = 856
; TotalNumSgprs: 24
; NumVgprs: 8
; ScratchSize: 0
; MemoryBound: 0
; FloatMode: 240
; IeeeMode: 1
; LDSByteSize: 5120 bytes/workgroup (compile time only)
; SGPRBlocks: 0
; VGPRBlocks: 0
; NumSGPRsForWavesPerEU: 24
; NumVGPRsForWavesPerEU: 8
; Occupancy: 16
; WaveLimiterHint : 0
; COMPUTE_PGM_RSRC2:SCRATCH_EN: 0
; COMPUTE_PGM_RSRC2:USER_SGPR: 8
; COMPUTE_PGM_RSRC2:TRAP_HANDLER: 0
; COMPUTE_PGM_RSRC2:TGID_X_EN: 1
; COMPUTE_PGM_RSRC2:TGID_Y_EN: 0
; COMPUTE_PGM_RSRC2:TGID_Z_EN: 0
; COMPUTE_PGM_RSRC2:TIDIG_COMP_CNT: 2
	.section	.text._ZN7rocprim17ROCPRIM_400000_NS6detail30init_device_scan_by_key_kernelINS1_19lookback_scan_stateINS0_5tupleIJ11FixedVectorIiLj4EEbEEELb1ELb0EEENS1_16block_id_wrapperIjLb1EEEEEvT_jjPNSB_10value_typeET0_,"axG",@progbits,_ZN7rocprim17ROCPRIM_400000_NS6detail30init_device_scan_by_key_kernelINS1_19lookback_scan_stateINS0_5tupleIJ11FixedVectorIiLj4EEbEEELb1ELb0EEENS1_16block_id_wrapperIjLb1EEEEEvT_jjPNSB_10value_typeET0_,comdat
	.protected	_ZN7rocprim17ROCPRIM_400000_NS6detail30init_device_scan_by_key_kernelINS1_19lookback_scan_stateINS0_5tupleIJ11FixedVectorIiLj4EEbEEELb1ELb0EEENS1_16block_id_wrapperIjLb1EEEEEvT_jjPNSB_10value_typeET0_ ; -- Begin function _ZN7rocprim17ROCPRIM_400000_NS6detail30init_device_scan_by_key_kernelINS1_19lookback_scan_stateINS0_5tupleIJ11FixedVectorIiLj4EEbEEELb1ELb0EEENS1_16block_id_wrapperIjLb1EEEEEvT_jjPNSB_10value_typeET0_
	.globl	_ZN7rocprim17ROCPRIM_400000_NS6detail30init_device_scan_by_key_kernelINS1_19lookback_scan_stateINS0_5tupleIJ11FixedVectorIiLj4EEbEEELb1ELb0EEENS1_16block_id_wrapperIjLb1EEEEEvT_jjPNSB_10value_typeET0_
	.p2align	8
	.type	_ZN7rocprim17ROCPRIM_400000_NS6detail30init_device_scan_by_key_kernelINS1_19lookback_scan_stateINS0_5tupleIJ11FixedVectorIiLj4EEbEEELb1ELb0EEENS1_16block_id_wrapperIjLb1EEEEEvT_jjPNSB_10value_typeET0_,@function
_ZN7rocprim17ROCPRIM_400000_NS6detail30init_device_scan_by_key_kernelINS1_19lookback_scan_stateINS0_5tupleIJ11FixedVectorIiLj4EEbEEELb1ELb0EEENS1_16block_id_wrapperIjLb1EEEEEvT_jjPNSB_10value_typeET0_: ; @_ZN7rocprim17ROCPRIM_400000_NS6detail30init_device_scan_by_key_kernelINS1_19lookback_scan_stateINS0_5tupleIJ11FixedVectorIiLj4EEbEEELb1ELb0EEENS1_16block_id_wrapperIjLb1EEEEEvT_jjPNSB_10value_typeET0_
; %bb.0:
	s_clause 0x1
	s_load_dword s0, s[6:7], 0x3c
	s_load_dwordx8 s[12:19], s[6:7], 0x10
	s_waitcnt lgkmcnt(0)
	s_and_b32 s0, s0, 0xffff
	s_cmp_eq_u64 s[16:17], 0
	v_mad_u64_u32 v[3:4], null, s8, s0, v[0:1]
	s_cbranch_scc1 .LBB2043_11
; %bb.1:
	s_cmp_lt_u32 s15, s14
	s_mov_b32 s9, 0
	s_cselect_b32 s0, s15, 0
	s_mov_b32 s8, exec_lo
	v_cmpx_eq_u32_e64 s0, v3
	s_cbranch_execz .LBB2043_10
; %bb.2:
	s_load_dwordx2 s[0:1], s[4:5], 0x4
	s_waitcnt lgkmcnt(0)
	s_lshr_b32 s0, s0, 16
	v_mul_u32_u24_e32 v1, s1, v1
	s_mul_i32 s0, s0, s1
	v_mul_lo_u32 v0, s0, v0
	s_load_dwordx4 s[0:3], s[6:7], 0x0
	v_add3_u32 v0, v0, v1, v2
	v_mov_b32_e32 v1, 0
	v_mul_lo_u32 v0, v0, 20
	ds_write2_b32 v0, v1, v1 offset0:2 offset1:3
	ds_write2_b32 v0, v1, v1 offset1:1
	ds_write_b32 v0, v1 offset:16
.LBB2043_3:                             ; =>This Inner Loop Header: Depth=1
	v_add_nc_u32_e32 v2, s9, v0
	s_add_i32 s9, s9, 4
	s_cmp_lg_u32 s9, 16
	ds_write_b32 v2, v1
	s_cbranch_scc1 .LBB2043_3
; %bb.4:
	s_add_i32 s6, s15, 32
	v_mov_b32_e32 v1, 0
	v_mov_b32_e32 v2, s6
	s_add_u32 s4, s12, s6
	s_addc_u32 s5, s13, 0
	ds_write_b8 v0, v1 offset:16
	global_load_ubyte v2, v2, s[12:13] glc dlc
	s_waitcnt vmcnt(0)
	v_cmp_ne_u32_sdwa s7, v2, v1 src0_sel:WORD_0 src1_sel:DWORD
	v_readfirstlane_b32 s9, v2
	s_and_b32 vcc_lo, exec_lo, s7
	s_cbranch_vccnz .LBB2043_9
; %bb.5:
	s_mov_b32 s7, 1
.LBB2043_6:                             ; =>This Loop Header: Depth=1
                                        ;     Child Loop BB2043_7 Depth 2
	s_mov_b32 s9, s7
.LBB2043_7:                             ;   Parent Loop BB2043_6 Depth=1
                                        ; =>  This Inner Loop Header: Depth=2
	s_add_i32 s9, s9, -1
	s_sleep 1
	s_cmp_eq_u32 s9, 0
	s_cbranch_scc0 .LBB2043_7
; %bb.8:                                ;   in Loop: Header=BB2043_6 Depth=1
	global_load_ubyte v2, v1, s[4:5] glc dlc
	s_cmp_lt_u32 s7, 32
	s_cselect_b32 s9, -1, 0
	s_cmp_lg_u32 s9, 0
	s_addc_u32 s7, s7, 0
	s_waitcnt vmcnt(0)
	v_cmp_ne_u32_sdwa s10, v2, v1 src0_sel:WORD_0 src1_sel:DWORD
	v_readfirstlane_b32 s9, v2
	s_and_b32 vcc_lo, exec_lo, s10
	s_cbranch_vccz .LBB2043_6
.LBB2043_9:
	s_and_b32 s4, 0xffff, s9
	v_mov_b32_e32 v1, 0
	s_cmp_eq_u32 s4, 1
	s_mul_i32 s4, s6, 20
	s_waitcnt lgkmcnt(0)
	s_cselect_b32 s0, s0, s2
	s_cselect_b32 s1, s1, s3
	s_mul_hi_u32 s2, s6, 20
	s_add_u32 s0, s0, s4
	s_addc_u32 s1, s1, s2
	buffer_gl1_inv
	buffer_gl0_inv
	s_clause 0x1
	global_load_dwordx4 v[4:7], v1, s[0:1]
	global_load_ubyte v2, v1, s[0:1] offset:16
	s_waitcnt vmcnt(1)
	ds_write2_b32 v0, v4, v5 offset1:1
	ds_write2_b32 v0, v6, v7 offset0:2 offset1:3
	global_store_dwordx4 v1, v[4:7], s[16:17]
	s_waitcnt vmcnt(0)
	global_store_byte v1, v2, s[16:17] offset:16
.LBB2043_10:
	s_or_b32 exec_lo, exec_lo, s8
.LBB2043_11:
	s_mov_b32 s0, exec_lo
	v_cmpx_eq_u32_e32 0, v3
	s_cbranch_execz .LBB2043_13
; %bb.12:
	v_mov_b32_e32 v0, 0
	global_store_dword v0, v0, s[18:19]
.LBB2043_13:
	s_or_b32 exec_lo, exec_lo, s0
	s_mov_b32 s0, exec_lo
	v_cmpx_gt_u32_e64 s14, v3
	s_cbranch_execz .LBB2043_15
; %bb.14:
	v_add_nc_u32_e32 v0, 32, v3
	v_mov_b32_e32 v1, 0
	global_store_byte v0, v1, s[12:13]
.LBB2043_15:
	s_or_b32 exec_lo, exec_lo, s0
	s_mov_b32 s0, exec_lo
	v_cmpx_gt_u32_e32 32, v3
	s_cbranch_execz .LBB2043_17
; %bb.16:
	v_mov_b32_e32 v0, 0xff
	global_store_byte v3, v0, s[12:13]
.LBB2043_17:
	s_endpgm
	.section	.rodata,"a",@progbits
	.p2align	6, 0x0
	.amdhsa_kernel _ZN7rocprim17ROCPRIM_400000_NS6detail30init_device_scan_by_key_kernelINS1_19lookback_scan_stateINS0_5tupleIJ11FixedVectorIiLj4EEbEEELb1ELb0EEENS1_16block_id_wrapperIjLb1EEEEEvT_jjPNSB_10value_typeET0_
		.amdhsa_group_segment_fixed_size 5120
		.amdhsa_private_segment_fixed_size 0
		.amdhsa_kernarg_size 304
		.amdhsa_user_sgpr_count 8
		.amdhsa_user_sgpr_private_segment_buffer 1
		.amdhsa_user_sgpr_dispatch_ptr 1
		.amdhsa_user_sgpr_queue_ptr 0
		.amdhsa_user_sgpr_kernarg_segment_ptr 1
		.amdhsa_user_sgpr_dispatch_id 0
		.amdhsa_user_sgpr_flat_scratch_init 0
		.amdhsa_user_sgpr_private_segment_size 0
		.amdhsa_wavefront_size32 1
		.amdhsa_uses_dynamic_stack 0
		.amdhsa_system_sgpr_private_segment_wavefront_offset 0
		.amdhsa_system_sgpr_workgroup_id_x 1
		.amdhsa_system_sgpr_workgroup_id_y 0
		.amdhsa_system_sgpr_workgroup_id_z 0
		.amdhsa_system_sgpr_workgroup_info 0
		.amdhsa_system_vgpr_workitem_id 2
		.amdhsa_next_free_vgpr 8
		.amdhsa_next_free_sgpr 20
		.amdhsa_reserve_vcc 1
		.amdhsa_reserve_flat_scratch 0
		.amdhsa_float_round_mode_32 0
		.amdhsa_float_round_mode_16_64 0
		.amdhsa_float_denorm_mode_32 3
		.amdhsa_float_denorm_mode_16_64 3
		.amdhsa_dx10_clamp 1
		.amdhsa_ieee_mode 1
		.amdhsa_fp16_overflow 0
		.amdhsa_workgroup_processor_mode 1
		.amdhsa_memory_ordered 1
		.amdhsa_forward_progress 1
		.amdhsa_shared_vgpr_count 0
		.amdhsa_exception_fp_ieee_invalid_op 0
		.amdhsa_exception_fp_denorm_src 0
		.amdhsa_exception_fp_ieee_div_zero 0
		.amdhsa_exception_fp_ieee_overflow 0
		.amdhsa_exception_fp_ieee_underflow 0
		.amdhsa_exception_fp_ieee_inexact 0
		.amdhsa_exception_int_div_zero 0
	.end_amdhsa_kernel
	.section	.text._ZN7rocprim17ROCPRIM_400000_NS6detail30init_device_scan_by_key_kernelINS1_19lookback_scan_stateINS0_5tupleIJ11FixedVectorIiLj4EEbEEELb1ELb0EEENS1_16block_id_wrapperIjLb1EEEEEvT_jjPNSB_10value_typeET0_,"axG",@progbits,_ZN7rocprim17ROCPRIM_400000_NS6detail30init_device_scan_by_key_kernelINS1_19lookback_scan_stateINS0_5tupleIJ11FixedVectorIiLj4EEbEEELb1ELb0EEENS1_16block_id_wrapperIjLb1EEEEEvT_jjPNSB_10value_typeET0_,comdat
.Lfunc_end2043:
	.size	_ZN7rocprim17ROCPRIM_400000_NS6detail30init_device_scan_by_key_kernelINS1_19lookback_scan_stateINS0_5tupleIJ11FixedVectorIiLj4EEbEEELb1ELb0EEENS1_16block_id_wrapperIjLb1EEEEEvT_jjPNSB_10value_typeET0_, .Lfunc_end2043-_ZN7rocprim17ROCPRIM_400000_NS6detail30init_device_scan_by_key_kernelINS1_19lookback_scan_stateINS0_5tupleIJ11FixedVectorIiLj4EEbEEELb1ELb0EEENS1_16block_id_wrapperIjLb1EEEEEvT_jjPNSB_10value_typeET0_
                                        ; -- End function
	.set _ZN7rocprim17ROCPRIM_400000_NS6detail30init_device_scan_by_key_kernelINS1_19lookback_scan_stateINS0_5tupleIJ11FixedVectorIiLj4EEbEEELb1ELb0EEENS1_16block_id_wrapperIjLb1EEEEEvT_jjPNSB_10value_typeET0_.num_vgpr, 8
	.set _ZN7rocprim17ROCPRIM_400000_NS6detail30init_device_scan_by_key_kernelINS1_19lookback_scan_stateINS0_5tupleIJ11FixedVectorIiLj4EEbEEELb1ELb0EEENS1_16block_id_wrapperIjLb1EEEEEvT_jjPNSB_10value_typeET0_.num_agpr, 0
	.set _ZN7rocprim17ROCPRIM_400000_NS6detail30init_device_scan_by_key_kernelINS1_19lookback_scan_stateINS0_5tupleIJ11FixedVectorIiLj4EEbEEELb1ELb0EEENS1_16block_id_wrapperIjLb1EEEEEvT_jjPNSB_10value_typeET0_.numbered_sgpr, 20
	.set _ZN7rocprim17ROCPRIM_400000_NS6detail30init_device_scan_by_key_kernelINS1_19lookback_scan_stateINS0_5tupleIJ11FixedVectorIiLj4EEbEEELb1ELb0EEENS1_16block_id_wrapperIjLb1EEEEEvT_jjPNSB_10value_typeET0_.num_named_barrier, 0
	.set _ZN7rocprim17ROCPRIM_400000_NS6detail30init_device_scan_by_key_kernelINS1_19lookback_scan_stateINS0_5tupleIJ11FixedVectorIiLj4EEbEEELb1ELb0EEENS1_16block_id_wrapperIjLb1EEEEEvT_jjPNSB_10value_typeET0_.private_seg_size, 0
	.set _ZN7rocprim17ROCPRIM_400000_NS6detail30init_device_scan_by_key_kernelINS1_19lookback_scan_stateINS0_5tupleIJ11FixedVectorIiLj4EEbEEELb1ELb0EEENS1_16block_id_wrapperIjLb1EEEEEvT_jjPNSB_10value_typeET0_.uses_vcc, 1
	.set _ZN7rocprim17ROCPRIM_400000_NS6detail30init_device_scan_by_key_kernelINS1_19lookback_scan_stateINS0_5tupleIJ11FixedVectorIiLj4EEbEEELb1ELb0EEENS1_16block_id_wrapperIjLb1EEEEEvT_jjPNSB_10value_typeET0_.uses_flat_scratch, 0
	.set _ZN7rocprim17ROCPRIM_400000_NS6detail30init_device_scan_by_key_kernelINS1_19lookback_scan_stateINS0_5tupleIJ11FixedVectorIiLj4EEbEEELb1ELb0EEENS1_16block_id_wrapperIjLb1EEEEEvT_jjPNSB_10value_typeET0_.has_dyn_sized_stack, 0
	.set _ZN7rocprim17ROCPRIM_400000_NS6detail30init_device_scan_by_key_kernelINS1_19lookback_scan_stateINS0_5tupleIJ11FixedVectorIiLj4EEbEEELb1ELb0EEENS1_16block_id_wrapperIjLb1EEEEEvT_jjPNSB_10value_typeET0_.has_recursion, 0
	.set _ZN7rocprim17ROCPRIM_400000_NS6detail30init_device_scan_by_key_kernelINS1_19lookback_scan_stateINS0_5tupleIJ11FixedVectorIiLj4EEbEEELb1ELb0EEENS1_16block_id_wrapperIjLb1EEEEEvT_jjPNSB_10value_typeET0_.has_indirect_call, 0
	.section	.AMDGPU.csdata,"",@progbits
; Kernel info:
; codeLenInByte = 536
; TotalNumSgprs: 22
; NumVgprs: 8
; ScratchSize: 0
; MemoryBound: 0
; FloatMode: 240
; IeeeMode: 1
; LDSByteSize: 5120 bytes/workgroup (compile time only)
; SGPRBlocks: 0
; VGPRBlocks: 0
; NumSGPRsForWavesPerEU: 22
; NumVGPRsForWavesPerEU: 8
; Occupancy: 16
; WaveLimiterHint : 0
; COMPUTE_PGM_RSRC2:SCRATCH_EN: 0
; COMPUTE_PGM_RSRC2:USER_SGPR: 8
; COMPUTE_PGM_RSRC2:TRAP_HANDLER: 0
; COMPUTE_PGM_RSRC2:TGID_X_EN: 1
; COMPUTE_PGM_RSRC2:TGID_Y_EN: 0
; COMPUTE_PGM_RSRC2:TGID_Z_EN: 0
; COMPUTE_PGM_RSRC2:TIDIG_COMP_CNT: 2
	.section	.text._ZN7rocprim17ROCPRIM_400000_NS6detail17trampoline_kernelINS0_14default_configENS1_27scan_by_key_config_selectorIj11FixedVectorIiLj4EEEEZZNS1_16scan_by_key_implILNS1_25lookback_scan_determinismE0ELb0ES3_N6thrust23THRUST_200600_302600_NS6detail15normal_iteratorINSB_10device_ptrIjEEEENSD_INSE_IS6_EEEESI_S6_NSB_4plusIvEENSB_8equal_toIvEES6_EE10hipError_tPvRmT2_T3_T4_T5_mT6_T7_P12ihipStream_tbENKUlT_T0_E_clISt17integral_constantIbLb1EES13_EEDaSY_SZ_EUlSY_E_NS1_11comp_targetILNS1_3genE0ELNS1_11target_archE4294967295ELNS1_3gpuE0ELNS1_3repE0EEENS1_30default_config_static_selectorELNS0_4arch9wavefront6targetE0EEEvT1_,"axG",@progbits,_ZN7rocprim17ROCPRIM_400000_NS6detail17trampoline_kernelINS0_14default_configENS1_27scan_by_key_config_selectorIj11FixedVectorIiLj4EEEEZZNS1_16scan_by_key_implILNS1_25lookback_scan_determinismE0ELb0ES3_N6thrust23THRUST_200600_302600_NS6detail15normal_iteratorINSB_10device_ptrIjEEEENSD_INSE_IS6_EEEESI_S6_NSB_4plusIvEENSB_8equal_toIvEES6_EE10hipError_tPvRmT2_T3_T4_T5_mT6_T7_P12ihipStream_tbENKUlT_T0_E_clISt17integral_constantIbLb1EES13_EEDaSY_SZ_EUlSY_E_NS1_11comp_targetILNS1_3genE0ELNS1_11target_archE4294967295ELNS1_3gpuE0ELNS1_3repE0EEENS1_30default_config_static_selectorELNS0_4arch9wavefront6targetE0EEEvT1_,comdat
	.protected	_ZN7rocprim17ROCPRIM_400000_NS6detail17trampoline_kernelINS0_14default_configENS1_27scan_by_key_config_selectorIj11FixedVectorIiLj4EEEEZZNS1_16scan_by_key_implILNS1_25lookback_scan_determinismE0ELb0ES3_N6thrust23THRUST_200600_302600_NS6detail15normal_iteratorINSB_10device_ptrIjEEEENSD_INSE_IS6_EEEESI_S6_NSB_4plusIvEENSB_8equal_toIvEES6_EE10hipError_tPvRmT2_T3_T4_T5_mT6_T7_P12ihipStream_tbENKUlT_T0_E_clISt17integral_constantIbLb1EES13_EEDaSY_SZ_EUlSY_E_NS1_11comp_targetILNS1_3genE0ELNS1_11target_archE4294967295ELNS1_3gpuE0ELNS1_3repE0EEENS1_30default_config_static_selectorELNS0_4arch9wavefront6targetE0EEEvT1_ ; -- Begin function _ZN7rocprim17ROCPRIM_400000_NS6detail17trampoline_kernelINS0_14default_configENS1_27scan_by_key_config_selectorIj11FixedVectorIiLj4EEEEZZNS1_16scan_by_key_implILNS1_25lookback_scan_determinismE0ELb0ES3_N6thrust23THRUST_200600_302600_NS6detail15normal_iteratorINSB_10device_ptrIjEEEENSD_INSE_IS6_EEEESI_S6_NSB_4plusIvEENSB_8equal_toIvEES6_EE10hipError_tPvRmT2_T3_T4_T5_mT6_T7_P12ihipStream_tbENKUlT_T0_E_clISt17integral_constantIbLb1EES13_EEDaSY_SZ_EUlSY_E_NS1_11comp_targetILNS1_3genE0ELNS1_11target_archE4294967295ELNS1_3gpuE0ELNS1_3repE0EEENS1_30default_config_static_selectorELNS0_4arch9wavefront6targetE0EEEvT1_
	.globl	_ZN7rocprim17ROCPRIM_400000_NS6detail17trampoline_kernelINS0_14default_configENS1_27scan_by_key_config_selectorIj11FixedVectorIiLj4EEEEZZNS1_16scan_by_key_implILNS1_25lookback_scan_determinismE0ELb0ES3_N6thrust23THRUST_200600_302600_NS6detail15normal_iteratorINSB_10device_ptrIjEEEENSD_INSE_IS6_EEEESI_S6_NSB_4plusIvEENSB_8equal_toIvEES6_EE10hipError_tPvRmT2_T3_T4_T5_mT6_T7_P12ihipStream_tbENKUlT_T0_E_clISt17integral_constantIbLb1EES13_EEDaSY_SZ_EUlSY_E_NS1_11comp_targetILNS1_3genE0ELNS1_11target_archE4294967295ELNS1_3gpuE0ELNS1_3repE0EEENS1_30default_config_static_selectorELNS0_4arch9wavefront6targetE0EEEvT1_
	.p2align	8
	.type	_ZN7rocprim17ROCPRIM_400000_NS6detail17trampoline_kernelINS0_14default_configENS1_27scan_by_key_config_selectorIj11FixedVectorIiLj4EEEEZZNS1_16scan_by_key_implILNS1_25lookback_scan_determinismE0ELb0ES3_N6thrust23THRUST_200600_302600_NS6detail15normal_iteratorINSB_10device_ptrIjEEEENSD_INSE_IS6_EEEESI_S6_NSB_4plusIvEENSB_8equal_toIvEES6_EE10hipError_tPvRmT2_T3_T4_T5_mT6_T7_P12ihipStream_tbENKUlT_T0_E_clISt17integral_constantIbLb1EES13_EEDaSY_SZ_EUlSY_E_NS1_11comp_targetILNS1_3genE0ELNS1_11target_archE4294967295ELNS1_3gpuE0ELNS1_3repE0EEENS1_30default_config_static_selectorELNS0_4arch9wavefront6targetE0EEEvT1_,@function
_ZN7rocprim17ROCPRIM_400000_NS6detail17trampoline_kernelINS0_14default_configENS1_27scan_by_key_config_selectorIj11FixedVectorIiLj4EEEEZZNS1_16scan_by_key_implILNS1_25lookback_scan_determinismE0ELb0ES3_N6thrust23THRUST_200600_302600_NS6detail15normal_iteratorINSB_10device_ptrIjEEEENSD_INSE_IS6_EEEESI_S6_NSB_4plusIvEENSB_8equal_toIvEES6_EE10hipError_tPvRmT2_T3_T4_T5_mT6_T7_P12ihipStream_tbENKUlT_T0_E_clISt17integral_constantIbLb1EES13_EEDaSY_SZ_EUlSY_E_NS1_11comp_targetILNS1_3genE0ELNS1_11target_archE4294967295ELNS1_3gpuE0ELNS1_3repE0EEENS1_30default_config_static_selectorELNS0_4arch9wavefront6targetE0EEEvT1_: ; @_ZN7rocprim17ROCPRIM_400000_NS6detail17trampoline_kernelINS0_14default_configENS1_27scan_by_key_config_selectorIj11FixedVectorIiLj4EEEEZZNS1_16scan_by_key_implILNS1_25lookback_scan_determinismE0ELb0ES3_N6thrust23THRUST_200600_302600_NS6detail15normal_iteratorINSB_10device_ptrIjEEEENSD_INSE_IS6_EEEESI_S6_NSB_4plusIvEENSB_8equal_toIvEES6_EE10hipError_tPvRmT2_T3_T4_T5_mT6_T7_P12ihipStream_tbENKUlT_T0_E_clISt17integral_constantIbLb1EES13_EEDaSY_SZ_EUlSY_E_NS1_11comp_targetILNS1_3genE0ELNS1_11target_archE4294967295ELNS1_3gpuE0ELNS1_3repE0EEENS1_30default_config_static_selectorELNS0_4arch9wavefront6targetE0EEEvT1_
; %bb.0:
	.section	.rodata,"a",@progbits
	.p2align	6, 0x0
	.amdhsa_kernel _ZN7rocprim17ROCPRIM_400000_NS6detail17trampoline_kernelINS0_14default_configENS1_27scan_by_key_config_selectorIj11FixedVectorIiLj4EEEEZZNS1_16scan_by_key_implILNS1_25lookback_scan_determinismE0ELb0ES3_N6thrust23THRUST_200600_302600_NS6detail15normal_iteratorINSB_10device_ptrIjEEEENSD_INSE_IS6_EEEESI_S6_NSB_4plusIvEENSB_8equal_toIvEES6_EE10hipError_tPvRmT2_T3_T4_T5_mT6_T7_P12ihipStream_tbENKUlT_T0_E_clISt17integral_constantIbLb1EES13_EEDaSY_SZ_EUlSY_E_NS1_11comp_targetILNS1_3genE0ELNS1_11target_archE4294967295ELNS1_3gpuE0ELNS1_3repE0EEENS1_30default_config_static_selectorELNS0_4arch9wavefront6targetE0EEEvT1_
		.amdhsa_group_segment_fixed_size 0
		.amdhsa_private_segment_fixed_size 0
		.amdhsa_kernarg_size 144
		.amdhsa_user_sgpr_count 6
		.amdhsa_user_sgpr_private_segment_buffer 1
		.amdhsa_user_sgpr_dispatch_ptr 0
		.amdhsa_user_sgpr_queue_ptr 0
		.amdhsa_user_sgpr_kernarg_segment_ptr 1
		.amdhsa_user_sgpr_dispatch_id 0
		.amdhsa_user_sgpr_flat_scratch_init 0
		.amdhsa_user_sgpr_private_segment_size 0
		.amdhsa_wavefront_size32 1
		.amdhsa_uses_dynamic_stack 0
		.amdhsa_system_sgpr_private_segment_wavefront_offset 0
		.amdhsa_system_sgpr_workgroup_id_x 1
		.amdhsa_system_sgpr_workgroup_id_y 0
		.amdhsa_system_sgpr_workgroup_id_z 0
		.amdhsa_system_sgpr_workgroup_info 0
		.amdhsa_system_vgpr_workitem_id 0
		.amdhsa_next_free_vgpr 1
		.amdhsa_next_free_sgpr 1
		.amdhsa_reserve_vcc 0
		.amdhsa_reserve_flat_scratch 0
		.amdhsa_float_round_mode_32 0
		.amdhsa_float_round_mode_16_64 0
		.amdhsa_float_denorm_mode_32 3
		.amdhsa_float_denorm_mode_16_64 3
		.amdhsa_dx10_clamp 1
		.amdhsa_ieee_mode 1
		.amdhsa_fp16_overflow 0
		.amdhsa_workgroup_processor_mode 1
		.amdhsa_memory_ordered 1
		.amdhsa_forward_progress 1
		.amdhsa_shared_vgpr_count 0
		.amdhsa_exception_fp_ieee_invalid_op 0
		.amdhsa_exception_fp_denorm_src 0
		.amdhsa_exception_fp_ieee_div_zero 0
		.amdhsa_exception_fp_ieee_overflow 0
		.amdhsa_exception_fp_ieee_underflow 0
		.amdhsa_exception_fp_ieee_inexact 0
		.amdhsa_exception_int_div_zero 0
	.end_amdhsa_kernel
	.section	.text._ZN7rocprim17ROCPRIM_400000_NS6detail17trampoline_kernelINS0_14default_configENS1_27scan_by_key_config_selectorIj11FixedVectorIiLj4EEEEZZNS1_16scan_by_key_implILNS1_25lookback_scan_determinismE0ELb0ES3_N6thrust23THRUST_200600_302600_NS6detail15normal_iteratorINSB_10device_ptrIjEEEENSD_INSE_IS6_EEEESI_S6_NSB_4plusIvEENSB_8equal_toIvEES6_EE10hipError_tPvRmT2_T3_T4_T5_mT6_T7_P12ihipStream_tbENKUlT_T0_E_clISt17integral_constantIbLb1EES13_EEDaSY_SZ_EUlSY_E_NS1_11comp_targetILNS1_3genE0ELNS1_11target_archE4294967295ELNS1_3gpuE0ELNS1_3repE0EEENS1_30default_config_static_selectorELNS0_4arch9wavefront6targetE0EEEvT1_,"axG",@progbits,_ZN7rocprim17ROCPRIM_400000_NS6detail17trampoline_kernelINS0_14default_configENS1_27scan_by_key_config_selectorIj11FixedVectorIiLj4EEEEZZNS1_16scan_by_key_implILNS1_25lookback_scan_determinismE0ELb0ES3_N6thrust23THRUST_200600_302600_NS6detail15normal_iteratorINSB_10device_ptrIjEEEENSD_INSE_IS6_EEEESI_S6_NSB_4plusIvEENSB_8equal_toIvEES6_EE10hipError_tPvRmT2_T3_T4_T5_mT6_T7_P12ihipStream_tbENKUlT_T0_E_clISt17integral_constantIbLb1EES13_EEDaSY_SZ_EUlSY_E_NS1_11comp_targetILNS1_3genE0ELNS1_11target_archE4294967295ELNS1_3gpuE0ELNS1_3repE0EEENS1_30default_config_static_selectorELNS0_4arch9wavefront6targetE0EEEvT1_,comdat
.Lfunc_end2044:
	.size	_ZN7rocprim17ROCPRIM_400000_NS6detail17trampoline_kernelINS0_14default_configENS1_27scan_by_key_config_selectorIj11FixedVectorIiLj4EEEEZZNS1_16scan_by_key_implILNS1_25lookback_scan_determinismE0ELb0ES3_N6thrust23THRUST_200600_302600_NS6detail15normal_iteratorINSB_10device_ptrIjEEEENSD_INSE_IS6_EEEESI_S6_NSB_4plusIvEENSB_8equal_toIvEES6_EE10hipError_tPvRmT2_T3_T4_T5_mT6_T7_P12ihipStream_tbENKUlT_T0_E_clISt17integral_constantIbLb1EES13_EEDaSY_SZ_EUlSY_E_NS1_11comp_targetILNS1_3genE0ELNS1_11target_archE4294967295ELNS1_3gpuE0ELNS1_3repE0EEENS1_30default_config_static_selectorELNS0_4arch9wavefront6targetE0EEEvT1_, .Lfunc_end2044-_ZN7rocprim17ROCPRIM_400000_NS6detail17trampoline_kernelINS0_14default_configENS1_27scan_by_key_config_selectorIj11FixedVectorIiLj4EEEEZZNS1_16scan_by_key_implILNS1_25lookback_scan_determinismE0ELb0ES3_N6thrust23THRUST_200600_302600_NS6detail15normal_iteratorINSB_10device_ptrIjEEEENSD_INSE_IS6_EEEESI_S6_NSB_4plusIvEENSB_8equal_toIvEES6_EE10hipError_tPvRmT2_T3_T4_T5_mT6_T7_P12ihipStream_tbENKUlT_T0_E_clISt17integral_constantIbLb1EES13_EEDaSY_SZ_EUlSY_E_NS1_11comp_targetILNS1_3genE0ELNS1_11target_archE4294967295ELNS1_3gpuE0ELNS1_3repE0EEENS1_30default_config_static_selectorELNS0_4arch9wavefront6targetE0EEEvT1_
                                        ; -- End function
	.set _ZN7rocprim17ROCPRIM_400000_NS6detail17trampoline_kernelINS0_14default_configENS1_27scan_by_key_config_selectorIj11FixedVectorIiLj4EEEEZZNS1_16scan_by_key_implILNS1_25lookback_scan_determinismE0ELb0ES3_N6thrust23THRUST_200600_302600_NS6detail15normal_iteratorINSB_10device_ptrIjEEEENSD_INSE_IS6_EEEESI_S6_NSB_4plusIvEENSB_8equal_toIvEES6_EE10hipError_tPvRmT2_T3_T4_T5_mT6_T7_P12ihipStream_tbENKUlT_T0_E_clISt17integral_constantIbLb1EES13_EEDaSY_SZ_EUlSY_E_NS1_11comp_targetILNS1_3genE0ELNS1_11target_archE4294967295ELNS1_3gpuE0ELNS1_3repE0EEENS1_30default_config_static_selectorELNS0_4arch9wavefront6targetE0EEEvT1_.num_vgpr, 0
	.set _ZN7rocprim17ROCPRIM_400000_NS6detail17trampoline_kernelINS0_14default_configENS1_27scan_by_key_config_selectorIj11FixedVectorIiLj4EEEEZZNS1_16scan_by_key_implILNS1_25lookback_scan_determinismE0ELb0ES3_N6thrust23THRUST_200600_302600_NS6detail15normal_iteratorINSB_10device_ptrIjEEEENSD_INSE_IS6_EEEESI_S6_NSB_4plusIvEENSB_8equal_toIvEES6_EE10hipError_tPvRmT2_T3_T4_T5_mT6_T7_P12ihipStream_tbENKUlT_T0_E_clISt17integral_constantIbLb1EES13_EEDaSY_SZ_EUlSY_E_NS1_11comp_targetILNS1_3genE0ELNS1_11target_archE4294967295ELNS1_3gpuE0ELNS1_3repE0EEENS1_30default_config_static_selectorELNS0_4arch9wavefront6targetE0EEEvT1_.num_agpr, 0
	.set _ZN7rocprim17ROCPRIM_400000_NS6detail17trampoline_kernelINS0_14default_configENS1_27scan_by_key_config_selectorIj11FixedVectorIiLj4EEEEZZNS1_16scan_by_key_implILNS1_25lookback_scan_determinismE0ELb0ES3_N6thrust23THRUST_200600_302600_NS6detail15normal_iteratorINSB_10device_ptrIjEEEENSD_INSE_IS6_EEEESI_S6_NSB_4plusIvEENSB_8equal_toIvEES6_EE10hipError_tPvRmT2_T3_T4_T5_mT6_T7_P12ihipStream_tbENKUlT_T0_E_clISt17integral_constantIbLb1EES13_EEDaSY_SZ_EUlSY_E_NS1_11comp_targetILNS1_3genE0ELNS1_11target_archE4294967295ELNS1_3gpuE0ELNS1_3repE0EEENS1_30default_config_static_selectorELNS0_4arch9wavefront6targetE0EEEvT1_.numbered_sgpr, 0
	.set _ZN7rocprim17ROCPRIM_400000_NS6detail17trampoline_kernelINS0_14default_configENS1_27scan_by_key_config_selectorIj11FixedVectorIiLj4EEEEZZNS1_16scan_by_key_implILNS1_25lookback_scan_determinismE0ELb0ES3_N6thrust23THRUST_200600_302600_NS6detail15normal_iteratorINSB_10device_ptrIjEEEENSD_INSE_IS6_EEEESI_S6_NSB_4plusIvEENSB_8equal_toIvEES6_EE10hipError_tPvRmT2_T3_T4_T5_mT6_T7_P12ihipStream_tbENKUlT_T0_E_clISt17integral_constantIbLb1EES13_EEDaSY_SZ_EUlSY_E_NS1_11comp_targetILNS1_3genE0ELNS1_11target_archE4294967295ELNS1_3gpuE0ELNS1_3repE0EEENS1_30default_config_static_selectorELNS0_4arch9wavefront6targetE0EEEvT1_.num_named_barrier, 0
	.set _ZN7rocprim17ROCPRIM_400000_NS6detail17trampoline_kernelINS0_14default_configENS1_27scan_by_key_config_selectorIj11FixedVectorIiLj4EEEEZZNS1_16scan_by_key_implILNS1_25lookback_scan_determinismE0ELb0ES3_N6thrust23THRUST_200600_302600_NS6detail15normal_iteratorINSB_10device_ptrIjEEEENSD_INSE_IS6_EEEESI_S6_NSB_4plusIvEENSB_8equal_toIvEES6_EE10hipError_tPvRmT2_T3_T4_T5_mT6_T7_P12ihipStream_tbENKUlT_T0_E_clISt17integral_constantIbLb1EES13_EEDaSY_SZ_EUlSY_E_NS1_11comp_targetILNS1_3genE0ELNS1_11target_archE4294967295ELNS1_3gpuE0ELNS1_3repE0EEENS1_30default_config_static_selectorELNS0_4arch9wavefront6targetE0EEEvT1_.private_seg_size, 0
	.set _ZN7rocprim17ROCPRIM_400000_NS6detail17trampoline_kernelINS0_14default_configENS1_27scan_by_key_config_selectorIj11FixedVectorIiLj4EEEEZZNS1_16scan_by_key_implILNS1_25lookback_scan_determinismE0ELb0ES3_N6thrust23THRUST_200600_302600_NS6detail15normal_iteratorINSB_10device_ptrIjEEEENSD_INSE_IS6_EEEESI_S6_NSB_4plusIvEENSB_8equal_toIvEES6_EE10hipError_tPvRmT2_T3_T4_T5_mT6_T7_P12ihipStream_tbENKUlT_T0_E_clISt17integral_constantIbLb1EES13_EEDaSY_SZ_EUlSY_E_NS1_11comp_targetILNS1_3genE0ELNS1_11target_archE4294967295ELNS1_3gpuE0ELNS1_3repE0EEENS1_30default_config_static_selectorELNS0_4arch9wavefront6targetE0EEEvT1_.uses_vcc, 0
	.set _ZN7rocprim17ROCPRIM_400000_NS6detail17trampoline_kernelINS0_14default_configENS1_27scan_by_key_config_selectorIj11FixedVectorIiLj4EEEEZZNS1_16scan_by_key_implILNS1_25lookback_scan_determinismE0ELb0ES3_N6thrust23THRUST_200600_302600_NS6detail15normal_iteratorINSB_10device_ptrIjEEEENSD_INSE_IS6_EEEESI_S6_NSB_4plusIvEENSB_8equal_toIvEES6_EE10hipError_tPvRmT2_T3_T4_T5_mT6_T7_P12ihipStream_tbENKUlT_T0_E_clISt17integral_constantIbLb1EES13_EEDaSY_SZ_EUlSY_E_NS1_11comp_targetILNS1_3genE0ELNS1_11target_archE4294967295ELNS1_3gpuE0ELNS1_3repE0EEENS1_30default_config_static_selectorELNS0_4arch9wavefront6targetE0EEEvT1_.uses_flat_scratch, 0
	.set _ZN7rocprim17ROCPRIM_400000_NS6detail17trampoline_kernelINS0_14default_configENS1_27scan_by_key_config_selectorIj11FixedVectorIiLj4EEEEZZNS1_16scan_by_key_implILNS1_25lookback_scan_determinismE0ELb0ES3_N6thrust23THRUST_200600_302600_NS6detail15normal_iteratorINSB_10device_ptrIjEEEENSD_INSE_IS6_EEEESI_S6_NSB_4plusIvEENSB_8equal_toIvEES6_EE10hipError_tPvRmT2_T3_T4_T5_mT6_T7_P12ihipStream_tbENKUlT_T0_E_clISt17integral_constantIbLb1EES13_EEDaSY_SZ_EUlSY_E_NS1_11comp_targetILNS1_3genE0ELNS1_11target_archE4294967295ELNS1_3gpuE0ELNS1_3repE0EEENS1_30default_config_static_selectorELNS0_4arch9wavefront6targetE0EEEvT1_.has_dyn_sized_stack, 0
	.set _ZN7rocprim17ROCPRIM_400000_NS6detail17trampoline_kernelINS0_14default_configENS1_27scan_by_key_config_selectorIj11FixedVectorIiLj4EEEEZZNS1_16scan_by_key_implILNS1_25lookback_scan_determinismE0ELb0ES3_N6thrust23THRUST_200600_302600_NS6detail15normal_iteratorINSB_10device_ptrIjEEEENSD_INSE_IS6_EEEESI_S6_NSB_4plusIvEENSB_8equal_toIvEES6_EE10hipError_tPvRmT2_T3_T4_T5_mT6_T7_P12ihipStream_tbENKUlT_T0_E_clISt17integral_constantIbLb1EES13_EEDaSY_SZ_EUlSY_E_NS1_11comp_targetILNS1_3genE0ELNS1_11target_archE4294967295ELNS1_3gpuE0ELNS1_3repE0EEENS1_30default_config_static_selectorELNS0_4arch9wavefront6targetE0EEEvT1_.has_recursion, 0
	.set _ZN7rocprim17ROCPRIM_400000_NS6detail17trampoline_kernelINS0_14default_configENS1_27scan_by_key_config_selectorIj11FixedVectorIiLj4EEEEZZNS1_16scan_by_key_implILNS1_25lookback_scan_determinismE0ELb0ES3_N6thrust23THRUST_200600_302600_NS6detail15normal_iteratorINSB_10device_ptrIjEEEENSD_INSE_IS6_EEEESI_S6_NSB_4plusIvEENSB_8equal_toIvEES6_EE10hipError_tPvRmT2_T3_T4_T5_mT6_T7_P12ihipStream_tbENKUlT_T0_E_clISt17integral_constantIbLb1EES13_EEDaSY_SZ_EUlSY_E_NS1_11comp_targetILNS1_3genE0ELNS1_11target_archE4294967295ELNS1_3gpuE0ELNS1_3repE0EEENS1_30default_config_static_selectorELNS0_4arch9wavefront6targetE0EEEvT1_.has_indirect_call, 0
	.section	.AMDGPU.csdata,"",@progbits
; Kernel info:
; codeLenInByte = 0
; TotalNumSgprs: 0
; NumVgprs: 0
; ScratchSize: 0
; MemoryBound: 0
; FloatMode: 240
; IeeeMode: 1
; LDSByteSize: 0 bytes/workgroup (compile time only)
; SGPRBlocks: 0
; VGPRBlocks: 0
; NumSGPRsForWavesPerEU: 1
; NumVGPRsForWavesPerEU: 1
; Occupancy: 16
; WaveLimiterHint : 0
; COMPUTE_PGM_RSRC2:SCRATCH_EN: 0
; COMPUTE_PGM_RSRC2:USER_SGPR: 6
; COMPUTE_PGM_RSRC2:TRAP_HANDLER: 0
; COMPUTE_PGM_RSRC2:TGID_X_EN: 1
; COMPUTE_PGM_RSRC2:TGID_Y_EN: 0
; COMPUTE_PGM_RSRC2:TGID_Z_EN: 0
; COMPUTE_PGM_RSRC2:TIDIG_COMP_CNT: 0
	.section	.text._ZN7rocprim17ROCPRIM_400000_NS6detail17trampoline_kernelINS0_14default_configENS1_27scan_by_key_config_selectorIj11FixedVectorIiLj4EEEEZZNS1_16scan_by_key_implILNS1_25lookback_scan_determinismE0ELb0ES3_N6thrust23THRUST_200600_302600_NS6detail15normal_iteratorINSB_10device_ptrIjEEEENSD_INSE_IS6_EEEESI_S6_NSB_4plusIvEENSB_8equal_toIvEES6_EE10hipError_tPvRmT2_T3_T4_T5_mT6_T7_P12ihipStream_tbENKUlT_T0_E_clISt17integral_constantIbLb1EES13_EEDaSY_SZ_EUlSY_E_NS1_11comp_targetILNS1_3genE10ELNS1_11target_archE1201ELNS1_3gpuE5ELNS1_3repE0EEENS1_30default_config_static_selectorELNS0_4arch9wavefront6targetE0EEEvT1_,"axG",@progbits,_ZN7rocprim17ROCPRIM_400000_NS6detail17trampoline_kernelINS0_14default_configENS1_27scan_by_key_config_selectorIj11FixedVectorIiLj4EEEEZZNS1_16scan_by_key_implILNS1_25lookback_scan_determinismE0ELb0ES3_N6thrust23THRUST_200600_302600_NS6detail15normal_iteratorINSB_10device_ptrIjEEEENSD_INSE_IS6_EEEESI_S6_NSB_4plusIvEENSB_8equal_toIvEES6_EE10hipError_tPvRmT2_T3_T4_T5_mT6_T7_P12ihipStream_tbENKUlT_T0_E_clISt17integral_constantIbLb1EES13_EEDaSY_SZ_EUlSY_E_NS1_11comp_targetILNS1_3genE10ELNS1_11target_archE1201ELNS1_3gpuE5ELNS1_3repE0EEENS1_30default_config_static_selectorELNS0_4arch9wavefront6targetE0EEEvT1_,comdat
	.protected	_ZN7rocprim17ROCPRIM_400000_NS6detail17trampoline_kernelINS0_14default_configENS1_27scan_by_key_config_selectorIj11FixedVectorIiLj4EEEEZZNS1_16scan_by_key_implILNS1_25lookback_scan_determinismE0ELb0ES3_N6thrust23THRUST_200600_302600_NS6detail15normal_iteratorINSB_10device_ptrIjEEEENSD_INSE_IS6_EEEESI_S6_NSB_4plusIvEENSB_8equal_toIvEES6_EE10hipError_tPvRmT2_T3_T4_T5_mT6_T7_P12ihipStream_tbENKUlT_T0_E_clISt17integral_constantIbLb1EES13_EEDaSY_SZ_EUlSY_E_NS1_11comp_targetILNS1_3genE10ELNS1_11target_archE1201ELNS1_3gpuE5ELNS1_3repE0EEENS1_30default_config_static_selectorELNS0_4arch9wavefront6targetE0EEEvT1_ ; -- Begin function _ZN7rocprim17ROCPRIM_400000_NS6detail17trampoline_kernelINS0_14default_configENS1_27scan_by_key_config_selectorIj11FixedVectorIiLj4EEEEZZNS1_16scan_by_key_implILNS1_25lookback_scan_determinismE0ELb0ES3_N6thrust23THRUST_200600_302600_NS6detail15normal_iteratorINSB_10device_ptrIjEEEENSD_INSE_IS6_EEEESI_S6_NSB_4plusIvEENSB_8equal_toIvEES6_EE10hipError_tPvRmT2_T3_T4_T5_mT6_T7_P12ihipStream_tbENKUlT_T0_E_clISt17integral_constantIbLb1EES13_EEDaSY_SZ_EUlSY_E_NS1_11comp_targetILNS1_3genE10ELNS1_11target_archE1201ELNS1_3gpuE5ELNS1_3repE0EEENS1_30default_config_static_selectorELNS0_4arch9wavefront6targetE0EEEvT1_
	.globl	_ZN7rocprim17ROCPRIM_400000_NS6detail17trampoline_kernelINS0_14default_configENS1_27scan_by_key_config_selectorIj11FixedVectorIiLj4EEEEZZNS1_16scan_by_key_implILNS1_25lookback_scan_determinismE0ELb0ES3_N6thrust23THRUST_200600_302600_NS6detail15normal_iteratorINSB_10device_ptrIjEEEENSD_INSE_IS6_EEEESI_S6_NSB_4plusIvEENSB_8equal_toIvEES6_EE10hipError_tPvRmT2_T3_T4_T5_mT6_T7_P12ihipStream_tbENKUlT_T0_E_clISt17integral_constantIbLb1EES13_EEDaSY_SZ_EUlSY_E_NS1_11comp_targetILNS1_3genE10ELNS1_11target_archE1201ELNS1_3gpuE5ELNS1_3repE0EEENS1_30default_config_static_selectorELNS0_4arch9wavefront6targetE0EEEvT1_
	.p2align	8
	.type	_ZN7rocprim17ROCPRIM_400000_NS6detail17trampoline_kernelINS0_14default_configENS1_27scan_by_key_config_selectorIj11FixedVectorIiLj4EEEEZZNS1_16scan_by_key_implILNS1_25lookback_scan_determinismE0ELb0ES3_N6thrust23THRUST_200600_302600_NS6detail15normal_iteratorINSB_10device_ptrIjEEEENSD_INSE_IS6_EEEESI_S6_NSB_4plusIvEENSB_8equal_toIvEES6_EE10hipError_tPvRmT2_T3_T4_T5_mT6_T7_P12ihipStream_tbENKUlT_T0_E_clISt17integral_constantIbLb1EES13_EEDaSY_SZ_EUlSY_E_NS1_11comp_targetILNS1_3genE10ELNS1_11target_archE1201ELNS1_3gpuE5ELNS1_3repE0EEENS1_30default_config_static_selectorELNS0_4arch9wavefront6targetE0EEEvT1_,@function
_ZN7rocprim17ROCPRIM_400000_NS6detail17trampoline_kernelINS0_14default_configENS1_27scan_by_key_config_selectorIj11FixedVectorIiLj4EEEEZZNS1_16scan_by_key_implILNS1_25lookback_scan_determinismE0ELb0ES3_N6thrust23THRUST_200600_302600_NS6detail15normal_iteratorINSB_10device_ptrIjEEEENSD_INSE_IS6_EEEESI_S6_NSB_4plusIvEENSB_8equal_toIvEES6_EE10hipError_tPvRmT2_T3_T4_T5_mT6_T7_P12ihipStream_tbENKUlT_T0_E_clISt17integral_constantIbLb1EES13_EEDaSY_SZ_EUlSY_E_NS1_11comp_targetILNS1_3genE10ELNS1_11target_archE1201ELNS1_3gpuE5ELNS1_3repE0EEENS1_30default_config_static_selectorELNS0_4arch9wavefront6targetE0EEEvT1_: ; @_ZN7rocprim17ROCPRIM_400000_NS6detail17trampoline_kernelINS0_14default_configENS1_27scan_by_key_config_selectorIj11FixedVectorIiLj4EEEEZZNS1_16scan_by_key_implILNS1_25lookback_scan_determinismE0ELb0ES3_N6thrust23THRUST_200600_302600_NS6detail15normal_iteratorINSB_10device_ptrIjEEEENSD_INSE_IS6_EEEESI_S6_NSB_4plusIvEENSB_8equal_toIvEES6_EE10hipError_tPvRmT2_T3_T4_T5_mT6_T7_P12ihipStream_tbENKUlT_T0_E_clISt17integral_constantIbLb1EES13_EEDaSY_SZ_EUlSY_E_NS1_11comp_targetILNS1_3genE10ELNS1_11target_archE1201ELNS1_3gpuE5ELNS1_3repE0EEENS1_30default_config_static_selectorELNS0_4arch9wavefront6targetE0EEEvT1_
; %bb.0:
	.section	.rodata,"a",@progbits
	.p2align	6, 0x0
	.amdhsa_kernel _ZN7rocprim17ROCPRIM_400000_NS6detail17trampoline_kernelINS0_14default_configENS1_27scan_by_key_config_selectorIj11FixedVectorIiLj4EEEEZZNS1_16scan_by_key_implILNS1_25lookback_scan_determinismE0ELb0ES3_N6thrust23THRUST_200600_302600_NS6detail15normal_iteratorINSB_10device_ptrIjEEEENSD_INSE_IS6_EEEESI_S6_NSB_4plusIvEENSB_8equal_toIvEES6_EE10hipError_tPvRmT2_T3_T4_T5_mT6_T7_P12ihipStream_tbENKUlT_T0_E_clISt17integral_constantIbLb1EES13_EEDaSY_SZ_EUlSY_E_NS1_11comp_targetILNS1_3genE10ELNS1_11target_archE1201ELNS1_3gpuE5ELNS1_3repE0EEENS1_30default_config_static_selectorELNS0_4arch9wavefront6targetE0EEEvT1_
		.amdhsa_group_segment_fixed_size 0
		.amdhsa_private_segment_fixed_size 0
		.amdhsa_kernarg_size 144
		.amdhsa_user_sgpr_count 6
		.amdhsa_user_sgpr_private_segment_buffer 1
		.amdhsa_user_sgpr_dispatch_ptr 0
		.amdhsa_user_sgpr_queue_ptr 0
		.amdhsa_user_sgpr_kernarg_segment_ptr 1
		.amdhsa_user_sgpr_dispatch_id 0
		.amdhsa_user_sgpr_flat_scratch_init 0
		.amdhsa_user_sgpr_private_segment_size 0
		.amdhsa_wavefront_size32 1
		.amdhsa_uses_dynamic_stack 0
		.amdhsa_system_sgpr_private_segment_wavefront_offset 0
		.amdhsa_system_sgpr_workgroup_id_x 1
		.amdhsa_system_sgpr_workgroup_id_y 0
		.amdhsa_system_sgpr_workgroup_id_z 0
		.amdhsa_system_sgpr_workgroup_info 0
		.amdhsa_system_vgpr_workitem_id 0
		.amdhsa_next_free_vgpr 1
		.amdhsa_next_free_sgpr 1
		.amdhsa_reserve_vcc 0
		.amdhsa_reserve_flat_scratch 0
		.amdhsa_float_round_mode_32 0
		.amdhsa_float_round_mode_16_64 0
		.amdhsa_float_denorm_mode_32 3
		.amdhsa_float_denorm_mode_16_64 3
		.amdhsa_dx10_clamp 1
		.amdhsa_ieee_mode 1
		.amdhsa_fp16_overflow 0
		.amdhsa_workgroup_processor_mode 1
		.amdhsa_memory_ordered 1
		.amdhsa_forward_progress 1
		.amdhsa_shared_vgpr_count 0
		.amdhsa_exception_fp_ieee_invalid_op 0
		.amdhsa_exception_fp_denorm_src 0
		.amdhsa_exception_fp_ieee_div_zero 0
		.amdhsa_exception_fp_ieee_overflow 0
		.amdhsa_exception_fp_ieee_underflow 0
		.amdhsa_exception_fp_ieee_inexact 0
		.amdhsa_exception_int_div_zero 0
	.end_amdhsa_kernel
	.section	.text._ZN7rocprim17ROCPRIM_400000_NS6detail17trampoline_kernelINS0_14default_configENS1_27scan_by_key_config_selectorIj11FixedVectorIiLj4EEEEZZNS1_16scan_by_key_implILNS1_25lookback_scan_determinismE0ELb0ES3_N6thrust23THRUST_200600_302600_NS6detail15normal_iteratorINSB_10device_ptrIjEEEENSD_INSE_IS6_EEEESI_S6_NSB_4plusIvEENSB_8equal_toIvEES6_EE10hipError_tPvRmT2_T3_T4_T5_mT6_T7_P12ihipStream_tbENKUlT_T0_E_clISt17integral_constantIbLb1EES13_EEDaSY_SZ_EUlSY_E_NS1_11comp_targetILNS1_3genE10ELNS1_11target_archE1201ELNS1_3gpuE5ELNS1_3repE0EEENS1_30default_config_static_selectorELNS0_4arch9wavefront6targetE0EEEvT1_,"axG",@progbits,_ZN7rocprim17ROCPRIM_400000_NS6detail17trampoline_kernelINS0_14default_configENS1_27scan_by_key_config_selectorIj11FixedVectorIiLj4EEEEZZNS1_16scan_by_key_implILNS1_25lookback_scan_determinismE0ELb0ES3_N6thrust23THRUST_200600_302600_NS6detail15normal_iteratorINSB_10device_ptrIjEEEENSD_INSE_IS6_EEEESI_S6_NSB_4plusIvEENSB_8equal_toIvEES6_EE10hipError_tPvRmT2_T3_T4_T5_mT6_T7_P12ihipStream_tbENKUlT_T0_E_clISt17integral_constantIbLb1EES13_EEDaSY_SZ_EUlSY_E_NS1_11comp_targetILNS1_3genE10ELNS1_11target_archE1201ELNS1_3gpuE5ELNS1_3repE0EEENS1_30default_config_static_selectorELNS0_4arch9wavefront6targetE0EEEvT1_,comdat
.Lfunc_end2045:
	.size	_ZN7rocprim17ROCPRIM_400000_NS6detail17trampoline_kernelINS0_14default_configENS1_27scan_by_key_config_selectorIj11FixedVectorIiLj4EEEEZZNS1_16scan_by_key_implILNS1_25lookback_scan_determinismE0ELb0ES3_N6thrust23THRUST_200600_302600_NS6detail15normal_iteratorINSB_10device_ptrIjEEEENSD_INSE_IS6_EEEESI_S6_NSB_4plusIvEENSB_8equal_toIvEES6_EE10hipError_tPvRmT2_T3_T4_T5_mT6_T7_P12ihipStream_tbENKUlT_T0_E_clISt17integral_constantIbLb1EES13_EEDaSY_SZ_EUlSY_E_NS1_11comp_targetILNS1_3genE10ELNS1_11target_archE1201ELNS1_3gpuE5ELNS1_3repE0EEENS1_30default_config_static_selectorELNS0_4arch9wavefront6targetE0EEEvT1_, .Lfunc_end2045-_ZN7rocprim17ROCPRIM_400000_NS6detail17trampoline_kernelINS0_14default_configENS1_27scan_by_key_config_selectorIj11FixedVectorIiLj4EEEEZZNS1_16scan_by_key_implILNS1_25lookback_scan_determinismE0ELb0ES3_N6thrust23THRUST_200600_302600_NS6detail15normal_iteratorINSB_10device_ptrIjEEEENSD_INSE_IS6_EEEESI_S6_NSB_4plusIvEENSB_8equal_toIvEES6_EE10hipError_tPvRmT2_T3_T4_T5_mT6_T7_P12ihipStream_tbENKUlT_T0_E_clISt17integral_constantIbLb1EES13_EEDaSY_SZ_EUlSY_E_NS1_11comp_targetILNS1_3genE10ELNS1_11target_archE1201ELNS1_3gpuE5ELNS1_3repE0EEENS1_30default_config_static_selectorELNS0_4arch9wavefront6targetE0EEEvT1_
                                        ; -- End function
	.set _ZN7rocprim17ROCPRIM_400000_NS6detail17trampoline_kernelINS0_14default_configENS1_27scan_by_key_config_selectorIj11FixedVectorIiLj4EEEEZZNS1_16scan_by_key_implILNS1_25lookback_scan_determinismE0ELb0ES3_N6thrust23THRUST_200600_302600_NS6detail15normal_iteratorINSB_10device_ptrIjEEEENSD_INSE_IS6_EEEESI_S6_NSB_4plusIvEENSB_8equal_toIvEES6_EE10hipError_tPvRmT2_T3_T4_T5_mT6_T7_P12ihipStream_tbENKUlT_T0_E_clISt17integral_constantIbLb1EES13_EEDaSY_SZ_EUlSY_E_NS1_11comp_targetILNS1_3genE10ELNS1_11target_archE1201ELNS1_3gpuE5ELNS1_3repE0EEENS1_30default_config_static_selectorELNS0_4arch9wavefront6targetE0EEEvT1_.num_vgpr, 0
	.set _ZN7rocprim17ROCPRIM_400000_NS6detail17trampoline_kernelINS0_14default_configENS1_27scan_by_key_config_selectorIj11FixedVectorIiLj4EEEEZZNS1_16scan_by_key_implILNS1_25lookback_scan_determinismE0ELb0ES3_N6thrust23THRUST_200600_302600_NS6detail15normal_iteratorINSB_10device_ptrIjEEEENSD_INSE_IS6_EEEESI_S6_NSB_4plusIvEENSB_8equal_toIvEES6_EE10hipError_tPvRmT2_T3_T4_T5_mT6_T7_P12ihipStream_tbENKUlT_T0_E_clISt17integral_constantIbLb1EES13_EEDaSY_SZ_EUlSY_E_NS1_11comp_targetILNS1_3genE10ELNS1_11target_archE1201ELNS1_3gpuE5ELNS1_3repE0EEENS1_30default_config_static_selectorELNS0_4arch9wavefront6targetE0EEEvT1_.num_agpr, 0
	.set _ZN7rocprim17ROCPRIM_400000_NS6detail17trampoline_kernelINS0_14default_configENS1_27scan_by_key_config_selectorIj11FixedVectorIiLj4EEEEZZNS1_16scan_by_key_implILNS1_25lookback_scan_determinismE0ELb0ES3_N6thrust23THRUST_200600_302600_NS6detail15normal_iteratorINSB_10device_ptrIjEEEENSD_INSE_IS6_EEEESI_S6_NSB_4plusIvEENSB_8equal_toIvEES6_EE10hipError_tPvRmT2_T3_T4_T5_mT6_T7_P12ihipStream_tbENKUlT_T0_E_clISt17integral_constantIbLb1EES13_EEDaSY_SZ_EUlSY_E_NS1_11comp_targetILNS1_3genE10ELNS1_11target_archE1201ELNS1_3gpuE5ELNS1_3repE0EEENS1_30default_config_static_selectorELNS0_4arch9wavefront6targetE0EEEvT1_.numbered_sgpr, 0
	.set _ZN7rocprim17ROCPRIM_400000_NS6detail17trampoline_kernelINS0_14default_configENS1_27scan_by_key_config_selectorIj11FixedVectorIiLj4EEEEZZNS1_16scan_by_key_implILNS1_25lookback_scan_determinismE0ELb0ES3_N6thrust23THRUST_200600_302600_NS6detail15normal_iteratorINSB_10device_ptrIjEEEENSD_INSE_IS6_EEEESI_S6_NSB_4plusIvEENSB_8equal_toIvEES6_EE10hipError_tPvRmT2_T3_T4_T5_mT6_T7_P12ihipStream_tbENKUlT_T0_E_clISt17integral_constantIbLb1EES13_EEDaSY_SZ_EUlSY_E_NS1_11comp_targetILNS1_3genE10ELNS1_11target_archE1201ELNS1_3gpuE5ELNS1_3repE0EEENS1_30default_config_static_selectorELNS0_4arch9wavefront6targetE0EEEvT1_.num_named_barrier, 0
	.set _ZN7rocprim17ROCPRIM_400000_NS6detail17trampoline_kernelINS0_14default_configENS1_27scan_by_key_config_selectorIj11FixedVectorIiLj4EEEEZZNS1_16scan_by_key_implILNS1_25lookback_scan_determinismE0ELb0ES3_N6thrust23THRUST_200600_302600_NS6detail15normal_iteratorINSB_10device_ptrIjEEEENSD_INSE_IS6_EEEESI_S6_NSB_4plusIvEENSB_8equal_toIvEES6_EE10hipError_tPvRmT2_T3_T4_T5_mT6_T7_P12ihipStream_tbENKUlT_T0_E_clISt17integral_constantIbLb1EES13_EEDaSY_SZ_EUlSY_E_NS1_11comp_targetILNS1_3genE10ELNS1_11target_archE1201ELNS1_3gpuE5ELNS1_3repE0EEENS1_30default_config_static_selectorELNS0_4arch9wavefront6targetE0EEEvT1_.private_seg_size, 0
	.set _ZN7rocprim17ROCPRIM_400000_NS6detail17trampoline_kernelINS0_14default_configENS1_27scan_by_key_config_selectorIj11FixedVectorIiLj4EEEEZZNS1_16scan_by_key_implILNS1_25lookback_scan_determinismE0ELb0ES3_N6thrust23THRUST_200600_302600_NS6detail15normal_iteratorINSB_10device_ptrIjEEEENSD_INSE_IS6_EEEESI_S6_NSB_4plusIvEENSB_8equal_toIvEES6_EE10hipError_tPvRmT2_T3_T4_T5_mT6_T7_P12ihipStream_tbENKUlT_T0_E_clISt17integral_constantIbLb1EES13_EEDaSY_SZ_EUlSY_E_NS1_11comp_targetILNS1_3genE10ELNS1_11target_archE1201ELNS1_3gpuE5ELNS1_3repE0EEENS1_30default_config_static_selectorELNS0_4arch9wavefront6targetE0EEEvT1_.uses_vcc, 0
	.set _ZN7rocprim17ROCPRIM_400000_NS6detail17trampoline_kernelINS0_14default_configENS1_27scan_by_key_config_selectorIj11FixedVectorIiLj4EEEEZZNS1_16scan_by_key_implILNS1_25lookback_scan_determinismE0ELb0ES3_N6thrust23THRUST_200600_302600_NS6detail15normal_iteratorINSB_10device_ptrIjEEEENSD_INSE_IS6_EEEESI_S6_NSB_4plusIvEENSB_8equal_toIvEES6_EE10hipError_tPvRmT2_T3_T4_T5_mT6_T7_P12ihipStream_tbENKUlT_T0_E_clISt17integral_constantIbLb1EES13_EEDaSY_SZ_EUlSY_E_NS1_11comp_targetILNS1_3genE10ELNS1_11target_archE1201ELNS1_3gpuE5ELNS1_3repE0EEENS1_30default_config_static_selectorELNS0_4arch9wavefront6targetE0EEEvT1_.uses_flat_scratch, 0
	.set _ZN7rocprim17ROCPRIM_400000_NS6detail17trampoline_kernelINS0_14default_configENS1_27scan_by_key_config_selectorIj11FixedVectorIiLj4EEEEZZNS1_16scan_by_key_implILNS1_25lookback_scan_determinismE0ELb0ES3_N6thrust23THRUST_200600_302600_NS6detail15normal_iteratorINSB_10device_ptrIjEEEENSD_INSE_IS6_EEEESI_S6_NSB_4plusIvEENSB_8equal_toIvEES6_EE10hipError_tPvRmT2_T3_T4_T5_mT6_T7_P12ihipStream_tbENKUlT_T0_E_clISt17integral_constantIbLb1EES13_EEDaSY_SZ_EUlSY_E_NS1_11comp_targetILNS1_3genE10ELNS1_11target_archE1201ELNS1_3gpuE5ELNS1_3repE0EEENS1_30default_config_static_selectorELNS0_4arch9wavefront6targetE0EEEvT1_.has_dyn_sized_stack, 0
	.set _ZN7rocprim17ROCPRIM_400000_NS6detail17trampoline_kernelINS0_14default_configENS1_27scan_by_key_config_selectorIj11FixedVectorIiLj4EEEEZZNS1_16scan_by_key_implILNS1_25lookback_scan_determinismE0ELb0ES3_N6thrust23THRUST_200600_302600_NS6detail15normal_iteratorINSB_10device_ptrIjEEEENSD_INSE_IS6_EEEESI_S6_NSB_4plusIvEENSB_8equal_toIvEES6_EE10hipError_tPvRmT2_T3_T4_T5_mT6_T7_P12ihipStream_tbENKUlT_T0_E_clISt17integral_constantIbLb1EES13_EEDaSY_SZ_EUlSY_E_NS1_11comp_targetILNS1_3genE10ELNS1_11target_archE1201ELNS1_3gpuE5ELNS1_3repE0EEENS1_30default_config_static_selectorELNS0_4arch9wavefront6targetE0EEEvT1_.has_recursion, 0
	.set _ZN7rocprim17ROCPRIM_400000_NS6detail17trampoline_kernelINS0_14default_configENS1_27scan_by_key_config_selectorIj11FixedVectorIiLj4EEEEZZNS1_16scan_by_key_implILNS1_25lookback_scan_determinismE0ELb0ES3_N6thrust23THRUST_200600_302600_NS6detail15normal_iteratorINSB_10device_ptrIjEEEENSD_INSE_IS6_EEEESI_S6_NSB_4plusIvEENSB_8equal_toIvEES6_EE10hipError_tPvRmT2_T3_T4_T5_mT6_T7_P12ihipStream_tbENKUlT_T0_E_clISt17integral_constantIbLb1EES13_EEDaSY_SZ_EUlSY_E_NS1_11comp_targetILNS1_3genE10ELNS1_11target_archE1201ELNS1_3gpuE5ELNS1_3repE0EEENS1_30default_config_static_selectorELNS0_4arch9wavefront6targetE0EEEvT1_.has_indirect_call, 0
	.section	.AMDGPU.csdata,"",@progbits
; Kernel info:
; codeLenInByte = 0
; TotalNumSgprs: 0
; NumVgprs: 0
; ScratchSize: 0
; MemoryBound: 0
; FloatMode: 240
; IeeeMode: 1
; LDSByteSize: 0 bytes/workgroup (compile time only)
; SGPRBlocks: 0
; VGPRBlocks: 0
; NumSGPRsForWavesPerEU: 1
; NumVGPRsForWavesPerEU: 1
; Occupancy: 16
; WaveLimiterHint : 0
; COMPUTE_PGM_RSRC2:SCRATCH_EN: 0
; COMPUTE_PGM_RSRC2:USER_SGPR: 6
; COMPUTE_PGM_RSRC2:TRAP_HANDLER: 0
; COMPUTE_PGM_RSRC2:TGID_X_EN: 1
; COMPUTE_PGM_RSRC2:TGID_Y_EN: 0
; COMPUTE_PGM_RSRC2:TGID_Z_EN: 0
; COMPUTE_PGM_RSRC2:TIDIG_COMP_CNT: 0
	.section	.text._ZN7rocprim17ROCPRIM_400000_NS6detail17trampoline_kernelINS0_14default_configENS1_27scan_by_key_config_selectorIj11FixedVectorIiLj4EEEEZZNS1_16scan_by_key_implILNS1_25lookback_scan_determinismE0ELb0ES3_N6thrust23THRUST_200600_302600_NS6detail15normal_iteratorINSB_10device_ptrIjEEEENSD_INSE_IS6_EEEESI_S6_NSB_4plusIvEENSB_8equal_toIvEES6_EE10hipError_tPvRmT2_T3_T4_T5_mT6_T7_P12ihipStream_tbENKUlT_T0_E_clISt17integral_constantIbLb1EES13_EEDaSY_SZ_EUlSY_E_NS1_11comp_targetILNS1_3genE5ELNS1_11target_archE942ELNS1_3gpuE9ELNS1_3repE0EEENS1_30default_config_static_selectorELNS0_4arch9wavefront6targetE0EEEvT1_,"axG",@progbits,_ZN7rocprim17ROCPRIM_400000_NS6detail17trampoline_kernelINS0_14default_configENS1_27scan_by_key_config_selectorIj11FixedVectorIiLj4EEEEZZNS1_16scan_by_key_implILNS1_25lookback_scan_determinismE0ELb0ES3_N6thrust23THRUST_200600_302600_NS6detail15normal_iteratorINSB_10device_ptrIjEEEENSD_INSE_IS6_EEEESI_S6_NSB_4plusIvEENSB_8equal_toIvEES6_EE10hipError_tPvRmT2_T3_T4_T5_mT6_T7_P12ihipStream_tbENKUlT_T0_E_clISt17integral_constantIbLb1EES13_EEDaSY_SZ_EUlSY_E_NS1_11comp_targetILNS1_3genE5ELNS1_11target_archE942ELNS1_3gpuE9ELNS1_3repE0EEENS1_30default_config_static_selectorELNS0_4arch9wavefront6targetE0EEEvT1_,comdat
	.protected	_ZN7rocprim17ROCPRIM_400000_NS6detail17trampoline_kernelINS0_14default_configENS1_27scan_by_key_config_selectorIj11FixedVectorIiLj4EEEEZZNS1_16scan_by_key_implILNS1_25lookback_scan_determinismE0ELb0ES3_N6thrust23THRUST_200600_302600_NS6detail15normal_iteratorINSB_10device_ptrIjEEEENSD_INSE_IS6_EEEESI_S6_NSB_4plusIvEENSB_8equal_toIvEES6_EE10hipError_tPvRmT2_T3_T4_T5_mT6_T7_P12ihipStream_tbENKUlT_T0_E_clISt17integral_constantIbLb1EES13_EEDaSY_SZ_EUlSY_E_NS1_11comp_targetILNS1_3genE5ELNS1_11target_archE942ELNS1_3gpuE9ELNS1_3repE0EEENS1_30default_config_static_selectorELNS0_4arch9wavefront6targetE0EEEvT1_ ; -- Begin function _ZN7rocprim17ROCPRIM_400000_NS6detail17trampoline_kernelINS0_14default_configENS1_27scan_by_key_config_selectorIj11FixedVectorIiLj4EEEEZZNS1_16scan_by_key_implILNS1_25lookback_scan_determinismE0ELb0ES3_N6thrust23THRUST_200600_302600_NS6detail15normal_iteratorINSB_10device_ptrIjEEEENSD_INSE_IS6_EEEESI_S6_NSB_4plusIvEENSB_8equal_toIvEES6_EE10hipError_tPvRmT2_T3_T4_T5_mT6_T7_P12ihipStream_tbENKUlT_T0_E_clISt17integral_constantIbLb1EES13_EEDaSY_SZ_EUlSY_E_NS1_11comp_targetILNS1_3genE5ELNS1_11target_archE942ELNS1_3gpuE9ELNS1_3repE0EEENS1_30default_config_static_selectorELNS0_4arch9wavefront6targetE0EEEvT1_
	.globl	_ZN7rocprim17ROCPRIM_400000_NS6detail17trampoline_kernelINS0_14default_configENS1_27scan_by_key_config_selectorIj11FixedVectorIiLj4EEEEZZNS1_16scan_by_key_implILNS1_25lookback_scan_determinismE0ELb0ES3_N6thrust23THRUST_200600_302600_NS6detail15normal_iteratorINSB_10device_ptrIjEEEENSD_INSE_IS6_EEEESI_S6_NSB_4plusIvEENSB_8equal_toIvEES6_EE10hipError_tPvRmT2_T3_T4_T5_mT6_T7_P12ihipStream_tbENKUlT_T0_E_clISt17integral_constantIbLb1EES13_EEDaSY_SZ_EUlSY_E_NS1_11comp_targetILNS1_3genE5ELNS1_11target_archE942ELNS1_3gpuE9ELNS1_3repE0EEENS1_30default_config_static_selectorELNS0_4arch9wavefront6targetE0EEEvT1_
	.p2align	8
	.type	_ZN7rocprim17ROCPRIM_400000_NS6detail17trampoline_kernelINS0_14default_configENS1_27scan_by_key_config_selectorIj11FixedVectorIiLj4EEEEZZNS1_16scan_by_key_implILNS1_25lookback_scan_determinismE0ELb0ES3_N6thrust23THRUST_200600_302600_NS6detail15normal_iteratorINSB_10device_ptrIjEEEENSD_INSE_IS6_EEEESI_S6_NSB_4plusIvEENSB_8equal_toIvEES6_EE10hipError_tPvRmT2_T3_T4_T5_mT6_T7_P12ihipStream_tbENKUlT_T0_E_clISt17integral_constantIbLb1EES13_EEDaSY_SZ_EUlSY_E_NS1_11comp_targetILNS1_3genE5ELNS1_11target_archE942ELNS1_3gpuE9ELNS1_3repE0EEENS1_30default_config_static_selectorELNS0_4arch9wavefront6targetE0EEEvT1_,@function
_ZN7rocprim17ROCPRIM_400000_NS6detail17trampoline_kernelINS0_14default_configENS1_27scan_by_key_config_selectorIj11FixedVectorIiLj4EEEEZZNS1_16scan_by_key_implILNS1_25lookback_scan_determinismE0ELb0ES3_N6thrust23THRUST_200600_302600_NS6detail15normal_iteratorINSB_10device_ptrIjEEEENSD_INSE_IS6_EEEESI_S6_NSB_4plusIvEENSB_8equal_toIvEES6_EE10hipError_tPvRmT2_T3_T4_T5_mT6_T7_P12ihipStream_tbENKUlT_T0_E_clISt17integral_constantIbLb1EES13_EEDaSY_SZ_EUlSY_E_NS1_11comp_targetILNS1_3genE5ELNS1_11target_archE942ELNS1_3gpuE9ELNS1_3repE0EEENS1_30default_config_static_selectorELNS0_4arch9wavefront6targetE0EEEvT1_: ; @_ZN7rocprim17ROCPRIM_400000_NS6detail17trampoline_kernelINS0_14default_configENS1_27scan_by_key_config_selectorIj11FixedVectorIiLj4EEEEZZNS1_16scan_by_key_implILNS1_25lookback_scan_determinismE0ELb0ES3_N6thrust23THRUST_200600_302600_NS6detail15normal_iteratorINSB_10device_ptrIjEEEENSD_INSE_IS6_EEEESI_S6_NSB_4plusIvEENSB_8equal_toIvEES6_EE10hipError_tPvRmT2_T3_T4_T5_mT6_T7_P12ihipStream_tbENKUlT_T0_E_clISt17integral_constantIbLb1EES13_EEDaSY_SZ_EUlSY_E_NS1_11comp_targetILNS1_3genE5ELNS1_11target_archE942ELNS1_3gpuE9ELNS1_3repE0EEENS1_30default_config_static_selectorELNS0_4arch9wavefront6targetE0EEEvT1_
; %bb.0:
	.section	.rodata,"a",@progbits
	.p2align	6, 0x0
	.amdhsa_kernel _ZN7rocprim17ROCPRIM_400000_NS6detail17trampoline_kernelINS0_14default_configENS1_27scan_by_key_config_selectorIj11FixedVectorIiLj4EEEEZZNS1_16scan_by_key_implILNS1_25lookback_scan_determinismE0ELb0ES3_N6thrust23THRUST_200600_302600_NS6detail15normal_iteratorINSB_10device_ptrIjEEEENSD_INSE_IS6_EEEESI_S6_NSB_4plusIvEENSB_8equal_toIvEES6_EE10hipError_tPvRmT2_T3_T4_T5_mT6_T7_P12ihipStream_tbENKUlT_T0_E_clISt17integral_constantIbLb1EES13_EEDaSY_SZ_EUlSY_E_NS1_11comp_targetILNS1_3genE5ELNS1_11target_archE942ELNS1_3gpuE9ELNS1_3repE0EEENS1_30default_config_static_selectorELNS0_4arch9wavefront6targetE0EEEvT1_
		.amdhsa_group_segment_fixed_size 0
		.amdhsa_private_segment_fixed_size 0
		.amdhsa_kernarg_size 144
		.amdhsa_user_sgpr_count 6
		.amdhsa_user_sgpr_private_segment_buffer 1
		.amdhsa_user_sgpr_dispatch_ptr 0
		.amdhsa_user_sgpr_queue_ptr 0
		.amdhsa_user_sgpr_kernarg_segment_ptr 1
		.amdhsa_user_sgpr_dispatch_id 0
		.amdhsa_user_sgpr_flat_scratch_init 0
		.amdhsa_user_sgpr_private_segment_size 0
		.amdhsa_wavefront_size32 1
		.amdhsa_uses_dynamic_stack 0
		.amdhsa_system_sgpr_private_segment_wavefront_offset 0
		.amdhsa_system_sgpr_workgroup_id_x 1
		.amdhsa_system_sgpr_workgroup_id_y 0
		.amdhsa_system_sgpr_workgroup_id_z 0
		.amdhsa_system_sgpr_workgroup_info 0
		.amdhsa_system_vgpr_workitem_id 0
		.amdhsa_next_free_vgpr 1
		.amdhsa_next_free_sgpr 1
		.amdhsa_reserve_vcc 0
		.amdhsa_reserve_flat_scratch 0
		.amdhsa_float_round_mode_32 0
		.amdhsa_float_round_mode_16_64 0
		.amdhsa_float_denorm_mode_32 3
		.amdhsa_float_denorm_mode_16_64 3
		.amdhsa_dx10_clamp 1
		.amdhsa_ieee_mode 1
		.amdhsa_fp16_overflow 0
		.amdhsa_workgroup_processor_mode 1
		.amdhsa_memory_ordered 1
		.amdhsa_forward_progress 1
		.amdhsa_shared_vgpr_count 0
		.amdhsa_exception_fp_ieee_invalid_op 0
		.amdhsa_exception_fp_denorm_src 0
		.amdhsa_exception_fp_ieee_div_zero 0
		.amdhsa_exception_fp_ieee_overflow 0
		.amdhsa_exception_fp_ieee_underflow 0
		.amdhsa_exception_fp_ieee_inexact 0
		.amdhsa_exception_int_div_zero 0
	.end_amdhsa_kernel
	.section	.text._ZN7rocprim17ROCPRIM_400000_NS6detail17trampoline_kernelINS0_14default_configENS1_27scan_by_key_config_selectorIj11FixedVectorIiLj4EEEEZZNS1_16scan_by_key_implILNS1_25lookback_scan_determinismE0ELb0ES3_N6thrust23THRUST_200600_302600_NS6detail15normal_iteratorINSB_10device_ptrIjEEEENSD_INSE_IS6_EEEESI_S6_NSB_4plusIvEENSB_8equal_toIvEES6_EE10hipError_tPvRmT2_T3_T4_T5_mT6_T7_P12ihipStream_tbENKUlT_T0_E_clISt17integral_constantIbLb1EES13_EEDaSY_SZ_EUlSY_E_NS1_11comp_targetILNS1_3genE5ELNS1_11target_archE942ELNS1_3gpuE9ELNS1_3repE0EEENS1_30default_config_static_selectorELNS0_4arch9wavefront6targetE0EEEvT1_,"axG",@progbits,_ZN7rocprim17ROCPRIM_400000_NS6detail17trampoline_kernelINS0_14default_configENS1_27scan_by_key_config_selectorIj11FixedVectorIiLj4EEEEZZNS1_16scan_by_key_implILNS1_25lookback_scan_determinismE0ELb0ES3_N6thrust23THRUST_200600_302600_NS6detail15normal_iteratorINSB_10device_ptrIjEEEENSD_INSE_IS6_EEEESI_S6_NSB_4plusIvEENSB_8equal_toIvEES6_EE10hipError_tPvRmT2_T3_T4_T5_mT6_T7_P12ihipStream_tbENKUlT_T0_E_clISt17integral_constantIbLb1EES13_EEDaSY_SZ_EUlSY_E_NS1_11comp_targetILNS1_3genE5ELNS1_11target_archE942ELNS1_3gpuE9ELNS1_3repE0EEENS1_30default_config_static_selectorELNS0_4arch9wavefront6targetE0EEEvT1_,comdat
.Lfunc_end2046:
	.size	_ZN7rocprim17ROCPRIM_400000_NS6detail17trampoline_kernelINS0_14default_configENS1_27scan_by_key_config_selectorIj11FixedVectorIiLj4EEEEZZNS1_16scan_by_key_implILNS1_25lookback_scan_determinismE0ELb0ES3_N6thrust23THRUST_200600_302600_NS6detail15normal_iteratorINSB_10device_ptrIjEEEENSD_INSE_IS6_EEEESI_S6_NSB_4plusIvEENSB_8equal_toIvEES6_EE10hipError_tPvRmT2_T3_T4_T5_mT6_T7_P12ihipStream_tbENKUlT_T0_E_clISt17integral_constantIbLb1EES13_EEDaSY_SZ_EUlSY_E_NS1_11comp_targetILNS1_3genE5ELNS1_11target_archE942ELNS1_3gpuE9ELNS1_3repE0EEENS1_30default_config_static_selectorELNS0_4arch9wavefront6targetE0EEEvT1_, .Lfunc_end2046-_ZN7rocprim17ROCPRIM_400000_NS6detail17trampoline_kernelINS0_14default_configENS1_27scan_by_key_config_selectorIj11FixedVectorIiLj4EEEEZZNS1_16scan_by_key_implILNS1_25lookback_scan_determinismE0ELb0ES3_N6thrust23THRUST_200600_302600_NS6detail15normal_iteratorINSB_10device_ptrIjEEEENSD_INSE_IS6_EEEESI_S6_NSB_4plusIvEENSB_8equal_toIvEES6_EE10hipError_tPvRmT2_T3_T4_T5_mT6_T7_P12ihipStream_tbENKUlT_T0_E_clISt17integral_constantIbLb1EES13_EEDaSY_SZ_EUlSY_E_NS1_11comp_targetILNS1_3genE5ELNS1_11target_archE942ELNS1_3gpuE9ELNS1_3repE0EEENS1_30default_config_static_selectorELNS0_4arch9wavefront6targetE0EEEvT1_
                                        ; -- End function
	.set _ZN7rocprim17ROCPRIM_400000_NS6detail17trampoline_kernelINS0_14default_configENS1_27scan_by_key_config_selectorIj11FixedVectorIiLj4EEEEZZNS1_16scan_by_key_implILNS1_25lookback_scan_determinismE0ELb0ES3_N6thrust23THRUST_200600_302600_NS6detail15normal_iteratorINSB_10device_ptrIjEEEENSD_INSE_IS6_EEEESI_S6_NSB_4plusIvEENSB_8equal_toIvEES6_EE10hipError_tPvRmT2_T3_T4_T5_mT6_T7_P12ihipStream_tbENKUlT_T0_E_clISt17integral_constantIbLb1EES13_EEDaSY_SZ_EUlSY_E_NS1_11comp_targetILNS1_3genE5ELNS1_11target_archE942ELNS1_3gpuE9ELNS1_3repE0EEENS1_30default_config_static_selectorELNS0_4arch9wavefront6targetE0EEEvT1_.num_vgpr, 0
	.set _ZN7rocprim17ROCPRIM_400000_NS6detail17trampoline_kernelINS0_14default_configENS1_27scan_by_key_config_selectorIj11FixedVectorIiLj4EEEEZZNS1_16scan_by_key_implILNS1_25lookback_scan_determinismE0ELb0ES3_N6thrust23THRUST_200600_302600_NS6detail15normal_iteratorINSB_10device_ptrIjEEEENSD_INSE_IS6_EEEESI_S6_NSB_4plusIvEENSB_8equal_toIvEES6_EE10hipError_tPvRmT2_T3_T4_T5_mT6_T7_P12ihipStream_tbENKUlT_T0_E_clISt17integral_constantIbLb1EES13_EEDaSY_SZ_EUlSY_E_NS1_11comp_targetILNS1_3genE5ELNS1_11target_archE942ELNS1_3gpuE9ELNS1_3repE0EEENS1_30default_config_static_selectorELNS0_4arch9wavefront6targetE0EEEvT1_.num_agpr, 0
	.set _ZN7rocprim17ROCPRIM_400000_NS6detail17trampoline_kernelINS0_14default_configENS1_27scan_by_key_config_selectorIj11FixedVectorIiLj4EEEEZZNS1_16scan_by_key_implILNS1_25lookback_scan_determinismE0ELb0ES3_N6thrust23THRUST_200600_302600_NS6detail15normal_iteratorINSB_10device_ptrIjEEEENSD_INSE_IS6_EEEESI_S6_NSB_4plusIvEENSB_8equal_toIvEES6_EE10hipError_tPvRmT2_T3_T4_T5_mT6_T7_P12ihipStream_tbENKUlT_T0_E_clISt17integral_constantIbLb1EES13_EEDaSY_SZ_EUlSY_E_NS1_11comp_targetILNS1_3genE5ELNS1_11target_archE942ELNS1_3gpuE9ELNS1_3repE0EEENS1_30default_config_static_selectorELNS0_4arch9wavefront6targetE0EEEvT1_.numbered_sgpr, 0
	.set _ZN7rocprim17ROCPRIM_400000_NS6detail17trampoline_kernelINS0_14default_configENS1_27scan_by_key_config_selectorIj11FixedVectorIiLj4EEEEZZNS1_16scan_by_key_implILNS1_25lookback_scan_determinismE0ELb0ES3_N6thrust23THRUST_200600_302600_NS6detail15normal_iteratorINSB_10device_ptrIjEEEENSD_INSE_IS6_EEEESI_S6_NSB_4plusIvEENSB_8equal_toIvEES6_EE10hipError_tPvRmT2_T3_T4_T5_mT6_T7_P12ihipStream_tbENKUlT_T0_E_clISt17integral_constantIbLb1EES13_EEDaSY_SZ_EUlSY_E_NS1_11comp_targetILNS1_3genE5ELNS1_11target_archE942ELNS1_3gpuE9ELNS1_3repE0EEENS1_30default_config_static_selectorELNS0_4arch9wavefront6targetE0EEEvT1_.num_named_barrier, 0
	.set _ZN7rocprim17ROCPRIM_400000_NS6detail17trampoline_kernelINS0_14default_configENS1_27scan_by_key_config_selectorIj11FixedVectorIiLj4EEEEZZNS1_16scan_by_key_implILNS1_25lookback_scan_determinismE0ELb0ES3_N6thrust23THRUST_200600_302600_NS6detail15normal_iteratorINSB_10device_ptrIjEEEENSD_INSE_IS6_EEEESI_S6_NSB_4plusIvEENSB_8equal_toIvEES6_EE10hipError_tPvRmT2_T3_T4_T5_mT6_T7_P12ihipStream_tbENKUlT_T0_E_clISt17integral_constantIbLb1EES13_EEDaSY_SZ_EUlSY_E_NS1_11comp_targetILNS1_3genE5ELNS1_11target_archE942ELNS1_3gpuE9ELNS1_3repE0EEENS1_30default_config_static_selectorELNS0_4arch9wavefront6targetE0EEEvT1_.private_seg_size, 0
	.set _ZN7rocprim17ROCPRIM_400000_NS6detail17trampoline_kernelINS0_14default_configENS1_27scan_by_key_config_selectorIj11FixedVectorIiLj4EEEEZZNS1_16scan_by_key_implILNS1_25lookback_scan_determinismE0ELb0ES3_N6thrust23THRUST_200600_302600_NS6detail15normal_iteratorINSB_10device_ptrIjEEEENSD_INSE_IS6_EEEESI_S6_NSB_4plusIvEENSB_8equal_toIvEES6_EE10hipError_tPvRmT2_T3_T4_T5_mT6_T7_P12ihipStream_tbENKUlT_T0_E_clISt17integral_constantIbLb1EES13_EEDaSY_SZ_EUlSY_E_NS1_11comp_targetILNS1_3genE5ELNS1_11target_archE942ELNS1_3gpuE9ELNS1_3repE0EEENS1_30default_config_static_selectorELNS0_4arch9wavefront6targetE0EEEvT1_.uses_vcc, 0
	.set _ZN7rocprim17ROCPRIM_400000_NS6detail17trampoline_kernelINS0_14default_configENS1_27scan_by_key_config_selectorIj11FixedVectorIiLj4EEEEZZNS1_16scan_by_key_implILNS1_25lookback_scan_determinismE0ELb0ES3_N6thrust23THRUST_200600_302600_NS6detail15normal_iteratorINSB_10device_ptrIjEEEENSD_INSE_IS6_EEEESI_S6_NSB_4plusIvEENSB_8equal_toIvEES6_EE10hipError_tPvRmT2_T3_T4_T5_mT6_T7_P12ihipStream_tbENKUlT_T0_E_clISt17integral_constantIbLb1EES13_EEDaSY_SZ_EUlSY_E_NS1_11comp_targetILNS1_3genE5ELNS1_11target_archE942ELNS1_3gpuE9ELNS1_3repE0EEENS1_30default_config_static_selectorELNS0_4arch9wavefront6targetE0EEEvT1_.uses_flat_scratch, 0
	.set _ZN7rocprim17ROCPRIM_400000_NS6detail17trampoline_kernelINS0_14default_configENS1_27scan_by_key_config_selectorIj11FixedVectorIiLj4EEEEZZNS1_16scan_by_key_implILNS1_25lookback_scan_determinismE0ELb0ES3_N6thrust23THRUST_200600_302600_NS6detail15normal_iteratorINSB_10device_ptrIjEEEENSD_INSE_IS6_EEEESI_S6_NSB_4plusIvEENSB_8equal_toIvEES6_EE10hipError_tPvRmT2_T3_T4_T5_mT6_T7_P12ihipStream_tbENKUlT_T0_E_clISt17integral_constantIbLb1EES13_EEDaSY_SZ_EUlSY_E_NS1_11comp_targetILNS1_3genE5ELNS1_11target_archE942ELNS1_3gpuE9ELNS1_3repE0EEENS1_30default_config_static_selectorELNS0_4arch9wavefront6targetE0EEEvT1_.has_dyn_sized_stack, 0
	.set _ZN7rocprim17ROCPRIM_400000_NS6detail17trampoline_kernelINS0_14default_configENS1_27scan_by_key_config_selectorIj11FixedVectorIiLj4EEEEZZNS1_16scan_by_key_implILNS1_25lookback_scan_determinismE0ELb0ES3_N6thrust23THRUST_200600_302600_NS6detail15normal_iteratorINSB_10device_ptrIjEEEENSD_INSE_IS6_EEEESI_S6_NSB_4plusIvEENSB_8equal_toIvEES6_EE10hipError_tPvRmT2_T3_T4_T5_mT6_T7_P12ihipStream_tbENKUlT_T0_E_clISt17integral_constantIbLb1EES13_EEDaSY_SZ_EUlSY_E_NS1_11comp_targetILNS1_3genE5ELNS1_11target_archE942ELNS1_3gpuE9ELNS1_3repE0EEENS1_30default_config_static_selectorELNS0_4arch9wavefront6targetE0EEEvT1_.has_recursion, 0
	.set _ZN7rocprim17ROCPRIM_400000_NS6detail17trampoline_kernelINS0_14default_configENS1_27scan_by_key_config_selectorIj11FixedVectorIiLj4EEEEZZNS1_16scan_by_key_implILNS1_25lookback_scan_determinismE0ELb0ES3_N6thrust23THRUST_200600_302600_NS6detail15normal_iteratorINSB_10device_ptrIjEEEENSD_INSE_IS6_EEEESI_S6_NSB_4plusIvEENSB_8equal_toIvEES6_EE10hipError_tPvRmT2_T3_T4_T5_mT6_T7_P12ihipStream_tbENKUlT_T0_E_clISt17integral_constantIbLb1EES13_EEDaSY_SZ_EUlSY_E_NS1_11comp_targetILNS1_3genE5ELNS1_11target_archE942ELNS1_3gpuE9ELNS1_3repE0EEENS1_30default_config_static_selectorELNS0_4arch9wavefront6targetE0EEEvT1_.has_indirect_call, 0
	.section	.AMDGPU.csdata,"",@progbits
; Kernel info:
; codeLenInByte = 0
; TotalNumSgprs: 0
; NumVgprs: 0
; ScratchSize: 0
; MemoryBound: 0
; FloatMode: 240
; IeeeMode: 1
; LDSByteSize: 0 bytes/workgroup (compile time only)
; SGPRBlocks: 0
; VGPRBlocks: 0
; NumSGPRsForWavesPerEU: 1
; NumVGPRsForWavesPerEU: 1
; Occupancy: 16
; WaveLimiterHint : 0
; COMPUTE_PGM_RSRC2:SCRATCH_EN: 0
; COMPUTE_PGM_RSRC2:USER_SGPR: 6
; COMPUTE_PGM_RSRC2:TRAP_HANDLER: 0
; COMPUTE_PGM_RSRC2:TGID_X_EN: 1
; COMPUTE_PGM_RSRC2:TGID_Y_EN: 0
; COMPUTE_PGM_RSRC2:TGID_Z_EN: 0
; COMPUTE_PGM_RSRC2:TIDIG_COMP_CNT: 0
	.section	.text._ZN7rocprim17ROCPRIM_400000_NS6detail17trampoline_kernelINS0_14default_configENS1_27scan_by_key_config_selectorIj11FixedVectorIiLj4EEEEZZNS1_16scan_by_key_implILNS1_25lookback_scan_determinismE0ELb0ES3_N6thrust23THRUST_200600_302600_NS6detail15normal_iteratorINSB_10device_ptrIjEEEENSD_INSE_IS6_EEEESI_S6_NSB_4plusIvEENSB_8equal_toIvEES6_EE10hipError_tPvRmT2_T3_T4_T5_mT6_T7_P12ihipStream_tbENKUlT_T0_E_clISt17integral_constantIbLb1EES13_EEDaSY_SZ_EUlSY_E_NS1_11comp_targetILNS1_3genE4ELNS1_11target_archE910ELNS1_3gpuE8ELNS1_3repE0EEENS1_30default_config_static_selectorELNS0_4arch9wavefront6targetE0EEEvT1_,"axG",@progbits,_ZN7rocprim17ROCPRIM_400000_NS6detail17trampoline_kernelINS0_14default_configENS1_27scan_by_key_config_selectorIj11FixedVectorIiLj4EEEEZZNS1_16scan_by_key_implILNS1_25lookback_scan_determinismE0ELb0ES3_N6thrust23THRUST_200600_302600_NS6detail15normal_iteratorINSB_10device_ptrIjEEEENSD_INSE_IS6_EEEESI_S6_NSB_4plusIvEENSB_8equal_toIvEES6_EE10hipError_tPvRmT2_T3_T4_T5_mT6_T7_P12ihipStream_tbENKUlT_T0_E_clISt17integral_constantIbLb1EES13_EEDaSY_SZ_EUlSY_E_NS1_11comp_targetILNS1_3genE4ELNS1_11target_archE910ELNS1_3gpuE8ELNS1_3repE0EEENS1_30default_config_static_selectorELNS0_4arch9wavefront6targetE0EEEvT1_,comdat
	.protected	_ZN7rocprim17ROCPRIM_400000_NS6detail17trampoline_kernelINS0_14default_configENS1_27scan_by_key_config_selectorIj11FixedVectorIiLj4EEEEZZNS1_16scan_by_key_implILNS1_25lookback_scan_determinismE0ELb0ES3_N6thrust23THRUST_200600_302600_NS6detail15normal_iteratorINSB_10device_ptrIjEEEENSD_INSE_IS6_EEEESI_S6_NSB_4plusIvEENSB_8equal_toIvEES6_EE10hipError_tPvRmT2_T3_T4_T5_mT6_T7_P12ihipStream_tbENKUlT_T0_E_clISt17integral_constantIbLb1EES13_EEDaSY_SZ_EUlSY_E_NS1_11comp_targetILNS1_3genE4ELNS1_11target_archE910ELNS1_3gpuE8ELNS1_3repE0EEENS1_30default_config_static_selectorELNS0_4arch9wavefront6targetE0EEEvT1_ ; -- Begin function _ZN7rocprim17ROCPRIM_400000_NS6detail17trampoline_kernelINS0_14default_configENS1_27scan_by_key_config_selectorIj11FixedVectorIiLj4EEEEZZNS1_16scan_by_key_implILNS1_25lookback_scan_determinismE0ELb0ES3_N6thrust23THRUST_200600_302600_NS6detail15normal_iteratorINSB_10device_ptrIjEEEENSD_INSE_IS6_EEEESI_S6_NSB_4plusIvEENSB_8equal_toIvEES6_EE10hipError_tPvRmT2_T3_T4_T5_mT6_T7_P12ihipStream_tbENKUlT_T0_E_clISt17integral_constantIbLb1EES13_EEDaSY_SZ_EUlSY_E_NS1_11comp_targetILNS1_3genE4ELNS1_11target_archE910ELNS1_3gpuE8ELNS1_3repE0EEENS1_30default_config_static_selectorELNS0_4arch9wavefront6targetE0EEEvT1_
	.globl	_ZN7rocprim17ROCPRIM_400000_NS6detail17trampoline_kernelINS0_14default_configENS1_27scan_by_key_config_selectorIj11FixedVectorIiLj4EEEEZZNS1_16scan_by_key_implILNS1_25lookback_scan_determinismE0ELb0ES3_N6thrust23THRUST_200600_302600_NS6detail15normal_iteratorINSB_10device_ptrIjEEEENSD_INSE_IS6_EEEESI_S6_NSB_4plusIvEENSB_8equal_toIvEES6_EE10hipError_tPvRmT2_T3_T4_T5_mT6_T7_P12ihipStream_tbENKUlT_T0_E_clISt17integral_constantIbLb1EES13_EEDaSY_SZ_EUlSY_E_NS1_11comp_targetILNS1_3genE4ELNS1_11target_archE910ELNS1_3gpuE8ELNS1_3repE0EEENS1_30default_config_static_selectorELNS0_4arch9wavefront6targetE0EEEvT1_
	.p2align	8
	.type	_ZN7rocprim17ROCPRIM_400000_NS6detail17trampoline_kernelINS0_14default_configENS1_27scan_by_key_config_selectorIj11FixedVectorIiLj4EEEEZZNS1_16scan_by_key_implILNS1_25lookback_scan_determinismE0ELb0ES3_N6thrust23THRUST_200600_302600_NS6detail15normal_iteratorINSB_10device_ptrIjEEEENSD_INSE_IS6_EEEESI_S6_NSB_4plusIvEENSB_8equal_toIvEES6_EE10hipError_tPvRmT2_T3_T4_T5_mT6_T7_P12ihipStream_tbENKUlT_T0_E_clISt17integral_constantIbLb1EES13_EEDaSY_SZ_EUlSY_E_NS1_11comp_targetILNS1_3genE4ELNS1_11target_archE910ELNS1_3gpuE8ELNS1_3repE0EEENS1_30default_config_static_selectorELNS0_4arch9wavefront6targetE0EEEvT1_,@function
_ZN7rocprim17ROCPRIM_400000_NS6detail17trampoline_kernelINS0_14default_configENS1_27scan_by_key_config_selectorIj11FixedVectorIiLj4EEEEZZNS1_16scan_by_key_implILNS1_25lookback_scan_determinismE0ELb0ES3_N6thrust23THRUST_200600_302600_NS6detail15normal_iteratorINSB_10device_ptrIjEEEENSD_INSE_IS6_EEEESI_S6_NSB_4plusIvEENSB_8equal_toIvEES6_EE10hipError_tPvRmT2_T3_T4_T5_mT6_T7_P12ihipStream_tbENKUlT_T0_E_clISt17integral_constantIbLb1EES13_EEDaSY_SZ_EUlSY_E_NS1_11comp_targetILNS1_3genE4ELNS1_11target_archE910ELNS1_3gpuE8ELNS1_3repE0EEENS1_30default_config_static_selectorELNS0_4arch9wavefront6targetE0EEEvT1_: ; @_ZN7rocprim17ROCPRIM_400000_NS6detail17trampoline_kernelINS0_14default_configENS1_27scan_by_key_config_selectorIj11FixedVectorIiLj4EEEEZZNS1_16scan_by_key_implILNS1_25lookback_scan_determinismE0ELb0ES3_N6thrust23THRUST_200600_302600_NS6detail15normal_iteratorINSB_10device_ptrIjEEEENSD_INSE_IS6_EEEESI_S6_NSB_4plusIvEENSB_8equal_toIvEES6_EE10hipError_tPvRmT2_T3_T4_T5_mT6_T7_P12ihipStream_tbENKUlT_T0_E_clISt17integral_constantIbLb1EES13_EEDaSY_SZ_EUlSY_E_NS1_11comp_targetILNS1_3genE4ELNS1_11target_archE910ELNS1_3gpuE8ELNS1_3repE0EEENS1_30default_config_static_selectorELNS0_4arch9wavefront6targetE0EEEvT1_
; %bb.0:
	.section	.rodata,"a",@progbits
	.p2align	6, 0x0
	.amdhsa_kernel _ZN7rocprim17ROCPRIM_400000_NS6detail17trampoline_kernelINS0_14default_configENS1_27scan_by_key_config_selectorIj11FixedVectorIiLj4EEEEZZNS1_16scan_by_key_implILNS1_25lookback_scan_determinismE0ELb0ES3_N6thrust23THRUST_200600_302600_NS6detail15normal_iteratorINSB_10device_ptrIjEEEENSD_INSE_IS6_EEEESI_S6_NSB_4plusIvEENSB_8equal_toIvEES6_EE10hipError_tPvRmT2_T3_T4_T5_mT6_T7_P12ihipStream_tbENKUlT_T0_E_clISt17integral_constantIbLb1EES13_EEDaSY_SZ_EUlSY_E_NS1_11comp_targetILNS1_3genE4ELNS1_11target_archE910ELNS1_3gpuE8ELNS1_3repE0EEENS1_30default_config_static_selectorELNS0_4arch9wavefront6targetE0EEEvT1_
		.amdhsa_group_segment_fixed_size 0
		.amdhsa_private_segment_fixed_size 0
		.amdhsa_kernarg_size 144
		.amdhsa_user_sgpr_count 6
		.amdhsa_user_sgpr_private_segment_buffer 1
		.amdhsa_user_sgpr_dispatch_ptr 0
		.amdhsa_user_sgpr_queue_ptr 0
		.amdhsa_user_sgpr_kernarg_segment_ptr 1
		.amdhsa_user_sgpr_dispatch_id 0
		.amdhsa_user_sgpr_flat_scratch_init 0
		.amdhsa_user_sgpr_private_segment_size 0
		.amdhsa_wavefront_size32 1
		.amdhsa_uses_dynamic_stack 0
		.amdhsa_system_sgpr_private_segment_wavefront_offset 0
		.amdhsa_system_sgpr_workgroup_id_x 1
		.amdhsa_system_sgpr_workgroup_id_y 0
		.amdhsa_system_sgpr_workgroup_id_z 0
		.amdhsa_system_sgpr_workgroup_info 0
		.amdhsa_system_vgpr_workitem_id 0
		.amdhsa_next_free_vgpr 1
		.amdhsa_next_free_sgpr 1
		.amdhsa_reserve_vcc 0
		.amdhsa_reserve_flat_scratch 0
		.amdhsa_float_round_mode_32 0
		.amdhsa_float_round_mode_16_64 0
		.amdhsa_float_denorm_mode_32 3
		.amdhsa_float_denorm_mode_16_64 3
		.amdhsa_dx10_clamp 1
		.amdhsa_ieee_mode 1
		.amdhsa_fp16_overflow 0
		.amdhsa_workgroup_processor_mode 1
		.amdhsa_memory_ordered 1
		.amdhsa_forward_progress 1
		.amdhsa_shared_vgpr_count 0
		.amdhsa_exception_fp_ieee_invalid_op 0
		.amdhsa_exception_fp_denorm_src 0
		.amdhsa_exception_fp_ieee_div_zero 0
		.amdhsa_exception_fp_ieee_overflow 0
		.amdhsa_exception_fp_ieee_underflow 0
		.amdhsa_exception_fp_ieee_inexact 0
		.amdhsa_exception_int_div_zero 0
	.end_amdhsa_kernel
	.section	.text._ZN7rocprim17ROCPRIM_400000_NS6detail17trampoline_kernelINS0_14default_configENS1_27scan_by_key_config_selectorIj11FixedVectorIiLj4EEEEZZNS1_16scan_by_key_implILNS1_25lookback_scan_determinismE0ELb0ES3_N6thrust23THRUST_200600_302600_NS6detail15normal_iteratorINSB_10device_ptrIjEEEENSD_INSE_IS6_EEEESI_S6_NSB_4plusIvEENSB_8equal_toIvEES6_EE10hipError_tPvRmT2_T3_T4_T5_mT6_T7_P12ihipStream_tbENKUlT_T0_E_clISt17integral_constantIbLb1EES13_EEDaSY_SZ_EUlSY_E_NS1_11comp_targetILNS1_3genE4ELNS1_11target_archE910ELNS1_3gpuE8ELNS1_3repE0EEENS1_30default_config_static_selectorELNS0_4arch9wavefront6targetE0EEEvT1_,"axG",@progbits,_ZN7rocprim17ROCPRIM_400000_NS6detail17trampoline_kernelINS0_14default_configENS1_27scan_by_key_config_selectorIj11FixedVectorIiLj4EEEEZZNS1_16scan_by_key_implILNS1_25lookback_scan_determinismE0ELb0ES3_N6thrust23THRUST_200600_302600_NS6detail15normal_iteratorINSB_10device_ptrIjEEEENSD_INSE_IS6_EEEESI_S6_NSB_4plusIvEENSB_8equal_toIvEES6_EE10hipError_tPvRmT2_T3_T4_T5_mT6_T7_P12ihipStream_tbENKUlT_T0_E_clISt17integral_constantIbLb1EES13_EEDaSY_SZ_EUlSY_E_NS1_11comp_targetILNS1_3genE4ELNS1_11target_archE910ELNS1_3gpuE8ELNS1_3repE0EEENS1_30default_config_static_selectorELNS0_4arch9wavefront6targetE0EEEvT1_,comdat
.Lfunc_end2047:
	.size	_ZN7rocprim17ROCPRIM_400000_NS6detail17trampoline_kernelINS0_14default_configENS1_27scan_by_key_config_selectorIj11FixedVectorIiLj4EEEEZZNS1_16scan_by_key_implILNS1_25lookback_scan_determinismE0ELb0ES3_N6thrust23THRUST_200600_302600_NS6detail15normal_iteratorINSB_10device_ptrIjEEEENSD_INSE_IS6_EEEESI_S6_NSB_4plusIvEENSB_8equal_toIvEES6_EE10hipError_tPvRmT2_T3_T4_T5_mT6_T7_P12ihipStream_tbENKUlT_T0_E_clISt17integral_constantIbLb1EES13_EEDaSY_SZ_EUlSY_E_NS1_11comp_targetILNS1_3genE4ELNS1_11target_archE910ELNS1_3gpuE8ELNS1_3repE0EEENS1_30default_config_static_selectorELNS0_4arch9wavefront6targetE0EEEvT1_, .Lfunc_end2047-_ZN7rocprim17ROCPRIM_400000_NS6detail17trampoline_kernelINS0_14default_configENS1_27scan_by_key_config_selectorIj11FixedVectorIiLj4EEEEZZNS1_16scan_by_key_implILNS1_25lookback_scan_determinismE0ELb0ES3_N6thrust23THRUST_200600_302600_NS6detail15normal_iteratorINSB_10device_ptrIjEEEENSD_INSE_IS6_EEEESI_S6_NSB_4plusIvEENSB_8equal_toIvEES6_EE10hipError_tPvRmT2_T3_T4_T5_mT6_T7_P12ihipStream_tbENKUlT_T0_E_clISt17integral_constantIbLb1EES13_EEDaSY_SZ_EUlSY_E_NS1_11comp_targetILNS1_3genE4ELNS1_11target_archE910ELNS1_3gpuE8ELNS1_3repE0EEENS1_30default_config_static_selectorELNS0_4arch9wavefront6targetE0EEEvT1_
                                        ; -- End function
	.set _ZN7rocprim17ROCPRIM_400000_NS6detail17trampoline_kernelINS0_14default_configENS1_27scan_by_key_config_selectorIj11FixedVectorIiLj4EEEEZZNS1_16scan_by_key_implILNS1_25lookback_scan_determinismE0ELb0ES3_N6thrust23THRUST_200600_302600_NS6detail15normal_iteratorINSB_10device_ptrIjEEEENSD_INSE_IS6_EEEESI_S6_NSB_4plusIvEENSB_8equal_toIvEES6_EE10hipError_tPvRmT2_T3_T4_T5_mT6_T7_P12ihipStream_tbENKUlT_T0_E_clISt17integral_constantIbLb1EES13_EEDaSY_SZ_EUlSY_E_NS1_11comp_targetILNS1_3genE4ELNS1_11target_archE910ELNS1_3gpuE8ELNS1_3repE0EEENS1_30default_config_static_selectorELNS0_4arch9wavefront6targetE0EEEvT1_.num_vgpr, 0
	.set _ZN7rocprim17ROCPRIM_400000_NS6detail17trampoline_kernelINS0_14default_configENS1_27scan_by_key_config_selectorIj11FixedVectorIiLj4EEEEZZNS1_16scan_by_key_implILNS1_25lookback_scan_determinismE0ELb0ES3_N6thrust23THRUST_200600_302600_NS6detail15normal_iteratorINSB_10device_ptrIjEEEENSD_INSE_IS6_EEEESI_S6_NSB_4plusIvEENSB_8equal_toIvEES6_EE10hipError_tPvRmT2_T3_T4_T5_mT6_T7_P12ihipStream_tbENKUlT_T0_E_clISt17integral_constantIbLb1EES13_EEDaSY_SZ_EUlSY_E_NS1_11comp_targetILNS1_3genE4ELNS1_11target_archE910ELNS1_3gpuE8ELNS1_3repE0EEENS1_30default_config_static_selectorELNS0_4arch9wavefront6targetE0EEEvT1_.num_agpr, 0
	.set _ZN7rocprim17ROCPRIM_400000_NS6detail17trampoline_kernelINS0_14default_configENS1_27scan_by_key_config_selectorIj11FixedVectorIiLj4EEEEZZNS1_16scan_by_key_implILNS1_25lookback_scan_determinismE0ELb0ES3_N6thrust23THRUST_200600_302600_NS6detail15normal_iteratorINSB_10device_ptrIjEEEENSD_INSE_IS6_EEEESI_S6_NSB_4plusIvEENSB_8equal_toIvEES6_EE10hipError_tPvRmT2_T3_T4_T5_mT6_T7_P12ihipStream_tbENKUlT_T0_E_clISt17integral_constantIbLb1EES13_EEDaSY_SZ_EUlSY_E_NS1_11comp_targetILNS1_3genE4ELNS1_11target_archE910ELNS1_3gpuE8ELNS1_3repE0EEENS1_30default_config_static_selectorELNS0_4arch9wavefront6targetE0EEEvT1_.numbered_sgpr, 0
	.set _ZN7rocprim17ROCPRIM_400000_NS6detail17trampoline_kernelINS0_14default_configENS1_27scan_by_key_config_selectorIj11FixedVectorIiLj4EEEEZZNS1_16scan_by_key_implILNS1_25lookback_scan_determinismE0ELb0ES3_N6thrust23THRUST_200600_302600_NS6detail15normal_iteratorINSB_10device_ptrIjEEEENSD_INSE_IS6_EEEESI_S6_NSB_4plusIvEENSB_8equal_toIvEES6_EE10hipError_tPvRmT2_T3_T4_T5_mT6_T7_P12ihipStream_tbENKUlT_T0_E_clISt17integral_constantIbLb1EES13_EEDaSY_SZ_EUlSY_E_NS1_11comp_targetILNS1_3genE4ELNS1_11target_archE910ELNS1_3gpuE8ELNS1_3repE0EEENS1_30default_config_static_selectorELNS0_4arch9wavefront6targetE0EEEvT1_.num_named_barrier, 0
	.set _ZN7rocprim17ROCPRIM_400000_NS6detail17trampoline_kernelINS0_14default_configENS1_27scan_by_key_config_selectorIj11FixedVectorIiLj4EEEEZZNS1_16scan_by_key_implILNS1_25lookback_scan_determinismE0ELb0ES3_N6thrust23THRUST_200600_302600_NS6detail15normal_iteratorINSB_10device_ptrIjEEEENSD_INSE_IS6_EEEESI_S6_NSB_4plusIvEENSB_8equal_toIvEES6_EE10hipError_tPvRmT2_T3_T4_T5_mT6_T7_P12ihipStream_tbENKUlT_T0_E_clISt17integral_constantIbLb1EES13_EEDaSY_SZ_EUlSY_E_NS1_11comp_targetILNS1_3genE4ELNS1_11target_archE910ELNS1_3gpuE8ELNS1_3repE0EEENS1_30default_config_static_selectorELNS0_4arch9wavefront6targetE0EEEvT1_.private_seg_size, 0
	.set _ZN7rocprim17ROCPRIM_400000_NS6detail17trampoline_kernelINS0_14default_configENS1_27scan_by_key_config_selectorIj11FixedVectorIiLj4EEEEZZNS1_16scan_by_key_implILNS1_25lookback_scan_determinismE0ELb0ES3_N6thrust23THRUST_200600_302600_NS6detail15normal_iteratorINSB_10device_ptrIjEEEENSD_INSE_IS6_EEEESI_S6_NSB_4plusIvEENSB_8equal_toIvEES6_EE10hipError_tPvRmT2_T3_T4_T5_mT6_T7_P12ihipStream_tbENKUlT_T0_E_clISt17integral_constantIbLb1EES13_EEDaSY_SZ_EUlSY_E_NS1_11comp_targetILNS1_3genE4ELNS1_11target_archE910ELNS1_3gpuE8ELNS1_3repE0EEENS1_30default_config_static_selectorELNS0_4arch9wavefront6targetE0EEEvT1_.uses_vcc, 0
	.set _ZN7rocprim17ROCPRIM_400000_NS6detail17trampoline_kernelINS0_14default_configENS1_27scan_by_key_config_selectorIj11FixedVectorIiLj4EEEEZZNS1_16scan_by_key_implILNS1_25lookback_scan_determinismE0ELb0ES3_N6thrust23THRUST_200600_302600_NS6detail15normal_iteratorINSB_10device_ptrIjEEEENSD_INSE_IS6_EEEESI_S6_NSB_4plusIvEENSB_8equal_toIvEES6_EE10hipError_tPvRmT2_T3_T4_T5_mT6_T7_P12ihipStream_tbENKUlT_T0_E_clISt17integral_constantIbLb1EES13_EEDaSY_SZ_EUlSY_E_NS1_11comp_targetILNS1_3genE4ELNS1_11target_archE910ELNS1_3gpuE8ELNS1_3repE0EEENS1_30default_config_static_selectorELNS0_4arch9wavefront6targetE0EEEvT1_.uses_flat_scratch, 0
	.set _ZN7rocprim17ROCPRIM_400000_NS6detail17trampoline_kernelINS0_14default_configENS1_27scan_by_key_config_selectorIj11FixedVectorIiLj4EEEEZZNS1_16scan_by_key_implILNS1_25lookback_scan_determinismE0ELb0ES3_N6thrust23THRUST_200600_302600_NS6detail15normal_iteratorINSB_10device_ptrIjEEEENSD_INSE_IS6_EEEESI_S6_NSB_4plusIvEENSB_8equal_toIvEES6_EE10hipError_tPvRmT2_T3_T4_T5_mT6_T7_P12ihipStream_tbENKUlT_T0_E_clISt17integral_constantIbLb1EES13_EEDaSY_SZ_EUlSY_E_NS1_11comp_targetILNS1_3genE4ELNS1_11target_archE910ELNS1_3gpuE8ELNS1_3repE0EEENS1_30default_config_static_selectorELNS0_4arch9wavefront6targetE0EEEvT1_.has_dyn_sized_stack, 0
	.set _ZN7rocprim17ROCPRIM_400000_NS6detail17trampoline_kernelINS0_14default_configENS1_27scan_by_key_config_selectorIj11FixedVectorIiLj4EEEEZZNS1_16scan_by_key_implILNS1_25lookback_scan_determinismE0ELb0ES3_N6thrust23THRUST_200600_302600_NS6detail15normal_iteratorINSB_10device_ptrIjEEEENSD_INSE_IS6_EEEESI_S6_NSB_4plusIvEENSB_8equal_toIvEES6_EE10hipError_tPvRmT2_T3_T4_T5_mT6_T7_P12ihipStream_tbENKUlT_T0_E_clISt17integral_constantIbLb1EES13_EEDaSY_SZ_EUlSY_E_NS1_11comp_targetILNS1_3genE4ELNS1_11target_archE910ELNS1_3gpuE8ELNS1_3repE0EEENS1_30default_config_static_selectorELNS0_4arch9wavefront6targetE0EEEvT1_.has_recursion, 0
	.set _ZN7rocprim17ROCPRIM_400000_NS6detail17trampoline_kernelINS0_14default_configENS1_27scan_by_key_config_selectorIj11FixedVectorIiLj4EEEEZZNS1_16scan_by_key_implILNS1_25lookback_scan_determinismE0ELb0ES3_N6thrust23THRUST_200600_302600_NS6detail15normal_iteratorINSB_10device_ptrIjEEEENSD_INSE_IS6_EEEESI_S6_NSB_4plusIvEENSB_8equal_toIvEES6_EE10hipError_tPvRmT2_T3_T4_T5_mT6_T7_P12ihipStream_tbENKUlT_T0_E_clISt17integral_constantIbLb1EES13_EEDaSY_SZ_EUlSY_E_NS1_11comp_targetILNS1_3genE4ELNS1_11target_archE910ELNS1_3gpuE8ELNS1_3repE0EEENS1_30default_config_static_selectorELNS0_4arch9wavefront6targetE0EEEvT1_.has_indirect_call, 0
	.section	.AMDGPU.csdata,"",@progbits
; Kernel info:
; codeLenInByte = 0
; TotalNumSgprs: 0
; NumVgprs: 0
; ScratchSize: 0
; MemoryBound: 0
; FloatMode: 240
; IeeeMode: 1
; LDSByteSize: 0 bytes/workgroup (compile time only)
; SGPRBlocks: 0
; VGPRBlocks: 0
; NumSGPRsForWavesPerEU: 1
; NumVGPRsForWavesPerEU: 1
; Occupancy: 16
; WaveLimiterHint : 0
; COMPUTE_PGM_RSRC2:SCRATCH_EN: 0
; COMPUTE_PGM_RSRC2:USER_SGPR: 6
; COMPUTE_PGM_RSRC2:TRAP_HANDLER: 0
; COMPUTE_PGM_RSRC2:TGID_X_EN: 1
; COMPUTE_PGM_RSRC2:TGID_Y_EN: 0
; COMPUTE_PGM_RSRC2:TGID_Z_EN: 0
; COMPUTE_PGM_RSRC2:TIDIG_COMP_CNT: 0
	.section	.text._ZN7rocprim17ROCPRIM_400000_NS6detail17trampoline_kernelINS0_14default_configENS1_27scan_by_key_config_selectorIj11FixedVectorIiLj4EEEEZZNS1_16scan_by_key_implILNS1_25lookback_scan_determinismE0ELb0ES3_N6thrust23THRUST_200600_302600_NS6detail15normal_iteratorINSB_10device_ptrIjEEEENSD_INSE_IS6_EEEESI_S6_NSB_4plusIvEENSB_8equal_toIvEES6_EE10hipError_tPvRmT2_T3_T4_T5_mT6_T7_P12ihipStream_tbENKUlT_T0_E_clISt17integral_constantIbLb1EES13_EEDaSY_SZ_EUlSY_E_NS1_11comp_targetILNS1_3genE3ELNS1_11target_archE908ELNS1_3gpuE7ELNS1_3repE0EEENS1_30default_config_static_selectorELNS0_4arch9wavefront6targetE0EEEvT1_,"axG",@progbits,_ZN7rocprim17ROCPRIM_400000_NS6detail17trampoline_kernelINS0_14default_configENS1_27scan_by_key_config_selectorIj11FixedVectorIiLj4EEEEZZNS1_16scan_by_key_implILNS1_25lookback_scan_determinismE0ELb0ES3_N6thrust23THRUST_200600_302600_NS6detail15normal_iteratorINSB_10device_ptrIjEEEENSD_INSE_IS6_EEEESI_S6_NSB_4plusIvEENSB_8equal_toIvEES6_EE10hipError_tPvRmT2_T3_T4_T5_mT6_T7_P12ihipStream_tbENKUlT_T0_E_clISt17integral_constantIbLb1EES13_EEDaSY_SZ_EUlSY_E_NS1_11comp_targetILNS1_3genE3ELNS1_11target_archE908ELNS1_3gpuE7ELNS1_3repE0EEENS1_30default_config_static_selectorELNS0_4arch9wavefront6targetE0EEEvT1_,comdat
	.protected	_ZN7rocprim17ROCPRIM_400000_NS6detail17trampoline_kernelINS0_14default_configENS1_27scan_by_key_config_selectorIj11FixedVectorIiLj4EEEEZZNS1_16scan_by_key_implILNS1_25lookback_scan_determinismE0ELb0ES3_N6thrust23THRUST_200600_302600_NS6detail15normal_iteratorINSB_10device_ptrIjEEEENSD_INSE_IS6_EEEESI_S6_NSB_4plusIvEENSB_8equal_toIvEES6_EE10hipError_tPvRmT2_T3_T4_T5_mT6_T7_P12ihipStream_tbENKUlT_T0_E_clISt17integral_constantIbLb1EES13_EEDaSY_SZ_EUlSY_E_NS1_11comp_targetILNS1_3genE3ELNS1_11target_archE908ELNS1_3gpuE7ELNS1_3repE0EEENS1_30default_config_static_selectorELNS0_4arch9wavefront6targetE0EEEvT1_ ; -- Begin function _ZN7rocprim17ROCPRIM_400000_NS6detail17trampoline_kernelINS0_14default_configENS1_27scan_by_key_config_selectorIj11FixedVectorIiLj4EEEEZZNS1_16scan_by_key_implILNS1_25lookback_scan_determinismE0ELb0ES3_N6thrust23THRUST_200600_302600_NS6detail15normal_iteratorINSB_10device_ptrIjEEEENSD_INSE_IS6_EEEESI_S6_NSB_4plusIvEENSB_8equal_toIvEES6_EE10hipError_tPvRmT2_T3_T4_T5_mT6_T7_P12ihipStream_tbENKUlT_T0_E_clISt17integral_constantIbLb1EES13_EEDaSY_SZ_EUlSY_E_NS1_11comp_targetILNS1_3genE3ELNS1_11target_archE908ELNS1_3gpuE7ELNS1_3repE0EEENS1_30default_config_static_selectorELNS0_4arch9wavefront6targetE0EEEvT1_
	.globl	_ZN7rocprim17ROCPRIM_400000_NS6detail17trampoline_kernelINS0_14default_configENS1_27scan_by_key_config_selectorIj11FixedVectorIiLj4EEEEZZNS1_16scan_by_key_implILNS1_25lookback_scan_determinismE0ELb0ES3_N6thrust23THRUST_200600_302600_NS6detail15normal_iteratorINSB_10device_ptrIjEEEENSD_INSE_IS6_EEEESI_S6_NSB_4plusIvEENSB_8equal_toIvEES6_EE10hipError_tPvRmT2_T3_T4_T5_mT6_T7_P12ihipStream_tbENKUlT_T0_E_clISt17integral_constantIbLb1EES13_EEDaSY_SZ_EUlSY_E_NS1_11comp_targetILNS1_3genE3ELNS1_11target_archE908ELNS1_3gpuE7ELNS1_3repE0EEENS1_30default_config_static_selectorELNS0_4arch9wavefront6targetE0EEEvT1_
	.p2align	8
	.type	_ZN7rocprim17ROCPRIM_400000_NS6detail17trampoline_kernelINS0_14default_configENS1_27scan_by_key_config_selectorIj11FixedVectorIiLj4EEEEZZNS1_16scan_by_key_implILNS1_25lookback_scan_determinismE0ELb0ES3_N6thrust23THRUST_200600_302600_NS6detail15normal_iteratorINSB_10device_ptrIjEEEENSD_INSE_IS6_EEEESI_S6_NSB_4plusIvEENSB_8equal_toIvEES6_EE10hipError_tPvRmT2_T3_T4_T5_mT6_T7_P12ihipStream_tbENKUlT_T0_E_clISt17integral_constantIbLb1EES13_EEDaSY_SZ_EUlSY_E_NS1_11comp_targetILNS1_3genE3ELNS1_11target_archE908ELNS1_3gpuE7ELNS1_3repE0EEENS1_30default_config_static_selectorELNS0_4arch9wavefront6targetE0EEEvT1_,@function
_ZN7rocprim17ROCPRIM_400000_NS6detail17trampoline_kernelINS0_14default_configENS1_27scan_by_key_config_selectorIj11FixedVectorIiLj4EEEEZZNS1_16scan_by_key_implILNS1_25lookback_scan_determinismE0ELb0ES3_N6thrust23THRUST_200600_302600_NS6detail15normal_iteratorINSB_10device_ptrIjEEEENSD_INSE_IS6_EEEESI_S6_NSB_4plusIvEENSB_8equal_toIvEES6_EE10hipError_tPvRmT2_T3_T4_T5_mT6_T7_P12ihipStream_tbENKUlT_T0_E_clISt17integral_constantIbLb1EES13_EEDaSY_SZ_EUlSY_E_NS1_11comp_targetILNS1_3genE3ELNS1_11target_archE908ELNS1_3gpuE7ELNS1_3repE0EEENS1_30default_config_static_selectorELNS0_4arch9wavefront6targetE0EEEvT1_: ; @_ZN7rocprim17ROCPRIM_400000_NS6detail17trampoline_kernelINS0_14default_configENS1_27scan_by_key_config_selectorIj11FixedVectorIiLj4EEEEZZNS1_16scan_by_key_implILNS1_25lookback_scan_determinismE0ELb0ES3_N6thrust23THRUST_200600_302600_NS6detail15normal_iteratorINSB_10device_ptrIjEEEENSD_INSE_IS6_EEEESI_S6_NSB_4plusIvEENSB_8equal_toIvEES6_EE10hipError_tPvRmT2_T3_T4_T5_mT6_T7_P12ihipStream_tbENKUlT_T0_E_clISt17integral_constantIbLb1EES13_EEDaSY_SZ_EUlSY_E_NS1_11comp_targetILNS1_3genE3ELNS1_11target_archE908ELNS1_3gpuE7ELNS1_3repE0EEENS1_30default_config_static_selectorELNS0_4arch9wavefront6targetE0EEEvT1_
; %bb.0:
	.section	.rodata,"a",@progbits
	.p2align	6, 0x0
	.amdhsa_kernel _ZN7rocprim17ROCPRIM_400000_NS6detail17trampoline_kernelINS0_14default_configENS1_27scan_by_key_config_selectorIj11FixedVectorIiLj4EEEEZZNS1_16scan_by_key_implILNS1_25lookback_scan_determinismE0ELb0ES3_N6thrust23THRUST_200600_302600_NS6detail15normal_iteratorINSB_10device_ptrIjEEEENSD_INSE_IS6_EEEESI_S6_NSB_4plusIvEENSB_8equal_toIvEES6_EE10hipError_tPvRmT2_T3_T4_T5_mT6_T7_P12ihipStream_tbENKUlT_T0_E_clISt17integral_constantIbLb1EES13_EEDaSY_SZ_EUlSY_E_NS1_11comp_targetILNS1_3genE3ELNS1_11target_archE908ELNS1_3gpuE7ELNS1_3repE0EEENS1_30default_config_static_selectorELNS0_4arch9wavefront6targetE0EEEvT1_
		.amdhsa_group_segment_fixed_size 0
		.amdhsa_private_segment_fixed_size 0
		.amdhsa_kernarg_size 144
		.amdhsa_user_sgpr_count 6
		.amdhsa_user_sgpr_private_segment_buffer 1
		.amdhsa_user_sgpr_dispatch_ptr 0
		.amdhsa_user_sgpr_queue_ptr 0
		.amdhsa_user_sgpr_kernarg_segment_ptr 1
		.amdhsa_user_sgpr_dispatch_id 0
		.amdhsa_user_sgpr_flat_scratch_init 0
		.amdhsa_user_sgpr_private_segment_size 0
		.amdhsa_wavefront_size32 1
		.amdhsa_uses_dynamic_stack 0
		.amdhsa_system_sgpr_private_segment_wavefront_offset 0
		.amdhsa_system_sgpr_workgroup_id_x 1
		.amdhsa_system_sgpr_workgroup_id_y 0
		.amdhsa_system_sgpr_workgroup_id_z 0
		.amdhsa_system_sgpr_workgroup_info 0
		.amdhsa_system_vgpr_workitem_id 0
		.amdhsa_next_free_vgpr 1
		.amdhsa_next_free_sgpr 1
		.amdhsa_reserve_vcc 0
		.amdhsa_reserve_flat_scratch 0
		.amdhsa_float_round_mode_32 0
		.amdhsa_float_round_mode_16_64 0
		.amdhsa_float_denorm_mode_32 3
		.amdhsa_float_denorm_mode_16_64 3
		.amdhsa_dx10_clamp 1
		.amdhsa_ieee_mode 1
		.amdhsa_fp16_overflow 0
		.amdhsa_workgroup_processor_mode 1
		.amdhsa_memory_ordered 1
		.amdhsa_forward_progress 1
		.amdhsa_shared_vgpr_count 0
		.amdhsa_exception_fp_ieee_invalid_op 0
		.amdhsa_exception_fp_denorm_src 0
		.amdhsa_exception_fp_ieee_div_zero 0
		.amdhsa_exception_fp_ieee_overflow 0
		.amdhsa_exception_fp_ieee_underflow 0
		.amdhsa_exception_fp_ieee_inexact 0
		.amdhsa_exception_int_div_zero 0
	.end_amdhsa_kernel
	.section	.text._ZN7rocprim17ROCPRIM_400000_NS6detail17trampoline_kernelINS0_14default_configENS1_27scan_by_key_config_selectorIj11FixedVectorIiLj4EEEEZZNS1_16scan_by_key_implILNS1_25lookback_scan_determinismE0ELb0ES3_N6thrust23THRUST_200600_302600_NS6detail15normal_iteratorINSB_10device_ptrIjEEEENSD_INSE_IS6_EEEESI_S6_NSB_4plusIvEENSB_8equal_toIvEES6_EE10hipError_tPvRmT2_T3_T4_T5_mT6_T7_P12ihipStream_tbENKUlT_T0_E_clISt17integral_constantIbLb1EES13_EEDaSY_SZ_EUlSY_E_NS1_11comp_targetILNS1_3genE3ELNS1_11target_archE908ELNS1_3gpuE7ELNS1_3repE0EEENS1_30default_config_static_selectorELNS0_4arch9wavefront6targetE0EEEvT1_,"axG",@progbits,_ZN7rocprim17ROCPRIM_400000_NS6detail17trampoline_kernelINS0_14default_configENS1_27scan_by_key_config_selectorIj11FixedVectorIiLj4EEEEZZNS1_16scan_by_key_implILNS1_25lookback_scan_determinismE0ELb0ES3_N6thrust23THRUST_200600_302600_NS6detail15normal_iteratorINSB_10device_ptrIjEEEENSD_INSE_IS6_EEEESI_S6_NSB_4plusIvEENSB_8equal_toIvEES6_EE10hipError_tPvRmT2_T3_T4_T5_mT6_T7_P12ihipStream_tbENKUlT_T0_E_clISt17integral_constantIbLb1EES13_EEDaSY_SZ_EUlSY_E_NS1_11comp_targetILNS1_3genE3ELNS1_11target_archE908ELNS1_3gpuE7ELNS1_3repE0EEENS1_30default_config_static_selectorELNS0_4arch9wavefront6targetE0EEEvT1_,comdat
.Lfunc_end2048:
	.size	_ZN7rocprim17ROCPRIM_400000_NS6detail17trampoline_kernelINS0_14default_configENS1_27scan_by_key_config_selectorIj11FixedVectorIiLj4EEEEZZNS1_16scan_by_key_implILNS1_25lookback_scan_determinismE0ELb0ES3_N6thrust23THRUST_200600_302600_NS6detail15normal_iteratorINSB_10device_ptrIjEEEENSD_INSE_IS6_EEEESI_S6_NSB_4plusIvEENSB_8equal_toIvEES6_EE10hipError_tPvRmT2_T3_T4_T5_mT6_T7_P12ihipStream_tbENKUlT_T0_E_clISt17integral_constantIbLb1EES13_EEDaSY_SZ_EUlSY_E_NS1_11comp_targetILNS1_3genE3ELNS1_11target_archE908ELNS1_3gpuE7ELNS1_3repE0EEENS1_30default_config_static_selectorELNS0_4arch9wavefront6targetE0EEEvT1_, .Lfunc_end2048-_ZN7rocprim17ROCPRIM_400000_NS6detail17trampoline_kernelINS0_14default_configENS1_27scan_by_key_config_selectorIj11FixedVectorIiLj4EEEEZZNS1_16scan_by_key_implILNS1_25lookback_scan_determinismE0ELb0ES3_N6thrust23THRUST_200600_302600_NS6detail15normal_iteratorINSB_10device_ptrIjEEEENSD_INSE_IS6_EEEESI_S6_NSB_4plusIvEENSB_8equal_toIvEES6_EE10hipError_tPvRmT2_T3_T4_T5_mT6_T7_P12ihipStream_tbENKUlT_T0_E_clISt17integral_constantIbLb1EES13_EEDaSY_SZ_EUlSY_E_NS1_11comp_targetILNS1_3genE3ELNS1_11target_archE908ELNS1_3gpuE7ELNS1_3repE0EEENS1_30default_config_static_selectorELNS0_4arch9wavefront6targetE0EEEvT1_
                                        ; -- End function
	.set _ZN7rocprim17ROCPRIM_400000_NS6detail17trampoline_kernelINS0_14default_configENS1_27scan_by_key_config_selectorIj11FixedVectorIiLj4EEEEZZNS1_16scan_by_key_implILNS1_25lookback_scan_determinismE0ELb0ES3_N6thrust23THRUST_200600_302600_NS6detail15normal_iteratorINSB_10device_ptrIjEEEENSD_INSE_IS6_EEEESI_S6_NSB_4plusIvEENSB_8equal_toIvEES6_EE10hipError_tPvRmT2_T3_T4_T5_mT6_T7_P12ihipStream_tbENKUlT_T0_E_clISt17integral_constantIbLb1EES13_EEDaSY_SZ_EUlSY_E_NS1_11comp_targetILNS1_3genE3ELNS1_11target_archE908ELNS1_3gpuE7ELNS1_3repE0EEENS1_30default_config_static_selectorELNS0_4arch9wavefront6targetE0EEEvT1_.num_vgpr, 0
	.set _ZN7rocprim17ROCPRIM_400000_NS6detail17trampoline_kernelINS0_14default_configENS1_27scan_by_key_config_selectorIj11FixedVectorIiLj4EEEEZZNS1_16scan_by_key_implILNS1_25lookback_scan_determinismE0ELb0ES3_N6thrust23THRUST_200600_302600_NS6detail15normal_iteratorINSB_10device_ptrIjEEEENSD_INSE_IS6_EEEESI_S6_NSB_4plusIvEENSB_8equal_toIvEES6_EE10hipError_tPvRmT2_T3_T4_T5_mT6_T7_P12ihipStream_tbENKUlT_T0_E_clISt17integral_constantIbLb1EES13_EEDaSY_SZ_EUlSY_E_NS1_11comp_targetILNS1_3genE3ELNS1_11target_archE908ELNS1_3gpuE7ELNS1_3repE0EEENS1_30default_config_static_selectorELNS0_4arch9wavefront6targetE0EEEvT1_.num_agpr, 0
	.set _ZN7rocprim17ROCPRIM_400000_NS6detail17trampoline_kernelINS0_14default_configENS1_27scan_by_key_config_selectorIj11FixedVectorIiLj4EEEEZZNS1_16scan_by_key_implILNS1_25lookback_scan_determinismE0ELb0ES3_N6thrust23THRUST_200600_302600_NS6detail15normal_iteratorINSB_10device_ptrIjEEEENSD_INSE_IS6_EEEESI_S6_NSB_4plusIvEENSB_8equal_toIvEES6_EE10hipError_tPvRmT2_T3_T4_T5_mT6_T7_P12ihipStream_tbENKUlT_T0_E_clISt17integral_constantIbLb1EES13_EEDaSY_SZ_EUlSY_E_NS1_11comp_targetILNS1_3genE3ELNS1_11target_archE908ELNS1_3gpuE7ELNS1_3repE0EEENS1_30default_config_static_selectorELNS0_4arch9wavefront6targetE0EEEvT1_.numbered_sgpr, 0
	.set _ZN7rocprim17ROCPRIM_400000_NS6detail17trampoline_kernelINS0_14default_configENS1_27scan_by_key_config_selectorIj11FixedVectorIiLj4EEEEZZNS1_16scan_by_key_implILNS1_25lookback_scan_determinismE0ELb0ES3_N6thrust23THRUST_200600_302600_NS6detail15normal_iteratorINSB_10device_ptrIjEEEENSD_INSE_IS6_EEEESI_S6_NSB_4plusIvEENSB_8equal_toIvEES6_EE10hipError_tPvRmT2_T3_T4_T5_mT6_T7_P12ihipStream_tbENKUlT_T0_E_clISt17integral_constantIbLb1EES13_EEDaSY_SZ_EUlSY_E_NS1_11comp_targetILNS1_3genE3ELNS1_11target_archE908ELNS1_3gpuE7ELNS1_3repE0EEENS1_30default_config_static_selectorELNS0_4arch9wavefront6targetE0EEEvT1_.num_named_barrier, 0
	.set _ZN7rocprim17ROCPRIM_400000_NS6detail17trampoline_kernelINS0_14default_configENS1_27scan_by_key_config_selectorIj11FixedVectorIiLj4EEEEZZNS1_16scan_by_key_implILNS1_25lookback_scan_determinismE0ELb0ES3_N6thrust23THRUST_200600_302600_NS6detail15normal_iteratorINSB_10device_ptrIjEEEENSD_INSE_IS6_EEEESI_S6_NSB_4plusIvEENSB_8equal_toIvEES6_EE10hipError_tPvRmT2_T3_T4_T5_mT6_T7_P12ihipStream_tbENKUlT_T0_E_clISt17integral_constantIbLb1EES13_EEDaSY_SZ_EUlSY_E_NS1_11comp_targetILNS1_3genE3ELNS1_11target_archE908ELNS1_3gpuE7ELNS1_3repE0EEENS1_30default_config_static_selectorELNS0_4arch9wavefront6targetE0EEEvT1_.private_seg_size, 0
	.set _ZN7rocprim17ROCPRIM_400000_NS6detail17trampoline_kernelINS0_14default_configENS1_27scan_by_key_config_selectorIj11FixedVectorIiLj4EEEEZZNS1_16scan_by_key_implILNS1_25lookback_scan_determinismE0ELb0ES3_N6thrust23THRUST_200600_302600_NS6detail15normal_iteratorINSB_10device_ptrIjEEEENSD_INSE_IS6_EEEESI_S6_NSB_4plusIvEENSB_8equal_toIvEES6_EE10hipError_tPvRmT2_T3_T4_T5_mT6_T7_P12ihipStream_tbENKUlT_T0_E_clISt17integral_constantIbLb1EES13_EEDaSY_SZ_EUlSY_E_NS1_11comp_targetILNS1_3genE3ELNS1_11target_archE908ELNS1_3gpuE7ELNS1_3repE0EEENS1_30default_config_static_selectorELNS0_4arch9wavefront6targetE0EEEvT1_.uses_vcc, 0
	.set _ZN7rocprim17ROCPRIM_400000_NS6detail17trampoline_kernelINS0_14default_configENS1_27scan_by_key_config_selectorIj11FixedVectorIiLj4EEEEZZNS1_16scan_by_key_implILNS1_25lookback_scan_determinismE0ELb0ES3_N6thrust23THRUST_200600_302600_NS6detail15normal_iteratorINSB_10device_ptrIjEEEENSD_INSE_IS6_EEEESI_S6_NSB_4plusIvEENSB_8equal_toIvEES6_EE10hipError_tPvRmT2_T3_T4_T5_mT6_T7_P12ihipStream_tbENKUlT_T0_E_clISt17integral_constantIbLb1EES13_EEDaSY_SZ_EUlSY_E_NS1_11comp_targetILNS1_3genE3ELNS1_11target_archE908ELNS1_3gpuE7ELNS1_3repE0EEENS1_30default_config_static_selectorELNS0_4arch9wavefront6targetE0EEEvT1_.uses_flat_scratch, 0
	.set _ZN7rocprim17ROCPRIM_400000_NS6detail17trampoline_kernelINS0_14default_configENS1_27scan_by_key_config_selectorIj11FixedVectorIiLj4EEEEZZNS1_16scan_by_key_implILNS1_25lookback_scan_determinismE0ELb0ES3_N6thrust23THRUST_200600_302600_NS6detail15normal_iteratorINSB_10device_ptrIjEEEENSD_INSE_IS6_EEEESI_S6_NSB_4plusIvEENSB_8equal_toIvEES6_EE10hipError_tPvRmT2_T3_T4_T5_mT6_T7_P12ihipStream_tbENKUlT_T0_E_clISt17integral_constantIbLb1EES13_EEDaSY_SZ_EUlSY_E_NS1_11comp_targetILNS1_3genE3ELNS1_11target_archE908ELNS1_3gpuE7ELNS1_3repE0EEENS1_30default_config_static_selectorELNS0_4arch9wavefront6targetE0EEEvT1_.has_dyn_sized_stack, 0
	.set _ZN7rocprim17ROCPRIM_400000_NS6detail17trampoline_kernelINS0_14default_configENS1_27scan_by_key_config_selectorIj11FixedVectorIiLj4EEEEZZNS1_16scan_by_key_implILNS1_25lookback_scan_determinismE0ELb0ES3_N6thrust23THRUST_200600_302600_NS6detail15normal_iteratorINSB_10device_ptrIjEEEENSD_INSE_IS6_EEEESI_S6_NSB_4plusIvEENSB_8equal_toIvEES6_EE10hipError_tPvRmT2_T3_T4_T5_mT6_T7_P12ihipStream_tbENKUlT_T0_E_clISt17integral_constantIbLb1EES13_EEDaSY_SZ_EUlSY_E_NS1_11comp_targetILNS1_3genE3ELNS1_11target_archE908ELNS1_3gpuE7ELNS1_3repE0EEENS1_30default_config_static_selectorELNS0_4arch9wavefront6targetE0EEEvT1_.has_recursion, 0
	.set _ZN7rocprim17ROCPRIM_400000_NS6detail17trampoline_kernelINS0_14default_configENS1_27scan_by_key_config_selectorIj11FixedVectorIiLj4EEEEZZNS1_16scan_by_key_implILNS1_25lookback_scan_determinismE0ELb0ES3_N6thrust23THRUST_200600_302600_NS6detail15normal_iteratorINSB_10device_ptrIjEEEENSD_INSE_IS6_EEEESI_S6_NSB_4plusIvEENSB_8equal_toIvEES6_EE10hipError_tPvRmT2_T3_T4_T5_mT6_T7_P12ihipStream_tbENKUlT_T0_E_clISt17integral_constantIbLb1EES13_EEDaSY_SZ_EUlSY_E_NS1_11comp_targetILNS1_3genE3ELNS1_11target_archE908ELNS1_3gpuE7ELNS1_3repE0EEENS1_30default_config_static_selectorELNS0_4arch9wavefront6targetE0EEEvT1_.has_indirect_call, 0
	.section	.AMDGPU.csdata,"",@progbits
; Kernel info:
; codeLenInByte = 0
; TotalNumSgprs: 0
; NumVgprs: 0
; ScratchSize: 0
; MemoryBound: 0
; FloatMode: 240
; IeeeMode: 1
; LDSByteSize: 0 bytes/workgroup (compile time only)
; SGPRBlocks: 0
; VGPRBlocks: 0
; NumSGPRsForWavesPerEU: 1
; NumVGPRsForWavesPerEU: 1
; Occupancy: 16
; WaveLimiterHint : 0
; COMPUTE_PGM_RSRC2:SCRATCH_EN: 0
; COMPUTE_PGM_RSRC2:USER_SGPR: 6
; COMPUTE_PGM_RSRC2:TRAP_HANDLER: 0
; COMPUTE_PGM_RSRC2:TGID_X_EN: 1
; COMPUTE_PGM_RSRC2:TGID_Y_EN: 0
; COMPUTE_PGM_RSRC2:TGID_Z_EN: 0
; COMPUTE_PGM_RSRC2:TIDIG_COMP_CNT: 0
	.section	.text._ZN7rocprim17ROCPRIM_400000_NS6detail17trampoline_kernelINS0_14default_configENS1_27scan_by_key_config_selectorIj11FixedVectorIiLj4EEEEZZNS1_16scan_by_key_implILNS1_25lookback_scan_determinismE0ELb0ES3_N6thrust23THRUST_200600_302600_NS6detail15normal_iteratorINSB_10device_ptrIjEEEENSD_INSE_IS6_EEEESI_S6_NSB_4plusIvEENSB_8equal_toIvEES6_EE10hipError_tPvRmT2_T3_T4_T5_mT6_T7_P12ihipStream_tbENKUlT_T0_E_clISt17integral_constantIbLb1EES13_EEDaSY_SZ_EUlSY_E_NS1_11comp_targetILNS1_3genE2ELNS1_11target_archE906ELNS1_3gpuE6ELNS1_3repE0EEENS1_30default_config_static_selectorELNS0_4arch9wavefront6targetE0EEEvT1_,"axG",@progbits,_ZN7rocprim17ROCPRIM_400000_NS6detail17trampoline_kernelINS0_14default_configENS1_27scan_by_key_config_selectorIj11FixedVectorIiLj4EEEEZZNS1_16scan_by_key_implILNS1_25lookback_scan_determinismE0ELb0ES3_N6thrust23THRUST_200600_302600_NS6detail15normal_iteratorINSB_10device_ptrIjEEEENSD_INSE_IS6_EEEESI_S6_NSB_4plusIvEENSB_8equal_toIvEES6_EE10hipError_tPvRmT2_T3_T4_T5_mT6_T7_P12ihipStream_tbENKUlT_T0_E_clISt17integral_constantIbLb1EES13_EEDaSY_SZ_EUlSY_E_NS1_11comp_targetILNS1_3genE2ELNS1_11target_archE906ELNS1_3gpuE6ELNS1_3repE0EEENS1_30default_config_static_selectorELNS0_4arch9wavefront6targetE0EEEvT1_,comdat
	.protected	_ZN7rocprim17ROCPRIM_400000_NS6detail17trampoline_kernelINS0_14default_configENS1_27scan_by_key_config_selectorIj11FixedVectorIiLj4EEEEZZNS1_16scan_by_key_implILNS1_25lookback_scan_determinismE0ELb0ES3_N6thrust23THRUST_200600_302600_NS6detail15normal_iteratorINSB_10device_ptrIjEEEENSD_INSE_IS6_EEEESI_S6_NSB_4plusIvEENSB_8equal_toIvEES6_EE10hipError_tPvRmT2_T3_T4_T5_mT6_T7_P12ihipStream_tbENKUlT_T0_E_clISt17integral_constantIbLb1EES13_EEDaSY_SZ_EUlSY_E_NS1_11comp_targetILNS1_3genE2ELNS1_11target_archE906ELNS1_3gpuE6ELNS1_3repE0EEENS1_30default_config_static_selectorELNS0_4arch9wavefront6targetE0EEEvT1_ ; -- Begin function _ZN7rocprim17ROCPRIM_400000_NS6detail17trampoline_kernelINS0_14default_configENS1_27scan_by_key_config_selectorIj11FixedVectorIiLj4EEEEZZNS1_16scan_by_key_implILNS1_25lookback_scan_determinismE0ELb0ES3_N6thrust23THRUST_200600_302600_NS6detail15normal_iteratorINSB_10device_ptrIjEEEENSD_INSE_IS6_EEEESI_S6_NSB_4plusIvEENSB_8equal_toIvEES6_EE10hipError_tPvRmT2_T3_T4_T5_mT6_T7_P12ihipStream_tbENKUlT_T0_E_clISt17integral_constantIbLb1EES13_EEDaSY_SZ_EUlSY_E_NS1_11comp_targetILNS1_3genE2ELNS1_11target_archE906ELNS1_3gpuE6ELNS1_3repE0EEENS1_30default_config_static_selectorELNS0_4arch9wavefront6targetE0EEEvT1_
	.globl	_ZN7rocprim17ROCPRIM_400000_NS6detail17trampoline_kernelINS0_14default_configENS1_27scan_by_key_config_selectorIj11FixedVectorIiLj4EEEEZZNS1_16scan_by_key_implILNS1_25lookback_scan_determinismE0ELb0ES3_N6thrust23THRUST_200600_302600_NS6detail15normal_iteratorINSB_10device_ptrIjEEEENSD_INSE_IS6_EEEESI_S6_NSB_4plusIvEENSB_8equal_toIvEES6_EE10hipError_tPvRmT2_T3_T4_T5_mT6_T7_P12ihipStream_tbENKUlT_T0_E_clISt17integral_constantIbLb1EES13_EEDaSY_SZ_EUlSY_E_NS1_11comp_targetILNS1_3genE2ELNS1_11target_archE906ELNS1_3gpuE6ELNS1_3repE0EEENS1_30default_config_static_selectorELNS0_4arch9wavefront6targetE0EEEvT1_
	.p2align	8
	.type	_ZN7rocprim17ROCPRIM_400000_NS6detail17trampoline_kernelINS0_14default_configENS1_27scan_by_key_config_selectorIj11FixedVectorIiLj4EEEEZZNS1_16scan_by_key_implILNS1_25lookback_scan_determinismE0ELb0ES3_N6thrust23THRUST_200600_302600_NS6detail15normal_iteratorINSB_10device_ptrIjEEEENSD_INSE_IS6_EEEESI_S6_NSB_4plusIvEENSB_8equal_toIvEES6_EE10hipError_tPvRmT2_T3_T4_T5_mT6_T7_P12ihipStream_tbENKUlT_T0_E_clISt17integral_constantIbLb1EES13_EEDaSY_SZ_EUlSY_E_NS1_11comp_targetILNS1_3genE2ELNS1_11target_archE906ELNS1_3gpuE6ELNS1_3repE0EEENS1_30default_config_static_selectorELNS0_4arch9wavefront6targetE0EEEvT1_,@function
_ZN7rocprim17ROCPRIM_400000_NS6detail17trampoline_kernelINS0_14default_configENS1_27scan_by_key_config_selectorIj11FixedVectorIiLj4EEEEZZNS1_16scan_by_key_implILNS1_25lookback_scan_determinismE0ELb0ES3_N6thrust23THRUST_200600_302600_NS6detail15normal_iteratorINSB_10device_ptrIjEEEENSD_INSE_IS6_EEEESI_S6_NSB_4plusIvEENSB_8equal_toIvEES6_EE10hipError_tPvRmT2_T3_T4_T5_mT6_T7_P12ihipStream_tbENKUlT_T0_E_clISt17integral_constantIbLb1EES13_EEDaSY_SZ_EUlSY_E_NS1_11comp_targetILNS1_3genE2ELNS1_11target_archE906ELNS1_3gpuE6ELNS1_3repE0EEENS1_30default_config_static_selectorELNS0_4arch9wavefront6targetE0EEEvT1_: ; @_ZN7rocprim17ROCPRIM_400000_NS6detail17trampoline_kernelINS0_14default_configENS1_27scan_by_key_config_selectorIj11FixedVectorIiLj4EEEEZZNS1_16scan_by_key_implILNS1_25lookback_scan_determinismE0ELb0ES3_N6thrust23THRUST_200600_302600_NS6detail15normal_iteratorINSB_10device_ptrIjEEEENSD_INSE_IS6_EEEESI_S6_NSB_4plusIvEENSB_8equal_toIvEES6_EE10hipError_tPvRmT2_T3_T4_T5_mT6_T7_P12ihipStream_tbENKUlT_T0_E_clISt17integral_constantIbLb1EES13_EEDaSY_SZ_EUlSY_E_NS1_11comp_targetILNS1_3genE2ELNS1_11target_archE906ELNS1_3gpuE6ELNS1_3repE0EEENS1_30default_config_static_selectorELNS0_4arch9wavefront6targetE0EEEvT1_
; %bb.0:
	.section	.rodata,"a",@progbits
	.p2align	6, 0x0
	.amdhsa_kernel _ZN7rocprim17ROCPRIM_400000_NS6detail17trampoline_kernelINS0_14default_configENS1_27scan_by_key_config_selectorIj11FixedVectorIiLj4EEEEZZNS1_16scan_by_key_implILNS1_25lookback_scan_determinismE0ELb0ES3_N6thrust23THRUST_200600_302600_NS6detail15normal_iteratorINSB_10device_ptrIjEEEENSD_INSE_IS6_EEEESI_S6_NSB_4plusIvEENSB_8equal_toIvEES6_EE10hipError_tPvRmT2_T3_T4_T5_mT6_T7_P12ihipStream_tbENKUlT_T0_E_clISt17integral_constantIbLb1EES13_EEDaSY_SZ_EUlSY_E_NS1_11comp_targetILNS1_3genE2ELNS1_11target_archE906ELNS1_3gpuE6ELNS1_3repE0EEENS1_30default_config_static_selectorELNS0_4arch9wavefront6targetE0EEEvT1_
		.amdhsa_group_segment_fixed_size 0
		.amdhsa_private_segment_fixed_size 0
		.amdhsa_kernarg_size 144
		.amdhsa_user_sgpr_count 6
		.amdhsa_user_sgpr_private_segment_buffer 1
		.amdhsa_user_sgpr_dispatch_ptr 0
		.amdhsa_user_sgpr_queue_ptr 0
		.amdhsa_user_sgpr_kernarg_segment_ptr 1
		.amdhsa_user_sgpr_dispatch_id 0
		.amdhsa_user_sgpr_flat_scratch_init 0
		.amdhsa_user_sgpr_private_segment_size 0
		.amdhsa_wavefront_size32 1
		.amdhsa_uses_dynamic_stack 0
		.amdhsa_system_sgpr_private_segment_wavefront_offset 0
		.amdhsa_system_sgpr_workgroup_id_x 1
		.amdhsa_system_sgpr_workgroup_id_y 0
		.amdhsa_system_sgpr_workgroup_id_z 0
		.amdhsa_system_sgpr_workgroup_info 0
		.amdhsa_system_vgpr_workitem_id 0
		.amdhsa_next_free_vgpr 1
		.amdhsa_next_free_sgpr 1
		.amdhsa_reserve_vcc 0
		.amdhsa_reserve_flat_scratch 0
		.amdhsa_float_round_mode_32 0
		.amdhsa_float_round_mode_16_64 0
		.amdhsa_float_denorm_mode_32 3
		.amdhsa_float_denorm_mode_16_64 3
		.amdhsa_dx10_clamp 1
		.amdhsa_ieee_mode 1
		.amdhsa_fp16_overflow 0
		.amdhsa_workgroup_processor_mode 1
		.amdhsa_memory_ordered 1
		.amdhsa_forward_progress 1
		.amdhsa_shared_vgpr_count 0
		.amdhsa_exception_fp_ieee_invalid_op 0
		.amdhsa_exception_fp_denorm_src 0
		.amdhsa_exception_fp_ieee_div_zero 0
		.amdhsa_exception_fp_ieee_overflow 0
		.amdhsa_exception_fp_ieee_underflow 0
		.amdhsa_exception_fp_ieee_inexact 0
		.amdhsa_exception_int_div_zero 0
	.end_amdhsa_kernel
	.section	.text._ZN7rocprim17ROCPRIM_400000_NS6detail17trampoline_kernelINS0_14default_configENS1_27scan_by_key_config_selectorIj11FixedVectorIiLj4EEEEZZNS1_16scan_by_key_implILNS1_25lookback_scan_determinismE0ELb0ES3_N6thrust23THRUST_200600_302600_NS6detail15normal_iteratorINSB_10device_ptrIjEEEENSD_INSE_IS6_EEEESI_S6_NSB_4plusIvEENSB_8equal_toIvEES6_EE10hipError_tPvRmT2_T3_T4_T5_mT6_T7_P12ihipStream_tbENKUlT_T0_E_clISt17integral_constantIbLb1EES13_EEDaSY_SZ_EUlSY_E_NS1_11comp_targetILNS1_3genE2ELNS1_11target_archE906ELNS1_3gpuE6ELNS1_3repE0EEENS1_30default_config_static_selectorELNS0_4arch9wavefront6targetE0EEEvT1_,"axG",@progbits,_ZN7rocprim17ROCPRIM_400000_NS6detail17trampoline_kernelINS0_14default_configENS1_27scan_by_key_config_selectorIj11FixedVectorIiLj4EEEEZZNS1_16scan_by_key_implILNS1_25lookback_scan_determinismE0ELb0ES3_N6thrust23THRUST_200600_302600_NS6detail15normal_iteratorINSB_10device_ptrIjEEEENSD_INSE_IS6_EEEESI_S6_NSB_4plusIvEENSB_8equal_toIvEES6_EE10hipError_tPvRmT2_T3_T4_T5_mT6_T7_P12ihipStream_tbENKUlT_T0_E_clISt17integral_constantIbLb1EES13_EEDaSY_SZ_EUlSY_E_NS1_11comp_targetILNS1_3genE2ELNS1_11target_archE906ELNS1_3gpuE6ELNS1_3repE0EEENS1_30default_config_static_selectorELNS0_4arch9wavefront6targetE0EEEvT1_,comdat
.Lfunc_end2049:
	.size	_ZN7rocprim17ROCPRIM_400000_NS6detail17trampoline_kernelINS0_14default_configENS1_27scan_by_key_config_selectorIj11FixedVectorIiLj4EEEEZZNS1_16scan_by_key_implILNS1_25lookback_scan_determinismE0ELb0ES3_N6thrust23THRUST_200600_302600_NS6detail15normal_iteratorINSB_10device_ptrIjEEEENSD_INSE_IS6_EEEESI_S6_NSB_4plusIvEENSB_8equal_toIvEES6_EE10hipError_tPvRmT2_T3_T4_T5_mT6_T7_P12ihipStream_tbENKUlT_T0_E_clISt17integral_constantIbLb1EES13_EEDaSY_SZ_EUlSY_E_NS1_11comp_targetILNS1_3genE2ELNS1_11target_archE906ELNS1_3gpuE6ELNS1_3repE0EEENS1_30default_config_static_selectorELNS0_4arch9wavefront6targetE0EEEvT1_, .Lfunc_end2049-_ZN7rocprim17ROCPRIM_400000_NS6detail17trampoline_kernelINS0_14default_configENS1_27scan_by_key_config_selectorIj11FixedVectorIiLj4EEEEZZNS1_16scan_by_key_implILNS1_25lookback_scan_determinismE0ELb0ES3_N6thrust23THRUST_200600_302600_NS6detail15normal_iteratorINSB_10device_ptrIjEEEENSD_INSE_IS6_EEEESI_S6_NSB_4plusIvEENSB_8equal_toIvEES6_EE10hipError_tPvRmT2_T3_T4_T5_mT6_T7_P12ihipStream_tbENKUlT_T0_E_clISt17integral_constantIbLb1EES13_EEDaSY_SZ_EUlSY_E_NS1_11comp_targetILNS1_3genE2ELNS1_11target_archE906ELNS1_3gpuE6ELNS1_3repE0EEENS1_30default_config_static_selectorELNS0_4arch9wavefront6targetE0EEEvT1_
                                        ; -- End function
	.set _ZN7rocprim17ROCPRIM_400000_NS6detail17trampoline_kernelINS0_14default_configENS1_27scan_by_key_config_selectorIj11FixedVectorIiLj4EEEEZZNS1_16scan_by_key_implILNS1_25lookback_scan_determinismE0ELb0ES3_N6thrust23THRUST_200600_302600_NS6detail15normal_iteratorINSB_10device_ptrIjEEEENSD_INSE_IS6_EEEESI_S6_NSB_4plusIvEENSB_8equal_toIvEES6_EE10hipError_tPvRmT2_T3_T4_T5_mT6_T7_P12ihipStream_tbENKUlT_T0_E_clISt17integral_constantIbLb1EES13_EEDaSY_SZ_EUlSY_E_NS1_11comp_targetILNS1_3genE2ELNS1_11target_archE906ELNS1_3gpuE6ELNS1_3repE0EEENS1_30default_config_static_selectorELNS0_4arch9wavefront6targetE0EEEvT1_.num_vgpr, 0
	.set _ZN7rocprim17ROCPRIM_400000_NS6detail17trampoline_kernelINS0_14default_configENS1_27scan_by_key_config_selectorIj11FixedVectorIiLj4EEEEZZNS1_16scan_by_key_implILNS1_25lookback_scan_determinismE0ELb0ES3_N6thrust23THRUST_200600_302600_NS6detail15normal_iteratorINSB_10device_ptrIjEEEENSD_INSE_IS6_EEEESI_S6_NSB_4plusIvEENSB_8equal_toIvEES6_EE10hipError_tPvRmT2_T3_T4_T5_mT6_T7_P12ihipStream_tbENKUlT_T0_E_clISt17integral_constantIbLb1EES13_EEDaSY_SZ_EUlSY_E_NS1_11comp_targetILNS1_3genE2ELNS1_11target_archE906ELNS1_3gpuE6ELNS1_3repE0EEENS1_30default_config_static_selectorELNS0_4arch9wavefront6targetE0EEEvT1_.num_agpr, 0
	.set _ZN7rocprim17ROCPRIM_400000_NS6detail17trampoline_kernelINS0_14default_configENS1_27scan_by_key_config_selectorIj11FixedVectorIiLj4EEEEZZNS1_16scan_by_key_implILNS1_25lookback_scan_determinismE0ELb0ES3_N6thrust23THRUST_200600_302600_NS6detail15normal_iteratorINSB_10device_ptrIjEEEENSD_INSE_IS6_EEEESI_S6_NSB_4plusIvEENSB_8equal_toIvEES6_EE10hipError_tPvRmT2_T3_T4_T5_mT6_T7_P12ihipStream_tbENKUlT_T0_E_clISt17integral_constantIbLb1EES13_EEDaSY_SZ_EUlSY_E_NS1_11comp_targetILNS1_3genE2ELNS1_11target_archE906ELNS1_3gpuE6ELNS1_3repE0EEENS1_30default_config_static_selectorELNS0_4arch9wavefront6targetE0EEEvT1_.numbered_sgpr, 0
	.set _ZN7rocprim17ROCPRIM_400000_NS6detail17trampoline_kernelINS0_14default_configENS1_27scan_by_key_config_selectorIj11FixedVectorIiLj4EEEEZZNS1_16scan_by_key_implILNS1_25lookback_scan_determinismE0ELb0ES3_N6thrust23THRUST_200600_302600_NS6detail15normal_iteratorINSB_10device_ptrIjEEEENSD_INSE_IS6_EEEESI_S6_NSB_4plusIvEENSB_8equal_toIvEES6_EE10hipError_tPvRmT2_T3_T4_T5_mT6_T7_P12ihipStream_tbENKUlT_T0_E_clISt17integral_constantIbLb1EES13_EEDaSY_SZ_EUlSY_E_NS1_11comp_targetILNS1_3genE2ELNS1_11target_archE906ELNS1_3gpuE6ELNS1_3repE0EEENS1_30default_config_static_selectorELNS0_4arch9wavefront6targetE0EEEvT1_.num_named_barrier, 0
	.set _ZN7rocprim17ROCPRIM_400000_NS6detail17trampoline_kernelINS0_14default_configENS1_27scan_by_key_config_selectorIj11FixedVectorIiLj4EEEEZZNS1_16scan_by_key_implILNS1_25lookback_scan_determinismE0ELb0ES3_N6thrust23THRUST_200600_302600_NS6detail15normal_iteratorINSB_10device_ptrIjEEEENSD_INSE_IS6_EEEESI_S6_NSB_4plusIvEENSB_8equal_toIvEES6_EE10hipError_tPvRmT2_T3_T4_T5_mT6_T7_P12ihipStream_tbENKUlT_T0_E_clISt17integral_constantIbLb1EES13_EEDaSY_SZ_EUlSY_E_NS1_11comp_targetILNS1_3genE2ELNS1_11target_archE906ELNS1_3gpuE6ELNS1_3repE0EEENS1_30default_config_static_selectorELNS0_4arch9wavefront6targetE0EEEvT1_.private_seg_size, 0
	.set _ZN7rocprim17ROCPRIM_400000_NS6detail17trampoline_kernelINS0_14default_configENS1_27scan_by_key_config_selectorIj11FixedVectorIiLj4EEEEZZNS1_16scan_by_key_implILNS1_25lookback_scan_determinismE0ELb0ES3_N6thrust23THRUST_200600_302600_NS6detail15normal_iteratorINSB_10device_ptrIjEEEENSD_INSE_IS6_EEEESI_S6_NSB_4plusIvEENSB_8equal_toIvEES6_EE10hipError_tPvRmT2_T3_T4_T5_mT6_T7_P12ihipStream_tbENKUlT_T0_E_clISt17integral_constantIbLb1EES13_EEDaSY_SZ_EUlSY_E_NS1_11comp_targetILNS1_3genE2ELNS1_11target_archE906ELNS1_3gpuE6ELNS1_3repE0EEENS1_30default_config_static_selectorELNS0_4arch9wavefront6targetE0EEEvT1_.uses_vcc, 0
	.set _ZN7rocprim17ROCPRIM_400000_NS6detail17trampoline_kernelINS0_14default_configENS1_27scan_by_key_config_selectorIj11FixedVectorIiLj4EEEEZZNS1_16scan_by_key_implILNS1_25lookback_scan_determinismE0ELb0ES3_N6thrust23THRUST_200600_302600_NS6detail15normal_iteratorINSB_10device_ptrIjEEEENSD_INSE_IS6_EEEESI_S6_NSB_4plusIvEENSB_8equal_toIvEES6_EE10hipError_tPvRmT2_T3_T4_T5_mT6_T7_P12ihipStream_tbENKUlT_T0_E_clISt17integral_constantIbLb1EES13_EEDaSY_SZ_EUlSY_E_NS1_11comp_targetILNS1_3genE2ELNS1_11target_archE906ELNS1_3gpuE6ELNS1_3repE0EEENS1_30default_config_static_selectorELNS0_4arch9wavefront6targetE0EEEvT1_.uses_flat_scratch, 0
	.set _ZN7rocprim17ROCPRIM_400000_NS6detail17trampoline_kernelINS0_14default_configENS1_27scan_by_key_config_selectorIj11FixedVectorIiLj4EEEEZZNS1_16scan_by_key_implILNS1_25lookback_scan_determinismE0ELb0ES3_N6thrust23THRUST_200600_302600_NS6detail15normal_iteratorINSB_10device_ptrIjEEEENSD_INSE_IS6_EEEESI_S6_NSB_4plusIvEENSB_8equal_toIvEES6_EE10hipError_tPvRmT2_T3_T4_T5_mT6_T7_P12ihipStream_tbENKUlT_T0_E_clISt17integral_constantIbLb1EES13_EEDaSY_SZ_EUlSY_E_NS1_11comp_targetILNS1_3genE2ELNS1_11target_archE906ELNS1_3gpuE6ELNS1_3repE0EEENS1_30default_config_static_selectorELNS0_4arch9wavefront6targetE0EEEvT1_.has_dyn_sized_stack, 0
	.set _ZN7rocprim17ROCPRIM_400000_NS6detail17trampoline_kernelINS0_14default_configENS1_27scan_by_key_config_selectorIj11FixedVectorIiLj4EEEEZZNS1_16scan_by_key_implILNS1_25lookback_scan_determinismE0ELb0ES3_N6thrust23THRUST_200600_302600_NS6detail15normal_iteratorINSB_10device_ptrIjEEEENSD_INSE_IS6_EEEESI_S6_NSB_4plusIvEENSB_8equal_toIvEES6_EE10hipError_tPvRmT2_T3_T4_T5_mT6_T7_P12ihipStream_tbENKUlT_T0_E_clISt17integral_constantIbLb1EES13_EEDaSY_SZ_EUlSY_E_NS1_11comp_targetILNS1_3genE2ELNS1_11target_archE906ELNS1_3gpuE6ELNS1_3repE0EEENS1_30default_config_static_selectorELNS0_4arch9wavefront6targetE0EEEvT1_.has_recursion, 0
	.set _ZN7rocprim17ROCPRIM_400000_NS6detail17trampoline_kernelINS0_14default_configENS1_27scan_by_key_config_selectorIj11FixedVectorIiLj4EEEEZZNS1_16scan_by_key_implILNS1_25lookback_scan_determinismE0ELb0ES3_N6thrust23THRUST_200600_302600_NS6detail15normal_iteratorINSB_10device_ptrIjEEEENSD_INSE_IS6_EEEESI_S6_NSB_4plusIvEENSB_8equal_toIvEES6_EE10hipError_tPvRmT2_T3_T4_T5_mT6_T7_P12ihipStream_tbENKUlT_T0_E_clISt17integral_constantIbLb1EES13_EEDaSY_SZ_EUlSY_E_NS1_11comp_targetILNS1_3genE2ELNS1_11target_archE906ELNS1_3gpuE6ELNS1_3repE0EEENS1_30default_config_static_selectorELNS0_4arch9wavefront6targetE0EEEvT1_.has_indirect_call, 0
	.section	.AMDGPU.csdata,"",@progbits
; Kernel info:
; codeLenInByte = 0
; TotalNumSgprs: 0
; NumVgprs: 0
; ScratchSize: 0
; MemoryBound: 0
; FloatMode: 240
; IeeeMode: 1
; LDSByteSize: 0 bytes/workgroup (compile time only)
; SGPRBlocks: 0
; VGPRBlocks: 0
; NumSGPRsForWavesPerEU: 1
; NumVGPRsForWavesPerEU: 1
; Occupancy: 16
; WaveLimiterHint : 0
; COMPUTE_PGM_RSRC2:SCRATCH_EN: 0
; COMPUTE_PGM_RSRC2:USER_SGPR: 6
; COMPUTE_PGM_RSRC2:TRAP_HANDLER: 0
; COMPUTE_PGM_RSRC2:TGID_X_EN: 1
; COMPUTE_PGM_RSRC2:TGID_Y_EN: 0
; COMPUTE_PGM_RSRC2:TGID_Z_EN: 0
; COMPUTE_PGM_RSRC2:TIDIG_COMP_CNT: 0
	.section	.text._ZN7rocprim17ROCPRIM_400000_NS6detail17trampoline_kernelINS0_14default_configENS1_27scan_by_key_config_selectorIj11FixedVectorIiLj4EEEEZZNS1_16scan_by_key_implILNS1_25lookback_scan_determinismE0ELb0ES3_N6thrust23THRUST_200600_302600_NS6detail15normal_iteratorINSB_10device_ptrIjEEEENSD_INSE_IS6_EEEESI_S6_NSB_4plusIvEENSB_8equal_toIvEES6_EE10hipError_tPvRmT2_T3_T4_T5_mT6_T7_P12ihipStream_tbENKUlT_T0_E_clISt17integral_constantIbLb1EES13_EEDaSY_SZ_EUlSY_E_NS1_11comp_targetILNS1_3genE10ELNS1_11target_archE1200ELNS1_3gpuE4ELNS1_3repE0EEENS1_30default_config_static_selectorELNS0_4arch9wavefront6targetE0EEEvT1_,"axG",@progbits,_ZN7rocprim17ROCPRIM_400000_NS6detail17trampoline_kernelINS0_14default_configENS1_27scan_by_key_config_selectorIj11FixedVectorIiLj4EEEEZZNS1_16scan_by_key_implILNS1_25lookback_scan_determinismE0ELb0ES3_N6thrust23THRUST_200600_302600_NS6detail15normal_iteratorINSB_10device_ptrIjEEEENSD_INSE_IS6_EEEESI_S6_NSB_4plusIvEENSB_8equal_toIvEES6_EE10hipError_tPvRmT2_T3_T4_T5_mT6_T7_P12ihipStream_tbENKUlT_T0_E_clISt17integral_constantIbLb1EES13_EEDaSY_SZ_EUlSY_E_NS1_11comp_targetILNS1_3genE10ELNS1_11target_archE1200ELNS1_3gpuE4ELNS1_3repE0EEENS1_30default_config_static_selectorELNS0_4arch9wavefront6targetE0EEEvT1_,comdat
	.protected	_ZN7rocprim17ROCPRIM_400000_NS6detail17trampoline_kernelINS0_14default_configENS1_27scan_by_key_config_selectorIj11FixedVectorIiLj4EEEEZZNS1_16scan_by_key_implILNS1_25lookback_scan_determinismE0ELb0ES3_N6thrust23THRUST_200600_302600_NS6detail15normal_iteratorINSB_10device_ptrIjEEEENSD_INSE_IS6_EEEESI_S6_NSB_4plusIvEENSB_8equal_toIvEES6_EE10hipError_tPvRmT2_T3_T4_T5_mT6_T7_P12ihipStream_tbENKUlT_T0_E_clISt17integral_constantIbLb1EES13_EEDaSY_SZ_EUlSY_E_NS1_11comp_targetILNS1_3genE10ELNS1_11target_archE1200ELNS1_3gpuE4ELNS1_3repE0EEENS1_30default_config_static_selectorELNS0_4arch9wavefront6targetE0EEEvT1_ ; -- Begin function _ZN7rocprim17ROCPRIM_400000_NS6detail17trampoline_kernelINS0_14default_configENS1_27scan_by_key_config_selectorIj11FixedVectorIiLj4EEEEZZNS1_16scan_by_key_implILNS1_25lookback_scan_determinismE0ELb0ES3_N6thrust23THRUST_200600_302600_NS6detail15normal_iteratorINSB_10device_ptrIjEEEENSD_INSE_IS6_EEEESI_S6_NSB_4plusIvEENSB_8equal_toIvEES6_EE10hipError_tPvRmT2_T3_T4_T5_mT6_T7_P12ihipStream_tbENKUlT_T0_E_clISt17integral_constantIbLb1EES13_EEDaSY_SZ_EUlSY_E_NS1_11comp_targetILNS1_3genE10ELNS1_11target_archE1200ELNS1_3gpuE4ELNS1_3repE0EEENS1_30default_config_static_selectorELNS0_4arch9wavefront6targetE0EEEvT1_
	.globl	_ZN7rocprim17ROCPRIM_400000_NS6detail17trampoline_kernelINS0_14default_configENS1_27scan_by_key_config_selectorIj11FixedVectorIiLj4EEEEZZNS1_16scan_by_key_implILNS1_25lookback_scan_determinismE0ELb0ES3_N6thrust23THRUST_200600_302600_NS6detail15normal_iteratorINSB_10device_ptrIjEEEENSD_INSE_IS6_EEEESI_S6_NSB_4plusIvEENSB_8equal_toIvEES6_EE10hipError_tPvRmT2_T3_T4_T5_mT6_T7_P12ihipStream_tbENKUlT_T0_E_clISt17integral_constantIbLb1EES13_EEDaSY_SZ_EUlSY_E_NS1_11comp_targetILNS1_3genE10ELNS1_11target_archE1200ELNS1_3gpuE4ELNS1_3repE0EEENS1_30default_config_static_selectorELNS0_4arch9wavefront6targetE0EEEvT1_
	.p2align	8
	.type	_ZN7rocprim17ROCPRIM_400000_NS6detail17trampoline_kernelINS0_14default_configENS1_27scan_by_key_config_selectorIj11FixedVectorIiLj4EEEEZZNS1_16scan_by_key_implILNS1_25lookback_scan_determinismE0ELb0ES3_N6thrust23THRUST_200600_302600_NS6detail15normal_iteratorINSB_10device_ptrIjEEEENSD_INSE_IS6_EEEESI_S6_NSB_4plusIvEENSB_8equal_toIvEES6_EE10hipError_tPvRmT2_T3_T4_T5_mT6_T7_P12ihipStream_tbENKUlT_T0_E_clISt17integral_constantIbLb1EES13_EEDaSY_SZ_EUlSY_E_NS1_11comp_targetILNS1_3genE10ELNS1_11target_archE1200ELNS1_3gpuE4ELNS1_3repE0EEENS1_30default_config_static_selectorELNS0_4arch9wavefront6targetE0EEEvT1_,@function
_ZN7rocprim17ROCPRIM_400000_NS6detail17trampoline_kernelINS0_14default_configENS1_27scan_by_key_config_selectorIj11FixedVectorIiLj4EEEEZZNS1_16scan_by_key_implILNS1_25lookback_scan_determinismE0ELb0ES3_N6thrust23THRUST_200600_302600_NS6detail15normal_iteratorINSB_10device_ptrIjEEEENSD_INSE_IS6_EEEESI_S6_NSB_4plusIvEENSB_8equal_toIvEES6_EE10hipError_tPvRmT2_T3_T4_T5_mT6_T7_P12ihipStream_tbENKUlT_T0_E_clISt17integral_constantIbLb1EES13_EEDaSY_SZ_EUlSY_E_NS1_11comp_targetILNS1_3genE10ELNS1_11target_archE1200ELNS1_3gpuE4ELNS1_3repE0EEENS1_30default_config_static_selectorELNS0_4arch9wavefront6targetE0EEEvT1_: ; @_ZN7rocprim17ROCPRIM_400000_NS6detail17trampoline_kernelINS0_14default_configENS1_27scan_by_key_config_selectorIj11FixedVectorIiLj4EEEEZZNS1_16scan_by_key_implILNS1_25lookback_scan_determinismE0ELb0ES3_N6thrust23THRUST_200600_302600_NS6detail15normal_iteratorINSB_10device_ptrIjEEEENSD_INSE_IS6_EEEESI_S6_NSB_4plusIvEENSB_8equal_toIvEES6_EE10hipError_tPvRmT2_T3_T4_T5_mT6_T7_P12ihipStream_tbENKUlT_T0_E_clISt17integral_constantIbLb1EES13_EEDaSY_SZ_EUlSY_E_NS1_11comp_targetILNS1_3genE10ELNS1_11target_archE1200ELNS1_3gpuE4ELNS1_3repE0EEENS1_30default_config_static_selectorELNS0_4arch9wavefront6targetE0EEEvT1_
; %bb.0:
	.section	.rodata,"a",@progbits
	.p2align	6, 0x0
	.amdhsa_kernel _ZN7rocprim17ROCPRIM_400000_NS6detail17trampoline_kernelINS0_14default_configENS1_27scan_by_key_config_selectorIj11FixedVectorIiLj4EEEEZZNS1_16scan_by_key_implILNS1_25lookback_scan_determinismE0ELb0ES3_N6thrust23THRUST_200600_302600_NS6detail15normal_iteratorINSB_10device_ptrIjEEEENSD_INSE_IS6_EEEESI_S6_NSB_4plusIvEENSB_8equal_toIvEES6_EE10hipError_tPvRmT2_T3_T4_T5_mT6_T7_P12ihipStream_tbENKUlT_T0_E_clISt17integral_constantIbLb1EES13_EEDaSY_SZ_EUlSY_E_NS1_11comp_targetILNS1_3genE10ELNS1_11target_archE1200ELNS1_3gpuE4ELNS1_3repE0EEENS1_30default_config_static_selectorELNS0_4arch9wavefront6targetE0EEEvT1_
		.amdhsa_group_segment_fixed_size 0
		.amdhsa_private_segment_fixed_size 0
		.amdhsa_kernarg_size 144
		.amdhsa_user_sgpr_count 6
		.amdhsa_user_sgpr_private_segment_buffer 1
		.amdhsa_user_sgpr_dispatch_ptr 0
		.amdhsa_user_sgpr_queue_ptr 0
		.amdhsa_user_sgpr_kernarg_segment_ptr 1
		.amdhsa_user_sgpr_dispatch_id 0
		.amdhsa_user_sgpr_flat_scratch_init 0
		.amdhsa_user_sgpr_private_segment_size 0
		.amdhsa_wavefront_size32 1
		.amdhsa_uses_dynamic_stack 0
		.amdhsa_system_sgpr_private_segment_wavefront_offset 0
		.amdhsa_system_sgpr_workgroup_id_x 1
		.amdhsa_system_sgpr_workgroup_id_y 0
		.amdhsa_system_sgpr_workgroup_id_z 0
		.amdhsa_system_sgpr_workgroup_info 0
		.amdhsa_system_vgpr_workitem_id 0
		.amdhsa_next_free_vgpr 1
		.amdhsa_next_free_sgpr 1
		.amdhsa_reserve_vcc 0
		.amdhsa_reserve_flat_scratch 0
		.amdhsa_float_round_mode_32 0
		.amdhsa_float_round_mode_16_64 0
		.amdhsa_float_denorm_mode_32 3
		.amdhsa_float_denorm_mode_16_64 3
		.amdhsa_dx10_clamp 1
		.amdhsa_ieee_mode 1
		.amdhsa_fp16_overflow 0
		.amdhsa_workgroup_processor_mode 1
		.amdhsa_memory_ordered 1
		.amdhsa_forward_progress 1
		.amdhsa_shared_vgpr_count 0
		.amdhsa_exception_fp_ieee_invalid_op 0
		.amdhsa_exception_fp_denorm_src 0
		.amdhsa_exception_fp_ieee_div_zero 0
		.amdhsa_exception_fp_ieee_overflow 0
		.amdhsa_exception_fp_ieee_underflow 0
		.amdhsa_exception_fp_ieee_inexact 0
		.amdhsa_exception_int_div_zero 0
	.end_amdhsa_kernel
	.section	.text._ZN7rocprim17ROCPRIM_400000_NS6detail17trampoline_kernelINS0_14default_configENS1_27scan_by_key_config_selectorIj11FixedVectorIiLj4EEEEZZNS1_16scan_by_key_implILNS1_25lookback_scan_determinismE0ELb0ES3_N6thrust23THRUST_200600_302600_NS6detail15normal_iteratorINSB_10device_ptrIjEEEENSD_INSE_IS6_EEEESI_S6_NSB_4plusIvEENSB_8equal_toIvEES6_EE10hipError_tPvRmT2_T3_T4_T5_mT6_T7_P12ihipStream_tbENKUlT_T0_E_clISt17integral_constantIbLb1EES13_EEDaSY_SZ_EUlSY_E_NS1_11comp_targetILNS1_3genE10ELNS1_11target_archE1200ELNS1_3gpuE4ELNS1_3repE0EEENS1_30default_config_static_selectorELNS0_4arch9wavefront6targetE0EEEvT1_,"axG",@progbits,_ZN7rocprim17ROCPRIM_400000_NS6detail17trampoline_kernelINS0_14default_configENS1_27scan_by_key_config_selectorIj11FixedVectorIiLj4EEEEZZNS1_16scan_by_key_implILNS1_25lookback_scan_determinismE0ELb0ES3_N6thrust23THRUST_200600_302600_NS6detail15normal_iteratorINSB_10device_ptrIjEEEENSD_INSE_IS6_EEEESI_S6_NSB_4plusIvEENSB_8equal_toIvEES6_EE10hipError_tPvRmT2_T3_T4_T5_mT6_T7_P12ihipStream_tbENKUlT_T0_E_clISt17integral_constantIbLb1EES13_EEDaSY_SZ_EUlSY_E_NS1_11comp_targetILNS1_3genE10ELNS1_11target_archE1200ELNS1_3gpuE4ELNS1_3repE0EEENS1_30default_config_static_selectorELNS0_4arch9wavefront6targetE0EEEvT1_,comdat
.Lfunc_end2050:
	.size	_ZN7rocprim17ROCPRIM_400000_NS6detail17trampoline_kernelINS0_14default_configENS1_27scan_by_key_config_selectorIj11FixedVectorIiLj4EEEEZZNS1_16scan_by_key_implILNS1_25lookback_scan_determinismE0ELb0ES3_N6thrust23THRUST_200600_302600_NS6detail15normal_iteratorINSB_10device_ptrIjEEEENSD_INSE_IS6_EEEESI_S6_NSB_4plusIvEENSB_8equal_toIvEES6_EE10hipError_tPvRmT2_T3_T4_T5_mT6_T7_P12ihipStream_tbENKUlT_T0_E_clISt17integral_constantIbLb1EES13_EEDaSY_SZ_EUlSY_E_NS1_11comp_targetILNS1_3genE10ELNS1_11target_archE1200ELNS1_3gpuE4ELNS1_3repE0EEENS1_30default_config_static_selectorELNS0_4arch9wavefront6targetE0EEEvT1_, .Lfunc_end2050-_ZN7rocprim17ROCPRIM_400000_NS6detail17trampoline_kernelINS0_14default_configENS1_27scan_by_key_config_selectorIj11FixedVectorIiLj4EEEEZZNS1_16scan_by_key_implILNS1_25lookback_scan_determinismE0ELb0ES3_N6thrust23THRUST_200600_302600_NS6detail15normal_iteratorINSB_10device_ptrIjEEEENSD_INSE_IS6_EEEESI_S6_NSB_4plusIvEENSB_8equal_toIvEES6_EE10hipError_tPvRmT2_T3_T4_T5_mT6_T7_P12ihipStream_tbENKUlT_T0_E_clISt17integral_constantIbLb1EES13_EEDaSY_SZ_EUlSY_E_NS1_11comp_targetILNS1_3genE10ELNS1_11target_archE1200ELNS1_3gpuE4ELNS1_3repE0EEENS1_30default_config_static_selectorELNS0_4arch9wavefront6targetE0EEEvT1_
                                        ; -- End function
	.set _ZN7rocprim17ROCPRIM_400000_NS6detail17trampoline_kernelINS0_14default_configENS1_27scan_by_key_config_selectorIj11FixedVectorIiLj4EEEEZZNS1_16scan_by_key_implILNS1_25lookback_scan_determinismE0ELb0ES3_N6thrust23THRUST_200600_302600_NS6detail15normal_iteratorINSB_10device_ptrIjEEEENSD_INSE_IS6_EEEESI_S6_NSB_4plusIvEENSB_8equal_toIvEES6_EE10hipError_tPvRmT2_T3_T4_T5_mT6_T7_P12ihipStream_tbENKUlT_T0_E_clISt17integral_constantIbLb1EES13_EEDaSY_SZ_EUlSY_E_NS1_11comp_targetILNS1_3genE10ELNS1_11target_archE1200ELNS1_3gpuE4ELNS1_3repE0EEENS1_30default_config_static_selectorELNS0_4arch9wavefront6targetE0EEEvT1_.num_vgpr, 0
	.set _ZN7rocprim17ROCPRIM_400000_NS6detail17trampoline_kernelINS0_14default_configENS1_27scan_by_key_config_selectorIj11FixedVectorIiLj4EEEEZZNS1_16scan_by_key_implILNS1_25lookback_scan_determinismE0ELb0ES3_N6thrust23THRUST_200600_302600_NS6detail15normal_iteratorINSB_10device_ptrIjEEEENSD_INSE_IS6_EEEESI_S6_NSB_4plusIvEENSB_8equal_toIvEES6_EE10hipError_tPvRmT2_T3_T4_T5_mT6_T7_P12ihipStream_tbENKUlT_T0_E_clISt17integral_constantIbLb1EES13_EEDaSY_SZ_EUlSY_E_NS1_11comp_targetILNS1_3genE10ELNS1_11target_archE1200ELNS1_3gpuE4ELNS1_3repE0EEENS1_30default_config_static_selectorELNS0_4arch9wavefront6targetE0EEEvT1_.num_agpr, 0
	.set _ZN7rocprim17ROCPRIM_400000_NS6detail17trampoline_kernelINS0_14default_configENS1_27scan_by_key_config_selectorIj11FixedVectorIiLj4EEEEZZNS1_16scan_by_key_implILNS1_25lookback_scan_determinismE0ELb0ES3_N6thrust23THRUST_200600_302600_NS6detail15normal_iteratorINSB_10device_ptrIjEEEENSD_INSE_IS6_EEEESI_S6_NSB_4plusIvEENSB_8equal_toIvEES6_EE10hipError_tPvRmT2_T3_T4_T5_mT6_T7_P12ihipStream_tbENKUlT_T0_E_clISt17integral_constantIbLb1EES13_EEDaSY_SZ_EUlSY_E_NS1_11comp_targetILNS1_3genE10ELNS1_11target_archE1200ELNS1_3gpuE4ELNS1_3repE0EEENS1_30default_config_static_selectorELNS0_4arch9wavefront6targetE0EEEvT1_.numbered_sgpr, 0
	.set _ZN7rocprim17ROCPRIM_400000_NS6detail17trampoline_kernelINS0_14default_configENS1_27scan_by_key_config_selectorIj11FixedVectorIiLj4EEEEZZNS1_16scan_by_key_implILNS1_25lookback_scan_determinismE0ELb0ES3_N6thrust23THRUST_200600_302600_NS6detail15normal_iteratorINSB_10device_ptrIjEEEENSD_INSE_IS6_EEEESI_S6_NSB_4plusIvEENSB_8equal_toIvEES6_EE10hipError_tPvRmT2_T3_T4_T5_mT6_T7_P12ihipStream_tbENKUlT_T0_E_clISt17integral_constantIbLb1EES13_EEDaSY_SZ_EUlSY_E_NS1_11comp_targetILNS1_3genE10ELNS1_11target_archE1200ELNS1_3gpuE4ELNS1_3repE0EEENS1_30default_config_static_selectorELNS0_4arch9wavefront6targetE0EEEvT1_.num_named_barrier, 0
	.set _ZN7rocprim17ROCPRIM_400000_NS6detail17trampoline_kernelINS0_14default_configENS1_27scan_by_key_config_selectorIj11FixedVectorIiLj4EEEEZZNS1_16scan_by_key_implILNS1_25lookback_scan_determinismE0ELb0ES3_N6thrust23THRUST_200600_302600_NS6detail15normal_iteratorINSB_10device_ptrIjEEEENSD_INSE_IS6_EEEESI_S6_NSB_4plusIvEENSB_8equal_toIvEES6_EE10hipError_tPvRmT2_T3_T4_T5_mT6_T7_P12ihipStream_tbENKUlT_T0_E_clISt17integral_constantIbLb1EES13_EEDaSY_SZ_EUlSY_E_NS1_11comp_targetILNS1_3genE10ELNS1_11target_archE1200ELNS1_3gpuE4ELNS1_3repE0EEENS1_30default_config_static_selectorELNS0_4arch9wavefront6targetE0EEEvT1_.private_seg_size, 0
	.set _ZN7rocprim17ROCPRIM_400000_NS6detail17trampoline_kernelINS0_14default_configENS1_27scan_by_key_config_selectorIj11FixedVectorIiLj4EEEEZZNS1_16scan_by_key_implILNS1_25lookback_scan_determinismE0ELb0ES3_N6thrust23THRUST_200600_302600_NS6detail15normal_iteratorINSB_10device_ptrIjEEEENSD_INSE_IS6_EEEESI_S6_NSB_4plusIvEENSB_8equal_toIvEES6_EE10hipError_tPvRmT2_T3_T4_T5_mT6_T7_P12ihipStream_tbENKUlT_T0_E_clISt17integral_constantIbLb1EES13_EEDaSY_SZ_EUlSY_E_NS1_11comp_targetILNS1_3genE10ELNS1_11target_archE1200ELNS1_3gpuE4ELNS1_3repE0EEENS1_30default_config_static_selectorELNS0_4arch9wavefront6targetE0EEEvT1_.uses_vcc, 0
	.set _ZN7rocprim17ROCPRIM_400000_NS6detail17trampoline_kernelINS0_14default_configENS1_27scan_by_key_config_selectorIj11FixedVectorIiLj4EEEEZZNS1_16scan_by_key_implILNS1_25lookback_scan_determinismE0ELb0ES3_N6thrust23THRUST_200600_302600_NS6detail15normal_iteratorINSB_10device_ptrIjEEEENSD_INSE_IS6_EEEESI_S6_NSB_4plusIvEENSB_8equal_toIvEES6_EE10hipError_tPvRmT2_T3_T4_T5_mT6_T7_P12ihipStream_tbENKUlT_T0_E_clISt17integral_constantIbLb1EES13_EEDaSY_SZ_EUlSY_E_NS1_11comp_targetILNS1_3genE10ELNS1_11target_archE1200ELNS1_3gpuE4ELNS1_3repE0EEENS1_30default_config_static_selectorELNS0_4arch9wavefront6targetE0EEEvT1_.uses_flat_scratch, 0
	.set _ZN7rocprim17ROCPRIM_400000_NS6detail17trampoline_kernelINS0_14default_configENS1_27scan_by_key_config_selectorIj11FixedVectorIiLj4EEEEZZNS1_16scan_by_key_implILNS1_25lookback_scan_determinismE0ELb0ES3_N6thrust23THRUST_200600_302600_NS6detail15normal_iteratorINSB_10device_ptrIjEEEENSD_INSE_IS6_EEEESI_S6_NSB_4plusIvEENSB_8equal_toIvEES6_EE10hipError_tPvRmT2_T3_T4_T5_mT6_T7_P12ihipStream_tbENKUlT_T0_E_clISt17integral_constantIbLb1EES13_EEDaSY_SZ_EUlSY_E_NS1_11comp_targetILNS1_3genE10ELNS1_11target_archE1200ELNS1_3gpuE4ELNS1_3repE0EEENS1_30default_config_static_selectorELNS0_4arch9wavefront6targetE0EEEvT1_.has_dyn_sized_stack, 0
	.set _ZN7rocprim17ROCPRIM_400000_NS6detail17trampoline_kernelINS0_14default_configENS1_27scan_by_key_config_selectorIj11FixedVectorIiLj4EEEEZZNS1_16scan_by_key_implILNS1_25lookback_scan_determinismE0ELb0ES3_N6thrust23THRUST_200600_302600_NS6detail15normal_iteratorINSB_10device_ptrIjEEEENSD_INSE_IS6_EEEESI_S6_NSB_4plusIvEENSB_8equal_toIvEES6_EE10hipError_tPvRmT2_T3_T4_T5_mT6_T7_P12ihipStream_tbENKUlT_T0_E_clISt17integral_constantIbLb1EES13_EEDaSY_SZ_EUlSY_E_NS1_11comp_targetILNS1_3genE10ELNS1_11target_archE1200ELNS1_3gpuE4ELNS1_3repE0EEENS1_30default_config_static_selectorELNS0_4arch9wavefront6targetE0EEEvT1_.has_recursion, 0
	.set _ZN7rocprim17ROCPRIM_400000_NS6detail17trampoline_kernelINS0_14default_configENS1_27scan_by_key_config_selectorIj11FixedVectorIiLj4EEEEZZNS1_16scan_by_key_implILNS1_25lookback_scan_determinismE0ELb0ES3_N6thrust23THRUST_200600_302600_NS6detail15normal_iteratorINSB_10device_ptrIjEEEENSD_INSE_IS6_EEEESI_S6_NSB_4plusIvEENSB_8equal_toIvEES6_EE10hipError_tPvRmT2_T3_T4_T5_mT6_T7_P12ihipStream_tbENKUlT_T0_E_clISt17integral_constantIbLb1EES13_EEDaSY_SZ_EUlSY_E_NS1_11comp_targetILNS1_3genE10ELNS1_11target_archE1200ELNS1_3gpuE4ELNS1_3repE0EEENS1_30default_config_static_selectorELNS0_4arch9wavefront6targetE0EEEvT1_.has_indirect_call, 0
	.section	.AMDGPU.csdata,"",@progbits
; Kernel info:
; codeLenInByte = 0
; TotalNumSgprs: 0
; NumVgprs: 0
; ScratchSize: 0
; MemoryBound: 0
; FloatMode: 240
; IeeeMode: 1
; LDSByteSize: 0 bytes/workgroup (compile time only)
; SGPRBlocks: 0
; VGPRBlocks: 0
; NumSGPRsForWavesPerEU: 1
; NumVGPRsForWavesPerEU: 1
; Occupancy: 16
; WaveLimiterHint : 0
; COMPUTE_PGM_RSRC2:SCRATCH_EN: 0
; COMPUTE_PGM_RSRC2:USER_SGPR: 6
; COMPUTE_PGM_RSRC2:TRAP_HANDLER: 0
; COMPUTE_PGM_RSRC2:TGID_X_EN: 1
; COMPUTE_PGM_RSRC2:TGID_Y_EN: 0
; COMPUTE_PGM_RSRC2:TGID_Z_EN: 0
; COMPUTE_PGM_RSRC2:TIDIG_COMP_CNT: 0
	.section	.text._ZN7rocprim17ROCPRIM_400000_NS6detail17trampoline_kernelINS0_14default_configENS1_27scan_by_key_config_selectorIj11FixedVectorIiLj4EEEEZZNS1_16scan_by_key_implILNS1_25lookback_scan_determinismE0ELb0ES3_N6thrust23THRUST_200600_302600_NS6detail15normal_iteratorINSB_10device_ptrIjEEEENSD_INSE_IS6_EEEESI_S6_NSB_4plusIvEENSB_8equal_toIvEES6_EE10hipError_tPvRmT2_T3_T4_T5_mT6_T7_P12ihipStream_tbENKUlT_T0_E_clISt17integral_constantIbLb1EES13_EEDaSY_SZ_EUlSY_E_NS1_11comp_targetILNS1_3genE9ELNS1_11target_archE1100ELNS1_3gpuE3ELNS1_3repE0EEENS1_30default_config_static_selectorELNS0_4arch9wavefront6targetE0EEEvT1_,"axG",@progbits,_ZN7rocprim17ROCPRIM_400000_NS6detail17trampoline_kernelINS0_14default_configENS1_27scan_by_key_config_selectorIj11FixedVectorIiLj4EEEEZZNS1_16scan_by_key_implILNS1_25lookback_scan_determinismE0ELb0ES3_N6thrust23THRUST_200600_302600_NS6detail15normal_iteratorINSB_10device_ptrIjEEEENSD_INSE_IS6_EEEESI_S6_NSB_4plusIvEENSB_8equal_toIvEES6_EE10hipError_tPvRmT2_T3_T4_T5_mT6_T7_P12ihipStream_tbENKUlT_T0_E_clISt17integral_constantIbLb1EES13_EEDaSY_SZ_EUlSY_E_NS1_11comp_targetILNS1_3genE9ELNS1_11target_archE1100ELNS1_3gpuE3ELNS1_3repE0EEENS1_30default_config_static_selectorELNS0_4arch9wavefront6targetE0EEEvT1_,comdat
	.protected	_ZN7rocprim17ROCPRIM_400000_NS6detail17trampoline_kernelINS0_14default_configENS1_27scan_by_key_config_selectorIj11FixedVectorIiLj4EEEEZZNS1_16scan_by_key_implILNS1_25lookback_scan_determinismE0ELb0ES3_N6thrust23THRUST_200600_302600_NS6detail15normal_iteratorINSB_10device_ptrIjEEEENSD_INSE_IS6_EEEESI_S6_NSB_4plusIvEENSB_8equal_toIvEES6_EE10hipError_tPvRmT2_T3_T4_T5_mT6_T7_P12ihipStream_tbENKUlT_T0_E_clISt17integral_constantIbLb1EES13_EEDaSY_SZ_EUlSY_E_NS1_11comp_targetILNS1_3genE9ELNS1_11target_archE1100ELNS1_3gpuE3ELNS1_3repE0EEENS1_30default_config_static_selectorELNS0_4arch9wavefront6targetE0EEEvT1_ ; -- Begin function _ZN7rocprim17ROCPRIM_400000_NS6detail17trampoline_kernelINS0_14default_configENS1_27scan_by_key_config_selectorIj11FixedVectorIiLj4EEEEZZNS1_16scan_by_key_implILNS1_25lookback_scan_determinismE0ELb0ES3_N6thrust23THRUST_200600_302600_NS6detail15normal_iteratorINSB_10device_ptrIjEEEENSD_INSE_IS6_EEEESI_S6_NSB_4plusIvEENSB_8equal_toIvEES6_EE10hipError_tPvRmT2_T3_T4_T5_mT6_T7_P12ihipStream_tbENKUlT_T0_E_clISt17integral_constantIbLb1EES13_EEDaSY_SZ_EUlSY_E_NS1_11comp_targetILNS1_3genE9ELNS1_11target_archE1100ELNS1_3gpuE3ELNS1_3repE0EEENS1_30default_config_static_selectorELNS0_4arch9wavefront6targetE0EEEvT1_
	.globl	_ZN7rocprim17ROCPRIM_400000_NS6detail17trampoline_kernelINS0_14default_configENS1_27scan_by_key_config_selectorIj11FixedVectorIiLj4EEEEZZNS1_16scan_by_key_implILNS1_25lookback_scan_determinismE0ELb0ES3_N6thrust23THRUST_200600_302600_NS6detail15normal_iteratorINSB_10device_ptrIjEEEENSD_INSE_IS6_EEEESI_S6_NSB_4plusIvEENSB_8equal_toIvEES6_EE10hipError_tPvRmT2_T3_T4_T5_mT6_T7_P12ihipStream_tbENKUlT_T0_E_clISt17integral_constantIbLb1EES13_EEDaSY_SZ_EUlSY_E_NS1_11comp_targetILNS1_3genE9ELNS1_11target_archE1100ELNS1_3gpuE3ELNS1_3repE0EEENS1_30default_config_static_selectorELNS0_4arch9wavefront6targetE0EEEvT1_
	.p2align	8
	.type	_ZN7rocprim17ROCPRIM_400000_NS6detail17trampoline_kernelINS0_14default_configENS1_27scan_by_key_config_selectorIj11FixedVectorIiLj4EEEEZZNS1_16scan_by_key_implILNS1_25lookback_scan_determinismE0ELb0ES3_N6thrust23THRUST_200600_302600_NS6detail15normal_iteratorINSB_10device_ptrIjEEEENSD_INSE_IS6_EEEESI_S6_NSB_4plusIvEENSB_8equal_toIvEES6_EE10hipError_tPvRmT2_T3_T4_T5_mT6_T7_P12ihipStream_tbENKUlT_T0_E_clISt17integral_constantIbLb1EES13_EEDaSY_SZ_EUlSY_E_NS1_11comp_targetILNS1_3genE9ELNS1_11target_archE1100ELNS1_3gpuE3ELNS1_3repE0EEENS1_30default_config_static_selectorELNS0_4arch9wavefront6targetE0EEEvT1_,@function
_ZN7rocprim17ROCPRIM_400000_NS6detail17trampoline_kernelINS0_14default_configENS1_27scan_by_key_config_selectorIj11FixedVectorIiLj4EEEEZZNS1_16scan_by_key_implILNS1_25lookback_scan_determinismE0ELb0ES3_N6thrust23THRUST_200600_302600_NS6detail15normal_iteratorINSB_10device_ptrIjEEEENSD_INSE_IS6_EEEESI_S6_NSB_4plusIvEENSB_8equal_toIvEES6_EE10hipError_tPvRmT2_T3_T4_T5_mT6_T7_P12ihipStream_tbENKUlT_T0_E_clISt17integral_constantIbLb1EES13_EEDaSY_SZ_EUlSY_E_NS1_11comp_targetILNS1_3genE9ELNS1_11target_archE1100ELNS1_3gpuE3ELNS1_3repE0EEENS1_30default_config_static_selectorELNS0_4arch9wavefront6targetE0EEEvT1_: ; @_ZN7rocprim17ROCPRIM_400000_NS6detail17trampoline_kernelINS0_14default_configENS1_27scan_by_key_config_selectorIj11FixedVectorIiLj4EEEEZZNS1_16scan_by_key_implILNS1_25lookback_scan_determinismE0ELb0ES3_N6thrust23THRUST_200600_302600_NS6detail15normal_iteratorINSB_10device_ptrIjEEEENSD_INSE_IS6_EEEESI_S6_NSB_4plusIvEENSB_8equal_toIvEES6_EE10hipError_tPvRmT2_T3_T4_T5_mT6_T7_P12ihipStream_tbENKUlT_T0_E_clISt17integral_constantIbLb1EES13_EEDaSY_SZ_EUlSY_E_NS1_11comp_targetILNS1_3genE9ELNS1_11target_archE1100ELNS1_3gpuE3ELNS1_3repE0EEENS1_30default_config_static_selectorELNS0_4arch9wavefront6targetE0EEEvT1_
; %bb.0:
	.section	.rodata,"a",@progbits
	.p2align	6, 0x0
	.amdhsa_kernel _ZN7rocprim17ROCPRIM_400000_NS6detail17trampoline_kernelINS0_14default_configENS1_27scan_by_key_config_selectorIj11FixedVectorIiLj4EEEEZZNS1_16scan_by_key_implILNS1_25lookback_scan_determinismE0ELb0ES3_N6thrust23THRUST_200600_302600_NS6detail15normal_iteratorINSB_10device_ptrIjEEEENSD_INSE_IS6_EEEESI_S6_NSB_4plusIvEENSB_8equal_toIvEES6_EE10hipError_tPvRmT2_T3_T4_T5_mT6_T7_P12ihipStream_tbENKUlT_T0_E_clISt17integral_constantIbLb1EES13_EEDaSY_SZ_EUlSY_E_NS1_11comp_targetILNS1_3genE9ELNS1_11target_archE1100ELNS1_3gpuE3ELNS1_3repE0EEENS1_30default_config_static_selectorELNS0_4arch9wavefront6targetE0EEEvT1_
		.amdhsa_group_segment_fixed_size 0
		.amdhsa_private_segment_fixed_size 0
		.amdhsa_kernarg_size 144
		.amdhsa_user_sgpr_count 6
		.amdhsa_user_sgpr_private_segment_buffer 1
		.amdhsa_user_sgpr_dispatch_ptr 0
		.amdhsa_user_sgpr_queue_ptr 0
		.amdhsa_user_sgpr_kernarg_segment_ptr 1
		.amdhsa_user_sgpr_dispatch_id 0
		.amdhsa_user_sgpr_flat_scratch_init 0
		.amdhsa_user_sgpr_private_segment_size 0
		.amdhsa_wavefront_size32 1
		.amdhsa_uses_dynamic_stack 0
		.amdhsa_system_sgpr_private_segment_wavefront_offset 0
		.amdhsa_system_sgpr_workgroup_id_x 1
		.amdhsa_system_sgpr_workgroup_id_y 0
		.amdhsa_system_sgpr_workgroup_id_z 0
		.amdhsa_system_sgpr_workgroup_info 0
		.amdhsa_system_vgpr_workitem_id 0
		.amdhsa_next_free_vgpr 1
		.amdhsa_next_free_sgpr 1
		.amdhsa_reserve_vcc 0
		.amdhsa_reserve_flat_scratch 0
		.amdhsa_float_round_mode_32 0
		.amdhsa_float_round_mode_16_64 0
		.amdhsa_float_denorm_mode_32 3
		.amdhsa_float_denorm_mode_16_64 3
		.amdhsa_dx10_clamp 1
		.amdhsa_ieee_mode 1
		.amdhsa_fp16_overflow 0
		.amdhsa_workgroup_processor_mode 1
		.amdhsa_memory_ordered 1
		.amdhsa_forward_progress 1
		.amdhsa_shared_vgpr_count 0
		.amdhsa_exception_fp_ieee_invalid_op 0
		.amdhsa_exception_fp_denorm_src 0
		.amdhsa_exception_fp_ieee_div_zero 0
		.amdhsa_exception_fp_ieee_overflow 0
		.amdhsa_exception_fp_ieee_underflow 0
		.amdhsa_exception_fp_ieee_inexact 0
		.amdhsa_exception_int_div_zero 0
	.end_amdhsa_kernel
	.section	.text._ZN7rocprim17ROCPRIM_400000_NS6detail17trampoline_kernelINS0_14default_configENS1_27scan_by_key_config_selectorIj11FixedVectorIiLj4EEEEZZNS1_16scan_by_key_implILNS1_25lookback_scan_determinismE0ELb0ES3_N6thrust23THRUST_200600_302600_NS6detail15normal_iteratorINSB_10device_ptrIjEEEENSD_INSE_IS6_EEEESI_S6_NSB_4plusIvEENSB_8equal_toIvEES6_EE10hipError_tPvRmT2_T3_T4_T5_mT6_T7_P12ihipStream_tbENKUlT_T0_E_clISt17integral_constantIbLb1EES13_EEDaSY_SZ_EUlSY_E_NS1_11comp_targetILNS1_3genE9ELNS1_11target_archE1100ELNS1_3gpuE3ELNS1_3repE0EEENS1_30default_config_static_selectorELNS0_4arch9wavefront6targetE0EEEvT1_,"axG",@progbits,_ZN7rocprim17ROCPRIM_400000_NS6detail17trampoline_kernelINS0_14default_configENS1_27scan_by_key_config_selectorIj11FixedVectorIiLj4EEEEZZNS1_16scan_by_key_implILNS1_25lookback_scan_determinismE0ELb0ES3_N6thrust23THRUST_200600_302600_NS6detail15normal_iteratorINSB_10device_ptrIjEEEENSD_INSE_IS6_EEEESI_S6_NSB_4plusIvEENSB_8equal_toIvEES6_EE10hipError_tPvRmT2_T3_T4_T5_mT6_T7_P12ihipStream_tbENKUlT_T0_E_clISt17integral_constantIbLb1EES13_EEDaSY_SZ_EUlSY_E_NS1_11comp_targetILNS1_3genE9ELNS1_11target_archE1100ELNS1_3gpuE3ELNS1_3repE0EEENS1_30default_config_static_selectorELNS0_4arch9wavefront6targetE0EEEvT1_,comdat
.Lfunc_end2051:
	.size	_ZN7rocprim17ROCPRIM_400000_NS6detail17trampoline_kernelINS0_14default_configENS1_27scan_by_key_config_selectorIj11FixedVectorIiLj4EEEEZZNS1_16scan_by_key_implILNS1_25lookback_scan_determinismE0ELb0ES3_N6thrust23THRUST_200600_302600_NS6detail15normal_iteratorINSB_10device_ptrIjEEEENSD_INSE_IS6_EEEESI_S6_NSB_4plusIvEENSB_8equal_toIvEES6_EE10hipError_tPvRmT2_T3_T4_T5_mT6_T7_P12ihipStream_tbENKUlT_T0_E_clISt17integral_constantIbLb1EES13_EEDaSY_SZ_EUlSY_E_NS1_11comp_targetILNS1_3genE9ELNS1_11target_archE1100ELNS1_3gpuE3ELNS1_3repE0EEENS1_30default_config_static_selectorELNS0_4arch9wavefront6targetE0EEEvT1_, .Lfunc_end2051-_ZN7rocprim17ROCPRIM_400000_NS6detail17trampoline_kernelINS0_14default_configENS1_27scan_by_key_config_selectorIj11FixedVectorIiLj4EEEEZZNS1_16scan_by_key_implILNS1_25lookback_scan_determinismE0ELb0ES3_N6thrust23THRUST_200600_302600_NS6detail15normal_iteratorINSB_10device_ptrIjEEEENSD_INSE_IS6_EEEESI_S6_NSB_4plusIvEENSB_8equal_toIvEES6_EE10hipError_tPvRmT2_T3_T4_T5_mT6_T7_P12ihipStream_tbENKUlT_T0_E_clISt17integral_constantIbLb1EES13_EEDaSY_SZ_EUlSY_E_NS1_11comp_targetILNS1_3genE9ELNS1_11target_archE1100ELNS1_3gpuE3ELNS1_3repE0EEENS1_30default_config_static_selectorELNS0_4arch9wavefront6targetE0EEEvT1_
                                        ; -- End function
	.set _ZN7rocprim17ROCPRIM_400000_NS6detail17trampoline_kernelINS0_14default_configENS1_27scan_by_key_config_selectorIj11FixedVectorIiLj4EEEEZZNS1_16scan_by_key_implILNS1_25lookback_scan_determinismE0ELb0ES3_N6thrust23THRUST_200600_302600_NS6detail15normal_iteratorINSB_10device_ptrIjEEEENSD_INSE_IS6_EEEESI_S6_NSB_4plusIvEENSB_8equal_toIvEES6_EE10hipError_tPvRmT2_T3_T4_T5_mT6_T7_P12ihipStream_tbENKUlT_T0_E_clISt17integral_constantIbLb1EES13_EEDaSY_SZ_EUlSY_E_NS1_11comp_targetILNS1_3genE9ELNS1_11target_archE1100ELNS1_3gpuE3ELNS1_3repE0EEENS1_30default_config_static_selectorELNS0_4arch9wavefront6targetE0EEEvT1_.num_vgpr, 0
	.set _ZN7rocprim17ROCPRIM_400000_NS6detail17trampoline_kernelINS0_14default_configENS1_27scan_by_key_config_selectorIj11FixedVectorIiLj4EEEEZZNS1_16scan_by_key_implILNS1_25lookback_scan_determinismE0ELb0ES3_N6thrust23THRUST_200600_302600_NS6detail15normal_iteratorINSB_10device_ptrIjEEEENSD_INSE_IS6_EEEESI_S6_NSB_4plusIvEENSB_8equal_toIvEES6_EE10hipError_tPvRmT2_T3_T4_T5_mT6_T7_P12ihipStream_tbENKUlT_T0_E_clISt17integral_constantIbLb1EES13_EEDaSY_SZ_EUlSY_E_NS1_11comp_targetILNS1_3genE9ELNS1_11target_archE1100ELNS1_3gpuE3ELNS1_3repE0EEENS1_30default_config_static_selectorELNS0_4arch9wavefront6targetE0EEEvT1_.num_agpr, 0
	.set _ZN7rocprim17ROCPRIM_400000_NS6detail17trampoline_kernelINS0_14default_configENS1_27scan_by_key_config_selectorIj11FixedVectorIiLj4EEEEZZNS1_16scan_by_key_implILNS1_25lookback_scan_determinismE0ELb0ES3_N6thrust23THRUST_200600_302600_NS6detail15normal_iteratorINSB_10device_ptrIjEEEENSD_INSE_IS6_EEEESI_S6_NSB_4plusIvEENSB_8equal_toIvEES6_EE10hipError_tPvRmT2_T3_T4_T5_mT6_T7_P12ihipStream_tbENKUlT_T0_E_clISt17integral_constantIbLb1EES13_EEDaSY_SZ_EUlSY_E_NS1_11comp_targetILNS1_3genE9ELNS1_11target_archE1100ELNS1_3gpuE3ELNS1_3repE0EEENS1_30default_config_static_selectorELNS0_4arch9wavefront6targetE0EEEvT1_.numbered_sgpr, 0
	.set _ZN7rocprim17ROCPRIM_400000_NS6detail17trampoline_kernelINS0_14default_configENS1_27scan_by_key_config_selectorIj11FixedVectorIiLj4EEEEZZNS1_16scan_by_key_implILNS1_25lookback_scan_determinismE0ELb0ES3_N6thrust23THRUST_200600_302600_NS6detail15normal_iteratorINSB_10device_ptrIjEEEENSD_INSE_IS6_EEEESI_S6_NSB_4plusIvEENSB_8equal_toIvEES6_EE10hipError_tPvRmT2_T3_T4_T5_mT6_T7_P12ihipStream_tbENKUlT_T0_E_clISt17integral_constantIbLb1EES13_EEDaSY_SZ_EUlSY_E_NS1_11comp_targetILNS1_3genE9ELNS1_11target_archE1100ELNS1_3gpuE3ELNS1_3repE0EEENS1_30default_config_static_selectorELNS0_4arch9wavefront6targetE0EEEvT1_.num_named_barrier, 0
	.set _ZN7rocprim17ROCPRIM_400000_NS6detail17trampoline_kernelINS0_14default_configENS1_27scan_by_key_config_selectorIj11FixedVectorIiLj4EEEEZZNS1_16scan_by_key_implILNS1_25lookback_scan_determinismE0ELb0ES3_N6thrust23THRUST_200600_302600_NS6detail15normal_iteratorINSB_10device_ptrIjEEEENSD_INSE_IS6_EEEESI_S6_NSB_4plusIvEENSB_8equal_toIvEES6_EE10hipError_tPvRmT2_T3_T4_T5_mT6_T7_P12ihipStream_tbENKUlT_T0_E_clISt17integral_constantIbLb1EES13_EEDaSY_SZ_EUlSY_E_NS1_11comp_targetILNS1_3genE9ELNS1_11target_archE1100ELNS1_3gpuE3ELNS1_3repE0EEENS1_30default_config_static_selectorELNS0_4arch9wavefront6targetE0EEEvT1_.private_seg_size, 0
	.set _ZN7rocprim17ROCPRIM_400000_NS6detail17trampoline_kernelINS0_14default_configENS1_27scan_by_key_config_selectorIj11FixedVectorIiLj4EEEEZZNS1_16scan_by_key_implILNS1_25lookback_scan_determinismE0ELb0ES3_N6thrust23THRUST_200600_302600_NS6detail15normal_iteratorINSB_10device_ptrIjEEEENSD_INSE_IS6_EEEESI_S6_NSB_4plusIvEENSB_8equal_toIvEES6_EE10hipError_tPvRmT2_T3_T4_T5_mT6_T7_P12ihipStream_tbENKUlT_T0_E_clISt17integral_constantIbLb1EES13_EEDaSY_SZ_EUlSY_E_NS1_11comp_targetILNS1_3genE9ELNS1_11target_archE1100ELNS1_3gpuE3ELNS1_3repE0EEENS1_30default_config_static_selectorELNS0_4arch9wavefront6targetE0EEEvT1_.uses_vcc, 0
	.set _ZN7rocprim17ROCPRIM_400000_NS6detail17trampoline_kernelINS0_14default_configENS1_27scan_by_key_config_selectorIj11FixedVectorIiLj4EEEEZZNS1_16scan_by_key_implILNS1_25lookback_scan_determinismE0ELb0ES3_N6thrust23THRUST_200600_302600_NS6detail15normal_iteratorINSB_10device_ptrIjEEEENSD_INSE_IS6_EEEESI_S6_NSB_4plusIvEENSB_8equal_toIvEES6_EE10hipError_tPvRmT2_T3_T4_T5_mT6_T7_P12ihipStream_tbENKUlT_T0_E_clISt17integral_constantIbLb1EES13_EEDaSY_SZ_EUlSY_E_NS1_11comp_targetILNS1_3genE9ELNS1_11target_archE1100ELNS1_3gpuE3ELNS1_3repE0EEENS1_30default_config_static_selectorELNS0_4arch9wavefront6targetE0EEEvT1_.uses_flat_scratch, 0
	.set _ZN7rocprim17ROCPRIM_400000_NS6detail17trampoline_kernelINS0_14default_configENS1_27scan_by_key_config_selectorIj11FixedVectorIiLj4EEEEZZNS1_16scan_by_key_implILNS1_25lookback_scan_determinismE0ELb0ES3_N6thrust23THRUST_200600_302600_NS6detail15normal_iteratorINSB_10device_ptrIjEEEENSD_INSE_IS6_EEEESI_S6_NSB_4plusIvEENSB_8equal_toIvEES6_EE10hipError_tPvRmT2_T3_T4_T5_mT6_T7_P12ihipStream_tbENKUlT_T0_E_clISt17integral_constantIbLb1EES13_EEDaSY_SZ_EUlSY_E_NS1_11comp_targetILNS1_3genE9ELNS1_11target_archE1100ELNS1_3gpuE3ELNS1_3repE0EEENS1_30default_config_static_selectorELNS0_4arch9wavefront6targetE0EEEvT1_.has_dyn_sized_stack, 0
	.set _ZN7rocprim17ROCPRIM_400000_NS6detail17trampoline_kernelINS0_14default_configENS1_27scan_by_key_config_selectorIj11FixedVectorIiLj4EEEEZZNS1_16scan_by_key_implILNS1_25lookback_scan_determinismE0ELb0ES3_N6thrust23THRUST_200600_302600_NS6detail15normal_iteratorINSB_10device_ptrIjEEEENSD_INSE_IS6_EEEESI_S6_NSB_4plusIvEENSB_8equal_toIvEES6_EE10hipError_tPvRmT2_T3_T4_T5_mT6_T7_P12ihipStream_tbENKUlT_T0_E_clISt17integral_constantIbLb1EES13_EEDaSY_SZ_EUlSY_E_NS1_11comp_targetILNS1_3genE9ELNS1_11target_archE1100ELNS1_3gpuE3ELNS1_3repE0EEENS1_30default_config_static_selectorELNS0_4arch9wavefront6targetE0EEEvT1_.has_recursion, 0
	.set _ZN7rocprim17ROCPRIM_400000_NS6detail17trampoline_kernelINS0_14default_configENS1_27scan_by_key_config_selectorIj11FixedVectorIiLj4EEEEZZNS1_16scan_by_key_implILNS1_25lookback_scan_determinismE0ELb0ES3_N6thrust23THRUST_200600_302600_NS6detail15normal_iteratorINSB_10device_ptrIjEEEENSD_INSE_IS6_EEEESI_S6_NSB_4plusIvEENSB_8equal_toIvEES6_EE10hipError_tPvRmT2_T3_T4_T5_mT6_T7_P12ihipStream_tbENKUlT_T0_E_clISt17integral_constantIbLb1EES13_EEDaSY_SZ_EUlSY_E_NS1_11comp_targetILNS1_3genE9ELNS1_11target_archE1100ELNS1_3gpuE3ELNS1_3repE0EEENS1_30default_config_static_selectorELNS0_4arch9wavefront6targetE0EEEvT1_.has_indirect_call, 0
	.section	.AMDGPU.csdata,"",@progbits
; Kernel info:
; codeLenInByte = 0
; TotalNumSgprs: 0
; NumVgprs: 0
; ScratchSize: 0
; MemoryBound: 0
; FloatMode: 240
; IeeeMode: 1
; LDSByteSize: 0 bytes/workgroup (compile time only)
; SGPRBlocks: 0
; VGPRBlocks: 0
; NumSGPRsForWavesPerEU: 1
; NumVGPRsForWavesPerEU: 1
; Occupancy: 16
; WaveLimiterHint : 0
; COMPUTE_PGM_RSRC2:SCRATCH_EN: 0
; COMPUTE_PGM_RSRC2:USER_SGPR: 6
; COMPUTE_PGM_RSRC2:TRAP_HANDLER: 0
; COMPUTE_PGM_RSRC2:TGID_X_EN: 1
; COMPUTE_PGM_RSRC2:TGID_Y_EN: 0
; COMPUTE_PGM_RSRC2:TGID_Z_EN: 0
; COMPUTE_PGM_RSRC2:TIDIG_COMP_CNT: 0
	.section	.text._ZN7rocprim17ROCPRIM_400000_NS6detail17trampoline_kernelINS0_14default_configENS1_27scan_by_key_config_selectorIj11FixedVectorIiLj4EEEEZZNS1_16scan_by_key_implILNS1_25lookback_scan_determinismE0ELb0ES3_N6thrust23THRUST_200600_302600_NS6detail15normal_iteratorINSB_10device_ptrIjEEEENSD_INSE_IS6_EEEESI_S6_NSB_4plusIvEENSB_8equal_toIvEES6_EE10hipError_tPvRmT2_T3_T4_T5_mT6_T7_P12ihipStream_tbENKUlT_T0_E_clISt17integral_constantIbLb1EES13_EEDaSY_SZ_EUlSY_E_NS1_11comp_targetILNS1_3genE8ELNS1_11target_archE1030ELNS1_3gpuE2ELNS1_3repE0EEENS1_30default_config_static_selectorELNS0_4arch9wavefront6targetE0EEEvT1_,"axG",@progbits,_ZN7rocprim17ROCPRIM_400000_NS6detail17trampoline_kernelINS0_14default_configENS1_27scan_by_key_config_selectorIj11FixedVectorIiLj4EEEEZZNS1_16scan_by_key_implILNS1_25lookback_scan_determinismE0ELb0ES3_N6thrust23THRUST_200600_302600_NS6detail15normal_iteratorINSB_10device_ptrIjEEEENSD_INSE_IS6_EEEESI_S6_NSB_4plusIvEENSB_8equal_toIvEES6_EE10hipError_tPvRmT2_T3_T4_T5_mT6_T7_P12ihipStream_tbENKUlT_T0_E_clISt17integral_constantIbLb1EES13_EEDaSY_SZ_EUlSY_E_NS1_11comp_targetILNS1_3genE8ELNS1_11target_archE1030ELNS1_3gpuE2ELNS1_3repE0EEENS1_30default_config_static_selectorELNS0_4arch9wavefront6targetE0EEEvT1_,comdat
	.protected	_ZN7rocprim17ROCPRIM_400000_NS6detail17trampoline_kernelINS0_14default_configENS1_27scan_by_key_config_selectorIj11FixedVectorIiLj4EEEEZZNS1_16scan_by_key_implILNS1_25lookback_scan_determinismE0ELb0ES3_N6thrust23THRUST_200600_302600_NS6detail15normal_iteratorINSB_10device_ptrIjEEEENSD_INSE_IS6_EEEESI_S6_NSB_4plusIvEENSB_8equal_toIvEES6_EE10hipError_tPvRmT2_T3_T4_T5_mT6_T7_P12ihipStream_tbENKUlT_T0_E_clISt17integral_constantIbLb1EES13_EEDaSY_SZ_EUlSY_E_NS1_11comp_targetILNS1_3genE8ELNS1_11target_archE1030ELNS1_3gpuE2ELNS1_3repE0EEENS1_30default_config_static_selectorELNS0_4arch9wavefront6targetE0EEEvT1_ ; -- Begin function _ZN7rocprim17ROCPRIM_400000_NS6detail17trampoline_kernelINS0_14default_configENS1_27scan_by_key_config_selectorIj11FixedVectorIiLj4EEEEZZNS1_16scan_by_key_implILNS1_25lookback_scan_determinismE0ELb0ES3_N6thrust23THRUST_200600_302600_NS6detail15normal_iteratorINSB_10device_ptrIjEEEENSD_INSE_IS6_EEEESI_S6_NSB_4plusIvEENSB_8equal_toIvEES6_EE10hipError_tPvRmT2_T3_T4_T5_mT6_T7_P12ihipStream_tbENKUlT_T0_E_clISt17integral_constantIbLb1EES13_EEDaSY_SZ_EUlSY_E_NS1_11comp_targetILNS1_3genE8ELNS1_11target_archE1030ELNS1_3gpuE2ELNS1_3repE0EEENS1_30default_config_static_selectorELNS0_4arch9wavefront6targetE0EEEvT1_
	.globl	_ZN7rocprim17ROCPRIM_400000_NS6detail17trampoline_kernelINS0_14default_configENS1_27scan_by_key_config_selectorIj11FixedVectorIiLj4EEEEZZNS1_16scan_by_key_implILNS1_25lookback_scan_determinismE0ELb0ES3_N6thrust23THRUST_200600_302600_NS6detail15normal_iteratorINSB_10device_ptrIjEEEENSD_INSE_IS6_EEEESI_S6_NSB_4plusIvEENSB_8equal_toIvEES6_EE10hipError_tPvRmT2_T3_T4_T5_mT6_T7_P12ihipStream_tbENKUlT_T0_E_clISt17integral_constantIbLb1EES13_EEDaSY_SZ_EUlSY_E_NS1_11comp_targetILNS1_3genE8ELNS1_11target_archE1030ELNS1_3gpuE2ELNS1_3repE0EEENS1_30default_config_static_selectorELNS0_4arch9wavefront6targetE0EEEvT1_
	.p2align	8
	.type	_ZN7rocprim17ROCPRIM_400000_NS6detail17trampoline_kernelINS0_14default_configENS1_27scan_by_key_config_selectorIj11FixedVectorIiLj4EEEEZZNS1_16scan_by_key_implILNS1_25lookback_scan_determinismE0ELb0ES3_N6thrust23THRUST_200600_302600_NS6detail15normal_iteratorINSB_10device_ptrIjEEEENSD_INSE_IS6_EEEESI_S6_NSB_4plusIvEENSB_8equal_toIvEES6_EE10hipError_tPvRmT2_T3_T4_T5_mT6_T7_P12ihipStream_tbENKUlT_T0_E_clISt17integral_constantIbLb1EES13_EEDaSY_SZ_EUlSY_E_NS1_11comp_targetILNS1_3genE8ELNS1_11target_archE1030ELNS1_3gpuE2ELNS1_3repE0EEENS1_30default_config_static_selectorELNS0_4arch9wavefront6targetE0EEEvT1_,@function
_ZN7rocprim17ROCPRIM_400000_NS6detail17trampoline_kernelINS0_14default_configENS1_27scan_by_key_config_selectorIj11FixedVectorIiLj4EEEEZZNS1_16scan_by_key_implILNS1_25lookback_scan_determinismE0ELb0ES3_N6thrust23THRUST_200600_302600_NS6detail15normal_iteratorINSB_10device_ptrIjEEEENSD_INSE_IS6_EEEESI_S6_NSB_4plusIvEENSB_8equal_toIvEES6_EE10hipError_tPvRmT2_T3_T4_T5_mT6_T7_P12ihipStream_tbENKUlT_T0_E_clISt17integral_constantIbLb1EES13_EEDaSY_SZ_EUlSY_E_NS1_11comp_targetILNS1_3genE8ELNS1_11target_archE1030ELNS1_3gpuE2ELNS1_3repE0EEENS1_30default_config_static_selectorELNS0_4arch9wavefront6targetE0EEEvT1_: ; @_ZN7rocprim17ROCPRIM_400000_NS6detail17trampoline_kernelINS0_14default_configENS1_27scan_by_key_config_selectorIj11FixedVectorIiLj4EEEEZZNS1_16scan_by_key_implILNS1_25lookback_scan_determinismE0ELb0ES3_N6thrust23THRUST_200600_302600_NS6detail15normal_iteratorINSB_10device_ptrIjEEEENSD_INSE_IS6_EEEESI_S6_NSB_4plusIvEENSB_8equal_toIvEES6_EE10hipError_tPvRmT2_T3_T4_T5_mT6_T7_P12ihipStream_tbENKUlT_T0_E_clISt17integral_constantIbLb1EES13_EEDaSY_SZ_EUlSY_E_NS1_11comp_targetILNS1_3genE8ELNS1_11target_archE1030ELNS1_3gpuE2ELNS1_3repE0EEENS1_30default_config_static_selectorELNS0_4arch9wavefront6targetE0EEEvT1_
; %bb.0:
	s_endpgm
	.section	.rodata,"a",@progbits
	.p2align	6, 0x0
	.amdhsa_kernel _ZN7rocprim17ROCPRIM_400000_NS6detail17trampoline_kernelINS0_14default_configENS1_27scan_by_key_config_selectorIj11FixedVectorIiLj4EEEEZZNS1_16scan_by_key_implILNS1_25lookback_scan_determinismE0ELb0ES3_N6thrust23THRUST_200600_302600_NS6detail15normal_iteratorINSB_10device_ptrIjEEEENSD_INSE_IS6_EEEESI_S6_NSB_4plusIvEENSB_8equal_toIvEES6_EE10hipError_tPvRmT2_T3_T4_T5_mT6_T7_P12ihipStream_tbENKUlT_T0_E_clISt17integral_constantIbLb1EES13_EEDaSY_SZ_EUlSY_E_NS1_11comp_targetILNS1_3genE8ELNS1_11target_archE1030ELNS1_3gpuE2ELNS1_3repE0EEENS1_30default_config_static_selectorELNS0_4arch9wavefront6targetE0EEEvT1_
		.amdhsa_group_segment_fixed_size 0
		.amdhsa_private_segment_fixed_size 0
		.amdhsa_kernarg_size 144
		.amdhsa_user_sgpr_count 6
		.amdhsa_user_sgpr_private_segment_buffer 1
		.amdhsa_user_sgpr_dispatch_ptr 0
		.amdhsa_user_sgpr_queue_ptr 0
		.amdhsa_user_sgpr_kernarg_segment_ptr 1
		.amdhsa_user_sgpr_dispatch_id 0
		.amdhsa_user_sgpr_flat_scratch_init 0
		.amdhsa_user_sgpr_private_segment_size 0
		.amdhsa_wavefront_size32 1
		.amdhsa_uses_dynamic_stack 0
		.amdhsa_system_sgpr_private_segment_wavefront_offset 0
		.amdhsa_system_sgpr_workgroup_id_x 1
		.amdhsa_system_sgpr_workgroup_id_y 0
		.amdhsa_system_sgpr_workgroup_id_z 0
		.amdhsa_system_sgpr_workgroup_info 0
		.amdhsa_system_vgpr_workitem_id 0
		.amdhsa_next_free_vgpr 1
		.amdhsa_next_free_sgpr 1
		.amdhsa_reserve_vcc 0
		.amdhsa_reserve_flat_scratch 0
		.amdhsa_float_round_mode_32 0
		.amdhsa_float_round_mode_16_64 0
		.amdhsa_float_denorm_mode_32 3
		.amdhsa_float_denorm_mode_16_64 3
		.amdhsa_dx10_clamp 1
		.amdhsa_ieee_mode 1
		.amdhsa_fp16_overflow 0
		.amdhsa_workgroup_processor_mode 1
		.amdhsa_memory_ordered 1
		.amdhsa_forward_progress 1
		.amdhsa_shared_vgpr_count 0
		.amdhsa_exception_fp_ieee_invalid_op 0
		.amdhsa_exception_fp_denorm_src 0
		.amdhsa_exception_fp_ieee_div_zero 0
		.amdhsa_exception_fp_ieee_overflow 0
		.amdhsa_exception_fp_ieee_underflow 0
		.amdhsa_exception_fp_ieee_inexact 0
		.amdhsa_exception_int_div_zero 0
	.end_amdhsa_kernel
	.section	.text._ZN7rocprim17ROCPRIM_400000_NS6detail17trampoline_kernelINS0_14default_configENS1_27scan_by_key_config_selectorIj11FixedVectorIiLj4EEEEZZNS1_16scan_by_key_implILNS1_25lookback_scan_determinismE0ELb0ES3_N6thrust23THRUST_200600_302600_NS6detail15normal_iteratorINSB_10device_ptrIjEEEENSD_INSE_IS6_EEEESI_S6_NSB_4plusIvEENSB_8equal_toIvEES6_EE10hipError_tPvRmT2_T3_T4_T5_mT6_T7_P12ihipStream_tbENKUlT_T0_E_clISt17integral_constantIbLb1EES13_EEDaSY_SZ_EUlSY_E_NS1_11comp_targetILNS1_3genE8ELNS1_11target_archE1030ELNS1_3gpuE2ELNS1_3repE0EEENS1_30default_config_static_selectorELNS0_4arch9wavefront6targetE0EEEvT1_,"axG",@progbits,_ZN7rocprim17ROCPRIM_400000_NS6detail17trampoline_kernelINS0_14default_configENS1_27scan_by_key_config_selectorIj11FixedVectorIiLj4EEEEZZNS1_16scan_by_key_implILNS1_25lookback_scan_determinismE0ELb0ES3_N6thrust23THRUST_200600_302600_NS6detail15normal_iteratorINSB_10device_ptrIjEEEENSD_INSE_IS6_EEEESI_S6_NSB_4plusIvEENSB_8equal_toIvEES6_EE10hipError_tPvRmT2_T3_T4_T5_mT6_T7_P12ihipStream_tbENKUlT_T0_E_clISt17integral_constantIbLb1EES13_EEDaSY_SZ_EUlSY_E_NS1_11comp_targetILNS1_3genE8ELNS1_11target_archE1030ELNS1_3gpuE2ELNS1_3repE0EEENS1_30default_config_static_selectorELNS0_4arch9wavefront6targetE0EEEvT1_,comdat
.Lfunc_end2052:
	.size	_ZN7rocprim17ROCPRIM_400000_NS6detail17trampoline_kernelINS0_14default_configENS1_27scan_by_key_config_selectorIj11FixedVectorIiLj4EEEEZZNS1_16scan_by_key_implILNS1_25lookback_scan_determinismE0ELb0ES3_N6thrust23THRUST_200600_302600_NS6detail15normal_iteratorINSB_10device_ptrIjEEEENSD_INSE_IS6_EEEESI_S6_NSB_4plusIvEENSB_8equal_toIvEES6_EE10hipError_tPvRmT2_T3_T4_T5_mT6_T7_P12ihipStream_tbENKUlT_T0_E_clISt17integral_constantIbLb1EES13_EEDaSY_SZ_EUlSY_E_NS1_11comp_targetILNS1_3genE8ELNS1_11target_archE1030ELNS1_3gpuE2ELNS1_3repE0EEENS1_30default_config_static_selectorELNS0_4arch9wavefront6targetE0EEEvT1_, .Lfunc_end2052-_ZN7rocprim17ROCPRIM_400000_NS6detail17trampoline_kernelINS0_14default_configENS1_27scan_by_key_config_selectorIj11FixedVectorIiLj4EEEEZZNS1_16scan_by_key_implILNS1_25lookback_scan_determinismE0ELb0ES3_N6thrust23THRUST_200600_302600_NS6detail15normal_iteratorINSB_10device_ptrIjEEEENSD_INSE_IS6_EEEESI_S6_NSB_4plusIvEENSB_8equal_toIvEES6_EE10hipError_tPvRmT2_T3_T4_T5_mT6_T7_P12ihipStream_tbENKUlT_T0_E_clISt17integral_constantIbLb1EES13_EEDaSY_SZ_EUlSY_E_NS1_11comp_targetILNS1_3genE8ELNS1_11target_archE1030ELNS1_3gpuE2ELNS1_3repE0EEENS1_30default_config_static_selectorELNS0_4arch9wavefront6targetE0EEEvT1_
                                        ; -- End function
	.set _ZN7rocprim17ROCPRIM_400000_NS6detail17trampoline_kernelINS0_14default_configENS1_27scan_by_key_config_selectorIj11FixedVectorIiLj4EEEEZZNS1_16scan_by_key_implILNS1_25lookback_scan_determinismE0ELb0ES3_N6thrust23THRUST_200600_302600_NS6detail15normal_iteratorINSB_10device_ptrIjEEEENSD_INSE_IS6_EEEESI_S6_NSB_4plusIvEENSB_8equal_toIvEES6_EE10hipError_tPvRmT2_T3_T4_T5_mT6_T7_P12ihipStream_tbENKUlT_T0_E_clISt17integral_constantIbLb1EES13_EEDaSY_SZ_EUlSY_E_NS1_11comp_targetILNS1_3genE8ELNS1_11target_archE1030ELNS1_3gpuE2ELNS1_3repE0EEENS1_30default_config_static_selectorELNS0_4arch9wavefront6targetE0EEEvT1_.num_vgpr, 0
	.set _ZN7rocprim17ROCPRIM_400000_NS6detail17trampoline_kernelINS0_14default_configENS1_27scan_by_key_config_selectorIj11FixedVectorIiLj4EEEEZZNS1_16scan_by_key_implILNS1_25lookback_scan_determinismE0ELb0ES3_N6thrust23THRUST_200600_302600_NS6detail15normal_iteratorINSB_10device_ptrIjEEEENSD_INSE_IS6_EEEESI_S6_NSB_4plusIvEENSB_8equal_toIvEES6_EE10hipError_tPvRmT2_T3_T4_T5_mT6_T7_P12ihipStream_tbENKUlT_T0_E_clISt17integral_constantIbLb1EES13_EEDaSY_SZ_EUlSY_E_NS1_11comp_targetILNS1_3genE8ELNS1_11target_archE1030ELNS1_3gpuE2ELNS1_3repE0EEENS1_30default_config_static_selectorELNS0_4arch9wavefront6targetE0EEEvT1_.num_agpr, 0
	.set _ZN7rocprim17ROCPRIM_400000_NS6detail17trampoline_kernelINS0_14default_configENS1_27scan_by_key_config_selectorIj11FixedVectorIiLj4EEEEZZNS1_16scan_by_key_implILNS1_25lookback_scan_determinismE0ELb0ES3_N6thrust23THRUST_200600_302600_NS6detail15normal_iteratorINSB_10device_ptrIjEEEENSD_INSE_IS6_EEEESI_S6_NSB_4plusIvEENSB_8equal_toIvEES6_EE10hipError_tPvRmT2_T3_T4_T5_mT6_T7_P12ihipStream_tbENKUlT_T0_E_clISt17integral_constantIbLb1EES13_EEDaSY_SZ_EUlSY_E_NS1_11comp_targetILNS1_3genE8ELNS1_11target_archE1030ELNS1_3gpuE2ELNS1_3repE0EEENS1_30default_config_static_selectorELNS0_4arch9wavefront6targetE0EEEvT1_.numbered_sgpr, 0
	.set _ZN7rocprim17ROCPRIM_400000_NS6detail17trampoline_kernelINS0_14default_configENS1_27scan_by_key_config_selectorIj11FixedVectorIiLj4EEEEZZNS1_16scan_by_key_implILNS1_25lookback_scan_determinismE0ELb0ES3_N6thrust23THRUST_200600_302600_NS6detail15normal_iteratorINSB_10device_ptrIjEEEENSD_INSE_IS6_EEEESI_S6_NSB_4plusIvEENSB_8equal_toIvEES6_EE10hipError_tPvRmT2_T3_T4_T5_mT6_T7_P12ihipStream_tbENKUlT_T0_E_clISt17integral_constantIbLb1EES13_EEDaSY_SZ_EUlSY_E_NS1_11comp_targetILNS1_3genE8ELNS1_11target_archE1030ELNS1_3gpuE2ELNS1_3repE0EEENS1_30default_config_static_selectorELNS0_4arch9wavefront6targetE0EEEvT1_.num_named_barrier, 0
	.set _ZN7rocprim17ROCPRIM_400000_NS6detail17trampoline_kernelINS0_14default_configENS1_27scan_by_key_config_selectorIj11FixedVectorIiLj4EEEEZZNS1_16scan_by_key_implILNS1_25lookback_scan_determinismE0ELb0ES3_N6thrust23THRUST_200600_302600_NS6detail15normal_iteratorINSB_10device_ptrIjEEEENSD_INSE_IS6_EEEESI_S6_NSB_4plusIvEENSB_8equal_toIvEES6_EE10hipError_tPvRmT2_T3_T4_T5_mT6_T7_P12ihipStream_tbENKUlT_T0_E_clISt17integral_constantIbLb1EES13_EEDaSY_SZ_EUlSY_E_NS1_11comp_targetILNS1_3genE8ELNS1_11target_archE1030ELNS1_3gpuE2ELNS1_3repE0EEENS1_30default_config_static_selectorELNS0_4arch9wavefront6targetE0EEEvT1_.private_seg_size, 0
	.set _ZN7rocprim17ROCPRIM_400000_NS6detail17trampoline_kernelINS0_14default_configENS1_27scan_by_key_config_selectorIj11FixedVectorIiLj4EEEEZZNS1_16scan_by_key_implILNS1_25lookback_scan_determinismE0ELb0ES3_N6thrust23THRUST_200600_302600_NS6detail15normal_iteratorINSB_10device_ptrIjEEEENSD_INSE_IS6_EEEESI_S6_NSB_4plusIvEENSB_8equal_toIvEES6_EE10hipError_tPvRmT2_T3_T4_T5_mT6_T7_P12ihipStream_tbENKUlT_T0_E_clISt17integral_constantIbLb1EES13_EEDaSY_SZ_EUlSY_E_NS1_11comp_targetILNS1_3genE8ELNS1_11target_archE1030ELNS1_3gpuE2ELNS1_3repE0EEENS1_30default_config_static_selectorELNS0_4arch9wavefront6targetE0EEEvT1_.uses_vcc, 0
	.set _ZN7rocprim17ROCPRIM_400000_NS6detail17trampoline_kernelINS0_14default_configENS1_27scan_by_key_config_selectorIj11FixedVectorIiLj4EEEEZZNS1_16scan_by_key_implILNS1_25lookback_scan_determinismE0ELb0ES3_N6thrust23THRUST_200600_302600_NS6detail15normal_iteratorINSB_10device_ptrIjEEEENSD_INSE_IS6_EEEESI_S6_NSB_4plusIvEENSB_8equal_toIvEES6_EE10hipError_tPvRmT2_T3_T4_T5_mT6_T7_P12ihipStream_tbENKUlT_T0_E_clISt17integral_constantIbLb1EES13_EEDaSY_SZ_EUlSY_E_NS1_11comp_targetILNS1_3genE8ELNS1_11target_archE1030ELNS1_3gpuE2ELNS1_3repE0EEENS1_30default_config_static_selectorELNS0_4arch9wavefront6targetE0EEEvT1_.uses_flat_scratch, 0
	.set _ZN7rocprim17ROCPRIM_400000_NS6detail17trampoline_kernelINS0_14default_configENS1_27scan_by_key_config_selectorIj11FixedVectorIiLj4EEEEZZNS1_16scan_by_key_implILNS1_25lookback_scan_determinismE0ELb0ES3_N6thrust23THRUST_200600_302600_NS6detail15normal_iteratorINSB_10device_ptrIjEEEENSD_INSE_IS6_EEEESI_S6_NSB_4plusIvEENSB_8equal_toIvEES6_EE10hipError_tPvRmT2_T3_T4_T5_mT6_T7_P12ihipStream_tbENKUlT_T0_E_clISt17integral_constantIbLb1EES13_EEDaSY_SZ_EUlSY_E_NS1_11comp_targetILNS1_3genE8ELNS1_11target_archE1030ELNS1_3gpuE2ELNS1_3repE0EEENS1_30default_config_static_selectorELNS0_4arch9wavefront6targetE0EEEvT1_.has_dyn_sized_stack, 0
	.set _ZN7rocprim17ROCPRIM_400000_NS6detail17trampoline_kernelINS0_14default_configENS1_27scan_by_key_config_selectorIj11FixedVectorIiLj4EEEEZZNS1_16scan_by_key_implILNS1_25lookback_scan_determinismE0ELb0ES3_N6thrust23THRUST_200600_302600_NS6detail15normal_iteratorINSB_10device_ptrIjEEEENSD_INSE_IS6_EEEESI_S6_NSB_4plusIvEENSB_8equal_toIvEES6_EE10hipError_tPvRmT2_T3_T4_T5_mT6_T7_P12ihipStream_tbENKUlT_T0_E_clISt17integral_constantIbLb1EES13_EEDaSY_SZ_EUlSY_E_NS1_11comp_targetILNS1_3genE8ELNS1_11target_archE1030ELNS1_3gpuE2ELNS1_3repE0EEENS1_30default_config_static_selectorELNS0_4arch9wavefront6targetE0EEEvT1_.has_recursion, 0
	.set _ZN7rocprim17ROCPRIM_400000_NS6detail17trampoline_kernelINS0_14default_configENS1_27scan_by_key_config_selectorIj11FixedVectorIiLj4EEEEZZNS1_16scan_by_key_implILNS1_25lookback_scan_determinismE0ELb0ES3_N6thrust23THRUST_200600_302600_NS6detail15normal_iteratorINSB_10device_ptrIjEEEENSD_INSE_IS6_EEEESI_S6_NSB_4plusIvEENSB_8equal_toIvEES6_EE10hipError_tPvRmT2_T3_T4_T5_mT6_T7_P12ihipStream_tbENKUlT_T0_E_clISt17integral_constantIbLb1EES13_EEDaSY_SZ_EUlSY_E_NS1_11comp_targetILNS1_3genE8ELNS1_11target_archE1030ELNS1_3gpuE2ELNS1_3repE0EEENS1_30default_config_static_selectorELNS0_4arch9wavefront6targetE0EEEvT1_.has_indirect_call, 0
	.section	.AMDGPU.csdata,"",@progbits
; Kernel info:
; codeLenInByte = 4
; TotalNumSgprs: 0
; NumVgprs: 0
; ScratchSize: 0
; MemoryBound: 0
; FloatMode: 240
; IeeeMode: 1
; LDSByteSize: 0 bytes/workgroup (compile time only)
; SGPRBlocks: 0
; VGPRBlocks: 0
; NumSGPRsForWavesPerEU: 1
; NumVGPRsForWavesPerEU: 1
; Occupancy: 16
; WaveLimiterHint : 0
; COMPUTE_PGM_RSRC2:SCRATCH_EN: 0
; COMPUTE_PGM_RSRC2:USER_SGPR: 6
; COMPUTE_PGM_RSRC2:TRAP_HANDLER: 0
; COMPUTE_PGM_RSRC2:TGID_X_EN: 1
; COMPUTE_PGM_RSRC2:TGID_Y_EN: 0
; COMPUTE_PGM_RSRC2:TGID_Z_EN: 0
; COMPUTE_PGM_RSRC2:TIDIG_COMP_CNT: 0
	.section	.text._ZN7rocprim17ROCPRIM_400000_NS6detail30init_device_scan_by_key_kernelINS1_19lookback_scan_stateINS0_5tupleIJ11FixedVectorIiLj4EEbEEELb1ELb0EEEN6thrust23THRUST_200600_302600_NS6detail15normal_iteratorINSA_10device_ptrIjEEEEjNS1_16block_id_wrapperIjLb0EEEEEvT_jjPNSI_10value_typeET0_PNSt15iterator_traitsISL_E10value_typeEmT1_T2_,"axG",@progbits,_ZN7rocprim17ROCPRIM_400000_NS6detail30init_device_scan_by_key_kernelINS1_19lookback_scan_stateINS0_5tupleIJ11FixedVectorIiLj4EEbEEELb1ELb0EEEN6thrust23THRUST_200600_302600_NS6detail15normal_iteratorINSA_10device_ptrIjEEEEjNS1_16block_id_wrapperIjLb0EEEEEvT_jjPNSI_10value_typeET0_PNSt15iterator_traitsISL_E10value_typeEmT1_T2_,comdat
	.protected	_ZN7rocprim17ROCPRIM_400000_NS6detail30init_device_scan_by_key_kernelINS1_19lookback_scan_stateINS0_5tupleIJ11FixedVectorIiLj4EEbEEELb1ELb0EEEN6thrust23THRUST_200600_302600_NS6detail15normal_iteratorINSA_10device_ptrIjEEEEjNS1_16block_id_wrapperIjLb0EEEEEvT_jjPNSI_10value_typeET0_PNSt15iterator_traitsISL_E10value_typeEmT1_T2_ ; -- Begin function _ZN7rocprim17ROCPRIM_400000_NS6detail30init_device_scan_by_key_kernelINS1_19lookback_scan_stateINS0_5tupleIJ11FixedVectorIiLj4EEbEEELb1ELb0EEEN6thrust23THRUST_200600_302600_NS6detail15normal_iteratorINSA_10device_ptrIjEEEEjNS1_16block_id_wrapperIjLb0EEEEEvT_jjPNSI_10value_typeET0_PNSt15iterator_traitsISL_E10value_typeEmT1_T2_
	.globl	_ZN7rocprim17ROCPRIM_400000_NS6detail30init_device_scan_by_key_kernelINS1_19lookback_scan_stateINS0_5tupleIJ11FixedVectorIiLj4EEbEEELb1ELb0EEEN6thrust23THRUST_200600_302600_NS6detail15normal_iteratorINSA_10device_ptrIjEEEEjNS1_16block_id_wrapperIjLb0EEEEEvT_jjPNSI_10value_typeET0_PNSt15iterator_traitsISL_E10value_typeEmT1_T2_
	.p2align	8
	.type	_ZN7rocprim17ROCPRIM_400000_NS6detail30init_device_scan_by_key_kernelINS1_19lookback_scan_stateINS0_5tupleIJ11FixedVectorIiLj4EEbEEELb1ELb0EEEN6thrust23THRUST_200600_302600_NS6detail15normal_iteratorINSA_10device_ptrIjEEEEjNS1_16block_id_wrapperIjLb0EEEEEvT_jjPNSI_10value_typeET0_PNSt15iterator_traitsISL_E10value_typeEmT1_T2_,@function
_ZN7rocprim17ROCPRIM_400000_NS6detail30init_device_scan_by_key_kernelINS1_19lookback_scan_stateINS0_5tupleIJ11FixedVectorIiLj4EEbEEELb1ELb0EEEN6thrust23THRUST_200600_302600_NS6detail15normal_iteratorINSA_10device_ptrIjEEEEjNS1_16block_id_wrapperIjLb0EEEEEvT_jjPNSI_10value_typeET0_PNSt15iterator_traitsISL_E10value_typeEmT1_T2_: ; @_ZN7rocprim17ROCPRIM_400000_NS6detail30init_device_scan_by_key_kernelINS1_19lookback_scan_stateINS0_5tupleIJ11FixedVectorIiLj4EEbEEELb1ELb0EEEN6thrust23THRUST_200600_302600_NS6detail15normal_iteratorINSA_10device_ptrIjEEEEjNS1_16block_id_wrapperIjLb0EEEEEvT_jjPNSI_10value_typeET0_PNSt15iterator_traitsISL_E10value_typeEmT1_T2_
; %bb.0:
	s_clause 0x2
	s_load_dword s0, s[6:7], 0x54
	s_load_dwordx8 s[12:19], s[6:7], 0x10
	s_load_dword s9, s[6:7], 0x48
	s_waitcnt lgkmcnt(0)
	s_and_b32 s10, s0, 0xffff
	s_cmp_eq_u64 s[16:17], 0
	v_mad_u64_u32 v[3:4], null, s8, s10, v[0:1]
	s_cbranch_scc1 .LBB2053_11
; %bb.1:
	s_cmp_lt_u32 s15, s14
	s_mov_b32 s11, 0
	s_cselect_b32 s0, s15, 0
	s_mov_b32 s8, exec_lo
	v_cmpx_eq_u32_e64 s0, v3
	s_cbranch_execz .LBB2053_10
; %bb.2:
	s_load_dwordx2 s[0:1], s[4:5], 0x4
	s_waitcnt lgkmcnt(0)
	s_lshr_b32 s0, s0, 16
	v_mul_u32_u24_e32 v1, s1, v1
	s_mul_i32 s0, s0, s1
	v_mul_lo_u32 v0, s0, v0
	s_load_dwordx4 s[0:3], s[6:7], 0x0
	v_add3_u32 v0, v0, v1, v2
	v_mov_b32_e32 v1, 0
	v_mul_lo_u32 v0, v0, 20
	ds_write2_b32 v0, v1, v1 offset0:2 offset1:3
	ds_write2_b32 v0, v1, v1 offset1:1
	ds_write_b32 v0, v1 offset:16
.LBB2053_3:                             ; =>This Inner Loop Header: Depth=1
	v_add_nc_u32_e32 v2, s11, v0
	s_add_i32 s11, s11, 4
	s_cmp_lg_u32 s11, 16
	ds_write_b32 v2, v1
	s_cbranch_scc1 .LBB2053_3
; %bb.4:
	s_add_i32 s11, s15, 32
	v_mov_b32_e32 v1, 0
	v_mov_b32_e32 v2, s11
	s_add_u32 s4, s12, s11
	s_addc_u32 s5, s13, 0
	ds_write_b8 v0, v1 offset:16
	global_load_ubyte v2, v2, s[12:13] glc dlc
	s_waitcnt vmcnt(0)
	v_cmp_ne_u32_sdwa s15, v2, v1 src0_sel:WORD_0 src1_sel:DWORD
	v_readfirstlane_b32 s20, v2
	s_and_b32 vcc_lo, exec_lo, s15
	s_cbranch_vccnz .LBB2053_9
; %bb.5:
	s_mov_b32 s15, 1
.LBB2053_6:                             ; =>This Loop Header: Depth=1
                                        ;     Child Loop BB2053_7 Depth 2
	s_mov_b32 s20, s15
.LBB2053_7:                             ;   Parent Loop BB2053_6 Depth=1
                                        ; =>  This Inner Loop Header: Depth=2
	s_add_i32 s20, s20, -1
	s_sleep 1
	s_cmp_eq_u32 s20, 0
	s_cbranch_scc0 .LBB2053_7
; %bb.8:                                ;   in Loop: Header=BB2053_6 Depth=1
	global_load_ubyte v2, v1, s[4:5] glc dlc
	s_cmp_lt_u32 s15, 32
	s_cselect_b32 s20, -1, 0
	s_cmp_lg_u32 s20, 0
	s_addc_u32 s15, s15, 0
	s_waitcnt vmcnt(0)
	v_cmp_ne_u32_sdwa s21, v2, v1 src0_sel:WORD_0 src1_sel:DWORD
	v_readfirstlane_b32 s20, v2
	s_and_b32 vcc_lo, exec_lo, s21
	s_cbranch_vccz .LBB2053_6
.LBB2053_9:
	s_and_b32 s4, 0xffff, s20
	v_mov_b32_e32 v1, 0
	s_cmp_eq_u32 s4, 1
	s_mul_i32 s4, s11, 20
	s_waitcnt lgkmcnt(0)
	s_cselect_b32 s0, s0, s2
	s_cselect_b32 s1, s1, s3
	s_mul_hi_u32 s2, s11, 20
	s_add_u32 s0, s0, s4
	s_addc_u32 s1, s1, s2
	buffer_gl1_inv
	buffer_gl0_inv
	s_clause 0x1
	global_load_dwordx4 v[4:7], v1, s[0:1]
	global_load_ubyte v2, v1, s[0:1] offset:16
	s_waitcnt vmcnt(1)
	ds_write2_b32 v0, v4, v5 offset1:1
	ds_write2_b32 v0, v6, v7 offset0:2 offset1:3
	global_store_dwordx4 v1, v[4:7], s[16:17]
	s_waitcnt vmcnt(0)
	global_store_byte v1, v2, s[16:17] offset:16
.LBB2053_10:
	s_or_b32 exec_lo, exec_lo, s8
.LBB2053_11:
	s_mov_b32 s0, exec_lo
	v_cmpx_gt_u32_e64 s14, v3
	s_cbranch_execz .LBB2053_13
; %bb.12:
	v_add_nc_u32_e32 v0, 32, v3
	v_mov_b32_e32 v1, 0
	global_store_byte v0, v1, s[12:13]
.LBB2053_13:
	s_or_b32 exec_lo, exec_lo, s0
	v_mov_b32_e32 v4, 0
	s_mov_b32 s0, exec_lo
	v_cmpx_gt_u32_e32 32, v3
	s_cbranch_execz .LBB2053_15
; %bb.14:
	v_add_co_u32 v0, s1, s12, v3
	v_add_co_ci_u32_e64 v1, null, s13, 0, s1
	v_mov_b32_e32 v2, 0xff
	global_store_byte v[0:1], v2, off
.LBB2053_15:
	s_or_b32 exec_lo, exec_lo, s0
	s_load_dwordx2 s[2:3], s[6:7], 0x38
	s_mov_b32 s0, exec_lo
	s_waitcnt lgkmcnt(0)
	v_cmpx_gt_u64_e64 s[2:3], v[3:4]
	s_cbranch_execz .LBB2053_18
; %bb.16:
	s_clause 0x1
	s_load_dword s5, s[6:7], 0x40
	s_load_dwordx2 s[6:7], s[6:7], 0x30
	s_mov_b32 s1, 0
	s_mul_i32 s4, s9, s10
	v_lshlrev_b64 v[5:6], 2, v[3:4]
	s_waitcnt lgkmcnt(0)
	v_mad_u64_u32 v[0:1], null, s5, v3, 0
	s_add_i32 s0, s5, -1
	s_mul_hi_u32 s9, s5, s4
	s_lshl_b64 s[10:11], s[0:1], 2
	s_mul_i32 s8, s5, s4
	s_add_u32 s0, s18, s10
	s_addc_u32 s5, s19, s11
	v_lshlrev_b64 v[0:1], 2, v[0:1]
	v_add_co_u32 v0, vcc_lo, s0, v0
	v_add_co_ci_u32_e64 v1, null, s5, v1, vcc_lo
	v_add_co_u32 v5, vcc_lo, s6, v5
	v_add_co_ci_u32_e64 v6, null, s7, v6, vcc_lo
	s_mov_b32 s5, s1
	s_lshl_b64 s[6:7], s[8:9], 2
	s_lshl_b64 s[8:9], s[4:5], 2
	.p2align	6
.LBB2053_17:                            ; =>This Inner Loop Header: Depth=1
	global_load_dword v2, v[0:1], off
	v_add_co_u32 v3, vcc_lo, v3, s4
	v_add_co_ci_u32_e64 v4, null, 0, v4, vcc_lo
	v_add_co_u32 v0, vcc_lo, v0, s6
	v_add_co_ci_u32_e64 v1, null, s7, v1, vcc_lo
	v_cmp_le_u64_e32 vcc_lo, s[2:3], v[3:4]
	s_or_b32 s1, vcc_lo, s1
	s_waitcnt vmcnt(0)
	global_store_dword v[5:6], v2, off
	v_add_co_u32 v5, s0, v5, s8
	v_add_co_ci_u32_e64 v6, null, s9, v6, s0
	s_andn2_b32 exec_lo, exec_lo, s1
	s_cbranch_execnz .LBB2053_17
.LBB2053_18:
	s_endpgm
	.section	.rodata,"a",@progbits
	.p2align	6, 0x0
	.amdhsa_kernel _ZN7rocprim17ROCPRIM_400000_NS6detail30init_device_scan_by_key_kernelINS1_19lookback_scan_stateINS0_5tupleIJ11FixedVectorIiLj4EEbEEELb1ELb0EEEN6thrust23THRUST_200600_302600_NS6detail15normal_iteratorINSA_10device_ptrIjEEEEjNS1_16block_id_wrapperIjLb0EEEEEvT_jjPNSI_10value_typeET0_PNSt15iterator_traitsISL_E10value_typeEmT1_T2_
		.amdhsa_group_segment_fixed_size 5120
		.amdhsa_private_segment_fixed_size 0
		.amdhsa_kernarg_size 328
		.amdhsa_user_sgpr_count 8
		.amdhsa_user_sgpr_private_segment_buffer 1
		.amdhsa_user_sgpr_dispatch_ptr 1
		.amdhsa_user_sgpr_queue_ptr 0
		.amdhsa_user_sgpr_kernarg_segment_ptr 1
		.amdhsa_user_sgpr_dispatch_id 0
		.amdhsa_user_sgpr_flat_scratch_init 0
		.amdhsa_user_sgpr_private_segment_size 0
		.amdhsa_wavefront_size32 1
		.amdhsa_uses_dynamic_stack 0
		.amdhsa_system_sgpr_private_segment_wavefront_offset 0
		.amdhsa_system_sgpr_workgroup_id_x 1
		.amdhsa_system_sgpr_workgroup_id_y 0
		.amdhsa_system_sgpr_workgroup_id_z 0
		.amdhsa_system_sgpr_workgroup_info 0
		.amdhsa_system_vgpr_workitem_id 2
		.amdhsa_next_free_vgpr 8
		.amdhsa_next_free_sgpr 22
		.amdhsa_reserve_vcc 1
		.amdhsa_reserve_flat_scratch 0
		.amdhsa_float_round_mode_32 0
		.amdhsa_float_round_mode_16_64 0
		.amdhsa_float_denorm_mode_32 3
		.amdhsa_float_denorm_mode_16_64 3
		.amdhsa_dx10_clamp 1
		.amdhsa_ieee_mode 1
		.amdhsa_fp16_overflow 0
		.amdhsa_workgroup_processor_mode 1
		.amdhsa_memory_ordered 1
		.amdhsa_forward_progress 1
		.amdhsa_shared_vgpr_count 0
		.amdhsa_exception_fp_ieee_invalid_op 0
		.amdhsa_exception_fp_denorm_src 0
		.amdhsa_exception_fp_ieee_div_zero 0
		.amdhsa_exception_fp_ieee_overflow 0
		.amdhsa_exception_fp_ieee_underflow 0
		.amdhsa_exception_fp_ieee_inexact 0
		.amdhsa_exception_int_div_zero 0
	.end_amdhsa_kernel
	.section	.text._ZN7rocprim17ROCPRIM_400000_NS6detail30init_device_scan_by_key_kernelINS1_19lookback_scan_stateINS0_5tupleIJ11FixedVectorIiLj4EEbEEELb1ELb0EEEN6thrust23THRUST_200600_302600_NS6detail15normal_iteratorINSA_10device_ptrIjEEEEjNS1_16block_id_wrapperIjLb0EEEEEvT_jjPNSI_10value_typeET0_PNSt15iterator_traitsISL_E10value_typeEmT1_T2_,"axG",@progbits,_ZN7rocprim17ROCPRIM_400000_NS6detail30init_device_scan_by_key_kernelINS1_19lookback_scan_stateINS0_5tupleIJ11FixedVectorIiLj4EEbEEELb1ELb0EEEN6thrust23THRUST_200600_302600_NS6detail15normal_iteratorINSA_10device_ptrIjEEEEjNS1_16block_id_wrapperIjLb0EEEEEvT_jjPNSI_10value_typeET0_PNSt15iterator_traitsISL_E10value_typeEmT1_T2_,comdat
.Lfunc_end2053:
	.size	_ZN7rocprim17ROCPRIM_400000_NS6detail30init_device_scan_by_key_kernelINS1_19lookback_scan_stateINS0_5tupleIJ11FixedVectorIiLj4EEbEEELb1ELb0EEEN6thrust23THRUST_200600_302600_NS6detail15normal_iteratorINSA_10device_ptrIjEEEEjNS1_16block_id_wrapperIjLb0EEEEEvT_jjPNSI_10value_typeET0_PNSt15iterator_traitsISL_E10value_typeEmT1_T2_, .Lfunc_end2053-_ZN7rocprim17ROCPRIM_400000_NS6detail30init_device_scan_by_key_kernelINS1_19lookback_scan_stateINS0_5tupleIJ11FixedVectorIiLj4EEbEEELb1ELb0EEEN6thrust23THRUST_200600_302600_NS6detail15normal_iteratorINSA_10device_ptrIjEEEEjNS1_16block_id_wrapperIjLb0EEEEEvT_jjPNSI_10value_typeET0_PNSt15iterator_traitsISL_E10value_typeEmT1_T2_
                                        ; -- End function
	.set _ZN7rocprim17ROCPRIM_400000_NS6detail30init_device_scan_by_key_kernelINS1_19lookback_scan_stateINS0_5tupleIJ11FixedVectorIiLj4EEbEEELb1ELb0EEEN6thrust23THRUST_200600_302600_NS6detail15normal_iteratorINSA_10device_ptrIjEEEEjNS1_16block_id_wrapperIjLb0EEEEEvT_jjPNSI_10value_typeET0_PNSt15iterator_traitsISL_E10value_typeEmT1_T2_.num_vgpr, 8
	.set _ZN7rocprim17ROCPRIM_400000_NS6detail30init_device_scan_by_key_kernelINS1_19lookback_scan_stateINS0_5tupleIJ11FixedVectorIiLj4EEbEEELb1ELb0EEEN6thrust23THRUST_200600_302600_NS6detail15normal_iteratorINSA_10device_ptrIjEEEEjNS1_16block_id_wrapperIjLb0EEEEEvT_jjPNSI_10value_typeET0_PNSt15iterator_traitsISL_E10value_typeEmT1_T2_.num_agpr, 0
	.set _ZN7rocprim17ROCPRIM_400000_NS6detail30init_device_scan_by_key_kernelINS1_19lookback_scan_stateINS0_5tupleIJ11FixedVectorIiLj4EEbEEELb1ELb0EEEN6thrust23THRUST_200600_302600_NS6detail15normal_iteratorINSA_10device_ptrIjEEEEjNS1_16block_id_wrapperIjLb0EEEEEvT_jjPNSI_10value_typeET0_PNSt15iterator_traitsISL_E10value_typeEmT1_T2_.numbered_sgpr, 22
	.set _ZN7rocprim17ROCPRIM_400000_NS6detail30init_device_scan_by_key_kernelINS1_19lookback_scan_stateINS0_5tupleIJ11FixedVectorIiLj4EEbEEELb1ELb0EEEN6thrust23THRUST_200600_302600_NS6detail15normal_iteratorINSA_10device_ptrIjEEEEjNS1_16block_id_wrapperIjLb0EEEEEvT_jjPNSI_10value_typeET0_PNSt15iterator_traitsISL_E10value_typeEmT1_T2_.num_named_barrier, 0
	.set _ZN7rocprim17ROCPRIM_400000_NS6detail30init_device_scan_by_key_kernelINS1_19lookback_scan_stateINS0_5tupleIJ11FixedVectorIiLj4EEbEEELb1ELb0EEEN6thrust23THRUST_200600_302600_NS6detail15normal_iteratorINSA_10device_ptrIjEEEEjNS1_16block_id_wrapperIjLb0EEEEEvT_jjPNSI_10value_typeET0_PNSt15iterator_traitsISL_E10value_typeEmT1_T2_.private_seg_size, 0
	.set _ZN7rocprim17ROCPRIM_400000_NS6detail30init_device_scan_by_key_kernelINS1_19lookback_scan_stateINS0_5tupleIJ11FixedVectorIiLj4EEbEEELb1ELb0EEEN6thrust23THRUST_200600_302600_NS6detail15normal_iteratorINSA_10device_ptrIjEEEEjNS1_16block_id_wrapperIjLb0EEEEEvT_jjPNSI_10value_typeET0_PNSt15iterator_traitsISL_E10value_typeEmT1_T2_.uses_vcc, 1
	.set _ZN7rocprim17ROCPRIM_400000_NS6detail30init_device_scan_by_key_kernelINS1_19lookback_scan_stateINS0_5tupleIJ11FixedVectorIiLj4EEbEEELb1ELb0EEEN6thrust23THRUST_200600_302600_NS6detail15normal_iteratorINSA_10device_ptrIjEEEEjNS1_16block_id_wrapperIjLb0EEEEEvT_jjPNSI_10value_typeET0_PNSt15iterator_traitsISL_E10value_typeEmT1_T2_.uses_flat_scratch, 0
	.set _ZN7rocprim17ROCPRIM_400000_NS6detail30init_device_scan_by_key_kernelINS1_19lookback_scan_stateINS0_5tupleIJ11FixedVectorIiLj4EEbEEELb1ELb0EEEN6thrust23THRUST_200600_302600_NS6detail15normal_iteratorINSA_10device_ptrIjEEEEjNS1_16block_id_wrapperIjLb0EEEEEvT_jjPNSI_10value_typeET0_PNSt15iterator_traitsISL_E10value_typeEmT1_T2_.has_dyn_sized_stack, 0
	.set _ZN7rocprim17ROCPRIM_400000_NS6detail30init_device_scan_by_key_kernelINS1_19lookback_scan_stateINS0_5tupleIJ11FixedVectorIiLj4EEbEEELb1ELb0EEEN6thrust23THRUST_200600_302600_NS6detail15normal_iteratorINSA_10device_ptrIjEEEEjNS1_16block_id_wrapperIjLb0EEEEEvT_jjPNSI_10value_typeET0_PNSt15iterator_traitsISL_E10value_typeEmT1_T2_.has_recursion, 0
	.set _ZN7rocprim17ROCPRIM_400000_NS6detail30init_device_scan_by_key_kernelINS1_19lookback_scan_stateINS0_5tupleIJ11FixedVectorIiLj4EEbEEELb1ELb0EEEN6thrust23THRUST_200600_302600_NS6detail15normal_iteratorINSA_10device_ptrIjEEEEjNS1_16block_id_wrapperIjLb0EEEEEvT_jjPNSI_10value_typeET0_PNSt15iterator_traitsISL_E10value_typeEmT1_T2_.has_indirect_call, 0
	.section	.AMDGPU.csdata,"",@progbits
; Kernel info:
; codeLenInByte = 792
; TotalNumSgprs: 24
; NumVgprs: 8
; ScratchSize: 0
; MemoryBound: 0
; FloatMode: 240
; IeeeMode: 1
; LDSByteSize: 5120 bytes/workgroup (compile time only)
; SGPRBlocks: 0
; VGPRBlocks: 0
; NumSGPRsForWavesPerEU: 24
; NumVGPRsForWavesPerEU: 8
; Occupancy: 16
; WaveLimiterHint : 0
; COMPUTE_PGM_RSRC2:SCRATCH_EN: 0
; COMPUTE_PGM_RSRC2:USER_SGPR: 8
; COMPUTE_PGM_RSRC2:TRAP_HANDLER: 0
; COMPUTE_PGM_RSRC2:TGID_X_EN: 1
; COMPUTE_PGM_RSRC2:TGID_Y_EN: 0
; COMPUTE_PGM_RSRC2:TGID_Z_EN: 0
; COMPUTE_PGM_RSRC2:TIDIG_COMP_CNT: 2
	.section	.text._ZN7rocprim17ROCPRIM_400000_NS6detail30init_device_scan_by_key_kernelINS1_19lookback_scan_stateINS0_5tupleIJ11FixedVectorIiLj4EEbEEELb1ELb0EEENS1_16block_id_wrapperIjLb0EEEEEvT_jjPNSB_10value_typeET0_,"axG",@progbits,_ZN7rocprim17ROCPRIM_400000_NS6detail30init_device_scan_by_key_kernelINS1_19lookback_scan_stateINS0_5tupleIJ11FixedVectorIiLj4EEbEEELb1ELb0EEENS1_16block_id_wrapperIjLb0EEEEEvT_jjPNSB_10value_typeET0_,comdat
	.protected	_ZN7rocprim17ROCPRIM_400000_NS6detail30init_device_scan_by_key_kernelINS1_19lookback_scan_stateINS0_5tupleIJ11FixedVectorIiLj4EEbEEELb1ELb0EEENS1_16block_id_wrapperIjLb0EEEEEvT_jjPNSB_10value_typeET0_ ; -- Begin function _ZN7rocprim17ROCPRIM_400000_NS6detail30init_device_scan_by_key_kernelINS1_19lookback_scan_stateINS0_5tupleIJ11FixedVectorIiLj4EEbEEELb1ELb0EEENS1_16block_id_wrapperIjLb0EEEEEvT_jjPNSB_10value_typeET0_
	.globl	_ZN7rocprim17ROCPRIM_400000_NS6detail30init_device_scan_by_key_kernelINS1_19lookback_scan_stateINS0_5tupleIJ11FixedVectorIiLj4EEbEEELb1ELb0EEENS1_16block_id_wrapperIjLb0EEEEEvT_jjPNSB_10value_typeET0_
	.p2align	8
	.type	_ZN7rocprim17ROCPRIM_400000_NS6detail30init_device_scan_by_key_kernelINS1_19lookback_scan_stateINS0_5tupleIJ11FixedVectorIiLj4EEbEEELb1ELb0EEENS1_16block_id_wrapperIjLb0EEEEEvT_jjPNSB_10value_typeET0_,@function
_ZN7rocprim17ROCPRIM_400000_NS6detail30init_device_scan_by_key_kernelINS1_19lookback_scan_stateINS0_5tupleIJ11FixedVectorIiLj4EEbEEELb1ELb0EEENS1_16block_id_wrapperIjLb0EEEEEvT_jjPNSB_10value_typeET0_: ; @_ZN7rocprim17ROCPRIM_400000_NS6detail30init_device_scan_by_key_kernelINS1_19lookback_scan_stateINS0_5tupleIJ11FixedVectorIiLj4EEbEEELb1ELb0EEENS1_16block_id_wrapperIjLb0EEEEEvT_jjPNSB_10value_typeET0_
; %bb.0:
	s_clause 0x2
	s_load_dword s9, s[6:7], 0x3c
	s_load_dwordx2 s[10:11], s[6:7], 0x20
	s_load_dwordx4 s[0:3], s[6:7], 0x10
	s_waitcnt lgkmcnt(0)
	s_and_b32 s9, s9, 0xffff
	s_cmp_eq_u64 s[10:11], 0
	v_mad_u64_u32 v[3:4], null, s8, s9, v[0:1]
	s_cbranch_scc1 .LBB2054_11
; %bb.1:
	s_cmp_lt_u32 s3, s2
	s_cselect_b32 s8, s3, 0
	v_cmp_eq_u32_e32 vcc_lo, s8, v3
	s_mov_b32 s8, 0
	s_and_saveexec_b32 s12, vcc_lo
	s_cbranch_execz .LBB2054_10
; %bb.2:
	s_load_dwordx2 s[4:5], s[4:5], 0x4
	s_waitcnt lgkmcnt(0)
	s_lshr_b32 s4, s4, 16
	v_mul_u32_u24_e32 v1, s5, v1
	s_mul_i32 s4, s4, s5
	v_mul_lo_u32 v0, s4, v0
	s_load_dwordx4 s[4:7], s[6:7], 0x0
	v_add3_u32 v0, v0, v1, v2
	v_mov_b32_e32 v1, 0
	v_mul_lo_u32 v0, v0, 20
	ds_write2_b32 v0, v1, v1 offset0:2 offset1:3
	ds_write2_b32 v0, v1, v1 offset1:1
	ds_write_b32 v0, v1 offset:16
.LBB2054_3:                             ; =>This Inner Loop Header: Depth=1
	v_add_nc_u32_e32 v2, s8, v0
	s_add_i32 s8, s8, 4
	s_cmp_lg_u32 s8, 16
	ds_write_b32 v2, v1
	s_cbranch_scc1 .LBB2054_3
; %bb.4:
	s_add_i32 s3, s3, 32
	v_mov_b32_e32 v1, 0
	v_mov_b32_e32 v2, s3
	s_add_u32 s8, s0, s3
	s_addc_u32 s9, s1, 0
	ds_write_b8 v0, v1 offset:16
	global_load_ubyte v2, v2, s[0:1] glc dlc
	s_waitcnt vmcnt(0)
	v_cmp_ne_u32_sdwa s13, v2, v1 src0_sel:WORD_0 src1_sel:DWORD
	v_readfirstlane_b32 s14, v2
	s_and_b32 vcc_lo, exec_lo, s13
	s_cbranch_vccnz .LBB2054_9
; %bb.5:
	s_mov_b32 s13, 1
.LBB2054_6:                             ; =>This Loop Header: Depth=1
                                        ;     Child Loop BB2054_7 Depth 2
	s_mov_b32 s14, s13
.LBB2054_7:                             ;   Parent Loop BB2054_6 Depth=1
                                        ; =>  This Inner Loop Header: Depth=2
	s_add_i32 s14, s14, -1
	s_sleep 1
	s_cmp_eq_u32 s14, 0
	s_cbranch_scc0 .LBB2054_7
; %bb.8:                                ;   in Loop: Header=BB2054_6 Depth=1
	global_load_ubyte v2, v1, s[8:9] glc dlc
	s_cmp_lt_u32 s13, 32
	s_cselect_b32 s14, -1, 0
	s_cmp_lg_u32 s14, 0
	s_addc_u32 s13, s13, 0
	s_waitcnt vmcnt(0)
	v_cmp_ne_u32_sdwa s15, v2, v1 src0_sel:WORD_0 src1_sel:DWORD
	v_readfirstlane_b32 s14, v2
	s_and_b32 vcc_lo, exec_lo, s15
	s_cbranch_vccz .LBB2054_6
.LBB2054_9:
	s_and_b32 s8, 0xffff, s14
	v_mov_b32_e32 v1, 0
	s_cmp_eq_u32 s8, 1
	s_mul_i32 s8, s3, 20
	s_waitcnt lgkmcnt(0)
	s_cselect_b32 s4, s4, s6
	s_cselect_b32 s5, s5, s7
	s_mul_hi_u32 s3, s3, 20
	s_add_u32 s4, s4, s8
	s_addc_u32 s5, s5, s3
	buffer_gl1_inv
	buffer_gl0_inv
	s_clause 0x1
	global_load_dwordx4 v[4:7], v1, s[4:5]
	global_load_ubyte v2, v1, s[4:5] offset:16
	s_waitcnt vmcnt(1)
	ds_write2_b32 v0, v4, v5 offset1:1
	ds_write2_b32 v0, v6, v7 offset0:2 offset1:3
	global_store_dwordx4 v1, v[4:7], s[10:11]
	s_waitcnt vmcnt(0)
	global_store_byte v1, v2, s[10:11] offset:16
.LBB2054_10:
	s_or_b32 exec_lo, exec_lo, s12
.LBB2054_11:
	v_cmp_gt_u32_e32 vcc_lo, s2, v3
	s_and_saveexec_b32 s2, vcc_lo
	s_cbranch_execz .LBB2054_13
; %bb.12:
	v_add_nc_u32_e32 v0, 32, v3
	v_mov_b32_e32 v1, 0
	global_store_byte v0, v1, s[0:1]
.LBB2054_13:
	s_or_b32 exec_lo, exec_lo, s2
	s_mov_b32 s2, exec_lo
	v_cmpx_gt_u32_e32 32, v3
	s_cbranch_execz .LBB2054_15
; %bb.14:
	v_mov_b32_e32 v0, 0xff
	global_store_byte v3, v0, s[0:1]
.LBB2054_15:
	s_endpgm
	.section	.rodata,"a",@progbits
	.p2align	6, 0x0
	.amdhsa_kernel _ZN7rocprim17ROCPRIM_400000_NS6detail30init_device_scan_by_key_kernelINS1_19lookback_scan_stateINS0_5tupleIJ11FixedVectorIiLj4EEbEEELb1ELb0EEENS1_16block_id_wrapperIjLb0EEEEEvT_jjPNSB_10value_typeET0_
		.amdhsa_group_segment_fixed_size 5120
		.amdhsa_private_segment_fixed_size 0
		.amdhsa_kernarg_size 304
		.amdhsa_user_sgpr_count 8
		.amdhsa_user_sgpr_private_segment_buffer 1
		.amdhsa_user_sgpr_dispatch_ptr 1
		.amdhsa_user_sgpr_queue_ptr 0
		.amdhsa_user_sgpr_kernarg_segment_ptr 1
		.amdhsa_user_sgpr_dispatch_id 0
		.amdhsa_user_sgpr_flat_scratch_init 0
		.amdhsa_user_sgpr_private_segment_size 0
		.amdhsa_wavefront_size32 1
		.amdhsa_uses_dynamic_stack 0
		.amdhsa_system_sgpr_private_segment_wavefront_offset 0
		.amdhsa_system_sgpr_workgroup_id_x 1
		.amdhsa_system_sgpr_workgroup_id_y 0
		.amdhsa_system_sgpr_workgroup_id_z 0
		.amdhsa_system_sgpr_workgroup_info 0
		.amdhsa_system_vgpr_workitem_id 2
		.amdhsa_next_free_vgpr 8
		.amdhsa_next_free_sgpr 16
		.amdhsa_reserve_vcc 1
		.amdhsa_reserve_flat_scratch 0
		.amdhsa_float_round_mode_32 0
		.amdhsa_float_round_mode_16_64 0
		.amdhsa_float_denorm_mode_32 3
		.amdhsa_float_denorm_mode_16_64 3
		.amdhsa_dx10_clamp 1
		.amdhsa_ieee_mode 1
		.amdhsa_fp16_overflow 0
		.amdhsa_workgroup_processor_mode 1
		.amdhsa_memory_ordered 1
		.amdhsa_forward_progress 1
		.amdhsa_shared_vgpr_count 0
		.amdhsa_exception_fp_ieee_invalid_op 0
		.amdhsa_exception_fp_denorm_src 0
		.amdhsa_exception_fp_ieee_div_zero 0
		.amdhsa_exception_fp_ieee_overflow 0
		.amdhsa_exception_fp_ieee_underflow 0
		.amdhsa_exception_fp_ieee_inexact 0
		.amdhsa_exception_int_div_zero 0
	.end_amdhsa_kernel
	.section	.text._ZN7rocprim17ROCPRIM_400000_NS6detail30init_device_scan_by_key_kernelINS1_19lookback_scan_stateINS0_5tupleIJ11FixedVectorIiLj4EEbEEELb1ELb0EEENS1_16block_id_wrapperIjLb0EEEEEvT_jjPNSB_10value_typeET0_,"axG",@progbits,_ZN7rocprim17ROCPRIM_400000_NS6detail30init_device_scan_by_key_kernelINS1_19lookback_scan_stateINS0_5tupleIJ11FixedVectorIiLj4EEbEEELb1ELb0EEENS1_16block_id_wrapperIjLb0EEEEEvT_jjPNSB_10value_typeET0_,comdat
.Lfunc_end2054:
	.size	_ZN7rocprim17ROCPRIM_400000_NS6detail30init_device_scan_by_key_kernelINS1_19lookback_scan_stateINS0_5tupleIJ11FixedVectorIiLj4EEbEEELb1ELb0EEENS1_16block_id_wrapperIjLb0EEEEEvT_jjPNSB_10value_typeET0_, .Lfunc_end2054-_ZN7rocprim17ROCPRIM_400000_NS6detail30init_device_scan_by_key_kernelINS1_19lookback_scan_stateINS0_5tupleIJ11FixedVectorIiLj4EEbEEELb1ELb0EEENS1_16block_id_wrapperIjLb0EEEEEvT_jjPNSB_10value_typeET0_
                                        ; -- End function
	.set _ZN7rocprim17ROCPRIM_400000_NS6detail30init_device_scan_by_key_kernelINS1_19lookback_scan_stateINS0_5tupleIJ11FixedVectorIiLj4EEbEEELb1ELb0EEENS1_16block_id_wrapperIjLb0EEEEEvT_jjPNSB_10value_typeET0_.num_vgpr, 8
	.set _ZN7rocprim17ROCPRIM_400000_NS6detail30init_device_scan_by_key_kernelINS1_19lookback_scan_stateINS0_5tupleIJ11FixedVectorIiLj4EEbEEELb1ELb0EEENS1_16block_id_wrapperIjLb0EEEEEvT_jjPNSB_10value_typeET0_.num_agpr, 0
	.set _ZN7rocprim17ROCPRIM_400000_NS6detail30init_device_scan_by_key_kernelINS1_19lookback_scan_stateINS0_5tupleIJ11FixedVectorIiLj4EEbEEELb1ELb0EEENS1_16block_id_wrapperIjLb0EEEEEvT_jjPNSB_10value_typeET0_.numbered_sgpr, 16
	.set _ZN7rocprim17ROCPRIM_400000_NS6detail30init_device_scan_by_key_kernelINS1_19lookback_scan_stateINS0_5tupleIJ11FixedVectorIiLj4EEbEEELb1ELb0EEENS1_16block_id_wrapperIjLb0EEEEEvT_jjPNSB_10value_typeET0_.num_named_barrier, 0
	.set _ZN7rocprim17ROCPRIM_400000_NS6detail30init_device_scan_by_key_kernelINS1_19lookback_scan_stateINS0_5tupleIJ11FixedVectorIiLj4EEbEEELb1ELb0EEENS1_16block_id_wrapperIjLb0EEEEEvT_jjPNSB_10value_typeET0_.private_seg_size, 0
	.set _ZN7rocprim17ROCPRIM_400000_NS6detail30init_device_scan_by_key_kernelINS1_19lookback_scan_stateINS0_5tupleIJ11FixedVectorIiLj4EEbEEELb1ELb0EEENS1_16block_id_wrapperIjLb0EEEEEvT_jjPNSB_10value_typeET0_.uses_vcc, 1
	.set _ZN7rocprim17ROCPRIM_400000_NS6detail30init_device_scan_by_key_kernelINS1_19lookback_scan_stateINS0_5tupleIJ11FixedVectorIiLj4EEbEEELb1ELb0EEENS1_16block_id_wrapperIjLb0EEEEEvT_jjPNSB_10value_typeET0_.uses_flat_scratch, 0
	.set _ZN7rocprim17ROCPRIM_400000_NS6detail30init_device_scan_by_key_kernelINS1_19lookback_scan_stateINS0_5tupleIJ11FixedVectorIiLj4EEbEEELb1ELb0EEENS1_16block_id_wrapperIjLb0EEEEEvT_jjPNSB_10value_typeET0_.has_dyn_sized_stack, 0
	.set _ZN7rocprim17ROCPRIM_400000_NS6detail30init_device_scan_by_key_kernelINS1_19lookback_scan_stateINS0_5tupleIJ11FixedVectorIiLj4EEbEEELb1ELb0EEENS1_16block_id_wrapperIjLb0EEEEEvT_jjPNSB_10value_typeET0_.has_recursion, 0
	.set _ZN7rocprim17ROCPRIM_400000_NS6detail30init_device_scan_by_key_kernelINS1_19lookback_scan_stateINS0_5tupleIJ11FixedVectorIiLj4EEbEEELb1ELb0EEENS1_16block_id_wrapperIjLb0EEEEEvT_jjPNSB_10value_typeET0_.has_indirect_call, 0
	.section	.AMDGPU.csdata,"",@progbits
; Kernel info:
; codeLenInByte = 508
; TotalNumSgprs: 18
; NumVgprs: 8
; ScratchSize: 0
; MemoryBound: 0
; FloatMode: 240
; IeeeMode: 1
; LDSByteSize: 5120 bytes/workgroup (compile time only)
; SGPRBlocks: 0
; VGPRBlocks: 0
; NumSGPRsForWavesPerEU: 18
; NumVGPRsForWavesPerEU: 8
; Occupancy: 16
; WaveLimiterHint : 0
; COMPUTE_PGM_RSRC2:SCRATCH_EN: 0
; COMPUTE_PGM_RSRC2:USER_SGPR: 8
; COMPUTE_PGM_RSRC2:TRAP_HANDLER: 0
; COMPUTE_PGM_RSRC2:TGID_X_EN: 1
; COMPUTE_PGM_RSRC2:TGID_Y_EN: 0
; COMPUTE_PGM_RSRC2:TGID_Z_EN: 0
; COMPUTE_PGM_RSRC2:TIDIG_COMP_CNT: 2
	.section	.text._ZN7rocprim17ROCPRIM_400000_NS6detail17trampoline_kernelINS0_14default_configENS1_27scan_by_key_config_selectorIj11FixedVectorIiLj4EEEEZZNS1_16scan_by_key_implILNS1_25lookback_scan_determinismE0ELb0ES3_N6thrust23THRUST_200600_302600_NS6detail15normal_iteratorINSB_10device_ptrIjEEEENSD_INSE_IS6_EEEESI_S6_NSB_4plusIvEENSB_8equal_toIvEES6_EE10hipError_tPvRmT2_T3_T4_T5_mT6_T7_P12ihipStream_tbENKUlT_T0_E_clISt17integral_constantIbLb1EES12_IbLb0EEEEDaSY_SZ_EUlSY_E_NS1_11comp_targetILNS1_3genE0ELNS1_11target_archE4294967295ELNS1_3gpuE0ELNS1_3repE0EEENS1_30default_config_static_selectorELNS0_4arch9wavefront6targetE0EEEvT1_,"axG",@progbits,_ZN7rocprim17ROCPRIM_400000_NS6detail17trampoline_kernelINS0_14default_configENS1_27scan_by_key_config_selectorIj11FixedVectorIiLj4EEEEZZNS1_16scan_by_key_implILNS1_25lookback_scan_determinismE0ELb0ES3_N6thrust23THRUST_200600_302600_NS6detail15normal_iteratorINSB_10device_ptrIjEEEENSD_INSE_IS6_EEEESI_S6_NSB_4plusIvEENSB_8equal_toIvEES6_EE10hipError_tPvRmT2_T3_T4_T5_mT6_T7_P12ihipStream_tbENKUlT_T0_E_clISt17integral_constantIbLb1EES12_IbLb0EEEEDaSY_SZ_EUlSY_E_NS1_11comp_targetILNS1_3genE0ELNS1_11target_archE4294967295ELNS1_3gpuE0ELNS1_3repE0EEENS1_30default_config_static_selectorELNS0_4arch9wavefront6targetE0EEEvT1_,comdat
	.protected	_ZN7rocprim17ROCPRIM_400000_NS6detail17trampoline_kernelINS0_14default_configENS1_27scan_by_key_config_selectorIj11FixedVectorIiLj4EEEEZZNS1_16scan_by_key_implILNS1_25lookback_scan_determinismE0ELb0ES3_N6thrust23THRUST_200600_302600_NS6detail15normal_iteratorINSB_10device_ptrIjEEEENSD_INSE_IS6_EEEESI_S6_NSB_4plusIvEENSB_8equal_toIvEES6_EE10hipError_tPvRmT2_T3_T4_T5_mT6_T7_P12ihipStream_tbENKUlT_T0_E_clISt17integral_constantIbLb1EES12_IbLb0EEEEDaSY_SZ_EUlSY_E_NS1_11comp_targetILNS1_3genE0ELNS1_11target_archE4294967295ELNS1_3gpuE0ELNS1_3repE0EEENS1_30default_config_static_selectorELNS0_4arch9wavefront6targetE0EEEvT1_ ; -- Begin function _ZN7rocprim17ROCPRIM_400000_NS6detail17trampoline_kernelINS0_14default_configENS1_27scan_by_key_config_selectorIj11FixedVectorIiLj4EEEEZZNS1_16scan_by_key_implILNS1_25lookback_scan_determinismE0ELb0ES3_N6thrust23THRUST_200600_302600_NS6detail15normal_iteratorINSB_10device_ptrIjEEEENSD_INSE_IS6_EEEESI_S6_NSB_4plusIvEENSB_8equal_toIvEES6_EE10hipError_tPvRmT2_T3_T4_T5_mT6_T7_P12ihipStream_tbENKUlT_T0_E_clISt17integral_constantIbLb1EES12_IbLb0EEEEDaSY_SZ_EUlSY_E_NS1_11comp_targetILNS1_3genE0ELNS1_11target_archE4294967295ELNS1_3gpuE0ELNS1_3repE0EEENS1_30default_config_static_selectorELNS0_4arch9wavefront6targetE0EEEvT1_
	.globl	_ZN7rocprim17ROCPRIM_400000_NS6detail17trampoline_kernelINS0_14default_configENS1_27scan_by_key_config_selectorIj11FixedVectorIiLj4EEEEZZNS1_16scan_by_key_implILNS1_25lookback_scan_determinismE0ELb0ES3_N6thrust23THRUST_200600_302600_NS6detail15normal_iteratorINSB_10device_ptrIjEEEENSD_INSE_IS6_EEEESI_S6_NSB_4plusIvEENSB_8equal_toIvEES6_EE10hipError_tPvRmT2_T3_T4_T5_mT6_T7_P12ihipStream_tbENKUlT_T0_E_clISt17integral_constantIbLb1EES12_IbLb0EEEEDaSY_SZ_EUlSY_E_NS1_11comp_targetILNS1_3genE0ELNS1_11target_archE4294967295ELNS1_3gpuE0ELNS1_3repE0EEENS1_30default_config_static_selectorELNS0_4arch9wavefront6targetE0EEEvT1_
	.p2align	8
	.type	_ZN7rocprim17ROCPRIM_400000_NS6detail17trampoline_kernelINS0_14default_configENS1_27scan_by_key_config_selectorIj11FixedVectorIiLj4EEEEZZNS1_16scan_by_key_implILNS1_25lookback_scan_determinismE0ELb0ES3_N6thrust23THRUST_200600_302600_NS6detail15normal_iteratorINSB_10device_ptrIjEEEENSD_INSE_IS6_EEEESI_S6_NSB_4plusIvEENSB_8equal_toIvEES6_EE10hipError_tPvRmT2_T3_T4_T5_mT6_T7_P12ihipStream_tbENKUlT_T0_E_clISt17integral_constantIbLb1EES12_IbLb0EEEEDaSY_SZ_EUlSY_E_NS1_11comp_targetILNS1_3genE0ELNS1_11target_archE4294967295ELNS1_3gpuE0ELNS1_3repE0EEENS1_30default_config_static_selectorELNS0_4arch9wavefront6targetE0EEEvT1_,@function
_ZN7rocprim17ROCPRIM_400000_NS6detail17trampoline_kernelINS0_14default_configENS1_27scan_by_key_config_selectorIj11FixedVectorIiLj4EEEEZZNS1_16scan_by_key_implILNS1_25lookback_scan_determinismE0ELb0ES3_N6thrust23THRUST_200600_302600_NS6detail15normal_iteratorINSB_10device_ptrIjEEEENSD_INSE_IS6_EEEESI_S6_NSB_4plusIvEENSB_8equal_toIvEES6_EE10hipError_tPvRmT2_T3_T4_T5_mT6_T7_P12ihipStream_tbENKUlT_T0_E_clISt17integral_constantIbLb1EES12_IbLb0EEEEDaSY_SZ_EUlSY_E_NS1_11comp_targetILNS1_3genE0ELNS1_11target_archE4294967295ELNS1_3gpuE0ELNS1_3repE0EEENS1_30default_config_static_selectorELNS0_4arch9wavefront6targetE0EEEvT1_: ; @_ZN7rocprim17ROCPRIM_400000_NS6detail17trampoline_kernelINS0_14default_configENS1_27scan_by_key_config_selectorIj11FixedVectorIiLj4EEEEZZNS1_16scan_by_key_implILNS1_25lookback_scan_determinismE0ELb0ES3_N6thrust23THRUST_200600_302600_NS6detail15normal_iteratorINSB_10device_ptrIjEEEENSD_INSE_IS6_EEEESI_S6_NSB_4plusIvEENSB_8equal_toIvEES6_EE10hipError_tPvRmT2_T3_T4_T5_mT6_T7_P12ihipStream_tbENKUlT_T0_E_clISt17integral_constantIbLb1EES12_IbLb0EEEEDaSY_SZ_EUlSY_E_NS1_11comp_targetILNS1_3genE0ELNS1_11target_archE4294967295ELNS1_3gpuE0ELNS1_3repE0EEENS1_30default_config_static_selectorELNS0_4arch9wavefront6targetE0EEEvT1_
; %bb.0:
	.section	.rodata,"a",@progbits
	.p2align	6, 0x0
	.amdhsa_kernel _ZN7rocprim17ROCPRIM_400000_NS6detail17trampoline_kernelINS0_14default_configENS1_27scan_by_key_config_selectorIj11FixedVectorIiLj4EEEEZZNS1_16scan_by_key_implILNS1_25lookback_scan_determinismE0ELb0ES3_N6thrust23THRUST_200600_302600_NS6detail15normal_iteratorINSB_10device_ptrIjEEEENSD_INSE_IS6_EEEESI_S6_NSB_4plusIvEENSB_8equal_toIvEES6_EE10hipError_tPvRmT2_T3_T4_T5_mT6_T7_P12ihipStream_tbENKUlT_T0_E_clISt17integral_constantIbLb1EES12_IbLb0EEEEDaSY_SZ_EUlSY_E_NS1_11comp_targetILNS1_3genE0ELNS1_11target_archE4294967295ELNS1_3gpuE0ELNS1_3repE0EEENS1_30default_config_static_selectorELNS0_4arch9wavefront6targetE0EEEvT1_
		.amdhsa_group_segment_fixed_size 0
		.amdhsa_private_segment_fixed_size 0
		.amdhsa_kernarg_size 144
		.amdhsa_user_sgpr_count 6
		.amdhsa_user_sgpr_private_segment_buffer 1
		.amdhsa_user_sgpr_dispatch_ptr 0
		.amdhsa_user_sgpr_queue_ptr 0
		.amdhsa_user_sgpr_kernarg_segment_ptr 1
		.amdhsa_user_sgpr_dispatch_id 0
		.amdhsa_user_sgpr_flat_scratch_init 0
		.amdhsa_user_sgpr_private_segment_size 0
		.amdhsa_wavefront_size32 1
		.amdhsa_uses_dynamic_stack 0
		.amdhsa_system_sgpr_private_segment_wavefront_offset 0
		.amdhsa_system_sgpr_workgroup_id_x 1
		.amdhsa_system_sgpr_workgroup_id_y 0
		.amdhsa_system_sgpr_workgroup_id_z 0
		.amdhsa_system_sgpr_workgroup_info 0
		.amdhsa_system_vgpr_workitem_id 0
		.amdhsa_next_free_vgpr 1
		.amdhsa_next_free_sgpr 1
		.amdhsa_reserve_vcc 0
		.amdhsa_reserve_flat_scratch 0
		.amdhsa_float_round_mode_32 0
		.amdhsa_float_round_mode_16_64 0
		.amdhsa_float_denorm_mode_32 3
		.amdhsa_float_denorm_mode_16_64 3
		.amdhsa_dx10_clamp 1
		.amdhsa_ieee_mode 1
		.amdhsa_fp16_overflow 0
		.amdhsa_workgroup_processor_mode 1
		.amdhsa_memory_ordered 1
		.amdhsa_forward_progress 1
		.amdhsa_shared_vgpr_count 0
		.amdhsa_exception_fp_ieee_invalid_op 0
		.amdhsa_exception_fp_denorm_src 0
		.amdhsa_exception_fp_ieee_div_zero 0
		.amdhsa_exception_fp_ieee_overflow 0
		.amdhsa_exception_fp_ieee_underflow 0
		.amdhsa_exception_fp_ieee_inexact 0
		.amdhsa_exception_int_div_zero 0
	.end_amdhsa_kernel
	.section	.text._ZN7rocprim17ROCPRIM_400000_NS6detail17trampoline_kernelINS0_14default_configENS1_27scan_by_key_config_selectorIj11FixedVectorIiLj4EEEEZZNS1_16scan_by_key_implILNS1_25lookback_scan_determinismE0ELb0ES3_N6thrust23THRUST_200600_302600_NS6detail15normal_iteratorINSB_10device_ptrIjEEEENSD_INSE_IS6_EEEESI_S6_NSB_4plusIvEENSB_8equal_toIvEES6_EE10hipError_tPvRmT2_T3_T4_T5_mT6_T7_P12ihipStream_tbENKUlT_T0_E_clISt17integral_constantIbLb1EES12_IbLb0EEEEDaSY_SZ_EUlSY_E_NS1_11comp_targetILNS1_3genE0ELNS1_11target_archE4294967295ELNS1_3gpuE0ELNS1_3repE0EEENS1_30default_config_static_selectorELNS0_4arch9wavefront6targetE0EEEvT1_,"axG",@progbits,_ZN7rocprim17ROCPRIM_400000_NS6detail17trampoline_kernelINS0_14default_configENS1_27scan_by_key_config_selectorIj11FixedVectorIiLj4EEEEZZNS1_16scan_by_key_implILNS1_25lookback_scan_determinismE0ELb0ES3_N6thrust23THRUST_200600_302600_NS6detail15normal_iteratorINSB_10device_ptrIjEEEENSD_INSE_IS6_EEEESI_S6_NSB_4plusIvEENSB_8equal_toIvEES6_EE10hipError_tPvRmT2_T3_T4_T5_mT6_T7_P12ihipStream_tbENKUlT_T0_E_clISt17integral_constantIbLb1EES12_IbLb0EEEEDaSY_SZ_EUlSY_E_NS1_11comp_targetILNS1_3genE0ELNS1_11target_archE4294967295ELNS1_3gpuE0ELNS1_3repE0EEENS1_30default_config_static_selectorELNS0_4arch9wavefront6targetE0EEEvT1_,comdat
.Lfunc_end2055:
	.size	_ZN7rocprim17ROCPRIM_400000_NS6detail17trampoline_kernelINS0_14default_configENS1_27scan_by_key_config_selectorIj11FixedVectorIiLj4EEEEZZNS1_16scan_by_key_implILNS1_25lookback_scan_determinismE0ELb0ES3_N6thrust23THRUST_200600_302600_NS6detail15normal_iteratorINSB_10device_ptrIjEEEENSD_INSE_IS6_EEEESI_S6_NSB_4plusIvEENSB_8equal_toIvEES6_EE10hipError_tPvRmT2_T3_T4_T5_mT6_T7_P12ihipStream_tbENKUlT_T0_E_clISt17integral_constantIbLb1EES12_IbLb0EEEEDaSY_SZ_EUlSY_E_NS1_11comp_targetILNS1_3genE0ELNS1_11target_archE4294967295ELNS1_3gpuE0ELNS1_3repE0EEENS1_30default_config_static_selectorELNS0_4arch9wavefront6targetE0EEEvT1_, .Lfunc_end2055-_ZN7rocprim17ROCPRIM_400000_NS6detail17trampoline_kernelINS0_14default_configENS1_27scan_by_key_config_selectorIj11FixedVectorIiLj4EEEEZZNS1_16scan_by_key_implILNS1_25lookback_scan_determinismE0ELb0ES3_N6thrust23THRUST_200600_302600_NS6detail15normal_iteratorINSB_10device_ptrIjEEEENSD_INSE_IS6_EEEESI_S6_NSB_4plusIvEENSB_8equal_toIvEES6_EE10hipError_tPvRmT2_T3_T4_T5_mT6_T7_P12ihipStream_tbENKUlT_T0_E_clISt17integral_constantIbLb1EES12_IbLb0EEEEDaSY_SZ_EUlSY_E_NS1_11comp_targetILNS1_3genE0ELNS1_11target_archE4294967295ELNS1_3gpuE0ELNS1_3repE0EEENS1_30default_config_static_selectorELNS0_4arch9wavefront6targetE0EEEvT1_
                                        ; -- End function
	.set _ZN7rocprim17ROCPRIM_400000_NS6detail17trampoline_kernelINS0_14default_configENS1_27scan_by_key_config_selectorIj11FixedVectorIiLj4EEEEZZNS1_16scan_by_key_implILNS1_25lookback_scan_determinismE0ELb0ES3_N6thrust23THRUST_200600_302600_NS6detail15normal_iteratorINSB_10device_ptrIjEEEENSD_INSE_IS6_EEEESI_S6_NSB_4plusIvEENSB_8equal_toIvEES6_EE10hipError_tPvRmT2_T3_T4_T5_mT6_T7_P12ihipStream_tbENKUlT_T0_E_clISt17integral_constantIbLb1EES12_IbLb0EEEEDaSY_SZ_EUlSY_E_NS1_11comp_targetILNS1_3genE0ELNS1_11target_archE4294967295ELNS1_3gpuE0ELNS1_3repE0EEENS1_30default_config_static_selectorELNS0_4arch9wavefront6targetE0EEEvT1_.num_vgpr, 0
	.set _ZN7rocprim17ROCPRIM_400000_NS6detail17trampoline_kernelINS0_14default_configENS1_27scan_by_key_config_selectorIj11FixedVectorIiLj4EEEEZZNS1_16scan_by_key_implILNS1_25lookback_scan_determinismE0ELb0ES3_N6thrust23THRUST_200600_302600_NS6detail15normal_iteratorINSB_10device_ptrIjEEEENSD_INSE_IS6_EEEESI_S6_NSB_4plusIvEENSB_8equal_toIvEES6_EE10hipError_tPvRmT2_T3_T4_T5_mT6_T7_P12ihipStream_tbENKUlT_T0_E_clISt17integral_constantIbLb1EES12_IbLb0EEEEDaSY_SZ_EUlSY_E_NS1_11comp_targetILNS1_3genE0ELNS1_11target_archE4294967295ELNS1_3gpuE0ELNS1_3repE0EEENS1_30default_config_static_selectorELNS0_4arch9wavefront6targetE0EEEvT1_.num_agpr, 0
	.set _ZN7rocprim17ROCPRIM_400000_NS6detail17trampoline_kernelINS0_14default_configENS1_27scan_by_key_config_selectorIj11FixedVectorIiLj4EEEEZZNS1_16scan_by_key_implILNS1_25lookback_scan_determinismE0ELb0ES3_N6thrust23THRUST_200600_302600_NS6detail15normal_iteratorINSB_10device_ptrIjEEEENSD_INSE_IS6_EEEESI_S6_NSB_4plusIvEENSB_8equal_toIvEES6_EE10hipError_tPvRmT2_T3_T4_T5_mT6_T7_P12ihipStream_tbENKUlT_T0_E_clISt17integral_constantIbLb1EES12_IbLb0EEEEDaSY_SZ_EUlSY_E_NS1_11comp_targetILNS1_3genE0ELNS1_11target_archE4294967295ELNS1_3gpuE0ELNS1_3repE0EEENS1_30default_config_static_selectorELNS0_4arch9wavefront6targetE0EEEvT1_.numbered_sgpr, 0
	.set _ZN7rocprim17ROCPRIM_400000_NS6detail17trampoline_kernelINS0_14default_configENS1_27scan_by_key_config_selectorIj11FixedVectorIiLj4EEEEZZNS1_16scan_by_key_implILNS1_25lookback_scan_determinismE0ELb0ES3_N6thrust23THRUST_200600_302600_NS6detail15normal_iteratorINSB_10device_ptrIjEEEENSD_INSE_IS6_EEEESI_S6_NSB_4plusIvEENSB_8equal_toIvEES6_EE10hipError_tPvRmT2_T3_T4_T5_mT6_T7_P12ihipStream_tbENKUlT_T0_E_clISt17integral_constantIbLb1EES12_IbLb0EEEEDaSY_SZ_EUlSY_E_NS1_11comp_targetILNS1_3genE0ELNS1_11target_archE4294967295ELNS1_3gpuE0ELNS1_3repE0EEENS1_30default_config_static_selectorELNS0_4arch9wavefront6targetE0EEEvT1_.num_named_barrier, 0
	.set _ZN7rocprim17ROCPRIM_400000_NS6detail17trampoline_kernelINS0_14default_configENS1_27scan_by_key_config_selectorIj11FixedVectorIiLj4EEEEZZNS1_16scan_by_key_implILNS1_25lookback_scan_determinismE0ELb0ES3_N6thrust23THRUST_200600_302600_NS6detail15normal_iteratorINSB_10device_ptrIjEEEENSD_INSE_IS6_EEEESI_S6_NSB_4plusIvEENSB_8equal_toIvEES6_EE10hipError_tPvRmT2_T3_T4_T5_mT6_T7_P12ihipStream_tbENKUlT_T0_E_clISt17integral_constantIbLb1EES12_IbLb0EEEEDaSY_SZ_EUlSY_E_NS1_11comp_targetILNS1_3genE0ELNS1_11target_archE4294967295ELNS1_3gpuE0ELNS1_3repE0EEENS1_30default_config_static_selectorELNS0_4arch9wavefront6targetE0EEEvT1_.private_seg_size, 0
	.set _ZN7rocprim17ROCPRIM_400000_NS6detail17trampoline_kernelINS0_14default_configENS1_27scan_by_key_config_selectorIj11FixedVectorIiLj4EEEEZZNS1_16scan_by_key_implILNS1_25lookback_scan_determinismE0ELb0ES3_N6thrust23THRUST_200600_302600_NS6detail15normal_iteratorINSB_10device_ptrIjEEEENSD_INSE_IS6_EEEESI_S6_NSB_4plusIvEENSB_8equal_toIvEES6_EE10hipError_tPvRmT2_T3_T4_T5_mT6_T7_P12ihipStream_tbENKUlT_T0_E_clISt17integral_constantIbLb1EES12_IbLb0EEEEDaSY_SZ_EUlSY_E_NS1_11comp_targetILNS1_3genE0ELNS1_11target_archE4294967295ELNS1_3gpuE0ELNS1_3repE0EEENS1_30default_config_static_selectorELNS0_4arch9wavefront6targetE0EEEvT1_.uses_vcc, 0
	.set _ZN7rocprim17ROCPRIM_400000_NS6detail17trampoline_kernelINS0_14default_configENS1_27scan_by_key_config_selectorIj11FixedVectorIiLj4EEEEZZNS1_16scan_by_key_implILNS1_25lookback_scan_determinismE0ELb0ES3_N6thrust23THRUST_200600_302600_NS6detail15normal_iteratorINSB_10device_ptrIjEEEENSD_INSE_IS6_EEEESI_S6_NSB_4plusIvEENSB_8equal_toIvEES6_EE10hipError_tPvRmT2_T3_T4_T5_mT6_T7_P12ihipStream_tbENKUlT_T0_E_clISt17integral_constantIbLb1EES12_IbLb0EEEEDaSY_SZ_EUlSY_E_NS1_11comp_targetILNS1_3genE0ELNS1_11target_archE4294967295ELNS1_3gpuE0ELNS1_3repE0EEENS1_30default_config_static_selectorELNS0_4arch9wavefront6targetE0EEEvT1_.uses_flat_scratch, 0
	.set _ZN7rocprim17ROCPRIM_400000_NS6detail17trampoline_kernelINS0_14default_configENS1_27scan_by_key_config_selectorIj11FixedVectorIiLj4EEEEZZNS1_16scan_by_key_implILNS1_25lookback_scan_determinismE0ELb0ES3_N6thrust23THRUST_200600_302600_NS6detail15normal_iteratorINSB_10device_ptrIjEEEENSD_INSE_IS6_EEEESI_S6_NSB_4plusIvEENSB_8equal_toIvEES6_EE10hipError_tPvRmT2_T3_T4_T5_mT6_T7_P12ihipStream_tbENKUlT_T0_E_clISt17integral_constantIbLb1EES12_IbLb0EEEEDaSY_SZ_EUlSY_E_NS1_11comp_targetILNS1_3genE0ELNS1_11target_archE4294967295ELNS1_3gpuE0ELNS1_3repE0EEENS1_30default_config_static_selectorELNS0_4arch9wavefront6targetE0EEEvT1_.has_dyn_sized_stack, 0
	.set _ZN7rocprim17ROCPRIM_400000_NS6detail17trampoline_kernelINS0_14default_configENS1_27scan_by_key_config_selectorIj11FixedVectorIiLj4EEEEZZNS1_16scan_by_key_implILNS1_25lookback_scan_determinismE0ELb0ES3_N6thrust23THRUST_200600_302600_NS6detail15normal_iteratorINSB_10device_ptrIjEEEENSD_INSE_IS6_EEEESI_S6_NSB_4plusIvEENSB_8equal_toIvEES6_EE10hipError_tPvRmT2_T3_T4_T5_mT6_T7_P12ihipStream_tbENKUlT_T0_E_clISt17integral_constantIbLb1EES12_IbLb0EEEEDaSY_SZ_EUlSY_E_NS1_11comp_targetILNS1_3genE0ELNS1_11target_archE4294967295ELNS1_3gpuE0ELNS1_3repE0EEENS1_30default_config_static_selectorELNS0_4arch9wavefront6targetE0EEEvT1_.has_recursion, 0
	.set _ZN7rocprim17ROCPRIM_400000_NS6detail17trampoline_kernelINS0_14default_configENS1_27scan_by_key_config_selectorIj11FixedVectorIiLj4EEEEZZNS1_16scan_by_key_implILNS1_25lookback_scan_determinismE0ELb0ES3_N6thrust23THRUST_200600_302600_NS6detail15normal_iteratorINSB_10device_ptrIjEEEENSD_INSE_IS6_EEEESI_S6_NSB_4plusIvEENSB_8equal_toIvEES6_EE10hipError_tPvRmT2_T3_T4_T5_mT6_T7_P12ihipStream_tbENKUlT_T0_E_clISt17integral_constantIbLb1EES12_IbLb0EEEEDaSY_SZ_EUlSY_E_NS1_11comp_targetILNS1_3genE0ELNS1_11target_archE4294967295ELNS1_3gpuE0ELNS1_3repE0EEENS1_30default_config_static_selectorELNS0_4arch9wavefront6targetE0EEEvT1_.has_indirect_call, 0
	.section	.AMDGPU.csdata,"",@progbits
; Kernel info:
; codeLenInByte = 0
; TotalNumSgprs: 0
; NumVgprs: 0
; ScratchSize: 0
; MemoryBound: 0
; FloatMode: 240
; IeeeMode: 1
; LDSByteSize: 0 bytes/workgroup (compile time only)
; SGPRBlocks: 0
; VGPRBlocks: 0
; NumSGPRsForWavesPerEU: 1
; NumVGPRsForWavesPerEU: 1
; Occupancy: 16
; WaveLimiterHint : 0
; COMPUTE_PGM_RSRC2:SCRATCH_EN: 0
; COMPUTE_PGM_RSRC2:USER_SGPR: 6
; COMPUTE_PGM_RSRC2:TRAP_HANDLER: 0
; COMPUTE_PGM_RSRC2:TGID_X_EN: 1
; COMPUTE_PGM_RSRC2:TGID_Y_EN: 0
; COMPUTE_PGM_RSRC2:TGID_Z_EN: 0
; COMPUTE_PGM_RSRC2:TIDIG_COMP_CNT: 0
	.section	.text._ZN7rocprim17ROCPRIM_400000_NS6detail17trampoline_kernelINS0_14default_configENS1_27scan_by_key_config_selectorIj11FixedVectorIiLj4EEEEZZNS1_16scan_by_key_implILNS1_25lookback_scan_determinismE0ELb0ES3_N6thrust23THRUST_200600_302600_NS6detail15normal_iteratorINSB_10device_ptrIjEEEENSD_INSE_IS6_EEEESI_S6_NSB_4plusIvEENSB_8equal_toIvEES6_EE10hipError_tPvRmT2_T3_T4_T5_mT6_T7_P12ihipStream_tbENKUlT_T0_E_clISt17integral_constantIbLb1EES12_IbLb0EEEEDaSY_SZ_EUlSY_E_NS1_11comp_targetILNS1_3genE10ELNS1_11target_archE1201ELNS1_3gpuE5ELNS1_3repE0EEENS1_30default_config_static_selectorELNS0_4arch9wavefront6targetE0EEEvT1_,"axG",@progbits,_ZN7rocprim17ROCPRIM_400000_NS6detail17trampoline_kernelINS0_14default_configENS1_27scan_by_key_config_selectorIj11FixedVectorIiLj4EEEEZZNS1_16scan_by_key_implILNS1_25lookback_scan_determinismE0ELb0ES3_N6thrust23THRUST_200600_302600_NS6detail15normal_iteratorINSB_10device_ptrIjEEEENSD_INSE_IS6_EEEESI_S6_NSB_4plusIvEENSB_8equal_toIvEES6_EE10hipError_tPvRmT2_T3_T4_T5_mT6_T7_P12ihipStream_tbENKUlT_T0_E_clISt17integral_constantIbLb1EES12_IbLb0EEEEDaSY_SZ_EUlSY_E_NS1_11comp_targetILNS1_3genE10ELNS1_11target_archE1201ELNS1_3gpuE5ELNS1_3repE0EEENS1_30default_config_static_selectorELNS0_4arch9wavefront6targetE0EEEvT1_,comdat
	.protected	_ZN7rocprim17ROCPRIM_400000_NS6detail17trampoline_kernelINS0_14default_configENS1_27scan_by_key_config_selectorIj11FixedVectorIiLj4EEEEZZNS1_16scan_by_key_implILNS1_25lookback_scan_determinismE0ELb0ES3_N6thrust23THRUST_200600_302600_NS6detail15normal_iteratorINSB_10device_ptrIjEEEENSD_INSE_IS6_EEEESI_S6_NSB_4plusIvEENSB_8equal_toIvEES6_EE10hipError_tPvRmT2_T3_T4_T5_mT6_T7_P12ihipStream_tbENKUlT_T0_E_clISt17integral_constantIbLb1EES12_IbLb0EEEEDaSY_SZ_EUlSY_E_NS1_11comp_targetILNS1_3genE10ELNS1_11target_archE1201ELNS1_3gpuE5ELNS1_3repE0EEENS1_30default_config_static_selectorELNS0_4arch9wavefront6targetE0EEEvT1_ ; -- Begin function _ZN7rocprim17ROCPRIM_400000_NS6detail17trampoline_kernelINS0_14default_configENS1_27scan_by_key_config_selectorIj11FixedVectorIiLj4EEEEZZNS1_16scan_by_key_implILNS1_25lookback_scan_determinismE0ELb0ES3_N6thrust23THRUST_200600_302600_NS6detail15normal_iteratorINSB_10device_ptrIjEEEENSD_INSE_IS6_EEEESI_S6_NSB_4plusIvEENSB_8equal_toIvEES6_EE10hipError_tPvRmT2_T3_T4_T5_mT6_T7_P12ihipStream_tbENKUlT_T0_E_clISt17integral_constantIbLb1EES12_IbLb0EEEEDaSY_SZ_EUlSY_E_NS1_11comp_targetILNS1_3genE10ELNS1_11target_archE1201ELNS1_3gpuE5ELNS1_3repE0EEENS1_30default_config_static_selectorELNS0_4arch9wavefront6targetE0EEEvT1_
	.globl	_ZN7rocprim17ROCPRIM_400000_NS6detail17trampoline_kernelINS0_14default_configENS1_27scan_by_key_config_selectorIj11FixedVectorIiLj4EEEEZZNS1_16scan_by_key_implILNS1_25lookback_scan_determinismE0ELb0ES3_N6thrust23THRUST_200600_302600_NS6detail15normal_iteratorINSB_10device_ptrIjEEEENSD_INSE_IS6_EEEESI_S6_NSB_4plusIvEENSB_8equal_toIvEES6_EE10hipError_tPvRmT2_T3_T4_T5_mT6_T7_P12ihipStream_tbENKUlT_T0_E_clISt17integral_constantIbLb1EES12_IbLb0EEEEDaSY_SZ_EUlSY_E_NS1_11comp_targetILNS1_3genE10ELNS1_11target_archE1201ELNS1_3gpuE5ELNS1_3repE0EEENS1_30default_config_static_selectorELNS0_4arch9wavefront6targetE0EEEvT1_
	.p2align	8
	.type	_ZN7rocprim17ROCPRIM_400000_NS6detail17trampoline_kernelINS0_14default_configENS1_27scan_by_key_config_selectorIj11FixedVectorIiLj4EEEEZZNS1_16scan_by_key_implILNS1_25lookback_scan_determinismE0ELb0ES3_N6thrust23THRUST_200600_302600_NS6detail15normal_iteratorINSB_10device_ptrIjEEEENSD_INSE_IS6_EEEESI_S6_NSB_4plusIvEENSB_8equal_toIvEES6_EE10hipError_tPvRmT2_T3_T4_T5_mT6_T7_P12ihipStream_tbENKUlT_T0_E_clISt17integral_constantIbLb1EES12_IbLb0EEEEDaSY_SZ_EUlSY_E_NS1_11comp_targetILNS1_3genE10ELNS1_11target_archE1201ELNS1_3gpuE5ELNS1_3repE0EEENS1_30default_config_static_selectorELNS0_4arch9wavefront6targetE0EEEvT1_,@function
_ZN7rocprim17ROCPRIM_400000_NS6detail17trampoline_kernelINS0_14default_configENS1_27scan_by_key_config_selectorIj11FixedVectorIiLj4EEEEZZNS1_16scan_by_key_implILNS1_25lookback_scan_determinismE0ELb0ES3_N6thrust23THRUST_200600_302600_NS6detail15normal_iteratorINSB_10device_ptrIjEEEENSD_INSE_IS6_EEEESI_S6_NSB_4plusIvEENSB_8equal_toIvEES6_EE10hipError_tPvRmT2_T3_T4_T5_mT6_T7_P12ihipStream_tbENKUlT_T0_E_clISt17integral_constantIbLb1EES12_IbLb0EEEEDaSY_SZ_EUlSY_E_NS1_11comp_targetILNS1_3genE10ELNS1_11target_archE1201ELNS1_3gpuE5ELNS1_3repE0EEENS1_30default_config_static_selectorELNS0_4arch9wavefront6targetE0EEEvT1_: ; @_ZN7rocprim17ROCPRIM_400000_NS6detail17trampoline_kernelINS0_14default_configENS1_27scan_by_key_config_selectorIj11FixedVectorIiLj4EEEEZZNS1_16scan_by_key_implILNS1_25lookback_scan_determinismE0ELb0ES3_N6thrust23THRUST_200600_302600_NS6detail15normal_iteratorINSB_10device_ptrIjEEEENSD_INSE_IS6_EEEESI_S6_NSB_4plusIvEENSB_8equal_toIvEES6_EE10hipError_tPvRmT2_T3_T4_T5_mT6_T7_P12ihipStream_tbENKUlT_T0_E_clISt17integral_constantIbLb1EES12_IbLb0EEEEDaSY_SZ_EUlSY_E_NS1_11comp_targetILNS1_3genE10ELNS1_11target_archE1201ELNS1_3gpuE5ELNS1_3repE0EEENS1_30default_config_static_selectorELNS0_4arch9wavefront6targetE0EEEvT1_
; %bb.0:
	.section	.rodata,"a",@progbits
	.p2align	6, 0x0
	.amdhsa_kernel _ZN7rocprim17ROCPRIM_400000_NS6detail17trampoline_kernelINS0_14default_configENS1_27scan_by_key_config_selectorIj11FixedVectorIiLj4EEEEZZNS1_16scan_by_key_implILNS1_25lookback_scan_determinismE0ELb0ES3_N6thrust23THRUST_200600_302600_NS6detail15normal_iteratorINSB_10device_ptrIjEEEENSD_INSE_IS6_EEEESI_S6_NSB_4plusIvEENSB_8equal_toIvEES6_EE10hipError_tPvRmT2_T3_T4_T5_mT6_T7_P12ihipStream_tbENKUlT_T0_E_clISt17integral_constantIbLb1EES12_IbLb0EEEEDaSY_SZ_EUlSY_E_NS1_11comp_targetILNS1_3genE10ELNS1_11target_archE1201ELNS1_3gpuE5ELNS1_3repE0EEENS1_30default_config_static_selectorELNS0_4arch9wavefront6targetE0EEEvT1_
		.amdhsa_group_segment_fixed_size 0
		.amdhsa_private_segment_fixed_size 0
		.amdhsa_kernarg_size 144
		.amdhsa_user_sgpr_count 6
		.amdhsa_user_sgpr_private_segment_buffer 1
		.amdhsa_user_sgpr_dispatch_ptr 0
		.amdhsa_user_sgpr_queue_ptr 0
		.amdhsa_user_sgpr_kernarg_segment_ptr 1
		.amdhsa_user_sgpr_dispatch_id 0
		.amdhsa_user_sgpr_flat_scratch_init 0
		.amdhsa_user_sgpr_private_segment_size 0
		.amdhsa_wavefront_size32 1
		.amdhsa_uses_dynamic_stack 0
		.amdhsa_system_sgpr_private_segment_wavefront_offset 0
		.amdhsa_system_sgpr_workgroup_id_x 1
		.amdhsa_system_sgpr_workgroup_id_y 0
		.amdhsa_system_sgpr_workgroup_id_z 0
		.amdhsa_system_sgpr_workgroup_info 0
		.amdhsa_system_vgpr_workitem_id 0
		.amdhsa_next_free_vgpr 1
		.amdhsa_next_free_sgpr 1
		.amdhsa_reserve_vcc 0
		.amdhsa_reserve_flat_scratch 0
		.amdhsa_float_round_mode_32 0
		.amdhsa_float_round_mode_16_64 0
		.amdhsa_float_denorm_mode_32 3
		.amdhsa_float_denorm_mode_16_64 3
		.amdhsa_dx10_clamp 1
		.amdhsa_ieee_mode 1
		.amdhsa_fp16_overflow 0
		.amdhsa_workgroup_processor_mode 1
		.amdhsa_memory_ordered 1
		.amdhsa_forward_progress 1
		.amdhsa_shared_vgpr_count 0
		.amdhsa_exception_fp_ieee_invalid_op 0
		.amdhsa_exception_fp_denorm_src 0
		.amdhsa_exception_fp_ieee_div_zero 0
		.amdhsa_exception_fp_ieee_overflow 0
		.amdhsa_exception_fp_ieee_underflow 0
		.amdhsa_exception_fp_ieee_inexact 0
		.amdhsa_exception_int_div_zero 0
	.end_amdhsa_kernel
	.section	.text._ZN7rocprim17ROCPRIM_400000_NS6detail17trampoline_kernelINS0_14default_configENS1_27scan_by_key_config_selectorIj11FixedVectorIiLj4EEEEZZNS1_16scan_by_key_implILNS1_25lookback_scan_determinismE0ELb0ES3_N6thrust23THRUST_200600_302600_NS6detail15normal_iteratorINSB_10device_ptrIjEEEENSD_INSE_IS6_EEEESI_S6_NSB_4plusIvEENSB_8equal_toIvEES6_EE10hipError_tPvRmT2_T3_T4_T5_mT6_T7_P12ihipStream_tbENKUlT_T0_E_clISt17integral_constantIbLb1EES12_IbLb0EEEEDaSY_SZ_EUlSY_E_NS1_11comp_targetILNS1_3genE10ELNS1_11target_archE1201ELNS1_3gpuE5ELNS1_3repE0EEENS1_30default_config_static_selectorELNS0_4arch9wavefront6targetE0EEEvT1_,"axG",@progbits,_ZN7rocprim17ROCPRIM_400000_NS6detail17trampoline_kernelINS0_14default_configENS1_27scan_by_key_config_selectorIj11FixedVectorIiLj4EEEEZZNS1_16scan_by_key_implILNS1_25lookback_scan_determinismE0ELb0ES3_N6thrust23THRUST_200600_302600_NS6detail15normal_iteratorINSB_10device_ptrIjEEEENSD_INSE_IS6_EEEESI_S6_NSB_4plusIvEENSB_8equal_toIvEES6_EE10hipError_tPvRmT2_T3_T4_T5_mT6_T7_P12ihipStream_tbENKUlT_T0_E_clISt17integral_constantIbLb1EES12_IbLb0EEEEDaSY_SZ_EUlSY_E_NS1_11comp_targetILNS1_3genE10ELNS1_11target_archE1201ELNS1_3gpuE5ELNS1_3repE0EEENS1_30default_config_static_selectorELNS0_4arch9wavefront6targetE0EEEvT1_,comdat
.Lfunc_end2056:
	.size	_ZN7rocprim17ROCPRIM_400000_NS6detail17trampoline_kernelINS0_14default_configENS1_27scan_by_key_config_selectorIj11FixedVectorIiLj4EEEEZZNS1_16scan_by_key_implILNS1_25lookback_scan_determinismE0ELb0ES3_N6thrust23THRUST_200600_302600_NS6detail15normal_iteratorINSB_10device_ptrIjEEEENSD_INSE_IS6_EEEESI_S6_NSB_4plusIvEENSB_8equal_toIvEES6_EE10hipError_tPvRmT2_T3_T4_T5_mT6_T7_P12ihipStream_tbENKUlT_T0_E_clISt17integral_constantIbLb1EES12_IbLb0EEEEDaSY_SZ_EUlSY_E_NS1_11comp_targetILNS1_3genE10ELNS1_11target_archE1201ELNS1_3gpuE5ELNS1_3repE0EEENS1_30default_config_static_selectorELNS0_4arch9wavefront6targetE0EEEvT1_, .Lfunc_end2056-_ZN7rocprim17ROCPRIM_400000_NS6detail17trampoline_kernelINS0_14default_configENS1_27scan_by_key_config_selectorIj11FixedVectorIiLj4EEEEZZNS1_16scan_by_key_implILNS1_25lookback_scan_determinismE0ELb0ES3_N6thrust23THRUST_200600_302600_NS6detail15normal_iteratorINSB_10device_ptrIjEEEENSD_INSE_IS6_EEEESI_S6_NSB_4plusIvEENSB_8equal_toIvEES6_EE10hipError_tPvRmT2_T3_T4_T5_mT6_T7_P12ihipStream_tbENKUlT_T0_E_clISt17integral_constantIbLb1EES12_IbLb0EEEEDaSY_SZ_EUlSY_E_NS1_11comp_targetILNS1_3genE10ELNS1_11target_archE1201ELNS1_3gpuE5ELNS1_3repE0EEENS1_30default_config_static_selectorELNS0_4arch9wavefront6targetE0EEEvT1_
                                        ; -- End function
	.set _ZN7rocprim17ROCPRIM_400000_NS6detail17trampoline_kernelINS0_14default_configENS1_27scan_by_key_config_selectorIj11FixedVectorIiLj4EEEEZZNS1_16scan_by_key_implILNS1_25lookback_scan_determinismE0ELb0ES3_N6thrust23THRUST_200600_302600_NS6detail15normal_iteratorINSB_10device_ptrIjEEEENSD_INSE_IS6_EEEESI_S6_NSB_4plusIvEENSB_8equal_toIvEES6_EE10hipError_tPvRmT2_T3_T4_T5_mT6_T7_P12ihipStream_tbENKUlT_T0_E_clISt17integral_constantIbLb1EES12_IbLb0EEEEDaSY_SZ_EUlSY_E_NS1_11comp_targetILNS1_3genE10ELNS1_11target_archE1201ELNS1_3gpuE5ELNS1_3repE0EEENS1_30default_config_static_selectorELNS0_4arch9wavefront6targetE0EEEvT1_.num_vgpr, 0
	.set _ZN7rocprim17ROCPRIM_400000_NS6detail17trampoline_kernelINS0_14default_configENS1_27scan_by_key_config_selectorIj11FixedVectorIiLj4EEEEZZNS1_16scan_by_key_implILNS1_25lookback_scan_determinismE0ELb0ES3_N6thrust23THRUST_200600_302600_NS6detail15normal_iteratorINSB_10device_ptrIjEEEENSD_INSE_IS6_EEEESI_S6_NSB_4plusIvEENSB_8equal_toIvEES6_EE10hipError_tPvRmT2_T3_T4_T5_mT6_T7_P12ihipStream_tbENKUlT_T0_E_clISt17integral_constantIbLb1EES12_IbLb0EEEEDaSY_SZ_EUlSY_E_NS1_11comp_targetILNS1_3genE10ELNS1_11target_archE1201ELNS1_3gpuE5ELNS1_3repE0EEENS1_30default_config_static_selectorELNS0_4arch9wavefront6targetE0EEEvT1_.num_agpr, 0
	.set _ZN7rocprim17ROCPRIM_400000_NS6detail17trampoline_kernelINS0_14default_configENS1_27scan_by_key_config_selectorIj11FixedVectorIiLj4EEEEZZNS1_16scan_by_key_implILNS1_25lookback_scan_determinismE0ELb0ES3_N6thrust23THRUST_200600_302600_NS6detail15normal_iteratorINSB_10device_ptrIjEEEENSD_INSE_IS6_EEEESI_S6_NSB_4plusIvEENSB_8equal_toIvEES6_EE10hipError_tPvRmT2_T3_T4_T5_mT6_T7_P12ihipStream_tbENKUlT_T0_E_clISt17integral_constantIbLb1EES12_IbLb0EEEEDaSY_SZ_EUlSY_E_NS1_11comp_targetILNS1_3genE10ELNS1_11target_archE1201ELNS1_3gpuE5ELNS1_3repE0EEENS1_30default_config_static_selectorELNS0_4arch9wavefront6targetE0EEEvT1_.numbered_sgpr, 0
	.set _ZN7rocprim17ROCPRIM_400000_NS6detail17trampoline_kernelINS0_14default_configENS1_27scan_by_key_config_selectorIj11FixedVectorIiLj4EEEEZZNS1_16scan_by_key_implILNS1_25lookback_scan_determinismE0ELb0ES3_N6thrust23THRUST_200600_302600_NS6detail15normal_iteratorINSB_10device_ptrIjEEEENSD_INSE_IS6_EEEESI_S6_NSB_4plusIvEENSB_8equal_toIvEES6_EE10hipError_tPvRmT2_T3_T4_T5_mT6_T7_P12ihipStream_tbENKUlT_T0_E_clISt17integral_constantIbLb1EES12_IbLb0EEEEDaSY_SZ_EUlSY_E_NS1_11comp_targetILNS1_3genE10ELNS1_11target_archE1201ELNS1_3gpuE5ELNS1_3repE0EEENS1_30default_config_static_selectorELNS0_4arch9wavefront6targetE0EEEvT1_.num_named_barrier, 0
	.set _ZN7rocprim17ROCPRIM_400000_NS6detail17trampoline_kernelINS0_14default_configENS1_27scan_by_key_config_selectorIj11FixedVectorIiLj4EEEEZZNS1_16scan_by_key_implILNS1_25lookback_scan_determinismE0ELb0ES3_N6thrust23THRUST_200600_302600_NS6detail15normal_iteratorINSB_10device_ptrIjEEEENSD_INSE_IS6_EEEESI_S6_NSB_4plusIvEENSB_8equal_toIvEES6_EE10hipError_tPvRmT2_T3_T4_T5_mT6_T7_P12ihipStream_tbENKUlT_T0_E_clISt17integral_constantIbLb1EES12_IbLb0EEEEDaSY_SZ_EUlSY_E_NS1_11comp_targetILNS1_3genE10ELNS1_11target_archE1201ELNS1_3gpuE5ELNS1_3repE0EEENS1_30default_config_static_selectorELNS0_4arch9wavefront6targetE0EEEvT1_.private_seg_size, 0
	.set _ZN7rocprim17ROCPRIM_400000_NS6detail17trampoline_kernelINS0_14default_configENS1_27scan_by_key_config_selectorIj11FixedVectorIiLj4EEEEZZNS1_16scan_by_key_implILNS1_25lookback_scan_determinismE0ELb0ES3_N6thrust23THRUST_200600_302600_NS6detail15normal_iteratorINSB_10device_ptrIjEEEENSD_INSE_IS6_EEEESI_S6_NSB_4plusIvEENSB_8equal_toIvEES6_EE10hipError_tPvRmT2_T3_T4_T5_mT6_T7_P12ihipStream_tbENKUlT_T0_E_clISt17integral_constantIbLb1EES12_IbLb0EEEEDaSY_SZ_EUlSY_E_NS1_11comp_targetILNS1_3genE10ELNS1_11target_archE1201ELNS1_3gpuE5ELNS1_3repE0EEENS1_30default_config_static_selectorELNS0_4arch9wavefront6targetE0EEEvT1_.uses_vcc, 0
	.set _ZN7rocprim17ROCPRIM_400000_NS6detail17trampoline_kernelINS0_14default_configENS1_27scan_by_key_config_selectorIj11FixedVectorIiLj4EEEEZZNS1_16scan_by_key_implILNS1_25lookback_scan_determinismE0ELb0ES3_N6thrust23THRUST_200600_302600_NS6detail15normal_iteratorINSB_10device_ptrIjEEEENSD_INSE_IS6_EEEESI_S6_NSB_4plusIvEENSB_8equal_toIvEES6_EE10hipError_tPvRmT2_T3_T4_T5_mT6_T7_P12ihipStream_tbENKUlT_T0_E_clISt17integral_constantIbLb1EES12_IbLb0EEEEDaSY_SZ_EUlSY_E_NS1_11comp_targetILNS1_3genE10ELNS1_11target_archE1201ELNS1_3gpuE5ELNS1_3repE0EEENS1_30default_config_static_selectorELNS0_4arch9wavefront6targetE0EEEvT1_.uses_flat_scratch, 0
	.set _ZN7rocprim17ROCPRIM_400000_NS6detail17trampoline_kernelINS0_14default_configENS1_27scan_by_key_config_selectorIj11FixedVectorIiLj4EEEEZZNS1_16scan_by_key_implILNS1_25lookback_scan_determinismE0ELb0ES3_N6thrust23THRUST_200600_302600_NS6detail15normal_iteratorINSB_10device_ptrIjEEEENSD_INSE_IS6_EEEESI_S6_NSB_4plusIvEENSB_8equal_toIvEES6_EE10hipError_tPvRmT2_T3_T4_T5_mT6_T7_P12ihipStream_tbENKUlT_T0_E_clISt17integral_constantIbLb1EES12_IbLb0EEEEDaSY_SZ_EUlSY_E_NS1_11comp_targetILNS1_3genE10ELNS1_11target_archE1201ELNS1_3gpuE5ELNS1_3repE0EEENS1_30default_config_static_selectorELNS0_4arch9wavefront6targetE0EEEvT1_.has_dyn_sized_stack, 0
	.set _ZN7rocprim17ROCPRIM_400000_NS6detail17trampoline_kernelINS0_14default_configENS1_27scan_by_key_config_selectorIj11FixedVectorIiLj4EEEEZZNS1_16scan_by_key_implILNS1_25lookback_scan_determinismE0ELb0ES3_N6thrust23THRUST_200600_302600_NS6detail15normal_iteratorINSB_10device_ptrIjEEEENSD_INSE_IS6_EEEESI_S6_NSB_4plusIvEENSB_8equal_toIvEES6_EE10hipError_tPvRmT2_T3_T4_T5_mT6_T7_P12ihipStream_tbENKUlT_T0_E_clISt17integral_constantIbLb1EES12_IbLb0EEEEDaSY_SZ_EUlSY_E_NS1_11comp_targetILNS1_3genE10ELNS1_11target_archE1201ELNS1_3gpuE5ELNS1_3repE0EEENS1_30default_config_static_selectorELNS0_4arch9wavefront6targetE0EEEvT1_.has_recursion, 0
	.set _ZN7rocprim17ROCPRIM_400000_NS6detail17trampoline_kernelINS0_14default_configENS1_27scan_by_key_config_selectorIj11FixedVectorIiLj4EEEEZZNS1_16scan_by_key_implILNS1_25lookback_scan_determinismE0ELb0ES3_N6thrust23THRUST_200600_302600_NS6detail15normal_iteratorINSB_10device_ptrIjEEEENSD_INSE_IS6_EEEESI_S6_NSB_4plusIvEENSB_8equal_toIvEES6_EE10hipError_tPvRmT2_T3_T4_T5_mT6_T7_P12ihipStream_tbENKUlT_T0_E_clISt17integral_constantIbLb1EES12_IbLb0EEEEDaSY_SZ_EUlSY_E_NS1_11comp_targetILNS1_3genE10ELNS1_11target_archE1201ELNS1_3gpuE5ELNS1_3repE0EEENS1_30default_config_static_selectorELNS0_4arch9wavefront6targetE0EEEvT1_.has_indirect_call, 0
	.section	.AMDGPU.csdata,"",@progbits
; Kernel info:
; codeLenInByte = 0
; TotalNumSgprs: 0
; NumVgprs: 0
; ScratchSize: 0
; MemoryBound: 0
; FloatMode: 240
; IeeeMode: 1
; LDSByteSize: 0 bytes/workgroup (compile time only)
; SGPRBlocks: 0
; VGPRBlocks: 0
; NumSGPRsForWavesPerEU: 1
; NumVGPRsForWavesPerEU: 1
; Occupancy: 16
; WaveLimiterHint : 0
; COMPUTE_PGM_RSRC2:SCRATCH_EN: 0
; COMPUTE_PGM_RSRC2:USER_SGPR: 6
; COMPUTE_PGM_RSRC2:TRAP_HANDLER: 0
; COMPUTE_PGM_RSRC2:TGID_X_EN: 1
; COMPUTE_PGM_RSRC2:TGID_Y_EN: 0
; COMPUTE_PGM_RSRC2:TGID_Z_EN: 0
; COMPUTE_PGM_RSRC2:TIDIG_COMP_CNT: 0
	.section	.text._ZN7rocprim17ROCPRIM_400000_NS6detail17trampoline_kernelINS0_14default_configENS1_27scan_by_key_config_selectorIj11FixedVectorIiLj4EEEEZZNS1_16scan_by_key_implILNS1_25lookback_scan_determinismE0ELb0ES3_N6thrust23THRUST_200600_302600_NS6detail15normal_iteratorINSB_10device_ptrIjEEEENSD_INSE_IS6_EEEESI_S6_NSB_4plusIvEENSB_8equal_toIvEES6_EE10hipError_tPvRmT2_T3_T4_T5_mT6_T7_P12ihipStream_tbENKUlT_T0_E_clISt17integral_constantIbLb1EES12_IbLb0EEEEDaSY_SZ_EUlSY_E_NS1_11comp_targetILNS1_3genE5ELNS1_11target_archE942ELNS1_3gpuE9ELNS1_3repE0EEENS1_30default_config_static_selectorELNS0_4arch9wavefront6targetE0EEEvT1_,"axG",@progbits,_ZN7rocprim17ROCPRIM_400000_NS6detail17trampoline_kernelINS0_14default_configENS1_27scan_by_key_config_selectorIj11FixedVectorIiLj4EEEEZZNS1_16scan_by_key_implILNS1_25lookback_scan_determinismE0ELb0ES3_N6thrust23THRUST_200600_302600_NS6detail15normal_iteratorINSB_10device_ptrIjEEEENSD_INSE_IS6_EEEESI_S6_NSB_4plusIvEENSB_8equal_toIvEES6_EE10hipError_tPvRmT2_T3_T4_T5_mT6_T7_P12ihipStream_tbENKUlT_T0_E_clISt17integral_constantIbLb1EES12_IbLb0EEEEDaSY_SZ_EUlSY_E_NS1_11comp_targetILNS1_3genE5ELNS1_11target_archE942ELNS1_3gpuE9ELNS1_3repE0EEENS1_30default_config_static_selectorELNS0_4arch9wavefront6targetE0EEEvT1_,comdat
	.protected	_ZN7rocprim17ROCPRIM_400000_NS6detail17trampoline_kernelINS0_14default_configENS1_27scan_by_key_config_selectorIj11FixedVectorIiLj4EEEEZZNS1_16scan_by_key_implILNS1_25lookback_scan_determinismE0ELb0ES3_N6thrust23THRUST_200600_302600_NS6detail15normal_iteratorINSB_10device_ptrIjEEEENSD_INSE_IS6_EEEESI_S6_NSB_4plusIvEENSB_8equal_toIvEES6_EE10hipError_tPvRmT2_T3_T4_T5_mT6_T7_P12ihipStream_tbENKUlT_T0_E_clISt17integral_constantIbLb1EES12_IbLb0EEEEDaSY_SZ_EUlSY_E_NS1_11comp_targetILNS1_3genE5ELNS1_11target_archE942ELNS1_3gpuE9ELNS1_3repE0EEENS1_30default_config_static_selectorELNS0_4arch9wavefront6targetE0EEEvT1_ ; -- Begin function _ZN7rocprim17ROCPRIM_400000_NS6detail17trampoline_kernelINS0_14default_configENS1_27scan_by_key_config_selectorIj11FixedVectorIiLj4EEEEZZNS1_16scan_by_key_implILNS1_25lookback_scan_determinismE0ELb0ES3_N6thrust23THRUST_200600_302600_NS6detail15normal_iteratorINSB_10device_ptrIjEEEENSD_INSE_IS6_EEEESI_S6_NSB_4plusIvEENSB_8equal_toIvEES6_EE10hipError_tPvRmT2_T3_T4_T5_mT6_T7_P12ihipStream_tbENKUlT_T0_E_clISt17integral_constantIbLb1EES12_IbLb0EEEEDaSY_SZ_EUlSY_E_NS1_11comp_targetILNS1_3genE5ELNS1_11target_archE942ELNS1_3gpuE9ELNS1_3repE0EEENS1_30default_config_static_selectorELNS0_4arch9wavefront6targetE0EEEvT1_
	.globl	_ZN7rocprim17ROCPRIM_400000_NS6detail17trampoline_kernelINS0_14default_configENS1_27scan_by_key_config_selectorIj11FixedVectorIiLj4EEEEZZNS1_16scan_by_key_implILNS1_25lookback_scan_determinismE0ELb0ES3_N6thrust23THRUST_200600_302600_NS6detail15normal_iteratorINSB_10device_ptrIjEEEENSD_INSE_IS6_EEEESI_S6_NSB_4plusIvEENSB_8equal_toIvEES6_EE10hipError_tPvRmT2_T3_T4_T5_mT6_T7_P12ihipStream_tbENKUlT_T0_E_clISt17integral_constantIbLb1EES12_IbLb0EEEEDaSY_SZ_EUlSY_E_NS1_11comp_targetILNS1_3genE5ELNS1_11target_archE942ELNS1_3gpuE9ELNS1_3repE0EEENS1_30default_config_static_selectorELNS0_4arch9wavefront6targetE0EEEvT1_
	.p2align	8
	.type	_ZN7rocprim17ROCPRIM_400000_NS6detail17trampoline_kernelINS0_14default_configENS1_27scan_by_key_config_selectorIj11FixedVectorIiLj4EEEEZZNS1_16scan_by_key_implILNS1_25lookback_scan_determinismE0ELb0ES3_N6thrust23THRUST_200600_302600_NS6detail15normal_iteratorINSB_10device_ptrIjEEEENSD_INSE_IS6_EEEESI_S6_NSB_4plusIvEENSB_8equal_toIvEES6_EE10hipError_tPvRmT2_T3_T4_T5_mT6_T7_P12ihipStream_tbENKUlT_T0_E_clISt17integral_constantIbLb1EES12_IbLb0EEEEDaSY_SZ_EUlSY_E_NS1_11comp_targetILNS1_3genE5ELNS1_11target_archE942ELNS1_3gpuE9ELNS1_3repE0EEENS1_30default_config_static_selectorELNS0_4arch9wavefront6targetE0EEEvT1_,@function
_ZN7rocprim17ROCPRIM_400000_NS6detail17trampoline_kernelINS0_14default_configENS1_27scan_by_key_config_selectorIj11FixedVectorIiLj4EEEEZZNS1_16scan_by_key_implILNS1_25lookback_scan_determinismE0ELb0ES3_N6thrust23THRUST_200600_302600_NS6detail15normal_iteratorINSB_10device_ptrIjEEEENSD_INSE_IS6_EEEESI_S6_NSB_4plusIvEENSB_8equal_toIvEES6_EE10hipError_tPvRmT2_T3_T4_T5_mT6_T7_P12ihipStream_tbENKUlT_T0_E_clISt17integral_constantIbLb1EES12_IbLb0EEEEDaSY_SZ_EUlSY_E_NS1_11comp_targetILNS1_3genE5ELNS1_11target_archE942ELNS1_3gpuE9ELNS1_3repE0EEENS1_30default_config_static_selectorELNS0_4arch9wavefront6targetE0EEEvT1_: ; @_ZN7rocprim17ROCPRIM_400000_NS6detail17trampoline_kernelINS0_14default_configENS1_27scan_by_key_config_selectorIj11FixedVectorIiLj4EEEEZZNS1_16scan_by_key_implILNS1_25lookback_scan_determinismE0ELb0ES3_N6thrust23THRUST_200600_302600_NS6detail15normal_iteratorINSB_10device_ptrIjEEEENSD_INSE_IS6_EEEESI_S6_NSB_4plusIvEENSB_8equal_toIvEES6_EE10hipError_tPvRmT2_T3_T4_T5_mT6_T7_P12ihipStream_tbENKUlT_T0_E_clISt17integral_constantIbLb1EES12_IbLb0EEEEDaSY_SZ_EUlSY_E_NS1_11comp_targetILNS1_3genE5ELNS1_11target_archE942ELNS1_3gpuE9ELNS1_3repE0EEENS1_30default_config_static_selectorELNS0_4arch9wavefront6targetE0EEEvT1_
; %bb.0:
	.section	.rodata,"a",@progbits
	.p2align	6, 0x0
	.amdhsa_kernel _ZN7rocprim17ROCPRIM_400000_NS6detail17trampoline_kernelINS0_14default_configENS1_27scan_by_key_config_selectorIj11FixedVectorIiLj4EEEEZZNS1_16scan_by_key_implILNS1_25lookback_scan_determinismE0ELb0ES3_N6thrust23THRUST_200600_302600_NS6detail15normal_iteratorINSB_10device_ptrIjEEEENSD_INSE_IS6_EEEESI_S6_NSB_4plusIvEENSB_8equal_toIvEES6_EE10hipError_tPvRmT2_T3_T4_T5_mT6_T7_P12ihipStream_tbENKUlT_T0_E_clISt17integral_constantIbLb1EES12_IbLb0EEEEDaSY_SZ_EUlSY_E_NS1_11comp_targetILNS1_3genE5ELNS1_11target_archE942ELNS1_3gpuE9ELNS1_3repE0EEENS1_30default_config_static_selectorELNS0_4arch9wavefront6targetE0EEEvT1_
		.amdhsa_group_segment_fixed_size 0
		.amdhsa_private_segment_fixed_size 0
		.amdhsa_kernarg_size 144
		.amdhsa_user_sgpr_count 6
		.amdhsa_user_sgpr_private_segment_buffer 1
		.amdhsa_user_sgpr_dispatch_ptr 0
		.amdhsa_user_sgpr_queue_ptr 0
		.amdhsa_user_sgpr_kernarg_segment_ptr 1
		.amdhsa_user_sgpr_dispatch_id 0
		.amdhsa_user_sgpr_flat_scratch_init 0
		.amdhsa_user_sgpr_private_segment_size 0
		.amdhsa_wavefront_size32 1
		.amdhsa_uses_dynamic_stack 0
		.amdhsa_system_sgpr_private_segment_wavefront_offset 0
		.amdhsa_system_sgpr_workgroup_id_x 1
		.amdhsa_system_sgpr_workgroup_id_y 0
		.amdhsa_system_sgpr_workgroup_id_z 0
		.amdhsa_system_sgpr_workgroup_info 0
		.amdhsa_system_vgpr_workitem_id 0
		.amdhsa_next_free_vgpr 1
		.amdhsa_next_free_sgpr 1
		.amdhsa_reserve_vcc 0
		.amdhsa_reserve_flat_scratch 0
		.amdhsa_float_round_mode_32 0
		.amdhsa_float_round_mode_16_64 0
		.amdhsa_float_denorm_mode_32 3
		.amdhsa_float_denorm_mode_16_64 3
		.amdhsa_dx10_clamp 1
		.amdhsa_ieee_mode 1
		.amdhsa_fp16_overflow 0
		.amdhsa_workgroup_processor_mode 1
		.amdhsa_memory_ordered 1
		.amdhsa_forward_progress 1
		.amdhsa_shared_vgpr_count 0
		.amdhsa_exception_fp_ieee_invalid_op 0
		.amdhsa_exception_fp_denorm_src 0
		.amdhsa_exception_fp_ieee_div_zero 0
		.amdhsa_exception_fp_ieee_overflow 0
		.amdhsa_exception_fp_ieee_underflow 0
		.amdhsa_exception_fp_ieee_inexact 0
		.amdhsa_exception_int_div_zero 0
	.end_amdhsa_kernel
	.section	.text._ZN7rocprim17ROCPRIM_400000_NS6detail17trampoline_kernelINS0_14default_configENS1_27scan_by_key_config_selectorIj11FixedVectorIiLj4EEEEZZNS1_16scan_by_key_implILNS1_25lookback_scan_determinismE0ELb0ES3_N6thrust23THRUST_200600_302600_NS6detail15normal_iteratorINSB_10device_ptrIjEEEENSD_INSE_IS6_EEEESI_S6_NSB_4plusIvEENSB_8equal_toIvEES6_EE10hipError_tPvRmT2_T3_T4_T5_mT6_T7_P12ihipStream_tbENKUlT_T0_E_clISt17integral_constantIbLb1EES12_IbLb0EEEEDaSY_SZ_EUlSY_E_NS1_11comp_targetILNS1_3genE5ELNS1_11target_archE942ELNS1_3gpuE9ELNS1_3repE0EEENS1_30default_config_static_selectorELNS0_4arch9wavefront6targetE0EEEvT1_,"axG",@progbits,_ZN7rocprim17ROCPRIM_400000_NS6detail17trampoline_kernelINS0_14default_configENS1_27scan_by_key_config_selectorIj11FixedVectorIiLj4EEEEZZNS1_16scan_by_key_implILNS1_25lookback_scan_determinismE0ELb0ES3_N6thrust23THRUST_200600_302600_NS6detail15normal_iteratorINSB_10device_ptrIjEEEENSD_INSE_IS6_EEEESI_S6_NSB_4plusIvEENSB_8equal_toIvEES6_EE10hipError_tPvRmT2_T3_T4_T5_mT6_T7_P12ihipStream_tbENKUlT_T0_E_clISt17integral_constantIbLb1EES12_IbLb0EEEEDaSY_SZ_EUlSY_E_NS1_11comp_targetILNS1_3genE5ELNS1_11target_archE942ELNS1_3gpuE9ELNS1_3repE0EEENS1_30default_config_static_selectorELNS0_4arch9wavefront6targetE0EEEvT1_,comdat
.Lfunc_end2057:
	.size	_ZN7rocprim17ROCPRIM_400000_NS6detail17trampoline_kernelINS0_14default_configENS1_27scan_by_key_config_selectorIj11FixedVectorIiLj4EEEEZZNS1_16scan_by_key_implILNS1_25lookback_scan_determinismE0ELb0ES3_N6thrust23THRUST_200600_302600_NS6detail15normal_iteratorINSB_10device_ptrIjEEEENSD_INSE_IS6_EEEESI_S6_NSB_4plusIvEENSB_8equal_toIvEES6_EE10hipError_tPvRmT2_T3_T4_T5_mT6_T7_P12ihipStream_tbENKUlT_T0_E_clISt17integral_constantIbLb1EES12_IbLb0EEEEDaSY_SZ_EUlSY_E_NS1_11comp_targetILNS1_3genE5ELNS1_11target_archE942ELNS1_3gpuE9ELNS1_3repE0EEENS1_30default_config_static_selectorELNS0_4arch9wavefront6targetE0EEEvT1_, .Lfunc_end2057-_ZN7rocprim17ROCPRIM_400000_NS6detail17trampoline_kernelINS0_14default_configENS1_27scan_by_key_config_selectorIj11FixedVectorIiLj4EEEEZZNS1_16scan_by_key_implILNS1_25lookback_scan_determinismE0ELb0ES3_N6thrust23THRUST_200600_302600_NS6detail15normal_iteratorINSB_10device_ptrIjEEEENSD_INSE_IS6_EEEESI_S6_NSB_4plusIvEENSB_8equal_toIvEES6_EE10hipError_tPvRmT2_T3_T4_T5_mT6_T7_P12ihipStream_tbENKUlT_T0_E_clISt17integral_constantIbLb1EES12_IbLb0EEEEDaSY_SZ_EUlSY_E_NS1_11comp_targetILNS1_3genE5ELNS1_11target_archE942ELNS1_3gpuE9ELNS1_3repE0EEENS1_30default_config_static_selectorELNS0_4arch9wavefront6targetE0EEEvT1_
                                        ; -- End function
	.set _ZN7rocprim17ROCPRIM_400000_NS6detail17trampoline_kernelINS0_14default_configENS1_27scan_by_key_config_selectorIj11FixedVectorIiLj4EEEEZZNS1_16scan_by_key_implILNS1_25lookback_scan_determinismE0ELb0ES3_N6thrust23THRUST_200600_302600_NS6detail15normal_iteratorINSB_10device_ptrIjEEEENSD_INSE_IS6_EEEESI_S6_NSB_4plusIvEENSB_8equal_toIvEES6_EE10hipError_tPvRmT2_T3_T4_T5_mT6_T7_P12ihipStream_tbENKUlT_T0_E_clISt17integral_constantIbLb1EES12_IbLb0EEEEDaSY_SZ_EUlSY_E_NS1_11comp_targetILNS1_3genE5ELNS1_11target_archE942ELNS1_3gpuE9ELNS1_3repE0EEENS1_30default_config_static_selectorELNS0_4arch9wavefront6targetE0EEEvT1_.num_vgpr, 0
	.set _ZN7rocprim17ROCPRIM_400000_NS6detail17trampoline_kernelINS0_14default_configENS1_27scan_by_key_config_selectorIj11FixedVectorIiLj4EEEEZZNS1_16scan_by_key_implILNS1_25lookback_scan_determinismE0ELb0ES3_N6thrust23THRUST_200600_302600_NS6detail15normal_iteratorINSB_10device_ptrIjEEEENSD_INSE_IS6_EEEESI_S6_NSB_4plusIvEENSB_8equal_toIvEES6_EE10hipError_tPvRmT2_T3_T4_T5_mT6_T7_P12ihipStream_tbENKUlT_T0_E_clISt17integral_constantIbLb1EES12_IbLb0EEEEDaSY_SZ_EUlSY_E_NS1_11comp_targetILNS1_3genE5ELNS1_11target_archE942ELNS1_3gpuE9ELNS1_3repE0EEENS1_30default_config_static_selectorELNS0_4arch9wavefront6targetE0EEEvT1_.num_agpr, 0
	.set _ZN7rocprim17ROCPRIM_400000_NS6detail17trampoline_kernelINS0_14default_configENS1_27scan_by_key_config_selectorIj11FixedVectorIiLj4EEEEZZNS1_16scan_by_key_implILNS1_25lookback_scan_determinismE0ELb0ES3_N6thrust23THRUST_200600_302600_NS6detail15normal_iteratorINSB_10device_ptrIjEEEENSD_INSE_IS6_EEEESI_S6_NSB_4plusIvEENSB_8equal_toIvEES6_EE10hipError_tPvRmT2_T3_T4_T5_mT6_T7_P12ihipStream_tbENKUlT_T0_E_clISt17integral_constantIbLb1EES12_IbLb0EEEEDaSY_SZ_EUlSY_E_NS1_11comp_targetILNS1_3genE5ELNS1_11target_archE942ELNS1_3gpuE9ELNS1_3repE0EEENS1_30default_config_static_selectorELNS0_4arch9wavefront6targetE0EEEvT1_.numbered_sgpr, 0
	.set _ZN7rocprim17ROCPRIM_400000_NS6detail17trampoline_kernelINS0_14default_configENS1_27scan_by_key_config_selectorIj11FixedVectorIiLj4EEEEZZNS1_16scan_by_key_implILNS1_25lookback_scan_determinismE0ELb0ES3_N6thrust23THRUST_200600_302600_NS6detail15normal_iteratorINSB_10device_ptrIjEEEENSD_INSE_IS6_EEEESI_S6_NSB_4plusIvEENSB_8equal_toIvEES6_EE10hipError_tPvRmT2_T3_T4_T5_mT6_T7_P12ihipStream_tbENKUlT_T0_E_clISt17integral_constantIbLb1EES12_IbLb0EEEEDaSY_SZ_EUlSY_E_NS1_11comp_targetILNS1_3genE5ELNS1_11target_archE942ELNS1_3gpuE9ELNS1_3repE0EEENS1_30default_config_static_selectorELNS0_4arch9wavefront6targetE0EEEvT1_.num_named_barrier, 0
	.set _ZN7rocprim17ROCPRIM_400000_NS6detail17trampoline_kernelINS0_14default_configENS1_27scan_by_key_config_selectorIj11FixedVectorIiLj4EEEEZZNS1_16scan_by_key_implILNS1_25lookback_scan_determinismE0ELb0ES3_N6thrust23THRUST_200600_302600_NS6detail15normal_iteratorINSB_10device_ptrIjEEEENSD_INSE_IS6_EEEESI_S6_NSB_4plusIvEENSB_8equal_toIvEES6_EE10hipError_tPvRmT2_T3_T4_T5_mT6_T7_P12ihipStream_tbENKUlT_T0_E_clISt17integral_constantIbLb1EES12_IbLb0EEEEDaSY_SZ_EUlSY_E_NS1_11comp_targetILNS1_3genE5ELNS1_11target_archE942ELNS1_3gpuE9ELNS1_3repE0EEENS1_30default_config_static_selectorELNS0_4arch9wavefront6targetE0EEEvT1_.private_seg_size, 0
	.set _ZN7rocprim17ROCPRIM_400000_NS6detail17trampoline_kernelINS0_14default_configENS1_27scan_by_key_config_selectorIj11FixedVectorIiLj4EEEEZZNS1_16scan_by_key_implILNS1_25lookback_scan_determinismE0ELb0ES3_N6thrust23THRUST_200600_302600_NS6detail15normal_iteratorINSB_10device_ptrIjEEEENSD_INSE_IS6_EEEESI_S6_NSB_4plusIvEENSB_8equal_toIvEES6_EE10hipError_tPvRmT2_T3_T4_T5_mT6_T7_P12ihipStream_tbENKUlT_T0_E_clISt17integral_constantIbLb1EES12_IbLb0EEEEDaSY_SZ_EUlSY_E_NS1_11comp_targetILNS1_3genE5ELNS1_11target_archE942ELNS1_3gpuE9ELNS1_3repE0EEENS1_30default_config_static_selectorELNS0_4arch9wavefront6targetE0EEEvT1_.uses_vcc, 0
	.set _ZN7rocprim17ROCPRIM_400000_NS6detail17trampoline_kernelINS0_14default_configENS1_27scan_by_key_config_selectorIj11FixedVectorIiLj4EEEEZZNS1_16scan_by_key_implILNS1_25lookback_scan_determinismE0ELb0ES3_N6thrust23THRUST_200600_302600_NS6detail15normal_iteratorINSB_10device_ptrIjEEEENSD_INSE_IS6_EEEESI_S6_NSB_4plusIvEENSB_8equal_toIvEES6_EE10hipError_tPvRmT2_T3_T4_T5_mT6_T7_P12ihipStream_tbENKUlT_T0_E_clISt17integral_constantIbLb1EES12_IbLb0EEEEDaSY_SZ_EUlSY_E_NS1_11comp_targetILNS1_3genE5ELNS1_11target_archE942ELNS1_3gpuE9ELNS1_3repE0EEENS1_30default_config_static_selectorELNS0_4arch9wavefront6targetE0EEEvT1_.uses_flat_scratch, 0
	.set _ZN7rocprim17ROCPRIM_400000_NS6detail17trampoline_kernelINS0_14default_configENS1_27scan_by_key_config_selectorIj11FixedVectorIiLj4EEEEZZNS1_16scan_by_key_implILNS1_25lookback_scan_determinismE0ELb0ES3_N6thrust23THRUST_200600_302600_NS6detail15normal_iteratorINSB_10device_ptrIjEEEENSD_INSE_IS6_EEEESI_S6_NSB_4plusIvEENSB_8equal_toIvEES6_EE10hipError_tPvRmT2_T3_T4_T5_mT6_T7_P12ihipStream_tbENKUlT_T0_E_clISt17integral_constantIbLb1EES12_IbLb0EEEEDaSY_SZ_EUlSY_E_NS1_11comp_targetILNS1_3genE5ELNS1_11target_archE942ELNS1_3gpuE9ELNS1_3repE0EEENS1_30default_config_static_selectorELNS0_4arch9wavefront6targetE0EEEvT1_.has_dyn_sized_stack, 0
	.set _ZN7rocprim17ROCPRIM_400000_NS6detail17trampoline_kernelINS0_14default_configENS1_27scan_by_key_config_selectorIj11FixedVectorIiLj4EEEEZZNS1_16scan_by_key_implILNS1_25lookback_scan_determinismE0ELb0ES3_N6thrust23THRUST_200600_302600_NS6detail15normal_iteratorINSB_10device_ptrIjEEEENSD_INSE_IS6_EEEESI_S6_NSB_4plusIvEENSB_8equal_toIvEES6_EE10hipError_tPvRmT2_T3_T4_T5_mT6_T7_P12ihipStream_tbENKUlT_T0_E_clISt17integral_constantIbLb1EES12_IbLb0EEEEDaSY_SZ_EUlSY_E_NS1_11comp_targetILNS1_3genE5ELNS1_11target_archE942ELNS1_3gpuE9ELNS1_3repE0EEENS1_30default_config_static_selectorELNS0_4arch9wavefront6targetE0EEEvT1_.has_recursion, 0
	.set _ZN7rocprim17ROCPRIM_400000_NS6detail17trampoline_kernelINS0_14default_configENS1_27scan_by_key_config_selectorIj11FixedVectorIiLj4EEEEZZNS1_16scan_by_key_implILNS1_25lookback_scan_determinismE0ELb0ES3_N6thrust23THRUST_200600_302600_NS6detail15normal_iteratorINSB_10device_ptrIjEEEENSD_INSE_IS6_EEEESI_S6_NSB_4plusIvEENSB_8equal_toIvEES6_EE10hipError_tPvRmT2_T3_T4_T5_mT6_T7_P12ihipStream_tbENKUlT_T0_E_clISt17integral_constantIbLb1EES12_IbLb0EEEEDaSY_SZ_EUlSY_E_NS1_11comp_targetILNS1_3genE5ELNS1_11target_archE942ELNS1_3gpuE9ELNS1_3repE0EEENS1_30default_config_static_selectorELNS0_4arch9wavefront6targetE0EEEvT1_.has_indirect_call, 0
	.section	.AMDGPU.csdata,"",@progbits
; Kernel info:
; codeLenInByte = 0
; TotalNumSgprs: 0
; NumVgprs: 0
; ScratchSize: 0
; MemoryBound: 0
; FloatMode: 240
; IeeeMode: 1
; LDSByteSize: 0 bytes/workgroup (compile time only)
; SGPRBlocks: 0
; VGPRBlocks: 0
; NumSGPRsForWavesPerEU: 1
; NumVGPRsForWavesPerEU: 1
; Occupancy: 16
; WaveLimiterHint : 0
; COMPUTE_PGM_RSRC2:SCRATCH_EN: 0
; COMPUTE_PGM_RSRC2:USER_SGPR: 6
; COMPUTE_PGM_RSRC2:TRAP_HANDLER: 0
; COMPUTE_PGM_RSRC2:TGID_X_EN: 1
; COMPUTE_PGM_RSRC2:TGID_Y_EN: 0
; COMPUTE_PGM_RSRC2:TGID_Z_EN: 0
; COMPUTE_PGM_RSRC2:TIDIG_COMP_CNT: 0
	.section	.text._ZN7rocprim17ROCPRIM_400000_NS6detail17trampoline_kernelINS0_14default_configENS1_27scan_by_key_config_selectorIj11FixedVectorIiLj4EEEEZZNS1_16scan_by_key_implILNS1_25lookback_scan_determinismE0ELb0ES3_N6thrust23THRUST_200600_302600_NS6detail15normal_iteratorINSB_10device_ptrIjEEEENSD_INSE_IS6_EEEESI_S6_NSB_4plusIvEENSB_8equal_toIvEES6_EE10hipError_tPvRmT2_T3_T4_T5_mT6_T7_P12ihipStream_tbENKUlT_T0_E_clISt17integral_constantIbLb1EES12_IbLb0EEEEDaSY_SZ_EUlSY_E_NS1_11comp_targetILNS1_3genE4ELNS1_11target_archE910ELNS1_3gpuE8ELNS1_3repE0EEENS1_30default_config_static_selectorELNS0_4arch9wavefront6targetE0EEEvT1_,"axG",@progbits,_ZN7rocprim17ROCPRIM_400000_NS6detail17trampoline_kernelINS0_14default_configENS1_27scan_by_key_config_selectorIj11FixedVectorIiLj4EEEEZZNS1_16scan_by_key_implILNS1_25lookback_scan_determinismE0ELb0ES3_N6thrust23THRUST_200600_302600_NS6detail15normal_iteratorINSB_10device_ptrIjEEEENSD_INSE_IS6_EEEESI_S6_NSB_4plusIvEENSB_8equal_toIvEES6_EE10hipError_tPvRmT2_T3_T4_T5_mT6_T7_P12ihipStream_tbENKUlT_T0_E_clISt17integral_constantIbLb1EES12_IbLb0EEEEDaSY_SZ_EUlSY_E_NS1_11comp_targetILNS1_3genE4ELNS1_11target_archE910ELNS1_3gpuE8ELNS1_3repE0EEENS1_30default_config_static_selectorELNS0_4arch9wavefront6targetE0EEEvT1_,comdat
	.protected	_ZN7rocprim17ROCPRIM_400000_NS6detail17trampoline_kernelINS0_14default_configENS1_27scan_by_key_config_selectorIj11FixedVectorIiLj4EEEEZZNS1_16scan_by_key_implILNS1_25lookback_scan_determinismE0ELb0ES3_N6thrust23THRUST_200600_302600_NS6detail15normal_iteratorINSB_10device_ptrIjEEEENSD_INSE_IS6_EEEESI_S6_NSB_4plusIvEENSB_8equal_toIvEES6_EE10hipError_tPvRmT2_T3_T4_T5_mT6_T7_P12ihipStream_tbENKUlT_T0_E_clISt17integral_constantIbLb1EES12_IbLb0EEEEDaSY_SZ_EUlSY_E_NS1_11comp_targetILNS1_3genE4ELNS1_11target_archE910ELNS1_3gpuE8ELNS1_3repE0EEENS1_30default_config_static_selectorELNS0_4arch9wavefront6targetE0EEEvT1_ ; -- Begin function _ZN7rocprim17ROCPRIM_400000_NS6detail17trampoline_kernelINS0_14default_configENS1_27scan_by_key_config_selectorIj11FixedVectorIiLj4EEEEZZNS1_16scan_by_key_implILNS1_25lookback_scan_determinismE0ELb0ES3_N6thrust23THRUST_200600_302600_NS6detail15normal_iteratorINSB_10device_ptrIjEEEENSD_INSE_IS6_EEEESI_S6_NSB_4plusIvEENSB_8equal_toIvEES6_EE10hipError_tPvRmT2_T3_T4_T5_mT6_T7_P12ihipStream_tbENKUlT_T0_E_clISt17integral_constantIbLb1EES12_IbLb0EEEEDaSY_SZ_EUlSY_E_NS1_11comp_targetILNS1_3genE4ELNS1_11target_archE910ELNS1_3gpuE8ELNS1_3repE0EEENS1_30default_config_static_selectorELNS0_4arch9wavefront6targetE0EEEvT1_
	.globl	_ZN7rocprim17ROCPRIM_400000_NS6detail17trampoline_kernelINS0_14default_configENS1_27scan_by_key_config_selectorIj11FixedVectorIiLj4EEEEZZNS1_16scan_by_key_implILNS1_25lookback_scan_determinismE0ELb0ES3_N6thrust23THRUST_200600_302600_NS6detail15normal_iteratorINSB_10device_ptrIjEEEENSD_INSE_IS6_EEEESI_S6_NSB_4plusIvEENSB_8equal_toIvEES6_EE10hipError_tPvRmT2_T3_T4_T5_mT6_T7_P12ihipStream_tbENKUlT_T0_E_clISt17integral_constantIbLb1EES12_IbLb0EEEEDaSY_SZ_EUlSY_E_NS1_11comp_targetILNS1_3genE4ELNS1_11target_archE910ELNS1_3gpuE8ELNS1_3repE0EEENS1_30default_config_static_selectorELNS0_4arch9wavefront6targetE0EEEvT1_
	.p2align	8
	.type	_ZN7rocprim17ROCPRIM_400000_NS6detail17trampoline_kernelINS0_14default_configENS1_27scan_by_key_config_selectorIj11FixedVectorIiLj4EEEEZZNS1_16scan_by_key_implILNS1_25lookback_scan_determinismE0ELb0ES3_N6thrust23THRUST_200600_302600_NS6detail15normal_iteratorINSB_10device_ptrIjEEEENSD_INSE_IS6_EEEESI_S6_NSB_4plusIvEENSB_8equal_toIvEES6_EE10hipError_tPvRmT2_T3_T4_T5_mT6_T7_P12ihipStream_tbENKUlT_T0_E_clISt17integral_constantIbLb1EES12_IbLb0EEEEDaSY_SZ_EUlSY_E_NS1_11comp_targetILNS1_3genE4ELNS1_11target_archE910ELNS1_3gpuE8ELNS1_3repE0EEENS1_30default_config_static_selectorELNS0_4arch9wavefront6targetE0EEEvT1_,@function
_ZN7rocprim17ROCPRIM_400000_NS6detail17trampoline_kernelINS0_14default_configENS1_27scan_by_key_config_selectorIj11FixedVectorIiLj4EEEEZZNS1_16scan_by_key_implILNS1_25lookback_scan_determinismE0ELb0ES3_N6thrust23THRUST_200600_302600_NS6detail15normal_iteratorINSB_10device_ptrIjEEEENSD_INSE_IS6_EEEESI_S6_NSB_4plusIvEENSB_8equal_toIvEES6_EE10hipError_tPvRmT2_T3_T4_T5_mT6_T7_P12ihipStream_tbENKUlT_T0_E_clISt17integral_constantIbLb1EES12_IbLb0EEEEDaSY_SZ_EUlSY_E_NS1_11comp_targetILNS1_3genE4ELNS1_11target_archE910ELNS1_3gpuE8ELNS1_3repE0EEENS1_30default_config_static_selectorELNS0_4arch9wavefront6targetE0EEEvT1_: ; @_ZN7rocprim17ROCPRIM_400000_NS6detail17trampoline_kernelINS0_14default_configENS1_27scan_by_key_config_selectorIj11FixedVectorIiLj4EEEEZZNS1_16scan_by_key_implILNS1_25lookback_scan_determinismE0ELb0ES3_N6thrust23THRUST_200600_302600_NS6detail15normal_iteratorINSB_10device_ptrIjEEEENSD_INSE_IS6_EEEESI_S6_NSB_4plusIvEENSB_8equal_toIvEES6_EE10hipError_tPvRmT2_T3_T4_T5_mT6_T7_P12ihipStream_tbENKUlT_T0_E_clISt17integral_constantIbLb1EES12_IbLb0EEEEDaSY_SZ_EUlSY_E_NS1_11comp_targetILNS1_3genE4ELNS1_11target_archE910ELNS1_3gpuE8ELNS1_3repE0EEENS1_30default_config_static_selectorELNS0_4arch9wavefront6targetE0EEEvT1_
; %bb.0:
	.section	.rodata,"a",@progbits
	.p2align	6, 0x0
	.amdhsa_kernel _ZN7rocprim17ROCPRIM_400000_NS6detail17trampoline_kernelINS0_14default_configENS1_27scan_by_key_config_selectorIj11FixedVectorIiLj4EEEEZZNS1_16scan_by_key_implILNS1_25lookback_scan_determinismE0ELb0ES3_N6thrust23THRUST_200600_302600_NS6detail15normal_iteratorINSB_10device_ptrIjEEEENSD_INSE_IS6_EEEESI_S6_NSB_4plusIvEENSB_8equal_toIvEES6_EE10hipError_tPvRmT2_T3_T4_T5_mT6_T7_P12ihipStream_tbENKUlT_T0_E_clISt17integral_constantIbLb1EES12_IbLb0EEEEDaSY_SZ_EUlSY_E_NS1_11comp_targetILNS1_3genE4ELNS1_11target_archE910ELNS1_3gpuE8ELNS1_3repE0EEENS1_30default_config_static_selectorELNS0_4arch9wavefront6targetE0EEEvT1_
		.amdhsa_group_segment_fixed_size 0
		.amdhsa_private_segment_fixed_size 0
		.amdhsa_kernarg_size 144
		.amdhsa_user_sgpr_count 6
		.amdhsa_user_sgpr_private_segment_buffer 1
		.amdhsa_user_sgpr_dispatch_ptr 0
		.amdhsa_user_sgpr_queue_ptr 0
		.amdhsa_user_sgpr_kernarg_segment_ptr 1
		.amdhsa_user_sgpr_dispatch_id 0
		.amdhsa_user_sgpr_flat_scratch_init 0
		.amdhsa_user_sgpr_private_segment_size 0
		.amdhsa_wavefront_size32 1
		.amdhsa_uses_dynamic_stack 0
		.amdhsa_system_sgpr_private_segment_wavefront_offset 0
		.amdhsa_system_sgpr_workgroup_id_x 1
		.amdhsa_system_sgpr_workgroup_id_y 0
		.amdhsa_system_sgpr_workgroup_id_z 0
		.amdhsa_system_sgpr_workgroup_info 0
		.amdhsa_system_vgpr_workitem_id 0
		.amdhsa_next_free_vgpr 1
		.amdhsa_next_free_sgpr 1
		.amdhsa_reserve_vcc 0
		.amdhsa_reserve_flat_scratch 0
		.amdhsa_float_round_mode_32 0
		.amdhsa_float_round_mode_16_64 0
		.amdhsa_float_denorm_mode_32 3
		.amdhsa_float_denorm_mode_16_64 3
		.amdhsa_dx10_clamp 1
		.amdhsa_ieee_mode 1
		.amdhsa_fp16_overflow 0
		.amdhsa_workgroup_processor_mode 1
		.amdhsa_memory_ordered 1
		.amdhsa_forward_progress 1
		.amdhsa_shared_vgpr_count 0
		.amdhsa_exception_fp_ieee_invalid_op 0
		.amdhsa_exception_fp_denorm_src 0
		.amdhsa_exception_fp_ieee_div_zero 0
		.amdhsa_exception_fp_ieee_overflow 0
		.amdhsa_exception_fp_ieee_underflow 0
		.amdhsa_exception_fp_ieee_inexact 0
		.amdhsa_exception_int_div_zero 0
	.end_amdhsa_kernel
	.section	.text._ZN7rocprim17ROCPRIM_400000_NS6detail17trampoline_kernelINS0_14default_configENS1_27scan_by_key_config_selectorIj11FixedVectorIiLj4EEEEZZNS1_16scan_by_key_implILNS1_25lookback_scan_determinismE0ELb0ES3_N6thrust23THRUST_200600_302600_NS6detail15normal_iteratorINSB_10device_ptrIjEEEENSD_INSE_IS6_EEEESI_S6_NSB_4plusIvEENSB_8equal_toIvEES6_EE10hipError_tPvRmT2_T3_T4_T5_mT6_T7_P12ihipStream_tbENKUlT_T0_E_clISt17integral_constantIbLb1EES12_IbLb0EEEEDaSY_SZ_EUlSY_E_NS1_11comp_targetILNS1_3genE4ELNS1_11target_archE910ELNS1_3gpuE8ELNS1_3repE0EEENS1_30default_config_static_selectorELNS0_4arch9wavefront6targetE0EEEvT1_,"axG",@progbits,_ZN7rocprim17ROCPRIM_400000_NS6detail17trampoline_kernelINS0_14default_configENS1_27scan_by_key_config_selectorIj11FixedVectorIiLj4EEEEZZNS1_16scan_by_key_implILNS1_25lookback_scan_determinismE0ELb0ES3_N6thrust23THRUST_200600_302600_NS6detail15normal_iteratorINSB_10device_ptrIjEEEENSD_INSE_IS6_EEEESI_S6_NSB_4plusIvEENSB_8equal_toIvEES6_EE10hipError_tPvRmT2_T3_T4_T5_mT6_T7_P12ihipStream_tbENKUlT_T0_E_clISt17integral_constantIbLb1EES12_IbLb0EEEEDaSY_SZ_EUlSY_E_NS1_11comp_targetILNS1_3genE4ELNS1_11target_archE910ELNS1_3gpuE8ELNS1_3repE0EEENS1_30default_config_static_selectorELNS0_4arch9wavefront6targetE0EEEvT1_,comdat
.Lfunc_end2058:
	.size	_ZN7rocprim17ROCPRIM_400000_NS6detail17trampoline_kernelINS0_14default_configENS1_27scan_by_key_config_selectorIj11FixedVectorIiLj4EEEEZZNS1_16scan_by_key_implILNS1_25lookback_scan_determinismE0ELb0ES3_N6thrust23THRUST_200600_302600_NS6detail15normal_iteratorINSB_10device_ptrIjEEEENSD_INSE_IS6_EEEESI_S6_NSB_4plusIvEENSB_8equal_toIvEES6_EE10hipError_tPvRmT2_T3_T4_T5_mT6_T7_P12ihipStream_tbENKUlT_T0_E_clISt17integral_constantIbLb1EES12_IbLb0EEEEDaSY_SZ_EUlSY_E_NS1_11comp_targetILNS1_3genE4ELNS1_11target_archE910ELNS1_3gpuE8ELNS1_3repE0EEENS1_30default_config_static_selectorELNS0_4arch9wavefront6targetE0EEEvT1_, .Lfunc_end2058-_ZN7rocprim17ROCPRIM_400000_NS6detail17trampoline_kernelINS0_14default_configENS1_27scan_by_key_config_selectorIj11FixedVectorIiLj4EEEEZZNS1_16scan_by_key_implILNS1_25lookback_scan_determinismE0ELb0ES3_N6thrust23THRUST_200600_302600_NS6detail15normal_iteratorINSB_10device_ptrIjEEEENSD_INSE_IS6_EEEESI_S6_NSB_4plusIvEENSB_8equal_toIvEES6_EE10hipError_tPvRmT2_T3_T4_T5_mT6_T7_P12ihipStream_tbENKUlT_T0_E_clISt17integral_constantIbLb1EES12_IbLb0EEEEDaSY_SZ_EUlSY_E_NS1_11comp_targetILNS1_3genE4ELNS1_11target_archE910ELNS1_3gpuE8ELNS1_3repE0EEENS1_30default_config_static_selectorELNS0_4arch9wavefront6targetE0EEEvT1_
                                        ; -- End function
	.set _ZN7rocprim17ROCPRIM_400000_NS6detail17trampoline_kernelINS0_14default_configENS1_27scan_by_key_config_selectorIj11FixedVectorIiLj4EEEEZZNS1_16scan_by_key_implILNS1_25lookback_scan_determinismE0ELb0ES3_N6thrust23THRUST_200600_302600_NS6detail15normal_iteratorINSB_10device_ptrIjEEEENSD_INSE_IS6_EEEESI_S6_NSB_4plusIvEENSB_8equal_toIvEES6_EE10hipError_tPvRmT2_T3_T4_T5_mT6_T7_P12ihipStream_tbENKUlT_T0_E_clISt17integral_constantIbLb1EES12_IbLb0EEEEDaSY_SZ_EUlSY_E_NS1_11comp_targetILNS1_3genE4ELNS1_11target_archE910ELNS1_3gpuE8ELNS1_3repE0EEENS1_30default_config_static_selectorELNS0_4arch9wavefront6targetE0EEEvT1_.num_vgpr, 0
	.set _ZN7rocprim17ROCPRIM_400000_NS6detail17trampoline_kernelINS0_14default_configENS1_27scan_by_key_config_selectorIj11FixedVectorIiLj4EEEEZZNS1_16scan_by_key_implILNS1_25lookback_scan_determinismE0ELb0ES3_N6thrust23THRUST_200600_302600_NS6detail15normal_iteratorINSB_10device_ptrIjEEEENSD_INSE_IS6_EEEESI_S6_NSB_4plusIvEENSB_8equal_toIvEES6_EE10hipError_tPvRmT2_T3_T4_T5_mT6_T7_P12ihipStream_tbENKUlT_T0_E_clISt17integral_constantIbLb1EES12_IbLb0EEEEDaSY_SZ_EUlSY_E_NS1_11comp_targetILNS1_3genE4ELNS1_11target_archE910ELNS1_3gpuE8ELNS1_3repE0EEENS1_30default_config_static_selectorELNS0_4arch9wavefront6targetE0EEEvT1_.num_agpr, 0
	.set _ZN7rocprim17ROCPRIM_400000_NS6detail17trampoline_kernelINS0_14default_configENS1_27scan_by_key_config_selectorIj11FixedVectorIiLj4EEEEZZNS1_16scan_by_key_implILNS1_25lookback_scan_determinismE0ELb0ES3_N6thrust23THRUST_200600_302600_NS6detail15normal_iteratorINSB_10device_ptrIjEEEENSD_INSE_IS6_EEEESI_S6_NSB_4plusIvEENSB_8equal_toIvEES6_EE10hipError_tPvRmT2_T3_T4_T5_mT6_T7_P12ihipStream_tbENKUlT_T0_E_clISt17integral_constantIbLb1EES12_IbLb0EEEEDaSY_SZ_EUlSY_E_NS1_11comp_targetILNS1_3genE4ELNS1_11target_archE910ELNS1_3gpuE8ELNS1_3repE0EEENS1_30default_config_static_selectorELNS0_4arch9wavefront6targetE0EEEvT1_.numbered_sgpr, 0
	.set _ZN7rocprim17ROCPRIM_400000_NS6detail17trampoline_kernelINS0_14default_configENS1_27scan_by_key_config_selectorIj11FixedVectorIiLj4EEEEZZNS1_16scan_by_key_implILNS1_25lookback_scan_determinismE0ELb0ES3_N6thrust23THRUST_200600_302600_NS6detail15normal_iteratorINSB_10device_ptrIjEEEENSD_INSE_IS6_EEEESI_S6_NSB_4plusIvEENSB_8equal_toIvEES6_EE10hipError_tPvRmT2_T3_T4_T5_mT6_T7_P12ihipStream_tbENKUlT_T0_E_clISt17integral_constantIbLb1EES12_IbLb0EEEEDaSY_SZ_EUlSY_E_NS1_11comp_targetILNS1_3genE4ELNS1_11target_archE910ELNS1_3gpuE8ELNS1_3repE0EEENS1_30default_config_static_selectorELNS0_4arch9wavefront6targetE0EEEvT1_.num_named_barrier, 0
	.set _ZN7rocprim17ROCPRIM_400000_NS6detail17trampoline_kernelINS0_14default_configENS1_27scan_by_key_config_selectorIj11FixedVectorIiLj4EEEEZZNS1_16scan_by_key_implILNS1_25lookback_scan_determinismE0ELb0ES3_N6thrust23THRUST_200600_302600_NS6detail15normal_iteratorINSB_10device_ptrIjEEEENSD_INSE_IS6_EEEESI_S6_NSB_4plusIvEENSB_8equal_toIvEES6_EE10hipError_tPvRmT2_T3_T4_T5_mT6_T7_P12ihipStream_tbENKUlT_T0_E_clISt17integral_constantIbLb1EES12_IbLb0EEEEDaSY_SZ_EUlSY_E_NS1_11comp_targetILNS1_3genE4ELNS1_11target_archE910ELNS1_3gpuE8ELNS1_3repE0EEENS1_30default_config_static_selectorELNS0_4arch9wavefront6targetE0EEEvT1_.private_seg_size, 0
	.set _ZN7rocprim17ROCPRIM_400000_NS6detail17trampoline_kernelINS0_14default_configENS1_27scan_by_key_config_selectorIj11FixedVectorIiLj4EEEEZZNS1_16scan_by_key_implILNS1_25lookback_scan_determinismE0ELb0ES3_N6thrust23THRUST_200600_302600_NS6detail15normal_iteratorINSB_10device_ptrIjEEEENSD_INSE_IS6_EEEESI_S6_NSB_4plusIvEENSB_8equal_toIvEES6_EE10hipError_tPvRmT2_T3_T4_T5_mT6_T7_P12ihipStream_tbENKUlT_T0_E_clISt17integral_constantIbLb1EES12_IbLb0EEEEDaSY_SZ_EUlSY_E_NS1_11comp_targetILNS1_3genE4ELNS1_11target_archE910ELNS1_3gpuE8ELNS1_3repE0EEENS1_30default_config_static_selectorELNS0_4arch9wavefront6targetE0EEEvT1_.uses_vcc, 0
	.set _ZN7rocprim17ROCPRIM_400000_NS6detail17trampoline_kernelINS0_14default_configENS1_27scan_by_key_config_selectorIj11FixedVectorIiLj4EEEEZZNS1_16scan_by_key_implILNS1_25lookback_scan_determinismE0ELb0ES3_N6thrust23THRUST_200600_302600_NS6detail15normal_iteratorINSB_10device_ptrIjEEEENSD_INSE_IS6_EEEESI_S6_NSB_4plusIvEENSB_8equal_toIvEES6_EE10hipError_tPvRmT2_T3_T4_T5_mT6_T7_P12ihipStream_tbENKUlT_T0_E_clISt17integral_constantIbLb1EES12_IbLb0EEEEDaSY_SZ_EUlSY_E_NS1_11comp_targetILNS1_3genE4ELNS1_11target_archE910ELNS1_3gpuE8ELNS1_3repE0EEENS1_30default_config_static_selectorELNS0_4arch9wavefront6targetE0EEEvT1_.uses_flat_scratch, 0
	.set _ZN7rocprim17ROCPRIM_400000_NS6detail17trampoline_kernelINS0_14default_configENS1_27scan_by_key_config_selectorIj11FixedVectorIiLj4EEEEZZNS1_16scan_by_key_implILNS1_25lookback_scan_determinismE0ELb0ES3_N6thrust23THRUST_200600_302600_NS6detail15normal_iteratorINSB_10device_ptrIjEEEENSD_INSE_IS6_EEEESI_S6_NSB_4plusIvEENSB_8equal_toIvEES6_EE10hipError_tPvRmT2_T3_T4_T5_mT6_T7_P12ihipStream_tbENKUlT_T0_E_clISt17integral_constantIbLb1EES12_IbLb0EEEEDaSY_SZ_EUlSY_E_NS1_11comp_targetILNS1_3genE4ELNS1_11target_archE910ELNS1_3gpuE8ELNS1_3repE0EEENS1_30default_config_static_selectorELNS0_4arch9wavefront6targetE0EEEvT1_.has_dyn_sized_stack, 0
	.set _ZN7rocprim17ROCPRIM_400000_NS6detail17trampoline_kernelINS0_14default_configENS1_27scan_by_key_config_selectorIj11FixedVectorIiLj4EEEEZZNS1_16scan_by_key_implILNS1_25lookback_scan_determinismE0ELb0ES3_N6thrust23THRUST_200600_302600_NS6detail15normal_iteratorINSB_10device_ptrIjEEEENSD_INSE_IS6_EEEESI_S6_NSB_4plusIvEENSB_8equal_toIvEES6_EE10hipError_tPvRmT2_T3_T4_T5_mT6_T7_P12ihipStream_tbENKUlT_T0_E_clISt17integral_constantIbLb1EES12_IbLb0EEEEDaSY_SZ_EUlSY_E_NS1_11comp_targetILNS1_3genE4ELNS1_11target_archE910ELNS1_3gpuE8ELNS1_3repE0EEENS1_30default_config_static_selectorELNS0_4arch9wavefront6targetE0EEEvT1_.has_recursion, 0
	.set _ZN7rocprim17ROCPRIM_400000_NS6detail17trampoline_kernelINS0_14default_configENS1_27scan_by_key_config_selectorIj11FixedVectorIiLj4EEEEZZNS1_16scan_by_key_implILNS1_25lookback_scan_determinismE0ELb0ES3_N6thrust23THRUST_200600_302600_NS6detail15normal_iteratorINSB_10device_ptrIjEEEENSD_INSE_IS6_EEEESI_S6_NSB_4plusIvEENSB_8equal_toIvEES6_EE10hipError_tPvRmT2_T3_T4_T5_mT6_T7_P12ihipStream_tbENKUlT_T0_E_clISt17integral_constantIbLb1EES12_IbLb0EEEEDaSY_SZ_EUlSY_E_NS1_11comp_targetILNS1_3genE4ELNS1_11target_archE910ELNS1_3gpuE8ELNS1_3repE0EEENS1_30default_config_static_selectorELNS0_4arch9wavefront6targetE0EEEvT1_.has_indirect_call, 0
	.section	.AMDGPU.csdata,"",@progbits
; Kernel info:
; codeLenInByte = 0
; TotalNumSgprs: 0
; NumVgprs: 0
; ScratchSize: 0
; MemoryBound: 0
; FloatMode: 240
; IeeeMode: 1
; LDSByteSize: 0 bytes/workgroup (compile time only)
; SGPRBlocks: 0
; VGPRBlocks: 0
; NumSGPRsForWavesPerEU: 1
; NumVGPRsForWavesPerEU: 1
; Occupancy: 16
; WaveLimiterHint : 0
; COMPUTE_PGM_RSRC2:SCRATCH_EN: 0
; COMPUTE_PGM_RSRC2:USER_SGPR: 6
; COMPUTE_PGM_RSRC2:TRAP_HANDLER: 0
; COMPUTE_PGM_RSRC2:TGID_X_EN: 1
; COMPUTE_PGM_RSRC2:TGID_Y_EN: 0
; COMPUTE_PGM_RSRC2:TGID_Z_EN: 0
; COMPUTE_PGM_RSRC2:TIDIG_COMP_CNT: 0
	.section	.text._ZN7rocprim17ROCPRIM_400000_NS6detail17trampoline_kernelINS0_14default_configENS1_27scan_by_key_config_selectorIj11FixedVectorIiLj4EEEEZZNS1_16scan_by_key_implILNS1_25lookback_scan_determinismE0ELb0ES3_N6thrust23THRUST_200600_302600_NS6detail15normal_iteratorINSB_10device_ptrIjEEEENSD_INSE_IS6_EEEESI_S6_NSB_4plusIvEENSB_8equal_toIvEES6_EE10hipError_tPvRmT2_T3_T4_T5_mT6_T7_P12ihipStream_tbENKUlT_T0_E_clISt17integral_constantIbLb1EES12_IbLb0EEEEDaSY_SZ_EUlSY_E_NS1_11comp_targetILNS1_3genE3ELNS1_11target_archE908ELNS1_3gpuE7ELNS1_3repE0EEENS1_30default_config_static_selectorELNS0_4arch9wavefront6targetE0EEEvT1_,"axG",@progbits,_ZN7rocprim17ROCPRIM_400000_NS6detail17trampoline_kernelINS0_14default_configENS1_27scan_by_key_config_selectorIj11FixedVectorIiLj4EEEEZZNS1_16scan_by_key_implILNS1_25lookback_scan_determinismE0ELb0ES3_N6thrust23THRUST_200600_302600_NS6detail15normal_iteratorINSB_10device_ptrIjEEEENSD_INSE_IS6_EEEESI_S6_NSB_4plusIvEENSB_8equal_toIvEES6_EE10hipError_tPvRmT2_T3_T4_T5_mT6_T7_P12ihipStream_tbENKUlT_T0_E_clISt17integral_constantIbLb1EES12_IbLb0EEEEDaSY_SZ_EUlSY_E_NS1_11comp_targetILNS1_3genE3ELNS1_11target_archE908ELNS1_3gpuE7ELNS1_3repE0EEENS1_30default_config_static_selectorELNS0_4arch9wavefront6targetE0EEEvT1_,comdat
	.protected	_ZN7rocprim17ROCPRIM_400000_NS6detail17trampoline_kernelINS0_14default_configENS1_27scan_by_key_config_selectorIj11FixedVectorIiLj4EEEEZZNS1_16scan_by_key_implILNS1_25lookback_scan_determinismE0ELb0ES3_N6thrust23THRUST_200600_302600_NS6detail15normal_iteratorINSB_10device_ptrIjEEEENSD_INSE_IS6_EEEESI_S6_NSB_4plusIvEENSB_8equal_toIvEES6_EE10hipError_tPvRmT2_T3_T4_T5_mT6_T7_P12ihipStream_tbENKUlT_T0_E_clISt17integral_constantIbLb1EES12_IbLb0EEEEDaSY_SZ_EUlSY_E_NS1_11comp_targetILNS1_3genE3ELNS1_11target_archE908ELNS1_3gpuE7ELNS1_3repE0EEENS1_30default_config_static_selectorELNS0_4arch9wavefront6targetE0EEEvT1_ ; -- Begin function _ZN7rocprim17ROCPRIM_400000_NS6detail17trampoline_kernelINS0_14default_configENS1_27scan_by_key_config_selectorIj11FixedVectorIiLj4EEEEZZNS1_16scan_by_key_implILNS1_25lookback_scan_determinismE0ELb0ES3_N6thrust23THRUST_200600_302600_NS6detail15normal_iteratorINSB_10device_ptrIjEEEENSD_INSE_IS6_EEEESI_S6_NSB_4plusIvEENSB_8equal_toIvEES6_EE10hipError_tPvRmT2_T3_T4_T5_mT6_T7_P12ihipStream_tbENKUlT_T0_E_clISt17integral_constantIbLb1EES12_IbLb0EEEEDaSY_SZ_EUlSY_E_NS1_11comp_targetILNS1_3genE3ELNS1_11target_archE908ELNS1_3gpuE7ELNS1_3repE0EEENS1_30default_config_static_selectorELNS0_4arch9wavefront6targetE0EEEvT1_
	.globl	_ZN7rocprim17ROCPRIM_400000_NS6detail17trampoline_kernelINS0_14default_configENS1_27scan_by_key_config_selectorIj11FixedVectorIiLj4EEEEZZNS1_16scan_by_key_implILNS1_25lookback_scan_determinismE0ELb0ES3_N6thrust23THRUST_200600_302600_NS6detail15normal_iteratorINSB_10device_ptrIjEEEENSD_INSE_IS6_EEEESI_S6_NSB_4plusIvEENSB_8equal_toIvEES6_EE10hipError_tPvRmT2_T3_T4_T5_mT6_T7_P12ihipStream_tbENKUlT_T0_E_clISt17integral_constantIbLb1EES12_IbLb0EEEEDaSY_SZ_EUlSY_E_NS1_11comp_targetILNS1_3genE3ELNS1_11target_archE908ELNS1_3gpuE7ELNS1_3repE0EEENS1_30default_config_static_selectorELNS0_4arch9wavefront6targetE0EEEvT1_
	.p2align	8
	.type	_ZN7rocprim17ROCPRIM_400000_NS6detail17trampoline_kernelINS0_14default_configENS1_27scan_by_key_config_selectorIj11FixedVectorIiLj4EEEEZZNS1_16scan_by_key_implILNS1_25lookback_scan_determinismE0ELb0ES3_N6thrust23THRUST_200600_302600_NS6detail15normal_iteratorINSB_10device_ptrIjEEEENSD_INSE_IS6_EEEESI_S6_NSB_4plusIvEENSB_8equal_toIvEES6_EE10hipError_tPvRmT2_T3_T4_T5_mT6_T7_P12ihipStream_tbENKUlT_T0_E_clISt17integral_constantIbLb1EES12_IbLb0EEEEDaSY_SZ_EUlSY_E_NS1_11comp_targetILNS1_3genE3ELNS1_11target_archE908ELNS1_3gpuE7ELNS1_3repE0EEENS1_30default_config_static_selectorELNS0_4arch9wavefront6targetE0EEEvT1_,@function
_ZN7rocprim17ROCPRIM_400000_NS6detail17trampoline_kernelINS0_14default_configENS1_27scan_by_key_config_selectorIj11FixedVectorIiLj4EEEEZZNS1_16scan_by_key_implILNS1_25lookback_scan_determinismE0ELb0ES3_N6thrust23THRUST_200600_302600_NS6detail15normal_iteratorINSB_10device_ptrIjEEEENSD_INSE_IS6_EEEESI_S6_NSB_4plusIvEENSB_8equal_toIvEES6_EE10hipError_tPvRmT2_T3_T4_T5_mT6_T7_P12ihipStream_tbENKUlT_T0_E_clISt17integral_constantIbLb1EES12_IbLb0EEEEDaSY_SZ_EUlSY_E_NS1_11comp_targetILNS1_3genE3ELNS1_11target_archE908ELNS1_3gpuE7ELNS1_3repE0EEENS1_30default_config_static_selectorELNS0_4arch9wavefront6targetE0EEEvT1_: ; @_ZN7rocprim17ROCPRIM_400000_NS6detail17trampoline_kernelINS0_14default_configENS1_27scan_by_key_config_selectorIj11FixedVectorIiLj4EEEEZZNS1_16scan_by_key_implILNS1_25lookback_scan_determinismE0ELb0ES3_N6thrust23THRUST_200600_302600_NS6detail15normal_iteratorINSB_10device_ptrIjEEEENSD_INSE_IS6_EEEESI_S6_NSB_4plusIvEENSB_8equal_toIvEES6_EE10hipError_tPvRmT2_T3_T4_T5_mT6_T7_P12ihipStream_tbENKUlT_T0_E_clISt17integral_constantIbLb1EES12_IbLb0EEEEDaSY_SZ_EUlSY_E_NS1_11comp_targetILNS1_3genE3ELNS1_11target_archE908ELNS1_3gpuE7ELNS1_3repE0EEENS1_30default_config_static_selectorELNS0_4arch9wavefront6targetE0EEEvT1_
; %bb.0:
	.section	.rodata,"a",@progbits
	.p2align	6, 0x0
	.amdhsa_kernel _ZN7rocprim17ROCPRIM_400000_NS6detail17trampoline_kernelINS0_14default_configENS1_27scan_by_key_config_selectorIj11FixedVectorIiLj4EEEEZZNS1_16scan_by_key_implILNS1_25lookback_scan_determinismE0ELb0ES3_N6thrust23THRUST_200600_302600_NS6detail15normal_iteratorINSB_10device_ptrIjEEEENSD_INSE_IS6_EEEESI_S6_NSB_4plusIvEENSB_8equal_toIvEES6_EE10hipError_tPvRmT2_T3_T4_T5_mT6_T7_P12ihipStream_tbENKUlT_T0_E_clISt17integral_constantIbLb1EES12_IbLb0EEEEDaSY_SZ_EUlSY_E_NS1_11comp_targetILNS1_3genE3ELNS1_11target_archE908ELNS1_3gpuE7ELNS1_3repE0EEENS1_30default_config_static_selectorELNS0_4arch9wavefront6targetE0EEEvT1_
		.amdhsa_group_segment_fixed_size 0
		.amdhsa_private_segment_fixed_size 0
		.amdhsa_kernarg_size 144
		.amdhsa_user_sgpr_count 6
		.amdhsa_user_sgpr_private_segment_buffer 1
		.amdhsa_user_sgpr_dispatch_ptr 0
		.amdhsa_user_sgpr_queue_ptr 0
		.amdhsa_user_sgpr_kernarg_segment_ptr 1
		.amdhsa_user_sgpr_dispatch_id 0
		.amdhsa_user_sgpr_flat_scratch_init 0
		.amdhsa_user_sgpr_private_segment_size 0
		.amdhsa_wavefront_size32 1
		.amdhsa_uses_dynamic_stack 0
		.amdhsa_system_sgpr_private_segment_wavefront_offset 0
		.amdhsa_system_sgpr_workgroup_id_x 1
		.amdhsa_system_sgpr_workgroup_id_y 0
		.amdhsa_system_sgpr_workgroup_id_z 0
		.amdhsa_system_sgpr_workgroup_info 0
		.amdhsa_system_vgpr_workitem_id 0
		.amdhsa_next_free_vgpr 1
		.amdhsa_next_free_sgpr 1
		.amdhsa_reserve_vcc 0
		.amdhsa_reserve_flat_scratch 0
		.amdhsa_float_round_mode_32 0
		.amdhsa_float_round_mode_16_64 0
		.amdhsa_float_denorm_mode_32 3
		.amdhsa_float_denorm_mode_16_64 3
		.amdhsa_dx10_clamp 1
		.amdhsa_ieee_mode 1
		.amdhsa_fp16_overflow 0
		.amdhsa_workgroup_processor_mode 1
		.amdhsa_memory_ordered 1
		.amdhsa_forward_progress 1
		.amdhsa_shared_vgpr_count 0
		.amdhsa_exception_fp_ieee_invalid_op 0
		.amdhsa_exception_fp_denorm_src 0
		.amdhsa_exception_fp_ieee_div_zero 0
		.amdhsa_exception_fp_ieee_overflow 0
		.amdhsa_exception_fp_ieee_underflow 0
		.amdhsa_exception_fp_ieee_inexact 0
		.amdhsa_exception_int_div_zero 0
	.end_amdhsa_kernel
	.section	.text._ZN7rocprim17ROCPRIM_400000_NS6detail17trampoline_kernelINS0_14default_configENS1_27scan_by_key_config_selectorIj11FixedVectorIiLj4EEEEZZNS1_16scan_by_key_implILNS1_25lookback_scan_determinismE0ELb0ES3_N6thrust23THRUST_200600_302600_NS6detail15normal_iteratorINSB_10device_ptrIjEEEENSD_INSE_IS6_EEEESI_S6_NSB_4plusIvEENSB_8equal_toIvEES6_EE10hipError_tPvRmT2_T3_T4_T5_mT6_T7_P12ihipStream_tbENKUlT_T0_E_clISt17integral_constantIbLb1EES12_IbLb0EEEEDaSY_SZ_EUlSY_E_NS1_11comp_targetILNS1_3genE3ELNS1_11target_archE908ELNS1_3gpuE7ELNS1_3repE0EEENS1_30default_config_static_selectorELNS0_4arch9wavefront6targetE0EEEvT1_,"axG",@progbits,_ZN7rocprim17ROCPRIM_400000_NS6detail17trampoline_kernelINS0_14default_configENS1_27scan_by_key_config_selectorIj11FixedVectorIiLj4EEEEZZNS1_16scan_by_key_implILNS1_25lookback_scan_determinismE0ELb0ES3_N6thrust23THRUST_200600_302600_NS6detail15normal_iteratorINSB_10device_ptrIjEEEENSD_INSE_IS6_EEEESI_S6_NSB_4plusIvEENSB_8equal_toIvEES6_EE10hipError_tPvRmT2_T3_T4_T5_mT6_T7_P12ihipStream_tbENKUlT_T0_E_clISt17integral_constantIbLb1EES12_IbLb0EEEEDaSY_SZ_EUlSY_E_NS1_11comp_targetILNS1_3genE3ELNS1_11target_archE908ELNS1_3gpuE7ELNS1_3repE0EEENS1_30default_config_static_selectorELNS0_4arch9wavefront6targetE0EEEvT1_,comdat
.Lfunc_end2059:
	.size	_ZN7rocprim17ROCPRIM_400000_NS6detail17trampoline_kernelINS0_14default_configENS1_27scan_by_key_config_selectorIj11FixedVectorIiLj4EEEEZZNS1_16scan_by_key_implILNS1_25lookback_scan_determinismE0ELb0ES3_N6thrust23THRUST_200600_302600_NS6detail15normal_iteratorINSB_10device_ptrIjEEEENSD_INSE_IS6_EEEESI_S6_NSB_4plusIvEENSB_8equal_toIvEES6_EE10hipError_tPvRmT2_T3_T4_T5_mT6_T7_P12ihipStream_tbENKUlT_T0_E_clISt17integral_constantIbLb1EES12_IbLb0EEEEDaSY_SZ_EUlSY_E_NS1_11comp_targetILNS1_3genE3ELNS1_11target_archE908ELNS1_3gpuE7ELNS1_3repE0EEENS1_30default_config_static_selectorELNS0_4arch9wavefront6targetE0EEEvT1_, .Lfunc_end2059-_ZN7rocprim17ROCPRIM_400000_NS6detail17trampoline_kernelINS0_14default_configENS1_27scan_by_key_config_selectorIj11FixedVectorIiLj4EEEEZZNS1_16scan_by_key_implILNS1_25lookback_scan_determinismE0ELb0ES3_N6thrust23THRUST_200600_302600_NS6detail15normal_iteratorINSB_10device_ptrIjEEEENSD_INSE_IS6_EEEESI_S6_NSB_4plusIvEENSB_8equal_toIvEES6_EE10hipError_tPvRmT2_T3_T4_T5_mT6_T7_P12ihipStream_tbENKUlT_T0_E_clISt17integral_constantIbLb1EES12_IbLb0EEEEDaSY_SZ_EUlSY_E_NS1_11comp_targetILNS1_3genE3ELNS1_11target_archE908ELNS1_3gpuE7ELNS1_3repE0EEENS1_30default_config_static_selectorELNS0_4arch9wavefront6targetE0EEEvT1_
                                        ; -- End function
	.set _ZN7rocprim17ROCPRIM_400000_NS6detail17trampoline_kernelINS0_14default_configENS1_27scan_by_key_config_selectorIj11FixedVectorIiLj4EEEEZZNS1_16scan_by_key_implILNS1_25lookback_scan_determinismE0ELb0ES3_N6thrust23THRUST_200600_302600_NS6detail15normal_iteratorINSB_10device_ptrIjEEEENSD_INSE_IS6_EEEESI_S6_NSB_4plusIvEENSB_8equal_toIvEES6_EE10hipError_tPvRmT2_T3_T4_T5_mT6_T7_P12ihipStream_tbENKUlT_T0_E_clISt17integral_constantIbLb1EES12_IbLb0EEEEDaSY_SZ_EUlSY_E_NS1_11comp_targetILNS1_3genE3ELNS1_11target_archE908ELNS1_3gpuE7ELNS1_3repE0EEENS1_30default_config_static_selectorELNS0_4arch9wavefront6targetE0EEEvT1_.num_vgpr, 0
	.set _ZN7rocprim17ROCPRIM_400000_NS6detail17trampoline_kernelINS0_14default_configENS1_27scan_by_key_config_selectorIj11FixedVectorIiLj4EEEEZZNS1_16scan_by_key_implILNS1_25lookback_scan_determinismE0ELb0ES3_N6thrust23THRUST_200600_302600_NS6detail15normal_iteratorINSB_10device_ptrIjEEEENSD_INSE_IS6_EEEESI_S6_NSB_4plusIvEENSB_8equal_toIvEES6_EE10hipError_tPvRmT2_T3_T4_T5_mT6_T7_P12ihipStream_tbENKUlT_T0_E_clISt17integral_constantIbLb1EES12_IbLb0EEEEDaSY_SZ_EUlSY_E_NS1_11comp_targetILNS1_3genE3ELNS1_11target_archE908ELNS1_3gpuE7ELNS1_3repE0EEENS1_30default_config_static_selectorELNS0_4arch9wavefront6targetE0EEEvT1_.num_agpr, 0
	.set _ZN7rocprim17ROCPRIM_400000_NS6detail17trampoline_kernelINS0_14default_configENS1_27scan_by_key_config_selectorIj11FixedVectorIiLj4EEEEZZNS1_16scan_by_key_implILNS1_25lookback_scan_determinismE0ELb0ES3_N6thrust23THRUST_200600_302600_NS6detail15normal_iteratorINSB_10device_ptrIjEEEENSD_INSE_IS6_EEEESI_S6_NSB_4plusIvEENSB_8equal_toIvEES6_EE10hipError_tPvRmT2_T3_T4_T5_mT6_T7_P12ihipStream_tbENKUlT_T0_E_clISt17integral_constantIbLb1EES12_IbLb0EEEEDaSY_SZ_EUlSY_E_NS1_11comp_targetILNS1_3genE3ELNS1_11target_archE908ELNS1_3gpuE7ELNS1_3repE0EEENS1_30default_config_static_selectorELNS0_4arch9wavefront6targetE0EEEvT1_.numbered_sgpr, 0
	.set _ZN7rocprim17ROCPRIM_400000_NS6detail17trampoline_kernelINS0_14default_configENS1_27scan_by_key_config_selectorIj11FixedVectorIiLj4EEEEZZNS1_16scan_by_key_implILNS1_25lookback_scan_determinismE0ELb0ES3_N6thrust23THRUST_200600_302600_NS6detail15normal_iteratorINSB_10device_ptrIjEEEENSD_INSE_IS6_EEEESI_S6_NSB_4plusIvEENSB_8equal_toIvEES6_EE10hipError_tPvRmT2_T3_T4_T5_mT6_T7_P12ihipStream_tbENKUlT_T0_E_clISt17integral_constantIbLb1EES12_IbLb0EEEEDaSY_SZ_EUlSY_E_NS1_11comp_targetILNS1_3genE3ELNS1_11target_archE908ELNS1_3gpuE7ELNS1_3repE0EEENS1_30default_config_static_selectorELNS0_4arch9wavefront6targetE0EEEvT1_.num_named_barrier, 0
	.set _ZN7rocprim17ROCPRIM_400000_NS6detail17trampoline_kernelINS0_14default_configENS1_27scan_by_key_config_selectorIj11FixedVectorIiLj4EEEEZZNS1_16scan_by_key_implILNS1_25lookback_scan_determinismE0ELb0ES3_N6thrust23THRUST_200600_302600_NS6detail15normal_iteratorINSB_10device_ptrIjEEEENSD_INSE_IS6_EEEESI_S6_NSB_4plusIvEENSB_8equal_toIvEES6_EE10hipError_tPvRmT2_T3_T4_T5_mT6_T7_P12ihipStream_tbENKUlT_T0_E_clISt17integral_constantIbLb1EES12_IbLb0EEEEDaSY_SZ_EUlSY_E_NS1_11comp_targetILNS1_3genE3ELNS1_11target_archE908ELNS1_3gpuE7ELNS1_3repE0EEENS1_30default_config_static_selectorELNS0_4arch9wavefront6targetE0EEEvT1_.private_seg_size, 0
	.set _ZN7rocprim17ROCPRIM_400000_NS6detail17trampoline_kernelINS0_14default_configENS1_27scan_by_key_config_selectorIj11FixedVectorIiLj4EEEEZZNS1_16scan_by_key_implILNS1_25lookback_scan_determinismE0ELb0ES3_N6thrust23THRUST_200600_302600_NS6detail15normal_iteratorINSB_10device_ptrIjEEEENSD_INSE_IS6_EEEESI_S6_NSB_4plusIvEENSB_8equal_toIvEES6_EE10hipError_tPvRmT2_T3_T4_T5_mT6_T7_P12ihipStream_tbENKUlT_T0_E_clISt17integral_constantIbLb1EES12_IbLb0EEEEDaSY_SZ_EUlSY_E_NS1_11comp_targetILNS1_3genE3ELNS1_11target_archE908ELNS1_3gpuE7ELNS1_3repE0EEENS1_30default_config_static_selectorELNS0_4arch9wavefront6targetE0EEEvT1_.uses_vcc, 0
	.set _ZN7rocprim17ROCPRIM_400000_NS6detail17trampoline_kernelINS0_14default_configENS1_27scan_by_key_config_selectorIj11FixedVectorIiLj4EEEEZZNS1_16scan_by_key_implILNS1_25lookback_scan_determinismE0ELb0ES3_N6thrust23THRUST_200600_302600_NS6detail15normal_iteratorINSB_10device_ptrIjEEEENSD_INSE_IS6_EEEESI_S6_NSB_4plusIvEENSB_8equal_toIvEES6_EE10hipError_tPvRmT2_T3_T4_T5_mT6_T7_P12ihipStream_tbENKUlT_T0_E_clISt17integral_constantIbLb1EES12_IbLb0EEEEDaSY_SZ_EUlSY_E_NS1_11comp_targetILNS1_3genE3ELNS1_11target_archE908ELNS1_3gpuE7ELNS1_3repE0EEENS1_30default_config_static_selectorELNS0_4arch9wavefront6targetE0EEEvT1_.uses_flat_scratch, 0
	.set _ZN7rocprim17ROCPRIM_400000_NS6detail17trampoline_kernelINS0_14default_configENS1_27scan_by_key_config_selectorIj11FixedVectorIiLj4EEEEZZNS1_16scan_by_key_implILNS1_25lookback_scan_determinismE0ELb0ES3_N6thrust23THRUST_200600_302600_NS6detail15normal_iteratorINSB_10device_ptrIjEEEENSD_INSE_IS6_EEEESI_S6_NSB_4plusIvEENSB_8equal_toIvEES6_EE10hipError_tPvRmT2_T3_T4_T5_mT6_T7_P12ihipStream_tbENKUlT_T0_E_clISt17integral_constantIbLb1EES12_IbLb0EEEEDaSY_SZ_EUlSY_E_NS1_11comp_targetILNS1_3genE3ELNS1_11target_archE908ELNS1_3gpuE7ELNS1_3repE0EEENS1_30default_config_static_selectorELNS0_4arch9wavefront6targetE0EEEvT1_.has_dyn_sized_stack, 0
	.set _ZN7rocprim17ROCPRIM_400000_NS6detail17trampoline_kernelINS0_14default_configENS1_27scan_by_key_config_selectorIj11FixedVectorIiLj4EEEEZZNS1_16scan_by_key_implILNS1_25lookback_scan_determinismE0ELb0ES3_N6thrust23THRUST_200600_302600_NS6detail15normal_iteratorINSB_10device_ptrIjEEEENSD_INSE_IS6_EEEESI_S6_NSB_4plusIvEENSB_8equal_toIvEES6_EE10hipError_tPvRmT2_T3_T4_T5_mT6_T7_P12ihipStream_tbENKUlT_T0_E_clISt17integral_constantIbLb1EES12_IbLb0EEEEDaSY_SZ_EUlSY_E_NS1_11comp_targetILNS1_3genE3ELNS1_11target_archE908ELNS1_3gpuE7ELNS1_3repE0EEENS1_30default_config_static_selectorELNS0_4arch9wavefront6targetE0EEEvT1_.has_recursion, 0
	.set _ZN7rocprim17ROCPRIM_400000_NS6detail17trampoline_kernelINS0_14default_configENS1_27scan_by_key_config_selectorIj11FixedVectorIiLj4EEEEZZNS1_16scan_by_key_implILNS1_25lookback_scan_determinismE0ELb0ES3_N6thrust23THRUST_200600_302600_NS6detail15normal_iteratorINSB_10device_ptrIjEEEENSD_INSE_IS6_EEEESI_S6_NSB_4plusIvEENSB_8equal_toIvEES6_EE10hipError_tPvRmT2_T3_T4_T5_mT6_T7_P12ihipStream_tbENKUlT_T0_E_clISt17integral_constantIbLb1EES12_IbLb0EEEEDaSY_SZ_EUlSY_E_NS1_11comp_targetILNS1_3genE3ELNS1_11target_archE908ELNS1_3gpuE7ELNS1_3repE0EEENS1_30default_config_static_selectorELNS0_4arch9wavefront6targetE0EEEvT1_.has_indirect_call, 0
	.section	.AMDGPU.csdata,"",@progbits
; Kernel info:
; codeLenInByte = 0
; TotalNumSgprs: 0
; NumVgprs: 0
; ScratchSize: 0
; MemoryBound: 0
; FloatMode: 240
; IeeeMode: 1
; LDSByteSize: 0 bytes/workgroup (compile time only)
; SGPRBlocks: 0
; VGPRBlocks: 0
; NumSGPRsForWavesPerEU: 1
; NumVGPRsForWavesPerEU: 1
; Occupancy: 16
; WaveLimiterHint : 0
; COMPUTE_PGM_RSRC2:SCRATCH_EN: 0
; COMPUTE_PGM_RSRC2:USER_SGPR: 6
; COMPUTE_PGM_RSRC2:TRAP_HANDLER: 0
; COMPUTE_PGM_RSRC2:TGID_X_EN: 1
; COMPUTE_PGM_RSRC2:TGID_Y_EN: 0
; COMPUTE_PGM_RSRC2:TGID_Z_EN: 0
; COMPUTE_PGM_RSRC2:TIDIG_COMP_CNT: 0
	.section	.text._ZN7rocprim17ROCPRIM_400000_NS6detail17trampoline_kernelINS0_14default_configENS1_27scan_by_key_config_selectorIj11FixedVectorIiLj4EEEEZZNS1_16scan_by_key_implILNS1_25lookback_scan_determinismE0ELb0ES3_N6thrust23THRUST_200600_302600_NS6detail15normal_iteratorINSB_10device_ptrIjEEEENSD_INSE_IS6_EEEESI_S6_NSB_4plusIvEENSB_8equal_toIvEES6_EE10hipError_tPvRmT2_T3_T4_T5_mT6_T7_P12ihipStream_tbENKUlT_T0_E_clISt17integral_constantIbLb1EES12_IbLb0EEEEDaSY_SZ_EUlSY_E_NS1_11comp_targetILNS1_3genE2ELNS1_11target_archE906ELNS1_3gpuE6ELNS1_3repE0EEENS1_30default_config_static_selectorELNS0_4arch9wavefront6targetE0EEEvT1_,"axG",@progbits,_ZN7rocprim17ROCPRIM_400000_NS6detail17trampoline_kernelINS0_14default_configENS1_27scan_by_key_config_selectorIj11FixedVectorIiLj4EEEEZZNS1_16scan_by_key_implILNS1_25lookback_scan_determinismE0ELb0ES3_N6thrust23THRUST_200600_302600_NS6detail15normal_iteratorINSB_10device_ptrIjEEEENSD_INSE_IS6_EEEESI_S6_NSB_4plusIvEENSB_8equal_toIvEES6_EE10hipError_tPvRmT2_T3_T4_T5_mT6_T7_P12ihipStream_tbENKUlT_T0_E_clISt17integral_constantIbLb1EES12_IbLb0EEEEDaSY_SZ_EUlSY_E_NS1_11comp_targetILNS1_3genE2ELNS1_11target_archE906ELNS1_3gpuE6ELNS1_3repE0EEENS1_30default_config_static_selectorELNS0_4arch9wavefront6targetE0EEEvT1_,comdat
	.protected	_ZN7rocprim17ROCPRIM_400000_NS6detail17trampoline_kernelINS0_14default_configENS1_27scan_by_key_config_selectorIj11FixedVectorIiLj4EEEEZZNS1_16scan_by_key_implILNS1_25lookback_scan_determinismE0ELb0ES3_N6thrust23THRUST_200600_302600_NS6detail15normal_iteratorINSB_10device_ptrIjEEEENSD_INSE_IS6_EEEESI_S6_NSB_4plusIvEENSB_8equal_toIvEES6_EE10hipError_tPvRmT2_T3_T4_T5_mT6_T7_P12ihipStream_tbENKUlT_T0_E_clISt17integral_constantIbLb1EES12_IbLb0EEEEDaSY_SZ_EUlSY_E_NS1_11comp_targetILNS1_3genE2ELNS1_11target_archE906ELNS1_3gpuE6ELNS1_3repE0EEENS1_30default_config_static_selectorELNS0_4arch9wavefront6targetE0EEEvT1_ ; -- Begin function _ZN7rocprim17ROCPRIM_400000_NS6detail17trampoline_kernelINS0_14default_configENS1_27scan_by_key_config_selectorIj11FixedVectorIiLj4EEEEZZNS1_16scan_by_key_implILNS1_25lookback_scan_determinismE0ELb0ES3_N6thrust23THRUST_200600_302600_NS6detail15normal_iteratorINSB_10device_ptrIjEEEENSD_INSE_IS6_EEEESI_S6_NSB_4plusIvEENSB_8equal_toIvEES6_EE10hipError_tPvRmT2_T3_T4_T5_mT6_T7_P12ihipStream_tbENKUlT_T0_E_clISt17integral_constantIbLb1EES12_IbLb0EEEEDaSY_SZ_EUlSY_E_NS1_11comp_targetILNS1_3genE2ELNS1_11target_archE906ELNS1_3gpuE6ELNS1_3repE0EEENS1_30default_config_static_selectorELNS0_4arch9wavefront6targetE0EEEvT1_
	.globl	_ZN7rocprim17ROCPRIM_400000_NS6detail17trampoline_kernelINS0_14default_configENS1_27scan_by_key_config_selectorIj11FixedVectorIiLj4EEEEZZNS1_16scan_by_key_implILNS1_25lookback_scan_determinismE0ELb0ES3_N6thrust23THRUST_200600_302600_NS6detail15normal_iteratorINSB_10device_ptrIjEEEENSD_INSE_IS6_EEEESI_S6_NSB_4plusIvEENSB_8equal_toIvEES6_EE10hipError_tPvRmT2_T3_T4_T5_mT6_T7_P12ihipStream_tbENKUlT_T0_E_clISt17integral_constantIbLb1EES12_IbLb0EEEEDaSY_SZ_EUlSY_E_NS1_11comp_targetILNS1_3genE2ELNS1_11target_archE906ELNS1_3gpuE6ELNS1_3repE0EEENS1_30default_config_static_selectorELNS0_4arch9wavefront6targetE0EEEvT1_
	.p2align	8
	.type	_ZN7rocprim17ROCPRIM_400000_NS6detail17trampoline_kernelINS0_14default_configENS1_27scan_by_key_config_selectorIj11FixedVectorIiLj4EEEEZZNS1_16scan_by_key_implILNS1_25lookback_scan_determinismE0ELb0ES3_N6thrust23THRUST_200600_302600_NS6detail15normal_iteratorINSB_10device_ptrIjEEEENSD_INSE_IS6_EEEESI_S6_NSB_4plusIvEENSB_8equal_toIvEES6_EE10hipError_tPvRmT2_T3_T4_T5_mT6_T7_P12ihipStream_tbENKUlT_T0_E_clISt17integral_constantIbLb1EES12_IbLb0EEEEDaSY_SZ_EUlSY_E_NS1_11comp_targetILNS1_3genE2ELNS1_11target_archE906ELNS1_3gpuE6ELNS1_3repE0EEENS1_30default_config_static_selectorELNS0_4arch9wavefront6targetE0EEEvT1_,@function
_ZN7rocprim17ROCPRIM_400000_NS6detail17trampoline_kernelINS0_14default_configENS1_27scan_by_key_config_selectorIj11FixedVectorIiLj4EEEEZZNS1_16scan_by_key_implILNS1_25lookback_scan_determinismE0ELb0ES3_N6thrust23THRUST_200600_302600_NS6detail15normal_iteratorINSB_10device_ptrIjEEEENSD_INSE_IS6_EEEESI_S6_NSB_4plusIvEENSB_8equal_toIvEES6_EE10hipError_tPvRmT2_T3_T4_T5_mT6_T7_P12ihipStream_tbENKUlT_T0_E_clISt17integral_constantIbLb1EES12_IbLb0EEEEDaSY_SZ_EUlSY_E_NS1_11comp_targetILNS1_3genE2ELNS1_11target_archE906ELNS1_3gpuE6ELNS1_3repE0EEENS1_30default_config_static_selectorELNS0_4arch9wavefront6targetE0EEEvT1_: ; @_ZN7rocprim17ROCPRIM_400000_NS6detail17trampoline_kernelINS0_14default_configENS1_27scan_by_key_config_selectorIj11FixedVectorIiLj4EEEEZZNS1_16scan_by_key_implILNS1_25lookback_scan_determinismE0ELb0ES3_N6thrust23THRUST_200600_302600_NS6detail15normal_iteratorINSB_10device_ptrIjEEEENSD_INSE_IS6_EEEESI_S6_NSB_4plusIvEENSB_8equal_toIvEES6_EE10hipError_tPvRmT2_T3_T4_T5_mT6_T7_P12ihipStream_tbENKUlT_T0_E_clISt17integral_constantIbLb1EES12_IbLb0EEEEDaSY_SZ_EUlSY_E_NS1_11comp_targetILNS1_3genE2ELNS1_11target_archE906ELNS1_3gpuE6ELNS1_3repE0EEENS1_30default_config_static_selectorELNS0_4arch9wavefront6targetE0EEEvT1_
; %bb.0:
	.section	.rodata,"a",@progbits
	.p2align	6, 0x0
	.amdhsa_kernel _ZN7rocprim17ROCPRIM_400000_NS6detail17trampoline_kernelINS0_14default_configENS1_27scan_by_key_config_selectorIj11FixedVectorIiLj4EEEEZZNS1_16scan_by_key_implILNS1_25lookback_scan_determinismE0ELb0ES3_N6thrust23THRUST_200600_302600_NS6detail15normal_iteratorINSB_10device_ptrIjEEEENSD_INSE_IS6_EEEESI_S6_NSB_4plusIvEENSB_8equal_toIvEES6_EE10hipError_tPvRmT2_T3_T4_T5_mT6_T7_P12ihipStream_tbENKUlT_T0_E_clISt17integral_constantIbLb1EES12_IbLb0EEEEDaSY_SZ_EUlSY_E_NS1_11comp_targetILNS1_3genE2ELNS1_11target_archE906ELNS1_3gpuE6ELNS1_3repE0EEENS1_30default_config_static_selectorELNS0_4arch9wavefront6targetE0EEEvT1_
		.amdhsa_group_segment_fixed_size 0
		.amdhsa_private_segment_fixed_size 0
		.amdhsa_kernarg_size 144
		.amdhsa_user_sgpr_count 6
		.amdhsa_user_sgpr_private_segment_buffer 1
		.amdhsa_user_sgpr_dispatch_ptr 0
		.amdhsa_user_sgpr_queue_ptr 0
		.amdhsa_user_sgpr_kernarg_segment_ptr 1
		.amdhsa_user_sgpr_dispatch_id 0
		.amdhsa_user_sgpr_flat_scratch_init 0
		.amdhsa_user_sgpr_private_segment_size 0
		.amdhsa_wavefront_size32 1
		.amdhsa_uses_dynamic_stack 0
		.amdhsa_system_sgpr_private_segment_wavefront_offset 0
		.amdhsa_system_sgpr_workgroup_id_x 1
		.amdhsa_system_sgpr_workgroup_id_y 0
		.amdhsa_system_sgpr_workgroup_id_z 0
		.amdhsa_system_sgpr_workgroup_info 0
		.amdhsa_system_vgpr_workitem_id 0
		.amdhsa_next_free_vgpr 1
		.amdhsa_next_free_sgpr 1
		.amdhsa_reserve_vcc 0
		.amdhsa_reserve_flat_scratch 0
		.amdhsa_float_round_mode_32 0
		.amdhsa_float_round_mode_16_64 0
		.amdhsa_float_denorm_mode_32 3
		.amdhsa_float_denorm_mode_16_64 3
		.amdhsa_dx10_clamp 1
		.amdhsa_ieee_mode 1
		.amdhsa_fp16_overflow 0
		.amdhsa_workgroup_processor_mode 1
		.amdhsa_memory_ordered 1
		.amdhsa_forward_progress 1
		.amdhsa_shared_vgpr_count 0
		.amdhsa_exception_fp_ieee_invalid_op 0
		.amdhsa_exception_fp_denorm_src 0
		.amdhsa_exception_fp_ieee_div_zero 0
		.amdhsa_exception_fp_ieee_overflow 0
		.amdhsa_exception_fp_ieee_underflow 0
		.amdhsa_exception_fp_ieee_inexact 0
		.amdhsa_exception_int_div_zero 0
	.end_amdhsa_kernel
	.section	.text._ZN7rocprim17ROCPRIM_400000_NS6detail17trampoline_kernelINS0_14default_configENS1_27scan_by_key_config_selectorIj11FixedVectorIiLj4EEEEZZNS1_16scan_by_key_implILNS1_25lookback_scan_determinismE0ELb0ES3_N6thrust23THRUST_200600_302600_NS6detail15normal_iteratorINSB_10device_ptrIjEEEENSD_INSE_IS6_EEEESI_S6_NSB_4plusIvEENSB_8equal_toIvEES6_EE10hipError_tPvRmT2_T3_T4_T5_mT6_T7_P12ihipStream_tbENKUlT_T0_E_clISt17integral_constantIbLb1EES12_IbLb0EEEEDaSY_SZ_EUlSY_E_NS1_11comp_targetILNS1_3genE2ELNS1_11target_archE906ELNS1_3gpuE6ELNS1_3repE0EEENS1_30default_config_static_selectorELNS0_4arch9wavefront6targetE0EEEvT1_,"axG",@progbits,_ZN7rocprim17ROCPRIM_400000_NS6detail17trampoline_kernelINS0_14default_configENS1_27scan_by_key_config_selectorIj11FixedVectorIiLj4EEEEZZNS1_16scan_by_key_implILNS1_25lookback_scan_determinismE0ELb0ES3_N6thrust23THRUST_200600_302600_NS6detail15normal_iteratorINSB_10device_ptrIjEEEENSD_INSE_IS6_EEEESI_S6_NSB_4plusIvEENSB_8equal_toIvEES6_EE10hipError_tPvRmT2_T3_T4_T5_mT6_T7_P12ihipStream_tbENKUlT_T0_E_clISt17integral_constantIbLb1EES12_IbLb0EEEEDaSY_SZ_EUlSY_E_NS1_11comp_targetILNS1_3genE2ELNS1_11target_archE906ELNS1_3gpuE6ELNS1_3repE0EEENS1_30default_config_static_selectorELNS0_4arch9wavefront6targetE0EEEvT1_,comdat
.Lfunc_end2060:
	.size	_ZN7rocprim17ROCPRIM_400000_NS6detail17trampoline_kernelINS0_14default_configENS1_27scan_by_key_config_selectorIj11FixedVectorIiLj4EEEEZZNS1_16scan_by_key_implILNS1_25lookback_scan_determinismE0ELb0ES3_N6thrust23THRUST_200600_302600_NS6detail15normal_iteratorINSB_10device_ptrIjEEEENSD_INSE_IS6_EEEESI_S6_NSB_4plusIvEENSB_8equal_toIvEES6_EE10hipError_tPvRmT2_T3_T4_T5_mT6_T7_P12ihipStream_tbENKUlT_T0_E_clISt17integral_constantIbLb1EES12_IbLb0EEEEDaSY_SZ_EUlSY_E_NS1_11comp_targetILNS1_3genE2ELNS1_11target_archE906ELNS1_3gpuE6ELNS1_3repE0EEENS1_30default_config_static_selectorELNS0_4arch9wavefront6targetE0EEEvT1_, .Lfunc_end2060-_ZN7rocprim17ROCPRIM_400000_NS6detail17trampoline_kernelINS0_14default_configENS1_27scan_by_key_config_selectorIj11FixedVectorIiLj4EEEEZZNS1_16scan_by_key_implILNS1_25lookback_scan_determinismE0ELb0ES3_N6thrust23THRUST_200600_302600_NS6detail15normal_iteratorINSB_10device_ptrIjEEEENSD_INSE_IS6_EEEESI_S6_NSB_4plusIvEENSB_8equal_toIvEES6_EE10hipError_tPvRmT2_T3_T4_T5_mT6_T7_P12ihipStream_tbENKUlT_T0_E_clISt17integral_constantIbLb1EES12_IbLb0EEEEDaSY_SZ_EUlSY_E_NS1_11comp_targetILNS1_3genE2ELNS1_11target_archE906ELNS1_3gpuE6ELNS1_3repE0EEENS1_30default_config_static_selectorELNS0_4arch9wavefront6targetE0EEEvT1_
                                        ; -- End function
	.set _ZN7rocprim17ROCPRIM_400000_NS6detail17trampoline_kernelINS0_14default_configENS1_27scan_by_key_config_selectorIj11FixedVectorIiLj4EEEEZZNS1_16scan_by_key_implILNS1_25lookback_scan_determinismE0ELb0ES3_N6thrust23THRUST_200600_302600_NS6detail15normal_iteratorINSB_10device_ptrIjEEEENSD_INSE_IS6_EEEESI_S6_NSB_4plusIvEENSB_8equal_toIvEES6_EE10hipError_tPvRmT2_T3_T4_T5_mT6_T7_P12ihipStream_tbENKUlT_T0_E_clISt17integral_constantIbLb1EES12_IbLb0EEEEDaSY_SZ_EUlSY_E_NS1_11comp_targetILNS1_3genE2ELNS1_11target_archE906ELNS1_3gpuE6ELNS1_3repE0EEENS1_30default_config_static_selectorELNS0_4arch9wavefront6targetE0EEEvT1_.num_vgpr, 0
	.set _ZN7rocprim17ROCPRIM_400000_NS6detail17trampoline_kernelINS0_14default_configENS1_27scan_by_key_config_selectorIj11FixedVectorIiLj4EEEEZZNS1_16scan_by_key_implILNS1_25lookback_scan_determinismE0ELb0ES3_N6thrust23THRUST_200600_302600_NS6detail15normal_iteratorINSB_10device_ptrIjEEEENSD_INSE_IS6_EEEESI_S6_NSB_4plusIvEENSB_8equal_toIvEES6_EE10hipError_tPvRmT2_T3_T4_T5_mT6_T7_P12ihipStream_tbENKUlT_T0_E_clISt17integral_constantIbLb1EES12_IbLb0EEEEDaSY_SZ_EUlSY_E_NS1_11comp_targetILNS1_3genE2ELNS1_11target_archE906ELNS1_3gpuE6ELNS1_3repE0EEENS1_30default_config_static_selectorELNS0_4arch9wavefront6targetE0EEEvT1_.num_agpr, 0
	.set _ZN7rocprim17ROCPRIM_400000_NS6detail17trampoline_kernelINS0_14default_configENS1_27scan_by_key_config_selectorIj11FixedVectorIiLj4EEEEZZNS1_16scan_by_key_implILNS1_25lookback_scan_determinismE0ELb0ES3_N6thrust23THRUST_200600_302600_NS6detail15normal_iteratorINSB_10device_ptrIjEEEENSD_INSE_IS6_EEEESI_S6_NSB_4plusIvEENSB_8equal_toIvEES6_EE10hipError_tPvRmT2_T3_T4_T5_mT6_T7_P12ihipStream_tbENKUlT_T0_E_clISt17integral_constantIbLb1EES12_IbLb0EEEEDaSY_SZ_EUlSY_E_NS1_11comp_targetILNS1_3genE2ELNS1_11target_archE906ELNS1_3gpuE6ELNS1_3repE0EEENS1_30default_config_static_selectorELNS0_4arch9wavefront6targetE0EEEvT1_.numbered_sgpr, 0
	.set _ZN7rocprim17ROCPRIM_400000_NS6detail17trampoline_kernelINS0_14default_configENS1_27scan_by_key_config_selectorIj11FixedVectorIiLj4EEEEZZNS1_16scan_by_key_implILNS1_25lookback_scan_determinismE0ELb0ES3_N6thrust23THRUST_200600_302600_NS6detail15normal_iteratorINSB_10device_ptrIjEEEENSD_INSE_IS6_EEEESI_S6_NSB_4plusIvEENSB_8equal_toIvEES6_EE10hipError_tPvRmT2_T3_T4_T5_mT6_T7_P12ihipStream_tbENKUlT_T0_E_clISt17integral_constantIbLb1EES12_IbLb0EEEEDaSY_SZ_EUlSY_E_NS1_11comp_targetILNS1_3genE2ELNS1_11target_archE906ELNS1_3gpuE6ELNS1_3repE0EEENS1_30default_config_static_selectorELNS0_4arch9wavefront6targetE0EEEvT1_.num_named_barrier, 0
	.set _ZN7rocprim17ROCPRIM_400000_NS6detail17trampoline_kernelINS0_14default_configENS1_27scan_by_key_config_selectorIj11FixedVectorIiLj4EEEEZZNS1_16scan_by_key_implILNS1_25lookback_scan_determinismE0ELb0ES3_N6thrust23THRUST_200600_302600_NS6detail15normal_iteratorINSB_10device_ptrIjEEEENSD_INSE_IS6_EEEESI_S6_NSB_4plusIvEENSB_8equal_toIvEES6_EE10hipError_tPvRmT2_T3_T4_T5_mT6_T7_P12ihipStream_tbENKUlT_T0_E_clISt17integral_constantIbLb1EES12_IbLb0EEEEDaSY_SZ_EUlSY_E_NS1_11comp_targetILNS1_3genE2ELNS1_11target_archE906ELNS1_3gpuE6ELNS1_3repE0EEENS1_30default_config_static_selectorELNS0_4arch9wavefront6targetE0EEEvT1_.private_seg_size, 0
	.set _ZN7rocprim17ROCPRIM_400000_NS6detail17trampoline_kernelINS0_14default_configENS1_27scan_by_key_config_selectorIj11FixedVectorIiLj4EEEEZZNS1_16scan_by_key_implILNS1_25lookback_scan_determinismE0ELb0ES3_N6thrust23THRUST_200600_302600_NS6detail15normal_iteratorINSB_10device_ptrIjEEEENSD_INSE_IS6_EEEESI_S6_NSB_4plusIvEENSB_8equal_toIvEES6_EE10hipError_tPvRmT2_T3_T4_T5_mT6_T7_P12ihipStream_tbENKUlT_T0_E_clISt17integral_constantIbLb1EES12_IbLb0EEEEDaSY_SZ_EUlSY_E_NS1_11comp_targetILNS1_3genE2ELNS1_11target_archE906ELNS1_3gpuE6ELNS1_3repE0EEENS1_30default_config_static_selectorELNS0_4arch9wavefront6targetE0EEEvT1_.uses_vcc, 0
	.set _ZN7rocprim17ROCPRIM_400000_NS6detail17trampoline_kernelINS0_14default_configENS1_27scan_by_key_config_selectorIj11FixedVectorIiLj4EEEEZZNS1_16scan_by_key_implILNS1_25lookback_scan_determinismE0ELb0ES3_N6thrust23THRUST_200600_302600_NS6detail15normal_iteratorINSB_10device_ptrIjEEEENSD_INSE_IS6_EEEESI_S6_NSB_4plusIvEENSB_8equal_toIvEES6_EE10hipError_tPvRmT2_T3_T4_T5_mT6_T7_P12ihipStream_tbENKUlT_T0_E_clISt17integral_constantIbLb1EES12_IbLb0EEEEDaSY_SZ_EUlSY_E_NS1_11comp_targetILNS1_3genE2ELNS1_11target_archE906ELNS1_3gpuE6ELNS1_3repE0EEENS1_30default_config_static_selectorELNS0_4arch9wavefront6targetE0EEEvT1_.uses_flat_scratch, 0
	.set _ZN7rocprim17ROCPRIM_400000_NS6detail17trampoline_kernelINS0_14default_configENS1_27scan_by_key_config_selectorIj11FixedVectorIiLj4EEEEZZNS1_16scan_by_key_implILNS1_25lookback_scan_determinismE0ELb0ES3_N6thrust23THRUST_200600_302600_NS6detail15normal_iteratorINSB_10device_ptrIjEEEENSD_INSE_IS6_EEEESI_S6_NSB_4plusIvEENSB_8equal_toIvEES6_EE10hipError_tPvRmT2_T3_T4_T5_mT6_T7_P12ihipStream_tbENKUlT_T0_E_clISt17integral_constantIbLb1EES12_IbLb0EEEEDaSY_SZ_EUlSY_E_NS1_11comp_targetILNS1_3genE2ELNS1_11target_archE906ELNS1_3gpuE6ELNS1_3repE0EEENS1_30default_config_static_selectorELNS0_4arch9wavefront6targetE0EEEvT1_.has_dyn_sized_stack, 0
	.set _ZN7rocprim17ROCPRIM_400000_NS6detail17trampoline_kernelINS0_14default_configENS1_27scan_by_key_config_selectorIj11FixedVectorIiLj4EEEEZZNS1_16scan_by_key_implILNS1_25lookback_scan_determinismE0ELb0ES3_N6thrust23THRUST_200600_302600_NS6detail15normal_iteratorINSB_10device_ptrIjEEEENSD_INSE_IS6_EEEESI_S6_NSB_4plusIvEENSB_8equal_toIvEES6_EE10hipError_tPvRmT2_T3_T4_T5_mT6_T7_P12ihipStream_tbENKUlT_T0_E_clISt17integral_constantIbLb1EES12_IbLb0EEEEDaSY_SZ_EUlSY_E_NS1_11comp_targetILNS1_3genE2ELNS1_11target_archE906ELNS1_3gpuE6ELNS1_3repE0EEENS1_30default_config_static_selectorELNS0_4arch9wavefront6targetE0EEEvT1_.has_recursion, 0
	.set _ZN7rocprim17ROCPRIM_400000_NS6detail17trampoline_kernelINS0_14default_configENS1_27scan_by_key_config_selectorIj11FixedVectorIiLj4EEEEZZNS1_16scan_by_key_implILNS1_25lookback_scan_determinismE0ELb0ES3_N6thrust23THRUST_200600_302600_NS6detail15normal_iteratorINSB_10device_ptrIjEEEENSD_INSE_IS6_EEEESI_S6_NSB_4plusIvEENSB_8equal_toIvEES6_EE10hipError_tPvRmT2_T3_T4_T5_mT6_T7_P12ihipStream_tbENKUlT_T0_E_clISt17integral_constantIbLb1EES12_IbLb0EEEEDaSY_SZ_EUlSY_E_NS1_11comp_targetILNS1_3genE2ELNS1_11target_archE906ELNS1_3gpuE6ELNS1_3repE0EEENS1_30default_config_static_selectorELNS0_4arch9wavefront6targetE0EEEvT1_.has_indirect_call, 0
	.section	.AMDGPU.csdata,"",@progbits
; Kernel info:
; codeLenInByte = 0
; TotalNumSgprs: 0
; NumVgprs: 0
; ScratchSize: 0
; MemoryBound: 0
; FloatMode: 240
; IeeeMode: 1
; LDSByteSize: 0 bytes/workgroup (compile time only)
; SGPRBlocks: 0
; VGPRBlocks: 0
; NumSGPRsForWavesPerEU: 1
; NumVGPRsForWavesPerEU: 1
; Occupancy: 16
; WaveLimiterHint : 0
; COMPUTE_PGM_RSRC2:SCRATCH_EN: 0
; COMPUTE_PGM_RSRC2:USER_SGPR: 6
; COMPUTE_PGM_RSRC2:TRAP_HANDLER: 0
; COMPUTE_PGM_RSRC2:TGID_X_EN: 1
; COMPUTE_PGM_RSRC2:TGID_Y_EN: 0
; COMPUTE_PGM_RSRC2:TGID_Z_EN: 0
; COMPUTE_PGM_RSRC2:TIDIG_COMP_CNT: 0
	.section	.text._ZN7rocprim17ROCPRIM_400000_NS6detail17trampoline_kernelINS0_14default_configENS1_27scan_by_key_config_selectorIj11FixedVectorIiLj4EEEEZZNS1_16scan_by_key_implILNS1_25lookback_scan_determinismE0ELb0ES3_N6thrust23THRUST_200600_302600_NS6detail15normal_iteratorINSB_10device_ptrIjEEEENSD_INSE_IS6_EEEESI_S6_NSB_4plusIvEENSB_8equal_toIvEES6_EE10hipError_tPvRmT2_T3_T4_T5_mT6_T7_P12ihipStream_tbENKUlT_T0_E_clISt17integral_constantIbLb1EES12_IbLb0EEEEDaSY_SZ_EUlSY_E_NS1_11comp_targetILNS1_3genE10ELNS1_11target_archE1200ELNS1_3gpuE4ELNS1_3repE0EEENS1_30default_config_static_selectorELNS0_4arch9wavefront6targetE0EEEvT1_,"axG",@progbits,_ZN7rocprim17ROCPRIM_400000_NS6detail17trampoline_kernelINS0_14default_configENS1_27scan_by_key_config_selectorIj11FixedVectorIiLj4EEEEZZNS1_16scan_by_key_implILNS1_25lookback_scan_determinismE0ELb0ES3_N6thrust23THRUST_200600_302600_NS6detail15normal_iteratorINSB_10device_ptrIjEEEENSD_INSE_IS6_EEEESI_S6_NSB_4plusIvEENSB_8equal_toIvEES6_EE10hipError_tPvRmT2_T3_T4_T5_mT6_T7_P12ihipStream_tbENKUlT_T0_E_clISt17integral_constantIbLb1EES12_IbLb0EEEEDaSY_SZ_EUlSY_E_NS1_11comp_targetILNS1_3genE10ELNS1_11target_archE1200ELNS1_3gpuE4ELNS1_3repE0EEENS1_30default_config_static_selectorELNS0_4arch9wavefront6targetE0EEEvT1_,comdat
	.protected	_ZN7rocprim17ROCPRIM_400000_NS6detail17trampoline_kernelINS0_14default_configENS1_27scan_by_key_config_selectorIj11FixedVectorIiLj4EEEEZZNS1_16scan_by_key_implILNS1_25lookback_scan_determinismE0ELb0ES3_N6thrust23THRUST_200600_302600_NS6detail15normal_iteratorINSB_10device_ptrIjEEEENSD_INSE_IS6_EEEESI_S6_NSB_4plusIvEENSB_8equal_toIvEES6_EE10hipError_tPvRmT2_T3_T4_T5_mT6_T7_P12ihipStream_tbENKUlT_T0_E_clISt17integral_constantIbLb1EES12_IbLb0EEEEDaSY_SZ_EUlSY_E_NS1_11comp_targetILNS1_3genE10ELNS1_11target_archE1200ELNS1_3gpuE4ELNS1_3repE0EEENS1_30default_config_static_selectorELNS0_4arch9wavefront6targetE0EEEvT1_ ; -- Begin function _ZN7rocprim17ROCPRIM_400000_NS6detail17trampoline_kernelINS0_14default_configENS1_27scan_by_key_config_selectorIj11FixedVectorIiLj4EEEEZZNS1_16scan_by_key_implILNS1_25lookback_scan_determinismE0ELb0ES3_N6thrust23THRUST_200600_302600_NS6detail15normal_iteratorINSB_10device_ptrIjEEEENSD_INSE_IS6_EEEESI_S6_NSB_4plusIvEENSB_8equal_toIvEES6_EE10hipError_tPvRmT2_T3_T4_T5_mT6_T7_P12ihipStream_tbENKUlT_T0_E_clISt17integral_constantIbLb1EES12_IbLb0EEEEDaSY_SZ_EUlSY_E_NS1_11comp_targetILNS1_3genE10ELNS1_11target_archE1200ELNS1_3gpuE4ELNS1_3repE0EEENS1_30default_config_static_selectorELNS0_4arch9wavefront6targetE0EEEvT1_
	.globl	_ZN7rocprim17ROCPRIM_400000_NS6detail17trampoline_kernelINS0_14default_configENS1_27scan_by_key_config_selectorIj11FixedVectorIiLj4EEEEZZNS1_16scan_by_key_implILNS1_25lookback_scan_determinismE0ELb0ES3_N6thrust23THRUST_200600_302600_NS6detail15normal_iteratorINSB_10device_ptrIjEEEENSD_INSE_IS6_EEEESI_S6_NSB_4plusIvEENSB_8equal_toIvEES6_EE10hipError_tPvRmT2_T3_T4_T5_mT6_T7_P12ihipStream_tbENKUlT_T0_E_clISt17integral_constantIbLb1EES12_IbLb0EEEEDaSY_SZ_EUlSY_E_NS1_11comp_targetILNS1_3genE10ELNS1_11target_archE1200ELNS1_3gpuE4ELNS1_3repE0EEENS1_30default_config_static_selectorELNS0_4arch9wavefront6targetE0EEEvT1_
	.p2align	8
	.type	_ZN7rocprim17ROCPRIM_400000_NS6detail17trampoline_kernelINS0_14default_configENS1_27scan_by_key_config_selectorIj11FixedVectorIiLj4EEEEZZNS1_16scan_by_key_implILNS1_25lookback_scan_determinismE0ELb0ES3_N6thrust23THRUST_200600_302600_NS6detail15normal_iteratorINSB_10device_ptrIjEEEENSD_INSE_IS6_EEEESI_S6_NSB_4plusIvEENSB_8equal_toIvEES6_EE10hipError_tPvRmT2_T3_T4_T5_mT6_T7_P12ihipStream_tbENKUlT_T0_E_clISt17integral_constantIbLb1EES12_IbLb0EEEEDaSY_SZ_EUlSY_E_NS1_11comp_targetILNS1_3genE10ELNS1_11target_archE1200ELNS1_3gpuE4ELNS1_3repE0EEENS1_30default_config_static_selectorELNS0_4arch9wavefront6targetE0EEEvT1_,@function
_ZN7rocprim17ROCPRIM_400000_NS6detail17trampoline_kernelINS0_14default_configENS1_27scan_by_key_config_selectorIj11FixedVectorIiLj4EEEEZZNS1_16scan_by_key_implILNS1_25lookback_scan_determinismE0ELb0ES3_N6thrust23THRUST_200600_302600_NS6detail15normal_iteratorINSB_10device_ptrIjEEEENSD_INSE_IS6_EEEESI_S6_NSB_4plusIvEENSB_8equal_toIvEES6_EE10hipError_tPvRmT2_T3_T4_T5_mT6_T7_P12ihipStream_tbENKUlT_T0_E_clISt17integral_constantIbLb1EES12_IbLb0EEEEDaSY_SZ_EUlSY_E_NS1_11comp_targetILNS1_3genE10ELNS1_11target_archE1200ELNS1_3gpuE4ELNS1_3repE0EEENS1_30default_config_static_selectorELNS0_4arch9wavefront6targetE0EEEvT1_: ; @_ZN7rocprim17ROCPRIM_400000_NS6detail17trampoline_kernelINS0_14default_configENS1_27scan_by_key_config_selectorIj11FixedVectorIiLj4EEEEZZNS1_16scan_by_key_implILNS1_25lookback_scan_determinismE0ELb0ES3_N6thrust23THRUST_200600_302600_NS6detail15normal_iteratorINSB_10device_ptrIjEEEENSD_INSE_IS6_EEEESI_S6_NSB_4plusIvEENSB_8equal_toIvEES6_EE10hipError_tPvRmT2_T3_T4_T5_mT6_T7_P12ihipStream_tbENKUlT_T0_E_clISt17integral_constantIbLb1EES12_IbLb0EEEEDaSY_SZ_EUlSY_E_NS1_11comp_targetILNS1_3genE10ELNS1_11target_archE1200ELNS1_3gpuE4ELNS1_3repE0EEENS1_30default_config_static_selectorELNS0_4arch9wavefront6targetE0EEEvT1_
; %bb.0:
	.section	.rodata,"a",@progbits
	.p2align	6, 0x0
	.amdhsa_kernel _ZN7rocprim17ROCPRIM_400000_NS6detail17trampoline_kernelINS0_14default_configENS1_27scan_by_key_config_selectorIj11FixedVectorIiLj4EEEEZZNS1_16scan_by_key_implILNS1_25lookback_scan_determinismE0ELb0ES3_N6thrust23THRUST_200600_302600_NS6detail15normal_iteratorINSB_10device_ptrIjEEEENSD_INSE_IS6_EEEESI_S6_NSB_4plusIvEENSB_8equal_toIvEES6_EE10hipError_tPvRmT2_T3_T4_T5_mT6_T7_P12ihipStream_tbENKUlT_T0_E_clISt17integral_constantIbLb1EES12_IbLb0EEEEDaSY_SZ_EUlSY_E_NS1_11comp_targetILNS1_3genE10ELNS1_11target_archE1200ELNS1_3gpuE4ELNS1_3repE0EEENS1_30default_config_static_selectorELNS0_4arch9wavefront6targetE0EEEvT1_
		.amdhsa_group_segment_fixed_size 0
		.amdhsa_private_segment_fixed_size 0
		.amdhsa_kernarg_size 144
		.amdhsa_user_sgpr_count 6
		.amdhsa_user_sgpr_private_segment_buffer 1
		.amdhsa_user_sgpr_dispatch_ptr 0
		.amdhsa_user_sgpr_queue_ptr 0
		.amdhsa_user_sgpr_kernarg_segment_ptr 1
		.amdhsa_user_sgpr_dispatch_id 0
		.amdhsa_user_sgpr_flat_scratch_init 0
		.amdhsa_user_sgpr_private_segment_size 0
		.amdhsa_wavefront_size32 1
		.amdhsa_uses_dynamic_stack 0
		.amdhsa_system_sgpr_private_segment_wavefront_offset 0
		.amdhsa_system_sgpr_workgroup_id_x 1
		.amdhsa_system_sgpr_workgroup_id_y 0
		.amdhsa_system_sgpr_workgroup_id_z 0
		.amdhsa_system_sgpr_workgroup_info 0
		.amdhsa_system_vgpr_workitem_id 0
		.amdhsa_next_free_vgpr 1
		.amdhsa_next_free_sgpr 1
		.amdhsa_reserve_vcc 0
		.amdhsa_reserve_flat_scratch 0
		.amdhsa_float_round_mode_32 0
		.amdhsa_float_round_mode_16_64 0
		.amdhsa_float_denorm_mode_32 3
		.amdhsa_float_denorm_mode_16_64 3
		.amdhsa_dx10_clamp 1
		.amdhsa_ieee_mode 1
		.amdhsa_fp16_overflow 0
		.amdhsa_workgroup_processor_mode 1
		.amdhsa_memory_ordered 1
		.amdhsa_forward_progress 1
		.amdhsa_shared_vgpr_count 0
		.amdhsa_exception_fp_ieee_invalid_op 0
		.amdhsa_exception_fp_denorm_src 0
		.amdhsa_exception_fp_ieee_div_zero 0
		.amdhsa_exception_fp_ieee_overflow 0
		.amdhsa_exception_fp_ieee_underflow 0
		.amdhsa_exception_fp_ieee_inexact 0
		.amdhsa_exception_int_div_zero 0
	.end_amdhsa_kernel
	.section	.text._ZN7rocprim17ROCPRIM_400000_NS6detail17trampoline_kernelINS0_14default_configENS1_27scan_by_key_config_selectorIj11FixedVectorIiLj4EEEEZZNS1_16scan_by_key_implILNS1_25lookback_scan_determinismE0ELb0ES3_N6thrust23THRUST_200600_302600_NS6detail15normal_iteratorINSB_10device_ptrIjEEEENSD_INSE_IS6_EEEESI_S6_NSB_4plusIvEENSB_8equal_toIvEES6_EE10hipError_tPvRmT2_T3_T4_T5_mT6_T7_P12ihipStream_tbENKUlT_T0_E_clISt17integral_constantIbLb1EES12_IbLb0EEEEDaSY_SZ_EUlSY_E_NS1_11comp_targetILNS1_3genE10ELNS1_11target_archE1200ELNS1_3gpuE4ELNS1_3repE0EEENS1_30default_config_static_selectorELNS0_4arch9wavefront6targetE0EEEvT1_,"axG",@progbits,_ZN7rocprim17ROCPRIM_400000_NS6detail17trampoline_kernelINS0_14default_configENS1_27scan_by_key_config_selectorIj11FixedVectorIiLj4EEEEZZNS1_16scan_by_key_implILNS1_25lookback_scan_determinismE0ELb0ES3_N6thrust23THRUST_200600_302600_NS6detail15normal_iteratorINSB_10device_ptrIjEEEENSD_INSE_IS6_EEEESI_S6_NSB_4plusIvEENSB_8equal_toIvEES6_EE10hipError_tPvRmT2_T3_T4_T5_mT6_T7_P12ihipStream_tbENKUlT_T0_E_clISt17integral_constantIbLb1EES12_IbLb0EEEEDaSY_SZ_EUlSY_E_NS1_11comp_targetILNS1_3genE10ELNS1_11target_archE1200ELNS1_3gpuE4ELNS1_3repE0EEENS1_30default_config_static_selectorELNS0_4arch9wavefront6targetE0EEEvT1_,comdat
.Lfunc_end2061:
	.size	_ZN7rocprim17ROCPRIM_400000_NS6detail17trampoline_kernelINS0_14default_configENS1_27scan_by_key_config_selectorIj11FixedVectorIiLj4EEEEZZNS1_16scan_by_key_implILNS1_25lookback_scan_determinismE0ELb0ES3_N6thrust23THRUST_200600_302600_NS6detail15normal_iteratorINSB_10device_ptrIjEEEENSD_INSE_IS6_EEEESI_S6_NSB_4plusIvEENSB_8equal_toIvEES6_EE10hipError_tPvRmT2_T3_T4_T5_mT6_T7_P12ihipStream_tbENKUlT_T0_E_clISt17integral_constantIbLb1EES12_IbLb0EEEEDaSY_SZ_EUlSY_E_NS1_11comp_targetILNS1_3genE10ELNS1_11target_archE1200ELNS1_3gpuE4ELNS1_3repE0EEENS1_30default_config_static_selectorELNS0_4arch9wavefront6targetE0EEEvT1_, .Lfunc_end2061-_ZN7rocprim17ROCPRIM_400000_NS6detail17trampoline_kernelINS0_14default_configENS1_27scan_by_key_config_selectorIj11FixedVectorIiLj4EEEEZZNS1_16scan_by_key_implILNS1_25lookback_scan_determinismE0ELb0ES3_N6thrust23THRUST_200600_302600_NS6detail15normal_iteratorINSB_10device_ptrIjEEEENSD_INSE_IS6_EEEESI_S6_NSB_4plusIvEENSB_8equal_toIvEES6_EE10hipError_tPvRmT2_T3_T4_T5_mT6_T7_P12ihipStream_tbENKUlT_T0_E_clISt17integral_constantIbLb1EES12_IbLb0EEEEDaSY_SZ_EUlSY_E_NS1_11comp_targetILNS1_3genE10ELNS1_11target_archE1200ELNS1_3gpuE4ELNS1_3repE0EEENS1_30default_config_static_selectorELNS0_4arch9wavefront6targetE0EEEvT1_
                                        ; -- End function
	.set _ZN7rocprim17ROCPRIM_400000_NS6detail17trampoline_kernelINS0_14default_configENS1_27scan_by_key_config_selectorIj11FixedVectorIiLj4EEEEZZNS1_16scan_by_key_implILNS1_25lookback_scan_determinismE0ELb0ES3_N6thrust23THRUST_200600_302600_NS6detail15normal_iteratorINSB_10device_ptrIjEEEENSD_INSE_IS6_EEEESI_S6_NSB_4plusIvEENSB_8equal_toIvEES6_EE10hipError_tPvRmT2_T3_T4_T5_mT6_T7_P12ihipStream_tbENKUlT_T0_E_clISt17integral_constantIbLb1EES12_IbLb0EEEEDaSY_SZ_EUlSY_E_NS1_11comp_targetILNS1_3genE10ELNS1_11target_archE1200ELNS1_3gpuE4ELNS1_3repE0EEENS1_30default_config_static_selectorELNS0_4arch9wavefront6targetE0EEEvT1_.num_vgpr, 0
	.set _ZN7rocprim17ROCPRIM_400000_NS6detail17trampoline_kernelINS0_14default_configENS1_27scan_by_key_config_selectorIj11FixedVectorIiLj4EEEEZZNS1_16scan_by_key_implILNS1_25lookback_scan_determinismE0ELb0ES3_N6thrust23THRUST_200600_302600_NS6detail15normal_iteratorINSB_10device_ptrIjEEEENSD_INSE_IS6_EEEESI_S6_NSB_4plusIvEENSB_8equal_toIvEES6_EE10hipError_tPvRmT2_T3_T4_T5_mT6_T7_P12ihipStream_tbENKUlT_T0_E_clISt17integral_constantIbLb1EES12_IbLb0EEEEDaSY_SZ_EUlSY_E_NS1_11comp_targetILNS1_3genE10ELNS1_11target_archE1200ELNS1_3gpuE4ELNS1_3repE0EEENS1_30default_config_static_selectorELNS0_4arch9wavefront6targetE0EEEvT1_.num_agpr, 0
	.set _ZN7rocprim17ROCPRIM_400000_NS6detail17trampoline_kernelINS0_14default_configENS1_27scan_by_key_config_selectorIj11FixedVectorIiLj4EEEEZZNS1_16scan_by_key_implILNS1_25lookback_scan_determinismE0ELb0ES3_N6thrust23THRUST_200600_302600_NS6detail15normal_iteratorINSB_10device_ptrIjEEEENSD_INSE_IS6_EEEESI_S6_NSB_4plusIvEENSB_8equal_toIvEES6_EE10hipError_tPvRmT2_T3_T4_T5_mT6_T7_P12ihipStream_tbENKUlT_T0_E_clISt17integral_constantIbLb1EES12_IbLb0EEEEDaSY_SZ_EUlSY_E_NS1_11comp_targetILNS1_3genE10ELNS1_11target_archE1200ELNS1_3gpuE4ELNS1_3repE0EEENS1_30default_config_static_selectorELNS0_4arch9wavefront6targetE0EEEvT1_.numbered_sgpr, 0
	.set _ZN7rocprim17ROCPRIM_400000_NS6detail17trampoline_kernelINS0_14default_configENS1_27scan_by_key_config_selectorIj11FixedVectorIiLj4EEEEZZNS1_16scan_by_key_implILNS1_25lookback_scan_determinismE0ELb0ES3_N6thrust23THRUST_200600_302600_NS6detail15normal_iteratorINSB_10device_ptrIjEEEENSD_INSE_IS6_EEEESI_S6_NSB_4plusIvEENSB_8equal_toIvEES6_EE10hipError_tPvRmT2_T3_T4_T5_mT6_T7_P12ihipStream_tbENKUlT_T0_E_clISt17integral_constantIbLb1EES12_IbLb0EEEEDaSY_SZ_EUlSY_E_NS1_11comp_targetILNS1_3genE10ELNS1_11target_archE1200ELNS1_3gpuE4ELNS1_3repE0EEENS1_30default_config_static_selectorELNS0_4arch9wavefront6targetE0EEEvT1_.num_named_barrier, 0
	.set _ZN7rocprim17ROCPRIM_400000_NS6detail17trampoline_kernelINS0_14default_configENS1_27scan_by_key_config_selectorIj11FixedVectorIiLj4EEEEZZNS1_16scan_by_key_implILNS1_25lookback_scan_determinismE0ELb0ES3_N6thrust23THRUST_200600_302600_NS6detail15normal_iteratorINSB_10device_ptrIjEEEENSD_INSE_IS6_EEEESI_S6_NSB_4plusIvEENSB_8equal_toIvEES6_EE10hipError_tPvRmT2_T3_T4_T5_mT6_T7_P12ihipStream_tbENKUlT_T0_E_clISt17integral_constantIbLb1EES12_IbLb0EEEEDaSY_SZ_EUlSY_E_NS1_11comp_targetILNS1_3genE10ELNS1_11target_archE1200ELNS1_3gpuE4ELNS1_3repE0EEENS1_30default_config_static_selectorELNS0_4arch9wavefront6targetE0EEEvT1_.private_seg_size, 0
	.set _ZN7rocprim17ROCPRIM_400000_NS6detail17trampoline_kernelINS0_14default_configENS1_27scan_by_key_config_selectorIj11FixedVectorIiLj4EEEEZZNS1_16scan_by_key_implILNS1_25lookback_scan_determinismE0ELb0ES3_N6thrust23THRUST_200600_302600_NS6detail15normal_iteratorINSB_10device_ptrIjEEEENSD_INSE_IS6_EEEESI_S6_NSB_4plusIvEENSB_8equal_toIvEES6_EE10hipError_tPvRmT2_T3_T4_T5_mT6_T7_P12ihipStream_tbENKUlT_T0_E_clISt17integral_constantIbLb1EES12_IbLb0EEEEDaSY_SZ_EUlSY_E_NS1_11comp_targetILNS1_3genE10ELNS1_11target_archE1200ELNS1_3gpuE4ELNS1_3repE0EEENS1_30default_config_static_selectorELNS0_4arch9wavefront6targetE0EEEvT1_.uses_vcc, 0
	.set _ZN7rocprim17ROCPRIM_400000_NS6detail17trampoline_kernelINS0_14default_configENS1_27scan_by_key_config_selectorIj11FixedVectorIiLj4EEEEZZNS1_16scan_by_key_implILNS1_25lookback_scan_determinismE0ELb0ES3_N6thrust23THRUST_200600_302600_NS6detail15normal_iteratorINSB_10device_ptrIjEEEENSD_INSE_IS6_EEEESI_S6_NSB_4plusIvEENSB_8equal_toIvEES6_EE10hipError_tPvRmT2_T3_T4_T5_mT6_T7_P12ihipStream_tbENKUlT_T0_E_clISt17integral_constantIbLb1EES12_IbLb0EEEEDaSY_SZ_EUlSY_E_NS1_11comp_targetILNS1_3genE10ELNS1_11target_archE1200ELNS1_3gpuE4ELNS1_3repE0EEENS1_30default_config_static_selectorELNS0_4arch9wavefront6targetE0EEEvT1_.uses_flat_scratch, 0
	.set _ZN7rocprim17ROCPRIM_400000_NS6detail17trampoline_kernelINS0_14default_configENS1_27scan_by_key_config_selectorIj11FixedVectorIiLj4EEEEZZNS1_16scan_by_key_implILNS1_25lookback_scan_determinismE0ELb0ES3_N6thrust23THRUST_200600_302600_NS6detail15normal_iteratorINSB_10device_ptrIjEEEENSD_INSE_IS6_EEEESI_S6_NSB_4plusIvEENSB_8equal_toIvEES6_EE10hipError_tPvRmT2_T3_T4_T5_mT6_T7_P12ihipStream_tbENKUlT_T0_E_clISt17integral_constantIbLb1EES12_IbLb0EEEEDaSY_SZ_EUlSY_E_NS1_11comp_targetILNS1_3genE10ELNS1_11target_archE1200ELNS1_3gpuE4ELNS1_3repE0EEENS1_30default_config_static_selectorELNS0_4arch9wavefront6targetE0EEEvT1_.has_dyn_sized_stack, 0
	.set _ZN7rocprim17ROCPRIM_400000_NS6detail17trampoline_kernelINS0_14default_configENS1_27scan_by_key_config_selectorIj11FixedVectorIiLj4EEEEZZNS1_16scan_by_key_implILNS1_25lookback_scan_determinismE0ELb0ES3_N6thrust23THRUST_200600_302600_NS6detail15normal_iteratorINSB_10device_ptrIjEEEENSD_INSE_IS6_EEEESI_S6_NSB_4plusIvEENSB_8equal_toIvEES6_EE10hipError_tPvRmT2_T3_T4_T5_mT6_T7_P12ihipStream_tbENKUlT_T0_E_clISt17integral_constantIbLb1EES12_IbLb0EEEEDaSY_SZ_EUlSY_E_NS1_11comp_targetILNS1_3genE10ELNS1_11target_archE1200ELNS1_3gpuE4ELNS1_3repE0EEENS1_30default_config_static_selectorELNS0_4arch9wavefront6targetE0EEEvT1_.has_recursion, 0
	.set _ZN7rocprim17ROCPRIM_400000_NS6detail17trampoline_kernelINS0_14default_configENS1_27scan_by_key_config_selectorIj11FixedVectorIiLj4EEEEZZNS1_16scan_by_key_implILNS1_25lookback_scan_determinismE0ELb0ES3_N6thrust23THRUST_200600_302600_NS6detail15normal_iteratorINSB_10device_ptrIjEEEENSD_INSE_IS6_EEEESI_S6_NSB_4plusIvEENSB_8equal_toIvEES6_EE10hipError_tPvRmT2_T3_T4_T5_mT6_T7_P12ihipStream_tbENKUlT_T0_E_clISt17integral_constantIbLb1EES12_IbLb0EEEEDaSY_SZ_EUlSY_E_NS1_11comp_targetILNS1_3genE10ELNS1_11target_archE1200ELNS1_3gpuE4ELNS1_3repE0EEENS1_30default_config_static_selectorELNS0_4arch9wavefront6targetE0EEEvT1_.has_indirect_call, 0
	.section	.AMDGPU.csdata,"",@progbits
; Kernel info:
; codeLenInByte = 0
; TotalNumSgprs: 0
; NumVgprs: 0
; ScratchSize: 0
; MemoryBound: 0
; FloatMode: 240
; IeeeMode: 1
; LDSByteSize: 0 bytes/workgroup (compile time only)
; SGPRBlocks: 0
; VGPRBlocks: 0
; NumSGPRsForWavesPerEU: 1
; NumVGPRsForWavesPerEU: 1
; Occupancy: 16
; WaveLimiterHint : 0
; COMPUTE_PGM_RSRC2:SCRATCH_EN: 0
; COMPUTE_PGM_RSRC2:USER_SGPR: 6
; COMPUTE_PGM_RSRC2:TRAP_HANDLER: 0
; COMPUTE_PGM_RSRC2:TGID_X_EN: 1
; COMPUTE_PGM_RSRC2:TGID_Y_EN: 0
; COMPUTE_PGM_RSRC2:TGID_Z_EN: 0
; COMPUTE_PGM_RSRC2:TIDIG_COMP_CNT: 0
	.section	.text._ZN7rocprim17ROCPRIM_400000_NS6detail17trampoline_kernelINS0_14default_configENS1_27scan_by_key_config_selectorIj11FixedVectorIiLj4EEEEZZNS1_16scan_by_key_implILNS1_25lookback_scan_determinismE0ELb0ES3_N6thrust23THRUST_200600_302600_NS6detail15normal_iteratorINSB_10device_ptrIjEEEENSD_INSE_IS6_EEEESI_S6_NSB_4plusIvEENSB_8equal_toIvEES6_EE10hipError_tPvRmT2_T3_T4_T5_mT6_T7_P12ihipStream_tbENKUlT_T0_E_clISt17integral_constantIbLb1EES12_IbLb0EEEEDaSY_SZ_EUlSY_E_NS1_11comp_targetILNS1_3genE9ELNS1_11target_archE1100ELNS1_3gpuE3ELNS1_3repE0EEENS1_30default_config_static_selectorELNS0_4arch9wavefront6targetE0EEEvT1_,"axG",@progbits,_ZN7rocprim17ROCPRIM_400000_NS6detail17trampoline_kernelINS0_14default_configENS1_27scan_by_key_config_selectorIj11FixedVectorIiLj4EEEEZZNS1_16scan_by_key_implILNS1_25lookback_scan_determinismE0ELb0ES3_N6thrust23THRUST_200600_302600_NS6detail15normal_iteratorINSB_10device_ptrIjEEEENSD_INSE_IS6_EEEESI_S6_NSB_4plusIvEENSB_8equal_toIvEES6_EE10hipError_tPvRmT2_T3_T4_T5_mT6_T7_P12ihipStream_tbENKUlT_T0_E_clISt17integral_constantIbLb1EES12_IbLb0EEEEDaSY_SZ_EUlSY_E_NS1_11comp_targetILNS1_3genE9ELNS1_11target_archE1100ELNS1_3gpuE3ELNS1_3repE0EEENS1_30default_config_static_selectorELNS0_4arch9wavefront6targetE0EEEvT1_,comdat
	.protected	_ZN7rocprim17ROCPRIM_400000_NS6detail17trampoline_kernelINS0_14default_configENS1_27scan_by_key_config_selectorIj11FixedVectorIiLj4EEEEZZNS1_16scan_by_key_implILNS1_25lookback_scan_determinismE0ELb0ES3_N6thrust23THRUST_200600_302600_NS6detail15normal_iteratorINSB_10device_ptrIjEEEENSD_INSE_IS6_EEEESI_S6_NSB_4plusIvEENSB_8equal_toIvEES6_EE10hipError_tPvRmT2_T3_T4_T5_mT6_T7_P12ihipStream_tbENKUlT_T0_E_clISt17integral_constantIbLb1EES12_IbLb0EEEEDaSY_SZ_EUlSY_E_NS1_11comp_targetILNS1_3genE9ELNS1_11target_archE1100ELNS1_3gpuE3ELNS1_3repE0EEENS1_30default_config_static_selectorELNS0_4arch9wavefront6targetE0EEEvT1_ ; -- Begin function _ZN7rocprim17ROCPRIM_400000_NS6detail17trampoline_kernelINS0_14default_configENS1_27scan_by_key_config_selectorIj11FixedVectorIiLj4EEEEZZNS1_16scan_by_key_implILNS1_25lookback_scan_determinismE0ELb0ES3_N6thrust23THRUST_200600_302600_NS6detail15normal_iteratorINSB_10device_ptrIjEEEENSD_INSE_IS6_EEEESI_S6_NSB_4plusIvEENSB_8equal_toIvEES6_EE10hipError_tPvRmT2_T3_T4_T5_mT6_T7_P12ihipStream_tbENKUlT_T0_E_clISt17integral_constantIbLb1EES12_IbLb0EEEEDaSY_SZ_EUlSY_E_NS1_11comp_targetILNS1_3genE9ELNS1_11target_archE1100ELNS1_3gpuE3ELNS1_3repE0EEENS1_30default_config_static_selectorELNS0_4arch9wavefront6targetE0EEEvT1_
	.globl	_ZN7rocprim17ROCPRIM_400000_NS6detail17trampoline_kernelINS0_14default_configENS1_27scan_by_key_config_selectorIj11FixedVectorIiLj4EEEEZZNS1_16scan_by_key_implILNS1_25lookback_scan_determinismE0ELb0ES3_N6thrust23THRUST_200600_302600_NS6detail15normal_iteratorINSB_10device_ptrIjEEEENSD_INSE_IS6_EEEESI_S6_NSB_4plusIvEENSB_8equal_toIvEES6_EE10hipError_tPvRmT2_T3_T4_T5_mT6_T7_P12ihipStream_tbENKUlT_T0_E_clISt17integral_constantIbLb1EES12_IbLb0EEEEDaSY_SZ_EUlSY_E_NS1_11comp_targetILNS1_3genE9ELNS1_11target_archE1100ELNS1_3gpuE3ELNS1_3repE0EEENS1_30default_config_static_selectorELNS0_4arch9wavefront6targetE0EEEvT1_
	.p2align	8
	.type	_ZN7rocprim17ROCPRIM_400000_NS6detail17trampoline_kernelINS0_14default_configENS1_27scan_by_key_config_selectorIj11FixedVectorIiLj4EEEEZZNS1_16scan_by_key_implILNS1_25lookback_scan_determinismE0ELb0ES3_N6thrust23THRUST_200600_302600_NS6detail15normal_iteratorINSB_10device_ptrIjEEEENSD_INSE_IS6_EEEESI_S6_NSB_4plusIvEENSB_8equal_toIvEES6_EE10hipError_tPvRmT2_T3_T4_T5_mT6_T7_P12ihipStream_tbENKUlT_T0_E_clISt17integral_constantIbLb1EES12_IbLb0EEEEDaSY_SZ_EUlSY_E_NS1_11comp_targetILNS1_3genE9ELNS1_11target_archE1100ELNS1_3gpuE3ELNS1_3repE0EEENS1_30default_config_static_selectorELNS0_4arch9wavefront6targetE0EEEvT1_,@function
_ZN7rocprim17ROCPRIM_400000_NS6detail17trampoline_kernelINS0_14default_configENS1_27scan_by_key_config_selectorIj11FixedVectorIiLj4EEEEZZNS1_16scan_by_key_implILNS1_25lookback_scan_determinismE0ELb0ES3_N6thrust23THRUST_200600_302600_NS6detail15normal_iteratorINSB_10device_ptrIjEEEENSD_INSE_IS6_EEEESI_S6_NSB_4plusIvEENSB_8equal_toIvEES6_EE10hipError_tPvRmT2_T3_T4_T5_mT6_T7_P12ihipStream_tbENKUlT_T0_E_clISt17integral_constantIbLb1EES12_IbLb0EEEEDaSY_SZ_EUlSY_E_NS1_11comp_targetILNS1_3genE9ELNS1_11target_archE1100ELNS1_3gpuE3ELNS1_3repE0EEENS1_30default_config_static_selectorELNS0_4arch9wavefront6targetE0EEEvT1_: ; @_ZN7rocprim17ROCPRIM_400000_NS6detail17trampoline_kernelINS0_14default_configENS1_27scan_by_key_config_selectorIj11FixedVectorIiLj4EEEEZZNS1_16scan_by_key_implILNS1_25lookback_scan_determinismE0ELb0ES3_N6thrust23THRUST_200600_302600_NS6detail15normal_iteratorINSB_10device_ptrIjEEEENSD_INSE_IS6_EEEESI_S6_NSB_4plusIvEENSB_8equal_toIvEES6_EE10hipError_tPvRmT2_T3_T4_T5_mT6_T7_P12ihipStream_tbENKUlT_T0_E_clISt17integral_constantIbLb1EES12_IbLb0EEEEDaSY_SZ_EUlSY_E_NS1_11comp_targetILNS1_3genE9ELNS1_11target_archE1100ELNS1_3gpuE3ELNS1_3repE0EEENS1_30default_config_static_selectorELNS0_4arch9wavefront6targetE0EEEvT1_
; %bb.0:
	.section	.rodata,"a",@progbits
	.p2align	6, 0x0
	.amdhsa_kernel _ZN7rocprim17ROCPRIM_400000_NS6detail17trampoline_kernelINS0_14default_configENS1_27scan_by_key_config_selectorIj11FixedVectorIiLj4EEEEZZNS1_16scan_by_key_implILNS1_25lookback_scan_determinismE0ELb0ES3_N6thrust23THRUST_200600_302600_NS6detail15normal_iteratorINSB_10device_ptrIjEEEENSD_INSE_IS6_EEEESI_S6_NSB_4plusIvEENSB_8equal_toIvEES6_EE10hipError_tPvRmT2_T3_T4_T5_mT6_T7_P12ihipStream_tbENKUlT_T0_E_clISt17integral_constantIbLb1EES12_IbLb0EEEEDaSY_SZ_EUlSY_E_NS1_11comp_targetILNS1_3genE9ELNS1_11target_archE1100ELNS1_3gpuE3ELNS1_3repE0EEENS1_30default_config_static_selectorELNS0_4arch9wavefront6targetE0EEEvT1_
		.amdhsa_group_segment_fixed_size 0
		.amdhsa_private_segment_fixed_size 0
		.amdhsa_kernarg_size 144
		.amdhsa_user_sgpr_count 6
		.amdhsa_user_sgpr_private_segment_buffer 1
		.amdhsa_user_sgpr_dispatch_ptr 0
		.amdhsa_user_sgpr_queue_ptr 0
		.amdhsa_user_sgpr_kernarg_segment_ptr 1
		.amdhsa_user_sgpr_dispatch_id 0
		.amdhsa_user_sgpr_flat_scratch_init 0
		.amdhsa_user_sgpr_private_segment_size 0
		.amdhsa_wavefront_size32 1
		.amdhsa_uses_dynamic_stack 0
		.amdhsa_system_sgpr_private_segment_wavefront_offset 0
		.amdhsa_system_sgpr_workgroup_id_x 1
		.amdhsa_system_sgpr_workgroup_id_y 0
		.amdhsa_system_sgpr_workgroup_id_z 0
		.amdhsa_system_sgpr_workgroup_info 0
		.amdhsa_system_vgpr_workitem_id 0
		.amdhsa_next_free_vgpr 1
		.amdhsa_next_free_sgpr 1
		.amdhsa_reserve_vcc 0
		.amdhsa_reserve_flat_scratch 0
		.amdhsa_float_round_mode_32 0
		.amdhsa_float_round_mode_16_64 0
		.amdhsa_float_denorm_mode_32 3
		.amdhsa_float_denorm_mode_16_64 3
		.amdhsa_dx10_clamp 1
		.amdhsa_ieee_mode 1
		.amdhsa_fp16_overflow 0
		.amdhsa_workgroup_processor_mode 1
		.amdhsa_memory_ordered 1
		.amdhsa_forward_progress 1
		.amdhsa_shared_vgpr_count 0
		.amdhsa_exception_fp_ieee_invalid_op 0
		.amdhsa_exception_fp_denorm_src 0
		.amdhsa_exception_fp_ieee_div_zero 0
		.amdhsa_exception_fp_ieee_overflow 0
		.amdhsa_exception_fp_ieee_underflow 0
		.amdhsa_exception_fp_ieee_inexact 0
		.amdhsa_exception_int_div_zero 0
	.end_amdhsa_kernel
	.section	.text._ZN7rocprim17ROCPRIM_400000_NS6detail17trampoline_kernelINS0_14default_configENS1_27scan_by_key_config_selectorIj11FixedVectorIiLj4EEEEZZNS1_16scan_by_key_implILNS1_25lookback_scan_determinismE0ELb0ES3_N6thrust23THRUST_200600_302600_NS6detail15normal_iteratorINSB_10device_ptrIjEEEENSD_INSE_IS6_EEEESI_S6_NSB_4plusIvEENSB_8equal_toIvEES6_EE10hipError_tPvRmT2_T3_T4_T5_mT6_T7_P12ihipStream_tbENKUlT_T0_E_clISt17integral_constantIbLb1EES12_IbLb0EEEEDaSY_SZ_EUlSY_E_NS1_11comp_targetILNS1_3genE9ELNS1_11target_archE1100ELNS1_3gpuE3ELNS1_3repE0EEENS1_30default_config_static_selectorELNS0_4arch9wavefront6targetE0EEEvT1_,"axG",@progbits,_ZN7rocprim17ROCPRIM_400000_NS6detail17trampoline_kernelINS0_14default_configENS1_27scan_by_key_config_selectorIj11FixedVectorIiLj4EEEEZZNS1_16scan_by_key_implILNS1_25lookback_scan_determinismE0ELb0ES3_N6thrust23THRUST_200600_302600_NS6detail15normal_iteratorINSB_10device_ptrIjEEEENSD_INSE_IS6_EEEESI_S6_NSB_4plusIvEENSB_8equal_toIvEES6_EE10hipError_tPvRmT2_T3_T4_T5_mT6_T7_P12ihipStream_tbENKUlT_T0_E_clISt17integral_constantIbLb1EES12_IbLb0EEEEDaSY_SZ_EUlSY_E_NS1_11comp_targetILNS1_3genE9ELNS1_11target_archE1100ELNS1_3gpuE3ELNS1_3repE0EEENS1_30default_config_static_selectorELNS0_4arch9wavefront6targetE0EEEvT1_,comdat
.Lfunc_end2062:
	.size	_ZN7rocprim17ROCPRIM_400000_NS6detail17trampoline_kernelINS0_14default_configENS1_27scan_by_key_config_selectorIj11FixedVectorIiLj4EEEEZZNS1_16scan_by_key_implILNS1_25lookback_scan_determinismE0ELb0ES3_N6thrust23THRUST_200600_302600_NS6detail15normal_iteratorINSB_10device_ptrIjEEEENSD_INSE_IS6_EEEESI_S6_NSB_4plusIvEENSB_8equal_toIvEES6_EE10hipError_tPvRmT2_T3_T4_T5_mT6_T7_P12ihipStream_tbENKUlT_T0_E_clISt17integral_constantIbLb1EES12_IbLb0EEEEDaSY_SZ_EUlSY_E_NS1_11comp_targetILNS1_3genE9ELNS1_11target_archE1100ELNS1_3gpuE3ELNS1_3repE0EEENS1_30default_config_static_selectorELNS0_4arch9wavefront6targetE0EEEvT1_, .Lfunc_end2062-_ZN7rocprim17ROCPRIM_400000_NS6detail17trampoline_kernelINS0_14default_configENS1_27scan_by_key_config_selectorIj11FixedVectorIiLj4EEEEZZNS1_16scan_by_key_implILNS1_25lookback_scan_determinismE0ELb0ES3_N6thrust23THRUST_200600_302600_NS6detail15normal_iteratorINSB_10device_ptrIjEEEENSD_INSE_IS6_EEEESI_S6_NSB_4plusIvEENSB_8equal_toIvEES6_EE10hipError_tPvRmT2_T3_T4_T5_mT6_T7_P12ihipStream_tbENKUlT_T0_E_clISt17integral_constantIbLb1EES12_IbLb0EEEEDaSY_SZ_EUlSY_E_NS1_11comp_targetILNS1_3genE9ELNS1_11target_archE1100ELNS1_3gpuE3ELNS1_3repE0EEENS1_30default_config_static_selectorELNS0_4arch9wavefront6targetE0EEEvT1_
                                        ; -- End function
	.set _ZN7rocprim17ROCPRIM_400000_NS6detail17trampoline_kernelINS0_14default_configENS1_27scan_by_key_config_selectorIj11FixedVectorIiLj4EEEEZZNS1_16scan_by_key_implILNS1_25lookback_scan_determinismE0ELb0ES3_N6thrust23THRUST_200600_302600_NS6detail15normal_iteratorINSB_10device_ptrIjEEEENSD_INSE_IS6_EEEESI_S6_NSB_4plusIvEENSB_8equal_toIvEES6_EE10hipError_tPvRmT2_T3_T4_T5_mT6_T7_P12ihipStream_tbENKUlT_T0_E_clISt17integral_constantIbLb1EES12_IbLb0EEEEDaSY_SZ_EUlSY_E_NS1_11comp_targetILNS1_3genE9ELNS1_11target_archE1100ELNS1_3gpuE3ELNS1_3repE0EEENS1_30default_config_static_selectorELNS0_4arch9wavefront6targetE0EEEvT1_.num_vgpr, 0
	.set _ZN7rocprim17ROCPRIM_400000_NS6detail17trampoline_kernelINS0_14default_configENS1_27scan_by_key_config_selectorIj11FixedVectorIiLj4EEEEZZNS1_16scan_by_key_implILNS1_25lookback_scan_determinismE0ELb0ES3_N6thrust23THRUST_200600_302600_NS6detail15normal_iteratorINSB_10device_ptrIjEEEENSD_INSE_IS6_EEEESI_S6_NSB_4plusIvEENSB_8equal_toIvEES6_EE10hipError_tPvRmT2_T3_T4_T5_mT6_T7_P12ihipStream_tbENKUlT_T0_E_clISt17integral_constantIbLb1EES12_IbLb0EEEEDaSY_SZ_EUlSY_E_NS1_11comp_targetILNS1_3genE9ELNS1_11target_archE1100ELNS1_3gpuE3ELNS1_3repE0EEENS1_30default_config_static_selectorELNS0_4arch9wavefront6targetE0EEEvT1_.num_agpr, 0
	.set _ZN7rocprim17ROCPRIM_400000_NS6detail17trampoline_kernelINS0_14default_configENS1_27scan_by_key_config_selectorIj11FixedVectorIiLj4EEEEZZNS1_16scan_by_key_implILNS1_25lookback_scan_determinismE0ELb0ES3_N6thrust23THRUST_200600_302600_NS6detail15normal_iteratorINSB_10device_ptrIjEEEENSD_INSE_IS6_EEEESI_S6_NSB_4plusIvEENSB_8equal_toIvEES6_EE10hipError_tPvRmT2_T3_T4_T5_mT6_T7_P12ihipStream_tbENKUlT_T0_E_clISt17integral_constantIbLb1EES12_IbLb0EEEEDaSY_SZ_EUlSY_E_NS1_11comp_targetILNS1_3genE9ELNS1_11target_archE1100ELNS1_3gpuE3ELNS1_3repE0EEENS1_30default_config_static_selectorELNS0_4arch9wavefront6targetE0EEEvT1_.numbered_sgpr, 0
	.set _ZN7rocprim17ROCPRIM_400000_NS6detail17trampoline_kernelINS0_14default_configENS1_27scan_by_key_config_selectorIj11FixedVectorIiLj4EEEEZZNS1_16scan_by_key_implILNS1_25lookback_scan_determinismE0ELb0ES3_N6thrust23THRUST_200600_302600_NS6detail15normal_iteratorINSB_10device_ptrIjEEEENSD_INSE_IS6_EEEESI_S6_NSB_4plusIvEENSB_8equal_toIvEES6_EE10hipError_tPvRmT2_T3_T4_T5_mT6_T7_P12ihipStream_tbENKUlT_T0_E_clISt17integral_constantIbLb1EES12_IbLb0EEEEDaSY_SZ_EUlSY_E_NS1_11comp_targetILNS1_3genE9ELNS1_11target_archE1100ELNS1_3gpuE3ELNS1_3repE0EEENS1_30default_config_static_selectorELNS0_4arch9wavefront6targetE0EEEvT1_.num_named_barrier, 0
	.set _ZN7rocprim17ROCPRIM_400000_NS6detail17trampoline_kernelINS0_14default_configENS1_27scan_by_key_config_selectorIj11FixedVectorIiLj4EEEEZZNS1_16scan_by_key_implILNS1_25lookback_scan_determinismE0ELb0ES3_N6thrust23THRUST_200600_302600_NS6detail15normal_iteratorINSB_10device_ptrIjEEEENSD_INSE_IS6_EEEESI_S6_NSB_4plusIvEENSB_8equal_toIvEES6_EE10hipError_tPvRmT2_T3_T4_T5_mT6_T7_P12ihipStream_tbENKUlT_T0_E_clISt17integral_constantIbLb1EES12_IbLb0EEEEDaSY_SZ_EUlSY_E_NS1_11comp_targetILNS1_3genE9ELNS1_11target_archE1100ELNS1_3gpuE3ELNS1_3repE0EEENS1_30default_config_static_selectorELNS0_4arch9wavefront6targetE0EEEvT1_.private_seg_size, 0
	.set _ZN7rocprim17ROCPRIM_400000_NS6detail17trampoline_kernelINS0_14default_configENS1_27scan_by_key_config_selectorIj11FixedVectorIiLj4EEEEZZNS1_16scan_by_key_implILNS1_25lookback_scan_determinismE0ELb0ES3_N6thrust23THRUST_200600_302600_NS6detail15normal_iteratorINSB_10device_ptrIjEEEENSD_INSE_IS6_EEEESI_S6_NSB_4plusIvEENSB_8equal_toIvEES6_EE10hipError_tPvRmT2_T3_T4_T5_mT6_T7_P12ihipStream_tbENKUlT_T0_E_clISt17integral_constantIbLb1EES12_IbLb0EEEEDaSY_SZ_EUlSY_E_NS1_11comp_targetILNS1_3genE9ELNS1_11target_archE1100ELNS1_3gpuE3ELNS1_3repE0EEENS1_30default_config_static_selectorELNS0_4arch9wavefront6targetE0EEEvT1_.uses_vcc, 0
	.set _ZN7rocprim17ROCPRIM_400000_NS6detail17trampoline_kernelINS0_14default_configENS1_27scan_by_key_config_selectorIj11FixedVectorIiLj4EEEEZZNS1_16scan_by_key_implILNS1_25lookback_scan_determinismE0ELb0ES3_N6thrust23THRUST_200600_302600_NS6detail15normal_iteratorINSB_10device_ptrIjEEEENSD_INSE_IS6_EEEESI_S6_NSB_4plusIvEENSB_8equal_toIvEES6_EE10hipError_tPvRmT2_T3_T4_T5_mT6_T7_P12ihipStream_tbENKUlT_T0_E_clISt17integral_constantIbLb1EES12_IbLb0EEEEDaSY_SZ_EUlSY_E_NS1_11comp_targetILNS1_3genE9ELNS1_11target_archE1100ELNS1_3gpuE3ELNS1_3repE0EEENS1_30default_config_static_selectorELNS0_4arch9wavefront6targetE0EEEvT1_.uses_flat_scratch, 0
	.set _ZN7rocprim17ROCPRIM_400000_NS6detail17trampoline_kernelINS0_14default_configENS1_27scan_by_key_config_selectorIj11FixedVectorIiLj4EEEEZZNS1_16scan_by_key_implILNS1_25lookback_scan_determinismE0ELb0ES3_N6thrust23THRUST_200600_302600_NS6detail15normal_iteratorINSB_10device_ptrIjEEEENSD_INSE_IS6_EEEESI_S6_NSB_4plusIvEENSB_8equal_toIvEES6_EE10hipError_tPvRmT2_T3_T4_T5_mT6_T7_P12ihipStream_tbENKUlT_T0_E_clISt17integral_constantIbLb1EES12_IbLb0EEEEDaSY_SZ_EUlSY_E_NS1_11comp_targetILNS1_3genE9ELNS1_11target_archE1100ELNS1_3gpuE3ELNS1_3repE0EEENS1_30default_config_static_selectorELNS0_4arch9wavefront6targetE0EEEvT1_.has_dyn_sized_stack, 0
	.set _ZN7rocprim17ROCPRIM_400000_NS6detail17trampoline_kernelINS0_14default_configENS1_27scan_by_key_config_selectorIj11FixedVectorIiLj4EEEEZZNS1_16scan_by_key_implILNS1_25lookback_scan_determinismE0ELb0ES3_N6thrust23THRUST_200600_302600_NS6detail15normal_iteratorINSB_10device_ptrIjEEEENSD_INSE_IS6_EEEESI_S6_NSB_4plusIvEENSB_8equal_toIvEES6_EE10hipError_tPvRmT2_T3_T4_T5_mT6_T7_P12ihipStream_tbENKUlT_T0_E_clISt17integral_constantIbLb1EES12_IbLb0EEEEDaSY_SZ_EUlSY_E_NS1_11comp_targetILNS1_3genE9ELNS1_11target_archE1100ELNS1_3gpuE3ELNS1_3repE0EEENS1_30default_config_static_selectorELNS0_4arch9wavefront6targetE0EEEvT1_.has_recursion, 0
	.set _ZN7rocprim17ROCPRIM_400000_NS6detail17trampoline_kernelINS0_14default_configENS1_27scan_by_key_config_selectorIj11FixedVectorIiLj4EEEEZZNS1_16scan_by_key_implILNS1_25lookback_scan_determinismE0ELb0ES3_N6thrust23THRUST_200600_302600_NS6detail15normal_iteratorINSB_10device_ptrIjEEEENSD_INSE_IS6_EEEESI_S6_NSB_4plusIvEENSB_8equal_toIvEES6_EE10hipError_tPvRmT2_T3_T4_T5_mT6_T7_P12ihipStream_tbENKUlT_T0_E_clISt17integral_constantIbLb1EES12_IbLb0EEEEDaSY_SZ_EUlSY_E_NS1_11comp_targetILNS1_3genE9ELNS1_11target_archE1100ELNS1_3gpuE3ELNS1_3repE0EEENS1_30default_config_static_selectorELNS0_4arch9wavefront6targetE0EEEvT1_.has_indirect_call, 0
	.section	.AMDGPU.csdata,"",@progbits
; Kernel info:
; codeLenInByte = 0
; TotalNumSgprs: 0
; NumVgprs: 0
; ScratchSize: 0
; MemoryBound: 0
; FloatMode: 240
; IeeeMode: 1
; LDSByteSize: 0 bytes/workgroup (compile time only)
; SGPRBlocks: 0
; VGPRBlocks: 0
; NumSGPRsForWavesPerEU: 1
; NumVGPRsForWavesPerEU: 1
; Occupancy: 16
; WaveLimiterHint : 0
; COMPUTE_PGM_RSRC2:SCRATCH_EN: 0
; COMPUTE_PGM_RSRC2:USER_SGPR: 6
; COMPUTE_PGM_RSRC2:TRAP_HANDLER: 0
; COMPUTE_PGM_RSRC2:TGID_X_EN: 1
; COMPUTE_PGM_RSRC2:TGID_Y_EN: 0
; COMPUTE_PGM_RSRC2:TGID_Z_EN: 0
; COMPUTE_PGM_RSRC2:TIDIG_COMP_CNT: 0
	.section	.text._ZN7rocprim17ROCPRIM_400000_NS6detail17trampoline_kernelINS0_14default_configENS1_27scan_by_key_config_selectorIj11FixedVectorIiLj4EEEEZZNS1_16scan_by_key_implILNS1_25lookback_scan_determinismE0ELb0ES3_N6thrust23THRUST_200600_302600_NS6detail15normal_iteratorINSB_10device_ptrIjEEEENSD_INSE_IS6_EEEESI_S6_NSB_4plusIvEENSB_8equal_toIvEES6_EE10hipError_tPvRmT2_T3_T4_T5_mT6_T7_P12ihipStream_tbENKUlT_T0_E_clISt17integral_constantIbLb1EES12_IbLb0EEEEDaSY_SZ_EUlSY_E_NS1_11comp_targetILNS1_3genE8ELNS1_11target_archE1030ELNS1_3gpuE2ELNS1_3repE0EEENS1_30default_config_static_selectorELNS0_4arch9wavefront6targetE0EEEvT1_,"axG",@progbits,_ZN7rocprim17ROCPRIM_400000_NS6detail17trampoline_kernelINS0_14default_configENS1_27scan_by_key_config_selectorIj11FixedVectorIiLj4EEEEZZNS1_16scan_by_key_implILNS1_25lookback_scan_determinismE0ELb0ES3_N6thrust23THRUST_200600_302600_NS6detail15normal_iteratorINSB_10device_ptrIjEEEENSD_INSE_IS6_EEEESI_S6_NSB_4plusIvEENSB_8equal_toIvEES6_EE10hipError_tPvRmT2_T3_T4_T5_mT6_T7_P12ihipStream_tbENKUlT_T0_E_clISt17integral_constantIbLb1EES12_IbLb0EEEEDaSY_SZ_EUlSY_E_NS1_11comp_targetILNS1_3genE8ELNS1_11target_archE1030ELNS1_3gpuE2ELNS1_3repE0EEENS1_30default_config_static_selectorELNS0_4arch9wavefront6targetE0EEEvT1_,comdat
	.protected	_ZN7rocprim17ROCPRIM_400000_NS6detail17trampoline_kernelINS0_14default_configENS1_27scan_by_key_config_selectorIj11FixedVectorIiLj4EEEEZZNS1_16scan_by_key_implILNS1_25lookback_scan_determinismE0ELb0ES3_N6thrust23THRUST_200600_302600_NS6detail15normal_iteratorINSB_10device_ptrIjEEEENSD_INSE_IS6_EEEESI_S6_NSB_4plusIvEENSB_8equal_toIvEES6_EE10hipError_tPvRmT2_T3_T4_T5_mT6_T7_P12ihipStream_tbENKUlT_T0_E_clISt17integral_constantIbLb1EES12_IbLb0EEEEDaSY_SZ_EUlSY_E_NS1_11comp_targetILNS1_3genE8ELNS1_11target_archE1030ELNS1_3gpuE2ELNS1_3repE0EEENS1_30default_config_static_selectorELNS0_4arch9wavefront6targetE0EEEvT1_ ; -- Begin function _ZN7rocprim17ROCPRIM_400000_NS6detail17trampoline_kernelINS0_14default_configENS1_27scan_by_key_config_selectorIj11FixedVectorIiLj4EEEEZZNS1_16scan_by_key_implILNS1_25lookback_scan_determinismE0ELb0ES3_N6thrust23THRUST_200600_302600_NS6detail15normal_iteratorINSB_10device_ptrIjEEEENSD_INSE_IS6_EEEESI_S6_NSB_4plusIvEENSB_8equal_toIvEES6_EE10hipError_tPvRmT2_T3_T4_T5_mT6_T7_P12ihipStream_tbENKUlT_T0_E_clISt17integral_constantIbLb1EES12_IbLb0EEEEDaSY_SZ_EUlSY_E_NS1_11comp_targetILNS1_3genE8ELNS1_11target_archE1030ELNS1_3gpuE2ELNS1_3repE0EEENS1_30default_config_static_selectorELNS0_4arch9wavefront6targetE0EEEvT1_
	.globl	_ZN7rocprim17ROCPRIM_400000_NS6detail17trampoline_kernelINS0_14default_configENS1_27scan_by_key_config_selectorIj11FixedVectorIiLj4EEEEZZNS1_16scan_by_key_implILNS1_25lookback_scan_determinismE0ELb0ES3_N6thrust23THRUST_200600_302600_NS6detail15normal_iteratorINSB_10device_ptrIjEEEENSD_INSE_IS6_EEEESI_S6_NSB_4plusIvEENSB_8equal_toIvEES6_EE10hipError_tPvRmT2_T3_T4_T5_mT6_T7_P12ihipStream_tbENKUlT_T0_E_clISt17integral_constantIbLb1EES12_IbLb0EEEEDaSY_SZ_EUlSY_E_NS1_11comp_targetILNS1_3genE8ELNS1_11target_archE1030ELNS1_3gpuE2ELNS1_3repE0EEENS1_30default_config_static_selectorELNS0_4arch9wavefront6targetE0EEEvT1_
	.p2align	8
	.type	_ZN7rocprim17ROCPRIM_400000_NS6detail17trampoline_kernelINS0_14default_configENS1_27scan_by_key_config_selectorIj11FixedVectorIiLj4EEEEZZNS1_16scan_by_key_implILNS1_25lookback_scan_determinismE0ELb0ES3_N6thrust23THRUST_200600_302600_NS6detail15normal_iteratorINSB_10device_ptrIjEEEENSD_INSE_IS6_EEEESI_S6_NSB_4plusIvEENSB_8equal_toIvEES6_EE10hipError_tPvRmT2_T3_T4_T5_mT6_T7_P12ihipStream_tbENKUlT_T0_E_clISt17integral_constantIbLb1EES12_IbLb0EEEEDaSY_SZ_EUlSY_E_NS1_11comp_targetILNS1_3genE8ELNS1_11target_archE1030ELNS1_3gpuE2ELNS1_3repE0EEENS1_30default_config_static_selectorELNS0_4arch9wavefront6targetE0EEEvT1_,@function
_ZN7rocprim17ROCPRIM_400000_NS6detail17trampoline_kernelINS0_14default_configENS1_27scan_by_key_config_selectorIj11FixedVectorIiLj4EEEEZZNS1_16scan_by_key_implILNS1_25lookback_scan_determinismE0ELb0ES3_N6thrust23THRUST_200600_302600_NS6detail15normal_iteratorINSB_10device_ptrIjEEEENSD_INSE_IS6_EEEESI_S6_NSB_4plusIvEENSB_8equal_toIvEES6_EE10hipError_tPvRmT2_T3_T4_T5_mT6_T7_P12ihipStream_tbENKUlT_T0_E_clISt17integral_constantIbLb1EES12_IbLb0EEEEDaSY_SZ_EUlSY_E_NS1_11comp_targetILNS1_3genE8ELNS1_11target_archE1030ELNS1_3gpuE2ELNS1_3repE0EEENS1_30default_config_static_selectorELNS0_4arch9wavefront6targetE0EEEvT1_: ; @_ZN7rocprim17ROCPRIM_400000_NS6detail17trampoline_kernelINS0_14default_configENS1_27scan_by_key_config_selectorIj11FixedVectorIiLj4EEEEZZNS1_16scan_by_key_implILNS1_25lookback_scan_determinismE0ELb0ES3_N6thrust23THRUST_200600_302600_NS6detail15normal_iteratorINSB_10device_ptrIjEEEENSD_INSE_IS6_EEEESI_S6_NSB_4plusIvEENSB_8equal_toIvEES6_EE10hipError_tPvRmT2_T3_T4_T5_mT6_T7_P12ihipStream_tbENKUlT_T0_E_clISt17integral_constantIbLb1EES12_IbLb0EEEEDaSY_SZ_EUlSY_E_NS1_11comp_targetILNS1_3genE8ELNS1_11target_archE1030ELNS1_3gpuE2ELNS1_3repE0EEENS1_30default_config_static_selectorELNS0_4arch9wavefront6targetE0EEEvT1_
; %bb.0:
	s_endpgm
	.section	.rodata,"a",@progbits
	.p2align	6, 0x0
	.amdhsa_kernel _ZN7rocprim17ROCPRIM_400000_NS6detail17trampoline_kernelINS0_14default_configENS1_27scan_by_key_config_selectorIj11FixedVectorIiLj4EEEEZZNS1_16scan_by_key_implILNS1_25lookback_scan_determinismE0ELb0ES3_N6thrust23THRUST_200600_302600_NS6detail15normal_iteratorINSB_10device_ptrIjEEEENSD_INSE_IS6_EEEESI_S6_NSB_4plusIvEENSB_8equal_toIvEES6_EE10hipError_tPvRmT2_T3_T4_T5_mT6_T7_P12ihipStream_tbENKUlT_T0_E_clISt17integral_constantIbLb1EES12_IbLb0EEEEDaSY_SZ_EUlSY_E_NS1_11comp_targetILNS1_3genE8ELNS1_11target_archE1030ELNS1_3gpuE2ELNS1_3repE0EEENS1_30default_config_static_selectorELNS0_4arch9wavefront6targetE0EEEvT1_
		.amdhsa_group_segment_fixed_size 0
		.amdhsa_private_segment_fixed_size 0
		.amdhsa_kernarg_size 144
		.amdhsa_user_sgpr_count 6
		.amdhsa_user_sgpr_private_segment_buffer 1
		.amdhsa_user_sgpr_dispatch_ptr 0
		.amdhsa_user_sgpr_queue_ptr 0
		.amdhsa_user_sgpr_kernarg_segment_ptr 1
		.amdhsa_user_sgpr_dispatch_id 0
		.amdhsa_user_sgpr_flat_scratch_init 0
		.amdhsa_user_sgpr_private_segment_size 0
		.amdhsa_wavefront_size32 1
		.amdhsa_uses_dynamic_stack 0
		.amdhsa_system_sgpr_private_segment_wavefront_offset 0
		.amdhsa_system_sgpr_workgroup_id_x 1
		.amdhsa_system_sgpr_workgroup_id_y 0
		.amdhsa_system_sgpr_workgroup_id_z 0
		.amdhsa_system_sgpr_workgroup_info 0
		.amdhsa_system_vgpr_workitem_id 0
		.amdhsa_next_free_vgpr 1
		.amdhsa_next_free_sgpr 1
		.amdhsa_reserve_vcc 0
		.amdhsa_reserve_flat_scratch 0
		.amdhsa_float_round_mode_32 0
		.amdhsa_float_round_mode_16_64 0
		.amdhsa_float_denorm_mode_32 3
		.amdhsa_float_denorm_mode_16_64 3
		.amdhsa_dx10_clamp 1
		.amdhsa_ieee_mode 1
		.amdhsa_fp16_overflow 0
		.amdhsa_workgroup_processor_mode 1
		.amdhsa_memory_ordered 1
		.amdhsa_forward_progress 1
		.amdhsa_shared_vgpr_count 0
		.amdhsa_exception_fp_ieee_invalid_op 0
		.amdhsa_exception_fp_denorm_src 0
		.amdhsa_exception_fp_ieee_div_zero 0
		.amdhsa_exception_fp_ieee_overflow 0
		.amdhsa_exception_fp_ieee_underflow 0
		.amdhsa_exception_fp_ieee_inexact 0
		.amdhsa_exception_int_div_zero 0
	.end_amdhsa_kernel
	.section	.text._ZN7rocprim17ROCPRIM_400000_NS6detail17trampoline_kernelINS0_14default_configENS1_27scan_by_key_config_selectorIj11FixedVectorIiLj4EEEEZZNS1_16scan_by_key_implILNS1_25lookback_scan_determinismE0ELb0ES3_N6thrust23THRUST_200600_302600_NS6detail15normal_iteratorINSB_10device_ptrIjEEEENSD_INSE_IS6_EEEESI_S6_NSB_4plusIvEENSB_8equal_toIvEES6_EE10hipError_tPvRmT2_T3_T4_T5_mT6_T7_P12ihipStream_tbENKUlT_T0_E_clISt17integral_constantIbLb1EES12_IbLb0EEEEDaSY_SZ_EUlSY_E_NS1_11comp_targetILNS1_3genE8ELNS1_11target_archE1030ELNS1_3gpuE2ELNS1_3repE0EEENS1_30default_config_static_selectorELNS0_4arch9wavefront6targetE0EEEvT1_,"axG",@progbits,_ZN7rocprim17ROCPRIM_400000_NS6detail17trampoline_kernelINS0_14default_configENS1_27scan_by_key_config_selectorIj11FixedVectorIiLj4EEEEZZNS1_16scan_by_key_implILNS1_25lookback_scan_determinismE0ELb0ES3_N6thrust23THRUST_200600_302600_NS6detail15normal_iteratorINSB_10device_ptrIjEEEENSD_INSE_IS6_EEEESI_S6_NSB_4plusIvEENSB_8equal_toIvEES6_EE10hipError_tPvRmT2_T3_T4_T5_mT6_T7_P12ihipStream_tbENKUlT_T0_E_clISt17integral_constantIbLb1EES12_IbLb0EEEEDaSY_SZ_EUlSY_E_NS1_11comp_targetILNS1_3genE8ELNS1_11target_archE1030ELNS1_3gpuE2ELNS1_3repE0EEENS1_30default_config_static_selectorELNS0_4arch9wavefront6targetE0EEEvT1_,comdat
.Lfunc_end2063:
	.size	_ZN7rocprim17ROCPRIM_400000_NS6detail17trampoline_kernelINS0_14default_configENS1_27scan_by_key_config_selectorIj11FixedVectorIiLj4EEEEZZNS1_16scan_by_key_implILNS1_25lookback_scan_determinismE0ELb0ES3_N6thrust23THRUST_200600_302600_NS6detail15normal_iteratorINSB_10device_ptrIjEEEENSD_INSE_IS6_EEEESI_S6_NSB_4plusIvEENSB_8equal_toIvEES6_EE10hipError_tPvRmT2_T3_T4_T5_mT6_T7_P12ihipStream_tbENKUlT_T0_E_clISt17integral_constantIbLb1EES12_IbLb0EEEEDaSY_SZ_EUlSY_E_NS1_11comp_targetILNS1_3genE8ELNS1_11target_archE1030ELNS1_3gpuE2ELNS1_3repE0EEENS1_30default_config_static_selectorELNS0_4arch9wavefront6targetE0EEEvT1_, .Lfunc_end2063-_ZN7rocprim17ROCPRIM_400000_NS6detail17trampoline_kernelINS0_14default_configENS1_27scan_by_key_config_selectorIj11FixedVectorIiLj4EEEEZZNS1_16scan_by_key_implILNS1_25lookback_scan_determinismE0ELb0ES3_N6thrust23THRUST_200600_302600_NS6detail15normal_iteratorINSB_10device_ptrIjEEEENSD_INSE_IS6_EEEESI_S6_NSB_4plusIvEENSB_8equal_toIvEES6_EE10hipError_tPvRmT2_T3_T4_T5_mT6_T7_P12ihipStream_tbENKUlT_T0_E_clISt17integral_constantIbLb1EES12_IbLb0EEEEDaSY_SZ_EUlSY_E_NS1_11comp_targetILNS1_3genE8ELNS1_11target_archE1030ELNS1_3gpuE2ELNS1_3repE0EEENS1_30default_config_static_selectorELNS0_4arch9wavefront6targetE0EEEvT1_
                                        ; -- End function
	.set _ZN7rocprim17ROCPRIM_400000_NS6detail17trampoline_kernelINS0_14default_configENS1_27scan_by_key_config_selectorIj11FixedVectorIiLj4EEEEZZNS1_16scan_by_key_implILNS1_25lookback_scan_determinismE0ELb0ES3_N6thrust23THRUST_200600_302600_NS6detail15normal_iteratorINSB_10device_ptrIjEEEENSD_INSE_IS6_EEEESI_S6_NSB_4plusIvEENSB_8equal_toIvEES6_EE10hipError_tPvRmT2_T3_T4_T5_mT6_T7_P12ihipStream_tbENKUlT_T0_E_clISt17integral_constantIbLb1EES12_IbLb0EEEEDaSY_SZ_EUlSY_E_NS1_11comp_targetILNS1_3genE8ELNS1_11target_archE1030ELNS1_3gpuE2ELNS1_3repE0EEENS1_30default_config_static_selectorELNS0_4arch9wavefront6targetE0EEEvT1_.num_vgpr, 0
	.set _ZN7rocprim17ROCPRIM_400000_NS6detail17trampoline_kernelINS0_14default_configENS1_27scan_by_key_config_selectorIj11FixedVectorIiLj4EEEEZZNS1_16scan_by_key_implILNS1_25lookback_scan_determinismE0ELb0ES3_N6thrust23THRUST_200600_302600_NS6detail15normal_iteratorINSB_10device_ptrIjEEEENSD_INSE_IS6_EEEESI_S6_NSB_4plusIvEENSB_8equal_toIvEES6_EE10hipError_tPvRmT2_T3_T4_T5_mT6_T7_P12ihipStream_tbENKUlT_T0_E_clISt17integral_constantIbLb1EES12_IbLb0EEEEDaSY_SZ_EUlSY_E_NS1_11comp_targetILNS1_3genE8ELNS1_11target_archE1030ELNS1_3gpuE2ELNS1_3repE0EEENS1_30default_config_static_selectorELNS0_4arch9wavefront6targetE0EEEvT1_.num_agpr, 0
	.set _ZN7rocprim17ROCPRIM_400000_NS6detail17trampoline_kernelINS0_14default_configENS1_27scan_by_key_config_selectorIj11FixedVectorIiLj4EEEEZZNS1_16scan_by_key_implILNS1_25lookback_scan_determinismE0ELb0ES3_N6thrust23THRUST_200600_302600_NS6detail15normal_iteratorINSB_10device_ptrIjEEEENSD_INSE_IS6_EEEESI_S6_NSB_4plusIvEENSB_8equal_toIvEES6_EE10hipError_tPvRmT2_T3_T4_T5_mT6_T7_P12ihipStream_tbENKUlT_T0_E_clISt17integral_constantIbLb1EES12_IbLb0EEEEDaSY_SZ_EUlSY_E_NS1_11comp_targetILNS1_3genE8ELNS1_11target_archE1030ELNS1_3gpuE2ELNS1_3repE0EEENS1_30default_config_static_selectorELNS0_4arch9wavefront6targetE0EEEvT1_.numbered_sgpr, 0
	.set _ZN7rocprim17ROCPRIM_400000_NS6detail17trampoline_kernelINS0_14default_configENS1_27scan_by_key_config_selectorIj11FixedVectorIiLj4EEEEZZNS1_16scan_by_key_implILNS1_25lookback_scan_determinismE0ELb0ES3_N6thrust23THRUST_200600_302600_NS6detail15normal_iteratorINSB_10device_ptrIjEEEENSD_INSE_IS6_EEEESI_S6_NSB_4plusIvEENSB_8equal_toIvEES6_EE10hipError_tPvRmT2_T3_T4_T5_mT6_T7_P12ihipStream_tbENKUlT_T0_E_clISt17integral_constantIbLb1EES12_IbLb0EEEEDaSY_SZ_EUlSY_E_NS1_11comp_targetILNS1_3genE8ELNS1_11target_archE1030ELNS1_3gpuE2ELNS1_3repE0EEENS1_30default_config_static_selectorELNS0_4arch9wavefront6targetE0EEEvT1_.num_named_barrier, 0
	.set _ZN7rocprim17ROCPRIM_400000_NS6detail17trampoline_kernelINS0_14default_configENS1_27scan_by_key_config_selectorIj11FixedVectorIiLj4EEEEZZNS1_16scan_by_key_implILNS1_25lookback_scan_determinismE0ELb0ES3_N6thrust23THRUST_200600_302600_NS6detail15normal_iteratorINSB_10device_ptrIjEEEENSD_INSE_IS6_EEEESI_S6_NSB_4plusIvEENSB_8equal_toIvEES6_EE10hipError_tPvRmT2_T3_T4_T5_mT6_T7_P12ihipStream_tbENKUlT_T0_E_clISt17integral_constantIbLb1EES12_IbLb0EEEEDaSY_SZ_EUlSY_E_NS1_11comp_targetILNS1_3genE8ELNS1_11target_archE1030ELNS1_3gpuE2ELNS1_3repE0EEENS1_30default_config_static_selectorELNS0_4arch9wavefront6targetE0EEEvT1_.private_seg_size, 0
	.set _ZN7rocprim17ROCPRIM_400000_NS6detail17trampoline_kernelINS0_14default_configENS1_27scan_by_key_config_selectorIj11FixedVectorIiLj4EEEEZZNS1_16scan_by_key_implILNS1_25lookback_scan_determinismE0ELb0ES3_N6thrust23THRUST_200600_302600_NS6detail15normal_iteratorINSB_10device_ptrIjEEEENSD_INSE_IS6_EEEESI_S6_NSB_4plusIvEENSB_8equal_toIvEES6_EE10hipError_tPvRmT2_T3_T4_T5_mT6_T7_P12ihipStream_tbENKUlT_T0_E_clISt17integral_constantIbLb1EES12_IbLb0EEEEDaSY_SZ_EUlSY_E_NS1_11comp_targetILNS1_3genE8ELNS1_11target_archE1030ELNS1_3gpuE2ELNS1_3repE0EEENS1_30default_config_static_selectorELNS0_4arch9wavefront6targetE0EEEvT1_.uses_vcc, 0
	.set _ZN7rocprim17ROCPRIM_400000_NS6detail17trampoline_kernelINS0_14default_configENS1_27scan_by_key_config_selectorIj11FixedVectorIiLj4EEEEZZNS1_16scan_by_key_implILNS1_25lookback_scan_determinismE0ELb0ES3_N6thrust23THRUST_200600_302600_NS6detail15normal_iteratorINSB_10device_ptrIjEEEENSD_INSE_IS6_EEEESI_S6_NSB_4plusIvEENSB_8equal_toIvEES6_EE10hipError_tPvRmT2_T3_T4_T5_mT6_T7_P12ihipStream_tbENKUlT_T0_E_clISt17integral_constantIbLb1EES12_IbLb0EEEEDaSY_SZ_EUlSY_E_NS1_11comp_targetILNS1_3genE8ELNS1_11target_archE1030ELNS1_3gpuE2ELNS1_3repE0EEENS1_30default_config_static_selectorELNS0_4arch9wavefront6targetE0EEEvT1_.uses_flat_scratch, 0
	.set _ZN7rocprim17ROCPRIM_400000_NS6detail17trampoline_kernelINS0_14default_configENS1_27scan_by_key_config_selectorIj11FixedVectorIiLj4EEEEZZNS1_16scan_by_key_implILNS1_25lookback_scan_determinismE0ELb0ES3_N6thrust23THRUST_200600_302600_NS6detail15normal_iteratorINSB_10device_ptrIjEEEENSD_INSE_IS6_EEEESI_S6_NSB_4plusIvEENSB_8equal_toIvEES6_EE10hipError_tPvRmT2_T3_T4_T5_mT6_T7_P12ihipStream_tbENKUlT_T0_E_clISt17integral_constantIbLb1EES12_IbLb0EEEEDaSY_SZ_EUlSY_E_NS1_11comp_targetILNS1_3genE8ELNS1_11target_archE1030ELNS1_3gpuE2ELNS1_3repE0EEENS1_30default_config_static_selectorELNS0_4arch9wavefront6targetE0EEEvT1_.has_dyn_sized_stack, 0
	.set _ZN7rocprim17ROCPRIM_400000_NS6detail17trampoline_kernelINS0_14default_configENS1_27scan_by_key_config_selectorIj11FixedVectorIiLj4EEEEZZNS1_16scan_by_key_implILNS1_25lookback_scan_determinismE0ELb0ES3_N6thrust23THRUST_200600_302600_NS6detail15normal_iteratorINSB_10device_ptrIjEEEENSD_INSE_IS6_EEEESI_S6_NSB_4plusIvEENSB_8equal_toIvEES6_EE10hipError_tPvRmT2_T3_T4_T5_mT6_T7_P12ihipStream_tbENKUlT_T0_E_clISt17integral_constantIbLb1EES12_IbLb0EEEEDaSY_SZ_EUlSY_E_NS1_11comp_targetILNS1_3genE8ELNS1_11target_archE1030ELNS1_3gpuE2ELNS1_3repE0EEENS1_30default_config_static_selectorELNS0_4arch9wavefront6targetE0EEEvT1_.has_recursion, 0
	.set _ZN7rocprim17ROCPRIM_400000_NS6detail17trampoline_kernelINS0_14default_configENS1_27scan_by_key_config_selectorIj11FixedVectorIiLj4EEEEZZNS1_16scan_by_key_implILNS1_25lookback_scan_determinismE0ELb0ES3_N6thrust23THRUST_200600_302600_NS6detail15normal_iteratorINSB_10device_ptrIjEEEENSD_INSE_IS6_EEEESI_S6_NSB_4plusIvEENSB_8equal_toIvEES6_EE10hipError_tPvRmT2_T3_T4_T5_mT6_T7_P12ihipStream_tbENKUlT_T0_E_clISt17integral_constantIbLb1EES12_IbLb0EEEEDaSY_SZ_EUlSY_E_NS1_11comp_targetILNS1_3genE8ELNS1_11target_archE1030ELNS1_3gpuE2ELNS1_3repE0EEENS1_30default_config_static_selectorELNS0_4arch9wavefront6targetE0EEEvT1_.has_indirect_call, 0
	.section	.AMDGPU.csdata,"",@progbits
; Kernel info:
; codeLenInByte = 4
; TotalNumSgprs: 0
; NumVgprs: 0
; ScratchSize: 0
; MemoryBound: 0
; FloatMode: 240
; IeeeMode: 1
; LDSByteSize: 0 bytes/workgroup (compile time only)
; SGPRBlocks: 0
; VGPRBlocks: 0
; NumSGPRsForWavesPerEU: 1
; NumVGPRsForWavesPerEU: 1
; Occupancy: 16
; WaveLimiterHint : 0
; COMPUTE_PGM_RSRC2:SCRATCH_EN: 0
; COMPUTE_PGM_RSRC2:USER_SGPR: 6
; COMPUTE_PGM_RSRC2:TRAP_HANDLER: 0
; COMPUTE_PGM_RSRC2:TGID_X_EN: 1
; COMPUTE_PGM_RSRC2:TGID_Y_EN: 0
; COMPUTE_PGM_RSRC2:TGID_Z_EN: 0
; COMPUTE_PGM_RSRC2:TIDIG_COMP_CNT: 0
	.section	.text._ZN7rocprim17ROCPRIM_400000_NS6detail30init_device_scan_by_key_kernelINS1_19lookback_scan_stateINS0_5tupleIJ11FixedVectorIiLj4EEbEEELb0ELb0EEEN6thrust23THRUST_200600_302600_NS6detail15normal_iteratorINSA_10device_ptrIjEEEEjNS1_16block_id_wrapperIjLb1EEEEEvT_jjPNSI_10value_typeET0_PNSt15iterator_traitsISL_E10value_typeEmT1_T2_,"axG",@progbits,_ZN7rocprim17ROCPRIM_400000_NS6detail30init_device_scan_by_key_kernelINS1_19lookback_scan_stateINS0_5tupleIJ11FixedVectorIiLj4EEbEEELb0ELb0EEEN6thrust23THRUST_200600_302600_NS6detail15normal_iteratorINSA_10device_ptrIjEEEEjNS1_16block_id_wrapperIjLb1EEEEEvT_jjPNSI_10value_typeET0_PNSt15iterator_traitsISL_E10value_typeEmT1_T2_,comdat
	.protected	_ZN7rocprim17ROCPRIM_400000_NS6detail30init_device_scan_by_key_kernelINS1_19lookback_scan_stateINS0_5tupleIJ11FixedVectorIiLj4EEbEEELb0ELb0EEEN6thrust23THRUST_200600_302600_NS6detail15normal_iteratorINSA_10device_ptrIjEEEEjNS1_16block_id_wrapperIjLb1EEEEEvT_jjPNSI_10value_typeET0_PNSt15iterator_traitsISL_E10value_typeEmT1_T2_ ; -- Begin function _ZN7rocprim17ROCPRIM_400000_NS6detail30init_device_scan_by_key_kernelINS1_19lookback_scan_stateINS0_5tupleIJ11FixedVectorIiLj4EEbEEELb0ELb0EEEN6thrust23THRUST_200600_302600_NS6detail15normal_iteratorINSA_10device_ptrIjEEEEjNS1_16block_id_wrapperIjLb1EEEEEvT_jjPNSI_10value_typeET0_PNSt15iterator_traitsISL_E10value_typeEmT1_T2_
	.globl	_ZN7rocprim17ROCPRIM_400000_NS6detail30init_device_scan_by_key_kernelINS1_19lookback_scan_stateINS0_5tupleIJ11FixedVectorIiLj4EEbEEELb0ELb0EEEN6thrust23THRUST_200600_302600_NS6detail15normal_iteratorINSA_10device_ptrIjEEEEjNS1_16block_id_wrapperIjLb1EEEEEvT_jjPNSI_10value_typeET0_PNSt15iterator_traitsISL_E10value_typeEmT1_T2_
	.p2align	8
	.type	_ZN7rocprim17ROCPRIM_400000_NS6detail30init_device_scan_by_key_kernelINS1_19lookback_scan_stateINS0_5tupleIJ11FixedVectorIiLj4EEbEEELb0ELb0EEEN6thrust23THRUST_200600_302600_NS6detail15normal_iteratorINSA_10device_ptrIjEEEEjNS1_16block_id_wrapperIjLb1EEEEEvT_jjPNSI_10value_typeET0_PNSt15iterator_traitsISL_E10value_typeEmT1_T2_,@function
_ZN7rocprim17ROCPRIM_400000_NS6detail30init_device_scan_by_key_kernelINS1_19lookback_scan_stateINS0_5tupleIJ11FixedVectorIiLj4EEbEEELb0ELb0EEEN6thrust23THRUST_200600_302600_NS6detail15normal_iteratorINSA_10device_ptrIjEEEEjNS1_16block_id_wrapperIjLb1EEEEEvT_jjPNSI_10value_typeET0_PNSt15iterator_traitsISL_E10value_typeEmT1_T2_: ; @_ZN7rocprim17ROCPRIM_400000_NS6detail30init_device_scan_by_key_kernelINS1_19lookback_scan_stateINS0_5tupleIJ11FixedVectorIiLj4EEbEEELb0ELb0EEEN6thrust23THRUST_200600_302600_NS6detail15normal_iteratorINSA_10device_ptrIjEEEEjNS1_16block_id_wrapperIjLb1EEEEEvT_jjPNSI_10value_typeET0_PNSt15iterator_traitsISL_E10value_typeEmT1_T2_
; %bb.0:
	s_clause 0x2
	s_load_dword s0, s[6:7], 0x5c
	s_load_dwordx8 s[12:19], s[6:7], 0x10
	s_load_dword s9, s[6:7], 0x50
	s_waitcnt lgkmcnt(0)
	s_and_b32 s10, s0, 0xffff
	s_cmp_eq_u64 s[16:17], 0
	v_mad_u64_u32 v[3:4], null, s8, s10, v[0:1]
	s_cbranch_scc1 .LBB2064_8
; %bb.1:
	s_cmp_lt_u32 s15, s14
	s_mov_b32 s11, 0
	s_cselect_b32 s0, s15, 0
	s_mov_b32 s8, exec_lo
	v_cmpx_eq_u32_e64 s0, v3
	s_cbranch_execz .LBB2064_7
; %bb.2:
	s_load_dwordx2 s[0:1], s[4:5], 0x4
	s_waitcnt lgkmcnt(0)
	s_lshr_b32 s0, s0, 16
	v_mul_u32_u24_e32 v1, s1, v1
	s_mul_i32 s0, s0, s1
	v_mul_lo_u32 v0, s0, v0
	s_load_dwordx4 s[0:3], s[6:7], 0x0
	v_add3_u32 v0, v0, v1, v2
	v_mov_b32_e32 v1, 0
	v_mul_lo_u32 v0, v0, 20
	ds_write2_b32 v0, v1, v1 offset0:2 offset1:3
	ds_write2_b32 v0, v1, v1 offset1:1
	ds_write_b32 v0, v1 offset:16
.LBB2064_3:                             ; =>This Inner Loop Header: Depth=1
	v_add_nc_u32_e32 v2, s11, v0
	s_add_i32 s11, s11, 4
	s_cmp_lg_u32 s11, 16
	ds_write_b32 v2, v1
	s_cbranch_scc1 .LBB2064_3
; %bb.4:
	s_add_i32 s11, s15, 32
	v_mov_b32_e32 v1, 0
	v_mov_b32_e32 v2, s11
	s_add_u32 s4, s12, s11
	s_addc_u32 s5, s13, 0
	ds_write_b8 v0, v1 offset:16
	global_load_ubyte v2, v2, s[12:13] glc dlc
	s_waitcnt vmcnt(0)
	v_cmp_ne_u32_sdwa s20, v2, v1 src0_sel:WORD_0 src1_sel:DWORD
	v_readfirstlane_b32 s15, v2
	s_and_b32 vcc_lo, exec_lo, s20
	s_cbranch_vccnz .LBB2064_6
.LBB2064_5:                             ; =>This Inner Loop Header: Depth=1
	global_load_ubyte v2, v1, s[4:5] glc dlc
	s_waitcnt vmcnt(0)
	v_cmp_eq_u32_sdwa s20, v2, v1 src0_sel:WORD_0 src1_sel:DWORD
	v_readfirstlane_b32 s15, v2
	s_and_b32 vcc_lo, exec_lo, s20
	s_cbranch_vccnz .LBB2064_5
.LBB2064_6:
	s_and_b32 s4, 0xffff, s15
	v_mov_b32_e32 v1, 0
	s_cmp_eq_u32 s4, 1
	s_mul_i32 s4, s11, 20
	s_waitcnt lgkmcnt(0)
	s_cselect_b32 s0, s0, s2
	s_cselect_b32 s1, s1, s3
	s_mul_hi_u32 s2, s11, 20
	s_add_u32 s0, s0, s4
	s_addc_u32 s1, s1, s2
	buffer_gl1_inv
	buffer_gl0_inv
	s_clause 0x1
	global_load_dwordx4 v[4:7], v1, s[0:1]
	global_load_ubyte v2, v1, s[0:1] offset:16
	s_waitcnt vmcnt(1)
	ds_write2_b32 v0, v4, v5 offset1:1
	ds_write2_b32 v0, v6, v7 offset0:2 offset1:3
	global_store_dwordx4 v1, v[4:7], s[16:17]
	s_waitcnt vmcnt(0)
	global_store_byte v1, v2, s[16:17] offset:16
.LBB2064_7:
	s_or_b32 exec_lo, exec_lo, s8
.LBB2064_8:
	s_mov_b32 s0, exec_lo
	v_cmpx_eq_u32_e32 0, v3
	s_cbranch_execz .LBB2064_10
; %bb.9:
	s_load_dwordx2 s[2:3], s[6:7], 0x48
	v_mov_b32_e32 v0, 0
	s_waitcnt lgkmcnt(0)
	global_store_dword v0, v0, s[2:3]
.LBB2064_10:
	s_or_b32 exec_lo, exec_lo, s0
	s_mov_b32 s0, exec_lo
	v_cmpx_gt_u32_e64 s14, v3
	s_cbranch_execz .LBB2064_12
; %bb.11:
	v_add_nc_u32_e32 v0, 32, v3
	v_mov_b32_e32 v1, 0
	global_store_byte v0, v1, s[12:13]
.LBB2064_12:
	s_or_b32 exec_lo, exec_lo, s0
	v_mov_b32_e32 v4, 0
	s_mov_b32 s0, exec_lo
	v_cmpx_gt_u32_e32 32, v3
	s_cbranch_execz .LBB2064_14
; %bb.13:
	v_add_co_u32 v0, s1, s12, v3
	v_add_co_ci_u32_e64 v1, null, s13, 0, s1
	v_mov_b32_e32 v2, 0xff
	global_store_byte v[0:1], v2, off
.LBB2064_14:
	s_or_b32 exec_lo, exec_lo, s0
	s_load_dwordx2 s[2:3], s[6:7], 0x38
	s_mov_b32 s0, exec_lo
	s_waitcnt lgkmcnt(0)
	v_cmpx_gt_u64_e64 s[2:3], v[3:4]
	s_cbranch_execz .LBB2064_17
; %bb.15:
	s_clause 0x1
	s_load_dword s5, s[6:7], 0x40
	s_load_dwordx2 s[6:7], s[6:7], 0x30
	s_mov_b32 s1, 0
	s_mul_i32 s4, s9, s10
	v_lshlrev_b64 v[5:6], 2, v[3:4]
	s_waitcnt lgkmcnt(0)
	v_mad_u64_u32 v[0:1], null, s5, v3, 0
	s_add_i32 s0, s5, -1
	s_mul_hi_u32 s9, s5, s4
	s_lshl_b64 s[10:11], s[0:1], 2
	s_mul_i32 s8, s5, s4
	s_add_u32 s0, s18, s10
	s_addc_u32 s5, s19, s11
	v_lshlrev_b64 v[0:1], 2, v[0:1]
	v_add_co_u32 v0, vcc_lo, s0, v0
	v_add_co_ci_u32_e64 v1, null, s5, v1, vcc_lo
	v_add_co_u32 v5, vcc_lo, s6, v5
	v_add_co_ci_u32_e64 v6, null, s7, v6, vcc_lo
	s_mov_b32 s5, s1
	s_lshl_b64 s[6:7], s[8:9], 2
	s_lshl_b64 s[8:9], s[4:5], 2
	.p2align	6
.LBB2064_16:                            ; =>This Inner Loop Header: Depth=1
	global_load_dword v2, v[0:1], off
	v_add_co_u32 v3, vcc_lo, v3, s4
	v_add_co_ci_u32_e64 v4, null, 0, v4, vcc_lo
	v_add_co_u32 v0, vcc_lo, v0, s6
	v_add_co_ci_u32_e64 v1, null, s7, v1, vcc_lo
	v_cmp_le_u64_e32 vcc_lo, s[2:3], v[3:4]
	s_or_b32 s1, vcc_lo, s1
	s_waitcnt vmcnt(0)
	global_store_dword v[5:6], v2, off
	v_add_co_u32 v5, s0, v5, s8
	v_add_co_ci_u32_e64 v6, null, s9, v6, s0
	s_andn2_b32 exec_lo, exec_lo, s1
	s_cbranch_execnz .LBB2064_16
.LBB2064_17:
	s_endpgm
	.section	.rodata,"a",@progbits
	.p2align	6, 0x0
	.amdhsa_kernel _ZN7rocprim17ROCPRIM_400000_NS6detail30init_device_scan_by_key_kernelINS1_19lookback_scan_stateINS0_5tupleIJ11FixedVectorIiLj4EEbEEELb0ELb0EEEN6thrust23THRUST_200600_302600_NS6detail15normal_iteratorINSA_10device_ptrIjEEEEjNS1_16block_id_wrapperIjLb1EEEEEvT_jjPNSI_10value_typeET0_PNSt15iterator_traitsISL_E10value_typeEmT1_T2_
		.amdhsa_group_segment_fixed_size 5120
		.amdhsa_private_segment_fixed_size 0
		.amdhsa_kernarg_size 336
		.amdhsa_user_sgpr_count 8
		.amdhsa_user_sgpr_private_segment_buffer 1
		.amdhsa_user_sgpr_dispatch_ptr 1
		.amdhsa_user_sgpr_queue_ptr 0
		.amdhsa_user_sgpr_kernarg_segment_ptr 1
		.amdhsa_user_sgpr_dispatch_id 0
		.amdhsa_user_sgpr_flat_scratch_init 0
		.amdhsa_user_sgpr_private_segment_size 0
		.amdhsa_wavefront_size32 1
		.amdhsa_uses_dynamic_stack 0
		.amdhsa_system_sgpr_private_segment_wavefront_offset 0
		.amdhsa_system_sgpr_workgroup_id_x 1
		.amdhsa_system_sgpr_workgroup_id_y 0
		.amdhsa_system_sgpr_workgroup_id_z 0
		.amdhsa_system_sgpr_workgroup_info 0
		.amdhsa_system_vgpr_workitem_id 2
		.amdhsa_next_free_vgpr 8
		.amdhsa_next_free_sgpr 21
		.amdhsa_reserve_vcc 1
		.amdhsa_reserve_flat_scratch 0
		.amdhsa_float_round_mode_32 0
		.amdhsa_float_round_mode_16_64 0
		.amdhsa_float_denorm_mode_32 3
		.amdhsa_float_denorm_mode_16_64 3
		.amdhsa_dx10_clamp 1
		.amdhsa_ieee_mode 1
		.amdhsa_fp16_overflow 0
		.amdhsa_workgroup_processor_mode 1
		.amdhsa_memory_ordered 1
		.amdhsa_forward_progress 1
		.amdhsa_shared_vgpr_count 0
		.amdhsa_exception_fp_ieee_invalid_op 0
		.amdhsa_exception_fp_denorm_src 0
		.amdhsa_exception_fp_ieee_div_zero 0
		.amdhsa_exception_fp_ieee_overflow 0
		.amdhsa_exception_fp_ieee_underflow 0
		.amdhsa_exception_fp_ieee_inexact 0
		.amdhsa_exception_int_div_zero 0
	.end_amdhsa_kernel
	.section	.text._ZN7rocprim17ROCPRIM_400000_NS6detail30init_device_scan_by_key_kernelINS1_19lookback_scan_stateINS0_5tupleIJ11FixedVectorIiLj4EEbEEELb0ELb0EEEN6thrust23THRUST_200600_302600_NS6detail15normal_iteratorINSA_10device_ptrIjEEEEjNS1_16block_id_wrapperIjLb1EEEEEvT_jjPNSI_10value_typeET0_PNSt15iterator_traitsISL_E10value_typeEmT1_T2_,"axG",@progbits,_ZN7rocprim17ROCPRIM_400000_NS6detail30init_device_scan_by_key_kernelINS1_19lookback_scan_stateINS0_5tupleIJ11FixedVectorIiLj4EEbEEELb0ELb0EEEN6thrust23THRUST_200600_302600_NS6detail15normal_iteratorINSA_10device_ptrIjEEEEjNS1_16block_id_wrapperIjLb1EEEEEvT_jjPNSI_10value_typeET0_PNSt15iterator_traitsISL_E10value_typeEmT1_T2_,comdat
.Lfunc_end2064:
	.size	_ZN7rocprim17ROCPRIM_400000_NS6detail30init_device_scan_by_key_kernelINS1_19lookback_scan_stateINS0_5tupleIJ11FixedVectorIiLj4EEbEEELb0ELb0EEEN6thrust23THRUST_200600_302600_NS6detail15normal_iteratorINSA_10device_ptrIjEEEEjNS1_16block_id_wrapperIjLb1EEEEEvT_jjPNSI_10value_typeET0_PNSt15iterator_traitsISL_E10value_typeEmT1_T2_, .Lfunc_end2064-_ZN7rocprim17ROCPRIM_400000_NS6detail30init_device_scan_by_key_kernelINS1_19lookback_scan_stateINS0_5tupleIJ11FixedVectorIiLj4EEbEEELb0ELb0EEEN6thrust23THRUST_200600_302600_NS6detail15normal_iteratorINSA_10device_ptrIjEEEEjNS1_16block_id_wrapperIjLb1EEEEEvT_jjPNSI_10value_typeET0_PNSt15iterator_traitsISL_E10value_typeEmT1_T2_
                                        ; -- End function
	.set _ZN7rocprim17ROCPRIM_400000_NS6detail30init_device_scan_by_key_kernelINS1_19lookback_scan_stateINS0_5tupleIJ11FixedVectorIiLj4EEbEEELb0ELb0EEEN6thrust23THRUST_200600_302600_NS6detail15normal_iteratorINSA_10device_ptrIjEEEEjNS1_16block_id_wrapperIjLb1EEEEEvT_jjPNSI_10value_typeET0_PNSt15iterator_traitsISL_E10value_typeEmT1_T2_.num_vgpr, 8
	.set _ZN7rocprim17ROCPRIM_400000_NS6detail30init_device_scan_by_key_kernelINS1_19lookback_scan_stateINS0_5tupleIJ11FixedVectorIiLj4EEbEEELb0ELb0EEEN6thrust23THRUST_200600_302600_NS6detail15normal_iteratorINSA_10device_ptrIjEEEEjNS1_16block_id_wrapperIjLb1EEEEEvT_jjPNSI_10value_typeET0_PNSt15iterator_traitsISL_E10value_typeEmT1_T2_.num_agpr, 0
	.set _ZN7rocprim17ROCPRIM_400000_NS6detail30init_device_scan_by_key_kernelINS1_19lookback_scan_stateINS0_5tupleIJ11FixedVectorIiLj4EEbEEELb0ELb0EEEN6thrust23THRUST_200600_302600_NS6detail15normal_iteratorINSA_10device_ptrIjEEEEjNS1_16block_id_wrapperIjLb1EEEEEvT_jjPNSI_10value_typeET0_PNSt15iterator_traitsISL_E10value_typeEmT1_T2_.numbered_sgpr, 21
	.set _ZN7rocprim17ROCPRIM_400000_NS6detail30init_device_scan_by_key_kernelINS1_19lookback_scan_stateINS0_5tupleIJ11FixedVectorIiLj4EEbEEELb0ELb0EEEN6thrust23THRUST_200600_302600_NS6detail15normal_iteratorINSA_10device_ptrIjEEEEjNS1_16block_id_wrapperIjLb1EEEEEvT_jjPNSI_10value_typeET0_PNSt15iterator_traitsISL_E10value_typeEmT1_T2_.num_named_barrier, 0
	.set _ZN7rocprim17ROCPRIM_400000_NS6detail30init_device_scan_by_key_kernelINS1_19lookback_scan_stateINS0_5tupleIJ11FixedVectorIiLj4EEbEEELb0ELb0EEEN6thrust23THRUST_200600_302600_NS6detail15normal_iteratorINSA_10device_ptrIjEEEEjNS1_16block_id_wrapperIjLb1EEEEEvT_jjPNSI_10value_typeET0_PNSt15iterator_traitsISL_E10value_typeEmT1_T2_.private_seg_size, 0
	.set _ZN7rocprim17ROCPRIM_400000_NS6detail30init_device_scan_by_key_kernelINS1_19lookback_scan_stateINS0_5tupleIJ11FixedVectorIiLj4EEbEEELb0ELb0EEEN6thrust23THRUST_200600_302600_NS6detail15normal_iteratorINSA_10device_ptrIjEEEEjNS1_16block_id_wrapperIjLb1EEEEEvT_jjPNSI_10value_typeET0_PNSt15iterator_traitsISL_E10value_typeEmT1_T2_.uses_vcc, 1
	.set _ZN7rocprim17ROCPRIM_400000_NS6detail30init_device_scan_by_key_kernelINS1_19lookback_scan_stateINS0_5tupleIJ11FixedVectorIiLj4EEbEEELb0ELb0EEEN6thrust23THRUST_200600_302600_NS6detail15normal_iteratorINSA_10device_ptrIjEEEEjNS1_16block_id_wrapperIjLb1EEEEEvT_jjPNSI_10value_typeET0_PNSt15iterator_traitsISL_E10value_typeEmT1_T2_.uses_flat_scratch, 0
	.set _ZN7rocprim17ROCPRIM_400000_NS6detail30init_device_scan_by_key_kernelINS1_19lookback_scan_stateINS0_5tupleIJ11FixedVectorIiLj4EEbEEELb0ELb0EEEN6thrust23THRUST_200600_302600_NS6detail15normal_iteratorINSA_10device_ptrIjEEEEjNS1_16block_id_wrapperIjLb1EEEEEvT_jjPNSI_10value_typeET0_PNSt15iterator_traitsISL_E10value_typeEmT1_T2_.has_dyn_sized_stack, 0
	.set _ZN7rocprim17ROCPRIM_400000_NS6detail30init_device_scan_by_key_kernelINS1_19lookback_scan_stateINS0_5tupleIJ11FixedVectorIiLj4EEbEEELb0ELb0EEEN6thrust23THRUST_200600_302600_NS6detail15normal_iteratorINSA_10device_ptrIjEEEEjNS1_16block_id_wrapperIjLb1EEEEEvT_jjPNSI_10value_typeET0_PNSt15iterator_traitsISL_E10value_typeEmT1_T2_.has_recursion, 0
	.set _ZN7rocprim17ROCPRIM_400000_NS6detail30init_device_scan_by_key_kernelINS1_19lookback_scan_stateINS0_5tupleIJ11FixedVectorIiLj4EEbEEELb0ELb0EEEN6thrust23THRUST_200600_302600_NS6detail15normal_iteratorINSA_10device_ptrIjEEEEjNS1_16block_id_wrapperIjLb1EEEEEvT_jjPNSI_10value_typeET0_PNSt15iterator_traitsISL_E10value_typeEmT1_T2_.has_indirect_call, 0
	.section	.AMDGPU.csdata,"",@progbits
; Kernel info:
; codeLenInByte = 792
; TotalNumSgprs: 23
; NumVgprs: 8
; ScratchSize: 0
; MemoryBound: 0
; FloatMode: 240
; IeeeMode: 1
; LDSByteSize: 5120 bytes/workgroup (compile time only)
; SGPRBlocks: 0
; VGPRBlocks: 0
; NumSGPRsForWavesPerEU: 23
; NumVGPRsForWavesPerEU: 8
; Occupancy: 16
; WaveLimiterHint : 0
; COMPUTE_PGM_RSRC2:SCRATCH_EN: 0
; COMPUTE_PGM_RSRC2:USER_SGPR: 8
; COMPUTE_PGM_RSRC2:TRAP_HANDLER: 0
; COMPUTE_PGM_RSRC2:TGID_X_EN: 1
; COMPUTE_PGM_RSRC2:TGID_Y_EN: 0
; COMPUTE_PGM_RSRC2:TGID_Z_EN: 0
; COMPUTE_PGM_RSRC2:TIDIG_COMP_CNT: 2
	.section	.text._ZN7rocprim17ROCPRIM_400000_NS6detail30init_device_scan_by_key_kernelINS1_19lookback_scan_stateINS0_5tupleIJ11FixedVectorIiLj4EEbEEELb0ELb0EEENS1_16block_id_wrapperIjLb1EEEEEvT_jjPNSB_10value_typeET0_,"axG",@progbits,_ZN7rocprim17ROCPRIM_400000_NS6detail30init_device_scan_by_key_kernelINS1_19lookback_scan_stateINS0_5tupleIJ11FixedVectorIiLj4EEbEEELb0ELb0EEENS1_16block_id_wrapperIjLb1EEEEEvT_jjPNSB_10value_typeET0_,comdat
	.protected	_ZN7rocprim17ROCPRIM_400000_NS6detail30init_device_scan_by_key_kernelINS1_19lookback_scan_stateINS0_5tupleIJ11FixedVectorIiLj4EEbEEELb0ELb0EEENS1_16block_id_wrapperIjLb1EEEEEvT_jjPNSB_10value_typeET0_ ; -- Begin function _ZN7rocprim17ROCPRIM_400000_NS6detail30init_device_scan_by_key_kernelINS1_19lookback_scan_stateINS0_5tupleIJ11FixedVectorIiLj4EEbEEELb0ELb0EEENS1_16block_id_wrapperIjLb1EEEEEvT_jjPNSB_10value_typeET0_
	.globl	_ZN7rocprim17ROCPRIM_400000_NS6detail30init_device_scan_by_key_kernelINS1_19lookback_scan_stateINS0_5tupleIJ11FixedVectorIiLj4EEbEEELb0ELb0EEENS1_16block_id_wrapperIjLb1EEEEEvT_jjPNSB_10value_typeET0_
	.p2align	8
	.type	_ZN7rocprim17ROCPRIM_400000_NS6detail30init_device_scan_by_key_kernelINS1_19lookback_scan_stateINS0_5tupleIJ11FixedVectorIiLj4EEbEEELb0ELb0EEENS1_16block_id_wrapperIjLb1EEEEEvT_jjPNSB_10value_typeET0_,@function
_ZN7rocprim17ROCPRIM_400000_NS6detail30init_device_scan_by_key_kernelINS1_19lookback_scan_stateINS0_5tupleIJ11FixedVectorIiLj4EEbEEELb0ELb0EEENS1_16block_id_wrapperIjLb1EEEEEvT_jjPNSB_10value_typeET0_: ; @_ZN7rocprim17ROCPRIM_400000_NS6detail30init_device_scan_by_key_kernelINS1_19lookback_scan_stateINS0_5tupleIJ11FixedVectorIiLj4EEbEEELb0ELb0EEENS1_16block_id_wrapperIjLb1EEEEEvT_jjPNSB_10value_typeET0_
; %bb.0:
	s_clause 0x1
	s_load_dword s0, s[6:7], 0x3c
	s_load_dwordx8 s[12:19], s[6:7], 0x10
	s_waitcnt lgkmcnt(0)
	s_and_b32 s0, s0, 0xffff
	s_cmp_eq_u64 s[16:17], 0
	v_mad_u64_u32 v[3:4], null, s8, s0, v[0:1]
	s_cbranch_scc1 .LBB2065_8
; %bb.1:
	s_cmp_lt_u32 s15, s14
	s_mov_b32 s9, 0
	s_cselect_b32 s0, s15, 0
	s_mov_b32 s8, exec_lo
	v_cmpx_eq_u32_e64 s0, v3
	s_cbranch_execz .LBB2065_7
; %bb.2:
	s_load_dwordx2 s[0:1], s[4:5], 0x4
	s_waitcnt lgkmcnt(0)
	s_lshr_b32 s0, s0, 16
	v_mul_u32_u24_e32 v1, s1, v1
	s_mul_i32 s0, s0, s1
	v_mul_lo_u32 v0, s0, v0
	s_load_dwordx4 s[0:3], s[6:7], 0x0
	v_add3_u32 v0, v0, v1, v2
	v_mov_b32_e32 v1, 0
	v_mul_lo_u32 v0, v0, 20
	ds_write2_b32 v0, v1, v1 offset0:2 offset1:3
	ds_write2_b32 v0, v1, v1 offset1:1
	ds_write_b32 v0, v1 offset:16
.LBB2065_3:                             ; =>This Inner Loop Header: Depth=1
	v_add_nc_u32_e32 v2, s9, v0
	s_add_i32 s9, s9, 4
	s_cmp_lg_u32 s9, 16
	ds_write_b32 v2, v1
	s_cbranch_scc1 .LBB2065_3
; %bb.4:
	s_add_i32 s6, s15, 32
	v_mov_b32_e32 v1, 0
	v_mov_b32_e32 v2, s6
	s_add_u32 s4, s12, s6
	s_addc_u32 s5, s13, 0
	ds_write_b8 v0, v1 offset:16
	global_load_ubyte v2, v2, s[12:13] glc dlc
	s_waitcnt vmcnt(0)
	v_cmp_ne_u32_sdwa s9, v2, v1 src0_sel:WORD_0 src1_sel:DWORD
	v_readfirstlane_b32 s7, v2
	s_and_b32 vcc_lo, exec_lo, s9
	s_cbranch_vccnz .LBB2065_6
.LBB2065_5:                             ; =>This Inner Loop Header: Depth=1
	global_load_ubyte v2, v1, s[4:5] glc dlc
	s_waitcnt vmcnt(0)
	v_cmp_eq_u32_sdwa s9, v2, v1 src0_sel:WORD_0 src1_sel:DWORD
	v_readfirstlane_b32 s7, v2
	s_and_b32 vcc_lo, exec_lo, s9
	s_cbranch_vccnz .LBB2065_5
.LBB2065_6:
	s_and_b32 s4, 0xffff, s7
	v_mov_b32_e32 v1, 0
	s_cmp_eq_u32 s4, 1
	s_mul_i32 s4, s6, 20
	s_waitcnt lgkmcnt(0)
	s_cselect_b32 s0, s0, s2
	s_cselect_b32 s1, s1, s3
	s_mul_hi_u32 s2, s6, 20
	s_add_u32 s0, s0, s4
	s_addc_u32 s1, s1, s2
	buffer_gl1_inv
	buffer_gl0_inv
	s_clause 0x1
	global_load_dwordx4 v[4:7], v1, s[0:1]
	global_load_ubyte v2, v1, s[0:1] offset:16
	s_waitcnt vmcnt(1)
	ds_write2_b32 v0, v4, v5 offset1:1
	ds_write2_b32 v0, v6, v7 offset0:2 offset1:3
	global_store_dwordx4 v1, v[4:7], s[16:17]
	s_waitcnt vmcnt(0)
	global_store_byte v1, v2, s[16:17] offset:16
.LBB2065_7:
	s_or_b32 exec_lo, exec_lo, s8
.LBB2065_8:
	s_mov_b32 s0, exec_lo
	v_cmpx_eq_u32_e32 0, v3
	s_cbranch_execz .LBB2065_10
; %bb.9:
	v_mov_b32_e32 v0, 0
	global_store_dword v0, v0, s[18:19]
.LBB2065_10:
	s_or_b32 exec_lo, exec_lo, s0
	s_mov_b32 s0, exec_lo
	v_cmpx_gt_u32_e64 s14, v3
	s_cbranch_execz .LBB2065_12
; %bb.11:
	v_add_nc_u32_e32 v0, 32, v3
	v_mov_b32_e32 v1, 0
	global_store_byte v0, v1, s[12:13]
.LBB2065_12:
	s_or_b32 exec_lo, exec_lo, s0
	s_mov_b32 s0, exec_lo
	v_cmpx_gt_u32_e32 32, v3
	s_cbranch_execz .LBB2065_14
; %bb.13:
	v_mov_b32_e32 v0, 0xff
	global_store_byte v3, v0, s[12:13]
.LBB2065_14:
	s_endpgm
	.section	.rodata,"a",@progbits
	.p2align	6, 0x0
	.amdhsa_kernel _ZN7rocprim17ROCPRIM_400000_NS6detail30init_device_scan_by_key_kernelINS1_19lookback_scan_stateINS0_5tupleIJ11FixedVectorIiLj4EEbEEELb0ELb0EEENS1_16block_id_wrapperIjLb1EEEEEvT_jjPNSB_10value_typeET0_
		.amdhsa_group_segment_fixed_size 5120
		.amdhsa_private_segment_fixed_size 0
		.amdhsa_kernarg_size 304
		.amdhsa_user_sgpr_count 8
		.amdhsa_user_sgpr_private_segment_buffer 1
		.amdhsa_user_sgpr_dispatch_ptr 1
		.amdhsa_user_sgpr_queue_ptr 0
		.amdhsa_user_sgpr_kernarg_segment_ptr 1
		.amdhsa_user_sgpr_dispatch_id 0
		.amdhsa_user_sgpr_flat_scratch_init 0
		.amdhsa_user_sgpr_private_segment_size 0
		.amdhsa_wavefront_size32 1
		.amdhsa_uses_dynamic_stack 0
		.amdhsa_system_sgpr_private_segment_wavefront_offset 0
		.amdhsa_system_sgpr_workgroup_id_x 1
		.amdhsa_system_sgpr_workgroup_id_y 0
		.amdhsa_system_sgpr_workgroup_id_z 0
		.amdhsa_system_sgpr_workgroup_info 0
		.amdhsa_system_vgpr_workitem_id 2
		.amdhsa_next_free_vgpr 8
		.amdhsa_next_free_sgpr 20
		.amdhsa_reserve_vcc 1
		.amdhsa_reserve_flat_scratch 0
		.amdhsa_float_round_mode_32 0
		.amdhsa_float_round_mode_16_64 0
		.amdhsa_float_denorm_mode_32 3
		.amdhsa_float_denorm_mode_16_64 3
		.amdhsa_dx10_clamp 1
		.amdhsa_ieee_mode 1
		.amdhsa_fp16_overflow 0
		.amdhsa_workgroup_processor_mode 1
		.amdhsa_memory_ordered 1
		.amdhsa_forward_progress 1
		.amdhsa_shared_vgpr_count 0
		.amdhsa_exception_fp_ieee_invalid_op 0
		.amdhsa_exception_fp_denorm_src 0
		.amdhsa_exception_fp_ieee_div_zero 0
		.amdhsa_exception_fp_ieee_overflow 0
		.amdhsa_exception_fp_ieee_underflow 0
		.amdhsa_exception_fp_ieee_inexact 0
		.amdhsa_exception_int_div_zero 0
	.end_amdhsa_kernel
	.section	.text._ZN7rocprim17ROCPRIM_400000_NS6detail30init_device_scan_by_key_kernelINS1_19lookback_scan_stateINS0_5tupleIJ11FixedVectorIiLj4EEbEEELb0ELb0EEENS1_16block_id_wrapperIjLb1EEEEEvT_jjPNSB_10value_typeET0_,"axG",@progbits,_ZN7rocprim17ROCPRIM_400000_NS6detail30init_device_scan_by_key_kernelINS1_19lookback_scan_stateINS0_5tupleIJ11FixedVectorIiLj4EEbEEELb0ELb0EEENS1_16block_id_wrapperIjLb1EEEEEvT_jjPNSB_10value_typeET0_,comdat
.Lfunc_end2065:
	.size	_ZN7rocprim17ROCPRIM_400000_NS6detail30init_device_scan_by_key_kernelINS1_19lookback_scan_stateINS0_5tupleIJ11FixedVectorIiLj4EEbEEELb0ELb0EEENS1_16block_id_wrapperIjLb1EEEEEvT_jjPNSB_10value_typeET0_, .Lfunc_end2065-_ZN7rocprim17ROCPRIM_400000_NS6detail30init_device_scan_by_key_kernelINS1_19lookback_scan_stateINS0_5tupleIJ11FixedVectorIiLj4EEbEEELb0ELb0EEENS1_16block_id_wrapperIjLb1EEEEEvT_jjPNSB_10value_typeET0_
                                        ; -- End function
	.set _ZN7rocprim17ROCPRIM_400000_NS6detail30init_device_scan_by_key_kernelINS1_19lookback_scan_stateINS0_5tupleIJ11FixedVectorIiLj4EEbEEELb0ELb0EEENS1_16block_id_wrapperIjLb1EEEEEvT_jjPNSB_10value_typeET0_.num_vgpr, 8
	.set _ZN7rocprim17ROCPRIM_400000_NS6detail30init_device_scan_by_key_kernelINS1_19lookback_scan_stateINS0_5tupleIJ11FixedVectorIiLj4EEbEEELb0ELb0EEENS1_16block_id_wrapperIjLb1EEEEEvT_jjPNSB_10value_typeET0_.num_agpr, 0
	.set _ZN7rocprim17ROCPRIM_400000_NS6detail30init_device_scan_by_key_kernelINS1_19lookback_scan_stateINS0_5tupleIJ11FixedVectorIiLj4EEbEEELb0ELb0EEENS1_16block_id_wrapperIjLb1EEEEEvT_jjPNSB_10value_typeET0_.numbered_sgpr, 20
	.set _ZN7rocprim17ROCPRIM_400000_NS6detail30init_device_scan_by_key_kernelINS1_19lookback_scan_stateINS0_5tupleIJ11FixedVectorIiLj4EEbEEELb0ELb0EEENS1_16block_id_wrapperIjLb1EEEEEvT_jjPNSB_10value_typeET0_.num_named_barrier, 0
	.set _ZN7rocprim17ROCPRIM_400000_NS6detail30init_device_scan_by_key_kernelINS1_19lookback_scan_stateINS0_5tupleIJ11FixedVectorIiLj4EEbEEELb0ELb0EEENS1_16block_id_wrapperIjLb1EEEEEvT_jjPNSB_10value_typeET0_.private_seg_size, 0
	.set _ZN7rocprim17ROCPRIM_400000_NS6detail30init_device_scan_by_key_kernelINS1_19lookback_scan_stateINS0_5tupleIJ11FixedVectorIiLj4EEbEEELb0ELb0EEENS1_16block_id_wrapperIjLb1EEEEEvT_jjPNSB_10value_typeET0_.uses_vcc, 1
	.set _ZN7rocprim17ROCPRIM_400000_NS6detail30init_device_scan_by_key_kernelINS1_19lookback_scan_stateINS0_5tupleIJ11FixedVectorIiLj4EEbEEELb0ELb0EEENS1_16block_id_wrapperIjLb1EEEEEvT_jjPNSB_10value_typeET0_.uses_flat_scratch, 0
	.set _ZN7rocprim17ROCPRIM_400000_NS6detail30init_device_scan_by_key_kernelINS1_19lookback_scan_stateINS0_5tupleIJ11FixedVectorIiLj4EEbEEELb0ELb0EEENS1_16block_id_wrapperIjLb1EEEEEvT_jjPNSB_10value_typeET0_.has_dyn_sized_stack, 0
	.set _ZN7rocprim17ROCPRIM_400000_NS6detail30init_device_scan_by_key_kernelINS1_19lookback_scan_stateINS0_5tupleIJ11FixedVectorIiLj4EEbEEELb0ELb0EEENS1_16block_id_wrapperIjLb1EEEEEvT_jjPNSB_10value_typeET0_.has_recursion, 0
	.set _ZN7rocprim17ROCPRIM_400000_NS6detail30init_device_scan_by_key_kernelINS1_19lookback_scan_stateINS0_5tupleIJ11FixedVectorIiLj4EEbEEELb0ELb0EEENS1_16block_id_wrapperIjLb1EEEEEvT_jjPNSB_10value_typeET0_.has_indirect_call, 0
	.section	.AMDGPU.csdata,"",@progbits
; Kernel info:
; codeLenInByte = 496
; TotalNumSgprs: 22
; NumVgprs: 8
; ScratchSize: 0
; MemoryBound: 0
; FloatMode: 240
; IeeeMode: 1
; LDSByteSize: 5120 bytes/workgroup (compile time only)
; SGPRBlocks: 0
; VGPRBlocks: 0
; NumSGPRsForWavesPerEU: 22
; NumVGPRsForWavesPerEU: 8
; Occupancy: 16
; WaveLimiterHint : 0
; COMPUTE_PGM_RSRC2:SCRATCH_EN: 0
; COMPUTE_PGM_RSRC2:USER_SGPR: 8
; COMPUTE_PGM_RSRC2:TRAP_HANDLER: 0
; COMPUTE_PGM_RSRC2:TGID_X_EN: 1
; COMPUTE_PGM_RSRC2:TGID_Y_EN: 0
; COMPUTE_PGM_RSRC2:TGID_Z_EN: 0
; COMPUTE_PGM_RSRC2:TIDIG_COMP_CNT: 2
	.section	.text._ZN7rocprim17ROCPRIM_400000_NS6detail17trampoline_kernelINS0_14default_configENS1_27scan_by_key_config_selectorIj11FixedVectorIiLj4EEEEZZNS1_16scan_by_key_implILNS1_25lookback_scan_determinismE0ELb0ES3_N6thrust23THRUST_200600_302600_NS6detail15normal_iteratorINSB_10device_ptrIjEEEENSD_INSE_IS6_EEEESI_S6_NSB_4plusIvEENSB_8equal_toIvEES6_EE10hipError_tPvRmT2_T3_T4_T5_mT6_T7_P12ihipStream_tbENKUlT_T0_E_clISt17integral_constantIbLb0EES12_IbLb1EEEEDaSY_SZ_EUlSY_E_NS1_11comp_targetILNS1_3genE0ELNS1_11target_archE4294967295ELNS1_3gpuE0ELNS1_3repE0EEENS1_30default_config_static_selectorELNS0_4arch9wavefront6targetE0EEEvT1_,"axG",@progbits,_ZN7rocprim17ROCPRIM_400000_NS6detail17trampoline_kernelINS0_14default_configENS1_27scan_by_key_config_selectorIj11FixedVectorIiLj4EEEEZZNS1_16scan_by_key_implILNS1_25lookback_scan_determinismE0ELb0ES3_N6thrust23THRUST_200600_302600_NS6detail15normal_iteratorINSB_10device_ptrIjEEEENSD_INSE_IS6_EEEESI_S6_NSB_4plusIvEENSB_8equal_toIvEES6_EE10hipError_tPvRmT2_T3_T4_T5_mT6_T7_P12ihipStream_tbENKUlT_T0_E_clISt17integral_constantIbLb0EES12_IbLb1EEEEDaSY_SZ_EUlSY_E_NS1_11comp_targetILNS1_3genE0ELNS1_11target_archE4294967295ELNS1_3gpuE0ELNS1_3repE0EEENS1_30default_config_static_selectorELNS0_4arch9wavefront6targetE0EEEvT1_,comdat
	.protected	_ZN7rocprim17ROCPRIM_400000_NS6detail17trampoline_kernelINS0_14default_configENS1_27scan_by_key_config_selectorIj11FixedVectorIiLj4EEEEZZNS1_16scan_by_key_implILNS1_25lookback_scan_determinismE0ELb0ES3_N6thrust23THRUST_200600_302600_NS6detail15normal_iteratorINSB_10device_ptrIjEEEENSD_INSE_IS6_EEEESI_S6_NSB_4plusIvEENSB_8equal_toIvEES6_EE10hipError_tPvRmT2_T3_T4_T5_mT6_T7_P12ihipStream_tbENKUlT_T0_E_clISt17integral_constantIbLb0EES12_IbLb1EEEEDaSY_SZ_EUlSY_E_NS1_11comp_targetILNS1_3genE0ELNS1_11target_archE4294967295ELNS1_3gpuE0ELNS1_3repE0EEENS1_30default_config_static_selectorELNS0_4arch9wavefront6targetE0EEEvT1_ ; -- Begin function _ZN7rocprim17ROCPRIM_400000_NS6detail17trampoline_kernelINS0_14default_configENS1_27scan_by_key_config_selectorIj11FixedVectorIiLj4EEEEZZNS1_16scan_by_key_implILNS1_25lookback_scan_determinismE0ELb0ES3_N6thrust23THRUST_200600_302600_NS6detail15normal_iteratorINSB_10device_ptrIjEEEENSD_INSE_IS6_EEEESI_S6_NSB_4plusIvEENSB_8equal_toIvEES6_EE10hipError_tPvRmT2_T3_T4_T5_mT6_T7_P12ihipStream_tbENKUlT_T0_E_clISt17integral_constantIbLb0EES12_IbLb1EEEEDaSY_SZ_EUlSY_E_NS1_11comp_targetILNS1_3genE0ELNS1_11target_archE4294967295ELNS1_3gpuE0ELNS1_3repE0EEENS1_30default_config_static_selectorELNS0_4arch9wavefront6targetE0EEEvT1_
	.globl	_ZN7rocprim17ROCPRIM_400000_NS6detail17trampoline_kernelINS0_14default_configENS1_27scan_by_key_config_selectorIj11FixedVectorIiLj4EEEEZZNS1_16scan_by_key_implILNS1_25lookback_scan_determinismE0ELb0ES3_N6thrust23THRUST_200600_302600_NS6detail15normal_iteratorINSB_10device_ptrIjEEEENSD_INSE_IS6_EEEESI_S6_NSB_4plusIvEENSB_8equal_toIvEES6_EE10hipError_tPvRmT2_T3_T4_T5_mT6_T7_P12ihipStream_tbENKUlT_T0_E_clISt17integral_constantIbLb0EES12_IbLb1EEEEDaSY_SZ_EUlSY_E_NS1_11comp_targetILNS1_3genE0ELNS1_11target_archE4294967295ELNS1_3gpuE0ELNS1_3repE0EEENS1_30default_config_static_selectorELNS0_4arch9wavefront6targetE0EEEvT1_
	.p2align	8
	.type	_ZN7rocprim17ROCPRIM_400000_NS6detail17trampoline_kernelINS0_14default_configENS1_27scan_by_key_config_selectorIj11FixedVectorIiLj4EEEEZZNS1_16scan_by_key_implILNS1_25lookback_scan_determinismE0ELb0ES3_N6thrust23THRUST_200600_302600_NS6detail15normal_iteratorINSB_10device_ptrIjEEEENSD_INSE_IS6_EEEESI_S6_NSB_4plusIvEENSB_8equal_toIvEES6_EE10hipError_tPvRmT2_T3_T4_T5_mT6_T7_P12ihipStream_tbENKUlT_T0_E_clISt17integral_constantIbLb0EES12_IbLb1EEEEDaSY_SZ_EUlSY_E_NS1_11comp_targetILNS1_3genE0ELNS1_11target_archE4294967295ELNS1_3gpuE0ELNS1_3repE0EEENS1_30default_config_static_selectorELNS0_4arch9wavefront6targetE0EEEvT1_,@function
_ZN7rocprim17ROCPRIM_400000_NS6detail17trampoline_kernelINS0_14default_configENS1_27scan_by_key_config_selectorIj11FixedVectorIiLj4EEEEZZNS1_16scan_by_key_implILNS1_25lookback_scan_determinismE0ELb0ES3_N6thrust23THRUST_200600_302600_NS6detail15normal_iteratorINSB_10device_ptrIjEEEENSD_INSE_IS6_EEEESI_S6_NSB_4plusIvEENSB_8equal_toIvEES6_EE10hipError_tPvRmT2_T3_T4_T5_mT6_T7_P12ihipStream_tbENKUlT_T0_E_clISt17integral_constantIbLb0EES12_IbLb1EEEEDaSY_SZ_EUlSY_E_NS1_11comp_targetILNS1_3genE0ELNS1_11target_archE4294967295ELNS1_3gpuE0ELNS1_3repE0EEENS1_30default_config_static_selectorELNS0_4arch9wavefront6targetE0EEEvT1_: ; @_ZN7rocprim17ROCPRIM_400000_NS6detail17trampoline_kernelINS0_14default_configENS1_27scan_by_key_config_selectorIj11FixedVectorIiLj4EEEEZZNS1_16scan_by_key_implILNS1_25lookback_scan_determinismE0ELb0ES3_N6thrust23THRUST_200600_302600_NS6detail15normal_iteratorINSB_10device_ptrIjEEEENSD_INSE_IS6_EEEESI_S6_NSB_4plusIvEENSB_8equal_toIvEES6_EE10hipError_tPvRmT2_T3_T4_T5_mT6_T7_P12ihipStream_tbENKUlT_T0_E_clISt17integral_constantIbLb0EES12_IbLb1EEEEDaSY_SZ_EUlSY_E_NS1_11comp_targetILNS1_3genE0ELNS1_11target_archE4294967295ELNS1_3gpuE0ELNS1_3repE0EEENS1_30default_config_static_selectorELNS0_4arch9wavefront6targetE0EEEvT1_
; %bb.0:
	.section	.rodata,"a",@progbits
	.p2align	6, 0x0
	.amdhsa_kernel _ZN7rocprim17ROCPRIM_400000_NS6detail17trampoline_kernelINS0_14default_configENS1_27scan_by_key_config_selectorIj11FixedVectorIiLj4EEEEZZNS1_16scan_by_key_implILNS1_25lookback_scan_determinismE0ELb0ES3_N6thrust23THRUST_200600_302600_NS6detail15normal_iteratorINSB_10device_ptrIjEEEENSD_INSE_IS6_EEEESI_S6_NSB_4plusIvEENSB_8equal_toIvEES6_EE10hipError_tPvRmT2_T3_T4_T5_mT6_T7_P12ihipStream_tbENKUlT_T0_E_clISt17integral_constantIbLb0EES12_IbLb1EEEEDaSY_SZ_EUlSY_E_NS1_11comp_targetILNS1_3genE0ELNS1_11target_archE4294967295ELNS1_3gpuE0ELNS1_3repE0EEENS1_30default_config_static_selectorELNS0_4arch9wavefront6targetE0EEEvT1_
		.amdhsa_group_segment_fixed_size 0
		.amdhsa_private_segment_fixed_size 0
		.amdhsa_kernarg_size 144
		.amdhsa_user_sgpr_count 6
		.amdhsa_user_sgpr_private_segment_buffer 1
		.amdhsa_user_sgpr_dispatch_ptr 0
		.amdhsa_user_sgpr_queue_ptr 0
		.amdhsa_user_sgpr_kernarg_segment_ptr 1
		.amdhsa_user_sgpr_dispatch_id 0
		.amdhsa_user_sgpr_flat_scratch_init 0
		.amdhsa_user_sgpr_private_segment_size 0
		.amdhsa_wavefront_size32 1
		.amdhsa_uses_dynamic_stack 0
		.amdhsa_system_sgpr_private_segment_wavefront_offset 0
		.amdhsa_system_sgpr_workgroup_id_x 1
		.amdhsa_system_sgpr_workgroup_id_y 0
		.amdhsa_system_sgpr_workgroup_id_z 0
		.amdhsa_system_sgpr_workgroup_info 0
		.amdhsa_system_vgpr_workitem_id 0
		.amdhsa_next_free_vgpr 1
		.amdhsa_next_free_sgpr 1
		.amdhsa_reserve_vcc 0
		.amdhsa_reserve_flat_scratch 0
		.amdhsa_float_round_mode_32 0
		.amdhsa_float_round_mode_16_64 0
		.amdhsa_float_denorm_mode_32 3
		.amdhsa_float_denorm_mode_16_64 3
		.amdhsa_dx10_clamp 1
		.amdhsa_ieee_mode 1
		.amdhsa_fp16_overflow 0
		.amdhsa_workgroup_processor_mode 1
		.amdhsa_memory_ordered 1
		.amdhsa_forward_progress 1
		.amdhsa_shared_vgpr_count 0
		.amdhsa_exception_fp_ieee_invalid_op 0
		.amdhsa_exception_fp_denorm_src 0
		.amdhsa_exception_fp_ieee_div_zero 0
		.amdhsa_exception_fp_ieee_overflow 0
		.amdhsa_exception_fp_ieee_underflow 0
		.amdhsa_exception_fp_ieee_inexact 0
		.amdhsa_exception_int_div_zero 0
	.end_amdhsa_kernel
	.section	.text._ZN7rocprim17ROCPRIM_400000_NS6detail17trampoline_kernelINS0_14default_configENS1_27scan_by_key_config_selectorIj11FixedVectorIiLj4EEEEZZNS1_16scan_by_key_implILNS1_25lookback_scan_determinismE0ELb0ES3_N6thrust23THRUST_200600_302600_NS6detail15normal_iteratorINSB_10device_ptrIjEEEENSD_INSE_IS6_EEEESI_S6_NSB_4plusIvEENSB_8equal_toIvEES6_EE10hipError_tPvRmT2_T3_T4_T5_mT6_T7_P12ihipStream_tbENKUlT_T0_E_clISt17integral_constantIbLb0EES12_IbLb1EEEEDaSY_SZ_EUlSY_E_NS1_11comp_targetILNS1_3genE0ELNS1_11target_archE4294967295ELNS1_3gpuE0ELNS1_3repE0EEENS1_30default_config_static_selectorELNS0_4arch9wavefront6targetE0EEEvT1_,"axG",@progbits,_ZN7rocprim17ROCPRIM_400000_NS6detail17trampoline_kernelINS0_14default_configENS1_27scan_by_key_config_selectorIj11FixedVectorIiLj4EEEEZZNS1_16scan_by_key_implILNS1_25lookback_scan_determinismE0ELb0ES3_N6thrust23THRUST_200600_302600_NS6detail15normal_iteratorINSB_10device_ptrIjEEEENSD_INSE_IS6_EEEESI_S6_NSB_4plusIvEENSB_8equal_toIvEES6_EE10hipError_tPvRmT2_T3_T4_T5_mT6_T7_P12ihipStream_tbENKUlT_T0_E_clISt17integral_constantIbLb0EES12_IbLb1EEEEDaSY_SZ_EUlSY_E_NS1_11comp_targetILNS1_3genE0ELNS1_11target_archE4294967295ELNS1_3gpuE0ELNS1_3repE0EEENS1_30default_config_static_selectorELNS0_4arch9wavefront6targetE0EEEvT1_,comdat
.Lfunc_end2066:
	.size	_ZN7rocprim17ROCPRIM_400000_NS6detail17trampoline_kernelINS0_14default_configENS1_27scan_by_key_config_selectorIj11FixedVectorIiLj4EEEEZZNS1_16scan_by_key_implILNS1_25lookback_scan_determinismE0ELb0ES3_N6thrust23THRUST_200600_302600_NS6detail15normal_iteratorINSB_10device_ptrIjEEEENSD_INSE_IS6_EEEESI_S6_NSB_4plusIvEENSB_8equal_toIvEES6_EE10hipError_tPvRmT2_T3_T4_T5_mT6_T7_P12ihipStream_tbENKUlT_T0_E_clISt17integral_constantIbLb0EES12_IbLb1EEEEDaSY_SZ_EUlSY_E_NS1_11comp_targetILNS1_3genE0ELNS1_11target_archE4294967295ELNS1_3gpuE0ELNS1_3repE0EEENS1_30default_config_static_selectorELNS0_4arch9wavefront6targetE0EEEvT1_, .Lfunc_end2066-_ZN7rocprim17ROCPRIM_400000_NS6detail17trampoline_kernelINS0_14default_configENS1_27scan_by_key_config_selectorIj11FixedVectorIiLj4EEEEZZNS1_16scan_by_key_implILNS1_25lookback_scan_determinismE0ELb0ES3_N6thrust23THRUST_200600_302600_NS6detail15normal_iteratorINSB_10device_ptrIjEEEENSD_INSE_IS6_EEEESI_S6_NSB_4plusIvEENSB_8equal_toIvEES6_EE10hipError_tPvRmT2_T3_T4_T5_mT6_T7_P12ihipStream_tbENKUlT_T0_E_clISt17integral_constantIbLb0EES12_IbLb1EEEEDaSY_SZ_EUlSY_E_NS1_11comp_targetILNS1_3genE0ELNS1_11target_archE4294967295ELNS1_3gpuE0ELNS1_3repE0EEENS1_30default_config_static_selectorELNS0_4arch9wavefront6targetE0EEEvT1_
                                        ; -- End function
	.set _ZN7rocprim17ROCPRIM_400000_NS6detail17trampoline_kernelINS0_14default_configENS1_27scan_by_key_config_selectorIj11FixedVectorIiLj4EEEEZZNS1_16scan_by_key_implILNS1_25lookback_scan_determinismE0ELb0ES3_N6thrust23THRUST_200600_302600_NS6detail15normal_iteratorINSB_10device_ptrIjEEEENSD_INSE_IS6_EEEESI_S6_NSB_4plusIvEENSB_8equal_toIvEES6_EE10hipError_tPvRmT2_T3_T4_T5_mT6_T7_P12ihipStream_tbENKUlT_T0_E_clISt17integral_constantIbLb0EES12_IbLb1EEEEDaSY_SZ_EUlSY_E_NS1_11comp_targetILNS1_3genE0ELNS1_11target_archE4294967295ELNS1_3gpuE0ELNS1_3repE0EEENS1_30default_config_static_selectorELNS0_4arch9wavefront6targetE0EEEvT1_.num_vgpr, 0
	.set _ZN7rocprim17ROCPRIM_400000_NS6detail17trampoline_kernelINS0_14default_configENS1_27scan_by_key_config_selectorIj11FixedVectorIiLj4EEEEZZNS1_16scan_by_key_implILNS1_25lookback_scan_determinismE0ELb0ES3_N6thrust23THRUST_200600_302600_NS6detail15normal_iteratorINSB_10device_ptrIjEEEENSD_INSE_IS6_EEEESI_S6_NSB_4plusIvEENSB_8equal_toIvEES6_EE10hipError_tPvRmT2_T3_T4_T5_mT6_T7_P12ihipStream_tbENKUlT_T0_E_clISt17integral_constantIbLb0EES12_IbLb1EEEEDaSY_SZ_EUlSY_E_NS1_11comp_targetILNS1_3genE0ELNS1_11target_archE4294967295ELNS1_3gpuE0ELNS1_3repE0EEENS1_30default_config_static_selectorELNS0_4arch9wavefront6targetE0EEEvT1_.num_agpr, 0
	.set _ZN7rocprim17ROCPRIM_400000_NS6detail17trampoline_kernelINS0_14default_configENS1_27scan_by_key_config_selectorIj11FixedVectorIiLj4EEEEZZNS1_16scan_by_key_implILNS1_25lookback_scan_determinismE0ELb0ES3_N6thrust23THRUST_200600_302600_NS6detail15normal_iteratorINSB_10device_ptrIjEEEENSD_INSE_IS6_EEEESI_S6_NSB_4plusIvEENSB_8equal_toIvEES6_EE10hipError_tPvRmT2_T3_T4_T5_mT6_T7_P12ihipStream_tbENKUlT_T0_E_clISt17integral_constantIbLb0EES12_IbLb1EEEEDaSY_SZ_EUlSY_E_NS1_11comp_targetILNS1_3genE0ELNS1_11target_archE4294967295ELNS1_3gpuE0ELNS1_3repE0EEENS1_30default_config_static_selectorELNS0_4arch9wavefront6targetE0EEEvT1_.numbered_sgpr, 0
	.set _ZN7rocprim17ROCPRIM_400000_NS6detail17trampoline_kernelINS0_14default_configENS1_27scan_by_key_config_selectorIj11FixedVectorIiLj4EEEEZZNS1_16scan_by_key_implILNS1_25lookback_scan_determinismE0ELb0ES3_N6thrust23THRUST_200600_302600_NS6detail15normal_iteratorINSB_10device_ptrIjEEEENSD_INSE_IS6_EEEESI_S6_NSB_4plusIvEENSB_8equal_toIvEES6_EE10hipError_tPvRmT2_T3_T4_T5_mT6_T7_P12ihipStream_tbENKUlT_T0_E_clISt17integral_constantIbLb0EES12_IbLb1EEEEDaSY_SZ_EUlSY_E_NS1_11comp_targetILNS1_3genE0ELNS1_11target_archE4294967295ELNS1_3gpuE0ELNS1_3repE0EEENS1_30default_config_static_selectorELNS0_4arch9wavefront6targetE0EEEvT1_.num_named_barrier, 0
	.set _ZN7rocprim17ROCPRIM_400000_NS6detail17trampoline_kernelINS0_14default_configENS1_27scan_by_key_config_selectorIj11FixedVectorIiLj4EEEEZZNS1_16scan_by_key_implILNS1_25lookback_scan_determinismE0ELb0ES3_N6thrust23THRUST_200600_302600_NS6detail15normal_iteratorINSB_10device_ptrIjEEEENSD_INSE_IS6_EEEESI_S6_NSB_4plusIvEENSB_8equal_toIvEES6_EE10hipError_tPvRmT2_T3_T4_T5_mT6_T7_P12ihipStream_tbENKUlT_T0_E_clISt17integral_constantIbLb0EES12_IbLb1EEEEDaSY_SZ_EUlSY_E_NS1_11comp_targetILNS1_3genE0ELNS1_11target_archE4294967295ELNS1_3gpuE0ELNS1_3repE0EEENS1_30default_config_static_selectorELNS0_4arch9wavefront6targetE0EEEvT1_.private_seg_size, 0
	.set _ZN7rocprim17ROCPRIM_400000_NS6detail17trampoline_kernelINS0_14default_configENS1_27scan_by_key_config_selectorIj11FixedVectorIiLj4EEEEZZNS1_16scan_by_key_implILNS1_25lookback_scan_determinismE0ELb0ES3_N6thrust23THRUST_200600_302600_NS6detail15normal_iteratorINSB_10device_ptrIjEEEENSD_INSE_IS6_EEEESI_S6_NSB_4plusIvEENSB_8equal_toIvEES6_EE10hipError_tPvRmT2_T3_T4_T5_mT6_T7_P12ihipStream_tbENKUlT_T0_E_clISt17integral_constantIbLb0EES12_IbLb1EEEEDaSY_SZ_EUlSY_E_NS1_11comp_targetILNS1_3genE0ELNS1_11target_archE4294967295ELNS1_3gpuE0ELNS1_3repE0EEENS1_30default_config_static_selectorELNS0_4arch9wavefront6targetE0EEEvT1_.uses_vcc, 0
	.set _ZN7rocprim17ROCPRIM_400000_NS6detail17trampoline_kernelINS0_14default_configENS1_27scan_by_key_config_selectorIj11FixedVectorIiLj4EEEEZZNS1_16scan_by_key_implILNS1_25lookback_scan_determinismE0ELb0ES3_N6thrust23THRUST_200600_302600_NS6detail15normal_iteratorINSB_10device_ptrIjEEEENSD_INSE_IS6_EEEESI_S6_NSB_4plusIvEENSB_8equal_toIvEES6_EE10hipError_tPvRmT2_T3_T4_T5_mT6_T7_P12ihipStream_tbENKUlT_T0_E_clISt17integral_constantIbLb0EES12_IbLb1EEEEDaSY_SZ_EUlSY_E_NS1_11comp_targetILNS1_3genE0ELNS1_11target_archE4294967295ELNS1_3gpuE0ELNS1_3repE0EEENS1_30default_config_static_selectorELNS0_4arch9wavefront6targetE0EEEvT1_.uses_flat_scratch, 0
	.set _ZN7rocprim17ROCPRIM_400000_NS6detail17trampoline_kernelINS0_14default_configENS1_27scan_by_key_config_selectorIj11FixedVectorIiLj4EEEEZZNS1_16scan_by_key_implILNS1_25lookback_scan_determinismE0ELb0ES3_N6thrust23THRUST_200600_302600_NS6detail15normal_iteratorINSB_10device_ptrIjEEEENSD_INSE_IS6_EEEESI_S6_NSB_4plusIvEENSB_8equal_toIvEES6_EE10hipError_tPvRmT2_T3_T4_T5_mT6_T7_P12ihipStream_tbENKUlT_T0_E_clISt17integral_constantIbLb0EES12_IbLb1EEEEDaSY_SZ_EUlSY_E_NS1_11comp_targetILNS1_3genE0ELNS1_11target_archE4294967295ELNS1_3gpuE0ELNS1_3repE0EEENS1_30default_config_static_selectorELNS0_4arch9wavefront6targetE0EEEvT1_.has_dyn_sized_stack, 0
	.set _ZN7rocprim17ROCPRIM_400000_NS6detail17trampoline_kernelINS0_14default_configENS1_27scan_by_key_config_selectorIj11FixedVectorIiLj4EEEEZZNS1_16scan_by_key_implILNS1_25lookback_scan_determinismE0ELb0ES3_N6thrust23THRUST_200600_302600_NS6detail15normal_iteratorINSB_10device_ptrIjEEEENSD_INSE_IS6_EEEESI_S6_NSB_4plusIvEENSB_8equal_toIvEES6_EE10hipError_tPvRmT2_T3_T4_T5_mT6_T7_P12ihipStream_tbENKUlT_T0_E_clISt17integral_constantIbLb0EES12_IbLb1EEEEDaSY_SZ_EUlSY_E_NS1_11comp_targetILNS1_3genE0ELNS1_11target_archE4294967295ELNS1_3gpuE0ELNS1_3repE0EEENS1_30default_config_static_selectorELNS0_4arch9wavefront6targetE0EEEvT1_.has_recursion, 0
	.set _ZN7rocprim17ROCPRIM_400000_NS6detail17trampoline_kernelINS0_14default_configENS1_27scan_by_key_config_selectorIj11FixedVectorIiLj4EEEEZZNS1_16scan_by_key_implILNS1_25lookback_scan_determinismE0ELb0ES3_N6thrust23THRUST_200600_302600_NS6detail15normal_iteratorINSB_10device_ptrIjEEEENSD_INSE_IS6_EEEESI_S6_NSB_4plusIvEENSB_8equal_toIvEES6_EE10hipError_tPvRmT2_T3_T4_T5_mT6_T7_P12ihipStream_tbENKUlT_T0_E_clISt17integral_constantIbLb0EES12_IbLb1EEEEDaSY_SZ_EUlSY_E_NS1_11comp_targetILNS1_3genE0ELNS1_11target_archE4294967295ELNS1_3gpuE0ELNS1_3repE0EEENS1_30default_config_static_selectorELNS0_4arch9wavefront6targetE0EEEvT1_.has_indirect_call, 0
	.section	.AMDGPU.csdata,"",@progbits
; Kernel info:
; codeLenInByte = 0
; TotalNumSgprs: 0
; NumVgprs: 0
; ScratchSize: 0
; MemoryBound: 0
; FloatMode: 240
; IeeeMode: 1
; LDSByteSize: 0 bytes/workgroup (compile time only)
; SGPRBlocks: 0
; VGPRBlocks: 0
; NumSGPRsForWavesPerEU: 1
; NumVGPRsForWavesPerEU: 1
; Occupancy: 16
; WaveLimiterHint : 0
; COMPUTE_PGM_RSRC2:SCRATCH_EN: 0
; COMPUTE_PGM_RSRC2:USER_SGPR: 6
; COMPUTE_PGM_RSRC2:TRAP_HANDLER: 0
; COMPUTE_PGM_RSRC2:TGID_X_EN: 1
; COMPUTE_PGM_RSRC2:TGID_Y_EN: 0
; COMPUTE_PGM_RSRC2:TGID_Z_EN: 0
; COMPUTE_PGM_RSRC2:TIDIG_COMP_CNT: 0
	.section	.text._ZN7rocprim17ROCPRIM_400000_NS6detail17trampoline_kernelINS0_14default_configENS1_27scan_by_key_config_selectorIj11FixedVectorIiLj4EEEEZZNS1_16scan_by_key_implILNS1_25lookback_scan_determinismE0ELb0ES3_N6thrust23THRUST_200600_302600_NS6detail15normal_iteratorINSB_10device_ptrIjEEEENSD_INSE_IS6_EEEESI_S6_NSB_4plusIvEENSB_8equal_toIvEES6_EE10hipError_tPvRmT2_T3_T4_T5_mT6_T7_P12ihipStream_tbENKUlT_T0_E_clISt17integral_constantIbLb0EES12_IbLb1EEEEDaSY_SZ_EUlSY_E_NS1_11comp_targetILNS1_3genE10ELNS1_11target_archE1201ELNS1_3gpuE5ELNS1_3repE0EEENS1_30default_config_static_selectorELNS0_4arch9wavefront6targetE0EEEvT1_,"axG",@progbits,_ZN7rocprim17ROCPRIM_400000_NS6detail17trampoline_kernelINS0_14default_configENS1_27scan_by_key_config_selectorIj11FixedVectorIiLj4EEEEZZNS1_16scan_by_key_implILNS1_25lookback_scan_determinismE0ELb0ES3_N6thrust23THRUST_200600_302600_NS6detail15normal_iteratorINSB_10device_ptrIjEEEENSD_INSE_IS6_EEEESI_S6_NSB_4plusIvEENSB_8equal_toIvEES6_EE10hipError_tPvRmT2_T3_T4_T5_mT6_T7_P12ihipStream_tbENKUlT_T0_E_clISt17integral_constantIbLb0EES12_IbLb1EEEEDaSY_SZ_EUlSY_E_NS1_11comp_targetILNS1_3genE10ELNS1_11target_archE1201ELNS1_3gpuE5ELNS1_3repE0EEENS1_30default_config_static_selectorELNS0_4arch9wavefront6targetE0EEEvT1_,comdat
	.protected	_ZN7rocprim17ROCPRIM_400000_NS6detail17trampoline_kernelINS0_14default_configENS1_27scan_by_key_config_selectorIj11FixedVectorIiLj4EEEEZZNS1_16scan_by_key_implILNS1_25lookback_scan_determinismE0ELb0ES3_N6thrust23THRUST_200600_302600_NS6detail15normal_iteratorINSB_10device_ptrIjEEEENSD_INSE_IS6_EEEESI_S6_NSB_4plusIvEENSB_8equal_toIvEES6_EE10hipError_tPvRmT2_T3_T4_T5_mT6_T7_P12ihipStream_tbENKUlT_T0_E_clISt17integral_constantIbLb0EES12_IbLb1EEEEDaSY_SZ_EUlSY_E_NS1_11comp_targetILNS1_3genE10ELNS1_11target_archE1201ELNS1_3gpuE5ELNS1_3repE0EEENS1_30default_config_static_selectorELNS0_4arch9wavefront6targetE0EEEvT1_ ; -- Begin function _ZN7rocprim17ROCPRIM_400000_NS6detail17trampoline_kernelINS0_14default_configENS1_27scan_by_key_config_selectorIj11FixedVectorIiLj4EEEEZZNS1_16scan_by_key_implILNS1_25lookback_scan_determinismE0ELb0ES3_N6thrust23THRUST_200600_302600_NS6detail15normal_iteratorINSB_10device_ptrIjEEEENSD_INSE_IS6_EEEESI_S6_NSB_4plusIvEENSB_8equal_toIvEES6_EE10hipError_tPvRmT2_T3_T4_T5_mT6_T7_P12ihipStream_tbENKUlT_T0_E_clISt17integral_constantIbLb0EES12_IbLb1EEEEDaSY_SZ_EUlSY_E_NS1_11comp_targetILNS1_3genE10ELNS1_11target_archE1201ELNS1_3gpuE5ELNS1_3repE0EEENS1_30default_config_static_selectorELNS0_4arch9wavefront6targetE0EEEvT1_
	.globl	_ZN7rocprim17ROCPRIM_400000_NS6detail17trampoline_kernelINS0_14default_configENS1_27scan_by_key_config_selectorIj11FixedVectorIiLj4EEEEZZNS1_16scan_by_key_implILNS1_25lookback_scan_determinismE0ELb0ES3_N6thrust23THRUST_200600_302600_NS6detail15normal_iteratorINSB_10device_ptrIjEEEENSD_INSE_IS6_EEEESI_S6_NSB_4plusIvEENSB_8equal_toIvEES6_EE10hipError_tPvRmT2_T3_T4_T5_mT6_T7_P12ihipStream_tbENKUlT_T0_E_clISt17integral_constantIbLb0EES12_IbLb1EEEEDaSY_SZ_EUlSY_E_NS1_11comp_targetILNS1_3genE10ELNS1_11target_archE1201ELNS1_3gpuE5ELNS1_3repE0EEENS1_30default_config_static_selectorELNS0_4arch9wavefront6targetE0EEEvT1_
	.p2align	8
	.type	_ZN7rocprim17ROCPRIM_400000_NS6detail17trampoline_kernelINS0_14default_configENS1_27scan_by_key_config_selectorIj11FixedVectorIiLj4EEEEZZNS1_16scan_by_key_implILNS1_25lookback_scan_determinismE0ELb0ES3_N6thrust23THRUST_200600_302600_NS6detail15normal_iteratorINSB_10device_ptrIjEEEENSD_INSE_IS6_EEEESI_S6_NSB_4plusIvEENSB_8equal_toIvEES6_EE10hipError_tPvRmT2_T3_T4_T5_mT6_T7_P12ihipStream_tbENKUlT_T0_E_clISt17integral_constantIbLb0EES12_IbLb1EEEEDaSY_SZ_EUlSY_E_NS1_11comp_targetILNS1_3genE10ELNS1_11target_archE1201ELNS1_3gpuE5ELNS1_3repE0EEENS1_30default_config_static_selectorELNS0_4arch9wavefront6targetE0EEEvT1_,@function
_ZN7rocprim17ROCPRIM_400000_NS6detail17trampoline_kernelINS0_14default_configENS1_27scan_by_key_config_selectorIj11FixedVectorIiLj4EEEEZZNS1_16scan_by_key_implILNS1_25lookback_scan_determinismE0ELb0ES3_N6thrust23THRUST_200600_302600_NS6detail15normal_iteratorINSB_10device_ptrIjEEEENSD_INSE_IS6_EEEESI_S6_NSB_4plusIvEENSB_8equal_toIvEES6_EE10hipError_tPvRmT2_T3_T4_T5_mT6_T7_P12ihipStream_tbENKUlT_T0_E_clISt17integral_constantIbLb0EES12_IbLb1EEEEDaSY_SZ_EUlSY_E_NS1_11comp_targetILNS1_3genE10ELNS1_11target_archE1201ELNS1_3gpuE5ELNS1_3repE0EEENS1_30default_config_static_selectorELNS0_4arch9wavefront6targetE0EEEvT1_: ; @_ZN7rocprim17ROCPRIM_400000_NS6detail17trampoline_kernelINS0_14default_configENS1_27scan_by_key_config_selectorIj11FixedVectorIiLj4EEEEZZNS1_16scan_by_key_implILNS1_25lookback_scan_determinismE0ELb0ES3_N6thrust23THRUST_200600_302600_NS6detail15normal_iteratorINSB_10device_ptrIjEEEENSD_INSE_IS6_EEEESI_S6_NSB_4plusIvEENSB_8equal_toIvEES6_EE10hipError_tPvRmT2_T3_T4_T5_mT6_T7_P12ihipStream_tbENKUlT_T0_E_clISt17integral_constantIbLb0EES12_IbLb1EEEEDaSY_SZ_EUlSY_E_NS1_11comp_targetILNS1_3genE10ELNS1_11target_archE1201ELNS1_3gpuE5ELNS1_3repE0EEENS1_30default_config_static_selectorELNS0_4arch9wavefront6targetE0EEEvT1_
; %bb.0:
	.section	.rodata,"a",@progbits
	.p2align	6, 0x0
	.amdhsa_kernel _ZN7rocprim17ROCPRIM_400000_NS6detail17trampoline_kernelINS0_14default_configENS1_27scan_by_key_config_selectorIj11FixedVectorIiLj4EEEEZZNS1_16scan_by_key_implILNS1_25lookback_scan_determinismE0ELb0ES3_N6thrust23THRUST_200600_302600_NS6detail15normal_iteratorINSB_10device_ptrIjEEEENSD_INSE_IS6_EEEESI_S6_NSB_4plusIvEENSB_8equal_toIvEES6_EE10hipError_tPvRmT2_T3_T4_T5_mT6_T7_P12ihipStream_tbENKUlT_T0_E_clISt17integral_constantIbLb0EES12_IbLb1EEEEDaSY_SZ_EUlSY_E_NS1_11comp_targetILNS1_3genE10ELNS1_11target_archE1201ELNS1_3gpuE5ELNS1_3repE0EEENS1_30default_config_static_selectorELNS0_4arch9wavefront6targetE0EEEvT1_
		.amdhsa_group_segment_fixed_size 0
		.amdhsa_private_segment_fixed_size 0
		.amdhsa_kernarg_size 144
		.amdhsa_user_sgpr_count 6
		.amdhsa_user_sgpr_private_segment_buffer 1
		.amdhsa_user_sgpr_dispatch_ptr 0
		.amdhsa_user_sgpr_queue_ptr 0
		.amdhsa_user_sgpr_kernarg_segment_ptr 1
		.amdhsa_user_sgpr_dispatch_id 0
		.amdhsa_user_sgpr_flat_scratch_init 0
		.amdhsa_user_sgpr_private_segment_size 0
		.amdhsa_wavefront_size32 1
		.amdhsa_uses_dynamic_stack 0
		.amdhsa_system_sgpr_private_segment_wavefront_offset 0
		.amdhsa_system_sgpr_workgroup_id_x 1
		.amdhsa_system_sgpr_workgroup_id_y 0
		.amdhsa_system_sgpr_workgroup_id_z 0
		.amdhsa_system_sgpr_workgroup_info 0
		.amdhsa_system_vgpr_workitem_id 0
		.amdhsa_next_free_vgpr 1
		.amdhsa_next_free_sgpr 1
		.amdhsa_reserve_vcc 0
		.amdhsa_reserve_flat_scratch 0
		.amdhsa_float_round_mode_32 0
		.amdhsa_float_round_mode_16_64 0
		.amdhsa_float_denorm_mode_32 3
		.amdhsa_float_denorm_mode_16_64 3
		.amdhsa_dx10_clamp 1
		.amdhsa_ieee_mode 1
		.amdhsa_fp16_overflow 0
		.amdhsa_workgroup_processor_mode 1
		.amdhsa_memory_ordered 1
		.amdhsa_forward_progress 1
		.amdhsa_shared_vgpr_count 0
		.amdhsa_exception_fp_ieee_invalid_op 0
		.amdhsa_exception_fp_denorm_src 0
		.amdhsa_exception_fp_ieee_div_zero 0
		.amdhsa_exception_fp_ieee_overflow 0
		.amdhsa_exception_fp_ieee_underflow 0
		.amdhsa_exception_fp_ieee_inexact 0
		.amdhsa_exception_int_div_zero 0
	.end_amdhsa_kernel
	.section	.text._ZN7rocprim17ROCPRIM_400000_NS6detail17trampoline_kernelINS0_14default_configENS1_27scan_by_key_config_selectorIj11FixedVectorIiLj4EEEEZZNS1_16scan_by_key_implILNS1_25lookback_scan_determinismE0ELb0ES3_N6thrust23THRUST_200600_302600_NS6detail15normal_iteratorINSB_10device_ptrIjEEEENSD_INSE_IS6_EEEESI_S6_NSB_4plusIvEENSB_8equal_toIvEES6_EE10hipError_tPvRmT2_T3_T4_T5_mT6_T7_P12ihipStream_tbENKUlT_T0_E_clISt17integral_constantIbLb0EES12_IbLb1EEEEDaSY_SZ_EUlSY_E_NS1_11comp_targetILNS1_3genE10ELNS1_11target_archE1201ELNS1_3gpuE5ELNS1_3repE0EEENS1_30default_config_static_selectorELNS0_4arch9wavefront6targetE0EEEvT1_,"axG",@progbits,_ZN7rocprim17ROCPRIM_400000_NS6detail17trampoline_kernelINS0_14default_configENS1_27scan_by_key_config_selectorIj11FixedVectorIiLj4EEEEZZNS1_16scan_by_key_implILNS1_25lookback_scan_determinismE0ELb0ES3_N6thrust23THRUST_200600_302600_NS6detail15normal_iteratorINSB_10device_ptrIjEEEENSD_INSE_IS6_EEEESI_S6_NSB_4plusIvEENSB_8equal_toIvEES6_EE10hipError_tPvRmT2_T3_T4_T5_mT6_T7_P12ihipStream_tbENKUlT_T0_E_clISt17integral_constantIbLb0EES12_IbLb1EEEEDaSY_SZ_EUlSY_E_NS1_11comp_targetILNS1_3genE10ELNS1_11target_archE1201ELNS1_3gpuE5ELNS1_3repE0EEENS1_30default_config_static_selectorELNS0_4arch9wavefront6targetE0EEEvT1_,comdat
.Lfunc_end2067:
	.size	_ZN7rocprim17ROCPRIM_400000_NS6detail17trampoline_kernelINS0_14default_configENS1_27scan_by_key_config_selectorIj11FixedVectorIiLj4EEEEZZNS1_16scan_by_key_implILNS1_25lookback_scan_determinismE0ELb0ES3_N6thrust23THRUST_200600_302600_NS6detail15normal_iteratorINSB_10device_ptrIjEEEENSD_INSE_IS6_EEEESI_S6_NSB_4plusIvEENSB_8equal_toIvEES6_EE10hipError_tPvRmT2_T3_T4_T5_mT6_T7_P12ihipStream_tbENKUlT_T0_E_clISt17integral_constantIbLb0EES12_IbLb1EEEEDaSY_SZ_EUlSY_E_NS1_11comp_targetILNS1_3genE10ELNS1_11target_archE1201ELNS1_3gpuE5ELNS1_3repE0EEENS1_30default_config_static_selectorELNS0_4arch9wavefront6targetE0EEEvT1_, .Lfunc_end2067-_ZN7rocprim17ROCPRIM_400000_NS6detail17trampoline_kernelINS0_14default_configENS1_27scan_by_key_config_selectorIj11FixedVectorIiLj4EEEEZZNS1_16scan_by_key_implILNS1_25lookback_scan_determinismE0ELb0ES3_N6thrust23THRUST_200600_302600_NS6detail15normal_iteratorINSB_10device_ptrIjEEEENSD_INSE_IS6_EEEESI_S6_NSB_4plusIvEENSB_8equal_toIvEES6_EE10hipError_tPvRmT2_T3_T4_T5_mT6_T7_P12ihipStream_tbENKUlT_T0_E_clISt17integral_constantIbLb0EES12_IbLb1EEEEDaSY_SZ_EUlSY_E_NS1_11comp_targetILNS1_3genE10ELNS1_11target_archE1201ELNS1_3gpuE5ELNS1_3repE0EEENS1_30default_config_static_selectorELNS0_4arch9wavefront6targetE0EEEvT1_
                                        ; -- End function
	.set _ZN7rocprim17ROCPRIM_400000_NS6detail17trampoline_kernelINS0_14default_configENS1_27scan_by_key_config_selectorIj11FixedVectorIiLj4EEEEZZNS1_16scan_by_key_implILNS1_25lookback_scan_determinismE0ELb0ES3_N6thrust23THRUST_200600_302600_NS6detail15normal_iteratorINSB_10device_ptrIjEEEENSD_INSE_IS6_EEEESI_S6_NSB_4plusIvEENSB_8equal_toIvEES6_EE10hipError_tPvRmT2_T3_T4_T5_mT6_T7_P12ihipStream_tbENKUlT_T0_E_clISt17integral_constantIbLb0EES12_IbLb1EEEEDaSY_SZ_EUlSY_E_NS1_11comp_targetILNS1_3genE10ELNS1_11target_archE1201ELNS1_3gpuE5ELNS1_3repE0EEENS1_30default_config_static_selectorELNS0_4arch9wavefront6targetE0EEEvT1_.num_vgpr, 0
	.set _ZN7rocprim17ROCPRIM_400000_NS6detail17trampoline_kernelINS0_14default_configENS1_27scan_by_key_config_selectorIj11FixedVectorIiLj4EEEEZZNS1_16scan_by_key_implILNS1_25lookback_scan_determinismE0ELb0ES3_N6thrust23THRUST_200600_302600_NS6detail15normal_iteratorINSB_10device_ptrIjEEEENSD_INSE_IS6_EEEESI_S6_NSB_4plusIvEENSB_8equal_toIvEES6_EE10hipError_tPvRmT2_T3_T4_T5_mT6_T7_P12ihipStream_tbENKUlT_T0_E_clISt17integral_constantIbLb0EES12_IbLb1EEEEDaSY_SZ_EUlSY_E_NS1_11comp_targetILNS1_3genE10ELNS1_11target_archE1201ELNS1_3gpuE5ELNS1_3repE0EEENS1_30default_config_static_selectorELNS0_4arch9wavefront6targetE0EEEvT1_.num_agpr, 0
	.set _ZN7rocprim17ROCPRIM_400000_NS6detail17trampoline_kernelINS0_14default_configENS1_27scan_by_key_config_selectorIj11FixedVectorIiLj4EEEEZZNS1_16scan_by_key_implILNS1_25lookback_scan_determinismE0ELb0ES3_N6thrust23THRUST_200600_302600_NS6detail15normal_iteratorINSB_10device_ptrIjEEEENSD_INSE_IS6_EEEESI_S6_NSB_4plusIvEENSB_8equal_toIvEES6_EE10hipError_tPvRmT2_T3_T4_T5_mT6_T7_P12ihipStream_tbENKUlT_T0_E_clISt17integral_constantIbLb0EES12_IbLb1EEEEDaSY_SZ_EUlSY_E_NS1_11comp_targetILNS1_3genE10ELNS1_11target_archE1201ELNS1_3gpuE5ELNS1_3repE0EEENS1_30default_config_static_selectorELNS0_4arch9wavefront6targetE0EEEvT1_.numbered_sgpr, 0
	.set _ZN7rocprim17ROCPRIM_400000_NS6detail17trampoline_kernelINS0_14default_configENS1_27scan_by_key_config_selectorIj11FixedVectorIiLj4EEEEZZNS1_16scan_by_key_implILNS1_25lookback_scan_determinismE0ELb0ES3_N6thrust23THRUST_200600_302600_NS6detail15normal_iteratorINSB_10device_ptrIjEEEENSD_INSE_IS6_EEEESI_S6_NSB_4plusIvEENSB_8equal_toIvEES6_EE10hipError_tPvRmT2_T3_T4_T5_mT6_T7_P12ihipStream_tbENKUlT_T0_E_clISt17integral_constantIbLb0EES12_IbLb1EEEEDaSY_SZ_EUlSY_E_NS1_11comp_targetILNS1_3genE10ELNS1_11target_archE1201ELNS1_3gpuE5ELNS1_3repE0EEENS1_30default_config_static_selectorELNS0_4arch9wavefront6targetE0EEEvT1_.num_named_barrier, 0
	.set _ZN7rocprim17ROCPRIM_400000_NS6detail17trampoline_kernelINS0_14default_configENS1_27scan_by_key_config_selectorIj11FixedVectorIiLj4EEEEZZNS1_16scan_by_key_implILNS1_25lookback_scan_determinismE0ELb0ES3_N6thrust23THRUST_200600_302600_NS6detail15normal_iteratorINSB_10device_ptrIjEEEENSD_INSE_IS6_EEEESI_S6_NSB_4plusIvEENSB_8equal_toIvEES6_EE10hipError_tPvRmT2_T3_T4_T5_mT6_T7_P12ihipStream_tbENKUlT_T0_E_clISt17integral_constantIbLb0EES12_IbLb1EEEEDaSY_SZ_EUlSY_E_NS1_11comp_targetILNS1_3genE10ELNS1_11target_archE1201ELNS1_3gpuE5ELNS1_3repE0EEENS1_30default_config_static_selectorELNS0_4arch9wavefront6targetE0EEEvT1_.private_seg_size, 0
	.set _ZN7rocprim17ROCPRIM_400000_NS6detail17trampoline_kernelINS0_14default_configENS1_27scan_by_key_config_selectorIj11FixedVectorIiLj4EEEEZZNS1_16scan_by_key_implILNS1_25lookback_scan_determinismE0ELb0ES3_N6thrust23THRUST_200600_302600_NS6detail15normal_iteratorINSB_10device_ptrIjEEEENSD_INSE_IS6_EEEESI_S6_NSB_4plusIvEENSB_8equal_toIvEES6_EE10hipError_tPvRmT2_T3_T4_T5_mT6_T7_P12ihipStream_tbENKUlT_T0_E_clISt17integral_constantIbLb0EES12_IbLb1EEEEDaSY_SZ_EUlSY_E_NS1_11comp_targetILNS1_3genE10ELNS1_11target_archE1201ELNS1_3gpuE5ELNS1_3repE0EEENS1_30default_config_static_selectorELNS0_4arch9wavefront6targetE0EEEvT1_.uses_vcc, 0
	.set _ZN7rocprim17ROCPRIM_400000_NS6detail17trampoline_kernelINS0_14default_configENS1_27scan_by_key_config_selectorIj11FixedVectorIiLj4EEEEZZNS1_16scan_by_key_implILNS1_25lookback_scan_determinismE0ELb0ES3_N6thrust23THRUST_200600_302600_NS6detail15normal_iteratorINSB_10device_ptrIjEEEENSD_INSE_IS6_EEEESI_S6_NSB_4plusIvEENSB_8equal_toIvEES6_EE10hipError_tPvRmT2_T3_T4_T5_mT6_T7_P12ihipStream_tbENKUlT_T0_E_clISt17integral_constantIbLb0EES12_IbLb1EEEEDaSY_SZ_EUlSY_E_NS1_11comp_targetILNS1_3genE10ELNS1_11target_archE1201ELNS1_3gpuE5ELNS1_3repE0EEENS1_30default_config_static_selectorELNS0_4arch9wavefront6targetE0EEEvT1_.uses_flat_scratch, 0
	.set _ZN7rocprim17ROCPRIM_400000_NS6detail17trampoline_kernelINS0_14default_configENS1_27scan_by_key_config_selectorIj11FixedVectorIiLj4EEEEZZNS1_16scan_by_key_implILNS1_25lookback_scan_determinismE0ELb0ES3_N6thrust23THRUST_200600_302600_NS6detail15normal_iteratorINSB_10device_ptrIjEEEENSD_INSE_IS6_EEEESI_S6_NSB_4plusIvEENSB_8equal_toIvEES6_EE10hipError_tPvRmT2_T3_T4_T5_mT6_T7_P12ihipStream_tbENKUlT_T0_E_clISt17integral_constantIbLb0EES12_IbLb1EEEEDaSY_SZ_EUlSY_E_NS1_11comp_targetILNS1_3genE10ELNS1_11target_archE1201ELNS1_3gpuE5ELNS1_3repE0EEENS1_30default_config_static_selectorELNS0_4arch9wavefront6targetE0EEEvT1_.has_dyn_sized_stack, 0
	.set _ZN7rocprim17ROCPRIM_400000_NS6detail17trampoline_kernelINS0_14default_configENS1_27scan_by_key_config_selectorIj11FixedVectorIiLj4EEEEZZNS1_16scan_by_key_implILNS1_25lookback_scan_determinismE0ELb0ES3_N6thrust23THRUST_200600_302600_NS6detail15normal_iteratorINSB_10device_ptrIjEEEENSD_INSE_IS6_EEEESI_S6_NSB_4plusIvEENSB_8equal_toIvEES6_EE10hipError_tPvRmT2_T3_T4_T5_mT6_T7_P12ihipStream_tbENKUlT_T0_E_clISt17integral_constantIbLb0EES12_IbLb1EEEEDaSY_SZ_EUlSY_E_NS1_11comp_targetILNS1_3genE10ELNS1_11target_archE1201ELNS1_3gpuE5ELNS1_3repE0EEENS1_30default_config_static_selectorELNS0_4arch9wavefront6targetE0EEEvT1_.has_recursion, 0
	.set _ZN7rocprim17ROCPRIM_400000_NS6detail17trampoline_kernelINS0_14default_configENS1_27scan_by_key_config_selectorIj11FixedVectorIiLj4EEEEZZNS1_16scan_by_key_implILNS1_25lookback_scan_determinismE0ELb0ES3_N6thrust23THRUST_200600_302600_NS6detail15normal_iteratorINSB_10device_ptrIjEEEENSD_INSE_IS6_EEEESI_S6_NSB_4plusIvEENSB_8equal_toIvEES6_EE10hipError_tPvRmT2_T3_T4_T5_mT6_T7_P12ihipStream_tbENKUlT_T0_E_clISt17integral_constantIbLb0EES12_IbLb1EEEEDaSY_SZ_EUlSY_E_NS1_11comp_targetILNS1_3genE10ELNS1_11target_archE1201ELNS1_3gpuE5ELNS1_3repE0EEENS1_30default_config_static_selectorELNS0_4arch9wavefront6targetE0EEEvT1_.has_indirect_call, 0
	.section	.AMDGPU.csdata,"",@progbits
; Kernel info:
; codeLenInByte = 0
; TotalNumSgprs: 0
; NumVgprs: 0
; ScratchSize: 0
; MemoryBound: 0
; FloatMode: 240
; IeeeMode: 1
; LDSByteSize: 0 bytes/workgroup (compile time only)
; SGPRBlocks: 0
; VGPRBlocks: 0
; NumSGPRsForWavesPerEU: 1
; NumVGPRsForWavesPerEU: 1
; Occupancy: 16
; WaveLimiterHint : 0
; COMPUTE_PGM_RSRC2:SCRATCH_EN: 0
; COMPUTE_PGM_RSRC2:USER_SGPR: 6
; COMPUTE_PGM_RSRC2:TRAP_HANDLER: 0
; COMPUTE_PGM_RSRC2:TGID_X_EN: 1
; COMPUTE_PGM_RSRC2:TGID_Y_EN: 0
; COMPUTE_PGM_RSRC2:TGID_Z_EN: 0
; COMPUTE_PGM_RSRC2:TIDIG_COMP_CNT: 0
	.section	.text._ZN7rocprim17ROCPRIM_400000_NS6detail17trampoline_kernelINS0_14default_configENS1_27scan_by_key_config_selectorIj11FixedVectorIiLj4EEEEZZNS1_16scan_by_key_implILNS1_25lookback_scan_determinismE0ELb0ES3_N6thrust23THRUST_200600_302600_NS6detail15normal_iteratorINSB_10device_ptrIjEEEENSD_INSE_IS6_EEEESI_S6_NSB_4plusIvEENSB_8equal_toIvEES6_EE10hipError_tPvRmT2_T3_T4_T5_mT6_T7_P12ihipStream_tbENKUlT_T0_E_clISt17integral_constantIbLb0EES12_IbLb1EEEEDaSY_SZ_EUlSY_E_NS1_11comp_targetILNS1_3genE5ELNS1_11target_archE942ELNS1_3gpuE9ELNS1_3repE0EEENS1_30default_config_static_selectorELNS0_4arch9wavefront6targetE0EEEvT1_,"axG",@progbits,_ZN7rocprim17ROCPRIM_400000_NS6detail17trampoline_kernelINS0_14default_configENS1_27scan_by_key_config_selectorIj11FixedVectorIiLj4EEEEZZNS1_16scan_by_key_implILNS1_25lookback_scan_determinismE0ELb0ES3_N6thrust23THRUST_200600_302600_NS6detail15normal_iteratorINSB_10device_ptrIjEEEENSD_INSE_IS6_EEEESI_S6_NSB_4plusIvEENSB_8equal_toIvEES6_EE10hipError_tPvRmT2_T3_T4_T5_mT6_T7_P12ihipStream_tbENKUlT_T0_E_clISt17integral_constantIbLb0EES12_IbLb1EEEEDaSY_SZ_EUlSY_E_NS1_11comp_targetILNS1_3genE5ELNS1_11target_archE942ELNS1_3gpuE9ELNS1_3repE0EEENS1_30default_config_static_selectorELNS0_4arch9wavefront6targetE0EEEvT1_,comdat
	.protected	_ZN7rocprim17ROCPRIM_400000_NS6detail17trampoline_kernelINS0_14default_configENS1_27scan_by_key_config_selectorIj11FixedVectorIiLj4EEEEZZNS1_16scan_by_key_implILNS1_25lookback_scan_determinismE0ELb0ES3_N6thrust23THRUST_200600_302600_NS6detail15normal_iteratorINSB_10device_ptrIjEEEENSD_INSE_IS6_EEEESI_S6_NSB_4plusIvEENSB_8equal_toIvEES6_EE10hipError_tPvRmT2_T3_T4_T5_mT6_T7_P12ihipStream_tbENKUlT_T0_E_clISt17integral_constantIbLb0EES12_IbLb1EEEEDaSY_SZ_EUlSY_E_NS1_11comp_targetILNS1_3genE5ELNS1_11target_archE942ELNS1_3gpuE9ELNS1_3repE0EEENS1_30default_config_static_selectorELNS0_4arch9wavefront6targetE0EEEvT1_ ; -- Begin function _ZN7rocprim17ROCPRIM_400000_NS6detail17trampoline_kernelINS0_14default_configENS1_27scan_by_key_config_selectorIj11FixedVectorIiLj4EEEEZZNS1_16scan_by_key_implILNS1_25lookback_scan_determinismE0ELb0ES3_N6thrust23THRUST_200600_302600_NS6detail15normal_iteratorINSB_10device_ptrIjEEEENSD_INSE_IS6_EEEESI_S6_NSB_4plusIvEENSB_8equal_toIvEES6_EE10hipError_tPvRmT2_T3_T4_T5_mT6_T7_P12ihipStream_tbENKUlT_T0_E_clISt17integral_constantIbLb0EES12_IbLb1EEEEDaSY_SZ_EUlSY_E_NS1_11comp_targetILNS1_3genE5ELNS1_11target_archE942ELNS1_3gpuE9ELNS1_3repE0EEENS1_30default_config_static_selectorELNS0_4arch9wavefront6targetE0EEEvT1_
	.globl	_ZN7rocprim17ROCPRIM_400000_NS6detail17trampoline_kernelINS0_14default_configENS1_27scan_by_key_config_selectorIj11FixedVectorIiLj4EEEEZZNS1_16scan_by_key_implILNS1_25lookback_scan_determinismE0ELb0ES3_N6thrust23THRUST_200600_302600_NS6detail15normal_iteratorINSB_10device_ptrIjEEEENSD_INSE_IS6_EEEESI_S6_NSB_4plusIvEENSB_8equal_toIvEES6_EE10hipError_tPvRmT2_T3_T4_T5_mT6_T7_P12ihipStream_tbENKUlT_T0_E_clISt17integral_constantIbLb0EES12_IbLb1EEEEDaSY_SZ_EUlSY_E_NS1_11comp_targetILNS1_3genE5ELNS1_11target_archE942ELNS1_3gpuE9ELNS1_3repE0EEENS1_30default_config_static_selectorELNS0_4arch9wavefront6targetE0EEEvT1_
	.p2align	8
	.type	_ZN7rocprim17ROCPRIM_400000_NS6detail17trampoline_kernelINS0_14default_configENS1_27scan_by_key_config_selectorIj11FixedVectorIiLj4EEEEZZNS1_16scan_by_key_implILNS1_25lookback_scan_determinismE0ELb0ES3_N6thrust23THRUST_200600_302600_NS6detail15normal_iteratorINSB_10device_ptrIjEEEENSD_INSE_IS6_EEEESI_S6_NSB_4plusIvEENSB_8equal_toIvEES6_EE10hipError_tPvRmT2_T3_T4_T5_mT6_T7_P12ihipStream_tbENKUlT_T0_E_clISt17integral_constantIbLb0EES12_IbLb1EEEEDaSY_SZ_EUlSY_E_NS1_11comp_targetILNS1_3genE5ELNS1_11target_archE942ELNS1_3gpuE9ELNS1_3repE0EEENS1_30default_config_static_selectorELNS0_4arch9wavefront6targetE0EEEvT1_,@function
_ZN7rocprim17ROCPRIM_400000_NS6detail17trampoline_kernelINS0_14default_configENS1_27scan_by_key_config_selectorIj11FixedVectorIiLj4EEEEZZNS1_16scan_by_key_implILNS1_25lookback_scan_determinismE0ELb0ES3_N6thrust23THRUST_200600_302600_NS6detail15normal_iteratorINSB_10device_ptrIjEEEENSD_INSE_IS6_EEEESI_S6_NSB_4plusIvEENSB_8equal_toIvEES6_EE10hipError_tPvRmT2_T3_T4_T5_mT6_T7_P12ihipStream_tbENKUlT_T0_E_clISt17integral_constantIbLb0EES12_IbLb1EEEEDaSY_SZ_EUlSY_E_NS1_11comp_targetILNS1_3genE5ELNS1_11target_archE942ELNS1_3gpuE9ELNS1_3repE0EEENS1_30default_config_static_selectorELNS0_4arch9wavefront6targetE0EEEvT1_: ; @_ZN7rocprim17ROCPRIM_400000_NS6detail17trampoline_kernelINS0_14default_configENS1_27scan_by_key_config_selectorIj11FixedVectorIiLj4EEEEZZNS1_16scan_by_key_implILNS1_25lookback_scan_determinismE0ELb0ES3_N6thrust23THRUST_200600_302600_NS6detail15normal_iteratorINSB_10device_ptrIjEEEENSD_INSE_IS6_EEEESI_S6_NSB_4plusIvEENSB_8equal_toIvEES6_EE10hipError_tPvRmT2_T3_T4_T5_mT6_T7_P12ihipStream_tbENKUlT_T0_E_clISt17integral_constantIbLb0EES12_IbLb1EEEEDaSY_SZ_EUlSY_E_NS1_11comp_targetILNS1_3genE5ELNS1_11target_archE942ELNS1_3gpuE9ELNS1_3repE0EEENS1_30default_config_static_selectorELNS0_4arch9wavefront6targetE0EEEvT1_
; %bb.0:
	.section	.rodata,"a",@progbits
	.p2align	6, 0x0
	.amdhsa_kernel _ZN7rocprim17ROCPRIM_400000_NS6detail17trampoline_kernelINS0_14default_configENS1_27scan_by_key_config_selectorIj11FixedVectorIiLj4EEEEZZNS1_16scan_by_key_implILNS1_25lookback_scan_determinismE0ELb0ES3_N6thrust23THRUST_200600_302600_NS6detail15normal_iteratorINSB_10device_ptrIjEEEENSD_INSE_IS6_EEEESI_S6_NSB_4plusIvEENSB_8equal_toIvEES6_EE10hipError_tPvRmT2_T3_T4_T5_mT6_T7_P12ihipStream_tbENKUlT_T0_E_clISt17integral_constantIbLb0EES12_IbLb1EEEEDaSY_SZ_EUlSY_E_NS1_11comp_targetILNS1_3genE5ELNS1_11target_archE942ELNS1_3gpuE9ELNS1_3repE0EEENS1_30default_config_static_selectorELNS0_4arch9wavefront6targetE0EEEvT1_
		.amdhsa_group_segment_fixed_size 0
		.amdhsa_private_segment_fixed_size 0
		.amdhsa_kernarg_size 144
		.amdhsa_user_sgpr_count 6
		.amdhsa_user_sgpr_private_segment_buffer 1
		.amdhsa_user_sgpr_dispatch_ptr 0
		.amdhsa_user_sgpr_queue_ptr 0
		.amdhsa_user_sgpr_kernarg_segment_ptr 1
		.amdhsa_user_sgpr_dispatch_id 0
		.amdhsa_user_sgpr_flat_scratch_init 0
		.amdhsa_user_sgpr_private_segment_size 0
		.amdhsa_wavefront_size32 1
		.amdhsa_uses_dynamic_stack 0
		.amdhsa_system_sgpr_private_segment_wavefront_offset 0
		.amdhsa_system_sgpr_workgroup_id_x 1
		.amdhsa_system_sgpr_workgroup_id_y 0
		.amdhsa_system_sgpr_workgroup_id_z 0
		.amdhsa_system_sgpr_workgroup_info 0
		.amdhsa_system_vgpr_workitem_id 0
		.amdhsa_next_free_vgpr 1
		.amdhsa_next_free_sgpr 1
		.amdhsa_reserve_vcc 0
		.amdhsa_reserve_flat_scratch 0
		.amdhsa_float_round_mode_32 0
		.amdhsa_float_round_mode_16_64 0
		.amdhsa_float_denorm_mode_32 3
		.amdhsa_float_denorm_mode_16_64 3
		.amdhsa_dx10_clamp 1
		.amdhsa_ieee_mode 1
		.amdhsa_fp16_overflow 0
		.amdhsa_workgroup_processor_mode 1
		.amdhsa_memory_ordered 1
		.amdhsa_forward_progress 1
		.amdhsa_shared_vgpr_count 0
		.amdhsa_exception_fp_ieee_invalid_op 0
		.amdhsa_exception_fp_denorm_src 0
		.amdhsa_exception_fp_ieee_div_zero 0
		.amdhsa_exception_fp_ieee_overflow 0
		.amdhsa_exception_fp_ieee_underflow 0
		.amdhsa_exception_fp_ieee_inexact 0
		.amdhsa_exception_int_div_zero 0
	.end_amdhsa_kernel
	.section	.text._ZN7rocprim17ROCPRIM_400000_NS6detail17trampoline_kernelINS0_14default_configENS1_27scan_by_key_config_selectorIj11FixedVectorIiLj4EEEEZZNS1_16scan_by_key_implILNS1_25lookback_scan_determinismE0ELb0ES3_N6thrust23THRUST_200600_302600_NS6detail15normal_iteratorINSB_10device_ptrIjEEEENSD_INSE_IS6_EEEESI_S6_NSB_4plusIvEENSB_8equal_toIvEES6_EE10hipError_tPvRmT2_T3_T4_T5_mT6_T7_P12ihipStream_tbENKUlT_T0_E_clISt17integral_constantIbLb0EES12_IbLb1EEEEDaSY_SZ_EUlSY_E_NS1_11comp_targetILNS1_3genE5ELNS1_11target_archE942ELNS1_3gpuE9ELNS1_3repE0EEENS1_30default_config_static_selectorELNS0_4arch9wavefront6targetE0EEEvT1_,"axG",@progbits,_ZN7rocprim17ROCPRIM_400000_NS6detail17trampoline_kernelINS0_14default_configENS1_27scan_by_key_config_selectorIj11FixedVectorIiLj4EEEEZZNS1_16scan_by_key_implILNS1_25lookback_scan_determinismE0ELb0ES3_N6thrust23THRUST_200600_302600_NS6detail15normal_iteratorINSB_10device_ptrIjEEEENSD_INSE_IS6_EEEESI_S6_NSB_4plusIvEENSB_8equal_toIvEES6_EE10hipError_tPvRmT2_T3_T4_T5_mT6_T7_P12ihipStream_tbENKUlT_T0_E_clISt17integral_constantIbLb0EES12_IbLb1EEEEDaSY_SZ_EUlSY_E_NS1_11comp_targetILNS1_3genE5ELNS1_11target_archE942ELNS1_3gpuE9ELNS1_3repE0EEENS1_30default_config_static_selectorELNS0_4arch9wavefront6targetE0EEEvT1_,comdat
.Lfunc_end2068:
	.size	_ZN7rocprim17ROCPRIM_400000_NS6detail17trampoline_kernelINS0_14default_configENS1_27scan_by_key_config_selectorIj11FixedVectorIiLj4EEEEZZNS1_16scan_by_key_implILNS1_25lookback_scan_determinismE0ELb0ES3_N6thrust23THRUST_200600_302600_NS6detail15normal_iteratorINSB_10device_ptrIjEEEENSD_INSE_IS6_EEEESI_S6_NSB_4plusIvEENSB_8equal_toIvEES6_EE10hipError_tPvRmT2_T3_T4_T5_mT6_T7_P12ihipStream_tbENKUlT_T0_E_clISt17integral_constantIbLb0EES12_IbLb1EEEEDaSY_SZ_EUlSY_E_NS1_11comp_targetILNS1_3genE5ELNS1_11target_archE942ELNS1_3gpuE9ELNS1_3repE0EEENS1_30default_config_static_selectorELNS0_4arch9wavefront6targetE0EEEvT1_, .Lfunc_end2068-_ZN7rocprim17ROCPRIM_400000_NS6detail17trampoline_kernelINS0_14default_configENS1_27scan_by_key_config_selectorIj11FixedVectorIiLj4EEEEZZNS1_16scan_by_key_implILNS1_25lookback_scan_determinismE0ELb0ES3_N6thrust23THRUST_200600_302600_NS6detail15normal_iteratorINSB_10device_ptrIjEEEENSD_INSE_IS6_EEEESI_S6_NSB_4plusIvEENSB_8equal_toIvEES6_EE10hipError_tPvRmT2_T3_T4_T5_mT6_T7_P12ihipStream_tbENKUlT_T0_E_clISt17integral_constantIbLb0EES12_IbLb1EEEEDaSY_SZ_EUlSY_E_NS1_11comp_targetILNS1_3genE5ELNS1_11target_archE942ELNS1_3gpuE9ELNS1_3repE0EEENS1_30default_config_static_selectorELNS0_4arch9wavefront6targetE0EEEvT1_
                                        ; -- End function
	.set _ZN7rocprim17ROCPRIM_400000_NS6detail17trampoline_kernelINS0_14default_configENS1_27scan_by_key_config_selectorIj11FixedVectorIiLj4EEEEZZNS1_16scan_by_key_implILNS1_25lookback_scan_determinismE0ELb0ES3_N6thrust23THRUST_200600_302600_NS6detail15normal_iteratorINSB_10device_ptrIjEEEENSD_INSE_IS6_EEEESI_S6_NSB_4plusIvEENSB_8equal_toIvEES6_EE10hipError_tPvRmT2_T3_T4_T5_mT6_T7_P12ihipStream_tbENKUlT_T0_E_clISt17integral_constantIbLb0EES12_IbLb1EEEEDaSY_SZ_EUlSY_E_NS1_11comp_targetILNS1_3genE5ELNS1_11target_archE942ELNS1_3gpuE9ELNS1_3repE0EEENS1_30default_config_static_selectorELNS0_4arch9wavefront6targetE0EEEvT1_.num_vgpr, 0
	.set _ZN7rocprim17ROCPRIM_400000_NS6detail17trampoline_kernelINS0_14default_configENS1_27scan_by_key_config_selectorIj11FixedVectorIiLj4EEEEZZNS1_16scan_by_key_implILNS1_25lookback_scan_determinismE0ELb0ES3_N6thrust23THRUST_200600_302600_NS6detail15normal_iteratorINSB_10device_ptrIjEEEENSD_INSE_IS6_EEEESI_S6_NSB_4plusIvEENSB_8equal_toIvEES6_EE10hipError_tPvRmT2_T3_T4_T5_mT6_T7_P12ihipStream_tbENKUlT_T0_E_clISt17integral_constantIbLb0EES12_IbLb1EEEEDaSY_SZ_EUlSY_E_NS1_11comp_targetILNS1_3genE5ELNS1_11target_archE942ELNS1_3gpuE9ELNS1_3repE0EEENS1_30default_config_static_selectorELNS0_4arch9wavefront6targetE0EEEvT1_.num_agpr, 0
	.set _ZN7rocprim17ROCPRIM_400000_NS6detail17trampoline_kernelINS0_14default_configENS1_27scan_by_key_config_selectorIj11FixedVectorIiLj4EEEEZZNS1_16scan_by_key_implILNS1_25lookback_scan_determinismE0ELb0ES3_N6thrust23THRUST_200600_302600_NS6detail15normal_iteratorINSB_10device_ptrIjEEEENSD_INSE_IS6_EEEESI_S6_NSB_4plusIvEENSB_8equal_toIvEES6_EE10hipError_tPvRmT2_T3_T4_T5_mT6_T7_P12ihipStream_tbENKUlT_T0_E_clISt17integral_constantIbLb0EES12_IbLb1EEEEDaSY_SZ_EUlSY_E_NS1_11comp_targetILNS1_3genE5ELNS1_11target_archE942ELNS1_3gpuE9ELNS1_3repE0EEENS1_30default_config_static_selectorELNS0_4arch9wavefront6targetE0EEEvT1_.numbered_sgpr, 0
	.set _ZN7rocprim17ROCPRIM_400000_NS6detail17trampoline_kernelINS0_14default_configENS1_27scan_by_key_config_selectorIj11FixedVectorIiLj4EEEEZZNS1_16scan_by_key_implILNS1_25lookback_scan_determinismE0ELb0ES3_N6thrust23THRUST_200600_302600_NS6detail15normal_iteratorINSB_10device_ptrIjEEEENSD_INSE_IS6_EEEESI_S6_NSB_4plusIvEENSB_8equal_toIvEES6_EE10hipError_tPvRmT2_T3_T4_T5_mT6_T7_P12ihipStream_tbENKUlT_T0_E_clISt17integral_constantIbLb0EES12_IbLb1EEEEDaSY_SZ_EUlSY_E_NS1_11comp_targetILNS1_3genE5ELNS1_11target_archE942ELNS1_3gpuE9ELNS1_3repE0EEENS1_30default_config_static_selectorELNS0_4arch9wavefront6targetE0EEEvT1_.num_named_barrier, 0
	.set _ZN7rocprim17ROCPRIM_400000_NS6detail17trampoline_kernelINS0_14default_configENS1_27scan_by_key_config_selectorIj11FixedVectorIiLj4EEEEZZNS1_16scan_by_key_implILNS1_25lookback_scan_determinismE0ELb0ES3_N6thrust23THRUST_200600_302600_NS6detail15normal_iteratorINSB_10device_ptrIjEEEENSD_INSE_IS6_EEEESI_S6_NSB_4plusIvEENSB_8equal_toIvEES6_EE10hipError_tPvRmT2_T3_T4_T5_mT6_T7_P12ihipStream_tbENKUlT_T0_E_clISt17integral_constantIbLb0EES12_IbLb1EEEEDaSY_SZ_EUlSY_E_NS1_11comp_targetILNS1_3genE5ELNS1_11target_archE942ELNS1_3gpuE9ELNS1_3repE0EEENS1_30default_config_static_selectorELNS0_4arch9wavefront6targetE0EEEvT1_.private_seg_size, 0
	.set _ZN7rocprim17ROCPRIM_400000_NS6detail17trampoline_kernelINS0_14default_configENS1_27scan_by_key_config_selectorIj11FixedVectorIiLj4EEEEZZNS1_16scan_by_key_implILNS1_25lookback_scan_determinismE0ELb0ES3_N6thrust23THRUST_200600_302600_NS6detail15normal_iteratorINSB_10device_ptrIjEEEENSD_INSE_IS6_EEEESI_S6_NSB_4plusIvEENSB_8equal_toIvEES6_EE10hipError_tPvRmT2_T3_T4_T5_mT6_T7_P12ihipStream_tbENKUlT_T0_E_clISt17integral_constantIbLb0EES12_IbLb1EEEEDaSY_SZ_EUlSY_E_NS1_11comp_targetILNS1_3genE5ELNS1_11target_archE942ELNS1_3gpuE9ELNS1_3repE0EEENS1_30default_config_static_selectorELNS0_4arch9wavefront6targetE0EEEvT1_.uses_vcc, 0
	.set _ZN7rocprim17ROCPRIM_400000_NS6detail17trampoline_kernelINS0_14default_configENS1_27scan_by_key_config_selectorIj11FixedVectorIiLj4EEEEZZNS1_16scan_by_key_implILNS1_25lookback_scan_determinismE0ELb0ES3_N6thrust23THRUST_200600_302600_NS6detail15normal_iteratorINSB_10device_ptrIjEEEENSD_INSE_IS6_EEEESI_S6_NSB_4plusIvEENSB_8equal_toIvEES6_EE10hipError_tPvRmT2_T3_T4_T5_mT6_T7_P12ihipStream_tbENKUlT_T0_E_clISt17integral_constantIbLb0EES12_IbLb1EEEEDaSY_SZ_EUlSY_E_NS1_11comp_targetILNS1_3genE5ELNS1_11target_archE942ELNS1_3gpuE9ELNS1_3repE0EEENS1_30default_config_static_selectorELNS0_4arch9wavefront6targetE0EEEvT1_.uses_flat_scratch, 0
	.set _ZN7rocprim17ROCPRIM_400000_NS6detail17trampoline_kernelINS0_14default_configENS1_27scan_by_key_config_selectorIj11FixedVectorIiLj4EEEEZZNS1_16scan_by_key_implILNS1_25lookback_scan_determinismE0ELb0ES3_N6thrust23THRUST_200600_302600_NS6detail15normal_iteratorINSB_10device_ptrIjEEEENSD_INSE_IS6_EEEESI_S6_NSB_4plusIvEENSB_8equal_toIvEES6_EE10hipError_tPvRmT2_T3_T4_T5_mT6_T7_P12ihipStream_tbENKUlT_T0_E_clISt17integral_constantIbLb0EES12_IbLb1EEEEDaSY_SZ_EUlSY_E_NS1_11comp_targetILNS1_3genE5ELNS1_11target_archE942ELNS1_3gpuE9ELNS1_3repE0EEENS1_30default_config_static_selectorELNS0_4arch9wavefront6targetE0EEEvT1_.has_dyn_sized_stack, 0
	.set _ZN7rocprim17ROCPRIM_400000_NS6detail17trampoline_kernelINS0_14default_configENS1_27scan_by_key_config_selectorIj11FixedVectorIiLj4EEEEZZNS1_16scan_by_key_implILNS1_25lookback_scan_determinismE0ELb0ES3_N6thrust23THRUST_200600_302600_NS6detail15normal_iteratorINSB_10device_ptrIjEEEENSD_INSE_IS6_EEEESI_S6_NSB_4plusIvEENSB_8equal_toIvEES6_EE10hipError_tPvRmT2_T3_T4_T5_mT6_T7_P12ihipStream_tbENKUlT_T0_E_clISt17integral_constantIbLb0EES12_IbLb1EEEEDaSY_SZ_EUlSY_E_NS1_11comp_targetILNS1_3genE5ELNS1_11target_archE942ELNS1_3gpuE9ELNS1_3repE0EEENS1_30default_config_static_selectorELNS0_4arch9wavefront6targetE0EEEvT1_.has_recursion, 0
	.set _ZN7rocprim17ROCPRIM_400000_NS6detail17trampoline_kernelINS0_14default_configENS1_27scan_by_key_config_selectorIj11FixedVectorIiLj4EEEEZZNS1_16scan_by_key_implILNS1_25lookback_scan_determinismE0ELb0ES3_N6thrust23THRUST_200600_302600_NS6detail15normal_iteratorINSB_10device_ptrIjEEEENSD_INSE_IS6_EEEESI_S6_NSB_4plusIvEENSB_8equal_toIvEES6_EE10hipError_tPvRmT2_T3_T4_T5_mT6_T7_P12ihipStream_tbENKUlT_T0_E_clISt17integral_constantIbLb0EES12_IbLb1EEEEDaSY_SZ_EUlSY_E_NS1_11comp_targetILNS1_3genE5ELNS1_11target_archE942ELNS1_3gpuE9ELNS1_3repE0EEENS1_30default_config_static_selectorELNS0_4arch9wavefront6targetE0EEEvT1_.has_indirect_call, 0
	.section	.AMDGPU.csdata,"",@progbits
; Kernel info:
; codeLenInByte = 0
; TotalNumSgprs: 0
; NumVgprs: 0
; ScratchSize: 0
; MemoryBound: 0
; FloatMode: 240
; IeeeMode: 1
; LDSByteSize: 0 bytes/workgroup (compile time only)
; SGPRBlocks: 0
; VGPRBlocks: 0
; NumSGPRsForWavesPerEU: 1
; NumVGPRsForWavesPerEU: 1
; Occupancy: 16
; WaveLimiterHint : 0
; COMPUTE_PGM_RSRC2:SCRATCH_EN: 0
; COMPUTE_PGM_RSRC2:USER_SGPR: 6
; COMPUTE_PGM_RSRC2:TRAP_HANDLER: 0
; COMPUTE_PGM_RSRC2:TGID_X_EN: 1
; COMPUTE_PGM_RSRC2:TGID_Y_EN: 0
; COMPUTE_PGM_RSRC2:TGID_Z_EN: 0
; COMPUTE_PGM_RSRC2:TIDIG_COMP_CNT: 0
	.section	.text._ZN7rocprim17ROCPRIM_400000_NS6detail17trampoline_kernelINS0_14default_configENS1_27scan_by_key_config_selectorIj11FixedVectorIiLj4EEEEZZNS1_16scan_by_key_implILNS1_25lookback_scan_determinismE0ELb0ES3_N6thrust23THRUST_200600_302600_NS6detail15normal_iteratorINSB_10device_ptrIjEEEENSD_INSE_IS6_EEEESI_S6_NSB_4plusIvEENSB_8equal_toIvEES6_EE10hipError_tPvRmT2_T3_T4_T5_mT6_T7_P12ihipStream_tbENKUlT_T0_E_clISt17integral_constantIbLb0EES12_IbLb1EEEEDaSY_SZ_EUlSY_E_NS1_11comp_targetILNS1_3genE4ELNS1_11target_archE910ELNS1_3gpuE8ELNS1_3repE0EEENS1_30default_config_static_selectorELNS0_4arch9wavefront6targetE0EEEvT1_,"axG",@progbits,_ZN7rocprim17ROCPRIM_400000_NS6detail17trampoline_kernelINS0_14default_configENS1_27scan_by_key_config_selectorIj11FixedVectorIiLj4EEEEZZNS1_16scan_by_key_implILNS1_25lookback_scan_determinismE0ELb0ES3_N6thrust23THRUST_200600_302600_NS6detail15normal_iteratorINSB_10device_ptrIjEEEENSD_INSE_IS6_EEEESI_S6_NSB_4plusIvEENSB_8equal_toIvEES6_EE10hipError_tPvRmT2_T3_T4_T5_mT6_T7_P12ihipStream_tbENKUlT_T0_E_clISt17integral_constantIbLb0EES12_IbLb1EEEEDaSY_SZ_EUlSY_E_NS1_11comp_targetILNS1_3genE4ELNS1_11target_archE910ELNS1_3gpuE8ELNS1_3repE0EEENS1_30default_config_static_selectorELNS0_4arch9wavefront6targetE0EEEvT1_,comdat
	.protected	_ZN7rocprim17ROCPRIM_400000_NS6detail17trampoline_kernelINS0_14default_configENS1_27scan_by_key_config_selectorIj11FixedVectorIiLj4EEEEZZNS1_16scan_by_key_implILNS1_25lookback_scan_determinismE0ELb0ES3_N6thrust23THRUST_200600_302600_NS6detail15normal_iteratorINSB_10device_ptrIjEEEENSD_INSE_IS6_EEEESI_S6_NSB_4plusIvEENSB_8equal_toIvEES6_EE10hipError_tPvRmT2_T3_T4_T5_mT6_T7_P12ihipStream_tbENKUlT_T0_E_clISt17integral_constantIbLb0EES12_IbLb1EEEEDaSY_SZ_EUlSY_E_NS1_11comp_targetILNS1_3genE4ELNS1_11target_archE910ELNS1_3gpuE8ELNS1_3repE0EEENS1_30default_config_static_selectorELNS0_4arch9wavefront6targetE0EEEvT1_ ; -- Begin function _ZN7rocprim17ROCPRIM_400000_NS6detail17trampoline_kernelINS0_14default_configENS1_27scan_by_key_config_selectorIj11FixedVectorIiLj4EEEEZZNS1_16scan_by_key_implILNS1_25lookback_scan_determinismE0ELb0ES3_N6thrust23THRUST_200600_302600_NS6detail15normal_iteratorINSB_10device_ptrIjEEEENSD_INSE_IS6_EEEESI_S6_NSB_4plusIvEENSB_8equal_toIvEES6_EE10hipError_tPvRmT2_T3_T4_T5_mT6_T7_P12ihipStream_tbENKUlT_T0_E_clISt17integral_constantIbLb0EES12_IbLb1EEEEDaSY_SZ_EUlSY_E_NS1_11comp_targetILNS1_3genE4ELNS1_11target_archE910ELNS1_3gpuE8ELNS1_3repE0EEENS1_30default_config_static_selectorELNS0_4arch9wavefront6targetE0EEEvT1_
	.globl	_ZN7rocprim17ROCPRIM_400000_NS6detail17trampoline_kernelINS0_14default_configENS1_27scan_by_key_config_selectorIj11FixedVectorIiLj4EEEEZZNS1_16scan_by_key_implILNS1_25lookback_scan_determinismE0ELb0ES3_N6thrust23THRUST_200600_302600_NS6detail15normal_iteratorINSB_10device_ptrIjEEEENSD_INSE_IS6_EEEESI_S6_NSB_4plusIvEENSB_8equal_toIvEES6_EE10hipError_tPvRmT2_T3_T4_T5_mT6_T7_P12ihipStream_tbENKUlT_T0_E_clISt17integral_constantIbLb0EES12_IbLb1EEEEDaSY_SZ_EUlSY_E_NS1_11comp_targetILNS1_3genE4ELNS1_11target_archE910ELNS1_3gpuE8ELNS1_3repE0EEENS1_30default_config_static_selectorELNS0_4arch9wavefront6targetE0EEEvT1_
	.p2align	8
	.type	_ZN7rocprim17ROCPRIM_400000_NS6detail17trampoline_kernelINS0_14default_configENS1_27scan_by_key_config_selectorIj11FixedVectorIiLj4EEEEZZNS1_16scan_by_key_implILNS1_25lookback_scan_determinismE0ELb0ES3_N6thrust23THRUST_200600_302600_NS6detail15normal_iteratorINSB_10device_ptrIjEEEENSD_INSE_IS6_EEEESI_S6_NSB_4plusIvEENSB_8equal_toIvEES6_EE10hipError_tPvRmT2_T3_T4_T5_mT6_T7_P12ihipStream_tbENKUlT_T0_E_clISt17integral_constantIbLb0EES12_IbLb1EEEEDaSY_SZ_EUlSY_E_NS1_11comp_targetILNS1_3genE4ELNS1_11target_archE910ELNS1_3gpuE8ELNS1_3repE0EEENS1_30default_config_static_selectorELNS0_4arch9wavefront6targetE0EEEvT1_,@function
_ZN7rocprim17ROCPRIM_400000_NS6detail17trampoline_kernelINS0_14default_configENS1_27scan_by_key_config_selectorIj11FixedVectorIiLj4EEEEZZNS1_16scan_by_key_implILNS1_25lookback_scan_determinismE0ELb0ES3_N6thrust23THRUST_200600_302600_NS6detail15normal_iteratorINSB_10device_ptrIjEEEENSD_INSE_IS6_EEEESI_S6_NSB_4plusIvEENSB_8equal_toIvEES6_EE10hipError_tPvRmT2_T3_T4_T5_mT6_T7_P12ihipStream_tbENKUlT_T0_E_clISt17integral_constantIbLb0EES12_IbLb1EEEEDaSY_SZ_EUlSY_E_NS1_11comp_targetILNS1_3genE4ELNS1_11target_archE910ELNS1_3gpuE8ELNS1_3repE0EEENS1_30default_config_static_selectorELNS0_4arch9wavefront6targetE0EEEvT1_: ; @_ZN7rocprim17ROCPRIM_400000_NS6detail17trampoline_kernelINS0_14default_configENS1_27scan_by_key_config_selectorIj11FixedVectorIiLj4EEEEZZNS1_16scan_by_key_implILNS1_25lookback_scan_determinismE0ELb0ES3_N6thrust23THRUST_200600_302600_NS6detail15normal_iteratorINSB_10device_ptrIjEEEENSD_INSE_IS6_EEEESI_S6_NSB_4plusIvEENSB_8equal_toIvEES6_EE10hipError_tPvRmT2_T3_T4_T5_mT6_T7_P12ihipStream_tbENKUlT_T0_E_clISt17integral_constantIbLb0EES12_IbLb1EEEEDaSY_SZ_EUlSY_E_NS1_11comp_targetILNS1_3genE4ELNS1_11target_archE910ELNS1_3gpuE8ELNS1_3repE0EEENS1_30default_config_static_selectorELNS0_4arch9wavefront6targetE0EEEvT1_
; %bb.0:
	.section	.rodata,"a",@progbits
	.p2align	6, 0x0
	.amdhsa_kernel _ZN7rocprim17ROCPRIM_400000_NS6detail17trampoline_kernelINS0_14default_configENS1_27scan_by_key_config_selectorIj11FixedVectorIiLj4EEEEZZNS1_16scan_by_key_implILNS1_25lookback_scan_determinismE0ELb0ES3_N6thrust23THRUST_200600_302600_NS6detail15normal_iteratorINSB_10device_ptrIjEEEENSD_INSE_IS6_EEEESI_S6_NSB_4plusIvEENSB_8equal_toIvEES6_EE10hipError_tPvRmT2_T3_T4_T5_mT6_T7_P12ihipStream_tbENKUlT_T0_E_clISt17integral_constantIbLb0EES12_IbLb1EEEEDaSY_SZ_EUlSY_E_NS1_11comp_targetILNS1_3genE4ELNS1_11target_archE910ELNS1_3gpuE8ELNS1_3repE0EEENS1_30default_config_static_selectorELNS0_4arch9wavefront6targetE0EEEvT1_
		.amdhsa_group_segment_fixed_size 0
		.amdhsa_private_segment_fixed_size 0
		.amdhsa_kernarg_size 144
		.amdhsa_user_sgpr_count 6
		.amdhsa_user_sgpr_private_segment_buffer 1
		.amdhsa_user_sgpr_dispatch_ptr 0
		.amdhsa_user_sgpr_queue_ptr 0
		.amdhsa_user_sgpr_kernarg_segment_ptr 1
		.amdhsa_user_sgpr_dispatch_id 0
		.amdhsa_user_sgpr_flat_scratch_init 0
		.amdhsa_user_sgpr_private_segment_size 0
		.amdhsa_wavefront_size32 1
		.amdhsa_uses_dynamic_stack 0
		.amdhsa_system_sgpr_private_segment_wavefront_offset 0
		.amdhsa_system_sgpr_workgroup_id_x 1
		.amdhsa_system_sgpr_workgroup_id_y 0
		.amdhsa_system_sgpr_workgroup_id_z 0
		.amdhsa_system_sgpr_workgroup_info 0
		.amdhsa_system_vgpr_workitem_id 0
		.amdhsa_next_free_vgpr 1
		.amdhsa_next_free_sgpr 1
		.amdhsa_reserve_vcc 0
		.amdhsa_reserve_flat_scratch 0
		.amdhsa_float_round_mode_32 0
		.amdhsa_float_round_mode_16_64 0
		.amdhsa_float_denorm_mode_32 3
		.amdhsa_float_denorm_mode_16_64 3
		.amdhsa_dx10_clamp 1
		.amdhsa_ieee_mode 1
		.amdhsa_fp16_overflow 0
		.amdhsa_workgroup_processor_mode 1
		.amdhsa_memory_ordered 1
		.amdhsa_forward_progress 1
		.amdhsa_shared_vgpr_count 0
		.amdhsa_exception_fp_ieee_invalid_op 0
		.amdhsa_exception_fp_denorm_src 0
		.amdhsa_exception_fp_ieee_div_zero 0
		.amdhsa_exception_fp_ieee_overflow 0
		.amdhsa_exception_fp_ieee_underflow 0
		.amdhsa_exception_fp_ieee_inexact 0
		.amdhsa_exception_int_div_zero 0
	.end_amdhsa_kernel
	.section	.text._ZN7rocprim17ROCPRIM_400000_NS6detail17trampoline_kernelINS0_14default_configENS1_27scan_by_key_config_selectorIj11FixedVectorIiLj4EEEEZZNS1_16scan_by_key_implILNS1_25lookback_scan_determinismE0ELb0ES3_N6thrust23THRUST_200600_302600_NS6detail15normal_iteratorINSB_10device_ptrIjEEEENSD_INSE_IS6_EEEESI_S6_NSB_4plusIvEENSB_8equal_toIvEES6_EE10hipError_tPvRmT2_T3_T4_T5_mT6_T7_P12ihipStream_tbENKUlT_T0_E_clISt17integral_constantIbLb0EES12_IbLb1EEEEDaSY_SZ_EUlSY_E_NS1_11comp_targetILNS1_3genE4ELNS1_11target_archE910ELNS1_3gpuE8ELNS1_3repE0EEENS1_30default_config_static_selectorELNS0_4arch9wavefront6targetE0EEEvT1_,"axG",@progbits,_ZN7rocprim17ROCPRIM_400000_NS6detail17trampoline_kernelINS0_14default_configENS1_27scan_by_key_config_selectorIj11FixedVectorIiLj4EEEEZZNS1_16scan_by_key_implILNS1_25lookback_scan_determinismE0ELb0ES3_N6thrust23THRUST_200600_302600_NS6detail15normal_iteratorINSB_10device_ptrIjEEEENSD_INSE_IS6_EEEESI_S6_NSB_4plusIvEENSB_8equal_toIvEES6_EE10hipError_tPvRmT2_T3_T4_T5_mT6_T7_P12ihipStream_tbENKUlT_T0_E_clISt17integral_constantIbLb0EES12_IbLb1EEEEDaSY_SZ_EUlSY_E_NS1_11comp_targetILNS1_3genE4ELNS1_11target_archE910ELNS1_3gpuE8ELNS1_3repE0EEENS1_30default_config_static_selectorELNS0_4arch9wavefront6targetE0EEEvT1_,comdat
.Lfunc_end2069:
	.size	_ZN7rocprim17ROCPRIM_400000_NS6detail17trampoline_kernelINS0_14default_configENS1_27scan_by_key_config_selectorIj11FixedVectorIiLj4EEEEZZNS1_16scan_by_key_implILNS1_25lookback_scan_determinismE0ELb0ES3_N6thrust23THRUST_200600_302600_NS6detail15normal_iteratorINSB_10device_ptrIjEEEENSD_INSE_IS6_EEEESI_S6_NSB_4plusIvEENSB_8equal_toIvEES6_EE10hipError_tPvRmT2_T3_T4_T5_mT6_T7_P12ihipStream_tbENKUlT_T0_E_clISt17integral_constantIbLb0EES12_IbLb1EEEEDaSY_SZ_EUlSY_E_NS1_11comp_targetILNS1_3genE4ELNS1_11target_archE910ELNS1_3gpuE8ELNS1_3repE0EEENS1_30default_config_static_selectorELNS0_4arch9wavefront6targetE0EEEvT1_, .Lfunc_end2069-_ZN7rocprim17ROCPRIM_400000_NS6detail17trampoline_kernelINS0_14default_configENS1_27scan_by_key_config_selectorIj11FixedVectorIiLj4EEEEZZNS1_16scan_by_key_implILNS1_25lookback_scan_determinismE0ELb0ES3_N6thrust23THRUST_200600_302600_NS6detail15normal_iteratorINSB_10device_ptrIjEEEENSD_INSE_IS6_EEEESI_S6_NSB_4plusIvEENSB_8equal_toIvEES6_EE10hipError_tPvRmT2_T3_T4_T5_mT6_T7_P12ihipStream_tbENKUlT_T0_E_clISt17integral_constantIbLb0EES12_IbLb1EEEEDaSY_SZ_EUlSY_E_NS1_11comp_targetILNS1_3genE4ELNS1_11target_archE910ELNS1_3gpuE8ELNS1_3repE0EEENS1_30default_config_static_selectorELNS0_4arch9wavefront6targetE0EEEvT1_
                                        ; -- End function
	.set _ZN7rocprim17ROCPRIM_400000_NS6detail17trampoline_kernelINS0_14default_configENS1_27scan_by_key_config_selectorIj11FixedVectorIiLj4EEEEZZNS1_16scan_by_key_implILNS1_25lookback_scan_determinismE0ELb0ES3_N6thrust23THRUST_200600_302600_NS6detail15normal_iteratorINSB_10device_ptrIjEEEENSD_INSE_IS6_EEEESI_S6_NSB_4plusIvEENSB_8equal_toIvEES6_EE10hipError_tPvRmT2_T3_T4_T5_mT6_T7_P12ihipStream_tbENKUlT_T0_E_clISt17integral_constantIbLb0EES12_IbLb1EEEEDaSY_SZ_EUlSY_E_NS1_11comp_targetILNS1_3genE4ELNS1_11target_archE910ELNS1_3gpuE8ELNS1_3repE0EEENS1_30default_config_static_selectorELNS0_4arch9wavefront6targetE0EEEvT1_.num_vgpr, 0
	.set _ZN7rocprim17ROCPRIM_400000_NS6detail17trampoline_kernelINS0_14default_configENS1_27scan_by_key_config_selectorIj11FixedVectorIiLj4EEEEZZNS1_16scan_by_key_implILNS1_25lookback_scan_determinismE0ELb0ES3_N6thrust23THRUST_200600_302600_NS6detail15normal_iteratorINSB_10device_ptrIjEEEENSD_INSE_IS6_EEEESI_S6_NSB_4plusIvEENSB_8equal_toIvEES6_EE10hipError_tPvRmT2_T3_T4_T5_mT6_T7_P12ihipStream_tbENKUlT_T0_E_clISt17integral_constantIbLb0EES12_IbLb1EEEEDaSY_SZ_EUlSY_E_NS1_11comp_targetILNS1_3genE4ELNS1_11target_archE910ELNS1_3gpuE8ELNS1_3repE0EEENS1_30default_config_static_selectorELNS0_4arch9wavefront6targetE0EEEvT1_.num_agpr, 0
	.set _ZN7rocprim17ROCPRIM_400000_NS6detail17trampoline_kernelINS0_14default_configENS1_27scan_by_key_config_selectorIj11FixedVectorIiLj4EEEEZZNS1_16scan_by_key_implILNS1_25lookback_scan_determinismE0ELb0ES3_N6thrust23THRUST_200600_302600_NS6detail15normal_iteratorINSB_10device_ptrIjEEEENSD_INSE_IS6_EEEESI_S6_NSB_4plusIvEENSB_8equal_toIvEES6_EE10hipError_tPvRmT2_T3_T4_T5_mT6_T7_P12ihipStream_tbENKUlT_T0_E_clISt17integral_constantIbLb0EES12_IbLb1EEEEDaSY_SZ_EUlSY_E_NS1_11comp_targetILNS1_3genE4ELNS1_11target_archE910ELNS1_3gpuE8ELNS1_3repE0EEENS1_30default_config_static_selectorELNS0_4arch9wavefront6targetE0EEEvT1_.numbered_sgpr, 0
	.set _ZN7rocprim17ROCPRIM_400000_NS6detail17trampoline_kernelINS0_14default_configENS1_27scan_by_key_config_selectorIj11FixedVectorIiLj4EEEEZZNS1_16scan_by_key_implILNS1_25lookback_scan_determinismE0ELb0ES3_N6thrust23THRUST_200600_302600_NS6detail15normal_iteratorINSB_10device_ptrIjEEEENSD_INSE_IS6_EEEESI_S6_NSB_4plusIvEENSB_8equal_toIvEES6_EE10hipError_tPvRmT2_T3_T4_T5_mT6_T7_P12ihipStream_tbENKUlT_T0_E_clISt17integral_constantIbLb0EES12_IbLb1EEEEDaSY_SZ_EUlSY_E_NS1_11comp_targetILNS1_3genE4ELNS1_11target_archE910ELNS1_3gpuE8ELNS1_3repE0EEENS1_30default_config_static_selectorELNS0_4arch9wavefront6targetE0EEEvT1_.num_named_barrier, 0
	.set _ZN7rocprim17ROCPRIM_400000_NS6detail17trampoline_kernelINS0_14default_configENS1_27scan_by_key_config_selectorIj11FixedVectorIiLj4EEEEZZNS1_16scan_by_key_implILNS1_25lookback_scan_determinismE0ELb0ES3_N6thrust23THRUST_200600_302600_NS6detail15normal_iteratorINSB_10device_ptrIjEEEENSD_INSE_IS6_EEEESI_S6_NSB_4plusIvEENSB_8equal_toIvEES6_EE10hipError_tPvRmT2_T3_T4_T5_mT6_T7_P12ihipStream_tbENKUlT_T0_E_clISt17integral_constantIbLb0EES12_IbLb1EEEEDaSY_SZ_EUlSY_E_NS1_11comp_targetILNS1_3genE4ELNS1_11target_archE910ELNS1_3gpuE8ELNS1_3repE0EEENS1_30default_config_static_selectorELNS0_4arch9wavefront6targetE0EEEvT1_.private_seg_size, 0
	.set _ZN7rocprim17ROCPRIM_400000_NS6detail17trampoline_kernelINS0_14default_configENS1_27scan_by_key_config_selectorIj11FixedVectorIiLj4EEEEZZNS1_16scan_by_key_implILNS1_25lookback_scan_determinismE0ELb0ES3_N6thrust23THRUST_200600_302600_NS6detail15normal_iteratorINSB_10device_ptrIjEEEENSD_INSE_IS6_EEEESI_S6_NSB_4plusIvEENSB_8equal_toIvEES6_EE10hipError_tPvRmT2_T3_T4_T5_mT6_T7_P12ihipStream_tbENKUlT_T0_E_clISt17integral_constantIbLb0EES12_IbLb1EEEEDaSY_SZ_EUlSY_E_NS1_11comp_targetILNS1_3genE4ELNS1_11target_archE910ELNS1_3gpuE8ELNS1_3repE0EEENS1_30default_config_static_selectorELNS0_4arch9wavefront6targetE0EEEvT1_.uses_vcc, 0
	.set _ZN7rocprim17ROCPRIM_400000_NS6detail17trampoline_kernelINS0_14default_configENS1_27scan_by_key_config_selectorIj11FixedVectorIiLj4EEEEZZNS1_16scan_by_key_implILNS1_25lookback_scan_determinismE0ELb0ES3_N6thrust23THRUST_200600_302600_NS6detail15normal_iteratorINSB_10device_ptrIjEEEENSD_INSE_IS6_EEEESI_S6_NSB_4plusIvEENSB_8equal_toIvEES6_EE10hipError_tPvRmT2_T3_T4_T5_mT6_T7_P12ihipStream_tbENKUlT_T0_E_clISt17integral_constantIbLb0EES12_IbLb1EEEEDaSY_SZ_EUlSY_E_NS1_11comp_targetILNS1_3genE4ELNS1_11target_archE910ELNS1_3gpuE8ELNS1_3repE0EEENS1_30default_config_static_selectorELNS0_4arch9wavefront6targetE0EEEvT1_.uses_flat_scratch, 0
	.set _ZN7rocprim17ROCPRIM_400000_NS6detail17trampoline_kernelINS0_14default_configENS1_27scan_by_key_config_selectorIj11FixedVectorIiLj4EEEEZZNS1_16scan_by_key_implILNS1_25lookback_scan_determinismE0ELb0ES3_N6thrust23THRUST_200600_302600_NS6detail15normal_iteratorINSB_10device_ptrIjEEEENSD_INSE_IS6_EEEESI_S6_NSB_4plusIvEENSB_8equal_toIvEES6_EE10hipError_tPvRmT2_T3_T4_T5_mT6_T7_P12ihipStream_tbENKUlT_T0_E_clISt17integral_constantIbLb0EES12_IbLb1EEEEDaSY_SZ_EUlSY_E_NS1_11comp_targetILNS1_3genE4ELNS1_11target_archE910ELNS1_3gpuE8ELNS1_3repE0EEENS1_30default_config_static_selectorELNS0_4arch9wavefront6targetE0EEEvT1_.has_dyn_sized_stack, 0
	.set _ZN7rocprim17ROCPRIM_400000_NS6detail17trampoline_kernelINS0_14default_configENS1_27scan_by_key_config_selectorIj11FixedVectorIiLj4EEEEZZNS1_16scan_by_key_implILNS1_25lookback_scan_determinismE0ELb0ES3_N6thrust23THRUST_200600_302600_NS6detail15normal_iteratorINSB_10device_ptrIjEEEENSD_INSE_IS6_EEEESI_S6_NSB_4plusIvEENSB_8equal_toIvEES6_EE10hipError_tPvRmT2_T3_T4_T5_mT6_T7_P12ihipStream_tbENKUlT_T0_E_clISt17integral_constantIbLb0EES12_IbLb1EEEEDaSY_SZ_EUlSY_E_NS1_11comp_targetILNS1_3genE4ELNS1_11target_archE910ELNS1_3gpuE8ELNS1_3repE0EEENS1_30default_config_static_selectorELNS0_4arch9wavefront6targetE0EEEvT1_.has_recursion, 0
	.set _ZN7rocprim17ROCPRIM_400000_NS6detail17trampoline_kernelINS0_14default_configENS1_27scan_by_key_config_selectorIj11FixedVectorIiLj4EEEEZZNS1_16scan_by_key_implILNS1_25lookback_scan_determinismE0ELb0ES3_N6thrust23THRUST_200600_302600_NS6detail15normal_iteratorINSB_10device_ptrIjEEEENSD_INSE_IS6_EEEESI_S6_NSB_4plusIvEENSB_8equal_toIvEES6_EE10hipError_tPvRmT2_T3_T4_T5_mT6_T7_P12ihipStream_tbENKUlT_T0_E_clISt17integral_constantIbLb0EES12_IbLb1EEEEDaSY_SZ_EUlSY_E_NS1_11comp_targetILNS1_3genE4ELNS1_11target_archE910ELNS1_3gpuE8ELNS1_3repE0EEENS1_30default_config_static_selectorELNS0_4arch9wavefront6targetE0EEEvT1_.has_indirect_call, 0
	.section	.AMDGPU.csdata,"",@progbits
; Kernel info:
; codeLenInByte = 0
; TotalNumSgprs: 0
; NumVgprs: 0
; ScratchSize: 0
; MemoryBound: 0
; FloatMode: 240
; IeeeMode: 1
; LDSByteSize: 0 bytes/workgroup (compile time only)
; SGPRBlocks: 0
; VGPRBlocks: 0
; NumSGPRsForWavesPerEU: 1
; NumVGPRsForWavesPerEU: 1
; Occupancy: 16
; WaveLimiterHint : 0
; COMPUTE_PGM_RSRC2:SCRATCH_EN: 0
; COMPUTE_PGM_RSRC2:USER_SGPR: 6
; COMPUTE_PGM_RSRC2:TRAP_HANDLER: 0
; COMPUTE_PGM_RSRC2:TGID_X_EN: 1
; COMPUTE_PGM_RSRC2:TGID_Y_EN: 0
; COMPUTE_PGM_RSRC2:TGID_Z_EN: 0
; COMPUTE_PGM_RSRC2:TIDIG_COMP_CNT: 0
	.section	.text._ZN7rocprim17ROCPRIM_400000_NS6detail17trampoline_kernelINS0_14default_configENS1_27scan_by_key_config_selectorIj11FixedVectorIiLj4EEEEZZNS1_16scan_by_key_implILNS1_25lookback_scan_determinismE0ELb0ES3_N6thrust23THRUST_200600_302600_NS6detail15normal_iteratorINSB_10device_ptrIjEEEENSD_INSE_IS6_EEEESI_S6_NSB_4plusIvEENSB_8equal_toIvEES6_EE10hipError_tPvRmT2_T3_T4_T5_mT6_T7_P12ihipStream_tbENKUlT_T0_E_clISt17integral_constantIbLb0EES12_IbLb1EEEEDaSY_SZ_EUlSY_E_NS1_11comp_targetILNS1_3genE3ELNS1_11target_archE908ELNS1_3gpuE7ELNS1_3repE0EEENS1_30default_config_static_selectorELNS0_4arch9wavefront6targetE0EEEvT1_,"axG",@progbits,_ZN7rocprim17ROCPRIM_400000_NS6detail17trampoline_kernelINS0_14default_configENS1_27scan_by_key_config_selectorIj11FixedVectorIiLj4EEEEZZNS1_16scan_by_key_implILNS1_25lookback_scan_determinismE0ELb0ES3_N6thrust23THRUST_200600_302600_NS6detail15normal_iteratorINSB_10device_ptrIjEEEENSD_INSE_IS6_EEEESI_S6_NSB_4plusIvEENSB_8equal_toIvEES6_EE10hipError_tPvRmT2_T3_T4_T5_mT6_T7_P12ihipStream_tbENKUlT_T0_E_clISt17integral_constantIbLb0EES12_IbLb1EEEEDaSY_SZ_EUlSY_E_NS1_11comp_targetILNS1_3genE3ELNS1_11target_archE908ELNS1_3gpuE7ELNS1_3repE0EEENS1_30default_config_static_selectorELNS0_4arch9wavefront6targetE0EEEvT1_,comdat
	.protected	_ZN7rocprim17ROCPRIM_400000_NS6detail17trampoline_kernelINS0_14default_configENS1_27scan_by_key_config_selectorIj11FixedVectorIiLj4EEEEZZNS1_16scan_by_key_implILNS1_25lookback_scan_determinismE0ELb0ES3_N6thrust23THRUST_200600_302600_NS6detail15normal_iteratorINSB_10device_ptrIjEEEENSD_INSE_IS6_EEEESI_S6_NSB_4plusIvEENSB_8equal_toIvEES6_EE10hipError_tPvRmT2_T3_T4_T5_mT6_T7_P12ihipStream_tbENKUlT_T0_E_clISt17integral_constantIbLb0EES12_IbLb1EEEEDaSY_SZ_EUlSY_E_NS1_11comp_targetILNS1_3genE3ELNS1_11target_archE908ELNS1_3gpuE7ELNS1_3repE0EEENS1_30default_config_static_selectorELNS0_4arch9wavefront6targetE0EEEvT1_ ; -- Begin function _ZN7rocprim17ROCPRIM_400000_NS6detail17trampoline_kernelINS0_14default_configENS1_27scan_by_key_config_selectorIj11FixedVectorIiLj4EEEEZZNS1_16scan_by_key_implILNS1_25lookback_scan_determinismE0ELb0ES3_N6thrust23THRUST_200600_302600_NS6detail15normal_iteratorINSB_10device_ptrIjEEEENSD_INSE_IS6_EEEESI_S6_NSB_4plusIvEENSB_8equal_toIvEES6_EE10hipError_tPvRmT2_T3_T4_T5_mT6_T7_P12ihipStream_tbENKUlT_T0_E_clISt17integral_constantIbLb0EES12_IbLb1EEEEDaSY_SZ_EUlSY_E_NS1_11comp_targetILNS1_3genE3ELNS1_11target_archE908ELNS1_3gpuE7ELNS1_3repE0EEENS1_30default_config_static_selectorELNS0_4arch9wavefront6targetE0EEEvT1_
	.globl	_ZN7rocprim17ROCPRIM_400000_NS6detail17trampoline_kernelINS0_14default_configENS1_27scan_by_key_config_selectorIj11FixedVectorIiLj4EEEEZZNS1_16scan_by_key_implILNS1_25lookback_scan_determinismE0ELb0ES3_N6thrust23THRUST_200600_302600_NS6detail15normal_iteratorINSB_10device_ptrIjEEEENSD_INSE_IS6_EEEESI_S6_NSB_4plusIvEENSB_8equal_toIvEES6_EE10hipError_tPvRmT2_T3_T4_T5_mT6_T7_P12ihipStream_tbENKUlT_T0_E_clISt17integral_constantIbLb0EES12_IbLb1EEEEDaSY_SZ_EUlSY_E_NS1_11comp_targetILNS1_3genE3ELNS1_11target_archE908ELNS1_3gpuE7ELNS1_3repE0EEENS1_30default_config_static_selectorELNS0_4arch9wavefront6targetE0EEEvT1_
	.p2align	8
	.type	_ZN7rocprim17ROCPRIM_400000_NS6detail17trampoline_kernelINS0_14default_configENS1_27scan_by_key_config_selectorIj11FixedVectorIiLj4EEEEZZNS1_16scan_by_key_implILNS1_25lookback_scan_determinismE0ELb0ES3_N6thrust23THRUST_200600_302600_NS6detail15normal_iteratorINSB_10device_ptrIjEEEENSD_INSE_IS6_EEEESI_S6_NSB_4plusIvEENSB_8equal_toIvEES6_EE10hipError_tPvRmT2_T3_T4_T5_mT6_T7_P12ihipStream_tbENKUlT_T0_E_clISt17integral_constantIbLb0EES12_IbLb1EEEEDaSY_SZ_EUlSY_E_NS1_11comp_targetILNS1_3genE3ELNS1_11target_archE908ELNS1_3gpuE7ELNS1_3repE0EEENS1_30default_config_static_selectorELNS0_4arch9wavefront6targetE0EEEvT1_,@function
_ZN7rocprim17ROCPRIM_400000_NS6detail17trampoline_kernelINS0_14default_configENS1_27scan_by_key_config_selectorIj11FixedVectorIiLj4EEEEZZNS1_16scan_by_key_implILNS1_25lookback_scan_determinismE0ELb0ES3_N6thrust23THRUST_200600_302600_NS6detail15normal_iteratorINSB_10device_ptrIjEEEENSD_INSE_IS6_EEEESI_S6_NSB_4plusIvEENSB_8equal_toIvEES6_EE10hipError_tPvRmT2_T3_T4_T5_mT6_T7_P12ihipStream_tbENKUlT_T0_E_clISt17integral_constantIbLb0EES12_IbLb1EEEEDaSY_SZ_EUlSY_E_NS1_11comp_targetILNS1_3genE3ELNS1_11target_archE908ELNS1_3gpuE7ELNS1_3repE0EEENS1_30default_config_static_selectorELNS0_4arch9wavefront6targetE0EEEvT1_: ; @_ZN7rocprim17ROCPRIM_400000_NS6detail17trampoline_kernelINS0_14default_configENS1_27scan_by_key_config_selectorIj11FixedVectorIiLj4EEEEZZNS1_16scan_by_key_implILNS1_25lookback_scan_determinismE0ELb0ES3_N6thrust23THRUST_200600_302600_NS6detail15normal_iteratorINSB_10device_ptrIjEEEENSD_INSE_IS6_EEEESI_S6_NSB_4plusIvEENSB_8equal_toIvEES6_EE10hipError_tPvRmT2_T3_T4_T5_mT6_T7_P12ihipStream_tbENKUlT_T0_E_clISt17integral_constantIbLb0EES12_IbLb1EEEEDaSY_SZ_EUlSY_E_NS1_11comp_targetILNS1_3genE3ELNS1_11target_archE908ELNS1_3gpuE7ELNS1_3repE0EEENS1_30default_config_static_selectorELNS0_4arch9wavefront6targetE0EEEvT1_
; %bb.0:
	.section	.rodata,"a",@progbits
	.p2align	6, 0x0
	.amdhsa_kernel _ZN7rocprim17ROCPRIM_400000_NS6detail17trampoline_kernelINS0_14default_configENS1_27scan_by_key_config_selectorIj11FixedVectorIiLj4EEEEZZNS1_16scan_by_key_implILNS1_25lookback_scan_determinismE0ELb0ES3_N6thrust23THRUST_200600_302600_NS6detail15normal_iteratorINSB_10device_ptrIjEEEENSD_INSE_IS6_EEEESI_S6_NSB_4plusIvEENSB_8equal_toIvEES6_EE10hipError_tPvRmT2_T3_T4_T5_mT6_T7_P12ihipStream_tbENKUlT_T0_E_clISt17integral_constantIbLb0EES12_IbLb1EEEEDaSY_SZ_EUlSY_E_NS1_11comp_targetILNS1_3genE3ELNS1_11target_archE908ELNS1_3gpuE7ELNS1_3repE0EEENS1_30default_config_static_selectorELNS0_4arch9wavefront6targetE0EEEvT1_
		.amdhsa_group_segment_fixed_size 0
		.amdhsa_private_segment_fixed_size 0
		.amdhsa_kernarg_size 144
		.amdhsa_user_sgpr_count 6
		.amdhsa_user_sgpr_private_segment_buffer 1
		.amdhsa_user_sgpr_dispatch_ptr 0
		.amdhsa_user_sgpr_queue_ptr 0
		.amdhsa_user_sgpr_kernarg_segment_ptr 1
		.amdhsa_user_sgpr_dispatch_id 0
		.amdhsa_user_sgpr_flat_scratch_init 0
		.amdhsa_user_sgpr_private_segment_size 0
		.amdhsa_wavefront_size32 1
		.amdhsa_uses_dynamic_stack 0
		.amdhsa_system_sgpr_private_segment_wavefront_offset 0
		.amdhsa_system_sgpr_workgroup_id_x 1
		.amdhsa_system_sgpr_workgroup_id_y 0
		.amdhsa_system_sgpr_workgroup_id_z 0
		.amdhsa_system_sgpr_workgroup_info 0
		.amdhsa_system_vgpr_workitem_id 0
		.amdhsa_next_free_vgpr 1
		.amdhsa_next_free_sgpr 1
		.amdhsa_reserve_vcc 0
		.amdhsa_reserve_flat_scratch 0
		.amdhsa_float_round_mode_32 0
		.amdhsa_float_round_mode_16_64 0
		.amdhsa_float_denorm_mode_32 3
		.amdhsa_float_denorm_mode_16_64 3
		.amdhsa_dx10_clamp 1
		.amdhsa_ieee_mode 1
		.amdhsa_fp16_overflow 0
		.amdhsa_workgroup_processor_mode 1
		.amdhsa_memory_ordered 1
		.amdhsa_forward_progress 1
		.amdhsa_shared_vgpr_count 0
		.amdhsa_exception_fp_ieee_invalid_op 0
		.amdhsa_exception_fp_denorm_src 0
		.amdhsa_exception_fp_ieee_div_zero 0
		.amdhsa_exception_fp_ieee_overflow 0
		.amdhsa_exception_fp_ieee_underflow 0
		.amdhsa_exception_fp_ieee_inexact 0
		.amdhsa_exception_int_div_zero 0
	.end_amdhsa_kernel
	.section	.text._ZN7rocprim17ROCPRIM_400000_NS6detail17trampoline_kernelINS0_14default_configENS1_27scan_by_key_config_selectorIj11FixedVectorIiLj4EEEEZZNS1_16scan_by_key_implILNS1_25lookback_scan_determinismE0ELb0ES3_N6thrust23THRUST_200600_302600_NS6detail15normal_iteratorINSB_10device_ptrIjEEEENSD_INSE_IS6_EEEESI_S6_NSB_4plusIvEENSB_8equal_toIvEES6_EE10hipError_tPvRmT2_T3_T4_T5_mT6_T7_P12ihipStream_tbENKUlT_T0_E_clISt17integral_constantIbLb0EES12_IbLb1EEEEDaSY_SZ_EUlSY_E_NS1_11comp_targetILNS1_3genE3ELNS1_11target_archE908ELNS1_3gpuE7ELNS1_3repE0EEENS1_30default_config_static_selectorELNS0_4arch9wavefront6targetE0EEEvT1_,"axG",@progbits,_ZN7rocprim17ROCPRIM_400000_NS6detail17trampoline_kernelINS0_14default_configENS1_27scan_by_key_config_selectorIj11FixedVectorIiLj4EEEEZZNS1_16scan_by_key_implILNS1_25lookback_scan_determinismE0ELb0ES3_N6thrust23THRUST_200600_302600_NS6detail15normal_iteratorINSB_10device_ptrIjEEEENSD_INSE_IS6_EEEESI_S6_NSB_4plusIvEENSB_8equal_toIvEES6_EE10hipError_tPvRmT2_T3_T4_T5_mT6_T7_P12ihipStream_tbENKUlT_T0_E_clISt17integral_constantIbLb0EES12_IbLb1EEEEDaSY_SZ_EUlSY_E_NS1_11comp_targetILNS1_3genE3ELNS1_11target_archE908ELNS1_3gpuE7ELNS1_3repE0EEENS1_30default_config_static_selectorELNS0_4arch9wavefront6targetE0EEEvT1_,comdat
.Lfunc_end2070:
	.size	_ZN7rocprim17ROCPRIM_400000_NS6detail17trampoline_kernelINS0_14default_configENS1_27scan_by_key_config_selectorIj11FixedVectorIiLj4EEEEZZNS1_16scan_by_key_implILNS1_25lookback_scan_determinismE0ELb0ES3_N6thrust23THRUST_200600_302600_NS6detail15normal_iteratorINSB_10device_ptrIjEEEENSD_INSE_IS6_EEEESI_S6_NSB_4plusIvEENSB_8equal_toIvEES6_EE10hipError_tPvRmT2_T3_T4_T5_mT6_T7_P12ihipStream_tbENKUlT_T0_E_clISt17integral_constantIbLb0EES12_IbLb1EEEEDaSY_SZ_EUlSY_E_NS1_11comp_targetILNS1_3genE3ELNS1_11target_archE908ELNS1_3gpuE7ELNS1_3repE0EEENS1_30default_config_static_selectorELNS0_4arch9wavefront6targetE0EEEvT1_, .Lfunc_end2070-_ZN7rocprim17ROCPRIM_400000_NS6detail17trampoline_kernelINS0_14default_configENS1_27scan_by_key_config_selectorIj11FixedVectorIiLj4EEEEZZNS1_16scan_by_key_implILNS1_25lookback_scan_determinismE0ELb0ES3_N6thrust23THRUST_200600_302600_NS6detail15normal_iteratorINSB_10device_ptrIjEEEENSD_INSE_IS6_EEEESI_S6_NSB_4plusIvEENSB_8equal_toIvEES6_EE10hipError_tPvRmT2_T3_T4_T5_mT6_T7_P12ihipStream_tbENKUlT_T0_E_clISt17integral_constantIbLb0EES12_IbLb1EEEEDaSY_SZ_EUlSY_E_NS1_11comp_targetILNS1_3genE3ELNS1_11target_archE908ELNS1_3gpuE7ELNS1_3repE0EEENS1_30default_config_static_selectorELNS0_4arch9wavefront6targetE0EEEvT1_
                                        ; -- End function
	.set _ZN7rocprim17ROCPRIM_400000_NS6detail17trampoline_kernelINS0_14default_configENS1_27scan_by_key_config_selectorIj11FixedVectorIiLj4EEEEZZNS1_16scan_by_key_implILNS1_25lookback_scan_determinismE0ELb0ES3_N6thrust23THRUST_200600_302600_NS6detail15normal_iteratorINSB_10device_ptrIjEEEENSD_INSE_IS6_EEEESI_S6_NSB_4plusIvEENSB_8equal_toIvEES6_EE10hipError_tPvRmT2_T3_T4_T5_mT6_T7_P12ihipStream_tbENKUlT_T0_E_clISt17integral_constantIbLb0EES12_IbLb1EEEEDaSY_SZ_EUlSY_E_NS1_11comp_targetILNS1_3genE3ELNS1_11target_archE908ELNS1_3gpuE7ELNS1_3repE0EEENS1_30default_config_static_selectorELNS0_4arch9wavefront6targetE0EEEvT1_.num_vgpr, 0
	.set _ZN7rocprim17ROCPRIM_400000_NS6detail17trampoline_kernelINS0_14default_configENS1_27scan_by_key_config_selectorIj11FixedVectorIiLj4EEEEZZNS1_16scan_by_key_implILNS1_25lookback_scan_determinismE0ELb0ES3_N6thrust23THRUST_200600_302600_NS6detail15normal_iteratorINSB_10device_ptrIjEEEENSD_INSE_IS6_EEEESI_S6_NSB_4plusIvEENSB_8equal_toIvEES6_EE10hipError_tPvRmT2_T3_T4_T5_mT6_T7_P12ihipStream_tbENKUlT_T0_E_clISt17integral_constantIbLb0EES12_IbLb1EEEEDaSY_SZ_EUlSY_E_NS1_11comp_targetILNS1_3genE3ELNS1_11target_archE908ELNS1_3gpuE7ELNS1_3repE0EEENS1_30default_config_static_selectorELNS0_4arch9wavefront6targetE0EEEvT1_.num_agpr, 0
	.set _ZN7rocprim17ROCPRIM_400000_NS6detail17trampoline_kernelINS0_14default_configENS1_27scan_by_key_config_selectorIj11FixedVectorIiLj4EEEEZZNS1_16scan_by_key_implILNS1_25lookback_scan_determinismE0ELb0ES3_N6thrust23THRUST_200600_302600_NS6detail15normal_iteratorINSB_10device_ptrIjEEEENSD_INSE_IS6_EEEESI_S6_NSB_4plusIvEENSB_8equal_toIvEES6_EE10hipError_tPvRmT2_T3_T4_T5_mT6_T7_P12ihipStream_tbENKUlT_T0_E_clISt17integral_constantIbLb0EES12_IbLb1EEEEDaSY_SZ_EUlSY_E_NS1_11comp_targetILNS1_3genE3ELNS1_11target_archE908ELNS1_3gpuE7ELNS1_3repE0EEENS1_30default_config_static_selectorELNS0_4arch9wavefront6targetE0EEEvT1_.numbered_sgpr, 0
	.set _ZN7rocprim17ROCPRIM_400000_NS6detail17trampoline_kernelINS0_14default_configENS1_27scan_by_key_config_selectorIj11FixedVectorIiLj4EEEEZZNS1_16scan_by_key_implILNS1_25lookback_scan_determinismE0ELb0ES3_N6thrust23THRUST_200600_302600_NS6detail15normal_iteratorINSB_10device_ptrIjEEEENSD_INSE_IS6_EEEESI_S6_NSB_4plusIvEENSB_8equal_toIvEES6_EE10hipError_tPvRmT2_T3_T4_T5_mT6_T7_P12ihipStream_tbENKUlT_T0_E_clISt17integral_constantIbLb0EES12_IbLb1EEEEDaSY_SZ_EUlSY_E_NS1_11comp_targetILNS1_3genE3ELNS1_11target_archE908ELNS1_3gpuE7ELNS1_3repE0EEENS1_30default_config_static_selectorELNS0_4arch9wavefront6targetE0EEEvT1_.num_named_barrier, 0
	.set _ZN7rocprim17ROCPRIM_400000_NS6detail17trampoline_kernelINS0_14default_configENS1_27scan_by_key_config_selectorIj11FixedVectorIiLj4EEEEZZNS1_16scan_by_key_implILNS1_25lookback_scan_determinismE0ELb0ES3_N6thrust23THRUST_200600_302600_NS6detail15normal_iteratorINSB_10device_ptrIjEEEENSD_INSE_IS6_EEEESI_S6_NSB_4plusIvEENSB_8equal_toIvEES6_EE10hipError_tPvRmT2_T3_T4_T5_mT6_T7_P12ihipStream_tbENKUlT_T0_E_clISt17integral_constantIbLb0EES12_IbLb1EEEEDaSY_SZ_EUlSY_E_NS1_11comp_targetILNS1_3genE3ELNS1_11target_archE908ELNS1_3gpuE7ELNS1_3repE0EEENS1_30default_config_static_selectorELNS0_4arch9wavefront6targetE0EEEvT1_.private_seg_size, 0
	.set _ZN7rocprim17ROCPRIM_400000_NS6detail17trampoline_kernelINS0_14default_configENS1_27scan_by_key_config_selectorIj11FixedVectorIiLj4EEEEZZNS1_16scan_by_key_implILNS1_25lookback_scan_determinismE0ELb0ES3_N6thrust23THRUST_200600_302600_NS6detail15normal_iteratorINSB_10device_ptrIjEEEENSD_INSE_IS6_EEEESI_S6_NSB_4plusIvEENSB_8equal_toIvEES6_EE10hipError_tPvRmT2_T3_T4_T5_mT6_T7_P12ihipStream_tbENKUlT_T0_E_clISt17integral_constantIbLb0EES12_IbLb1EEEEDaSY_SZ_EUlSY_E_NS1_11comp_targetILNS1_3genE3ELNS1_11target_archE908ELNS1_3gpuE7ELNS1_3repE0EEENS1_30default_config_static_selectorELNS0_4arch9wavefront6targetE0EEEvT1_.uses_vcc, 0
	.set _ZN7rocprim17ROCPRIM_400000_NS6detail17trampoline_kernelINS0_14default_configENS1_27scan_by_key_config_selectorIj11FixedVectorIiLj4EEEEZZNS1_16scan_by_key_implILNS1_25lookback_scan_determinismE0ELb0ES3_N6thrust23THRUST_200600_302600_NS6detail15normal_iteratorINSB_10device_ptrIjEEEENSD_INSE_IS6_EEEESI_S6_NSB_4plusIvEENSB_8equal_toIvEES6_EE10hipError_tPvRmT2_T3_T4_T5_mT6_T7_P12ihipStream_tbENKUlT_T0_E_clISt17integral_constantIbLb0EES12_IbLb1EEEEDaSY_SZ_EUlSY_E_NS1_11comp_targetILNS1_3genE3ELNS1_11target_archE908ELNS1_3gpuE7ELNS1_3repE0EEENS1_30default_config_static_selectorELNS0_4arch9wavefront6targetE0EEEvT1_.uses_flat_scratch, 0
	.set _ZN7rocprim17ROCPRIM_400000_NS6detail17trampoline_kernelINS0_14default_configENS1_27scan_by_key_config_selectorIj11FixedVectorIiLj4EEEEZZNS1_16scan_by_key_implILNS1_25lookback_scan_determinismE0ELb0ES3_N6thrust23THRUST_200600_302600_NS6detail15normal_iteratorINSB_10device_ptrIjEEEENSD_INSE_IS6_EEEESI_S6_NSB_4plusIvEENSB_8equal_toIvEES6_EE10hipError_tPvRmT2_T3_T4_T5_mT6_T7_P12ihipStream_tbENKUlT_T0_E_clISt17integral_constantIbLb0EES12_IbLb1EEEEDaSY_SZ_EUlSY_E_NS1_11comp_targetILNS1_3genE3ELNS1_11target_archE908ELNS1_3gpuE7ELNS1_3repE0EEENS1_30default_config_static_selectorELNS0_4arch9wavefront6targetE0EEEvT1_.has_dyn_sized_stack, 0
	.set _ZN7rocprim17ROCPRIM_400000_NS6detail17trampoline_kernelINS0_14default_configENS1_27scan_by_key_config_selectorIj11FixedVectorIiLj4EEEEZZNS1_16scan_by_key_implILNS1_25lookback_scan_determinismE0ELb0ES3_N6thrust23THRUST_200600_302600_NS6detail15normal_iteratorINSB_10device_ptrIjEEEENSD_INSE_IS6_EEEESI_S6_NSB_4plusIvEENSB_8equal_toIvEES6_EE10hipError_tPvRmT2_T3_T4_T5_mT6_T7_P12ihipStream_tbENKUlT_T0_E_clISt17integral_constantIbLb0EES12_IbLb1EEEEDaSY_SZ_EUlSY_E_NS1_11comp_targetILNS1_3genE3ELNS1_11target_archE908ELNS1_3gpuE7ELNS1_3repE0EEENS1_30default_config_static_selectorELNS0_4arch9wavefront6targetE0EEEvT1_.has_recursion, 0
	.set _ZN7rocprim17ROCPRIM_400000_NS6detail17trampoline_kernelINS0_14default_configENS1_27scan_by_key_config_selectorIj11FixedVectorIiLj4EEEEZZNS1_16scan_by_key_implILNS1_25lookback_scan_determinismE0ELb0ES3_N6thrust23THRUST_200600_302600_NS6detail15normal_iteratorINSB_10device_ptrIjEEEENSD_INSE_IS6_EEEESI_S6_NSB_4plusIvEENSB_8equal_toIvEES6_EE10hipError_tPvRmT2_T3_T4_T5_mT6_T7_P12ihipStream_tbENKUlT_T0_E_clISt17integral_constantIbLb0EES12_IbLb1EEEEDaSY_SZ_EUlSY_E_NS1_11comp_targetILNS1_3genE3ELNS1_11target_archE908ELNS1_3gpuE7ELNS1_3repE0EEENS1_30default_config_static_selectorELNS0_4arch9wavefront6targetE0EEEvT1_.has_indirect_call, 0
	.section	.AMDGPU.csdata,"",@progbits
; Kernel info:
; codeLenInByte = 0
; TotalNumSgprs: 0
; NumVgprs: 0
; ScratchSize: 0
; MemoryBound: 0
; FloatMode: 240
; IeeeMode: 1
; LDSByteSize: 0 bytes/workgroup (compile time only)
; SGPRBlocks: 0
; VGPRBlocks: 0
; NumSGPRsForWavesPerEU: 1
; NumVGPRsForWavesPerEU: 1
; Occupancy: 16
; WaveLimiterHint : 0
; COMPUTE_PGM_RSRC2:SCRATCH_EN: 0
; COMPUTE_PGM_RSRC2:USER_SGPR: 6
; COMPUTE_PGM_RSRC2:TRAP_HANDLER: 0
; COMPUTE_PGM_RSRC2:TGID_X_EN: 1
; COMPUTE_PGM_RSRC2:TGID_Y_EN: 0
; COMPUTE_PGM_RSRC2:TGID_Z_EN: 0
; COMPUTE_PGM_RSRC2:TIDIG_COMP_CNT: 0
	.section	.text._ZN7rocprim17ROCPRIM_400000_NS6detail17trampoline_kernelINS0_14default_configENS1_27scan_by_key_config_selectorIj11FixedVectorIiLj4EEEEZZNS1_16scan_by_key_implILNS1_25lookback_scan_determinismE0ELb0ES3_N6thrust23THRUST_200600_302600_NS6detail15normal_iteratorINSB_10device_ptrIjEEEENSD_INSE_IS6_EEEESI_S6_NSB_4plusIvEENSB_8equal_toIvEES6_EE10hipError_tPvRmT2_T3_T4_T5_mT6_T7_P12ihipStream_tbENKUlT_T0_E_clISt17integral_constantIbLb0EES12_IbLb1EEEEDaSY_SZ_EUlSY_E_NS1_11comp_targetILNS1_3genE2ELNS1_11target_archE906ELNS1_3gpuE6ELNS1_3repE0EEENS1_30default_config_static_selectorELNS0_4arch9wavefront6targetE0EEEvT1_,"axG",@progbits,_ZN7rocprim17ROCPRIM_400000_NS6detail17trampoline_kernelINS0_14default_configENS1_27scan_by_key_config_selectorIj11FixedVectorIiLj4EEEEZZNS1_16scan_by_key_implILNS1_25lookback_scan_determinismE0ELb0ES3_N6thrust23THRUST_200600_302600_NS6detail15normal_iteratorINSB_10device_ptrIjEEEENSD_INSE_IS6_EEEESI_S6_NSB_4plusIvEENSB_8equal_toIvEES6_EE10hipError_tPvRmT2_T3_T4_T5_mT6_T7_P12ihipStream_tbENKUlT_T0_E_clISt17integral_constantIbLb0EES12_IbLb1EEEEDaSY_SZ_EUlSY_E_NS1_11comp_targetILNS1_3genE2ELNS1_11target_archE906ELNS1_3gpuE6ELNS1_3repE0EEENS1_30default_config_static_selectorELNS0_4arch9wavefront6targetE0EEEvT1_,comdat
	.protected	_ZN7rocprim17ROCPRIM_400000_NS6detail17trampoline_kernelINS0_14default_configENS1_27scan_by_key_config_selectorIj11FixedVectorIiLj4EEEEZZNS1_16scan_by_key_implILNS1_25lookback_scan_determinismE0ELb0ES3_N6thrust23THRUST_200600_302600_NS6detail15normal_iteratorINSB_10device_ptrIjEEEENSD_INSE_IS6_EEEESI_S6_NSB_4plusIvEENSB_8equal_toIvEES6_EE10hipError_tPvRmT2_T3_T4_T5_mT6_T7_P12ihipStream_tbENKUlT_T0_E_clISt17integral_constantIbLb0EES12_IbLb1EEEEDaSY_SZ_EUlSY_E_NS1_11comp_targetILNS1_3genE2ELNS1_11target_archE906ELNS1_3gpuE6ELNS1_3repE0EEENS1_30default_config_static_selectorELNS0_4arch9wavefront6targetE0EEEvT1_ ; -- Begin function _ZN7rocprim17ROCPRIM_400000_NS6detail17trampoline_kernelINS0_14default_configENS1_27scan_by_key_config_selectorIj11FixedVectorIiLj4EEEEZZNS1_16scan_by_key_implILNS1_25lookback_scan_determinismE0ELb0ES3_N6thrust23THRUST_200600_302600_NS6detail15normal_iteratorINSB_10device_ptrIjEEEENSD_INSE_IS6_EEEESI_S6_NSB_4plusIvEENSB_8equal_toIvEES6_EE10hipError_tPvRmT2_T3_T4_T5_mT6_T7_P12ihipStream_tbENKUlT_T0_E_clISt17integral_constantIbLb0EES12_IbLb1EEEEDaSY_SZ_EUlSY_E_NS1_11comp_targetILNS1_3genE2ELNS1_11target_archE906ELNS1_3gpuE6ELNS1_3repE0EEENS1_30default_config_static_selectorELNS0_4arch9wavefront6targetE0EEEvT1_
	.globl	_ZN7rocprim17ROCPRIM_400000_NS6detail17trampoline_kernelINS0_14default_configENS1_27scan_by_key_config_selectorIj11FixedVectorIiLj4EEEEZZNS1_16scan_by_key_implILNS1_25lookback_scan_determinismE0ELb0ES3_N6thrust23THRUST_200600_302600_NS6detail15normal_iteratorINSB_10device_ptrIjEEEENSD_INSE_IS6_EEEESI_S6_NSB_4plusIvEENSB_8equal_toIvEES6_EE10hipError_tPvRmT2_T3_T4_T5_mT6_T7_P12ihipStream_tbENKUlT_T0_E_clISt17integral_constantIbLb0EES12_IbLb1EEEEDaSY_SZ_EUlSY_E_NS1_11comp_targetILNS1_3genE2ELNS1_11target_archE906ELNS1_3gpuE6ELNS1_3repE0EEENS1_30default_config_static_selectorELNS0_4arch9wavefront6targetE0EEEvT1_
	.p2align	8
	.type	_ZN7rocprim17ROCPRIM_400000_NS6detail17trampoline_kernelINS0_14default_configENS1_27scan_by_key_config_selectorIj11FixedVectorIiLj4EEEEZZNS1_16scan_by_key_implILNS1_25lookback_scan_determinismE0ELb0ES3_N6thrust23THRUST_200600_302600_NS6detail15normal_iteratorINSB_10device_ptrIjEEEENSD_INSE_IS6_EEEESI_S6_NSB_4plusIvEENSB_8equal_toIvEES6_EE10hipError_tPvRmT2_T3_T4_T5_mT6_T7_P12ihipStream_tbENKUlT_T0_E_clISt17integral_constantIbLb0EES12_IbLb1EEEEDaSY_SZ_EUlSY_E_NS1_11comp_targetILNS1_3genE2ELNS1_11target_archE906ELNS1_3gpuE6ELNS1_3repE0EEENS1_30default_config_static_selectorELNS0_4arch9wavefront6targetE0EEEvT1_,@function
_ZN7rocprim17ROCPRIM_400000_NS6detail17trampoline_kernelINS0_14default_configENS1_27scan_by_key_config_selectorIj11FixedVectorIiLj4EEEEZZNS1_16scan_by_key_implILNS1_25lookback_scan_determinismE0ELb0ES3_N6thrust23THRUST_200600_302600_NS6detail15normal_iteratorINSB_10device_ptrIjEEEENSD_INSE_IS6_EEEESI_S6_NSB_4plusIvEENSB_8equal_toIvEES6_EE10hipError_tPvRmT2_T3_T4_T5_mT6_T7_P12ihipStream_tbENKUlT_T0_E_clISt17integral_constantIbLb0EES12_IbLb1EEEEDaSY_SZ_EUlSY_E_NS1_11comp_targetILNS1_3genE2ELNS1_11target_archE906ELNS1_3gpuE6ELNS1_3repE0EEENS1_30default_config_static_selectorELNS0_4arch9wavefront6targetE0EEEvT1_: ; @_ZN7rocprim17ROCPRIM_400000_NS6detail17trampoline_kernelINS0_14default_configENS1_27scan_by_key_config_selectorIj11FixedVectorIiLj4EEEEZZNS1_16scan_by_key_implILNS1_25lookback_scan_determinismE0ELb0ES3_N6thrust23THRUST_200600_302600_NS6detail15normal_iteratorINSB_10device_ptrIjEEEENSD_INSE_IS6_EEEESI_S6_NSB_4plusIvEENSB_8equal_toIvEES6_EE10hipError_tPvRmT2_T3_T4_T5_mT6_T7_P12ihipStream_tbENKUlT_T0_E_clISt17integral_constantIbLb0EES12_IbLb1EEEEDaSY_SZ_EUlSY_E_NS1_11comp_targetILNS1_3genE2ELNS1_11target_archE906ELNS1_3gpuE6ELNS1_3repE0EEENS1_30default_config_static_selectorELNS0_4arch9wavefront6targetE0EEEvT1_
; %bb.0:
	.section	.rodata,"a",@progbits
	.p2align	6, 0x0
	.amdhsa_kernel _ZN7rocprim17ROCPRIM_400000_NS6detail17trampoline_kernelINS0_14default_configENS1_27scan_by_key_config_selectorIj11FixedVectorIiLj4EEEEZZNS1_16scan_by_key_implILNS1_25lookback_scan_determinismE0ELb0ES3_N6thrust23THRUST_200600_302600_NS6detail15normal_iteratorINSB_10device_ptrIjEEEENSD_INSE_IS6_EEEESI_S6_NSB_4plusIvEENSB_8equal_toIvEES6_EE10hipError_tPvRmT2_T3_T4_T5_mT6_T7_P12ihipStream_tbENKUlT_T0_E_clISt17integral_constantIbLb0EES12_IbLb1EEEEDaSY_SZ_EUlSY_E_NS1_11comp_targetILNS1_3genE2ELNS1_11target_archE906ELNS1_3gpuE6ELNS1_3repE0EEENS1_30default_config_static_selectorELNS0_4arch9wavefront6targetE0EEEvT1_
		.amdhsa_group_segment_fixed_size 0
		.amdhsa_private_segment_fixed_size 0
		.amdhsa_kernarg_size 144
		.amdhsa_user_sgpr_count 6
		.amdhsa_user_sgpr_private_segment_buffer 1
		.amdhsa_user_sgpr_dispatch_ptr 0
		.amdhsa_user_sgpr_queue_ptr 0
		.amdhsa_user_sgpr_kernarg_segment_ptr 1
		.amdhsa_user_sgpr_dispatch_id 0
		.amdhsa_user_sgpr_flat_scratch_init 0
		.amdhsa_user_sgpr_private_segment_size 0
		.amdhsa_wavefront_size32 1
		.amdhsa_uses_dynamic_stack 0
		.amdhsa_system_sgpr_private_segment_wavefront_offset 0
		.amdhsa_system_sgpr_workgroup_id_x 1
		.amdhsa_system_sgpr_workgroup_id_y 0
		.amdhsa_system_sgpr_workgroup_id_z 0
		.amdhsa_system_sgpr_workgroup_info 0
		.amdhsa_system_vgpr_workitem_id 0
		.amdhsa_next_free_vgpr 1
		.amdhsa_next_free_sgpr 1
		.amdhsa_reserve_vcc 0
		.amdhsa_reserve_flat_scratch 0
		.amdhsa_float_round_mode_32 0
		.amdhsa_float_round_mode_16_64 0
		.amdhsa_float_denorm_mode_32 3
		.amdhsa_float_denorm_mode_16_64 3
		.amdhsa_dx10_clamp 1
		.amdhsa_ieee_mode 1
		.amdhsa_fp16_overflow 0
		.amdhsa_workgroup_processor_mode 1
		.amdhsa_memory_ordered 1
		.amdhsa_forward_progress 1
		.amdhsa_shared_vgpr_count 0
		.amdhsa_exception_fp_ieee_invalid_op 0
		.amdhsa_exception_fp_denorm_src 0
		.amdhsa_exception_fp_ieee_div_zero 0
		.amdhsa_exception_fp_ieee_overflow 0
		.amdhsa_exception_fp_ieee_underflow 0
		.amdhsa_exception_fp_ieee_inexact 0
		.amdhsa_exception_int_div_zero 0
	.end_amdhsa_kernel
	.section	.text._ZN7rocprim17ROCPRIM_400000_NS6detail17trampoline_kernelINS0_14default_configENS1_27scan_by_key_config_selectorIj11FixedVectorIiLj4EEEEZZNS1_16scan_by_key_implILNS1_25lookback_scan_determinismE0ELb0ES3_N6thrust23THRUST_200600_302600_NS6detail15normal_iteratorINSB_10device_ptrIjEEEENSD_INSE_IS6_EEEESI_S6_NSB_4plusIvEENSB_8equal_toIvEES6_EE10hipError_tPvRmT2_T3_T4_T5_mT6_T7_P12ihipStream_tbENKUlT_T0_E_clISt17integral_constantIbLb0EES12_IbLb1EEEEDaSY_SZ_EUlSY_E_NS1_11comp_targetILNS1_3genE2ELNS1_11target_archE906ELNS1_3gpuE6ELNS1_3repE0EEENS1_30default_config_static_selectorELNS0_4arch9wavefront6targetE0EEEvT1_,"axG",@progbits,_ZN7rocprim17ROCPRIM_400000_NS6detail17trampoline_kernelINS0_14default_configENS1_27scan_by_key_config_selectorIj11FixedVectorIiLj4EEEEZZNS1_16scan_by_key_implILNS1_25lookback_scan_determinismE0ELb0ES3_N6thrust23THRUST_200600_302600_NS6detail15normal_iteratorINSB_10device_ptrIjEEEENSD_INSE_IS6_EEEESI_S6_NSB_4plusIvEENSB_8equal_toIvEES6_EE10hipError_tPvRmT2_T3_T4_T5_mT6_T7_P12ihipStream_tbENKUlT_T0_E_clISt17integral_constantIbLb0EES12_IbLb1EEEEDaSY_SZ_EUlSY_E_NS1_11comp_targetILNS1_3genE2ELNS1_11target_archE906ELNS1_3gpuE6ELNS1_3repE0EEENS1_30default_config_static_selectorELNS0_4arch9wavefront6targetE0EEEvT1_,comdat
.Lfunc_end2071:
	.size	_ZN7rocprim17ROCPRIM_400000_NS6detail17trampoline_kernelINS0_14default_configENS1_27scan_by_key_config_selectorIj11FixedVectorIiLj4EEEEZZNS1_16scan_by_key_implILNS1_25lookback_scan_determinismE0ELb0ES3_N6thrust23THRUST_200600_302600_NS6detail15normal_iteratorINSB_10device_ptrIjEEEENSD_INSE_IS6_EEEESI_S6_NSB_4plusIvEENSB_8equal_toIvEES6_EE10hipError_tPvRmT2_T3_T4_T5_mT6_T7_P12ihipStream_tbENKUlT_T0_E_clISt17integral_constantIbLb0EES12_IbLb1EEEEDaSY_SZ_EUlSY_E_NS1_11comp_targetILNS1_3genE2ELNS1_11target_archE906ELNS1_3gpuE6ELNS1_3repE0EEENS1_30default_config_static_selectorELNS0_4arch9wavefront6targetE0EEEvT1_, .Lfunc_end2071-_ZN7rocprim17ROCPRIM_400000_NS6detail17trampoline_kernelINS0_14default_configENS1_27scan_by_key_config_selectorIj11FixedVectorIiLj4EEEEZZNS1_16scan_by_key_implILNS1_25lookback_scan_determinismE0ELb0ES3_N6thrust23THRUST_200600_302600_NS6detail15normal_iteratorINSB_10device_ptrIjEEEENSD_INSE_IS6_EEEESI_S6_NSB_4plusIvEENSB_8equal_toIvEES6_EE10hipError_tPvRmT2_T3_T4_T5_mT6_T7_P12ihipStream_tbENKUlT_T0_E_clISt17integral_constantIbLb0EES12_IbLb1EEEEDaSY_SZ_EUlSY_E_NS1_11comp_targetILNS1_3genE2ELNS1_11target_archE906ELNS1_3gpuE6ELNS1_3repE0EEENS1_30default_config_static_selectorELNS0_4arch9wavefront6targetE0EEEvT1_
                                        ; -- End function
	.set _ZN7rocprim17ROCPRIM_400000_NS6detail17trampoline_kernelINS0_14default_configENS1_27scan_by_key_config_selectorIj11FixedVectorIiLj4EEEEZZNS1_16scan_by_key_implILNS1_25lookback_scan_determinismE0ELb0ES3_N6thrust23THRUST_200600_302600_NS6detail15normal_iteratorINSB_10device_ptrIjEEEENSD_INSE_IS6_EEEESI_S6_NSB_4plusIvEENSB_8equal_toIvEES6_EE10hipError_tPvRmT2_T3_T4_T5_mT6_T7_P12ihipStream_tbENKUlT_T0_E_clISt17integral_constantIbLb0EES12_IbLb1EEEEDaSY_SZ_EUlSY_E_NS1_11comp_targetILNS1_3genE2ELNS1_11target_archE906ELNS1_3gpuE6ELNS1_3repE0EEENS1_30default_config_static_selectorELNS0_4arch9wavefront6targetE0EEEvT1_.num_vgpr, 0
	.set _ZN7rocprim17ROCPRIM_400000_NS6detail17trampoline_kernelINS0_14default_configENS1_27scan_by_key_config_selectorIj11FixedVectorIiLj4EEEEZZNS1_16scan_by_key_implILNS1_25lookback_scan_determinismE0ELb0ES3_N6thrust23THRUST_200600_302600_NS6detail15normal_iteratorINSB_10device_ptrIjEEEENSD_INSE_IS6_EEEESI_S6_NSB_4plusIvEENSB_8equal_toIvEES6_EE10hipError_tPvRmT2_T3_T4_T5_mT6_T7_P12ihipStream_tbENKUlT_T0_E_clISt17integral_constantIbLb0EES12_IbLb1EEEEDaSY_SZ_EUlSY_E_NS1_11comp_targetILNS1_3genE2ELNS1_11target_archE906ELNS1_3gpuE6ELNS1_3repE0EEENS1_30default_config_static_selectorELNS0_4arch9wavefront6targetE0EEEvT1_.num_agpr, 0
	.set _ZN7rocprim17ROCPRIM_400000_NS6detail17trampoline_kernelINS0_14default_configENS1_27scan_by_key_config_selectorIj11FixedVectorIiLj4EEEEZZNS1_16scan_by_key_implILNS1_25lookback_scan_determinismE0ELb0ES3_N6thrust23THRUST_200600_302600_NS6detail15normal_iteratorINSB_10device_ptrIjEEEENSD_INSE_IS6_EEEESI_S6_NSB_4plusIvEENSB_8equal_toIvEES6_EE10hipError_tPvRmT2_T3_T4_T5_mT6_T7_P12ihipStream_tbENKUlT_T0_E_clISt17integral_constantIbLb0EES12_IbLb1EEEEDaSY_SZ_EUlSY_E_NS1_11comp_targetILNS1_3genE2ELNS1_11target_archE906ELNS1_3gpuE6ELNS1_3repE0EEENS1_30default_config_static_selectorELNS0_4arch9wavefront6targetE0EEEvT1_.numbered_sgpr, 0
	.set _ZN7rocprim17ROCPRIM_400000_NS6detail17trampoline_kernelINS0_14default_configENS1_27scan_by_key_config_selectorIj11FixedVectorIiLj4EEEEZZNS1_16scan_by_key_implILNS1_25lookback_scan_determinismE0ELb0ES3_N6thrust23THRUST_200600_302600_NS6detail15normal_iteratorINSB_10device_ptrIjEEEENSD_INSE_IS6_EEEESI_S6_NSB_4plusIvEENSB_8equal_toIvEES6_EE10hipError_tPvRmT2_T3_T4_T5_mT6_T7_P12ihipStream_tbENKUlT_T0_E_clISt17integral_constantIbLb0EES12_IbLb1EEEEDaSY_SZ_EUlSY_E_NS1_11comp_targetILNS1_3genE2ELNS1_11target_archE906ELNS1_3gpuE6ELNS1_3repE0EEENS1_30default_config_static_selectorELNS0_4arch9wavefront6targetE0EEEvT1_.num_named_barrier, 0
	.set _ZN7rocprim17ROCPRIM_400000_NS6detail17trampoline_kernelINS0_14default_configENS1_27scan_by_key_config_selectorIj11FixedVectorIiLj4EEEEZZNS1_16scan_by_key_implILNS1_25lookback_scan_determinismE0ELb0ES3_N6thrust23THRUST_200600_302600_NS6detail15normal_iteratorINSB_10device_ptrIjEEEENSD_INSE_IS6_EEEESI_S6_NSB_4plusIvEENSB_8equal_toIvEES6_EE10hipError_tPvRmT2_T3_T4_T5_mT6_T7_P12ihipStream_tbENKUlT_T0_E_clISt17integral_constantIbLb0EES12_IbLb1EEEEDaSY_SZ_EUlSY_E_NS1_11comp_targetILNS1_3genE2ELNS1_11target_archE906ELNS1_3gpuE6ELNS1_3repE0EEENS1_30default_config_static_selectorELNS0_4arch9wavefront6targetE0EEEvT1_.private_seg_size, 0
	.set _ZN7rocprim17ROCPRIM_400000_NS6detail17trampoline_kernelINS0_14default_configENS1_27scan_by_key_config_selectorIj11FixedVectorIiLj4EEEEZZNS1_16scan_by_key_implILNS1_25lookback_scan_determinismE0ELb0ES3_N6thrust23THRUST_200600_302600_NS6detail15normal_iteratorINSB_10device_ptrIjEEEENSD_INSE_IS6_EEEESI_S6_NSB_4plusIvEENSB_8equal_toIvEES6_EE10hipError_tPvRmT2_T3_T4_T5_mT6_T7_P12ihipStream_tbENKUlT_T0_E_clISt17integral_constantIbLb0EES12_IbLb1EEEEDaSY_SZ_EUlSY_E_NS1_11comp_targetILNS1_3genE2ELNS1_11target_archE906ELNS1_3gpuE6ELNS1_3repE0EEENS1_30default_config_static_selectorELNS0_4arch9wavefront6targetE0EEEvT1_.uses_vcc, 0
	.set _ZN7rocprim17ROCPRIM_400000_NS6detail17trampoline_kernelINS0_14default_configENS1_27scan_by_key_config_selectorIj11FixedVectorIiLj4EEEEZZNS1_16scan_by_key_implILNS1_25lookback_scan_determinismE0ELb0ES3_N6thrust23THRUST_200600_302600_NS6detail15normal_iteratorINSB_10device_ptrIjEEEENSD_INSE_IS6_EEEESI_S6_NSB_4plusIvEENSB_8equal_toIvEES6_EE10hipError_tPvRmT2_T3_T4_T5_mT6_T7_P12ihipStream_tbENKUlT_T0_E_clISt17integral_constantIbLb0EES12_IbLb1EEEEDaSY_SZ_EUlSY_E_NS1_11comp_targetILNS1_3genE2ELNS1_11target_archE906ELNS1_3gpuE6ELNS1_3repE0EEENS1_30default_config_static_selectorELNS0_4arch9wavefront6targetE0EEEvT1_.uses_flat_scratch, 0
	.set _ZN7rocprim17ROCPRIM_400000_NS6detail17trampoline_kernelINS0_14default_configENS1_27scan_by_key_config_selectorIj11FixedVectorIiLj4EEEEZZNS1_16scan_by_key_implILNS1_25lookback_scan_determinismE0ELb0ES3_N6thrust23THRUST_200600_302600_NS6detail15normal_iteratorINSB_10device_ptrIjEEEENSD_INSE_IS6_EEEESI_S6_NSB_4plusIvEENSB_8equal_toIvEES6_EE10hipError_tPvRmT2_T3_T4_T5_mT6_T7_P12ihipStream_tbENKUlT_T0_E_clISt17integral_constantIbLb0EES12_IbLb1EEEEDaSY_SZ_EUlSY_E_NS1_11comp_targetILNS1_3genE2ELNS1_11target_archE906ELNS1_3gpuE6ELNS1_3repE0EEENS1_30default_config_static_selectorELNS0_4arch9wavefront6targetE0EEEvT1_.has_dyn_sized_stack, 0
	.set _ZN7rocprim17ROCPRIM_400000_NS6detail17trampoline_kernelINS0_14default_configENS1_27scan_by_key_config_selectorIj11FixedVectorIiLj4EEEEZZNS1_16scan_by_key_implILNS1_25lookback_scan_determinismE0ELb0ES3_N6thrust23THRUST_200600_302600_NS6detail15normal_iteratorINSB_10device_ptrIjEEEENSD_INSE_IS6_EEEESI_S6_NSB_4plusIvEENSB_8equal_toIvEES6_EE10hipError_tPvRmT2_T3_T4_T5_mT6_T7_P12ihipStream_tbENKUlT_T0_E_clISt17integral_constantIbLb0EES12_IbLb1EEEEDaSY_SZ_EUlSY_E_NS1_11comp_targetILNS1_3genE2ELNS1_11target_archE906ELNS1_3gpuE6ELNS1_3repE0EEENS1_30default_config_static_selectorELNS0_4arch9wavefront6targetE0EEEvT1_.has_recursion, 0
	.set _ZN7rocprim17ROCPRIM_400000_NS6detail17trampoline_kernelINS0_14default_configENS1_27scan_by_key_config_selectorIj11FixedVectorIiLj4EEEEZZNS1_16scan_by_key_implILNS1_25lookback_scan_determinismE0ELb0ES3_N6thrust23THRUST_200600_302600_NS6detail15normal_iteratorINSB_10device_ptrIjEEEENSD_INSE_IS6_EEEESI_S6_NSB_4plusIvEENSB_8equal_toIvEES6_EE10hipError_tPvRmT2_T3_T4_T5_mT6_T7_P12ihipStream_tbENKUlT_T0_E_clISt17integral_constantIbLb0EES12_IbLb1EEEEDaSY_SZ_EUlSY_E_NS1_11comp_targetILNS1_3genE2ELNS1_11target_archE906ELNS1_3gpuE6ELNS1_3repE0EEENS1_30default_config_static_selectorELNS0_4arch9wavefront6targetE0EEEvT1_.has_indirect_call, 0
	.section	.AMDGPU.csdata,"",@progbits
; Kernel info:
; codeLenInByte = 0
; TotalNumSgprs: 0
; NumVgprs: 0
; ScratchSize: 0
; MemoryBound: 0
; FloatMode: 240
; IeeeMode: 1
; LDSByteSize: 0 bytes/workgroup (compile time only)
; SGPRBlocks: 0
; VGPRBlocks: 0
; NumSGPRsForWavesPerEU: 1
; NumVGPRsForWavesPerEU: 1
; Occupancy: 16
; WaveLimiterHint : 0
; COMPUTE_PGM_RSRC2:SCRATCH_EN: 0
; COMPUTE_PGM_RSRC2:USER_SGPR: 6
; COMPUTE_PGM_RSRC2:TRAP_HANDLER: 0
; COMPUTE_PGM_RSRC2:TGID_X_EN: 1
; COMPUTE_PGM_RSRC2:TGID_Y_EN: 0
; COMPUTE_PGM_RSRC2:TGID_Z_EN: 0
; COMPUTE_PGM_RSRC2:TIDIG_COMP_CNT: 0
	.section	.text._ZN7rocprim17ROCPRIM_400000_NS6detail17trampoline_kernelINS0_14default_configENS1_27scan_by_key_config_selectorIj11FixedVectorIiLj4EEEEZZNS1_16scan_by_key_implILNS1_25lookback_scan_determinismE0ELb0ES3_N6thrust23THRUST_200600_302600_NS6detail15normal_iteratorINSB_10device_ptrIjEEEENSD_INSE_IS6_EEEESI_S6_NSB_4plusIvEENSB_8equal_toIvEES6_EE10hipError_tPvRmT2_T3_T4_T5_mT6_T7_P12ihipStream_tbENKUlT_T0_E_clISt17integral_constantIbLb0EES12_IbLb1EEEEDaSY_SZ_EUlSY_E_NS1_11comp_targetILNS1_3genE10ELNS1_11target_archE1200ELNS1_3gpuE4ELNS1_3repE0EEENS1_30default_config_static_selectorELNS0_4arch9wavefront6targetE0EEEvT1_,"axG",@progbits,_ZN7rocprim17ROCPRIM_400000_NS6detail17trampoline_kernelINS0_14default_configENS1_27scan_by_key_config_selectorIj11FixedVectorIiLj4EEEEZZNS1_16scan_by_key_implILNS1_25lookback_scan_determinismE0ELb0ES3_N6thrust23THRUST_200600_302600_NS6detail15normal_iteratorINSB_10device_ptrIjEEEENSD_INSE_IS6_EEEESI_S6_NSB_4plusIvEENSB_8equal_toIvEES6_EE10hipError_tPvRmT2_T3_T4_T5_mT6_T7_P12ihipStream_tbENKUlT_T0_E_clISt17integral_constantIbLb0EES12_IbLb1EEEEDaSY_SZ_EUlSY_E_NS1_11comp_targetILNS1_3genE10ELNS1_11target_archE1200ELNS1_3gpuE4ELNS1_3repE0EEENS1_30default_config_static_selectorELNS0_4arch9wavefront6targetE0EEEvT1_,comdat
	.protected	_ZN7rocprim17ROCPRIM_400000_NS6detail17trampoline_kernelINS0_14default_configENS1_27scan_by_key_config_selectorIj11FixedVectorIiLj4EEEEZZNS1_16scan_by_key_implILNS1_25lookback_scan_determinismE0ELb0ES3_N6thrust23THRUST_200600_302600_NS6detail15normal_iteratorINSB_10device_ptrIjEEEENSD_INSE_IS6_EEEESI_S6_NSB_4plusIvEENSB_8equal_toIvEES6_EE10hipError_tPvRmT2_T3_T4_T5_mT6_T7_P12ihipStream_tbENKUlT_T0_E_clISt17integral_constantIbLb0EES12_IbLb1EEEEDaSY_SZ_EUlSY_E_NS1_11comp_targetILNS1_3genE10ELNS1_11target_archE1200ELNS1_3gpuE4ELNS1_3repE0EEENS1_30default_config_static_selectorELNS0_4arch9wavefront6targetE0EEEvT1_ ; -- Begin function _ZN7rocprim17ROCPRIM_400000_NS6detail17trampoline_kernelINS0_14default_configENS1_27scan_by_key_config_selectorIj11FixedVectorIiLj4EEEEZZNS1_16scan_by_key_implILNS1_25lookback_scan_determinismE0ELb0ES3_N6thrust23THRUST_200600_302600_NS6detail15normal_iteratorINSB_10device_ptrIjEEEENSD_INSE_IS6_EEEESI_S6_NSB_4plusIvEENSB_8equal_toIvEES6_EE10hipError_tPvRmT2_T3_T4_T5_mT6_T7_P12ihipStream_tbENKUlT_T0_E_clISt17integral_constantIbLb0EES12_IbLb1EEEEDaSY_SZ_EUlSY_E_NS1_11comp_targetILNS1_3genE10ELNS1_11target_archE1200ELNS1_3gpuE4ELNS1_3repE0EEENS1_30default_config_static_selectorELNS0_4arch9wavefront6targetE0EEEvT1_
	.globl	_ZN7rocprim17ROCPRIM_400000_NS6detail17trampoline_kernelINS0_14default_configENS1_27scan_by_key_config_selectorIj11FixedVectorIiLj4EEEEZZNS1_16scan_by_key_implILNS1_25lookback_scan_determinismE0ELb0ES3_N6thrust23THRUST_200600_302600_NS6detail15normal_iteratorINSB_10device_ptrIjEEEENSD_INSE_IS6_EEEESI_S6_NSB_4plusIvEENSB_8equal_toIvEES6_EE10hipError_tPvRmT2_T3_T4_T5_mT6_T7_P12ihipStream_tbENKUlT_T0_E_clISt17integral_constantIbLb0EES12_IbLb1EEEEDaSY_SZ_EUlSY_E_NS1_11comp_targetILNS1_3genE10ELNS1_11target_archE1200ELNS1_3gpuE4ELNS1_3repE0EEENS1_30default_config_static_selectorELNS0_4arch9wavefront6targetE0EEEvT1_
	.p2align	8
	.type	_ZN7rocprim17ROCPRIM_400000_NS6detail17trampoline_kernelINS0_14default_configENS1_27scan_by_key_config_selectorIj11FixedVectorIiLj4EEEEZZNS1_16scan_by_key_implILNS1_25lookback_scan_determinismE0ELb0ES3_N6thrust23THRUST_200600_302600_NS6detail15normal_iteratorINSB_10device_ptrIjEEEENSD_INSE_IS6_EEEESI_S6_NSB_4plusIvEENSB_8equal_toIvEES6_EE10hipError_tPvRmT2_T3_T4_T5_mT6_T7_P12ihipStream_tbENKUlT_T0_E_clISt17integral_constantIbLb0EES12_IbLb1EEEEDaSY_SZ_EUlSY_E_NS1_11comp_targetILNS1_3genE10ELNS1_11target_archE1200ELNS1_3gpuE4ELNS1_3repE0EEENS1_30default_config_static_selectorELNS0_4arch9wavefront6targetE0EEEvT1_,@function
_ZN7rocprim17ROCPRIM_400000_NS6detail17trampoline_kernelINS0_14default_configENS1_27scan_by_key_config_selectorIj11FixedVectorIiLj4EEEEZZNS1_16scan_by_key_implILNS1_25lookback_scan_determinismE0ELb0ES3_N6thrust23THRUST_200600_302600_NS6detail15normal_iteratorINSB_10device_ptrIjEEEENSD_INSE_IS6_EEEESI_S6_NSB_4plusIvEENSB_8equal_toIvEES6_EE10hipError_tPvRmT2_T3_T4_T5_mT6_T7_P12ihipStream_tbENKUlT_T0_E_clISt17integral_constantIbLb0EES12_IbLb1EEEEDaSY_SZ_EUlSY_E_NS1_11comp_targetILNS1_3genE10ELNS1_11target_archE1200ELNS1_3gpuE4ELNS1_3repE0EEENS1_30default_config_static_selectorELNS0_4arch9wavefront6targetE0EEEvT1_: ; @_ZN7rocprim17ROCPRIM_400000_NS6detail17trampoline_kernelINS0_14default_configENS1_27scan_by_key_config_selectorIj11FixedVectorIiLj4EEEEZZNS1_16scan_by_key_implILNS1_25lookback_scan_determinismE0ELb0ES3_N6thrust23THRUST_200600_302600_NS6detail15normal_iteratorINSB_10device_ptrIjEEEENSD_INSE_IS6_EEEESI_S6_NSB_4plusIvEENSB_8equal_toIvEES6_EE10hipError_tPvRmT2_T3_T4_T5_mT6_T7_P12ihipStream_tbENKUlT_T0_E_clISt17integral_constantIbLb0EES12_IbLb1EEEEDaSY_SZ_EUlSY_E_NS1_11comp_targetILNS1_3genE10ELNS1_11target_archE1200ELNS1_3gpuE4ELNS1_3repE0EEENS1_30default_config_static_selectorELNS0_4arch9wavefront6targetE0EEEvT1_
; %bb.0:
	.section	.rodata,"a",@progbits
	.p2align	6, 0x0
	.amdhsa_kernel _ZN7rocprim17ROCPRIM_400000_NS6detail17trampoline_kernelINS0_14default_configENS1_27scan_by_key_config_selectorIj11FixedVectorIiLj4EEEEZZNS1_16scan_by_key_implILNS1_25lookback_scan_determinismE0ELb0ES3_N6thrust23THRUST_200600_302600_NS6detail15normal_iteratorINSB_10device_ptrIjEEEENSD_INSE_IS6_EEEESI_S6_NSB_4plusIvEENSB_8equal_toIvEES6_EE10hipError_tPvRmT2_T3_T4_T5_mT6_T7_P12ihipStream_tbENKUlT_T0_E_clISt17integral_constantIbLb0EES12_IbLb1EEEEDaSY_SZ_EUlSY_E_NS1_11comp_targetILNS1_3genE10ELNS1_11target_archE1200ELNS1_3gpuE4ELNS1_3repE0EEENS1_30default_config_static_selectorELNS0_4arch9wavefront6targetE0EEEvT1_
		.amdhsa_group_segment_fixed_size 0
		.amdhsa_private_segment_fixed_size 0
		.amdhsa_kernarg_size 144
		.amdhsa_user_sgpr_count 6
		.amdhsa_user_sgpr_private_segment_buffer 1
		.amdhsa_user_sgpr_dispatch_ptr 0
		.amdhsa_user_sgpr_queue_ptr 0
		.amdhsa_user_sgpr_kernarg_segment_ptr 1
		.amdhsa_user_sgpr_dispatch_id 0
		.amdhsa_user_sgpr_flat_scratch_init 0
		.amdhsa_user_sgpr_private_segment_size 0
		.amdhsa_wavefront_size32 1
		.amdhsa_uses_dynamic_stack 0
		.amdhsa_system_sgpr_private_segment_wavefront_offset 0
		.amdhsa_system_sgpr_workgroup_id_x 1
		.amdhsa_system_sgpr_workgroup_id_y 0
		.amdhsa_system_sgpr_workgroup_id_z 0
		.amdhsa_system_sgpr_workgroup_info 0
		.amdhsa_system_vgpr_workitem_id 0
		.amdhsa_next_free_vgpr 1
		.amdhsa_next_free_sgpr 1
		.amdhsa_reserve_vcc 0
		.amdhsa_reserve_flat_scratch 0
		.amdhsa_float_round_mode_32 0
		.amdhsa_float_round_mode_16_64 0
		.amdhsa_float_denorm_mode_32 3
		.amdhsa_float_denorm_mode_16_64 3
		.amdhsa_dx10_clamp 1
		.amdhsa_ieee_mode 1
		.amdhsa_fp16_overflow 0
		.amdhsa_workgroup_processor_mode 1
		.amdhsa_memory_ordered 1
		.amdhsa_forward_progress 1
		.amdhsa_shared_vgpr_count 0
		.amdhsa_exception_fp_ieee_invalid_op 0
		.amdhsa_exception_fp_denorm_src 0
		.amdhsa_exception_fp_ieee_div_zero 0
		.amdhsa_exception_fp_ieee_overflow 0
		.amdhsa_exception_fp_ieee_underflow 0
		.amdhsa_exception_fp_ieee_inexact 0
		.amdhsa_exception_int_div_zero 0
	.end_amdhsa_kernel
	.section	.text._ZN7rocprim17ROCPRIM_400000_NS6detail17trampoline_kernelINS0_14default_configENS1_27scan_by_key_config_selectorIj11FixedVectorIiLj4EEEEZZNS1_16scan_by_key_implILNS1_25lookback_scan_determinismE0ELb0ES3_N6thrust23THRUST_200600_302600_NS6detail15normal_iteratorINSB_10device_ptrIjEEEENSD_INSE_IS6_EEEESI_S6_NSB_4plusIvEENSB_8equal_toIvEES6_EE10hipError_tPvRmT2_T3_T4_T5_mT6_T7_P12ihipStream_tbENKUlT_T0_E_clISt17integral_constantIbLb0EES12_IbLb1EEEEDaSY_SZ_EUlSY_E_NS1_11comp_targetILNS1_3genE10ELNS1_11target_archE1200ELNS1_3gpuE4ELNS1_3repE0EEENS1_30default_config_static_selectorELNS0_4arch9wavefront6targetE0EEEvT1_,"axG",@progbits,_ZN7rocprim17ROCPRIM_400000_NS6detail17trampoline_kernelINS0_14default_configENS1_27scan_by_key_config_selectorIj11FixedVectorIiLj4EEEEZZNS1_16scan_by_key_implILNS1_25lookback_scan_determinismE0ELb0ES3_N6thrust23THRUST_200600_302600_NS6detail15normal_iteratorINSB_10device_ptrIjEEEENSD_INSE_IS6_EEEESI_S6_NSB_4plusIvEENSB_8equal_toIvEES6_EE10hipError_tPvRmT2_T3_T4_T5_mT6_T7_P12ihipStream_tbENKUlT_T0_E_clISt17integral_constantIbLb0EES12_IbLb1EEEEDaSY_SZ_EUlSY_E_NS1_11comp_targetILNS1_3genE10ELNS1_11target_archE1200ELNS1_3gpuE4ELNS1_3repE0EEENS1_30default_config_static_selectorELNS0_4arch9wavefront6targetE0EEEvT1_,comdat
.Lfunc_end2072:
	.size	_ZN7rocprim17ROCPRIM_400000_NS6detail17trampoline_kernelINS0_14default_configENS1_27scan_by_key_config_selectorIj11FixedVectorIiLj4EEEEZZNS1_16scan_by_key_implILNS1_25lookback_scan_determinismE0ELb0ES3_N6thrust23THRUST_200600_302600_NS6detail15normal_iteratorINSB_10device_ptrIjEEEENSD_INSE_IS6_EEEESI_S6_NSB_4plusIvEENSB_8equal_toIvEES6_EE10hipError_tPvRmT2_T3_T4_T5_mT6_T7_P12ihipStream_tbENKUlT_T0_E_clISt17integral_constantIbLb0EES12_IbLb1EEEEDaSY_SZ_EUlSY_E_NS1_11comp_targetILNS1_3genE10ELNS1_11target_archE1200ELNS1_3gpuE4ELNS1_3repE0EEENS1_30default_config_static_selectorELNS0_4arch9wavefront6targetE0EEEvT1_, .Lfunc_end2072-_ZN7rocprim17ROCPRIM_400000_NS6detail17trampoline_kernelINS0_14default_configENS1_27scan_by_key_config_selectorIj11FixedVectorIiLj4EEEEZZNS1_16scan_by_key_implILNS1_25lookback_scan_determinismE0ELb0ES3_N6thrust23THRUST_200600_302600_NS6detail15normal_iteratorINSB_10device_ptrIjEEEENSD_INSE_IS6_EEEESI_S6_NSB_4plusIvEENSB_8equal_toIvEES6_EE10hipError_tPvRmT2_T3_T4_T5_mT6_T7_P12ihipStream_tbENKUlT_T0_E_clISt17integral_constantIbLb0EES12_IbLb1EEEEDaSY_SZ_EUlSY_E_NS1_11comp_targetILNS1_3genE10ELNS1_11target_archE1200ELNS1_3gpuE4ELNS1_3repE0EEENS1_30default_config_static_selectorELNS0_4arch9wavefront6targetE0EEEvT1_
                                        ; -- End function
	.set _ZN7rocprim17ROCPRIM_400000_NS6detail17trampoline_kernelINS0_14default_configENS1_27scan_by_key_config_selectorIj11FixedVectorIiLj4EEEEZZNS1_16scan_by_key_implILNS1_25lookback_scan_determinismE0ELb0ES3_N6thrust23THRUST_200600_302600_NS6detail15normal_iteratorINSB_10device_ptrIjEEEENSD_INSE_IS6_EEEESI_S6_NSB_4plusIvEENSB_8equal_toIvEES6_EE10hipError_tPvRmT2_T3_T4_T5_mT6_T7_P12ihipStream_tbENKUlT_T0_E_clISt17integral_constantIbLb0EES12_IbLb1EEEEDaSY_SZ_EUlSY_E_NS1_11comp_targetILNS1_3genE10ELNS1_11target_archE1200ELNS1_3gpuE4ELNS1_3repE0EEENS1_30default_config_static_selectorELNS0_4arch9wavefront6targetE0EEEvT1_.num_vgpr, 0
	.set _ZN7rocprim17ROCPRIM_400000_NS6detail17trampoline_kernelINS0_14default_configENS1_27scan_by_key_config_selectorIj11FixedVectorIiLj4EEEEZZNS1_16scan_by_key_implILNS1_25lookback_scan_determinismE0ELb0ES3_N6thrust23THRUST_200600_302600_NS6detail15normal_iteratorINSB_10device_ptrIjEEEENSD_INSE_IS6_EEEESI_S6_NSB_4plusIvEENSB_8equal_toIvEES6_EE10hipError_tPvRmT2_T3_T4_T5_mT6_T7_P12ihipStream_tbENKUlT_T0_E_clISt17integral_constantIbLb0EES12_IbLb1EEEEDaSY_SZ_EUlSY_E_NS1_11comp_targetILNS1_3genE10ELNS1_11target_archE1200ELNS1_3gpuE4ELNS1_3repE0EEENS1_30default_config_static_selectorELNS0_4arch9wavefront6targetE0EEEvT1_.num_agpr, 0
	.set _ZN7rocprim17ROCPRIM_400000_NS6detail17trampoline_kernelINS0_14default_configENS1_27scan_by_key_config_selectorIj11FixedVectorIiLj4EEEEZZNS1_16scan_by_key_implILNS1_25lookback_scan_determinismE0ELb0ES3_N6thrust23THRUST_200600_302600_NS6detail15normal_iteratorINSB_10device_ptrIjEEEENSD_INSE_IS6_EEEESI_S6_NSB_4plusIvEENSB_8equal_toIvEES6_EE10hipError_tPvRmT2_T3_T4_T5_mT6_T7_P12ihipStream_tbENKUlT_T0_E_clISt17integral_constantIbLb0EES12_IbLb1EEEEDaSY_SZ_EUlSY_E_NS1_11comp_targetILNS1_3genE10ELNS1_11target_archE1200ELNS1_3gpuE4ELNS1_3repE0EEENS1_30default_config_static_selectorELNS0_4arch9wavefront6targetE0EEEvT1_.numbered_sgpr, 0
	.set _ZN7rocprim17ROCPRIM_400000_NS6detail17trampoline_kernelINS0_14default_configENS1_27scan_by_key_config_selectorIj11FixedVectorIiLj4EEEEZZNS1_16scan_by_key_implILNS1_25lookback_scan_determinismE0ELb0ES3_N6thrust23THRUST_200600_302600_NS6detail15normal_iteratorINSB_10device_ptrIjEEEENSD_INSE_IS6_EEEESI_S6_NSB_4plusIvEENSB_8equal_toIvEES6_EE10hipError_tPvRmT2_T3_T4_T5_mT6_T7_P12ihipStream_tbENKUlT_T0_E_clISt17integral_constantIbLb0EES12_IbLb1EEEEDaSY_SZ_EUlSY_E_NS1_11comp_targetILNS1_3genE10ELNS1_11target_archE1200ELNS1_3gpuE4ELNS1_3repE0EEENS1_30default_config_static_selectorELNS0_4arch9wavefront6targetE0EEEvT1_.num_named_barrier, 0
	.set _ZN7rocprim17ROCPRIM_400000_NS6detail17trampoline_kernelINS0_14default_configENS1_27scan_by_key_config_selectorIj11FixedVectorIiLj4EEEEZZNS1_16scan_by_key_implILNS1_25lookback_scan_determinismE0ELb0ES3_N6thrust23THRUST_200600_302600_NS6detail15normal_iteratorINSB_10device_ptrIjEEEENSD_INSE_IS6_EEEESI_S6_NSB_4plusIvEENSB_8equal_toIvEES6_EE10hipError_tPvRmT2_T3_T4_T5_mT6_T7_P12ihipStream_tbENKUlT_T0_E_clISt17integral_constantIbLb0EES12_IbLb1EEEEDaSY_SZ_EUlSY_E_NS1_11comp_targetILNS1_3genE10ELNS1_11target_archE1200ELNS1_3gpuE4ELNS1_3repE0EEENS1_30default_config_static_selectorELNS0_4arch9wavefront6targetE0EEEvT1_.private_seg_size, 0
	.set _ZN7rocprim17ROCPRIM_400000_NS6detail17trampoline_kernelINS0_14default_configENS1_27scan_by_key_config_selectorIj11FixedVectorIiLj4EEEEZZNS1_16scan_by_key_implILNS1_25lookback_scan_determinismE0ELb0ES3_N6thrust23THRUST_200600_302600_NS6detail15normal_iteratorINSB_10device_ptrIjEEEENSD_INSE_IS6_EEEESI_S6_NSB_4plusIvEENSB_8equal_toIvEES6_EE10hipError_tPvRmT2_T3_T4_T5_mT6_T7_P12ihipStream_tbENKUlT_T0_E_clISt17integral_constantIbLb0EES12_IbLb1EEEEDaSY_SZ_EUlSY_E_NS1_11comp_targetILNS1_3genE10ELNS1_11target_archE1200ELNS1_3gpuE4ELNS1_3repE0EEENS1_30default_config_static_selectorELNS0_4arch9wavefront6targetE0EEEvT1_.uses_vcc, 0
	.set _ZN7rocprim17ROCPRIM_400000_NS6detail17trampoline_kernelINS0_14default_configENS1_27scan_by_key_config_selectorIj11FixedVectorIiLj4EEEEZZNS1_16scan_by_key_implILNS1_25lookback_scan_determinismE0ELb0ES3_N6thrust23THRUST_200600_302600_NS6detail15normal_iteratorINSB_10device_ptrIjEEEENSD_INSE_IS6_EEEESI_S6_NSB_4plusIvEENSB_8equal_toIvEES6_EE10hipError_tPvRmT2_T3_T4_T5_mT6_T7_P12ihipStream_tbENKUlT_T0_E_clISt17integral_constantIbLb0EES12_IbLb1EEEEDaSY_SZ_EUlSY_E_NS1_11comp_targetILNS1_3genE10ELNS1_11target_archE1200ELNS1_3gpuE4ELNS1_3repE0EEENS1_30default_config_static_selectorELNS0_4arch9wavefront6targetE0EEEvT1_.uses_flat_scratch, 0
	.set _ZN7rocprim17ROCPRIM_400000_NS6detail17trampoline_kernelINS0_14default_configENS1_27scan_by_key_config_selectorIj11FixedVectorIiLj4EEEEZZNS1_16scan_by_key_implILNS1_25lookback_scan_determinismE0ELb0ES3_N6thrust23THRUST_200600_302600_NS6detail15normal_iteratorINSB_10device_ptrIjEEEENSD_INSE_IS6_EEEESI_S6_NSB_4plusIvEENSB_8equal_toIvEES6_EE10hipError_tPvRmT2_T3_T4_T5_mT6_T7_P12ihipStream_tbENKUlT_T0_E_clISt17integral_constantIbLb0EES12_IbLb1EEEEDaSY_SZ_EUlSY_E_NS1_11comp_targetILNS1_3genE10ELNS1_11target_archE1200ELNS1_3gpuE4ELNS1_3repE0EEENS1_30default_config_static_selectorELNS0_4arch9wavefront6targetE0EEEvT1_.has_dyn_sized_stack, 0
	.set _ZN7rocprim17ROCPRIM_400000_NS6detail17trampoline_kernelINS0_14default_configENS1_27scan_by_key_config_selectorIj11FixedVectorIiLj4EEEEZZNS1_16scan_by_key_implILNS1_25lookback_scan_determinismE0ELb0ES3_N6thrust23THRUST_200600_302600_NS6detail15normal_iteratorINSB_10device_ptrIjEEEENSD_INSE_IS6_EEEESI_S6_NSB_4plusIvEENSB_8equal_toIvEES6_EE10hipError_tPvRmT2_T3_T4_T5_mT6_T7_P12ihipStream_tbENKUlT_T0_E_clISt17integral_constantIbLb0EES12_IbLb1EEEEDaSY_SZ_EUlSY_E_NS1_11comp_targetILNS1_3genE10ELNS1_11target_archE1200ELNS1_3gpuE4ELNS1_3repE0EEENS1_30default_config_static_selectorELNS0_4arch9wavefront6targetE0EEEvT1_.has_recursion, 0
	.set _ZN7rocprim17ROCPRIM_400000_NS6detail17trampoline_kernelINS0_14default_configENS1_27scan_by_key_config_selectorIj11FixedVectorIiLj4EEEEZZNS1_16scan_by_key_implILNS1_25lookback_scan_determinismE0ELb0ES3_N6thrust23THRUST_200600_302600_NS6detail15normal_iteratorINSB_10device_ptrIjEEEENSD_INSE_IS6_EEEESI_S6_NSB_4plusIvEENSB_8equal_toIvEES6_EE10hipError_tPvRmT2_T3_T4_T5_mT6_T7_P12ihipStream_tbENKUlT_T0_E_clISt17integral_constantIbLb0EES12_IbLb1EEEEDaSY_SZ_EUlSY_E_NS1_11comp_targetILNS1_3genE10ELNS1_11target_archE1200ELNS1_3gpuE4ELNS1_3repE0EEENS1_30default_config_static_selectorELNS0_4arch9wavefront6targetE0EEEvT1_.has_indirect_call, 0
	.section	.AMDGPU.csdata,"",@progbits
; Kernel info:
; codeLenInByte = 0
; TotalNumSgprs: 0
; NumVgprs: 0
; ScratchSize: 0
; MemoryBound: 0
; FloatMode: 240
; IeeeMode: 1
; LDSByteSize: 0 bytes/workgroup (compile time only)
; SGPRBlocks: 0
; VGPRBlocks: 0
; NumSGPRsForWavesPerEU: 1
; NumVGPRsForWavesPerEU: 1
; Occupancy: 16
; WaveLimiterHint : 0
; COMPUTE_PGM_RSRC2:SCRATCH_EN: 0
; COMPUTE_PGM_RSRC2:USER_SGPR: 6
; COMPUTE_PGM_RSRC2:TRAP_HANDLER: 0
; COMPUTE_PGM_RSRC2:TGID_X_EN: 1
; COMPUTE_PGM_RSRC2:TGID_Y_EN: 0
; COMPUTE_PGM_RSRC2:TGID_Z_EN: 0
; COMPUTE_PGM_RSRC2:TIDIG_COMP_CNT: 0
	.section	.text._ZN7rocprim17ROCPRIM_400000_NS6detail17trampoline_kernelINS0_14default_configENS1_27scan_by_key_config_selectorIj11FixedVectorIiLj4EEEEZZNS1_16scan_by_key_implILNS1_25lookback_scan_determinismE0ELb0ES3_N6thrust23THRUST_200600_302600_NS6detail15normal_iteratorINSB_10device_ptrIjEEEENSD_INSE_IS6_EEEESI_S6_NSB_4plusIvEENSB_8equal_toIvEES6_EE10hipError_tPvRmT2_T3_T4_T5_mT6_T7_P12ihipStream_tbENKUlT_T0_E_clISt17integral_constantIbLb0EES12_IbLb1EEEEDaSY_SZ_EUlSY_E_NS1_11comp_targetILNS1_3genE9ELNS1_11target_archE1100ELNS1_3gpuE3ELNS1_3repE0EEENS1_30default_config_static_selectorELNS0_4arch9wavefront6targetE0EEEvT1_,"axG",@progbits,_ZN7rocprim17ROCPRIM_400000_NS6detail17trampoline_kernelINS0_14default_configENS1_27scan_by_key_config_selectorIj11FixedVectorIiLj4EEEEZZNS1_16scan_by_key_implILNS1_25lookback_scan_determinismE0ELb0ES3_N6thrust23THRUST_200600_302600_NS6detail15normal_iteratorINSB_10device_ptrIjEEEENSD_INSE_IS6_EEEESI_S6_NSB_4plusIvEENSB_8equal_toIvEES6_EE10hipError_tPvRmT2_T3_T4_T5_mT6_T7_P12ihipStream_tbENKUlT_T0_E_clISt17integral_constantIbLb0EES12_IbLb1EEEEDaSY_SZ_EUlSY_E_NS1_11comp_targetILNS1_3genE9ELNS1_11target_archE1100ELNS1_3gpuE3ELNS1_3repE0EEENS1_30default_config_static_selectorELNS0_4arch9wavefront6targetE0EEEvT1_,comdat
	.protected	_ZN7rocprim17ROCPRIM_400000_NS6detail17trampoline_kernelINS0_14default_configENS1_27scan_by_key_config_selectorIj11FixedVectorIiLj4EEEEZZNS1_16scan_by_key_implILNS1_25lookback_scan_determinismE0ELb0ES3_N6thrust23THRUST_200600_302600_NS6detail15normal_iteratorINSB_10device_ptrIjEEEENSD_INSE_IS6_EEEESI_S6_NSB_4plusIvEENSB_8equal_toIvEES6_EE10hipError_tPvRmT2_T3_T4_T5_mT6_T7_P12ihipStream_tbENKUlT_T0_E_clISt17integral_constantIbLb0EES12_IbLb1EEEEDaSY_SZ_EUlSY_E_NS1_11comp_targetILNS1_3genE9ELNS1_11target_archE1100ELNS1_3gpuE3ELNS1_3repE0EEENS1_30default_config_static_selectorELNS0_4arch9wavefront6targetE0EEEvT1_ ; -- Begin function _ZN7rocprim17ROCPRIM_400000_NS6detail17trampoline_kernelINS0_14default_configENS1_27scan_by_key_config_selectorIj11FixedVectorIiLj4EEEEZZNS1_16scan_by_key_implILNS1_25lookback_scan_determinismE0ELb0ES3_N6thrust23THRUST_200600_302600_NS6detail15normal_iteratorINSB_10device_ptrIjEEEENSD_INSE_IS6_EEEESI_S6_NSB_4plusIvEENSB_8equal_toIvEES6_EE10hipError_tPvRmT2_T3_T4_T5_mT6_T7_P12ihipStream_tbENKUlT_T0_E_clISt17integral_constantIbLb0EES12_IbLb1EEEEDaSY_SZ_EUlSY_E_NS1_11comp_targetILNS1_3genE9ELNS1_11target_archE1100ELNS1_3gpuE3ELNS1_3repE0EEENS1_30default_config_static_selectorELNS0_4arch9wavefront6targetE0EEEvT1_
	.globl	_ZN7rocprim17ROCPRIM_400000_NS6detail17trampoline_kernelINS0_14default_configENS1_27scan_by_key_config_selectorIj11FixedVectorIiLj4EEEEZZNS1_16scan_by_key_implILNS1_25lookback_scan_determinismE0ELb0ES3_N6thrust23THRUST_200600_302600_NS6detail15normal_iteratorINSB_10device_ptrIjEEEENSD_INSE_IS6_EEEESI_S6_NSB_4plusIvEENSB_8equal_toIvEES6_EE10hipError_tPvRmT2_T3_T4_T5_mT6_T7_P12ihipStream_tbENKUlT_T0_E_clISt17integral_constantIbLb0EES12_IbLb1EEEEDaSY_SZ_EUlSY_E_NS1_11comp_targetILNS1_3genE9ELNS1_11target_archE1100ELNS1_3gpuE3ELNS1_3repE0EEENS1_30default_config_static_selectorELNS0_4arch9wavefront6targetE0EEEvT1_
	.p2align	8
	.type	_ZN7rocprim17ROCPRIM_400000_NS6detail17trampoline_kernelINS0_14default_configENS1_27scan_by_key_config_selectorIj11FixedVectorIiLj4EEEEZZNS1_16scan_by_key_implILNS1_25lookback_scan_determinismE0ELb0ES3_N6thrust23THRUST_200600_302600_NS6detail15normal_iteratorINSB_10device_ptrIjEEEENSD_INSE_IS6_EEEESI_S6_NSB_4plusIvEENSB_8equal_toIvEES6_EE10hipError_tPvRmT2_T3_T4_T5_mT6_T7_P12ihipStream_tbENKUlT_T0_E_clISt17integral_constantIbLb0EES12_IbLb1EEEEDaSY_SZ_EUlSY_E_NS1_11comp_targetILNS1_3genE9ELNS1_11target_archE1100ELNS1_3gpuE3ELNS1_3repE0EEENS1_30default_config_static_selectorELNS0_4arch9wavefront6targetE0EEEvT1_,@function
_ZN7rocprim17ROCPRIM_400000_NS6detail17trampoline_kernelINS0_14default_configENS1_27scan_by_key_config_selectorIj11FixedVectorIiLj4EEEEZZNS1_16scan_by_key_implILNS1_25lookback_scan_determinismE0ELb0ES3_N6thrust23THRUST_200600_302600_NS6detail15normal_iteratorINSB_10device_ptrIjEEEENSD_INSE_IS6_EEEESI_S6_NSB_4plusIvEENSB_8equal_toIvEES6_EE10hipError_tPvRmT2_T3_T4_T5_mT6_T7_P12ihipStream_tbENKUlT_T0_E_clISt17integral_constantIbLb0EES12_IbLb1EEEEDaSY_SZ_EUlSY_E_NS1_11comp_targetILNS1_3genE9ELNS1_11target_archE1100ELNS1_3gpuE3ELNS1_3repE0EEENS1_30default_config_static_selectorELNS0_4arch9wavefront6targetE0EEEvT1_: ; @_ZN7rocprim17ROCPRIM_400000_NS6detail17trampoline_kernelINS0_14default_configENS1_27scan_by_key_config_selectorIj11FixedVectorIiLj4EEEEZZNS1_16scan_by_key_implILNS1_25lookback_scan_determinismE0ELb0ES3_N6thrust23THRUST_200600_302600_NS6detail15normal_iteratorINSB_10device_ptrIjEEEENSD_INSE_IS6_EEEESI_S6_NSB_4plusIvEENSB_8equal_toIvEES6_EE10hipError_tPvRmT2_T3_T4_T5_mT6_T7_P12ihipStream_tbENKUlT_T0_E_clISt17integral_constantIbLb0EES12_IbLb1EEEEDaSY_SZ_EUlSY_E_NS1_11comp_targetILNS1_3genE9ELNS1_11target_archE1100ELNS1_3gpuE3ELNS1_3repE0EEENS1_30default_config_static_selectorELNS0_4arch9wavefront6targetE0EEEvT1_
; %bb.0:
	.section	.rodata,"a",@progbits
	.p2align	6, 0x0
	.amdhsa_kernel _ZN7rocprim17ROCPRIM_400000_NS6detail17trampoline_kernelINS0_14default_configENS1_27scan_by_key_config_selectorIj11FixedVectorIiLj4EEEEZZNS1_16scan_by_key_implILNS1_25lookback_scan_determinismE0ELb0ES3_N6thrust23THRUST_200600_302600_NS6detail15normal_iteratorINSB_10device_ptrIjEEEENSD_INSE_IS6_EEEESI_S6_NSB_4plusIvEENSB_8equal_toIvEES6_EE10hipError_tPvRmT2_T3_T4_T5_mT6_T7_P12ihipStream_tbENKUlT_T0_E_clISt17integral_constantIbLb0EES12_IbLb1EEEEDaSY_SZ_EUlSY_E_NS1_11comp_targetILNS1_3genE9ELNS1_11target_archE1100ELNS1_3gpuE3ELNS1_3repE0EEENS1_30default_config_static_selectorELNS0_4arch9wavefront6targetE0EEEvT1_
		.amdhsa_group_segment_fixed_size 0
		.amdhsa_private_segment_fixed_size 0
		.amdhsa_kernarg_size 144
		.amdhsa_user_sgpr_count 6
		.amdhsa_user_sgpr_private_segment_buffer 1
		.amdhsa_user_sgpr_dispatch_ptr 0
		.amdhsa_user_sgpr_queue_ptr 0
		.amdhsa_user_sgpr_kernarg_segment_ptr 1
		.amdhsa_user_sgpr_dispatch_id 0
		.amdhsa_user_sgpr_flat_scratch_init 0
		.amdhsa_user_sgpr_private_segment_size 0
		.amdhsa_wavefront_size32 1
		.amdhsa_uses_dynamic_stack 0
		.amdhsa_system_sgpr_private_segment_wavefront_offset 0
		.amdhsa_system_sgpr_workgroup_id_x 1
		.amdhsa_system_sgpr_workgroup_id_y 0
		.amdhsa_system_sgpr_workgroup_id_z 0
		.amdhsa_system_sgpr_workgroup_info 0
		.amdhsa_system_vgpr_workitem_id 0
		.amdhsa_next_free_vgpr 1
		.amdhsa_next_free_sgpr 1
		.amdhsa_reserve_vcc 0
		.amdhsa_reserve_flat_scratch 0
		.amdhsa_float_round_mode_32 0
		.amdhsa_float_round_mode_16_64 0
		.amdhsa_float_denorm_mode_32 3
		.amdhsa_float_denorm_mode_16_64 3
		.amdhsa_dx10_clamp 1
		.amdhsa_ieee_mode 1
		.amdhsa_fp16_overflow 0
		.amdhsa_workgroup_processor_mode 1
		.amdhsa_memory_ordered 1
		.amdhsa_forward_progress 1
		.amdhsa_shared_vgpr_count 0
		.amdhsa_exception_fp_ieee_invalid_op 0
		.amdhsa_exception_fp_denorm_src 0
		.amdhsa_exception_fp_ieee_div_zero 0
		.amdhsa_exception_fp_ieee_overflow 0
		.amdhsa_exception_fp_ieee_underflow 0
		.amdhsa_exception_fp_ieee_inexact 0
		.amdhsa_exception_int_div_zero 0
	.end_amdhsa_kernel
	.section	.text._ZN7rocprim17ROCPRIM_400000_NS6detail17trampoline_kernelINS0_14default_configENS1_27scan_by_key_config_selectorIj11FixedVectorIiLj4EEEEZZNS1_16scan_by_key_implILNS1_25lookback_scan_determinismE0ELb0ES3_N6thrust23THRUST_200600_302600_NS6detail15normal_iteratorINSB_10device_ptrIjEEEENSD_INSE_IS6_EEEESI_S6_NSB_4plusIvEENSB_8equal_toIvEES6_EE10hipError_tPvRmT2_T3_T4_T5_mT6_T7_P12ihipStream_tbENKUlT_T0_E_clISt17integral_constantIbLb0EES12_IbLb1EEEEDaSY_SZ_EUlSY_E_NS1_11comp_targetILNS1_3genE9ELNS1_11target_archE1100ELNS1_3gpuE3ELNS1_3repE0EEENS1_30default_config_static_selectorELNS0_4arch9wavefront6targetE0EEEvT1_,"axG",@progbits,_ZN7rocprim17ROCPRIM_400000_NS6detail17trampoline_kernelINS0_14default_configENS1_27scan_by_key_config_selectorIj11FixedVectorIiLj4EEEEZZNS1_16scan_by_key_implILNS1_25lookback_scan_determinismE0ELb0ES3_N6thrust23THRUST_200600_302600_NS6detail15normal_iteratorINSB_10device_ptrIjEEEENSD_INSE_IS6_EEEESI_S6_NSB_4plusIvEENSB_8equal_toIvEES6_EE10hipError_tPvRmT2_T3_T4_T5_mT6_T7_P12ihipStream_tbENKUlT_T0_E_clISt17integral_constantIbLb0EES12_IbLb1EEEEDaSY_SZ_EUlSY_E_NS1_11comp_targetILNS1_3genE9ELNS1_11target_archE1100ELNS1_3gpuE3ELNS1_3repE0EEENS1_30default_config_static_selectorELNS0_4arch9wavefront6targetE0EEEvT1_,comdat
.Lfunc_end2073:
	.size	_ZN7rocprim17ROCPRIM_400000_NS6detail17trampoline_kernelINS0_14default_configENS1_27scan_by_key_config_selectorIj11FixedVectorIiLj4EEEEZZNS1_16scan_by_key_implILNS1_25lookback_scan_determinismE0ELb0ES3_N6thrust23THRUST_200600_302600_NS6detail15normal_iteratorINSB_10device_ptrIjEEEENSD_INSE_IS6_EEEESI_S6_NSB_4plusIvEENSB_8equal_toIvEES6_EE10hipError_tPvRmT2_T3_T4_T5_mT6_T7_P12ihipStream_tbENKUlT_T0_E_clISt17integral_constantIbLb0EES12_IbLb1EEEEDaSY_SZ_EUlSY_E_NS1_11comp_targetILNS1_3genE9ELNS1_11target_archE1100ELNS1_3gpuE3ELNS1_3repE0EEENS1_30default_config_static_selectorELNS0_4arch9wavefront6targetE0EEEvT1_, .Lfunc_end2073-_ZN7rocprim17ROCPRIM_400000_NS6detail17trampoline_kernelINS0_14default_configENS1_27scan_by_key_config_selectorIj11FixedVectorIiLj4EEEEZZNS1_16scan_by_key_implILNS1_25lookback_scan_determinismE0ELb0ES3_N6thrust23THRUST_200600_302600_NS6detail15normal_iteratorINSB_10device_ptrIjEEEENSD_INSE_IS6_EEEESI_S6_NSB_4plusIvEENSB_8equal_toIvEES6_EE10hipError_tPvRmT2_T3_T4_T5_mT6_T7_P12ihipStream_tbENKUlT_T0_E_clISt17integral_constantIbLb0EES12_IbLb1EEEEDaSY_SZ_EUlSY_E_NS1_11comp_targetILNS1_3genE9ELNS1_11target_archE1100ELNS1_3gpuE3ELNS1_3repE0EEENS1_30default_config_static_selectorELNS0_4arch9wavefront6targetE0EEEvT1_
                                        ; -- End function
	.set _ZN7rocprim17ROCPRIM_400000_NS6detail17trampoline_kernelINS0_14default_configENS1_27scan_by_key_config_selectorIj11FixedVectorIiLj4EEEEZZNS1_16scan_by_key_implILNS1_25lookback_scan_determinismE0ELb0ES3_N6thrust23THRUST_200600_302600_NS6detail15normal_iteratorINSB_10device_ptrIjEEEENSD_INSE_IS6_EEEESI_S6_NSB_4plusIvEENSB_8equal_toIvEES6_EE10hipError_tPvRmT2_T3_T4_T5_mT6_T7_P12ihipStream_tbENKUlT_T0_E_clISt17integral_constantIbLb0EES12_IbLb1EEEEDaSY_SZ_EUlSY_E_NS1_11comp_targetILNS1_3genE9ELNS1_11target_archE1100ELNS1_3gpuE3ELNS1_3repE0EEENS1_30default_config_static_selectorELNS0_4arch9wavefront6targetE0EEEvT1_.num_vgpr, 0
	.set _ZN7rocprim17ROCPRIM_400000_NS6detail17trampoline_kernelINS0_14default_configENS1_27scan_by_key_config_selectorIj11FixedVectorIiLj4EEEEZZNS1_16scan_by_key_implILNS1_25lookback_scan_determinismE0ELb0ES3_N6thrust23THRUST_200600_302600_NS6detail15normal_iteratorINSB_10device_ptrIjEEEENSD_INSE_IS6_EEEESI_S6_NSB_4plusIvEENSB_8equal_toIvEES6_EE10hipError_tPvRmT2_T3_T4_T5_mT6_T7_P12ihipStream_tbENKUlT_T0_E_clISt17integral_constantIbLb0EES12_IbLb1EEEEDaSY_SZ_EUlSY_E_NS1_11comp_targetILNS1_3genE9ELNS1_11target_archE1100ELNS1_3gpuE3ELNS1_3repE0EEENS1_30default_config_static_selectorELNS0_4arch9wavefront6targetE0EEEvT1_.num_agpr, 0
	.set _ZN7rocprim17ROCPRIM_400000_NS6detail17trampoline_kernelINS0_14default_configENS1_27scan_by_key_config_selectorIj11FixedVectorIiLj4EEEEZZNS1_16scan_by_key_implILNS1_25lookback_scan_determinismE0ELb0ES3_N6thrust23THRUST_200600_302600_NS6detail15normal_iteratorINSB_10device_ptrIjEEEENSD_INSE_IS6_EEEESI_S6_NSB_4plusIvEENSB_8equal_toIvEES6_EE10hipError_tPvRmT2_T3_T4_T5_mT6_T7_P12ihipStream_tbENKUlT_T0_E_clISt17integral_constantIbLb0EES12_IbLb1EEEEDaSY_SZ_EUlSY_E_NS1_11comp_targetILNS1_3genE9ELNS1_11target_archE1100ELNS1_3gpuE3ELNS1_3repE0EEENS1_30default_config_static_selectorELNS0_4arch9wavefront6targetE0EEEvT1_.numbered_sgpr, 0
	.set _ZN7rocprim17ROCPRIM_400000_NS6detail17trampoline_kernelINS0_14default_configENS1_27scan_by_key_config_selectorIj11FixedVectorIiLj4EEEEZZNS1_16scan_by_key_implILNS1_25lookback_scan_determinismE0ELb0ES3_N6thrust23THRUST_200600_302600_NS6detail15normal_iteratorINSB_10device_ptrIjEEEENSD_INSE_IS6_EEEESI_S6_NSB_4plusIvEENSB_8equal_toIvEES6_EE10hipError_tPvRmT2_T3_T4_T5_mT6_T7_P12ihipStream_tbENKUlT_T0_E_clISt17integral_constantIbLb0EES12_IbLb1EEEEDaSY_SZ_EUlSY_E_NS1_11comp_targetILNS1_3genE9ELNS1_11target_archE1100ELNS1_3gpuE3ELNS1_3repE0EEENS1_30default_config_static_selectorELNS0_4arch9wavefront6targetE0EEEvT1_.num_named_barrier, 0
	.set _ZN7rocprim17ROCPRIM_400000_NS6detail17trampoline_kernelINS0_14default_configENS1_27scan_by_key_config_selectorIj11FixedVectorIiLj4EEEEZZNS1_16scan_by_key_implILNS1_25lookback_scan_determinismE0ELb0ES3_N6thrust23THRUST_200600_302600_NS6detail15normal_iteratorINSB_10device_ptrIjEEEENSD_INSE_IS6_EEEESI_S6_NSB_4plusIvEENSB_8equal_toIvEES6_EE10hipError_tPvRmT2_T3_T4_T5_mT6_T7_P12ihipStream_tbENKUlT_T0_E_clISt17integral_constantIbLb0EES12_IbLb1EEEEDaSY_SZ_EUlSY_E_NS1_11comp_targetILNS1_3genE9ELNS1_11target_archE1100ELNS1_3gpuE3ELNS1_3repE0EEENS1_30default_config_static_selectorELNS0_4arch9wavefront6targetE0EEEvT1_.private_seg_size, 0
	.set _ZN7rocprim17ROCPRIM_400000_NS6detail17trampoline_kernelINS0_14default_configENS1_27scan_by_key_config_selectorIj11FixedVectorIiLj4EEEEZZNS1_16scan_by_key_implILNS1_25lookback_scan_determinismE0ELb0ES3_N6thrust23THRUST_200600_302600_NS6detail15normal_iteratorINSB_10device_ptrIjEEEENSD_INSE_IS6_EEEESI_S6_NSB_4plusIvEENSB_8equal_toIvEES6_EE10hipError_tPvRmT2_T3_T4_T5_mT6_T7_P12ihipStream_tbENKUlT_T0_E_clISt17integral_constantIbLb0EES12_IbLb1EEEEDaSY_SZ_EUlSY_E_NS1_11comp_targetILNS1_3genE9ELNS1_11target_archE1100ELNS1_3gpuE3ELNS1_3repE0EEENS1_30default_config_static_selectorELNS0_4arch9wavefront6targetE0EEEvT1_.uses_vcc, 0
	.set _ZN7rocprim17ROCPRIM_400000_NS6detail17trampoline_kernelINS0_14default_configENS1_27scan_by_key_config_selectorIj11FixedVectorIiLj4EEEEZZNS1_16scan_by_key_implILNS1_25lookback_scan_determinismE0ELb0ES3_N6thrust23THRUST_200600_302600_NS6detail15normal_iteratorINSB_10device_ptrIjEEEENSD_INSE_IS6_EEEESI_S6_NSB_4plusIvEENSB_8equal_toIvEES6_EE10hipError_tPvRmT2_T3_T4_T5_mT6_T7_P12ihipStream_tbENKUlT_T0_E_clISt17integral_constantIbLb0EES12_IbLb1EEEEDaSY_SZ_EUlSY_E_NS1_11comp_targetILNS1_3genE9ELNS1_11target_archE1100ELNS1_3gpuE3ELNS1_3repE0EEENS1_30default_config_static_selectorELNS0_4arch9wavefront6targetE0EEEvT1_.uses_flat_scratch, 0
	.set _ZN7rocprim17ROCPRIM_400000_NS6detail17trampoline_kernelINS0_14default_configENS1_27scan_by_key_config_selectorIj11FixedVectorIiLj4EEEEZZNS1_16scan_by_key_implILNS1_25lookback_scan_determinismE0ELb0ES3_N6thrust23THRUST_200600_302600_NS6detail15normal_iteratorINSB_10device_ptrIjEEEENSD_INSE_IS6_EEEESI_S6_NSB_4plusIvEENSB_8equal_toIvEES6_EE10hipError_tPvRmT2_T3_T4_T5_mT6_T7_P12ihipStream_tbENKUlT_T0_E_clISt17integral_constantIbLb0EES12_IbLb1EEEEDaSY_SZ_EUlSY_E_NS1_11comp_targetILNS1_3genE9ELNS1_11target_archE1100ELNS1_3gpuE3ELNS1_3repE0EEENS1_30default_config_static_selectorELNS0_4arch9wavefront6targetE0EEEvT1_.has_dyn_sized_stack, 0
	.set _ZN7rocprim17ROCPRIM_400000_NS6detail17trampoline_kernelINS0_14default_configENS1_27scan_by_key_config_selectorIj11FixedVectorIiLj4EEEEZZNS1_16scan_by_key_implILNS1_25lookback_scan_determinismE0ELb0ES3_N6thrust23THRUST_200600_302600_NS6detail15normal_iteratorINSB_10device_ptrIjEEEENSD_INSE_IS6_EEEESI_S6_NSB_4plusIvEENSB_8equal_toIvEES6_EE10hipError_tPvRmT2_T3_T4_T5_mT6_T7_P12ihipStream_tbENKUlT_T0_E_clISt17integral_constantIbLb0EES12_IbLb1EEEEDaSY_SZ_EUlSY_E_NS1_11comp_targetILNS1_3genE9ELNS1_11target_archE1100ELNS1_3gpuE3ELNS1_3repE0EEENS1_30default_config_static_selectorELNS0_4arch9wavefront6targetE0EEEvT1_.has_recursion, 0
	.set _ZN7rocprim17ROCPRIM_400000_NS6detail17trampoline_kernelINS0_14default_configENS1_27scan_by_key_config_selectorIj11FixedVectorIiLj4EEEEZZNS1_16scan_by_key_implILNS1_25lookback_scan_determinismE0ELb0ES3_N6thrust23THRUST_200600_302600_NS6detail15normal_iteratorINSB_10device_ptrIjEEEENSD_INSE_IS6_EEEESI_S6_NSB_4plusIvEENSB_8equal_toIvEES6_EE10hipError_tPvRmT2_T3_T4_T5_mT6_T7_P12ihipStream_tbENKUlT_T0_E_clISt17integral_constantIbLb0EES12_IbLb1EEEEDaSY_SZ_EUlSY_E_NS1_11comp_targetILNS1_3genE9ELNS1_11target_archE1100ELNS1_3gpuE3ELNS1_3repE0EEENS1_30default_config_static_selectorELNS0_4arch9wavefront6targetE0EEEvT1_.has_indirect_call, 0
	.section	.AMDGPU.csdata,"",@progbits
; Kernel info:
; codeLenInByte = 0
; TotalNumSgprs: 0
; NumVgprs: 0
; ScratchSize: 0
; MemoryBound: 0
; FloatMode: 240
; IeeeMode: 1
; LDSByteSize: 0 bytes/workgroup (compile time only)
; SGPRBlocks: 0
; VGPRBlocks: 0
; NumSGPRsForWavesPerEU: 1
; NumVGPRsForWavesPerEU: 1
; Occupancy: 16
; WaveLimiterHint : 0
; COMPUTE_PGM_RSRC2:SCRATCH_EN: 0
; COMPUTE_PGM_RSRC2:USER_SGPR: 6
; COMPUTE_PGM_RSRC2:TRAP_HANDLER: 0
; COMPUTE_PGM_RSRC2:TGID_X_EN: 1
; COMPUTE_PGM_RSRC2:TGID_Y_EN: 0
; COMPUTE_PGM_RSRC2:TGID_Z_EN: 0
; COMPUTE_PGM_RSRC2:TIDIG_COMP_CNT: 0
	.section	.text._ZN7rocprim17ROCPRIM_400000_NS6detail17trampoline_kernelINS0_14default_configENS1_27scan_by_key_config_selectorIj11FixedVectorIiLj4EEEEZZNS1_16scan_by_key_implILNS1_25lookback_scan_determinismE0ELb0ES3_N6thrust23THRUST_200600_302600_NS6detail15normal_iteratorINSB_10device_ptrIjEEEENSD_INSE_IS6_EEEESI_S6_NSB_4plusIvEENSB_8equal_toIvEES6_EE10hipError_tPvRmT2_T3_T4_T5_mT6_T7_P12ihipStream_tbENKUlT_T0_E_clISt17integral_constantIbLb0EES12_IbLb1EEEEDaSY_SZ_EUlSY_E_NS1_11comp_targetILNS1_3genE8ELNS1_11target_archE1030ELNS1_3gpuE2ELNS1_3repE0EEENS1_30default_config_static_selectorELNS0_4arch9wavefront6targetE0EEEvT1_,"axG",@progbits,_ZN7rocprim17ROCPRIM_400000_NS6detail17trampoline_kernelINS0_14default_configENS1_27scan_by_key_config_selectorIj11FixedVectorIiLj4EEEEZZNS1_16scan_by_key_implILNS1_25lookback_scan_determinismE0ELb0ES3_N6thrust23THRUST_200600_302600_NS6detail15normal_iteratorINSB_10device_ptrIjEEEENSD_INSE_IS6_EEEESI_S6_NSB_4plusIvEENSB_8equal_toIvEES6_EE10hipError_tPvRmT2_T3_T4_T5_mT6_T7_P12ihipStream_tbENKUlT_T0_E_clISt17integral_constantIbLb0EES12_IbLb1EEEEDaSY_SZ_EUlSY_E_NS1_11comp_targetILNS1_3genE8ELNS1_11target_archE1030ELNS1_3gpuE2ELNS1_3repE0EEENS1_30default_config_static_selectorELNS0_4arch9wavefront6targetE0EEEvT1_,comdat
	.protected	_ZN7rocprim17ROCPRIM_400000_NS6detail17trampoline_kernelINS0_14default_configENS1_27scan_by_key_config_selectorIj11FixedVectorIiLj4EEEEZZNS1_16scan_by_key_implILNS1_25lookback_scan_determinismE0ELb0ES3_N6thrust23THRUST_200600_302600_NS6detail15normal_iteratorINSB_10device_ptrIjEEEENSD_INSE_IS6_EEEESI_S6_NSB_4plusIvEENSB_8equal_toIvEES6_EE10hipError_tPvRmT2_T3_T4_T5_mT6_T7_P12ihipStream_tbENKUlT_T0_E_clISt17integral_constantIbLb0EES12_IbLb1EEEEDaSY_SZ_EUlSY_E_NS1_11comp_targetILNS1_3genE8ELNS1_11target_archE1030ELNS1_3gpuE2ELNS1_3repE0EEENS1_30default_config_static_selectorELNS0_4arch9wavefront6targetE0EEEvT1_ ; -- Begin function _ZN7rocprim17ROCPRIM_400000_NS6detail17trampoline_kernelINS0_14default_configENS1_27scan_by_key_config_selectorIj11FixedVectorIiLj4EEEEZZNS1_16scan_by_key_implILNS1_25lookback_scan_determinismE0ELb0ES3_N6thrust23THRUST_200600_302600_NS6detail15normal_iteratorINSB_10device_ptrIjEEEENSD_INSE_IS6_EEEESI_S6_NSB_4plusIvEENSB_8equal_toIvEES6_EE10hipError_tPvRmT2_T3_T4_T5_mT6_T7_P12ihipStream_tbENKUlT_T0_E_clISt17integral_constantIbLb0EES12_IbLb1EEEEDaSY_SZ_EUlSY_E_NS1_11comp_targetILNS1_3genE8ELNS1_11target_archE1030ELNS1_3gpuE2ELNS1_3repE0EEENS1_30default_config_static_selectorELNS0_4arch9wavefront6targetE0EEEvT1_
	.globl	_ZN7rocprim17ROCPRIM_400000_NS6detail17trampoline_kernelINS0_14default_configENS1_27scan_by_key_config_selectorIj11FixedVectorIiLj4EEEEZZNS1_16scan_by_key_implILNS1_25lookback_scan_determinismE0ELb0ES3_N6thrust23THRUST_200600_302600_NS6detail15normal_iteratorINSB_10device_ptrIjEEEENSD_INSE_IS6_EEEESI_S6_NSB_4plusIvEENSB_8equal_toIvEES6_EE10hipError_tPvRmT2_T3_T4_T5_mT6_T7_P12ihipStream_tbENKUlT_T0_E_clISt17integral_constantIbLb0EES12_IbLb1EEEEDaSY_SZ_EUlSY_E_NS1_11comp_targetILNS1_3genE8ELNS1_11target_archE1030ELNS1_3gpuE2ELNS1_3repE0EEENS1_30default_config_static_selectorELNS0_4arch9wavefront6targetE0EEEvT1_
	.p2align	8
	.type	_ZN7rocprim17ROCPRIM_400000_NS6detail17trampoline_kernelINS0_14default_configENS1_27scan_by_key_config_selectorIj11FixedVectorIiLj4EEEEZZNS1_16scan_by_key_implILNS1_25lookback_scan_determinismE0ELb0ES3_N6thrust23THRUST_200600_302600_NS6detail15normal_iteratorINSB_10device_ptrIjEEEENSD_INSE_IS6_EEEESI_S6_NSB_4plusIvEENSB_8equal_toIvEES6_EE10hipError_tPvRmT2_T3_T4_T5_mT6_T7_P12ihipStream_tbENKUlT_T0_E_clISt17integral_constantIbLb0EES12_IbLb1EEEEDaSY_SZ_EUlSY_E_NS1_11comp_targetILNS1_3genE8ELNS1_11target_archE1030ELNS1_3gpuE2ELNS1_3repE0EEENS1_30default_config_static_selectorELNS0_4arch9wavefront6targetE0EEEvT1_,@function
_ZN7rocprim17ROCPRIM_400000_NS6detail17trampoline_kernelINS0_14default_configENS1_27scan_by_key_config_selectorIj11FixedVectorIiLj4EEEEZZNS1_16scan_by_key_implILNS1_25lookback_scan_determinismE0ELb0ES3_N6thrust23THRUST_200600_302600_NS6detail15normal_iteratorINSB_10device_ptrIjEEEENSD_INSE_IS6_EEEESI_S6_NSB_4plusIvEENSB_8equal_toIvEES6_EE10hipError_tPvRmT2_T3_T4_T5_mT6_T7_P12ihipStream_tbENKUlT_T0_E_clISt17integral_constantIbLb0EES12_IbLb1EEEEDaSY_SZ_EUlSY_E_NS1_11comp_targetILNS1_3genE8ELNS1_11target_archE1030ELNS1_3gpuE2ELNS1_3repE0EEENS1_30default_config_static_selectorELNS0_4arch9wavefront6targetE0EEEvT1_: ; @_ZN7rocprim17ROCPRIM_400000_NS6detail17trampoline_kernelINS0_14default_configENS1_27scan_by_key_config_selectorIj11FixedVectorIiLj4EEEEZZNS1_16scan_by_key_implILNS1_25lookback_scan_determinismE0ELb0ES3_N6thrust23THRUST_200600_302600_NS6detail15normal_iteratorINSB_10device_ptrIjEEEENSD_INSE_IS6_EEEESI_S6_NSB_4plusIvEENSB_8equal_toIvEES6_EE10hipError_tPvRmT2_T3_T4_T5_mT6_T7_P12ihipStream_tbENKUlT_T0_E_clISt17integral_constantIbLb0EES12_IbLb1EEEEDaSY_SZ_EUlSY_E_NS1_11comp_targetILNS1_3genE8ELNS1_11target_archE1030ELNS1_3gpuE2ELNS1_3repE0EEENS1_30default_config_static_selectorELNS0_4arch9wavefront6targetE0EEEvT1_
; %bb.0:
	s_clause 0x1
	s_load_dwordx8 s[12:19], s[4:5], 0x38
	s_load_dwordx2 s[28:29], s[4:5], 0x58
	s_add_u32 s0, s0, s7
	v_cmp_ne_u32_e64 s7, 0, v0
	v_cmp_eq_u32_e64 s6, 0, v0
	s_addc_u32 s1, s1, 0
	s_and_saveexec_b32 s8, s6
	s_cbranch_execz .LBB2074_4
; %bb.1:
	s_mov_b32 s10, exec_lo
	s_mov_b32 s9, exec_lo
	v_mbcnt_lo_u32_b32 v1, s10, 0
                                        ; implicit-def: $vgpr2
	v_cmpx_eq_u32_e32 0, v1
	s_cbranch_execz .LBB2074_3
; %bb.2:
	s_load_dwordx2 s[20:21], s[4:5], 0x88
	s_bcnt1_i32_b32 s10, s10
	v_mov_b32_e32 v2, 0
	v_mov_b32_e32 v3, s10
	s_waitcnt lgkmcnt(0)
	global_atomic_add v2, v2, v3, s[20:21] glc
.LBB2074_3:
	s_or_b32 exec_lo, exec_lo, s9
	s_waitcnt vmcnt(0)
	v_readfirstlane_b32 s9, v2
	v_mov_b32_e32 v2, 0
	v_add_nc_u32_e32 v1, s9, v1
	ds_write_b32 v2, v1
.LBB2074_4:
	s_or_b32 exec_lo, exec_lo, s8
	v_mov_b32_e32 v1, 0
	s_clause 0x2
	s_load_dwordx8 s[20:27], s[4:5], 0x0
	s_load_dword s8, s[4:5], 0x60
	s_load_dwordx8 s[36:43], s[4:5], 0x68
	s_waitcnt lgkmcnt(0)
	s_barrier
	buffer_gl0_inv
	ds_read_b32 v2, v1
	s_mov_b32 s4, 0
	s_waitcnt lgkmcnt(0)
	s_barrier
	buffer_gl0_inv
	s_barrier
	buffer_gl0_inv
	buffer_store_dword v1, off, s[0:3], 0 offset:220
	buffer_store_dword v1, off, s[0:3], 0 offset:216
	;; [unrolled: 1-line block ×5, first 2 shown]
	v_readfirstlane_b32 s45, v2
.LBB2074_5:                             ; =>This Inner Loop Header: Depth=1
	v_add_nc_u32_e64 v2, 0xd0, s4
	s_add_i32 s4, s4, 4
	s_cmp_lg_u32 s4, 16
	buffer_store_dword v1, v2, s[0:3], 0 offen
	s_cbranch_scc1 .LBB2074_5
; %bb.6:
	v_mov_b32_e32 v1, 0
	s_mov_b32 s4, 20
	s_movk_i32 s11, 0xe4
	buffer_store_byte v1, off, s[0:3], 0 offset:224
	buffer_store_dword v1, off, s[0:3], 0 offset:240
	buffer_store_dword v1, off, s[0:3], 0 offset:236
	buffer_store_dword v1, off, s[0:3], 0 offset:232
	buffer_store_dword v1, off, s[0:3], 0 offset:228
	buffer_store_dword v1, off, s[0:3], 0 offset:244
.LBB2074_7:                             ; =>This Inner Loop Header: Depth=1
	v_add_nc_u32_e64 v2, 0xd0, s4
	s_add_i32 s4, s4, 4
	s_cmp_lg_u32 s4, 36
	buffer_store_dword v1, v2, s[0:3], 0 offen
	s_cbranch_scc1 .LBB2074_7
; %bb.8:
	v_mov_b32_e32 v1, 0
	s_mov_b32 s4, 40
	s_movk_i32 s19, 0xf8
	buffer_store_byte v1, off, s[0:3], 0 offset:244
	buffer_store_dword v1, off, s[0:3], 0 offset:260
	buffer_store_dword v1, off, s[0:3], 0 offset:256
	buffer_store_dword v1, off, s[0:3], 0 offset:252
	buffer_store_dword v1, off, s[0:3], 0 offset:248
	buffer_store_dword v1, off, s[0:3], 0 offset:264
	;; [unrolled: 16-line block ×3, first 2 shown]
.LBB2074_11:                            ; =>This Inner Loop Header: Depth=1
	v_add_nc_u32_e64 v2, 0xd0, s4
	s_add_i32 s4, s4, 4
	s_cmpk_lg_i32 s4, 0x4c
	buffer_store_dword v1, v2, s[0:3], 0 offen
	s_cbranch_scc1 .LBB2074_11
; %bb.12:
	v_mov_b32_e32 v1, 0
	s_movk_i32 s4, 0x50
	s_movk_i32 s44, 0x120
	buffer_store_byte v1, off, s[0:3], 0 offset:284
	buffer_store_dword v1, off, s[0:3], 0 offset:300
	buffer_store_dword v1, off, s[0:3], 0 offset:296
	;; [unrolled: 1-line block ×5, first 2 shown]
.LBB2074_13:                            ; =>This Inner Loop Header: Depth=1
	v_add_nc_u32_e64 v2, 0xd0, s4
	s_add_i32 s4, s4, 4
	s_cmpk_lg_i32 s4, 0x60
	buffer_store_dword v1, v2, s[0:3], 0 offen
	s_cbranch_scc1 .LBB2074_13
; %bb.14:
	v_mov_b32_e32 v1, 0
	s_mov_b32 s4, 0
	buffer_store_byte v1, off, s[0:3], 0 offset:304
.LBB2074_15:                            ; =>This Inner Loop Header: Depth=1
	v_mov_b32_e32 v2, s4
	s_add_i32 s4, s4, 4
	s_cmp_lg_u32 s4, 16
	buffer_store_dword v1, v2, s[0:3], 0 offen
	s_cbranch_scc1 .LBB2074_15
; %bb.16:
	v_mov_b32_e32 v1, 0
	s_mov_b32 s4, 16
.LBB2074_17:                            ; =>This Inner Loop Header: Depth=1
	v_mov_b32_e32 v2, s4
	s_add_i32 s4, s4, 4
	s_cmp_lg_u32 s4, 32
	buffer_store_dword v1, v2, s[0:3], 0 offen
	s_cbranch_scc1 .LBB2074_17
; %bb.18:
	v_mov_b32_e32 v1, 0
	s_mov_b32 s4, 32
.LBB2074_19:                            ; =>This Inner Loop Header: Depth=1
	v_mov_b32_e32 v2, s4
	s_add_i32 s4, s4, 4
	s_cmp_lg_u32 s4, 48
	buffer_store_dword v1, v2, s[0:3], 0 offen
	s_cbranch_scc1 .LBB2074_19
; %bb.20:
	v_mov_b32_e32 v1, 0
	s_mov_b32 s4, 48
.LBB2074_21:                            ; =>This Inner Loop Header: Depth=1
	v_mov_b32_e32 v2, s4
	s_add_i32 s4, s4, 4
	s_cmp_lg_u32 s4, 64
	buffer_store_dword v1, v2, s[0:3], 0 offen
	s_cbranch_scc1 .LBB2074_21
; %bb.22:
	v_mov_b32_e32 v1, 0
	s_mov_b32 s4, 64
.LBB2074_23:                            ; =>This Inner Loop Header: Depth=1
	v_mov_b32_e32 v2, s4
	s_add_i32 s4, s4, 4
	s_cmpk_lg_i32 s4, 0x50
	buffer_store_dword v1, v2, s[0:3], 0 offen
	s_cbranch_scc1 .LBB2074_23
; %bb.24:
	s_lshl_b64 s[4:5], s[22:23], 2
	s_mov_b32 s46, 64
	s_add_u32 s9, s20, s4
	s_addc_u32 s10, s21, s5
	s_lshl_b64 s[20:21], s[22:23], 4
	s_mul_i32 s4, s29, s8
	s_mul_hi_u32 s5, s28, s8
	s_add_u32 s30, s24, s20
	s_addc_u32 s31, s25, s21
	s_add_i32 s34, s5, s4
	s_cmp_lg_u64 s[40:41], 0
	s_mul_i32 s4, s45, 0x500
	s_mov_b32 s5, 0
	s_cselect_b32 s50, -1, 0
	s_lshl_b64 s[22:23], s[4:5], 2
	s_mov_b32 s47, 48
	s_add_u32 s24, s9, s22
	s_addc_u32 s25, s10, s23
	s_lshl_b64 s[22:23], s[4:5], 4
	s_mul_i32 s4, s28, s8
	s_add_u32 s40, s30, s22
	s_addc_u32 s41, s31, s23
	s_add_u32 s30, s4, s45
	s_addc_u32 s31, s34, 0
	s_add_u32 s8, s36, -1
	s_addc_u32 s9, s37, -1
	s_mov_b32 s48, 32
	v_cmp_ge_u64_e64 s37, s[30:31], s[8:9]
	s_mov_b32 s49, 16
	s_mul_i32 s36, s8, 0xfffffb00
	s_and_b32 vcc_lo, exec_lo, s37
	s_cbranch_vccz .LBB2074_56
; %bb.25:
	v_mov_b32_e32 v1, s24
	v_mov_b32_e32 v2, s25
	s_add_i32 s51, s36, s18
	v_cmp_gt_u32_e64 s4, s51, v0
	flat_load_dword v1, v[1:2]
	s_waitcnt vmcnt(0) lgkmcnt(0)
	v_mov_b32_e32 v2, v1
	s_and_saveexec_b32 s5, s4
	s_cbranch_execz .LBB2074_27
; %bb.26:
	v_lshlrev_b32_e32 v2, 2, v0
	v_add_co_u32 v2, s8, s24, v2
	v_add_co_ci_u32_e64 v3, null, s25, 0, s8
	flat_load_dword v2, v[2:3]
.LBB2074_27:
	s_or_b32 exec_lo, exec_lo, s5
	v_or_b32_e32 v7, 0x100, v0
	v_mov_b32_e32 v3, v1
	v_cmp_gt_u32_e64 s5, s51, v7
	s_and_saveexec_b32 s8, s5
	s_cbranch_execz .LBB2074_29
; %bb.28:
	v_lshlrev_b32_e32 v3, 2, v0
	v_add_co_u32 v3, s9, s24, v3
	v_add_co_ci_u32_e64 v4, null, s25, 0, s9
	flat_load_dword v3, v[3:4] offset:1024
.LBB2074_29:
	s_or_b32 exec_lo, exec_lo, s8
	v_or_b32_e32 v8, 0x200, v0
	v_mov_b32_e32 v4, v1
	v_cmp_gt_u32_e64 s8, s51, v8
	s_and_saveexec_b32 s9, s8
	s_cbranch_execz .LBB2074_31
; %bb.30:
	v_lshlrev_b32_e32 v4, 2, v8
	v_add_co_u32 v4, s10, s24, v4
	v_add_co_ci_u32_e64 v5, null, s25, 0, s10
	flat_load_dword v4, v[4:5]
.LBB2074_31:
	s_or_b32 exec_lo, exec_lo, s9
	v_or_b32_e32 v9, 0x300, v0
	v_mov_b32_e32 v5, v1
	v_cmp_gt_u32_e64 s9, s51, v9
	s_and_saveexec_b32 s10, s9
	s_cbranch_execz .LBB2074_33
; %bb.32:
	v_lshlrev_b32_e32 v5, 2, v9
	v_add_co_u32 v5, s34, s24, v5
	v_add_co_ci_u32_e64 v6, null, s25, 0, s34
	flat_load_dword v5, v[5:6]
.LBB2074_33:
	s_or_b32 exec_lo, exec_lo, s10
	v_or_b32_e32 v10, 0x400, v0
	v_cmp_gt_u32_e64 s10, s51, v10
	s_and_saveexec_b32 s34, s10
	s_cbranch_execz .LBB2074_35
; %bb.34:
	v_lshlrev_b32_e32 v1, 2, v10
	v_add_co_u32 v11, s35, s24, v1
	v_add_co_ci_u32_e64 v12, null, s25, 0, s35
	flat_load_dword v1, v[11:12]
.LBB2074_35:
	s_or_b32 exec_lo, exec_lo, s34
	v_lshlrev_b32_e32 v6, 2, v0
	v_lshlrev_b32_e32 v12, 4, v0
	s_cmp_eq_u64 s[30:31], 0
	s_mov_b64 s[34:35], s[24:25]
	s_waitcnt vmcnt(0) lgkmcnt(0)
	ds_write2st64_b32 v6, v2, v3 offset1:4
	ds_write2st64_b32 v6, v4, v5 offset0:8 offset1:12
	v_add_nc_u32_e32 v11, v6, v12
	ds_write_b32 v6, v1 offset:4096
	s_waitcnt lgkmcnt(0)
	s_waitcnt_vscnt null, 0x0
	s_barrier
	buffer_gl0_inv
	ds_read2_b32 v[3:4], v11 offset1:1
	ds_read2_b32 v[1:2], v11 offset0:2 offset1:3
	ds_read_b32 v5, v11 offset:16
	s_cbranch_scc1 .LBB2074_39
; %bb.36:
	s_andn2_b32 vcc_lo, exec_lo, s50
	s_cbranch_vccnz .LBB2074_559
; %bb.37:
	s_lshl_b64 s[34:35], s[30:31], 2
	s_add_u32 s34, s42, s34
	s_addc_u32 s35, s43, s35
	s_add_u32 s34, s34, -4
	s_addc_u32 s35, s35, -1
	s_cbranch_execnz .LBB2074_39
.LBB2074_38:
	s_add_u32 s34, s24, -4
	s_addc_u32 s35, s25, -1
.LBB2074_39:
	v_mov_b32_e32 v13, s34
	v_mov_b32_e32 v14, s35
	v_sub_nc_u32_e32 v11, v11, v12
	flat_load_dword v6, v[13:14]
	s_waitcnt lgkmcnt(1)
	ds_write_b32 v11, v5 offset:5120
	s_waitcnt vmcnt(0) lgkmcnt(0)
	s_barrier
	buffer_gl0_inv
	s_and_saveexec_b32 s34, s7
; %bb.40:
	ds_read_b32 v6, v11 offset:5116
; %bb.41:
	s_or_b32 exec_lo, exec_lo, s34
	s_waitcnt lgkmcnt(0)
	s_barrier
	buffer_gl0_inv
	s_and_saveexec_b32 s34, s4
	s_cbranch_execnz .LBB2074_555
; %bb.42:
	s_or_b32 exec_lo, exec_lo, s34
	s_and_saveexec_b32 s4, s5
	s_cbranch_execnz .LBB2074_556
.LBB2074_43:
	s_or_b32 exec_lo, exec_lo, s4
	s_and_saveexec_b32 s4, s8
	s_cbranch_execnz .LBB2074_557
.LBB2074_44:
	s_or_b32 exec_lo, exec_lo, s4
	s_and_saveexec_b32 s4, s9
	s_cbranch_execnz .LBB2074_558
.LBB2074_45:
	s_or_b32 exec_lo, exec_lo, s4
	s_and_saveexec_b32 s4, s10
	s_cbranch_execz .LBB2074_47
.LBB2074_46:
	v_lshlrev_b32_e32 v7, 4, v10
	v_add_co_u32 v7, s5, s40, v7
	v_add_co_ci_u32_e64 v8, null, s41, 0, s5
	flat_load_dwordx4 v[7:10], v[7:8]
	s_waitcnt vmcnt(0) lgkmcnt(0)
	buffer_store_dword v7, off, s[0:3], 0 offset:64
	buffer_store_dword v8, off, s[0:3], 0 offset:68
	;; [unrolled: 1-line block ×4, first 2 shown]
.LBB2074_47:
	s_or_b32 exec_lo, exec_lo, s4
	v_mov_b32_e32 v33, s48
	v_mov_b32_e32 v32, s49
	v_mov_b32_e32 v34, s47
	s_clause 0x7
	buffer_load_dword v12, off, s[0:3], 0
	buffer_load_dword v13, off, s[0:3], 0 offset:4
	buffer_load_dword v14, off, s[0:3], 0 offset:8
	;; [unrolled: 1-line block ×3, first 2 shown]
	buffer_load_dword v16, v32, s[0:3], 0 offen
	buffer_load_dword v17, v32, s[0:3], 0 offen offset:4
	buffer_load_dword v18, v32, s[0:3], 0 offen offset:8
	;; [unrolled: 1-line block ×3, first 2 shown]
	v_mov_b32_e32 v35, s46
	s_clause 0xb
	buffer_load_dword v20, v33, s[0:3], 0 offen
	buffer_load_dword v21, v33, s[0:3], 0 offen offset:4
	buffer_load_dword v22, v33, s[0:3], 0 offen offset:8
	buffer_load_dword v23, v33, s[0:3], 0 offen offset:12
	buffer_load_dword v24, v34, s[0:3], 0 offen
	buffer_load_dword v25, v34, s[0:3], 0 offen offset:4
	buffer_load_dword v26, v34, s[0:3], 0 offen offset:8
	buffer_load_dword v27, v34, s[0:3], 0 offen offset:12
	;; [unrolled: 4-line block ×3, first 2 shown]
	v_mad_u32_u24 v8, v0, 12, v11
	s_mov_b32 s9, 0
	s_mov_b32 s5, 0
	s_mov_b32 s10, exec_lo
                                        ; implicit-def: $sgpr8
	s_waitcnt vmcnt(16)
	ds_write_b128 v8, v[12:15]
	s_waitcnt vmcnt(12)
	ds_write_b128 v8, v[16:19] offset:4096
	s_waitcnt vmcnt(8)
	ds_write_b128 v8, v[20:23] offset:8192
	s_waitcnt vmcnt(4)
	ds_write_b128 v8, v[24:27] offset:12288
	s_waitcnt vmcnt(0)
	ds_write_b128 v8, v[28:31] offset:16384
	v_lshl_add_u32 v7, v0, 6, v8
	s_waitcnt lgkmcnt(0)
	s_waitcnt_vscnt null, 0x0
	s_barrier
	buffer_gl0_inv
	ds_read_b128 v[9:12], v7 offset:16
	ds_read_b128 v[13:16], v7 offset:32
	;; [unrolled: 1-line block ×4, first 2 shown]
	v_mul_u32_u24_e32 v8, 5, v0
	s_waitcnt lgkmcnt(3)
	buffer_store_dword v12, v32, s[0:3], 0 offen offset:12
	buffer_store_dword v11, v32, s[0:3], 0 offen offset:8
	buffer_store_dword v10, v32, s[0:3], 0 offen offset:4
	buffer_store_dword v9, v32, s[0:3], 0 offen
	s_waitcnt lgkmcnt(2)
	buffer_store_dword v16, v33, s[0:3], 0 offen offset:12
	buffer_store_dword v15, v33, s[0:3], 0 offen offset:8
	buffer_store_dword v14, v33, s[0:3], 0 offen offset:4
	buffer_store_dword v13, v33, s[0:3], 0 offen
	s_waitcnt lgkmcnt(1)
	buffer_store_dword v20, v34, s[0:3], 0 offen offset:12
	buffer_store_dword v19, v34, s[0:3], 0 offen offset:8
	buffer_store_dword v18, v34, s[0:3], 0 offen offset:4
	buffer_store_dword v17, v34, s[0:3], 0 offen
	s_waitcnt lgkmcnt(0)
	buffer_store_dword v24, v35, s[0:3], 0 offen offset:12
	buffer_store_dword v23, v35, s[0:3], 0 offen offset:8
	buffer_store_dword v22, v35, s[0:3], 0 offen offset:4
	buffer_store_dword v21, v35, s[0:3], 0 offen
	v_cmpx_gt_u32_e64 s51, v8
	s_cbranch_execz .LBB2074_55
; %bb.48:
	ds_read_b128 v[9:12], v7
	v_cmp_ne_u32_e32 vcc_lo, v6, v3
	v_add_nc_u32_e32 v13, 1, v8
	s_mov_b32 s4, 0
	s_mov_b32 s5, exec_lo
                                        ; implicit-def: $sgpr8
	v_cndmask_b32_e64 v6, 0, 1, vcc_lo
	s_waitcnt lgkmcnt(0)
	buffer_store_dword v12, off, s[0:3], 0 offset:220
	buffer_store_dword v11, off, s[0:3], 0 offset:216
	;; [unrolled: 1-line block ×4, first 2 shown]
	buffer_store_byte v6, off, s[0:3], 0 offset:224
	v_cmpx_gt_u32_e64 s51, v13
	s_cbranch_execz .LBB2074_54
; %bb.49:
	v_add_nc_u32_e32 v6, 16, v7
	v_cmp_ne_u32_e32 vcc_lo, v3, v4
	v_mov_b32_e32 v13, s11
	s_mov_b32 s34, exec_lo
                                        ; implicit-def: $sgpr8
	ds_read2_b32 v[9:10], v6 offset0:2 offset1:3
	ds_read2_b32 v[11:12], v6 offset1:1
	v_add_nc_u32_e32 v6, 2, v8
	v_cndmask_b32_e64 v3, 0, 1, vcc_lo
	s_waitcnt lgkmcnt(1)
	buffer_store_dword v10, v13, s[0:3], 0 offen offset:12
	buffer_store_dword v9, v13, s[0:3], 0 offen offset:8
	s_waitcnt lgkmcnt(0)
	buffer_store_dword v12, v13, s[0:3], 0 offen offset:4
	buffer_store_dword v11, v13, s[0:3], 0 offen
	buffer_store_byte v3, off, s[0:3], 0 offset:244
	v_cmpx_gt_u32_e64 s51, v6
	s_cbranch_execz .LBB2074_53
; %bb.50:
	v_add_nc_u32_e32 v3, 32, v7
	v_cmp_ne_u32_e32 vcc_lo, v4, v1
	v_mov_b32_e32 v6, s19
	s_mov_b32 s35, exec_lo
                                        ; implicit-def: $sgpr8
	ds_read2_b64 v[9:12], v3 offset1:1
	v_add_nc_u32_e32 v3, 3, v8
	v_cndmask_b32_e64 v4, 0, 1, vcc_lo
	s_waitcnt lgkmcnt(0)
	buffer_store_dword v12, v6, s[0:3], 0 offen offset:12
	buffer_store_dword v11, v6, s[0:3], 0 offen offset:8
	;; [unrolled: 1-line block ×3, first 2 shown]
	buffer_store_dword v9, v6, s[0:3], 0 offen
	buffer_store_byte v4, off, s[0:3], 0 offset:264
	v_cmpx_gt_u32_e64 s51, v3
	s_xor_b32 s35, exec_lo, s35
	s_cbranch_execz .LBB2074_52
; %bb.51:
	v_add_nc_u32_e32 v6, 48, v7
	v_add_nc_u32_e32 v8, 4, v8
	v_cmp_ne_u32_e64 s4, v1, v2
	v_cmp_ne_u32_e64 s8, v2, v5
	ds_read2_b32 v[3:4], v6 offset0:2 offset1:3
	ds_read2_b32 v[6:7], v6 offset1:1
	v_cmp_gt_u32_e32 vcc_lo, s51, v8
	v_mov_b32_e32 v8, s33
	v_cndmask_b32_e64 v1, 0, 1, s4
	s_waitcnt lgkmcnt(1)
	buffer_store_dword v4, v8, s[0:3], 0 offen offset:12
	buffer_store_dword v3, v8, s[0:3], 0 offen offset:8
	s_waitcnt lgkmcnt(0)
	buffer_store_dword v7, v8, s[0:3], 0 offen offset:4
	buffer_store_dword v6, v8, s[0:3], 0 offen
	buffer_store_byte v1, off, s[0:3], 0 offset:284
	s_and_b32 s4, vcc_lo, exec_lo
.LBB2074_52:
	s_or_b32 exec_lo, exec_lo, s35
	s_and_b32 s4, s4, exec_lo
.LBB2074_53:
	s_or_b32 exec_lo, exec_lo, s34
	s_and_b32 s4, s4, exec_lo
.LBB2074_54:
	s_or_b32 exec_lo, exec_lo, s5
	s_and_b32 s5, s4, exec_lo
.LBB2074_55:
	s_or_b32 exec_lo, exec_lo, s10
	v_lshlrev_b32_e32 v9, 4, v0
	s_and_b32 vcc_lo, exec_lo, s9
	s_cbranch_vccnz .LBB2074_57
	s_branch .LBB2074_65
.LBB2074_56:
                                        ; implicit-def: $sgpr8
	v_lshlrev_b32_e32 v9, 4, v0
	s_cbranch_execz .LBB2074_65
.LBB2074_57:
	v_lshlrev_b32_e32 v8, 2, v0
	s_cmp_eq_u64 s[30:31], 0
	v_add_co_u32 v1, s4, s24, v8
	v_add_co_ci_u32_e64 v2, null, s25, 0, s4
	v_add_nc_u32_e32 v7, v8, v9
	v_add_co_u32 v3, vcc_lo, 0x800, v1
	v_add_co_ci_u32_e64 v4, null, 0, v2, vcc_lo
	v_add_co_u32 v5, vcc_lo, 0x1000, v1
	v_add_co_ci_u32_e64 v6, null, 0, v2, vcc_lo
	s_clause 0x4
	flat_load_dword v10, v[1:2]
	flat_load_dword v1, v[1:2] offset:1024
	flat_load_dword v2, v[3:4]
	flat_load_dword v3, v[3:4] offset:1024
	flat_load_dword v4, v[5:6]
	s_waitcnt vmcnt(3) lgkmcnt(3)
	ds_write2st64_b32 v8, v10, v1 offset1:4
	s_waitcnt vmcnt(1) lgkmcnt(2)
	ds_write2st64_b32 v8, v2, v3 offset0:8 offset1:12
	s_waitcnt vmcnt(0) lgkmcnt(2)
	ds_write_b32 v8, v4 offset:4096
	s_waitcnt lgkmcnt(0)
	s_waitcnt_vscnt null, 0x0
	s_barrier
	buffer_gl0_inv
	ds_read2_b32 v[1:2], v7 offset1:1
	ds_read2_b32 v[3:4], v7 offset0:2 offset1:3
	ds_read_b32 v5, v7 offset:16
	s_cbranch_scc1 .LBB2074_62
; %bb.58:
	s_andn2_b32 vcc_lo, exec_lo, s50
	s_cbranch_vccnz .LBB2074_560
; %bb.59:
	s_lshl_b64 s[4:5], s[30:31], 2
	s_add_u32 s4, s42, s4
	s_addc_u32 s5, s43, s5
	s_add_u32 s4, s4, -4
	s_addc_u32 s5, s5, -1
	s_cbranch_execnz .LBB2074_61
.LBB2074_60:
	s_add_u32 s4, s24, -4
	s_addc_u32 s5, s25, -1
.LBB2074_61:
	s_mov_b64 s[24:25], s[4:5]
.LBB2074_62:
	v_mov_b32_e32 v10, s24
	v_mov_b32_e32 v11, s25
	v_sub_nc_u32_e32 v7, v7, v9
	flat_load_dword v6, v[10:11]
	s_waitcnt lgkmcnt(1)
	ds_write_b32 v7, v5 offset:5120
	s_waitcnt vmcnt(0) lgkmcnt(0)
	s_barrier
	buffer_gl0_inv
	s_and_saveexec_b32 s4, s7
; %bb.63:
	ds_read_b32 v6, v7 offset:5116
; %bb.64:
	s_or_b32 exec_lo, exec_lo, s4
	v_add_co_u32 v14, s4, s40, v9
	v_add_co_ci_u32_e64 v15, null, s41, 0, s4
	s_waitcnt lgkmcnt(0)
	s_barrier
	buffer_gl0_inv
	flat_load_dwordx4 v[10:13], v[14:15]
	v_add_co_u32 v16, vcc_lo, 0x1000, v14
	v_add_co_ci_u32_e64 v17, null, 0, v15, vcc_lo
	v_mov_b32_e32 v32, s46
	v_mov_b32_e32 v8, s49
	;; [unrolled: 1-line block ×4, first 2 shown]
	v_mad_u32_u24 v7, v0, 12, v7
	v_cmp_ne_u32_e64 s8, v4, v5
	s_mov_b32 s5, -1
	s_waitcnt vmcnt(0) lgkmcnt(0)
	buffer_store_dword v10, off, s[0:3], 0
	buffer_store_dword v11, off, s[0:3], 0 offset:4
	buffer_store_dword v12, off, s[0:3], 0 offset:8
	;; [unrolled: 1-line block ×3, first 2 shown]
	flat_load_dwordx4 v[10:13], v[16:17]
	v_add_co_u32 v16, vcc_lo, 0x2000, v14
	v_add_co_ci_u32_e64 v17, null, 0, v15, vcc_lo
	v_lshl_add_u32 v33, v0, 6, v7
	s_waitcnt vmcnt(0) lgkmcnt(0)
	buffer_store_dword v10, off, s[0:3], 0 offset:16
	buffer_store_dword v11, off, s[0:3], 0 offset:20
	;; [unrolled: 1-line block ×4, first 2 shown]
	flat_load_dwordx4 v[10:13], v[16:17]
	v_add_co_u32 v16, vcc_lo, 0x3000, v14
	v_add_co_ci_u32_e64 v17, null, 0, v15, vcc_lo
	v_add_co_u32 v14, vcc_lo, 0x4000, v14
	v_add_co_ci_u32_e64 v15, null, 0, v15, vcc_lo
	v_cmp_ne_u32_e32 vcc_lo, v3, v4
	s_waitcnt vmcnt(0) lgkmcnt(0)
	buffer_store_dword v10, off, s[0:3], 0 offset:32
	buffer_store_dword v11, off, s[0:3], 0 offset:36
	;; [unrolled: 1-line block ×4, first 2 shown]
	flat_load_dwordx4 v[10:13], v[16:17]
	v_cndmask_b32_e64 v5, 0, 1, vcc_lo
	v_cmp_ne_u32_e32 vcc_lo, v2, v3
	s_waitcnt vmcnt(0) lgkmcnt(0)
	buffer_store_dword v10, off, s[0:3], 0 offset:48
	buffer_store_dword v11, off, s[0:3], 0 offset:52
	;; [unrolled: 1-line block ×4, first 2 shown]
	flat_load_dwordx4 v[10:13], v[14:15]
	s_clause 0xf
	buffer_load_dword v14, off, s[0:3], 0
	buffer_load_dword v15, off, s[0:3], 0 offset:4
	buffer_load_dword v16, off, s[0:3], 0 offset:8
	buffer_load_dword v17, off, s[0:3], 0 offset:12
	buffer_load_dword v18, v8, s[0:3], 0 offen
	buffer_load_dword v19, v8, s[0:3], 0 offen offset:4
	buffer_load_dword v20, v8, s[0:3], 0 offen offset:8
	;; [unrolled: 1-line block ×4, first 2 shown]
	buffer_load_dword v26, v31, s[0:3], 0 offen
	buffer_load_dword v27, v31, s[0:3], 0 offen offset:4
	buffer_load_dword v28, v31, s[0:3], 0 offen offset:8
	;; [unrolled: 1-line block ×5, first 2 shown]
	buffer_load_dword v22, v30, s[0:3], 0 offen
	s_waitcnt vmcnt(16) lgkmcnt(0)
	buffer_store_dword v10, off, s[0:3], 0 offset:64
	buffer_store_dword v11, off, s[0:3], 0 offset:68
	;; [unrolled: 1-line block ×4, first 2 shown]
	s_clause 0x3
	buffer_load_dword v10, v32, s[0:3], 0 offen
	buffer_load_dword v11, v32, s[0:3], 0 offen offset:4
	buffer_load_dword v12, v32, s[0:3], 0 offen offset:8
	;; [unrolled: 1-line block ×3, first 2 shown]
	s_waitcnt vmcnt(16)
	ds_write_b128 v7, v[14:17]
	s_waitcnt vmcnt(12)
	ds_write_b128 v7, v[18:21] offset:4096
	s_waitcnt vmcnt(4)
	ds_write_b128 v7, v[22:25] offset:8192
	ds_write_b128 v7, v[26:29] offset:12288
	s_waitcnt vmcnt(0)
	ds_write_b128 v7, v[10:13] offset:16384
	s_waitcnt lgkmcnt(0)
	s_waitcnt_vscnt null, 0x0
	s_barrier
	buffer_gl0_inv
	ds_read_b128 v[10:13], v33
	ds_read_b128 v[14:17], v33 offset:16
	v_cndmask_b32_e64 v7, 0, 1, vcc_lo
	v_cmp_ne_u32_e32 vcc_lo, v1, v2
	ds_read_b128 v[18:21], v33 offset:32
	ds_read_b128 v[22:25], v33 offset:48
	v_mov_b32_e32 v27, s11
	v_mov_b32_e32 v28, s19
	v_cndmask_b32_e64 v26, 0, 1, vcc_lo
	v_cmp_ne_u32_e32 vcc_lo, v6, v1
	ds_read_b128 v[1:4], v33 offset:64
	v_mov_b32_e32 v29, s33
	v_cndmask_b32_e64 v6, 0, 1, vcc_lo
	buffer_store_byte v6, off, s[0:3], 0 offset:224
	buffer_store_byte v26, off, s[0:3], 0 offset:244
	;; [unrolled: 1-line block ×3, first 2 shown]
	s_waitcnt lgkmcnt(3)
	buffer_store_dword v17, v8, s[0:3], 0 offen offset:12
	buffer_store_dword v16, v8, s[0:3], 0 offen offset:8
	buffer_store_dword v15, v8, s[0:3], 0 offen offset:4
	buffer_store_dword v14, v8, s[0:3], 0 offen
	s_waitcnt lgkmcnt(2)
	buffer_store_dword v21, v30, s[0:3], 0 offen offset:12
	buffer_store_dword v20, v30, s[0:3], 0 offen offset:8
	buffer_store_dword v19, v30, s[0:3], 0 offen offset:4
	buffer_store_dword v18, v30, s[0:3], 0 offen
	;; [unrolled: 5-line block ×4, first 2 shown]
	buffer_store_dword v13, off, s[0:3], 0 offset:220
	buffer_store_dword v12, off, s[0:3], 0 offset:216
	;; [unrolled: 1-line block ×4, first 2 shown]
	buffer_store_dword v17, v27, s[0:3], 0 offen offset:12
	buffer_store_dword v16, v27, s[0:3], 0 offen offset:8
	buffer_store_dword v15, v27, s[0:3], 0 offen offset:4
	buffer_store_dword v14, v27, s[0:3], 0 offen
	buffer_store_dword v21, v28, s[0:3], 0 offen offset:12
	buffer_store_dword v20, v28, s[0:3], 0 offen offset:8
	buffer_store_dword v19, v28, s[0:3], 0 offen offset:4
	buffer_store_dword v18, v28, s[0:3], 0 offen
	;; [unrolled: 4-line block ×3, first 2 shown]
	buffer_store_byte v5, off, s[0:3], 0 offset:284
.LBB2074_65:
	s_and_saveexec_b32 s4, s5
	s_cbranch_execz .LBB2074_67
; %bb.66:
	v_mov_b32_e32 v1, s46
	v_mov_b32_e32 v5, s44
	v_cndmask_b32_e64 v6, 0, 1, s8
	s_clause 0x3
	buffer_load_dword v2, v1, s[0:3], 0 offen offset:12
	buffer_load_dword v3, v1, s[0:3], 0 offen offset:8
	;; [unrolled: 1-line block ×3, first 2 shown]
	buffer_load_dword v1, v1, s[0:3], 0 offen
	s_waitcnt vmcnt(3)
	buffer_store_dword v2, v5, s[0:3], 0 offen offset:12
	s_waitcnt vmcnt(2)
	buffer_store_dword v3, v5, s[0:3], 0 offen offset:8
	;; [unrolled: 2-line block ×3, first 2 shown]
	s_waitcnt vmcnt(0)
	buffer_store_dword v1, v5, s[0:3], 0 offen
	buffer_store_byte v6, off, s[0:3], 0 offset:304
.LBB2074_67:
	s_or_b32 exec_lo, exec_lo, s4
	s_cmp_lg_u32 s45, 0
	s_mov_b32 s4, 0
	s_waitcnt_vscnt null, 0x0
	s_barrier
	buffer_gl0_inv
	s_cbranch_scc0 .LBB2074_292
; %bb.68:
	v_mov_b32_e32 v1, 0
	buffer_store_dword v1, off, s[0:3], 0 offset:16
.LBB2074_69:                            ; =>This Inner Loop Header: Depth=1
	v_mov_b32_e32 v2, s4
	s_add_i32 s4, s4, 4
	s_cmp_lg_u32 s4, 16
	buffer_store_dword v1, v2, s[0:3], 0 offen
	s_cbranch_scc1 .LBB2074_69
; %bb.70:
	s_clause 0x5
	buffer_load_ubyte v5, off, s[0:3], 0 offset:244
	buffer_load_dword v1, off, s[0:3], 0 offset:220
	buffer_load_dword v2, off, s[0:3], 0 offset:216
	;; [unrolled: 1-line block ×4, first 2 shown]
	buffer_load_ubyte v6, off, s[0:3], 0 offset:224
	s_mov_b32 s4, exec_lo
	s_waitcnt vmcnt(4)
	buffer_store_dword v1, off, s[0:3], 0 offset:12
	s_waitcnt vmcnt(3)
	buffer_store_dword v2, off, s[0:3], 0 offset:8
	;; [unrolled: 2-line block ×3, first 2 shown]
	s_waitcnt vmcnt(1)
	buffer_store_dword v4, off, s[0:3], 0
                                        ; implicit-def: $vgpr2
                                        ; implicit-def: $vgpr1
                                        ; implicit-def: $vgpr3
                                        ; implicit-def: $vgpr4
	v_cmpx_ne_u16_e32 0, v5
	s_xor_b32 s4, exec_lo, s4
	s_cbranch_execz .LBB2074_72
; %bb.71:
	s_clause 0x3
	buffer_load_dword v1, off, s[0:3], 0 offset:228
	buffer_load_dword v3, off, s[0:3], 0 offset:232
	;; [unrolled: 1-line block ×4, first 2 shown]
.LBB2074_72:
	s_andn2_saveexec_b32 s4, s4
	s_cbranch_execz .LBB2074_78
; %bb.73:
	s_waitcnt vmcnt(3)
	v_mov_b32_e32 v1, 0
	s_mov_b32 s5, 0
.LBB2074_74:                            ; =>This Inner Loop Header: Depth=1
	s_waitcnt vmcnt(0)
	v_add_nc_u32_e64 v2, 0x60, s5
	s_add_i32 s5, s5, 4
	s_cmp_lg_u32 s5, 16
	buffer_store_dword v1, v2, s[0:3], 0 offen
	s_cbranch_scc1 .LBB2074_74
; %bb.75:
	s_mov_b32 s5, 0
	.p2align	6
.LBB2074_76:                            ; =>This Inner Loop Header: Depth=1
	v_mov_b32_e32 v1, s5
	v_add_nc_u32_e64 v2, 0xd0, s5
	v_add_nc_u32_e64 v3, 0x60, s5
	s_add_i32 s5, s5, 4
	s_clause 0x1
	buffer_load_dword v1, v1, s[0:3], 0 offen
	buffer_load_dword v2, v2, s[0:3], 0 offen offset:20
	s_cmp_lg_u32 s5, 16
	s_waitcnt vmcnt(0)
	v_add_nc_u32_e32 v1, v2, v1
	buffer_store_dword v1, v3, s[0:3], 0 offen
	s_cbranch_scc1 .LBB2074_76
; %bb.77:
	s_clause 0x3
	buffer_load_dword v1, off, s[0:3], 0 offset:96
	buffer_load_dword v3, off, s[0:3], 0 offset:100
	;; [unrolled: 1-line block ×4, first 2 shown]
.LBB2074_78:
	s_or_b32 exec_lo, exec_lo, s4
	buffer_load_ubyte v7, off, s[0:3], 0 offset:264
	s_mov_b32 s4, exec_lo
	s_waitcnt vmcnt(4)
	buffer_store_dword v1, off, s[0:3], 0
	s_waitcnt vmcnt(3)
	buffer_store_dword v3, off, s[0:3], 0 offset:4
	s_waitcnt vmcnt(2)
	buffer_store_dword v4, off, s[0:3], 0 offset:8
	;; [unrolled: 2-line block ×3, first 2 shown]
                                        ; implicit-def: $vgpr2
                                        ; implicit-def: $vgpr1
                                        ; implicit-def: $vgpr3
                                        ; implicit-def: $vgpr4
	s_waitcnt vmcnt(0)
	v_cmpx_ne_u16_e32 0, v7
	s_xor_b32 s4, exec_lo, s4
	s_cbranch_execz .LBB2074_80
; %bb.79:
	s_clause 0x3
	buffer_load_dword v1, off, s[0:3], 0 offset:248
	buffer_load_dword v3, off, s[0:3], 0 offset:252
	;; [unrolled: 1-line block ×4, first 2 shown]
.LBB2074_80:
	s_andn2_saveexec_b32 s4, s4
	s_cbranch_execz .LBB2074_86
; %bb.81:
	s_waitcnt vmcnt(3)
	v_mov_b32_e32 v1, 0
	s_mov_b32 s5, 0
.LBB2074_82:                            ; =>This Inner Loop Header: Depth=1
	s_waitcnt vmcnt(0)
	v_add_nc_u32_e64 v2, 0x60, s5
	s_add_i32 s5, s5, 4
	s_cmp_lg_u32 s5, 16
	buffer_store_dword v1, v2, s[0:3], 0 offen
	s_cbranch_scc1 .LBB2074_82
; %bb.83:
	s_mov_b32 s5, 0
	.p2align	6
.LBB2074_84:                            ; =>This Inner Loop Header: Depth=1
	v_mov_b32_e32 v1, s5
	v_add_nc_u32_e64 v2, 0xd0, s5
	v_add_nc_u32_e64 v3, 0x60, s5
	s_add_i32 s5, s5, 4
	s_clause 0x1
	buffer_load_dword v1, v1, s[0:3], 0 offen
	buffer_load_dword v2, v2, s[0:3], 0 offen offset:40
	s_cmp_lg_u32 s5, 16
	s_waitcnt vmcnt(0)
	v_add_nc_u32_e32 v1, v2, v1
	buffer_store_dword v1, v3, s[0:3], 0 offen
	s_cbranch_scc1 .LBB2074_84
; %bb.85:
	s_clause 0x3
	buffer_load_dword v1, off, s[0:3], 0 offset:96
	buffer_load_dword v3, off, s[0:3], 0 offset:100
	;; [unrolled: 1-line block ×4, first 2 shown]
.LBB2074_86:
	s_or_b32 exec_lo, exec_lo, s4
	buffer_load_ubyte v8, off, s[0:3], 0 offset:284
	s_mov_b32 s4, exec_lo
	s_waitcnt vmcnt(4)
	buffer_store_dword v1, off, s[0:3], 0
	s_waitcnt vmcnt(3)
	buffer_store_dword v3, off, s[0:3], 0 offset:4
	s_waitcnt vmcnt(2)
	buffer_store_dword v4, off, s[0:3], 0 offset:8
	;; [unrolled: 2-line block ×3, first 2 shown]
                                        ; implicit-def: $vgpr2
                                        ; implicit-def: $vgpr1
                                        ; implicit-def: $vgpr3
                                        ; implicit-def: $vgpr4
	s_waitcnt vmcnt(0)
	v_cmpx_ne_u16_e32 0, v8
	s_xor_b32 s4, exec_lo, s4
	s_cbranch_execz .LBB2074_88
; %bb.87:
	s_clause 0x3
	buffer_load_dword v1, off, s[0:3], 0 offset:268
	buffer_load_dword v3, off, s[0:3], 0 offset:272
	;; [unrolled: 1-line block ×4, first 2 shown]
.LBB2074_88:
	s_andn2_saveexec_b32 s4, s4
	s_cbranch_execz .LBB2074_94
; %bb.89:
	s_waitcnt vmcnt(3)
	v_mov_b32_e32 v1, 0
	s_mov_b32 s5, 0
.LBB2074_90:                            ; =>This Inner Loop Header: Depth=1
	s_waitcnt vmcnt(0)
	v_add_nc_u32_e64 v2, 0x60, s5
	s_add_i32 s5, s5, 4
	s_cmp_lg_u32 s5, 16
	buffer_store_dword v1, v2, s[0:3], 0 offen
	s_cbranch_scc1 .LBB2074_90
; %bb.91:
	s_mov_b32 s5, 0
	.p2align	6
.LBB2074_92:                            ; =>This Inner Loop Header: Depth=1
	v_mov_b32_e32 v1, s5
	v_add_nc_u32_e64 v2, 0xd0, s5
	v_add_nc_u32_e64 v3, 0x60, s5
	s_add_i32 s5, s5, 4
	s_clause 0x1
	buffer_load_dword v1, v1, s[0:3], 0 offen
	buffer_load_dword v2, v2, s[0:3], 0 offen offset:60
	s_cmp_lg_u32 s5, 16
	s_waitcnt vmcnt(0)
	v_add_nc_u32_e32 v1, v2, v1
	buffer_store_dword v1, v3, s[0:3], 0 offen
	s_cbranch_scc1 .LBB2074_92
; %bb.93:
	s_clause 0x3
	buffer_load_dword v1, off, s[0:3], 0 offset:96
	buffer_load_dword v3, off, s[0:3], 0 offset:100
	;; [unrolled: 1-line block ×4, first 2 shown]
.LBB2074_94:
	s_or_b32 exec_lo, exec_lo, s4
	buffer_load_ubyte v10, off, s[0:3], 0 offset:304
	s_mov_b32 s4, exec_lo
	s_waitcnt vmcnt(4)
	buffer_store_dword v1, off, s[0:3], 0
	s_waitcnt vmcnt(3)
	buffer_store_dword v3, off, s[0:3], 0 offset:4
	s_waitcnt vmcnt(2)
	buffer_store_dword v4, off, s[0:3], 0 offset:8
	;; [unrolled: 2-line block ×3, first 2 shown]
                                        ; implicit-def: $vgpr4
                                        ; implicit-def: $vgpr1
                                        ; implicit-def: $vgpr2
                                        ; implicit-def: $vgpr3
	s_waitcnt vmcnt(0)
	v_cmpx_ne_u16_e32 0, v10
	s_xor_b32 s4, exec_lo, s4
	s_cbranch_execz .LBB2074_96
; %bb.95:
	s_clause 0x3
	buffer_load_dword v1, off, s[0:3], 0 offset:288
	buffer_load_dword v2, off, s[0:3], 0 offset:292
	;; [unrolled: 1-line block ×4, first 2 shown]
.LBB2074_96:
	s_andn2_saveexec_b32 s4, s4
	s_cbranch_execz .LBB2074_102
; %bb.97:
	s_waitcnt vmcnt(3)
	v_mov_b32_e32 v1, 0
	s_mov_b32 s5, 0
.LBB2074_98:                            ; =>This Inner Loop Header: Depth=1
	s_waitcnt vmcnt(2)
	v_add_nc_u32_e64 v2, 0x60, s5
	s_add_i32 s5, s5, 4
	s_cmp_lg_u32 s5, 16
	buffer_store_dword v1, v2, s[0:3], 0 offen
	s_cbranch_scc1 .LBB2074_98
; %bb.99:
	s_mov_b32 s5, 0
	.p2align	6
.LBB2074_100:                           ; =>This Inner Loop Header: Depth=1
	v_mov_b32_e32 v1, s5
	v_add_nc_u32_e64 v2, 0xd0, s5
	s_waitcnt vmcnt(1)
	v_add_nc_u32_e64 v3, 0x60, s5
	s_add_i32 s5, s5, 4
	s_clause 0x1
	buffer_load_dword v1, v1, s[0:3], 0 offen
	buffer_load_dword v2, v2, s[0:3], 0 offen offset:80
	s_cmp_lg_u32 s5, 16
	s_waitcnt vmcnt(0)
	v_add_nc_u32_e32 v1, v2, v1
	buffer_store_dword v1, v3, s[0:3], 0 offen
	s_cbranch_scc1 .LBB2074_100
; %bb.101:
	s_clause 0x3
	buffer_load_dword v1, off, s[0:3], 0 offset:96
	buffer_load_dword v2, off, s[0:3], 0 offset:100
	;; [unrolled: 1-line block ×4, first 2 shown]
.LBB2074_102:
	s_or_b32 exec_lo, exec_lo, s4
	s_clause 0x1
	buffer_load_ushort v12, off, s[0:3], 0 offset:17
	buffer_load_sbyte v13, off, s[0:3], 0 offset:19
	v_or_b32_e32 v5, v5, v6
	v_mov_b32_e32 v11, 0
	v_and_b32_e32 v6, 1, v7
	v_or_b32_e32 v7, v10, v8
	v_mbcnt_lo_u32_b32 v10, -1, 0
	s_waitcnt vmcnt(3)
	v_mov_b32_dpp v14, v3 row_shr:1 row_mask:0xf bank_mask:0xf
	v_cmp_ne_u16_sdwa s5, v5, v11 src0_sel:BYTE_0 src1_sel:DWORD
	v_cmp_eq_u32_e32 vcc_lo, 1, v6
	v_cmp_ne_u16_e64 s4, 0, v7
	s_waitcnt vmcnt(2)
	v_mov_b32_dpp v15, v4 row_shr:1 row_mask:0xf bank_mask:0xf
	buffer_store_dword v1, off, s[0:3], 0 offset:176
	buffer_store_dword v2, off, s[0:3], 0 offset:180
	;; [unrolled: 1-line block ×4, first 2 shown]
	s_or_b32 s5, s5, vcc_lo
	s_or_b32 s4, s4, s5
	v_cndmask_b32_e64 v5, 0, 1, s4
	s_mov_b32 s4, exec_lo
	s_waitcnt vmcnt(1)
	v_lshlrev_b16 v6, 8, v12
	v_or_b32_e32 v5, v5, v6
	s_waitcnt vmcnt(0)
	v_perm_b32 v6, v12, v13, 0xc0c0005
	v_mov_b32_dpp v12, v1 row_shr:1 row_mask:0xf bank_mask:0xf
	v_mov_b32_dpp v13, v2 row_shr:1 row_mask:0xf bank_mask:0xf
	v_and_b32_e32 v7, 0xffff, v5
	v_lshl_or_b32 v7, v6, 16, v7
	v_and_b32_e32 v6, 15, v10
	v_mov_b32_dpp v8, v7 row_shr:1 row_mask:0xf bank_mask:0xf
	buffer_store_dword v7, off, s[0:3], 0 offset:192
	buffer_store_dword v12, off, s[0:3], 0
	buffer_store_dword v13, off, s[0:3], 0 offset:4
	buffer_store_dword v14, off, s[0:3], 0 offset:8
	;; [unrolled: 1-line block ×4, first 2 shown]
	v_cmpx_ne_u32_e32 0, v6
	s_cbranch_execz .LBB2074_110
; %bb.103:
	v_cmp_eq_u16_sdwa s8, v5, v11 src0_sel:BYTE_0 src1_sel:DWORD
	s_and_saveexec_b32 s5, s8
	s_cbranch_execz .LBB2074_109
; %bb.104:
	v_mov_b32_e32 v1, 0
	s_mov_b32 s8, 0
.LBB2074_105:                           ; =>This Inner Loop Header: Depth=1
	v_add_nc_u32_e64 v2, 0x60, s8
	s_add_i32 s8, s8, 4
	s_cmp_lg_u32 s8, 16
	buffer_store_dword v1, v2, s[0:3], 0 offen
	s_cbranch_scc1 .LBB2074_105
; %bb.106:
	s_mov_b32 s8, 0
	.p2align	6
.LBB2074_107:                           ; =>This Inner Loop Header: Depth=1
	v_mov_b32_e32 v1, s8
	v_add_nc_u32_e64 v2, 0xb0, s8
	v_add_nc_u32_e64 v3, 0x60, s8
	s_add_i32 s8, s8, 4
	s_clause 0x1
	buffer_load_dword v1, v1, s[0:3], 0 offen
	buffer_load_dword v2, v2, s[0:3], 0 offen
	s_cmp_lg_u32 s8, 16
	s_waitcnt vmcnt(0)
	v_add_nc_u32_e32 v1, v2, v1
	buffer_store_dword v1, v3, s[0:3], 0 offen
	s_cbranch_scc1 .LBB2074_107
; %bb.108:
	s_clause 0x3
	buffer_load_dword v1, off, s[0:3], 0 offset:96
	buffer_load_dword v2, off, s[0:3], 0 offset:100
	;; [unrolled: 1-line block ×4, first 2 shown]
.LBB2074_109:
	s_or_b32 exec_lo, exec_lo, s5
	v_or_b32_e32 v5, v8, v7
	v_and_b32_e32 v5, 1, v5
	buffer_store_byte v5, off, s[0:3], 0 offset:192
	buffer_load_dword v7, off, s[0:3], 0 offset:192
	s_waitcnt vmcnt(4)
	buffer_store_dword v1, off, s[0:3], 0 offset:176
	s_waitcnt vmcnt(3)
	buffer_store_dword v2, off, s[0:3], 0 offset:180
	;; [unrolled: 2-line block ×4, first 2 shown]
	s_waitcnt vmcnt(0)
	v_mov_b32_e32 v5, v7
.LBB2074_110:
	s_or_b32 exec_lo, exec_lo, s4
	v_mov_b32_dpp v11, v1 row_shr:2 row_mask:0xf bank_mask:0xf
	v_mov_b32_dpp v8, v7 row_shr:2 row_mask:0xf bank_mask:0xf
	;; [unrolled: 1-line block ×5, first 2 shown]
	s_mov_b32 s5, exec_lo
	buffer_store_dword v11, off, s[0:3], 0
	buffer_store_dword v12, off, s[0:3], 0 offset:4
	buffer_store_dword v13, off, s[0:3], 0 offset:8
	;; [unrolled: 1-line block ×4, first 2 shown]
	v_cmpx_lt_u32_e32 1, v6
	s_cbranch_execz .LBB2074_117
; %bb.111:
	v_mov_b32_e32 v7, 0
	s_mov_b32 s8, 0
	v_cmp_eq_u16_sdwa s9, v5, v7 src0_sel:BYTE_0 src1_sel:DWORD
	s_and_saveexec_b32 s4, s9
	s_cbranch_execz .LBB2074_116
.LBB2074_112:                           ; =>This Inner Loop Header: Depth=1
	v_add_nc_u32_e64 v1, 0x60, s8
	s_add_i32 s8, s8, 4
	s_cmp_lg_u32 s8, 16
	buffer_store_dword v7, v1, s[0:3], 0 offen
	s_cbranch_scc1 .LBB2074_112
; %bb.113:
	s_mov_b32 s8, 0
	.p2align	6
.LBB2074_114:                           ; =>This Inner Loop Header: Depth=1
	v_mov_b32_e32 v1, s8
	v_add_nc_u32_e64 v2, 0xb0, s8
	v_add_nc_u32_e64 v3, 0x60, s8
	s_add_i32 s8, s8, 4
	s_clause 0x1
	buffer_load_dword v1, v1, s[0:3], 0 offen
	buffer_load_dword v2, v2, s[0:3], 0 offen
	s_cmp_lg_u32 s8, 16
	s_waitcnt vmcnt(0)
	v_add_nc_u32_e32 v1, v2, v1
	buffer_store_dword v1, v3, s[0:3], 0 offen
	s_cbranch_scc1 .LBB2074_114
; %bb.115:
	s_clause 0x3
	buffer_load_dword v1, off, s[0:3], 0 offset:96
	buffer_load_dword v2, off, s[0:3], 0 offset:100
	;; [unrolled: 1-line block ×4, first 2 shown]
.LBB2074_116:
	s_or_b32 exec_lo, exec_lo, s4
	v_and_b32_e32 v5, 1, v5
	v_and_b32_e32 v7, 1, v8
	v_cmp_eq_u32_e32 vcc_lo, 1, v5
	v_cmp_eq_u32_e64 s4, 1, v7
	s_or_b32 s4, vcc_lo, s4
	v_cndmask_b32_e64 v5, 0, 1, s4
	buffer_store_byte v5, off, s[0:3], 0 offset:192
	buffer_load_dword v7, off, s[0:3], 0 offset:192
	s_waitcnt vmcnt(4)
	buffer_store_dword v1, off, s[0:3], 0 offset:176
	s_waitcnt vmcnt(3)
	buffer_store_dword v2, off, s[0:3], 0 offset:180
	;; [unrolled: 2-line block ×4, first 2 shown]
	s_waitcnt vmcnt(0)
	v_mov_b32_e32 v5, v7
.LBB2074_117:
	s_or_b32 exec_lo, exec_lo, s5
	v_mov_b32_dpp v11, v1 row_shr:4 row_mask:0xf bank_mask:0xf
	v_mov_b32_dpp v8, v7 row_shr:4 row_mask:0xf bank_mask:0xf
	;; [unrolled: 1-line block ×5, first 2 shown]
	s_mov_b32 s5, exec_lo
	buffer_store_dword v11, off, s[0:3], 0
	buffer_store_dword v12, off, s[0:3], 0 offset:4
	buffer_store_dword v13, off, s[0:3], 0 offset:8
	;; [unrolled: 1-line block ×4, first 2 shown]
	v_cmpx_lt_u32_e32 3, v6
	s_cbranch_execz .LBB2074_124
; %bb.118:
	v_mov_b32_e32 v7, 0
	s_mov_b32 s8, 0
	v_cmp_eq_u16_sdwa s9, v5, v7 src0_sel:BYTE_0 src1_sel:DWORD
	s_and_saveexec_b32 s4, s9
	s_cbranch_execz .LBB2074_123
.LBB2074_119:                           ; =>This Inner Loop Header: Depth=1
	v_add_nc_u32_e64 v1, 0x60, s8
	s_add_i32 s8, s8, 4
	s_cmp_lg_u32 s8, 16
	buffer_store_dword v7, v1, s[0:3], 0 offen
	s_cbranch_scc1 .LBB2074_119
; %bb.120:
	s_mov_b32 s8, 0
	.p2align	6
.LBB2074_121:                           ; =>This Inner Loop Header: Depth=1
	v_mov_b32_e32 v1, s8
	v_add_nc_u32_e64 v2, 0xb0, s8
	v_add_nc_u32_e64 v3, 0x60, s8
	s_add_i32 s8, s8, 4
	s_clause 0x1
	buffer_load_dword v1, v1, s[0:3], 0 offen
	buffer_load_dword v2, v2, s[0:3], 0 offen
	s_cmp_lg_u32 s8, 16
	s_waitcnt vmcnt(0)
	v_add_nc_u32_e32 v1, v2, v1
	buffer_store_dword v1, v3, s[0:3], 0 offen
	s_cbranch_scc1 .LBB2074_121
; %bb.122:
	s_clause 0x3
	buffer_load_dword v1, off, s[0:3], 0 offset:96
	buffer_load_dword v2, off, s[0:3], 0 offset:100
	;; [unrolled: 1-line block ×4, first 2 shown]
.LBB2074_123:
	s_or_b32 exec_lo, exec_lo, s4
	v_and_b32_e32 v5, 1, v5
	v_and_b32_e32 v7, 1, v8
	v_cmp_eq_u32_e32 vcc_lo, 1, v5
	v_cmp_eq_u32_e64 s4, 1, v7
	s_or_b32 s4, vcc_lo, s4
	v_cndmask_b32_e64 v5, 0, 1, s4
	buffer_store_byte v5, off, s[0:3], 0 offset:192
	buffer_load_dword v7, off, s[0:3], 0 offset:192
	s_waitcnt vmcnt(4)
	buffer_store_dword v1, off, s[0:3], 0 offset:176
	s_waitcnt vmcnt(3)
	buffer_store_dword v2, off, s[0:3], 0 offset:180
	;; [unrolled: 2-line block ×4, first 2 shown]
	s_waitcnt vmcnt(0)
	v_mov_b32_e32 v5, v7
.LBB2074_124:
	s_or_b32 exec_lo, exec_lo, s5
	v_mov_b32_dpp v11, v1 row_shr:8 row_mask:0xf bank_mask:0xf
	v_mov_b32_dpp v8, v7 row_shr:8 row_mask:0xf bank_mask:0xf
	;; [unrolled: 1-line block ×5, first 2 shown]
	s_mov_b32 s5, exec_lo
	buffer_store_dword v11, off, s[0:3], 0
	buffer_store_dword v12, off, s[0:3], 0 offset:4
	buffer_store_dword v13, off, s[0:3], 0 offset:8
	;; [unrolled: 1-line block ×4, first 2 shown]
	v_cmpx_lt_u32_e32 7, v6
	s_cbranch_execz .LBB2074_131
; %bb.125:
	v_mov_b32_e32 v6, 0
	s_mov_b32 s8, 0
	v_cmp_eq_u16_sdwa s9, v5, v6 src0_sel:BYTE_0 src1_sel:DWORD
	s_and_saveexec_b32 s4, s9
	s_cbranch_execz .LBB2074_130
.LBB2074_126:                           ; =>This Inner Loop Header: Depth=1
	v_add_nc_u32_e64 v1, 0x60, s8
	s_add_i32 s8, s8, 4
	s_cmp_lg_u32 s8, 16
	buffer_store_dword v6, v1, s[0:3], 0 offen
	s_cbranch_scc1 .LBB2074_126
; %bb.127:
	s_mov_b32 s8, 0
	.p2align	6
.LBB2074_128:                           ; =>This Inner Loop Header: Depth=1
	v_mov_b32_e32 v1, s8
	v_add_nc_u32_e64 v2, 0xb0, s8
	v_add_nc_u32_e64 v3, 0x60, s8
	s_add_i32 s8, s8, 4
	s_clause 0x1
	buffer_load_dword v1, v1, s[0:3], 0 offen
	buffer_load_dword v2, v2, s[0:3], 0 offen
	s_cmp_lg_u32 s8, 16
	s_waitcnt vmcnt(0)
	v_add_nc_u32_e32 v1, v2, v1
	buffer_store_dword v1, v3, s[0:3], 0 offen
	s_cbranch_scc1 .LBB2074_128
; %bb.129:
	s_clause 0x3
	buffer_load_dword v1, off, s[0:3], 0 offset:96
	buffer_load_dword v2, off, s[0:3], 0 offset:100
	;; [unrolled: 1-line block ×4, first 2 shown]
.LBB2074_130:
	s_or_b32 exec_lo, exec_lo, s4
	v_and_b32_e32 v5, 1, v5
	v_and_b32_e32 v6, 1, v8
	v_cmp_eq_u32_e32 vcc_lo, 1, v5
	v_cmp_eq_u32_e64 s4, 1, v6
	s_or_b32 s4, vcc_lo, s4
	v_cndmask_b32_e64 v5, 0, 1, s4
	buffer_store_byte v5, off, s[0:3], 0 offset:192
	buffer_load_dword v7, off, s[0:3], 0 offset:192
	s_waitcnt vmcnt(4)
	buffer_store_dword v1, off, s[0:3], 0 offset:176
	s_waitcnt vmcnt(3)
	buffer_store_dword v2, off, s[0:3], 0 offset:180
	;; [unrolled: 2-line block ×4, first 2 shown]
	s_waitcnt vmcnt(0)
	v_mov_b32_e32 v5, v7
.LBB2074_131:
	s_or_b32 exec_lo, exec_lo, s5
	ds_swizzle_b32 v8, v1 offset:swizzle(BROADCAST,32,15)
	ds_swizzle_b32 v6, v7 offset:swizzle(BROADCAST,32,15)
	;; [unrolled: 1-line block ×5, first 2 shown]
	v_and_b32_e32 v7, 16, v10
	s_mov_b32 s5, exec_lo
	s_waitcnt lgkmcnt(4)
	buffer_store_dword v8, off, s[0:3], 0
	s_waitcnt lgkmcnt(2)
	buffer_store_dword v11, off, s[0:3], 0 offset:4
	s_waitcnt lgkmcnt(1)
	buffer_store_dword v12, off, s[0:3], 0 offset:8
	;; [unrolled: 2-line block ×3, first 2 shown]
	buffer_store_dword v6, off, s[0:3], 0 offset:16
	v_cmpx_ne_u32_e32 0, v7
	s_cbranch_execz .LBB2074_138
; %bb.132:
	v_mov_b32_e32 v7, 0
	s_mov_b32 s8, 0
	v_cmp_eq_u16_sdwa s9, v5, v7 src0_sel:BYTE_0 src1_sel:DWORD
	s_and_saveexec_b32 s4, s9
	s_cbranch_execz .LBB2074_137
.LBB2074_133:                           ; =>This Inner Loop Header: Depth=1
	v_add_nc_u32_e64 v1, 0x60, s8
	s_add_i32 s8, s8, 4
	s_cmp_lg_u32 s8, 16
	buffer_store_dword v7, v1, s[0:3], 0 offen
	s_cbranch_scc1 .LBB2074_133
; %bb.134:
	s_mov_b32 s8, 0
	.p2align	6
.LBB2074_135:                           ; =>This Inner Loop Header: Depth=1
	v_mov_b32_e32 v1, s8
	v_add_nc_u32_e64 v2, 0xb0, s8
	v_add_nc_u32_e64 v3, 0x60, s8
	s_add_i32 s8, s8, 4
	s_clause 0x1
	buffer_load_dword v1, v1, s[0:3], 0 offen
	buffer_load_dword v2, v2, s[0:3], 0 offen
	s_cmp_lg_u32 s8, 16
	s_waitcnt vmcnt(0)
	v_add_nc_u32_e32 v1, v2, v1
	buffer_store_dword v1, v3, s[0:3], 0 offen
	s_cbranch_scc1 .LBB2074_135
; %bb.136:
	s_clause 0x3
	buffer_load_dword v1, off, s[0:3], 0 offset:96
	buffer_load_dword v2, off, s[0:3], 0 offset:100
	;; [unrolled: 1-line block ×4, first 2 shown]
.LBB2074_137:
	s_or_b32 exec_lo, exec_lo, s4
	v_and_b32_e32 v5, 1, v5
	v_and_b32_e32 v6, 1, v6
	v_cmp_eq_u32_e32 vcc_lo, 1, v5
	v_cmp_eq_u32_e64 s4, 1, v6
	s_or_b32 s4, vcc_lo, s4
	v_cndmask_b32_e64 v5, 0, 1, s4
	s_waitcnt vmcnt(3)
	buffer_store_dword v1, off, s[0:3], 0 offset:176
	s_waitcnt vmcnt(2)
	buffer_store_dword v2, off, s[0:3], 0 offset:180
	;; [unrolled: 2-line block ×4, first 2 shown]
	buffer_store_byte v5, off, s[0:3], 0 offset:192
.LBB2074_138:
	s_or_b32 exec_lo, exec_lo, s5
	v_or_b32_e32 v7, 31, v0
	v_lshrrev_b32_e32 v6, 5, v0
	s_mov_b32 s4, exec_lo
	v_cmpx_eq_u32_e64 v0, v7
	s_cbranch_execz .LBB2074_140
; %bb.139:
	v_mul_u32_u24_e32 v7, 20, v6
	ds_write2_b32 v7, v1, v2 offset1:1
	ds_write2_b32 v7, v3, v4 offset0:2 offset1:3
	ds_write_b8 v7, v5 offset:16
.LBB2074_140:
	s_or_b32 exec_lo, exec_lo, s4
	s_mov_b32 s5, exec_lo
	s_waitcnt lgkmcnt(0)
	s_waitcnt_vscnt null, 0x0
	s_barrier
	buffer_gl0_inv
	v_cmpx_gt_u32_e32 8, v0
	s_cbranch_execz .LBB2074_164
; %bb.141:
	v_mul_u32_u24_e32 v5, 20, v0
	v_and_b32_e32 v8, 7, v10
	s_mov_b32 s4, exec_lo
	ds_read_b32 v7, v5 offset:16
	ds_read2_b32 v[1:2], v5 offset0:2 offset1:3
	ds_read2_b32 v[3:4], v5 offset1:1
	s_waitcnt lgkmcnt(2)
	buffer_store_dword v7, off, s[0:3], 0 offset:112
	s_waitcnt lgkmcnt(1)
	buffer_store_dword v2, off, s[0:3], 0 offset:108
	buffer_store_dword v1, off, s[0:3], 0 offset:104
	s_waitcnt lgkmcnt(0)
	buffer_store_dword v4, off, s[0:3], 0 offset:100
	buffer_store_dword v3, off, s[0:3], 0 offset:96
	v_mov_b32_dpp v12, v3 row_shr:1 row_mask:0xf bank_mask:0xf
	v_mov_b32_dpp v11, v7 row_shr:1 row_mask:0xf bank_mask:0xf
	v_mov_b32_dpp v13, v4 row_shr:1 row_mask:0xf bank_mask:0xf
	v_mov_b32_dpp v14, v1 row_shr:1 row_mask:0xf bank_mask:0xf
	v_mov_b32_dpp v15, v2 row_shr:1 row_mask:0xf bank_mask:0xf
	buffer_store_dword v12, off, s[0:3], 0
	buffer_store_dword v13, off, s[0:3], 0 offset:4
	buffer_store_dword v14, off, s[0:3], 0 offset:8
	;; [unrolled: 1-line block ×4, first 2 shown]
	v_cmpx_ne_u32_e32 0, v8
	s_cbranch_execz .LBB2074_149
; %bb.142:
	v_mov_b32_e32 v12, 0
	v_cmp_eq_u16_sdwa s9, v7, v12 src0_sel:BYTE_0 src1_sel:DWORD
	s_and_saveexec_b32 s8, s9
	s_cbranch_execz .LBB2074_148
; %bb.143:
	s_mov_b32 s9, 0
.LBB2074_144:                           ; =>This Inner Loop Header: Depth=1
	v_add_nc_u32_e64 v1, 0x74, s9
	s_add_i32 s9, s9, 4
	s_cmp_lg_u32 s9, 16
	buffer_store_dword v12, v1, s[0:3], 0 offen
	s_cbranch_scc1 .LBB2074_144
; %bb.145:
	s_mov_b32 s9, 0
	.p2align	6
.LBB2074_146:                           ; =>This Inner Loop Header: Depth=1
	v_mov_b32_e32 v1, s9
	v_add_nc_u32_e64 v2, 0x60, s9
	v_add_nc_u32_e64 v3, 0x74, s9
	s_add_i32 s9, s9, 4
	s_clause 0x1
	buffer_load_dword v1, v1, s[0:3], 0 offen
	buffer_load_dword v2, v2, s[0:3], 0 offen
	s_cmp_lg_u32 s9, 16
	s_waitcnt vmcnt(0)
	v_add_nc_u32_e32 v1, v2, v1
	buffer_store_dword v1, v3, s[0:3], 0 offen
	s_cbranch_scc1 .LBB2074_146
; %bb.147:
	s_clause 0x3
	buffer_load_dword v3, off, s[0:3], 0 offset:116
	buffer_load_dword v4, off, s[0:3], 0 offset:120
	;; [unrolled: 1-line block ×4, first 2 shown]
.LBB2074_148:
	s_or_b32 exec_lo, exec_lo, s8
	v_or_b32_e32 v7, v11, v7
	v_and_b32_e32 v7, 1, v7
	buffer_store_byte v7, off, s[0:3], 0 offset:112
	buffer_load_dword v7, off, s[0:3], 0 offset:112
	s_waitcnt vmcnt(4)
	buffer_store_dword v3, off, s[0:3], 0 offset:96
	s_waitcnt vmcnt(3)
	buffer_store_dword v4, off, s[0:3], 0 offset:100
	;; [unrolled: 2-line block ×4, first 2 shown]
.LBB2074_149:
	s_or_b32 exec_lo, exec_lo, s4
	v_mov_b32_dpp v12, v3 row_shr:2 row_mask:0xf bank_mask:0xf
	s_waitcnt vmcnt(0)
	v_mov_b32_dpp v11, v7 row_shr:2 row_mask:0xf bank_mask:0xf
	v_mov_b32_dpp v13, v4 row_shr:2 row_mask:0xf bank_mask:0xf
	;; [unrolled: 1-line block ×4, first 2 shown]
	s_mov_b32 s8, exec_lo
	buffer_store_dword v12, off, s[0:3], 0
	buffer_store_dword v13, off, s[0:3], 0 offset:4
	buffer_store_dword v14, off, s[0:3], 0 offset:8
	;; [unrolled: 1-line block ×4, first 2 shown]
	v_cmpx_lt_u32_e32 1, v8
	s_cbranch_execz .LBB2074_156
; %bb.150:
	v_mov_b32_e32 v12, 0
	s_mov_b32 s9, 0
	v_cmp_eq_u16_sdwa s10, v7, v12 src0_sel:BYTE_0 src1_sel:DWORD
	s_and_saveexec_b32 s4, s10
	s_cbranch_execz .LBB2074_155
.LBB2074_151:                           ; =>This Inner Loop Header: Depth=1
	v_add_nc_u32_e64 v1, 0x74, s9
	s_add_i32 s9, s9, 4
	s_cmp_lg_u32 s9, 16
	buffer_store_dword v12, v1, s[0:3], 0 offen
	s_cbranch_scc1 .LBB2074_151
; %bb.152:
	s_mov_b32 s9, 0
	.p2align	6
.LBB2074_153:                           ; =>This Inner Loop Header: Depth=1
	v_mov_b32_e32 v1, s9
	v_add_nc_u32_e64 v2, 0x60, s9
	v_add_nc_u32_e64 v3, 0x74, s9
	s_add_i32 s9, s9, 4
	s_clause 0x1
	buffer_load_dword v1, v1, s[0:3], 0 offen
	buffer_load_dword v2, v2, s[0:3], 0 offen
	s_cmp_lg_u32 s9, 16
	s_waitcnt vmcnt(0)
	v_add_nc_u32_e32 v1, v2, v1
	buffer_store_dword v1, v3, s[0:3], 0 offen
	s_cbranch_scc1 .LBB2074_153
; %bb.154:
	s_clause 0x3
	buffer_load_dword v3, off, s[0:3], 0 offset:116
	buffer_load_dword v4, off, s[0:3], 0 offset:120
	buffer_load_dword v1, off, s[0:3], 0 offset:124
	buffer_load_dword v2, off, s[0:3], 0 offset:128
.LBB2074_155:
	s_or_b32 exec_lo, exec_lo, s4
	v_and_b32_e32 v7, 1, v7
	v_and_b32_e32 v11, 1, v11
	v_cmp_eq_u32_e32 vcc_lo, 1, v7
	v_cmp_eq_u32_e64 s4, 1, v11
	s_or_b32 s4, vcc_lo, s4
	v_cndmask_b32_e64 v7, 0, 1, s4
	buffer_store_byte v7, off, s[0:3], 0 offset:112
	buffer_load_dword v7, off, s[0:3], 0 offset:112
	s_waitcnt vmcnt(4)
	buffer_store_dword v3, off, s[0:3], 0 offset:96
	s_waitcnt vmcnt(3)
	buffer_store_dword v4, off, s[0:3], 0 offset:100
	;; [unrolled: 2-line block ×4, first 2 shown]
.LBB2074_156:
	s_or_b32 exec_lo, exec_lo, s8
	v_mov_b32_dpp v12, v3 row_shr:4 row_mask:0xf bank_mask:0xf
	s_waitcnt vmcnt(0)
	v_mov_b32_dpp v11, v7 row_shr:4 row_mask:0xf bank_mask:0xf
	v_mov_b32_dpp v13, v4 row_shr:4 row_mask:0xf bank_mask:0xf
	;; [unrolled: 1-line block ×4, first 2 shown]
	s_mov_b32 s8, exec_lo
	buffer_store_dword v12, off, s[0:3], 0
	buffer_store_dword v13, off, s[0:3], 0 offset:4
	buffer_store_dword v14, off, s[0:3], 0 offset:8
	;; [unrolled: 1-line block ×4, first 2 shown]
	v_cmpx_lt_u32_e32 3, v8
	s_cbranch_execz .LBB2074_163
; %bb.157:
	v_mov_b32_e32 v8, 0
	s_mov_b32 s9, 0
	v_cmp_eq_u16_sdwa s10, v7, v8 src0_sel:BYTE_0 src1_sel:DWORD
	s_and_saveexec_b32 s4, s10
	s_cbranch_execz .LBB2074_162
.LBB2074_158:                           ; =>This Inner Loop Header: Depth=1
	v_add_nc_u32_e64 v1, 0x74, s9
	s_add_i32 s9, s9, 4
	s_cmp_lg_u32 s9, 16
	buffer_store_dword v8, v1, s[0:3], 0 offen
	s_cbranch_scc1 .LBB2074_158
; %bb.159:
	s_mov_b32 s9, 0
	.p2align	6
.LBB2074_160:                           ; =>This Inner Loop Header: Depth=1
	v_mov_b32_e32 v1, s9
	v_add_nc_u32_e64 v2, 0x60, s9
	v_add_nc_u32_e64 v3, 0x74, s9
	s_add_i32 s9, s9, 4
	s_clause 0x1
	buffer_load_dword v1, v1, s[0:3], 0 offen
	buffer_load_dword v2, v2, s[0:3], 0 offen
	s_cmp_lg_u32 s9, 16
	s_waitcnt vmcnt(0)
	v_add_nc_u32_e32 v1, v2, v1
	buffer_store_dword v1, v3, s[0:3], 0 offen
	s_cbranch_scc1 .LBB2074_160
; %bb.161:
	s_clause 0x3
	buffer_load_dword v3, off, s[0:3], 0 offset:116
	buffer_load_dword v4, off, s[0:3], 0 offset:120
	;; [unrolled: 1-line block ×4, first 2 shown]
.LBB2074_162:
	s_or_b32 exec_lo, exec_lo, s4
	v_and_b32_e32 v7, 1, v7
	v_and_b32_e32 v8, 1, v11
	s_waitcnt vmcnt(3)
	buffer_store_dword v3, off, s[0:3], 0 offset:96
	s_waitcnt vmcnt(2)
	buffer_store_dword v4, off, s[0:3], 0 offset:100
	;; [unrolled: 2-line block ×4, first 2 shown]
	v_cmp_eq_u32_e32 vcc_lo, 1, v7
	v_cmp_eq_u32_e64 s4, 1, v8
	s_or_b32 s4, vcc_lo, s4
	v_cndmask_b32_e64 v7, 0, 1, s4
.LBB2074_163:
	s_or_b32 exec_lo, exec_lo, s8
	s_clause 0x3
	buffer_load_dword v1, off, s[0:3], 0 offset:96
	buffer_load_dword v2, off, s[0:3], 0 offset:104
	;; [unrolled: 1-line block ×4, first 2 shown]
	s_waitcnt vmcnt(1)
	ds_write2_b32 v5, v2, v3 offset0:2 offset1:3
	s_waitcnt vmcnt(0)
	ds_write2_b32 v5, v1, v4 offset1:1
	ds_write_b8 v5, v7 offset:16
.LBB2074_164:
	s_or_b32 exec_lo, exec_lo, s5
	v_mov_b32_e32 v1, 0
	s_mov_b32 s4, 0
	s_waitcnt lgkmcnt(0)
	s_waitcnt_vscnt null, 0x0
	s_barrier
	buffer_gl0_inv
	buffer_store_dword v1, off, s[0:3], 0 offset:12
	buffer_store_dword v1, off, s[0:3], 0 offset:8
	buffer_store_dword v1, off, s[0:3], 0 offset:4
	buffer_store_dword v1, off, s[0:3], 0
	buffer_store_dword v1, off, s[0:3], 0 offset:16
.LBB2074_165:                           ; =>This Inner Loop Header: Depth=1
	v_mov_b32_e32 v2, s4
	s_add_i32 s4, s4, 4
	s_cmp_lg_u32 s4, 16
	buffer_store_dword v1, v2, s[0:3], 0 offen
	s_cbranch_scc1 .LBB2074_165
; %bb.166:
	s_mov_b32 s5, exec_lo
	v_cmp_gt_u32_e32 vcc_lo, 32, v0
                                        ; implicit-def: $vgpr2
                                        ; implicit-def: $vgpr3
                                        ; implicit-def: $vgpr5
                                        ; implicit-def: $vgpr4
                                        ; implicit-def: $vgpr1
	v_cmpx_lt_u32_e32 31, v0
	s_xor_b32 s5, exec_lo, s5
	s_cbranch_execz .LBB2074_176
; %bb.167:
	buffer_load_ubyte v7, off, s[0:3], 0 offset:192
	v_mad_u32_u24 v4, v6, 20, 0xffffffec
	v_mad_u32_u24 v1, v6, 20, -4
	ds_read2_b32 v[2:3], v4 offset0:2 offset1:3
	ds_read_u8 v1, v1
	ds_read2_b32 v[4:5], v4 offset1:1
	s_waitcnt lgkmcnt(2)
	buffer_store_dword v3, off, s[0:3], 0 offset:12
	buffer_store_dword v2, off, s[0:3], 0 offset:8
	s_waitcnt lgkmcnt(0)
	buffer_store_dword v5, off, s[0:3], 0 offset:4
	buffer_store_dword v4, off, s[0:3], 0
                                        ; implicit-def: $vgpr4
                                        ; implicit-def: $vgpr2
                                        ; implicit-def: $vgpr3
                                        ; implicit-def: $vgpr5
	s_waitcnt vmcnt(0)
	v_cmp_ne_u16_e64 s4, 0, v7
	s_and_saveexec_b32 s8, s4
	s_xor_b32 s4, exec_lo, s8
	s_cbranch_execz .LBB2074_169
; %bb.168:
	s_clause 0x3
	buffer_load_dword v2, off, s[0:3], 0 offset:176
	buffer_load_dword v3, off, s[0:3], 0 offset:180
	;; [unrolled: 1-line block ×4, first 2 shown]
.LBB2074_169:
	s_andn2_saveexec_b32 s4, s4
	s_cbranch_execz .LBB2074_175
; %bb.170:
	s_waitcnt vmcnt(3)
	v_mov_b32_e32 v2, 0
	s_mov_b32 s8, 0
.LBB2074_171:                           ; =>This Inner Loop Header: Depth=1
	s_waitcnt vmcnt(2)
	v_add_nc_u32_e64 v3, 0x60, s8
	s_add_i32 s8, s8, 4
	s_cmp_lg_u32 s8, 16
	buffer_store_dword v2, v3, s[0:3], 0 offen
	s_cbranch_scc1 .LBB2074_171
; %bb.172:
	s_mov_b32 s8, 0
	.p2align	6
.LBB2074_173:                           ; =>This Inner Loop Header: Depth=1
	v_mov_b32_e32 v2, s8
	v_add_nc_u32_e64 v3, 0xb0, s8
	s_waitcnt vmcnt(0)
	v_add_nc_u32_e64 v4, 0x60, s8
	s_add_i32 s8, s8, 4
	s_clause 0x1
	buffer_load_dword v2, v2, s[0:3], 0 offen
	buffer_load_dword v3, v3, s[0:3], 0 offen
	s_cmp_lg_u32 s8, 16
	s_waitcnt vmcnt(0)
	v_add_nc_u32_e32 v2, v3, v2
	buffer_store_dword v2, v4, s[0:3], 0 offen
	s_cbranch_scc1 .LBB2074_173
; %bb.174:
	s_clause 0x3
	buffer_load_dword v2, off, s[0:3], 0 offset:96
	buffer_load_dword v3, off, s[0:3], 0 offset:100
	;; [unrolled: 1-line block ×4, first 2 shown]
.LBB2074_175:
	s_or_b32 exec_lo, exec_lo, s4
	v_or_b32_e32 v6, v7, v1
	buffer_store_byte v6, off, s[0:3], 0 offset:192
.LBB2074_176:
	s_andn2_saveexec_b32 s4, s5
	s_cbranch_execz .LBB2074_178
; %bb.177:
	s_clause 0x3
	buffer_load_dword v2, off, s[0:3], 0 offset:176
	buffer_load_dword v3, off, s[0:3], 0 offset:180
	;; [unrolled: 1-line block ×4, first 2 shown]
	v_mov_b32_e32 v1, 0
.LBB2074_178:
	s_or_b32 exec_lo, exec_lo, s4
	buffer_load_dword v6, off, s[0:3], 0 offset:192
	v_sub_co_u32 v7, s8, v10, 1
	v_cmp_gt_i32_e64 s4, 0, v7
	v_cndmask_b32_e64 v7, v7, v10, s4
	v_lshlrev_b32_e32 v7, 2, v7
	s_waitcnt vmcnt(4)
	ds_bpermute_b32 v2, v7, v2
	s_waitcnt vmcnt(3)
	ds_bpermute_b32 v3, v7, v3
	;; [unrolled: 2-line block ×5, first 2 shown]
	s_waitcnt lgkmcnt(4)
	buffer_store_dword v2, off, s[0:3], 0 offset:176
	s_waitcnt lgkmcnt(3)
	buffer_store_dword v3, off, s[0:3], 0 offset:180
	;; [unrolled: 2-line block ×4, first 2 shown]
	s_waitcnt lgkmcnt(0)
	buffer_store_byte v6, off, s[0:3], 0 offset:192
	s_and_saveexec_b32 s4, s8
	s_cbranch_execz .LBB2074_180
; %bb.179:
	s_clause 0x3
	buffer_load_dword v2, off, s[0:3], 0 offset:12
	buffer_load_dword v3, off, s[0:3], 0 offset:8
	;; [unrolled: 1-line block ×3, first 2 shown]
	buffer_load_dword v5, off, s[0:3], 0
	s_waitcnt vmcnt(3)
	buffer_store_dword v2, off, s[0:3], 0 offset:188
	s_waitcnt vmcnt(2)
	buffer_store_dword v3, off, s[0:3], 0 offset:184
	;; [unrolled: 2-line block ×4, first 2 shown]
	buffer_store_byte v1, off, s[0:3], 0 offset:192
.LBB2074_180:
	s_or_b32 exec_lo, exec_lo, s4
	s_and_saveexec_b32 s5, vcc_lo
	s_cbranch_execz .LBB2074_302
; %bb.181:
	v_mov_b32_e32 v5, 0
	ds_read2_b32 v[1:2], v5 offset0:35 offset1:36
	ds_read2_b32 v[3:4], v5 offset0:37 offset1:38
	ds_read_b32 v11, v5 offset:156
	s_waitcnt lgkmcnt(2)
	buffer_store_dword v1, off, s[0:3], 0 offset:156
	buffer_store_dword v2, off, s[0:3], 0 offset:160
	s_waitcnt lgkmcnt(1)
	buffer_store_dword v3, off, s[0:3], 0 offset:164
	buffer_store_dword v4, off, s[0:3], 0 offset:168
	s_waitcnt lgkmcnt(0)
	buffer_store_dword v11, off, s[0:3], 0 offset:172
	s_and_saveexec_b32 s4, s8
	s_cbranch_execz .LBB2074_183
; %bb.182:
	s_add_i32 s9, s45, 32
	v_mov_b32_e32 v6, 1
	s_mul_i32 s10, s9, 20
	v_mov_b32_e32 v7, s9
	s_mul_hi_u32 s25, s9, 20
	s_add_u32 s24, s12, s10
	s_addc_u32 s25, s13, s25
	global_store_dwordx4 v5, v[1:4], s[24:25]
	global_store_byte v5, v11, s[24:25] offset:16
	s_waitcnt_vscnt null, 0x0
	buffer_gl1_inv
	buffer_gl0_inv
	global_store_byte v7, v6, s[16:17]
.LBB2074_183:
	s_or_b32 exec_lo, exec_lo, s4
	s_mov_b32 s4, 0
	buffer_store_dword v5, off, s[0:3], 0 offset:148
	buffer_store_dword v5, off, s[0:3], 0 offset:144
	;; [unrolled: 1-line block ×5, first 2 shown]
.LBB2074_184:                           ; =>This Inner Loop Header: Depth=1
	v_add_nc_u32_e64 v6, 0x88, s4
	s_add_i32 s4, s4, 4
	s_cmp_lg_u32 s4, 16
	buffer_store_dword v5, v6, s[0:3], 0 offen
	s_cbranch_scc1 .LBB2074_184
; %bb.185:
	v_mov_b32_e32 v5, 0
	s_mov_b32 s4, 0
	buffer_store_byte v5, off, s[0:3], 0 offset:152
	buffer_store_dword v5, off, s[0:3], 0 offset:108
	buffer_store_dword v5, off, s[0:3], 0 offset:104
	;; [unrolled: 1-line block ×5, first 2 shown]
.LBB2074_186:                           ; =>This Inner Loop Header: Depth=1
	v_add_nc_u32_e64 v6, 0x60, s4
	s_add_i32 s4, s4, 4
	s_cmp_lg_u32 s4, 16
	buffer_store_dword v5, v6, s[0:3], 0 offen
	s_cbranch_scc1 .LBB2074_186
; %bb.187:
	v_xad_u32 v12, v10, -1, s45
	v_mov_b32_e32 v5, 0
	s_mov_b32 s4, exec_lo
	v_add_nc_u32_e32 v7, 32, v12
	buffer_store_byte v5, off, s[0:3], 0 offset:112
	global_load_ubyte v13, v7, s[16:17] glc dlc
	s_waitcnt vmcnt(0)
	v_cmpx_eq_u16_e32 0, v13
	s_cbranch_execz .LBB2074_191
; %bb.188:
	v_add_co_u32 v5, s9, s16, v7
	v_add_co_ci_u32_e64 v6, null, s17, 0, s9
	s_mov_b32 s9, 0
.LBB2074_189:                           ; =>This Inner Loop Header: Depth=1
	global_load_ubyte v13, v[5:6], off glc dlc
	s_waitcnt vmcnt(0)
	v_cmp_ne_u16_e32 vcc_lo, 0, v13
	s_or_b32 s9, vcc_lo, s9
	s_andn2_b32 exec_lo, exec_lo, s9
	s_cbranch_execnz .LBB2074_189
; %bb.190:
	s_or_b32 exec_lo, exec_lo, s9
.LBB2074_191:
	s_or_b32 exec_lo, exec_lo, s4
	v_mov_b32_e32 v5, s13
	v_mov_b32_e32 v8, s12
	v_cmp_eq_u16_e32 vcc_lo, 1, v13
	s_waitcnt_vscnt null, 0x0
	buffer_gl1_inv
	buffer_gl0_inv
	s_mov_b32 s4, 0
	v_cndmask_b32_e32 v6, s15, v5, vcc_lo
	v_cndmask_b32_e32 v5, s14, v8, vcc_lo
	v_mad_u64_u32 v[14:15], null, v7, 20, v[5:6]
	s_clause 0x1
	global_load_dwordx4 v[5:8], v[14:15], off
	global_load_ubyte v15, v[14:15], off offset:16
	v_mov_b32_e32 v14, 0
	s_waitcnt vmcnt(1)
	buffer_store_dword v6, off, s[0:3], 0 offset:100
	buffer_store_dword v5, off, s[0:3], 0 offset:96
	;; [unrolled: 1-line block ×8, first 2 shown]
	s_waitcnt vmcnt(0)
	buffer_store_byte v15, off, s[0:3], 0 offset:152
	buffer_store_dword v14, off, s[0:3], 0 offset:16
.LBB2074_192:                           ; =>This Inner Loop Header: Depth=1
	v_mov_b32_e32 v15, s4
	s_add_i32 s4, s4, 4
	s_cmp_lg_u32 s4, 16
	buffer_store_dword v14, v15, s[0:3], 0 offen
	s_cbranch_scc1 .LBB2074_192
; %bb.193:
	buffer_load_dword v24, off, s[0:3], 0 offset:152
	v_cmp_ne_u32_e32 vcc_lo, 31, v10
	v_lshlrev_b32_e64 v15, v10, -1
	s_mov_b32 s4, exec_lo
	v_add_co_ci_u32_e64 v14, null, 0, v10, vcc_lo
	v_cmp_eq_u16_e32 vcc_lo, 2, v13
	v_lshlrev_b32_e32 v14, 2, v14
	v_and_or_b32 v21, vcc_lo, v15, 0x80000000
	ds_bpermute_b32 v17, v14, v5
	ds_bpermute_b32 v18, v14, v6
	;; [unrolled: 1-line block ×4, first 2 shown]
	v_ffbl_b32_e32 v25, v21
	s_waitcnt lgkmcnt(3)
	buffer_store_dword v17, off, s[0:3], 0
	s_waitcnt lgkmcnt(2)
	buffer_store_dword v18, off, s[0:3], 0 offset:4
	s_waitcnt lgkmcnt(1)
	buffer_store_dword v19, off, s[0:3], 0 offset:8
	;; [unrolled: 2-line block ×3, first 2 shown]
	s_waitcnt vmcnt(0)
	ds_bpermute_b32 v16, v14, v24
	v_cmpx_lt_u32_e64 v10, v25
	s_cbranch_execz .LBB2074_201
; %bb.194:
	v_mov_b32_e32 v17, 0
	v_cmp_eq_u16_sdwa s10, v24, v17 src0_sel:BYTE_0 src1_sel:DWORD
	s_and_saveexec_b32 s9, s10
	s_cbranch_execz .LBB2074_200
; %bb.195:
	s_mov_b32 s10, 0
.LBB2074_196:                           ; =>This Inner Loop Header: Depth=1
	v_add_nc_u32_e64 v5, 0x74, s10
	s_add_i32 s10, s10, 4
	s_cmp_lg_u32 s10, 16
	buffer_store_dword v17, v5, s[0:3], 0 offen
	s_cbranch_scc1 .LBB2074_196
; %bb.197:
	s_mov_b32 s10, 0
	.p2align	6
.LBB2074_198:                           ; =>This Inner Loop Header: Depth=1
	v_mov_b32_e32 v5, s10
	v_add_nc_u32_e64 v6, 0x88, s10
	v_add_nc_u32_e64 v7, 0x74, s10
	s_add_i32 s10, s10, 4
	s_clause 0x1
	buffer_load_dword v5, v5, s[0:3], 0 offen
	buffer_load_dword v6, v6, s[0:3], 0 offen
	s_cmp_lg_u32 s10, 16
	s_waitcnt vmcnt(0)
	v_add_nc_u32_e32 v5, v6, v5
	buffer_store_dword v5, v7, s[0:3], 0 offen
	s_cbranch_scc1 .LBB2074_198
; %bb.199:
	s_clause 0x3
	buffer_load_dword v5, off, s[0:3], 0 offset:116
	buffer_load_dword v6, off, s[0:3], 0 offset:120
	buffer_load_dword v7, off, s[0:3], 0 offset:124
	buffer_load_dword v8, off, s[0:3], 0 offset:128
.LBB2074_200:
	s_or_b32 exec_lo, exec_lo, s9
	s_waitcnt lgkmcnt(0)
	v_or_b32_e32 v16, v16, v24
	v_and_b32_e32 v16, 1, v16
	buffer_store_byte v16, off, s[0:3], 0 offset:152
	buffer_load_dword v24, off, s[0:3], 0 offset:152
	s_waitcnt vmcnt(4)
	buffer_store_dword v5, off, s[0:3], 0 offset:136
	s_waitcnt vmcnt(3)
	buffer_store_dword v6, off, s[0:3], 0 offset:140
	;; [unrolled: 2-line block ×4, first 2 shown]
.LBB2074_201:
	s_or_b32 exec_lo, exec_lo, s4
	v_cmp_gt_u32_e32 vcc_lo, 30, v10
	v_add_nc_u32_e32 v17, 2, v10
	s_mov_b32 s9, exec_lo
	s_waitcnt lgkmcnt(0)
	v_cndmask_b32_e64 v16, 0, 2, vcc_lo
	v_add_lshl_u32 v16, v16, v10, 2
	ds_bpermute_b32 v19, v16, v5
	s_waitcnt vmcnt(0)
	ds_bpermute_b32 v18, v16, v24
	ds_bpermute_b32 v20, v16, v6
	;; [unrolled: 1-line block ×4, first 2 shown]
	s_waitcnt lgkmcnt(4)
	buffer_store_dword v19, off, s[0:3], 0
	s_waitcnt lgkmcnt(2)
	buffer_store_dword v20, off, s[0:3], 0 offset:4
	s_waitcnt lgkmcnt(1)
	buffer_store_dword v21, off, s[0:3], 0 offset:8
	;; [unrolled: 2-line block ×3, first 2 shown]
	v_cmpx_le_u32_e64 v17, v25
	s_cbranch_execz .LBB2074_209
; %bb.202:
	v_mov_b32_e32 v19, 0
	v_cmp_eq_u16_sdwa s10, v24, v19 src0_sel:BYTE_0 src1_sel:DWORD
	s_and_saveexec_b32 s4, s10
	s_cbranch_execz .LBB2074_208
; %bb.203:
	s_mov_b32 s10, 0
.LBB2074_204:                           ; =>This Inner Loop Header: Depth=1
	v_add_nc_u32_e64 v5, 0x74, s10
	s_add_i32 s10, s10, 4
	s_cmp_lg_u32 s10, 16
	buffer_store_dword v19, v5, s[0:3], 0 offen
	s_cbranch_scc1 .LBB2074_204
; %bb.205:
	s_mov_b32 s10, 0
	.p2align	6
.LBB2074_206:                           ; =>This Inner Loop Header: Depth=1
	v_mov_b32_e32 v5, s10
	v_add_nc_u32_e64 v6, 0x88, s10
	v_add_nc_u32_e64 v7, 0x74, s10
	s_add_i32 s10, s10, 4
	s_clause 0x1
	buffer_load_dword v5, v5, s[0:3], 0 offen
	buffer_load_dword v6, v6, s[0:3], 0 offen
	s_cmp_lg_u32 s10, 16
	s_waitcnt vmcnt(0)
	v_add_nc_u32_e32 v5, v6, v5
	buffer_store_dword v5, v7, s[0:3], 0 offen
	s_cbranch_scc1 .LBB2074_206
; %bb.207:
	s_clause 0x3
	buffer_load_dword v5, off, s[0:3], 0 offset:116
	buffer_load_dword v6, off, s[0:3], 0 offset:120
	;; [unrolled: 1-line block ×4, first 2 shown]
.LBB2074_208:
	s_or_b32 exec_lo, exec_lo, s4
	v_and_b32_e32 v19, 1, v24
	v_and_b32_e32 v18, 1, v18
	v_cmp_eq_u32_e32 vcc_lo, 1, v19
	v_cmp_eq_u32_e64 s4, 1, v18
	s_or_b32 s4, vcc_lo, s4
	v_cndmask_b32_e64 v18, 0, 1, s4
	buffer_store_byte v18, off, s[0:3], 0 offset:152
	buffer_load_dword v24, off, s[0:3], 0 offset:152
	s_waitcnt vmcnt(4)
	buffer_store_dword v5, off, s[0:3], 0 offset:136
	s_waitcnt vmcnt(3)
	buffer_store_dword v6, off, s[0:3], 0 offset:140
	;; [unrolled: 2-line block ×4, first 2 shown]
.LBB2074_209:
	s_or_b32 exec_lo, exec_lo, s9
	v_cmp_gt_u32_e32 vcc_lo, 28, v10
	v_add_nc_u32_e32 v19, 4, v10
	s_mov_b32 s9, exec_lo
	v_cndmask_b32_e64 v18, 0, 4, vcc_lo
	v_add_lshl_u32 v18, v18, v10, 2
	ds_bpermute_b32 v21, v18, v5
	s_waitcnt vmcnt(0)
	ds_bpermute_b32 v20, v18, v24
	ds_bpermute_b32 v22, v18, v6
	;; [unrolled: 1-line block ×4, first 2 shown]
	s_waitcnt lgkmcnt(4)
	buffer_store_dword v21, off, s[0:3], 0
	s_waitcnt lgkmcnt(2)
	buffer_store_dword v22, off, s[0:3], 0 offset:4
	s_waitcnt lgkmcnt(1)
	buffer_store_dword v23, off, s[0:3], 0 offset:8
	;; [unrolled: 2-line block ×3, first 2 shown]
	v_cmpx_le_u32_e64 v19, v25
	s_cbranch_execz .LBB2074_217
; %bb.210:
	v_mov_b32_e32 v21, 0
	v_cmp_eq_u16_sdwa s10, v24, v21 src0_sel:BYTE_0 src1_sel:DWORD
	s_and_saveexec_b32 s4, s10
	s_cbranch_execz .LBB2074_216
; %bb.211:
	s_mov_b32 s10, 0
.LBB2074_212:                           ; =>This Inner Loop Header: Depth=1
	v_add_nc_u32_e64 v5, 0x74, s10
	s_add_i32 s10, s10, 4
	s_cmp_lg_u32 s10, 16
	buffer_store_dword v21, v5, s[0:3], 0 offen
	s_cbranch_scc1 .LBB2074_212
; %bb.213:
	s_mov_b32 s10, 0
	.p2align	6
.LBB2074_214:                           ; =>This Inner Loop Header: Depth=1
	v_mov_b32_e32 v5, s10
	v_add_nc_u32_e64 v6, 0x88, s10
	v_add_nc_u32_e64 v7, 0x74, s10
	s_add_i32 s10, s10, 4
	s_clause 0x1
	buffer_load_dword v5, v5, s[0:3], 0 offen
	buffer_load_dword v6, v6, s[0:3], 0 offen
	s_cmp_lg_u32 s10, 16
	s_waitcnt vmcnt(0)
	v_add_nc_u32_e32 v5, v6, v5
	buffer_store_dword v5, v7, s[0:3], 0 offen
	s_cbranch_scc1 .LBB2074_214
; %bb.215:
	s_clause 0x3
	buffer_load_dword v5, off, s[0:3], 0 offset:116
	buffer_load_dword v6, off, s[0:3], 0 offset:120
	;; [unrolled: 1-line block ×4, first 2 shown]
.LBB2074_216:
	s_or_b32 exec_lo, exec_lo, s4
	v_and_b32_e32 v21, 1, v24
	v_and_b32_e32 v20, 1, v20
	v_cmp_eq_u32_e32 vcc_lo, 1, v21
	v_cmp_eq_u32_e64 s4, 1, v20
	s_or_b32 s4, vcc_lo, s4
	v_cndmask_b32_e64 v20, 0, 1, s4
	buffer_store_byte v20, off, s[0:3], 0 offset:152
	buffer_load_dword v24, off, s[0:3], 0 offset:152
	s_waitcnt vmcnt(4)
	buffer_store_dword v5, off, s[0:3], 0 offset:136
	s_waitcnt vmcnt(3)
	buffer_store_dword v6, off, s[0:3], 0 offset:140
	s_waitcnt vmcnt(2)
	buffer_store_dword v7, off, s[0:3], 0 offset:144
	s_waitcnt vmcnt(1)
	buffer_store_dword v8, off, s[0:3], 0 offset:148
.LBB2074_217:
	s_or_b32 exec_lo, exec_lo, s9
	v_cmp_gt_u32_e32 vcc_lo, 24, v10
	v_add_nc_u32_e32 v21, 8, v10
	s_mov_b32 s9, exec_lo
	v_cndmask_b32_e64 v20, 0, 8, vcc_lo
	v_add_lshl_u32 v20, v20, v10, 2
	ds_bpermute_b32 v23, v20, v5
	s_waitcnt vmcnt(0)
	ds_bpermute_b32 v22, v20, v24
	ds_bpermute_b32 v26, v20, v6
	;; [unrolled: 1-line block ×4, first 2 shown]
	s_waitcnt lgkmcnt(4)
	buffer_store_dword v23, off, s[0:3], 0
	s_waitcnt lgkmcnt(2)
	buffer_store_dword v26, off, s[0:3], 0 offset:4
	s_waitcnt lgkmcnt(1)
	buffer_store_dword v27, off, s[0:3], 0 offset:8
	;; [unrolled: 2-line block ×3, first 2 shown]
	v_cmpx_le_u32_e64 v21, v25
	s_cbranch_execz .LBB2074_225
; %bb.218:
	v_mov_b32_e32 v23, 0
	v_cmp_eq_u16_sdwa s10, v24, v23 src0_sel:BYTE_0 src1_sel:DWORD
	s_and_saveexec_b32 s4, s10
	s_cbranch_execz .LBB2074_224
; %bb.219:
	s_mov_b32 s10, 0
.LBB2074_220:                           ; =>This Inner Loop Header: Depth=1
	v_add_nc_u32_e64 v5, 0x74, s10
	s_add_i32 s10, s10, 4
	s_cmp_lg_u32 s10, 16
	buffer_store_dword v23, v5, s[0:3], 0 offen
	s_cbranch_scc1 .LBB2074_220
; %bb.221:
	s_mov_b32 s10, 0
	.p2align	6
.LBB2074_222:                           ; =>This Inner Loop Header: Depth=1
	v_mov_b32_e32 v5, s10
	v_add_nc_u32_e64 v6, 0x88, s10
	v_add_nc_u32_e64 v7, 0x74, s10
	s_add_i32 s10, s10, 4
	s_clause 0x1
	buffer_load_dword v5, v5, s[0:3], 0 offen
	buffer_load_dword v6, v6, s[0:3], 0 offen
	s_cmp_lg_u32 s10, 16
	s_waitcnt vmcnt(0)
	v_add_nc_u32_e32 v5, v6, v5
	buffer_store_dword v5, v7, s[0:3], 0 offen
	s_cbranch_scc1 .LBB2074_222
; %bb.223:
	s_clause 0x3
	buffer_load_dword v5, off, s[0:3], 0 offset:116
	buffer_load_dword v6, off, s[0:3], 0 offset:120
	;; [unrolled: 1-line block ×4, first 2 shown]
.LBB2074_224:
	s_or_b32 exec_lo, exec_lo, s4
	v_and_b32_e32 v23, 1, v24
	v_and_b32_e32 v22, 1, v22
	v_cmp_eq_u32_e32 vcc_lo, 1, v23
	v_cmp_eq_u32_e64 s4, 1, v22
	s_or_b32 s4, vcc_lo, s4
	v_cndmask_b32_e64 v22, 0, 1, s4
	buffer_store_byte v22, off, s[0:3], 0 offset:152
	buffer_load_dword v24, off, s[0:3], 0 offset:152
	s_waitcnt vmcnt(4)
	buffer_store_dword v5, off, s[0:3], 0 offset:136
	s_waitcnt vmcnt(3)
	buffer_store_dword v6, off, s[0:3], 0 offset:140
	;; [unrolled: 2-line block ×4, first 2 shown]
.LBB2074_225:
	s_or_b32 exec_lo, exec_lo, s9
	v_lshl_or_b32 v22, v10, 2, 64
	v_add_nc_u32_e32 v23, 16, v10
	s_mov_b32 s9, exec_lo
	ds_bpermute_b32 v27, v22, v5
	s_waitcnt vmcnt(0)
	ds_bpermute_b32 v26, v22, v24
	ds_bpermute_b32 v28, v22, v6
	;; [unrolled: 1-line block ×4, first 2 shown]
	s_waitcnt lgkmcnt(4)
	buffer_store_dword v27, off, s[0:3], 0
	s_waitcnt lgkmcnt(2)
	buffer_store_dword v28, off, s[0:3], 0 offset:4
	s_waitcnt lgkmcnt(1)
	buffer_store_dword v29, off, s[0:3], 0 offset:8
	;; [unrolled: 2-line block ×3, first 2 shown]
	v_cmpx_le_u32_e64 v23, v25
	s_cbranch_execz .LBB2074_232
; %bb.226:
	v_mov_b32_e32 v25, 0
	s_mov_b32 s10, 0
	v_cmp_eq_u16_sdwa s24, v24, v25 src0_sel:BYTE_0 src1_sel:DWORD
	s_and_saveexec_b32 s4, s24
	s_cbranch_execz .LBB2074_231
.LBB2074_227:                           ; =>This Inner Loop Header: Depth=1
	v_add_nc_u32_e64 v5, 0x74, s10
	s_add_i32 s10, s10, 4
	s_cmp_lg_u32 s10, 16
	buffer_store_dword v25, v5, s[0:3], 0 offen
	s_cbranch_scc1 .LBB2074_227
; %bb.228:
	s_mov_b32 s10, 0
	.p2align	6
.LBB2074_229:                           ; =>This Inner Loop Header: Depth=1
	v_mov_b32_e32 v5, s10
	v_add_nc_u32_e64 v6, 0x88, s10
	v_add_nc_u32_e64 v7, 0x74, s10
	s_add_i32 s10, s10, 4
	s_clause 0x1
	buffer_load_dword v5, v5, s[0:3], 0 offen
	buffer_load_dword v6, v6, s[0:3], 0 offen
	s_cmp_lg_u32 s10, 16
	s_waitcnt vmcnt(0)
	v_add_nc_u32_e32 v5, v6, v5
	buffer_store_dword v5, v7, s[0:3], 0 offen
	s_cbranch_scc1 .LBB2074_229
; %bb.230:
	s_clause 0x3
	buffer_load_dword v5, off, s[0:3], 0 offset:116
	buffer_load_dword v6, off, s[0:3], 0 offset:120
	buffer_load_dword v7, off, s[0:3], 0 offset:124
	buffer_load_dword v8, off, s[0:3], 0 offset:128
.LBB2074_231:
	s_or_b32 exec_lo, exec_lo, s4
	v_and_b32_e32 v24, 1, v24
	v_and_b32_e32 v25, 1, v26
	v_cmp_eq_u32_e32 vcc_lo, 1, v24
	v_cmp_eq_u32_e64 s4, 1, v25
	s_or_b32 s4, vcc_lo, s4
	v_cndmask_b32_e64 v24, 0, 1, s4
	s_waitcnt vmcnt(3)
	buffer_store_dword v5, off, s[0:3], 0 offset:136
	s_waitcnt vmcnt(2)
	buffer_store_dword v6, off, s[0:3], 0 offset:140
	;; [unrolled: 2-line block ×4, first 2 shown]
	buffer_store_byte v24, off, s[0:3], 0 offset:152
.LBB2074_232:
	s_or_b32 exec_lo, exec_lo, s9
	s_clause 0x4
	buffer_load_dword v5, off, s[0:3], 0 offset:148
	buffer_load_dword v6, off, s[0:3], 0 offset:144
	;; [unrolled: 1-line block ×5, first 2 shown]
	v_mov_b32_e32 v24, 0
	v_mov_b32_e32 v25, 2
	s_waitcnt vmcnt(4)
	buffer_store_dword v5, off, s[0:3], 0 offset:128
	s_waitcnt vmcnt(3)
	buffer_store_dword v6, off, s[0:3], 0 offset:124
	;; [unrolled: 2-line block ×5, first 2 shown]
	s_branch .LBB2074_236
.LBB2074_233:                           ;   in Loop: Header=BB2074_236 Depth=1
	s_clause 0x3
	buffer_load_dword v6, off, s[0:3], 0
	buffer_load_dword v8, off, s[0:3], 0 offset:4
	buffer_load_dword v26, off, s[0:3], 0 offset:8
	;; [unrolled: 1-line block ×3, first 2 shown]
.LBB2074_234:                           ;   in Loop: Header=BB2074_236 Depth=1
	s_or_b32 exec_lo, exec_lo, s9
	v_and_b32_e32 v5, 1, v5
	v_subrev_nc_u32_e32 v12, 32, v12
	s_waitcnt vmcnt(3)
	buffer_store_dword v6, off, s[0:3], 0 offset:116
	s_waitcnt vmcnt(2)
	buffer_store_dword v8, off, s[0:3], 0 offset:120
	;; [unrolled: 2-line block ×4, first 2 shown]
	v_cmp_eq_u32_e32 vcc_lo, 1, v5
	s_or_b32 s4, vcc_lo, s4
	v_cndmask_b32_e64 v5, 0, 1, s4
	s_mov_b32 s4, 0
	buffer_store_byte v5, off, s[0:3], 0 offset:132
.LBB2074_235:                           ;   in Loop: Header=BB2074_236 Depth=1
	s_and_b32 vcc_lo, exec_lo, s4
	s_cbranch_vccnz .LBB2074_293
.LBB2074_236:                           ; =>This Loop Header: Depth=1
                                        ;     Child Loop BB2074_238 Depth 2
                                        ;     Child Loop BB2074_241 Depth 2
	;; [unrolled: 1-line block ×15, first 2 shown]
	v_cmp_ne_u16_sdwa s4, v13, v25 src0_sel:BYTE_0 src1_sel:DWORD
                                        ; implicit-def: $vgpr13
	s_cmp_lg_u32 s4, exec_lo
	s_mov_b32 s4, -1
	s_cbranch_scc1 .LBB2074_235
; %bb.237:                              ;   in Loop: Header=BB2074_236 Depth=1
	s_mov_b32 s4, 0
	buffer_store_dword v24, off, s[0:3], 0 offset:108
	buffer_store_dword v24, off, s[0:3], 0 offset:104
	;; [unrolled: 1-line block ×5, first 2 shown]
.LBB2074_238:                           ;   Parent Loop BB2074_236 Depth=1
                                        ; =>  This Inner Loop Header: Depth=2
	v_add_nc_u32_e64 v5, 0x60, s4
	s_add_i32 s4, s4, 4
	s_cmp_lg_u32 s4, 16
	buffer_store_dword v24, v5, s[0:3], 0 offen
	s_cbranch_scc1 .LBB2074_238
; %bb.239:                              ;   in Loop: Header=BB2074_236 Depth=1
	buffer_store_byte v24, off, s[0:3], 0 offset:112
	global_load_ubyte v13, v12, s[16:17] glc dlc
	s_mov_b32 s4, exec_lo
	s_waitcnt vmcnt(0)
	v_cmpx_eq_u16_e32 0, v13
	s_cbranch_execz .LBB2074_243
; %bb.240:                              ;   in Loop: Header=BB2074_236 Depth=1
	v_add_co_u32 v5, s9, s16, v12
	v_add_co_ci_u32_e64 v6, null, s17, 0, s9
	s_mov_b32 s9, 0
.LBB2074_241:                           ;   Parent Loop BB2074_236 Depth=1
                                        ; =>  This Inner Loop Header: Depth=2
	global_load_ubyte v13, v[5:6], off glc dlc
	s_waitcnt vmcnt(0)
	v_cmp_ne_u16_e32 vcc_lo, 0, v13
	s_or_b32 s9, vcc_lo, s9
	s_andn2_b32 exec_lo, exec_lo, s9
	s_cbranch_execnz .LBB2074_241
; %bb.242:                              ;   in Loop: Header=BB2074_236 Depth=1
	s_or_b32 exec_lo, exec_lo, s9
.LBB2074_243:                           ;   in Loop: Header=BB2074_236 Depth=1
	s_or_b32 exec_lo, exec_lo, s4
	v_mov_b32_e32 v5, s13
	v_mov_b32_e32 v7, s12
	v_cmp_eq_u16_e32 vcc_lo, 1, v13
	s_waitcnt_vscnt null, 0x0
	buffer_gl1_inv
	buffer_gl0_inv
	s_mov_b32 s4, 0
	v_cndmask_b32_e32 v6, s15, v5, vcc_lo
	v_cndmask_b32_e32 v5, s14, v7, vcc_lo
	v_mad_u64_u32 v[26:27], null, v12, 20, v[5:6]
	s_clause 0x1
	global_load_dwordx4 v[5:8], v[26:27], off
	global_load_ubyte v26, v[26:27], off offset:16
	s_waitcnt vmcnt(1)
	buffer_store_dword v6, off, s[0:3], 0 offset:100
	buffer_store_dword v5, off, s[0:3], 0 offset:96
	;; [unrolled: 1-line block ×8, first 2 shown]
	s_waitcnt vmcnt(0)
	buffer_store_byte v26, off, s[0:3], 0 offset:152
	buffer_store_dword v24, off, s[0:3], 0 offset:16
.LBB2074_244:                           ;   Parent Loop BB2074_236 Depth=1
                                        ; =>  This Inner Loop Header: Depth=2
	v_mov_b32_e32 v26, s4
	s_add_i32 s4, s4, 4
	s_cmp_lg_u32 s4, 16
	buffer_store_dword v24, v26, s[0:3], 0 offen
	s_cbranch_scc1 .LBB2074_244
; %bb.245:                              ;   in Loop: Header=BB2074_236 Depth=1
	buffer_load_dword v27, off, s[0:3], 0 offset:152
	ds_bpermute_b32 v29, v14, v5
	ds_bpermute_b32 v30, v14, v6
	;; [unrolled: 1-line block ×4, first 2 shown]
	v_cmp_eq_u16_e32 vcc_lo, 2, v13
	s_mov_b32 s4, exec_lo
	s_waitcnt lgkmcnt(3)
	buffer_store_dword v29, off, s[0:3], 0
	s_waitcnt lgkmcnt(2)
	buffer_store_dword v30, off, s[0:3], 0 offset:4
	s_waitcnt lgkmcnt(1)
	buffer_store_dword v31, off, s[0:3], 0 offset:8
	;; [unrolled: 2-line block ×3, first 2 shown]
	v_and_or_b32 v26, vcc_lo, v15, 0x80000000
	v_ffbl_b32_e32 v26, v26
	s_waitcnt vmcnt(0)
	ds_bpermute_b32 v28, v14, v27
	v_cmpx_lt_u32_e64 v10, v26
	s_cbranch_execz .LBB2074_253
; %bb.246:                              ;   in Loop: Header=BB2074_236 Depth=1
	v_cmp_eq_u16_sdwa s10, v27, v24 src0_sel:BYTE_0 src1_sel:DWORD
	s_and_saveexec_b32 s9, s10
	s_cbranch_execz .LBB2074_252
; %bb.247:                              ;   in Loop: Header=BB2074_236 Depth=1
	s_mov_b32 s10, 0
.LBB2074_248:                           ;   Parent Loop BB2074_236 Depth=1
                                        ; =>  This Inner Loop Header: Depth=2
	v_add_nc_u32_e64 v5, 0x50, s10
	s_add_i32 s10, s10, 4
	s_cmp_lg_u32 s10, 16
	buffer_store_dword v24, v5, s[0:3], 0 offen
	s_cbranch_scc1 .LBB2074_248
; %bb.249:                              ;   in Loop: Header=BB2074_236 Depth=1
	s_mov_b32 s10, 0
	.p2align	6
.LBB2074_250:                           ;   Parent Loop BB2074_236 Depth=1
                                        ; =>  This Inner Loop Header: Depth=2
	v_mov_b32_e32 v5, s10
	v_add_nc_u32_e64 v6, 0x88, s10
	v_add_nc_u32_e64 v7, 0x50, s10
	s_add_i32 s10, s10, 4
	s_clause 0x1
	buffer_load_dword v5, v5, s[0:3], 0 offen
	buffer_load_dword v6, v6, s[0:3], 0 offen
	s_cmp_lg_u32 s10, 16
	s_waitcnt vmcnt(0)
	v_add_nc_u32_e32 v5, v6, v5
	buffer_store_dword v5, v7, s[0:3], 0 offen
	s_cbranch_scc1 .LBB2074_250
; %bb.251:                              ;   in Loop: Header=BB2074_236 Depth=1
	s_clause 0x3
	buffer_load_dword v5, off, s[0:3], 0 offset:80
	buffer_load_dword v6, off, s[0:3], 0 offset:84
	;; [unrolled: 1-line block ×4, first 2 shown]
.LBB2074_252:                           ;   in Loop: Header=BB2074_236 Depth=1
	s_or_b32 exec_lo, exec_lo, s9
	s_waitcnt lgkmcnt(0)
	v_or_b32_e32 v27, v28, v27
	v_and_b32_e32 v27, 1, v27
	buffer_store_byte v27, off, s[0:3], 0 offset:152
	buffer_load_dword v27, off, s[0:3], 0 offset:152
	s_waitcnt vmcnt(4)
	buffer_store_dword v5, off, s[0:3], 0 offset:136
	s_waitcnt vmcnt(3)
	buffer_store_dword v6, off, s[0:3], 0 offset:140
	;; [unrolled: 2-line block ×4, first 2 shown]
.LBB2074_253:                           ;   in Loop: Header=BB2074_236 Depth=1
	s_or_b32 exec_lo, exec_lo, s4
	ds_bpermute_b32 v29, v16, v5
	s_waitcnt vmcnt(0) lgkmcnt(1)
	ds_bpermute_b32 v28, v16, v27
	ds_bpermute_b32 v30, v16, v6
	;; [unrolled: 1-line block ×4, first 2 shown]
	s_mov_b32 s9, exec_lo
	s_waitcnt lgkmcnt(4)
	buffer_store_dword v29, off, s[0:3], 0
	s_waitcnt lgkmcnt(2)
	buffer_store_dword v30, off, s[0:3], 0 offset:4
	s_waitcnt lgkmcnt(1)
	buffer_store_dword v31, off, s[0:3], 0 offset:8
	;; [unrolled: 2-line block ×3, first 2 shown]
	v_cmpx_le_u32_e64 v17, v26
	s_cbranch_execz .LBB2074_261
; %bb.254:                              ;   in Loop: Header=BB2074_236 Depth=1
	v_cmp_eq_u16_sdwa s10, v27, v24 src0_sel:BYTE_0 src1_sel:DWORD
	s_and_saveexec_b32 s4, s10
	s_cbranch_execz .LBB2074_260
; %bb.255:                              ;   in Loop: Header=BB2074_236 Depth=1
	s_mov_b32 s10, 0
.LBB2074_256:                           ;   Parent Loop BB2074_236 Depth=1
                                        ; =>  This Inner Loop Header: Depth=2
	v_add_nc_u32_e64 v5, 0x50, s10
	s_add_i32 s10, s10, 4
	s_cmp_lg_u32 s10, 16
	buffer_store_dword v24, v5, s[0:3], 0 offen
	s_cbranch_scc1 .LBB2074_256
; %bb.257:                              ;   in Loop: Header=BB2074_236 Depth=1
	s_mov_b32 s10, 0
	.p2align	6
.LBB2074_258:                           ;   Parent Loop BB2074_236 Depth=1
                                        ; =>  This Inner Loop Header: Depth=2
	v_mov_b32_e32 v5, s10
	v_add_nc_u32_e64 v6, 0x88, s10
	v_add_nc_u32_e64 v7, 0x50, s10
	s_add_i32 s10, s10, 4
	s_clause 0x1
	buffer_load_dword v5, v5, s[0:3], 0 offen
	buffer_load_dword v6, v6, s[0:3], 0 offen
	s_cmp_lg_u32 s10, 16
	s_waitcnt vmcnt(0)
	v_add_nc_u32_e32 v5, v6, v5
	buffer_store_dword v5, v7, s[0:3], 0 offen
	s_cbranch_scc1 .LBB2074_258
; %bb.259:                              ;   in Loop: Header=BB2074_236 Depth=1
	s_clause 0x3
	buffer_load_dword v5, off, s[0:3], 0 offset:80
	buffer_load_dword v6, off, s[0:3], 0 offset:84
	;; [unrolled: 1-line block ×4, first 2 shown]
.LBB2074_260:                           ;   in Loop: Header=BB2074_236 Depth=1
	s_or_b32 exec_lo, exec_lo, s4
	v_and_b32_e32 v27, 1, v27
	v_and_b32_e32 v28, 1, v28
	v_cmp_eq_u32_e32 vcc_lo, 1, v27
	v_cmp_eq_u32_e64 s4, 1, v28
	s_or_b32 s4, vcc_lo, s4
	v_cndmask_b32_e64 v27, 0, 1, s4
	buffer_store_byte v27, off, s[0:3], 0 offset:152
	buffer_load_dword v27, off, s[0:3], 0 offset:152
	s_waitcnt vmcnt(4)
	buffer_store_dword v5, off, s[0:3], 0 offset:136
	s_waitcnt vmcnt(3)
	buffer_store_dword v6, off, s[0:3], 0 offset:140
	;; [unrolled: 2-line block ×4, first 2 shown]
.LBB2074_261:                           ;   in Loop: Header=BB2074_236 Depth=1
	s_or_b32 exec_lo, exec_lo, s9
	ds_bpermute_b32 v29, v18, v5
	s_waitcnt vmcnt(0)
	ds_bpermute_b32 v28, v18, v27
	ds_bpermute_b32 v30, v18, v6
	;; [unrolled: 1-line block ×4, first 2 shown]
	s_mov_b32 s9, exec_lo
	s_waitcnt lgkmcnt(4)
	buffer_store_dword v29, off, s[0:3], 0
	s_waitcnt lgkmcnt(2)
	buffer_store_dword v30, off, s[0:3], 0 offset:4
	s_waitcnt lgkmcnt(1)
	buffer_store_dword v31, off, s[0:3], 0 offset:8
	s_waitcnt lgkmcnt(0)
	buffer_store_dword v32, off, s[0:3], 0 offset:12
	v_cmpx_le_u32_e64 v19, v26
	s_cbranch_execz .LBB2074_269
; %bb.262:                              ;   in Loop: Header=BB2074_236 Depth=1
	v_cmp_eq_u16_sdwa s10, v27, v24 src0_sel:BYTE_0 src1_sel:DWORD
	s_and_saveexec_b32 s4, s10
	s_cbranch_execz .LBB2074_268
; %bb.263:                              ;   in Loop: Header=BB2074_236 Depth=1
	s_mov_b32 s10, 0
.LBB2074_264:                           ;   Parent Loop BB2074_236 Depth=1
                                        ; =>  This Inner Loop Header: Depth=2
	v_add_nc_u32_e64 v5, 0x50, s10
	s_add_i32 s10, s10, 4
	s_cmp_lg_u32 s10, 16
	buffer_store_dword v24, v5, s[0:3], 0 offen
	s_cbranch_scc1 .LBB2074_264
; %bb.265:                              ;   in Loop: Header=BB2074_236 Depth=1
	s_mov_b32 s10, 0
	.p2align	6
.LBB2074_266:                           ;   Parent Loop BB2074_236 Depth=1
                                        ; =>  This Inner Loop Header: Depth=2
	v_mov_b32_e32 v5, s10
	v_add_nc_u32_e64 v6, 0x88, s10
	v_add_nc_u32_e64 v7, 0x50, s10
	s_add_i32 s10, s10, 4
	s_clause 0x1
	buffer_load_dword v5, v5, s[0:3], 0 offen
	buffer_load_dword v6, v6, s[0:3], 0 offen
	s_cmp_lg_u32 s10, 16
	s_waitcnt vmcnt(0)
	v_add_nc_u32_e32 v5, v6, v5
	buffer_store_dword v5, v7, s[0:3], 0 offen
	s_cbranch_scc1 .LBB2074_266
; %bb.267:                              ;   in Loop: Header=BB2074_236 Depth=1
	s_clause 0x3
	buffer_load_dword v5, off, s[0:3], 0 offset:80
	buffer_load_dword v6, off, s[0:3], 0 offset:84
	;; [unrolled: 1-line block ×4, first 2 shown]
.LBB2074_268:                           ;   in Loop: Header=BB2074_236 Depth=1
	s_or_b32 exec_lo, exec_lo, s4
	v_and_b32_e32 v27, 1, v27
	v_and_b32_e32 v28, 1, v28
	v_cmp_eq_u32_e32 vcc_lo, 1, v27
	v_cmp_eq_u32_e64 s4, 1, v28
	s_or_b32 s4, vcc_lo, s4
	v_cndmask_b32_e64 v27, 0, 1, s4
	buffer_store_byte v27, off, s[0:3], 0 offset:152
	buffer_load_dword v27, off, s[0:3], 0 offset:152
	s_waitcnt vmcnt(4)
	buffer_store_dword v5, off, s[0:3], 0 offset:136
	s_waitcnt vmcnt(3)
	buffer_store_dword v6, off, s[0:3], 0 offset:140
	;; [unrolled: 2-line block ×4, first 2 shown]
.LBB2074_269:                           ;   in Loop: Header=BB2074_236 Depth=1
	s_or_b32 exec_lo, exec_lo, s9
	ds_bpermute_b32 v29, v20, v5
	s_waitcnt vmcnt(0)
	ds_bpermute_b32 v28, v20, v27
	ds_bpermute_b32 v30, v20, v6
	;; [unrolled: 1-line block ×4, first 2 shown]
	s_mov_b32 s9, exec_lo
	s_waitcnt lgkmcnt(4)
	buffer_store_dword v29, off, s[0:3], 0
	s_waitcnt lgkmcnt(2)
	buffer_store_dword v30, off, s[0:3], 0 offset:4
	s_waitcnt lgkmcnt(1)
	buffer_store_dword v31, off, s[0:3], 0 offset:8
	;; [unrolled: 2-line block ×3, first 2 shown]
	v_cmpx_le_u32_e64 v21, v26
	s_cbranch_execz .LBB2074_277
; %bb.270:                              ;   in Loop: Header=BB2074_236 Depth=1
	v_cmp_eq_u16_sdwa s10, v27, v24 src0_sel:BYTE_0 src1_sel:DWORD
	s_and_saveexec_b32 s4, s10
	s_cbranch_execz .LBB2074_276
; %bb.271:                              ;   in Loop: Header=BB2074_236 Depth=1
	s_mov_b32 s10, 0
.LBB2074_272:                           ;   Parent Loop BB2074_236 Depth=1
                                        ; =>  This Inner Loop Header: Depth=2
	v_add_nc_u32_e64 v5, 0x50, s10
	s_add_i32 s10, s10, 4
	s_cmp_lg_u32 s10, 16
	buffer_store_dword v24, v5, s[0:3], 0 offen
	s_cbranch_scc1 .LBB2074_272
; %bb.273:                              ;   in Loop: Header=BB2074_236 Depth=1
	s_mov_b32 s10, 0
	.p2align	6
.LBB2074_274:                           ;   Parent Loop BB2074_236 Depth=1
                                        ; =>  This Inner Loop Header: Depth=2
	v_mov_b32_e32 v5, s10
	v_add_nc_u32_e64 v6, 0x88, s10
	v_add_nc_u32_e64 v7, 0x50, s10
	s_add_i32 s10, s10, 4
	s_clause 0x1
	buffer_load_dword v5, v5, s[0:3], 0 offen
	buffer_load_dword v6, v6, s[0:3], 0 offen
	s_cmp_lg_u32 s10, 16
	s_waitcnt vmcnt(0)
	v_add_nc_u32_e32 v5, v6, v5
	buffer_store_dword v5, v7, s[0:3], 0 offen
	s_cbranch_scc1 .LBB2074_274
; %bb.275:                              ;   in Loop: Header=BB2074_236 Depth=1
	s_clause 0x3
	buffer_load_dword v5, off, s[0:3], 0 offset:80
	buffer_load_dword v6, off, s[0:3], 0 offset:84
	;; [unrolled: 1-line block ×4, first 2 shown]
.LBB2074_276:                           ;   in Loop: Header=BB2074_236 Depth=1
	s_or_b32 exec_lo, exec_lo, s4
	v_and_b32_e32 v27, 1, v27
	v_and_b32_e32 v28, 1, v28
	v_cmp_eq_u32_e32 vcc_lo, 1, v27
	v_cmp_eq_u32_e64 s4, 1, v28
	s_or_b32 s4, vcc_lo, s4
	v_cndmask_b32_e64 v27, 0, 1, s4
	buffer_store_byte v27, off, s[0:3], 0 offset:152
	buffer_load_dword v27, off, s[0:3], 0 offset:152
	s_waitcnt vmcnt(4)
	buffer_store_dword v5, off, s[0:3], 0 offset:136
	s_waitcnt vmcnt(3)
	buffer_store_dword v6, off, s[0:3], 0 offset:140
	s_waitcnt vmcnt(2)
	buffer_store_dword v7, off, s[0:3], 0 offset:144
	s_waitcnt vmcnt(1)
	buffer_store_dword v8, off, s[0:3], 0 offset:148
.LBB2074_277:                           ;   in Loop: Header=BB2074_236 Depth=1
	s_or_b32 exec_lo, exec_lo, s9
	ds_bpermute_b32 v29, v22, v5
	s_waitcnt vmcnt(0)
	ds_bpermute_b32 v28, v22, v27
	ds_bpermute_b32 v30, v22, v6
	ds_bpermute_b32 v31, v22, v7
	ds_bpermute_b32 v32, v22, v8
	v_and_b32_e32 v33, 1, v27
	s_mov_b32 s9, exec_lo
	s_waitcnt lgkmcnt(4)
	buffer_store_dword v29, off, s[0:3], 0
	s_waitcnt lgkmcnt(2)
	buffer_store_dword v30, off, s[0:3], 0 offset:4
	s_waitcnt lgkmcnt(1)
	buffer_store_dword v31, off, s[0:3], 0 offset:8
	;; [unrolled: 2-line block ×3, first 2 shown]
	v_cmp_eq_u32_e64 s4, 1, v33
	v_cmpx_le_u32_e64 v23, v26
	s_cbranch_execz .LBB2074_285
; %bb.278:                              ;   in Loop: Header=BB2074_236 Depth=1
	v_cmp_eq_u16_sdwa s24, v27, v24 src0_sel:BYTE_0 src1_sel:DWORD
	s_and_saveexec_b32 s10, s24
	s_cbranch_execz .LBB2074_284
; %bb.279:                              ;   in Loop: Header=BB2074_236 Depth=1
	s_mov_b32 s24, 0
.LBB2074_280:                           ;   Parent Loop BB2074_236 Depth=1
                                        ; =>  This Inner Loop Header: Depth=2
	v_add_nc_u32_e64 v5, 0x50, s24
	s_add_i32 s24, s24, 4
	s_cmp_lg_u32 s24, 16
	buffer_store_dword v24, v5, s[0:3], 0 offen
	s_cbranch_scc1 .LBB2074_280
; %bb.281:                              ;   in Loop: Header=BB2074_236 Depth=1
	s_mov_b32 s24, 0
	.p2align	6
.LBB2074_282:                           ;   Parent Loop BB2074_236 Depth=1
                                        ; =>  This Inner Loop Header: Depth=2
	v_mov_b32_e32 v5, s24
	v_add_nc_u32_e64 v6, 0x88, s24
	v_add_nc_u32_e64 v7, 0x50, s24
	s_add_i32 s24, s24, 4
	s_clause 0x1
	buffer_load_dword v5, v5, s[0:3], 0 offen
	buffer_load_dword v6, v6, s[0:3], 0 offen
	s_cmp_lg_u32 s24, 16
	s_waitcnt vmcnt(0)
	v_add_nc_u32_e32 v5, v6, v5
	buffer_store_dword v5, v7, s[0:3], 0 offen
	s_cbranch_scc1 .LBB2074_282
; %bb.283:                              ;   in Loop: Header=BB2074_236 Depth=1
	s_clause 0x3
	buffer_load_dword v5, off, s[0:3], 0 offset:80
	buffer_load_dword v6, off, s[0:3], 0 offset:84
	;; [unrolled: 1-line block ×4, first 2 shown]
.LBB2074_284:                           ;   in Loop: Header=BB2074_236 Depth=1
	s_or_b32 exec_lo, exec_lo, s10
	v_and_b32_e32 v26, 1, v28
	s_waitcnt vmcnt(3)
	buffer_store_dword v5, off, s[0:3], 0 offset:136
	s_waitcnt vmcnt(2)
	buffer_store_dword v6, off, s[0:3], 0 offset:140
	;; [unrolled: 2-line block ×4, first 2 shown]
	v_cmp_eq_u32_e32 vcc_lo, 1, v26
	s_or_b32 s10, s4, vcc_lo
	s_andn2_b32 s4, s4, exec_lo
	v_cndmask_b32_e64 v5, 0, 1, s10
	s_and_b32 s10, s10, exec_lo
	s_or_b32 s4, s4, s10
	buffer_store_byte v5, off, s[0:3], 0 offset:152
.LBB2074_285:                           ;   in Loop: Header=BB2074_236 Depth=1
	s_or_b32 exec_lo, exec_lo, s9
	buffer_load_ubyte v5, off, s[0:3], 0 offset:132
	s_mov_b32 s9, exec_lo
                                        ; implicit-def: $vgpr7
                                        ; implicit-def: $vgpr6
                                        ; implicit-def: $vgpr8
                                        ; implicit-def: $vgpr26
	s_waitcnt vmcnt(0)
	v_cmpx_ne_u16_e32 0, v5
	s_xor_b32 s9, exec_lo, s9
	s_cbranch_execz .LBB2074_287
; %bb.286:                              ;   in Loop: Header=BB2074_236 Depth=1
	s_clause 0x3
	buffer_load_dword v6, off, s[0:3], 0 offset:116
	buffer_load_dword v8, off, s[0:3], 0 offset:120
	buffer_load_dword v26, off, s[0:3], 0 offset:124
	buffer_load_dword v7, off, s[0:3], 0 offset:128
.LBB2074_287:                           ;   in Loop: Header=BB2074_236 Depth=1
	s_andn2_saveexec_b32 s9, s9
	s_cbranch_execz .LBB2074_234
; %bb.288:                              ;   in Loop: Header=BB2074_236 Depth=1
	s_mov_b32 s10, 0
.LBB2074_289:                           ;   Parent Loop BB2074_236 Depth=1
                                        ; =>  This Inner Loop Header: Depth=2
	s_waitcnt vmcnt(3)
	v_mov_b32_e32 v6, s10
	s_add_i32 s10, s10, 4
	s_cmp_lg_u32 s10, 16
	buffer_store_dword v24, v6, s[0:3], 0 offen
	s_cbranch_scc1 .LBB2074_289
; %bb.290:                              ;   in Loop: Header=BB2074_236 Depth=1
	s_mov_b32 s10, 0
	.p2align	6
.LBB2074_291:                           ;   Parent Loop BB2074_236 Depth=1
                                        ; =>  This Inner Loop Header: Depth=2
	v_add_nc_u32_e64 v6, 0x88, s10
	s_waitcnt vmcnt(0)
	v_add_nc_u32_e64 v7, 0x74, s10
	v_mov_b32_e32 v8, s10
	s_add_i32 s10, s10, 4
	s_clause 0x1
	buffer_load_dword v6, v6, s[0:3], 0 offen
	buffer_load_dword v7, v7, s[0:3], 0 offen
	s_cmp_lg_u32 s10, 16
	s_waitcnt vmcnt(0)
	v_add_nc_u32_e32 v6, v7, v6
	buffer_store_dword v6, v8, s[0:3], 0 offen
	s_cbranch_scc1 .LBB2074_291
	s_branch .LBB2074_233
.LBB2074_292:
	s_cbranch_execnz .LBB2074_353
	s_branch .LBB2074_524
.LBB2074_293:
	s_clause 0x4
	buffer_load_dword v5, off, s[0:3], 0 offset:116
	buffer_load_dword v6, off, s[0:3], 0 offset:120
	;; [unrolled: 1-line block ×5, first 2 shown]
	s_waitcnt vmcnt(4)
	buffer_store_dword v5, off, s[0:3], 0
	s_waitcnt vmcnt(3)
	buffer_store_dword v6, off, s[0:3], 0 offset:4
	s_waitcnt vmcnt(2)
	buffer_store_dword v7, off, s[0:3], 0 offset:8
	s_waitcnt vmcnt(1)
	buffer_store_dword v8, off, s[0:3], 0 offset:12
	s_waitcnt vmcnt(0)
	buffer_store_dword v10, off, s[0:3], 0 offset:16
	s_and_saveexec_b32 s4, s8
	s_cbranch_execz .LBB2074_300
; %bb.294:
	v_mov_b32_e32 v12, 0
	v_cmp_ne_u32_sdwa s8, v11, v12 src0_sel:BYTE_0 src1_sel:DWORD
	s_and_b32 vcc_lo, exec_lo, s8
	s_mov_b32 s8, 0
	s_cbranch_vccnz .LBB2074_299
.LBB2074_295:                           ; =>This Inner Loop Header: Depth=1
	v_add_nc_u32_e64 v1, 0x60, s8
	s_add_i32 s8, s8, 4
	s_cmp_lg_u32 s8, 16
	buffer_store_dword v12, v1, s[0:3], 0 offen
	s_cbranch_scc1 .LBB2074_295
; %bb.296:
	s_mov_b32 s8, 0
	.p2align	6
.LBB2074_297:                           ; =>This Inner Loop Header: Depth=1
	v_mov_b32_e32 v1, s8
	v_add_nc_u32_e64 v2, 0x9c, s8
	v_add_nc_u32_e64 v3, 0x60, s8
	s_add_i32 s8, s8, 4
	s_clause 0x1
	buffer_load_dword v1, v1, s[0:3], 0 offen
	buffer_load_dword v2, v2, s[0:3], 0 offen
	s_cmp_lg_u32 s8, 16
	s_waitcnt vmcnt(0)
	v_add_nc_u32_e32 v1, v2, v1
	buffer_store_dword v1, v3, s[0:3], 0 offen
	s_cbranch_scc1 .LBB2074_297
; %bb.298:
	s_clause 0x3
	buffer_load_dword v1, off, s[0:3], 0 offset:96
	buffer_load_dword v2, off, s[0:3], 0 offset:100
	;; [unrolled: 1-line block ×4, first 2 shown]
.LBB2074_299:
	v_or_b32_e32 v11, v11, v10
	s_add_i32 s10, s45, 32
	v_mov_b32_e32 v12, 0
	s_mul_i32 s8, s10, 20
	v_mov_b32_e32 v13, 2
	v_mov_b32_e32 v14, s10
	s_mul_hi_u32 s9, s10, 20
	v_and_b32_e32 v11, 1, v11
	s_add_u32 s8, s14, s8
	s_addc_u32 s9, s15, s9
	s_waitcnt vmcnt(0)
	global_store_dwordx4 v12, v[1:4], s[8:9]
	global_store_byte v12, v11, s[8:9] offset:16
	s_waitcnt_vscnt null, 0x0
	buffer_gl1_inv
	buffer_gl0_inv
	global_store_byte v14, v13, s[16:17]
.LBB2074_300:
	s_or_b32 exec_lo, exec_lo, s4
	s_and_b32 exec_lo, exec_lo, s6
	s_cbranch_execz .LBB2074_302
; %bb.301:
	v_mov_b32_e32 v1, 0
	ds_write2_b32 v1, v5, v6 offset0:35 offset1:36
	ds_write2_b32 v1, v7, v8 offset0:37 offset1:38
	ds_write_b8 v1, v10 offset:156
.LBB2074_302:
	s_or_b32 exec_lo, exec_lo, s5
	s_waitcnt lgkmcnt(0)
	s_waitcnt_vscnt null, 0x0
	s_barrier
	buffer_gl0_inv
	buffer_load_ubyte v1, off, s[0:3], 0 offset:224
	v_mov_b32_e32 v3, 0
	ds_read2_b32 v[4:5], v3 offset0:35 offset1:36
	ds_read2_b32 v[6:7], v3 offset0:37 offset1:38
	ds_read_b32 v2, v3 offset:156
	s_waitcnt lgkmcnt(2)
	buffer_store_dword v4, off, s[0:3], 0
	buffer_store_dword v5, off, s[0:3], 0 offset:4
	s_waitcnt lgkmcnt(1)
	buffer_store_dword v6, off, s[0:3], 0 offset:8
	buffer_store_dword v7, off, s[0:3], 0 offset:12
	s_waitcnt lgkmcnt(0)
	buffer_store_dword v2, off, s[0:3], 0 offset:16
	s_and_saveexec_b32 s4, s7
	s_cbranch_execz .LBB2074_312
; %bb.303:
	s_waitcnt vmcnt(0)
	v_cmp_ne_u16_sdwa s5, v1, v3 src0_sel:BYTE_0 src1_sel:DWORD
                                        ; implicit-def: $vgpr4
                                        ; implicit-def: $vgpr3
                                        ; implicit-def: $vgpr5
                                        ; implicit-def: $vgpr6
	s_and_saveexec_b32 s8, s5
	s_xor_b32 s5, exec_lo, s8
	s_cbranch_execz .LBB2074_305
; %bb.304:
	s_clause 0x3
	buffer_load_dword v3, off, s[0:3], 0 offset:208
	buffer_load_dword v5, off, s[0:3], 0 offset:212
	;; [unrolled: 1-line block ×4, first 2 shown]
.LBB2074_305:
	s_andn2_saveexec_b32 s5, s5
	s_cbranch_execz .LBB2074_311
; %bb.306:
	s_waitcnt vmcnt(3)
	v_mov_b32_e32 v3, 0
	s_mov_b32 s8, 0
.LBB2074_307:                           ; =>This Inner Loop Header: Depth=1
	s_waitcnt vmcnt(0)
	v_add_nc_u32_e64 v4, 0x60, s8
	s_add_i32 s8, s8, 4
	s_cmp_lg_u32 s8, 16
	buffer_store_dword v3, v4, s[0:3], 0 offen
	s_cbranch_scc1 .LBB2074_307
; %bb.308:
	s_mov_b32 s8, 0
	.p2align	6
.LBB2074_309:                           ; =>This Inner Loop Header: Depth=1
	v_add_nc_u32_e64 v3, 0xb0, s8
	v_add_nc_u32_e64 v4, 0xd0, s8
	;; [unrolled: 1-line block ×3, first 2 shown]
	s_add_i32 s8, s8, 4
	s_clause 0x1
	buffer_load_dword v3, v3, s[0:3], 0 offen
	buffer_load_dword v4, v4, s[0:3], 0 offen
	s_cmp_lg_u32 s8, 16
	s_waitcnt vmcnt(0)
	v_add_nc_u32_e32 v3, v4, v3
	buffer_store_dword v3, v5, s[0:3], 0 offen
	s_cbranch_scc1 .LBB2074_309
; %bb.310:
	s_clause 0x3
	buffer_load_dword v3, off, s[0:3], 0 offset:96
	buffer_load_dword v5, off, s[0:3], 0 offset:100
	;; [unrolled: 1-line block ×4, first 2 shown]
.LBB2074_311:
	s_or_b32 exec_lo, exec_lo, s5
	buffer_load_ubyte v7, off, s[0:3], 0 offset:192
	s_waitcnt vmcnt(4)
	buffer_store_dword v3, off, s[0:3], 0 offset:208
	s_waitcnt vmcnt(3)
	buffer_store_dword v5, off, s[0:3], 0 offset:212
	;; [unrolled: 2-line block ×4, first 2 shown]
	s_waitcnt vmcnt(0)
	v_or_b32_e32 v1, v1, v7
	v_and_b32_e32 v1, 1, v1
.LBB2074_312:
	s_or_b32 exec_lo, exec_lo, s4
	v_mov_b32_e32 v3, 0
                                        ; implicit-def: $vgpr5
                                        ; implicit-def: $vgpr4
                                        ; implicit-def: $vgpr6
                                        ; implicit-def: $vgpr7
	s_waitcnt vmcnt(0)
	v_cmp_ne_u16_sdwa s4, v1, v3 src0_sel:BYTE_0 src1_sel:DWORD
	s_and_saveexec_b32 s5, s4
	s_xor_b32 s4, exec_lo, s5
	s_cbranch_execz .LBB2074_314
; %bb.313:
	s_clause 0x3
	buffer_load_dword v4, off, s[0:3], 0 offset:208
	buffer_load_dword v6, off, s[0:3], 0 offset:212
	;; [unrolled: 1-line block ×4, first 2 shown]
.LBB2074_314:
	s_andn2_saveexec_b32 s4, s4
	s_cbranch_execz .LBB2074_320
; %bb.315:
	v_mov_b32_e32 v3, 0
	s_mov_b32 s5, 0
.LBB2074_316:                           ; =>This Inner Loop Header: Depth=1
	s_waitcnt vmcnt(3)
	v_add_nc_u32_e64 v4, 0x60, s5
	s_add_i32 s5, s5, 4
	s_cmp_lg_u32 s5, 16
	buffer_store_dword v3, v4, s[0:3], 0 offen
	s_cbranch_scc1 .LBB2074_316
; %bb.317:
	s_mov_b32 s5, 0
	.p2align	6
.LBB2074_318:                           ; =>This Inner Loop Header: Depth=1
	v_mov_b32_e32 v3, s5
	v_add_nc_u32_e64 v4, 0xd0, s5
	s_waitcnt vmcnt(0)
	v_add_nc_u32_e64 v5, 0x60, s5
	s_add_i32 s5, s5, 4
	s_clause 0x1
	buffer_load_dword v3, v3, s[0:3], 0 offen
	buffer_load_dword v4, v4, s[0:3], 0 offen
	s_cmp_lg_u32 s5, 16
	s_waitcnt vmcnt(0)
	v_add_nc_u32_e32 v3, v4, v3
	buffer_store_dword v3, v5, s[0:3], 0 offen
	s_cbranch_scc1 .LBB2074_318
; %bb.319:
	s_clause 0x3
	buffer_load_dword v4, off, s[0:3], 0 offset:96
	buffer_load_dword v6, off, s[0:3], 0 offset:100
	;; [unrolled: 1-line block ×4, first 2 shown]
.LBB2074_320:
	s_or_b32 exec_lo, exec_lo, s4
	buffer_load_ubyte v3, off, s[0:3], 0 offset:244
	v_or_b32_e32 v1, v1, v2
	s_waitcnt vmcnt(4)
	buffer_store_dword v4, off, s[0:3], 0 offset:208
                                        ; implicit-def: $vgpr4
                                        ; implicit-def: $vgpr2
	v_and_b32_e32 v1, 1, v1
	s_waitcnt vmcnt(3)
	buffer_store_dword v6, off, s[0:3], 0 offset:212
	s_waitcnt vmcnt(2)
	buffer_store_dword v7, off, s[0:3], 0 offset:216
	;; [unrolled: 2-line block ×3, first 2 shown]
	buffer_store_byte v1, off, s[0:3], 0 offset:224
                                        ; implicit-def: $vgpr5
                                        ; implicit-def: $vgpr6
	v_cmp_eq_u32_e32 vcc_lo, 1, v1
	s_waitcnt vmcnt(0)
	v_cmp_ne_u16_e64 s4, 0, v3
	s_and_saveexec_b32 s5, s4
	s_xor_b32 s4, exec_lo, s5
	s_cbranch_execz .LBB2074_322
; %bb.321:
	s_clause 0x3
	buffer_load_dword v2, off, s[0:3], 0 offset:228
	buffer_load_dword v5, off, s[0:3], 0 offset:232
	;; [unrolled: 1-line block ×4, first 2 shown]
.LBB2074_322:
	s_andn2_saveexec_b32 s4, s4
	s_cbranch_execz .LBB2074_328
; %bb.323:
	v_mov_b32_e32 v1, 0
	s_mov_b32 s5, 0
.LBB2074_324:                           ; =>This Inner Loop Header: Depth=1
	s_waitcnt vmcnt(3)
	v_add_nc_u32_e64 v2, 0x60, s5
	s_add_i32 s5, s5, 4
	s_cmp_lg_u32 s5, 16
	buffer_store_dword v1, v2, s[0:3], 0 offen
	s_cbranch_scc1 .LBB2074_324
; %bb.325:
	s_mov_b32 s5, 0
.LBB2074_326:                           ; =>This Inner Loop Header: Depth=1
	v_add_nc_u32_e64 v1, 0xd0, s5
	s_waitcnt vmcnt(0)
	v_add_nc_u32_e64 v4, 0x60, s5
	s_add_i32 s5, s5, 4
	s_clause 0x1
	buffer_load_dword v2, v1, s[0:3], 0 offen
	buffer_load_dword v1, v1, s[0:3], 0 offen offset:20
	s_cmp_lg_u32 s5, 16
	s_waitcnt vmcnt(0)
	v_add_nc_u32_e32 v1, v1, v2
	buffer_store_dword v1, v4, s[0:3], 0 offen
	s_cbranch_scc1 .LBB2074_326
; %bb.327:
	s_clause 0x3
	buffer_load_dword v2, off, s[0:3], 0 offset:96
	buffer_load_dword v5, off, s[0:3], 0 offset:100
	;; [unrolled: 1-line block ×4, first 2 shown]
.LBB2074_328:
	s_or_b32 exec_lo, exec_lo, s4
	buffer_load_ubyte v1, off, s[0:3], 0 offset:264
	v_and_b32_e32 v3, 1, v3
	s_mov_b32 s5, exec_lo
	v_cmp_eq_u32_e64 s4, 1, v3
	s_or_b32 s4, s4, vcc_lo
	v_cndmask_b32_e64 v3, 0, 1, s4
	s_waitcnt vmcnt(4)
	buffer_store_dword v2, off, s[0:3], 0 offset:228
	s_waitcnt vmcnt(3)
	buffer_store_dword v5, off, s[0:3], 0 offset:232
	;; [unrolled: 2-line block ×4, first 2 shown]
	buffer_store_byte v3, off, s[0:3], 0 offset:244
                                        ; implicit-def: $vgpr4
                                        ; implicit-def: $vgpr3
                                        ; implicit-def: $vgpr5
                                        ; implicit-def: $vgpr6
	s_waitcnt vmcnt(0)
	v_cmpx_ne_u16_e32 0, v1
	s_xor_b32 s5, exec_lo, s5
	s_cbranch_execz .LBB2074_330
; %bb.329:
	s_clause 0x3
	buffer_load_dword v3, off, s[0:3], 0 offset:248
	buffer_load_dword v5, off, s[0:3], 0 offset:252
	;; [unrolled: 1-line block ×4, first 2 shown]
.LBB2074_330:
	s_andn2_saveexec_b32 s5, s5
	s_cbranch_execz .LBB2074_336
; %bb.331:
	v_mov_b32_e32 v2, 0
	s_mov_b32 s8, 0
.LBB2074_332:                           ; =>This Inner Loop Header: Depth=1
	s_waitcnt vmcnt(3)
	v_add_nc_u32_e64 v3, 0x60, s8
	s_add_i32 s8, s8, 4
	s_cmp_lg_u32 s8, 16
	buffer_store_dword v2, v3, s[0:3], 0 offen
	s_cbranch_scc1 .LBB2074_332
; %bb.333:
	s_mov_b32 s8, 0
.LBB2074_334:                           ; =>This Inner Loop Header: Depth=1
	v_add_nc_u32_e64 v2, 0xd0, s8
	s_waitcnt vmcnt(0)
	v_add_nc_u32_e64 v4, 0x60, s8
	s_add_i32 s8, s8, 4
	s_clause 0x1
	buffer_load_dword v3, v2, s[0:3], 0 offen offset:20
	buffer_load_dword v2, v2, s[0:3], 0 offen offset:40
	s_cmp_lg_u32 s8, 16
	s_waitcnt vmcnt(0)
	v_add_nc_u32_e32 v2, v2, v3
	buffer_store_dword v2, v4, s[0:3], 0 offen
	s_cbranch_scc1 .LBB2074_334
; %bb.335:
	s_clause 0x3
	buffer_load_dword v3, off, s[0:3], 0 offset:96
	buffer_load_dword v5, off, s[0:3], 0 offset:100
	;; [unrolled: 1-line block ×4, first 2 shown]
.LBB2074_336:
	s_or_b32 exec_lo, exec_lo, s5
	buffer_load_ubyte v2, off, s[0:3], 0 offset:284
	v_and_b32_e32 v1, 1, v1
	s_mov_b32 s5, exec_lo
	v_cmp_eq_u32_e32 vcc_lo, 1, v1
	s_or_b32 s4, vcc_lo, s4
	v_cndmask_b32_e64 v1, 0, 1, s4
	s_waitcnt vmcnt(4)
	buffer_store_dword v3, off, s[0:3], 0 offset:248
	s_waitcnt vmcnt(3)
	buffer_store_dword v5, off, s[0:3], 0 offset:252
	;; [unrolled: 2-line block ×4, first 2 shown]
	buffer_store_byte v1, off, s[0:3], 0 offset:264
                                        ; implicit-def: $vgpr4
                                        ; implicit-def: $vgpr3
                                        ; implicit-def: $vgpr5
                                        ; implicit-def: $vgpr6
	s_waitcnt vmcnt(0)
	v_cmpx_ne_u16_e32 0, v2
	s_xor_b32 s5, exec_lo, s5
	s_cbranch_execz .LBB2074_338
; %bb.337:
	s_clause 0x3
	buffer_load_dword v3, off, s[0:3], 0 offset:268
	buffer_load_dword v5, off, s[0:3], 0 offset:272
	buffer_load_dword v6, off, s[0:3], 0 offset:276
	buffer_load_dword v4, off, s[0:3], 0 offset:280
.LBB2074_338:
	s_andn2_saveexec_b32 s5, s5
	s_cbranch_execz .LBB2074_344
; %bb.339:
	v_mov_b32_e32 v1, 0
	s_mov_b32 s8, 0
.LBB2074_340:                           ; =>This Inner Loop Header: Depth=1
	s_waitcnt vmcnt(3)
	v_add_nc_u32_e64 v3, 0x60, s8
	s_add_i32 s8, s8, 4
	s_cmp_lg_u32 s8, 16
	buffer_store_dword v1, v3, s[0:3], 0 offen
	s_cbranch_scc1 .LBB2074_340
; %bb.341:
	s_mov_b32 s8, 0
.LBB2074_342:                           ; =>This Inner Loop Header: Depth=1
	v_add_nc_u32_e64 v1, 0xd0, s8
	s_waitcnt vmcnt(0)
	v_add_nc_u32_e64 v4, 0x60, s8
	s_add_i32 s8, s8, 4
	s_clause 0x1
	buffer_load_dword v3, v1, s[0:3], 0 offen offset:40
	buffer_load_dword v1, v1, s[0:3], 0 offen offset:60
	s_cmp_lg_u32 s8, 16
	s_waitcnt vmcnt(0)
	v_add_nc_u32_e32 v1, v1, v3
	buffer_store_dword v1, v4, s[0:3], 0 offen
	s_cbranch_scc1 .LBB2074_342
; %bb.343:
	s_clause 0x3
	buffer_load_dword v3, off, s[0:3], 0 offset:96
	buffer_load_dword v5, off, s[0:3], 0 offset:100
	;; [unrolled: 1-line block ×4, first 2 shown]
.LBB2074_344:
	s_or_b32 exec_lo, exec_lo, s5
	buffer_load_ubyte v1, off, s[0:3], 0 offset:304
	v_and_b32_e32 v2, 1, v2
	s_mov_b32 s5, exec_lo
	v_cmp_eq_u32_e32 vcc_lo, 1, v2
	s_or_b32 s4, vcc_lo, s4
	v_cndmask_b32_e64 v2, 0, 1, s4
	s_waitcnt vmcnt(4)
	buffer_store_dword v3, off, s[0:3], 0 offset:268
	s_waitcnt vmcnt(3)
	buffer_store_dword v5, off, s[0:3], 0 offset:272
	;; [unrolled: 2-line block ×4, first 2 shown]
	buffer_store_byte v2, off, s[0:3], 0 offset:284
                                        ; implicit-def: $vgpr3
                                        ; implicit-def: $vgpr2
                                        ; implicit-def: $vgpr4
                                        ; implicit-def: $vgpr5
	s_waitcnt vmcnt(0)
	v_cmpx_ne_u16_e32 0, v1
	s_xor_b32 s5, exec_lo, s5
	s_cbranch_execz .LBB2074_346
; %bb.345:
	s_clause 0x3
	buffer_load_dword v2, off, s[0:3], 0 offset:288
	buffer_load_dword v4, off, s[0:3], 0 offset:292
	;; [unrolled: 1-line block ×4, first 2 shown]
.LBB2074_346:
	s_andn2_saveexec_b32 s5, s5
	s_cbranch_execz .LBB2074_352
; %bb.347:
	s_waitcnt vmcnt(3)
	v_mov_b32_e32 v2, 0
	s_mov_b32 s8, 0
.LBB2074_348:                           ; =>This Inner Loop Header: Depth=1
	s_waitcnt vmcnt(0)
	v_add_nc_u32_e64 v3, 0x60, s8
	s_add_i32 s8, s8, 4
	s_cmp_lg_u32 s8, 16
	buffer_store_dword v2, v3, s[0:3], 0 offen
	s_cbranch_scc1 .LBB2074_348
; %bb.349:
	s_mov_b32 s8, 0
.LBB2074_350:                           ; =>This Inner Loop Header: Depth=1
	v_add_nc_u32_e64 v2, 0xd0, s8
	v_add_nc_u32_e64 v4, 0x60, s8
	s_add_i32 s8, s8, 4
	s_clause 0x1
	buffer_load_dword v3, v2, s[0:3], 0 offen offset:60
	buffer_load_dword v2, v2, s[0:3], 0 offen offset:80
	s_cmp_lg_u32 s8, 16
	s_waitcnt vmcnt(0)
	v_add_nc_u32_e32 v2, v2, v3
	buffer_store_dword v2, v4, s[0:3], 0 offen
	s_cbranch_scc1 .LBB2074_350
; %bb.351:
	s_clause 0x3
	buffer_load_dword v2, off, s[0:3], 0 offset:96
	buffer_load_dword v4, off, s[0:3], 0 offset:100
	;; [unrolled: 1-line block ×4, first 2 shown]
.LBB2074_352:
	s_or_b32 exec_lo, exec_lo, s5
	v_and_b32_e32 v1, 1, v1
	s_waitcnt vmcnt(3)
	buffer_store_dword v2, off, s[0:3], 0 offset:288
	s_waitcnt vmcnt(2)
	buffer_store_dword v4, off, s[0:3], 0 offset:292
	;; [unrolled: 2-line block ×4, first 2 shown]
	v_cmp_eq_u32_e32 vcc_lo, 1, v1
	s_or_b32 s4, vcc_lo, s4
	v_cndmask_b32_e64 v1, 0, 1, s4
	buffer_store_byte v1, off, s[0:3], 0 offset:304
	s_branch .LBB2074_524
.LBB2074_353:
	s_cmp_lg_u64 s[28:29], 0
	s_cselect_b32 s4, -1, 0
	s_cmp_lg_u64 s[38:39], 0
	s_cselect_b32 s5, -1, 0
	s_and_b32 s4, s4, s5
	s_and_b32 s4, s6, s4
	s_and_saveexec_b32 s8, s4
	s_cbranch_execz .LBB2074_363
; %bb.354:
	buffer_load_ubyte v1, off, s[0:3], 0 offset:224
	s_mov_b32 s4, exec_lo
                                        ; implicit-def: $vgpr3
                                        ; implicit-def: $vgpr2
                                        ; implicit-def: $vgpr4
                                        ; implicit-def: $vgpr5
	s_waitcnt vmcnt(0)
	v_cmpx_ne_u16_e32 0, v1
	s_xor_b32 s4, exec_lo, s4
	s_cbranch_execz .LBB2074_356
; %bb.355:
	s_clause 0x3
	buffer_load_dword v2, off, s[0:3], 0 offset:208
	buffer_load_dword v4, off, s[0:3], 0 offset:212
	;; [unrolled: 1-line block ×4, first 2 shown]
.LBB2074_356:
	s_andn2_saveexec_b32 s9, s4
	s_cbranch_execz .LBB2074_362
; %bb.357:
	s_waitcnt vmcnt(3)
	v_mov_b32_e32 v2, 0
	s_mov_b32 s4, 0
.LBB2074_358:                           ; =>This Inner Loop Header: Depth=1
	s_waitcnt vmcnt(0)
	v_mov_b32_e32 v3, s4
	s_add_i32 s4, s4, 4
	s_cmp_lg_u32 s4, 16
	buffer_store_dword v2, v3, s[0:3], 0 offen
	s_cbranch_scc1 .LBB2074_358
; %bb.359:
	v_mov_b32_e32 v2, 0
	s_mov_b32 s10, 0
	s_mov_b64 s[4:5], s[38:39]
.LBB2074_360:                           ; =>This Inner Loop Header: Depth=1
	v_add_nc_u32_e64 v3, 0xd0, s10
	global_load_dword v4, v2, s[4:5]
	v_mov_b32_e32 v5, s10
	s_add_i32 s10, s10, 4
	s_add_u32 s4, s4, 4
	buffer_load_dword v3, v3, s[0:3], 0 offen
	s_addc_u32 s5, s5, 0
	s_cmp_lg_u32 s10, 16
	s_waitcnt vmcnt(0)
	v_add_nc_u32_e32 v3, v3, v4
	buffer_store_dword v3, v5, s[0:3], 0 offen
	s_cbranch_scc1 .LBB2074_360
; %bb.361:
	s_clause 0x3
	buffer_load_dword v2, off, s[0:3], 0
	buffer_load_dword v4, off, s[0:3], 0 offset:4
	buffer_load_dword v5, off, s[0:3], 0 offset:8
	;; [unrolled: 1-line block ×3, first 2 shown]
.LBB2074_362:
	s_or_b32 exec_lo, exec_lo, s9
	v_mov_b32_e32 v6, 0
	global_load_ubyte v6, v6, s[38:39] offset:16
	s_waitcnt vmcnt(0)
	v_or_b32_e32 v1, v1, v6
	v_and_b32_e32 v1, 1, v1
	buffer_store_dword v2, off, s[0:3], 0 offset:208
	buffer_store_dword v4, off, s[0:3], 0 offset:212
	;; [unrolled: 1-line block ×4, first 2 shown]
	buffer_store_byte v1, off, s[0:3], 0 offset:224
.LBB2074_363:
	s_or_b32 exec_lo, exec_lo, s8
	v_mov_b32_e32 v1, 0
	s_mov_b32 s4, 0
	buffer_store_dword v1, off, s[0:3], 0 offset:168
	buffer_store_dword v1, off, s[0:3], 0 offset:164
	;; [unrolled: 1-line block ×5, first 2 shown]
.LBB2074_364:                           ; =>This Inner Loop Header: Depth=1
	v_add_nc_u32_e64 v2, 0x9c, s4
	s_add_i32 s4, s4, 4
	s_cmp_lg_u32 s4, 16
	buffer_store_dword v1, v2, s[0:3], 0 offen
	s_cbranch_scc1 .LBB2074_364
; %bb.365:
	v_mov_b32_e32 v1, 0
	s_mov_b32 s4, 0
	buffer_store_byte v1, off, s[0:3], 0 offset:172
	buffer_store_dword v1, off, s[0:3], 0 offset:16
.LBB2074_366:                           ; =>This Inner Loop Header: Depth=1
	v_mov_b32_e32 v2, s4
	s_add_i32 s4, s4, 4
	s_cmp_lg_u32 s4, 16
	buffer_store_dword v1, v2, s[0:3], 0 offen
	s_cbranch_scc1 .LBB2074_366
; %bb.367:
	s_clause 0x5
	buffer_load_ubyte v5, off, s[0:3], 0 offset:244
	buffer_load_dword v1, off, s[0:3], 0 offset:220
	buffer_load_dword v2, off, s[0:3], 0 offset:216
	;; [unrolled: 1-line block ×4, first 2 shown]
	buffer_load_ubyte v6, off, s[0:3], 0 offset:224
	s_mov_b32 s4, exec_lo
	s_waitcnt vmcnt(4)
	buffer_store_dword v1, off, s[0:3], 0 offset:12
	s_waitcnt vmcnt(3)
	buffer_store_dword v2, off, s[0:3], 0 offset:8
	;; [unrolled: 2-line block ×3, first 2 shown]
	s_waitcnt vmcnt(1)
	buffer_store_dword v4, off, s[0:3], 0
                                        ; implicit-def: $vgpr2
                                        ; implicit-def: $vgpr1
                                        ; implicit-def: $vgpr3
                                        ; implicit-def: $vgpr4
	v_cmpx_ne_u16_e32 0, v5
	s_xor_b32 s4, exec_lo, s4
	s_cbranch_execz .LBB2074_369
; %bb.368:
	s_clause 0x3
	buffer_load_dword v1, off, s[0:3], 0 offset:228
	buffer_load_dword v3, off, s[0:3], 0 offset:232
	;; [unrolled: 1-line block ×4, first 2 shown]
.LBB2074_369:
	s_andn2_saveexec_b32 s4, s4
	s_cbranch_execz .LBB2074_375
; %bb.370:
	s_waitcnt vmcnt(3)
	v_mov_b32_e32 v1, 0
	s_mov_b32 s5, 0
.LBB2074_371:                           ; =>This Inner Loop Header: Depth=1
	s_waitcnt vmcnt(0)
	v_add_nc_u32_e64 v2, 0x60, s5
	s_add_i32 s5, s5, 4
	s_cmp_lg_u32 s5, 16
	buffer_store_dword v1, v2, s[0:3], 0 offen
	s_cbranch_scc1 .LBB2074_371
; %bb.372:
	s_mov_b32 s5, 0
	.p2align	6
.LBB2074_373:                           ; =>This Inner Loop Header: Depth=1
	v_mov_b32_e32 v1, s5
	v_add_nc_u32_e64 v2, 0xd0, s5
	v_add_nc_u32_e64 v3, 0x60, s5
	s_add_i32 s5, s5, 4
	s_clause 0x1
	buffer_load_dword v1, v1, s[0:3], 0 offen
	buffer_load_dword v2, v2, s[0:3], 0 offen offset:20
	s_cmp_lg_u32 s5, 16
	s_waitcnt vmcnt(0)
	v_add_nc_u32_e32 v1, v2, v1
	buffer_store_dword v1, v3, s[0:3], 0 offen
	s_cbranch_scc1 .LBB2074_373
; %bb.374:
	s_clause 0x3
	buffer_load_dword v1, off, s[0:3], 0 offset:96
	buffer_load_dword v3, off, s[0:3], 0 offset:100
	;; [unrolled: 1-line block ×4, first 2 shown]
.LBB2074_375:
	s_or_b32 exec_lo, exec_lo, s4
	buffer_load_ubyte v7, off, s[0:3], 0 offset:264
	s_mov_b32 s4, exec_lo
	s_waitcnt vmcnt(4)
	buffer_store_dword v1, off, s[0:3], 0
	s_waitcnt vmcnt(3)
	buffer_store_dword v3, off, s[0:3], 0 offset:4
	s_waitcnt vmcnt(2)
	buffer_store_dword v4, off, s[0:3], 0 offset:8
	;; [unrolled: 2-line block ×3, first 2 shown]
                                        ; implicit-def: $vgpr2
                                        ; implicit-def: $vgpr1
                                        ; implicit-def: $vgpr3
                                        ; implicit-def: $vgpr4
	s_waitcnt vmcnt(0)
	v_cmpx_ne_u16_e32 0, v7
	s_xor_b32 s4, exec_lo, s4
	s_cbranch_execz .LBB2074_377
; %bb.376:
	s_clause 0x3
	buffer_load_dword v1, off, s[0:3], 0 offset:248
	buffer_load_dword v3, off, s[0:3], 0 offset:252
	;; [unrolled: 1-line block ×4, first 2 shown]
.LBB2074_377:
	s_andn2_saveexec_b32 s4, s4
	s_cbranch_execz .LBB2074_383
; %bb.378:
	s_waitcnt vmcnt(3)
	v_mov_b32_e32 v1, 0
	s_mov_b32 s5, 0
.LBB2074_379:                           ; =>This Inner Loop Header: Depth=1
	s_waitcnt vmcnt(0)
	v_add_nc_u32_e64 v2, 0x60, s5
	s_add_i32 s5, s5, 4
	s_cmp_lg_u32 s5, 16
	buffer_store_dword v1, v2, s[0:3], 0 offen
	s_cbranch_scc1 .LBB2074_379
; %bb.380:
	s_mov_b32 s5, 0
	.p2align	6
.LBB2074_381:                           ; =>This Inner Loop Header: Depth=1
	v_mov_b32_e32 v1, s5
	v_add_nc_u32_e64 v2, 0xd0, s5
	v_add_nc_u32_e64 v3, 0x60, s5
	s_add_i32 s5, s5, 4
	s_clause 0x1
	buffer_load_dword v1, v1, s[0:3], 0 offen
	buffer_load_dword v2, v2, s[0:3], 0 offen offset:40
	s_cmp_lg_u32 s5, 16
	s_waitcnt vmcnt(0)
	v_add_nc_u32_e32 v1, v2, v1
	buffer_store_dword v1, v3, s[0:3], 0 offen
	s_cbranch_scc1 .LBB2074_381
; %bb.382:
	s_clause 0x3
	buffer_load_dword v1, off, s[0:3], 0 offset:96
	buffer_load_dword v3, off, s[0:3], 0 offset:100
	;; [unrolled: 1-line block ×4, first 2 shown]
.LBB2074_383:
	s_or_b32 exec_lo, exec_lo, s4
	buffer_load_ubyte v8, off, s[0:3], 0 offset:284
	s_mov_b32 s4, exec_lo
	s_waitcnt vmcnt(4)
	buffer_store_dword v1, off, s[0:3], 0
	s_waitcnt vmcnt(3)
	buffer_store_dword v3, off, s[0:3], 0 offset:4
	s_waitcnt vmcnt(2)
	buffer_store_dword v4, off, s[0:3], 0 offset:8
	;; [unrolled: 2-line block ×3, first 2 shown]
                                        ; implicit-def: $vgpr2
                                        ; implicit-def: $vgpr1
                                        ; implicit-def: $vgpr3
                                        ; implicit-def: $vgpr4
	s_waitcnt vmcnt(0)
	v_cmpx_ne_u16_e32 0, v8
	s_xor_b32 s4, exec_lo, s4
	s_cbranch_execz .LBB2074_385
; %bb.384:
	s_clause 0x3
	buffer_load_dword v1, off, s[0:3], 0 offset:268
	buffer_load_dword v3, off, s[0:3], 0 offset:272
	;; [unrolled: 1-line block ×4, first 2 shown]
.LBB2074_385:
	s_andn2_saveexec_b32 s4, s4
	s_cbranch_execz .LBB2074_391
; %bb.386:
	s_waitcnt vmcnt(3)
	v_mov_b32_e32 v1, 0
	s_mov_b32 s5, 0
.LBB2074_387:                           ; =>This Inner Loop Header: Depth=1
	s_waitcnt vmcnt(0)
	v_add_nc_u32_e64 v2, 0x60, s5
	s_add_i32 s5, s5, 4
	s_cmp_lg_u32 s5, 16
	buffer_store_dword v1, v2, s[0:3], 0 offen
	s_cbranch_scc1 .LBB2074_387
; %bb.388:
	s_mov_b32 s5, 0
	.p2align	6
.LBB2074_389:                           ; =>This Inner Loop Header: Depth=1
	v_mov_b32_e32 v1, s5
	v_add_nc_u32_e64 v2, 0xd0, s5
	v_add_nc_u32_e64 v3, 0x60, s5
	s_add_i32 s5, s5, 4
	s_clause 0x1
	buffer_load_dword v1, v1, s[0:3], 0 offen
	buffer_load_dword v2, v2, s[0:3], 0 offen offset:60
	s_cmp_lg_u32 s5, 16
	s_waitcnt vmcnt(0)
	v_add_nc_u32_e32 v1, v2, v1
	buffer_store_dword v1, v3, s[0:3], 0 offen
	s_cbranch_scc1 .LBB2074_389
; %bb.390:
	s_clause 0x3
	buffer_load_dword v1, off, s[0:3], 0 offset:96
	buffer_load_dword v3, off, s[0:3], 0 offset:100
	;; [unrolled: 1-line block ×4, first 2 shown]
.LBB2074_391:
	s_or_b32 exec_lo, exec_lo, s4
	buffer_load_ubyte v10, off, s[0:3], 0 offset:304
	s_mov_b32 s4, exec_lo
	s_waitcnt vmcnt(4)
	buffer_store_dword v1, off, s[0:3], 0
	s_waitcnt vmcnt(3)
	buffer_store_dword v3, off, s[0:3], 0 offset:4
	s_waitcnt vmcnt(2)
	buffer_store_dword v4, off, s[0:3], 0 offset:8
	;; [unrolled: 2-line block ×3, first 2 shown]
                                        ; implicit-def: $vgpr4
                                        ; implicit-def: $vgpr1
                                        ; implicit-def: $vgpr2
                                        ; implicit-def: $vgpr3
	s_waitcnt vmcnt(0)
	v_cmpx_ne_u16_e32 0, v10
	s_xor_b32 s4, exec_lo, s4
	s_cbranch_execz .LBB2074_393
; %bb.392:
	s_clause 0x3
	buffer_load_dword v1, off, s[0:3], 0 offset:288
	buffer_load_dword v2, off, s[0:3], 0 offset:292
	;; [unrolled: 1-line block ×4, first 2 shown]
.LBB2074_393:
	s_andn2_saveexec_b32 s4, s4
	s_cbranch_execz .LBB2074_399
; %bb.394:
	s_waitcnt vmcnt(3)
	v_mov_b32_e32 v1, 0
	s_mov_b32 s5, 0
.LBB2074_395:                           ; =>This Inner Loop Header: Depth=1
	s_waitcnt vmcnt(2)
	v_add_nc_u32_e64 v2, 0x60, s5
	s_add_i32 s5, s5, 4
	s_cmp_lg_u32 s5, 16
	buffer_store_dword v1, v2, s[0:3], 0 offen
	s_cbranch_scc1 .LBB2074_395
; %bb.396:
	s_mov_b32 s5, 0
	.p2align	6
.LBB2074_397:                           ; =>This Inner Loop Header: Depth=1
	v_mov_b32_e32 v1, s5
	v_add_nc_u32_e64 v2, 0xd0, s5
	s_waitcnt vmcnt(1)
	v_add_nc_u32_e64 v3, 0x60, s5
	s_add_i32 s5, s5, 4
	s_clause 0x1
	buffer_load_dword v1, v1, s[0:3], 0 offen
	buffer_load_dword v2, v2, s[0:3], 0 offen offset:80
	s_cmp_lg_u32 s5, 16
	s_waitcnt vmcnt(0)
	v_add_nc_u32_e32 v1, v2, v1
	buffer_store_dword v1, v3, s[0:3], 0 offen
	s_cbranch_scc1 .LBB2074_397
; %bb.398:
	s_clause 0x3
	buffer_load_dword v1, off, s[0:3], 0 offset:96
	buffer_load_dword v2, off, s[0:3], 0 offset:100
	;; [unrolled: 1-line block ×4, first 2 shown]
.LBB2074_399:
	s_or_b32 exec_lo, exec_lo, s4
	s_clause 0x1
	buffer_load_ushort v12, off, s[0:3], 0 offset:17
	buffer_load_sbyte v13, off, s[0:3], 0 offset:19
	v_or_b32_e32 v5, v5, v6
	v_mov_b32_e32 v11, 0
	v_and_b32_e32 v6, 1, v7
	v_or_b32_e32 v7, v10, v8
	s_waitcnt vmcnt(3)
	v_mov_b32_dpp v14, v3 row_shr:1 row_mask:0xf bank_mask:0xf
	s_waitcnt vmcnt(2)
	v_mov_b32_dpp v15, v4 row_shr:1 row_mask:0xf bank_mask:0xf
	v_cmp_ne_u16_sdwa s5, v5, v11 src0_sel:BYTE_0 src1_sel:DWORD
	v_cmp_eq_u32_e32 vcc_lo, 1, v6
	v_cmp_ne_u16_e64 s4, 0, v7
	buffer_store_dword v1, off, s[0:3], 0 offset:136
	buffer_store_dword v2, off, s[0:3], 0 offset:140
	;; [unrolled: 1-line block ×4, first 2 shown]
	s_or_b32 s5, s5, vcc_lo
	s_or_b32 s4, s4, s5
	v_cndmask_b32_e64 v5, 0, 1, s4
	s_mov_b32 s4, exec_lo
	s_waitcnt vmcnt(1)
	v_lshlrev_b16 v6, 8, v12
	s_waitcnt vmcnt(0)
	v_perm_b32 v7, v12, v13, 0xc0c0005
	v_mov_b32_dpp v12, v1 row_shr:1 row_mask:0xf bank_mask:0xf
	v_mov_b32_dpp v13, v2 row_shr:1 row_mask:0xf bank_mask:0xf
	v_or_b32_e32 v6, v5, v6
	v_mbcnt_lo_u32_b32 v5, -1, 0
	v_and_b32_e32 v8, 0xffff, v6
	v_lshl_or_b32 v8, v7, 16, v8
	v_and_b32_e32 v7, 15, v5
	v_mov_b32_dpp v10, v8 row_shr:1 row_mask:0xf bank_mask:0xf
	buffer_store_dword v8, off, s[0:3], 0 offset:152
	buffer_store_dword v12, off, s[0:3], 0
	buffer_store_dword v13, off, s[0:3], 0 offset:4
	buffer_store_dword v14, off, s[0:3], 0 offset:8
	;; [unrolled: 1-line block ×4, first 2 shown]
	v_cmpx_ne_u32_e32 0, v7
	s_cbranch_execz .LBB2074_407
; %bb.400:
	v_cmp_eq_u16_sdwa s8, v6, v11 src0_sel:BYTE_0 src1_sel:DWORD
	s_and_saveexec_b32 s5, s8
	s_cbranch_execz .LBB2074_406
; %bb.401:
	v_mov_b32_e32 v1, 0
	s_mov_b32 s8, 0
.LBB2074_402:                           ; =>This Inner Loop Header: Depth=1
	v_add_nc_u32_e64 v2, 0x60, s8
	s_add_i32 s8, s8, 4
	s_cmp_lg_u32 s8, 16
	buffer_store_dword v1, v2, s[0:3], 0 offen
	s_cbranch_scc1 .LBB2074_402
; %bb.403:
	s_mov_b32 s8, 0
	.p2align	6
.LBB2074_404:                           ; =>This Inner Loop Header: Depth=1
	v_mov_b32_e32 v1, s8
	v_add_nc_u32_e64 v2, 0x88, s8
	v_add_nc_u32_e64 v3, 0x60, s8
	s_add_i32 s8, s8, 4
	s_clause 0x1
	buffer_load_dword v1, v1, s[0:3], 0 offen
	buffer_load_dword v2, v2, s[0:3], 0 offen
	s_cmp_lg_u32 s8, 16
	s_waitcnt vmcnt(0)
	v_add_nc_u32_e32 v1, v2, v1
	buffer_store_dword v1, v3, s[0:3], 0 offen
	s_cbranch_scc1 .LBB2074_404
; %bb.405:
	s_clause 0x3
	buffer_load_dword v1, off, s[0:3], 0 offset:96
	buffer_load_dword v2, off, s[0:3], 0 offset:100
	;; [unrolled: 1-line block ×4, first 2 shown]
.LBB2074_406:
	s_or_b32 exec_lo, exec_lo, s5
	v_or_b32_e32 v6, v10, v8
	v_and_b32_e32 v6, 1, v6
	buffer_store_byte v6, off, s[0:3], 0 offset:152
	buffer_load_dword v8, off, s[0:3], 0 offset:152
	s_waitcnt vmcnt(4)
	buffer_store_dword v1, off, s[0:3], 0 offset:136
	s_waitcnt vmcnt(3)
	buffer_store_dword v2, off, s[0:3], 0 offset:140
	;; [unrolled: 2-line block ×4, first 2 shown]
	s_waitcnt vmcnt(0)
	v_mov_b32_e32 v6, v8
.LBB2074_407:
	s_or_b32 exec_lo, exec_lo, s4
	v_mov_b32_dpp v11, v1 row_shr:2 row_mask:0xf bank_mask:0xf
	v_mov_b32_dpp v10, v8 row_shr:2 row_mask:0xf bank_mask:0xf
	;; [unrolled: 1-line block ×5, first 2 shown]
	s_mov_b32 s5, exec_lo
	buffer_store_dword v11, off, s[0:3], 0
	buffer_store_dword v12, off, s[0:3], 0 offset:4
	buffer_store_dword v13, off, s[0:3], 0 offset:8
	;; [unrolled: 1-line block ×4, first 2 shown]
	v_cmpx_lt_u32_e32 1, v7
	s_cbranch_execz .LBB2074_414
; %bb.408:
	v_mov_b32_e32 v8, 0
	s_mov_b32 s8, 0
	v_cmp_eq_u16_sdwa s9, v6, v8 src0_sel:BYTE_0 src1_sel:DWORD
	s_and_saveexec_b32 s4, s9
	s_cbranch_execz .LBB2074_413
.LBB2074_409:                           ; =>This Inner Loop Header: Depth=1
	v_add_nc_u32_e64 v1, 0x60, s8
	s_add_i32 s8, s8, 4
	s_cmp_lg_u32 s8, 16
	buffer_store_dword v8, v1, s[0:3], 0 offen
	s_cbranch_scc1 .LBB2074_409
; %bb.410:
	s_mov_b32 s8, 0
	.p2align	6
.LBB2074_411:                           ; =>This Inner Loop Header: Depth=1
	v_mov_b32_e32 v1, s8
	v_add_nc_u32_e64 v2, 0x88, s8
	v_add_nc_u32_e64 v3, 0x60, s8
	s_add_i32 s8, s8, 4
	s_clause 0x1
	buffer_load_dword v1, v1, s[0:3], 0 offen
	buffer_load_dword v2, v2, s[0:3], 0 offen
	s_cmp_lg_u32 s8, 16
	s_waitcnt vmcnt(0)
	v_add_nc_u32_e32 v1, v2, v1
	buffer_store_dword v1, v3, s[0:3], 0 offen
	s_cbranch_scc1 .LBB2074_411
; %bb.412:
	s_clause 0x3
	buffer_load_dword v1, off, s[0:3], 0 offset:96
	buffer_load_dword v2, off, s[0:3], 0 offset:100
	;; [unrolled: 1-line block ×4, first 2 shown]
.LBB2074_413:
	s_or_b32 exec_lo, exec_lo, s4
	v_and_b32_e32 v6, 1, v6
	v_and_b32_e32 v8, 1, v10
	v_cmp_eq_u32_e32 vcc_lo, 1, v6
	v_cmp_eq_u32_e64 s4, 1, v8
	s_or_b32 s4, vcc_lo, s4
	v_cndmask_b32_e64 v6, 0, 1, s4
	buffer_store_byte v6, off, s[0:3], 0 offset:152
	buffer_load_dword v8, off, s[0:3], 0 offset:152
	s_waitcnt vmcnt(4)
	buffer_store_dword v1, off, s[0:3], 0 offset:136
	s_waitcnt vmcnt(3)
	buffer_store_dword v2, off, s[0:3], 0 offset:140
	;; [unrolled: 2-line block ×4, first 2 shown]
	s_waitcnt vmcnt(0)
	v_mov_b32_e32 v6, v8
.LBB2074_414:
	s_or_b32 exec_lo, exec_lo, s5
	v_mov_b32_dpp v11, v1 row_shr:4 row_mask:0xf bank_mask:0xf
	v_mov_b32_dpp v10, v8 row_shr:4 row_mask:0xf bank_mask:0xf
	;; [unrolled: 1-line block ×5, first 2 shown]
	s_mov_b32 s5, exec_lo
	buffer_store_dword v11, off, s[0:3], 0
	buffer_store_dword v12, off, s[0:3], 0 offset:4
	buffer_store_dword v13, off, s[0:3], 0 offset:8
	buffer_store_dword v14, off, s[0:3], 0 offset:12
	buffer_store_dword v10, off, s[0:3], 0 offset:16
	v_cmpx_lt_u32_e32 3, v7
	s_cbranch_execz .LBB2074_421
; %bb.415:
	v_mov_b32_e32 v8, 0
	s_mov_b32 s8, 0
	v_cmp_eq_u16_sdwa s9, v6, v8 src0_sel:BYTE_0 src1_sel:DWORD
	s_and_saveexec_b32 s4, s9
	s_cbranch_execz .LBB2074_420
.LBB2074_416:                           ; =>This Inner Loop Header: Depth=1
	v_add_nc_u32_e64 v1, 0x60, s8
	s_add_i32 s8, s8, 4
	s_cmp_lg_u32 s8, 16
	buffer_store_dword v8, v1, s[0:3], 0 offen
	s_cbranch_scc1 .LBB2074_416
; %bb.417:
	s_mov_b32 s8, 0
	.p2align	6
.LBB2074_418:                           ; =>This Inner Loop Header: Depth=1
	v_mov_b32_e32 v1, s8
	v_add_nc_u32_e64 v2, 0x88, s8
	v_add_nc_u32_e64 v3, 0x60, s8
	s_add_i32 s8, s8, 4
	s_clause 0x1
	buffer_load_dword v1, v1, s[0:3], 0 offen
	buffer_load_dword v2, v2, s[0:3], 0 offen
	s_cmp_lg_u32 s8, 16
	s_waitcnt vmcnt(0)
	v_add_nc_u32_e32 v1, v2, v1
	buffer_store_dword v1, v3, s[0:3], 0 offen
	s_cbranch_scc1 .LBB2074_418
; %bb.419:
	s_clause 0x3
	buffer_load_dword v1, off, s[0:3], 0 offset:96
	buffer_load_dword v2, off, s[0:3], 0 offset:100
	;; [unrolled: 1-line block ×4, first 2 shown]
.LBB2074_420:
	s_or_b32 exec_lo, exec_lo, s4
	v_and_b32_e32 v6, 1, v6
	v_and_b32_e32 v8, 1, v10
	v_cmp_eq_u32_e32 vcc_lo, 1, v6
	v_cmp_eq_u32_e64 s4, 1, v8
	s_or_b32 s4, vcc_lo, s4
	v_cndmask_b32_e64 v6, 0, 1, s4
	buffer_store_byte v6, off, s[0:3], 0 offset:152
	buffer_load_dword v8, off, s[0:3], 0 offset:152
	s_waitcnt vmcnt(4)
	buffer_store_dword v1, off, s[0:3], 0 offset:136
	s_waitcnt vmcnt(3)
	buffer_store_dword v2, off, s[0:3], 0 offset:140
	;; [unrolled: 2-line block ×4, first 2 shown]
	s_waitcnt vmcnt(0)
	v_mov_b32_e32 v6, v8
.LBB2074_421:
	s_or_b32 exec_lo, exec_lo, s5
	v_mov_b32_dpp v11, v1 row_shr:8 row_mask:0xf bank_mask:0xf
	v_mov_b32_dpp v10, v8 row_shr:8 row_mask:0xf bank_mask:0xf
	;; [unrolled: 1-line block ×5, first 2 shown]
	s_mov_b32 s5, exec_lo
	buffer_store_dword v11, off, s[0:3], 0
	buffer_store_dword v12, off, s[0:3], 0 offset:4
	buffer_store_dword v13, off, s[0:3], 0 offset:8
	;; [unrolled: 1-line block ×4, first 2 shown]
	v_cmpx_lt_u32_e32 7, v7
	s_cbranch_execz .LBB2074_428
; %bb.422:
	v_mov_b32_e32 v7, 0
	s_mov_b32 s8, 0
	v_cmp_eq_u16_sdwa s9, v6, v7 src0_sel:BYTE_0 src1_sel:DWORD
	s_and_saveexec_b32 s4, s9
	s_cbranch_execz .LBB2074_427
.LBB2074_423:                           ; =>This Inner Loop Header: Depth=1
	v_add_nc_u32_e64 v1, 0x60, s8
	s_add_i32 s8, s8, 4
	s_cmp_lg_u32 s8, 16
	buffer_store_dword v7, v1, s[0:3], 0 offen
	s_cbranch_scc1 .LBB2074_423
; %bb.424:
	s_mov_b32 s8, 0
	.p2align	6
.LBB2074_425:                           ; =>This Inner Loop Header: Depth=1
	v_mov_b32_e32 v1, s8
	v_add_nc_u32_e64 v2, 0x88, s8
	v_add_nc_u32_e64 v3, 0x60, s8
	s_add_i32 s8, s8, 4
	s_clause 0x1
	buffer_load_dword v1, v1, s[0:3], 0 offen
	buffer_load_dword v2, v2, s[0:3], 0 offen
	s_cmp_lg_u32 s8, 16
	s_waitcnt vmcnt(0)
	v_add_nc_u32_e32 v1, v2, v1
	buffer_store_dword v1, v3, s[0:3], 0 offen
	s_cbranch_scc1 .LBB2074_425
; %bb.426:
	s_clause 0x3
	buffer_load_dword v1, off, s[0:3], 0 offset:96
	buffer_load_dword v2, off, s[0:3], 0 offset:100
	;; [unrolled: 1-line block ×4, first 2 shown]
.LBB2074_427:
	s_or_b32 exec_lo, exec_lo, s4
	v_and_b32_e32 v6, 1, v6
	v_and_b32_e32 v7, 1, v10
	v_cmp_eq_u32_e32 vcc_lo, 1, v6
	v_cmp_eq_u32_e64 s4, 1, v7
	s_or_b32 s4, vcc_lo, s4
	v_cndmask_b32_e64 v6, 0, 1, s4
	buffer_store_byte v6, off, s[0:3], 0 offset:152
	buffer_load_dword v8, off, s[0:3], 0 offset:152
	s_waitcnt vmcnt(4)
	buffer_store_dword v1, off, s[0:3], 0 offset:136
	s_waitcnt vmcnt(3)
	buffer_store_dword v2, off, s[0:3], 0 offset:140
	;; [unrolled: 2-line block ×4, first 2 shown]
	s_waitcnt vmcnt(0)
	v_mov_b32_e32 v6, v8
.LBB2074_428:
	s_or_b32 exec_lo, exec_lo, s5
	ds_swizzle_b32 v10, v1 offset:swizzle(BROADCAST,32,15)
	ds_swizzle_b32 v7, v8 offset:swizzle(BROADCAST,32,15)
	;; [unrolled: 1-line block ×5, first 2 shown]
	v_and_b32_e32 v8, 16, v5
	s_mov_b32 s5, exec_lo
	s_waitcnt lgkmcnt(4)
	buffer_store_dword v10, off, s[0:3], 0
	s_waitcnt lgkmcnt(2)
	buffer_store_dword v11, off, s[0:3], 0 offset:4
	s_waitcnt lgkmcnt(1)
	buffer_store_dword v12, off, s[0:3], 0 offset:8
	;; [unrolled: 2-line block ×3, first 2 shown]
	buffer_store_dword v7, off, s[0:3], 0 offset:16
	v_cmpx_ne_u32_e32 0, v8
	s_cbranch_execz .LBB2074_435
; %bb.429:
	v_mov_b32_e32 v8, 0
	s_mov_b32 s8, 0
	v_cmp_eq_u16_sdwa s9, v6, v8 src0_sel:BYTE_0 src1_sel:DWORD
	s_and_saveexec_b32 s4, s9
	s_cbranch_execz .LBB2074_434
.LBB2074_430:                           ; =>This Inner Loop Header: Depth=1
	v_add_nc_u32_e64 v1, 0x60, s8
	s_add_i32 s8, s8, 4
	s_cmp_lg_u32 s8, 16
	buffer_store_dword v8, v1, s[0:3], 0 offen
	s_cbranch_scc1 .LBB2074_430
; %bb.431:
	s_mov_b32 s8, 0
	.p2align	6
.LBB2074_432:                           ; =>This Inner Loop Header: Depth=1
	v_mov_b32_e32 v1, s8
	v_add_nc_u32_e64 v2, 0x88, s8
	v_add_nc_u32_e64 v3, 0x60, s8
	s_add_i32 s8, s8, 4
	s_clause 0x1
	buffer_load_dword v1, v1, s[0:3], 0 offen
	buffer_load_dword v2, v2, s[0:3], 0 offen
	s_cmp_lg_u32 s8, 16
	s_waitcnt vmcnt(0)
	v_add_nc_u32_e32 v1, v2, v1
	buffer_store_dword v1, v3, s[0:3], 0 offen
	s_cbranch_scc1 .LBB2074_432
; %bb.433:
	s_clause 0x3
	buffer_load_dword v1, off, s[0:3], 0 offset:96
	buffer_load_dword v2, off, s[0:3], 0 offset:100
	;; [unrolled: 1-line block ×4, first 2 shown]
.LBB2074_434:
	s_or_b32 exec_lo, exec_lo, s4
	v_and_b32_e32 v6, 1, v6
	v_and_b32_e32 v7, 1, v7
	v_cmp_eq_u32_e32 vcc_lo, 1, v6
	v_cmp_eq_u32_e64 s4, 1, v7
	s_or_b32 s4, vcc_lo, s4
	v_cndmask_b32_e64 v6, 0, 1, s4
	s_waitcnt vmcnt(3)
	buffer_store_dword v1, off, s[0:3], 0 offset:136
	s_waitcnt vmcnt(2)
	buffer_store_dword v2, off, s[0:3], 0 offset:140
	;; [unrolled: 2-line block ×4, first 2 shown]
	buffer_store_byte v6, off, s[0:3], 0 offset:152
.LBB2074_435:
	s_or_b32 exec_lo, exec_lo, s5
	v_or_b32_e32 v8, 31, v0
	v_lshrrev_b32_e32 v7, 5, v0
	s_mov_b32 s4, exec_lo
	v_cmpx_eq_u32_e64 v0, v8
	s_cbranch_execz .LBB2074_437
; %bb.436:
	v_mul_u32_u24_e32 v8, 20, v7
	ds_write2_b32 v8, v1, v2 offset1:1
	ds_write2_b32 v8, v3, v4 offset0:2 offset1:3
	ds_write_b8 v8, v6 offset:16
.LBB2074_437:
	s_or_b32 exec_lo, exec_lo, s4
	s_mov_b32 s5, exec_lo
	s_waitcnt lgkmcnt(0)
	s_waitcnt_vscnt null, 0x0
	s_barrier
	buffer_gl0_inv
	v_cmpx_gt_u32_e32 8, v0
	s_cbranch_execz .LBB2074_461
; %bb.438:
	v_mul_u32_u24_e32 v6, 20, v0
	v_and_b32_e32 v10, 7, v5
	s_mov_b32 s4, exec_lo
	ds_read_b32 v8, v6 offset:16
	ds_read2_b32 v[1:2], v6 offset0:2 offset1:3
	ds_read2_b32 v[3:4], v6 offset1:1
	s_waitcnt lgkmcnt(2)
	buffer_store_dword v8, off, s[0:3], 0 offset:112
	s_waitcnt lgkmcnt(1)
	buffer_store_dword v2, off, s[0:3], 0 offset:108
	buffer_store_dword v1, off, s[0:3], 0 offset:104
	s_waitcnt lgkmcnt(0)
	buffer_store_dword v4, off, s[0:3], 0 offset:100
	buffer_store_dword v3, off, s[0:3], 0 offset:96
	v_mov_b32_dpp v12, v3 row_shr:1 row_mask:0xf bank_mask:0xf
	v_mov_b32_dpp v11, v8 row_shr:1 row_mask:0xf bank_mask:0xf
	;; [unrolled: 1-line block ×5, first 2 shown]
	buffer_store_dword v12, off, s[0:3], 0
	buffer_store_dword v13, off, s[0:3], 0 offset:4
	buffer_store_dword v14, off, s[0:3], 0 offset:8
	;; [unrolled: 1-line block ×4, first 2 shown]
	v_cmpx_ne_u32_e32 0, v10
	s_cbranch_execz .LBB2074_446
; %bb.439:
	v_mov_b32_e32 v12, 0
	v_cmp_eq_u16_sdwa s9, v8, v12 src0_sel:BYTE_0 src1_sel:DWORD
	s_and_saveexec_b32 s8, s9
	s_cbranch_execz .LBB2074_445
; %bb.440:
	s_mov_b32 s9, 0
.LBB2074_441:                           ; =>This Inner Loop Header: Depth=1
	v_add_nc_u32_e64 v1, 0x74, s9
	s_add_i32 s9, s9, 4
	s_cmp_lg_u32 s9, 16
	buffer_store_dword v12, v1, s[0:3], 0 offen
	s_cbranch_scc1 .LBB2074_441
; %bb.442:
	s_mov_b32 s9, 0
	.p2align	6
.LBB2074_443:                           ; =>This Inner Loop Header: Depth=1
	v_mov_b32_e32 v1, s9
	v_add_nc_u32_e64 v2, 0x60, s9
	v_add_nc_u32_e64 v3, 0x74, s9
	s_add_i32 s9, s9, 4
	s_clause 0x1
	buffer_load_dword v1, v1, s[0:3], 0 offen
	buffer_load_dword v2, v2, s[0:3], 0 offen
	s_cmp_lg_u32 s9, 16
	s_waitcnt vmcnt(0)
	v_add_nc_u32_e32 v1, v2, v1
	buffer_store_dword v1, v3, s[0:3], 0 offen
	s_cbranch_scc1 .LBB2074_443
; %bb.444:
	s_clause 0x3
	buffer_load_dword v3, off, s[0:3], 0 offset:116
	buffer_load_dword v4, off, s[0:3], 0 offset:120
	;; [unrolled: 1-line block ×4, first 2 shown]
.LBB2074_445:
	s_or_b32 exec_lo, exec_lo, s8
	v_or_b32_e32 v8, v11, v8
	v_and_b32_e32 v8, 1, v8
	buffer_store_byte v8, off, s[0:3], 0 offset:112
	buffer_load_dword v8, off, s[0:3], 0 offset:112
	s_waitcnt vmcnt(4)
	buffer_store_dword v3, off, s[0:3], 0 offset:96
	s_waitcnt vmcnt(3)
	buffer_store_dword v4, off, s[0:3], 0 offset:100
	;; [unrolled: 2-line block ×4, first 2 shown]
.LBB2074_446:
	s_or_b32 exec_lo, exec_lo, s4
	v_mov_b32_dpp v12, v3 row_shr:2 row_mask:0xf bank_mask:0xf
	s_waitcnt vmcnt(0)
	v_mov_b32_dpp v11, v8 row_shr:2 row_mask:0xf bank_mask:0xf
	v_mov_b32_dpp v13, v4 row_shr:2 row_mask:0xf bank_mask:0xf
	;; [unrolled: 1-line block ×4, first 2 shown]
	s_mov_b32 s8, exec_lo
	buffer_store_dword v12, off, s[0:3], 0
	buffer_store_dword v13, off, s[0:3], 0 offset:4
	buffer_store_dword v14, off, s[0:3], 0 offset:8
	;; [unrolled: 1-line block ×4, first 2 shown]
	v_cmpx_lt_u32_e32 1, v10
	s_cbranch_execz .LBB2074_453
; %bb.447:
	v_mov_b32_e32 v12, 0
	s_mov_b32 s9, 0
	v_cmp_eq_u16_sdwa s10, v8, v12 src0_sel:BYTE_0 src1_sel:DWORD
	s_and_saveexec_b32 s4, s10
	s_cbranch_execz .LBB2074_452
.LBB2074_448:                           ; =>This Inner Loop Header: Depth=1
	v_add_nc_u32_e64 v1, 0x74, s9
	s_add_i32 s9, s9, 4
	s_cmp_lg_u32 s9, 16
	buffer_store_dword v12, v1, s[0:3], 0 offen
	s_cbranch_scc1 .LBB2074_448
; %bb.449:
	s_mov_b32 s9, 0
	.p2align	6
.LBB2074_450:                           ; =>This Inner Loop Header: Depth=1
	v_mov_b32_e32 v1, s9
	v_add_nc_u32_e64 v2, 0x60, s9
	v_add_nc_u32_e64 v3, 0x74, s9
	s_add_i32 s9, s9, 4
	s_clause 0x1
	buffer_load_dword v1, v1, s[0:3], 0 offen
	buffer_load_dword v2, v2, s[0:3], 0 offen
	s_cmp_lg_u32 s9, 16
	s_waitcnt vmcnt(0)
	v_add_nc_u32_e32 v1, v2, v1
	buffer_store_dword v1, v3, s[0:3], 0 offen
	s_cbranch_scc1 .LBB2074_450
; %bb.451:
	s_clause 0x3
	buffer_load_dword v3, off, s[0:3], 0 offset:116
	buffer_load_dword v4, off, s[0:3], 0 offset:120
	;; [unrolled: 1-line block ×4, first 2 shown]
.LBB2074_452:
	s_or_b32 exec_lo, exec_lo, s4
	v_and_b32_e32 v8, 1, v8
	v_and_b32_e32 v11, 1, v11
	v_cmp_eq_u32_e32 vcc_lo, 1, v8
	v_cmp_eq_u32_e64 s4, 1, v11
	s_or_b32 s4, vcc_lo, s4
	v_cndmask_b32_e64 v8, 0, 1, s4
	buffer_store_byte v8, off, s[0:3], 0 offset:112
	buffer_load_dword v8, off, s[0:3], 0 offset:112
	s_waitcnt vmcnt(4)
	buffer_store_dword v3, off, s[0:3], 0 offset:96
	s_waitcnt vmcnt(3)
	buffer_store_dword v4, off, s[0:3], 0 offset:100
	;; [unrolled: 2-line block ×4, first 2 shown]
.LBB2074_453:
	s_or_b32 exec_lo, exec_lo, s8
	v_mov_b32_dpp v12, v3 row_shr:4 row_mask:0xf bank_mask:0xf
	s_waitcnt vmcnt(0)
	v_mov_b32_dpp v11, v8 row_shr:4 row_mask:0xf bank_mask:0xf
	v_mov_b32_dpp v13, v4 row_shr:4 row_mask:0xf bank_mask:0xf
	;; [unrolled: 1-line block ×4, first 2 shown]
	s_mov_b32 s8, exec_lo
	buffer_store_dword v12, off, s[0:3], 0
	buffer_store_dword v13, off, s[0:3], 0 offset:4
	buffer_store_dword v14, off, s[0:3], 0 offset:8
	;; [unrolled: 1-line block ×4, first 2 shown]
	v_cmpx_lt_u32_e32 3, v10
	s_cbranch_execz .LBB2074_460
; %bb.454:
	v_mov_b32_e32 v10, 0
	s_mov_b32 s9, 0
	v_cmp_eq_u16_sdwa s10, v8, v10 src0_sel:BYTE_0 src1_sel:DWORD
	s_and_saveexec_b32 s4, s10
	s_cbranch_execz .LBB2074_459
.LBB2074_455:                           ; =>This Inner Loop Header: Depth=1
	v_add_nc_u32_e64 v1, 0x74, s9
	s_add_i32 s9, s9, 4
	s_cmp_lg_u32 s9, 16
	buffer_store_dword v10, v1, s[0:3], 0 offen
	s_cbranch_scc1 .LBB2074_455
; %bb.456:
	s_mov_b32 s9, 0
	.p2align	6
.LBB2074_457:                           ; =>This Inner Loop Header: Depth=1
	v_mov_b32_e32 v1, s9
	v_add_nc_u32_e64 v2, 0x60, s9
	v_add_nc_u32_e64 v3, 0x74, s9
	s_add_i32 s9, s9, 4
	s_clause 0x1
	buffer_load_dword v1, v1, s[0:3], 0 offen
	buffer_load_dword v2, v2, s[0:3], 0 offen
	s_cmp_lg_u32 s9, 16
	s_waitcnt vmcnt(0)
	v_add_nc_u32_e32 v1, v2, v1
	buffer_store_dword v1, v3, s[0:3], 0 offen
	s_cbranch_scc1 .LBB2074_457
; %bb.458:
	s_clause 0x3
	buffer_load_dword v3, off, s[0:3], 0 offset:116
	buffer_load_dword v4, off, s[0:3], 0 offset:120
	;; [unrolled: 1-line block ×4, first 2 shown]
.LBB2074_459:
	s_or_b32 exec_lo, exec_lo, s4
	v_and_b32_e32 v8, 1, v8
	v_and_b32_e32 v10, 1, v11
	s_waitcnt vmcnt(3)
	buffer_store_dword v3, off, s[0:3], 0 offset:96
	s_waitcnt vmcnt(2)
	buffer_store_dword v4, off, s[0:3], 0 offset:100
	;; [unrolled: 2-line block ×4, first 2 shown]
	v_cmp_eq_u32_e32 vcc_lo, 1, v8
	v_cmp_eq_u32_e64 s4, 1, v10
	s_or_b32 s4, vcc_lo, s4
	v_cndmask_b32_e64 v8, 0, 1, s4
.LBB2074_460:
	s_or_b32 exec_lo, exec_lo, s8
	s_clause 0x3
	buffer_load_dword v1, off, s[0:3], 0 offset:96
	buffer_load_dword v2, off, s[0:3], 0 offset:104
	buffer_load_dword v3, off, s[0:3], 0 offset:108
	buffer_load_dword v4, off, s[0:3], 0 offset:100
	s_waitcnt vmcnt(1)
	ds_write2_b32 v6, v2, v3 offset0:2 offset1:3
	s_waitcnt vmcnt(0)
	ds_write2_b32 v6, v1, v4 offset1:1
	ds_write_b8 v6, v8 offset:16
.LBB2074_461:
	s_or_b32 exec_lo, exec_lo, s5
	v_mov_b32_e32 v1, 0
	s_mov_b32 s4, 0
	s_waitcnt lgkmcnt(0)
	s_waitcnt_vscnt null, 0x0
	s_barrier
	buffer_gl0_inv
	buffer_store_dword v1, off, s[0:3], 0 offset:12
	buffer_store_dword v1, off, s[0:3], 0 offset:8
	;; [unrolled: 1-line block ×3, first 2 shown]
	buffer_store_dword v1, off, s[0:3], 0
	buffer_store_dword v1, off, s[0:3], 0 offset:16
.LBB2074_462:                           ; =>This Inner Loop Header: Depth=1
	v_mov_b32_e32 v2, s4
	s_add_i32 s4, s4, 4
	s_cmp_lg_u32 s4, 16
	buffer_store_dword v1, v2, s[0:3], 0 offen
	s_cbranch_scc1 .LBB2074_462
; %bb.463:
	s_mov_b32 s4, exec_lo
                                        ; implicit-def: $vgpr2
                                        ; implicit-def: $vgpr3
                                        ; implicit-def: $vgpr6
                                        ; implicit-def: $vgpr4
                                        ; implicit-def: $vgpr1
	v_cmpx_lt_u32_e32 31, v0
	s_xor_b32 s4, exec_lo, s4
	s_cbranch_execz .LBB2074_473
; %bb.464:
	buffer_load_ubyte v8, off, s[0:3], 0 offset:152
	v_mad_u32_u24 v4, v7, 20, 0xffffffec
	v_mad_u32_u24 v1, v7, 20, -4
	s_mov_b32 s5, exec_lo
	ds_read2_b32 v[2:3], v4 offset0:2 offset1:3
	ds_read_u8 v1, v1
	ds_read2_b32 v[6:7], v4 offset1:1
                                        ; implicit-def: $vgpr4
	s_waitcnt lgkmcnt(2)
	buffer_store_dword v3, off, s[0:3], 0 offset:12
	buffer_store_dword v2, off, s[0:3], 0 offset:8
	s_waitcnt lgkmcnt(0)
	buffer_store_dword v7, off, s[0:3], 0 offset:4
	buffer_store_dword v6, off, s[0:3], 0
                                        ; implicit-def: $vgpr2
                                        ; implicit-def: $vgpr3
                                        ; implicit-def: $vgpr6
	s_waitcnt vmcnt(0)
	v_cmpx_ne_u16_e32 0, v8
	s_xor_b32 s5, exec_lo, s5
	s_cbranch_execz .LBB2074_466
; %bb.465:
	s_clause 0x3
	buffer_load_dword v2, off, s[0:3], 0 offset:136
	buffer_load_dword v3, off, s[0:3], 0 offset:140
	;; [unrolled: 1-line block ×4, first 2 shown]
.LBB2074_466:
	s_andn2_saveexec_b32 s5, s5
	s_cbranch_execz .LBB2074_472
; %bb.467:
	s_waitcnt vmcnt(3)
	v_mov_b32_e32 v2, 0
	s_mov_b32 s8, 0
.LBB2074_468:                           ; =>This Inner Loop Header: Depth=1
	s_waitcnt vmcnt(2)
	v_add_nc_u32_e64 v3, 0x60, s8
	s_add_i32 s8, s8, 4
	s_cmp_lg_u32 s8, 16
	buffer_store_dword v2, v3, s[0:3], 0 offen
	s_cbranch_scc1 .LBB2074_468
; %bb.469:
	s_mov_b32 s8, 0
	.p2align	6
.LBB2074_470:                           ; =>This Inner Loop Header: Depth=1
	v_mov_b32_e32 v2, s8
	v_add_nc_u32_e64 v3, 0x88, s8
	s_waitcnt vmcnt(0)
	v_add_nc_u32_e64 v4, 0x60, s8
	s_add_i32 s8, s8, 4
	s_clause 0x1
	buffer_load_dword v2, v2, s[0:3], 0 offen
	buffer_load_dword v3, v3, s[0:3], 0 offen
	s_cmp_lg_u32 s8, 16
	s_waitcnt vmcnt(0)
	v_add_nc_u32_e32 v2, v3, v2
	buffer_store_dword v2, v4, s[0:3], 0 offen
	s_cbranch_scc1 .LBB2074_470
; %bb.471:
	s_clause 0x3
	buffer_load_dword v2, off, s[0:3], 0 offset:96
	buffer_load_dword v3, off, s[0:3], 0 offset:100
	buffer_load_dword v6, off, s[0:3], 0 offset:104
	buffer_load_dword v4, off, s[0:3], 0 offset:108
.LBB2074_472:
	s_or_b32 exec_lo, exec_lo, s5
	v_or_b32_e32 v7, v8, v1
	buffer_store_byte v7, off, s[0:3], 0 offset:152
.LBB2074_473:
	s_andn2_saveexec_b32 s4, s4
	s_cbranch_execz .LBB2074_475
; %bb.474:
	s_clause 0x3
	buffer_load_dword v2, off, s[0:3], 0 offset:136
	buffer_load_dword v3, off, s[0:3], 0 offset:140
	;; [unrolled: 1-line block ×4, first 2 shown]
	v_mov_b32_e32 v1, 0
.LBB2074_475:
	s_or_b32 exec_lo, exec_lo, s4
	buffer_load_dword v7, off, s[0:3], 0 offset:152
	v_sub_co_u32 v8, s5, v5, 1
	v_cmp_gt_i32_e32 vcc_lo, 0, v8
	v_cndmask_b32_e32 v5, v8, v5, vcc_lo
	v_lshlrev_b32_e32 v11, 2, v5
	s_waitcnt vmcnt(4)
	ds_bpermute_b32 v10, v11, v2
	s_waitcnt vmcnt(3)
	ds_bpermute_b32 v8, v11, v3
	;; [unrolled: 2-line block ×5, first 2 shown]
	s_waitcnt lgkmcnt(4)
	buffer_store_dword v10, off, s[0:3], 0 offset:136
	s_waitcnt lgkmcnt(3)
	buffer_store_dword v8, off, s[0:3], 0 offset:140
	;; [unrolled: 2-line block ×4, first 2 shown]
	s_waitcnt lgkmcnt(0)
	buffer_store_byte v2, off, s[0:3], 0 offset:152
	s_and_saveexec_b32 s4, s5
	s_cbranch_execz .LBB2074_477
; %bb.476:
	s_clause 0x3
	buffer_load_dword v3, off, s[0:3], 0 offset:12
	buffer_load_dword v5, off, s[0:3], 0 offset:8
	buffer_load_dword v8, off, s[0:3], 0 offset:4
	buffer_load_dword v10, off, s[0:3], 0
	v_mov_b32_e32 v2, v1
	s_waitcnt vmcnt(3)
	buffer_store_dword v3, off, s[0:3], 0 offset:148
	s_waitcnt vmcnt(2)
	buffer_store_dword v5, off, s[0:3], 0 offset:144
	s_waitcnt vmcnt(1)
	buffer_store_dword v8, off, s[0:3], 0 offset:140
	s_waitcnt vmcnt(0)
	buffer_store_dword v10, off, s[0:3], 0 offset:136
	buffer_store_byte v1, off, s[0:3], 0 offset:152
.LBB2074_477:
	s_or_b32 exec_lo, exec_lo, s4
	s_clause 0x4
	buffer_load_dword v4, off, s[0:3], 0 offset:220
	buffer_load_dword v6, off, s[0:3], 0 offset:216
	;; [unrolled: 1-line block ×5, first 2 shown]
	v_perm_b32 v7, v2, v7, 0x3020104
	buffer_store_dword v10, off, s[0:3], 0 offset:96
	buffer_store_dword v8, off, s[0:3], 0 offset:100
	;; [unrolled: 1-line block ×5, first 2 shown]
	s_waitcnt vmcnt(4)
	buffer_store_dword v4, off, s[0:3], 0 offset:128
	s_waitcnt vmcnt(3)
	buffer_store_dword v6, off, s[0:3], 0 offset:124
	;; [unrolled: 2-line block ×5, first 2 shown]
                                        ; implicit-def: $vgpr3
                                        ; implicit-def: $vgpr4
                                        ; implicit-def: $vgpr6
                                        ; implicit-def: $vgpr5
	s_and_saveexec_b32 s4, s7
	s_xor_b32 s4, exec_lo, s4
	s_cbranch_execz .LBB2074_487
; %bb.478:
	v_mov_b32_e32 v3, 0
                                        ; implicit-def: $vgpr5
                                        ; implicit-def: $vgpr4
                                        ; implicit-def: $vgpr6
	v_cmp_ne_u16_sdwa s5, v1, v3 src0_sel:BYTE_0 src1_sel:DWORD
                                        ; implicit-def: $vgpr3
	s_and_saveexec_b32 s7, s5
	s_xor_b32 s5, exec_lo, s7
	s_cbranch_execz .LBB2074_480
; %bb.479:
	s_clause 0x3
	buffer_load_dword v3, off, s[0:3], 0 offset:116
	buffer_load_dword v4, off, s[0:3], 0 offset:120
	;; [unrolled: 1-line block ×4, first 2 shown]
.LBB2074_480:
	s_andn2_saveexec_b32 s5, s5
	s_cbranch_execz .LBB2074_486
; %bb.481:
	s_waitcnt vmcnt(3)
	v_mov_b32_e32 v3, 0
	s_mov_b32 s7, 0
.LBB2074_482:                           ; =>This Inner Loop Header: Depth=1
	s_waitcnt vmcnt(2)
	v_mov_b32_e32 v4, s7
	s_add_i32 s7, s7, 4
	s_cmp_lg_u32 s7, 16
	buffer_store_dword v3, v4, s[0:3], 0 offen
	s_cbranch_scc1 .LBB2074_482
; %bb.483:
	s_mov_b32 s7, 0
	.p2align	6
.LBB2074_484:                           ; =>This Inner Loop Header: Depth=1
	v_add_nc_u32_e64 v3, 0x60, s7
	v_add_nc_u32_e64 v4, 0x74, s7
	s_waitcnt vmcnt(0)
	v_mov_b32_e32 v5, s7
	s_add_i32 s7, s7, 4
	s_clause 0x1
	buffer_load_dword v3, v3, s[0:3], 0 offen
	buffer_load_dword v4, v4, s[0:3], 0 offen
	s_cmp_lg_u32 s7, 16
	s_waitcnt vmcnt(0)
	v_add_nc_u32_e32 v3, v4, v3
	buffer_store_dword v3, v5, s[0:3], 0 offen
	s_cbranch_scc1 .LBB2074_484
; %bb.485:
	s_clause 0x3
	buffer_load_dword v3, off, s[0:3], 0
	buffer_load_dword v4, off, s[0:3], 0 offset:4
	buffer_load_dword v6, off, s[0:3], 0 offset:8
	buffer_load_dword v5, off, s[0:3], 0 offset:12
.LBB2074_486:
	s_or_b32 exec_lo, exec_lo, s5
	v_and_b32_e32 v2, 1, v2
	s_waitcnt vmcnt(3)
	buffer_store_dword v3, off, s[0:3], 0 offset:116
	s_waitcnt vmcnt(2)
	buffer_store_dword v4, off, s[0:3], 0 offset:120
	s_waitcnt vmcnt(1)
	buffer_store_dword v6, off, s[0:3], 0 offset:124
	s_waitcnt vmcnt(0)
	buffer_store_dword v5, off, s[0:3], 0 offset:128
	;;#ASMSTART
	;;#ASMEND
	v_or_b32_e32 v1, v1, v2
.LBB2074_487:
	s_andn2_saveexec_b32 s4, s4
	s_cbranch_execz .LBB2074_489
; %bb.488:
	s_clause 0x3
	buffer_load_dword v3, off, s[0:3], 0 offset:116
	buffer_load_dword v4, off, s[0:3], 0 offset:120
	;; [unrolled: 1-line block ×4, first 2 shown]
.LBB2074_489:
	s_or_b32 exec_lo, exec_lo, s4
	s_clause 0x6
	buffer_load_dword v7, off, s[0:3], 0 offset:128
	buffer_load_dword v8, off, s[0:3], 0 offset:124
	buffer_load_ushort v10, off, s[0:3], 0 offset:133
	buffer_load_ubyte v11, off, s[0:3], 0 offset:135
	buffer_load_dword v12, off, s[0:3], 0 offset:120
	buffer_load_dword v13, off, s[0:3], 0 offset:116
	buffer_load_ubyte v2, off, s[0:3], 0 offset:244
	s_mov_b32 s4, exec_lo
	s_waitcnt vmcnt(6)
	buffer_store_dword v7, off, s[0:3], 0 offset:220
	s_waitcnt vmcnt(5)
	buffer_store_dword v8, off, s[0:3], 0 offset:216
	s_waitcnt vmcnt(4)
	v_perm_b32 v7, v1, v10, 0xc0c0004
	s_waitcnt vmcnt(3)
	v_perm_b32 v8, v10, v11, 0xc0c0005
	s_waitcnt vmcnt(2)
	buffer_store_dword v12, off, s[0:3], 0 offset:212
	s_waitcnt vmcnt(1)
	buffer_store_dword v13, off, s[0:3], 0 offset:208
	buffer_store_byte v1, off, s[0:3], 0 offset:224
	buffer_store_dword v3, off, s[0:3], 0
	v_lshl_or_b32 v3, v8, 16, v7
                                        ; implicit-def: $vgpr7
	buffer_store_dword v4, off, s[0:3], 0 offset:4
	buffer_store_dword v6, off, s[0:3], 0 offset:8
	;; [unrolled: 1-line block ×4, first 2 shown]
                                        ; implicit-def: $vgpr4
                                        ; implicit-def: $vgpr5
                                        ; implicit-def: $vgpr6
	s_waitcnt vmcnt(0)
	v_cmpx_ne_u16_e32 0, v2
	s_xor_b32 s4, exec_lo, s4
	s_cbranch_execz .LBB2074_491
; %bb.490:
	s_clause 0x3
	buffer_load_dword v4, off, s[0:3], 0 offset:228
	buffer_load_dword v5, off, s[0:3], 0 offset:232
	;; [unrolled: 1-line block ×4, first 2 shown]
.LBB2074_491:
	s_andn2_saveexec_b32 s4, s4
	s_cbranch_execz .LBB2074_497
; %bb.492:
	v_mov_b32_e32 v3, 0
	s_mov_b32 s5, 0
.LBB2074_493:                           ; =>This Inner Loop Header: Depth=1
	s_waitcnt vmcnt(3)
	v_add_nc_u32_e64 v4, 0xb0, s5
	s_add_i32 s5, s5, 4
	s_cmp_lg_u32 s5, 16
	buffer_store_dword v3, v4, s[0:3], 0 offen
	s_cbranch_scc1 .LBB2074_493
; %bb.494:
	s_mov_b32 s5, 0
	.p2align	6
.LBB2074_495:                           ; =>This Inner Loop Header: Depth=1
	v_mov_b32_e32 v3, s5
	v_add_nc_u32_e64 v4, 0xd0, s5
	s_waitcnt vmcnt(2)
	v_add_nc_u32_e64 v5, 0xb0, s5
	s_add_i32 s5, s5, 4
	s_clause 0x1
	buffer_load_dword v3, v3, s[0:3], 0 offen
	buffer_load_dword v4, v4, s[0:3], 0 offen offset:20
	s_cmp_lg_u32 s5, 16
	s_waitcnt vmcnt(0)
	v_add_nc_u32_e32 v3, v4, v3
	buffer_store_dword v3, v5, s[0:3], 0 offen
	s_cbranch_scc1 .LBB2074_495
; %bb.496:
	s_clause 0x3
	buffer_load_dword v4, off, s[0:3], 0 offset:176
	buffer_load_dword v5, off, s[0:3], 0 offset:180
	buffer_load_dword v6, off, s[0:3], 0 offset:184
	buffer_load_dword v7, off, s[0:3], 0 offset:188
.LBB2074_497:
	s_or_b32 exec_lo, exec_lo, s4
	buffer_load_ubyte v3, off, s[0:3], 0 offset:264
	v_or_b32_e32 v1, v2, v1
	s_mov_b32 s4, exec_lo
	v_mov_b32_e32 v2, s11
	s_waitcnt vmcnt(4)
	buffer_store_dword v4, off, s[0:3], 0
	s_waitcnt vmcnt(3)
	buffer_store_dword v5, off, s[0:3], 0 offset:4
	s_waitcnt vmcnt(2)
	buffer_store_dword v6, off, s[0:3], 0 offset:8
	;; [unrolled: 2-line block ×3, first 2 shown]
	buffer_store_dword v7, v2, s[0:3], 0 offen offset:12
	buffer_store_dword v6, v2, s[0:3], 0 offen offset:8
	;; [unrolled: 1-line block ×3, first 2 shown]
	buffer_store_dword v4, v2, s[0:3], 0 offen
	buffer_store_byte v1, off, s[0:3], 0 offset:244
                                        ; implicit-def: $vgpr7
                                        ; implicit-def: $vgpr4
                                        ; implicit-def: $vgpr5
                                        ; implicit-def: $vgpr6
	s_waitcnt vmcnt(0)
	v_cmpx_ne_u16_e32 0, v3
	s_xor_b32 s4, exec_lo, s4
	s_cbranch_execz .LBB2074_499
; %bb.498:
	s_clause 0x3
	buffer_load_dword v4, off, s[0:3], 0 offset:248
	buffer_load_dword v5, off, s[0:3], 0 offset:252
	;; [unrolled: 1-line block ×4, first 2 shown]
.LBB2074_499:
	s_andn2_saveexec_b32 s4, s4
	s_cbranch_execz .LBB2074_505
; %bb.500:
	v_mov_b32_e32 v2, 0
	s_mov_b32 s5, 0
.LBB2074_501:                           ; =>This Inner Loop Header: Depth=1
	s_waitcnt vmcnt(3)
	v_add_nc_u32_e64 v4, 0xb0, s5
	s_add_i32 s5, s5, 4
	s_cmp_lg_u32 s5, 16
	buffer_store_dword v2, v4, s[0:3], 0 offen
	s_cbranch_scc1 .LBB2074_501
; %bb.502:
	s_mov_b32 s5, 0
	.p2align	6
.LBB2074_503:                           ; =>This Inner Loop Header: Depth=1
	v_mov_b32_e32 v2, s5
	v_add_nc_u32_e64 v4, 0xd0, s5
	s_waitcnt vmcnt(2)
	v_add_nc_u32_e64 v5, 0xb0, s5
	s_add_i32 s5, s5, 4
	s_clause 0x1
	buffer_load_dword v2, v2, s[0:3], 0 offen
	buffer_load_dword v4, v4, s[0:3], 0 offen offset:40
	s_cmp_lg_u32 s5, 16
	s_waitcnt vmcnt(0)
	v_add_nc_u32_e32 v2, v4, v2
	buffer_store_dword v2, v5, s[0:3], 0 offen
	s_cbranch_scc1 .LBB2074_503
; %bb.504:
	s_clause 0x3
	buffer_load_dword v4, off, s[0:3], 0 offset:176
	buffer_load_dword v5, off, s[0:3], 0 offset:180
	;; [unrolled: 1-line block ×4, first 2 shown]
.LBB2074_505:
	s_or_b32 exec_lo, exec_lo, s4
	buffer_load_ubyte v2, off, s[0:3], 0 offset:284
	v_mov_b32_e32 v8, 0
	v_and_b32_e32 v3, 1, v3
	s_mov_b32 s5, exec_lo
	v_cmp_ne_u16_sdwa s4, v1, v8 src0_sel:BYTE_0 src1_sel:DWORD
	v_cmp_eq_u32_e32 vcc_lo, 1, v3
	v_mov_b32_e32 v3, s19
	s_or_b32 s4, s4, vcc_lo
	v_cndmask_b32_e64 v1, 0, 1, s4
	s_waitcnt vmcnt(4)
	buffer_store_dword v4, off, s[0:3], 0
	s_waitcnt vmcnt(3)
	buffer_store_dword v5, off, s[0:3], 0 offset:4
	s_waitcnt vmcnt(2)
	buffer_store_dword v6, off, s[0:3], 0 offset:8
	s_waitcnt vmcnt(1)
	buffer_store_dword v7, off, s[0:3], 0 offset:12
	buffer_store_dword v7, v3, s[0:3], 0 offen offset:12
	buffer_store_dword v6, v3, s[0:3], 0 offen offset:8
	;; [unrolled: 1-line block ×3, first 2 shown]
	buffer_store_dword v4, v3, s[0:3], 0 offen
	buffer_store_byte v1, off, s[0:3], 0 offset:264
                                        ; implicit-def: $vgpr6
                                        ; implicit-def: $vgpr3
                                        ; implicit-def: $vgpr4
                                        ; implicit-def: $vgpr5
	s_waitcnt vmcnt(0)
	v_cmpx_ne_u16_e32 0, v2
	s_xor_b32 s5, exec_lo, s5
	s_cbranch_execz .LBB2074_507
; %bb.506:
	s_clause 0x3
	buffer_load_dword v3, off, s[0:3], 0 offset:268
	buffer_load_dword v4, off, s[0:3], 0 offset:272
	buffer_load_dword v5, off, s[0:3], 0 offset:276
	buffer_load_dword v6, off, s[0:3], 0 offset:280
.LBB2074_507:
	s_andn2_saveexec_b32 s5, s5
	s_cbranch_execz .LBB2074_513
; %bb.508:
	v_mov_b32_e32 v1, 0
	s_mov_b32 s7, 0
.LBB2074_509:                           ; =>This Inner Loop Header: Depth=1
	s_waitcnt vmcnt(3)
	v_add_nc_u32_e64 v3, 0xb0, s7
	s_add_i32 s7, s7, 4
	s_cmp_lg_u32 s7, 16
	buffer_store_dword v1, v3, s[0:3], 0 offen
	s_cbranch_scc1 .LBB2074_509
; %bb.510:
	s_mov_b32 s7, 0
	.p2align	6
.LBB2074_511:                           ; =>This Inner Loop Header: Depth=1
	v_mov_b32_e32 v1, s7
	v_add_nc_u32_e64 v3, 0xd0, s7
	s_waitcnt vmcnt(2)
	v_add_nc_u32_e64 v4, 0xb0, s7
	s_add_i32 s7, s7, 4
	s_clause 0x1
	buffer_load_dword v1, v1, s[0:3], 0 offen
	buffer_load_dword v3, v3, s[0:3], 0 offen offset:60
	s_cmp_lg_u32 s7, 16
	s_waitcnt vmcnt(0)
	v_add_nc_u32_e32 v1, v3, v1
	buffer_store_dword v1, v4, s[0:3], 0 offen
	s_cbranch_scc1 .LBB2074_511
; %bb.512:
	s_clause 0x3
	buffer_load_dword v3, off, s[0:3], 0 offset:176
	buffer_load_dword v4, off, s[0:3], 0 offset:180
	;; [unrolled: 1-line block ×4, first 2 shown]
.LBB2074_513:
	s_or_b32 exec_lo, exec_lo, s5
	buffer_load_ubyte v1, off, s[0:3], 0 offset:304
	v_and_b32_e32 v2, 1, v2
	s_mov_b32 s5, exec_lo
	v_mov_b32_e32 v7, s33
	v_cmp_eq_u32_e32 vcc_lo, 1, v2
	s_or_b32 s4, vcc_lo, s4
	v_cndmask_b32_e64 v2, 0, 1, s4
	s_waitcnt vmcnt(4)
	buffer_store_dword v3, off, s[0:3], 0
	s_waitcnt vmcnt(3)
	buffer_store_dword v4, off, s[0:3], 0 offset:4
	s_waitcnt vmcnt(2)
	buffer_store_dword v5, off, s[0:3], 0 offset:8
	;; [unrolled: 2-line block ×3, first 2 shown]
	buffer_store_dword v6, v7, s[0:3], 0 offen offset:12
	buffer_store_dword v5, v7, s[0:3], 0 offen offset:8
	;; [unrolled: 1-line block ×3, first 2 shown]
	buffer_store_dword v3, v7, s[0:3], 0 offen
	buffer_store_byte v2, off, s[0:3], 0 offset:284
                                        ; implicit-def: $vgpr4
                                        ; implicit-def: $vgpr2
                                        ; implicit-def: $vgpr3
                                        ; implicit-def: $vgpr5
	s_waitcnt vmcnt(0)
	v_cmpx_ne_u16_e32 0, v1
	s_xor_b32 s5, exec_lo, s5
	s_cbranch_execz .LBB2074_515
; %bb.514:
	s_clause 0x3
	buffer_load_dword v2, off, s[0:3], 0 offset:288
	buffer_load_dword v3, off, s[0:3], 0 offset:292
	;; [unrolled: 1-line block ×4, first 2 shown]
.LBB2074_515:
	s_andn2_saveexec_b32 s5, s5
	s_cbranch_execz .LBB2074_521
; %bb.516:
	s_waitcnt vmcnt(3)
	v_mov_b32_e32 v2, 0
	s_mov_b32 s7, 0
.LBB2074_517:                           ; =>This Inner Loop Header: Depth=1
	s_waitcnt vmcnt(2)
	v_add_nc_u32_e64 v3, 0xb0, s7
	s_add_i32 s7, s7, 4
	s_cmp_lg_u32 s7, 16
	buffer_store_dword v2, v3, s[0:3], 0 offen
	s_cbranch_scc1 .LBB2074_517
; %bb.518:
	s_mov_b32 s7, 0
	.p2align	6
.LBB2074_519:                           ; =>This Inner Loop Header: Depth=1
	v_mov_b32_e32 v2, s7
	v_add_nc_u32_e64 v3, 0xd0, s7
	s_waitcnt vmcnt(0)
	v_add_nc_u32_e64 v4, 0xb0, s7
	s_add_i32 s7, s7, 4
	s_clause 0x1
	buffer_load_dword v2, v2, s[0:3], 0 offen
	buffer_load_dword v3, v3, s[0:3], 0 offen offset:80
	s_cmp_lg_u32 s7, 16
	s_waitcnt vmcnt(0)
	v_add_nc_u32_e32 v2, v3, v2
	buffer_store_dword v2, v4, s[0:3], 0 offen
	s_cbranch_scc1 .LBB2074_519
; %bb.520:
	s_clause 0x3
	buffer_load_dword v2, off, s[0:3], 0 offset:176
	buffer_load_dword v3, off, s[0:3], 0 offset:180
	;; [unrolled: 1-line block ×4, first 2 shown]
.LBB2074_521:
	s_or_b32 exec_lo, exec_lo, s5
	v_mov_b32_e32 v6, 0
	v_and_b32_e32 v1, 1, v1
	ds_read2_b32 v[10:11], v6 offset0:37 offset1:38
	ds_read_u8 v7, v6 offset:156
	ds_read2_b32 v[12:13], v6 offset0:35 offset1:36
	v_cmp_eq_u32_e32 vcc_lo, 1, v1
	v_mov_b32_e32 v1, s44
	s_or_b32 s4, vcc_lo, s4
	v_cndmask_b32_e64 v8, 0, 1, s4
	s_waitcnt vmcnt(0)
	buffer_store_dword v4, v1, s[0:3], 0 offen offset:12
	buffer_store_dword v5, v1, s[0:3], 0 offen offset:8
	;; [unrolled: 1-line block ×3, first 2 shown]
	buffer_store_dword v2, v1, s[0:3], 0 offen
	buffer_store_byte v8, off, s[0:3], 0 offset:304
	s_waitcnt lgkmcnt(2)
	buffer_store_dword v11, off, s[0:3], 0 offset:168
	buffer_store_dword v10, off, s[0:3], 0 offset:164
	s_waitcnt lgkmcnt(0)
	buffer_store_dword v13, off, s[0:3], 0 offset:160
	buffer_store_dword v12, off, s[0:3], 0 offset:156
	buffer_store_byte v7, off, s[0:3], 0 offset:172
	s_and_saveexec_b32 s4, s6
	s_cbranch_execz .LBB2074_523
; %bb.522:
	s_clause 0x3
	buffer_load_dword v1, off, s[0:3], 0 offset:156
	buffer_load_dword v2, off, s[0:3], 0 offset:160
	;; [unrolled: 1-line block ×4, first 2 shown]
	v_mov_b32_e32 v5, 2
	global_store_byte v6, v7, s[14:15] offset:656
	s_waitcnt vmcnt(0)
	global_store_dwordx4 v6, v[1:4], s[14:15] offset:640
	s_waitcnt_vscnt null, 0x0
	buffer_gl1_inv
	buffer_gl0_inv
	global_store_byte v6, v5, s[16:17] offset:32
.LBB2074_523:
	s_or_b32 exec_lo, exec_lo, s4
.LBB2074_524:
	v_mov_b32_e32 v1, 0
	s_mov_b32 s4, 0
.LBB2074_525:                           ; =>This Inner Loop Header: Depth=1
	v_mov_b32_e32 v2, s4
	s_add_i32 s4, s4, 4
	s_cmp_lg_u32 s4, 16
	buffer_store_dword v1, v2, s[0:3], 0 offen
	s_cbranch_scc1 .LBB2074_525
; %bb.526:
	v_mov_b32_e32 v1, 0
	s_mov_b32 s4, 16
.LBB2074_527:                           ; =>This Inner Loop Header: Depth=1
	v_mov_b32_e32 v2, s4
	s_add_i32 s4, s4, 4
	s_cmp_lg_u32 s4, 32
	buffer_store_dword v1, v2, s[0:3], 0 offen
	s_cbranch_scc1 .LBB2074_527
; %bb.528:
	;; [unrolled: 9-line block ×4, first 2 shown]
	v_mov_b32_e32 v1, 0
	s_mov_b32 s4, 64
.LBB2074_533:                           ; =>This Inner Loop Header: Depth=1
	v_mov_b32_e32 v2, s4
	s_add_i32 s4, s4, 4
	s_cmpk_lg_i32 s4, 0x50
	buffer_store_dword v1, v2, s[0:3], 0 offen
	s_cbranch_scc1 .LBB2074_533
; %bb.534:
	s_add_u32 s5, s26, s20
	s_addc_u32 s6, s27, s21
	s_add_u32 s5, s5, s22
	s_mov_b32 s4, 64
	s_mov_b32 s7, 48
	;; [unrolled: 1-line block ×4, first 2 shown]
	s_addc_u32 s6, s6, s23
	s_and_b32 vcc_lo, exec_lo, s37
	s_cbranch_vccz .LBB2074_550
; %bb.535:
	v_mul_u32_u24_e32 v1, 5, v0
	s_add_i32 s36, s36, s18
	s_mov_b32 s10, exec_lo
	v_cmpx_gt_u32_e64 s36, v1
	s_cbranch_execz .LBB2074_541
; %bb.536:
	s_clause 0x3
	buffer_load_dword v2, off, s[0:3], 0 offset:220
	buffer_load_dword v3, off, s[0:3], 0 offset:216
	;; [unrolled: 1-line block ×4, first 2 shown]
	v_add_nc_u32_e32 v6, 1, v1
	s_waitcnt vmcnt(3)
	buffer_store_dword v2, off, s[0:3], 0 offset:12
	s_waitcnt vmcnt(2)
	buffer_store_dword v3, off, s[0:3], 0 offset:8
	;; [unrolled: 2-line block ×3, first 2 shown]
	s_waitcnt vmcnt(0)
	buffer_store_dword v5, off, s[0:3], 0
	v_cmp_gt_u32_e32 vcc_lo, s36, v6
	s_and_b32 exec_lo, exec_lo, vcc_lo
	s_cbranch_execz .LBB2074_541
; %bb.537:
	v_mov_b32_e32 v2, s11
	v_add_nc_u32_e32 v6, 2, v1
	v_mov_b32_e32 v7, s9
	s_clause 0x3
	buffer_load_dword v3, v2, s[0:3], 0 offen offset:12
	buffer_load_dword v4, v2, s[0:3], 0 offen offset:8
	buffer_load_dword v5, v2, s[0:3], 0 offen offset:4
	buffer_load_dword v2, v2, s[0:3], 0 offen
	v_cmp_gt_u32_e32 vcc_lo, s36, v6
	s_waitcnt vmcnt(3)
	buffer_store_dword v3, v7, s[0:3], 0 offen offset:12
	s_waitcnt vmcnt(2)
	buffer_store_dword v4, v7, s[0:3], 0 offen offset:8
	s_waitcnt vmcnt(1)
	buffer_store_dword v5, v7, s[0:3], 0 offen offset:4
	s_waitcnt vmcnt(0)
	buffer_store_dword v2, v7, s[0:3], 0 offen
	s_and_b32 exec_lo, exec_lo, vcc_lo
	s_cbranch_execz .LBB2074_541
; %bb.538:
	v_mov_b32_e32 v2, s19
	v_add_nc_u32_e32 v6, 3, v1
	v_mov_b32_e32 v7, s8
	s_clause 0x3
	buffer_load_dword v3, v2, s[0:3], 0 offen offset:12
	buffer_load_dword v4, v2, s[0:3], 0 offen offset:8
	buffer_load_dword v5, v2, s[0:3], 0 offen offset:4
	buffer_load_dword v2, v2, s[0:3], 0 offen
	v_cmp_gt_u32_e32 vcc_lo, s36, v6
	s_waitcnt vmcnt(3)
	buffer_store_dword v3, v7, s[0:3], 0 offen offset:12
	s_waitcnt vmcnt(2)
	buffer_store_dword v4, v7, s[0:3], 0 offen offset:8
	s_waitcnt vmcnt(1)
	buffer_store_dword v5, v7, s[0:3], 0 offen offset:4
	s_waitcnt vmcnt(0)
	buffer_store_dword v2, v7, s[0:3], 0 offen
	;; [unrolled: 20-line block ×3, first 2 shown]
	s_and_b32 exec_lo, exec_lo, vcc_lo
	s_cbranch_execz .LBB2074_541
; %bb.540:
	v_mov_b32_e32 v2, s44
	v_mov_b32_e32 v6, s4
	s_clause 0x3
	buffer_load_dword v3, v2, s[0:3], 0 offen offset:12
	buffer_load_dword v4, v2, s[0:3], 0 offen offset:8
	;; [unrolled: 1-line block ×3, first 2 shown]
	buffer_load_dword v2, v2, s[0:3], 0 offen
	s_waitcnt vmcnt(3)
	buffer_store_dword v3, v6, s[0:3], 0 offen offset:12
	s_waitcnt vmcnt(2)
	buffer_store_dword v4, v6, s[0:3], 0 offen offset:8
	s_waitcnt vmcnt(1)
	buffer_store_dword v5, v6, s[0:3], 0 offen offset:4
	s_waitcnt vmcnt(0)
	buffer_store_dword v2, v6, s[0:3], 0 offen
.LBB2074_541:
	s_or_b32 exec_lo, exec_lo, s10
	v_mov_b32_e32 v26, s8
	v_mov_b32_e32 v8, s9
	v_mov_b32_e32 v27, s7
	s_waitcnt_vscnt null, 0x0
	s_barrier
	buffer_gl0_inv
	s_clause 0x7
	buffer_load_dword v4, off, s[0:3], 0
	buffer_load_dword v5, off, s[0:3], 0 offset:4
	buffer_load_dword v6, off, s[0:3], 0 offset:8
	;; [unrolled: 1-line block ×3, first 2 shown]
	buffer_load_dword v10, v8, s[0:3], 0 offen
	buffer_load_dword v11, v8, s[0:3], 0 offen offset:4
	buffer_load_dword v12, v8, s[0:3], 0 offen offset:8
	buffer_load_dword v13, v8, s[0:3], 0 offen offset:12
	v_mov_b32_e32 v28, s4
	s_clause 0xb
	buffer_load_dword v14, v26, s[0:3], 0 offen
	buffer_load_dword v15, v26, s[0:3], 0 offen offset:4
	buffer_load_dword v16, v26, s[0:3], 0 offen offset:8
	buffer_load_dword v17, v26, s[0:3], 0 offen offset:12
	buffer_load_dword v18, v27, s[0:3], 0 offen
	buffer_load_dword v19, v27, s[0:3], 0 offen offset:4
	buffer_load_dword v20, v27, s[0:3], 0 offen offset:8
	buffer_load_dword v21, v27, s[0:3], 0 offen offset:12
	buffer_load_dword v22, v28, s[0:3], 0 offen
	buffer_load_dword v23, v28, s[0:3], 0 offen offset:4
	buffer_load_dword v24, v28, s[0:3], 0 offen offset:8
	buffer_load_dword v25, v28, s[0:3], 0 offen offset:12
	v_lshlrev_b32_e32 v1, 4, v1
	v_lshlrev_b32_e32 v2, 6, v0
	s_waitcnt vmcnt(16)
	ds_write_b128 v1, v[4:7]
	s_waitcnt vmcnt(12)
	ds_write_b128 v1, v[10:13] offset:16
	s_waitcnt vmcnt(8)
	ds_write_b128 v1, v[14:17] offset:32
	;; [unrolled: 2-line block ×4, first 2 shown]
	v_sub_nc_u32_e32 v3, v1, v2
	s_waitcnt lgkmcnt(0)
	s_barrier
	buffer_gl0_inv
	ds_read_b128 v[4:7], v3 offset:4096
	ds_read_b128 v[10:13], v3 offset:8192
	ds_read_b128 v[14:17], v3 offset:12288
	ds_read_b128 v[18:21], v3 offset:16384
	v_add_co_u32 v1, s10, s5, v9
	v_add_co_ci_u32_e64 v2, null, s6, 0, s10
	s_mov_b32 s10, exec_lo
	s_waitcnt lgkmcnt(3)
	buffer_store_dword v7, v8, s[0:3], 0 offen offset:12
	buffer_store_dword v6, v8, s[0:3], 0 offen offset:8
	buffer_store_dword v5, v8, s[0:3], 0 offen offset:4
	buffer_store_dword v4, v8, s[0:3], 0 offen
	s_waitcnt lgkmcnt(2)
	buffer_store_dword v13, v26, s[0:3], 0 offen offset:12
	buffer_store_dword v12, v26, s[0:3], 0 offen offset:8
	buffer_store_dword v11, v26, s[0:3], 0 offen offset:4
	buffer_store_dword v10, v26, s[0:3], 0 offen
	;; [unrolled: 5-line block ×4, first 2 shown]
	v_cmpx_gt_u32_e64 s36, v0
	s_cbranch_execz .LBB2074_543
; %bb.542:
	ds_read2_b32 v[5:6], v3 offset0:2 offset1:3
	ds_read2_b32 v[3:4], v3 offset1:1
	s_waitcnt lgkmcnt(0)
	flat_store_dwordx4 v[1:2], v[3:6]
.LBB2074_543:
	s_or_b32 exec_lo, exec_lo, s10
	v_or_b32_e32 v3, 0x100, v0
	s_mov_b32 s10, exec_lo
	v_cmpx_gt_u32_e64 s36, v3
	s_cbranch_execz .LBB2074_545
; %bb.544:
	v_mov_b32_e32 v6, s9
	v_add_co_u32 v7, vcc_lo, 0x1000, v1
	v_add_co_ci_u32_e64 v8, null, 0, v2, vcc_lo
	s_clause 0x3
	buffer_load_dword v3, v6, s[0:3], 0 offen
	buffer_load_dword v4, v6, s[0:3], 0 offen offset:4
	buffer_load_dword v5, v6, s[0:3], 0 offen offset:8
	buffer_load_dword v6, v6, s[0:3], 0 offen offset:12
	s_waitcnt vmcnt(0)
	flat_store_dwordx4 v[7:8], v[3:6]
.LBB2074_545:
	s_or_b32 exec_lo, exec_lo, s10
	v_or_b32_e32 v3, 0x200, v0
	s_mov_b32 s10, exec_lo
	v_cmpx_gt_u32_e64 s36, v3
	s_cbranch_execz .LBB2074_547
; %bb.546:
	v_mov_b32_e32 v6, s8
	v_add_co_u32 v7, vcc_lo, 0x2000, v1
	v_add_co_ci_u32_e64 v8, null, 0, v2, vcc_lo
	s_clause 0x3
	buffer_load_dword v3, v6, s[0:3], 0 offen
	buffer_load_dword v4, v6, s[0:3], 0 offen offset:4
	buffer_load_dword v5, v6, s[0:3], 0 offen offset:8
	buffer_load_dword v6, v6, s[0:3], 0 offen offset:12
	s_waitcnt vmcnt(0)
	flat_store_dwordx4 v[7:8], v[3:6]
.LBB2074_547:
	;; [unrolled: 17-line block ×3, first 2 shown]
	s_or_b32 exec_lo, exec_lo, s10
	v_or_b32_e32 v1, 0x400, v0
	v_cmp_gt_u32_e64 s10, s36, v1
	s_branch .LBB2074_552
.LBB2074_550:
	s_mov_b32 s10, 0
	s_cbranch_execz .LBB2074_552
; %bb.551:
	v_mov_b32_e32 v2, s19
	v_mov_b32_e32 v1, s11
	;; [unrolled: 1-line block ×4, first 2 shown]
	s_clause 0x13
	buffer_load_dword v3, off, s[0:3], 0 offset:208
	buffer_load_dword v4, off, s[0:3], 0 offset:212
	;; [unrolled: 1-line block ×4, first 2 shown]
	buffer_load_dword v7, v1, s[0:3], 0 offen
	buffer_load_dword v8, v1, s[0:3], 0 offen offset:4
	buffer_load_dword v10, v1, s[0:3], 0 offen offset:12
	;; [unrolled: 1-line block ×6, first 2 shown]
	buffer_load_dword v2, v2, s[0:3], 0 offen
	buffer_load_dword v16, v11, s[0:3], 0 offen offset:12
	buffer_load_dword v17, v11, s[0:3], 0 offen offset:8
	;; [unrolled: 1-line block ×3, first 2 shown]
	buffer_load_dword v11, v11, s[0:3], 0 offen
	buffer_load_dword v19, v12, s[0:3], 0 offen offset:12
	buffer_load_dword v20, v12, s[0:3], 0 offen offset:8
	buffer_load_dword v21, v12, s[0:3], 0 offen offset:4
	buffer_load_dword v12, v12, s[0:3], 0 offen
	v_mov_b32_e32 v27, s9
	v_mov_b32_e32 v28, s8
	;; [unrolled: 1-line block ×4, first 2 shown]
	v_mul_u32_u24_e32 v22, 0x50, v0
	v_lshlrev_b32_e32 v23, 6, v0
	s_or_b32 s10, s10, exec_lo
	s_waitcnt vmcnt(17)
	buffer_store_dword v5, off, s[0:3], 0 offset:12
	s_waitcnt vmcnt(16)
	buffer_store_dword v6, off, s[0:3], 0 offset:8
	buffer_store_dword v4, off, s[0:3], 0 offset:4
	buffer_store_dword v3, off, s[0:3], 0
	s_waitcnt vmcnt(13)
	buffer_store_dword v10, v27, s[0:3], 0 offen offset:12
	s_waitcnt vmcnt(12)
	buffer_store_dword v1, v27, s[0:3], 0 offen offset:8
	buffer_store_dword v8, v27, s[0:3], 0 offen offset:4
	buffer_store_dword v7, v27, s[0:3], 0 offen
	s_waitcnt vmcnt(11)
	buffer_store_dword v13, v28, s[0:3], 0 offen offset:12
	s_waitcnt vmcnt(10)
	buffer_store_dword v14, v28, s[0:3], 0 offen offset:8
	s_waitcnt vmcnt(9)
	buffer_store_dword v15, v28, s[0:3], 0 offen offset:4
	s_waitcnt vmcnt(8)
	buffer_store_dword v2, v28, s[0:3], 0 offen
	s_waitcnt vmcnt(7)
	buffer_store_dword v16, v29, s[0:3], 0 offen offset:12
	s_waitcnt vmcnt(6)
	buffer_store_dword v17, v29, s[0:3], 0 offen offset:8
	s_waitcnt vmcnt(5)
	buffer_store_dword v18, v29, s[0:3], 0 offen offset:4
	s_waitcnt vmcnt(4)
	;; [unrolled: 8-line block ×3, first 2 shown]
	buffer_store_dword v12, v30, s[0:3], 0 offen
	s_waitcnt lgkmcnt(0)
	s_waitcnt_vscnt null, 0x0
	s_barrier
	buffer_gl0_inv
	s_clause 0x13
	buffer_load_dword v1, off, s[0:3], 0
	buffer_load_dword v2, off, s[0:3], 0 offset:4
	buffer_load_dword v3, off, s[0:3], 0 offset:8
	;; [unrolled: 1-line block ×3, first 2 shown]
	buffer_load_dword v5, v27, s[0:3], 0 offen
	buffer_load_dword v6, v27, s[0:3], 0 offen offset:4
	buffer_load_dword v7, v27, s[0:3], 0 offen offset:8
	buffer_load_dword v8, v27, s[0:3], 0 offen offset:12
	buffer_load_dword v10, v28, s[0:3], 0 offen
	buffer_load_dword v11, v28, s[0:3], 0 offen offset:4
	buffer_load_dword v12, v28, s[0:3], 0 offen offset:8
	buffer_load_dword v13, v28, s[0:3], 0 offen offset:12
	;; [unrolled: 4-line block ×4, first 2 shown]
	v_sub_nc_u32_e32 v25, v22, v23
	s_waitcnt vmcnt(16)
	ds_write_b128 v22, v[1:4]
	s_waitcnt vmcnt(12)
	ds_write_b128 v22, v[5:8] offset:16
	s_waitcnt vmcnt(8)
	ds_write_b128 v22, v[10:13] offset:32
	;; [unrolled: 2-line block ×4, first 2 shown]
	s_waitcnt lgkmcnt(0)
	s_barrier
	buffer_gl0_inv
	ds_read_b128 v[1:4], v25 offset:4096
	ds_read_b128 v[5:8], v25 offset:8192
	v_add_co_u32 v21, s7, s5, v9
	ds_read_b128 v[9:12], v25 offset:12288
	ds_read_b128 v[13:16], v25 offset:16384
	ds_read2_b32 v[19:20], v25 offset0:2 offset1:3
	ds_read2_b32 v[17:18], v25 offset1:1
	v_add_co_ci_u32_e64 v22, null, s6, 0, s7
	v_add_co_u32 v23, vcc_lo, 0x1000, v21
	s_waitcnt lgkmcnt(5)
	buffer_store_dword v4, v27, s[0:3], 0 offen offset:12
	buffer_store_dword v3, v27, s[0:3], 0 offen offset:8
	buffer_store_dword v2, v27, s[0:3], 0 offen offset:4
	buffer_store_dword v1, v27, s[0:3], 0 offen
	s_waitcnt lgkmcnt(4)
	buffer_store_dword v8, v28, s[0:3], 0 offen offset:12
	buffer_store_dword v7, v28, s[0:3], 0 offen offset:8
	buffer_store_dword v6, v28, s[0:3], 0 offen offset:4
	buffer_store_dword v5, v28, s[0:3], 0 offen
	;; [unrolled: 5-line block ×4, first 2 shown]
	v_add_co_ci_u32_e64 v24, null, 0, v22, vcc_lo
	v_add_co_u32 v25, vcc_lo, 0x2000, v21
	v_add_co_ci_u32_e64 v26, null, 0, v22, vcc_lo
	s_waitcnt lgkmcnt(0)
	flat_store_dwordx4 v[21:22], v[17:20]
	flat_store_dwordx4 v[23:24], v[1:4]
	;; [unrolled: 1-line block ×3, first 2 shown]
	s_clause 0x3
	buffer_load_dword v1, v29, s[0:3], 0 offen
	buffer_load_dword v2, v29, s[0:3], 0 offen offset:4
	buffer_load_dword v3, v29, s[0:3], 0 offen offset:8
	;; [unrolled: 1-line block ×3, first 2 shown]
	v_add_co_u32 v5, vcc_lo, 0x3000, v21
	v_add_co_ci_u32_e64 v6, null, 0, v22, vcc_lo
	s_waitcnt vmcnt(0)
	flat_store_dwordx4 v[5:6], v[1:4]
.LBB2074_552:
	s_and_saveexec_b32 s7, s10
	s_cbranch_execnz .LBB2074_554
; %bb.553:
	s_endpgm
.LBB2074_554:
	v_mov_b32_e32 v4, s4
	v_lshlrev_b32_e32 v0, 4, v0
	s_clause 0x3
	buffer_load_dword v1, v4, s[0:3], 0 offen
	buffer_load_dword v2, v4, s[0:3], 0 offen offset:4
	buffer_load_dword v3, v4, s[0:3], 0 offen offset:8
	;; [unrolled: 1-line block ×3, first 2 shown]
	v_add_co_u32 v0, s4, s5, v0
	v_add_co_ci_u32_e64 v6, null, s6, 0, s4
	v_add_co_u32 v5, vcc_lo, 0x4000, v0
	v_add_co_ci_u32_e64 v6, null, 0, v6, vcc_lo
	s_waitcnt vmcnt(0)
	flat_store_dwordx4 v[5:6], v[1:4]
	s_endpgm
.LBB2074_555:
	v_add_co_u32 v12, s4, s40, v12
	v_add_co_ci_u32_e64 v13, null, s41, 0, s4
	flat_load_dwordx4 v[12:15], v[12:13]
	s_waitcnt vmcnt(0) lgkmcnt(0)
	buffer_store_dword v12, off, s[0:3], 0
	buffer_store_dword v13, off, s[0:3], 0 offset:4
	buffer_store_dword v14, off, s[0:3], 0 offset:8
	;; [unrolled: 1-line block ×3, first 2 shown]
	s_or_b32 exec_lo, exec_lo, s34
	s_and_saveexec_b32 s4, s5
	s_cbranch_execz .LBB2074_43
.LBB2074_556:
	v_lshlrev_b32_e32 v7, 4, v7
	v_add_co_u32 v12, s5, s40, v7
	v_add_co_ci_u32_e64 v13, null, s41, 0, s5
	flat_load_dwordx4 v[12:15], v[12:13]
	s_waitcnt vmcnt(0) lgkmcnt(0)
	buffer_store_dword v12, off, s[0:3], 0 offset:16
	buffer_store_dword v13, off, s[0:3], 0 offset:20
	buffer_store_dword v14, off, s[0:3], 0 offset:24
	buffer_store_dword v15, off, s[0:3], 0 offset:28
	s_or_b32 exec_lo, exec_lo, s4
	s_and_saveexec_b32 s4, s8
	s_cbranch_execz .LBB2074_44
.LBB2074_557:
	v_lshlrev_b32_e32 v7, 4, v8
	v_add_co_u32 v7, s5, s40, v7
	v_add_co_ci_u32_e64 v8, null, s41, 0, s5
	flat_load_dwordx4 v[12:15], v[7:8]
	s_waitcnt vmcnt(0) lgkmcnt(0)
	buffer_store_dword v12, off, s[0:3], 0 offset:32
	buffer_store_dword v13, off, s[0:3], 0 offset:36
	;; [unrolled: 1-line block ×4, first 2 shown]
	s_or_b32 exec_lo, exec_lo, s4
	s_and_saveexec_b32 s4, s9
	s_cbranch_execz .LBB2074_45
.LBB2074_558:
	v_lshlrev_b32_e32 v7, 4, v9
	v_add_co_u32 v7, s5, s40, v7
	v_add_co_ci_u32_e64 v8, null, s41, 0, s5
	flat_load_dwordx4 v[12:15], v[7:8]
	s_waitcnt vmcnt(0) lgkmcnt(0)
	buffer_store_dword v12, off, s[0:3], 0 offset:48
	buffer_store_dword v13, off, s[0:3], 0 offset:52
	;; [unrolled: 1-line block ×4, first 2 shown]
	s_or_b32 exec_lo, exec_lo, s4
	s_and_saveexec_b32 s4, s10
	s_cbranch_execnz .LBB2074_46
	s_branch .LBB2074_47
.LBB2074_559:
                                        ; implicit-def: $sgpr34_sgpr35
	s_branch .LBB2074_38
.LBB2074_560:
                                        ; implicit-def: $sgpr4_sgpr5
	s_branch .LBB2074_60
	.section	.rodata,"a",@progbits
	.p2align	6, 0x0
	.amdhsa_kernel _ZN7rocprim17ROCPRIM_400000_NS6detail17trampoline_kernelINS0_14default_configENS1_27scan_by_key_config_selectorIj11FixedVectorIiLj4EEEEZZNS1_16scan_by_key_implILNS1_25lookback_scan_determinismE0ELb0ES3_N6thrust23THRUST_200600_302600_NS6detail15normal_iteratorINSB_10device_ptrIjEEEENSD_INSE_IS6_EEEESI_S6_NSB_4plusIvEENSB_8equal_toIvEES6_EE10hipError_tPvRmT2_T3_T4_T5_mT6_T7_P12ihipStream_tbENKUlT_T0_E_clISt17integral_constantIbLb0EES12_IbLb1EEEEDaSY_SZ_EUlSY_E_NS1_11comp_targetILNS1_3genE8ELNS1_11target_archE1030ELNS1_3gpuE2ELNS1_3repE0EEENS1_30default_config_static_selectorELNS0_4arch9wavefront6targetE0EEEvT1_
		.amdhsa_group_segment_fixed_size 20480
		.amdhsa_private_segment_fixed_size 320
		.amdhsa_kernarg_size 144
		.amdhsa_user_sgpr_count 6
		.amdhsa_user_sgpr_private_segment_buffer 1
		.amdhsa_user_sgpr_dispatch_ptr 0
		.amdhsa_user_sgpr_queue_ptr 0
		.amdhsa_user_sgpr_kernarg_segment_ptr 1
		.amdhsa_user_sgpr_dispatch_id 0
		.amdhsa_user_sgpr_flat_scratch_init 0
		.amdhsa_user_sgpr_private_segment_size 0
		.amdhsa_wavefront_size32 1
		.amdhsa_uses_dynamic_stack 0
		.amdhsa_system_sgpr_private_segment_wavefront_offset 1
		.amdhsa_system_sgpr_workgroup_id_x 1
		.amdhsa_system_sgpr_workgroup_id_y 0
		.amdhsa_system_sgpr_workgroup_id_z 0
		.amdhsa_system_sgpr_workgroup_info 0
		.amdhsa_system_vgpr_workitem_id 0
		.amdhsa_next_free_vgpr 65
		.amdhsa_next_free_sgpr 52
		.amdhsa_reserve_vcc 1
		.amdhsa_reserve_flat_scratch 1
		.amdhsa_float_round_mode_32 0
		.amdhsa_float_round_mode_16_64 0
		.amdhsa_float_denorm_mode_32 3
		.amdhsa_float_denorm_mode_16_64 3
		.amdhsa_dx10_clamp 1
		.amdhsa_ieee_mode 1
		.amdhsa_fp16_overflow 0
		.amdhsa_workgroup_processor_mode 1
		.amdhsa_memory_ordered 1
		.amdhsa_forward_progress 1
		.amdhsa_shared_vgpr_count 0
		.amdhsa_exception_fp_ieee_invalid_op 0
		.amdhsa_exception_fp_denorm_src 0
		.amdhsa_exception_fp_ieee_div_zero 0
		.amdhsa_exception_fp_ieee_overflow 0
		.amdhsa_exception_fp_ieee_underflow 0
		.amdhsa_exception_fp_ieee_inexact 0
		.amdhsa_exception_int_div_zero 0
	.end_amdhsa_kernel
	.section	.text._ZN7rocprim17ROCPRIM_400000_NS6detail17trampoline_kernelINS0_14default_configENS1_27scan_by_key_config_selectorIj11FixedVectorIiLj4EEEEZZNS1_16scan_by_key_implILNS1_25lookback_scan_determinismE0ELb0ES3_N6thrust23THRUST_200600_302600_NS6detail15normal_iteratorINSB_10device_ptrIjEEEENSD_INSE_IS6_EEEESI_S6_NSB_4plusIvEENSB_8equal_toIvEES6_EE10hipError_tPvRmT2_T3_T4_T5_mT6_T7_P12ihipStream_tbENKUlT_T0_E_clISt17integral_constantIbLb0EES12_IbLb1EEEEDaSY_SZ_EUlSY_E_NS1_11comp_targetILNS1_3genE8ELNS1_11target_archE1030ELNS1_3gpuE2ELNS1_3repE0EEENS1_30default_config_static_selectorELNS0_4arch9wavefront6targetE0EEEvT1_,"axG",@progbits,_ZN7rocprim17ROCPRIM_400000_NS6detail17trampoline_kernelINS0_14default_configENS1_27scan_by_key_config_selectorIj11FixedVectorIiLj4EEEEZZNS1_16scan_by_key_implILNS1_25lookback_scan_determinismE0ELb0ES3_N6thrust23THRUST_200600_302600_NS6detail15normal_iteratorINSB_10device_ptrIjEEEENSD_INSE_IS6_EEEESI_S6_NSB_4plusIvEENSB_8equal_toIvEES6_EE10hipError_tPvRmT2_T3_T4_T5_mT6_T7_P12ihipStream_tbENKUlT_T0_E_clISt17integral_constantIbLb0EES12_IbLb1EEEEDaSY_SZ_EUlSY_E_NS1_11comp_targetILNS1_3genE8ELNS1_11target_archE1030ELNS1_3gpuE2ELNS1_3repE0EEENS1_30default_config_static_selectorELNS0_4arch9wavefront6targetE0EEEvT1_,comdat
.Lfunc_end2074:
	.size	_ZN7rocprim17ROCPRIM_400000_NS6detail17trampoline_kernelINS0_14default_configENS1_27scan_by_key_config_selectorIj11FixedVectorIiLj4EEEEZZNS1_16scan_by_key_implILNS1_25lookback_scan_determinismE0ELb0ES3_N6thrust23THRUST_200600_302600_NS6detail15normal_iteratorINSB_10device_ptrIjEEEENSD_INSE_IS6_EEEESI_S6_NSB_4plusIvEENSB_8equal_toIvEES6_EE10hipError_tPvRmT2_T3_T4_T5_mT6_T7_P12ihipStream_tbENKUlT_T0_E_clISt17integral_constantIbLb0EES12_IbLb1EEEEDaSY_SZ_EUlSY_E_NS1_11comp_targetILNS1_3genE8ELNS1_11target_archE1030ELNS1_3gpuE2ELNS1_3repE0EEENS1_30default_config_static_selectorELNS0_4arch9wavefront6targetE0EEEvT1_, .Lfunc_end2074-_ZN7rocprim17ROCPRIM_400000_NS6detail17trampoline_kernelINS0_14default_configENS1_27scan_by_key_config_selectorIj11FixedVectorIiLj4EEEEZZNS1_16scan_by_key_implILNS1_25lookback_scan_determinismE0ELb0ES3_N6thrust23THRUST_200600_302600_NS6detail15normal_iteratorINSB_10device_ptrIjEEEENSD_INSE_IS6_EEEESI_S6_NSB_4plusIvEENSB_8equal_toIvEES6_EE10hipError_tPvRmT2_T3_T4_T5_mT6_T7_P12ihipStream_tbENKUlT_T0_E_clISt17integral_constantIbLb0EES12_IbLb1EEEEDaSY_SZ_EUlSY_E_NS1_11comp_targetILNS1_3genE8ELNS1_11target_archE1030ELNS1_3gpuE2ELNS1_3repE0EEENS1_30default_config_static_selectorELNS0_4arch9wavefront6targetE0EEEvT1_
                                        ; -- End function
	.set _ZN7rocprim17ROCPRIM_400000_NS6detail17trampoline_kernelINS0_14default_configENS1_27scan_by_key_config_selectorIj11FixedVectorIiLj4EEEEZZNS1_16scan_by_key_implILNS1_25lookback_scan_determinismE0ELb0ES3_N6thrust23THRUST_200600_302600_NS6detail15normal_iteratorINSB_10device_ptrIjEEEENSD_INSE_IS6_EEEESI_S6_NSB_4plusIvEENSB_8equal_toIvEES6_EE10hipError_tPvRmT2_T3_T4_T5_mT6_T7_P12ihipStream_tbENKUlT_T0_E_clISt17integral_constantIbLb0EES12_IbLb1EEEEDaSY_SZ_EUlSY_E_NS1_11comp_targetILNS1_3genE8ELNS1_11target_archE1030ELNS1_3gpuE2ELNS1_3repE0EEENS1_30default_config_static_selectorELNS0_4arch9wavefront6targetE0EEEvT1_.num_vgpr, 36
	.set _ZN7rocprim17ROCPRIM_400000_NS6detail17trampoline_kernelINS0_14default_configENS1_27scan_by_key_config_selectorIj11FixedVectorIiLj4EEEEZZNS1_16scan_by_key_implILNS1_25lookback_scan_determinismE0ELb0ES3_N6thrust23THRUST_200600_302600_NS6detail15normal_iteratorINSB_10device_ptrIjEEEENSD_INSE_IS6_EEEESI_S6_NSB_4plusIvEENSB_8equal_toIvEES6_EE10hipError_tPvRmT2_T3_T4_T5_mT6_T7_P12ihipStream_tbENKUlT_T0_E_clISt17integral_constantIbLb0EES12_IbLb1EEEEDaSY_SZ_EUlSY_E_NS1_11comp_targetILNS1_3genE8ELNS1_11target_archE1030ELNS1_3gpuE2ELNS1_3repE0EEENS1_30default_config_static_selectorELNS0_4arch9wavefront6targetE0EEEvT1_.num_agpr, 0
	.set _ZN7rocprim17ROCPRIM_400000_NS6detail17trampoline_kernelINS0_14default_configENS1_27scan_by_key_config_selectorIj11FixedVectorIiLj4EEEEZZNS1_16scan_by_key_implILNS1_25lookback_scan_determinismE0ELb0ES3_N6thrust23THRUST_200600_302600_NS6detail15normal_iteratorINSB_10device_ptrIjEEEENSD_INSE_IS6_EEEESI_S6_NSB_4plusIvEENSB_8equal_toIvEES6_EE10hipError_tPvRmT2_T3_T4_T5_mT6_T7_P12ihipStream_tbENKUlT_T0_E_clISt17integral_constantIbLb0EES12_IbLb1EEEEDaSY_SZ_EUlSY_E_NS1_11comp_targetILNS1_3genE8ELNS1_11target_archE1030ELNS1_3gpuE2ELNS1_3repE0EEENS1_30default_config_static_selectorELNS0_4arch9wavefront6targetE0EEEvT1_.numbered_sgpr, 52
	.set _ZN7rocprim17ROCPRIM_400000_NS6detail17trampoline_kernelINS0_14default_configENS1_27scan_by_key_config_selectorIj11FixedVectorIiLj4EEEEZZNS1_16scan_by_key_implILNS1_25lookback_scan_determinismE0ELb0ES3_N6thrust23THRUST_200600_302600_NS6detail15normal_iteratorINSB_10device_ptrIjEEEENSD_INSE_IS6_EEEESI_S6_NSB_4plusIvEENSB_8equal_toIvEES6_EE10hipError_tPvRmT2_T3_T4_T5_mT6_T7_P12ihipStream_tbENKUlT_T0_E_clISt17integral_constantIbLb0EES12_IbLb1EEEEDaSY_SZ_EUlSY_E_NS1_11comp_targetILNS1_3genE8ELNS1_11target_archE1030ELNS1_3gpuE2ELNS1_3repE0EEENS1_30default_config_static_selectorELNS0_4arch9wavefront6targetE0EEEvT1_.num_named_barrier, 0
	.set _ZN7rocprim17ROCPRIM_400000_NS6detail17trampoline_kernelINS0_14default_configENS1_27scan_by_key_config_selectorIj11FixedVectorIiLj4EEEEZZNS1_16scan_by_key_implILNS1_25lookback_scan_determinismE0ELb0ES3_N6thrust23THRUST_200600_302600_NS6detail15normal_iteratorINSB_10device_ptrIjEEEENSD_INSE_IS6_EEEESI_S6_NSB_4plusIvEENSB_8equal_toIvEES6_EE10hipError_tPvRmT2_T3_T4_T5_mT6_T7_P12ihipStream_tbENKUlT_T0_E_clISt17integral_constantIbLb0EES12_IbLb1EEEEDaSY_SZ_EUlSY_E_NS1_11comp_targetILNS1_3genE8ELNS1_11target_archE1030ELNS1_3gpuE2ELNS1_3repE0EEENS1_30default_config_static_selectorELNS0_4arch9wavefront6targetE0EEEvT1_.private_seg_size, 320
	.set _ZN7rocprim17ROCPRIM_400000_NS6detail17trampoline_kernelINS0_14default_configENS1_27scan_by_key_config_selectorIj11FixedVectorIiLj4EEEEZZNS1_16scan_by_key_implILNS1_25lookback_scan_determinismE0ELb0ES3_N6thrust23THRUST_200600_302600_NS6detail15normal_iteratorINSB_10device_ptrIjEEEENSD_INSE_IS6_EEEESI_S6_NSB_4plusIvEENSB_8equal_toIvEES6_EE10hipError_tPvRmT2_T3_T4_T5_mT6_T7_P12ihipStream_tbENKUlT_T0_E_clISt17integral_constantIbLb0EES12_IbLb1EEEEDaSY_SZ_EUlSY_E_NS1_11comp_targetILNS1_3genE8ELNS1_11target_archE1030ELNS1_3gpuE2ELNS1_3repE0EEENS1_30default_config_static_selectorELNS0_4arch9wavefront6targetE0EEEvT1_.uses_vcc, 1
	.set _ZN7rocprim17ROCPRIM_400000_NS6detail17trampoline_kernelINS0_14default_configENS1_27scan_by_key_config_selectorIj11FixedVectorIiLj4EEEEZZNS1_16scan_by_key_implILNS1_25lookback_scan_determinismE0ELb0ES3_N6thrust23THRUST_200600_302600_NS6detail15normal_iteratorINSB_10device_ptrIjEEEENSD_INSE_IS6_EEEESI_S6_NSB_4plusIvEENSB_8equal_toIvEES6_EE10hipError_tPvRmT2_T3_T4_T5_mT6_T7_P12ihipStream_tbENKUlT_T0_E_clISt17integral_constantIbLb0EES12_IbLb1EEEEDaSY_SZ_EUlSY_E_NS1_11comp_targetILNS1_3genE8ELNS1_11target_archE1030ELNS1_3gpuE2ELNS1_3repE0EEENS1_30default_config_static_selectorELNS0_4arch9wavefront6targetE0EEEvT1_.uses_flat_scratch, 1
	.set _ZN7rocprim17ROCPRIM_400000_NS6detail17trampoline_kernelINS0_14default_configENS1_27scan_by_key_config_selectorIj11FixedVectorIiLj4EEEEZZNS1_16scan_by_key_implILNS1_25lookback_scan_determinismE0ELb0ES3_N6thrust23THRUST_200600_302600_NS6detail15normal_iteratorINSB_10device_ptrIjEEEENSD_INSE_IS6_EEEESI_S6_NSB_4plusIvEENSB_8equal_toIvEES6_EE10hipError_tPvRmT2_T3_T4_T5_mT6_T7_P12ihipStream_tbENKUlT_T0_E_clISt17integral_constantIbLb0EES12_IbLb1EEEEDaSY_SZ_EUlSY_E_NS1_11comp_targetILNS1_3genE8ELNS1_11target_archE1030ELNS1_3gpuE2ELNS1_3repE0EEENS1_30default_config_static_selectorELNS0_4arch9wavefront6targetE0EEEvT1_.has_dyn_sized_stack, 0
	.set _ZN7rocprim17ROCPRIM_400000_NS6detail17trampoline_kernelINS0_14default_configENS1_27scan_by_key_config_selectorIj11FixedVectorIiLj4EEEEZZNS1_16scan_by_key_implILNS1_25lookback_scan_determinismE0ELb0ES3_N6thrust23THRUST_200600_302600_NS6detail15normal_iteratorINSB_10device_ptrIjEEEENSD_INSE_IS6_EEEESI_S6_NSB_4plusIvEENSB_8equal_toIvEES6_EE10hipError_tPvRmT2_T3_T4_T5_mT6_T7_P12ihipStream_tbENKUlT_T0_E_clISt17integral_constantIbLb0EES12_IbLb1EEEEDaSY_SZ_EUlSY_E_NS1_11comp_targetILNS1_3genE8ELNS1_11target_archE1030ELNS1_3gpuE2ELNS1_3repE0EEENS1_30default_config_static_selectorELNS0_4arch9wavefront6targetE0EEEvT1_.has_recursion, 0
	.set _ZN7rocprim17ROCPRIM_400000_NS6detail17trampoline_kernelINS0_14default_configENS1_27scan_by_key_config_selectorIj11FixedVectorIiLj4EEEEZZNS1_16scan_by_key_implILNS1_25lookback_scan_determinismE0ELb0ES3_N6thrust23THRUST_200600_302600_NS6detail15normal_iteratorINSB_10device_ptrIjEEEENSD_INSE_IS6_EEEESI_S6_NSB_4plusIvEENSB_8equal_toIvEES6_EE10hipError_tPvRmT2_T3_T4_T5_mT6_T7_P12ihipStream_tbENKUlT_T0_E_clISt17integral_constantIbLb0EES12_IbLb1EEEEDaSY_SZ_EUlSY_E_NS1_11comp_targetILNS1_3genE8ELNS1_11target_archE1030ELNS1_3gpuE2ELNS1_3repE0EEENS1_30default_config_static_selectorELNS0_4arch9wavefront6targetE0EEEvT1_.has_indirect_call, 0
	.section	.AMDGPU.csdata,"",@progbits
; Kernel info:
; codeLenInByte = 29732
; TotalNumSgprs: 54
; NumVgprs: 36
; ScratchSize: 320
; MemoryBound: 0
; FloatMode: 240
; IeeeMode: 1
; LDSByteSize: 20480 bytes/workgroup (compile time only)
; SGPRBlocks: 0
; VGPRBlocks: 8
; NumSGPRsForWavesPerEU: 54
; NumVGPRsForWavesPerEU: 65
; Occupancy: 12
; WaveLimiterHint : 1
; COMPUTE_PGM_RSRC2:SCRATCH_EN: 1
; COMPUTE_PGM_RSRC2:USER_SGPR: 6
; COMPUTE_PGM_RSRC2:TRAP_HANDLER: 0
; COMPUTE_PGM_RSRC2:TGID_X_EN: 1
; COMPUTE_PGM_RSRC2:TGID_Y_EN: 0
; COMPUTE_PGM_RSRC2:TGID_Z_EN: 0
; COMPUTE_PGM_RSRC2:TIDIG_COMP_CNT: 0
	.section	.text._ZN7rocprim17ROCPRIM_400000_NS6detail17trampoline_kernelINS0_14default_configENS1_27scan_by_key_config_selectorIj11FixedVectorIiLj4EEEEZZNS1_16scan_by_key_implILNS1_25lookback_scan_determinismE0ELb1ES3_N6thrust23THRUST_200600_302600_NS6detail15normal_iteratorINSB_10device_ptrIjEEEENSD_INSE_IS6_EEEESI_S6_NSB_4plusIvEENSB_8equal_toIvEES6_EE10hipError_tPvRmT2_T3_T4_T5_mT6_T7_P12ihipStream_tbENKUlT_T0_E_clISt17integral_constantIbLb0EES13_EEDaSY_SZ_EUlSY_E_NS1_11comp_targetILNS1_3genE0ELNS1_11target_archE4294967295ELNS1_3gpuE0ELNS1_3repE0EEENS1_30default_config_static_selectorELNS0_4arch9wavefront6targetE0EEEvT1_,"axG",@progbits,_ZN7rocprim17ROCPRIM_400000_NS6detail17trampoline_kernelINS0_14default_configENS1_27scan_by_key_config_selectorIj11FixedVectorIiLj4EEEEZZNS1_16scan_by_key_implILNS1_25lookback_scan_determinismE0ELb1ES3_N6thrust23THRUST_200600_302600_NS6detail15normal_iteratorINSB_10device_ptrIjEEEENSD_INSE_IS6_EEEESI_S6_NSB_4plusIvEENSB_8equal_toIvEES6_EE10hipError_tPvRmT2_T3_T4_T5_mT6_T7_P12ihipStream_tbENKUlT_T0_E_clISt17integral_constantIbLb0EES13_EEDaSY_SZ_EUlSY_E_NS1_11comp_targetILNS1_3genE0ELNS1_11target_archE4294967295ELNS1_3gpuE0ELNS1_3repE0EEENS1_30default_config_static_selectorELNS0_4arch9wavefront6targetE0EEEvT1_,comdat
	.protected	_ZN7rocprim17ROCPRIM_400000_NS6detail17trampoline_kernelINS0_14default_configENS1_27scan_by_key_config_selectorIj11FixedVectorIiLj4EEEEZZNS1_16scan_by_key_implILNS1_25lookback_scan_determinismE0ELb1ES3_N6thrust23THRUST_200600_302600_NS6detail15normal_iteratorINSB_10device_ptrIjEEEENSD_INSE_IS6_EEEESI_S6_NSB_4plusIvEENSB_8equal_toIvEES6_EE10hipError_tPvRmT2_T3_T4_T5_mT6_T7_P12ihipStream_tbENKUlT_T0_E_clISt17integral_constantIbLb0EES13_EEDaSY_SZ_EUlSY_E_NS1_11comp_targetILNS1_3genE0ELNS1_11target_archE4294967295ELNS1_3gpuE0ELNS1_3repE0EEENS1_30default_config_static_selectorELNS0_4arch9wavefront6targetE0EEEvT1_ ; -- Begin function _ZN7rocprim17ROCPRIM_400000_NS6detail17trampoline_kernelINS0_14default_configENS1_27scan_by_key_config_selectorIj11FixedVectorIiLj4EEEEZZNS1_16scan_by_key_implILNS1_25lookback_scan_determinismE0ELb1ES3_N6thrust23THRUST_200600_302600_NS6detail15normal_iteratorINSB_10device_ptrIjEEEENSD_INSE_IS6_EEEESI_S6_NSB_4plusIvEENSB_8equal_toIvEES6_EE10hipError_tPvRmT2_T3_T4_T5_mT6_T7_P12ihipStream_tbENKUlT_T0_E_clISt17integral_constantIbLb0EES13_EEDaSY_SZ_EUlSY_E_NS1_11comp_targetILNS1_3genE0ELNS1_11target_archE4294967295ELNS1_3gpuE0ELNS1_3repE0EEENS1_30default_config_static_selectorELNS0_4arch9wavefront6targetE0EEEvT1_
	.globl	_ZN7rocprim17ROCPRIM_400000_NS6detail17trampoline_kernelINS0_14default_configENS1_27scan_by_key_config_selectorIj11FixedVectorIiLj4EEEEZZNS1_16scan_by_key_implILNS1_25lookback_scan_determinismE0ELb1ES3_N6thrust23THRUST_200600_302600_NS6detail15normal_iteratorINSB_10device_ptrIjEEEENSD_INSE_IS6_EEEESI_S6_NSB_4plusIvEENSB_8equal_toIvEES6_EE10hipError_tPvRmT2_T3_T4_T5_mT6_T7_P12ihipStream_tbENKUlT_T0_E_clISt17integral_constantIbLb0EES13_EEDaSY_SZ_EUlSY_E_NS1_11comp_targetILNS1_3genE0ELNS1_11target_archE4294967295ELNS1_3gpuE0ELNS1_3repE0EEENS1_30default_config_static_selectorELNS0_4arch9wavefront6targetE0EEEvT1_
	.p2align	8
	.type	_ZN7rocprim17ROCPRIM_400000_NS6detail17trampoline_kernelINS0_14default_configENS1_27scan_by_key_config_selectorIj11FixedVectorIiLj4EEEEZZNS1_16scan_by_key_implILNS1_25lookback_scan_determinismE0ELb1ES3_N6thrust23THRUST_200600_302600_NS6detail15normal_iteratorINSB_10device_ptrIjEEEENSD_INSE_IS6_EEEESI_S6_NSB_4plusIvEENSB_8equal_toIvEES6_EE10hipError_tPvRmT2_T3_T4_T5_mT6_T7_P12ihipStream_tbENKUlT_T0_E_clISt17integral_constantIbLb0EES13_EEDaSY_SZ_EUlSY_E_NS1_11comp_targetILNS1_3genE0ELNS1_11target_archE4294967295ELNS1_3gpuE0ELNS1_3repE0EEENS1_30default_config_static_selectorELNS0_4arch9wavefront6targetE0EEEvT1_,@function
_ZN7rocprim17ROCPRIM_400000_NS6detail17trampoline_kernelINS0_14default_configENS1_27scan_by_key_config_selectorIj11FixedVectorIiLj4EEEEZZNS1_16scan_by_key_implILNS1_25lookback_scan_determinismE0ELb1ES3_N6thrust23THRUST_200600_302600_NS6detail15normal_iteratorINSB_10device_ptrIjEEEENSD_INSE_IS6_EEEESI_S6_NSB_4plusIvEENSB_8equal_toIvEES6_EE10hipError_tPvRmT2_T3_T4_T5_mT6_T7_P12ihipStream_tbENKUlT_T0_E_clISt17integral_constantIbLb0EES13_EEDaSY_SZ_EUlSY_E_NS1_11comp_targetILNS1_3genE0ELNS1_11target_archE4294967295ELNS1_3gpuE0ELNS1_3repE0EEENS1_30default_config_static_selectorELNS0_4arch9wavefront6targetE0EEEvT1_: ; @_ZN7rocprim17ROCPRIM_400000_NS6detail17trampoline_kernelINS0_14default_configENS1_27scan_by_key_config_selectorIj11FixedVectorIiLj4EEEEZZNS1_16scan_by_key_implILNS1_25lookback_scan_determinismE0ELb1ES3_N6thrust23THRUST_200600_302600_NS6detail15normal_iteratorINSB_10device_ptrIjEEEENSD_INSE_IS6_EEEESI_S6_NSB_4plusIvEENSB_8equal_toIvEES6_EE10hipError_tPvRmT2_T3_T4_T5_mT6_T7_P12ihipStream_tbENKUlT_T0_E_clISt17integral_constantIbLb0EES13_EEDaSY_SZ_EUlSY_E_NS1_11comp_targetILNS1_3genE0ELNS1_11target_archE4294967295ELNS1_3gpuE0ELNS1_3repE0EEENS1_30default_config_static_selectorELNS0_4arch9wavefront6targetE0EEEvT1_
; %bb.0:
	.section	.rodata,"a",@progbits
	.p2align	6, 0x0
	.amdhsa_kernel _ZN7rocprim17ROCPRIM_400000_NS6detail17trampoline_kernelINS0_14default_configENS1_27scan_by_key_config_selectorIj11FixedVectorIiLj4EEEEZZNS1_16scan_by_key_implILNS1_25lookback_scan_determinismE0ELb1ES3_N6thrust23THRUST_200600_302600_NS6detail15normal_iteratorINSB_10device_ptrIjEEEENSD_INSE_IS6_EEEESI_S6_NSB_4plusIvEENSB_8equal_toIvEES6_EE10hipError_tPvRmT2_T3_T4_T5_mT6_T7_P12ihipStream_tbENKUlT_T0_E_clISt17integral_constantIbLb0EES13_EEDaSY_SZ_EUlSY_E_NS1_11comp_targetILNS1_3genE0ELNS1_11target_archE4294967295ELNS1_3gpuE0ELNS1_3repE0EEENS1_30default_config_static_selectorELNS0_4arch9wavefront6targetE0EEEvT1_
		.amdhsa_group_segment_fixed_size 0
		.amdhsa_private_segment_fixed_size 0
		.amdhsa_kernarg_size 144
		.amdhsa_user_sgpr_count 6
		.amdhsa_user_sgpr_private_segment_buffer 1
		.amdhsa_user_sgpr_dispatch_ptr 0
		.amdhsa_user_sgpr_queue_ptr 0
		.amdhsa_user_sgpr_kernarg_segment_ptr 1
		.amdhsa_user_sgpr_dispatch_id 0
		.amdhsa_user_sgpr_flat_scratch_init 0
		.amdhsa_user_sgpr_private_segment_size 0
		.amdhsa_wavefront_size32 1
		.amdhsa_uses_dynamic_stack 0
		.amdhsa_system_sgpr_private_segment_wavefront_offset 0
		.amdhsa_system_sgpr_workgroup_id_x 1
		.amdhsa_system_sgpr_workgroup_id_y 0
		.amdhsa_system_sgpr_workgroup_id_z 0
		.amdhsa_system_sgpr_workgroup_info 0
		.amdhsa_system_vgpr_workitem_id 0
		.amdhsa_next_free_vgpr 1
		.amdhsa_next_free_sgpr 1
		.amdhsa_reserve_vcc 0
		.amdhsa_reserve_flat_scratch 0
		.amdhsa_float_round_mode_32 0
		.amdhsa_float_round_mode_16_64 0
		.amdhsa_float_denorm_mode_32 3
		.amdhsa_float_denorm_mode_16_64 3
		.amdhsa_dx10_clamp 1
		.amdhsa_ieee_mode 1
		.amdhsa_fp16_overflow 0
		.amdhsa_workgroup_processor_mode 1
		.amdhsa_memory_ordered 1
		.amdhsa_forward_progress 1
		.amdhsa_shared_vgpr_count 0
		.amdhsa_exception_fp_ieee_invalid_op 0
		.amdhsa_exception_fp_denorm_src 0
		.amdhsa_exception_fp_ieee_div_zero 0
		.amdhsa_exception_fp_ieee_overflow 0
		.amdhsa_exception_fp_ieee_underflow 0
		.amdhsa_exception_fp_ieee_inexact 0
		.amdhsa_exception_int_div_zero 0
	.end_amdhsa_kernel
	.section	.text._ZN7rocprim17ROCPRIM_400000_NS6detail17trampoline_kernelINS0_14default_configENS1_27scan_by_key_config_selectorIj11FixedVectorIiLj4EEEEZZNS1_16scan_by_key_implILNS1_25lookback_scan_determinismE0ELb1ES3_N6thrust23THRUST_200600_302600_NS6detail15normal_iteratorINSB_10device_ptrIjEEEENSD_INSE_IS6_EEEESI_S6_NSB_4plusIvEENSB_8equal_toIvEES6_EE10hipError_tPvRmT2_T3_T4_T5_mT6_T7_P12ihipStream_tbENKUlT_T0_E_clISt17integral_constantIbLb0EES13_EEDaSY_SZ_EUlSY_E_NS1_11comp_targetILNS1_3genE0ELNS1_11target_archE4294967295ELNS1_3gpuE0ELNS1_3repE0EEENS1_30default_config_static_selectorELNS0_4arch9wavefront6targetE0EEEvT1_,"axG",@progbits,_ZN7rocprim17ROCPRIM_400000_NS6detail17trampoline_kernelINS0_14default_configENS1_27scan_by_key_config_selectorIj11FixedVectorIiLj4EEEEZZNS1_16scan_by_key_implILNS1_25lookback_scan_determinismE0ELb1ES3_N6thrust23THRUST_200600_302600_NS6detail15normal_iteratorINSB_10device_ptrIjEEEENSD_INSE_IS6_EEEESI_S6_NSB_4plusIvEENSB_8equal_toIvEES6_EE10hipError_tPvRmT2_T3_T4_T5_mT6_T7_P12ihipStream_tbENKUlT_T0_E_clISt17integral_constantIbLb0EES13_EEDaSY_SZ_EUlSY_E_NS1_11comp_targetILNS1_3genE0ELNS1_11target_archE4294967295ELNS1_3gpuE0ELNS1_3repE0EEENS1_30default_config_static_selectorELNS0_4arch9wavefront6targetE0EEEvT1_,comdat
.Lfunc_end2075:
	.size	_ZN7rocprim17ROCPRIM_400000_NS6detail17trampoline_kernelINS0_14default_configENS1_27scan_by_key_config_selectorIj11FixedVectorIiLj4EEEEZZNS1_16scan_by_key_implILNS1_25lookback_scan_determinismE0ELb1ES3_N6thrust23THRUST_200600_302600_NS6detail15normal_iteratorINSB_10device_ptrIjEEEENSD_INSE_IS6_EEEESI_S6_NSB_4plusIvEENSB_8equal_toIvEES6_EE10hipError_tPvRmT2_T3_T4_T5_mT6_T7_P12ihipStream_tbENKUlT_T0_E_clISt17integral_constantIbLb0EES13_EEDaSY_SZ_EUlSY_E_NS1_11comp_targetILNS1_3genE0ELNS1_11target_archE4294967295ELNS1_3gpuE0ELNS1_3repE0EEENS1_30default_config_static_selectorELNS0_4arch9wavefront6targetE0EEEvT1_, .Lfunc_end2075-_ZN7rocprim17ROCPRIM_400000_NS6detail17trampoline_kernelINS0_14default_configENS1_27scan_by_key_config_selectorIj11FixedVectorIiLj4EEEEZZNS1_16scan_by_key_implILNS1_25lookback_scan_determinismE0ELb1ES3_N6thrust23THRUST_200600_302600_NS6detail15normal_iteratorINSB_10device_ptrIjEEEENSD_INSE_IS6_EEEESI_S6_NSB_4plusIvEENSB_8equal_toIvEES6_EE10hipError_tPvRmT2_T3_T4_T5_mT6_T7_P12ihipStream_tbENKUlT_T0_E_clISt17integral_constantIbLb0EES13_EEDaSY_SZ_EUlSY_E_NS1_11comp_targetILNS1_3genE0ELNS1_11target_archE4294967295ELNS1_3gpuE0ELNS1_3repE0EEENS1_30default_config_static_selectorELNS0_4arch9wavefront6targetE0EEEvT1_
                                        ; -- End function
	.set _ZN7rocprim17ROCPRIM_400000_NS6detail17trampoline_kernelINS0_14default_configENS1_27scan_by_key_config_selectorIj11FixedVectorIiLj4EEEEZZNS1_16scan_by_key_implILNS1_25lookback_scan_determinismE0ELb1ES3_N6thrust23THRUST_200600_302600_NS6detail15normal_iteratorINSB_10device_ptrIjEEEENSD_INSE_IS6_EEEESI_S6_NSB_4plusIvEENSB_8equal_toIvEES6_EE10hipError_tPvRmT2_T3_T4_T5_mT6_T7_P12ihipStream_tbENKUlT_T0_E_clISt17integral_constantIbLb0EES13_EEDaSY_SZ_EUlSY_E_NS1_11comp_targetILNS1_3genE0ELNS1_11target_archE4294967295ELNS1_3gpuE0ELNS1_3repE0EEENS1_30default_config_static_selectorELNS0_4arch9wavefront6targetE0EEEvT1_.num_vgpr, 0
	.set _ZN7rocprim17ROCPRIM_400000_NS6detail17trampoline_kernelINS0_14default_configENS1_27scan_by_key_config_selectorIj11FixedVectorIiLj4EEEEZZNS1_16scan_by_key_implILNS1_25lookback_scan_determinismE0ELb1ES3_N6thrust23THRUST_200600_302600_NS6detail15normal_iteratorINSB_10device_ptrIjEEEENSD_INSE_IS6_EEEESI_S6_NSB_4plusIvEENSB_8equal_toIvEES6_EE10hipError_tPvRmT2_T3_T4_T5_mT6_T7_P12ihipStream_tbENKUlT_T0_E_clISt17integral_constantIbLb0EES13_EEDaSY_SZ_EUlSY_E_NS1_11comp_targetILNS1_3genE0ELNS1_11target_archE4294967295ELNS1_3gpuE0ELNS1_3repE0EEENS1_30default_config_static_selectorELNS0_4arch9wavefront6targetE0EEEvT1_.num_agpr, 0
	.set _ZN7rocprim17ROCPRIM_400000_NS6detail17trampoline_kernelINS0_14default_configENS1_27scan_by_key_config_selectorIj11FixedVectorIiLj4EEEEZZNS1_16scan_by_key_implILNS1_25lookback_scan_determinismE0ELb1ES3_N6thrust23THRUST_200600_302600_NS6detail15normal_iteratorINSB_10device_ptrIjEEEENSD_INSE_IS6_EEEESI_S6_NSB_4plusIvEENSB_8equal_toIvEES6_EE10hipError_tPvRmT2_T3_T4_T5_mT6_T7_P12ihipStream_tbENKUlT_T0_E_clISt17integral_constantIbLb0EES13_EEDaSY_SZ_EUlSY_E_NS1_11comp_targetILNS1_3genE0ELNS1_11target_archE4294967295ELNS1_3gpuE0ELNS1_3repE0EEENS1_30default_config_static_selectorELNS0_4arch9wavefront6targetE0EEEvT1_.numbered_sgpr, 0
	.set _ZN7rocprim17ROCPRIM_400000_NS6detail17trampoline_kernelINS0_14default_configENS1_27scan_by_key_config_selectorIj11FixedVectorIiLj4EEEEZZNS1_16scan_by_key_implILNS1_25lookback_scan_determinismE0ELb1ES3_N6thrust23THRUST_200600_302600_NS6detail15normal_iteratorINSB_10device_ptrIjEEEENSD_INSE_IS6_EEEESI_S6_NSB_4plusIvEENSB_8equal_toIvEES6_EE10hipError_tPvRmT2_T3_T4_T5_mT6_T7_P12ihipStream_tbENKUlT_T0_E_clISt17integral_constantIbLb0EES13_EEDaSY_SZ_EUlSY_E_NS1_11comp_targetILNS1_3genE0ELNS1_11target_archE4294967295ELNS1_3gpuE0ELNS1_3repE0EEENS1_30default_config_static_selectorELNS0_4arch9wavefront6targetE0EEEvT1_.num_named_barrier, 0
	.set _ZN7rocprim17ROCPRIM_400000_NS6detail17trampoline_kernelINS0_14default_configENS1_27scan_by_key_config_selectorIj11FixedVectorIiLj4EEEEZZNS1_16scan_by_key_implILNS1_25lookback_scan_determinismE0ELb1ES3_N6thrust23THRUST_200600_302600_NS6detail15normal_iteratorINSB_10device_ptrIjEEEENSD_INSE_IS6_EEEESI_S6_NSB_4plusIvEENSB_8equal_toIvEES6_EE10hipError_tPvRmT2_T3_T4_T5_mT6_T7_P12ihipStream_tbENKUlT_T0_E_clISt17integral_constantIbLb0EES13_EEDaSY_SZ_EUlSY_E_NS1_11comp_targetILNS1_3genE0ELNS1_11target_archE4294967295ELNS1_3gpuE0ELNS1_3repE0EEENS1_30default_config_static_selectorELNS0_4arch9wavefront6targetE0EEEvT1_.private_seg_size, 0
	.set _ZN7rocprim17ROCPRIM_400000_NS6detail17trampoline_kernelINS0_14default_configENS1_27scan_by_key_config_selectorIj11FixedVectorIiLj4EEEEZZNS1_16scan_by_key_implILNS1_25lookback_scan_determinismE0ELb1ES3_N6thrust23THRUST_200600_302600_NS6detail15normal_iteratorINSB_10device_ptrIjEEEENSD_INSE_IS6_EEEESI_S6_NSB_4plusIvEENSB_8equal_toIvEES6_EE10hipError_tPvRmT2_T3_T4_T5_mT6_T7_P12ihipStream_tbENKUlT_T0_E_clISt17integral_constantIbLb0EES13_EEDaSY_SZ_EUlSY_E_NS1_11comp_targetILNS1_3genE0ELNS1_11target_archE4294967295ELNS1_3gpuE0ELNS1_3repE0EEENS1_30default_config_static_selectorELNS0_4arch9wavefront6targetE0EEEvT1_.uses_vcc, 0
	.set _ZN7rocprim17ROCPRIM_400000_NS6detail17trampoline_kernelINS0_14default_configENS1_27scan_by_key_config_selectorIj11FixedVectorIiLj4EEEEZZNS1_16scan_by_key_implILNS1_25lookback_scan_determinismE0ELb1ES3_N6thrust23THRUST_200600_302600_NS6detail15normal_iteratorINSB_10device_ptrIjEEEENSD_INSE_IS6_EEEESI_S6_NSB_4plusIvEENSB_8equal_toIvEES6_EE10hipError_tPvRmT2_T3_T4_T5_mT6_T7_P12ihipStream_tbENKUlT_T0_E_clISt17integral_constantIbLb0EES13_EEDaSY_SZ_EUlSY_E_NS1_11comp_targetILNS1_3genE0ELNS1_11target_archE4294967295ELNS1_3gpuE0ELNS1_3repE0EEENS1_30default_config_static_selectorELNS0_4arch9wavefront6targetE0EEEvT1_.uses_flat_scratch, 0
	.set _ZN7rocprim17ROCPRIM_400000_NS6detail17trampoline_kernelINS0_14default_configENS1_27scan_by_key_config_selectorIj11FixedVectorIiLj4EEEEZZNS1_16scan_by_key_implILNS1_25lookback_scan_determinismE0ELb1ES3_N6thrust23THRUST_200600_302600_NS6detail15normal_iteratorINSB_10device_ptrIjEEEENSD_INSE_IS6_EEEESI_S6_NSB_4plusIvEENSB_8equal_toIvEES6_EE10hipError_tPvRmT2_T3_T4_T5_mT6_T7_P12ihipStream_tbENKUlT_T0_E_clISt17integral_constantIbLb0EES13_EEDaSY_SZ_EUlSY_E_NS1_11comp_targetILNS1_3genE0ELNS1_11target_archE4294967295ELNS1_3gpuE0ELNS1_3repE0EEENS1_30default_config_static_selectorELNS0_4arch9wavefront6targetE0EEEvT1_.has_dyn_sized_stack, 0
	.set _ZN7rocprim17ROCPRIM_400000_NS6detail17trampoline_kernelINS0_14default_configENS1_27scan_by_key_config_selectorIj11FixedVectorIiLj4EEEEZZNS1_16scan_by_key_implILNS1_25lookback_scan_determinismE0ELb1ES3_N6thrust23THRUST_200600_302600_NS6detail15normal_iteratorINSB_10device_ptrIjEEEENSD_INSE_IS6_EEEESI_S6_NSB_4plusIvEENSB_8equal_toIvEES6_EE10hipError_tPvRmT2_T3_T4_T5_mT6_T7_P12ihipStream_tbENKUlT_T0_E_clISt17integral_constantIbLb0EES13_EEDaSY_SZ_EUlSY_E_NS1_11comp_targetILNS1_3genE0ELNS1_11target_archE4294967295ELNS1_3gpuE0ELNS1_3repE0EEENS1_30default_config_static_selectorELNS0_4arch9wavefront6targetE0EEEvT1_.has_recursion, 0
	.set _ZN7rocprim17ROCPRIM_400000_NS6detail17trampoline_kernelINS0_14default_configENS1_27scan_by_key_config_selectorIj11FixedVectorIiLj4EEEEZZNS1_16scan_by_key_implILNS1_25lookback_scan_determinismE0ELb1ES3_N6thrust23THRUST_200600_302600_NS6detail15normal_iteratorINSB_10device_ptrIjEEEENSD_INSE_IS6_EEEESI_S6_NSB_4plusIvEENSB_8equal_toIvEES6_EE10hipError_tPvRmT2_T3_T4_T5_mT6_T7_P12ihipStream_tbENKUlT_T0_E_clISt17integral_constantIbLb0EES13_EEDaSY_SZ_EUlSY_E_NS1_11comp_targetILNS1_3genE0ELNS1_11target_archE4294967295ELNS1_3gpuE0ELNS1_3repE0EEENS1_30default_config_static_selectorELNS0_4arch9wavefront6targetE0EEEvT1_.has_indirect_call, 0
	.section	.AMDGPU.csdata,"",@progbits
; Kernel info:
; codeLenInByte = 0
; TotalNumSgprs: 0
; NumVgprs: 0
; ScratchSize: 0
; MemoryBound: 0
; FloatMode: 240
; IeeeMode: 1
; LDSByteSize: 0 bytes/workgroup (compile time only)
; SGPRBlocks: 0
; VGPRBlocks: 0
; NumSGPRsForWavesPerEU: 1
; NumVGPRsForWavesPerEU: 1
; Occupancy: 16
; WaveLimiterHint : 0
; COMPUTE_PGM_RSRC2:SCRATCH_EN: 0
; COMPUTE_PGM_RSRC2:USER_SGPR: 6
; COMPUTE_PGM_RSRC2:TRAP_HANDLER: 0
; COMPUTE_PGM_RSRC2:TGID_X_EN: 1
; COMPUTE_PGM_RSRC2:TGID_Y_EN: 0
; COMPUTE_PGM_RSRC2:TGID_Z_EN: 0
; COMPUTE_PGM_RSRC2:TIDIG_COMP_CNT: 0
	.section	.text._ZN7rocprim17ROCPRIM_400000_NS6detail17trampoline_kernelINS0_14default_configENS1_27scan_by_key_config_selectorIj11FixedVectorIiLj4EEEEZZNS1_16scan_by_key_implILNS1_25lookback_scan_determinismE0ELb1ES3_N6thrust23THRUST_200600_302600_NS6detail15normal_iteratorINSB_10device_ptrIjEEEENSD_INSE_IS6_EEEESI_S6_NSB_4plusIvEENSB_8equal_toIvEES6_EE10hipError_tPvRmT2_T3_T4_T5_mT6_T7_P12ihipStream_tbENKUlT_T0_E_clISt17integral_constantIbLb0EES13_EEDaSY_SZ_EUlSY_E_NS1_11comp_targetILNS1_3genE10ELNS1_11target_archE1201ELNS1_3gpuE5ELNS1_3repE0EEENS1_30default_config_static_selectorELNS0_4arch9wavefront6targetE0EEEvT1_,"axG",@progbits,_ZN7rocprim17ROCPRIM_400000_NS6detail17trampoline_kernelINS0_14default_configENS1_27scan_by_key_config_selectorIj11FixedVectorIiLj4EEEEZZNS1_16scan_by_key_implILNS1_25lookback_scan_determinismE0ELb1ES3_N6thrust23THRUST_200600_302600_NS6detail15normal_iteratorINSB_10device_ptrIjEEEENSD_INSE_IS6_EEEESI_S6_NSB_4plusIvEENSB_8equal_toIvEES6_EE10hipError_tPvRmT2_T3_T4_T5_mT6_T7_P12ihipStream_tbENKUlT_T0_E_clISt17integral_constantIbLb0EES13_EEDaSY_SZ_EUlSY_E_NS1_11comp_targetILNS1_3genE10ELNS1_11target_archE1201ELNS1_3gpuE5ELNS1_3repE0EEENS1_30default_config_static_selectorELNS0_4arch9wavefront6targetE0EEEvT1_,comdat
	.protected	_ZN7rocprim17ROCPRIM_400000_NS6detail17trampoline_kernelINS0_14default_configENS1_27scan_by_key_config_selectorIj11FixedVectorIiLj4EEEEZZNS1_16scan_by_key_implILNS1_25lookback_scan_determinismE0ELb1ES3_N6thrust23THRUST_200600_302600_NS6detail15normal_iteratorINSB_10device_ptrIjEEEENSD_INSE_IS6_EEEESI_S6_NSB_4plusIvEENSB_8equal_toIvEES6_EE10hipError_tPvRmT2_T3_T4_T5_mT6_T7_P12ihipStream_tbENKUlT_T0_E_clISt17integral_constantIbLb0EES13_EEDaSY_SZ_EUlSY_E_NS1_11comp_targetILNS1_3genE10ELNS1_11target_archE1201ELNS1_3gpuE5ELNS1_3repE0EEENS1_30default_config_static_selectorELNS0_4arch9wavefront6targetE0EEEvT1_ ; -- Begin function _ZN7rocprim17ROCPRIM_400000_NS6detail17trampoline_kernelINS0_14default_configENS1_27scan_by_key_config_selectorIj11FixedVectorIiLj4EEEEZZNS1_16scan_by_key_implILNS1_25lookback_scan_determinismE0ELb1ES3_N6thrust23THRUST_200600_302600_NS6detail15normal_iteratorINSB_10device_ptrIjEEEENSD_INSE_IS6_EEEESI_S6_NSB_4plusIvEENSB_8equal_toIvEES6_EE10hipError_tPvRmT2_T3_T4_T5_mT6_T7_P12ihipStream_tbENKUlT_T0_E_clISt17integral_constantIbLb0EES13_EEDaSY_SZ_EUlSY_E_NS1_11comp_targetILNS1_3genE10ELNS1_11target_archE1201ELNS1_3gpuE5ELNS1_3repE0EEENS1_30default_config_static_selectorELNS0_4arch9wavefront6targetE0EEEvT1_
	.globl	_ZN7rocprim17ROCPRIM_400000_NS6detail17trampoline_kernelINS0_14default_configENS1_27scan_by_key_config_selectorIj11FixedVectorIiLj4EEEEZZNS1_16scan_by_key_implILNS1_25lookback_scan_determinismE0ELb1ES3_N6thrust23THRUST_200600_302600_NS6detail15normal_iteratorINSB_10device_ptrIjEEEENSD_INSE_IS6_EEEESI_S6_NSB_4plusIvEENSB_8equal_toIvEES6_EE10hipError_tPvRmT2_T3_T4_T5_mT6_T7_P12ihipStream_tbENKUlT_T0_E_clISt17integral_constantIbLb0EES13_EEDaSY_SZ_EUlSY_E_NS1_11comp_targetILNS1_3genE10ELNS1_11target_archE1201ELNS1_3gpuE5ELNS1_3repE0EEENS1_30default_config_static_selectorELNS0_4arch9wavefront6targetE0EEEvT1_
	.p2align	8
	.type	_ZN7rocprim17ROCPRIM_400000_NS6detail17trampoline_kernelINS0_14default_configENS1_27scan_by_key_config_selectorIj11FixedVectorIiLj4EEEEZZNS1_16scan_by_key_implILNS1_25lookback_scan_determinismE0ELb1ES3_N6thrust23THRUST_200600_302600_NS6detail15normal_iteratorINSB_10device_ptrIjEEEENSD_INSE_IS6_EEEESI_S6_NSB_4plusIvEENSB_8equal_toIvEES6_EE10hipError_tPvRmT2_T3_T4_T5_mT6_T7_P12ihipStream_tbENKUlT_T0_E_clISt17integral_constantIbLb0EES13_EEDaSY_SZ_EUlSY_E_NS1_11comp_targetILNS1_3genE10ELNS1_11target_archE1201ELNS1_3gpuE5ELNS1_3repE0EEENS1_30default_config_static_selectorELNS0_4arch9wavefront6targetE0EEEvT1_,@function
_ZN7rocprim17ROCPRIM_400000_NS6detail17trampoline_kernelINS0_14default_configENS1_27scan_by_key_config_selectorIj11FixedVectorIiLj4EEEEZZNS1_16scan_by_key_implILNS1_25lookback_scan_determinismE0ELb1ES3_N6thrust23THRUST_200600_302600_NS6detail15normal_iteratorINSB_10device_ptrIjEEEENSD_INSE_IS6_EEEESI_S6_NSB_4plusIvEENSB_8equal_toIvEES6_EE10hipError_tPvRmT2_T3_T4_T5_mT6_T7_P12ihipStream_tbENKUlT_T0_E_clISt17integral_constantIbLb0EES13_EEDaSY_SZ_EUlSY_E_NS1_11comp_targetILNS1_3genE10ELNS1_11target_archE1201ELNS1_3gpuE5ELNS1_3repE0EEENS1_30default_config_static_selectorELNS0_4arch9wavefront6targetE0EEEvT1_: ; @_ZN7rocprim17ROCPRIM_400000_NS6detail17trampoline_kernelINS0_14default_configENS1_27scan_by_key_config_selectorIj11FixedVectorIiLj4EEEEZZNS1_16scan_by_key_implILNS1_25lookback_scan_determinismE0ELb1ES3_N6thrust23THRUST_200600_302600_NS6detail15normal_iteratorINSB_10device_ptrIjEEEENSD_INSE_IS6_EEEESI_S6_NSB_4plusIvEENSB_8equal_toIvEES6_EE10hipError_tPvRmT2_T3_T4_T5_mT6_T7_P12ihipStream_tbENKUlT_T0_E_clISt17integral_constantIbLb0EES13_EEDaSY_SZ_EUlSY_E_NS1_11comp_targetILNS1_3genE10ELNS1_11target_archE1201ELNS1_3gpuE5ELNS1_3repE0EEENS1_30default_config_static_selectorELNS0_4arch9wavefront6targetE0EEEvT1_
; %bb.0:
	.section	.rodata,"a",@progbits
	.p2align	6, 0x0
	.amdhsa_kernel _ZN7rocprim17ROCPRIM_400000_NS6detail17trampoline_kernelINS0_14default_configENS1_27scan_by_key_config_selectorIj11FixedVectorIiLj4EEEEZZNS1_16scan_by_key_implILNS1_25lookback_scan_determinismE0ELb1ES3_N6thrust23THRUST_200600_302600_NS6detail15normal_iteratorINSB_10device_ptrIjEEEENSD_INSE_IS6_EEEESI_S6_NSB_4plusIvEENSB_8equal_toIvEES6_EE10hipError_tPvRmT2_T3_T4_T5_mT6_T7_P12ihipStream_tbENKUlT_T0_E_clISt17integral_constantIbLb0EES13_EEDaSY_SZ_EUlSY_E_NS1_11comp_targetILNS1_3genE10ELNS1_11target_archE1201ELNS1_3gpuE5ELNS1_3repE0EEENS1_30default_config_static_selectorELNS0_4arch9wavefront6targetE0EEEvT1_
		.amdhsa_group_segment_fixed_size 0
		.amdhsa_private_segment_fixed_size 0
		.amdhsa_kernarg_size 144
		.amdhsa_user_sgpr_count 6
		.amdhsa_user_sgpr_private_segment_buffer 1
		.amdhsa_user_sgpr_dispatch_ptr 0
		.amdhsa_user_sgpr_queue_ptr 0
		.amdhsa_user_sgpr_kernarg_segment_ptr 1
		.amdhsa_user_sgpr_dispatch_id 0
		.amdhsa_user_sgpr_flat_scratch_init 0
		.amdhsa_user_sgpr_private_segment_size 0
		.amdhsa_wavefront_size32 1
		.amdhsa_uses_dynamic_stack 0
		.amdhsa_system_sgpr_private_segment_wavefront_offset 0
		.amdhsa_system_sgpr_workgroup_id_x 1
		.amdhsa_system_sgpr_workgroup_id_y 0
		.amdhsa_system_sgpr_workgroup_id_z 0
		.amdhsa_system_sgpr_workgroup_info 0
		.amdhsa_system_vgpr_workitem_id 0
		.amdhsa_next_free_vgpr 1
		.amdhsa_next_free_sgpr 1
		.amdhsa_reserve_vcc 0
		.amdhsa_reserve_flat_scratch 0
		.amdhsa_float_round_mode_32 0
		.amdhsa_float_round_mode_16_64 0
		.amdhsa_float_denorm_mode_32 3
		.amdhsa_float_denorm_mode_16_64 3
		.amdhsa_dx10_clamp 1
		.amdhsa_ieee_mode 1
		.amdhsa_fp16_overflow 0
		.amdhsa_workgroup_processor_mode 1
		.amdhsa_memory_ordered 1
		.amdhsa_forward_progress 1
		.amdhsa_shared_vgpr_count 0
		.amdhsa_exception_fp_ieee_invalid_op 0
		.amdhsa_exception_fp_denorm_src 0
		.amdhsa_exception_fp_ieee_div_zero 0
		.amdhsa_exception_fp_ieee_overflow 0
		.amdhsa_exception_fp_ieee_underflow 0
		.amdhsa_exception_fp_ieee_inexact 0
		.amdhsa_exception_int_div_zero 0
	.end_amdhsa_kernel
	.section	.text._ZN7rocprim17ROCPRIM_400000_NS6detail17trampoline_kernelINS0_14default_configENS1_27scan_by_key_config_selectorIj11FixedVectorIiLj4EEEEZZNS1_16scan_by_key_implILNS1_25lookback_scan_determinismE0ELb1ES3_N6thrust23THRUST_200600_302600_NS6detail15normal_iteratorINSB_10device_ptrIjEEEENSD_INSE_IS6_EEEESI_S6_NSB_4plusIvEENSB_8equal_toIvEES6_EE10hipError_tPvRmT2_T3_T4_T5_mT6_T7_P12ihipStream_tbENKUlT_T0_E_clISt17integral_constantIbLb0EES13_EEDaSY_SZ_EUlSY_E_NS1_11comp_targetILNS1_3genE10ELNS1_11target_archE1201ELNS1_3gpuE5ELNS1_3repE0EEENS1_30default_config_static_selectorELNS0_4arch9wavefront6targetE0EEEvT1_,"axG",@progbits,_ZN7rocprim17ROCPRIM_400000_NS6detail17trampoline_kernelINS0_14default_configENS1_27scan_by_key_config_selectorIj11FixedVectorIiLj4EEEEZZNS1_16scan_by_key_implILNS1_25lookback_scan_determinismE0ELb1ES3_N6thrust23THRUST_200600_302600_NS6detail15normal_iteratorINSB_10device_ptrIjEEEENSD_INSE_IS6_EEEESI_S6_NSB_4plusIvEENSB_8equal_toIvEES6_EE10hipError_tPvRmT2_T3_T4_T5_mT6_T7_P12ihipStream_tbENKUlT_T0_E_clISt17integral_constantIbLb0EES13_EEDaSY_SZ_EUlSY_E_NS1_11comp_targetILNS1_3genE10ELNS1_11target_archE1201ELNS1_3gpuE5ELNS1_3repE0EEENS1_30default_config_static_selectorELNS0_4arch9wavefront6targetE0EEEvT1_,comdat
.Lfunc_end2076:
	.size	_ZN7rocprim17ROCPRIM_400000_NS6detail17trampoline_kernelINS0_14default_configENS1_27scan_by_key_config_selectorIj11FixedVectorIiLj4EEEEZZNS1_16scan_by_key_implILNS1_25lookback_scan_determinismE0ELb1ES3_N6thrust23THRUST_200600_302600_NS6detail15normal_iteratorINSB_10device_ptrIjEEEENSD_INSE_IS6_EEEESI_S6_NSB_4plusIvEENSB_8equal_toIvEES6_EE10hipError_tPvRmT2_T3_T4_T5_mT6_T7_P12ihipStream_tbENKUlT_T0_E_clISt17integral_constantIbLb0EES13_EEDaSY_SZ_EUlSY_E_NS1_11comp_targetILNS1_3genE10ELNS1_11target_archE1201ELNS1_3gpuE5ELNS1_3repE0EEENS1_30default_config_static_selectorELNS0_4arch9wavefront6targetE0EEEvT1_, .Lfunc_end2076-_ZN7rocprim17ROCPRIM_400000_NS6detail17trampoline_kernelINS0_14default_configENS1_27scan_by_key_config_selectorIj11FixedVectorIiLj4EEEEZZNS1_16scan_by_key_implILNS1_25lookback_scan_determinismE0ELb1ES3_N6thrust23THRUST_200600_302600_NS6detail15normal_iteratorINSB_10device_ptrIjEEEENSD_INSE_IS6_EEEESI_S6_NSB_4plusIvEENSB_8equal_toIvEES6_EE10hipError_tPvRmT2_T3_T4_T5_mT6_T7_P12ihipStream_tbENKUlT_T0_E_clISt17integral_constantIbLb0EES13_EEDaSY_SZ_EUlSY_E_NS1_11comp_targetILNS1_3genE10ELNS1_11target_archE1201ELNS1_3gpuE5ELNS1_3repE0EEENS1_30default_config_static_selectorELNS0_4arch9wavefront6targetE0EEEvT1_
                                        ; -- End function
	.set _ZN7rocprim17ROCPRIM_400000_NS6detail17trampoline_kernelINS0_14default_configENS1_27scan_by_key_config_selectorIj11FixedVectorIiLj4EEEEZZNS1_16scan_by_key_implILNS1_25lookback_scan_determinismE0ELb1ES3_N6thrust23THRUST_200600_302600_NS6detail15normal_iteratorINSB_10device_ptrIjEEEENSD_INSE_IS6_EEEESI_S6_NSB_4plusIvEENSB_8equal_toIvEES6_EE10hipError_tPvRmT2_T3_T4_T5_mT6_T7_P12ihipStream_tbENKUlT_T0_E_clISt17integral_constantIbLb0EES13_EEDaSY_SZ_EUlSY_E_NS1_11comp_targetILNS1_3genE10ELNS1_11target_archE1201ELNS1_3gpuE5ELNS1_3repE0EEENS1_30default_config_static_selectorELNS0_4arch9wavefront6targetE0EEEvT1_.num_vgpr, 0
	.set _ZN7rocprim17ROCPRIM_400000_NS6detail17trampoline_kernelINS0_14default_configENS1_27scan_by_key_config_selectorIj11FixedVectorIiLj4EEEEZZNS1_16scan_by_key_implILNS1_25lookback_scan_determinismE0ELb1ES3_N6thrust23THRUST_200600_302600_NS6detail15normal_iteratorINSB_10device_ptrIjEEEENSD_INSE_IS6_EEEESI_S6_NSB_4plusIvEENSB_8equal_toIvEES6_EE10hipError_tPvRmT2_T3_T4_T5_mT6_T7_P12ihipStream_tbENKUlT_T0_E_clISt17integral_constantIbLb0EES13_EEDaSY_SZ_EUlSY_E_NS1_11comp_targetILNS1_3genE10ELNS1_11target_archE1201ELNS1_3gpuE5ELNS1_3repE0EEENS1_30default_config_static_selectorELNS0_4arch9wavefront6targetE0EEEvT1_.num_agpr, 0
	.set _ZN7rocprim17ROCPRIM_400000_NS6detail17trampoline_kernelINS0_14default_configENS1_27scan_by_key_config_selectorIj11FixedVectorIiLj4EEEEZZNS1_16scan_by_key_implILNS1_25lookback_scan_determinismE0ELb1ES3_N6thrust23THRUST_200600_302600_NS6detail15normal_iteratorINSB_10device_ptrIjEEEENSD_INSE_IS6_EEEESI_S6_NSB_4plusIvEENSB_8equal_toIvEES6_EE10hipError_tPvRmT2_T3_T4_T5_mT6_T7_P12ihipStream_tbENKUlT_T0_E_clISt17integral_constantIbLb0EES13_EEDaSY_SZ_EUlSY_E_NS1_11comp_targetILNS1_3genE10ELNS1_11target_archE1201ELNS1_3gpuE5ELNS1_3repE0EEENS1_30default_config_static_selectorELNS0_4arch9wavefront6targetE0EEEvT1_.numbered_sgpr, 0
	.set _ZN7rocprim17ROCPRIM_400000_NS6detail17trampoline_kernelINS0_14default_configENS1_27scan_by_key_config_selectorIj11FixedVectorIiLj4EEEEZZNS1_16scan_by_key_implILNS1_25lookback_scan_determinismE0ELb1ES3_N6thrust23THRUST_200600_302600_NS6detail15normal_iteratorINSB_10device_ptrIjEEEENSD_INSE_IS6_EEEESI_S6_NSB_4plusIvEENSB_8equal_toIvEES6_EE10hipError_tPvRmT2_T3_T4_T5_mT6_T7_P12ihipStream_tbENKUlT_T0_E_clISt17integral_constantIbLb0EES13_EEDaSY_SZ_EUlSY_E_NS1_11comp_targetILNS1_3genE10ELNS1_11target_archE1201ELNS1_3gpuE5ELNS1_3repE0EEENS1_30default_config_static_selectorELNS0_4arch9wavefront6targetE0EEEvT1_.num_named_barrier, 0
	.set _ZN7rocprim17ROCPRIM_400000_NS6detail17trampoline_kernelINS0_14default_configENS1_27scan_by_key_config_selectorIj11FixedVectorIiLj4EEEEZZNS1_16scan_by_key_implILNS1_25lookback_scan_determinismE0ELb1ES3_N6thrust23THRUST_200600_302600_NS6detail15normal_iteratorINSB_10device_ptrIjEEEENSD_INSE_IS6_EEEESI_S6_NSB_4plusIvEENSB_8equal_toIvEES6_EE10hipError_tPvRmT2_T3_T4_T5_mT6_T7_P12ihipStream_tbENKUlT_T0_E_clISt17integral_constantIbLb0EES13_EEDaSY_SZ_EUlSY_E_NS1_11comp_targetILNS1_3genE10ELNS1_11target_archE1201ELNS1_3gpuE5ELNS1_3repE0EEENS1_30default_config_static_selectorELNS0_4arch9wavefront6targetE0EEEvT1_.private_seg_size, 0
	.set _ZN7rocprim17ROCPRIM_400000_NS6detail17trampoline_kernelINS0_14default_configENS1_27scan_by_key_config_selectorIj11FixedVectorIiLj4EEEEZZNS1_16scan_by_key_implILNS1_25lookback_scan_determinismE0ELb1ES3_N6thrust23THRUST_200600_302600_NS6detail15normal_iteratorINSB_10device_ptrIjEEEENSD_INSE_IS6_EEEESI_S6_NSB_4plusIvEENSB_8equal_toIvEES6_EE10hipError_tPvRmT2_T3_T4_T5_mT6_T7_P12ihipStream_tbENKUlT_T0_E_clISt17integral_constantIbLb0EES13_EEDaSY_SZ_EUlSY_E_NS1_11comp_targetILNS1_3genE10ELNS1_11target_archE1201ELNS1_3gpuE5ELNS1_3repE0EEENS1_30default_config_static_selectorELNS0_4arch9wavefront6targetE0EEEvT1_.uses_vcc, 0
	.set _ZN7rocprim17ROCPRIM_400000_NS6detail17trampoline_kernelINS0_14default_configENS1_27scan_by_key_config_selectorIj11FixedVectorIiLj4EEEEZZNS1_16scan_by_key_implILNS1_25lookback_scan_determinismE0ELb1ES3_N6thrust23THRUST_200600_302600_NS6detail15normal_iteratorINSB_10device_ptrIjEEEENSD_INSE_IS6_EEEESI_S6_NSB_4plusIvEENSB_8equal_toIvEES6_EE10hipError_tPvRmT2_T3_T4_T5_mT6_T7_P12ihipStream_tbENKUlT_T0_E_clISt17integral_constantIbLb0EES13_EEDaSY_SZ_EUlSY_E_NS1_11comp_targetILNS1_3genE10ELNS1_11target_archE1201ELNS1_3gpuE5ELNS1_3repE0EEENS1_30default_config_static_selectorELNS0_4arch9wavefront6targetE0EEEvT1_.uses_flat_scratch, 0
	.set _ZN7rocprim17ROCPRIM_400000_NS6detail17trampoline_kernelINS0_14default_configENS1_27scan_by_key_config_selectorIj11FixedVectorIiLj4EEEEZZNS1_16scan_by_key_implILNS1_25lookback_scan_determinismE0ELb1ES3_N6thrust23THRUST_200600_302600_NS6detail15normal_iteratorINSB_10device_ptrIjEEEENSD_INSE_IS6_EEEESI_S6_NSB_4plusIvEENSB_8equal_toIvEES6_EE10hipError_tPvRmT2_T3_T4_T5_mT6_T7_P12ihipStream_tbENKUlT_T0_E_clISt17integral_constantIbLb0EES13_EEDaSY_SZ_EUlSY_E_NS1_11comp_targetILNS1_3genE10ELNS1_11target_archE1201ELNS1_3gpuE5ELNS1_3repE0EEENS1_30default_config_static_selectorELNS0_4arch9wavefront6targetE0EEEvT1_.has_dyn_sized_stack, 0
	.set _ZN7rocprim17ROCPRIM_400000_NS6detail17trampoline_kernelINS0_14default_configENS1_27scan_by_key_config_selectorIj11FixedVectorIiLj4EEEEZZNS1_16scan_by_key_implILNS1_25lookback_scan_determinismE0ELb1ES3_N6thrust23THRUST_200600_302600_NS6detail15normal_iteratorINSB_10device_ptrIjEEEENSD_INSE_IS6_EEEESI_S6_NSB_4plusIvEENSB_8equal_toIvEES6_EE10hipError_tPvRmT2_T3_T4_T5_mT6_T7_P12ihipStream_tbENKUlT_T0_E_clISt17integral_constantIbLb0EES13_EEDaSY_SZ_EUlSY_E_NS1_11comp_targetILNS1_3genE10ELNS1_11target_archE1201ELNS1_3gpuE5ELNS1_3repE0EEENS1_30default_config_static_selectorELNS0_4arch9wavefront6targetE0EEEvT1_.has_recursion, 0
	.set _ZN7rocprim17ROCPRIM_400000_NS6detail17trampoline_kernelINS0_14default_configENS1_27scan_by_key_config_selectorIj11FixedVectorIiLj4EEEEZZNS1_16scan_by_key_implILNS1_25lookback_scan_determinismE0ELb1ES3_N6thrust23THRUST_200600_302600_NS6detail15normal_iteratorINSB_10device_ptrIjEEEENSD_INSE_IS6_EEEESI_S6_NSB_4plusIvEENSB_8equal_toIvEES6_EE10hipError_tPvRmT2_T3_T4_T5_mT6_T7_P12ihipStream_tbENKUlT_T0_E_clISt17integral_constantIbLb0EES13_EEDaSY_SZ_EUlSY_E_NS1_11comp_targetILNS1_3genE10ELNS1_11target_archE1201ELNS1_3gpuE5ELNS1_3repE0EEENS1_30default_config_static_selectorELNS0_4arch9wavefront6targetE0EEEvT1_.has_indirect_call, 0
	.section	.AMDGPU.csdata,"",@progbits
; Kernel info:
; codeLenInByte = 0
; TotalNumSgprs: 0
; NumVgprs: 0
; ScratchSize: 0
; MemoryBound: 0
; FloatMode: 240
; IeeeMode: 1
; LDSByteSize: 0 bytes/workgroup (compile time only)
; SGPRBlocks: 0
; VGPRBlocks: 0
; NumSGPRsForWavesPerEU: 1
; NumVGPRsForWavesPerEU: 1
; Occupancy: 16
; WaveLimiterHint : 0
; COMPUTE_PGM_RSRC2:SCRATCH_EN: 0
; COMPUTE_PGM_RSRC2:USER_SGPR: 6
; COMPUTE_PGM_RSRC2:TRAP_HANDLER: 0
; COMPUTE_PGM_RSRC2:TGID_X_EN: 1
; COMPUTE_PGM_RSRC2:TGID_Y_EN: 0
; COMPUTE_PGM_RSRC2:TGID_Z_EN: 0
; COMPUTE_PGM_RSRC2:TIDIG_COMP_CNT: 0
	.section	.text._ZN7rocprim17ROCPRIM_400000_NS6detail17trampoline_kernelINS0_14default_configENS1_27scan_by_key_config_selectorIj11FixedVectorIiLj4EEEEZZNS1_16scan_by_key_implILNS1_25lookback_scan_determinismE0ELb1ES3_N6thrust23THRUST_200600_302600_NS6detail15normal_iteratorINSB_10device_ptrIjEEEENSD_INSE_IS6_EEEESI_S6_NSB_4plusIvEENSB_8equal_toIvEES6_EE10hipError_tPvRmT2_T3_T4_T5_mT6_T7_P12ihipStream_tbENKUlT_T0_E_clISt17integral_constantIbLb0EES13_EEDaSY_SZ_EUlSY_E_NS1_11comp_targetILNS1_3genE5ELNS1_11target_archE942ELNS1_3gpuE9ELNS1_3repE0EEENS1_30default_config_static_selectorELNS0_4arch9wavefront6targetE0EEEvT1_,"axG",@progbits,_ZN7rocprim17ROCPRIM_400000_NS6detail17trampoline_kernelINS0_14default_configENS1_27scan_by_key_config_selectorIj11FixedVectorIiLj4EEEEZZNS1_16scan_by_key_implILNS1_25lookback_scan_determinismE0ELb1ES3_N6thrust23THRUST_200600_302600_NS6detail15normal_iteratorINSB_10device_ptrIjEEEENSD_INSE_IS6_EEEESI_S6_NSB_4plusIvEENSB_8equal_toIvEES6_EE10hipError_tPvRmT2_T3_T4_T5_mT6_T7_P12ihipStream_tbENKUlT_T0_E_clISt17integral_constantIbLb0EES13_EEDaSY_SZ_EUlSY_E_NS1_11comp_targetILNS1_3genE5ELNS1_11target_archE942ELNS1_3gpuE9ELNS1_3repE0EEENS1_30default_config_static_selectorELNS0_4arch9wavefront6targetE0EEEvT1_,comdat
	.protected	_ZN7rocprim17ROCPRIM_400000_NS6detail17trampoline_kernelINS0_14default_configENS1_27scan_by_key_config_selectorIj11FixedVectorIiLj4EEEEZZNS1_16scan_by_key_implILNS1_25lookback_scan_determinismE0ELb1ES3_N6thrust23THRUST_200600_302600_NS6detail15normal_iteratorINSB_10device_ptrIjEEEENSD_INSE_IS6_EEEESI_S6_NSB_4plusIvEENSB_8equal_toIvEES6_EE10hipError_tPvRmT2_T3_T4_T5_mT6_T7_P12ihipStream_tbENKUlT_T0_E_clISt17integral_constantIbLb0EES13_EEDaSY_SZ_EUlSY_E_NS1_11comp_targetILNS1_3genE5ELNS1_11target_archE942ELNS1_3gpuE9ELNS1_3repE0EEENS1_30default_config_static_selectorELNS0_4arch9wavefront6targetE0EEEvT1_ ; -- Begin function _ZN7rocprim17ROCPRIM_400000_NS6detail17trampoline_kernelINS0_14default_configENS1_27scan_by_key_config_selectorIj11FixedVectorIiLj4EEEEZZNS1_16scan_by_key_implILNS1_25lookback_scan_determinismE0ELb1ES3_N6thrust23THRUST_200600_302600_NS6detail15normal_iteratorINSB_10device_ptrIjEEEENSD_INSE_IS6_EEEESI_S6_NSB_4plusIvEENSB_8equal_toIvEES6_EE10hipError_tPvRmT2_T3_T4_T5_mT6_T7_P12ihipStream_tbENKUlT_T0_E_clISt17integral_constantIbLb0EES13_EEDaSY_SZ_EUlSY_E_NS1_11comp_targetILNS1_3genE5ELNS1_11target_archE942ELNS1_3gpuE9ELNS1_3repE0EEENS1_30default_config_static_selectorELNS0_4arch9wavefront6targetE0EEEvT1_
	.globl	_ZN7rocprim17ROCPRIM_400000_NS6detail17trampoline_kernelINS0_14default_configENS1_27scan_by_key_config_selectorIj11FixedVectorIiLj4EEEEZZNS1_16scan_by_key_implILNS1_25lookback_scan_determinismE0ELb1ES3_N6thrust23THRUST_200600_302600_NS6detail15normal_iteratorINSB_10device_ptrIjEEEENSD_INSE_IS6_EEEESI_S6_NSB_4plusIvEENSB_8equal_toIvEES6_EE10hipError_tPvRmT2_T3_T4_T5_mT6_T7_P12ihipStream_tbENKUlT_T0_E_clISt17integral_constantIbLb0EES13_EEDaSY_SZ_EUlSY_E_NS1_11comp_targetILNS1_3genE5ELNS1_11target_archE942ELNS1_3gpuE9ELNS1_3repE0EEENS1_30default_config_static_selectorELNS0_4arch9wavefront6targetE0EEEvT1_
	.p2align	8
	.type	_ZN7rocprim17ROCPRIM_400000_NS6detail17trampoline_kernelINS0_14default_configENS1_27scan_by_key_config_selectorIj11FixedVectorIiLj4EEEEZZNS1_16scan_by_key_implILNS1_25lookback_scan_determinismE0ELb1ES3_N6thrust23THRUST_200600_302600_NS6detail15normal_iteratorINSB_10device_ptrIjEEEENSD_INSE_IS6_EEEESI_S6_NSB_4plusIvEENSB_8equal_toIvEES6_EE10hipError_tPvRmT2_T3_T4_T5_mT6_T7_P12ihipStream_tbENKUlT_T0_E_clISt17integral_constantIbLb0EES13_EEDaSY_SZ_EUlSY_E_NS1_11comp_targetILNS1_3genE5ELNS1_11target_archE942ELNS1_3gpuE9ELNS1_3repE0EEENS1_30default_config_static_selectorELNS0_4arch9wavefront6targetE0EEEvT1_,@function
_ZN7rocprim17ROCPRIM_400000_NS6detail17trampoline_kernelINS0_14default_configENS1_27scan_by_key_config_selectorIj11FixedVectorIiLj4EEEEZZNS1_16scan_by_key_implILNS1_25lookback_scan_determinismE0ELb1ES3_N6thrust23THRUST_200600_302600_NS6detail15normal_iteratorINSB_10device_ptrIjEEEENSD_INSE_IS6_EEEESI_S6_NSB_4plusIvEENSB_8equal_toIvEES6_EE10hipError_tPvRmT2_T3_T4_T5_mT6_T7_P12ihipStream_tbENKUlT_T0_E_clISt17integral_constantIbLb0EES13_EEDaSY_SZ_EUlSY_E_NS1_11comp_targetILNS1_3genE5ELNS1_11target_archE942ELNS1_3gpuE9ELNS1_3repE0EEENS1_30default_config_static_selectorELNS0_4arch9wavefront6targetE0EEEvT1_: ; @_ZN7rocprim17ROCPRIM_400000_NS6detail17trampoline_kernelINS0_14default_configENS1_27scan_by_key_config_selectorIj11FixedVectorIiLj4EEEEZZNS1_16scan_by_key_implILNS1_25lookback_scan_determinismE0ELb1ES3_N6thrust23THRUST_200600_302600_NS6detail15normal_iteratorINSB_10device_ptrIjEEEENSD_INSE_IS6_EEEESI_S6_NSB_4plusIvEENSB_8equal_toIvEES6_EE10hipError_tPvRmT2_T3_T4_T5_mT6_T7_P12ihipStream_tbENKUlT_T0_E_clISt17integral_constantIbLb0EES13_EEDaSY_SZ_EUlSY_E_NS1_11comp_targetILNS1_3genE5ELNS1_11target_archE942ELNS1_3gpuE9ELNS1_3repE0EEENS1_30default_config_static_selectorELNS0_4arch9wavefront6targetE0EEEvT1_
; %bb.0:
	.section	.rodata,"a",@progbits
	.p2align	6, 0x0
	.amdhsa_kernel _ZN7rocprim17ROCPRIM_400000_NS6detail17trampoline_kernelINS0_14default_configENS1_27scan_by_key_config_selectorIj11FixedVectorIiLj4EEEEZZNS1_16scan_by_key_implILNS1_25lookback_scan_determinismE0ELb1ES3_N6thrust23THRUST_200600_302600_NS6detail15normal_iteratorINSB_10device_ptrIjEEEENSD_INSE_IS6_EEEESI_S6_NSB_4plusIvEENSB_8equal_toIvEES6_EE10hipError_tPvRmT2_T3_T4_T5_mT6_T7_P12ihipStream_tbENKUlT_T0_E_clISt17integral_constantIbLb0EES13_EEDaSY_SZ_EUlSY_E_NS1_11comp_targetILNS1_3genE5ELNS1_11target_archE942ELNS1_3gpuE9ELNS1_3repE0EEENS1_30default_config_static_selectorELNS0_4arch9wavefront6targetE0EEEvT1_
		.amdhsa_group_segment_fixed_size 0
		.amdhsa_private_segment_fixed_size 0
		.amdhsa_kernarg_size 144
		.amdhsa_user_sgpr_count 6
		.amdhsa_user_sgpr_private_segment_buffer 1
		.amdhsa_user_sgpr_dispatch_ptr 0
		.amdhsa_user_sgpr_queue_ptr 0
		.amdhsa_user_sgpr_kernarg_segment_ptr 1
		.amdhsa_user_sgpr_dispatch_id 0
		.amdhsa_user_sgpr_flat_scratch_init 0
		.amdhsa_user_sgpr_private_segment_size 0
		.amdhsa_wavefront_size32 1
		.amdhsa_uses_dynamic_stack 0
		.amdhsa_system_sgpr_private_segment_wavefront_offset 0
		.amdhsa_system_sgpr_workgroup_id_x 1
		.amdhsa_system_sgpr_workgroup_id_y 0
		.amdhsa_system_sgpr_workgroup_id_z 0
		.amdhsa_system_sgpr_workgroup_info 0
		.amdhsa_system_vgpr_workitem_id 0
		.amdhsa_next_free_vgpr 1
		.amdhsa_next_free_sgpr 1
		.amdhsa_reserve_vcc 0
		.amdhsa_reserve_flat_scratch 0
		.amdhsa_float_round_mode_32 0
		.amdhsa_float_round_mode_16_64 0
		.amdhsa_float_denorm_mode_32 3
		.amdhsa_float_denorm_mode_16_64 3
		.amdhsa_dx10_clamp 1
		.amdhsa_ieee_mode 1
		.amdhsa_fp16_overflow 0
		.amdhsa_workgroup_processor_mode 1
		.amdhsa_memory_ordered 1
		.amdhsa_forward_progress 1
		.amdhsa_shared_vgpr_count 0
		.amdhsa_exception_fp_ieee_invalid_op 0
		.amdhsa_exception_fp_denorm_src 0
		.amdhsa_exception_fp_ieee_div_zero 0
		.amdhsa_exception_fp_ieee_overflow 0
		.amdhsa_exception_fp_ieee_underflow 0
		.amdhsa_exception_fp_ieee_inexact 0
		.amdhsa_exception_int_div_zero 0
	.end_amdhsa_kernel
	.section	.text._ZN7rocprim17ROCPRIM_400000_NS6detail17trampoline_kernelINS0_14default_configENS1_27scan_by_key_config_selectorIj11FixedVectorIiLj4EEEEZZNS1_16scan_by_key_implILNS1_25lookback_scan_determinismE0ELb1ES3_N6thrust23THRUST_200600_302600_NS6detail15normal_iteratorINSB_10device_ptrIjEEEENSD_INSE_IS6_EEEESI_S6_NSB_4plusIvEENSB_8equal_toIvEES6_EE10hipError_tPvRmT2_T3_T4_T5_mT6_T7_P12ihipStream_tbENKUlT_T0_E_clISt17integral_constantIbLb0EES13_EEDaSY_SZ_EUlSY_E_NS1_11comp_targetILNS1_3genE5ELNS1_11target_archE942ELNS1_3gpuE9ELNS1_3repE0EEENS1_30default_config_static_selectorELNS0_4arch9wavefront6targetE0EEEvT1_,"axG",@progbits,_ZN7rocprim17ROCPRIM_400000_NS6detail17trampoline_kernelINS0_14default_configENS1_27scan_by_key_config_selectorIj11FixedVectorIiLj4EEEEZZNS1_16scan_by_key_implILNS1_25lookback_scan_determinismE0ELb1ES3_N6thrust23THRUST_200600_302600_NS6detail15normal_iteratorINSB_10device_ptrIjEEEENSD_INSE_IS6_EEEESI_S6_NSB_4plusIvEENSB_8equal_toIvEES6_EE10hipError_tPvRmT2_T3_T4_T5_mT6_T7_P12ihipStream_tbENKUlT_T0_E_clISt17integral_constantIbLb0EES13_EEDaSY_SZ_EUlSY_E_NS1_11comp_targetILNS1_3genE5ELNS1_11target_archE942ELNS1_3gpuE9ELNS1_3repE0EEENS1_30default_config_static_selectorELNS0_4arch9wavefront6targetE0EEEvT1_,comdat
.Lfunc_end2077:
	.size	_ZN7rocprim17ROCPRIM_400000_NS6detail17trampoline_kernelINS0_14default_configENS1_27scan_by_key_config_selectorIj11FixedVectorIiLj4EEEEZZNS1_16scan_by_key_implILNS1_25lookback_scan_determinismE0ELb1ES3_N6thrust23THRUST_200600_302600_NS6detail15normal_iteratorINSB_10device_ptrIjEEEENSD_INSE_IS6_EEEESI_S6_NSB_4plusIvEENSB_8equal_toIvEES6_EE10hipError_tPvRmT2_T3_T4_T5_mT6_T7_P12ihipStream_tbENKUlT_T0_E_clISt17integral_constantIbLb0EES13_EEDaSY_SZ_EUlSY_E_NS1_11comp_targetILNS1_3genE5ELNS1_11target_archE942ELNS1_3gpuE9ELNS1_3repE0EEENS1_30default_config_static_selectorELNS0_4arch9wavefront6targetE0EEEvT1_, .Lfunc_end2077-_ZN7rocprim17ROCPRIM_400000_NS6detail17trampoline_kernelINS0_14default_configENS1_27scan_by_key_config_selectorIj11FixedVectorIiLj4EEEEZZNS1_16scan_by_key_implILNS1_25lookback_scan_determinismE0ELb1ES3_N6thrust23THRUST_200600_302600_NS6detail15normal_iteratorINSB_10device_ptrIjEEEENSD_INSE_IS6_EEEESI_S6_NSB_4plusIvEENSB_8equal_toIvEES6_EE10hipError_tPvRmT2_T3_T4_T5_mT6_T7_P12ihipStream_tbENKUlT_T0_E_clISt17integral_constantIbLb0EES13_EEDaSY_SZ_EUlSY_E_NS1_11comp_targetILNS1_3genE5ELNS1_11target_archE942ELNS1_3gpuE9ELNS1_3repE0EEENS1_30default_config_static_selectorELNS0_4arch9wavefront6targetE0EEEvT1_
                                        ; -- End function
	.set _ZN7rocprim17ROCPRIM_400000_NS6detail17trampoline_kernelINS0_14default_configENS1_27scan_by_key_config_selectorIj11FixedVectorIiLj4EEEEZZNS1_16scan_by_key_implILNS1_25lookback_scan_determinismE0ELb1ES3_N6thrust23THRUST_200600_302600_NS6detail15normal_iteratorINSB_10device_ptrIjEEEENSD_INSE_IS6_EEEESI_S6_NSB_4plusIvEENSB_8equal_toIvEES6_EE10hipError_tPvRmT2_T3_T4_T5_mT6_T7_P12ihipStream_tbENKUlT_T0_E_clISt17integral_constantIbLb0EES13_EEDaSY_SZ_EUlSY_E_NS1_11comp_targetILNS1_3genE5ELNS1_11target_archE942ELNS1_3gpuE9ELNS1_3repE0EEENS1_30default_config_static_selectorELNS0_4arch9wavefront6targetE0EEEvT1_.num_vgpr, 0
	.set _ZN7rocprim17ROCPRIM_400000_NS6detail17trampoline_kernelINS0_14default_configENS1_27scan_by_key_config_selectorIj11FixedVectorIiLj4EEEEZZNS1_16scan_by_key_implILNS1_25lookback_scan_determinismE0ELb1ES3_N6thrust23THRUST_200600_302600_NS6detail15normal_iteratorINSB_10device_ptrIjEEEENSD_INSE_IS6_EEEESI_S6_NSB_4plusIvEENSB_8equal_toIvEES6_EE10hipError_tPvRmT2_T3_T4_T5_mT6_T7_P12ihipStream_tbENKUlT_T0_E_clISt17integral_constantIbLb0EES13_EEDaSY_SZ_EUlSY_E_NS1_11comp_targetILNS1_3genE5ELNS1_11target_archE942ELNS1_3gpuE9ELNS1_3repE0EEENS1_30default_config_static_selectorELNS0_4arch9wavefront6targetE0EEEvT1_.num_agpr, 0
	.set _ZN7rocprim17ROCPRIM_400000_NS6detail17trampoline_kernelINS0_14default_configENS1_27scan_by_key_config_selectorIj11FixedVectorIiLj4EEEEZZNS1_16scan_by_key_implILNS1_25lookback_scan_determinismE0ELb1ES3_N6thrust23THRUST_200600_302600_NS6detail15normal_iteratorINSB_10device_ptrIjEEEENSD_INSE_IS6_EEEESI_S6_NSB_4plusIvEENSB_8equal_toIvEES6_EE10hipError_tPvRmT2_T3_T4_T5_mT6_T7_P12ihipStream_tbENKUlT_T0_E_clISt17integral_constantIbLb0EES13_EEDaSY_SZ_EUlSY_E_NS1_11comp_targetILNS1_3genE5ELNS1_11target_archE942ELNS1_3gpuE9ELNS1_3repE0EEENS1_30default_config_static_selectorELNS0_4arch9wavefront6targetE0EEEvT1_.numbered_sgpr, 0
	.set _ZN7rocprim17ROCPRIM_400000_NS6detail17trampoline_kernelINS0_14default_configENS1_27scan_by_key_config_selectorIj11FixedVectorIiLj4EEEEZZNS1_16scan_by_key_implILNS1_25lookback_scan_determinismE0ELb1ES3_N6thrust23THRUST_200600_302600_NS6detail15normal_iteratorINSB_10device_ptrIjEEEENSD_INSE_IS6_EEEESI_S6_NSB_4plusIvEENSB_8equal_toIvEES6_EE10hipError_tPvRmT2_T3_T4_T5_mT6_T7_P12ihipStream_tbENKUlT_T0_E_clISt17integral_constantIbLb0EES13_EEDaSY_SZ_EUlSY_E_NS1_11comp_targetILNS1_3genE5ELNS1_11target_archE942ELNS1_3gpuE9ELNS1_3repE0EEENS1_30default_config_static_selectorELNS0_4arch9wavefront6targetE0EEEvT1_.num_named_barrier, 0
	.set _ZN7rocprim17ROCPRIM_400000_NS6detail17trampoline_kernelINS0_14default_configENS1_27scan_by_key_config_selectorIj11FixedVectorIiLj4EEEEZZNS1_16scan_by_key_implILNS1_25lookback_scan_determinismE0ELb1ES3_N6thrust23THRUST_200600_302600_NS6detail15normal_iteratorINSB_10device_ptrIjEEEENSD_INSE_IS6_EEEESI_S6_NSB_4plusIvEENSB_8equal_toIvEES6_EE10hipError_tPvRmT2_T3_T4_T5_mT6_T7_P12ihipStream_tbENKUlT_T0_E_clISt17integral_constantIbLb0EES13_EEDaSY_SZ_EUlSY_E_NS1_11comp_targetILNS1_3genE5ELNS1_11target_archE942ELNS1_3gpuE9ELNS1_3repE0EEENS1_30default_config_static_selectorELNS0_4arch9wavefront6targetE0EEEvT1_.private_seg_size, 0
	.set _ZN7rocprim17ROCPRIM_400000_NS6detail17trampoline_kernelINS0_14default_configENS1_27scan_by_key_config_selectorIj11FixedVectorIiLj4EEEEZZNS1_16scan_by_key_implILNS1_25lookback_scan_determinismE0ELb1ES3_N6thrust23THRUST_200600_302600_NS6detail15normal_iteratorINSB_10device_ptrIjEEEENSD_INSE_IS6_EEEESI_S6_NSB_4plusIvEENSB_8equal_toIvEES6_EE10hipError_tPvRmT2_T3_T4_T5_mT6_T7_P12ihipStream_tbENKUlT_T0_E_clISt17integral_constantIbLb0EES13_EEDaSY_SZ_EUlSY_E_NS1_11comp_targetILNS1_3genE5ELNS1_11target_archE942ELNS1_3gpuE9ELNS1_3repE0EEENS1_30default_config_static_selectorELNS0_4arch9wavefront6targetE0EEEvT1_.uses_vcc, 0
	.set _ZN7rocprim17ROCPRIM_400000_NS6detail17trampoline_kernelINS0_14default_configENS1_27scan_by_key_config_selectorIj11FixedVectorIiLj4EEEEZZNS1_16scan_by_key_implILNS1_25lookback_scan_determinismE0ELb1ES3_N6thrust23THRUST_200600_302600_NS6detail15normal_iteratorINSB_10device_ptrIjEEEENSD_INSE_IS6_EEEESI_S6_NSB_4plusIvEENSB_8equal_toIvEES6_EE10hipError_tPvRmT2_T3_T4_T5_mT6_T7_P12ihipStream_tbENKUlT_T0_E_clISt17integral_constantIbLb0EES13_EEDaSY_SZ_EUlSY_E_NS1_11comp_targetILNS1_3genE5ELNS1_11target_archE942ELNS1_3gpuE9ELNS1_3repE0EEENS1_30default_config_static_selectorELNS0_4arch9wavefront6targetE0EEEvT1_.uses_flat_scratch, 0
	.set _ZN7rocprim17ROCPRIM_400000_NS6detail17trampoline_kernelINS0_14default_configENS1_27scan_by_key_config_selectorIj11FixedVectorIiLj4EEEEZZNS1_16scan_by_key_implILNS1_25lookback_scan_determinismE0ELb1ES3_N6thrust23THRUST_200600_302600_NS6detail15normal_iteratorINSB_10device_ptrIjEEEENSD_INSE_IS6_EEEESI_S6_NSB_4plusIvEENSB_8equal_toIvEES6_EE10hipError_tPvRmT2_T3_T4_T5_mT6_T7_P12ihipStream_tbENKUlT_T0_E_clISt17integral_constantIbLb0EES13_EEDaSY_SZ_EUlSY_E_NS1_11comp_targetILNS1_3genE5ELNS1_11target_archE942ELNS1_3gpuE9ELNS1_3repE0EEENS1_30default_config_static_selectorELNS0_4arch9wavefront6targetE0EEEvT1_.has_dyn_sized_stack, 0
	.set _ZN7rocprim17ROCPRIM_400000_NS6detail17trampoline_kernelINS0_14default_configENS1_27scan_by_key_config_selectorIj11FixedVectorIiLj4EEEEZZNS1_16scan_by_key_implILNS1_25lookback_scan_determinismE0ELb1ES3_N6thrust23THRUST_200600_302600_NS6detail15normal_iteratorINSB_10device_ptrIjEEEENSD_INSE_IS6_EEEESI_S6_NSB_4plusIvEENSB_8equal_toIvEES6_EE10hipError_tPvRmT2_T3_T4_T5_mT6_T7_P12ihipStream_tbENKUlT_T0_E_clISt17integral_constantIbLb0EES13_EEDaSY_SZ_EUlSY_E_NS1_11comp_targetILNS1_3genE5ELNS1_11target_archE942ELNS1_3gpuE9ELNS1_3repE0EEENS1_30default_config_static_selectorELNS0_4arch9wavefront6targetE0EEEvT1_.has_recursion, 0
	.set _ZN7rocprim17ROCPRIM_400000_NS6detail17trampoline_kernelINS0_14default_configENS1_27scan_by_key_config_selectorIj11FixedVectorIiLj4EEEEZZNS1_16scan_by_key_implILNS1_25lookback_scan_determinismE0ELb1ES3_N6thrust23THRUST_200600_302600_NS6detail15normal_iteratorINSB_10device_ptrIjEEEENSD_INSE_IS6_EEEESI_S6_NSB_4plusIvEENSB_8equal_toIvEES6_EE10hipError_tPvRmT2_T3_T4_T5_mT6_T7_P12ihipStream_tbENKUlT_T0_E_clISt17integral_constantIbLb0EES13_EEDaSY_SZ_EUlSY_E_NS1_11comp_targetILNS1_3genE5ELNS1_11target_archE942ELNS1_3gpuE9ELNS1_3repE0EEENS1_30default_config_static_selectorELNS0_4arch9wavefront6targetE0EEEvT1_.has_indirect_call, 0
	.section	.AMDGPU.csdata,"",@progbits
; Kernel info:
; codeLenInByte = 0
; TotalNumSgprs: 0
; NumVgprs: 0
; ScratchSize: 0
; MemoryBound: 0
; FloatMode: 240
; IeeeMode: 1
; LDSByteSize: 0 bytes/workgroup (compile time only)
; SGPRBlocks: 0
; VGPRBlocks: 0
; NumSGPRsForWavesPerEU: 1
; NumVGPRsForWavesPerEU: 1
; Occupancy: 16
; WaveLimiterHint : 0
; COMPUTE_PGM_RSRC2:SCRATCH_EN: 0
; COMPUTE_PGM_RSRC2:USER_SGPR: 6
; COMPUTE_PGM_RSRC2:TRAP_HANDLER: 0
; COMPUTE_PGM_RSRC2:TGID_X_EN: 1
; COMPUTE_PGM_RSRC2:TGID_Y_EN: 0
; COMPUTE_PGM_RSRC2:TGID_Z_EN: 0
; COMPUTE_PGM_RSRC2:TIDIG_COMP_CNT: 0
	.section	.text._ZN7rocprim17ROCPRIM_400000_NS6detail17trampoline_kernelINS0_14default_configENS1_27scan_by_key_config_selectorIj11FixedVectorIiLj4EEEEZZNS1_16scan_by_key_implILNS1_25lookback_scan_determinismE0ELb1ES3_N6thrust23THRUST_200600_302600_NS6detail15normal_iteratorINSB_10device_ptrIjEEEENSD_INSE_IS6_EEEESI_S6_NSB_4plusIvEENSB_8equal_toIvEES6_EE10hipError_tPvRmT2_T3_T4_T5_mT6_T7_P12ihipStream_tbENKUlT_T0_E_clISt17integral_constantIbLb0EES13_EEDaSY_SZ_EUlSY_E_NS1_11comp_targetILNS1_3genE4ELNS1_11target_archE910ELNS1_3gpuE8ELNS1_3repE0EEENS1_30default_config_static_selectorELNS0_4arch9wavefront6targetE0EEEvT1_,"axG",@progbits,_ZN7rocprim17ROCPRIM_400000_NS6detail17trampoline_kernelINS0_14default_configENS1_27scan_by_key_config_selectorIj11FixedVectorIiLj4EEEEZZNS1_16scan_by_key_implILNS1_25lookback_scan_determinismE0ELb1ES3_N6thrust23THRUST_200600_302600_NS6detail15normal_iteratorINSB_10device_ptrIjEEEENSD_INSE_IS6_EEEESI_S6_NSB_4plusIvEENSB_8equal_toIvEES6_EE10hipError_tPvRmT2_T3_T4_T5_mT6_T7_P12ihipStream_tbENKUlT_T0_E_clISt17integral_constantIbLb0EES13_EEDaSY_SZ_EUlSY_E_NS1_11comp_targetILNS1_3genE4ELNS1_11target_archE910ELNS1_3gpuE8ELNS1_3repE0EEENS1_30default_config_static_selectorELNS0_4arch9wavefront6targetE0EEEvT1_,comdat
	.protected	_ZN7rocprim17ROCPRIM_400000_NS6detail17trampoline_kernelINS0_14default_configENS1_27scan_by_key_config_selectorIj11FixedVectorIiLj4EEEEZZNS1_16scan_by_key_implILNS1_25lookback_scan_determinismE0ELb1ES3_N6thrust23THRUST_200600_302600_NS6detail15normal_iteratorINSB_10device_ptrIjEEEENSD_INSE_IS6_EEEESI_S6_NSB_4plusIvEENSB_8equal_toIvEES6_EE10hipError_tPvRmT2_T3_T4_T5_mT6_T7_P12ihipStream_tbENKUlT_T0_E_clISt17integral_constantIbLb0EES13_EEDaSY_SZ_EUlSY_E_NS1_11comp_targetILNS1_3genE4ELNS1_11target_archE910ELNS1_3gpuE8ELNS1_3repE0EEENS1_30default_config_static_selectorELNS0_4arch9wavefront6targetE0EEEvT1_ ; -- Begin function _ZN7rocprim17ROCPRIM_400000_NS6detail17trampoline_kernelINS0_14default_configENS1_27scan_by_key_config_selectorIj11FixedVectorIiLj4EEEEZZNS1_16scan_by_key_implILNS1_25lookback_scan_determinismE0ELb1ES3_N6thrust23THRUST_200600_302600_NS6detail15normal_iteratorINSB_10device_ptrIjEEEENSD_INSE_IS6_EEEESI_S6_NSB_4plusIvEENSB_8equal_toIvEES6_EE10hipError_tPvRmT2_T3_T4_T5_mT6_T7_P12ihipStream_tbENKUlT_T0_E_clISt17integral_constantIbLb0EES13_EEDaSY_SZ_EUlSY_E_NS1_11comp_targetILNS1_3genE4ELNS1_11target_archE910ELNS1_3gpuE8ELNS1_3repE0EEENS1_30default_config_static_selectorELNS0_4arch9wavefront6targetE0EEEvT1_
	.globl	_ZN7rocprim17ROCPRIM_400000_NS6detail17trampoline_kernelINS0_14default_configENS1_27scan_by_key_config_selectorIj11FixedVectorIiLj4EEEEZZNS1_16scan_by_key_implILNS1_25lookback_scan_determinismE0ELb1ES3_N6thrust23THRUST_200600_302600_NS6detail15normal_iteratorINSB_10device_ptrIjEEEENSD_INSE_IS6_EEEESI_S6_NSB_4plusIvEENSB_8equal_toIvEES6_EE10hipError_tPvRmT2_T3_T4_T5_mT6_T7_P12ihipStream_tbENKUlT_T0_E_clISt17integral_constantIbLb0EES13_EEDaSY_SZ_EUlSY_E_NS1_11comp_targetILNS1_3genE4ELNS1_11target_archE910ELNS1_3gpuE8ELNS1_3repE0EEENS1_30default_config_static_selectorELNS0_4arch9wavefront6targetE0EEEvT1_
	.p2align	8
	.type	_ZN7rocprim17ROCPRIM_400000_NS6detail17trampoline_kernelINS0_14default_configENS1_27scan_by_key_config_selectorIj11FixedVectorIiLj4EEEEZZNS1_16scan_by_key_implILNS1_25lookback_scan_determinismE0ELb1ES3_N6thrust23THRUST_200600_302600_NS6detail15normal_iteratorINSB_10device_ptrIjEEEENSD_INSE_IS6_EEEESI_S6_NSB_4plusIvEENSB_8equal_toIvEES6_EE10hipError_tPvRmT2_T3_T4_T5_mT6_T7_P12ihipStream_tbENKUlT_T0_E_clISt17integral_constantIbLb0EES13_EEDaSY_SZ_EUlSY_E_NS1_11comp_targetILNS1_3genE4ELNS1_11target_archE910ELNS1_3gpuE8ELNS1_3repE0EEENS1_30default_config_static_selectorELNS0_4arch9wavefront6targetE0EEEvT1_,@function
_ZN7rocprim17ROCPRIM_400000_NS6detail17trampoline_kernelINS0_14default_configENS1_27scan_by_key_config_selectorIj11FixedVectorIiLj4EEEEZZNS1_16scan_by_key_implILNS1_25lookback_scan_determinismE0ELb1ES3_N6thrust23THRUST_200600_302600_NS6detail15normal_iteratorINSB_10device_ptrIjEEEENSD_INSE_IS6_EEEESI_S6_NSB_4plusIvEENSB_8equal_toIvEES6_EE10hipError_tPvRmT2_T3_T4_T5_mT6_T7_P12ihipStream_tbENKUlT_T0_E_clISt17integral_constantIbLb0EES13_EEDaSY_SZ_EUlSY_E_NS1_11comp_targetILNS1_3genE4ELNS1_11target_archE910ELNS1_3gpuE8ELNS1_3repE0EEENS1_30default_config_static_selectorELNS0_4arch9wavefront6targetE0EEEvT1_: ; @_ZN7rocprim17ROCPRIM_400000_NS6detail17trampoline_kernelINS0_14default_configENS1_27scan_by_key_config_selectorIj11FixedVectorIiLj4EEEEZZNS1_16scan_by_key_implILNS1_25lookback_scan_determinismE0ELb1ES3_N6thrust23THRUST_200600_302600_NS6detail15normal_iteratorINSB_10device_ptrIjEEEENSD_INSE_IS6_EEEESI_S6_NSB_4plusIvEENSB_8equal_toIvEES6_EE10hipError_tPvRmT2_T3_T4_T5_mT6_T7_P12ihipStream_tbENKUlT_T0_E_clISt17integral_constantIbLb0EES13_EEDaSY_SZ_EUlSY_E_NS1_11comp_targetILNS1_3genE4ELNS1_11target_archE910ELNS1_3gpuE8ELNS1_3repE0EEENS1_30default_config_static_selectorELNS0_4arch9wavefront6targetE0EEEvT1_
; %bb.0:
	.section	.rodata,"a",@progbits
	.p2align	6, 0x0
	.amdhsa_kernel _ZN7rocprim17ROCPRIM_400000_NS6detail17trampoline_kernelINS0_14default_configENS1_27scan_by_key_config_selectorIj11FixedVectorIiLj4EEEEZZNS1_16scan_by_key_implILNS1_25lookback_scan_determinismE0ELb1ES3_N6thrust23THRUST_200600_302600_NS6detail15normal_iteratorINSB_10device_ptrIjEEEENSD_INSE_IS6_EEEESI_S6_NSB_4plusIvEENSB_8equal_toIvEES6_EE10hipError_tPvRmT2_T3_T4_T5_mT6_T7_P12ihipStream_tbENKUlT_T0_E_clISt17integral_constantIbLb0EES13_EEDaSY_SZ_EUlSY_E_NS1_11comp_targetILNS1_3genE4ELNS1_11target_archE910ELNS1_3gpuE8ELNS1_3repE0EEENS1_30default_config_static_selectorELNS0_4arch9wavefront6targetE0EEEvT1_
		.amdhsa_group_segment_fixed_size 0
		.amdhsa_private_segment_fixed_size 0
		.amdhsa_kernarg_size 144
		.amdhsa_user_sgpr_count 6
		.amdhsa_user_sgpr_private_segment_buffer 1
		.amdhsa_user_sgpr_dispatch_ptr 0
		.amdhsa_user_sgpr_queue_ptr 0
		.amdhsa_user_sgpr_kernarg_segment_ptr 1
		.amdhsa_user_sgpr_dispatch_id 0
		.amdhsa_user_sgpr_flat_scratch_init 0
		.amdhsa_user_sgpr_private_segment_size 0
		.amdhsa_wavefront_size32 1
		.amdhsa_uses_dynamic_stack 0
		.amdhsa_system_sgpr_private_segment_wavefront_offset 0
		.amdhsa_system_sgpr_workgroup_id_x 1
		.amdhsa_system_sgpr_workgroup_id_y 0
		.amdhsa_system_sgpr_workgroup_id_z 0
		.amdhsa_system_sgpr_workgroup_info 0
		.amdhsa_system_vgpr_workitem_id 0
		.amdhsa_next_free_vgpr 1
		.amdhsa_next_free_sgpr 1
		.amdhsa_reserve_vcc 0
		.amdhsa_reserve_flat_scratch 0
		.amdhsa_float_round_mode_32 0
		.amdhsa_float_round_mode_16_64 0
		.amdhsa_float_denorm_mode_32 3
		.amdhsa_float_denorm_mode_16_64 3
		.amdhsa_dx10_clamp 1
		.amdhsa_ieee_mode 1
		.amdhsa_fp16_overflow 0
		.amdhsa_workgroup_processor_mode 1
		.amdhsa_memory_ordered 1
		.amdhsa_forward_progress 1
		.amdhsa_shared_vgpr_count 0
		.amdhsa_exception_fp_ieee_invalid_op 0
		.amdhsa_exception_fp_denorm_src 0
		.amdhsa_exception_fp_ieee_div_zero 0
		.amdhsa_exception_fp_ieee_overflow 0
		.amdhsa_exception_fp_ieee_underflow 0
		.amdhsa_exception_fp_ieee_inexact 0
		.amdhsa_exception_int_div_zero 0
	.end_amdhsa_kernel
	.section	.text._ZN7rocprim17ROCPRIM_400000_NS6detail17trampoline_kernelINS0_14default_configENS1_27scan_by_key_config_selectorIj11FixedVectorIiLj4EEEEZZNS1_16scan_by_key_implILNS1_25lookback_scan_determinismE0ELb1ES3_N6thrust23THRUST_200600_302600_NS6detail15normal_iteratorINSB_10device_ptrIjEEEENSD_INSE_IS6_EEEESI_S6_NSB_4plusIvEENSB_8equal_toIvEES6_EE10hipError_tPvRmT2_T3_T4_T5_mT6_T7_P12ihipStream_tbENKUlT_T0_E_clISt17integral_constantIbLb0EES13_EEDaSY_SZ_EUlSY_E_NS1_11comp_targetILNS1_3genE4ELNS1_11target_archE910ELNS1_3gpuE8ELNS1_3repE0EEENS1_30default_config_static_selectorELNS0_4arch9wavefront6targetE0EEEvT1_,"axG",@progbits,_ZN7rocprim17ROCPRIM_400000_NS6detail17trampoline_kernelINS0_14default_configENS1_27scan_by_key_config_selectorIj11FixedVectorIiLj4EEEEZZNS1_16scan_by_key_implILNS1_25lookback_scan_determinismE0ELb1ES3_N6thrust23THRUST_200600_302600_NS6detail15normal_iteratorINSB_10device_ptrIjEEEENSD_INSE_IS6_EEEESI_S6_NSB_4plusIvEENSB_8equal_toIvEES6_EE10hipError_tPvRmT2_T3_T4_T5_mT6_T7_P12ihipStream_tbENKUlT_T0_E_clISt17integral_constantIbLb0EES13_EEDaSY_SZ_EUlSY_E_NS1_11comp_targetILNS1_3genE4ELNS1_11target_archE910ELNS1_3gpuE8ELNS1_3repE0EEENS1_30default_config_static_selectorELNS0_4arch9wavefront6targetE0EEEvT1_,comdat
.Lfunc_end2078:
	.size	_ZN7rocprim17ROCPRIM_400000_NS6detail17trampoline_kernelINS0_14default_configENS1_27scan_by_key_config_selectorIj11FixedVectorIiLj4EEEEZZNS1_16scan_by_key_implILNS1_25lookback_scan_determinismE0ELb1ES3_N6thrust23THRUST_200600_302600_NS6detail15normal_iteratorINSB_10device_ptrIjEEEENSD_INSE_IS6_EEEESI_S6_NSB_4plusIvEENSB_8equal_toIvEES6_EE10hipError_tPvRmT2_T3_T4_T5_mT6_T7_P12ihipStream_tbENKUlT_T0_E_clISt17integral_constantIbLb0EES13_EEDaSY_SZ_EUlSY_E_NS1_11comp_targetILNS1_3genE4ELNS1_11target_archE910ELNS1_3gpuE8ELNS1_3repE0EEENS1_30default_config_static_selectorELNS0_4arch9wavefront6targetE0EEEvT1_, .Lfunc_end2078-_ZN7rocprim17ROCPRIM_400000_NS6detail17trampoline_kernelINS0_14default_configENS1_27scan_by_key_config_selectorIj11FixedVectorIiLj4EEEEZZNS1_16scan_by_key_implILNS1_25lookback_scan_determinismE0ELb1ES3_N6thrust23THRUST_200600_302600_NS6detail15normal_iteratorINSB_10device_ptrIjEEEENSD_INSE_IS6_EEEESI_S6_NSB_4plusIvEENSB_8equal_toIvEES6_EE10hipError_tPvRmT2_T3_T4_T5_mT6_T7_P12ihipStream_tbENKUlT_T0_E_clISt17integral_constantIbLb0EES13_EEDaSY_SZ_EUlSY_E_NS1_11comp_targetILNS1_3genE4ELNS1_11target_archE910ELNS1_3gpuE8ELNS1_3repE0EEENS1_30default_config_static_selectorELNS0_4arch9wavefront6targetE0EEEvT1_
                                        ; -- End function
	.set _ZN7rocprim17ROCPRIM_400000_NS6detail17trampoline_kernelINS0_14default_configENS1_27scan_by_key_config_selectorIj11FixedVectorIiLj4EEEEZZNS1_16scan_by_key_implILNS1_25lookback_scan_determinismE0ELb1ES3_N6thrust23THRUST_200600_302600_NS6detail15normal_iteratorINSB_10device_ptrIjEEEENSD_INSE_IS6_EEEESI_S6_NSB_4plusIvEENSB_8equal_toIvEES6_EE10hipError_tPvRmT2_T3_T4_T5_mT6_T7_P12ihipStream_tbENKUlT_T0_E_clISt17integral_constantIbLb0EES13_EEDaSY_SZ_EUlSY_E_NS1_11comp_targetILNS1_3genE4ELNS1_11target_archE910ELNS1_3gpuE8ELNS1_3repE0EEENS1_30default_config_static_selectorELNS0_4arch9wavefront6targetE0EEEvT1_.num_vgpr, 0
	.set _ZN7rocprim17ROCPRIM_400000_NS6detail17trampoline_kernelINS0_14default_configENS1_27scan_by_key_config_selectorIj11FixedVectorIiLj4EEEEZZNS1_16scan_by_key_implILNS1_25lookback_scan_determinismE0ELb1ES3_N6thrust23THRUST_200600_302600_NS6detail15normal_iteratorINSB_10device_ptrIjEEEENSD_INSE_IS6_EEEESI_S6_NSB_4plusIvEENSB_8equal_toIvEES6_EE10hipError_tPvRmT2_T3_T4_T5_mT6_T7_P12ihipStream_tbENKUlT_T0_E_clISt17integral_constantIbLb0EES13_EEDaSY_SZ_EUlSY_E_NS1_11comp_targetILNS1_3genE4ELNS1_11target_archE910ELNS1_3gpuE8ELNS1_3repE0EEENS1_30default_config_static_selectorELNS0_4arch9wavefront6targetE0EEEvT1_.num_agpr, 0
	.set _ZN7rocprim17ROCPRIM_400000_NS6detail17trampoline_kernelINS0_14default_configENS1_27scan_by_key_config_selectorIj11FixedVectorIiLj4EEEEZZNS1_16scan_by_key_implILNS1_25lookback_scan_determinismE0ELb1ES3_N6thrust23THRUST_200600_302600_NS6detail15normal_iteratorINSB_10device_ptrIjEEEENSD_INSE_IS6_EEEESI_S6_NSB_4plusIvEENSB_8equal_toIvEES6_EE10hipError_tPvRmT2_T3_T4_T5_mT6_T7_P12ihipStream_tbENKUlT_T0_E_clISt17integral_constantIbLb0EES13_EEDaSY_SZ_EUlSY_E_NS1_11comp_targetILNS1_3genE4ELNS1_11target_archE910ELNS1_3gpuE8ELNS1_3repE0EEENS1_30default_config_static_selectorELNS0_4arch9wavefront6targetE0EEEvT1_.numbered_sgpr, 0
	.set _ZN7rocprim17ROCPRIM_400000_NS6detail17trampoline_kernelINS0_14default_configENS1_27scan_by_key_config_selectorIj11FixedVectorIiLj4EEEEZZNS1_16scan_by_key_implILNS1_25lookback_scan_determinismE0ELb1ES3_N6thrust23THRUST_200600_302600_NS6detail15normal_iteratorINSB_10device_ptrIjEEEENSD_INSE_IS6_EEEESI_S6_NSB_4plusIvEENSB_8equal_toIvEES6_EE10hipError_tPvRmT2_T3_T4_T5_mT6_T7_P12ihipStream_tbENKUlT_T0_E_clISt17integral_constantIbLb0EES13_EEDaSY_SZ_EUlSY_E_NS1_11comp_targetILNS1_3genE4ELNS1_11target_archE910ELNS1_3gpuE8ELNS1_3repE0EEENS1_30default_config_static_selectorELNS0_4arch9wavefront6targetE0EEEvT1_.num_named_barrier, 0
	.set _ZN7rocprim17ROCPRIM_400000_NS6detail17trampoline_kernelINS0_14default_configENS1_27scan_by_key_config_selectorIj11FixedVectorIiLj4EEEEZZNS1_16scan_by_key_implILNS1_25lookback_scan_determinismE0ELb1ES3_N6thrust23THRUST_200600_302600_NS6detail15normal_iteratorINSB_10device_ptrIjEEEENSD_INSE_IS6_EEEESI_S6_NSB_4plusIvEENSB_8equal_toIvEES6_EE10hipError_tPvRmT2_T3_T4_T5_mT6_T7_P12ihipStream_tbENKUlT_T0_E_clISt17integral_constantIbLb0EES13_EEDaSY_SZ_EUlSY_E_NS1_11comp_targetILNS1_3genE4ELNS1_11target_archE910ELNS1_3gpuE8ELNS1_3repE0EEENS1_30default_config_static_selectorELNS0_4arch9wavefront6targetE0EEEvT1_.private_seg_size, 0
	.set _ZN7rocprim17ROCPRIM_400000_NS6detail17trampoline_kernelINS0_14default_configENS1_27scan_by_key_config_selectorIj11FixedVectorIiLj4EEEEZZNS1_16scan_by_key_implILNS1_25lookback_scan_determinismE0ELb1ES3_N6thrust23THRUST_200600_302600_NS6detail15normal_iteratorINSB_10device_ptrIjEEEENSD_INSE_IS6_EEEESI_S6_NSB_4plusIvEENSB_8equal_toIvEES6_EE10hipError_tPvRmT2_T3_T4_T5_mT6_T7_P12ihipStream_tbENKUlT_T0_E_clISt17integral_constantIbLb0EES13_EEDaSY_SZ_EUlSY_E_NS1_11comp_targetILNS1_3genE4ELNS1_11target_archE910ELNS1_3gpuE8ELNS1_3repE0EEENS1_30default_config_static_selectorELNS0_4arch9wavefront6targetE0EEEvT1_.uses_vcc, 0
	.set _ZN7rocprim17ROCPRIM_400000_NS6detail17trampoline_kernelINS0_14default_configENS1_27scan_by_key_config_selectorIj11FixedVectorIiLj4EEEEZZNS1_16scan_by_key_implILNS1_25lookback_scan_determinismE0ELb1ES3_N6thrust23THRUST_200600_302600_NS6detail15normal_iteratorINSB_10device_ptrIjEEEENSD_INSE_IS6_EEEESI_S6_NSB_4plusIvEENSB_8equal_toIvEES6_EE10hipError_tPvRmT2_T3_T4_T5_mT6_T7_P12ihipStream_tbENKUlT_T0_E_clISt17integral_constantIbLb0EES13_EEDaSY_SZ_EUlSY_E_NS1_11comp_targetILNS1_3genE4ELNS1_11target_archE910ELNS1_3gpuE8ELNS1_3repE0EEENS1_30default_config_static_selectorELNS0_4arch9wavefront6targetE0EEEvT1_.uses_flat_scratch, 0
	.set _ZN7rocprim17ROCPRIM_400000_NS6detail17trampoline_kernelINS0_14default_configENS1_27scan_by_key_config_selectorIj11FixedVectorIiLj4EEEEZZNS1_16scan_by_key_implILNS1_25lookback_scan_determinismE0ELb1ES3_N6thrust23THRUST_200600_302600_NS6detail15normal_iteratorINSB_10device_ptrIjEEEENSD_INSE_IS6_EEEESI_S6_NSB_4plusIvEENSB_8equal_toIvEES6_EE10hipError_tPvRmT2_T3_T4_T5_mT6_T7_P12ihipStream_tbENKUlT_T0_E_clISt17integral_constantIbLb0EES13_EEDaSY_SZ_EUlSY_E_NS1_11comp_targetILNS1_3genE4ELNS1_11target_archE910ELNS1_3gpuE8ELNS1_3repE0EEENS1_30default_config_static_selectorELNS0_4arch9wavefront6targetE0EEEvT1_.has_dyn_sized_stack, 0
	.set _ZN7rocprim17ROCPRIM_400000_NS6detail17trampoline_kernelINS0_14default_configENS1_27scan_by_key_config_selectorIj11FixedVectorIiLj4EEEEZZNS1_16scan_by_key_implILNS1_25lookback_scan_determinismE0ELb1ES3_N6thrust23THRUST_200600_302600_NS6detail15normal_iteratorINSB_10device_ptrIjEEEENSD_INSE_IS6_EEEESI_S6_NSB_4plusIvEENSB_8equal_toIvEES6_EE10hipError_tPvRmT2_T3_T4_T5_mT6_T7_P12ihipStream_tbENKUlT_T0_E_clISt17integral_constantIbLb0EES13_EEDaSY_SZ_EUlSY_E_NS1_11comp_targetILNS1_3genE4ELNS1_11target_archE910ELNS1_3gpuE8ELNS1_3repE0EEENS1_30default_config_static_selectorELNS0_4arch9wavefront6targetE0EEEvT1_.has_recursion, 0
	.set _ZN7rocprim17ROCPRIM_400000_NS6detail17trampoline_kernelINS0_14default_configENS1_27scan_by_key_config_selectorIj11FixedVectorIiLj4EEEEZZNS1_16scan_by_key_implILNS1_25lookback_scan_determinismE0ELb1ES3_N6thrust23THRUST_200600_302600_NS6detail15normal_iteratorINSB_10device_ptrIjEEEENSD_INSE_IS6_EEEESI_S6_NSB_4plusIvEENSB_8equal_toIvEES6_EE10hipError_tPvRmT2_T3_T4_T5_mT6_T7_P12ihipStream_tbENKUlT_T0_E_clISt17integral_constantIbLb0EES13_EEDaSY_SZ_EUlSY_E_NS1_11comp_targetILNS1_3genE4ELNS1_11target_archE910ELNS1_3gpuE8ELNS1_3repE0EEENS1_30default_config_static_selectorELNS0_4arch9wavefront6targetE0EEEvT1_.has_indirect_call, 0
	.section	.AMDGPU.csdata,"",@progbits
; Kernel info:
; codeLenInByte = 0
; TotalNumSgprs: 0
; NumVgprs: 0
; ScratchSize: 0
; MemoryBound: 0
; FloatMode: 240
; IeeeMode: 1
; LDSByteSize: 0 bytes/workgroup (compile time only)
; SGPRBlocks: 0
; VGPRBlocks: 0
; NumSGPRsForWavesPerEU: 1
; NumVGPRsForWavesPerEU: 1
; Occupancy: 16
; WaveLimiterHint : 0
; COMPUTE_PGM_RSRC2:SCRATCH_EN: 0
; COMPUTE_PGM_RSRC2:USER_SGPR: 6
; COMPUTE_PGM_RSRC2:TRAP_HANDLER: 0
; COMPUTE_PGM_RSRC2:TGID_X_EN: 1
; COMPUTE_PGM_RSRC2:TGID_Y_EN: 0
; COMPUTE_PGM_RSRC2:TGID_Z_EN: 0
; COMPUTE_PGM_RSRC2:TIDIG_COMP_CNT: 0
	.section	.text._ZN7rocprim17ROCPRIM_400000_NS6detail17trampoline_kernelINS0_14default_configENS1_27scan_by_key_config_selectorIj11FixedVectorIiLj4EEEEZZNS1_16scan_by_key_implILNS1_25lookback_scan_determinismE0ELb1ES3_N6thrust23THRUST_200600_302600_NS6detail15normal_iteratorINSB_10device_ptrIjEEEENSD_INSE_IS6_EEEESI_S6_NSB_4plusIvEENSB_8equal_toIvEES6_EE10hipError_tPvRmT2_T3_T4_T5_mT6_T7_P12ihipStream_tbENKUlT_T0_E_clISt17integral_constantIbLb0EES13_EEDaSY_SZ_EUlSY_E_NS1_11comp_targetILNS1_3genE3ELNS1_11target_archE908ELNS1_3gpuE7ELNS1_3repE0EEENS1_30default_config_static_selectorELNS0_4arch9wavefront6targetE0EEEvT1_,"axG",@progbits,_ZN7rocprim17ROCPRIM_400000_NS6detail17trampoline_kernelINS0_14default_configENS1_27scan_by_key_config_selectorIj11FixedVectorIiLj4EEEEZZNS1_16scan_by_key_implILNS1_25lookback_scan_determinismE0ELb1ES3_N6thrust23THRUST_200600_302600_NS6detail15normal_iteratorINSB_10device_ptrIjEEEENSD_INSE_IS6_EEEESI_S6_NSB_4plusIvEENSB_8equal_toIvEES6_EE10hipError_tPvRmT2_T3_T4_T5_mT6_T7_P12ihipStream_tbENKUlT_T0_E_clISt17integral_constantIbLb0EES13_EEDaSY_SZ_EUlSY_E_NS1_11comp_targetILNS1_3genE3ELNS1_11target_archE908ELNS1_3gpuE7ELNS1_3repE0EEENS1_30default_config_static_selectorELNS0_4arch9wavefront6targetE0EEEvT1_,comdat
	.protected	_ZN7rocprim17ROCPRIM_400000_NS6detail17trampoline_kernelINS0_14default_configENS1_27scan_by_key_config_selectorIj11FixedVectorIiLj4EEEEZZNS1_16scan_by_key_implILNS1_25lookback_scan_determinismE0ELb1ES3_N6thrust23THRUST_200600_302600_NS6detail15normal_iteratorINSB_10device_ptrIjEEEENSD_INSE_IS6_EEEESI_S6_NSB_4plusIvEENSB_8equal_toIvEES6_EE10hipError_tPvRmT2_T3_T4_T5_mT6_T7_P12ihipStream_tbENKUlT_T0_E_clISt17integral_constantIbLb0EES13_EEDaSY_SZ_EUlSY_E_NS1_11comp_targetILNS1_3genE3ELNS1_11target_archE908ELNS1_3gpuE7ELNS1_3repE0EEENS1_30default_config_static_selectorELNS0_4arch9wavefront6targetE0EEEvT1_ ; -- Begin function _ZN7rocprim17ROCPRIM_400000_NS6detail17trampoline_kernelINS0_14default_configENS1_27scan_by_key_config_selectorIj11FixedVectorIiLj4EEEEZZNS1_16scan_by_key_implILNS1_25lookback_scan_determinismE0ELb1ES3_N6thrust23THRUST_200600_302600_NS6detail15normal_iteratorINSB_10device_ptrIjEEEENSD_INSE_IS6_EEEESI_S6_NSB_4plusIvEENSB_8equal_toIvEES6_EE10hipError_tPvRmT2_T3_T4_T5_mT6_T7_P12ihipStream_tbENKUlT_T0_E_clISt17integral_constantIbLb0EES13_EEDaSY_SZ_EUlSY_E_NS1_11comp_targetILNS1_3genE3ELNS1_11target_archE908ELNS1_3gpuE7ELNS1_3repE0EEENS1_30default_config_static_selectorELNS0_4arch9wavefront6targetE0EEEvT1_
	.globl	_ZN7rocprim17ROCPRIM_400000_NS6detail17trampoline_kernelINS0_14default_configENS1_27scan_by_key_config_selectorIj11FixedVectorIiLj4EEEEZZNS1_16scan_by_key_implILNS1_25lookback_scan_determinismE0ELb1ES3_N6thrust23THRUST_200600_302600_NS6detail15normal_iteratorINSB_10device_ptrIjEEEENSD_INSE_IS6_EEEESI_S6_NSB_4plusIvEENSB_8equal_toIvEES6_EE10hipError_tPvRmT2_T3_T4_T5_mT6_T7_P12ihipStream_tbENKUlT_T0_E_clISt17integral_constantIbLb0EES13_EEDaSY_SZ_EUlSY_E_NS1_11comp_targetILNS1_3genE3ELNS1_11target_archE908ELNS1_3gpuE7ELNS1_3repE0EEENS1_30default_config_static_selectorELNS0_4arch9wavefront6targetE0EEEvT1_
	.p2align	8
	.type	_ZN7rocprim17ROCPRIM_400000_NS6detail17trampoline_kernelINS0_14default_configENS1_27scan_by_key_config_selectorIj11FixedVectorIiLj4EEEEZZNS1_16scan_by_key_implILNS1_25lookback_scan_determinismE0ELb1ES3_N6thrust23THRUST_200600_302600_NS6detail15normal_iteratorINSB_10device_ptrIjEEEENSD_INSE_IS6_EEEESI_S6_NSB_4plusIvEENSB_8equal_toIvEES6_EE10hipError_tPvRmT2_T3_T4_T5_mT6_T7_P12ihipStream_tbENKUlT_T0_E_clISt17integral_constantIbLb0EES13_EEDaSY_SZ_EUlSY_E_NS1_11comp_targetILNS1_3genE3ELNS1_11target_archE908ELNS1_3gpuE7ELNS1_3repE0EEENS1_30default_config_static_selectorELNS0_4arch9wavefront6targetE0EEEvT1_,@function
_ZN7rocprim17ROCPRIM_400000_NS6detail17trampoline_kernelINS0_14default_configENS1_27scan_by_key_config_selectorIj11FixedVectorIiLj4EEEEZZNS1_16scan_by_key_implILNS1_25lookback_scan_determinismE0ELb1ES3_N6thrust23THRUST_200600_302600_NS6detail15normal_iteratorINSB_10device_ptrIjEEEENSD_INSE_IS6_EEEESI_S6_NSB_4plusIvEENSB_8equal_toIvEES6_EE10hipError_tPvRmT2_T3_T4_T5_mT6_T7_P12ihipStream_tbENKUlT_T0_E_clISt17integral_constantIbLb0EES13_EEDaSY_SZ_EUlSY_E_NS1_11comp_targetILNS1_3genE3ELNS1_11target_archE908ELNS1_3gpuE7ELNS1_3repE0EEENS1_30default_config_static_selectorELNS0_4arch9wavefront6targetE0EEEvT1_: ; @_ZN7rocprim17ROCPRIM_400000_NS6detail17trampoline_kernelINS0_14default_configENS1_27scan_by_key_config_selectorIj11FixedVectorIiLj4EEEEZZNS1_16scan_by_key_implILNS1_25lookback_scan_determinismE0ELb1ES3_N6thrust23THRUST_200600_302600_NS6detail15normal_iteratorINSB_10device_ptrIjEEEENSD_INSE_IS6_EEEESI_S6_NSB_4plusIvEENSB_8equal_toIvEES6_EE10hipError_tPvRmT2_T3_T4_T5_mT6_T7_P12ihipStream_tbENKUlT_T0_E_clISt17integral_constantIbLb0EES13_EEDaSY_SZ_EUlSY_E_NS1_11comp_targetILNS1_3genE3ELNS1_11target_archE908ELNS1_3gpuE7ELNS1_3repE0EEENS1_30default_config_static_selectorELNS0_4arch9wavefront6targetE0EEEvT1_
; %bb.0:
	.section	.rodata,"a",@progbits
	.p2align	6, 0x0
	.amdhsa_kernel _ZN7rocprim17ROCPRIM_400000_NS6detail17trampoline_kernelINS0_14default_configENS1_27scan_by_key_config_selectorIj11FixedVectorIiLj4EEEEZZNS1_16scan_by_key_implILNS1_25lookback_scan_determinismE0ELb1ES3_N6thrust23THRUST_200600_302600_NS6detail15normal_iteratorINSB_10device_ptrIjEEEENSD_INSE_IS6_EEEESI_S6_NSB_4plusIvEENSB_8equal_toIvEES6_EE10hipError_tPvRmT2_T3_T4_T5_mT6_T7_P12ihipStream_tbENKUlT_T0_E_clISt17integral_constantIbLb0EES13_EEDaSY_SZ_EUlSY_E_NS1_11comp_targetILNS1_3genE3ELNS1_11target_archE908ELNS1_3gpuE7ELNS1_3repE0EEENS1_30default_config_static_selectorELNS0_4arch9wavefront6targetE0EEEvT1_
		.amdhsa_group_segment_fixed_size 0
		.amdhsa_private_segment_fixed_size 0
		.amdhsa_kernarg_size 144
		.amdhsa_user_sgpr_count 6
		.amdhsa_user_sgpr_private_segment_buffer 1
		.amdhsa_user_sgpr_dispatch_ptr 0
		.amdhsa_user_sgpr_queue_ptr 0
		.amdhsa_user_sgpr_kernarg_segment_ptr 1
		.amdhsa_user_sgpr_dispatch_id 0
		.amdhsa_user_sgpr_flat_scratch_init 0
		.amdhsa_user_sgpr_private_segment_size 0
		.amdhsa_wavefront_size32 1
		.amdhsa_uses_dynamic_stack 0
		.amdhsa_system_sgpr_private_segment_wavefront_offset 0
		.amdhsa_system_sgpr_workgroup_id_x 1
		.amdhsa_system_sgpr_workgroup_id_y 0
		.amdhsa_system_sgpr_workgroup_id_z 0
		.amdhsa_system_sgpr_workgroup_info 0
		.amdhsa_system_vgpr_workitem_id 0
		.amdhsa_next_free_vgpr 1
		.amdhsa_next_free_sgpr 1
		.amdhsa_reserve_vcc 0
		.amdhsa_reserve_flat_scratch 0
		.amdhsa_float_round_mode_32 0
		.amdhsa_float_round_mode_16_64 0
		.amdhsa_float_denorm_mode_32 3
		.amdhsa_float_denorm_mode_16_64 3
		.amdhsa_dx10_clamp 1
		.amdhsa_ieee_mode 1
		.amdhsa_fp16_overflow 0
		.amdhsa_workgroup_processor_mode 1
		.amdhsa_memory_ordered 1
		.amdhsa_forward_progress 1
		.amdhsa_shared_vgpr_count 0
		.amdhsa_exception_fp_ieee_invalid_op 0
		.amdhsa_exception_fp_denorm_src 0
		.amdhsa_exception_fp_ieee_div_zero 0
		.amdhsa_exception_fp_ieee_overflow 0
		.amdhsa_exception_fp_ieee_underflow 0
		.amdhsa_exception_fp_ieee_inexact 0
		.amdhsa_exception_int_div_zero 0
	.end_amdhsa_kernel
	.section	.text._ZN7rocprim17ROCPRIM_400000_NS6detail17trampoline_kernelINS0_14default_configENS1_27scan_by_key_config_selectorIj11FixedVectorIiLj4EEEEZZNS1_16scan_by_key_implILNS1_25lookback_scan_determinismE0ELb1ES3_N6thrust23THRUST_200600_302600_NS6detail15normal_iteratorINSB_10device_ptrIjEEEENSD_INSE_IS6_EEEESI_S6_NSB_4plusIvEENSB_8equal_toIvEES6_EE10hipError_tPvRmT2_T3_T4_T5_mT6_T7_P12ihipStream_tbENKUlT_T0_E_clISt17integral_constantIbLb0EES13_EEDaSY_SZ_EUlSY_E_NS1_11comp_targetILNS1_3genE3ELNS1_11target_archE908ELNS1_3gpuE7ELNS1_3repE0EEENS1_30default_config_static_selectorELNS0_4arch9wavefront6targetE0EEEvT1_,"axG",@progbits,_ZN7rocprim17ROCPRIM_400000_NS6detail17trampoline_kernelINS0_14default_configENS1_27scan_by_key_config_selectorIj11FixedVectorIiLj4EEEEZZNS1_16scan_by_key_implILNS1_25lookback_scan_determinismE0ELb1ES3_N6thrust23THRUST_200600_302600_NS6detail15normal_iteratorINSB_10device_ptrIjEEEENSD_INSE_IS6_EEEESI_S6_NSB_4plusIvEENSB_8equal_toIvEES6_EE10hipError_tPvRmT2_T3_T4_T5_mT6_T7_P12ihipStream_tbENKUlT_T0_E_clISt17integral_constantIbLb0EES13_EEDaSY_SZ_EUlSY_E_NS1_11comp_targetILNS1_3genE3ELNS1_11target_archE908ELNS1_3gpuE7ELNS1_3repE0EEENS1_30default_config_static_selectorELNS0_4arch9wavefront6targetE0EEEvT1_,comdat
.Lfunc_end2079:
	.size	_ZN7rocprim17ROCPRIM_400000_NS6detail17trampoline_kernelINS0_14default_configENS1_27scan_by_key_config_selectorIj11FixedVectorIiLj4EEEEZZNS1_16scan_by_key_implILNS1_25lookback_scan_determinismE0ELb1ES3_N6thrust23THRUST_200600_302600_NS6detail15normal_iteratorINSB_10device_ptrIjEEEENSD_INSE_IS6_EEEESI_S6_NSB_4plusIvEENSB_8equal_toIvEES6_EE10hipError_tPvRmT2_T3_T4_T5_mT6_T7_P12ihipStream_tbENKUlT_T0_E_clISt17integral_constantIbLb0EES13_EEDaSY_SZ_EUlSY_E_NS1_11comp_targetILNS1_3genE3ELNS1_11target_archE908ELNS1_3gpuE7ELNS1_3repE0EEENS1_30default_config_static_selectorELNS0_4arch9wavefront6targetE0EEEvT1_, .Lfunc_end2079-_ZN7rocprim17ROCPRIM_400000_NS6detail17trampoline_kernelINS0_14default_configENS1_27scan_by_key_config_selectorIj11FixedVectorIiLj4EEEEZZNS1_16scan_by_key_implILNS1_25lookback_scan_determinismE0ELb1ES3_N6thrust23THRUST_200600_302600_NS6detail15normal_iteratorINSB_10device_ptrIjEEEENSD_INSE_IS6_EEEESI_S6_NSB_4plusIvEENSB_8equal_toIvEES6_EE10hipError_tPvRmT2_T3_T4_T5_mT6_T7_P12ihipStream_tbENKUlT_T0_E_clISt17integral_constantIbLb0EES13_EEDaSY_SZ_EUlSY_E_NS1_11comp_targetILNS1_3genE3ELNS1_11target_archE908ELNS1_3gpuE7ELNS1_3repE0EEENS1_30default_config_static_selectorELNS0_4arch9wavefront6targetE0EEEvT1_
                                        ; -- End function
	.set _ZN7rocprim17ROCPRIM_400000_NS6detail17trampoline_kernelINS0_14default_configENS1_27scan_by_key_config_selectorIj11FixedVectorIiLj4EEEEZZNS1_16scan_by_key_implILNS1_25lookback_scan_determinismE0ELb1ES3_N6thrust23THRUST_200600_302600_NS6detail15normal_iteratorINSB_10device_ptrIjEEEENSD_INSE_IS6_EEEESI_S6_NSB_4plusIvEENSB_8equal_toIvEES6_EE10hipError_tPvRmT2_T3_T4_T5_mT6_T7_P12ihipStream_tbENKUlT_T0_E_clISt17integral_constantIbLb0EES13_EEDaSY_SZ_EUlSY_E_NS1_11comp_targetILNS1_3genE3ELNS1_11target_archE908ELNS1_3gpuE7ELNS1_3repE0EEENS1_30default_config_static_selectorELNS0_4arch9wavefront6targetE0EEEvT1_.num_vgpr, 0
	.set _ZN7rocprim17ROCPRIM_400000_NS6detail17trampoline_kernelINS0_14default_configENS1_27scan_by_key_config_selectorIj11FixedVectorIiLj4EEEEZZNS1_16scan_by_key_implILNS1_25lookback_scan_determinismE0ELb1ES3_N6thrust23THRUST_200600_302600_NS6detail15normal_iteratorINSB_10device_ptrIjEEEENSD_INSE_IS6_EEEESI_S6_NSB_4plusIvEENSB_8equal_toIvEES6_EE10hipError_tPvRmT2_T3_T4_T5_mT6_T7_P12ihipStream_tbENKUlT_T0_E_clISt17integral_constantIbLb0EES13_EEDaSY_SZ_EUlSY_E_NS1_11comp_targetILNS1_3genE3ELNS1_11target_archE908ELNS1_3gpuE7ELNS1_3repE0EEENS1_30default_config_static_selectorELNS0_4arch9wavefront6targetE0EEEvT1_.num_agpr, 0
	.set _ZN7rocprim17ROCPRIM_400000_NS6detail17trampoline_kernelINS0_14default_configENS1_27scan_by_key_config_selectorIj11FixedVectorIiLj4EEEEZZNS1_16scan_by_key_implILNS1_25lookback_scan_determinismE0ELb1ES3_N6thrust23THRUST_200600_302600_NS6detail15normal_iteratorINSB_10device_ptrIjEEEENSD_INSE_IS6_EEEESI_S6_NSB_4plusIvEENSB_8equal_toIvEES6_EE10hipError_tPvRmT2_T3_T4_T5_mT6_T7_P12ihipStream_tbENKUlT_T0_E_clISt17integral_constantIbLb0EES13_EEDaSY_SZ_EUlSY_E_NS1_11comp_targetILNS1_3genE3ELNS1_11target_archE908ELNS1_3gpuE7ELNS1_3repE0EEENS1_30default_config_static_selectorELNS0_4arch9wavefront6targetE0EEEvT1_.numbered_sgpr, 0
	.set _ZN7rocprim17ROCPRIM_400000_NS6detail17trampoline_kernelINS0_14default_configENS1_27scan_by_key_config_selectorIj11FixedVectorIiLj4EEEEZZNS1_16scan_by_key_implILNS1_25lookback_scan_determinismE0ELb1ES3_N6thrust23THRUST_200600_302600_NS6detail15normal_iteratorINSB_10device_ptrIjEEEENSD_INSE_IS6_EEEESI_S6_NSB_4plusIvEENSB_8equal_toIvEES6_EE10hipError_tPvRmT2_T3_T4_T5_mT6_T7_P12ihipStream_tbENKUlT_T0_E_clISt17integral_constantIbLb0EES13_EEDaSY_SZ_EUlSY_E_NS1_11comp_targetILNS1_3genE3ELNS1_11target_archE908ELNS1_3gpuE7ELNS1_3repE0EEENS1_30default_config_static_selectorELNS0_4arch9wavefront6targetE0EEEvT1_.num_named_barrier, 0
	.set _ZN7rocprim17ROCPRIM_400000_NS6detail17trampoline_kernelINS0_14default_configENS1_27scan_by_key_config_selectorIj11FixedVectorIiLj4EEEEZZNS1_16scan_by_key_implILNS1_25lookback_scan_determinismE0ELb1ES3_N6thrust23THRUST_200600_302600_NS6detail15normal_iteratorINSB_10device_ptrIjEEEENSD_INSE_IS6_EEEESI_S6_NSB_4plusIvEENSB_8equal_toIvEES6_EE10hipError_tPvRmT2_T3_T4_T5_mT6_T7_P12ihipStream_tbENKUlT_T0_E_clISt17integral_constantIbLb0EES13_EEDaSY_SZ_EUlSY_E_NS1_11comp_targetILNS1_3genE3ELNS1_11target_archE908ELNS1_3gpuE7ELNS1_3repE0EEENS1_30default_config_static_selectorELNS0_4arch9wavefront6targetE0EEEvT1_.private_seg_size, 0
	.set _ZN7rocprim17ROCPRIM_400000_NS6detail17trampoline_kernelINS0_14default_configENS1_27scan_by_key_config_selectorIj11FixedVectorIiLj4EEEEZZNS1_16scan_by_key_implILNS1_25lookback_scan_determinismE0ELb1ES3_N6thrust23THRUST_200600_302600_NS6detail15normal_iteratorINSB_10device_ptrIjEEEENSD_INSE_IS6_EEEESI_S6_NSB_4plusIvEENSB_8equal_toIvEES6_EE10hipError_tPvRmT2_T3_T4_T5_mT6_T7_P12ihipStream_tbENKUlT_T0_E_clISt17integral_constantIbLb0EES13_EEDaSY_SZ_EUlSY_E_NS1_11comp_targetILNS1_3genE3ELNS1_11target_archE908ELNS1_3gpuE7ELNS1_3repE0EEENS1_30default_config_static_selectorELNS0_4arch9wavefront6targetE0EEEvT1_.uses_vcc, 0
	.set _ZN7rocprim17ROCPRIM_400000_NS6detail17trampoline_kernelINS0_14default_configENS1_27scan_by_key_config_selectorIj11FixedVectorIiLj4EEEEZZNS1_16scan_by_key_implILNS1_25lookback_scan_determinismE0ELb1ES3_N6thrust23THRUST_200600_302600_NS6detail15normal_iteratorINSB_10device_ptrIjEEEENSD_INSE_IS6_EEEESI_S6_NSB_4plusIvEENSB_8equal_toIvEES6_EE10hipError_tPvRmT2_T3_T4_T5_mT6_T7_P12ihipStream_tbENKUlT_T0_E_clISt17integral_constantIbLb0EES13_EEDaSY_SZ_EUlSY_E_NS1_11comp_targetILNS1_3genE3ELNS1_11target_archE908ELNS1_3gpuE7ELNS1_3repE0EEENS1_30default_config_static_selectorELNS0_4arch9wavefront6targetE0EEEvT1_.uses_flat_scratch, 0
	.set _ZN7rocprim17ROCPRIM_400000_NS6detail17trampoline_kernelINS0_14default_configENS1_27scan_by_key_config_selectorIj11FixedVectorIiLj4EEEEZZNS1_16scan_by_key_implILNS1_25lookback_scan_determinismE0ELb1ES3_N6thrust23THRUST_200600_302600_NS6detail15normal_iteratorINSB_10device_ptrIjEEEENSD_INSE_IS6_EEEESI_S6_NSB_4plusIvEENSB_8equal_toIvEES6_EE10hipError_tPvRmT2_T3_T4_T5_mT6_T7_P12ihipStream_tbENKUlT_T0_E_clISt17integral_constantIbLb0EES13_EEDaSY_SZ_EUlSY_E_NS1_11comp_targetILNS1_3genE3ELNS1_11target_archE908ELNS1_3gpuE7ELNS1_3repE0EEENS1_30default_config_static_selectorELNS0_4arch9wavefront6targetE0EEEvT1_.has_dyn_sized_stack, 0
	.set _ZN7rocprim17ROCPRIM_400000_NS6detail17trampoline_kernelINS0_14default_configENS1_27scan_by_key_config_selectorIj11FixedVectorIiLj4EEEEZZNS1_16scan_by_key_implILNS1_25lookback_scan_determinismE0ELb1ES3_N6thrust23THRUST_200600_302600_NS6detail15normal_iteratorINSB_10device_ptrIjEEEENSD_INSE_IS6_EEEESI_S6_NSB_4plusIvEENSB_8equal_toIvEES6_EE10hipError_tPvRmT2_T3_T4_T5_mT6_T7_P12ihipStream_tbENKUlT_T0_E_clISt17integral_constantIbLb0EES13_EEDaSY_SZ_EUlSY_E_NS1_11comp_targetILNS1_3genE3ELNS1_11target_archE908ELNS1_3gpuE7ELNS1_3repE0EEENS1_30default_config_static_selectorELNS0_4arch9wavefront6targetE0EEEvT1_.has_recursion, 0
	.set _ZN7rocprim17ROCPRIM_400000_NS6detail17trampoline_kernelINS0_14default_configENS1_27scan_by_key_config_selectorIj11FixedVectorIiLj4EEEEZZNS1_16scan_by_key_implILNS1_25lookback_scan_determinismE0ELb1ES3_N6thrust23THRUST_200600_302600_NS6detail15normal_iteratorINSB_10device_ptrIjEEEENSD_INSE_IS6_EEEESI_S6_NSB_4plusIvEENSB_8equal_toIvEES6_EE10hipError_tPvRmT2_T3_T4_T5_mT6_T7_P12ihipStream_tbENKUlT_T0_E_clISt17integral_constantIbLb0EES13_EEDaSY_SZ_EUlSY_E_NS1_11comp_targetILNS1_3genE3ELNS1_11target_archE908ELNS1_3gpuE7ELNS1_3repE0EEENS1_30default_config_static_selectorELNS0_4arch9wavefront6targetE0EEEvT1_.has_indirect_call, 0
	.section	.AMDGPU.csdata,"",@progbits
; Kernel info:
; codeLenInByte = 0
; TotalNumSgprs: 0
; NumVgprs: 0
; ScratchSize: 0
; MemoryBound: 0
; FloatMode: 240
; IeeeMode: 1
; LDSByteSize: 0 bytes/workgroup (compile time only)
; SGPRBlocks: 0
; VGPRBlocks: 0
; NumSGPRsForWavesPerEU: 1
; NumVGPRsForWavesPerEU: 1
; Occupancy: 16
; WaveLimiterHint : 0
; COMPUTE_PGM_RSRC2:SCRATCH_EN: 0
; COMPUTE_PGM_RSRC2:USER_SGPR: 6
; COMPUTE_PGM_RSRC2:TRAP_HANDLER: 0
; COMPUTE_PGM_RSRC2:TGID_X_EN: 1
; COMPUTE_PGM_RSRC2:TGID_Y_EN: 0
; COMPUTE_PGM_RSRC2:TGID_Z_EN: 0
; COMPUTE_PGM_RSRC2:TIDIG_COMP_CNT: 0
	.section	.text._ZN7rocprim17ROCPRIM_400000_NS6detail17trampoline_kernelINS0_14default_configENS1_27scan_by_key_config_selectorIj11FixedVectorIiLj4EEEEZZNS1_16scan_by_key_implILNS1_25lookback_scan_determinismE0ELb1ES3_N6thrust23THRUST_200600_302600_NS6detail15normal_iteratorINSB_10device_ptrIjEEEENSD_INSE_IS6_EEEESI_S6_NSB_4plusIvEENSB_8equal_toIvEES6_EE10hipError_tPvRmT2_T3_T4_T5_mT6_T7_P12ihipStream_tbENKUlT_T0_E_clISt17integral_constantIbLb0EES13_EEDaSY_SZ_EUlSY_E_NS1_11comp_targetILNS1_3genE2ELNS1_11target_archE906ELNS1_3gpuE6ELNS1_3repE0EEENS1_30default_config_static_selectorELNS0_4arch9wavefront6targetE0EEEvT1_,"axG",@progbits,_ZN7rocprim17ROCPRIM_400000_NS6detail17trampoline_kernelINS0_14default_configENS1_27scan_by_key_config_selectorIj11FixedVectorIiLj4EEEEZZNS1_16scan_by_key_implILNS1_25lookback_scan_determinismE0ELb1ES3_N6thrust23THRUST_200600_302600_NS6detail15normal_iteratorINSB_10device_ptrIjEEEENSD_INSE_IS6_EEEESI_S6_NSB_4plusIvEENSB_8equal_toIvEES6_EE10hipError_tPvRmT2_T3_T4_T5_mT6_T7_P12ihipStream_tbENKUlT_T0_E_clISt17integral_constantIbLb0EES13_EEDaSY_SZ_EUlSY_E_NS1_11comp_targetILNS1_3genE2ELNS1_11target_archE906ELNS1_3gpuE6ELNS1_3repE0EEENS1_30default_config_static_selectorELNS0_4arch9wavefront6targetE0EEEvT1_,comdat
	.protected	_ZN7rocprim17ROCPRIM_400000_NS6detail17trampoline_kernelINS0_14default_configENS1_27scan_by_key_config_selectorIj11FixedVectorIiLj4EEEEZZNS1_16scan_by_key_implILNS1_25lookback_scan_determinismE0ELb1ES3_N6thrust23THRUST_200600_302600_NS6detail15normal_iteratorINSB_10device_ptrIjEEEENSD_INSE_IS6_EEEESI_S6_NSB_4plusIvEENSB_8equal_toIvEES6_EE10hipError_tPvRmT2_T3_T4_T5_mT6_T7_P12ihipStream_tbENKUlT_T0_E_clISt17integral_constantIbLb0EES13_EEDaSY_SZ_EUlSY_E_NS1_11comp_targetILNS1_3genE2ELNS1_11target_archE906ELNS1_3gpuE6ELNS1_3repE0EEENS1_30default_config_static_selectorELNS0_4arch9wavefront6targetE0EEEvT1_ ; -- Begin function _ZN7rocprim17ROCPRIM_400000_NS6detail17trampoline_kernelINS0_14default_configENS1_27scan_by_key_config_selectorIj11FixedVectorIiLj4EEEEZZNS1_16scan_by_key_implILNS1_25lookback_scan_determinismE0ELb1ES3_N6thrust23THRUST_200600_302600_NS6detail15normal_iteratorINSB_10device_ptrIjEEEENSD_INSE_IS6_EEEESI_S6_NSB_4plusIvEENSB_8equal_toIvEES6_EE10hipError_tPvRmT2_T3_T4_T5_mT6_T7_P12ihipStream_tbENKUlT_T0_E_clISt17integral_constantIbLb0EES13_EEDaSY_SZ_EUlSY_E_NS1_11comp_targetILNS1_3genE2ELNS1_11target_archE906ELNS1_3gpuE6ELNS1_3repE0EEENS1_30default_config_static_selectorELNS0_4arch9wavefront6targetE0EEEvT1_
	.globl	_ZN7rocprim17ROCPRIM_400000_NS6detail17trampoline_kernelINS0_14default_configENS1_27scan_by_key_config_selectorIj11FixedVectorIiLj4EEEEZZNS1_16scan_by_key_implILNS1_25lookback_scan_determinismE0ELb1ES3_N6thrust23THRUST_200600_302600_NS6detail15normal_iteratorINSB_10device_ptrIjEEEENSD_INSE_IS6_EEEESI_S6_NSB_4plusIvEENSB_8equal_toIvEES6_EE10hipError_tPvRmT2_T3_T4_T5_mT6_T7_P12ihipStream_tbENKUlT_T0_E_clISt17integral_constantIbLb0EES13_EEDaSY_SZ_EUlSY_E_NS1_11comp_targetILNS1_3genE2ELNS1_11target_archE906ELNS1_3gpuE6ELNS1_3repE0EEENS1_30default_config_static_selectorELNS0_4arch9wavefront6targetE0EEEvT1_
	.p2align	8
	.type	_ZN7rocprim17ROCPRIM_400000_NS6detail17trampoline_kernelINS0_14default_configENS1_27scan_by_key_config_selectorIj11FixedVectorIiLj4EEEEZZNS1_16scan_by_key_implILNS1_25lookback_scan_determinismE0ELb1ES3_N6thrust23THRUST_200600_302600_NS6detail15normal_iteratorINSB_10device_ptrIjEEEENSD_INSE_IS6_EEEESI_S6_NSB_4plusIvEENSB_8equal_toIvEES6_EE10hipError_tPvRmT2_T3_T4_T5_mT6_T7_P12ihipStream_tbENKUlT_T0_E_clISt17integral_constantIbLb0EES13_EEDaSY_SZ_EUlSY_E_NS1_11comp_targetILNS1_3genE2ELNS1_11target_archE906ELNS1_3gpuE6ELNS1_3repE0EEENS1_30default_config_static_selectorELNS0_4arch9wavefront6targetE0EEEvT1_,@function
_ZN7rocprim17ROCPRIM_400000_NS6detail17trampoline_kernelINS0_14default_configENS1_27scan_by_key_config_selectorIj11FixedVectorIiLj4EEEEZZNS1_16scan_by_key_implILNS1_25lookback_scan_determinismE0ELb1ES3_N6thrust23THRUST_200600_302600_NS6detail15normal_iteratorINSB_10device_ptrIjEEEENSD_INSE_IS6_EEEESI_S6_NSB_4plusIvEENSB_8equal_toIvEES6_EE10hipError_tPvRmT2_T3_T4_T5_mT6_T7_P12ihipStream_tbENKUlT_T0_E_clISt17integral_constantIbLb0EES13_EEDaSY_SZ_EUlSY_E_NS1_11comp_targetILNS1_3genE2ELNS1_11target_archE906ELNS1_3gpuE6ELNS1_3repE0EEENS1_30default_config_static_selectorELNS0_4arch9wavefront6targetE0EEEvT1_: ; @_ZN7rocprim17ROCPRIM_400000_NS6detail17trampoline_kernelINS0_14default_configENS1_27scan_by_key_config_selectorIj11FixedVectorIiLj4EEEEZZNS1_16scan_by_key_implILNS1_25lookback_scan_determinismE0ELb1ES3_N6thrust23THRUST_200600_302600_NS6detail15normal_iteratorINSB_10device_ptrIjEEEENSD_INSE_IS6_EEEESI_S6_NSB_4plusIvEENSB_8equal_toIvEES6_EE10hipError_tPvRmT2_T3_T4_T5_mT6_T7_P12ihipStream_tbENKUlT_T0_E_clISt17integral_constantIbLb0EES13_EEDaSY_SZ_EUlSY_E_NS1_11comp_targetILNS1_3genE2ELNS1_11target_archE906ELNS1_3gpuE6ELNS1_3repE0EEENS1_30default_config_static_selectorELNS0_4arch9wavefront6targetE0EEEvT1_
; %bb.0:
	.section	.rodata,"a",@progbits
	.p2align	6, 0x0
	.amdhsa_kernel _ZN7rocprim17ROCPRIM_400000_NS6detail17trampoline_kernelINS0_14default_configENS1_27scan_by_key_config_selectorIj11FixedVectorIiLj4EEEEZZNS1_16scan_by_key_implILNS1_25lookback_scan_determinismE0ELb1ES3_N6thrust23THRUST_200600_302600_NS6detail15normal_iteratorINSB_10device_ptrIjEEEENSD_INSE_IS6_EEEESI_S6_NSB_4plusIvEENSB_8equal_toIvEES6_EE10hipError_tPvRmT2_T3_T4_T5_mT6_T7_P12ihipStream_tbENKUlT_T0_E_clISt17integral_constantIbLb0EES13_EEDaSY_SZ_EUlSY_E_NS1_11comp_targetILNS1_3genE2ELNS1_11target_archE906ELNS1_3gpuE6ELNS1_3repE0EEENS1_30default_config_static_selectorELNS0_4arch9wavefront6targetE0EEEvT1_
		.amdhsa_group_segment_fixed_size 0
		.amdhsa_private_segment_fixed_size 0
		.amdhsa_kernarg_size 144
		.amdhsa_user_sgpr_count 6
		.amdhsa_user_sgpr_private_segment_buffer 1
		.amdhsa_user_sgpr_dispatch_ptr 0
		.amdhsa_user_sgpr_queue_ptr 0
		.amdhsa_user_sgpr_kernarg_segment_ptr 1
		.amdhsa_user_sgpr_dispatch_id 0
		.amdhsa_user_sgpr_flat_scratch_init 0
		.amdhsa_user_sgpr_private_segment_size 0
		.amdhsa_wavefront_size32 1
		.amdhsa_uses_dynamic_stack 0
		.amdhsa_system_sgpr_private_segment_wavefront_offset 0
		.amdhsa_system_sgpr_workgroup_id_x 1
		.amdhsa_system_sgpr_workgroup_id_y 0
		.amdhsa_system_sgpr_workgroup_id_z 0
		.amdhsa_system_sgpr_workgroup_info 0
		.amdhsa_system_vgpr_workitem_id 0
		.amdhsa_next_free_vgpr 1
		.amdhsa_next_free_sgpr 1
		.amdhsa_reserve_vcc 0
		.amdhsa_reserve_flat_scratch 0
		.amdhsa_float_round_mode_32 0
		.amdhsa_float_round_mode_16_64 0
		.amdhsa_float_denorm_mode_32 3
		.amdhsa_float_denorm_mode_16_64 3
		.amdhsa_dx10_clamp 1
		.amdhsa_ieee_mode 1
		.amdhsa_fp16_overflow 0
		.amdhsa_workgroup_processor_mode 1
		.amdhsa_memory_ordered 1
		.amdhsa_forward_progress 1
		.amdhsa_shared_vgpr_count 0
		.amdhsa_exception_fp_ieee_invalid_op 0
		.amdhsa_exception_fp_denorm_src 0
		.amdhsa_exception_fp_ieee_div_zero 0
		.amdhsa_exception_fp_ieee_overflow 0
		.amdhsa_exception_fp_ieee_underflow 0
		.amdhsa_exception_fp_ieee_inexact 0
		.amdhsa_exception_int_div_zero 0
	.end_amdhsa_kernel
	.section	.text._ZN7rocprim17ROCPRIM_400000_NS6detail17trampoline_kernelINS0_14default_configENS1_27scan_by_key_config_selectorIj11FixedVectorIiLj4EEEEZZNS1_16scan_by_key_implILNS1_25lookback_scan_determinismE0ELb1ES3_N6thrust23THRUST_200600_302600_NS6detail15normal_iteratorINSB_10device_ptrIjEEEENSD_INSE_IS6_EEEESI_S6_NSB_4plusIvEENSB_8equal_toIvEES6_EE10hipError_tPvRmT2_T3_T4_T5_mT6_T7_P12ihipStream_tbENKUlT_T0_E_clISt17integral_constantIbLb0EES13_EEDaSY_SZ_EUlSY_E_NS1_11comp_targetILNS1_3genE2ELNS1_11target_archE906ELNS1_3gpuE6ELNS1_3repE0EEENS1_30default_config_static_selectorELNS0_4arch9wavefront6targetE0EEEvT1_,"axG",@progbits,_ZN7rocprim17ROCPRIM_400000_NS6detail17trampoline_kernelINS0_14default_configENS1_27scan_by_key_config_selectorIj11FixedVectorIiLj4EEEEZZNS1_16scan_by_key_implILNS1_25lookback_scan_determinismE0ELb1ES3_N6thrust23THRUST_200600_302600_NS6detail15normal_iteratorINSB_10device_ptrIjEEEENSD_INSE_IS6_EEEESI_S6_NSB_4plusIvEENSB_8equal_toIvEES6_EE10hipError_tPvRmT2_T3_T4_T5_mT6_T7_P12ihipStream_tbENKUlT_T0_E_clISt17integral_constantIbLb0EES13_EEDaSY_SZ_EUlSY_E_NS1_11comp_targetILNS1_3genE2ELNS1_11target_archE906ELNS1_3gpuE6ELNS1_3repE0EEENS1_30default_config_static_selectorELNS0_4arch9wavefront6targetE0EEEvT1_,comdat
.Lfunc_end2080:
	.size	_ZN7rocprim17ROCPRIM_400000_NS6detail17trampoline_kernelINS0_14default_configENS1_27scan_by_key_config_selectorIj11FixedVectorIiLj4EEEEZZNS1_16scan_by_key_implILNS1_25lookback_scan_determinismE0ELb1ES3_N6thrust23THRUST_200600_302600_NS6detail15normal_iteratorINSB_10device_ptrIjEEEENSD_INSE_IS6_EEEESI_S6_NSB_4plusIvEENSB_8equal_toIvEES6_EE10hipError_tPvRmT2_T3_T4_T5_mT6_T7_P12ihipStream_tbENKUlT_T0_E_clISt17integral_constantIbLb0EES13_EEDaSY_SZ_EUlSY_E_NS1_11comp_targetILNS1_3genE2ELNS1_11target_archE906ELNS1_3gpuE6ELNS1_3repE0EEENS1_30default_config_static_selectorELNS0_4arch9wavefront6targetE0EEEvT1_, .Lfunc_end2080-_ZN7rocprim17ROCPRIM_400000_NS6detail17trampoline_kernelINS0_14default_configENS1_27scan_by_key_config_selectorIj11FixedVectorIiLj4EEEEZZNS1_16scan_by_key_implILNS1_25lookback_scan_determinismE0ELb1ES3_N6thrust23THRUST_200600_302600_NS6detail15normal_iteratorINSB_10device_ptrIjEEEENSD_INSE_IS6_EEEESI_S6_NSB_4plusIvEENSB_8equal_toIvEES6_EE10hipError_tPvRmT2_T3_T4_T5_mT6_T7_P12ihipStream_tbENKUlT_T0_E_clISt17integral_constantIbLb0EES13_EEDaSY_SZ_EUlSY_E_NS1_11comp_targetILNS1_3genE2ELNS1_11target_archE906ELNS1_3gpuE6ELNS1_3repE0EEENS1_30default_config_static_selectorELNS0_4arch9wavefront6targetE0EEEvT1_
                                        ; -- End function
	.set _ZN7rocprim17ROCPRIM_400000_NS6detail17trampoline_kernelINS0_14default_configENS1_27scan_by_key_config_selectorIj11FixedVectorIiLj4EEEEZZNS1_16scan_by_key_implILNS1_25lookback_scan_determinismE0ELb1ES3_N6thrust23THRUST_200600_302600_NS6detail15normal_iteratorINSB_10device_ptrIjEEEENSD_INSE_IS6_EEEESI_S6_NSB_4plusIvEENSB_8equal_toIvEES6_EE10hipError_tPvRmT2_T3_T4_T5_mT6_T7_P12ihipStream_tbENKUlT_T0_E_clISt17integral_constantIbLb0EES13_EEDaSY_SZ_EUlSY_E_NS1_11comp_targetILNS1_3genE2ELNS1_11target_archE906ELNS1_3gpuE6ELNS1_3repE0EEENS1_30default_config_static_selectorELNS0_4arch9wavefront6targetE0EEEvT1_.num_vgpr, 0
	.set _ZN7rocprim17ROCPRIM_400000_NS6detail17trampoline_kernelINS0_14default_configENS1_27scan_by_key_config_selectorIj11FixedVectorIiLj4EEEEZZNS1_16scan_by_key_implILNS1_25lookback_scan_determinismE0ELb1ES3_N6thrust23THRUST_200600_302600_NS6detail15normal_iteratorINSB_10device_ptrIjEEEENSD_INSE_IS6_EEEESI_S6_NSB_4plusIvEENSB_8equal_toIvEES6_EE10hipError_tPvRmT2_T3_T4_T5_mT6_T7_P12ihipStream_tbENKUlT_T0_E_clISt17integral_constantIbLb0EES13_EEDaSY_SZ_EUlSY_E_NS1_11comp_targetILNS1_3genE2ELNS1_11target_archE906ELNS1_3gpuE6ELNS1_3repE0EEENS1_30default_config_static_selectorELNS0_4arch9wavefront6targetE0EEEvT1_.num_agpr, 0
	.set _ZN7rocprim17ROCPRIM_400000_NS6detail17trampoline_kernelINS0_14default_configENS1_27scan_by_key_config_selectorIj11FixedVectorIiLj4EEEEZZNS1_16scan_by_key_implILNS1_25lookback_scan_determinismE0ELb1ES3_N6thrust23THRUST_200600_302600_NS6detail15normal_iteratorINSB_10device_ptrIjEEEENSD_INSE_IS6_EEEESI_S6_NSB_4plusIvEENSB_8equal_toIvEES6_EE10hipError_tPvRmT2_T3_T4_T5_mT6_T7_P12ihipStream_tbENKUlT_T0_E_clISt17integral_constantIbLb0EES13_EEDaSY_SZ_EUlSY_E_NS1_11comp_targetILNS1_3genE2ELNS1_11target_archE906ELNS1_3gpuE6ELNS1_3repE0EEENS1_30default_config_static_selectorELNS0_4arch9wavefront6targetE0EEEvT1_.numbered_sgpr, 0
	.set _ZN7rocprim17ROCPRIM_400000_NS6detail17trampoline_kernelINS0_14default_configENS1_27scan_by_key_config_selectorIj11FixedVectorIiLj4EEEEZZNS1_16scan_by_key_implILNS1_25lookback_scan_determinismE0ELb1ES3_N6thrust23THRUST_200600_302600_NS6detail15normal_iteratorINSB_10device_ptrIjEEEENSD_INSE_IS6_EEEESI_S6_NSB_4plusIvEENSB_8equal_toIvEES6_EE10hipError_tPvRmT2_T3_T4_T5_mT6_T7_P12ihipStream_tbENKUlT_T0_E_clISt17integral_constantIbLb0EES13_EEDaSY_SZ_EUlSY_E_NS1_11comp_targetILNS1_3genE2ELNS1_11target_archE906ELNS1_3gpuE6ELNS1_3repE0EEENS1_30default_config_static_selectorELNS0_4arch9wavefront6targetE0EEEvT1_.num_named_barrier, 0
	.set _ZN7rocprim17ROCPRIM_400000_NS6detail17trampoline_kernelINS0_14default_configENS1_27scan_by_key_config_selectorIj11FixedVectorIiLj4EEEEZZNS1_16scan_by_key_implILNS1_25lookback_scan_determinismE0ELb1ES3_N6thrust23THRUST_200600_302600_NS6detail15normal_iteratorINSB_10device_ptrIjEEEENSD_INSE_IS6_EEEESI_S6_NSB_4plusIvEENSB_8equal_toIvEES6_EE10hipError_tPvRmT2_T3_T4_T5_mT6_T7_P12ihipStream_tbENKUlT_T0_E_clISt17integral_constantIbLb0EES13_EEDaSY_SZ_EUlSY_E_NS1_11comp_targetILNS1_3genE2ELNS1_11target_archE906ELNS1_3gpuE6ELNS1_3repE0EEENS1_30default_config_static_selectorELNS0_4arch9wavefront6targetE0EEEvT1_.private_seg_size, 0
	.set _ZN7rocprim17ROCPRIM_400000_NS6detail17trampoline_kernelINS0_14default_configENS1_27scan_by_key_config_selectorIj11FixedVectorIiLj4EEEEZZNS1_16scan_by_key_implILNS1_25lookback_scan_determinismE0ELb1ES3_N6thrust23THRUST_200600_302600_NS6detail15normal_iteratorINSB_10device_ptrIjEEEENSD_INSE_IS6_EEEESI_S6_NSB_4plusIvEENSB_8equal_toIvEES6_EE10hipError_tPvRmT2_T3_T4_T5_mT6_T7_P12ihipStream_tbENKUlT_T0_E_clISt17integral_constantIbLb0EES13_EEDaSY_SZ_EUlSY_E_NS1_11comp_targetILNS1_3genE2ELNS1_11target_archE906ELNS1_3gpuE6ELNS1_3repE0EEENS1_30default_config_static_selectorELNS0_4arch9wavefront6targetE0EEEvT1_.uses_vcc, 0
	.set _ZN7rocprim17ROCPRIM_400000_NS6detail17trampoline_kernelINS0_14default_configENS1_27scan_by_key_config_selectorIj11FixedVectorIiLj4EEEEZZNS1_16scan_by_key_implILNS1_25lookback_scan_determinismE0ELb1ES3_N6thrust23THRUST_200600_302600_NS6detail15normal_iteratorINSB_10device_ptrIjEEEENSD_INSE_IS6_EEEESI_S6_NSB_4plusIvEENSB_8equal_toIvEES6_EE10hipError_tPvRmT2_T3_T4_T5_mT6_T7_P12ihipStream_tbENKUlT_T0_E_clISt17integral_constantIbLb0EES13_EEDaSY_SZ_EUlSY_E_NS1_11comp_targetILNS1_3genE2ELNS1_11target_archE906ELNS1_3gpuE6ELNS1_3repE0EEENS1_30default_config_static_selectorELNS0_4arch9wavefront6targetE0EEEvT1_.uses_flat_scratch, 0
	.set _ZN7rocprim17ROCPRIM_400000_NS6detail17trampoline_kernelINS0_14default_configENS1_27scan_by_key_config_selectorIj11FixedVectorIiLj4EEEEZZNS1_16scan_by_key_implILNS1_25lookback_scan_determinismE0ELb1ES3_N6thrust23THRUST_200600_302600_NS6detail15normal_iteratorINSB_10device_ptrIjEEEENSD_INSE_IS6_EEEESI_S6_NSB_4plusIvEENSB_8equal_toIvEES6_EE10hipError_tPvRmT2_T3_T4_T5_mT6_T7_P12ihipStream_tbENKUlT_T0_E_clISt17integral_constantIbLb0EES13_EEDaSY_SZ_EUlSY_E_NS1_11comp_targetILNS1_3genE2ELNS1_11target_archE906ELNS1_3gpuE6ELNS1_3repE0EEENS1_30default_config_static_selectorELNS0_4arch9wavefront6targetE0EEEvT1_.has_dyn_sized_stack, 0
	.set _ZN7rocprim17ROCPRIM_400000_NS6detail17trampoline_kernelINS0_14default_configENS1_27scan_by_key_config_selectorIj11FixedVectorIiLj4EEEEZZNS1_16scan_by_key_implILNS1_25lookback_scan_determinismE0ELb1ES3_N6thrust23THRUST_200600_302600_NS6detail15normal_iteratorINSB_10device_ptrIjEEEENSD_INSE_IS6_EEEESI_S6_NSB_4plusIvEENSB_8equal_toIvEES6_EE10hipError_tPvRmT2_T3_T4_T5_mT6_T7_P12ihipStream_tbENKUlT_T0_E_clISt17integral_constantIbLb0EES13_EEDaSY_SZ_EUlSY_E_NS1_11comp_targetILNS1_3genE2ELNS1_11target_archE906ELNS1_3gpuE6ELNS1_3repE0EEENS1_30default_config_static_selectorELNS0_4arch9wavefront6targetE0EEEvT1_.has_recursion, 0
	.set _ZN7rocprim17ROCPRIM_400000_NS6detail17trampoline_kernelINS0_14default_configENS1_27scan_by_key_config_selectorIj11FixedVectorIiLj4EEEEZZNS1_16scan_by_key_implILNS1_25lookback_scan_determinismE0ELb1ES3_N6thrust23THRUST_200600_302600_NS6detail15normal_iteratorINSB_10device_ptrIjEEEENSD_INSE_IS6_EEEESI_S6_NSB_4plusIvEENSB_8equal_toIvEES6_EE10hipError_tPvRmT2_T3_T4_T5_mT6_T7_P12ihipStream_tbENKUlT_T0_E_clISt17integral_constantIbLb0EES13_EEDaSY_SZ_EUlSY_E_NS1_11comp_targetILNS1_3genE2ELNS1_11target_archE906ELNS1_3gpuE6ELNS1_3repE0EEENS1_30default_config_static_selectorELNS0_4arch9wavefront6targetE0EEEvT1_.has_indirect_call, 0
	.section	.AMDGPU.csdata,"",@progbits
; Kernel info:
; codeLenInByte = 0
; TotalNumSgprs: 0
; NumVgprs: 0
; ScratchSize: 0
; MemoryBound: 0
; FloatMode: 240
; IeeeMode: 1
; LDSByteSize: 0 bytes/workgroup (compile time only)
; SGPRBlocks: 0
; VGPRBlocks: 0
; NumSGPRsForWavesPerEU: 1
; NumVGPRsForWavesPerEU: 1
; Occupancy: 16
; WaveLimiterHint : 0
; COMPUTE_PGM_RSRC2:SCRATCH_EN: 0
; COMPUTE_PGM_RSRC2:USER_SGPR: 6
; COMPUTE_PGM_RSRC2:TRAP_HANDLER: 0
; COMPUTE_PGM_RSRC2:TGID_X_EN: 1
; COMPUTE_PGM_RSRC2:TGID_Y_EN: 0
; COMPUTE_PGM_RSRC2:TGID_Z_EN: 0
; COMPUTE_PGM_RSRC2:TIDIG_COMP_CNT: 0
	.section	.text._ZN7rocprim17ROCPRIM_400000_NS6detail17trampoline_kernelINS0_14default_configENS1_27scan_by_key_config_selectorIj11FixedVectorIiLj4EEEEZZNS1_16scan_by_key_implILNS1_25lookback_scan_determinismE0ELb1ES3_N6thrust23THRUST_200600_302600_NS6detail15normal_iteratorINSB_10device_ptrIjEEEENSD_INSE_IS6_EEEESI_S6_NSB_4plusIvEENSB_8equal_toIvEES6_EE10hipError_tPvRmT2_T3_T4_T5_mT6_T7_P12ihipStream_tbENKUlT_T0_E_clISt17integral_constantIbLb0EES13_EEDaSY_SZ_EUlSY_E_NS1_11comp_targetILNS1_3genE10ELNS1_11target_archE1200ELNS1_3gpuE4ELNS1_3repE0EEENS1_30default_config_static_selectorELNS0_4arch9wavefront6targetE0EEEvT1_,"axG",@progbits,_ZN7rocprim17ROCPRIM_400000_NS6detail17trampoline_kernelINS0_14default_configENS1_27scan_by_key_config_selectorIj11FixedVectorIiLj4EEEEZZNS1_16scan_by_key_implILNS1_25lookback_scan_determinismE0ELb1ES3_N6thrust23THRUST_200600_302600_NS6detail15normal_iteratorINSB_10device_ptrIjEEEENSD_INSE_IS6_EEEESI_S6_NSB_4plusIvEENSB_8equal_toIvEES6_EE10hipError_tPvRmT2_T3_T4_T5_mT6_T7_P12ihipStream_tbENKUlT_T0_E_clISt17integral_constantIbLb0EES13_EEDaSY_SZ_EUlSY_E_NS1_11comp_targetILNS1_3genE10ELNS1_11target_archE1200ELNS1_3gpuE4ELNS1_3repE0EEENS1_30default_config_static_selectorELNS0_4arch9wavefront6targetE0EEEvT1_,comdat
	.protected	_ZN7rocprim17ROCPRIM_400000_NS6detail17trampoline_kernelINS0_14default_configENS1_27scan_by_key_config_selectorIj11FixedVectorIiLj4EEEEZZNS1_16scan_by_key_implILNS1_25lookback_scan_determinismE0ELb1ES3_N6thrust23THRUST_200600_302600_NS6detail15normal_iteratorINSB_10device_ptrIjEEEENSD_INSE_IS6_EEEESI_S6_NSB_4plusIvEENSB_8equal_toIvEES6_EE10hipError_tPvRmT2_T3_T4_T5_mT6_T7_P12ihipStream_tbENKUlT_T0_E_clISt17integral_constantIbLb0EES13_EEDaSY_SZ_EUlSY_E_NS1_11comp_targetILNS1_3genE10ELNS1_11target_archE1200ELNS1_3gpuE4ELNS1_3repE0EEENS1_30default_config_static_selectorELNS0_4arch9wavefront6targetE0EEEvT1_ ; -- Begin function _ZN7rocprim17ROCPRIM_400000_NS6detail17trampoline_kernelINS0_14default_configENS1_27scan_by_key_config_selectorIj11FixedVectorIiLj4EEEEZZNS1_16scan_by_key_implILNS1_25lookback_scan_determinismE0ELb1ES3_N6thrust23THRUST_200600_302600_NS6detail15normal_iteratorINSB_10device_ptrIjEEEENSD_INSE_IS6_EEEESI_S6_NSB_4plusIvEENSB_8equal_toIvEES6_EE10hipError_tPvRmT2_T3_T4_T5_mT6_T7_P12ihipStream_tbENKUlT_T0_E_clISt17integral_constantIbLb0EES13_EEDaSY_SZ_EUlSY_E_NS1_11comp_targetILNS1_3genE10ELNS1_11target_archE1200ELNS1_3gpuE4ELNS1_3repE0EEENS1_30default_config_static_selectorELNS0_4arch9wavefront6targetE0EEEvT1_
	.globl	_ZN7rocprim17ROCPRIM_400000_NS6detail17trampoline_kernelINS0_14default_configENS1_27scan_by_key_config_selectorIj11FixedVectorIiLj4EEEEZZNS1_16scan_by_key_implILNS1_25lookback_scan_determinismE0ELb1ES3_N6thrust23THRUST_200600_302600_NS6detail15normal_iteratorINSB_10device_ptrIjEEEENSD_INSE_IS6_EEEESI_S6_NSB_4plusIvEENSB_8equal_toIvEES6_EE10hipError_tPvRmT2_T3_T4_T5_mT6_T7_P12ihipStream_tbENKUlT_T0_E_clISt17integral_constantIbLb0EES13_EEDaSY_SZ_EUlSY_E_NS1_11comp_targetILNS1_3genE10ELNS1_11target_archE1200ELNS1_3gpuE4ELNS1_3repE0EEENS1_30default_config_static_selectorELNS0_4arch9wavefront6targetE0EEEvT1_
	.p2align	8
	.type	_ZN7rocprim17ROCPRIM_400000_NS6detail17trampoline_kernelINS0_14default_configENS1_27scan_by_key_config_selectorIj11FixedVectorIiLj4EEEEZZNS1_16scan_by_key_implILNS1_25lookback_scan_determinismE0ELb1ES3_N6thrust23THRUST_200600_302600_NS6detail15normal_iteratorINSB_10device_ptrIjEEEENSD_INSE_IS6_EEEESI_S6_NSB_4plusIvEENSB_8equal_toIvEES6_EE10hipError_tPvRmT2_T3_T4_T5_mT6_T7_P12ihipStream_tbENKUlT_T0_E_clISt17integral_constantIbLb0EES13_EEDaSY_SZ_EUlSY_E_NS1_11comp_targetILNS1_3genE10ELNS1_11target_archE1200ELNS1_3gpuE4ELNS1_3repE0EEENS1_30default_config_static_selectorELNS0_4arch9wavefront6targetE0EEEvT1_,@function
_ZN7rocprim17ROCPRIM_400000_NS6detail17trampoline_kernelINS0_14default_configENS1_27scan_by_key_config_selectorIj11FixedVectorIiLj4EEEEZZNS1_16scan_by_key_implILNS1_25lookback_scan_determinismE0ELb1ES3_N6thrust23THRUST_200600_302600_NS6detail15normal_iteratorINSB_10device_ptrIjEEEENSD_INSE_IS6_EEEESI_S6_NSB_4plusIvEENSB_8equal_toIvEES6_EE10hipError_tPvRmT2_T3_T4_T5_mT6_T7_P12ihipStream_tbENKUlT_T0_E_clISt17integral_constantIbLb0EES13_EEDaSY_SZ_EUlSY_E_NS1_11comp_targetILNS1_3genE10ELNS1_11target_archE1200ELNS1_3gpuE4ELNS1_3repE0EEENS1_30default_config_static_selectorELNS0_4arch9wavefront6targetE0EEEvT1_: ; @_ZN7rocprim17ROCPRIM_400000_NS6detail17trampoline_kernelINS0_14default_configENS1_27scan_by_key_config_selectorIj11FixedVectorIiLj4EEEEZZNS1_16scan_by_key_implILNS1_25lookback_scan_determinismE0ELb1ES3_N6thrust23THRUST_200600_302600_NS6detail15normal_iteratorINSB_10device_ptrIjEEEENSD_INSE_IS6_EEEESI_S6_NSB_4plusIvEENSB_8equal_toIvEES6_EE10hipError_tPvRmT2_T3_T4_T5_mT6_T7_P12ihipStream_tbENKUlT_T0_E_clISt17integral_constantIbLb0EES13_EEDaSY_SZ_EUlSY_E_NS1_11comp_targetILNS1_3genE10ELNS1_11target_archE1200ELNS1_3gpuE4ELNS1_3repE0EEENS1_30default_config_static_selectorELNS0_4arch9wavefront6targetE0EEEvT1_
; %bb.0:
	.section	.rodata,"a",@progbits
	.p2align	6, 0x0
	.amdhsa_kernel _ZN7rocprim17ROCPRIM_400000_NS6detail17trampoline_kernelINS0_14default_configENS1_27scan_by_key_config_selectorIj11FixedVectorIiLj4EEEEZZNS1_16scan_by_key_implILNS1_25lookback_scan_determinismE0ELb1ES3_N6thrust23THRUST_200600_302600_NS6detail15normal_iteratorINSB_10device_ptrIjEEEENSD_INSE_IS6_EEEESI_S6_NSB_4plusIvEENSB_8equal_toIvEES6_EE10hipError_tPvRmT2_T3_T4_T5_mT6_T7_P12ihipStream_tbENKUlT_T0_E_clISt17integral_constantIbLb0EES13_EEDaSY_SZ_EUlSY_E_NS1_11comp_targetILNS1_3genE10ELNS1_11target_archE1200ELNS1_3gpuE4ELNS1_3repE0EEENS1_30default_config_static_selectorELNS0_4arch9wavefront6targetE0EEEvT1_
		.amdhsa_group_segment_fixed_size 0
		.amdhsa_private_segment_fixed_size 0
		.amdhsa_kernarg_size 144
		.amdhsa_user_sgpr_count 6
		.amdhsa_user_sgpr_private_segment_buffer 1
		.amdhsa_user_sgpr_dispatch_ptr 0
		.amdhsa_user_sgpr_queue_ptr 0
		.amdhsa_user_sgpr_kernarg_segment_ptr 1
		.amdhsa_user_sgpr_dispatch_id 0
		.amdhsa_user_sgpr_flat_scratch_init 0
		.amdhsa_user_sgpr_private_segment_size 0
		.amdhsa_wavefront_size32 1
		.amdhsa_uses_dynamic_stack 0
		.amdhsa_system_sgpr_private_segment_wavefront_offset 0
		.amdhsa_system_sgpr_workgroup_id_x 1
		.amdhsa_system_sgpr_workgroup_id_y 0
		.amdhsa_system_sgpr_workgroup_id_z 0
		.amdhsa_system_sgpr_workgroup_info 0
		.amdhsa_system_vgpr_workitem_id 0
		.amdhsa_next_free_vgpr 1
		.amdhsa_next_free_sgpr 1
		.amdhsa_reserve_vcc 0
		.amdhsa_reserve_flat_scratch 0
		.amdhsa_float_round_mode_32 0
		.amdhsa_float_round_mode_16_64 0
		.amdhsa_float_denorm_mode_32 3
		.amdhsa_float_denorm_mode_16_64 3
		.amdhsa_dx10_clamp 1
		.amdhsa_ieee_mode 1
		.amdhsa_fp16_overflow 0
		.amdhsa_workgroup_processor_mode 1
		.amdhsa_memory_ordered 1
		.amdhsa_forward_progress 1
		.amdhsa_shared_vgpr_count 0
		.amdhsa_exception_fp_ieee_invalid_op 0
		.amdhsa_exception_fp_denorm_src 0
		.amdhsa_exception_fp_ieee_div_zero 0
		.amdhsa_exception_fp_ieee_overflow 0
		.amdhsa_exception_fp_ieee_underflow 0
		.amdhsa_exception_fp_ieee_inexact 0
		.amdhsa_exception_int_div_zero 0
	.end_amdhsa_kernel
	.section	.text._ZN7rocprim17ROCPRIM_400000_NS6detail17trampoline_kernelINS0_14default_configENS1_27scan_by_key_config_selectorIj11FixedVectorIiLj4EEEEZZNS1_16scan_by_key_implILNS1_25lookback_scan_determinismE0ELb1ES3_N6thrust23THRUST_200600_302600_NS6detail15normal_iteratorINSB_10device_ptrIjEEEENSD_INSE_IS6_EEEESI_S6_NSB_4plusIvEENSB_8equal_toIvEES6_EE10hipError_tPvRmT2_T3_T4_T5_mT6_T7_P12ihipStream_tbENKUlT_T0_E_clISt17integral_constantIbLb0EES13_EEDaSY_SZ_EUlSY_E_NS1_11comp_targetILNS1_3genE10ELNS1_11target_archE1200ELNS1_3gpuE4ELNS1_3repE0EEENS1_30default_config_static_selectorELNS0_4arch9wavefront6targetE0EEEvT1_,"axG",@progbits,_ZN7rocprim17ROCPRIM_400000_NS6detail17trampoline_kernelINS0_14default_configENS1_27scan_by_key_config_selectorIj11FixedVectorIiLj4EEEEZZNS1_16scan_by_key_implILNS1_25lookback_scan_determinismE0ELb1ES3_N6thrust23THRUST_200600_302600_NS6detail15normal_iteratorINSB_10device_ptrIjEEEENSD_INSE_IS6_EEEESI_S6_NSB_4plusIvEENSB_8equal_toIvEES6_EE10hipError_tPvRmT2_T3_T4_T5_mT6_T7_P12ihipStream_tbENKUlT_T0_E_clISt17integral_constantIbLb0EES13_EEDaSY_SZ_EUlSY_E_NS1_11comp_targetILNS1_3genE10ELNS1_11target_archE1200ELNS1_3gpuE4ELNS1_3repE0EEENS1_30default_config_static_selectorELNS0_4arch9wavefront6targetE0EEEvT1_,comdat
.Lfunc_end2081:
	.size	_ZN7rocprim17ROCPRIM_400000_NS6detail17trampoline_kernelINS0_14default_configENS1_27scan_by_key_config_selectorIj11FixedVectorIiLj4EEEEZZNS1_16scan_by_key_implILNS1_25lookback_scan_determinismE0ELb1ES3_N6thrust23THRUST_200600_302600_NS6detail15normal_iteratorINSB_10device_ptrIjEEEENSD_INSE_IS6_EEEESI_S6_NSB_4plusIvEENSB_8equal_toIvEES6_EE10hipError_tPvRmT2_T3_T4_T5_mT6_T7_P12ihipStream_tbENKUlT_T0_E_clISt17integral_constantIbLb0EES13_EEDaSY_SZ_EUlSY_E_NS1_11comp_targetILNS1_3genE10ELNS1_11target_archE1200ELNS1_3gpuE4ELNS1_3repE0EEENS1_30default_config_static_selectorELNS0_4arch9wavefront6targetE0EEEvT1_, .Lfunc_end2081-_ZN7rocprim17ROCPRIM_400000_NS6detail17trampoline_kernelINS0_14default_configENS1_27scan_by_key_config_selectorIj11FixedVectorIiLj4EEEEZZNS1_16scan_by_key_implILNS1_25lookback_scan_determinismE0ELb1ES3_N6thrust23THRUST_200600_302600_NS6detail15normal_iteratorINSB_10device_ptrIjEEEENSD_INSE_IS6_EEEESI_S6_NSB_4plusIvEENSB_8equal_toIvEES6_EE10hipError_tPvRmT2_T3_T4_T5_mT6_T7_P12ihipStream_tbENKUlT_T0_E_clISt17integral_constantIbLb0EES13_EEDaSY_SZ_EUlSY_E_NS1_11comp_targetILNS1_3genE10ELNS1_11target_archE1200ELNS1_3gpuE4ELNS1_3repE0EEENS1_30default_config_static_selectorELNS0_4arch9wavefront6targetE0EEEvT1_
                                        ; -- End function
	.set _ZN7rocprim17ROCPRIM_400000_NS6detail17trampoline_kernelINS0_14default_configENS1_27scan_by_key_config_selectorIj11FixedVectorIiLj4EEEEZZNS1_16scan_by_key_implILNS1_25lookback_scan_determinismE0ELb1ES3_N6thrust23THRUST_200600_302600_NS6detail15normal_iteratorINSB_10device_ptrIjEEEENSD_INSE_IS6_EEEESI_S6_NSB_4plusIvEENSB_8equal_toIvEES6_EE10hipError_tPvRmT2_T3_T4_T5_mT6_T7_P12ihipStream_tbENKUlT_T0_E_clISt17integral_constantIbLb0EES13_EEDaSY_SZ_EUlSY_E_NS1_11comp_targetILNS1_3genE10ELNS1_11target_archE1200ELNS1_3gpuE4ELNS1_3repE0EEENS1_30default_config_static_selectorELNS0_4arch9wavefront6targetE0EEEvT1_.num_vgpr, 0
	.set _ZN7rocprim17ROCPRIM_400000_NS6detail17trampoline_kernelINS0_14default_configENS1_27scan_by_key_config_selectorIj11FixedVectorIiLj4EEEEZZNS1_16scan_by_key_implILNS1_25lookback_scan_determinismE0ELb1ES3_N6thrust23THRUST_200600_302600_NS6detail15normal_iteratorINSB_10device_ptrIjEEEENSD_INSE_IS6_EEEESI_S6_NSB_4plusIvEENSB_8equal_toIvEES6_EE10hipError_tPvRmT2_T3_T4_T5_mT6_T7_P12ihipStream_tbENKUlT_T0_E_clISt17integral_constantIbLb0EES13_EEDaSY_SZ_EUlSY_E_NS1_11comp_targetILNS1_3genE10ELNS1_11target_archE1200ELNS1_3gpuE4ELNS1_3repE0EEENS1_30default_config_static_selectorELNS0_4arch9wavefront6targetE0EEEvT1_.num_agpr, 0
	.set _ZN7rocprim17ROCPRIM_400000_NS6detail17trampoline_kernelINS0_14default_configENS1_27scan_by_key_config_selectorIj11FixedVectorIiLj4EEEEZZNS1_16scan_by_key_implILNS1_25lookback_scan_determinismE0ELb1ES3_N6thrust23THRUST_200600_302600_NS6detail15normal_iteratorINSB_10device_ptrIjEEEENSD_INSE_IS6_EEEESI_S6_NSB_4plusIvEENSB_8equal_toIvEES6_EE10hipError_tPvRmT2_T3_T4_T5_mT6_T7_P12ihipStream_tbENKUlT_T0_E_clISt17integral_constantIbLb0EES13_EEDaSY_SZ_EUlSY_E_NS1_11comp_targetILNS1_3genE10ELNS1_11target_archE1200ELNS1_3gpuE4ELNS1_3repE0EEENS1_30default_config_static_selectorELNS0_4arch9wavefront6targetE0EEEvT1_.numbered_sgpr, 0
	.set _ZN7rocprim17ROCPRIM_400000_NS6detail17trampoline_kernelINS0_14default_configENS1_27scan_by_key_config_selectorIj11FixedVectorIiLj4EEEEZZNS1_16scan_by_key_implILNS1_25lookback_scan_determinismE0ELb1ES3_N6thrust23THRUST_200600_302600_NS6detail15normal_iteratorINSB_10device_ptrIjEEEENSD_INSE_IS6_EEEESI_S6_NSB_4plusIvEENSB_8equal_toIvEES6_EE10hipError_tPvRmT2_T3_T4_T5_mT6_T7_P12ihipStream_tbENKUlT_T0_E_clISt17integral_constantIbLb0EES13_EEDaSY_SZ_EUlSY_E_NS1_11comp_targetILNS1_3genE10ELNS1_11target_archE1200ELNS1_3gpuE4ELNS1_3repE0EEENS1_30default_config_static_selectorELNS0_4arch9wavefront6targetE0EEEvT1_.num_named_barrier, 0
	.set _ZN7rocprim17ROCPRIM_400000_NS6detail17trampoline_kernelINS0_14default_configENS1_27scan_by_key_config_selectorIj11FixedVectorIiLj4EEEEZZNS1_16scan_by_key_implILNS1_25lookback_scan_determinismE0ELb1ES3_N6thrust23THRUST_200600_302600_NS6detail15normal_iteratorINSB_10device_ptrIjEEEENSD_INSE_IS6_EEEESI_S6_NSB_4plusIvEENSB_8equal_toIvEES6_EE10hipError_tPvRmT2_T3_T4_T5_mT6_T7_P12ihipStream_tbENKUlT_T0_E_clISt17integral_constantIbLb0EES13_EEDaSY_SZ_EUlSY_E_NS1_11comp_targetILNS1_3genE10ELNS1_11target_archE1200ELNS1_3gpuE4ELNS1_3repE0EEENS1_30default_config_static_selectorELNS0_4arch9wavefront6targetE0EEEvT1_.private_seg_size, 0
	.set _ZN7rocprim17ROCPRIM_400000_NS6detail17trampoline_kernelINS0_14default_configENS1_27scan_by_key_config_selectorIj11FixedVectorIiLj4EEEEZZNS1_16scan_by_key_implILNS1_25lookback_scan_determinismE0ELb1ES3_N6thrust23THRUST_200600_302600_NS6detail15normal_iteratorINSB_10device_ptrIjEEEENSD_INSE_IS6_EEEESI_S6_NSB_4plusIvEENSB_8equal_toIvEES6_EE10hipError_tPvRmT2_T3_T4_T5_mT6_T7_P12ihipStream_tbENKUlT_T0_E_clISt17integral_constantIbLb0EES13_EEDaSY_SZ_EUlSY_E_NS1_11comp_targetILNS1_3genE10ELNS1_11target_archE1200ELNS1_3gpuE4ELNS1_3repE0EEENS1_30default_config_static_selectorELNS0_4arch9wavefront6targetE0EEEvT1_.uses_vcc, 0
	.set _ZN7rocprim17ROCPRIM_400000_NS6detail17trampoline_kernelINS0_14default_configENS1_27scan_by_key_config_selectorIj11FixedVectorIiLj4EEEEZZNS1_16scan_by_key_implILNS1_25lookback_scan_determinismE0ELb1ES3_N6thrust23THRUST_200600_302600_NS6detail15normal_iteratorINSB_10device_ptrIjEEEENSD_INSE_IS6_EEEESI_S6_NSB_4plusIvEENSB_8equal_toIvEES6_EE10hipError_tPvRmT2_T3_T4_T5_mT6_T7_P12ihipStream_tbENKUlT_T0_E_clISt17integral_constantIbLb0EES13_EEDaSY_SZ_EUlSY_E_NS1_11comp_targetILNS1_3genE10ELNS1_11target_archE1200ELNS1_3gpuE4ELNS1_3repE0EEENS1_30default_config_static_selectorELNS0_4arch9wavefront6targetE0EEEvT1_.uses_flat_scratch, 0
	.set _ZN7rocprim17ROCPRIM_400000_NS6detail17trampoline_kernelINS0_14default_configENS1_27scan_by_key_config_selectorIj11FixedVectorIiLj4EEEEZZNS1_16scan_by_key_implILNS1_25lookback_scan_determinismE0ELb1ES3_N6thrust23THRUST_200600_302600_NS6detail15normal_iteratorINSB_10device_ptrIjEEEENSD_INSE_IS6_EEEESI_S6_NSB_4plusIvEENSB_8equal_toIvEES6_EE10hipError_tPvRmT2_T3_T4_T5_mT6_T7_P12ihipStream_tbENKUlT_T0_E_clISt17integral_constantIbLb0EES13_EEDaSY_SZ_EUlSY_E_NS1_11comp_targetILNS1_3genE10ELNS1_11target_archE1200ELNS1_3gpuE4ELNS1_3repE0EEENS1_30default_config_static_selectorELNS0_4arch9wavefront6targetE0EEEvT1_.has_dyn_sized_stack, 0
	.set _ZN7rocprim17ROCPRIM_400000_NS6detail17trampoline_kernelINS0_14default_configENS1_27scan_by_key_config_selectorIj11FixedVectorIiLj4EEEEZZNS1_16scan_by_key_implILNS1_25lookback_scan_determinismE0ELb1ES3_N6thrust23THRUST_200600_302600_NS6detail15normal_iteratorINSB_10device_ptrIjEEEENSD_INSE_IS6_EEEESI_S6_NSB_4plusIvEENSB_8equal_toIvEES6_EE10hipError_tPvRmT2_T3_T4_T5_mT6_T7_P12ihipStream_tbENKUlT_T0_E_clISt17integral_constantIbLb0EES13_EEDaSY_SZ_EUlSY_E_NS1_11comp_targetILNS1_3genE10ELNS1_11target_archE1200ELNS1_3gpuE4ELNS1_3repE0EEENS1_30default_config_static_selectorELNS0_4arch9wavefront6targetE0EEEvT1_.has_recursion, 0
	.set _ZN7rocprim17ROCPRIM_400000_NS6detail17trampoline_kernelINS0_14default_configENS1_27scan_by_key_config_selectorIj11FixedVectorIiLj4EEEEZZNS1_16scan_by_key_implILNS1_25lookback_scan_determinismE0ELb1ES3_N6thrust23THRUST_200600_302600_NS6detail15normal_iteratorINSB_10device_ptrIjEEEENSD_INSE_IS6_EEEESI_S6_NSB_4plusIvEENSB_8equal_toIvEES6_EE10hipError_tPvRmT2_T3_T4_T5_mT6_T7_P12ihipStream_tbENKUlT_T0_E_clISt17integral_constantIbLb0EES13_EEDaSY_SZ_EUlSY_E_NS1_11comp_targetILNS1_3genE10ELNS1_11target_archE1200ELNS1_3gpuE4ELNS1_3repE0EEENS1_30default_config_static_selectorELNS0_4arch9wavefront6targetE0EEEvT1_.has_indirect_call, 0
	.section	.AMDGPU.csdata,"",@progbits
; Kernel info:
; codeLenInByte = 0
; TotalNumSgprs: 0
; NumVgprs: 0
; ScratchSize: 0
; MemoryBound: 0
; FloatMode: 240
; IeeeMode: 1
; LDSByteSize: 0 bytes/workgroup (compile time only)
; SGPRBlocks: 0
; VGPRBlocks: 0
; NumSGPRsForWavesPerEU: 1
; NumVGPRsForWavesPerEU: 1
; Occupancy: 16
; WaveLimiterHint : 0
; COMPUTE_PGM_RSRC2:SCRATCH_EN: 0
; COMPUTE_PGM_RSRC2:USER_SGPR: 6
; COMPUTE_PGM_RSRC2:TRAP_HANDLER: 0
; COMPUTE_PGM_RSRC2:TGID_X_EN: 1
; COMPUTE_PGM_RSRC2:TGID_Y_EN: 0
; COMPUTE_PGM_RSRC2:TGID_Z_EN: 0
; COMPUTE_PGM_RSRC2:TIDIG_COMP_CNT: 0
	.section	.text._ZN7rocprim17ROCPRIM_400000_NS6detail17trampoline_kernelINS0_14default_configENS1_27scan_by_key_config_selectorIj11FixedVectorIiLj4EEEEZZNS1_16scan_by_key_implILNS1_25lookback_scan_determinismE0ELb1ES3_N6thrust23THRUST_200600_302600_NS6detail15normal_iteratorINSB_10device_ptrIjEEEENSD_INSE_IS6_EEEESI_S6_NSB_4plusIvEENSB_8equal_toIvEES6_EE10hipError_tPvRmT2_T3_T4_T5_mT6_T7_P12ihipStream_tbENKUlT_T0_E_clISt17integral_constantIbLb0EES13_EEDaSY_SZ_EUlSY_E_NS1_11comp_targetILNS1_3genE9ELNS1_11target_archE1100ELNS1_3gpuE3ELNS1_3repE0EEENS1_30default_config_static_selectorELNS0_4arch9wavefront6targetE0EEEvT1_,"axG",@progbits,_ZN7rocprim17ROCPRIM_400000_NS6detail17trampoline_kernelINS0_14default_configENS1_27scan_by_key_config_selectorIj11FixedVectorIiLj4EEEEZZNS1_16scan_by_key_implILNS1_25lookback_scan_determinismE0ELb1ES3_N6thrust23THRUST_200600_302600_NS6detail15normal_iteratorINSB_10device_ptrIjEEEENSD_INSE_IS6_EEEESI_S6_NSB_4plusIvEENSB_8equal_toIvEES6_EE10hipError_tPvRmT2_T3_T4_T5_mT6_T7_P12ihipStream_tbENKUlT_T0_E_clISt17integral_constantIbLb0EES13_EEDaSY_SZ_EUlSY_E_NS1_11comp_targetILNS1_3genE9ELNS1_11target_archE1100ELNS1_3gpuE3ELNS1_3repE0EEENS1_30default_config_static_selectorELNS0_4arch9wavefront6targetE0EEEvT1_,comdat
	.protected	_ZN7rocprim17ROCPRIM_400000_NS6detail17trampoline_kernelINS0_14default_configENS1_27scan_by_key_config_selectorIj11FixedVectorIiLj4EEEEZZNS1_16scan_by_key_implILNS1_25lookback_scan_determinismE0ELb1ES3_N6thrust23THRUST_200600_302600_NS6detail15normal_iteratorINSB_10device_ptrIjEEEENSD_INSE_IS6_EEEESI_S6_NSB_4plusIvEENSB_8equal_toIvEES6_EE10hipError_tPvRmT2_T3_T4_T5_mT6_T7_P12ihipStream_tbENKUlT_T0_E_clISt17integral_constantIbLb0EES13_EEDaSY_SZ_EUlSY_E_NS1_11comp_targetILNS1_3genE9ELNS1_11target_archE1100ELNS1_3gpuE3ELNS1_3repE0EEENS1_30default_config_static_selectorELNS0_4arch9wavefront6targetE0EEEvT1_ ; -- Begin function _ZN7rocprim17ROCPRIM_400000_NS6detail17trampoline_kernelINS0_14default_configENS1_27scan_by_key_config_selectorIj11FixedVectorIiLj4EEEEZZNS1_16scan_by_key_implILNS1_25lookback_scan_determinismE0ELb1ES3_N6thrust23THRUST_200600_302600_NS6detail15normal_iteratorINSB_10device_ptrIjEEEENSD_INSE_IS6_EEEESI_S6_NSB_4plusIvEENSB_8equal_toIvEES6_EE10hipError_tPvRmT2_T3_T4_T5_mT6_T7_P12ihipStream_tbENKUlT_T0_E_clISt17integral_constantIbLb0EES13_EEDaSY_SZ_EUlSY_E_NS1_11comp_targetILNS1_3genE9ELNS1_11target_archE1100ELNS1_3gpuE3ELNS1_3repE0EEENS1_30default_config_static_selectorELNS0_4arch9wavefront6targetE0EEEvT1_
	.globl	_ZN7rocprim17ROCPRIM_400000_NS6detail17trampoline_kernelINS0_14default_configENS1_27scan_by_key_config_selectorIj11FixedVectorIiLj4EEEEZZNS1_16scan_by_key_implILNS1_25lookback_scan_determinismE0ELb1ES3_N6thrust23THRUST_200600_302600_NS6detail15normal_iteratorINSB_10device_ptrIjEEEENSD_INSE_IS6_EEEESI_S6_NSB_4plusIvEENSB_8equal_toIvEES6_EE10hipError_tPvRmT2_T3_T4_T5_mT6_T7_P12ihipStream_tbENKUlT_T0_E_clISt17integral_constantIbLb0EES13_EEDaSY_SZ_EUlSY_E_NS1_11comp_targetILNS1_3genE9ELNS1_11target_archE1100ELNS1_3gpuE3ELNS1_3repE0EEENS1_30default_config_static_selectorELNS0_4arch9wavefront6targetE0EEEvT1_
	.p2align	8
	.type	_ZN7rocprim17ROCPRIM_400000_NS6detail17trampoline_kernelINS0_14default_configENS1_27scan_by_key_config_selectorIj11FixedVectorIiLj4EEEEZZNS1_16scan_by_key_implILNS1_25lookback_scan_determinismE0ELb1ES3_N6thrust23THRUST_200600_302600_NS6detail15normal_iteratorINSB_10device_ptrIjEEEENSD_INSE_IS6_EEEESI_S6_NSB_4plusIvEENSB_8equal_toIvEES6_EE10hipError_tPvRmT2_T3_T4_T5_mT6_T7_P12ihipStream_tbENKUlT_T0_E_clISt17integral_constantIbLb0EES13_EEDaSY_SZ_EUlSY_E_NS1_11comp_targetILNS1_3genE9ELNS1_11target_archE1100ELNS1_3gpuE3ELNS1_3repE0EEENS1_30default_config_static_selectorELNS0_4arch9wavefront6targetE0EEEvT1_,@function
_ZN7rocprim17ROCPRIM_400000_NS6detail17trampoline_kernelINS0_14default_configENS1_27scan_by_key_config_selectorIj11FixedVectorIiLj4EEEEZZNS1_16scan_by_key_implILNS1_25lookback_scan_determinismE0ELb1ES3_N6thrust23THRUST_200600_302600_NS6detail15normal_iteratorINSB_10device_ptrIjEEEENSD_INSE_IS6_EEEESI_S6_NSB_4plusIvEENSB_8equal_toIvEES6_EE10hipError_tPvRmT2_T3_T4_T5_mT6_T7_P12ihipStream_tbENKUlT_T0_E_clISt17integral_constantIbLb0EES13_EEDaSY_SZ_EUlSY_E_NS1_11comp_targetILNS1_3genE9ELNS1_11target_archE1100ELNS1_3gpuE3ELNS1_3repE0EEENS1_30default_config_static_selectorELNS0_4arch9wavefront6targetE0EEEvT1_: ; @_ZN7rocprim17ROCPRIM_400000_NS6detail17trampoline_kernelINS0_14default_configENS1_27scan_by_key_config_selectorIj11FixedVectorIiLj4EEEEZZNS1_16scan_by_key_implILNS1_25lookback_scan_determinismE0ELb1ES3_N6thrust23THRUST_200600_302600_NS6detail15normal_iteratorINSB_10device_ptrIjEEEENSD_INSE_IS6_EEEESI_S6_NSB_4plusIvEENSB_8equal_toIvEES6_EE10hipError_tPvRmT2_T3_T4_T5_mT6_T7_P12ihipStream_tbENKUlT_T0_E_clISt17integral_constantIbLb0EES13_EEDaSY_SZ_EUlSY_E_NS1_11comp_targetILNS1_3genE9ELNS1_11target_archE1100ELNS1_3gpuE3ELNS1_3repE0EEENS1_30default_config_static_selectorELNS0_4arch9wavefront6targetE0EEEvT1_
; %bb.0:
	.section	.rodata,"a",@progbits
	.p2align	6, 0x0
	.amdhsa_kernel _ZN7rocprim17ROCPRIM_400000_NS6detail17trampoline_kernelINS0_14default_configENS1_27scan_by_key_config_selectorIj11FixedVectorIiLj4EEEEZZNS1_16scan_by_key_implILNS1_25lookback_scan_determinismE0ELb1ES3_N6thrust23THRUST_200600_302600_NS6detail15normal_iteratorINSB_10device_ptrIjEEEENSD_INSE_IS6_EEEESI_S6_NSB_4plusIvEENSB_8equal_toIvEES6_EE10hipError_tPvRmT2_T3_T4_T5_mT6_T7_P12ihipStream_tbENKUlT_T0_E_clISt17integral_constantIbLb0EES13_EEDaSY_SZ_EUlSY_E_NS1_11comp_targetILNS1_3genE9ELNS1_11target_archE1100ELNS1_3gpuE3ELNS1_3repE0EEENS1_30default_config_static_selectorELNS0_4arch9wavefront6targetE0EEEvT1_
		.amdhsa_group_segment_fixed_size 0
		.amdhsa_private_segment_fixed_size 0
		.amdhsa_kernarg_size 144
		.amdhsa_user_sgpr_count 6
		.amdhsa_user_sgpr_private_segment_buffer 1
		.amdhsa_user_sgpr_dispatch_ptr 0
		.amdhsa_user_sgpr_queue_ptr 0
		.amdhsa_user_sgpr_kernarg_segment_ptr 1
		.amdhsa_user_sgpr_dispatch_id 0
		.amdhsa_user_sgpr_flat_scratch_init 0
		.amdhsa_user_sgpr_private_segment_size 0
		.amdhsa_wavefront_size32 1
		.amdhsa_uses_dynamic_stack 0
		.amdhsa_system_sgpr_private_segment_wavefront_offset 0
		.amdhsa_system_sgpr_workgroup_id_x 1
		.amdhsa_system_sgpr_workgroup_id_y 0
		.amdhsa_system_sgpr_workgroup_id_z 0
		.amdhsa_system_sgpr_workgroup_info 0
		.amdhsa_system_vgpr_workitem_id 0
		.amdhsa_next_free_vgpr 1
		.amdhsa_next_free_sgpr 1
		.amdhsa_reserve_vcc 0
		.amdhsa_reserve_flat_scratch 0
		.amdhsa_float_round_mode_32 0
		.amdhsa_float_round_mode_16_64 0
		.amdhsa_float_denorm_mode_32 3
		.amdhsa_float_denorm_mode_16_64 3
		.amdhsa_dx10_clamp 1
		.amdhsa_ieee_mode 1
		.amdhsa_fp16_overflow 0
		.amdhsa_workgroup_processor_mode 1
		.amdhsa_memory_ordered 1
		.amdhsa_forward_progress 1
		.amdhsa_shared_vgpr_count 0
		.amdhsa_exception_fp_ieee_invalid_op 0
		.amdhsa_exception_fp_denorm_src 0
		.amdhsa_exception_fp_ieee_div_zero 0
		.amdhsa_exception_fp_ieee_overflow 0
		.amdhsa_exception_fp_ieee_underflow 0
		.amdhsa_exception_fp_ieee_inexact 0
		.amdhsa_exception_int_div_zero 0
	.end_amdhsa_kernel
	.section	.text._ZN7rocprim17ROCPRIM_400000_NS6detail17trampoline_kernelINS0_14default_configENS1_27scan_by_key_config_selectorIj11FixedVectorIiLj4EEEEZZNS1_16scan_by_key_implILNS1_25lookback_scan_determinismE0ELb1ES3_N6thrust23THRUST_200600_302600_NS6detail15normal_iteratorINSB_10device_ptrIjEEEENSD_INSE_IS6_EEEESI_S6_NSB_4plusIvEENSB_8equal_toIvEES6_EE10hipError_tPvRmT2_T3_T4_T5_mT6_T7_P12ihipStream_tbENKUlT_T0_E_clISt17integral_constantIbLb0EES13_EEDaSY_SZ_EUlSY_E_NS1_11comp_targetILNS1_3genE9ELNS1_11target_archE1100ELNS1_3gpuE3ELNS1_3repE0EEENS1_30default_config_static_selectorELNS0_4arch9wavefront6targetE0EEEvT1_,"axG",@progbits,_ZN7rocprim17ROCPRIM_400000_NS6detail17trampoline_kernelINS0_14default_configENS1_27scan_by_key_config_selectorIj11FixedVectorIiLj4EEEEZZNS1_16scan_by_key_implILNS1_25lookback_scan_determinismE0ELb1ES3_N6thrust23THRUST_200600_302600_NS6detail15normal_iteratorINSB_10device_ptrIjEEEENSD_INSE_IS6_EEEESI_S6_NSB_4plusIvEENSB_8equal_toIvEES6_EE10hipError_tPvRmT2_T3_T4_T5_mT6_T7_P12ihipStream_tbENKUlT_T0_E_clISt17integral_constantIbLb0EES13_EEDaSY_SZ_EUlSY_E_NS1_11comp_targetILNS1_3genE9ELNS1_11target_archE1100ELNS1_3gpuE3ELNS1_3repE0EEENS1_30default_config_static_selectorELNS0_4arch9wavefront6targetE0EEEvT1_,comdat
.Lfunc_end2082:
	.size	_ZN7rocprim17ROCPRIM_400000_NS6detail17trampoline_kernelINS0_14default_configENS1_27scan_by_key_config_selectorIj11FixedVectorIiLj4EEEEZZNS1_16scan_by_key_implILNS1_25lookback_scan_determinismE0ELb1ES3_N6thrust23THRUST_200600_302600_NS6detail15normal_iteratorINSB_10device_ptrIjEEEENSD_INSE_IS6_EEEESI_S6_NSB_4plusIvEENSB_8equal_toIvEES6_EE10hipError_tPvRmT2_T3_T4_T5_mT6_T7_P12ihipStream_tbENKUlT_T0_E_clISt17integral_constantIbLb0EES13_EEDaSY_SZ_EUlSY_E_NS1_11comp_targetILNS1_3genE9ELNS1_11target_archE1100ELNS1_3gpuE3ELNS1_3repE0EEENS1_30default_config_static_selectorELNS0_4arch9wavefront6targetE0EEEvT1_, .Lfunc_end2082-_ZN7rocprim17ROCPRIM_400000_NS6detail17trampoline_kernelINS0_14default_configENS1_27scan_by_key_config_selectorIj11FixedVectorIiLj4EEEEZZNS1_16scan_by_key_implILNS1_25lookback_scan_determinismE0ELb1ES3_N6thrust23THRUST_200600_302600_NS6detail15normal_iteratorINSB_10device_ptrIjEEEENSD_INSE_IS6_EEEESI_S6_NSB_4plusIvEENSB_8equal_toIvEES6_EE10hipError_tPvRmT2_T3_T4_T5_mT6_T7_P12ihipStream_tbENKUlT_T0_E_clISt17integral_constantIbLb0EES13_EEDaSY_SZ_EUlSY_E_NS1_11comp_targetILNS1_3genE9ELNS1_11target_archE1100ELNS1_3gpuE3ELNS1_3repE0EEENS1_30default_config_static_selectorELNS0_4arch9wavefront6targetE0EEEvT1_
                                        ; -- End function
	.set _ZN7rocprim17ROCPRIM_400000_NS6detail17trampoline_kernelINS0_14default_configENS1_27scan_by_key_config_selectorIj11FixedVectorIiLj4EEEEZZNS1_16scan_by_key_implILNS1_25lookback_scan_determinismE0ELb1ES3_N6thrust23THRUST_200600_302600_NS6detail15normal_iteratorINSB_10device_ptrIjEEEENSD_INSE_IS6_EEEESI_S6_NSB_4plusIvEENSB_8equal_toIvEES6_EE10hipError_tPvRmT2_T3_T4_T5_mT6_T7_P12ihipStream_tbENKUlT_T0_E_clISt17integral_constantIbLb0EES13_EEDaSY_SZ_EUlSY_E_NS1_11comp_targetILNS1_3genE9ELNS1_11target_archE1100ELNS1_3gpuE3ELNS1_3repE0EEENS1_30default_config_static_selectorELNS0_4arch9wavefront6targetE0EEEvT1_.num_vgpr, 0
	.set _ZN7rocprim17ROCPRIM_400000_NS6detail17trampoline_kernelINS0_14default_configENS1_27scan_by_key_config_selectorIj11FixedVectorIiLj4EEEEZZNS1_16scan_by_key_implILNS1_25lookback_scan_determinismE0ELb1ES3_N6thrust23THRUST_200600_302600_NS6detail15normal_iteratorINSB_10device_ptrIjEEEENSD_INSE_IS6_EEEESI_S6_NSB_4plusIvEENSB_8equal_toIvEES6_EE10hipError_tPvRmT2_T3_T4_T5_mT6_T7_P12ihipStream_tbENKUlT_T0_E_clISt17integral_constantIbLb0EES13_EEDaSY_SZ_EUlSY_E_NS1_11comp_targetILNS1_3genE9ELNS1_11target_archE1100ELNS1_3gpuE3ELNS1_3repE0EEENS1_30default_config_static_selectorELNS0_4arch9wavefront6targetE0EEEvT1_.num_agpr, 0
	.set _ZN7rocprim17ROCPRIM_400000_NS6detail17trampoline_kernelINS0_14default_configENS1_27scan_by_key_config_selectorIj11FixedVectorIiLj4EEEEZZNS1_16scan_by_key_implILNS1_25lookback_scan_determinismE0ELb1ES3_N6thrust23THRUST_200600_302600_NS6detail15normal_iteratorINSB_10device_ptrIjEEEENSD_INSE_IS6_EEEESI_S6_NSB_4plusIvEENSB_8equal_toIvEES6_EE10hipError_tPvRmT2_T3_T4_T5_mT6_T7_P12ihipStream_tbENKUlT_T0_E_clISt17integral_constantIbLb0EES13_EEDaSY_SZ_EUlSY_E_NS1_11comp_targetILNS1_3genE9ELNS1_11target_archE1100ELNS1_3gpuE3ELNS1_3repE0EEENS1_30default_config_static_selectorELNS0_4arch9wavefront6targetE0EEEvT1_.numbered_sgpr, 0
	.set _ZN7rocprim17ROCPRIM_400000_NS6detail17trampoline_kernelINS0_14default_configENS1_27scan_by_key_config_selectorIj11FixedVectorIiLj4EEEEZZNS1_16scan_by_key_implILNS1_25lookback_scan_determinismE0ELb1ES3_N6thrust23THRUST_200600_302600_NS6detail15normal_iteratorINSB_10device_ptrIjEEEENSD_INSE_IS6_EEEESI_S6_NSB_4plusIvEENSB_8equal_toIvEES6_EE10hipError_tPvRmT2_T3_T4_T5_mT6_T7_P12ihipStream_tbENKUlT_T0_E_clISt17integral_constantIbLb0EES13_EEDaSY_SZ_EUlSY_E_NS1_11comp_targetILNS1_3genE9ELNS1_11target_archE1100ELNS1_3gpuE3ELNS1_3repE0EEENS1_30default_config_static_selectorELNS0_4arch9wavefront6targetE0EEEvT1_.num_named_barrier, 0
	.set _ZN7rocprim17ROCPRIM_400000_NS6detail17trampoline_kernelINS0_14default_configENS1_27scan_by_key_config_selectorIj11FixedVectorIiLj4EEEEZZNS1_16scan_by_key_implILNS1_25lookback_scan_determinismE0ELb1ES3_N6thrust23THRUST_200600_302600_NS6detail15normal_iteratorINSB_10device_ptrIjEEEENSD_INSE_IS6_EEEESI_S6_NSB_4plusIvEENSB_8equal_toIvEES6_EE10hipError_tPvRmT2_T3_T4_T5_mT6_T7_P12ihipStream_tbENKUlT_T0_E_clISt17integral_constantIbLb0EES13_EEDaSY_SZ_EUlSY_E_NS1_11comp_targetILNS1_3genE9ELNS1_11target_archE1100ELNS1_3gpuE3ELNS1_3repE0EEENS1_30default_config_static_selectorELNS0_4arch9wavefront6targetE0EEEvT1_.private_seg_size, 0
	.set _ZN7rocprim17ROCPRIM_400000_NS6detail17trampoline_kernelINS0_14default_configENS1_27scan_by_key_config_selectorIj11FixedVectorIiLj4EEEEZZNS1_16scan_by_key_implILNS1_25lookback_scan_determinismE0ELb1ES3_N6thrust23THRUST_200600_302600_NS6detail15normal_iteratorINSB_10device_ptrIjEEEENSD_INSE_IS6_EEEESI_S6_NSB_4plusIvEENSB_8equal_toIvEES6_EE10hipError_tPvRmT2_T3_T4_T5_mT6_T7_P12ihipStream_tbENKUlT_T0_E_clISt17integral_constantIbLb0EES13_EEDaSY_SZ_EUlSY_E_NS1_11comp_targetILNS1_3genE9ELNS1_11target_archE1100ELNS1_3gpuE3ELNS1_3repE0EEENS1_30default_config_static_selectorELNS0_4arch9wavefront6targetE0EEEvT1_.uses_vcc, 0
	.set _ZN7rocprim17ROCPRIM_400000_NS6detail17trampoline_kernelINS0_14default_configENS1_27scan_by_key_config_selectorIj11FixedVectorIiLj4EEEEZZNS1_16scan_by_key_implILNS1_25lookback_scan_determinismE0ELb1ES3_N6thrust23THRUST_200600_302600_NS6detail15normal_iteratorINSB_10device_ptrIjEEEENSD_INSE_IS6_EEEESI_S6_NSB_4plusIvEENSB_8equal_toIvEES6_EE10hipError_tPvRmT2_T3_T4_T5_mT6_T7_P12ihipStream_tbENKUlT_T0_E_clISt17integral_constantIbLb0EES13_EEDaSY_SZ_EUlSY_E_NS1_11comp_targetILNS1_3genE9ELNS1_11target_archE1100ELNS1_3gpuE3ELNS1_3repE0EEENS1_30default_config_static_selectorELNS0_4arch9wavefront6targetE0EEEvT1_.uses_flat_scratch, 0
	.set _ZN7rocprim17ROCPRIM_400000_NS6detail17trampoline_kernelINS0_14default_configENS1_27scan_by_key_config_selectorIj11FixedVectorIiLj4EEEEZZNS1_16scan_by_key_implILNS1_25lookback_scan_determinismE0ELb1ES3_N6thrust23THRUST_200600_302600_NS6detail15normal_iteratorINSB_10device_ptrIjEEEENSD_INSE_IS6_EEEESI_S6_NSB_4plusIvEENSB_8equal_toIvEES6_EE10hipError_tPvRmT2_T3_T4_T5_mT6_T7_P12ihipStream_tbENKUlT_T0_E_clISt17integral_constantIbLb0EES13_EEDaSY_SZ_EUlSY_E_NS1_11comp_targetILNS1_3genE9ELNS1_11target_archE1100ELNS1_3gpuE3ELNS1_3repE0EEENS1_30default_config_static_selectorELNS0_4arch9wavefront6targetE0EEEvT1_.has_dyn_sized_stack, 0
	.set _ZN7rocprim17ROCPRIM_400000_NS6detail17trampoline_kernelINS0_14default_configENS1_27scan_by_key_config_selectorIj11FixedVectorIiLj4EEEEZZNS1_16scan_by_key_implILNS1_25lookback_scan_determinismE0ELb1ES3_N6thrust23THRUST_200600_302600_NS6detail15normal_iteratorINSB_10device_ptrIjEEEENSD_INSE_IS6_EEEESI_S6_NSB_4plusIvEENSB_8equal_toIvEES6_EE10hipError_tPvRmT2_T3_T4_T5_mT6_T7_P12ihipStream_tbENKUlT_T0_E_clISt17integral_constantIbLb0EES13_EEDaSY_SZ_EUlSY_E_NS1_11comp_targetILNS1_3genE9ELNS1_11target_archE1100ELNS1_3gpuE3ELNS1_3repE0EEENS1_30default_config_static_selectorELNS0_4arch9wavefront6targetE0EEEvT1_.has_recursion, 0
	.set _ZN7rocprim17ROCPRIM_400000_NS6detail17trampoline_kernelINS0_14default_configENS1_27scan_by_key_config_selectorIj11FixedVectorIiLj4EEEEZZNS1_16scan_by_key_implILNS1_25lookback_scan_determinismE0ELb1ES3_N6thrust23THRUST_200600_302600_NS6detail15normal_iteratorINSB_10device_ptrIjEEEENSD_INSE_IS6_EEEESI_S6_NSB_4plusIvEENSB_8equal_toIvEES6_EE10hipError_tPvRmT2_T3_T4_T5_mT6_T7_P12ihipStream_tbENKUlT_T0_E_clISt17integral_constantIbLb0EES13_EEDaSY_SZ_EUlSY_E_NS1_11comp_targetILNS1_3genE9ELNS1_11target_archE1100ELNS1_3gpuE3ELNS1_3repE0EEENS1_30default_config_static_selectorELNS0_4arch9wavefront6targetE0EEEvT1_.has_indirect_call, 0
	.section	.AMDGPU.csdata,"",@progbits
; Kernel info:
; codeLenInByte = 0
; TotalNumSgprs: 0
; NumVgprs: 0
; ScratchSize: 0
; MemoryBound: 0
; FloatMode: 240
; IeeeMode: 1
; LDSByteSize: 0 bytes/workgroup (compile time only)
; SGPRBlocks: 0
; VGPRBlocks: 0
; NumSGPRsForWavesPerEU: 1
; NumVGPRsForWavesPerEU: 1
; Occupancy: 16
; WaveLimiterHint : 0
; COMPUTE_PGM_RSRC2:SCRATCH_EN: 0
; COMPUTE_PGM_RSRC2:USER_SGPR: 6
; COMPUTE_PGM_RSRC2:TRAP_HANDLER: 0
; COMPUTE_PGM_RSRC2:TGID_X_EN: 1
; COMPUTE_PGM_RSRC2:TGID_Y_EN: 0
; COMPUTE_PGM_RSRC2:TGID_Z_EN: 0
; COMPUTE_PGM_RSRC2:TIDIG_COMP_CNT: 0
	.section	.text._ZN7rocprim17ROCPRIM_400000_NS6detail17trampoline_kernelINS0_14default_configENS1_27scan_by_key_config_selectorIj11FixedVectorIiLj4EEEEZZNS1_16scan_by_key_implILNS1_25lookback_scan_determinismE0ELb1ES3_N6thrust23THRUST_200600_302600_NS6detail15normal_iteratorINSB_10device_ptrIjEEEENSD_INSE_IS6_EEEESI_S6_NSB_4plusIvEENSB_8equal_toIvEES6_EE10hipError_tPvRmT2_T3_T4_T5_mT6_T7_P12ihipStream_tbENKUlT_T0_E_clISt17integral_constantIbLb0EES13_EEDaSY_SZ_EUlSY_E_NS1_11comp_targetILNS1_3genE8ELNS1_11target_archE1030ELNS1_3gpuE2ELNS1_3repE0EEENS1_30default_config_static_selectorELNS0_4arch9wavefront6targetE0EEEvT1_,"axG",@progbits,_ZN7rocprim17ROCPRIM_400000_NS6detail17trampoline_kernelINS0_14default_configENS1_27scan_by_key_config_selectorIj11FixedVectorIiLj4EEEEZZNS1_16scan_by_key_implILNS1_25lookback_scan_determinismE0ELb1ES3_N6thrust23THRUST_200600_302600_NS6detail15normal_iteratorINSB_10device_ptrIjEEEENSD_INSE_IS6_EEEESI_S6_NSB_4plusIvEENSB_8equal_toIvEES6_EE10hipError_tPvRmT2_T3_T4_T5_mT6_T7_P12ihipStream_tbENKUlT_T0_E_clISt17integral_constantIbLb0EES13_EEDaSY_SZ_EUlSY_E_NS1_11comp_targetILNS1_3genE8ELNS1_11target_archE1030ELNS1_3gpuE2ELNS1_3repE0EEENS1_30default_config_static_selectorELNS0_4arch9wavefront6targetE0EEEvT1_,comdat
	.protected	_ZN7rocprim17ROCPRIM_400000_NS6detail17trampoline_kernelINS0_14default_configENS1_27scan_by_key_config_selectorIj11FixedVectorIiLj4EEEEZZNS1_16scan_by_key_implILNS1_25lookback_scan_determinismE0ELb1ES3_N6thrust23THRUST_200600_302600_NS6detail15normal_iteratorINSB_10device_ptrIjEEEENSD_INSE_IS6_EEEESI_S6_NSB_4plusIvEENSB_8equal_toIvEES6_EE10hipError_tPvRmT2_T3_T4_T5_mT6_T7_P12ihipStream_tbENKUlT_T0_E_clISt17integral_constantIbLb0EES13_EEDaSY_SZ_EUlSY_E_NS1_11comp_targetILNS1_3genE8ELNS1_11target_archE1030ELNS1_3gpuE2ELNS1_3repE0EEENS1_30default_config_static_selectorELNS0_4arch9wavefront6targetE0EEEvT1_ ; -- Begin function _ZN7rocprim17ROCPRIM_400000_NS6detail17trampoline_kernelINS0_14default_configENS1_27scan_by_key_config_selectorIj11FixedVectorIiLj4EEEEZZNS1_16scan_by_key_implILNS1_25lookback_scan_determinismE0ELb1ES3_N6thrust23THRUST_200600_302600_NS6detail15normal_iteratorINSB_10device_ptrIjEEEENSD_INSE_IS6_EEEESI_S6_NSB_4plusIvEENSB_8equal_toIvEES6_EE10hipError_tPvRmT2_T3_T4_T5_mT6_T7_P12ihipStream_tbENKUlT_T0_E_clISt17integral_constantIbLb0EES13_EEDaSY_SZ_EUlSY_E_NS1_11comp_targetILNS1_3genE8ELNS1_11target_archE1030ELNS1_3gpuE2ELNS1_3repE0EEENS1_30default_config_static_selectorELNS0_4arch9wavefront6targetE0EEEvT1_
	.globl	_ZN7rocprim17ROCPRIM_400000_NS6detail17trampoline_kernelINS0_14default_configENS1_27scan_by_key_config_selectorIj11FixedVectorIiLj4EEEEZZNS1_16scan_by_key_implILNS1_25lookback_scan_determinismE0ELb1ES3_N6thrust23THRUST_200600_302600_NS6detail15normal_iteratorINSB_10device_ptrIjEEEENSD_INSE_IS6_EEEESI_S6_NSB_4plusIvEENSB_8equal_toIvEES6_EE10hipError_tPvRmT2_T3_T4_T5_mT6_T7_P12ihipStream_tbENKUlT_T0_E_clISt17integral_constantIbLb0EES13_EEDaSY_SZ_EUlSY_E_NS1_11comp_targetILNS1_3genE8ELNS1_11target_archE1030ELNS1_3gpuE2ELNS1_3repE0EEENS1_30default_config_static_selectorELNS0_4arch9wavefront6targetE0EEEvT1_
	.p2align	8
	.type	_ZN7rocprim17ROCPRIM_400000_NS6detail17trampoline_kernelINS0_14default_configENS1_27scan_by_key_config_selectorIj11FixedVectorIiLj4EEEEZZNS1_16scan_by_key_implILNS1_25lookback_scan_determinismE0ELb1ES3_N6thrust23THRUST_200600_302600_NS6detail15normal_iteratorINSB_10device_ptrIjEEEENSD_INSE_IS6_EEEESI_S6_NSB_4plusIvEENSB_8equal_toIvEES6_EE10hipError_tPvRmT2_T3_T4_T5_mT6_T7_P12ihipStream_tbENKUlT_T0_E_clISt17integral_constantIbLb0EES13_EEDaSY_SZ_EUlSY_E_NS1_11comp_targetILNS1_3genE8ELNS1_11target_archE1030ELNS1_3gpuE2ELNS1_3repE0EEENS1_30default_config_static_selectorELNS0_4arch9wavefront6targetE0EEEvT1_,@function
_ZN7rocprim17ROCPRIM_400000_NS6detail17trampoline_kernelINS0_14default_configENS1_27scan_by_key_config_selectorIj11FixedVectorIiLj4EEEEZZNS1_16scan_by_key_implILNS1_25lookback_scan_determinismE0ELb1ES3_N6thrust23THRUST_200600_302600_NS6detail15normal_iteratorINSB_10device_ptrIjEEEENSD_INSE_IS6_EEEESI_S6_NSB_4plusIvEENSB_8equal_toIvEES6_EE10hipError_tPvRmT2_T3_T4_T5_mT6_T7_P12ihipStream_tbENKUlT_T0_E_clISt17integral_constantIbLb0EES13_EEDaSY_SZ_EUlSY_E_NS1_11comp_targetILNS1_3genE8ELNS1_11target_archE1030ELNS1_3gpuE2ELNS1_3repE0EEENS1_30default_config_static_selectorELNS0_4arch9wavefront6targetE0EEEvT1_: ; @_ZN7rocprim17ROCPRIM_400000_NS6detail17trampoline_kernelINS0_14default_configENS1_27scan_by_key_config_selectorIj11FixedVectorIiLj4EEEEZZNS1_16scan_by_key_implILNS1_25lookback_scan_determinismE0ELb1ES3_N6thrust23THRUST_200600_302600_NS6detail15normal_iteratorINSB_10device_ptrIjEEEENSD_INSE_IS6_EEEESI_S6_NSB_4plusIvEENSB_8equal_toIvEES6_EE10hipError_tPvRmT2_T3_T4_T5_mT6_T7_P12ihipStream_tbENKUlT_T0_E_clISt17integral_constantIbLb0EES13_EEDaSY_SZ_EUlSY_E_NS1_11comp_targetILNS1_3genE8ELNS1_11target_archE1030ELNS1_3gpuE2ELNS1_3repE0EEENS1_30default_config_static_selectorELNS0_4arch9wavefront6targetE0EEEvT1_
; %bb.0:
	s_add_u32 s0, s0, s7
	s_clause 0x5
	s_load_dwordx8 s[20:27], s[4:5], 0x0
	s_load_dwordx4 s[28:31], s[4:5], 0x20
	s_load_dwordx8 s[12:19], s[4:5], 0x38
	s_load_dwordx2 s[34:35], s[4:5], 0x58
	s_load_dword s7, s[4:5], 0x60
	s_load_dwordx4 s[8:11], s[4:5], 0x68
	v_mov_b32_e32 v1, 0
	s_addc_u32 s1, s1, 0
	s_mov_b32 s4, 0
	s_waitcnt lgkmcnt(0)
	s_barrier
	buffer_gl0_inv
	buffer_store_dword v1, off, s[0:3], 0 offset:220
	buffer_store_dword v1, off, s[0:3], 0 offset:216
	buffer_store_dword v1, off, s[0:3], 0 offset:212
	buffer_store_dword v1, off, s[0:3], 0 offset:208
	buffer_store_dword v1, off, s[0:3], 0 offset:224
.LBB2083_1:                             ; =>This Inner Loop Header: Depth=1
	v_add_nc_u32_e64 v2, 0xd0, s4
	s_add_i32 s4, s4, 4
	s_cmp_lg_u32 s4, 16
	buffer_store_dword v1, v2, s[0:3], 0 offen
	s_cbranch_scc1 .LBB2083_1
; %bb.2:
	v_mov_b32_e32 v1, 0
	s_mov_b32 s4, 20
	s_movk_i32 s19, 0xe4
	buffer_store_byte v1, off, s[0:3], 0 offset:224
	buffer_store_dword v1, off, s[0:3], 0 offset:240
	buffer_store_dword v1, off, s[0:3], 0 offset:236
	buffer_store_dword v1, off, s[0:3], 0 offset:232
	buffer_store_dword v1, off, s[0:3], 0 offset:228
	buffer_store_dword v1, off, s[0:3], 0 offset:244
.LBB2083_3:                             ; =>This Inner Loop Header: Depth=1
	v_add_nc_u32_e64 v2, 0xd0, s4
	s_add_i32 s4, s4, 4
	s_cmp_lg_u32 s4, 36
	buffer_store_dword v1, v2, s[0:3], 0 offen
	s_cbranch_scc1 .LBB2083_3
; %bb.4:
	v_mov_b32_e32 v1, 0
	s_mov_b32 s4, 40
	s_movk_i32 s33, 0xf8
	buffer_store_byte v1, off, s[0:3], 0 offset:244
	;; [unrolled: 16-line block ×3, first 2 shown]
	buffer_store_dword v1, off, s[0:3], 0 offset:280
	buffer_store_dword v1, off, s[0:3], 0 offset:276
	;; [unrolled: 1-line block ×5, first 2 shown]
.LBB2083_7:                             ; =>This Inner Loop Header: Depth=1
	v_add_nc_u32_e64 v2, 0xd0, s4
	s_add_i32 s4, s4, 4
	s_cmpk_lg_i32 s4, 0x4c
	buffer_store_dword v1, v2, s[0:3], 0 offen
	s_cbranch_scc1 .LBB2083_7
; %bb.8:
	v_mov_b32_e32 v1, 0
	s_movk_i32 s4, 0x50
	s_movk_i32 s37, 0x120
	buffer_store_byte v1, off, s[0:3], 0 offset:284
	buffer_store_dword v1, off, s[0:3], 0 offset:300
	buffer_store_dword v1, off, s[0:3], 0 offset:296
	;; [unrolled: 1-line block ×5, first 2 shown]
.LBB2083_9:                             ; =>This Inner Loop Header: Depth=1
	v_add_nc_u32_e64 v2, 0xd0, s4
	s_add_i32 s4, s4, 4
	s_cmpk_lg_i32 s4, 0x60
	buffer_store_dword v1, v2, s[0:3], 0 offen
	s_cbranch_scc1 .LBB2083_9
; %bb.10:
	v_mov_b32_e32 v1, 0
	v_mov_b32_e32 v5, s31
	;; [unrolled: 1-line block ×5, first 2 shown]
	s_mov_b32 s4, 0
	buffer_store_byte v1, off, s[0:3], 0 offset:304
	buffer_store_dword v2, off, s[0:3], 0 offset:96
	buffer_store_dword v3, off, s[0:3], 0 offset:100
	;; [unrolled: 1-line block ×4, first 2 shown]
.LBB2083_11:                            ; =>This Inner Loop Header: Depth=1
	v_mov_b32_e32 v2, s4
	s_add_i32 s4, s4, 4
	s_cmp_lg_u32 s4, 16
	buffer_store_dword v1, v2, s[0:3], 0 offen
	s_cbranch_scc1 .LBB2083_11
; %bb.12:
	v_mov_b32_e32 v1, 0
	s_mov_b32 s4, 16
.LBB2083_13:                            ; =>This Inner Loop Header: Depth=1
	v_mov_b32_e32 v2, s4
	s_add_i32 s4, s4, 4
	s_cmp_lg_u32 s4, 32
	buffer_store_dword v1, v2, s[0:3], 0 offen
	s_cbranch_scc1 .LBB2083_13
; %bb.14:
	v_mov_b32_e32 v1, 0
	s_mov_b32 s4, 32
	;; [unrolled: 9-line block ×4, first 2 shown]
.LBB2083_19:                            ; =>This Inner Loop Header: Depth=1
	v_mov_b32_e32 v2, s4
	s_add_i32 s4, s4, 4
	s_cmpk_lg_i32 s4, 0x50
	buffer_store_dword v1, v2, s[0:3], 0 offen
	s_cbranch_scc1 .LBB2083_19
; %bb.20:
	s_lshl_b64 s[4:5], s[22:23], 2
	s_mul_hi_u32 s44, s34, s7
	s_add_u32 s38, s20, s4
	s_addc_u32 s39, s21, s5
	s_mul_i32 s5, s35, s7
	s_lshl_b64 s[20:21], s[22:23], 4
	s_mul_i32 s4, s6, 0x500
	s_add_i32 s46, s44, s5
	s_mov_b32 s5, 0
	s_add_u32 s44, s24, s20
	s_addc_u32 s45, s25, s21
	s_lshl_b64 s[22:23], s[4:5], 2
	s_mov_b32 s40, 64
	s_add_u32 s24, s38, s22
	s_addc_u32 s25, s39, s23
	s_lshl_b64 s[22:23], s[4:5], 4
	s_mul_i32 s4, s34, s7
	s_add_u32 s44, s44, s22
	s_addc_u32 s45, s45, s23
	s_add_u32 s38, s4, s6
	s_addc_u32 s39, s46, 0
	s_add_u32 s8, s8, -1
	s_addc_u32 s9, s9, -1
	s_mov_b32 s41, 48
	v_cmp_ge_u64_e64 s39, s[38:39], s[8:9]
	s_mov_b32 s42, 32
	s_mov_b32 s43, 16
	s_mul_i32 s38, s8, 0xfffffb00
	s_and_b32 vcc_lo, exec_lo, s39
	s_cbranch_vccz .LBB2083_48
; %bb.21:
	v_mov_b32_e32 v1, s24
	v_mov_b32_e32 v2, s25
	s_add_i32 s46, s38, s18
	v_cmp_gt_u32_e32 vcc_lo, s46, v0
	flat_load_dword v1, v[1:2]
	s_waitcnt vmcnt(0) lgkmcnt(0)
	v_mov_b32_e32 v2, v1
	s_and_saveexec_b32 s4, vcc_lo
	s_cbranch_execz .LBB2083_23
; %bb.22:
	v_lshlrev_b32_e32 v2, 2, v0
	v_add_co_u32 v2, s5, s24, v2
	v_add_co_ci_u32_e64 v3, null, s25, 0, s5
	flat_load_dword v2, v[2:3]
.LBB2083_23:
	s_or_b32 exec_lo, exec_lo, s4
	v_or_b32_e32 v6, 0x100, v0
	v_mov_b32_e32 v3, v1
	v_cmp_gt_u32_e64 s4, s46, v6
	s_and_saveexec_b32 s5, s4
	s_cbranch_execz .LBB2083_25
; %bb.24:
	v_lshlrev_b32_e32 v3, 2, v0
	v_add_co_u32 v3, s7, s24, v3
	v_add_co_ci_u32_e64 v4, null, s25, 0, s7
	flat_load_dword v3, v[3:4] offset:1024
.LBB2083_25:
	s_or_b32 exec_lo, exec_lo, s5
	v_or_b32_e32 v9, 0x200, v0
	v_mov_b32_e32 v4, v1
	v_cmp_gt_u32_e64 s5, s46, v9
	s_and_saveexec_b32 s7, s5
	s_cbranch_execz .LBB2083_27
; %bb.26:
	v_lshlrev_b32_e32 v4, 2, v9
	v_add_co_u32 v4, s8, s24, v4
	v_add_co_ci_u32_e64 v5, null, s25, 0, s8
	flat_load_dword v4, v[4:5]
.LBB2083_27:
	s_or_b32 exec_lo, exec_lo, s7
	v_or_b32_e32 v10, 0x300, v0
	v_mov_b32_e32 v5, v1
	v_cmp_gt_u32_e64 s7, s46, v10
	s_and_saveexec_b32 s8, s7
	s_cbranch_execz .LBB2083_29
; %bb.28:
	v_lshlrev_b32_e32 v5, 2, v10
	v_add_co_u32 v7, s9, s24, v5
	v_add_co_ci_u32_e64 v8, null, s25, 0, s9
	flat_load_dword v5, v[7:8]
.LBB2083_29:
	s_or_b32 exec_lo, exec_lo, s8
	v_or_b32_e32 v11, 0x400, v0
	v_cmp_gt_u32_e64 s8, s46, v11
	s_and_saveexec_b32 s9, s8
	s_cbranch_execz .LBB2083_31
; %bb.30:
	v_lshlrev_b32_e32 v1, 2, v11
	v_add_co_u32 v7, s47, s24, v1
	v_add_co_ci_u32_e64 v8, null, s25, 0, s47
	flat_load_dword v1, v[7:8]
.LBB2083_31:
	s_or_b32 exec_lo, exec_lo, s9
	v_mov_b32_e32 v12, s24
	v_lshlrev_b32_e32 v8, 2, v0
	v_mov_b32_e32 v13, s25
	s_mov_b32 s47, exec_lo
	s_waitcnt vmcnt(0) lgkmcnt(0)
	ds_write2st64_b32 v8, v2, v3 offset1:4
	ds_write2st64_b32 v8, v4, v5 offset0:8 offset1:12
	ds_write_b32 v8, v1 offset:4096
	s_waitcnt lgkmcnt(0)
	s_waitcnt_vscnt null, 0x0
	s_barrier
	buffer_gl0_inv
	flat_load_dword v5, v[12:13]
	v_lshl_add_u32 v1, v0, 4, v8
	ds_read_b32 v7, v1
	ds_read2_b32 v[3:4], v1 offset0:1 offset1:2
	ds_read2_b32 v[1:2], v1 offset0:3 offset1:4
	s_waitcnt lgkmcnt(2)
	ds_write_b32 v8, v7 offset:6144
	s_waitcnt vmcnt(0) lgkmcnt(0)
	s_barrier
	buffer_gl0_inv
	v_cmpx_ne_u32_e32 0xff, v0
; %bb.32:
	ds_read_b32 v5, v8 offset:6148
; %bb.33:
	s_or_b32 exec_lo, exec_lo, s47
	s_waitcnt lgkmcnt(0)
	s_barrier
	buffer_gl0_inv
	s_and_saveexec_b32 s9, vcc_lo
	s_cbranch_execnz .LBB2083_486
; %bb.34:
	s_or_b32 exec_lo, exec_lo, s9
	s_and_saveexec_b32 s9, s4
	s_cbranch_execnz .LBB2083_487
.LBB2083_35:
	s_or_b32 exec_lo, exec_lo, s9
	s_and_saveexec_b32 s4, s5
	s_cbranch_execnz .LBB2083_488
.LBB2083_36:
	s_or_b32 exec_lo, exec_lo, s4
	s_and_saveexec_b32 s4, s7
	s_cbranch_execnz .LBB2083_489
.LBB2083_37:
	s_or_b32 exec_lo, exec_lo, s4
	v_mul_u32_u24_e32 v6, 5, v0
	s_and_saveexec_b32 s4, s8
	s_cbranch_execz .LBB2083_39
.LBB2083_38:
	v_lshlrev_b32_e32 v9, 4, v11
	v_add_co_u32 v9, s5, s44, v9
	v_add_co_ci_u32_e64 v10, null, s45, 0, s5
	flat_load_dwordx4 v[9:12], v[9:10]
	s_waitcnt vmcnt(0) lgkmcnt(0)
	buffer_store_dword v9, off, s[0:3], 0 offset:64
	buffer_store_dword v10, off, s[0:3], 0 offset:68
	buffer_store_dword v11, off, s[0:3], 0 offset:72
	buffer_store_dword v12, off, s[0:3], 0 offset:76
.LBB2083_39:
	s_or_b32 exec_lo, exec_lo, s4
	v_mov_b32_e32 v30, s42
	v_mov_b32_e32 v29, s43
	;; [unrolled: 1-line block ×3, first 2 shown]
	s_clause 0x7
	buffer_load_dword v9, off, s[0:3], 0
	buffer_load_dword v10, off, s[0:3], 0 offset:4
	buffer_load_dword v11, off, s[0:3], 0 offset:8
	;; [unrolled: 1-line block ×3, first 2 shown]
	buffer_load_dword v13, v29, s[0:3], 0 offen
	buffer_load_dword v14, v29, s[0:3], 0 offen offset:4
	buffer_load_dword v15, v29, s[0:3], 0 offen offset:8
	;; [unrolled: 1-line block ×3, first 2 shown]
	v_mov_b32_e32 v32, s40
	s_clause 0xb
	buffer_load_dword v17, v30, s[0:3], 0 offen
	buffer_load_dword v18, v30, s[0:3], 0 offen offset:4
	buffer_load_dword v19, v30, s[0:3], 0 offen offset:8
	buffer_load_dword v20, v30, s[0:3], 0 offen offset:12
	buffer_load_dword v21, v31, s[0:3], 0 offen
	buffer_load_dword v22, v31, s[0:3], 0 offen offset:4
	buffer_load_dword v23, v31, s[0:3], 0 offen offset:8
	buffer_load_dword v24, v31, s[0:3], 0 offen offset:12
	;; [unrolled: 4-line block ×3, first 2 shown]
	v_mad_u32_u24 v8, v0, 12, v8
	v_cmp_gt_u32_e32 vcc_lo, s46, v6
	s_mov_b32 s4, 0
	s_mov_b32 s5, 0
                                        ; implicit-def: $sgpr8
	s_waitcnt vmcnt(16)
	ds_write_b128 v8, v[9:12]
	s_waitcnt vmcnt(12)
	ds_write_b128 v8, v[13:16] offset:4096
	s_waitcnt vmcnt(8)
	ds_write_b128 v8, v[17:20] offset:8192
	;; [unrolled: 2-line block ×4, first 2 shown]
	v_lshl_add_u32 v33, v0, 6, v8
	s_waitcnt lgkmcnt(0)
	s_waitcnt_vscnt null, 0x0
	s_barrier
	buffer_gl0_inv
	ds_read_b128 v[8:11], v33
	ds_read_b128 v[12:15], v33 offset:16
	ds_read_b128 v[16:19], v33 offset:32
	ds_read_b128 v[20:23], v33 offset:48
	ds_read_b128 v[24:27], v33 offset:64
	s_waitcnt lgkmcnt(4)
	buffer_store_dword v11, off, s[0:3], 0 offset:12
	buffer_store_dword v10, off, s[0:3], 0 offset:8
	;; [unrolled: 1-line block ×3, first 2 shown]
	buffer_store_dword v8, off, s[0:3], 0
	s_waitcnt lgkmcnt(3)
	buffer_store_dword v15, v29, s[0:3], 0 offen offset:12
	buffer_store_dword v14, v29, s[0:3], 0 offen offset:8
	buffer_store_dword v13, v29, s[0:3], 0 offen offset:4
	buffer_store_dword v12, v29, s[0:3], 0 offen
	s_waitcnt lgkmcnt(2)
	buffer_store_dword v19, v30, s[0:3], 0 offen offset:12
	buffer_store_dword v18, v30, s[0:3], 0 offen offset:8
	buffer_store_dword v17, v30, s[0:3], 0 offen offset:4
	buffer_store_dword v16, v30, s[0:3], 0 offen
	s_waitcnt lgkmcnt(1)
	buffer_store_dword v23, v31, s[0:3], 0 offen offset:12
	buffer_store_dword v22, v31, s[0:3], 0 offen offset:8
	buffer_store_dword v21, v31, s[0:3], 0 offen offset:4
	buffer_store_dword v20, v31, s[0:3], 0 offen
	s_waitcnt lgkmcnt(0)
	buffer_store_dword v27, v32, s[0:3], 0 offen offset:12
	buffer_store_dword v26, v32, s[0:3], 0 offen offset:8
	buffer_store_dword v25, v32, s[0:3], 0 offen offset:4
	buffer_store_dword v24, v32, s[0:3], 0 offen
	s_and_saveexec_b32 s7, vcc_lo
	s_cbranch_execz .LBB2083_47
; %bb.40:
	v_mov_b32_e32 v8, 0x60
	v_cmp_ne_u32_e32 vcc_lo, v7, v3
	v_add_nc_u32_e32 v13, 1, v6
	s_mov_b32 s9, 0
	s_mov_b32 s5, exec_lo
                                        ; implicit-def: $sgpr8
	v_cndmask_b32_e32 v9, 0, v8, vcc_lo
	v_cndmask_b32_e64 v7, 0, 1, vcc_lo
	s_clause 0x3
	buffer_load_dword v10, v9, s[0:3], 0 offen offset:12
	buffer_load_dword v11, v9, s[0:3], 0 offen offset:8
	;; [unrolled: 1-line block ×3, first 2 shown]
	buffer_load_dword v9, v9, s[0:3], 0 offen
	s_waitcnt vmcnt(3)
	buffer_store_dword v10, off, s[0:3], 0 offset:220
	s_waitcnt vmcnt(2)
	buffer_store_dword v11, off, s[0:3], 0 offset:216
	;; [unrolled: 2-line block ×4, first 2 shown]
	buffer_store_byte v7, off, s[0:3], 0 offset:224
	v_cmpx_gt_u32_e64 s46, v13
	s_cbranch_execz .LBB2083_46
; %bb.41:
	v_cmp_ne_u32_e32 vcc_lo, v3, v4
	v_add_nc_u32_e32 v11, 2, v6
	v_mov_b32_e32 v12, s19
	s_mov_b32 s47, 0
	s_mov_b32 s9, exec_lo
	v_cndmask_b32_e32 v7, s43, v8, vcc_lo
	v_cndmask_b32_e64 v3, 0, 1, vcc_lo
                                        ; implicit-def: $sgpr8
	s_clause 0x3
	buffer_load_dword v8, v7, s[0:3], 0 offen offset:12
	buffer_load_dword v9, v7, s[0:3], 0 offen offset:8
	;; [unrolled: 1-line block ×3, first 2 shown]
	buffer_load_dword v7, v7, s[0:3], 0 offen
	s_waitcnt vmcnt(3)
	buffer_store_dword v8, v12, s[0:3], 0 offen offset:12
	s_waitcnt vmcnt(2)
	buffer_store_dword v9, v12, s[0:3], 0 offen offset:8
	;; [unrolled: 2-line block ×3, first 2 shown]
	s_waitcnt vmcnt(0)
	buffer_store_dword v7, v12, s[0:3], 0 offen
	buffer_store_byte v3, off, s[0:3], 0 offset:244
	v_cmpx_gt_u32_e64 s46, v11
	s_cbranch_execz .LBB2083_45
; %bb.42:
	v_mov_b32_e32 v3, 0x60
	v_cmp_ne_u32_e32 vcc_lo, v4, v1
	v_add_nc_u32_e32 v11, 3, v6
	v_mov_b32_e32 v12, s33
	s_mov_b32 s48, 0
	s_mov_b32 s47, exec_lo
	v_cndmask_b32_e32 v7, s42, v3, vcc_lo
	v_cndmask_b32_e64 v4, 0, 1, vcc_lo
                                        ; implicit-def: $sgpr8
	s_clause 0x3
	buffer_load_dword v8, v7, s[0:3], 0 offen offset:12
	buffer_load_dword v9, v7, s[0:3], 0 offen offset:8
	;; [unrolled: 1-line block ×3, first 2 shown]
	buffer_load_dword v7, v7, s[0:3], 0 offen
	s_waitcnt vmcnt(3)
	buffer_store_dword v8, v12, s[0:3], 0 offen offset:12
	s_waitcnt vmcnt(2)
	buffer_store_dword v9, v12, s[0:3], 0 offen offset:8
	;; [unrolled: 2-line block ×3, first 2 shown]
	s_waitcnt vmcnt(0)
	buffer_store_dword v7, v12, s[0:3], 0 offen
	buffer_store_byte v4, off, s[0:3], 0 offset:264
	v_cmpx_gt_u32_e64 s46, v11
	s_xor_b32 s47, exec_lo, s47
	s_cbranch_execz .LBB2083_44
; %bb.43:
	v_cmp_ne_u32_e32 vcc_lo, v1, v2
	v_add_nc_u32_e32 v6, 4, v6
	v_cmp_ne_u32_e64 s8, v2, v5
	v_cndmask_b32_e32 v3, s41, v3, vcc_lo
	v_cndmask_b32_e64 v1, 0, 1, vcc_lo
	v_cmp_gt_u32_e32 vcc_lo, s46, v6
	v_mov_b32_e32 v6, s36
	s_clause 0x3
	buffer_load_dword v4, v3, s[0:3], 0 offen offset:12
	buffer_load_dword v7, v3, s[0:3], 0 offen offset:8
	;; [unrolled: 1-line block ×3, first 2 shown]
	buffer_load_dword v3, v3, s[0:3], 0 offen
	s_waitcnt vmcnt(3)
	buffer_store_dword v4, v6, s[0:3], 0 offen offset:12
	s_waitcnt vmcnt(2)
	buffer_store_dword v7, v6, s[0:3], 0 offen offset:8
	;; [unrolled: 2-line block ×3, first 2 shown]
	s_waitcnt vmcnt(0)
	buffer_store_dword v3, v6, s[0:3], 0 offen
	buffer_store_byte v1, off, s[0:3], 0 offset:284
	s_and_b32 s48, vcc_lo, exec_lo
.LBB2083_44:
	s_or_b32 exec_lo, exec_lo, s47
	s_and_b32 s47, s48, exec_lo
.LBB2083_45:
	s_or_b32 exec_lo, exec_lo, s9
	s_and_b32 s9, s47, exec_lo
.LBB2083_46:
	s_or_b32 exec_lo, exec_lo, s5
	s_and_b32 s5, s9, exec_lo
.LBB2083_47:
	s_or_b32 exec_lo, exec_lo, s7
	s_and_b32 vcc_lo, exec_lo, s4
	s_cbranch_vccnz .LBB2083_49
	s_branch .LBB2083_52
.LBB2083_48:
                                        ; implicit-def: $sgpr8
	s_cbranch_execz .LBB2083_52
.LBB2083_49:
	v_lshlrev_b32_e32 v6, 2, v0
	v_add_co_u32 v1, s4, s24, v6
	v_add_co_ci_u32_e64 v2, null, s25, 0, s4
	v_add_co_u32 v3, vcc_lo, 0x800, v1
	v_add_co_ci_u32_e64 v4, null, 0, v2, vcc_lo
	v_add_co_u32 v7, vcc_lo, 0x1000, v1
	v_add_co_ci_u32_e64 v8, null, 0, v2, vcc_lo
	s_clause 0x4
	flat_load_dword v5, v[1:2]
	flat_load_dword v9, v[1:2] offset:1024
	flat_load_dword v10, v[3:4]
	flat_load_dword v3, v[3:4] offset:1024
	flat_load_dword v4, v[7:8]
	v_add_co_u32 v1, s4, 0x1000, s24
	v_add_co_ci_u32_e64 v2, null, 0, s25, s4
	s_mov_b32 s4, exec_lo
	s_waitcnt vmcnt(3) lgkmcnt(3)
	ds_write2st64_b32 v6, v5, v9 offset1:4
	s_waitcnt vmcnt(1) lgkmcnt(2)
	ds_write2st64_b32 v6, v10, v3 offset0:8 offset1:12
	s_waitcnt vmcnt(0) lgkmcnt(2)
	ds_write_b32 v6, v4 offset:4096
	s_waitcnt lgkmcnt(0)
	s_waitcnt_vscnt null, 0x0
	s_barrier
	buffer_gl0_inv
	flat_load_dword v5, v[1:2] offset:1024
	v_lshl_add_u32 v1, v0, 4, v6
	ds_read_b32 v7, v1
	ds_read2_b32 v[3:4], v1 offset0:1 offset1:2
	ds_read2_b32 v[1:2], v1 offset0:3 offset1:4
	s_waitcnt lgkmcnt(2)
	ds_write_b32 v6, v7 offset:6144
	s_waitcnt vmcnt(0) lgkmcnt(0)
	s_barrier
	buffer_gl0_inv
	v_cmpx_ne_u32_e32 0xff, v0
; %bb.50:
	ds_read_b32 v5, v6 offset:6148
; %bb.51:
	s_or_b32 exec_lo, exec_lo, s4
	v_lshlrev_b32_e32 v8, 4, v0
	s_waitcnt lgkmcnt(0)
	s_barrier
	buffer_gl0_inv
	v_mov_b32_e32 v31, s40
	v_add_co_u32 v12, s4, s44, v8
	v_add_co_ci_u32_e64 v13, null, s45, 0, s4
	v_mov_b32_e32 v28, s43
	v_add_co_u32 v14, vcc_lo, 0x1000, v12
	flat_load_dwordx4 v[8:11], v[12:13]
	v_add_co_ci_u32_e64 v15, null, 0, v13, vcc_lo
	v_mov_b32_e32 v29, s42
	v_mov_b32_e32 v30, s41
	v_mad_u32_u24 v6, v0, 12, v6
	v_cmp_ne_u32_e64 s5, v4, v1
	v_cmp_ne_u32_e64 s4, v3, v4
	;; [unrolled: 1-line block ×4, first 2 shown]
	v_lshl_add_u32 v32, v0, 6, v6
	v_cndmask_b32_e64 v4, 0, 1, s5
	v_mov_b32_e32 v2, s19
	v_cndmask_b32_e64 v1, 0, 1, s7
	v_mov_b32_e32 v5, s33
	s_waitcnt vmcnt(0) lgkmcnt(0)
	buffer_store_dword v8, off, s[0:3], 0
	buffer_store_dword v9, off, s[0:3], 0 offset:4
	buffer_store_dword v10, off, s[0:3], 0 offset:8
	;; [unrolled: 1-line block ×3, first 2 shown]
	flat_load_dwordx4 v[8:11], v[14:15]
	v_add_co_u32 v14, vcc_lo, 0x2000, v12
	v_add_co_ci_u32_e64 v15, null, 0, v13, vcc_lo
	s_waitcnt vmcnt(0) lgkmcnt(0)
	buffer_store_dword v8, off, s[0:3], 0 offset:16
	buffer_store_dword v9, off, s[0:3], 0 offset:20
	;; [unrolled: 1-line block ×4, first 2 shown]
	flat_load_dwordx4 v[8:11], v[14:15]
	v_add_co_u32 v14, vcc_lo, 0x3000, v12
	v_add_co_ci_u32_e64 v15, null, 0, v13, vcc_lo
	v_add_co_u32 v12, vcc_lo, 0x4000, v12
	v_add_co_ci_u32_e64 v13, null, 0, v13, vcc_lo
	v_cmp_ne_u32_e32 vcc_lo, v7, v3
	v_cndmask_b32_e64 v3, 0, 1, s4
	s_waitcnt vmcnt(0) lgkmcnt(0)
	buffer_store_dword v8, off, s[0:3], 0 offset:32
	buffer_store_dword v9, off, s[0:3], 0 offset:36
	;; [unrolled: 1-line block ×4, first 2 shown]
	flat_load_dwordx4 v[8:11], v[14:15]
	s_waitcnt vmcnt(0) lgkmcnt(0)
	buffer_store_dword v8, off, s[0:3], 0 offset:48
	buffer_store_dword v9, off, s[0:3], 0 offset:52
	;; [unrolled: 1-line block ×4, first 2 shown]
	flat_load_dwordx4 v[8:11], v[12:13]
	s_clause 0xf
	buffer_load_dword v12, off, s[0:3], 0
	buffer_load_dword v13, off, s[0:3], 0 offset:4
	buffer_load_dword v14, off, s[0:3], 0 offset:8
	;; [unrolled: 1-line block ×3, first 2 shown]
	buffer_load_dword v16, v28, s[0:3], 0 offen
	buffer_load_dword v17, v28, s[0:3], 0 offen offset:4
	buffer_load_dword v18, v28, s[0:3], 0 offen offset:8
	;; [unrolled: 1-line block ×4, first 2 shown]
	buffer_load_dword v24, v30, s[0:3], 0 offen
	buffer_load_dword v25, v30, s[0:3], 0 offen offset:4
	buffer_load_dword v26, v30, s[0:3], 0 offen offset:8
	;; [unrolled: 1-line block ×5, first 2 shown]
	buffer_load_dword v20, v29, s[0:3], 0 offen
	s_waitcnt vmcnt(16) lgkmcnt(0)
	buffer_store_dword v8, off, s[0:3], 0 offset:64
	buffer_store_dword v9, off, s[0:3], 0 offset:68
	;; [unrolled: 1-line block ×4, first 2 shown]
	s_clause 0x3
	buffer_load_dword v8, v31, s[0:3], 0 offen
	buffer_load_dword v9, v31, s[0:3], 0 offen offset:4
	buffer_load_dword v10, v31, s[0:3], 0 offen offset:8
	;; [unrolled: 1-line block ×3, first 2 shown]
	s_waitcnt vmcnt(16)
	ds_write_b128 v6, v[12:15]
	s_waitcnt vmcnt(12)
	ds_write_b128 v6, v[16:19] offset:4096
	s_waitcnt vmcnt(4)
	ds_write_b128 v6, v[20:23] offset:8192
	ds_write_b128 v6, v[24:27] offset:12288
	s_waitcnt vmcnt(0)
	ds_write_b128 v6, v[8:11] offset:16384
	s_waitcnt lgkmcnt(0)
	s_waitcnt_vscnt null, 0x0
	s_barrier
	buffer_gl0_inv
	ds_read_b128 v[8:11], v32
	ds_read_b128 v[12:15], v32 offset:16
	ds_read_b128 v[16:19], v32 offset:32
	;; [unrolled: 1-line block ×3, first 2 shown]
	v_mov_b32_e32 v6, 0x60
	v_cndmask_b32_e64 v24, 0, 1, vcc_lo
	v_mov_b32_e32 v27, s36
	s_waitcnt lgkmcnt(3)
	buffer_store_dword v11, off, s[0:3], 0 offset:12
	buffer_store_dword v10, off, s[0:3], 0 offset:8
	;; [unrolled: 1-line block ×3, first 2 shown]
	buffer_store_dword v8, off, s[0:3], 0
	s_waitcnt lgkmcnt(2)
	buffer_store_dword v15, v28, s[0:3], 0 offen offset:12
	buffer_store_dword v14, v28, s[0:3], 0 offen offset:8
	;; [unrolled: 1-line block ×3, first 2 shown]
	buffer_store_dword v12, v28, s[0:3], 0 offen
	s_waitcnt lgkmcnt(1)
	buffer_store_dword v19, v29, s[0:3], 0 offen offset:12
	buffer_store_dword v18, v29, s[0:3], 0 offen offset:8
	;; [unrolled: 1-line block ×3, first 2 shown]
	buffer_store_dword v16, v29, s[0:3], 0 offen
	s_waitcnt lgkmcnt(0)
	buffer_store_dword v23, v30, s[0:3], 0 offen offset:12
	v_cndmask_b32_e32 v7, 0, v6, vcc_lo
	v_cndmask_b32_e64 v26, s42, v6, s5
	v_cndmask_b32_e64 v25, s43, v6, s4
	;; [unrolled: 1-line block ×3, first 2 shown]
	s_clause 0x7
	buffer_load_dword v10, v7, s[0:3], 0 offen
	buffer_load_dword v11, v7, s[0:3], 0 offen offset:4
	buffer_load_dword v12, v7, s[0:3], 0 offen offset:8
	;; [unrolled: 1-line block ×3, first 2 shown]
	buffer_load_dword v14, v25, s[0:3], 0 offen
	buffer_load_dword v15, v25, s[0:3], 0 offen offset:4
	buffer_load_dword v16, v25, s[0:3], 0 offen offset:8
	;; [unrolled: 1-line block ×3, first 2 shown]
	buffer_store_dword v22, v30, s[0:3], 0 offen offset:8
	buffer_store_dword v21, v30, s[0:3], 0 offen offset:4
	buffer_store_dword v20, v30, s[0:3], 0 offen
	s_clause 0x7
	buffer_load_dword v18, v26, s[0:3], 0 offen offset:12
	buffer_load_dword v19, v26, s[0:3], 0 offen offset:8
	;; [unrolled: 1-line block ×3, first 2 shown]
	buffer_load_dword v21, v26, s[0:3], 0 offen
	buffer_load_dword v22, v6, s[0:3], 0 offen offset:12
	buffer_load_dword v23, v6, s[0:3], 0 offen offset:8
	;; [unrolled: 1-line block ×3, first 2 shown]
	buffer_load_dword v26, v6, s[0:3], 0 offen
	ds_read_b128 v[6:9], v32 offset:64
	s_mov_b32 s5, -1
	buffer_store_byte v24, off, s[0:3], 0 offset:224
	buffer_store_byte v3, off, s[0:3], 0 offset:244
	;; [unrolled: 1-line block ×3, first 2 shown]
	s_waitcnt lgkmcnt(0)
	buffer_store_dword v9, v31, s[0:3], 0 offen offset:12
	buffer_store_dword v8, v31, s[0:3], 0 offen offset:8
	;; [unrolled: 1-line block ×3, first 2 shown]
	buffer_store_dword v6, v31, s[0:3], 0 offen
	s_waitcnt vmcnt(12)
	buffer_store_dword v13, off, s[0:3], 0 offset:220
	buffer_store_dword v12, off, s[0:3], 0 offset:216
	;; [unrolled: 1-line block ×4, first 2 shown]
	s_waitcnt vmcnt(8)
	buffer_store_dword v17, v2, s[0:3], 0 offen offset:12
	buffer_store_dword v16, v2, s[0:3], 0 offen offset:8
	;; [unrolled: 1-line block ×3, first 2 shown]
	buffer_store_dword v14, v2, s[0:3], 0 offen
	s_waitcnt vmcnt(7)
	buffer_store_dword v18, v5, s[0:3], 0 offen offset:12
	s_waitcnt vmcnt(6)
	buffer_store_dword v19, v5, s[0:3], 0 offen offset:8
	;; [unrolled: 2-line block ×3, first 2 shown]
	s_waitcnt vmcnt(4)
	buffer_store_dword v21, v5, s[0:3], 0 offen
	s_waitcnt vmcnt(3)
	buffer_store_dword v22, v27, s[0:3], 0 offen offset:12
	s_waitcnt vmcnt(2)
	buffer_store_dword v23, v27, s[0:3], 0 offen offset:8
	;; [unrolled: 2-line block ×3, first 2 shown]
	s_waitcnt vmcnt(0)
	buffer_store_dword v26, v27, s[0:3], 0 offen
	buffer_store_byte v1, off, s[0:3], 0 offset:284
.LBB2083_52:
	s_and_saveexec_b32 s4, s5
	s_cbranch_execz .LBB2083_54
; %bb.53:
	v_mov_b32_e32 v1, 0x60
	v_mov_b32_e32 v5, s37
	v_cndmask_b32_e64 v6, 0, 1, s8
	v_cndmask_b32_e64 v1, s40, v1, s8
	s_clause 0x3
	buffer_load_dword v2, v1, s[0:3], 0 offen offset:12
	buffer_load_dword v3, v1, s[0:3], 0 offen offset:8
	;; [unrolled: 1-line block ×3, first 2 shown]
	buffer_load_dword v1, v1, s[0:3], 0 offen
	s_waitcnt vmcnt(3)
	buffer_store_dword v2, v5, s[0:3], 0 offen offset:12
	s_waitcnt vmcnt(2)
	buffer_store_dword v3, v5, s[0:3], 0 offen offset:8
	;; [unrolled: 2-line block ×3, first 2 shown]
	s_waitcnt vmcnt(0)
	buffer_store_dword v1, v5, s[0:3], 0 offen
	buffer_store_byte v6, off, s[0:3], 0 offset:304
.LBB2083_54:
	s_or_b32 exec_lo, exec_lo, s4
	s_cmp_lg_u32 s6, 0
	s_waitcnt_vscnt null, 0x0
	s_barrier
	buffer_gl0_inv
	s_cbranch_scc0 .LBB2083_277
; %bb.55:
	s_clause 0x5
	buffer_load_dword v2, off, s[0:3], 0 offset:220
	buffer_load_ubyte v6, off, s[0:3], 0 offset:244
	buffer_load_dword v3, off, s[0:3], 0 offset:216
	buffer_load_dword v4, off, s[0:3], 0 offset:212
	;; [unrolled: 1-line block ×4, first 2 shown]
	s_mov_b32 s4, exec_lo
	s_waitcnt vmcnt(5)
	buffer_store_dword v2, off, s[0:3], 0 offset:188
	s_waitcnt vmcnt(3)
	buffer_store_dword v3, off, s[0:3], 0 offset:184
	;; [unrolled: 2-line block ×5, first 2 shown]
                                        ; implicit-def: $vgpr3
                                        ; implicit-def: $vgpr2
                                        ; implicit-def: $vgpr4
                                        ; implicit-def: $vgpr5
	v_cmpx_ne_u16_e32 0, v6
	s_xor_b32 s4, exec_lo, s4
	s_cbranch_execz .LBB2083_57
; %bb.56:
	s_clause 0x3
	buffer_load_dword v2, off, s[0:3], 0 offset:228
	buffer_load_dword v4, off, s[0:3], 0 offset:232
	;; [unrolled: 1-line block ×4, first 2 shown]
.LBB2083_57:
	s_andn2_saveexec_b32 s4, s4
	s_cbranch_execz .LBB2083_63
; %bb.58:
	s_waitcnt vmcnt(3)
	v_mov_b32_e32 v2, 0
	s_mov_b32 s5, 0
.LBB2083_59:                            ; =>This Inner Loop Header: Depth=1
	s_waitcnt vmcnt(0)
	v_mov_b32_e32 v3, s5
	s_add_i32 s5, s5, 4
	s_cmp_lg_u32 s5, 16
	buffer_store_dword v2, v3, s[0:3], 0 offen
	s_cbranch_scc1 .LBB2083_59
; %bb.60:
	s_mov_b32 s5, 0
	.p2align	6
.LBB2083_61:                            ; =>This Inner Loop Header: Depth=1
	v_add_nc_u32_e64 v2, 0xb0, s5
	v_add_nc_u32_e64 v3, 0xd0, s5
	v_mov_b32_e32 v4, s5
	s_add_i32 s5, s5, 4
	s_clause 0x1
	buffer_load_dword v2, v2, s[0:3], 0 offen
	buffer_load_dword v3, v3, s[0:3], 0 offen offset:20
	s_cmp_lg_u32 s5, 16
	s_waitcnt vmcnt(0)
	v_add_nc_u32_e32 v2, v3, v2
	buffer_store_dword v2, v4, s[0:3], 0 offen
	s_cbranch_scc1 .LBB2083_61
; %bb.62:
	s_clause 0x3
	buffer_load_dword v2, off, s[0:3], 0
	buffer_load_dword v4, off, s[0:3], 0 offset:4
	buffer_load_dword v5, off, s[0:3], 0 offset:8
	;; [unrolled: 1-line block ×3, first 2 shown]
.LBB2083_63:
	s_or_b32 exec_lo, exec_lo, s4
	buffer_load_ubyte v7, off, s[0:3], 0 offset:264
	s_mov_b32 s4, exec_lo
	s_waitcnt vmcnt(4)
	buffer_store_dword v2, off, s[0:3], 0 offset:176
	s_waitcnt vmcnt(3)
	buffer_store_dword v4, off, s[0:3], 0 offset:180
	;; [unrolled: 2-line block ×4, first 2 shown]
                                        ; implicit-def: $vgpr3
                                        ; implicit-def: $vgpr2
                                        ; implicit-def: $vgpr4
                                        ; implicit-def: $vgpr5
	s_waitcnt vmcnt(0)
	v_cmpx_ne_u16_e32 0, v7
	s_xor_b32 s4, exec_lo, s4
	s_cbranch_execz .LBB2083_65
; %bb.64:
	s_clause 0x3
	buffer_load_dword v2, off, s[0:3], 0 offset:248
	buffer_load_dword v4, off, s[0:3], 0 offset:252
	;; [unrolled: 1-line block ×4, first 2 shown]
.LBB2083_65:
	s_andn2_saveexec_b32 s4, s4
	s_cbranch_execz .LBB2083_71
; %bb.66:
	s_waitcnt vmcnt(3)
	v_mov_b32_e32 v2, 0
	s_mov_b32 s5, 0
.LBB2083_67:                            ; =>This Inner Loop Header: Depth=1
	s_waitcnt vmcnt(0)
	v_mov_b32_e32 v3, s5
	s_add_i32 s5, s5, 4
	s_cmp_lg_u32 s5, 16
	buffer_store_dword v2, v3, s[0:3], 0 offen
	s_cbranch_scc1 .LBB2083_67
; %bb.68:
	s_mov_b32 s5, 0
	.p2align	6
.LBB2083_69:                            ; =>This Inner Loop Header: Depth=1
	v_add_nc_u32_e64 v2, 0xb0, s5
	v_add_nc_u32_e64 v3, 0xd0, s5
	v_mov_b32_e32 v4, s5
	s_add_i32 s5, s5, 4
	s_clause 0x1
	buffer_load_dword v2, v2, s[0:3], 0 offen
	buffer_load_dword v3, v3, s[0:3], 0 offen offset:40
	s_cmp_lg_u32 s5, 16
	s_waitcnt vmcnt(0)
	v_add_nc_u32_e32 v2, v3, v2
	buffer_store_dword v2, v4, s[0:3], 0 offen
	s_cbranch_scc1 .LBB2083_69
; %bb.70:
	s_clause 0x3
	buffer_load_dword v2, off, s[0:3], 0
	buffer_load_dword v4, off, s[0:3], 0 offset:4
	buffer_load_dword v5, off, s[0:3], 0 offset:8
	;; [unrolled: 1-line block ×3, first 2 shown]
.LBB2083_71:
	s_or_b32 exec_lo, exec_lo, s4
	buffer_load_ubyte v8, off, s[0:3], 0 offset:284
	s_mov_b32 s4, exec_lo
	s_waitcnt vmcnt(4)
	buffer_store_dword v2, off, s[0:3], 0 offset:176
	s_waitcnt vmcnt(3)
	buffer_store_dword v4, off, s[0:3], 0 offset:180
	;; [unrolled: 2-line block ×4, first 2 shown]
                                        ; implicit-def: $vgpr3
                                        ; implicit-def: $vgpr2
                                        ; implicit-def: $vgpr4
                                        ; implicit-def: $vgpr5
	s_waitcnt vmcnt(0)
	v_cmpx_ne_u16_e32 0, v8
	s_xor_b32 s4, exec_lo, s4
	s_cbranch_execz .LBB2083_73
; %bb.72:
	s_clause 0x3
	buffer_load_dword v2, off, s[0:3], 0 offset:268
	buffer_load_dword v4, off, s[0:3], 0 offset:272
	;; [unrolled: 1-line block ×4, first 2 shown]
.LBB2083_73:
	s_andn2_saveexec_b32 s4, s4
	s_cbranch_execz .LBB2083_79
; %bb.74:
	s_waitcnt vmcnt(3)
	v_mov_b32_e32 v2, 0
	s_mov_b32 s5, 0
.LBB2083_75:                            ; =>This Inner Loop Header: Depth=1
	s_waitcnt vmcnt(0)
	v_mov_b32_e32 v3, s5
	s_add_i32 s5, s5, 4
	s_cmp_lg_u32 s5, 16
	buffer_store_dword v2, v3, s[0:3], 0 offen
	s_cbranch_scc1 .LBB2083_75
; %bb.76:
	s_mov_b32 s5, 0
	.p2align	6
.LBB2083_77:                            ; =>This Inner Loop Header: Depth=1
	v_add_nc_u32_e64 v2, 0xb0, s5
	v_add_nc_u32_e64 v3, 0xd0, s5
	v_mov_b32_e32 v4, s5
	s_add_i32 s5, s5, 4
	s_clause 0x1
	buffer_load_dword v2, v2, s[0:3], 0 offen
	buffer_load_dword v3, v3, s[0:3], 0 offen offset:60
	s_cmp_lg_u32 s5, 16
	s_waitcnt vmcnt(0)
	v_add_nc_u32_e32 v2, v3, v2
	buffer_store_dword v2, v4, s[0:3], 0 offen
	s_cbranch_scc1 .LBB2083_77
; %bb.78:
	s_clause 0x3
	buffer_load_dword v2, off, s[0:3], 0
	buffer_load_dword v4, off, s[0:3], 0 offset:4
	buffer_load_dword v5, off, s[0:3], 0 offset:8
	;; [unrolled: 1-line block ×3, first 2 shown]
.LBB2083_79:
	s_or_b32 exec_lo, exec_lo, s4
	buffer_load_ubyte v9, off, s[0:3], 0 offset:304
	s_mov_b32 s4, exec_lo
	s_waitcnt vmcnt(4)
	buffer_store_dword v2, off, s[0:3], 0 offset:176
	s_waitcnt vmcnt(3)
	buffer_store_dword v4, off, s[0:3], 0 offset:180
	;; [unrolled: 2-line block ×4, first 2 shown]
                                        ; implicit-def: $vgpr5
                                        ; implicit-def: $vgpr2
                                        ; implicit-def: $vgpr3
                                        ; implicit-def: $vgpr4
	s_waitcnt vmcnt(0)
	v_cmpx_ne_u16_e32 0, v9
	s_xor_b32 s4, exec_lo, s4
	s_cbranch_execz .LBB2083_81
; %bb.80:
	s_clause 0x3
	buffer_load_dword v2, off, s[0:3], 0 offset:288
	buffer_load_dword v3, off, s[0:3], 0 offset:292
	;; [unrolled: 1-line block ×4, first 2 shown]
.LBB2083_81:
	s_andn2_saveexec_b32 s4, s4
	s_cbranch_execz .LBB2083_87
; %bb.82:
	s_waitcnt vmcnt(3)
	v_mov_b32_e32 v2, 0
	s_mov_b32 s5, 0
.LBB2083_83:                            ; =>This Inner Loop Header: Depth=1
	s_waitcnt vmcnt(2)
	v_mov_b32_e32 v3, s5
	s_add_i32 s5, s5, 4
	s_cmp_lg_u32 s5, 16
	buffer_store_dword v2, v3, s[0:3], 0 offen
	s_cbranch_scc1 .LBB2083_83
; %bb.84:
	s_mov_b32 s5, 0
	.p2align	6
.LBB2083_85:                            ; =>This Inner Loop Header: Depth=1
	v_add_nc_u32_e64 v2, 0xb0, s5
	v_add_nc_u32_e64 v3, 0xd0, s5
	s_waitcnt vmcnt(1)
	v_mov_b32_e32 v4, s5
	s_add_i32 s5, s5, 4
	s_clause 0x1
	buffer_load_dword v2, v2, s[0:3], 0 offen
	buffer_load_dword v3, v3, s[0:3], 0 offen offset:80
	s_cmp_lg_u32 s5, 16
	s_waitcnt vmcnt(0)
	v_add_nc_u32_e32 v2, v3, v2
	buffer_store_dword v2, v4, s[0:3], 0 offen
	s_cbranch_scc1 .LBB2083_85
; %bb.86:
	s_clause 0x3
	buffer_load_dword v2, off, s[0:3], 0
	buffer_load_dword v3, off, s[0:3], 0 offset:4
	buffer_load_dword v4, off, s[0:3], 0 offset:8
	;; [unrolled: 1-line block ×3, first 2 shown]
.LBB2083_87:
	s_or_b32 exec_lo, exec_lo, s4
	v_or_b32_e32 v6, v7, v6
	v_and_b32_e32 v7, 1, v8
	v_and_b32_e32 v8, 1, v9
	;; [unrolled: 1-line block ×3, first 2 shown]
	v_mbcnt_lo_u32_b32 v9, -1, 0
	v_cmp_ne_u16_e32 vcc_lo, 0, v6
	v_cmp_eq_u32_e64 s4, 1, v7
	v_cmp_eq_u32_e64 s5, 1, v8
	;; [unrolled: 1-line block ×3, first 2 shown]
	s_waitcnt vmcnt(3)
	v_mov_b32_dpp v8, v2 row_shr:1 row_mask:0xf bank_mask:0xf
	v_and_b32_e32 v6, 15, v9
	s_or_b32 s4, vcc_lo, s4
	s_waitcnt vmcnt(2)
	v_mov_b32_dpp v10, v3 row_shr:1 row_mask:0xf bank_mask:0xf
	s_or_b32 s4, s5, s4
	s_waitcnt vmcnt(1)
	v_mov_b32_dpp v11, v4 row_shr:1 row_mask:0xf bank_mask:0xf
	s_or_b32 s4, s4, s7
	s_waitcnt vmcnt(0)
	v_mov_b32_dpp v12, v5 row_shr:1 row_mask:0xf bank_mask:0xf
	v_cndmask_b32_e64 v1, 0, 1, s4
	s_mov_b32 s4, exec_lo
	buffer_store_byte v1, off, s[0:3], 0 offset:192
	buffer_load_dword v1, off, s[0:3], 0 offset:192
	buffer_store_dword v2, off, s[0:3], 0 offset:176
	buffer_store_dword v3, off, s[0:3], 0 offset:180
	;; [unrolled: 1-line block ×4, first 2 shown]
	s_waitcnt vmcnt(0)
	v_mov_b32_dpp v7, v1 row_shr:1 row_mask:0xf bank_mask:0xf
	buffer_store_dword v8, off, s[0:3], 0
	buffer_store_dword v10, off, s[0:3], 0 offset:4
	buffer_store_dword v11, off, s[0:3], 0 offset:8
	buffer_store_dword v12, off, s[0:3], 0 offset:12
	buffer_store_dword v7, off, s[0:3], 0 offset:16
	v_cmpx_ne_u32_e32 0, v6
	s_xor_b32 s4, exec_lo, s4
	s_cbranch_execz .LBB2083_95
; %bb.88:
	v_mov_b32_e32 v8, 0
	v_cmp_eq_u16_sdwa s7, v1, v8 src0_sel:BYTE_0 src1_sel:DWORD
	s_and_saveexec_b32 s5, s7
	s_cbranch_execz .LBB2083_94
; %bb.89:
	s_mov_b32 s7, 0
.LBB2083_90:                            ; =>This Inner Loop Header: Depth=1
	v_add_nc_u32_e64 v2, 0x60, s7
	s_add_i32 s7, s7, 4
	s_cmp_lg_u32 s7, 16
	buffer_store_dword v8, v2, s[0:3], 0 offen
	s_cbranch_scc1 .LBB2083_90
; %bb.91:
	s_mov_b32 s7, 0
	.p2align	6
.LBB2083_92:                            ; =>This Inner Loop Header: Depth=1
	v_mov_b32_e32 v2, s7
	v_add_nc_u32_e64 v3, 0xb0, s7
	v_add_nc_u32_e64 v4, 0x60, s7
	s_add_i32 s7, s7, 4
	s_clause 0x1
	buffer_load_dword v2, v2, s[0:3], 0 offen
	buffer_load_dword v3, v3, s[0:3], 0 offen
	s_cmp_lg_u32 s7, 16
	s_waitcnt vmcnt(0)
	v_add_nc_u32_e32 v2, v3, v2
	buffer_store_dword v2, v4, s[0:3], 0 offen
	s_cbranch_scc1 .LBB2083_92
; %bb.93:
	s_clause 0x3
	buffer_load_dword v2, off, s[0:3], 0 offset:96
	buffer_load_dword v3, off, s[0:3], 0 offset:100
	;; [unrolled: 1-line block ×4, first 2 shown]
.LBB2083_94:
	s_or_b32 exec_lo, exec_lo, s5
	v_or_b32_e32 v1, v7, v1
	v_and_b32_e32 v1, 1, v1
	buffer_store_byte v1, off, s[0:3], 0 offset:192
	buffer_load_dword v1, off, s[0:3], 0 offset:192
	s_waitcnt vmcnt(4)
	buffer_store_dword v2, off, s[0:3], 0 offset:176
	s_waitcnt vmcnt(3)
	buffer_store_dword v3, off, s[0:3], 0 offset:180
	;; [unrolled: 2-line block ×4, first 2 shown]
.LBB2083_95:
	s_or_b32 exec_lo, exec_lo, s4
	v_mov_b32_dpp v8, v2 row_shr:2 row_mask:0xf bank_mask:0xf
	s_waitcnt vmcnt(0)
	v_mov_b32_dpp v7, v1 row_shr:2 row_mask:0xf bank_mask:0xf
	v_mov_b32_dpp v10, v3 row_shr:2 row_mask:0xf bank_mask:0xf
	;; [unrolled: 1-line block ×4, first 2 shown]
	s_mov_b32 s5, exec_lo
	buffer_store_dword v8, off, s[0:3], 0
	buffer_store_dword v10, off, s[0:3], 0 offset:4
	buffer_store_dword v11, off, s[0:3], 0 offset:8
	;; [unrolled: 1-line block ×4, first 2 shown]
	v_cmpx_lt_u32_e32 1, v6
	s_cbranch_execz .LBB2083_102
; %bb.96:
	v_mov_b32_e32 v8, 0
	s_mov_b32 s7, 0
	v_cmp_eq_u16_sdwa s8, v1, v8 src0_sel:BYTE_0 src1_sel:DWORD
	s_and_saveexec_b32 s4, s8
	s_cbranch_execz .LBB2083_101
.LBB2083_97:                            ; =>This Inner Loop Header: Depth=1
	v_add_nc_u32_e64 v2, 0x60, s7
	s_add_i32 s7, s7, 4
	s_cmp_lg_u32 s7, 16
	buffer_store_dword v8, v2, s[0:3], 0 offen
	s_cbranch_scc1 .LBB2083_97
; %bb.98:
	s_mov_b32 s7, 0
	.p2align	6
.LBB2083_99:                            ; =>This Inner Loop Header: Depth=1
	v_mov_b32_e32 v2, s7
	v_add_nc_u32_e64 v3, 0xb0, s7
	v_add_nc_u32_e64 v4, 0x60, s7
	s_add_i32 s7, s7, 4
	s_clause 0x1
	buffer_load_dword v2, v2, s[0:3], 0 offen
	buffer_load_dword v3, v3, s[0:3], 0 offen
	s_cmp_lg_u32 s7, 16
	s_waitcnt vmcnt(0)
	v_add_nc_u32_e32 v2, v3, v2
	buffer_store_dword v2, v4, s[0:3], 0 offen
	s_cbranch_scc1 .LBB2083_99
; %bb.100:
	s_clause 0x3
	buffer_load_dword v2, off, s[0:3], 0 offset:96
	buffer_load_dword v3, off, s[0:3], 0 offset:100
	;; [unrolled: 1-line block ×4, first 2 shown]
.LBB2083_101:
	s_or_b32 exec_lo, exec_lo, s4
	v_and_b32_e32 v1, 1, v1
	v_and_b32_e32 v7, 1, v7
	v_cmp_eq_u32_e32 vcc_lo, 1, v1
	v_cmp_eq_u32_e64 s4, 1, v7
	s_or_b32 s4, vcc_lo, s4
	v_cndmask_b32_e64 v1, 0, 1, s4
	buffer_store_byte v1, off, s[0:3], 0 offset:192
	buffer_load_dword v1, off, s[0:3], 0 offset:192
	s_waitcnt vmcnt(4)
	buffer_store_dword v2, off, s[0:3], 0 offset:176
	s_waitcnt vmcnt(3)
	buffer_store_dword v3, off, s[0:3], 0 offset:180
	;; [unrolled: 2-line block ×4, first 2 shown]
.LBB2083_102:
	s_or_b32 exec_lo, exec_lo, s5
	v_mov_b32_dpp v8, v2 row_shr:4 row_mask:0xf bank_mask:0xf
	s_waitcnt vmcnt(0)
	v_mov_b32_dpp v7, v1 row_shr:4 row_mask:0xf bank_mask:0xf
	v_mov_b32_dpp v10, v3 row_shr:4 row_mask:0xf bank_mask:0xf
	;; [unrolled: 1-line block ×4, first 2 shown]
	s_mov_b32 s5, exec_lo
	buffer_store_dword v8, off, s[0:3], 0
	buffer_store_dword v10, off, s[0:3], 0 offset:4
	buffer_store_dword v11, off, s[0:3], 0 offset:8
	;; [unrolled: 1-line block ×4, first 2 shown]
	v_cmpx_lt_u32_e32 3, v6
	s_cbranch_execz .LBB2083_109
; %bb.103:
	v_mov_b32_e32 v8, 0
	s_mov_b32 s7, 0
	v_cmp_eq_u16_sdwa s8, v1, v8 src0_sel:BYTE_0 src1_sel:DWORD
	s_and_saveexec_b32 s4, s8
	s_cbranch_execz .LBB2083_108
.LBB2083_104:                           ; =>This Inner Loop Header: Depth=1
	v_add_nc_u32_e64 v2, 0x60, s7
	s_add_i32 s7, s7, 4
	s_cmp_lg_u32 s7, 16
	buffer_store_dword v8, v2, s[0:3], 0 offen
	s_cbranch_scc1 .LBB2083_104
; %bb.105:
	s_mov_b32 s7, 0
	.p2align	6
.LBB2083_106:                           ; =>This Inner Loop Header: Depth=1
	v_mov_b32_e32 v2, s7
	v_add_nc_u32_e64 v3, 0xb0, s7
	v_add_nc_u32_e64 v4, 0x60, s7
	s_add_i32 s7, s7, 4
	s_clause 0x1
	buffer_load_dword v2, v2, s[0:3], 0 offen
	buffer_load_dword v3, v3, s[0:3], 0 offen
	s_cmp_lg_u32 s7, 16
	s_waitcnt vmcnt(0)
	v_add_nc_u32_e32 v2, v3, v2
	buffer_store_dword v2, v4, s[0:3], 0 offen
	s_cbranch_scc1 .LBB2083_106
; %bb.107:
	s_clause 0x3
	buffer_load_dword v2, off, s[0:3], 0 offset:96
	buffer_load_dword v3, off, s[0:3], 0 offset:100
	;; [unrolled: 1-line block ×4, first 2 shown]
.LBB2083_108:
	s_or_b32 exec_lo, exec_lo, s4
	v_and_b32_e32 v1, 1, v1
	v_and_b32_e32 v7, 1, v7
	v_cmp_eq_u32_e32 vcc_lo, 1, v1
	v_cmp_eq_u32_e64 s4, 1, v7
	s_or_b32 s4, vcc_lo, s4
	v_cndmask_b32_e64 v1, 0, 1, s4
	buffer_store_byte v1, off, s[0:3], 0 offset:192
	buffer_load_dword v1, off, s[0:3], 0 offset:192
	s_waitcnt vmcnt(4)
	buffer_store_dword v2, off, s[0:3], 0 offset:176
	s_waitcnt vmcnt(3)
	buffer_store_dword v3, off, s[0:3], 0 offset:180
	;; [unrolled: 2-line block ×4, first 2 shown]
.LBB2083_109:
	s_or_b32 exec_lo, exec_lo, s5
	v_mov_b32_dpp v8, v2 row_shr:8 row_mask:0xf bank_mask:0xf
	s_waitcnt vmcnt(0)
	v_mov_b32_dpp v7, v1 row_shr:8 row_mask:0xf bank_mask:0xf
	v_mov_b32_dpp v10, v3 row_shr:8 row_mask:0xf bank_mask:0xf
	;; [unrolled: 1-line block ×4, first 2 shown]
	s_mov_b32 s5, exec_lo
	buffer_store_dword v8, off, s[0:3], 0
	buffer_store_dword v10, off, s[0:3], 0 offset:4
	buffer_store_dword v11, off, s[0:3], 0 offset:8
	;; [unrolled: 1-line block ×4, first 2 shown]
	v_cmpx_lt_u32_e32 7, v6
	s_cbranch_execz .LBB2083_116
; %bb.110:
	v_mov_b32_e32 v6, 0
	s_mov_b32 s7, 0
	v_cmp_eq_u16_sdwa s8, v1, v6 src0_sel:BYTE_0 src1_sel:DWORD
	s_and_saveexec_b32 s4, s8
	s_cbranch_execz .LBB2083_115
.LBB2083_111:                           ; =>This Inner Loop Header: Depth=1
	v_add_nc_u32_e64 v2, 0x60, s7
	s_add_i32 s7, s7, 4
	s_cmp_lg_u32 s7, 16
	buffer_store_dword v6, v2, s[0:3], 0 offen
	s_cbranch_scc1 .LBB2083_111
; %bb.112:
	s_mov_b32 s7, 0
	.p2align	6
.LBB2083_113:                           ; =>This Inner Loop Header: Depth=1
	v_mov_b32_e32 v2, s7
	v_add_nc_u32_e64 v3, 0xb0, s7
	v_add_nc_u32_e64 v4, 0x60, s7
	s_add_i32 s7, s7, 4
	s_clause 0x1
	buffer_load_dword v2, v2, s[0:3], 0 offen
	buffer_load_dword v3, v3, s[0:3], 0 offen
	s_cmp_lg_u32 s7, 16
	s_waitcnt vmcnt(0)
	v_add_nc_u32_e32 v2, v3, v2
	buffer_store_dword v2, v4, s[0:3], 0 offen
	s_cbranch_scc1 .LBB2083_113
; %bb.114:
	s_clause 0x3
	buffer_load_dword v2, off, s[0:3], 0 offset:96
	buffer_load_dword v3, off, s[0:3], 0 offset:100
	;; [unrolled: 1-line block ×4, first 2 shown]
.LBB2083_115:
	s_or_b32 exec_lo, exec_lo, s4
	v_and_b32_e32 v1, 1, v1
	v_and_b32_e32 v6, 1, v7
	v_cmp_eq_u32_e32 vcc_lo, 1, v1
	v_cmp_eq_u32_e64 s4, 1, v6
	s_or_b32 s4, vcc_lo, s4
	v_cndmask_b32_e64 v1, 0, 1, s4
	buffer_store_byte v1, off, s[0:3], 0 offset:192
	buffer_load_dword v1, off, s[0:3], 0 offset:192
	s_waitcnt vmcnt(4)
	buffer_store_dword v2, off, s[0:3], 0 offset:176
	s_waitcnt vmcnt(3)
	buffer_store_dword v3, off, s[0:3], 0 offset:180
	s_waitcnt vmcnt(2)
	buffer_store_dword v4, off, s[0:3], 0 offset:184
	s_waitcnt vmcnt(1)
	buffer_store_dword v5, off, s[0:3], 0 offset:188
.LBB2083_116:
	s_or_b32 exec_lo, exec_lo, s5
	ds_swizzle_b32 v7, v2 offset:swizzle(BROADCAST,32,15)
	s_waitcnt vmcnt(0)
	ds_swizzle_b32 v6, v1 offset:swizzle(BROADCAST,32,15)
	ds_swizzle_b32 v8, v3 offset:swizzle(BROADCAST,32,15)
	;; [unrolled: 1-line block ×4, first 2 shown]
	v_and_b32_e32 v12, 16, v9
	s_mov_b32 s5, exec_lo
	s_waitcnt lgkmcnt(4)
	buffer_store_dword v7, off, s[0:3], 0
	s_waitcnt lgkmcnt(2)
	buffer_store_dword v8, off, s[0:3], 0 offset:4
	s_waitcnt lgkmcnt(1)
	buffer_store_dword v10, off, s[0:3], 0 offset:8
	;; [unrolled: 2-line block ×3, first 2 shown]
	buffer_store_dword v6, off, s[0:3], 0 offset:16
	v_cmpx_ne_u32_e32 0, v12
	s_cbranch_execz .LBB2083_123
; %bb.117:
	v_mov_b32_e32 v7, 0
	s_mov_b32 s7, 0
	v_cmp_eq_u16_sdwa s8, v1, v7 src0_sel:BYTE_0 src1_sel:DWORD
	s_and_saveexec_b32 s4, s8
	s_cbranch_execz .LBB2083_122
.LBB2083_118:                           ; =>This Inner Loop Header: Depth=1
	v_add_nc_u32_e64 v2, 0x60, s7
	s_add_i32 s7, s7, 4
	s_cmp_lg_u32 s7, 16
	buffer_store_dword v7, v2, s[0:3], 0 offen
	s_cbranch_scc1 .LBB2083_118
; %bb.119:
	s_mov_b32 s7, 0
	.p2align	6
.LBB2083_120:                           ; =>This Inner Loop Header: Depth=1
	v_mov_b32_e32 v2, s7
	v_add_nc_u32_e64 v3, 0xb0, s7
	v_add_nc_u32_e64 v4, 0x60, s7
	s_add_i32 s7, s7, 4
	s_clause 0x1
	buffer_load_dword v2, v2, s[0:3], 0 offen
	buffer_load_dword v3, v3, s[0:3], 0 offen
	s_cmp_lg_u32 s7, 16
	s_waitcnt vmcnt(0)
	v_add_nc_u32_e32 v2, v3, v2
	buffer_store_dword v2, v4, s[0:3], 0 offen
	s_cbranch_scc1 .LBB2083_120
; %bb.121:
	s_clause 0x3
	buffer_load_dword v2, off, s[0:3], 0 offset:96
	buffer_load_dword v3, off, s[0:3], 0 offset:100
	;; [unrolled: 1-line block ×4, first 2 shown]
.LBB2083_122:
	s_or_b32 exec_lo, exec_lo, s4
	v_and_b32_e32 v1, 1, v1
	v_and_b32_e32 v6, 1, v6
	v_cmp_eq_u32_e32 vcc_lo, 1, v1
	v_cmp_eq_u32_e64 s4, 1, v6
	s_or_b32 s4, vcc_lo, s4
	v_cndmask_b32_e64 v1, 0, 1, s4
	s_waitcnt vmcnt(3)
	buffer_store_dword v2, off, s[0:3], 0 offset:176
	s_waitcnt vmcnt(2)
	buffer_store_dword v3, off, s[0:3], 0 offset:180
	;; [unrolled: 2-line block ×4, first 2 shown]
	buffer_store_byte v1, off, s[0:3], 0 offset:192
.LBB2083_123:
	s_or_b32 exec_lo, exec_lo, s5
	v_or_b32_e32 v7, 31, v0
	v_lshrrev_b32_e32 v6, 5, v0
	s_mov_b32 s4, exec_lo
	v_cmpx_eq_u32_e64 v0, v7
	s_cbranch_execz .LBB2083_125
; %bb.124:
	v_mul_u32_u24_e32 v7, 20, v6
	ds_write2_b32 v7, v2, v3 offset1:1
	ds_write2_b32 v7, v4, v5 offset0:2 offset1:3
	ds_write_b8 v7, v1 offset:16
.LBB2083_125:
	s_or_b32 exec_lo, exec_lo, s4
	s_mov_b32 s5, exec_lo
	s_waitcnt lgkmcnt(0)
	s_waitcnt_vscnt null, 0x0
	s_barrier
	buffer_gl0_inv
	v_cmpx_gt_u32_e32 8, v0
	s_cbranch_execz .LBB2083_149
; %bb.126:
	v_mul_u32_u24_e32 v5, 20, v0
	v_and_b32_e32 v8, 7, v9
	s_mov_b32 s4, exec_lo
	ds_read_b32 v7, v5 offset:16
	ds_read2_b32 v[1:2], v5 offset0:2 offset1:3
	ds_read2_b32 v[3:4], v5 offset1:1
	s_waitcnt lgkmcnt(2)
	buffer_store_dword v7, off, s[0:3], 0 offset:112
	s_waitcnt lgkmcnt(1)
	buffer_store_dword v2, off, s[0:3], 0 offset:108
	buffer_store_dword v1, off, s[0:3], 0 offset:104
	s_waitcnt lgkmcnt(0)
	buffer_store_dword v4, off, s[0:3], 0 offset:100
	buffer_store_dword v3, off, s[0:3], 0 offset:96
	v_mov_b32_dpp v11, v3 row_shr:1 row_mask:0xf bank_mask:0xf
	v_mov_b32_dpp v10, v7 row_shr:1 row_mask:0xf bank_mask:0xf
	;; [unrolled: 1-line block ×5, first 2 shown]
	buffer_store_dword v11, off, s[0:3], 0
	buffer_store_dword v12, off, s[0:3], 0 offset:4
	buffer_store_dword v13, off, s[0:3], 0 offset:8
	;; [unrolled: 1-line block ×4, first 2 shown]
	v_cmpx_ne_u32_e32 0, v8
	s_cbranch_execz .LBB2083_134
; %bb.127:
	v_mov_b32_e32 v11, 0
	v_cmp_eq_u16_sdwa s8, v7, v11 src0_sel:BYTE_0 src1_sel:DWORD
	s_and_saveexec_b32 s7, s8
	s_cbranch_execz .LBB2083_133
; %bb.128:
	s_mov_b32 s8, 0
.LBB2083_129:                           ; =>This Inner Loop Header: Depth=1
	v_add_nc_u32_e64 v1, 0x74, s8
	s_add_i32 s8, s8, 4
	s_cmp_lg_u32 s8, 16
	buffer_store_dword v11, v1, s[0:3], 0 offen
	s_cbranch_scc1 .LBB2083_129
; %bb.130:
	s_mov_b32 s8, 0
	.p2align	6
.LBB2083_131:                           ; =>This Inner Loop Header: Depth=1
	v_mov_b32_e32 v1, s8
	v_add_nc_u32_e64 v2, 0x60, s8
	v_add_nc_u32_e64 v3, 0x74, s8
	s_add_i32 s8, s8, 4
	s_clause 0x1
	buffer_load_dword v1, v1, s[0:3], 0 offen
	buffer_load_dword v2, v2, s[0:3], 0 offen
	s_cmp_lg_u32 s8, 16
	s_waitcnt vmcnt(0)
	v_add_nc_u32_e32 v1, v2, v1
	buffer_store_dword v1, v3, s[0:3], 0 offen
	s_cbranch_scc1 .LBB2083_131
; %bb.132:
	s_clause 0x3
	buffer_load_dword v3, off, s[0:3], 0 offset:116
	buffer_load_dword v4, off, s[0:3], 0 offset:120
	buffer_load_dword v1, off, s[0:3], 0 offset:124
	buffer_load_dword v2, off, s[0:3], 0 offset:128
.LBB2083_133:
	s_or_b32 exec_lo, exec_lo, s7
	v_or_b32_e32 v7, v10, v7
	v_and_b32_e32 v7, 1, v7
	buffer_store_byte v7, off, s[0:3], 0 offset:112
	buffer_load_dword v7, off, s[0:3], 0 offset:112
	s_waitcnt vmcnt(4)
	buffer_store_dword v3, off, s[0:3], 0 offset:96
	s_waitcnt vmcnt(3)
	buffer_store_dword v4, off, s[0:3], 0 offset:100
	;; [unrolled: 2-line block ×4, first 2 shown]
.LBB2083_134:
	s_or_b32 exec_lo, exec_lo, s4
	v_mov_b32_dpp v11, v3 row_shr:2 row_mask:0xf bank_mask:0xf
	s_waitcnt vmcnt(0)
	v_mov_b32_dpp v10, v7 row_shr:2 row_mask:0xf bank_mask:0xf
	v_mov_b32_dpp v12, v4 row_shr:2 row_mask:0xf bank_mask:0xf
	;; [unrolled: 1-line block ×4, first 2 shown]
	s_mov_b32 s7, exec_lo
	buffer_store_dword v11, off, s[0:3], 0
	buffer_store_dword v12, off, s[0:3], 0 offset:4
	buffer_store_dword v13, off, s[0:3], 0 offset:8
	;; [unrolled: 1-line block ×4, first 2 shown]
	v_cmpx_lt_u32_e32 1, v8
	s_cbranch_execz .LBB2083_141
; %bb.135:
	v_mov_b32_e32 v11, 0
	s_mov_b32 s8, 0
	v_cmp_eq_u16_sdwa s9, v7, v11 src0_sel:BYTE_0 src1_sel:DWORD
	s_and_saveexec_b32 s4, s9
	s_cbranch_execz .LBB2083_140
.LBB2083_136:                           ; =>This Inner Loop Header: Depth=1
	v_add_nc_u32_e64 v1, 0x74, s8
	s_add_i32 s8, s8, 4
	s_cmp_lg_u32 s8, 16
	buffer_store_dword v11, v1, s[0:3], 0 offen
	s_cbranch_scc1 .LBB2083_136
; %bb.137:
	s_mov_b32 s8, 0
	.p2align	6
.LBB2083_138:                           ; =>This Inner Loop Header: Depth=1
	v_mov_b32_e32 v1, s8
	v_add_nc_u32_e64 v2, 0x60, s8
	v_add_nc_u32_e64 v3, 0x74, s8
	s_add_i32 s8, s8, 4
	s_clause 0x1
	buffer_load_dword v1, v1, s[0:3], 0 offen
	buffer_load_dword v2, v2, s[0:3], 0 offen
	s_cmp_lg_u32 s8, 16
	s_waitcnt vmcnt(0)
	v_add_nc_u32_e32 v1, v2, v1
	buffer_store_dword v1, v3, s[0:3], 0 offen
	s_cbranch_scc1 .LBB2083_138
; %bb.139:
	s_clause 0x3
	buffer_load_dword v3, off, s[0:3], 0 offset:116
	buffer_load_dword v4, off, s[0:3], 0 offset:120
	;; [unrolled: 1-line block ×4, first 2 shown]
.LBB2083_140:
	s_or_b32 exec_lo, exec_lo, s4
	v_and_b32_e32 v7, 1, v7
	v_and_b32_e32 v10, 1, v10
	v_cmp_eq_u32_e32 vcc_lo, 1, v7
	v_cmp_eq_u32_e64 s4, 1, v10
	s_or_b32 s4, vcc_lo, s4
	v_cndmask_b32_e64 v7, 0, 1, s4
	buffer_store_byte v7, off, s[0:3], 0 offset:112
	buffer_load_dword v7, off, s[0:3], 0 offset:112
	s_waitcnt vmcnt(4)
	buffer_store_dword v3, off, s[0:3], 0 offset:96
	s_waitcnt vmcnt(3)
	buffer_store_dword v4, off, s[0:3], 0 offset:100
	s_waitcnt vmcnt(2)
	buffer_store_dword v1, off, s[0:3], 0 offset:104
	s_waitcnt vmcnt(1)
	buffer_store_dword v2, off, s[0:3], 0 offset:108
.LBB2083_141:
	s_or_b32 exec_lo, exec_lo, s7
	v_mov_b32_dpp v11, v3 row_shr:4 row_mask:0xf bank_mask:0xf
	s_waitcnt vmcnt(0)
	v_mov_b32_dpp v10, v7 row_shr:4 row_mask:0xf bank_mask:0xf
	v_mov_b32_dpp v12, v4 row_shr:4 row_mask:0xf bank_mask:0xf
	;; [unrolled: 1-line block ×4, first 2 shown]
	s_mov_b32 s7, exec_lo
	buffer_store_dword v11, off, s[0:3], 0
	buffer_store_dword v12, off, s[0:3], 0 offset:4
	buffer_store_dword v13, off, s[0:3], 0 offset:8
	;; [unrolled: 1-line block ×4, first 2 shown]
	v_cmpx_lt_u32_e32 3, v8
	s_cbranch_execz .LBB2083_148
; %bb.142:
	v_mov_b32_e32 v8, 0
	s_mov_b32 s8, 0
	v_cmp_eq_u16_sdwa s9, v7, v8 src0_sel:BYTE_0 src1_sel:DWORD
	s_and_saveexec_b32 s4, s9
	s_cbranch_execz .LBB2083_147
.LBB2083_143:                           ; =>This Inner Loop Header: Depth=1
	v_add_nc_u32_e64 v1, 0x74, s8
	s_add_i32 s8, s8, 4
	s_cmp_lg_u32 s8, 16
	buffer_store_dword v8, v1, s[0:3], 0 offen
	s_cbranch_scc1 .LBB2083_143
; %bb.144:
	s_mov_b32 s8, 0
	.p2align	6
.LBB2083_145:                           ; =>This Inner Loop Header: Depth=1
	v_mov_b32_e32 v1, s8
	v_add_nc_u32_e64 v2, 0x60, s8
	v_add_nc_u32_e64 v3, 0x74, s8
	s_add_i32 s8, s8, 4
	s_clause 0x1
	buffer_load_dword v1, v1, s[0:3], 0 offen
	buffer_load_dword v2, v2, s[0:3], 0 offen
	s_cmp_lg_u32 s8, 16
	s_waitcnt vmcnt(0)
	v_add_nc_u32_e32 v1, v2, v1
	buffer_store_dword v1, v3, s[0:3], 0 offen
	s_cbranch_scc1 .LBB2083_145
; %bb.146:
	s_clause 0x3
	buffer_load_dword v3, off, s[0:3], 0 offset:116
	buffer_load_dword v4, off, s[0:3], 0 offset:120
	;; [unrolled: 1-line block ×4, first 2 shown]
.LBB2083_147:
	s_or_b32 exec_lo, exec_lo, s4
	v_and_b32_e32 v7, 1, v7
	v_and_b32_e32 v8, 1, v10
	s_waitcnt vmcnt(3)
	buffer_store_dword v3, off, s[0:3], 0 offset:96
	s_waitcnt vmcnt(2)
	buffer_store_dword v4, off, s[0:3], 0 offset:100
	;; [unrolled: 2-line block ×4, first 2 shown]
	v_cmp_eq_u32_e32 vcc_lo, 1, v7
	v_cmp_eq_u32_e64 s4, 1, v8
	s_or_b32 s4, vcc_lo, s4
	v_cndmask_b32_e64 v7, 0, 1, s4
.LBB2083_148:
	s_or_b32 exec_lo, exec_lo, s7
	s_clause 0x3
	buffer_load_dword v1, off, s[0:3], 0 offset:96
	buffer_load_dword v2, off, s[0:3], 0 offset:104
	;; [unrolled: 1-line block ×4, first 2 shown]
	s_waitcnt vmcnt(1)
	ds_write2_b32 v5, v2, v3 offset0:2 offset1:3
	s_waitcnt vmcnt(0)
	ds_write2_b32 v5, v1, v4 offset1:1
	ds_write_b8 v5, v7 offset:16
.LBB2083_149:
	s_or_b32 exec_lo, exec_lo, s5
	v_mov_b32_e32 v1, 0
	s_mov_b32 s4, 0
	s_waitcnt lgkmcnt(0)
	s_waitcnt_vscnt null, 0x0
	s_barrier
	buffer_gl0_inv
	buffer_store_dword v1, off, s[0:3], 0 offset:12
	buffer_store_dword v1, off, s[0:3], 0 offset:8
	;; [unrolled: 1-line block ×3, first 2 shown]
	buffer_store_dword v1, off, s[0:3], 0
	buffer_store_dword v1, off, s[0:3], 0 offset:16
.LBB2083_150:                           ; =>This Inner Loop Header: Depth=1
	v_mov_b32_e32 v2, s4
	s_add_i32 s4, s4, 4
	s_cmp_lg_u32 s4, 16
	buffer_store_dword v1, v2, s[0:3], 0 offen
	s_cbranch_scc1 .LBB2083_150
; %bb.151:
	s_mov_b32 s5, exec_lo
	v_cmp_gt_u32_e32 vcc_lo, 32, v0
                                        ; implicit-def: $vgpr2
                                        ; implicit-def: $vgpr3
                                        ; implicit-def: $vgpr5
                                        ; implicit-def: $vgpr4
                                        ; implicit-def: $vgpr1
	v_cmpx_lt_u32_e32 31, v0
	s_xor_b32 s5, exec_lo, s5
	s_cbranch_execz .LBB2083_161
; %bb.152:
	buffer_load_ubyte v7, off, s[0:3], 0 offset:192
	v_mad_u32_u24 v4, v6, 20, 0xffffffec
	v_mad_u32_u24 v1, v6, 20, -4
	ds_read2_b32 v[2:3], v4 offset0:2 offset1:3
	ds_read_u8 v1, v1
	ds_read2_b32 v[4:5], v4 offset1:1
	s_waitcnt lgkmcnt(2)
	buffer_store_dword v3, off, s[0:3], 0 offset:12
	buffer_store_dword v2, off, s[0:3], 0 offset:8
	s_waitcnt lgkmcnt(0)
	buffer_store_dword v5, off, s[0:3], 0 offset:4
	buffer_store_dword v4, off, s[0:3], 0
                                        ; implicit-def: $vgpr4
                                        ; implicit-def: $vgpr2
                                        ; implicit-def: $vgpr3
                                        ; implicit-def: $vgpr5
	s_waitcnt vmcnt(0)
	v_cmp_ne_u16_e64 s4, 0, v7
	s_and_saveexec_b32 s7, s4
	s_xor_b32 s4, exec_lo, s7
	s_cbranch_execz .LBB2083_154
; %bb.153:
	s_clause 0x3
	buffer_load_dword v2, off, s[0:3], 0 offset:176
	buffer_load_dword v3, off, s[0:3], 0 offset:180
	;; [unrolled: 1-line block ×4, first 2 shown]
.LBB2083_154:
	s_andn2_saveexec_b32 s4, s4
	s_cbranch_execz .LBB2083_160
; %bb.155:
	s_waitcnt vmcnt(3)
	v_mov_b32_e32 v2, 0
	s_mov_b32 s7, 0
.LBB2083_156:                           ; =>This Inner Loop Header: Depth=1
	s_waitcnt vmcnt(2)
	v_add_nc_u32_e64 v3, 0x60, s7
	s_add_i32 s7, s7, 4
	s_cmp_lg_u32 s7, 16
	buffer_store_dword v2, v3, s[0:3], 0 offen
	s_cbranch_scc1 .LBB2083_156
; %bb.157:
	s_mov_b32 s7, 0
	.p2align	6
.LBB2083_158:                           ; =>This Inner Loop Header: Depth=1
	v_mov_b32_e32 v2, s7
	v_add_nc_u32_e64 v3, 0xb0, s7
	s_waitcnt vmcnt(0)
	v_add_nc_u32_e64 v4, 0x60, s7
	s_add_i32 s7, s7, 4
	s_clause 0x1
	buffer_load_dword v2, v2, s[0:3], 0 offen
	buffer_load_dword v3, v3, s[0:3], 0 offen
	s_cmp_lg_u32 s7, 16
	s_waitcnt vmcnt(0)
	v_add_nc_u32_e32 v2, v3, v2
	buffer_store_dword v2, v4, s[0:3], 0 offen
	s_cbranch_scc1 .LBB2083_158
; %bb.159:
	s_clause 0x3
	buffer_load_dword v2, off, s[0:3], 0 offset:96
	buffer_load_dword v3, off, s[0:3], 0 offset:100
	;; [unrolled: 1-line block ×4, first 2 shown]
.LBB2083_160:
	s_or_b32 exec_lo, exec_lo, s4
	v_or_b32_e32 v6, v7, v1
	buffer_store_byte v6, off, s[0:3], 0 offset:192
.LBB2083_161:
	s_andn2_saveexec_b32 s4, s5
	s_cbranch_execz .LBB2083_163
; %bb.162:
	s_clause 0x3
	buffer_load_dword v2, off, s[0:3], 0 offset:176
	buffer_load_dword v3, off, s[0:3], 0 offset:180
	;; [unrolled: 1-line block ×4, first 2 shown]
	v_mov_b32_e32 v1, 0
.LBB2083_163:
	s_or_b32 exec_lo, exec_lo, s4
	buffer_load_dword v6, off, s[0:3], 0 offset:192
	v_sub_co_u32 v7, s7, v9, 1
	v_cmp_gt_i32_e64 s4, 0, v7
	v_cndmask_b32_e64 v7, v7, v9, s4
	v_lshlrev_b32_e32 v7, 2, v7
	s_waitcnt vmcnt(4)
	ds_bpermute_b32 v2, v7, v2
	s_waitcnt vmcnt(3)
	ds_bpermute_b32 v3, v7, v3
	;; [unrolled: 2-line block ×5, first 2 shown]
	s_waitcnt lgkmcnt(4)
	buffer_store_dword v2, off, s[0:3], 0 offset:176
	s_waitcnt lgkmcnt(3)
	buffer_store_dword v3, off, s[0:3], 0 offset:180
	;; [unrolled: 2-line block ×4, first 2 shown]
	s_waitcnt lgkmcnt(0)
	buffer_store_byte v6, off, s[0:3], 0 offset:192
	s_and_saveexec_b32 s4, s7
	s_cbranch_execz .LBB2083_165
; %bb.164:
	s_clause 0x3
	buffer_load_dword v2, off, s[0:3], 0 offset:12
	buffer_load_dword v3, off, s[0:3], 0 offset:8
	buffer_load_dword v4, off, s[0:3], 0 offset:4
	buffer_load_dword v5, off, s[0:3], 0
	s_waitcnt vmcnt(3)
	buffer_store_dword v2, off, s[0:3], 0 offset:188
	s_waitcnt vmcnt(2)
	buffer_store_dword v3, off, s[0:3], 0 offset:184
	;; [unrolled: 2-line block ×4, first 2 shown]
	buffer_store_byte v1, off, s[0:3], 0 offset:192
.LBB2083_165:
	s_or_b32 exec_lo, exec_lo, s4
	s_and_saveexec_b32 s5, vcc_lo
	s_cbranch_execz .LBB2083_287
; %bb.166:
	v_mov_b32_e32 v5, 0
	ds_read2_b32 v[1:2], v5 offset0:35 offset1:36
	ds_read2_b32 v[3:4], v5 offset0:37 offset1:38
	ds_read_b32 v10, v5 offset:156
	s_waitcnt lgkmcnt(2)
	buffer_store_dword v1, off, s[0:3], 0 offset:156
	buffer_store_dword v2, off, s[0:3], 0 offset:160
	s_waitcnt lgkmcnt(1)
	buffer_store_dword v3, off, s[0:3], 0 offset:164
	buffer_store_dword v4, off, s[0:3], 0 offset:168
	s_waitcnt lgkmcnt(0)
	buffer_store_dword v10, off, s[0:3], 0 offset:172
	s_and_saveexec_b32 s4, s7
	s_cbranch_execz .LBB2083_168
; %bb.167:
	s_add_i32 s9, s6, 32
	v_mov_b32_e32 v6, 1
	s_mul_i32 s8, s9, 20
	v_mov_b32_e32 v7, s9
	s_mul_hi_u32 s24, s9, 20
	s_add_u32 s8, s12, s8
	s_addc_u32 s9, s13, s24
	global_store_dwordx4 v5, v[1:4], s[8:9]
	global_store_byte v5, v10, s[8:9] offset:16
	s_waitcnt_vscnt null, 0x0
	buffer_gl1_inv
	buffer_gl0_inv
	global_store_byte v7, v6, s[16:17]
.LBB2083_168:
	s_or_b32 exec_lo, exec_lo, s4
	s_mov_b32 s4, 0
	buffer_store_dword v5, off, s[0:3], 0 offset:148
	buffer_store_dword v5, off, s[0:3], 0 offset:144
	;; [unrolled: 1-line block ×5, first 2 shown]
.LBB2083_169:                           ; =>This Inner Loop Header: Depth=1
	v_add_nc_u32_e64 v6, 0x88, s4
	s_add_i32 s4, s4, 4
	s_cmp_lg_u32 s4, 16
	buffer_store_dword v5, v6, s[0:3], 0 offen
	s_cbranch_scc1 .LBB2083_169
; %bb.170:
	v_mov_b32_e32 v5, 0
	s_mov_b32 s4, 0
	buffer_store_byte v5, off, s[0:3], 0 offset:152
	buffer_store_dword v5, off, s[0:3], 0 offset:108
	buffer_store_dword v5, off, s[0:3], 0 offset:104
	;; [unrolled: 1-line block ×5, first 2 shown]
.LBB2083_171:                           ; =>This Inner Loop Header: Depth=1
	v_add_nc_u32_e64 v6, 0x60, s4
	s_add_i32 s4, s4, 4
	s_cmp_lg_u32 s4, 16
	buffer_store_dword v5, v6, s[0:3], 0 offen
	s_cbranch_scc1 .LBB2083_171
; %bb.172:
	v_xad_u32 v11, v9, -1, s6
	v_mov_b32_e32 v5, 0
	s_mov_b32 s4, exec_lo
	v_add_nc_u32_e32 v7, 32, v11
	buffer_store_byte v5, off, s[0:3], 0 offset:112
	global_load_ubyte v12, v7, s[16:17] glc dlc
	s_waitcnt vmcnt(0)
	v_cmpx_eq_u16_e32 0, v12
	s_cbranch_execz .LBB2083_176
; %bb.173:
	v_add_co_u32 v5, s8, s16, v7
	v_add_co_ci_u32_e64 v6, null, s17, 0, s8
	s_mov_b32 s8, 0
.LBB2083_174:                           ; =>This Inner Loop Header: Depth=1
	global_load_ubyte v12, v[5:6], off glc dlc
	s_waitcnt vmcnt(0)
	v_cmp_ne_u16_e32 vcc_lo, 0, v12
	s_or_b32 s8, vcc_lo, s8
	s_andn2_b32 exec_lo, exec_lo, s8
	s_cbranch_execnz .LBB2083_174
; %bb.175:
	s_or_b32 exec_lo, exec_lo, s8
.LBB2083_176:
	s_or_b32 exec_lo, exec_lo, s4
	v_mov_b32_e32 v5, s13
	v_mov_b32_e32 v8, s12
	v_cmp_eq_u16_e32 vcc_lo, 1, v12
	s_waitcnt_vscnt null, 0x0
	buffer_gl1_inv
	buffer_gl0_inv
	s_mov_b32 s4, 0
	v_cndmask_b32_e32 v6, s15, v5, vcc_lo
	v_cndmask_b32_e32 v5, s14, v8, vcc_lo
	v_mad_u64_u32 v[13:14], null, v7, 20, v[5:6]
	s_clause 0x1
	global_load_dwordx4 v[5:8], v[13:14], off
	global_load_ubyte v14, v[13:14], off offset:16
	v_mov_b32_e32 v13, 0
	s_waitcnt vmcnt(1)
	buffer_store_dword v6, off, s[0:3], 0 offset:100
	buffer_store_dword v5, off, s[0:3], 0 offset:96
	;; [unrolled: 1-line block ×8, first 2 shown]
	s_waitcnt vmcnt(0)
	buffer_store_byte v14, off, s[0:3], 0 offset:152
	buffer_store_dword v13, off, s[0:3], 0 offset:16
.LBB2083_177:                           ; =>This Inner Loop Header: Depth=1
	v_mov_b32_e32 v14, s4
	s_add_i32 s4, s4, 4
	s_cmp_lg_u32 s4, 16
	buffer_store_dword v13, v14, s[0:3], 0 offen
	s_cbranch_scc1 .LBB2083_177
; %bb.178:
	buffer_load_dword v23, off, s[0:3], 0 offset:152
	v_cmp_ne_u32_e32 vcc_lo, 31, v9
	v_lshlrev_b32_e64 v14, v9, -1
	s_mov_b32 s4, exec_lo
	v_add_co_ci_u32_e64 v13, null, 0, v9, vcc_lo
	v_cmp_eq_u16_e32 vcc_lo, 2, v12
	v_lshlrev_b32_e32 v13, 2, v13
	v_and_or_b32 v20, vcc_lo, v14, 0x80000000
	ds_bpermute_b32 v16, v13, v5
	ds_bpermute_b32 v17, v13, v6
	;; [unrolled: 1-line block ×4, first 2 shown]
	v_ffbl_b32_e32 v24, v20
	s_waitcnt lgkmcnt(3)
	buffer_store_dword v16, off, s[0:3], 0
	s_waitcnt lgkmcnt(2)
	buffer_store_dword v17, off, s[0:3], 0 offset:4
	s_waitcnt lgkmcnt(1)
	buffer_store_dword v18, off, s[0:3], 0 offset:8
	s_waitcnt lgkmcnt(0)
	buffer_store_dword v19, off, s[0:3], 0 offset:12
	s_waitcnt vmcnt(0)
	ds_bpermute_b32 v15, v13, v23
	v_cmpx_lt_u32_e64 v9, v24
	s_cbranch_execz .LBB2083_186
; %bb.179:
	v_mov_b32_e32 v16, 0
	v_cmp_eq_u16_sdwa s9, v23, v16 src0_sel:BYTE_0 src1_sel:DWORD
	s_and_saveexec_b32 s8, s9
	s_cbranch_execz .LBB2083_185
; %bb.180:
	s_mov_b32 s9, 0
.LBB2083_181:                           ; =>This Inner Loop Header: Depth=1
	v_add_nc_u32_e64 v5, 0x74, s9
	s_add_i32 s9, s9, 4
	s_cmp_lg_u32 s9, 16
	buffer_store_dword v16, v5, s[0:3], 0 offen
	s_cbranch_scc1 .LBB2083_181
; %bb.182:
	s_mov_b32 s9, 0
	.p2align	6
.LBB2083_183:                           ; =>This Inner Loop Header: Depth=1
	v_mov_b32_e32 v5, s9
	v_add_nc_u32_e64 v6, 0x88, s9
	v_add_nc_u32_e64 v7, 0x74, s9
	s_add_i32 s9, s9, 4
	s_clause 0x1
	buffer_load_dword v5, v5, s[0:3], 0 offen
	buffer_load_dword v6, v6, s[0:3], 0 offen
	s_cmp_lg_u32 s9, 16
	s_waitcnt vmcnt(0)
	v_add_nc_u32_e32 v5, v6, v5
	buffer_store_dword v5, v7, s[0:3], 0 offen
	s_cbranch_scc1 .LBB2083_183
; %bb.184:
	s_clause 0x3
	buffer_load_dword v5, off, s[0:3], 0 offset:116
	buffer_load_dword v6, off, s[0:3], 0 offset:120
	;; [unrolled: 1-line block ×4, first 2 shown]
.LBB2083_185:
	s_or_b32 exec_lo, exec_lo, s8
	s_waitcnt lgkmcnt(0)
	v_or_b32_e32 v15, v15, v23
	v_and_b32_e32 v15, 1, v15
	buffer_store_byte v15, off, s[0:3], 0 offset:152
	buffer_load_dword v23, off, s[0:3], 0 offset:152
	s_waitcnt vmcnt(4)
	buffer_store_dword v5, off, s[0:3], 0 offset:136
	s_waitcnt vmcnt(3)
	buffer_store_dword v6, off, s[0:3], 0 offset:140
	;; [unrolled: 2-line block ×4, first 2 shown]
.LBB2083_186:
	s_or_b32 exec_lo, exec_lo, s4
	v_cmp_gt_u32_e32 vcc_lo, 30, v9
	v_add_nc_u32_e32 v16, 2, v9
	s_mov_b32 s8, exec_lo
	s_waitcnt lgkmcnt(0)
	v_cndmask_b32_e64 v15, 0, 2, vcc_lo
	v_add_lshl_u32 v15, v15, v9, 2
	ds_bpermute_b32 v18, v15, v5
	s_waitcnt vmcnt(0)
	ds_bpermute_b32 v17, v15, v23
	ds_bpermute_b32 v19, v15, v6
	;; [unrolled: 1-line block ×4, first 2 shown]
	s_waitcnt lgkmcnt(4)
	buffer_store_dword v18, off, s[0:3], 0
	s_waitcnt lgkmcnt(2)
	buffer_store_dword v19, off, s[0:3], 0 offset:4
	s_waitcnt lgkmcnt(1)
	buffer_store_dword v20, off, s[0:3], 0 offset:8
	;; [unrolled: 2-line block ×3, first 2 shown]
	v_cmpx_le_u32_e64 v16, v24
	s_cbranch_execz .LBB2083_194
; %bb.187:
	v_mov_b32_e32 v18, 0
	v_cmp_eq_u16_sdwa s9, v23, v18 src0_sel:BYTE_0 src1_sel:DWORD
	s_and_saveexec_b32 s4, s9
	s_cbranch_execz .LBB2083_193
; %bb.188:
	s_mov_b32 s9, 0
.LBB2083_189:                           ; =>This Inner Loop Header: Depth=1
	v_add_nc_u32_e64 v5, 0x74, s9
	s_add_i32 s9, s9, 4
	s_cmp_lg_u32 s9, 16
	buffer_store_dword v18, v5, s[0:3], 0 offen
	s_cbranch_scc1 .LBB2083_189
; %bb.190:
	s_mov_b32 s9, 0
	.p2align	6
.LBB2083_191:                           ; =>This Inner Loop Header: Depth=1
	v_mov_b32_e32 v5, s9
	v_add_nc_u32_e64 v6, 0x88, s9
	v_add_nc_u32_e64 v7, 0x74, s9
	s_add_i32 s9, s9, 4
	s_clause 0x1
	buffer_load_dword v5, v5, s[0:3], 0 offen
	buffer_load_dword v6, v6, s[0:3], 0 offen
	s_cmp_lg_u32 s9, 16
	s_waitcnt vmcnt(0)
	v_add_nc_u32_e32 v5, v6, v5
	buffer_store_dword v5, v7, s[0:3], 0 offen
	s_cbranch_scc1 .LBB2083_191
; %bb.192:
	s_clause 0x3
	buffer_load_dword v5, off, s[0:3], 0 offset:116
	buffer_load_dword v6, off, s[0:3], 0 offset:120
	;; [unrolled: 1-line block ×4, first 2 shown]
.LBB2083_193:
	s_or_b32 exec_lo, exec_lo, s4
	v_and_b32_e32 v18, 1, v23
	v_and_b32_e32 v17, 1, v17
	v_cmp_eq_u32_e32 vcc_lo, 1, v18
	v_cmp_eq_u32_e64 s4, 1, v17
	s_or_b32 s4, vcc_lo, s4
	v_cndmask_b32_e64 v17, 0, 1, s4
	buffer_store_byte v17, off, s[0:3], 0 offset:152
	buffer_load_dword v23, off, s[0:3], 0 offset:152
	s_waitcnt vmcnt(4)
	buffer_store_dword v5, off, s[0:3], 0 offset:136
	s_waitcnt vmcnt(3)
	buffer_store_dword v6, off, s[0:3], 0 offset:140
	;; [unrolled: 2-line block ×4, first 2 shown]
.LBB2083_194:
	s_or_b32 exec_lo, exec_lo, s8
	v_cmp_gt_u32_e32 vcc_lo, 28, v9
	v_add_nc_u32_e32 v18, 4, v9
	s_mov_b32 s8, exec_lo
	v_cndmask_b32_e64 v17, 0, 4, vcc_lo
	v_add_lshl_u32 v17, v17, v9, 2
	ds_bpermute_b32 v20, v17, v5
	s_waitcnt vmcnt(0)
	ds_bpermute_b32 v19, v17, v23
	ds_bpermute_b32 v21, v17, v6
	;; [unrolled: 1-line block ×4, first 2 shown]
	s_waitcnt lgkmcnt(4)
	buffer_store_dword v20, off, s[0:3], 0
	s_waitcnt lgkmcnt(2)
	buffer_store_dword v21, off, s[0:3], 0 offset:4
	s_waitcnt lgkmcnt(1)
	buffer_store_dword v22, off, s[0:3], 0 offset:8
	;; [unrolled: 2-line block ×3, first 2 shown]
	v_cmpx_le_u32_e64 v18, v24
	s_cbranch_execz .LBB2083_202
; %bb.195:
	v_mov_b32_e32 v20, 0
	v_cmp_eq_u16_sdwa s9, v23, v20 src0_sel:BYTE_0 src1_sel:DWORD
	s_and_saveexec_b32 s4, s9
	s_cbranch_execz .LBB2083_201
; %bb.196:
	s_mov_b32 s9, 0
.LBB2083_197:                           ; =>This Inner Loop Header: Depth=1
	v_add_nc_u32_e64 v5, 0x74, s9
	s_add_i32 s9, s9, 4
	s_cmp_lg_u32 s9, 16
	buffer_store_dword v20, v5, s[0:3], 0 offen
	s_cbranch_scc1 .LBB2083_197
; %bb.198:
	s_mov_b32 s9, 0
	.p2align	6
.LBB2083_199:                           ; =>This Inner Loop Header: Depth=1
	v_mov_b32_e32 v5, s9
	v_add_nc_u32_e64 v6, 0x88, s9
	v_add_nc_u32_e64 v7, 0x74, s9
	s_add_i32 s9, s9, 4
	s_clause 0x1
	buffer_load_dword v5, v5, s[0:3], 0 offen
	buffer_load_dword v6, v6, s[0:3], 0 offen
	s_cmp_lg_u32 s9, 16
	s_waitcnt vmcnt(0)
	v_add_nc_u32_e32 v5, v6, v5
	buffer_store_dword v5, v7, s[0:3], 0 offen
	s_cbranch_scc1 .LBB2083_199
; %bb.200:
	s_clause 0x3
	buffer_load_dword v5, off, s[0:3], 0 offset:116
	buffer_load_dword v6, off, s[0:3], 0 offset:120
	;; [unrolled: 1-line block ×4, first 2 shown]
.LBB2083_201:
	s_or_b32 exec_lo, exec_lo, s4
	v_and_b32_e32 v20, 1, v23
	v_and_b32_e32 v19, 1, v19
	v_cmp_eq_u32_e32 vcc_lo, 1, v20
	v_cmp_eq_u32_e64 s4, 1, v19
	s_or_b32 s4, vcc_lo, s4
	v_cndmask_b32_e64 v19, 0, 1, s4
	buffer_store_byte v19, off, s[0:3], 0 offset:152
	buffer_load_dword v23, off, s[0:3], 0 offset:152
	s_waitcnt vmcnt(4)
	buffer_store_dword v5, off, s[0:3], 0 offset:136
	s_waitcnt vmcnt(3)
	buffer_store_dword v6, off, s[0:3], 0 offset:140
	;; [unrolled: 2-line block ×4, first 2 shown]
.LBB2083_202:
	s_or_b32 exec_lo, exec_lo, s8
	v_cmp_gt_u32_e32 vcc_lo, 24, v9
	v_add_nc_u32_e32 v20, 8, v9
	s_mov_b32 s8, exec_lo
	v_cndmask_b32_e64 v19, 0, 8, vcc_lo
	v_add_lshl_u32 v19, v19, v9, 2
	ds_bpermute_b32 v22, v19, v5
	s_waitcnt vmcnt(0)
	ds_bpermute_b32 v21, v19, v23
	ds_bpermute_b32 v25, v19, v6
	;; [unrolled: 1-line block ×4, first 2 shown]
	s_waitcnt lgkmcnt(4)
	buffer_store_dword v22, off, s[0:3], 0
	s_waitcnt lgkmcnt(2)
	buffer_store_dword v25, off, s[0:3], 0 offset:4
	s_waitcnt lgkmcnt(1)
	buffer_store_dword v26, off, s[0:3], 0 offset:8
	s_waitcnt lgkmcnt(0)
	buffer_store_dword v27, off, s[0:3], 0 offset:12
	v_cmpx_le_u32_e64 v20, v24
	s_cbranch_execz .LBB2083_210
; %bb.203:
	v_mov_b32_e32 v22, 0
	v_cmp_eq_u16_sdwa s9, v23, v22 src0_sel:BYTE_0 src1_sel:DWORD
	s_and_saveexec_b32 s4, s9
	s_cbranch_execz .LBB2083_209
; %bb.204:
	s_mov_b32 s9, 0
.LBB2083_205:                           ; =>This Inner Loop Header: Depth=1
	v_add_nc_u32_e64 v5, 0x74, s9
	s_add_i32 s9, s9, 4
	s_cmp_lg_u32 s9, 16
	buffer_store_dword v22, v5, s[0:3], 0 offen
	s_cbranch_scc1 .LBB2083_205
; %bb.206:
	s_mov_b32 s9, 0
	.p2align	6
.LBB2083_207:                           ; =>This Inner Loop Header: Depth=1
	v_mov_b32_e32 v5, s9
	v_add_nc_u32_e64 v6, 0x88, s9
	v_add_nc_u32_e64 v7, 0x74, s9
	s_add_i32 s9, s9, 4
	s_clause 0x1
	buffer_load_dword v5, v5, s[0:3], 0 offen
	buffer_load_dword v6, v6, s[0:3], 0 offen
	s_cmp_lg_u32 s9, 16
	s_waitcnt vmcnt(0)
	v_add_nc_u32_e32 v5, v6, v5
	buffer_store_dword v5, v7, s[0:3], 0 offen
	s_cbranch_scc1 .LBB2083_207
; %bb.208:
	s_clause 0x3
	buffer_load_dword v5, off, s[0:3], 0 offset:116
	buffer_load_dword v6, off, s[0:3], 0 offset:120
	;; [unrolled: 1-line block ×4, first 2 shown]
.LBB2083_209:
	s_or_b32 exec_lo, exec_lo, s4
	v_and_b32_e32 v22, 1, v23
	v_and_b32_e32 v21, 1, v21
	v_cmp_eq_u32_e32 vcc_lo, 1, v22
	v_cmp_eq_u32_e64 s4, 1, v21
	s_or_b32 s4, vcc_lo, s4
	v_cndmask_b32_e64 v21, 0, 1, s4
	buffer_store_byte v21, off, s[0:3], 0 offset:152
	buffer_load_dword v23, off, s[0:3], 0 offset:152
	s_waitcnt vmcnt(4)
	buffer_store_dword v5, off, s[0:3], 0 offset:136
	s_waitcnt vmcnt(3)
	buffer_store_dword v6, off, s[0:3], 0 offset:140
	;; [unrolled: 2-line block ×4, first 2 shown]
.LBB2083_210:
	s_or_b32 exec_lo, exec_lo, s8
	v_lshl_or_b32 v21, v9, 2, 64
	v_add_nc_u32_e32 v22, 16, v9
	s_mov_b32 s8, exec_lo
	ds_bpermute_b32 v26, v21, v5
	s_waitcnt vmcnt(0)
	ds_bpermute_b32 v25, v21, v23
	ds_bpermute_b32 v27, v21, v6
	;; [unrolled: 1-line block ×4, first 2 shown]
	s_waitcnt lgkmcnt(4)
	buffer_store_dword v26, off, s[0:3], 0
	s_waitcnt lgkmcnt(2)
	buffer_store_dword v27, off, s[0:3], 0 offset:4
	s_waitcnt lgkmcnt(1)
	buffer_store_dword v28, off, s[0:3], 0 offset:8
	;; [unrolled: 2-line block ×3, first 2 shown]
	v_cmpx_le_u32_e64 v22, v24
	s_cbranch_execz .LBB2083_217
; %bb.211:
	v_mov_b32_e32 v24, 0
	s_mov_b32 s9, 0
	v_cmp_eq_u16_sdwa s24, v23, v24 src0_sel:BYTE_0 src1_sel:DWORD
	s_and_saveexec_b32 s4, s24
	s_cbranch_execz .LBB2083_216
.LBB2083_212:                           ; =>This Inner Loop Header: Depth=1
	v_add_nc_u32_e64 v5, 0x74, s9
	s_add_i32 s9, s9, 4
	s_cmp_lg_u32 s9, 16
	buffer_store_dword v24, v5, s[0:3], 0 offen
	s_cbranch_scc1 .LBB2083_212
; %bb.213:
	s_mov_b32 s9, 0
	.p2align	6
.LBB2083_214:                           ; =>This Inner Loop Header: Depth=1
	v_mov_b32_e32 v5, s9
	v_add_nc_u32_e64 v6, 0x88, s9
	v_add_nc_u32_e64 v7, 0x74, s9
	s_add_i32 s9, s9, 4
	s_clause 0x1
	buffer_load_dword v5, v5, s[0:3], 0 offen
	buffer_load_dword v6, v6, s[0:3], 0 offen
	s_cmp_lg_u32 s9, 16
	s_waitcnt vmcnt(0)
	v_add_nc_u32_e32 v5, v6, v5
	buffer_store_dword v5, v7, s[0:3], 0 offen
	s_cbranch_scc1 .LBB2083_214
; %bb.215:
	s_clause 0x3
	buffer_load_dword v5, off, s[0:3], 0 offset:116
	buffer_load_dword v6, off, s[0:3], 0 offset:120
	;; [unrolled: 1-line block ×4, first 2 shown]
.LBB2083_216:
	s_or_b32 exec_lo, exec_lo, s4
	v_and_b32_e32 v23, 1, v23
	v_and_b32_e32 v24, 1, v25
	v_cmp_eq_u32_e32 vcc_lo, 1, v23
	v_cmp_eq_u32_e64 s4, 1, v24
	s_or_b32 s4, vcc_lo, s4
	v_cndmask_b32_e64 v23, 0, 1, s4
	s_waitcnt vmcnt(3)
	buffer_store_dword v5, off, s[0:3], 0 offset:136
	s_waitcnt vmcnt(2)
	buffer_store_dword v6, off, s[0:3], 0 offset:140
	;; [unrolled: 2-line block ×4, first 2 shown]
	buffer_store_byte v23, off, s[0:3], 0 offset:152
.LBB2083_217:
	s_or_b32 exec_lo, exec_lo, s8
	s_clause 0x4
	buffer_load_dword v5, off, s[0:3], 0 offset:148
	buffer_load_dword v6, off, s[0:3], 0 offset:144
	;; [unrolled: 1-line block ×5, first 2 shown]
	v_mov_b32_e32 v23, 0
	v_mov_b32_e32 v24, 2
	s_waitcnt vmcnt(4)
	buffer_store_dword v5, off, s[0:3], 0 offset:128
	s_waitcnt vmcnt(3)
	buffer_store_dword v6, off, s[0:3], 0 offset:124
	s_waitcnt vmcnt(2)
	buffer_store_dword v7, off, s[0:3], 0 offset:120
	s_waitcnt vmcnt(1)
	buffer_store_dword v8, off, s[0:3], 0 offset:116
	s_waitcnt vmcnt(0)
	buffer_store_dword v25, off, s[0:3], 0 offset:132
	s_branch .LBB2083_221
.LBB2083_218:                           ;   in Loop: Header=BB2083_221 Depth=1
	s_clause 0x3
	buffer_load_dword v6, off, s[0:3], 0
	buffer_load_dword v8, off, s[0:3], 0 offset:4
	buffer_load_dword v25, off, s[0:3], 0 offset:8
	;; [unrolled: 1-line block ×3, first 2 shown]
.LBB2083_219:                           ;   in Loop: Header=BB2083_221 Depth=1
	s_or_b32 exec_lo, exec_lo, s8
	v_and_b32_e32 v5, 1, v5
	v_subrev_nc_u32_e32 v11, 32, v11
	s_waitcnt vmcnt(3)
	buffer_store_dword v6, off, s[0:3], 0 offset:116
	s_waitcnt vmcnt(2)
	buffer_store_dword v8, off, s[0:3], 0 offset:120
	s_waitcnt vmcnt(1)
	buffer_store_dword v25, off, s[0:3], 0 offset:124
	s_waitcnt vmcnt(0)
	buffer_store_dword v7, off, s[0:3], 0 offset:128
	v_cmp_eq_u32_e32 vcc_lo, 1, v5
	s_or_b32 s4, vcc_lo, s4
	v_cndmask_b32_e64 v5, 0, 1, s4
	s_mov_b32 s4, 0
	buffer_store_byte v5, off, s[0:3], 0 offset:132
.LBB2083_220:                           ;   in Loop: Header=BB2083_221 Depth=1
	s_and_b32 vcc_lo, exec_lo, s4
	s_cbranch_vccnz .LBB2083_278
.LBB2083_221:                           ; =>This Loop Header: Depth=1
                                        ;     Child Loop BB2083_223 Depth 2
                                        ;     Child Loop BB2083_226 Depth 2
	;; [unrolled: 1-line block ×15, first 2 shown]
	v_cmp_ne_u16_sdwa s4, v12, v24 src0_sel:BYTE_0 src1_sel:DWORD
                                        ; implicit-def: $vgpr12
	s_cmp_lg_u32 s4, exec_lo
	s_mov_b32 s4, -1
	s_cbranch_scc1 .LBB2083_220
; %bb.222:                              ;   in Loop: Header=BB2083_221 Depth=1
	s_mov_b32 s4, 0
	buffer_store_dword v23, off, s[0:3], 0 offset:108
	buffer_store_dword v23, off, s[0:3], 0 offset:104
	;; [unrolled: 1-line block ×5, first 2 shown]
.LBB2083_223:                           ;   Parent Loop BB2083_221 Depth=1
                                        ; =>  This Inner Loop Header: Depth=2
	v_add_nc_u32_e64 v5, 0x60, s4
	s_add_i32 s4, s4, 4
	s_cmp_lg_u32 s4, 16
	buffer_store_dword v23, v5, s[0:3], 0 offen
	s_cbranch_scc1 .LBB2083_223
; %bb.224:                              ;   in Loop: Header=BB2083_221 Depth=1
	buffer_store_byte v23, off, s[0:3], 0 offset:112
	global_load_ubyte v12, v11, s[16:17] glc dlc
	s_mov_b32 s4, exec_lo
	s_waitcnt vmcnt(0)
	v_cmpx_eq_u16_e32 0, v12
	s_cbranch_execz .LBB2083_228
; %bb.225:                              ;   in Loop: Header=BB2083_221 Depth=1
	v_add_co_u32 v5, s8, s16, v11
	v_add_co_ci_u32_e64 v6, null, s17, 0, s8
	s_mov_b32 s8, 0
.LBB2083_226:                           ;   Parent Loop BB2083_221 Depth=1
                                        ; =>  This Inner Loop Header: Depth=2
	global_load_ubyte v12, v[5:6], off glc dlc
	s_waitcnt vmcnt(0)
	v_cmp_ne_u16_e32 vcc_lo, 0, v12
	s_or_b32 s8, vcc_lo, s8
	s_andn2_b32 exec_lo, exec_lo, s8
	s_cbranch_execnz .LBB2083_226
; %bb.227:                              ;   in Loop: Header=BB2083_221 Depth=1
	s_or_b32 exec_lo, exec_lo, s8
.LBB2083_228:                           ;   in Loop: Header=BB2083_221 Depth=1
	s_or_b32 exec_lo, exec_lo, s4
	v_mov_b32_e32 v5, s13
	v_mov_b32_e32 v7, s12
	v_cmp_eq_u16_e32 vcc_lo, 1, v12
	s_waitcnt_vscnt null, 0x0
	buffer_gl1_inv
	buffer_gl0_inv
	s_mov_b32 s4, 0
	v_cndmask_b32_e32 v6, s15, v5, vcc_lo
	v_cndmask_b32_e32 v5, s14, v7, vcc_lo
	v_mad_u64_u32 v[25:26], null, v11, 20, v[5:6]
	s_clause 0x1
	global_load_dwordx4 v[5:8], v[25:26], off
	global_load_ubyte v25, v[25:26], off offset:16
	s_waitcnt vmcnt(1)
	buffer_store_dword v6, off, s[0:3], 0 offset:100
	buffer_store_dword v5, off, s[0:3], 0 offset:96
	;; [unrolled: 1-line block ×8, first 2 shown]
	s_waitcnt vmcnt(0)
	buffer_store_byte v25, off, s[0:3], 0 offset:152
	buffer_store_dword v23, off, s[0:3], 0 offset:16
.LBB2083_229:                           ;   Parent Loop BB2083_221 Depth=1
                                        ; =>  This Inner Loop Header: Depth=2
	v_mov_b32_e32 v25, s4
	s_add_i32 s4, s4, 4
	s_cmp_lg_u32 s4, 16
	buffer_store_dword v23, v25, s[0:3], 0 offen
	s_cbranch_scc1 .LBB2083_229
; %bb.230:                              ;   in Loop: Header=BB2083_221 Depth=1
	buffer_load_dword v26, off, s[0:3], 0 offset:152
	ds_bpermute_b32 v28, v13, v5
	ds_bpermute_b32 v29, v13, v6
	;; [unrolled: 1-line block ×4, first 2 shown]
	v_cmp_eq_u16_e32 vcc_lo, 2, v12
	s_mov_b32 s4, exec_lo
	s_waitcnt lgkmcnt(3)
	buffer_store_dword v28, off, s[0:3], 0
	s_waitcnt lgkmcnt(2)
	buffer_store_dword v29, off, s[0:3], 0 offset:4
	s_waitcnt lgkmcnt(1)
	buffer_store_dword v30, off, s[0:3], 0 offset:8
	;; [unrolled: 2-line block ×3, first 2 shown]
	v_and_or_b32 v25, vcc_lo, v14, 0x80000000
	v_ffbl_b32_e32 v25, v25
	s_waitcnt vmcnt(0)
	ds_bpermute_b32 v27, v13, v26
	v_cmpx_lt_u32_e64 v9, v25
	s_cbranch_execz .LBB2083_238
; %bb.231:                              ;   in Loop: Header=BB2083_221 Depth=1
	v_cmp_eq_u16_sdwa s9, v26, v23 src0_sel:BYTE_0 src1_sel:DWORD
	s_and_saveexec_b32 s8, s9
	s_cbranch_execz .LBB2083_237
; %bb.232:                              ;   in Loop: Header=BB2083_221 Depth=1
	s_mov_b32 s9, 0
.LBB2083_233:                           ;   Parent Loop BB2083_221 Depth=1
                                        ; =>  This Inner Loop Header: Depth=2
	v_add_nc_u32_e64 v5, 0x50, s9
	s_add_i32 s9, s9, 4
	s_cmp_lg_u32 s9, 16
	buffer_store_dword v23, v5, s[0:3], 0 offen
	s_cbranch_scc1 .LBB2083_233
; %bb.234:                              ;   in Loop: Header=BB2083_221 Depth=1
	s_mov_b32 s9, 0
	.p2align	6
.LBB2083_235:                           ;   Parent Loop BB2083_221 Depth=1
                                        ; =>  This Inner Loop Header: Depth=2
	v_mov_b32_e32 v5, s9
	v_add_nc_u32_e64 v6, 0x88, s9
	v_add_nc_u32_e64 v7, 0x50, s9
	s_add_i32 s9, s9, 4
	s_clause 0x1
	buffer_load_dword v5, v5, s[0:3], 0 offen
	buffer_load_dword v6, v6, s[0:3], 0 offen
	s_cmp_lg_u32 s9, 16
	s_waitcnt vmcnt(0)
	v_add_nc_u32_e32 v5, v6, v5
	buffer_store_dword v5, v7, s[0:3], 0 offen
	s_cbranch_scc1 .LBB2083_235
; %bb.236:                              ;   in Loop: Header=BB2083_221 Depth=1
	s_clause 0x3
	buffer_load_dword v5, off, s[0:3], 0 offset:80
	buffer_load_dword v6, off, s[0:3], 0 offset:84
	;; [unrolled: 1-line block ×4, first 2 shown]
.LBB2083_237:                           ;   in Loop: Header=BB2083_221 Depth=1
	s_or_b32 exec_lo, exec_lo, s8
	s_waitcnt lgkmcnt(0)
	v_or_b32_e32 v26, v27, v26
	v_and_b32_e32 v26, 1, v26
	buffer_store_byte v26, off, s[0:3], 0 offset:152
	buffer_load_dword v26, off, s[0:3], 0 offset:152
	s_waitcnt vmcnt(4)
	buffer_store_dword v5, off, s[0:3], 0 offset:136
	s_waitcnt vmcnt(3)
	buffer_store_dword v6, off, s[0:3], 0 offset:140
	;; [unrolled: 2-line block ×4, first 2 shown]
.LBB2083_238:                           ;   in Loop: Header=BB2083_221 Depth=1
	s_or_b32 exec_lo, exec_lo, s4
	ds_bpermute_b32 v28, v15, v5
	s_waitcnt vmcnt(0) lgkmcnt(1)
	ds_bpermute_b32 v27, v15, v26
	ds_bpermute_b32 v29, v15, v6
	;; [unrolled: 1-line block ×4, first 2 shown]
	s_mov_b32 s8, exec_lo
	s_waitcnt lgkmcnt(4)
	buffer_store_dword v28, off, s[0:3], 0
	s_waitcnt lgkmcnt(2)
	buffer_store_dword v29, off, s[0:3], 0 offset:4
	s_waitcnt lgkmcnt(1)
	buffer_store_dword v30, off, s[0:3], 0 offset:8
	;; [unrolled: 2-line block ×3, first 2 shown]
	v_cmpx_le_u32_e64 v16, v25
	s_cbranch_execz .LBB2083_246
; %bb.239:                              ;   in Loop: Header=BB2083_221 Depth=1
	v_cmp_eq_u16_sdwa s9, v26, v23 src0_sel:BYTE_0 src1_sel:DWORD
	s_and_saveexec_b32 s4, s9
	s_cbranch_execz .LBB2083_245
; %bb.240:                              ;   in Loop: Header=BB2083_221 Depth=1
	s_mov_b32 s9, 0
.LBB2083_241:                           ;   Parent Loop BB2083_221 Depth=1
                                        ; =>  This Inner Loop Header: Depth=2
	v_add_nc_u32_e64 v5, 0x50, s9
	s_add_i32 s9, s9, 4
	s_cmp_lg_u32 s9, 16
	buffer_store_dword v23, v5, s[0:3], 0 offen
	s_cbranch_scc1 .LBB2083_241
; %bb.242:                              ;   in Loop: Header=BB2083_221 Depth=1
	s_mov_b32 s9, 0
	.p2align	6
.LBB2083_243:                           ;   Parent Loop BB2083_221 Depth=1
                                        ; =>  This Inner Loop Header: Depth=2
	v_mov_b32_e32 v5, s9
	v_add_nc_u32_e64 v6, 0x88, s9
	v_add_nc_u32_e64 v7, 0x50, s9
	s_add_i32 s9, s9, 4
	s_clause 0x1
	buffer_load_dword v5, v5, s[0:3], 0 offen
	buffer_load_dword v6, v6, s[0:3], 0 offen
	s_cmp_lg_u32 s9, 16
	s_waitcnt vmcnt(0)
	v_add_nc_u32_e32 v5, v6, v5
	buffer_store_dword v5, v7, s[0:3], 0 offen
	s_cbranch_scc1 .LBB2083_243
; %bb.244:                              ;   in Loop: Header=BB2083_221 Depth=1
	s_clause 0x3
	buffer_load_dword v5, off, s[0:3], 0 offset:80
	buffer_load_dword v6, off, s[0:3], 0 offset:84
	;; [unrolled: 1-line block ×4, first 2 shown]
.LBB2083_245:                           ;   in Loop: Header=BB2083_221 Depth=1
	s_or_b32 exec_lo, exec_lo, s4
	v_and_b32_e32 v26, 1, v26
	v_and_b32_e32 v27, 1, v27
	v_cmp_eq_u32_e32 vcc_lo, 1, v26
	v_cmp_eq_u32_e64 s4, 1, v27
	s_or_b32 s4, vcc_lo, s4
	v_cndmask_b32_e64 v26, 0, 1, s4
	buffer_store_byte v26, off, s[0:3], 0 offset:152
	buffer_load_dword v26, off, s[0:3], 0 offset:152
	s_waitcnt vmcnt(4)
	buffer_store_dword v5, off, s[0:3], 0 offset:136
	s_waitcnt vmcnt(3)
	buffer_store_dword v6, off, s[0:3], 0 offset:140
	;; [unrolled: 2-line block ×4, first 2 shown]
.LBB2083_246:                           ;   in Loop: Header=BB2083_221 Depth=1
	s_or_b32 exec_lo, exec_lo, s8
	ds_bpermute_b32 v28, v17, v5
	s_waitcnt vmcnt(0)
	ds_bpermute_b32 v27, v17, v26
	ds_bpermute_b32 v29, v17, v6
	;; [unrolled: 1-line block ×4, first 2 shown]
	s_mov_b32 s8, exec_lo
	s_waitcnt lgkmcnt(4)
	buffer_store_dword v28, off, s[0:3], 0
	s_waitcnt lgkmcnt(2)
	buffer_store_dword v29, off, s[0:3], 0 offset:4
	s_waitcnt lgkmcnt(1)
	buffer_store_dword v30, off, s[0:3], 0 offset:8
	;; [unrolled: 2-line block ×3, first 2 shown]
	v_cmpx_le_u32_e64 v18, v25
	s_cbranch_execz .LBB2083_254
; %bb.247:                              ;   in Loop: Header=BB2083_221 Depth=1
	v_cmp_eq_u16_sdwa s9, v26, v23 src0_sel:BYTE_0 src1_sel:DWORD
	s_and_saveexec_b32 s4, s9
	s_cbranch_execz .LBB2083_253
; %bb.248:                              ;   in Loop: Header=BB2083_221 Depth=1
	s_mov_b32 s9, 0
.LBB2083_249:                           ;   Parent Loop BB2083_221 Depth=1
                                        ; =>  This Inner Loop Header: Depth=2
	v_add_nc_u32_e64 v5, 0x50, s9
	s_add_i32 s9, s9, 4
	s_cmp_lg_u32 s9, 16
	buffer_store_dword v23, v5, s[0:3], 0 offen
	s_cbranch_scc1 .LBB2083_249
; %bb.250:                              ;   in Loop: Header=BB2083_221 Depth=1
	s_mov_b32 s9, 0
	.p2align	6
.LBB2083_251:                           ;   Parent Loop BB2083_221 Depth=1
                                        ; =>  This Inner Loop Header: Depth=2
	v_mov_b32_e32 v5, s9
	v_add_nc_u32_e64 v6, 0x88, s9
	v_add_nc_u32_e64 v7, 0x50, s9
	s_add_i32 s9, s9, 4
	s_clause 0x1
	buffer_load_dword v5, v5, s[0:3], 0 offen
	buffer_load_dword v6, v6, s[0:3], 0 offen
	s_cmp_lg_u32 s9, 16
	s_waitcnt vmcnt(0)
	v_add_nc_u32_e32 v5, v6, v5
	buffer_store_dword v5, v7, s[0:3], 0 offen
	s_cbranch_scc1 .LBB2083_251
; %bb.252:                              ;   in Loop: Header=BB2083_221 Depth=1
	s_clause 0x3
	buffer_load_dword v5, off, s[0:3], 0 offset:80
	buffer_load_dword v6, off, s[0:3], 0 offset:84
	;; [unrolled: 1-line block ×4, first 2 shown]
.LBB2083_253:                           ;   in Loop: Header=BB2083_221 Depth=1
	s_or_b32 exec_lo, exec_lo, s4
	v_and_b32_e32 v26, 1, v26
	v_and_b32_e32 v27, 1, v27
	v_cmp_eq_u32_e32 vcc_lo, 1, v26
	v_cmp_eq_u32_e64 s4, 1, v27
	s_or_b32 s4, vcc_lo, s4
	v_cndmask_b32_e64 v26, 0, 1, s4
	buffer_store_byte v26, off, s[0:3], 0 offset:152
	buffer_load_dword v26, off, s[0:3], 0 offset:152
	s_waitcnt vmcnt(4)
	buffer_store_dword v5, off, s[0:3], 0 offset:136
	s_waitcnt vmcnt(3)
	buffer_store_dword v6, off, s[0:3], 0 offset:140
	;; [unrolled: 2-line block ×4, first 2 shown]
.LBB2083_254:                           ;   in Loop: Header=BB2083_221 Depth=1
	s_or_b32 exec_lo, exec_lo, s8
	ds_bpermute_b32 v28, v19, v5
	s_waitcnt vmcnt(0)
	ds_bpermute_b32 v27, v19, v26
	ds_bpermute_b32 v29, v19, v6
	;; [unrolled: 1-line block ×4, first 2 shown]
	s_mov_b32 s8, exec_lo
	s_waitcnt lgkmcnt(4)
	buffer_store_dword v28, off, s[0:3], 0
	s_waitcnt lgkmcnt(2)
	buffer_store_dword v29, off, s[0:3], 0 offset:4
	s_waitcnt lgkmcnt(1)
	buffer_store_dword v30, off, s[0:3], 0 offset:8
	;; [unrolled: 2-line block ×3, first 2 shown]
	v_cmpx_le_u32_e64 v20, v25
	s_cbranch_execz .LBB2083_262
; %bb.255:                              ;   in Loop: Header=BB2083_221 Depth=1
	v_cmp_eq_u16_sdwa s9, v26, v23 src0_sel:BYTE_0 src1_sel:DWORD
	s_and_saveexec_b32 s4, s9
	s_cbranch_execz .LBB2083_261
; %bb.256:                              ;   in Loop: Header=BB2083_221 Depth=1
	s_mov_b32 s9, 0
.LBB2083_257:                           ;   Parent Loop BB2083_221 Depth=1
                                        ; =>  This Inner Loop Header: Depth=2
	v_add_nc_u32_e64 v5, 0x50, s9
	s_add_i32 s9, s9, 4
	s_cmp_lg_u32 s9, 16
	buffer_store_dword v23, v5, s[0:3], 0 offen
	s_cbranch_scc1 .LBB2083_257
; %bb.258:                              ;   in Loop: Header=BB2083_221 Depth=1
	s_mov_b32 s9, 0
	.p2align	6
.LBB2083_259:                           ;   Parent Loop BB2083_221 Depth=1
                                        ; =>  This Inner Loop Header: Depth=2
	v_mov_b32_e32 v5, s9
	v_add_nc_u32_e64 v6, 0x88, s9
	v_add_nc_u32_e64 v7, 0x50, s9
	s_add_i32 s9, s9, 4
	s_clause 0x1
	buffer_load_dword v5, v5, s[0:3], 0 offen
	buffer_load_dword v6, v6, s[0:3], 0 offen
	s_cmp_lg_u32 s9, 16
	s_waitcnt vmcnt(0)
	v_add_nc_u32_e32 v5, v6, v5
	buffer_store_dword v5, v7, s[0:3], 0 offen
	s_cbranch_scc1 .LBB2083_259
; %bb.260:                              ;   in Loop: Header=BB2083_221 Depth=1
	s_clause 0x3
	buffer_load_dword v5, off, s[0:3], 0 offset:80
	buffer_load_dword v6, off, s[0:3], 0 offset:84
	;; [unrolled: 1-line block ×4, first 2 shown]
.LBB2083_261:                           ;   in Loop: Header=BB2083_221 Depth=1
	s_or_b32 exec_lo, exec_lo, s4
	v_and_b32_e32 v26, 1, v26
	v_and_b32_e32 v27, 1, v27
	v_cmp_eq_u32_e32 vcc_lo, 1, v26
	v_cmp_eq_u32_e64 s4, 1, v27
	s_or_b32 s4, vcc_lo, s4
	v_cndmask_b32_e64 v26, 0, 1, s4
	buffer_store_byte v26, off, s[0:3], 0 offset:152
	buffer_load_dword v26, off, s[0:3], 0 offset:152
	s_waitcnt vmcnt(4)
	buffer_store_dword v5, off, s[0:3], 0 offset:136
	s_waitcnt vmcnt(3)
	buffer_store_dword v6, off, s[0:3], 0 offset:140
	;; [unrolled: 2-line block ×4, first 2 shown]
.LBB2083_262:                           ;   in Loop: Header=BB2083_221 Depth=1
	s_or_b32 exec_lo, exec_lo, s8
	ds_bpermute_b32 v28, v21, v5
	s_waitcnt vmcnt(0)
	ds_bpermute_b32 v27, v21, v26
	ds_bpermute_b32 v29, v21, v6
	;; [unrolled: 1-line block ×4, first 2 shown]
	v_and_b32_e32 v32, 1, v26
	s_mov_b32 s8, exec_lo
	s_waitcnt lgkmcnt(4)
	buffer_store_dword v28, off, s[0:3], 0
	s_waitcnt lgkmcnt(2)
	buffer_store_dword v29, off, s[0:3], 0 offset:4
	s_waitcnt lgkmcnt(1)
	buffer_store_dword v30, off, s[0:3], 0 offset:8
	;; [unrolled: 2-line block ×3, first 2 shown]
	v_cmp_eq_u32_e64 s4, 1, v32
	v_cmpx_le_u32_e64 v22, v25
	s_cbranch_execz .LBB2083_270
; %bb.263:                              ;   in Loop: Header=BB2083_221 Depth=1
	v_cmp_eq_u16_sdwa s24, v26, v23 src0_sel:BYTE_0 src1_sel:DWORD
	s_and_saveexec_b32 s9, s24
	s_cbranch_execz .LBB2083_269
; %bb.264:                              ;   in Loop: Header=BB2083_221 Depth=1
	s_mov_b32 s24, 0
.LBB2083_265:                           ;   Parent Loop BB2083_221 Depth=1
                                        ; =>  This Inner Loop Header: Depth=2
	v_add_nc_u32_e64 v5, 0x50, s24
	s_add_i32 s24, s24, 4
	s_cmp_lg_u32 s24, 16
	buffer_store_dword v23, v5, s[0:3], 0 offen
	s_cbranch_scc1 .LBB2083_265
; %bb.266:                              ;   in Loop: Header=BB2083_221 Depth=1
	s_mov_b32 s24, 0
	.p2align	6
.LBB2083_267:                           ;   Parent Loop BB2083_221 Depth=1
                                        ; =>  This Inner Loop Header: Depth=2
	v_mov_b32_e32 v5, s24
	v_add_nc_u32_e64 v6, 0x88, s24
	v_add_nc_u32_e64 v7, 0x50, s24
	s_add_i32 s24, s24, 4
	s_clause 0x1
	buffer_load_dword v5, v5, s[0:3], 0 offen
	buffer_load_dword v6, v6, s[0:3], 0 offen
	s_cmp_lg_u32 s24, 16
	s_waitcnt vmcnt(0)
	v_add_nc_u32_e32 v5, v6, v5
	buffer_store_dword v5, v7, s[0:3], 0 offen
	s_cbranch_scc1 .LBB2083_267
; %bb.268:                              ;   in Loop: Header=BB2083_221 Depth=1
	s_clause 0x3
	buffer_load_dword v5, off, s[0:3], 0 offset:80
	buffer_load_dword v6, off, s[0:3], 0 offset:84
	;; [unrolled: 1-line block ×4, first 2 shown]
.LBB2083_269:                           ;   in Loop: Header=BB2083_221 Depth=1
	s_or_b32 exec_lo, exec_lo, s9
	v_and_b32_e32 v25, 1, v27
	s_waitcnt vmcnt(3)
	buffer_store_dword v5, off, s[0:3], 0 offset:136
	s_waitcnt vmcnt(2)
	buffer_store_dword v6, off, s[0:3], 0 offset:140
	s_waitcnt vmcnt(1)
	buffer_store_dword v7, off, s[0:3], 0 offset:144
	s_waitcnt vmcnt(0)
	buffer_store_dword v8, off, s[0:3], 0 offset:148
	v_cmp_eq_u32_e32 vcc_lo, 1, v25
	s_or_b32 s9, s4, vcc_lo
	s_andn2_b32 s4, s4, exec_lo
	v_cndmask_b32_e64 v5, 0, 1, s9
	s_and_b32 s9, s9, exec_lo
	s_or_b32 s4, s4, s9
	buffer_store_byte v5, off, s[0:3], 0 offset:152
.LBB2083_270:                           ;   in Loop: Header=BB2083_221 Depth=1
	s_or_b32 exec_lo, exec_lo, s8
	buffer_load_ubyte v5, off, s[0:3], 0 offset:132
	s_mov_b32 s8, exec_lo
                                        ; implicit-def: $vgpr7
                                        ; implicit-def: $vgpr6
                                        ; implicit-def: $vgpr8
                                        ; implicit-def: $vgpr25
	s_waitcnt vmcnt(0)
	v_cmpx_ne_u16_e32 0, v5
	s_xor_b32 s8, exec_lo, s8
	s_cbranch_execz .LBB2083_272
; %bb.271:                              ;   in Loop: Header=BB2083_221 Depth=1
	s_clause 0x3
	buffer_load_dword v6, off, s[0:3], 0 offset:116
	buffer_load_dword v8, off, s[0:3], 0 offset:120
	buffer_load_dword v25, off, s[0:3], 0 offset:124
	buffer_load_dword v7, off, s[0:3], 0 offset:128
.LBB2083_272:                           ;   in Loop: Header=BB2083_221 Depth=1
	s_andn2_saveexec_b32 s8, s8
	s_cbranch_execz .LBB2083_219
; %bb.273:                              ;   in Loop: Header=BB2083_221 Depth=1
	s_mov_b32 s9, 0
.LBB2083_274:                           ;   Parent Loop BB2083_221 Depth=1
                                        ; =>  This Inner Loop Header: Depth=2
	s_waitcnt vmcnt(3)
	v_mov_b32_e32 v6, s9
	s_add_i32 s9, s9, 4
	s_cmp_lg_u32 s9, 16
	buffer_store_dword v23, v6, s[0:3], 0 offen
	s_cbranch_scc1 .LBB2083_274
; %bb.275:                              ;   in Loop: Header=BB2083_221 Depth=1
	s_mov_b32 s9, 0
	.p2align	6
.LBB2083_276:                           ;   Parent Loop BB2083_221 Depth=1
                                        ; =>  This Inner Loop Header: Depth=2
	v_add_nc_u32_e64 v6, 0x88, s9
	s_waitcnt vmcnt(0)
	v_add_nc_u32_e64 v7, 0x74, s9
	v_mov_b32_e32 v8, s9
	s_add_i32 s9, s9, 4
	s_clause 0x1
	buffer_load_dword v6, v6, s[0:3], 0 offen
	buffer_load_dword v7, v7, s[0:3], 0 offen
	s_cmp_lg_u32 s9, 16
	s_waitcnt vmcnt(0)
	v_add_nc_u32_e32 v6, v7, v6
	buffer_store_dword v6, v8, s[0:3], 0 offen
	s_cbranch_scc1 .LBB2083_276
	s_branch .LBB2083_218
.LBB2083_277:
	s_cbranch_execnz .LBB2083_332
	s_branch .LBB2083_499
.LBB2083_278:
	s_clause 0x4
	buffer_load_dword v5, off, s[0:3], 0 offset:116
	buffer_load_dword v6, off, s[0:3], 0 offset:120
	;; [unrolled: 1-line block ×5, first 2 shown]
	s_waitcnt vmcnt(4)
	buffer_store_dword v5, off, s[0:3], 0
	s_waitcnt vmcnt(3)
	buffer_store_dword v6, off, s[0:3], 0 offset:4
	s_waitcnt vmcnt(2)
	buffer_store_dword v7, off, s[0:3], 0 offset:8
	;; [unrolled: 2-line block ×4, first 2 shown]
	s_and_saveexec_b32 s4, s7
	s_cbranch_execz .LBB2083_285
; %bb.279:
	v_mov_b32_e32 v11, 0
	v_cmp_ne_u32_sdwa s7, v10, v11 src0_sel:BYTE_0 src1_sel:DWORD
	s_and_b32 vcc_lo, exec_lo, s7
	s_mov_b32 s7, 0
	s_cbranch_vccnz .LBB2083_284
.LBB2083_280:                           ; =>This Inner Loop Header: Depth=1
	v_add_nc_u32_e64 v1, 0x60, s7
	s_add_i32 s7, s7, 4
	s_cmp_lg_u32 s7, 16
	buffer_store_dword v11, v1, s[0:3], 0 offen
	s_cbranch_scc1 .LBB2083_280
; %bb.281:
	s_mov_b32 s7, 0
	.p2align	6
.LBB2083_282:                           ; =>This Inner Loop Header: Depth=1
	v_mov_b32_e32 v1, s7
	v_add_nc_u32_e64 v2, 0x9c, s7
	v_add_nc_u32_e64 v3, 0x60, s7
	s_add_i32 s7, s7, 4
	s_clause 0x1
	buffer_load_dword v1, v1, s[0:3], 0 offen
	buffer_load_dword v2, v2, s[0:3], 0 offen
	s_cmp_lg_u32 s7, 16
	s_waitcnt vmcnt(0)
	v_add_nc_u32_e32 v1, v2, v1
	buffer_store_dword v1, v3, s[0:3], 0 offen
	s_cbranch_scc1 .LBB2083_282
; %bb.283:
	s_clause 0x3
	buffer_load_dword v1, off, s[0:3], 0 offset:96
	buffer_load_dword v2, off, s[0:3], 0 offset:100
	;; [unrolled: 1-line block ×4, first 2 shown]
.LBB2083_284:
	v_or_b32_e32 v10, v10, v9
	s_add_i32 s8, s6, 32
	v_mov_b32_e32 v11, 0
	s_mul_i32 s6, s8, 20
	v_mov_b32_e32 v12, 2
	v_mov_b32_e32 v13, s8
	s_mul_hi_u32 s7, s8, 20
	v_and_b32_e32 v10, 1, v10
	s_add_u32 s6, s14, s6
	s_addc_u32 s7, s15, s7
	s_waitcnt vmcnt(0)
	global_store_dwordx4 v11, v[1:4], s[6:7]
	global_store_byte v11, v10, s[6:7] offset:16
	s_waitcnt_vscnt null, 0x0
	buffer_gl1_inv
	buffer_gl0_inv
	global_store_byte v13, v12, s[16:17]
.LBB2083_285:
	s_or_b32 exec_lo, exec_lo, s4
	v_cmp_eq_u32_e32 vcc_lo, 0, v0
	s_and_b32 exec_lo, exec_lo, vcc_lo
	s_cbranch_execz .LBB2083_287
; %bb.286:
	v_mov_b32_e32 v1, 0
	ds_write2_b32 v1, v5, v6 offset0:35 offset1:36
	ds_write2_b32 v1, v7, v8 offset0:37 offset1:38
	ds_write_b8 v1, v9 offset:156
.LBB2083_287:
	s_or_b32 exec_lo, exec_lo, s5
	s_waitcnt lgkmcnt(0)
	s_waitcnt_vscnt null, 0x0
	s_barrier
	buffer_gl0_inv
	s_clause 0x4
	buffer_load_dword v1, off, s[0:3], 0 offset:220
	buffer_load_dword v7, off, s[0:3], 0 offset:216
	;; [unrolled: 1-line block ×5, first 2 shown]
	v_mov_b32_e32 v2, 0
	ds_read2_b32 v[3:4], v2 offset0:35 offset1:36
	ds_read2_b32 v[5:6], v2 offset0:37 offset1:38
	ds_read_b32 v2, v2 offset:156
	s_mov_b32 s4, exec_lo
	s_waitcnt lgkmcnt(2)
	buffer_store_dword v3, off, s[0:3], 0
	buffer_store_dword v4, off, s[0:3], 0 offset:4
	s_waitcnt lgkmcnt(1)
	buffer_store_dword v5, off, s[0:3], 0 offset:8
	buffer_store_dword v6, off, s[0:3], 0 offset:12
	s_waitcnt lgkmcnt(0)
	buffer_store_dword v2, off, s[0:3], 0 offset:16
	buffer_store_dword v6, off, s[0:3], 0 offset:128
	;; [unrolled: 1-line block ×5, first 2 shown]
	s_waitcnt vmcnt(4)
	buffer_store_dword v1, off, s[0:3], 0 offset:108
	s_waitcnt vmcnt(3)
	buffer_store_dword v7, off, s[0:3], 0 offset:104
	;; [unrolled: 2-line block ×5, first 2 shown]
	buffer_store_dword v2, off, s[0:3], 0 offset:132
                                        ; implicit-def: $vgpr1
	v_cmpx_ne_u32_e32 0, v0
	s_xor_b32 s4, exec_lo, s4
	s_cbranch_execz .LBB2083_297
; %bb.288:
	buffer_load_ubyte v1, off, s[0:3], 0 offset:192
	s_mov_b32 s5, exec_lo
                                        ; implicit-def: $vgpr4
                                        ; implicit-def: $vgpr3
                                        ; implicit-def: $vgpr5
                                        ; implicit-def: $vgpr6
	s_waitcnt vmcnt(0)
	v_cmpx_ne_u16_e32 0, v1
	s_xor_b32 s5, exec_lo, s5
	s_cbranch_execz .LBB2083_290
; %bb.289:
	s_clause 0x3
	buffer_load_dword v3, off, s[0:3], 0 offset:176
	buffer_load_dword v5, off, s[0:3], 0 offset:180
	;; [unrolled: 1-line block ×4, first 2 shown]
.LBB2083_290:
	s_andn2_saveexec_b32 s5, s5
	s_cbranch_execz .LBB2083_296
; %bb.291:
	s_waitcnt vmcnt(3)
	v_mov_b32_e32 v3, 0
	s_mov_b32 s6, 0
.LBB2083_292:                           ; =>This Inner Loop Header: Depth=1
	s_waitcnt vmcnt(0)
	v_add_nc_u32_e64 v4, 0x88, s6
	s_add_i32 s6, s6, 4
	s_cmp_lg_u32 s6, 16
	buffer_store_dword v3, v4, s[0:3], 0 offen
	s_cbranch_scc1 .LBB2083_292
; %bb.293:
	s_mov_b32 s6, 0
	.p2align	6
.LBB2083_294:                           ; =>This Inner Loop Header: Depth=1
	v_mov_b32_e32 v3, s6
	v_add_nc_u32_e64 v4, 0xb0, s6
	v_add_nc_u32_e64 v5, 0x88, s6
	s_add_i32 s6, s6, 4
	s_clause 0x1
	buffer_load_dword v3, v3, s[0:3], 0 offen
	buffer_load_dword v4, v4, s[0:3], 0 offen
	s_cmp_lg_u32 s6, 16
	s_waitcnt vmcnt(0)
	v_add_nc_u32_e32 v3, v4, v3
	buffer_store_dword v3, v5, s[0:3], 0 offen
	s_cbranch_scc1 .LBB2083_294
; %bb.295:
	s_clause 0x3
	buffer_load_dword v3, off, s[0:3], 0 offset:136
	buffer_load_dword v5, off, s[0:3], 0 offset:140
	;; [unrolled: 1-line block ×4, first 2 shown]
.LBB2083_296:
	s_or_b32 exec_lo, exec_lo, s5
	v_or_b32_e32 v1, v1, v2
	s_waitcnt vmcnt(3)
	buffer_store_dword v3, off, s[0:3], 0 offset:116
	s_waitcnt vmcnt(2)
	buffer_store_dword v5, off, s[0:3], 0 offset:120
	;; [unrolled: 2-line block ×4, first 2 shown]
	v_and_b32_e32 v1, 1, v1
.LBB2083_297:
	s_andn2_saveexec_b32 s4, s4
	s_cbranch_execz .LBB2083_299
; %bb.298:
	buffer_load_ubyte v1, off, s[0:3], 0 offset:132
.LBB2083_299:
	s_or_b32 exec_lo, exec_lo, s4
	s_clause 0x4
	buffer_load_dword v2, off, s[0:3], 0 offset:128
	buffer_load_ubyte v3, off, s[0:3], 0 offset:112
	buffer_load_dword v4, off, s[0:3], 0 offset:124
	buffer_load_dword v5, off, s[0:3], 0 offset:120
	;; [unrolled: 1-line block ×3, first 2 shown]
	s_mov_b32 s4, exec_lo
                                        ; implicit-def: $vgpr7
	s_waitcnt vmcnt(4)
	buffer_store_dword v2, off, s[0:3], 0 offset:220
	s_waitcnt vmcnt(2)
	buffer_store_dword v4, off, s[0:3], 0 offset:216
	;; [unrolled: 2-line block ×4, first 2 shown]
	buffer_store_byte v1, off, s[0:3], 0 offset:224
                                        ; implicit-def: $vgpr4
                                        ; implicit-def: $vgpr5
                                        ; implicit-def: $vgpr6
	v_cmpx_ne_u16_e32 0, v3
	s_xor_b32 s4, exec_lo, s4
	s_cbranch_execz .LBB2083_301
; %bb.300:
	s_clause 0x3
	buffer_load_dword v7, off, s[0:3], 0 offset:96
	buffer_load_dword v5, off, s[0:3], 0 offset:100
	;; [unrolled: 1-line block ×4, first 2 shown]
.LBB2083_301:
	s_andn2_saveexec_b32 s4, s4
	s_cbranch_execz .LBB2083_307
; %bb.302:
	v_mov_b32_e32 v2, 0
	s_mov_b32 s5, 0
.LBB2083_303:                           ; =>This Inner Loop Header: Depth=1
	s_waitcnt vmcnt(0)
	v_add_nc_u32_e64 v4, 0x88, s5
	s_add_i32 s5, s5, 4
	s_cmp_lg_u32 s5, 16
	buffer_store_dword v2, v4, s[0:3], 0 offen
	s_cbranch_scc1 .LBB2083_303
; %bb.304:
	s_mov_b32 s5, 0
	.p2align	6
.LBB2083_305:                           ; =>This Inner Loop Header: Depth=1
	v_add_nc_u32_e64 v2, 0x74, s5
	v_add_nc_u32_e64 v4, 0x60, s5
	;; [unrolled: 1-line block ×3, first 2 shown]
	s_add_i32 s5, s5, 4
	s_clause 0x1
	buffer_load_dword v2, v2, s[0:3], 0 offen
	buffer_load_dword v4, v4, s[0:3], 0 offen
	s_cmp_lg_u32 s5, 16
	s_waitcnt vmcnt(0)
	v_add_nc_u32_e32 v2, v4, v2
	buffer_store_dword v2, v5, s[0:3], 0 offen
	s_cbranch_scc1 .LBB2083_305
; %bb.306:
	s_clause 0x3
	buffer_load_dword v7, off, s[0:3], 0 offset:136
	buffer_load_dword v5, off, s[0:3], 0 offset:140
	;; [unrolled: 1-line block ×4, first 2 shown]
.LBB2083_307:
	s_or_b32 exec_lo, exec_lo, s4
	v_mov_b32_e32 v8, s19
	v_or_b32_e32 v1, v3, v1
                                        ; implicit-def: $vgpr3
	s_clause 0x4
	buffer_load_dword v9, v8, s[0:3], 0 offen offset:12
	buffer_load_dword v10, v8, s[0:3], 0 offen offset:8
	;; [unrolled: 1-line block ×3, first 2 shown]
	buffer_load_dword v12, v8, s[0:3], 0 offen
	buffer_load_ubyte v2, off, s[0:3], 0 offset:244
	v_and_b32_e32 v1, 1, v1
	s_waitcnt vmcnt(8)
	buffer_store_dword v7, off, s[0:3], 0 offset:116
	s_waitcnt vmcnt(7)
	buffer_store_dword v5, off, s[0:3], 0 offset:120
	;; [unrolled: 2-line block ×4, first 2 shown]
	buffer_store_dword v7, v8, s[0:3], 0 offen
	s_waitcnt vmcnt(4)
	buffer_store_dword v9, off, s[0:3], 0 offset:108
	s_waitcnt vmcnt(3)
	buffer_store_dword v10, off, s[0:3], 0 offset:104
	;; [unrolled: 2-line block ×4, first 2 shown]
	s_waitcnt vmcnt(0)
	v_cmp_ne_u16_e64 s4, 0, v2
	v_cmp_eq_u32_e32 vcc_lo, 1, v1
	buffer_store_dword v5, v8, s[0:3], 0 offen offset:4
	buffer_store_dword v6, v8, s[0:3], 0 offen offset:8
	;; [unrolled: 1-line block ×3, first 2 shown]
	buffer_store_byte v1, off, s[0:3], 0 offset:244
                                        ; implicit-def: $vgpr6
                                        ; implicit-def: $vgpr4
                                        ; implicit-def: $vgpr5
	s_and_saveexec_b32 s5, s4
	s_xor_b32 s4, exec_lo, s5
	s_cbranch_execz .LBB2083_309
; %bb.308:
	s_clause 0x3
	buffer_load_dword v6, off, s[0:3], 0 offset:96
	buffer_load_dword v4, off, s[0:3], 0 offset:100
	;; [unrolled: 1-line block ×4, first 2 shown]
.LBB2083_309:
	s_andn2_saveexec_b32 s4, s4
	s_cbranch_execz .LBB2083_315
; %bb.310:
	v_mov_b32_e32 v1, 0
	s_mov_b32 s5, 0
.LBB2083_311:                           ; =>This Inner Loop Header: Depth=1
	s_waitcnt vmcnt(0)
	v_add_nc_u32_e64 v3, 0x88, s5
	s_add_i32 s5, s5, 4
	s_cmp_lg_u32 s5, 16
	buffer_store_dword v1, v3, s[0:3], 0 offen
	s_cbranch_scc1 .LBB2083_311
; %bb.312:
	s_mov_b32 s5, 0
	.p2align	6
.LBB2083_313:                           ; =>This Inner Loop Header: Depth=1
	v_add_nc_u32_e64 v1, 0x74, s5
	v_add_nc_u32_e64 v3, 0x60, s5
	;; [unrolled: 1-line block ×3, first 2 shown]
	s_add_i32 s5, s5, 4
	s_clause 0x1
	buffer_load_dword v1, v1, s[0:3], 0 offen
	buffer_load_dword v3, v3, s[0:3], 0 offen
	s_cmp_lg_u32 s5, 16
	s_waitcnt vmcnt(0)
	v_add_nc_u32_e32 v1, v3, v1
	buffer_store_dword v1, v4, s[0:3], 0 offen
	s_cbranch_scc1 .LBB2083_313
; %bb.314:
	s_clause 0x3
	buffer_load_dword v6, off, s[0:3], 0 offset:136
	buffer_load_dword v4, off, s[0:3], 0 offset:140
	buffer_load_dword v5, off, s[0:3], 0 offset:144
	buffer_load_dword v3, off, s[0:3], 0 offset:148
.LBB2083_315:
	s_or_b32 exec_lo, exec_lo, s4
	v_mov_b32_e32 v7, s33
	v_and_b32_e32 v2, 1, v2
	s_mov_b32 s5, exec_lo
	s_clause 0x4
	buffer_load_dword v8, v7, s[0:3], 0 offen offset:12
	buffer_load_dword v9, v7, s[0:3], 0 offen offset:8
	;; [unrolled: 1-line block ×3, first 2 shown]
	buffer_load_dword v11, v7, s[0:3], 0 offen
	buffer_load_ubyte v1, off, s[0:3], 0 offset:264
	v_cmp_eq_u32_e64 s4, 1, v2
	s_waitcnt vmcnt(8)
	buffer_store_dword v6, off, s[0:3], 0 offset:116
	s_waitcnt vmcnt(7)
	buffer_store_dword v4, off, s[0:3], 0 offset:120
	;; [unrolled: 2-line block ×4, first 2 shown]
	buffer_store_dword v6, v7, s[0:3], 0 offen
                                        ; implicit-def: $vgpr6
	s_or_b32 s4, s4, vcc_lo
	v_cndmask_b32_e64 v2, 0, 1, s4
	s_waitcnt vmcnt(4)
	buffer_store_dword v8, off, s[0:3], 0 offset:108
	s_waitcnt vmcnt(3)
	buffer_store_dword v9, off, s[0:3], 0 offset:104
	;; [unrolled: 2-line block ×4, first 2 shown]
	buffer_store_dword v4, v7, s[0:3], 0 offen offset:4
	buffer_store_dword v5, v7, s[0:3], 0 offen offset:8
	;; [unrolled: 1-line block ×3, first 2 shown]
	buffer_store_byte v2, off, s[0:3], 0 offset:264
                                        ; implicit-def: $vgpr3
                                        ; implicit-def: $vgpr4
                                        ; implicit-def: $vgpr5
	s_waitcnt vmcnt(0)
	v_cmpx_ne_u16_e32 0, v1
	s_xor_b32 s5, exec_lo, s5
	s_cbranch_execz .LBB2083_317
; %bb.316:
	s_clause 0x3
	buffer_load_dword v6, off, s[0:3], 0 offset:96
	buffer_load_dword v4, off, s[0:3], 0 offset:100
	;; [unrolled: 1-line block ×4, first 2 shown]
.LBB2083_317:
	s_andn2_saveexec_b32 s5, s5
	s_cbranch_execz .LBB2083_323
; %bb.318:
	v_mov_b32_e32 v2, 0
	s_mov_b32 s6, 0
.LBB2083_319:                           ; =>This Inner Loop Header: Depth=1
	s_waitcnt vmcnt(0)
	v_add_nc_u32_e64 v3, 0x88, s6
	s_add_i32 s6, s6, 4
	s_cmp_lg_u32 s6, 16
	buffer_store_dword v2, v3, s[0:3], 0 offen
	s_cbranch_scc1 .LBB2083_319
; %bb.320:
	s_mov_b32 s6, 0
	.p2align	6
.LBB2083_321:                           ; =>This Inner Loop Header: Depth=1
	v_add_nc_u32_e64 v2, 0x74, s6
	v_add_nc_u32_e64 v3, 0x60, s6
	v_add_nc_u32_e64 v4, 0x88, s6
	s_add_i32 s6, s6, 4
	s_clause 0x1
	buffer_load_dword v2, v2, s[0:3], 0 offen
	buffer_load_dword v3, v3, s[0:3], 0 offen
	s_cmp_lg_u32 s6, 16
	s_waitcnt vmcnt(0)
	v_add_nc_u32_e32 v2, v3, v2
	buffer_store_dword v2, v4, s[0:3], 0 offen
	s_cbranch_scc1 .LBB2083_321
; %bb.322:
	s_clause 0x3
	buffer_load_dword v6, off, s[0:3], 0 offset:136
	buffer_load_dword v4, off, s[0:3], 0 offset:140
	;; [unrolled: 1-line block ×4, first 2 shown]
.LBB2083_323:
	s_or_b32 exec_lo, exec_lo, s5
	v_mov_b32_e32 v7, s36
	v_and_b32_e32 v1, 1, v1
	s_mov_b32 s5, exec_lo
	s_clause 0x4
	buffer_load_dword v8, v7, s[0:3], 0 offen offset:12
	buffer_load_dword v9, v7, s[0:3], 0 offen offset:8
	;; [unrolled: 1-line block ×3, first 2 shown]
	buffer_load_dword v11, v7, s[0:3], 0 offen
	buffer_load_ubyte v2, off, s[0:3], 0 offset:284
	v_cmp_eq_u32_e32 vcc_lo, 1, v1
	s_waitcnt vmcnt(8)
	buffer_store_dword v6, off, s[0:3], 0 offset:116
	s_waitcnt vmcnt(7)
	buffer_store_dword v4, off, s[0:3], 0 offset:120
	;; [unrolled: 2-line block ×4, first 2 shown]
	buffer_store_dword v6, v7, s[0:3], 0 offen
	s_or_b32 s4, vcc_lo, s4
	v_cndmask_b32_e64 v1, 0, 1, s4
	s_waitcnt vmcnt(4)
	buffer_store_dword v8, off, s[0:3], 0 offset:108
	s_waitcnt vmcnt(3)
	buffer_store_dword v9, off, s[0:3], 0 offset:104
	;; [unrolled: 2-line block ×4, first 2 shown]
	buffer_store_dword v4, v7, s[0:3], 0 offen offset:4
	buffer_store_dword v5, v7, s[0:3], 0 offen offset:8
	;; [unrolled: 1-line block ×3, first 2 shown]
	buffer_store_byte v1, off, s[0:3], 0 offset:284
                                        ; implicit-def: $vgpr4
                                        ; implicit-def: $vgpr1
                                        ; implicit-def: $vgpr3
                                        ; implicit-def: $vgpr5
	s_waitcnt vmcnt(0)
	v_cmpx_ne_u16_e32 0, v2
	s_xor_b32 s5, exec_lo, s5
	s_cbranch_execz .LBB2083_325
; %bb.324:
	s_clause 0x3
	buffer_load_dword v1, off, s[0:3], 0 offset:96
	buffer_load_dword v3, off, s[0:3], 0 offset:100
	;; [unrolled: 1-line block ×4, first 2 shown]
.LBB2083_325:
	s_andn2_saveexec_b32 s5, s5
	s_cbranch_execz .LBB2083_331
; %bb.326:
	s_waitcnt vmcnt(3)
	v_mov_b32_e32 v1, 0
	s_mov_b32 s6, 0
.LBB2083_327:                           ; =>This Inner Loop Header: Depth=1
	s_waitcnt vmcnt(2)
	v_add_nc_u32_e64 v3, 0x88, s6
	s_add_i32 s6, s6, 4
	s_cmp_lg_u32 s6, 16
	buffer_store_dword v1, v3, s[0:3], 0 offen
	s_cbranch_scc1 .LBB2083_327
; %bb.328:
	s_mov_b32 s6, 0
	.p2align	6
.LBB2083_329:                           ; =>This Inner Loop Header: Depth=1
	v_add_nc_u32_e64 v1, 0x74, s6
	v_add_nc_u32_e64 v3, 0x60, s6
	s_waitcnt vmcnt(0)
	v_add_nc_u32_e64 v4, 0x88, s6
	s_add_i32 s6, s6, 4
	s_clause 0x1
	buffer_load_dword v1, v1, s[0:3], 0 offen
	buffer_load_dword v3, v3, s[0:3], 0 offen
	s_cmp_lg_u32 s6, 16
	s_waitcnt vmcnt(0)
	v_add_nc_u32_e32 v1, v3, v1
	buffer_store_dword v1, v4, s[0:3], 0 offen
	s_cbranch_scc1 .LBB2083_329
; %bb.330:
	s_clause 0x3
	buffer_load_dword v1, off, s[0:3], 0 offset:136
	buffer_load_dword v3, off, s[0:3], 0 offset:140
	;; [unrolled: 1-line block ×4, first 2 shown]
.LBB2083_331:
	s_or_b32 exec_lo, exec_lo, s5
	v_and_b32_e32 v2, 1, v2
	v_cmp_eq_u32_e32 vcc_lo, 1, v2
	v_mov_b32_e32 v2, s37
	s_waitcnt vmcnt(0)
	buffer_store_dword v4, v2, s[0:3], 0 offen offset:12
	buffer_store_dword v5, v2, s[0:3], 0 offen offset:8
	;; [unrolled: 1-line block ×3, first 2 shown]
	buffer_store_dword v1, v2, s[0:3], 0 offen
	s_or_b32 s4, vcc_lo, s4
	v_cndmask_b32_e64 v6, 0, 1, s4
	buffer_store_byte v6, off, s[0:3], 0 offset:304
	s_branch .LBB2083_499
.LBB2083_332:
	s_cmp_eq_u64 s[34:35], 0
	v_mov_b32_e32 v4, s31
	s_cselect_b32 s4, -1, 0
	s_cmp_eq_u64 s[10:11], 0
	v_mov_b32_e32 v3, s30
	s_cselect_b32 s5, -1, 0
	v_mov_b32_e32 v2, s29
	v_mov_b32_e32 v1, s28
	s_or_b32 s4, s4, s5
	s_and_b32 vcc_lo, exec_lo, s4
	s_cbranch_vccnz .LBB2083_334
; %bb.333:
	v_mov_b32_e32 v1, 0
	global_load_dwordx4 v[1:4], v1, s[10:11]
.LBB2083_334:
	v_mov_b32_e32 v5, 0
	s_mov_b32 s4, 0
	buffer_store_dword v5, off, s[0:3], 0 offset:188
	buffer_store_dword v5, off, s[0:3], 0 offset:184
	;; [unrolled: 1-line block ×5, first 2 shown]
.LBB2083_335:                           ; =>This Inner Loop Header: Depth=1
	v_add_nc_u32_e64 v6, 0xb0, s4
	s_add_i32 s4, s4, 4
	s_cmp_lg_u32 s4, 16
	buffer_store_dword v5, v6, s[0:3], 0 offen
	s_cbranch_scc1 .LBB2083_335
; %bb.336:
	s_clause 0x5
	buffer_load_dword v6, off, s[0:3], 0 offset:220
	buffer_load_ubyte v9, off, s[0:3], 0 offset:244
	buffer_load_dword v7, off, s[0:3], 0 offset:216
	buffer_load_dword v8, off, s[0:3], 0 offset:212
	;; [unrolled: 1-line block ×4, first 2 shown]
	s_mov_b32 s4, exec_lo
	v_mov_b32_e32 v11, 0
	s_waitcnt vmcnt(6)
	buffer_store_dword v1, off, s[0:3], 0 offset:156
	buffer_store_dword v2, off, s[0:3], 0 offset:160
	;; [unrolled: 1-line block ×4, first 2 shown]
	buffer_store_byte v11, off, s[0:3], 0 offset:192
	buffer_store_byte v11, off, s[0:3], 0 offset:172
	s_waitcnt vmcnt(5)
	buffer_store_dword v6, off, s[0:3], 0 offset:148
	s_waitcnt vmcnt(3)
	buffer_store_dword v7, off, s[0:3], 0 offset:144
	;; [unrolled: 2-line block ×5, first 2 shown]
                                        ; implicit-def: $vgpr7
                                        ; implicit-def: $vgpr6
                                        ; implicit-def: $vgpr8
                                        ; implicit-def: $vgpr10
	v_cmpx_ne_u16_e32 0, v9
	s_xor_b32 s4, exec_lo, s4
	s_cbranch_execz .LBB2083_338
; %bb.337:
	s_clause 0x3
	buffer_load_dword v6, off, s[0:3], 0 offset:228
	buffer_load_dword v8, off, s[0:3], 0 offset:232
	buffer_load_dword v10, off, s[0:3], 0 offset:236
	buffer_load_dword v7, off, s[0:3], 0 offset:240
.LBB2083_338:
	s_andn2_saveexec_b32 s4, s4
	s_cbranch_execz .LBB2083_344
; %bb.339:
	s_waitcnt vmcnt(3)
	v_mov_b32_e32 v6, 0
	s_mov_b32 s5, 0
.LBB2083_340:                           ; =>This Inner Loop Header: Depth=1
	s_waitcnt vmcnt(0)
	v_mov_b32_e32 v7, s5
	s_add_i32 s5, s5, 4
	s_cmp_lg_u32 s5, 16
	buffer_store_dword v6, v7, s[0:3], 0 offen
	s_cbranch_scc1 .LBB2083_340
; %bb.341:
	s_mov_b32 s5, 0
	.p2align	6
.LBB2083_342:                           ; =>This Inner Loop Header: Depth=1
	v_add_nc_u32_e64 v6, 0x88, s5
	v_add_nc_u32_e64 v7, 0xd0, s5
	v_mov_b32_e32 v8, s5
	s_add_i32 s5, s5, 4
	s_clause 0x1
	buffer_load_dword v6, v6, s[0:3], 0 offen
	buffer_load_dword v7, v7, s[0:3], 0 offen offset:20
	s_cmp_lg_u32 s5, 16
	s_waitcnt vmcnt(0)
	v_add_nc_u32_e32 v6, v7, v6
	buffer_store_dword v6, v8, s[0:3], 0 offen
	s_cbranch_scc1 .LBB2083_342
; %bb.343:
	s_clause 0x3
	buffer_load_dword v6, off, s[0:3], 0
	buffer_load_dword v8, off, s[0:3], 0 offset:4
	buffer_load_dword v10, off, s[0:3], 0 offset:8
	;; [unrolled: 1-line block ×3, first 2 shown]
.LBB2083_344:
	s_or_b32 exec_lo, exec_lo, s4
	buffer_load_ubyte v11, off, s[0:3], 0 offset:264
	s_mov_b32 s4, exec_lo
	s_waitcnt vmcnt(4)
	buffer_store_dword v6, off, s[0:3], 0 offset:136
	s_waitcnt vmcnt(3)
	buffer_store_dword v8, off, s[0:3], 0 offset:140
	;; [unrolled: 2-line block ×4, first 2 shown]
                                        ; implicit-def: $vgpr7
                                        ; implicit-def: $vgpr6
                                        ; implicit-def: $vgpr8
                                        ; implicit-def: $vgpr10
	s_waitcnt vmcnt(0)
	v_cmpx_ne_u16_e32 0, v11
	s_xor_b32 s4, exec_lo, s4
	s_cbranch_execz .LBB2083_346
; %bb.345:
	s_clause 0x3
	buffer_load_dword v6, off, s[0:3], 0 offset:248
	buffer_load_dword v8, off, s[0:3], 0 offset:252
	;; [unrolled: 1-line block ×4, first 2 shown]
.LBB2083_346:
	s_andn2_saveexec_b32 s4, s4
	s_cbranch_execz .LBB2083_352
; %bb.347:
	s_waitcnt vmcnt(3)
	v_mov_b32_e32 v6, 0
	s_mov_b32 s5, 0
.LBB2083_348:                           ; =>This Inner Loop Header: Depth=1
	s_waitcnt vmcnt(0)
	v_mov_b32_e32 v7, s5
	s_add_i32 s5, s5, 4
	s_cmp_lg_u32 s5, 16
	buffer_store_dword v6, v7, s[0:3], 0 offen
	s_cbranch_scc1 .LBB2083_348
; %bb.349:
	s_mov_b32 s5, 0
	.p2align	6
.LBB2083_350:                           ; =>This Inner Loop Header: Depth=1
	v_add_nc_u32_e64 v6, 0x88, s5
	v_add_nc_u32_e64 v7, 0xd0, s5
	v_mov_b32_e32 v8, s5
	s_add_i32 s5, s5, 4
	s_clause 0x1
	buffer_load_dword v6, v6, s[0:3], 0 offen
	buffer_load_dword v7, v7, s[0:3], 0 offen offset:40
	s_cmp_lg_u32 s5, 16
	s_waitcnt vmcnt(0)
	v_add_nc_u32_e32 v6, v7, v6
	buffer_store_dword v6, v8, s[0:3], 0 offen
	s_cbranch_scc1 .LBB2083_350
; %bb.351:
	s_clause 0x3
	buffer_load_dword v6, off, s[0:3], 0
	buffer_load_dword v8, off, s[0:3], 0 offset:4
	buffer_load_dword v10, off, s[0:3], 0 offset:8
	;; [unrolled: 1-line block ×3, first 2 shown]
.LBB2083_352:
	s_or_b32 exec_lo, exec_lo, s4
	buffer_load_ubyte v12, off, s[0:3], 0 offset:284
	s_mov_b32 s4, exec_lo
	s_waitcnt vmcnt(4)
	buffer_store_dword v6, off, s[0:3], 0 offset:136
	s_waitcnt vmcnt(3)
	buffer_store_dword v8, off, s[0:3], 0 offset:140
	;; [unrolled: 2-line block ×4, first 2 shown]
                                        ; implicit-def: $vgpr7
                                        ; implicit-def: $vgpr6
                                        ; implicit-def: $vgpr8
                                        ; implicit-def: $vgpr10
	s_waitcnt vmcnt(0)
	v_cmpx_ne_u16_e32 0, v12
	s_xor_b32 s4, exec_lo, s4
	s_cbranch_execz .LBB2083_354
; %bb.353:
	s_clause 0x3
	buffer_load_dword v6, off, s[0:3], 0 offset:268
	buffer_load_dword v8, off, s[0:3], 0 offset:272
	;; [unrolled: 1-line block ×4, first 2 shown]
.LBB2083_354:
	s_andn2_saveexec_b32 s4, s4
	s_cbranch_execz .LBB2083_360
; %bb.355:
	s_waitcnt vmcnt(3)
	v_mov_b32_e32 v6, 0
	s_mov_b32 s5, 0
.LBB2083_356:                           ; =>This Inner Loop Header: Depth=1
	s_waitcnt vmcnt(0)
	v_mov_b32_e32 v7, s5
	s_add_i32 s5, s5, 4
	s_cmp_lg_u32 s5, 16
	buffer_store_dword v6, v7, s[0:3], 0 offen
	s_cbranch_scc1 .LBB2083_356
; %bb.357:
	s_mov_b32 s5, 0
	.p2align	6
.LBB2083_358:                           ; =>This Inner Loop Header: Depth=1
	v_add_nc_u32_e64 v6, 0x88, s5
	v_add_nc_u32_e64 v7, 0xd0, s5
	v_mov_b32_e32 v8, s5
	s_add_i32 s5, s5, 4
	s_clause 0x1
	buffer_load_dword v6, v6, s[0:3], 0 offen
	buffer_load_dword v7, v7, s[0:3], 0 offen offset:60
	s_cmp_lg_u32 s5, 16
	s_waitcnt vmcnt(0)
	v_add_nc_u32_e32 v6, v7, v6
	buffer_store_dword v6, v8, s[0:3], 0 offen
	s_cbranch_scc1 .LBB2083_358
; %bb.359:
	s_clause 0x3
	buffer_load_dword v6, off, s[0:3], 0
	buffer_load_dword v8, off, s[0:3], 0 offset:4
	buffer_load_dword v10, off, s[0:3], 0 offset:8
	;; [unrolled: 1-line block ×3, first 2 shown]
.LBB2083_360:
	s_or_b32 exec_lo, exec_lo, s4
	buffer_load_ubyte v13, off, s[0:3], 0 offset:304
	s_mov_b32 s4, exec_lo
	s_waitcnt vmcnt(4)
	buffer_store_dword v6, off, s[0:3], 0 offset:136
	s_waitcnt vmcnt(3)
	buffer_store_dword v8, off, s[0:3], 0 offset:140
	;; [unrolled: 2-line block ×4, first 2 shown]
                                        ; implicit-def: $vgpr10
                                        ; implicit-def: $vgpr6
                                        ; implicit-def: $vgpr7
                                        ; implicit-def: $vgpr8
	s_waitcnt vmcnt(0)
	v_cmpx_ne_u16_e32 0, v13
	s_xor_b32 s4, exec_lo, s4
	s_cbranch_execz .LBB2083_362
; %bb.361:
	s_clause 0x3
	buffer_load_dword v6, off, s[0:3], 0 offset:288
	buffer_load_dword v7, off, s[0:3], 0 offset:292
	;; [unrolled: 1-line block ×4, first 2 shown]
.LBB2083_362:
	s_andn2_saveexec_b32 s4, s4
	s_cbranch_execz .LBB2083_368
; %bb.363:
	s_waitcnt vmcnt(3)
	v_mov_b32_e32 v6, 0
	s_mov_b32 s5, 0
.LBB2083_364:                           ; =>This Inner Loop Header: Depth=1
	s_waitcnt vmcnt(2)
	v_mov_b32_e32 v7, s5
	s_add_i32 s5, s5, 4
	s_cmp_lg_u32 s5, 16
	buffer_store_dword v6, v7, s[0:3], 0 offen
	s_cbranch_scc1 .LBB2083_364
; %bb.365:
	s_mov_b32 s5, 0
	.p2align	6
.LBB2083_366:                           ; =>This Inner Loop Header: Depth=1
	v_add_nc_u32_e64 v6, 0x88, s5
	v_add_nc_u32_e64 v7, 0xd0, s5
	s_waitcnt vmcnt(1)
	v_mov_b32_e32 v8, s5
	s_add_i32 s5, s5, 4
	s_clause 0x1
	buffer_load_dword v6, v6, s[0:3], 0 offen
	buffer_load_dword v7, v7, s[0:3], 0 offen offset:80
	s_cmp_lg_u32 s5, 16
	s_waitcnt vmcnt(0)
	v_add_nc_u32_e32 v6, v7, v6
	buffer_store_dword v6, v8, s[0:3], 0 offen
	s_cbranch_scc1 .LBB2083_366
; %bb.367:
	s_clause 0x3
	buffer_load_dword v6, off, s[0:3], 0
	buffer_load_dword v7, off, s[0:3], 0 offset:4
	buffer_load_dword v8, off, s[0:3], 0 offset:8
	;; [unrolled: 1-line block ×3, first 2 shown]
.LBB2083_368:
	s_or_b32 exec_lo, exec_lo, s4
	v_or_b32_e32 v9, v11, v9
	v_and_b32_e32 v11, 1, v12
	v_and_b32_e32 v12, 1, v13
	;; [unrolled: 1-line block ×3, first 2 shown]
	v_mov_b32_e32 v13, 0
	v_cmp_ne_u16_e32 vcc_lo, 0, v9
	v_cmp_eq_u32_e64 s4, 1, v11
	v_cmp_eq_u32_e64 s5, 1, v12
	;; [unrolled: 1-line block ×3, first 2 shown]
	v_mbcnt_lo_u32_b32 v9, -1, 0
	s_waitcnt vmcnt(3)
	v_mov_b32_dpp v14, v6 row_shr:1 row_mask:0xf bank_mask:0xf
	s_or_b32 s4, vcc_lo, s4
	s_waitcnt vmcnt(2)
	v_mov_b32_dpp v15, v7 row_shr:1 row_mask:0xf bank_mask:0xf
	s_or_b32 s4, s5, s4
	v_and_b32_e32 v11, 15, v9
	s_or_b32 s4, s4, s6
	s_waitcnt vmcnt(1)
	v_mov_b32_dpp v16, v8 row_shr:1 row_mask:0xf bank_mask:0xf
	v_cndmask_b32_e64 v5, 0, 1, s4
	s_waitcnt vmcnt(0)
	v_mov_b32_dpp v17, v10 row_shr:1 row_mask:0xf bank_mask:0xf
	s_mov_b32 s4, exec_lo
	buffer_store_byte v5, off, s[0:3], 0 offset:152
	buffer_load_dword v5, off, s[0:3], 0 offset:152
	buffer_store_dword v1, off, s[0:3], 0 offset:116
	buffer_store_dword v2, off, s[0:3], 0 offset:120
	;; [unrolled: 1-line block ×8, first 2 shown]
	buffer_store_byte v13, off, s[0:3], 0 offset:132
	s_waitcnt vmcnt(0)
	v_mov_b32_dpp v12, v5 row_shr:1 row_mask:0xf bank_mask:0xf
	buffer_store_dword v14, off, s[0:3], 0
	buffer_store_dword v15, off, s[0:3], 0 offset:4
	buffer_store_dword v16, off, s[0:3], 0 offset:8
	;; [unrolled: 1-line block ×4, first 2 shown]
	v_cmpx_ne_u32_e32 0, v11
	s_xor_b32 s4, exec_lo, s4
	s_cbranch_execz .LBB2083_376
; %bb.369:
	v_cmp_eq_u16_sdwa s6, v5, v13 src0_sel:BYTE_0 src1_sel:DWORD
	s_and_saveexec_b32 s5, s6
	s_cbranch_execz .LBB2083_375
; %bb.370:
	v_mov_b32_e32 v6, 0
	s_mov_b32 s6, 0
.LBB2083_371:                           ; =>This Inner Loop Header: Depth=1
	v_add_nc_u32_e64 v7, 0x60, s6
	s_add_i32 s6, s6, 4
	s_cmp_lg_u32 s6, 16
	buffer_store_dword v6, v7, s[0:3], 0 offen
	s_cbranch_scc1 .LBB2083_371
; %bb.372:
	s_mov_b32 s6, 0
	.p2align	6
.LBB2083_373:                           ; =>This Inner Loop Header: Depth=1
	v_mov_b32_e32 v6, s6
	v_add_nc_u32_e64 v7, 0x88, s6
	v_add_nc_u32_e64 v8, 0x60, s6
	s_add_i32 s6, s6, 4
	s_clause 0x1
	buffer_load_dword v6, v6, s[0:3], 0 offen
	buffer_load_dword v7, v7, s[0:3], 0 offen
	s_cmp_lg_u32 s6, 16
	s_waitcnt vmcnt(0)
	v_add_nc_u32_e32 v6, v7, v6
	buffer_store_dword v6, v8, s[0:3], 0 offen
	s_cbranch_scc1 .LBB2083_373
; %bb.374:
	s_clause 0x3
	buffer_load_dword v6, off, s[0:3], 0 offset:96
	buffer_load_dword v7, off, s[0:3], 0 offset:100
	;; [unrolled: 1-line block ×4, first 2 shown]
.LBB2083_375:
	s_or_b32 exec_lo, exec_lo, s5
	v_or_b32_e32 v5, v12, v5
	v_and_b32_e32 v5, 1, v5
	buffer_store_byte v5, off, s[0:3], 0 offset:152
	buffer_load_dword v5, off, s[0:3], 0 offset:152
	s_waitcnt vmcnt(4)
	buffer_store_dword v6, off, s[0:3], 0 offset:136
	s_waitcnt vmcnt(3)
	buffer_store_dword v7, off, s[0:3], 0 offset:140
	;; [unrolled: 2-line block ×4, first 2 shown]
.LBB2083_376:
	s_or_b32 exec_lo, exec_lo, s4
	v_mov_b32_dpp v13, v6 row_shr:2 row_mask:0xf bank_mask:0xf
	s_waitcnt vmcnt(0)
	v_mov_b32_dpp v12, v5 row_shr:2 row_mask:0xf bank_mask:0xf
	v_mov_b32_dpp v14, v7 row_shr:2 row_mask:0xf bank_mask:0xf
	;; [unrolled: 1-line block ×4, first 2 shown]
	s_mov_b32 s5, exec_lo
	buffer_store_dword v13, off, s[0:3], 0
	buffer_store_dword v14, off, s[0:3], 0 offset:4
	buffer_store_dword v15, off, s[0:3], 0 offset:8
	;; [unrolled: 1-line block ×4, first 2 shown]
	v_cmpx_lt_u32_e32 1, v11
	s_cbranch_execz .LBB2083_383
; %bb.377:
	v_mov_b32_e32 v13, 0
	s_mov_b32 s6, 0
	v_cmp_eq_u16_sdwa s7, v5, v13 src0_sel:BYTE_0 src1_sel:DWORD
	s_and_saveexec_b32 s4, s7
	s_cbranch_execz .LBB2083_382
.LBB2083_378:                           ; =>This Inner Loop Header: Depth=1
	v_add_nc_u32_e64 v6, 0x60, s6
	s_add_i32 s6, s6, 4
	s_cmp_lg_u32 s6, 16
	buffer_store_dword v13, v6, s[0:3], 0 offen
	s_cbranch_scc1 .LBB2083_378
; %bb.379:
	s_mov_b32 s6, 0
	.p2align	6
.LBB2083_380:                           ; =>This Inner Loop Header: Depth=1
	v_mov_b32_e32 v6, s6
	v_add_nc_u32_e64 v7, 0x88, s6
	v_add_nc_u32_e64 v8, 0x60, s6
	s_add_i32 s6, s6, 4
	s_clause 0x1
	buffer_load_dword v6, v6, s[0:3], 0 offen
	buffer_load_dword v7, v7, s[0:3], 0 offen
	s_cmp_lg_u32 s6, 16
	s_waitcnt vmcnt(0)
	v_add_nc_u32_e32 v6, v7, v6
	buffer_store_dword v6, v8, s[0:3], 0 offen
	s_cbranch_scc1 .LBB2083_380
; %bb.381:
	s_clause 0x3
	buffer_load_dword v6, off, s[0:3], 0 offset:96
	buffer_load_dword v7, off, s[0:3], 0 offset:100
	;; [unrolled: 1-line block ×4, first 2 shown]
.LBB2083_382:
	s_or_b32 exec_lo, exec_lo, s4
	v_and_b32_e32 v5, 1, v5
	v_and_b32_e32 v12, 1, v12
	v_cmp_eq_u32_e32 vcc_lo, 1, v5
	v_cmp_eq_u32_e64 s4, 1, v12
	s_or_b32 s4, vcc_lo, s4
	v_cndmask_b32_e64 v5, 0, 1, s4
	buffer_store_byte v5, off, s[0:3], 0 offset:152
	buffer_load_dword v5, off, s[0:3], 0 offset:152
	s_waitcnt vmcnt(4)
	buffer_store_dword v6, off, s[0:3], 0 offset:136
	s_waitcnt vmcnt(3)
	buffer_store_dword v7, off, s[0:3], 0 offset:140
	;; [unrolled: 2-line block ×4, first 2 shown]
.LBB2083_383:
	s_or_b32 exec_lo, exec_lo, s5
	v_mov_b32_dpp v13, v6 row_shr:4 row_mask:0xf bank_mask:0xf
	s_waitcnt vmcnt(0)
	v_mov_b32_dpp v12, v5 row_shr:4 row_mask:0xf bank_mask:0xf
	v_mov_b32_dpp v14, v7 row_shr:4 row_mask:0xf bank_mask:0xf
	;; [unrolled: 1-line block ×4, first 2 shown]
	s_mov_b32 s5, exec_lo
	buffer_store_dword v13, off, s[0:3], 0
	buffer_store_dword v14, off, s[0:3], 0 offset:4
	buffer_store_dword v15, off, s[0:3], 0 offset:8
	buffer_store_dword v16, off, s[0:3], 0 offset:12
	buffer_store_dword v12, off, s[0:3], 0 offset:16
	v_cmpx_lt_u32_e32 3, v11
	s_cbranch_execz .LBB2083_390
; %bb.384:
	v_mov_b32_e32 v13, 0
	s_mov_b32 s6, 0
	v_cmp_eq_u16_sdwa s7, v5, v13 src0_sel:BYTE_0 src1_sel:DWORD
	s_and_saveexec_b32 s4, s7
	s_cbranch_execz .LBB2083_389
.LBB2083_385:                           ; =>This Inner Loop Header: Depth=1
	v_add_nc_u32_e64 v6, 0x60, s6
	s_add_i32 s6, s6, 4
	s_cmp_lg_u32 s6, 16
	buffer_store_dword v13, v6, s[0:3], 0 offen
	s_cbranch_scc1 .LBB2083_385
; %bb.386:
	s_mov_b32 s6, 0
	.p2align	6
.LBB2083_387:                           ; =>This Inner Loop Header: Depth=1
	v_mov_b32_e32 v6, s6
	v_add_nc_u32_e64 v7, 0x88, s6
	v_add_nc_u32_e64 v8, 0x60, s6
	s_add_i32 s6, s6, 4
	s_clause 0x1
	buffer_load_dword v6, v6, s[0:3], 0 offen
	buffer_load_dword v7, v7, s[0:3], 0 offen
	s_cmp_lg_u32 s6, 16
	s_waitcnt vmcnt(0)
	v_add_nc_u32_e32 v6, v7, v6
	buffer_store_dword v6, v8, s[0:3], 0 offen
	s_cbranch_scc1 .LBB2083_387
; %bb.388:
	s_clause 0x3
	buffer_load_dword v6, off, s[0:3], 0 offset:96
	buffer_load_dword v7, off, s[0:3], 0 offset:100
	;; [unrolled: 1-line block ×4, first 2 shown]
.LBB2083_389:
	s_or_b32 exec_lo, exec_lo, s4
	v_and_b32_e32 v5, 1, v5
	v_and_b32_e32 v12, 1, v12
	v_cmp_eq_u32_e32 vcc_lo, 1, v5
	v_cmp_eq_u32_e64 s4, 1, v12
	s_or_b32 s4, vcc_lo, s4
	v_cndmask_b32_e64 v5, 0, 1, s4
	buffer_store_byte v5, off, s[0:3], 0 offset:152
	buffer_load_dword v5, off, s[0:3], 0 offset:152
	s_waitcnt vmcnt(4)
	buffer_store_dword v6, off, s[0:3], 0 offset:136
	s_waitcnt vmcnt(3)
	buffer_store_dword v7, off, s[0:3], 0 offset:140
	;; [unrolled: 2-line block ×4, first 2 shown]
.LBB2083_390:
	s_or_b32 exec_lo, exec_lo, s5
	v_mov_b32_dpp v13, v6 row_shr:8 row_mask:0xf bank_mask:0xf
	s_waitcnt vmcnt(0)
	v_mov_b32_dpp v12, v5 row_shr:8 row_mask:0xf bank_mask:0xf
	v_mov_b32_dpp v14, v7 row_shr:8 row_mask:0xf bank_mask:0xf
	;; [unrolled: 1-line block ×4, first 2 shown]
	s_mov_b32 s5, exec_lo
	buffer_store_dword v13, off, s[0:3], 0
	buffer_store_dword v14, off, s[0:3], 0 offset:4
	buffer_store_dword v15, off, s[0:3], 0 offset:8
	;; [unrolled: 1-line block ×4, first 2 shown]
	v_cmpx_lt_u32_e32 7, v11
	s_cbranch_execz .LBB2083_397
; %bb.391:
	v_mov_b32_e32 v11, 0
	s_mov_b32 s6, 0
	v_cmp_eq_u16_sdwa s7, v5, v11 src0_sel:BYTE_0 src1_sel:DWORD
	s_and_saveexec_b32 s4, s7
	s_cbranch_execz .LBB2083_396
.LBB2083_392:                           ; =>This Inner Loop Header: Depth=1
	v_add_nc_u32_e64 v6, 0x60, s6
	s_add_i32 s6, s6, 4
	s_cmp_lg_u32 s6, 16
	buffer_store_dword v11, v6, s[0:3], 0 offen
	s_cbranch_scc1 .LBB2083_392
; %bb.393:
	s_mov_b32 s6, 0
	.p2align	6
.LBB2083_394:                           ; =>This Inner Loop Header: Depth=1
	v_mov_b32_e32 v6, s6
	v_add_nc_u32_e64 v7, 0x88, s6
	v_add_nc_u32_e64 v8, 0x60, s6
	s_add_i32 s6, s6, 4
	s_clause 0x1
	buffer_load_dword v6, v6, s[0:3], 0 offen
	buffer_load_dword v7, v7, s[0:3], 0 offen
	s_cmp_lg_u32 s6, 16
	s_waitcnt vmcnt(0)
	v_add_nc_u32_e32 v6, v7, v6
	buffer_store_dword v6, v8, s[0:3], 0 offen
	s_cbranch_scc1 .LBB2083_394
; %bb.395:
	s_clause 0x3
	buffer_load_dword v6, off, s[0:3], 0 offset:96
	buffer_load_dword v7, off, s[0:3], 0 offset:100
	buffer_load_dword v8, off, s[0:3], 0 offset:104
	buffer_load_dword v10, off, s[0:3], 0 offset:108
.LBB2083_396:
	s_or_b32 exec_lo, exec_lo, s4
	v_and_b32_e32 v5, 1, v5
	v_and_b32_e32 v11, 1, v12
	v_cmp_eq_u32_e32 vcc_lo, 1, v5
	v_cmp_eq_u32_e64 s4, 1, v11
	s_or_b32 s4, vcc_lo, s4
	v_cndmask_b32_e64 v5, 0, 1, s4
	buffer_store_byte v5, off, s[0:3], 0 offset:152
	buffer_load_dword v5, off, s[0:3], 0 offset:152
	s_waitcnt vmcnt(4)
	buffer_store_dword v6, off, s[0:3], 0 offset:136
	s_waitcnt vmcnt(3)
	buffer_store_dword v7, off, s[0:3], 0 offset:140
	;; [unrolled: 2-line block ×4, first 2 shown]
.LBB2083_397:
	s_or_b32 exec_lo, exec_lo, s5
	ds_swizzle_b32 v12, v6 offset:swizzle(BROADCAST,32,15)
	s_waitcnt vmcnt(0)
	ds_swizzle_b32 v11, v5 offset:swizzle(BROADCAST,32,15)
	ds_swizzle_b32 v13, v7 offset:swizzle(BROADCAST,32,15)
	;; [unrolled: 1-line block ×4, first 2 shown]
	v_and_b32_e32 v16, 16, v9
	s_mov_b32 s5, exec_lo
	s_waitcnt lgkmcnt(4)
	buffer_store_dword v12, off, s[0:3], 0
	s_waitcnt lgkmcnt(2)
	buffer_store_dword v13, off, s[0:3], 0 offset:4
	s_waitcnt lgkmcnt(1)
	buffer_store_dword v14, off, s[0:3], 0 offset:8
	;; [unrolled: 2-line block ×3, first 2 shown]
	buffer_store_dword v11, off, s[0:3], 0 offset:16
	v_cmpx_ne_u32_e32 0, v16
	s_cbranch_execz .LBB2083_404
; %bb.398:
	v_mov_b32_e32 v12, 0
	s_mov_b32 s6, 0
	v_cmp_eq_u16_sdwa s7, v5, v12 src0_sel:BYTE_0 src1_sel:DWORD
	s_and_saveexec_b32 s4, s7
	s_cbranch_execz .LBB2083_403
.LBB2083_399:                           ; =>This Inner Loop Header: Depth=1
	v_add_nc_u32_e64 v6, 0x60, s6
	s_add_i32 s6, s6, 4
	s_cmp_lg_u32 s6, 16
	buffer_store_dword v12, v6, s[0:3], 0 offen
	s_cbranch_scc1 .LBB2083_399
; %bb.400:
	s_mov_b32 s6, 0
	.p2align	6
.LBB2083_401:                           ; =>This Inner Loop Header: Depth=1
	v_mov_b32_e32 v6, s6
	v_add_nc_u32_e64 v7, 0x88, s6
	v_add_nc_u32_e64 v8, 0x60, s6
	s_add_i32 s6, s6, 4
	s_clause 0x1
	buffer_load_dword v6, v6, s[0:3], 0 offen
	buffer_load_dword v7, v7, s[0:3], 0 offen
	s_cmp_lg_u32 s6, 16
	s_waitcnt vmcnt(0)
	v_add_nc_u32_e32 v6, v7, v6
	buffer_store_dword v6, v8, s[0:3], 0 offen
	s_cbranch_scc1 .LBB2083_401
; %bb.402:
	s_clause 0x3
	buffer_load_dword v6, off, s[0:3], 0 offset:96
	buffer_load_dword v7, off, s[0:3], 0 offset:100
	;; [unrolled: 1-line block ×4, first 2 shown]
.LBB2083_403:
	s_or_b32 exec_lo, exec_lo, s4
	v_and_b32_e32 v5, 1, v5
	v_and_b32_e32 v11, 1, v11
	v_cmp_eq_u32_e32 vcc_lo, 1, v5
	v_cmp_eq_u32_e64 s4, 1, v11
	s_or_b32 s4, vcc_lo, s4
	v_cndmask_b32_e64 v5, 0, 1, s4
	s_waitcnt vmcnt(3)
	buffer_store_dword v6, off, s[0:3], 0 offset:136
	s_waitcnt vmcnt(2)
	buffer_store_dword v7, off, s[0:3], 0 offset:140
	;; [unrolled: 2-line block ×4, first 2 shown]
	buffer_store_byte v5, off, s[0:3], 0 offset:152
.LBB2083_404:
	s_or_b32 exec_lo, exec_lo, s5
	v_or_b32_e32 v12, 31, v0
	v_lshrrev_b32_e32 v11, 5, v0
	s_mov_b32 s4, exec_lo
	v_cmpx_eq_u32_e64 v0, v12
	s_cbranch_execz .LBB2083_406
; %bb.405:
	v_mul_u32_u24_e32 v12, 20, v11
	ds_write2_b32 v12, v6, v7 offset1:1
	ds_write2_b32 v12, v8, v10 offset0:2 offset1:3
	ds_write_b8 v12, v5 offset:16
.LBB2083_406:
	s_or_b32 exec_lo, exec_lo, s4
	s_mov_b32 s5, exec_lo
	s_waitcnt lgkmcnt(0)
	s_waitcnt_vscnt null, 0x0
	s_barrier
	buffer_gl0_inv
	v_cmpx_gt_u32_e32 8, v0
	s_cbranch_execz .LBB2083_430
; %bb.407:
	v_mul_u32_u24_e32 v10, 20, v0
	v_and_b32_e32 v13, 7, v9
	s_mov_b32 s4, exec_lo
	ds_read_b32 v12, v10 offset:16
	ds_read2_b32 v[5:6], v10 offset0:2 offset1:3
	ds_read2_b32 v[7:8], v10 offset1:1
	s_waitcnt lgkmcnt(2)
	buffer_store_dword v12, off, s[0:3], 0 offset:112
	s_waitcnt lgkmcnt(1)
	buffer_store_dword v6, off, s[0:3], 0 offset:108
	buffer_store_dword v5, off, s[0:3], 0 offset:104
	s_waitcnt lgkmcnt(0)
	buffer_store_dword v8, off, s[0:3], 0 offset:100
	buffer_store_dword v7, off, s[0:3], 0 offset:96
	v_mov_b32_dpp v15, v7 row_shr:1 row_mask:0xf bank_mask:0xf
	v_mov_b32_dpp v14, v12 row_shr:1 row_mask:0xf bank_mask:0xf
	;; [unrolled: 1-line block ×5, first 2 shown]
	buffer_store_dword v15, off, s[0:3], 0
	buffer_store_dword v16, off, s[0:3], 0 offset:4
	buffer_store_dword v17, off, s[0:3], 0 offset:8
	;; [unrolled: 1-line block ×4, first 2 shown]
	v_cmpx_ne_u32_e32 0, v13
	s_cbranch_execz .LBB2083_415
; %bb.408:
	v_mov_b32_e32 v15, 0
	v_cmp_eq_u16_sdwa s7, v12, v15 src0_sel:BYTE_0 src1_sel:DWORD
	s_and_saveexec_b32 s6, s7
	s_cbranch_execz .LBB2083_414
; %bb.409:
	s_mov_b32 s7, 0
.LBB2083_410:                           ; =>This Inner Loop Header: Depth=1
	v_add_nc_u32_e64 v5, 0x50, s7
	s_add_i32 s7, s7, 4
	s_cmp_lg_u32 s7, 16
	buffer_store_dword v15, v5, s[0:3], 0 offen
	s_cbranch_scc1 .LBB2083_410
; %bb.411:
	s_mov_b32 s7, 0
	.p2align	6
.LBB2083_412:                           ; =>This Inner Loop Header: Depth=1
	v_mov_b32_e32 v5, s7
	v_add_nc_u32_e64 v6, 0x60, s7
	v_add_nc_u32_e64 v7, 0x50, s7
	s_add_i32 s7, s7, 4
	s_clause 0x1
	buffer_load_dword v5, v5, s[0:3], 0 offen
	buffer_load_dword v6, v6, s[0:3], 0 offen
	s_cmp_lg_u32 s7, 16
	s_waitcnt vmcnt(0)
	v_add_nc_u32_e32 v5, v6, v5
	buffer_store_dword v5, v7, s[0:3], 0 offen
	s_cbranch_scc1 .LBB2083_412
; %bb.413:
	s_clause 0x3
	buffer_load_dword v7, off, s[0:3], 0 offset:80
	buffer_load_dword v8, off, s[0:3], 0 offset:84
	;; [unrolled: 1-line block ×4, first 2 shown]
.LBB2083_414:
	s_or_b32 exec_lo, exec_lo, s6
	v_or_b32_e32 v12, v14, v12
	v_and_b32_e32 v12, 1, v12
	buffer_store_byte v12, off, s[0:3], 0 offset:112
	buffer_load_dword v12, off, s[0:3], 0 offset:112
	s_waitcnt vmcnt(4)
	buffer_store_dword v7, off, s[0:3], 0 offset:96
	s_waitcnt vmcnt(3)
	buffer_store_dword v8, off, s[0:3], 0 offset:100
	;; [unrolled: 2-line block ×4, first 2 shown]
.LBB2083_415:
	s_or_b32 exec_lo, exec_lo, s4
	v_mov_b32_dpp v15, v7 row_shr:2 row_mask:0xf bank_mask:0xf
	s_waitcnt vmcnt(0)
	v_mov_b32_dpp v14, v12 row_shr:2 row_mask:0xf bank_mask:0xf
	v_mov_b32_dpp v16, v8 row_shr:2 row_mask:0xf bank_mask:0xf
	v_mov_b32_dpp v17, v5 row_shr:2 row_mask:0xf bank_mask:0xf
	v_mov_b32_dpp v18, v6 row_shr:2 row_mask:0xf bank_mask:0xf
	s_mov_b32 s6, exec_lo
	buffer_store_dword v15, off, s[0:3], 0
	buffer_store_dword v16, off, s[0:3], 0 offset:4
	buffer_store_dword v17, off, s[0:3], 0 offset:8
	;; [unrolled: 1-line block ×4, first 2 shown]
	v_cmpx_lt_u32_e32 1, v13
	s_cbranch_execz .LBB2083_422
; %bb.416:
	v_mov_b32_e32 v15, 0
	s_mov_b32 s7, 0
	v_cmp_eq_u16_sdwa s8, v12, v15 src0_sel:BYTE_0 src1_sel:DWORD
	s_and_saveexec_b32 s4, s8
	s_cbranch_execz .LBB2083_421
.LBB2083_417:                           ; =>This Inner Loop Header: Depth=1
	v_add_nc_u32_e64 v5, 0x50, s7
	s_add_i32 s7, s7, 4
	s_cmp_lg_u32 s7, 16
	buffer_store_dword v15, v5, s[0:3], 0 offen
	s_cbranch_scc1 .LBB2083_417
; %bb.418:
	s_mov_b32 s7, 0
	.p2align	6
.LBB2083_419:                           ; =>This Inner Loop Header: Depth=1
	v_mov_b32_e32 v5, s7
	v_add_nc_u32_e64 v6, 0x60, s7
	v_add_nc_u32_e64 v7, 0x50, s7
	s_add_i32 s7, s7, 4
	s_clause 0x1
	buffer_load_dword v5, v5, s[0:3], 0 offen
	buffer_load_dword v6, v6, s[0:3], 0 offen
	s_cmp_lg_u32 s7, 16
	s_waitcnt vmcnt(0)
	v_add_nc_u32_e32 v5, v6, v5
	buffer_store_dword v5, v7, s[0:3], 0 offen
	s_cbranch_scc1 .LBB2083_419
; %bb.420:
	s_clause 0x3
	buffer_load_dword v7, off, s[0:3], 0 offset:80
	buffer_load_dword v8, off, s[0:3], 0 offset:84
	;; [unrolled: 1-line block ×4, first 2 shown]
.LBB2083_421:
	s_or_b32 exec_lo, exec_lo, s4
	v_and_b32_e32 v12, 1, v12
	v_and_b32_e32 v14, 1, v14
	v_cmp_eq_u32_e32 vcc_lo, 1, v12
	v_cmp_eq_u32_e64 s4, 1, v14
	s_or_b32 s4, vcc_lo, s4
	v_cndmask_b32_e64 v12, 0, 1, s4
	buffer_store_byte v12, off, s[0:3], 0 offset:112
	buffer_load_dword v12, off, s[0:3], 0 offset:112
	s_waitcnt vmcnt(4)
	buffer_store_dword v7, off, s[0:3], 0 offset:96
	s_waitcnt vmcnt(3)
	buffer_store_dword v8, off, s[0:3], 0 offset:100
	;; [unrolled: 2-line block ×4, first 2 shown]
.LBB2083_422:
	s_or_b32 exec_lo, exec_lo, s6
	v_mov_b32_dpp v15, v7 row_shr:4 row_mask:0xf bank_mask:0xf
	s_waitcnt vmcnt(0)
	v_mov_b32_dpp v14, v12 row_shr:4 row_mask:0xf bank_mask:0xf
	v_mov_b32_dpp v16, v8 row_shr:4 row_mask:0xf bank_mask:0xf
	;; [unrolled: 1-line block ×4, first 2 shown]
	s_mov_b32 s6, exec_lo
	buffer_store_dword v15, off, s[0:3], 0
	buffer_store_dword v16, off, s[0:3], 0 offset:4
	buffer_store_dword v17, off, s[0:3], 0 offset:8
	;; [unrolled: 1-line block ×4, first 2 shown]
	v_cmpx_lt_u32_e32 3, v13
	s_cbranch_execz .LBB2083_429
; %bb.423:
	v_mov_b32_e32 v13, 0
	s_mov_b32 s7, 0
	v_cmp_eq_u16_sdwa s8, v12, v13 src0_sel:BYTE_0 src1_sel:DWORD
	s_and_saveexec_b32 s4, s8
	s_cbranch_execz .LBB2083_428
.LBB2083_424:                           ; =>This Inner Loop Header: Depth=1
	v_add_nc_u32_e64 v5, 0x50, s7
	s_add_i32 s7, s7, 4
	s_cmp_lg_u32 s7, 16
	buffer_store_dword v13, v5, s[0:3], 0 offen
	s_cbranch_scc1 .LBB2083_424
; %bb.425:
	s_mov_b32 s7, 0
	.p2align	6
.LBB2083_426:                           ; =>This Inner Loop Header: Depth=1
	v_mov_b32_e32 v5, s7
	v_add_nc_u32_e64 v6, 0x60, s7
	v_add_nc_u32_e64 v7, 0x50, s7
	s_add_i32 s7, s7, 4
	s_clause 0x1
	buffer_load_dword v5, v5, s[0:3], 0 offen
	buffer_load_dword v6, v6, s[0:3], 0 offen
	s_cmp_lg_u32 s7, 16
	s_waitcnt vmcnt(0)
	v_add_nc_u32_e32 v5, v6, v5
	buffer_store_dword v5, v7, s[0:3], 0 offen
	s_cbranch_scc1 .LBB2083_426
; %bb.427:
	s_clause 0x3
	buffer_load_dword v7, off, s[0:3], 0 offset:80
	buffer_load_dword v8, off, s[0:3], 0 offset:84
	;; [unrolled: 1-line block ×4, first 2 shown]
.LBB2083_428:
	s_or_b32 exec_lo, exec_lo, s4
	v_and_b32_e32 v12, 1, v12
	v_and_b32_e32 v13, 1, v14
	s_waitcnt vmcnt(3)
	buffer_store_dword v7, off, s[0:3], 0 offset:96
	s_waitcnt vmcnt(2)
	buffer_store_dword v8, off, s[0:3], 0 offset:100
	s_waitcnt vmcnt(1)
	buffer_store_dword v5, off, s[0:3], 0 offset:104
	s_waitcnt vmcnt(0)
	buffer_store_dword v6, off, s[0:3], 0 offset:108
	v_cmp_eq_u32_e32 vcc_lo, 1, v12
	v_cmp_eq_u32_e64 s4, 1, v13
	s_or_b32 s4, vcc_lo, s4
	v_cndmask_b32_e64 v12, 0, 1, s4
.LBB2083_429:
	s_or_b32 exec_lo, exec_lo, s6
	s_clause 0x3
	buffer_load_dword v5, off, s[0:3], 0 offset:96
	buffer_load_dword v6, off, s[0:3], 0 offset:104
	;; [unrolled: 1-line block ×4, first 2 shown]
	s_waitcnt vmcnt(1)
	ds_write2_b32 v10, v6, v7 offset0:2 offset1:3
	s_waitcnt vmcnt(0)
	ds_write2_b32 v10, v5, v8 offset1:1
	ds_write_b8 v10, v12 offset:16
.LBB2083_430:
	s_or_b32 exec_lo, exec_lo, s5
	s_waitcnt lgkmcnt(0)
	s_waitcnt_vscnt null, 0x0
	s_barrier
	buffer_gl0_inv
	s_clause 0x4
	buffer_load_dword v5, off, s[0:3], 0 offset:128
	buffer_load_dword v6, off, s[0:3], 0 offset:124
	;; [unrolled: 1-line block ×5, first 2 shown]
	s_mov_b32 s4, exec_lo
	s_waitcnt vmcnt(4)
	buffer_store_dword v5, off, s[0:3], 0 offset:12
	s_waitcnt vmcnt(3)
	buffer_store_dword v6, off, s[0:3], 0 offset:8
	;; [unrolled: 2-line block ×3, first 2 shown]
	s_waitcnt vmcnt(1)
	buffer_store_dword v8, off, s[0:3], 0
	s_waitcnt vmcnt(0)
	buffer_store_dword v10, off, s[0:3], 0 offset:16
	v_cmpx_lt_u32_e32 31, v0
	s_cbranch_execz .LBB2083_440
; %bb.431:
	v_mad_u32_u24 v5, v11, 20, -4
	v_mad_u32_u24 v12, v11, 20, 0xffffffec
	s_mov_b32 s5, exec_lo
                                        ; implicit-def: $vgpr8
	ds_read_u8 v10, v5
                                        ; implicit-def: $vgpr5
	s_waitcnt lgkmcnt(0)
	v_cmpx_ne_u16_e32 0, v10
	s_xor_b32 s5, exec_lo, s5
	s_cbranch_execz .LBB2083_433
; %bb.432:
	v_mul_u32_u24_e32 v5, 20, v11
	v_add_nc_u32_e32 v7, -12, v5
	ds_read2_b32 v[5:6], v12 offset1:1
	ds_read2_b32 v[7:8], v7 offset1:1
                                        ; implicit-def: $vgpr12
.LBB2083_433:
	s_andn2_saveexec_b32 s5, s5
	s_cbranch_execz .LBB2083_439
; %bb.434:
	s_waitcnt lgkmcnt(1)
	v_mov_b32_e32 v5, 0
	s_mov_b32 s6, 0
.LBB2083_435:                           ; =>This Inner Loop Header: Depth=1
	v_add_nc_u32_e64 v6, 0x60, s6
	s_add_i32 s6, s6, 4
	s_cmp_lg_u32 s6, 16
	buffer_store_dword v5, v6, s[0:3], 0 offen
	s_cbranch_scc1 .LBB2083_435
; %bb.436:
	s_mov_b32 s6, 0
	.p2align	6
.LBB2083_437:                           ; =>This Inner Loop Header: Depth=1
	v_add_nc_u32_e64 v5, 0x74, s6
	v_add_nc_u32_e32 v6, s6, v12
	s_waitcnt lgkmcnt(0)
	v_add_nc_u32_e64 v7, 0x60, s6
	s_add_i32 s6, s6, 4
	s_cmp_lg_u32 s6, 16
	buffer_load_dword v5, v5, s[0:3], 0 offen
	ds_read_b32 v6, v6
	s_waitcnt vmcnt(0) lgkmcnt(0)
	v_add_nc_u32_e32 v5, v6, v5
	buffer_store_dword v5, v7, s[0:3], 0 offen
	s_cbranch_scc1 .LBB2083_437
; %bb.438:
	s_clause 0x3
	buffer_load_dword v5, off, s[0:3], 0 offset:96
	buffer_load_dword v6, off, s[0:3], 0 offset:100
	;; [unrolled: 1-line block ×4, first 2 shown]
.LBB2083_439:
	s_or_b32 exec_lo, exec_lo, s5
	buffer_load_ubyte v11, off, s[0:3], 0 offset:132
	s_waitcnt vmcnt(0)
	v_or_b32_e32 v10, v10, v11
	v_and_b32_e32 v10, 1, v10
	s_waitcnt lgkmcnt(1)
	buffer_store_dword v5, off, s[0:3], 0
	buffer_store_dword v6, off, s[0:3], 0 offset:4
	s_waitcnt lgkmcnt(0)
	buffer_store_dword v7, off, s[0:3], 0 offset:8
	buffer_store_dword v8, off, s[0:3], 0 offset:12
	buffer_store_byte v10, off, s[0:3], 0 offset:16
.LBB2083_440:
	s_or_b32 exec_lo, exec_lo, s4
	buffer_load_ubyte v5, off, s[0:3], 0 offset:152
	s_mov_b32 s4, exec_lo
                                        ; implicit-def: $vgpr7
                                        ; implicit-def: $vgpr6
                                        ; implicit-def: $vgpr8
                                        ; implicit-def: $vgpr10
	s_waitcnt vmcnt(0)
	v_cmpx_ne_u16_e32 0, v5
	s_xor_b32 s4, exec_lo, s4
	s_cbranch_execz .LBB2083_442
; %bb.441:
	s_clause 0x3
	buffer_load_dword v6, off, s[0:3], 0 offset:136
	buffer_load_dword v8, off, s[0:3], 0 offset:140
	;; [unrolled: 1-line block ×4, first 2 shown]
.LBB2083_442:
	s_andn2_saveexec_b32 s4, s4
	s_cbranch_execz .LBB2083_448
; %bb.443:
	s_waitcnt vmcnt(3)
	v_mov_b32_e32 v6, 0
	s_mov_b32 s5, 0
.LBB2083_444:                           ; =>This Inner Loop Header: Depth=1
	s_waitcnt vmcnt(0)
	v_add_nc_u32_e64 v7, 0x60, s5
	s_add_i32 s5, s5, 4
	s_cmp_lg_u32 s5, 16
	buffer_store_dword v6, v7, s[0:3], 0 offen
	s_cbranch_scc1 .LBB2083_444
; %bb.445:
	s_mov_b32 s5, 0
	.p2align	6
.LBB2083_446:                           ; =>This Inner Loop Header: Depth=1
	v_mov_b32_e32 v6, s5
	v_add_nc_u32_e64 v7, 0x88, s5
	v_add_nc_u32_e64 v8, 0x60, s5
	s_add_i32 s5, s5, 4
	s_clause 0x1
	buffer_load_dword v6, v6, s[0:3], 0 offen
	buffer_load_dword v7, v7, s[0:3], 0 offen
	s_cmp_lg_u32 s5, 16
	s_waitcnt vmcnt(0)
	v_add_nc_u32_e32 v6, v7, v6
	buffer_store_dword v6, v8, s[0:3], 0 offen
	s_cbranch_scc1 .LBB2083_446
; %bb.447:
	s_clause 0x3
	buffer_load_dword v6, off, s[0:3], 0 offset:96
	buffer_load_dword v8, off, s[0:3], 0 offset:100
	buffer_load_dword v10, off, s[0:3], 0 offset:104
	buffer_load_dword v7, off, s[0:3], 0 offset:108
.LBB2083_448:
	s_or_b32 exec_lo, exec_lo, s4
	buffer_load_ubyte v11, off, s[0:3], 0 offset:16
	v_sub_co_u32 v12, s5, v9, 1
	v_cmp_gt_i32_e32 vcc_lo, 0, v12
	v_cndmask_b32_e32 v9, v12, v9, vcc_lo
	v_lshlrev_b32_e32 v9, 2, v9
	s_waitcnt vmcnt(4)
	ds_bpermute_b32 v6, v9, v6
	s_waitcnt vmcnt(3)
	ds_bpermute_b32 v8, v9, v8
	;; [unrolled: 2-line block ×4, first 2 shown]
	s_waitcnt vmcnt(0)
	v_or_b32_e32 v5, v5, v11
	v_and_b32_e32 v5, 1, v5
	buffer_store_byte v5, off, s[0:3], 0 offset:152
	buffer_load_dword v5, off, s[0:3], 0 offset:152
	s_waitcnt lgkmcnt(3)
	buffer_store_dword v6, off, s[0:3], 0 offset:136
	s_waitcnt lgkmcnt(2)
	buffer_store_dword v8, off, s[0:3], 0 offset:140
	;; [unrolled: 2-line block ×4, first 2 shown]
	s_waitcnt vmcnt(0)
	ds_bpermute_b32 v5, v9, v5
	s_and_saveexec_b32 s4, s5
	s_cbranch_execz .LBB2083_450
; %bb.449:
	s_clause 0x3
	buffer_load_dword v6, off, s[0:3], 0 offset:12
	buffer_load_dword v7, off, s[0:3], 0 offset:8
	;; [unrolled: 1-line block ×3, first 2 shown]
	buffer_load_dword v9, off, s[0:3], 0
	s_waitcnt lgkmcnt(0)
	v_mov_b32_e32 v5, v11
	s_waitcnt vmcnt(3)
	buffer_store_dword v6, off, s[0:3], 0 offset:148
	s_waitcnt vmcnt(2)
	buffer_store_dword v7, off, s[0:3], 0 offset:144
	s_waitcnt vmcnt(1)
	buffer_store_dword v8, off, s[0:3], 0 offset:140
	s_waitcnt vmcnt(0)
	buffer_store_dword v9, off, s[0:3], 0 offset:136
.LBB2083_450:
	s_or_b32 exec_lo, exec_lo, s4
	s_clause 0x4
	buffer_load_dword v6, off, s[0:3], 0 offset:220
	buffer_load_dword v7, off, s[0:3], 0 offset:216
	;; [unrolled: 1-line block ×5, first 2 shown]
	buffer_store_dword v1, off, s[0:3], 0 offset:96
	buffer_store_dword v2, off, s[0:3], 0 offset:100
	;; [unrolled: 1-line block ×4, first 2 shown]
	v_mov_b32_e32 v1, 0
	v_cmp_eq_u32_e64 s4, 0, v0
	s_mov_b32 s5, exec_lo
	s_waitcnt vmcnt(4)
	buffer_store_dword v6, off, s[0:3], 0 offset:12
	s_waitcnt vmcnt(3)
	buffer_store_dword v7, off, s[0:3], 0 offset:8
	s_waitcnt vmcnt(2)
	buffer_store_dword v8, off, s[0:3], 0 offset:4
	s_waitcnt vmcnt(1)
	buffer_store_dword v9, off, s[0:3], 0
	s_waitcnt vmcnt(0)
	buffer_store_dword v10, off, s[0:3], 0 offset:16
	buffer_store_byte v1, off, s[0:3], 0 offset:112
	v_cmpx_ne_u32_e32 0, v0
	s_cbranch_execz .LBB2083_452
; %bb.451:
	s_clause 0x3
	buffer_load_dword v2, off, s[0:3], 0 offset:148
	buffer_load_dword v3, off, s[0:3], 0 offset:144
	buffer_load_dword v4, off, s[0:3], 0 offset:140
	buffer_load_dword v6, off, s[0:3], 0 offset:136
	s_waitcnt lgkmcnt(0)
	v_mov_b32_e32 v1, v5
	s_waitcnt vmcnt(3)
	buffer_store_dword v2, off, s[0:3], 0 offset:108
	s_waitcnt vmcnt(2)
	buffer_store_dword v3, off, s[0:3], 0 offset:104
	;; [unrolled: 2-line block ×4, first 2 shown]
.LBB2083_452:
	s_or_b32 exec_lo, exec_lo, s5
	s_clause 0x2
	buffer_load_dword v2, off, s[0:3], 0 offset:108
	buffer_load_ubyte v3, off, s[0:3], 0 offset:16
	buffer_load_dword v4, off, s[0:3], 0 offset:104
	s_waitcnt lgkmcnt(0)
	s_clause 0x1
	buffer_load_dword v5, off, s[0:3], 0 offset:100
	buffer_load_dword v6, off, s[0:3], 0 offset:96
	s_mov_b32 s5, exec_lo
                                        ; implicit-def: $vgpr7
	s_waitcnt vmcnt(4)
	buffer_store_dword v2, off, s[0:3], 0 offset:220
	s_waitcnt vmcnt(2)
	buffer_store_dword v4, off, s[0:3], 0 offset:216
	;; [unrolled: 2-line block ×4, first 2 shown]
	buffer_store_byte v1, off, s[0:3], 0 offset:224
                                        ; implicit-def: $vgpr4
                                        ; implicit-def: $vgpr5
                                        ; implicit-def: $vgpr6
	v_cmpx_ne_u16_e32 0, v3
	s_xor_b32 s5, exec_lo, s5
	s_cbranch_execz .LBB2083_454
; %bb.453:
	s_clause 0x3
	buffer_load_dword v7, off, s[0:3], 0
	buffer_load_dword v5, off, s[0:3], 0 offset:4
	buffer_load_dword v6, off, s[0:3], 0 offset:8
	;; [unrolled: 1-line block ×3, first 2 shown]
.LBB2083_454:
	s_andn2_saveexec_b32 s5, s5
	s_cbranch_execz .LBB2083_460
; %bb.455:
	v_mov_b32_e32 v2, 0
	s_mov_b32 s6, 0
.LBB2083_456:                           ; =>This Inner Loop Header: Depth=1
	s_waitcnt vmcnt(0)
	v_add_nc_u32_e64 v4, 0x74, s6
	s_add_i32 s6, s6, 4
	s_cmp_lg_u32 s6, 16
	buffer_store_dword v2, v4, s[0:3], 0 offen
	s_cbranch_scc1 .LBB2083_456
; %bb.457:
	s_mov_b32 s6, 0
	.p2align	6
.LBB2083_458:                           ; =>This Inner Loop Header: Depth=1
	v_add_nc_u32_e64 v2, 0x60, s6
	v_mov_b32_e32 v4, s6
	v_add_nc_u32_e64 v5, 0x74, s6
	s_add_i32 s6, s6, 4
	s_clause 0x1
	buffer_load_dword v2, v2, s[0:3], 0 offen
	buffer_load_dword v4, v4, s[0:3], 0 offen
	s_cmp_lg_u32 s6, 16
	s_waitcnt vmcnt(0)
	v_add_nc_u32_e32 v2, v4, v2
	buffer_store_dword v2, v5, s[0:3], 0 offen
	s_cbranch_scc1 .LBB2083_458
; %bb.459:
	s_clause 0x3
	buffer_load_dword v7, off, s[0:3], 0 offset:116
	buffer_load_dword v5, off, s[0:3], 0 offset:120
	;; [unrolled: 1-line block ×4, first 2 shown]
.LBB2083_460:
	s_or_b32 exec_lo, exec_lo, s5
	v_mov_b32_e32 v8, s19
	v_or_b32_e32 v1, v3, v1
                                        ; implicit-def: $vgpr3
	s_clause 0x4
	buffer_load_dword v9, v8, s[0:3], 0 offen offset:12
	buffer_load_dword v10, v8, s[0:3], 0 offen offset:8
	buffer_load_dword v11, v8, s[0:3], 0 offen offset:4
	buffer_load_dword v12, v8, s[0:3], 0 offen
	buffer_load_ubyte v2, off, s[0:3], 0 offset:244
	v_and_b32_e32 v1, 1, v1
	s_waitcnt vmcnt(8)
	buffer_store_dword v7, off, s[0:3], 0 offset:96
	s_waitcnt vmcnt(7)
	buffer_store_dword v5, off, s[0:3], 0 offset:100
	;; [unrolled: 2-line block ×4, first 2 shown]
	buffer_store_dword v7, v8, s[0:3], 0 offen
	s_waitcnt vmcnt(4)
	buffer_store_dword v9, off, s[0:3], 0 offset:12
	s_waitcnt vmcnt(3)
	buffer_store_dword v10, off, s[0:3], 0 offset:8
	;; [unrolled: 2-line block ×3, first 2 shown]
	s_waitcnt vmcnt(1)
	buffer_store_dword v12, off, s[0:3], 0
	s_waitcnt vmcnt(0)
	v_cmp_ne_u16_e64 s5, 0, v2
	v_cmp_eq_u32_e32 vcc_lo, 1, v1
	buffer_store_dword v5, v8, s[0:3], 0 offen offset:4
	buffer_store_dword v6, v8, s[0:3], 0 offen offset:8
	;; [unrolled: 1-line block ×3, first 2 shown]
	buffer_store_byte v1, off, s[0:3], 0 offset:244
                                        ; implicit-def: $vgpr6
                                        ; implicit-def: $vgpr4
                                        ; implicit-def: $vgpr5
	s_and_saveexec_b32 s6, s5
	s_xor_b32 s5, exec_lo, s6
	s_cbranch_execz .LBB2083_462
; %bb.461:
	s_clause 0x3
	buffer_load_dword v6, off, s[0:3], 0
	buffer_load_dword v4, off, s[0:3], 0 offset:4
	buffer_load_dword v5, off, s[0:3], 0 offset:8
	;; [unrolled: 1-line block ×3, first 2 shown]
.LBB2083_462:
	s_andn2_saveexec_b32 s5, s5
	s_cbranch_execz .LBB2083_468
; %bb.463:
	v_mov_b32_e32 v1, 0
	s_mov_b32 s6, 0
.LBB2083_464:                           ; =>This Inner Loop Header: Depth=1
	s_waitcnt vmcnt(0)
	v_add_nc_u32_e64 v3, 0x74, s6
	s_add_i32 s6, s6, 4
	s_cmp_lg_u32 s6, 16
	buffer_store_dword v1, v3, s[0:3], 0 offen
	s_cbranch_scc1 .LBB2083_464
; %bb.465:
	s_mov_b32 s6, 0
	.p2align	6
.LBB2083_466:                           ; =>This Inner Loop Header: Depth=1
	v_add_nc_u32_e64 v1, 0x60, s6
	v_mov_b32_e32 v3, s6
	v_add_nc_u32_e64 v4, 0x74, s6
	s_add_i32 s6, s6, 4
	s_clause 0x1
	buffer_load_dword v1, v1, s[0:3], 0 offen
	buffer_load_dword v3, v3, s[0:3], 0 offen
	s_cmp_lg_u32 s6, 16
	s_waitcnt vmcnt(0)
	v_add_nc_u32_e32 v1, v3, v1
	buffer_store_dword v1, v4, s[0:3], 0 offen
	s_cbranch_scc1 .LBB2083_466
; %bb.467:
	s_clause 0x3
	buffer_load_dword v6, off, s[0:3], 0 offset:116
	buffer_load_dword v4, off, s[0:3], 0 offset:120
	;; [unrolled: 1-line block ×4, first 2 shown]
.LBB2083_468:
	s_or_b32 exec_lo, exec_lo, s5
	v_mov_b32_e32 v7, s33
	v_and_b32_e32 v2, 1, v2
	s_mov_b32 s6, exec_lo
	s_clause 0x4
	buffer_load_dword v8, v7, s[0:3], 0 offen offset:12
	buffer_load_dword v9, v7, s[0:3], 0 offen offset:8
	;; [unrolled: 1-line block ×3, first 2 shown]
	buffer_load_dword v11, v7, s[0:3], 0 offen
	buffer_load_ubyte v1, off, s[0:3], 0 offset:264
	v_cmp_eq_u32_e64 s5, 1, v2
	s_waitcnt vmcnt(8)
	buffer_store_dword v6, off, s[0:3], 0 offset:96
	s_waitcnt vmcnt(7)
	buffer_store_dword v4, off, s[0:3], 0 offset:100
	;; [unrolled: 2-line block ×4, first 2 shown]
	buffer_store_dword v6, v7, s[0:3], 0 offen
                                        ; implicit-def: $vgpr6
	s_or_b32 s5, s5, vcc_lo
	v_cndmask_b32_e64 v2, 0, 1, s5
	s_waitcnt vmcnt(4)
	buffer_store_dword v8, off, s[0:3], 0 offset:12
	s_waitcnt vmcnt(3)
	buffer_store_dword v9, off, s[0:3], 0 offset:8
	;; [unrolled: 2-line block ×3, first 2 shown]
	s_waitcnt vmcnt(1)
	buffer_store_dword v11, off, s[0:3], 0
	buffer_store_dword v4, v7, s[0:3], 0 offen offset:4
	buffer_store_dword v5, v7, s[0:3], 0 offen offset:8
	;; [unrolled: 1-line block ×3, first 2 shown]
	buffer_store_byte v2, off, s[0:3], 0 offset:264
                                        ; implicit-def: $vgpr3
                                        ; implicit-def: $vgpr4
                                        ; implicit-def: $vgpr5
	s_waitcnt vmcnt(0)
	v_cmpx_ne_u16_e32 0, v1
	s_xor_b32 s6, exec_lo, s6
	s_cbranch_execz .LBB2083_470
; %bb.469:
	s_clause 0x3
	buffer_load_dword v6, off, s[0:3], 0
	buffer_load_dword v4, off, s[0:3], 0 offset:4
	buffer_load_dword v5, off, s[0:3], 0 offset:8
	;; [unrolled: 1-line block ×3, first 2 shown]
.LBB2083_470:
	s_andn2_saveexec_b32 s6, s6
	s_cbranch_execz .LBB2083_476
; %bb.471:
	v_mov_b32_e32 v2, 0
	s_mov_b32 s7, 0
.LBB2083_472:                           ; =>This Inner Loop Header: Depth=1
	s_waitcnt vmcnt(0)
	v_add_nc_u32_e64 v3, 0x74, s7
	s_add_i32 s7, s7, 4
	s_cmp_lg_u32 s7, 16
	buffer_store_dword v2, v3, s[0:3], 0 offen
	s_cbranch_scc1 .LBB2083_472
; %bb.473:
	s_mov_b32 s7, 0
	.p2align	6
.LBB2083_474:                           ; =>This Inner Loop Header: Depth=1
	v_add_nc_u32_e64 v2, 0x60, s7
	v_mov_b32_e32 v3, s7
	v_add_nc_u32_e64 v4, 0x74, s7
	s_add_i32 s7, s7, 4
	s_clause 0x1
	buffer_load_dword v2, v2, s[0:3], 0 offen
	buffer_load_dword v3, v3, s[0:3], 0 offen
	s_cmp_lg_u32 s7, 16
	s_waitcnt vmcnt(0)
	v_add_nc_u32_e32 v2, v3, v2
	buffer_store_dword v2, v4, s[0:3], 0 offen
	s_cbranch_scc1 .LBB2083_474
; %bb.475:
	s_clause 0x3
	buffer_load_dword v6, off, s[0:3], 0 offset:116
	buffer_load_dword v4, off, s[0:3], 0 offset:120
	;; [unrolled: 1-line block ×4, first 2 shown]
.LBB2083_476:
	s_or_b32 exec_lo, exec_lo, s6
	v_mov_b32_e32 v7, s36
	v_and_b32_e32 v1, 1, v1
	s_mov_b32 s6, exec_lo
	s_clause 0x4
	buffer_load_dword v8, v7, s[0:3], 0 offen offset:12
	buffer_load_dword v9, v7, s[0:3], 0 offen offset:8
	;; [unrolled: 1-line block ×3, first 2 shown]
	buffer_load_dword v11, v7, s[0:3], 0 offen
	buffer_load_ubyte v2, off, s[0:3], 0 offset:284
	v_cmp_eq_u32_e32 vcc_lo, 1, v1
	s_waitcnt vmcnt(8)
	buffer_store_dword v6, off, s[0:3], 0 offset:96
	s_waitcnt vmcnt(7)
	buffer_store_dword v4, off, s[0:3], 0 offset:100
	;; [unrolled: 2-line block ×4, first 2 shown]
	buffer_store_dword v6, v7, s[0:3], 0 offen
                                        ; implicit-def: $vgpr6
	s_or_b32 s5, vcc_lo, s5
	v_cndmask_b32_e64 v1, 0, 1, s5
	s_waitcnt vmcnt(4)
	buffer_store_dword v8, off, s[0:3], 0 offset:12
	s_waitcnt vmcnt(3)
	buffer_store_dword v9, off, s[0:3], 0 offset:8
	;; [unrolled: 2-line block ×3, first 2 shown]
	s_waitcnt vmcnt(1)
	buffer_store_dword v11, off, s[0:3], 0
	buffer_store_dword v4, v7, s[0:3], 0 offen offset:4
	buffer_store_dword v5, v7, s[0:3], 0 offen offset:8
	;; [unrolled: 1-line block ×3, first 2 shown]
	buffer_store_byte v1, off, s[0:3], 0 offset:284
                                        ; implicit-def: $vgpr4
                                        ; implicit-def: $vgpr1
                                        ; implicit-def: $vgpr3
	s_waitcnt vmcnt(0)
	v_cmpx_ne_u16_e32 0, v2
	s_xor_b32 s6, exec_lo, s6
	s_cbranch_execz .LBB2083_478
; %bb.477:
	s_clause 0x3
	buffer_load_dword v1, off, s[0:3], 0
	buffer_load_dword v3, off, s[0:3], 0 offset:4
	buffer_load_dword v6, off, s[0:3], 0 offset:8
	;; [unrolled: 1-line block ×3, first 2 shown]
.LBB2083_478:
	s_andn2_saveexec_b32 s6, s6
	s_cbranch_execz .LBB2083_484
; %bb.479:
	s_waitcnt vmcnt(3)
	v_mov_b32_e32 v1, 0
	s_mov_b32 s7, 0
.LBB2083_480:                           ; =>This Inner Loop Header: Depth=1
	s_waitcnt vmcnt(2)
	v_add_nc_u32_e64 v3, 0x74, s7
	s_add_i32 s7, s7, 4
	s_cmp_lg_u32 s7, 16
	buffer_store_dword v1, v3, s[0:3], 0 offen
	s_cbranch_scc1 .LBB2083_480
; %bb.481:
	s_mov_b32 s7, 0
	.p2align	6
.LBB2083_482:                           ; =>This Inner Loop Header: Depth=1
	v_add_nc_u32_e64 v1, 0x60, s7
	v_mov_b32_e32 v3, s7
	s_waitcnt vmcnt(0)
	v_add_nc_u32_e64 v4, 0x74, s7
	s_add_i32 s7, s7, 4
	s_clause 0x1
	buffer_load_dword v1, v1, s[0:3], 0 offen
	buffer_load_dword v3, v3, s[0:3], 0 offen
	s_cmp_lg_u32 s7, 16
	s_waitcnt vmcnt(0)
	v_add_nc_u32_e32 v1, v3, v1
	buffer_store_dword v1, v4, s[0:3], 0 offen
	s_cbranch_scc1 .LBB2083_482
; %bb.483:
	s_clause 0x3
	buffer_load_dword v1, off, s[0:3], 0 offset:116
	buffer_load_dword v3, off, s[0:3], 0 offset:120
	buffer_load_dword v6, off, s[0:3], 0 offset:124
	buffer_load_dword v4, off, s[0:3], 0 offset:128
.LBB2083_484:
	s_or_b32 exec_lo, exec_lo, s6
	v_mov_b32_e32 v11, 0
	v_and_b32_e32 v2, 1, v2
	ds_read_u8 v5, v11 offset:156
	ds_read2_b32 v[7:8], v11 offset0:37 offset1:38
	ds_read2_b32 v[9:10], v11 offset0:35 offset1:36
	v_cmp_eq_u32_e32 vcc_lo, 1, v2
	v_mov_b32_e32 v2, s37
	s_waitcnt vmcnt(0)
	buffer_store_dword v4, v2, s[0:3], 0 offen offset:12
	buffer_store_dword v6, v2, s[0:3], 0 offen offset:8
	;; [unrolled: 1-line block ×3, first 2 shown]
	buffer_store_dword v1, v2, s[0:3], 0 offen
	s_or_b32 s5, vcc_lo, s5
	v_cndmask_b32_e64 v12, 0, 1, s5
	buffer_store_byte v12, off, s[0:3], 0 offset:304
	s_waitcnt lgkmcnt(1)
	buffer_store_dword v8, off, s[0:3], 0 offset:188
	buffer_store_dword v7, off, s[0:3], 0 offset:184
	s_waitcnt lgkmcnt(0)
	buffer_store_dword v10, off, s[0:3], 0 offset:180
	v_cmp_ne_u32_sdwa s5, v5, v11 src0_sel:WORD_0 src1_sel:DWORD
	buffer_store_dword v9, off, s[0:3], 0 offset:176
	s_and_b32 vcc_lo, exec_lo, s5
	s_mov_b32 s5, 0
	s_cbranch_vccz .LBB2083_490
; %bb.485:
	s_clause 0x3
	buffer_load_dword v1, off, s[0:3], 0 offset:176
	buffer_load_dword v2, off, s[0:3], 0 offset:180
	;; [unrolled: 1-line block ×4, first 2 shown]
	s_andn2_b32 vcc_lo, exec_lo, s5
	s_cbranch_vccz .LBB2083_491
	s_branch .LBB2083_496
.LBB2083_486:
	v_lshlrev_b32_e32 v12, 4, v0
	v_add_co_u32 v12, s47, s44, v12
	v_add_co_ci_u32_e64 v13, null, s45, 0, s47
	flat_load_dwordx4 v[12:15], v[12:13]
	s_waitcnt vmcnt(0) lgkmcnt(0)
	buffer_store_dword v12, off, s[0:3], 0
	buffer_store_dword v13, off, s[0:3], 0 offset:4
	buffer_store_dword v14, off, s[0:3], 0 offset:8
	;; [unrolled: 1-line block ×3, first 2 shown]
	s_or_b32 exec_lo, exec_lo, s9
	s_and_saveexec_b32 s9, s4
	s_cbranch_execz .LBB2083_35
.LBB2083_487:
	v_lshlrev_b32_e32 v6, 4, v6
	v_add_co_u32 v12, s4, s44, v6
	v_add_co_ci_u32_e64 v13, null, s45, 0, s4
	flat_load_dwordx4 v[12:15], v[12:13]
	s_waitcnt vmcnt(0) lgkmcnt(0)
	buffer_store_dword v12, off, s[0:3], 0 offset:16
	buffer_store_dword v13, off, s[0:3], 0 offset:20
	;; [unrolled: 1-line block ×4, first 2 shown]
	s_or_b32 exec_lo, exec_lo, s9
	s_and_saveexec_b32 s4, s5
	s_cbranch_execz .LBB2083_36
.LBB2083_488:
	v_lshlrev_b32_e32 v6, 4, v9
	v_add_co_u32 v12, s5, s44, v6
	v_add_co_ci_u32_e64 v13, null, s45, 0, s5
	flat_load_dwordx4 v[12:15], v[12:13]
	s_waitcnt vmcnt(0) lgkmcnt(0)
	buffer_store_dword v12, off, s[0:3], 0 offset:32
	buffer_store_dword v13, off, s[0:3], 0 offset:36
	;; [unrolled: 1-line block ×4, first 2 shown]
	s_or_b32 exec_lo, exec_lo, s4
	s_and_saveexec_b32 s4, s7
	s_cbranch_execz .LBB2083_37
.LBB2083_489:
	v_lshlrev_b32_e32 v6, 4, v10
	v_add_co_u32 v9, s5, s44, v6
	v_add_co_ci_u32_e64 v10, null, s45, 0, s5
	flat_load_dwordx4 v[12:15], v[9:10]
	s_waitcnt vmcnt(0) lgkmcnt(0)
	buffer_store_dword v12, off, s[0:3], 0 offset:48
	buffer_store_dword v13, off, s[0:3], 0 offset:52
	;; [unrolled: 1-line block ×4, first 2 shown]
	s_or_b32 exec_lo, exec_lo, s4
	v_mul_u32_u24_e32 v6, 5, v0
	s_and_saveexec_b32 s4, s8
	s_cbranch_execnz .LBB2083_38
	s_branch .LBB2083_39
.LBB2083_490:
                                        ; implicit-def: $vgpr4
.LBB2083_491:
	s_waitcnt vmcnt(3)
	v_mov_b32_e32 v1, 0
	s_mov_b32 s5, 0
.LBB2083_492:                           ; =>This Inner Loop Header: Depth=1
	s_waitcnt vmcnt(2)
	v_mov_b32_e32 v2, s5
	s_add_i32 s5, s5, 4
	s_cmp_lg_u32 s5, 16
	buffer_store_dword v1, v2, s[0:3], 0 offen
	s_cbranch_scc1 .LBB2083_492
; %bb.493:
	s_mov_b32 s5, 0
	.p2align	6
.LBB2083_494:                           ; =>This Inner Loop Header: Depth=1
	v_add_nc_u32_e64 v1, 0x9c, s5
	v_add_nc_u32_e64 v2, 0xb0, s5
	s_waitcnt vmcnt(1)
	v_mov_b32_e32 v3, s5
	s_add_i32 s5, s5, 4
	s_clause 0x1
	buffer_load_dword v1, v1, s[0:3], 0 offen
	buffer_load_dword v2, v2, s[0:3], 0 offen
	s_cmp_lg_u32 s5, 16
	s_waitcnt vmcnt(0)
	v_add_nc_u32_e32 v1, v2, v1
	buffer_store_dword v1, v3, s[0:3], 0 offen
	s_cbranch_scc1 .LBB2083_494
; %bb.495:
	s_clause 0x3
	buffer_load_dword v1, off, s[0:3], 0
	buffer_load_dword v2, off, s[0:3], 0 offset:4
	buffer_load_dword v3, off, s[0:3], 0 offset:8
	;; [unrolled: 1-line block ×3, first 2 shown]
.LBB2083_496:
	s_waitcnt vmcnt(3)
	buffer_store_dword v1, off, s[0:3], 0 offset:176
	s_waitcnt vmcnt(2)
	buffer_store_dword v2, off, s[0:3], 0 offset:180
	;; [unrolled: 2-line block ×4, first 2 shown]
	buffer_store_byte v5, off, s[0:3], 0 offset:192
	s_and_saveexec_b32 s5, s4
	s_cbranch_execz .LBB2083_498
; %bb.497:
	v_mov_b32_e32 v6, 0
	v_mov_b32_e32 v7, 2
	global_store_dwordx4 v6, v[1:4], s[14:15] offset:640
	global_store_byte v6, v5, s[14:15] offset:656
	s_waitcnt_vscnt null, 0x0
	buffer_gl1_inv
	buffer_gl0_inv
	global_store_byte v6, v7, s[16:17] offset:32
.LBB2083_498:
	s_or_b32 exec_lo, exec_lo, s5
.LBB2083_499:
	v_mov_b32_e32 v1, 0
	s_mov_b32 s4, 0
.LBB2083_500:                           ; =>This Inner Loop Header: Depth=1
	v_mov_b32_e32 v2, s4
	s_add_i32 s4, s4, 4
	s_cmp_lg_u32 s4, 16
	buffer_store_dword v1, v2, s[0:3], 0 offen
	s_cbranch_scc1 .LBB2083_500
; %bb.501:
	v_mov_b32_e32 v1, 0
	s_mov_b32 s4, 16
.LBB2083_502:                           ; =>This Inner Loop Header: Depth=1
	v_mov_b32_e32 v2, s4
	s_add_i32 s4, s4, 4
	s_cmp_lg_u32 s4, 32
	buffer_store_dword v1, v2, s[0:3], 0 offen
	s_cbranch_scc1 .LBB2083_502
; %bb.503:
	;; [unrolled: 9-line block ×4, first 2 shown]
	v_mov_b32_e32 v1, 0
	s_mov_b32 s4, 64
.LBB2083_508:                           ; =>This Inner Loop Header: Depth=1
	v_mov_b32_e32 v2, s4
	s_add_i32 s4, s4, 4
	s_cmpk_lg_i32 s4, 0x50
	buffer_store_dword v1, v2, s[0:3], 0 offen
	s_cbranch_scc1 .LBB2083_508
; %bb.509:
	s_add_u32 s5, s26, s20
	s_addc_u32 s6, s27, s21
	s_add_u32 s5, s5, s22
	s_mov_b32 s4, 64
	s_mov_b32 s7, 48
	;; [unrolled: 1-line block ×4, first 2 shown]
	s_addc_u32 s6, s6, s23
	s_and_b32 vcc_lo, exec_lo, s39
	s_cbranch_vccz .LBB2083_525
; %bb.510:
	v_mul_u32_u24_e32 v1, 5, v0
	s_add_i32 s38, s38, s18
	s_mov_b32 s10, exec_lo
	v_cmpx_gt_u32_e64 s38, v1
	s_cbranch_execz .LBB2083_516
; %bb.511:
	s_clause 0x3
	buffer_load_dword v2, off, s[0:3], 0 offset:220
	buffer_load_dword v3, off, s[0:3], 0 offset:216
	;; [unrolled: 1-line block ×4, first 2 shown]
	v_add_nc_u32_e32 v6, 1, v1
	s_waitcnt vmcnt(3)
	buffer_store_dword v2, off, s[0:3], 0 offset:12
	s_waitcnt vmcnt(2)
	buffer_store_dword v3, off, s[0:3], 0 offset:8
	;; [unrolled: 2-line block ×3, first 2 shown]
	s_waitcnt vmcnt(0)
	buffer_store_dword v5, off, s[0:3], 0
	v_cmp_gt_u32_e32 vcc_lo, s38, v6
	s_and_b32 exec_lo, exec_lo, vcc_lo
	s_cbranch_execz .LBB2083_516
; %bb.512:
	v_mov_b32_e32 v2, s19
	v_add_nc_u32_e32 v6, 2, v1
	v_mov_b32_e32 v7, s9
	s_clause 0x3
	buffer_load_dword v3, v2, s[0:3], 0 offen offset:12
	buffer_load_dword v4, v2, s[0:3], 0 offen offset:8
	buffer_load_dword v5, v2, s[0:3], 0 offen offset:4
	buffer_load_dword v2, v2, s[0:3], 0 offen
	v_cmp_gt_u32_e32 vcc_lo, s38, v6
	s_waitcnt vmcnt(3)
	buffer_store_dword v3, v7, s[0:3], 0 offen offset:12
	s_waitcnt vmcnt(2)
	buffer_store_dword v4, v7, s[0:3], 0 offen offset:8
	s_waitcnt vmcnt(1)
	buffer_store_dword v5, v7, s[0:3], 0 offen offset:4
	s_waitcnt vmcnt(0)
	buffer_store_dword v2, v7, s[0:3], 0 offen
	s_and_b32 exec_lo, exec_lo, vcc_lo
	s_cbranch_execz .LBB2083_516
; %bb.513:
	v_mov_b32_e32 v2, s33
	v_add_nc_u32_e32 v6, 3, v1
	v_mov_b32_e32 v7, s8
	s_clause 0x3
	buffer_load_dword v3, v2, s[0:3], 0 offen offset:12
	buffer_load_dword v4, v2, s[0:3], 0 offen offset:8
	buffer_load_dword v5, v2, s[0:3], 0 offen offset:4
	buffer_load_dword v2, v2, s[0:3], 0 offen
	v_cmp_gt_u32_e32 vcc_lo, s38, v6
	s_waitcnt vmcnt(3)
	buffer_store_dword v3, v7, s[0:3], 0 offen offset:12
	s_waitcnt vmcnt(2)
	buffer_store_dword v4, v7, s[0:3], 0 offen offset:8
	s_waitcnt vmcnt(1)
	buffer_store_dword v5, v7, s[0:3], 0 offen offset:4
	s_waitcnt vmcnt(0)
	buffer_store_dword v2, v7, s[0:3], 0 offen
	;; [unrolled: 20-line block ×3, first 2 shown]
	s_and_b32 exec_lo, exec_lo, vcc_lo
	s_cbranch_execz .LBB2083_516
; %bb.515:
	v_mov_b32_e32 v2, s37
	v_mov_b32_e32 v6, s4
	s_clause 0x3
	buffer_load_dword v3, v2, s[0:3], 0 offen offset:12
	buffer_load_dword v4, v2, s[0:3], 0 offen offset:8
	;; [unrolled: 1-line block ×3, first 2 shown]
	buffer_load_dword v2, v2, s[0:3], 0 offen
	s_waitcnt vmcnt(3)
	buffer_store_dword v3, v6, s[0:3], 0 offen offset:12
	s_waitcnt vmcnt(2)
	buffer_store_dword v4, v6, s[0:3], 0 offen offset:8
	;; [unrolled: 2-line block ×3, first 2 shown]
	s_waitcnt vmcnt(0)
	buffer_store_dword v2, v6, s[0:3], 0 offen
.LBB2083_516:
	s_or_b32 exec_lo, exec_lo, s10
	v_mov_b32_e32 v25, s8
	v_mov_b32_e32 v24, s9
	;; [unrolled: 1-line block ×3, first 2 shown]
	s_waitcnt_vscnt null, 0x0
	s_barrier
	buffer_gl0_inv
	s_clause 0x7
	buffer_load_dword v4, off, s[0:3], 0
	buffer_load_dword v5, off, s[0:3], 0 offset:4
	buffer_load_dword v6, off, s[0:3], 0 offset:8
	buffer_load_dword v7, off, s[0:3], 0 offset:12
	buffer_load_dword v8, v24, s[0:3], 0 offen
	buffer_load_dword v9, v24, s[0:3], 0 offen offset:4
	buffer_load_dword v10, v24, s[0:3], 0 offen offset:8
	;; [unrolled: 1-line block ×3, first 2 shown]
	v_mov_b32_e32 v27, s4
	s_clause 0xb
	buffer_load_dword v12, v25, s[0:3], 0 offen
	buffer_load_dword v13, v25, s[0:3], 0 offen offset:4
	buffer_load_dword v14, v25, s[0:3], 0 offen offset:8
	buffer_load_dword v15, v25, s[0:3], 0 offen offset:12
	buffer_load_dword v16, v26, s[0:3], 0 offen
	buffer_load_dword v17, v26, s[0:3], 0 offen offset:4
	buffer_load_dword v18, v26, s[0:3], 0 offen offset:8
	buffer_load_dword v19, v26, s[0:3], 0 offen offset:12
	;; [unrolled: 4-line block ×3, first 2 shown]
	v_lshlrev_b32_e32 v1, 4, v1
	v_lshlrev_b32_e32 v2, 6, v0
	s_waitcnt vmcnt(16)
	ds_write_b128 v1, v[4:7]
	s_waitcnt vmcnt(12)
	ds_write_b128 v1, v[8:11] offset:16
	s_waitcnt vmcnt(8)
	ds_write_b128 v1, v[12:15] offset:32
	;; [unrolled: 2-line block ×4, first 2 shown]
	v_sub_nc_u32_e32 v3, v1, v2
	s_waitcnt lgkmcnt(0)
	s_barrier
	buffer_gl0_inv
	ds_read_b128 v[4:7], v3 offset:4096
	ds_read_b128 v[8:11], v3 offset:8192
	;; [unrolled: 1-line block ×3, first 2 shown]
	v_lshlrev_b32_e32 v1, 4, v0
	ds_read_b128 v[16:19], v3 offset:16384
	s_waitcnt lgkmcnt(3)
	buffer_store_dword v7, v24, s[0:3], 0 offen offset:12
	buffer_store_dword v6, v24, s[0:3], 0 offen offset:8
	buffer_store_dword v5, v24, s[0:3], 0 offen offset:4
	buffer_store_dword v4, v24, s[0:3], 0 offen
	s_waitcnt lgkmcnt(2)
	buffer_store_dword v11, v25, s[0:3], 0 offen offset:12
	buffer_store_dword v10, v25, s[0:3], 0 offen offset:8
	buffer_store_dword v9, v25, s[0:3], 0 offen offset:4
	buffer_store_dword v8, v25, s[0:3], 0 offen
	;; [unrolled: 5-line block ×4, first 2 shown]
	v_add_co_u32 v1, s10, s5, v1
	v_add_co_ci_u32_e64 v2, null, s6, 0, s10
	s_mov_b32 s10, exec_lo
	v_cmpx_gt_u32_e64 s38, v0
	s_cbranch_execz .LBB2083_518
; %bb.517:
	ds_read2_b32 v[5:6], v3 offset0:2 offset1:3
	ds_read2_b32 v[3:4], v3 offset1:1
	s_waitcnt lgkmcnt(0)
	flat_store_dwordx4 v[1:2], v[3:6]
.LBB2083_518:
	s_or_b32 exec_lo, exec_lo, s10
	v_or_b32_e32 v3, 0x100, v0
	s_mov_b32 s10, exec_lo
	v_cmpx_gt_u32_e64 s38, v3
	s_cbranch_execz .LBB2083_520
; %bb.519:
	v_mov_b32_e32 v6, s9
	v_add_co_u32 v7, vcc_lo, 0x1000, v1
	v_add_co_ci_u32_e64 v8, null, 0, v2, vcc_lo
	s_clause 0x3
	buffer_load_dword v3, v6, s[0:3], 0 offen
	buffer_load_dword v4, v6, s[0:3], 0 offen offset:4
	buffer_load_dword v5, v6, s[0:3], 0 offen offset:8
	buffer_load_dword v6, v6, s[0:3], 0 offen offset:12
	s_waitcnt vmcnt(0)
	flat_store_dwordx4 v[7:8], v[3:6]
.LBB2083_520:
	s_or_b32 exec_lo, exec_lo, s10
	v_or_b32_e32 v3, 0x200, v0
	s_mov_b32 s10, exec_lo
	v_cmpx_gt_u32_e64 s38, v3
	s_cbranch_execz .LBB2083_522
; %bb.521:
	v_mov_b32_e32 v6, s8
	v_add_co_u32 v7, vcc_lo, 0x2000, v1
	v_add_co_ci_u32_e64 v8, null, 0, v2, vcc_lo
	s_clause 0x3
	buffer_load_dword v3, v6, s[0:3], 0 offen
	buffer_load_dword v4, v6, s[0:3], 0 offen offset:4
	buffer_load_dword v5, v6, s[0:3], 0 offen offset:8
	buffer_load_dword v6, v6, s[0:3], 0 offen offset:12
	s_waitcnt vmcnt(0)
	flat_store_dwordx4 v[7:8], v[3:6]
.LBB2083_522:
	;; [unrolled: 17-line block ×3, first 2 shown]
	s_or_b32 exec_lo, exec_lo, s10
	v_or_b32_e32 v1, 0x400, v0
	v_cmp_gt_u32_e64 s10, s38, v1
	s_branch .LBB2083_527
.LBB2083_525:
	s_mov_b32 s10, 0
	s_cbranch_execz .LBB2083_527
; %bb.526:
	v_mov_b32_e32 v2, s33
	v_mov_b32_e32 v1, s19
	;; [unrolled: 1-line block ×4, first 2 shown]
	s_clause 0x13
	buffer_load_dword v3, off, s[0:3], 0 offset:208
	buffer_load_dword v4, off, s[0:3], 0 offset:212
	;; [unrolled: 1-line block ×4, first 2 shown]
	buffer_load_dword v7, v1, s[0:3], 0 offen
	buffer_load_dword v8, v1, s[0:3], 0 offen offset:4
	buffer_load_dword v9, v1, s[0:3], 0 offen offset:12
	buffer_load_dword v1, v1, s[0:3], 0 offen offset:8
	buffer_load_dword v12, v2, s[0:3], 0 offen offset:12
	buffer_load_dword v13, v2, s[0:3], 0 offen offset:8
	buffer_load_dword v14, v2, s[0:3], 0 offen offset:4
	buffer_load_dword v2, v2, s[0:3], 0 offen
	buffer_load_dword v15, v10, s[0:3], 0 offen offset:12
	buffer_load_dword v16, v10, s[0:3], 0 offen offset:8
	;; [unrolled: 1-line block ×3, first 2 shown]
	buffer_load_dword v10, v10, s[0:3], 0 offen
	buffer_load_dword v18, v11, s[0:3], 0 offen offset:12
	buffer_load_dword v19, v11, s[0:3], 0 offen offset:8
	;; [unrolled: 1-line block ×3, first 2 shown]
	buffer_load_dword v11, v11, s[0:3], 0 offen
	v_mov_b32_e32 v27, s9
	v_mov_b32_e32 v28, s8
	;; [unrolled: 1-line block ×4, first 2 shown]
	v_mul_u32_u24_e32 v21, 0x50, v0
	v_lshlrev_b32_e32 v22, 6, v0
	v_lshlrev_b32_e32 v23, 4, v0
	s_or_b32 s10, s10, exec_lo
	s_waitcnt vmcnt(17)
	buffer_store_dword v5, off, s[0:3], 0 offset:12
	s_waitcnt vmcnt(16)
	buffer_store_dword v6, off, s[0:3], 0 offset:8
	buffer_store_dword v4, off, s[0:3], 0 offset:4
	buffer_store_dword v3, off, s[0:3], 0
	s_waitcnt vmcnt(13)
	buffer_store_dword v9, v27, s[0:3], 0 offen offset:12
	s_waitcnt vmcnt(12)
	buffer_store_dword v1, v27, s[0:3], 0 offen offset:8
	buffer_store_dword v8, v27, s[0:3], 0 offen offset:4
	buffer_store_dword v7, v27, s[0:3], 0 offen
	s_waitcnt vmcnt(11)
	buffer_store_dword v12, v28, s[0:3], 0 offen offset:12
	s_waitcnt vmcnt(10)
	buffer_store_dword v13, v28, s[0:3], 0 offen offset:8
	s_waitcnt vmcnt(9)
	buffer_store_dword v14, v28, s[0:3], 0 offen offset:4
	s_waitcnt vmcnt(8)
	buffer_store_dword v2, v28, s[0:3], 0 offen
	s_waitcnt vmcnt(7)
	buffer_store_dword v15, v29, s[0:3], 0 offen offset:12
	s_waitcnt vmcnt(6)
	buffer_store_dword v16, v29, s[0:3], 0 offen offset:8
	s_waitcnt vmcnt(5)
	buffer_store_dword v17, v29, s[0:3], 0 offen offset:4
	s_waitcnt vmcnt(4)
	;; [unrolled: 8-line block ×3, first 2 shown]
	buffer_store_dword v11, v30, s[0:3], 0 offen
	s_waitcnt lgkmcnt(0)
	s_waitcnt_vscnt null, 0x0
	s_barrier
	buffer_gl0_inv
	s_clause 0x13
	buffer_load_dword v1, off, s[0:3], 0
	buffer_load_dword v2, off, s[0:3], 0 offset:4
	buffer_load_dword v3, off, s[0:3], 0 offset:8
	;; [unrolled: 1-line block ×3, first 2 shown]
	buffer_load_dword v5, v27, s[0:3], 0 offen
	buffer_load_dword v6, v27, s[0:3], 0 offen offset:4
	buffer_load_dword v7, v27, s[0:3], 0 offen offset:8
	buffer_load_dword v8, v27, s[0:3], 0 offen offset:12
	buffer_load_dword v9, v28, s[0:3], 0 offen
	buffer_load_dword v10, v28, s[0:3], 0 offen offset:4
	buffer_load_dword v11, v28, s[0:3], 0 offen offset:8
	buffer_load_dword v12, v28, s[0:3], 0 offen offset:12
	;; [unrolled: 4-line block ×4, first 2 shown]
	v_sub_nc_u32_e32 v25, v21, v22
	s_waitcnt vmcnt(16)
	ds_write_b128 v21, v[1:4]
	s_waitcnt vmcnt(12)
	ds_write_b128 v21, v[5:8] offset:16
	s_waitcnt vmcnt(8)
	ds_write_b128 v21, v[9:12] offset:32
	;; [unrolled: 2-line block ×4, first 2 shown]
	s_waitcnt lgkmcnt(0)
	s_barrier
	buffer_gl0_inv
	ds_read_b128 v[1:4], v25 offset:4096
	ds_read_b128 v[5:8], v25 offset:8192
	;; [unrolled: 1-line block ×4, first 2 shown]
	ds_read2_b32 v[19:20], v25 offset0:2 offset1:3
	ds_read2_b32 v[17:18], v25 offset1:1
	v_add_co_u32 v21, s7, s5, v23
	v_add_co_ci_u32_e64 v22, null, s6, 0, s7
	s_waitcnt lgkmcnt(5)
	buffer_store_dword v4, v27, s[0:3], 0 offen offset:12
	buffer_store_dword v3, v27, s[0:3], 0 offen offset:8
	buffer_store_dword v2, v27, s[0:3], 0 offen offset:4
	buffer_store_dword v1, v27, s[0:3], 0 offen
	s_waitcnt lgkmcnt(4)
	buffer_store_dword v8, v28, s[0:3], 0 offen offset:12
	buffer_store_dword v7, v28, s[0:3], 0 offen offset:8
	buffer_store_dword v6, v28, s[0:3], 0 offen offset:4
	buffer_store_dword v5, v28, s[0:3], 0 offen
	;; [unrolled: 5-line block ×4, first 2 shown]
	v_add_co_u32 v23, vcc_lo, 0x1000, v21
	v_add_co_ci_u32_e64 v24, null, 0, v22, vcc_lo
	v_add_co_u32 v25, vcc_lo, 0x2000, v21
	v_add_co_ci_u32_e64 v26, null, 0, v22, vcc_lo
	s_waitcnt lgkmcnt(0)
	flat_store_dwordx4 v[21:22], v[17:20]
	flat_store_dwordx4 v[23:24], v[1:4]
	;; [unrolled: 1-line block ×3, first 2 shown]
	s_clause 0x3
	buffer_load_dword v1, v29, s[0:3], 0 offen
	buffer_load_dword v2, v29, s[0:3], 0 offen offset:4
	buffer_load_dword v3, v29, s[0:3], 0 offen offset:8
	;; [unrolled: 1-line block ×3, first 2 shown]
	v_add_co_u32 v5, vcc_lo, 0x3000, v21
	v_add_co_ci_u32_e64 v6, null, 0, v22, vcc_lo
	s_waitcnt vmcnt(0)
	flat_store_dwordx4 v[5:6], v[1:4]
.LBB2083_527:
	s_and_saveexec_b32 s7, s10
	s_cbranch_execnz .LBB2083_529
; %bb.528:
	s_endpgm
.LBB2083_529:
	v_mov_b32_e32 v4, s4
	v_lshlrev_b32_e32 v0, 4, v0
	s_clause 0x3
	buffer_load_dword v1, v4, s[0:3], 0 offen
	buffer_load_dword v2, v4, s[0:3], 0 offen offset:4
	buffer_load_dword v3, v4, s[0:3], 0 offen offset:8
	;; [unrolled: 1-line block ×3, first 2 shown]
	v_add_co_u32 v0, s4, s5, v0
	v_add_co_ci_u32_e64 v6, null, s6, 0, s4
	v_add_co_u32 v5, vcc_lo, 0x4000, v0
	v_add_co_ci_u32_e64 v6, null, 0, v6, vcc_lo
	s_waitcnt vmcnt(0)
	flat_store_dwordx4 v[5:6], v[1:4]
	s_endpgm
	.section	.rodata,"a",@progbits
	.p2align	6, 0x0
	.amdhsa_kernel _ZN7rocprim17ROCPRIM_400000_NS6detail17trampoline_kernelINS0_14default_configENS1_27scan_by_key_config_selectorIj11FixedVectorIiLj4EEEEZZNS1_16scan_by_key_implILNS1_25lookback_scan_determinismE0ELb1ES3_N6thrust23THRUST_200600_302600_NS6detail15normal_iteratorINSB_10device_ptrIjEEEENSD_INSE_IS6_EEEESI_S6_NSB_4plusIvEENSB_8equal_toIvEES6_EE10hipError_tPvRmT2_T3_T4_T5_mT6_T7_P12ihipStream_tbENKUlT_T0_E_clISt17integral_constantIbLb0EES13_EEDaSY_SZ_EUlSY_E_NS1_11comp_targetILNS1_3genE8ELNS1_11target_archE1030ELNS1_3gpuE2ELNS1_3repE0EEENS1_30default_config_static_selectorELNS0_4arch9wavefront6targetE0EEEvT1_
		.amdhsa_group_segment_fixed_size 20480
		.amdhsa_private_segment_fixed_size 320
		.amdhsa_kernarg_size 144
		.amdhsa_user_sgpr_count 6
		.amdhsa_user_sgpr_private_segment_buffer 1
		.amdhsa_user_sgpr_dispatch_ptr 0
		.amdhsa_user_sgpr_queue_ptr 0
		.amdhsa_user_sgpr_kernarg_segment_ptr 1
		.amdhsa_user_sgpr_dispatch_id 0
		.amdhsa_user_sgpr_flat_scratch_init 0
		.amdhsa_user_sgpr_private_segment_size 0
		.amdhsa_wavefront_size32 1
		.amdhsa_uses_dynamic_stack 0
		.amdhsa_system_sgpr_private_segment_wavefront_offset 1
		.amdhsa_system_sgpr_workgroup_id_x 1
		.amdhsa_system_sgpr_workgroup_id_y 0
		.amdhsa_system_sgpr_workgroup_id_z 0
		.amdhsa_system_sgpr_workgroup_info 0
		.amdhsa_system_vgpr_workitem_id 0
		.amdhsa_next_free_vgpr 65
		.amdhsa_next_free_sgpr 49
		.amdhsa_reserve_vcc 1
		.amdhsa_reserve_flat_scratch 1
		.amdhsa_float_round_mode_32 0
		.amdhsa_float_round_mode_16_64 0
		.amdhsa_float_denorm_mode_32 3
		.amdhsa_float_denorm_mode_16_64 3
		.amdhsa_dx10_clamp 1
		.amdhsa_ieee_mode 1
		.amdhsa_fp16_overflow 0
		.amdhsa_workgroup_processor_mode 1
		.amdhsa_memory_ordered 1
		.amdhsa_forward_progress 1
		.amdhsa_shared_vgpr_count 0
		.amdhsa_exception_fp_ieee_invalid_op 0
		.amdhsa_exception_fp_denorm_src 0
		.amdhsa_exception_fp_ieee_div_zero 0
		.amdhsa_exception_fp_ieee_overflow 0
		.amdhsa_exception_fp_ieee_underflow 0
		.amdhsa_exception_fp_ieee_inexact 0
		.amdhsa_exception_int_div_zero 0
	.end_amdhsa_kernel
	.section	.text._ZN7rocprim17ROCPRIM_400000_NS6detail17trampoline_kernelINS0_14default_configENS1_27scan_by_key_config_selectorIj11FixedVectorIiLj4EEEEZZNS1_16scan_by_key_implILNS1_25lookback_scan_determinismE0ELb1ES3_N6thrust23THRUST_200600_302600_NS6detail15normal_iteratorINSB_10device_ptrIjEEEENSD_INSE_IS6_EEEESI_S6_NSB_4plusIvEENSB_8equal_toIvEES6_EE10hipError_tPvRmT2_T3_T4_T5_mT6_T7_P12ihipStream_tbENKUlT_T0_E_clISt17integral_constantIbLb0EES13_EEDaSY_SZ_EUlSY_E_NS1_11comp_targetILNS1_3genE8ELNS1_11target_archE1030ELNS1_3gpuE2ELNS1_3repE0EEENS1_30default_config_static_selectorELNS0_4arch9wavefront6targetE0EEEvT1_,"axG",@progbits,_ZN7rocprim17ROCPRIM_400000_NS6detail17trampoline_kernelINS0_14default_configENS1_27scan_by_key_config_selectorIj11FixedVectorIiLj4EEEEZZNS1_16scan_by_key_implILNS1_25lookback_scan_determinismE0ELb1ES3_N6thrust23THRUST_200600_302600_NS6detail15normal_iteratorINSB_10device_ptrIjEEEENSD_INSE_IS6_EEEESI_S6_NSB_4plusIvEENSB_8equal_toIvEES6_EE10hipError_tPvRmT2_T3_T4_T5_mT6_T7_P12ihipStream_tbENKUlT_T0_E_clISt17integral_constantIbLb0EES13_EEDaSY_SZ_EUlSY_E_NS1_11comp_targetILNS1_3genE8ELNS1_11target_archE1030ELNS1_3gpuE2ELNS1_3repE0EEENS1_30default_config_static_selectorELNS0_4arch9wavefront6targetE0EEEvT1_,comdat
.Lfunc_end2083:
	.size	_ZN7rocprim17ROCPRIM_400000_NS6detail17trampoline_kernelINS0_14default_configENS1_27scan_by_key_config_selectorIj11FixedVectorIiLj4EEEEZZNS1_16scan_by_key_implILNS1_25lookback_scan_determinismE0ELb1ES3_N6thrust23THRUST_200600_302600_NS6detail15normal_iteratorINSB_10device_ptrIjEEEENSD_INSE_IS6_EEEESI_S6_NSB_4plusIvEENSB_8equal_toIvEES6_EE10hipError_tPvRmT2_T3_T4_T5_mT6_T7_P12ihipStream_tbENKUlT_T0_E_clISt17integral_constantIbLb0EES13_EEDaSY_SZ_EUlSY_E_NS1_11comp_targetILNS1_3genE8ELNS1_11target_archE1030ELNS1_3gpuE2ELNS1_3repE0EEENS1_30default_config_static_selectorELNS0_4arch9wavefront6targetE0EEEvT1_, .Lfunc_end2083-_ZN7rocprim17ROCPRIM_400000_NS6detail17trampoline_kernelINS0_14default_configENS1_27scan_by_key_config_selectorIj11FixedVectorIiLj4EEEEZZNS1_16scan_by_key_implILNS1_25lookback_scan_determinismE0ELb1ES3_N6thrust23THRUST_200600_302600_NS6detail15normal_iteratorINSB_10device_ptrIjEEEENSD_INSE_IS6_EEEESI_S6_NSB_4plusIvEENSB_8equal_toIvEES6_EE10hipError_tPvRmT2_T3_T4_T5_mT6_T7_P12ihipStream_tbENKUlT_T0_E_clISt17integral_constantIbLb0EES13_EEDaSY_SZ_EUlSY_E_NS1_11comp_targetILNS1_3genE8ELNS1_11target_archE1030ELNS1_3gpuE2ELNS1_3repE0EEENS1_30default_config_static_selectorELNS0_4arch9wavefront6targetE0EEEvT1_
                                        ; -- End function
	.set _ZN7rocprim17ROCPRIM_400000_NS6detail17trampoline_kernelINS0_14default_configENS1_27scan_by_key_config_selectorIj11FixedVectorIiLj4EEEEZZNS1_16scan_by_key_implILNS1_25lookback_scan_determinismE0ELb1ES3_N6thrust23THRUST_200600_302600_NS6detail15normal_iteratorINSB_10device_ptrIjEEEENSD_INSE_IS6_EEEESI_S6_NSB_4plusIvEENSB_8equal_toIvEES6_EE10hipError_tPvRmT2_T3_T4_T5_mT6_T7_P12ihipStream_tbENKUlT_T0_E_clISt17integral_constantIbLb0EES13_EEDaSY_SZ_EUlSY_E_NS1_11comp_targetILNS1_3genE8ELNS1_11target_archE1030ELNS1_3gpuE2ELNS1_3repE0EEENS1_30default_config_static_selectorELNS0_4arch9wavefront6targetE0EEEvT1_.num_vgpr, 34
	.set _ZN7rocprim17ROCPRIM_400000_NS6detail17trampoline_kernelINS0_14default_configENS1_27scan_by_key_config_selectorIj11FixedVectorIiLj4EEEEZZNS1_16scan_by_key_implILNS1_25lookback_scan_determinismE0ELb1ES3_N6thrust23THRUST_200600_302600_NS6detail15normal_iteratorINSB_10device_ptrIjEEEENSD_INSE_IS6_EEEESI_S6_NSB_4plusIvEENSB_8equal_toIvEES6_EE10hipError_tPvRmT2_T3_T4_T5_mT6_T7_P12ihipStream_tbENKUlT_T0_E_clISt17integral_constantIbLb0EES13_EEDaSY_SZ_EUlSY_E_NS1_11comp_targetILNS1_3genE8ELNS1_11target_archE1030ELNS1_3gpuE2ELNS1_3repE0EEENS1_30default_config_static_selectorELNS0_4arch9wavefront6targetE0EEEvT1_.num_agpr, 0
	.set _ZN7rocprim17ROCPRIM_400000_NS6detail17trampoline_kernelINS0_14default_configENS1_27scan_by_key_config_selectorIj11FixedVectorIiLj4EEEEZZNS1_16scan_by_key_implILNS1_25lookback_scan_determinismE0ELb1ES3_N6thrust23THRUST_200600_302600_NS6detail15normal_iteratorINSB_10device_ptrIjEEEENSD_INSE_IS6_EEEESI_S6_NSB_4plusIvEENSB_8equal_toIvEES6_EE10hipError_tPvRmT2_T3_T4_T5_mT6_T7_P12ihipStream_tbENKUlT_T0_E_clISt17integral_constantIbLb0EES13_EEDaSY_SZ_EUlSY_E_NS1_11comp_targetILNS1_3genE8ELNS1_11target_archE1030ELNS1_3gpuE2ELNS1_3repE0EEENS1_30default_config_static_selectorELNS0_4arch9wavefront6targetE0EEEvT1_.numbered_sgpr, 49
	.set _ZN7rocprim17ROCPRIM_400000_NS6detail17trampoline_kernelINS0_14default_configENS1_27scan_by_key_config_selectorIj11FixedVectorIiLj4EEEEZZNS1_16scan_by_key_implILNS1_25lookback_scan_determinismE0ELb1ES3_N6thrust23THRUST_200600_302600_NS6detail15normal_iteratorINSB_10device_ptrIjEEEENSD_INSE_IS6_EEEESI_S6_NSB_4plusIvEENSB_8equal_toIvEES6_EE10hipError_tPvRmT2_T3_T4_T5_mT6_T7_P12ihipStream_tbENKUlT_T0_E_clISt17integral_constantIbLb0EES13_EEDaSY_SZ_EUlSY_E_NS1_11comp_targetILNS1_3genE8ELNS1_11target_archE1030ELNS1_3gpuE2ELNS1_3repE0EEENS1_30default_config_static_selectorELNS0_4arch9wavefront6targetE0EEEvT1_.num_named_barrier, 0
	.set _ZN7rocprim17ROCPRIM_400000_NS6detail17trampoline_kernelINS0_14default_configENS1_27scan_by_key_config_selectorIj11FixedVectorIiLj4EEEEZZNS1_16scan_by_key_implILNS1_25lookback_scan_determinismE0ELb1ES3_N6thrust23THRUST_200600_302600_NS6detail15normal_iteratorINSB_10device_ptrIjEEEENSD_INSE_IS6_EEEESI_S6_NSB_4plusIvEENSB_8equal_toIvEES6_EE10hipError_tPvRmT2_T3_T4_T5_mT6_T7_P12ihipStream_tbENKUlT_T0_E_clISt17integral_constantIbLb0EES13_EEDaSY_SZ_EUlSY_E_NS1_11comp_targetILNS1_3genE8ELNS1_11target_archE1030ELNS1_3gpuE2ELNS1_3repE0EEENS1_30default_config_static_selectorELNS0_4arch9wavefront6targetE0EEEvT1_.private_seg_size, 320
	.set _ZN7rocprim17ROCPRIM_400000_NS6detail17trampoline_kernelINS0_14default_configENS1_27scan_by_key_config_selectorIj11FixedVectorIiLj4EEEEZZNS1_16scan_by_key_implILNS1_25lookback_scan_determinismE0ELb1ES3_N6thrust23THRUST_200600_302600_NS6detail15normal_iteratorINSB_10device_ptrIjEEEENSD_INSE_IS6_EEEESI_S6_NSB_4plusIvEENSB_8equal_toIvEES6_EE10hipError_tPvRmT2_T3_T4_T5_mT6_T7_P12ihipStream_tbENKUlT_T0_E_clISt17integral_constantIbLb0EES13_EEDaSY_SZ_EUlSY_E_NS1_11comp_targetILNS1_3genE8ELNS1_11target_archE1030ELNS1_3gpuE2ELNS1_3repE0EEENS1_30default_config_static_selectorELNS0_4arch9wavefront6targetE0EEEvT1_.uses_vcc, 1
	.set _ZN7rocprim17ROCPRIM_400000_NS6detail17trampoline_kernelINS0_14default_configENS1_27scan_by_key_config_selectorIj11FixedVectorIiLj4EEEEZZNS1_16scan_by_key_implILNS1_25lookback_scan_determinismE0ELb1ES3_N6thrust23THRUST_200600_302600_NS6detail15normal_iteratorINSB_10device_ptrIjEEEENSD_INSE_IS6_EEEESI_S6_NSB_4plusIvEENSB_8equal_toIvEES6_EE10hipError_tPvRmT2_T3_T4_T5_mT6_T7_P12ihipStream_tbENKUlT_T0_E_clISt17integral_constantIbLb0EES13_EEDaSY_SZ_EUlSY_E_NS1_11comp_targetILNS1_3genE8ELNS1_11target_archE1030ELNS1_3gpuE2ELNS1_3repE0EEENS1_30default_config_static_selectorELNS0_4arch9wavefront6targetE0EEEvT1_.uses_flat_scratch, 1
	.set _ZN7rocprim17ROCPRIM_400000_NS6detail17trampoline_kernelINS0_14default_configENS1_27scan_by_key_config_selectorIj11FixedVectorIiLj4EEEEZZNS1_16scan_by_key_implILNS1_25lookback_scan_determinismE0ELb1ES3_N6thrust23THRUST_200600_302600_NS6detail15normal_iteratorINSB_10device_ptrIjEEEENSD_INSE_IS6_EEEESI_S6_NSB_4plusIvEENSB_8equal_toIvEES6_EE10hipError_tPvRmT2_T3_T4_T5_mT6_T7_P12ihipStream_tbENKUlT_T0_E_clISt17integral_constantIbLb0EES13_EEDaSY_SZ_EUlSY_E_NS1_11comp_targetILNS1_3genE8ELNS1_11target_archE1030ELNS1_3gpuE2ELNS1_3repE0EEENS1_30default_config_static_selectorELNS0_4arch9wavefront6targetE0EEEvT1_.has_dyn_sized_stack, 0
	.set _ZN7rocprim17ROCPRIM_400000_NS6detail17trampoline_kernelINS0_14default_configENS1_27scan_by_key_config_selectorIj11FixedVectorIiLj4EEEEZZNS1_16scan_by_key_implILNS1_25lookback_scan_determinismE0ELb1ES3_N6thrust23THRUST_200600_302600_NS6detail15normal_iteratorINSB_10device_ptrIjEEEENSD_INSE_IS6_EEEESI_S6_NSB_4plusIvEENSB_8equal_toIvEES6_EE10hipError_tPvRmT2_T3_T4_T5_mT6_T7_P12ihipStream_tbENKUlT_T0_E_clISt17integral_constantIbLb0EES13_EEDaSY_SZ_EUlSY_E_NS1_11comp_targetILNS1_3genE8ELNS1_11target_archE1030ELNS1_3gpuE2ELNS1_3repE0EEENS1_30default_config_static_selectorELNS0_4arch9wavefront6targetE0EEEvT1_.has_recursion, 0
	.set _ZN7rocprim17ROCPRIM_400000_NS6detail17trampoline_kernelINS0_14default_configENS1_27scan_by_key_config_selectorIj11FixedVectorIiLj4EEEEZZNS1_16scan_by_key_implILNS1_25lookback_scan_determinismE0ELb1ES3_N6thrust23THRUST_200600_302600_NS6detail15normal_iteratorINSB_10device_ptrIjEEEENSD_INSE_IS6_EEEESI_S6_NSB_4plusIvEENSB_8equal_toIvEES6_EE10hipError_tPvRmT2_T3_T4_T5_mT6_T7_P12ihipStream_tbENKUlT_T0_E_clISt17integral_constantIbLb0EES13_EEDaSY_SZ_EUlSY_E_NS1_11comp_targetILNS1_3genE8ELNS1_11target_archE1030ELNS1_3gpuE2ELNS1_3repE0EEENS1_30default_config_static_selectorELNS0_4arch9wavefront6targetE0EEEvT1_.has_indirect_call, 0
	.section	.AMDGPU.csdata,"",@progbits
; Kernel info:
; codeLenInByte = 30260
; TotalNumSgprs: 51
; NumVgprs: 34
; ScratchSize: 320
; MemoryBound: 1
; FloatMode: 240
; IeeeMode: 1
; LDSByteSize: 20480 bytes/workgroup (compile time only)
; SGPRBlocks: 0
; VGPRBlocks: 8
; NumSGPRsForWavesPerEU: 51
; NumVGPRsForWavesPerEU: 65
; Occupancy: 12
; WaveLimiterHint : 1
; COMPUTE_PGM_RSRC2:SCRATCH_EN: 1
; COMPUTE_PGM_RSRC2:USER_SGPR: 6
; COMPUTE_PGM_RSRC2:TRAP_HANDLER: 0
; COMPUTE_PGM_RSRC2:TGID_X_EN: 1
; COMPUTE_PGM_RSRC2:TGID_Y_EN: 0
; COMPUTE_PGM_RSRC2:TGID_Z_EN: 0
; COMPUTE_PGM_RSRC2:TIDIG_COMP_CNT: 0
	.section	.text._ZN7rocprim17ROCPRIM_400000_NS6detail17trampoline_kernelINS0_14default_configENS1_27scan_by_key_config_selectorIj11FixedVectorIiLj4EEEEZZNS1_16scan_by_key_implILNS1_25lookback_scan_determinismE0ELb1ES3_N6thrust23THRUST_200600_302600_NS6detail15normal_iteratorINSB_10device_ptrIjEEEENSD_INSE_IS6_EEEESI_S6_NSB_4plusIvEENSB_8equal_toIvEES6_EE10hipError_tPvRmT2_T3_T4_T5_mT6_T7_P12ihipStream_tbENKUlT_T0_E_clISt17integral_constantIbLb1EES13_EEDaSY_SZ_EUlSY_E_NS1_11comp_targetILNS1_3genE0ELNS1_11target_archE4294967295ELNS1_3gpuE0ELNS1_3repE0EEENS1_30default_config_static_selectorELNS0_4arch9wavefront6targetE0EEEvT1_,"axG",@progbits,_ZN7rocprim17ROCPRIM_400000_NS6detail17trampoline_kernelINS0_14default_configENS1_27scan_by_key_config_selectorIj11FixedVectorIiLj4EEEEZZNS1_16scan_by_key_implILNS1_25lookback_scan_determinismE0ELb1ES3_N6thrust23THRUST_200600_302600_NS6detail15normal_iteratorINSB_10device_ptrIjEEEENSD_INSE_IS6_EEEESI_S6_NSB_4plusIvEENSB_8equal_toIvEES6_EE10hipError_tPvRmT2_T3_T4_T5_mT6_T7_P12ihipStream_tbENKUlT_T0_E_clISt17integral_constantIbLb1EES13_EEDaSY_SZ_EUlSY_E_NS1_11comp_targetILNS1_3genE0ELNS1_11target_archE4294967295ELNS1_3gpuE0ELNS1_3repE0EEENS1_30default_config_static_selectorELNS0_4arch9wavefront6targetE0EEEvT1_,comdat
	.protected	_ZN7rocprim17ROCPRIM_400000_NS6detail17trampoline_kernelINS0_14default_configENS1_27scan_by_key_config_selectorIj11FixedVectorIiLj4EEEEZZNS1_16scan_by_key_implILNS1_25lookback_scan_determinismE0ELb1ES3_N6thrust23THRUST_200600_302600_NS6detail15normal_iteratorINSB_10device_ptrIjEEEENSD_INSE_IS6_EEEESI_S6_NSB_4plusIvEENSB_8equal_toIvEES6_EE10hipError_tPvRmT2_T3_T4_T5_mT6_T7_P12ihipStream_tbENKUlT_T0_E_clISt17integral_constantIbLb1EES13_EEDaSY_SZ_EUlSY_E_NS1_11comp_targetILNS1_3genE0ELNS1_11target_archE4294967295ELNS1_3gpuE0ELNS1_3repE0EEENS1_30default_config_static_selectorELNS0_4arch9wavefront6targetE0EEEvT1_ ; -- Begin function _ZN7rocprim17ROCPRIM_400000_NS6detail17trampoline_kernelINS0_14default_configENS1_27scan_by_key_config_selectorIj11FixedVectorIiLj4EEEEZZNS1_16scan_by_key_implILNS1_25lookback_scan_determinismE0ELb1ES3_N6thrust23THRUST_200600_302600_NS6detail15normal_iteratorINSB_10device_ptrIjEEEENSD_INSE_IS6_EEEESI_S6_NSB_4plusIvEENSB_8equal_toIvEES6_EE10hipError_tPvRmT2_T3_T4_T5_mT6_T7_P12ihipStream_tbENKUlT_T0_E_clISt17integral_constantIbLb1EES13_EEDaSY_SZ_EUlSY_E_NS1_11comp_targetILNS1_3genE0ELNS1_11target_archE4294967295ELNS1_3gpuE0ELNS1_3repE0EEENS1_30default_config_static_selectorELNS0_4arch9wavefront6targetE0EEEvT1_
	.globl	_ZN7rocprim17ROCPRIM_400000_NS6detail17trampoline_kernelINS0_14default_configENS1_27scan_by_key_config_selectorIj11FixedVectorIiLj4EEEEZZNS1_16scan_by_key_implILNS1_25lookback_scan_determinismE0ELb1ES3_N6thrust23THRUST_200600_302600_NS6detail15normal_iteratorINSB_10device_ptrIjEEEENSD_INSE_IS6_EEEESI_S6_NSB_4plusIvEENSB_8equal_toIvEES6_EE10hipError_tPvRmT2_T3_T4_T5_mT6_T7_P12ihipStream_tbENKUlT_T0_E_clISt17integral_constantIbLb1EES13_EEDaSY_SZ_EUlSY_E_NS1_11comp_targetILNS1_3genE0ELNS1_11target_archE4294967295ELNS1_3gpuE0ELNS1_3repE0EEENS1_30default_config_static_selectorELNS0_4arch9wavefront6targetE0EEEvT1_
	.p2align	8
	.type	_ZN7rocprim17ROCPRIM_400000_NS6detail17trampoline_kernelINS0_14default_configENS1_27scan_by_key_config_selectorIj11FixedVectorIiLj4EEEEZZNS1_16scan_by_key_implILNS1_25lookback_scan_determinismE0ELb1ES3_N6thrust23THRUST_200600_302600_NS6detail15normal_iteratorINSB_10device_ptrIjEEEENSD_INSE_IS6_EEEESI_S6_NSB_4plusIvEENSB_8equal_toIvEES6_EE10hipError_tPvRmT2_T3_T4_T5_mT6_T7_P12ihipStream_tbENKUlT_T0_E_clISt17integral_constantIbLb1EES13_EEDaSY_SZ_EUlSY_E_NS1_11comp_targetILNS1_3genE0ELNS1_11target_archE4294967295ELNS1_3gpuE0ELNS1_3repE0EEENS1_30default_config_static_selectorELNS0_4arch9wavefront6targetE0EEEvT1_,@function
_ZN7rocprim17ROCPRIM_400000_NS6detail17trampoline_kernelINS0_14default_configENS1_27scan_by_key_config_selectorIj11FixedVectorIiLj4EEEEZZNS1_16scan_by_key_implILNS1_25lookback_scan_determinismE0ELb1ES3_N6thrust23THRUST_200600_302600_NS6detail15normal_iteratorINSB_10device_ptrIjEEEENSD_INSE_IS6_EEEESI_S6_NSB_4plusIvEENSB_8equal_toIvEES6_EE10hipError_tPvRmT2_T3_T4_T5_mT6_T7_P12ihipStream_tbENKUlT_T0_E_clISt17integral_constantIbLb1EES13_EEDaSY_SZ_EUlSY_E_NS1_11comp_targetILNS1_3genE0ELNS1_11target_archE4294967295ELNS1_3gpuE0ELNS1_3repE0EEENS1_30default_config_static_selectorELNS0_4arch9wavefront6targetE0EEEvT1_: ; @_ZN7rocprim17ROCPRIM_400000_NS6detail17trampoline_kernelINS0_14default_configENS1_27scan_by_key_config_selectorIj11FixedVectorIiLj4EEEEZZNS1_16scan_by_key_implILNS1_25lookback_scan_determinismE0ELb1ES3_N6thrust23THRUST_200600_302600_NS6detail15normal_iteratorINSB_10device_ptrIjEEEENSD_INSE_IS6_EEEESI_S6_NSB_4plusIvEENSB_8equal_toIvEES6_EE10hipError_tPvRmT2_T3_T4_T5_mT6_T7_P12ihipStream_tbENKUlT_T0_E_clISt17integral_constantIbLb1EES13_EEDaSY_SZ_EUlSY_E_NS1_11comp_targetILNS1_3genE0ELNS1_11target_archE4294967295ELNS1_3gpuE0ELNS1_3repE0EEENS1_30default_config_static_selectorELNS0_4arch9wavefront6targetE0EEEvT1_
; %bb.0:
	.section	.rodata,"a",@progbits
	.p2align	6, 0x0
	.amdhsa_kernel _ZN7rocprim17ROCPRIM_400000_NS6detail17trampoline_kernelINS0_14default_configENS1_27scan_by_key_config_selectorIj11FixedVectorIiLj4EEEEZZNS1_16scan_by_key_implILNS1_25lookback_scan_determinismE0ELb1ES3_N6thrust23THRUST_200600_302600_NS6detail15normal_iteratorINSB_10device_ptrIjEEEENSD_INSE_IS6_EEEESI_S6_NSB_4plusIvEENSB_8equal_toIvEES6_EE10hipError_tPvRmT2_T3_T4_T5_mT6_T7_P12ihipStream_tbENKUlT_T0_E_clISt17integral_constantIbLb1EES13_EEDaSY_SZ_EUlSY_E_NS1_11comp_targetILNS1_3genE0ELNS1_11target_archE4294967295ELNS1_3gpuE0ELNS1_3repE0EEENS1_30default_config_static_selectorELNS0_4arch9wavefront6targetE0EEEvT1_
		.amdhsa_group_segment_fixed_size 0
		.amdhsa_private_segment_fixed_size 0
		.amdhsa_kernarg_size 144
		.amdhsa_user_sgpr_count 6
		.amdhsa_user_sgpr_private_segment_buffer 1
		.amdhsa_user_sgpr_dispatch_ptr 0
		.amdhsa_user_sgpr_queue_ptr 0
		.amdhsa_user_sgpr_kernarg_segment_ptr 1
		.amdhsa_user_sgpr_dispatch_id 0
		.amdhsa_user_sgpr_flat_scratch_init 0
		.amdhsa_user_sgpr_private_segment_size 0
		.amdhsa_wavefront_size32 1
		.amdhsa_uses_dynamic_stack 0
		.amdhsa_system_sgpr_private_segment_wavefront_offset 0
		.amdhsa_system_sgpr_workgroup_id_x 1
		.amdhsa_system_sgpr_workgroup_id_y 0
		.amdhsa_system_sgpr_workgroup_id_z 0
		.amdhsa_system_sgpr_workgroup_info 0
		.amdhsa_system_vgpr_workitem_id 0
		.amdhsa_next_free_vgpr 1
		.amdhsa_next_free_sgpr 1
		.amdhsa_reserve_vcc 0
		.amdhsa_reserve_flat_scratch 0
		.amdhsa_float_round_mode_32 0
		.amdhsa_float_round_mode_16_64 0
		.amdhsa_float_denorm_mode_32 3
		.amdhsa_float_denorm_mode_16_64 3
		.amdhsa_dx10_clamp 1
		.amdhsa_ieee_mode 1
		.amdhsa_fp16_overflow 0
		.amdhsa_workgroup_processor_mode 1
		.amdhsa_memory_ordered 1
		.amdhsa_forward_progress 1
		.amdhsa_shared_vgpr_count 0
		.amdhsa_exception_fp_ieee_invalid_op 0
		.amdhsa_exception_fp_denorm_src 0
		.amdhsa_exception_fp_ieee_div_zero 0
		.amdhsa_exception_fp_ieee_overflow 0
		.amdhsa_exception_fp_ieee_underflow 0
		.amdhsa_exception_fp_ieee_inexact 0
		.amdhsa_exception_int_div_zero 0
	.end_amdhsa_kernel
	.section	.text._ZN7rocprim17ROCPRIM_400000_NS6detail17trampoline_kernelINS0_14default_configENS1_27scan_by_key_config_selectorIj11FixedVectorIiLj4EEEEZZNS1_16scan_by_key_implILNS1_25lookback_scan_determinismE0ELb1ES3_N6thrust23THRUST_200600_302600_NS6detail15normal_iteratorINSB_10device_ptrIjEEEENSD_INSE_IS6_EEEESI_S6_NSB_4plusIvEENSB_8equal_toIvEES6_EE10hipError_tPvRmT2_T3_T4_T5_mT6_T7_P12ihipStream_tbENKUlT_T0_E_clISt17integral_constantIbLb1EES13_EEDaSY_SZ_EUlSY_E_NS1_11comp_targetILNS1_3genE0ELNS1_11target_archE4294967295ELNS1_3gpuE0ELNS1_3repE0EEENS1_30default_config_static_selectorELNS0_4arch9wavefront6targetE0EEEvT1_,"axG",@progbits,_ZN7rocprim17ROCPRIM_400000_NS6detail17trampoline_kernelINS0_14default_configENS1_27scan_by_key_config_selectorIj11FixedVectorIiLj4EEEEZZNS1_16scan_by_key_implILNS1_25lookback_scan_determinismE0ELb1ES3_N6thrust23THRUST_200600_302600_NS6detail15normal_iteratorINSB_10device_ptrIjEEEENSD_INSE_IS6_EEEESI_S6_NSB_4plusIvEENSB_8equal_toIvEES6_EE10hipError_tPvRmT2_T3_T4_T5_mT6_T7_P12ihipStream_tbENKUlT_T0_E_clISt17integral_constantIbLb1EES13_EEDaSY_SZ_EUlSY_E_NS1_11comp_targetILNS1_3genE0ELNS1_11target_archE4294967295ELNS1_3gpuE0ELNS1_3repE0EEENS1_30default_config_static_selectorELNS0_4arch9wavefront6targetE0EEEvT1_,comdat
.Lfunc_end2084:
	.size	_ZN7rocprim17ROCPRIM_400000_NS6detail17trampoline_kernelINS0_14default_configENS1_27scan_by_key_config_selectorIj11FixedVectorIiLj4EEEEZZNS1_16scan_by_key_implILNS1_25lookback_scan_determinismE0ELb1ES3_N6thrust23THRUST_200600_302600_NS6detail15normal_iteratorINSB_10device_ptrIjEEEENSD_INSE_IS6_EEEESI_S6_NSB_4plusIvEENSB_8equal_toIvEES6_EE10hipError_tPvRmT2_T3_T4_T5_mT6_T7_P12ihipStream_tbENKUlT_T0_E_clISt17integral_constantIbLb1EES13_EEDaSY_SZ_EUlSY_E_NS1_11comp_targetILNS1_3genE0ELNS1_11target_archE4294967295ELNS1_3gpuE0ELNS1_3repE0EEENS1_30default_config_static_selectorELNS0_4arch9wavefront6targetE0EEEvT1_, .Lfunc_end2084-_ZN7rocprim17ROCPRIM_400000_NS6detail17trampoline_kernelINS0_14default_configENS1_27scan_by_key_config_selectorIj11FixedVectorIiLj4EEEEZZNS1_16scan_by_key_implILNS1_25lookback_scan_determinismE0ELb1ES3_N6thrust23THRUST_200600_302600_NS6detail15normal_iteratorINSB_10device_ptrIjEEEENSD_INSE_IS6_EEEESI_S6_NSB_4plusIvEENSB_8equal_toIvEES6_EE10hipError_tPvRmT2_T3_T4_T5_mT6_T7_P12ihipStream_tbENKUlT_T0_E_clISt17integral_constantIbLb1EES13_EEDaSY_SZ_EUlSY_E_NS1_11comp_targetILNS1_3genE0ELNS1_11target_archE4294967295ELNS1_3gpuE0ELNS1_3repE0EEENS1_30default_config_static_selectorELNS0_4arch9wavefront6targetE0EEEvT1_
                                        ; -- End function
	.set _ZN7rocprim17ROCPRIM_400000_NS6detail17trampoline_kernelINS0_14default_configENS1_27scan_by_key_config_selectorIj11FixedVectorIiLj4EEEEZZNS1_16scan_by_key_implILNS1_25lookback_scan_determinismE0ELb1ES3_N6thrust23THRUST_200600_302600_NS6detail15normal_iteratorINSB_10device_ptrIjEEEENSD_INSE_IS6_EEEESI_S6_NSB_4plusIvEENSB_8equal_toIvEES6_EE10hipError_tPvRmT2_T3_T4_T5_mT6_T7_P12ihipStream_tbENKUlT_T0_E_clISt17integral_constantIbLb1EES13_EEDaSY_SZ_EUlSY_E_NS1_11comp_targetILNS1_3genE0ELNS1_11target_archE4294967295ELNS1_3gpuE0ELNS1_3repE0EEENS1_30default_config_static_selectorELNS0_4arch9wavefront6targetE0EEEvT1_.num_vgpr, 0
	.set _ZN7rocprim17ROCPRIM_400000_NS6detail17trampoline_kernelINS0_14default_configENS1_27scan_by_key_config_selectorIj11FixedVectorIiLj4EEEEZZNS1_16scan_by_key_implILNS1_25lookback_scan_determinismE0ELb1ES3_N6thrust23THRUST_200600_302600_NS6detail15normal_iteratorINSB_10device_ptrIjEEEENSD_INSE_IS6_EEEESI_S6_NSB_4plusIvEENSB_8equal_toIvEES6_EE10hipError_tPvRmT2_T3_T4_T5_mT6_T7_P12ihipStream_tbENKUlT_T0_E_clISt17integral_constantIbLb1EES13_EEDaSY_SZ_EUlSY_E_NS1_11comp_targetILNS1_3genE0ELNS1_11target_archE4294967295ELNS1_3gpuE0ELNS1_3repE0EEENS1_30default_config_static_selectorELNS0_4arch9wavefront6targetE0EEEvT1_.num_agpr, 0
	.set _ZN7rocprim17ROCPRIM_400000_NS6detail17trampoline_kernelINS0_14default_configENS1_27scan_by_key_config_selectorIj11FixedVectorIiLj4EEEEZZNS1_16scan_by_key_implILNS1_25lookback_scan_determinismE0ELb1ES3_N6thrust23THRUST_200600_302600_NS6detail15normal_iteratorINSB_10device_ptrIjEEEENSD_INSE_IS6_EEEESI_S6_NSB_4plusIvEENSB_8equal_toIvEES6_EE10hipError_tPvRmT2_T3_T4_T5_mT6_T7_P12ihipStream_tbENKUlT_T0_E_clISt17integral_constantIbLb1EES13_EEDaSY_SZ_EUlSY_E_NS1_11comp_targetILNS1_3genE0ELNS1_11target_archE4294967295ELNS1_3gpuE0ELNS1_3repE0EEENS1_30default_config_static_selectorELNS0_4arch9wavefront6targetE0EEEvT1_.numbered_sgpr, 0
	.set _ZN7rocprim17ROCPRIM_400000_NS6detail17trampoline_kernelINS0_14default_configENS1_27scan_by_key_config_selectorIj11FixedVectorIiLj4EEEEZZNS1_16scan_by_key_implILNS1_25lookback_scan_determinismE0ELb1ES3_N6thrust23THRUST_200600_302600_NS6detail15normal_iteratorINSB_10device_ptrIjEEEENSD_INSE_IS6_EEEESI_S6_NSB_4plusIvEENSB_8equal_toIvEES6_EE10hipError_tPvRmT2_T3_T4_T5_mT6_T7_P12ihipStream_tbENKUlT_T0_E_clISt17integral_constantIbLb1EES13_EEDaSY_SZ_EUlSY_E_NS1_11comp_targetILNS1_3genE0ELNS1_11target_archE4294967295ELNS1_3gpuE0ELNS1_3repE0EEENS1_30default_config_static_selectorELNS0_4arch9wavefront6targetE0EEEvT1_.num_named_barrier, 0
	.set _ZN7rocprim17ROCPRIM_400000_NS6detail17trampoline_kernelINS0_14default_configENS1_27scan_by_key_config_selectorIj11FixedVectorIiLj4EEEEZZNS1_16scan_by_key_implILNS1_25lookback_scan_determinismE0ELb1ES3_N6thrust23THRUST_200600_302600_NS6detail15normal_iteratorINSB_10device_ptrIjEEEENSD_INSE_IS6_EEEESI_S6_NSB_4plusIvEENSB_8equal_toIvEES6_EE10hipError_tPvRmT2_T3_T4_T5_mT6_T7_P12ihipStream_tbENKUlT_T0_E_clISt17integral_constantIbLb1EES13_EEDaSY_SZ_EUlSY_E_NS1_11comp_targetILNS1_3genE0ELNS1_11target_archE4294967295ELNS1_3gpuE0ELNS1_3repE0EEENS1_30default_config_static_selectorELNS0_4arch9wavefront6targetE0EEEvT1_.private_seg_size, 0
	.set _ZN7rocprim17ROCPRIM_400000_NS6detail17trampoline_kernelINS0_14default_configENS1_27scan_by_key_config_selectorIj11FixedVectorIiLj4EEEEZZNS1_16scan_by_key_implILNS1_25lookback_scan_determinismE0ELb1ES3_N6thrust23THRUST_200600_302600_NS6detail15normal_iteratorINSB_10device_ptrIjEEEENSD_INSE_IS6_EEEESI_S6_NSB_4plusIvEENSB_8equal_toIvEES6_EE10hipError_tPvRmT2_T3_T4_T5_mT6_T7_P12ihipStream_tbENKUlT_T0_E_clISt17integral_constantIbLb1EES13_EEDaSY_SZ_EUlSY_E_NS1_11comp_targetILNS1_3genE0ELNS1_11target_archE4294967295ELNS1_3gpuE0ELNS1_3repE0EEENS1_30default_config_static_selectorELNS0_4arch9wavefront6targetE0EEEvT1_.uses_vcc, 0
	.set _ZN7rocprim17ROCPRIM_400000_NS6detail17trampoline_kernelINS0_14default_configENS1_27scan_by_key_config_selectorIj11FixedVectorIiLj4EEEEZZNS1_16scan_by_key_implILNS1_25lookback_scan_determinismE0ELb1ES3_N6thrust23THRUST_200600_302600_NS6detail15normal_iteratorINSB_10device_ptrIjEEEENSD_INSE_IS6_EEEESI_S6_NSB_4plusIvEENSB_8equal_toIvEES6_EE10hipError_tPvRmT2_T3_T4_T5_mT6_T7_P12ihipStream_tbENKUlT_T0_E_clISt17integral_constantIbLb1EES13_EEDaSY_SZ_EUlSY_E_NS1_11comp_targetILNS1_3genE0ELNS1_11target_archE4294967295ELNS1_3gpuE0ELNS1_3repE0EEENS1_30default_config_static_selectorELNS0_4arch9wavefront6targetE0EEEvT1_.uses_flat_scratch, 0
	.set _ZN7rocprim17ROCPRIM_400000_NS6detail17trampoline_kernelINS0_14default_configENS1_27scan_by_key_config_selectorIj11FixedVectorIiLj4EEEEZZNS1_16scan_by_key_implILNS1_25lookback_scan_determinismE0ELb1ES3_N6thrust23THRUST_200600_302600_NS6detail15normal_iteratorINSB_10device_ptrIjEEEENSD_INSE_IS6_EEEESI_S6_NSB_4plusIvEENSB_8equal_toIvEES6_EE10hipError_tPvRmT2_T3_T4_T5_mT6_T7_P12ihipStream_tbENKUlT_T0_E_clISt17integral_constantIbLb1EES13_EEDaSY_SZ_EUlSY_E_NS1_11comp_targetILNS1_3genE0ELNS1_11target_archE4294967295ELNS1_3gpuE0ELNS1_3repE0EEENS1_30default_config_static_selectorELNS0_4arch9wavefront6targetE0EEEvT1_.has_dyn_sized_stack, 0
	.set _ZN7rocprim17ROCPRIM_400000_NS6detail17trampoline_kernelINS0_14default_configENS1_27scan_by_key_config_selectorIj11FixedVectorIiLj4EEEEZZNS1_16scan_by_key_implILNS1_25lookback_scan_determinismE0ELb1ES3_N6thrust23THRUST_200600_302600_NS6detail15normal_iteratorINSB_10device_ptrIjEEEENSD_INSE_IS6_EEEESI_S6_NSB_4plusIvEENSB_8equal_toIvEES6_EE10hipError_tPvRmT2_T3_T4_T5_mT6_T7_P12ihipStream_tbENKUlT_T0_E_clISt17integral_constantIbLb1EES13_EEDaSY_SZ_EUlSY_E_NS1_11comp_targetILNS1_3genE0ELNS1_11target_archE4294967295ELNS1_3gpuE0ELNS1_3repE0EEENS1_30default_config_static_selectorELNS0_4arch9wavefront6targetE0EEEvT1_.has_recursion, 0
	.set _ZN7rocprim17ROCPRIM_400000_NS6detail17trampoline_kernelINS0_14default_configENS1_27scan_by_key_config_selectorIj11FixedVectorIiLj4EEEEZZNS1_16scan_by_key_implILNS1_25lookback_scan_determinismE0ELb1ES3_N6thrust23THRUST_200600_302600_NS6detail15normal_iteratorINSB_10device_ptrIjEEEENSD_INSE_IS6_EEEESI_S6_NSB_4plusIvEENSB_8equal_toIvEES6_EE10hipError_tPvRmT2_T3_T4_T5_mT6_T7_P12ihipStream_tbENKUlT_T0_E_clISt17integral_constantIbLb1EES13_EEDaSY_SZ_EUlSY_E_NS1_11comp_targetILNS1_3genE0ELNS1_11target_archE4294967295ELNS1_3gpuE0ELNS1_3repE0EEENS1_30default_config_static_selectorELNS0_4arch9wavefront6targetE0EEEvT1_.has_indirect_call, 0
	.section	.AMDGPU.csdata,"",@progbits
; Kernel info:
; codeLenInByte = 0
; TotalNumSgprs: 0
; NumVgprs: 0
; ScratchSize: 0
; MemoryBound: 0
; FloatMode: 240
; IeeeMode: 1
; LDSByteSize: 0 bytes/workgroup (compile time only)
; SGPRBlocks: 0
; VGPRBlocks: 0
; NumSGPRsForWavesPerEU: 1
; NumVGPRsForWavesPerEU: 1
; Occupancy: 16
; WaveLimiterHint : 0
; COMPUTE_PGM_RSRC2:SCRATCH_EN: 0
; COMPUTE_PGM_RSRC2:USER_SGPR: 6
; COMPUTE_PGM_RSRC2:TRAP_HANDLER: 0
; COMPUTE_PGM_RSRC2:TGID_X_EN: 1
; COMPUTE_PGM_RSRC2:TGID_Y_EN: 0
; COMPUTE_PGM_RSRC2:TGID_Z_EN: 0
; COMPUTE_PGM_RSRC2:TIDIG_COMP_CNT: 0
	.section	.text._ZN7rocprim17ROCPRIM_400000_NS6detail17trampoline_kernelINS0_14default_configENS1_27scan_by_key_config_selectorIj11FixedVectorIiLj4EEEEZZNS1_16scan_by_key_implILNS1_25lookback_scan_determinismE0ELb1ES3_N6thrust23THRUST_200600_302600_NS6detail15normal_iteratorINSB_10device_ptrIjEEEENSD_INSE_IS6_EEEESI_S6_NSB_4plusIvEENSB_8equal_toIvEES6_EE10hipError_tPvRmT2_T3_T4_T5_mT6_T7_P12ihipStream_tbENKUlT_T0_E_clISt17integral_constantIbLb1EES13_EEDaSY_SZ_EUlSY_E_NS1_11comp_targetILNS1_3genE10ELNS1_11target_archE1201ELNS1_3gpuE5ELNS1_3repE0EEENS1_30default_config_static_selectorELNS0_4arch9wavefront6targetE0EEEvT1_,"axG",@progbits,_ZN7rocprim17ROCPRIM_400000_NS6detail17trampoline_kernelINS0_14default_configENS1_27scan_by_key_config_selectorIj11FixedVectorIiLj4EEEEZZNS1_16scan_by_key_implILNS1_25lookback_scan_determinismE0ELb1ES3_N6thrust23THRUST_200600_302600_NS6detail15normal_iteratorINSB_10device_ptrIjEEEENSD_INSE_IS6_EEEESI_S6_NSB_4plusIvEENSB_8equal_toIvEES6_EE10hipError_tPvRmT2_T3_T4_T5_mT6_T7_P12ihipStream_tbENKUlT_T0_E_clISt17integral_constantIbLb1EES13_EEDaSY_SZ_EUlSY_E_NS1_11comp_targetILNS1_3genE10ELNS1_11target_archE1201ELNS1_3gpuE5ELNS1_3repE0EEENS1_30default_config_static_selectorELNS0_4arch9wavefront6targetE0EEEvT1_,comdat
	.protected	_ZN7rocprim17ROCPRIM_400000_NS6detail17trampoline_kernelINS0_14default_configENS1_27scan_by_key_config_selectorIj11FixedVectorIiLj4EEEEZZNS1_16scan_by_key_implILNS1_25lookback_scan_determinismE0ELb1ES3_N6thrust23THRUST_200600_302600_NS6detail15normal_iteratorINSB_10device_ptrIjEEEENSD_INSE_IS6_EEEESI_S6_NSB_4plusIvEENSB_8equal_toIvEES6_EE10hipError_tPvRmT2_T3_T4_T5_mT6_T7_P12ihipStream_tbENKUlT_T0_E_clISt17integral_constantIbLb1EES13_EEDaSY_SZ_EUlSY_E_NS1_11comp_targetILNS1_3genE10ELNS1_11target_archE1201ELNS1_3gpuE5ELNS1_3repE0EEENS1_30default_config_static_selectorELNS0_4arch9wavefront6targetE0EEEvT1_ ; -- Begin function _ZN7rocprim17ROCPRIM_400000_NS6detail17trampoline_kernelINS0_14default_configENS1_27scan_by_key_config_selectorIj11FixedVectorIiLj4EEEEZZNS1_16scan_by_key_implILNS1_25lookback_scan_determinismE0ELb1ES3_N6thrust23THRUST_200600_302600_NS6detail15normal_iteratorINSB_10device_ptrIjEEEENSD_INSE_IS6_EEEESI_S6_NSB_4plusIvEENSB_8equal_toIvEES6_EE10hipError_tPvRmT2_T3_T4_T5_mT6_T7_P12ihipStream_tbENKUlT_T0_E_clISt17integral_constantIbLb1EES13_EEDaSY_SZ_EUlSY_E_NS1_11comp_targetILNS1_3genE10ELNS1_11target_archE1201ELNS1_3gpuE5ELNS1_3repE0EEENS1_30default_config_static_selectorELNS0_4arch9wavefront6targetE0EEEvT1_
	.globl	_ZN7rocprim17ROCPRIM_400000_NS6detail17trampoline_kernelINS0_14default_configENS1_27scan_by_key_config_selectorIj11FixedVectorIiLj4EEEEZZNS1_16scan_by_key_implILNS1_25lookback_scan_determinismE0ELb1ES3_N6thrust23THRUST_200600_302600_NS6detail15normal_iteratorINSB_10device_ptrIjEEEENSD_INSE_IS6_EEEESI_S6_NSB_4plusIvEENSB_8equal_toIvEES6_EE10hipError_tPvRmT2_T3_T4_T5_mT6_T7_P12ihipStream_tbENKUlT_T0_E_clISt17integral_constantIbLb1EES13_EEDaSY_SZ_EUlSY_E_NS1_11comp_targetILNS1_3genE10ELNS1_11target_archE1201ELNS1_3gpuE5ELNS1_3repE0EEENS1_30default_config_static_selectorELNS0_4arch9wavefront6targetE0EEEvT1_
	.p2align	8
	.type	_ZN7rocprim17ROCPRIM_400000_NS6detail17trampoline_kernelINS0_14default_configENS1_27scan_by_key_config_selectorIj11FixedVectorIiLj4EEEEZZNS1_16scan_by_key_implILNS1_25lookback_scan_determinismE0ELb1ES3_N6thrust23THRUST_200600_302600_NS6detail15normal_iteratorINSB_10device_ptrIjEEEENSD_INSE_IS6_EEEESI_S6_NSB_4plusIvEENSB_8equal_toIvEES6_EE10hipError_tPvRmT2_T3_T4_T5_mT6_T7_P12ihipStream_tbENKUlT_T0_E_clISt17integral_constantIbLb1EES13_EEDaSY_SZ_EUlSY_E_NS1_11comp_targetILNS1_3genE10ELNS1_11target_archE1201ELNS1_3gpuE5ELNS1_3repE0EEENS1_30default_config_static_selectorELNS0_4arch9wavefront6targetE0EEEvT1_,@function
_ZN7rocprim17ROCPRIM_400000_NS6detail17trampoline_kernelINS0_14default_configENS1_27scan_by_key_config_selectorIj11FixedVectorIiLj4EEEEZZNS1_16scan_by_key_implILNS1_25lookback_scan_determinismE0ELb1ES3_N6thrust23THRUST_200600_302600_NS6detail15normal_iteratorINSB_10device_ptrIjEEEENSD_INSE_IS6_EEEESI_S6_NSB_4plusIvEENSB_8equal_toIvEES6_EE10hipError_tPvRmT2_T3_T4_T5_mT6_T7_P12ihipStream_tbENKUlT_T0_E_clISt17integral_constantIbLb1EES13_EEDaSY_SZ_EUlSY_E_NS1_11comp_targetILNS1_3genE10ELNS1_11target_archE1201ELNS1_3gpuE5ELNS1_3repE0EEENS1_30default_config_static_selectorELNS0_4arch9wavefront6targetE0EEEvT1_: ; @_ZN7rocprim17ROCPRIM_400000_NS6detail17trampoline_kernelINS0_14default_configENS1_27scan_by_key_config_selectorIj11FixedVectorIiLj4EEEEZZNS1_16scan_by_key_implILNS1_25lookback_scan_determinismE0ELb1ES3_N6thrust23THRUST_200600_302600_NS6detail15normal_iteratorINSB_10device_ptrIjEEEENSD_INSE_IS6_EEEESI_S6_NSB_4plusIvEENSB_8equal_toIvEES6_EE10hipError_tPvRmT2_T3_T4_T5_mT6_T7_P12ihipStream_tbENKUlT_T0_E_clISt17integral_constantIbLb1EES13_EEDaSY_SZ_EUlSY_E_NS1_11comp_targetILNS1_3genE10ELNS1_11target_archE1201ELNS1_3gpuE5ELNS1_3repE0EEENS1_30default_config_static_selectorELNS0_4arch9wavefront6targetE0EEEvT1_
; %bb.0:
	.section	.rodata,"a",@progbits
	.p2align	6, 0x0
	.amdhsa_kernel _ZN7rocprim17ROCPRIM_400000_NS6detail17trampoline_kernelINS0_14default_configENS1_27scan_by_key_config_selectorIj11FixedVectorIiLj4EEEEZZNS1_16scan_by_key_implILNS1_25lookback_scan_determinismE0ELb1ES3_N6thrust23THRUST_200600_302600_NS6detail15normal_iteratorINSB_10device_ptrIjEEEENSD_INSE_IS6_EEEESI_S6_NSB_4plusIvEENSB_8equal_toIvEES6_EE10hipError_tPvRmT2_T3_T4_T5_mT6_T7_P12ihipStream_tbENKUlT_T0_E_clISt17integral_constantIbLb1EES13_EEDaSY_SZ_EUlSY_E_NS1_11comp_targetILNS1_3genE10ELNS1_11target_archE1201ELNS1_3gpuE5ELNS1_3repE0EEENS1_30default_config_static_selectorELNS0_4arch9wavefront6targetE0EEEvT1_
		.amdhsa_group_segment_fixed_size 0
		.amdhsa_private_segment_fixed_size 0
		.amdhsa_kernarg_size 144
		.amdhsa_user_sgpr_count 6
		.amdhsa_user_sgpr_private_segment_buffer 1
		.amdhsa_user_sgpr_dispatch_ptr 0
		.amdhsa_user_sgpr_queue_ptr 0
		.amdhsa_user_sgpr_kernarg_segment_ptr 1
		.amdhsa_user_sgpr_dispatch_id 0
		.amdhsa_user_sgpr_flat_scratch_init 0
		.amdhsa_user_sgpr_private_segment_size 0
		.amdhsa_wavefront_size32 1
		.amdhsa_uses_dynamic_stack 0
		.amdhsa_system_sgpr_private_segment_wavefront_offset 0
		.amdhsa_system_sgpr_workgroup_id_x 1
		.amdhsa_system_sgpr_workgroup_id_y 0
		.amdhsa_system_sgpr_workgroup_id_z 0
		.amdhsa_system_sgpr_workgroup_info 0
		.amdhsa_system_vgpr_workitem_id 0
		.amdhsa_next_free_vgpr 1
		.amdhsa_next_free_sgpr 1
		.amdhsa_reserve_vcc 0
		.amdhsa_reserve_flat_scratch 0
		.amdhsa_float_round_mode_32 0
		.amdhsa_float_round_mode_16_64 0
		.amdhsa_float_denorm_mode_32 3
		.amdhsa_float_denorm_mode_16_64 3
		.amdhsa_dx10_clamp 1
		.amdhsa_ieee_mode 1
		.amdhsa_fp16_overflow 0
		.amdhsa_workgroup_processor_mode 1
		.amdhsa_memory_ordered 1
		.amdhsa_forward_progress 1
		.amdhsa_shared_vgpr_count 0
		.amdhsa_exception_fp_ieee_invalid_op 0
		.amdhsa_exception_fp_denorm_src 0
		.amdhsa_exception_fp_ieee_div_zero 0
		.amdhsa_exception_fp_ieee_overflow 0
		.amdhsa_exception_fp_ieee_underflow 0
		.amdhsa_exception_fp_ieee_inexact 0
		.amdhsa_exception_int_div_zero 0
	.end_amdhsa_kernel
	.section	.text._ZN7rocprim17ROCPRIM_400000_NS6detail17trampoline_kernelINS0_14default_configENS1_27scan_by_key_config_selectorIj11FixedVectorIiLj4EEEEZZNS1_16scan_by_key_implILNS1_25lookback_scan_determinismE0ELb1ES3_N6thrust23THRUST_200600_302600_NS6detail15normal_iteratorINSB_10device_ptrIjEEEENSD_INSE_IS6_EEEESI_S6_NSB_4plusIvEENSB_8equal_toIvEES6_EE10hipError_tPvRmT2_T3_T4_T5_mT6_T7_P12ihipStream_tbENKUlT_T0_E_clISt17integral_constantIbLb1EES13_EEDaSY_SZ_EUlSY_E_NS1_11comp_targetILNS1_3genE10ELNS1_11target_archE1201ELNS1_3gpuE5ELNS1_3repE0EEENS1_30default_config_static_selectorELNS0_4arch9wavefront6targetE0EEEvT1_,"axG",@progbits,_ZN7rocprim17ROCPRIM_400000_NS6detail17trampoline_kernelINS0_14default_configENS1_27scan_by_key_config_selectorIj11FixedVectorIiLj4EEEEZZNS1_16scan_by_key_implILNS1_25lookback_scan_determinismE0ELb1ES3_N6thrust23THRUST_200600_302600_NS6detail15normal_iteratorINSB_10device_ptrIjEEEENSD_INSE_IS6_EEEESI_S6_NSB_4plusIvEENSB_8equal_toIvEES6_EE10hipError_tPvRmT2_T3_T4_T5_mT6_T7_P12ihipStream_tbENKUlT_T0_E_clISt17integral_constantIbLb1EES13_EEDaSY_SZ_EUlSY_E_NS1_11comp_targetILNS1_3genE10ELNS1_11target_archE1201ELNS1_3gpuE5ELNS1_3repE0EEENS1_30default_config_static_selectorELNS0_4arch9wavefront6targetE0EEEvT1_,comdat
.Lfunc_end2085:
	.size	_ZN7rocprim17ROCPRIM_400000_NS6detail17trampoline_kernelINS0_14default_configENS1_27scan_by_key_config_selectorIj11FixedVectorIiLj4EEEEZZNS1_16scan_by_key_implILNS1_25lookback_scan_determinismE0ELb1ES3_N6thrust23THRUST_200600_302600_NS6detail15normal_iteratorINSB_10device_ptrIjEEEENSD_INSE_IS6_EEEESI_S6_NSB_4plusIvEENSB_8equal_toIvEES6_EE10hipError_tPvRmT2_T3_T4_T5_mT6_T7_P12ihipStream_tbENKUlT_T0_E_clISt17integral_constantIbLb1EES13_EEDaSY_SZ_EUlSY_E_NS1_11comp_targetILNS1_3genE10ELNS1_11target_archE1201ELNS1_3gpuE5ELNS1_3repE0EEENS1_30default_config_static_selectorELNS0_4arch9wavefront6targetE0EEEvT1_, .Lfunc_end2085-_ZN7rocprim17ROCPRIM_400000_NS6detail17trampoline_kernelINS0_14default_configENS1_27scan_by_key_config_selectorIj11FixedVectorIiLj4EEEEZZNS1_16scan_by_key_implILNS1_25lookback_scan_determinismE0ELb1ES3_N6thrust23THRUST_200600_302600_NS6detail15normal_iteratorINSB_10device_ptrIjEEEENSD_INSE_IS6_EEEESI_S6_NSB_4plusIvEENSB_8equal_toIvEES6_EE10hipError_tPvRmT2_T3_T4_T5_mT6_T7_P12ihipStream_tbENKUlT_T0_E_clISt17integral_constantIbLb1EES13_EEDaSY_SZ_EUlSY_E_NS1_11comp_targetILNS1_3genE10ELNS1_11target_archE1201ELNS1_3gpuE5ELNS1_3repE0EEENS1_30default_config_static_selectorELNS0_4arch9wavefront6targetE0EEEvT1_
                                        ; -- End function
	.set _ZN7rocprim17ROCPRIM_400000_NS6detail17trampoline_kernelINS0_14default_configENS1_27scan_by_key_config_selectorIj11FixedVectorIiLj4EEEEZZNS1_16scan_by_key_implILNS1_25lookback_scan_determinismE0ELb1ES3_N6thrust23THRUST_200600_302600_NS6detail15normal_iteratorINSB_10device_ptrIjEEEENSD_INSE_IS6_EEEESI_S6_NSB_4plusIvEENSB_8equal_toIvEES6_EE10hipError_tPvRmT2_T3_T4_T5_mT6_T7_P12ihipStream_tbENKUlT_T0_E_clISt17integral_constantIbLb1EES13_EEDaSY_SZ_EUlSY_E_NS1_11comp_targetILNS1_3genE10ELNS1_11target_archE1201ELNS1_3gpuE5ELNS1_3repE0EEENS1_30default_config_static_selectorELNS0_4arch9wavefront6targetE0EEEvT1_.num_vgpr, 0
	.set _ZN7rocprim17ROCPRIM_400000_NS6detail17trampoline_kernelINS0_14default_configENS1_27scan_by_key_config_selectorIj11FixedVectorIiLj4EEEEZZNS1_16scan_by_key_implILNS1_25lookback_scan_determinismE0ELb1ES3_N6thrust23THRUST_200600_302600_NS6detail15normal_iteratorINSB_10device_ptrIjEEEENSD_INSE_IS6_EEEESI_S6_NSB_4plusIvEENSB_8equal_toIvEES6_EE10hipError_tPvRmT2_T3_T4_T5_mT6_T7_P12ihipStream_tbENKUlT_T0_E_clISt17integral_constantIbLb1EES13_EEDaSY_SZ_EUlSY_E_NS1_11comp_targetILNS1_3genE10ELNS1_11target_archE1201ELNS1_3gpuE5ELNS1_3repE0EEENS1_30default_config_static_selectorELNS0_4arch9wavefront6targetE0EEEvT1_.num_agpr, 0
	.set _ZN7rocprim17ROCPRIM_400000_NS6detail17trampoline_kernelINS0_14default_configENS1_27scan_by_key_config_selectorIj11FixedVectorIiLj4EEEEZZNS1_16scan_by_key_implILNS1_25lookback_scan_determinismE0ELb1ES3_N6thrust23THRUST_200600_302600_NS6detail15normal_iteratorINSB_10device_ptrIjEEEENSD_INSE_IS6_EEEESI_S6_NSB_4plusIvEENSB_8equal_toIvEES6_EE10hipError_tPvRmT2_T3_T4_T5_mT6_T7_P12ihipStream_tbENKUlT_T0_E_clISt17integral_constantIbLb1EES13_EEDaSY_SZ_EUlSY_E_NS1_11comp_targetILNS1_3genE10ELNS1_11target_archE1201ELNS1_3gpuE5ELNS1_3repE0EEENS1_30default_config_static_selectorELNS0_4arch9wavefront6targetE0EEEvT1_.numbered_sgpr, 0
	.set _ZN7rocprim17ROCPRIM_400000_NS6detail17trampoline_kernelINS0_14default_configENS1_27scan_by_key_config_selectorIj11FixedVectorIiLj4EEEEZZNS1_16scan_by_key_implILNS1_25lookback_scan_determinismE0ELb1ES3_N6thrust23THRUST_200600_302600_NS6detail15normal_iteratorINSB_10device_ptrIjEEEENSD_INSE_IS6_EEEESI_S6_NSB_4plusIvEENSB_8equal_toIvEES6_EE10hipError_tPvRmT2_T3_T4_T5_mT6_T7_P12ihipStream_tbENKUlT_T0_E_clISt17integral_constantIbLb1EES13_EEDaSY_SZ_EUlSY_E_NS1_11comp_targetILNS1_3genE10ELNS1_11target_archE1201ELNS1_3gpuE5ELNS1_3repE0EEENS1_30default_config_static_selectorELNS0_4arch9wavefront6targetE0EEEvT1_.num_named_barrier, 0
	.set _ZN7rocprim17ROCPRIM_400000_NS6detail17trampoline_kernelINS0_14default_configENS1_27scan_by_key_config_selectorIj11FixedVectorIiLj4EEEEZZNS1_16scan_by_key_implILNS1_25lookback_scan_determinismE0ELb1ES3_N6thrust23THRUST_200600_302600_NS6detail15normal_iteratorINSB_10device_ptrIjEEEENSD_INSE_IS6_EEEESI_S6_NSB_4plusIvEENSB_8equal_toIvEES6_EE10hipError_tPvRmT2_T3_T4_T5_mT6_T7_P12ihipStream_tbENKUlT_T0_E_clISt17integral_constantIbLb1EES13_EEDaSY_SZ_EUlSY_E_NS1_11comp_targetILNS1_3genE10ELNS1_11target_archE1201ELNS1_3gpuE5ELNS1_3repE0EEENS1_30default_config_static_selectorELNS0_4arch9wavefront6targetE0EEEvT1_.private_seg_size, 0
	.set _ZN7rocprim17ROCPRIM_400000_NS6detail17trampoline_kernelINS0_14default_configENS1_27scan_by_key_config_selectorIj11FixedVectorIiLj4EEEEZZNS1_16scan_by_key_implILNS1_25lookback_scan_determinismE0ELb1ES3_N6thrust23THRUST_200600_302600_NS6detail15normal_iteratorINSB_10device_ptrIjEEEENSD_INSE_IS6_EEEESI_S6_NSB_4plusIvEENSB_8equal_toIvEES6_EE10hipError_tPvRmT2_T3_T4_T5_mT6_T7_P12ihipStream_tbENKUlT_T0_E_clISt17integral_constantIbLb1EES13_EEDaSY_SZ_EUlSY_E_NS1_11comp_targetILNS1_3genE10ELNS1_11target_archE1201ELNS1_3gpuE5ELNS1_3repE0EEENS1_30default_config_static_selectorELNS0_4arch9wavefront6targetE0EEEvT1_.uses_vcc, 0
	.set _ZN7rocprim17ROCPRIM_400000_NS6detail17trampoline_kernelINS0_14default_configENS1_27scan_by_key_config_selectorIj11FixedVectorIiLj4EEEEZZNS1_16scan_by_key_implILNS1_25lookback_scan_determinismE0ELb1ES3_N6thrust23THRUST_200600_302600_NS6detail15normal_iteratorINSB_10device_ptrIjEEEENSD_INSE_IS6_EEEESI_S6_NSB_4plusIvEENSB_8equal_toIvEES6_EE10hipError_tPvRmT2_T3_T4_T5_mT6_T7_P12ihipStream_tbENKUlT_T0_E_clISt17integral_constantIbLb1EES13_EEDaSY_SZ_EUlSY_E_NS1_11comp_targetILNS1_3genE10ELNS1_11target_archE1201ELNS1_3gpuE5ELNS1_3repE0EEENS1_30default_config_static_selectorELNS0_4arch9wavefront6targetE0EEEvT1_.uses_flat_scratch, 0
	.set _ZN7rocprim17ROCPRIM_400000_NS6detail17trampoline_kernelINS0_14default_configENS1_27scan_by_key_config_selectorIj11FixedVectorIiLj4EEEEZZNS1_16scan_by_key_implILNS1_25lookback_scan_determinismE0ELb1ES3_N6thrust23THRUST_200600_302600_NS6detail15normal_iteratorINSB_10device_ptrIjEEEENSD_INSE_IS6_EEEESI_S6_NSB_4plusIvEENSB_8equal_toIvEES6_EE10hipError_tPvRmT2_T3_T4_T5_mT6_T7_P12ihipStream_tbENKUlT_T0_E_clISt17integral_constantIbLb1EES13_EEDaSY_SZ_EUlSY_E_NS1_11comp_targetILNS1_3genE10ELNS1_11target_archE1201ELNS1_3gpuE5ELNS1_3repE0EEENS1_30default_config_static_selectorELNS0_4arch9wavefront6targetE0EEEvT1_.has_dyn_sized_stack, 0
	.set _ZN7rocprim17ROCPRIM_400000_NS6detail17trampoline_kernelINS0_14default_configENS1_27scan_by_key_config_selectorIj11FixedVectorIiLj4EEEEZZNS1_16scan_by_key_implILNS1_25lookback_scan_determinismE0ELb1ES3_N6thrust23THRUST_200600_302600_NS6detail15normal_iteratorINSB_10device_ptrIjEEEENSD_INSE_IS6_EEEESI_S6_NSB_4plusIvEENSB_8equal_toIvEES6_EE10hipError_tPvRmT2_T3_T4_T5_mT6_T7_P12ihipStream_tbENKUlT_T0_E_clISt17integral_constantIbLb1EES13_EEDaSY_SZ_EUlSY_E_NS1_11comp_targetILNS1_3genE10ELNS1_11target_archE1201ELNS1_3gpuE5ELNS1_3repE0EEENS1_30default_config_static_selectorELNS0_4arch9wavefront6targetE0EEEvT1_.has_recursion, 0
	.set _ZN7rocprim17ROCPRIM_400000_NS6detail17trampoline_kernelINS0_14default_configENS1_27scan_by_key_config_selectorIj11FixedVectorIiLj4EEEEZZNS1_16scan_by_key_implILNS1_25lookback_scan_determinismE0ELb1ES3_N6thrust23THRUST_200600_302600_NS6detail15normal_iteratorINSB_10device_ptrIjEEEENSD_INSE_IS6_EEEESI_S6_NSB_4plusIvEENSB_8equal_toIvEES6_EE10hipError_tPvRmT2_T3_T4_T5_mT6_T7_P12ihipStream_tbENKUlT_T0_E_clISt17integral_constantIbLb1EES13_EEDaSY_SZ_EUlSY_E_NS1_11comp_targetILNS1_3genE10ELNS1_11target_archE1201ELNS1_3gpuE5ELNS1_3repE0EEENS1_30default_config_static_selectorELNS0_4arch9wavefront6targetE0EEEvT1_.has_indirect_call, 0
	.section	.AMDGPU.csdata,"",@progbits
; Kernel info:
; codeLenInByte = 0
; TotalNumSgprs: 0
; NumVgprs: 0
; ScratchSize: 0
; MemoryBound: 0
; FloatMode: 240
; IeeeMode: 1
; LDSByteSize: 0 bytes/workgroup (compile time only)
; SGPRBlocks: 0
; VGPRBlocks: 0
; NumSGPRsForWavesPerEU: 1
; NumVGPRsForWavesPerEU: 1
; Occupancy: 16
; WaveLimiterHint : 0
; COMPUTE_PGM_RSRC2:SCRATCH_EN: 0
; COMPUTE_PGM_RSRC2:USER_SGPR: 6
; COMPUTE_PGM_RSRC2:TRAP_HANDLER: 0
; COMPUTE_PGM_RSRC2:TGID_X_EN: 1
; COMPUTE_PGM_RSRC2:TGID_Y_EN: 0
; COMPUTE_PGM_RSRC2:TGID_Z_EN: 0
; COMPUTE_PGM_RSRC2:TIDIG_COMP_CNT: 0
	.section	.text._ZN7rocprim17ROCPRIM_400000_NS6detail17trampoline_kernelINS0_14default_configENS1_27scan_by_key_config_selectorIj11FixedVectorIiLj4EEEEZZNS1_16scan_by_key_implILNS1_25lookback_scan_determinismE0ELb1ES3_N6thrust23THRUST_200600_302600_NS6detail15normal_iteratorINSB_10device_ptrIjEEEENSD_INSE_IS6_EEEESI_S6_NSB_4plusIvEENSB_8equal_toIvEES6_EE10hipError_tPvRmT2_T3_T4_T5_mT6_T7_P12ihipStream_tbENKUlT_T0_E_clISt17integral_constantIbLb1EES13_EEDaSY_SZ_EUlSY_E_NS1_11comp_targetILNS1_3genE5ELNS1_11target_archE942ELNS1_3gpuE9ELNS1_3repE0EEENS1_30default_config_static_selectorELNS0_4arch9wavefront6targetE0EEEvT1_,"axG",@progbits,_ZN7rocprim17ROCPRIM_400000_NS6detail17trampoline_kernelINS0_14default_configENS1_27scan_by_key_config_selectorIj11FixedVectorIiLj4EEEEZZNS1_16scan_by_key_implILNS1_25lookback_scan_determinismE0ELb1ES3_N6thrust23THRUST_200600_302600_NS6detail15normal_iteratorINSB_10device_ptrIjEEEENSD_INSE_IS6_EEEESI_S6_NSB_4plusIvEENSB_8equal_toIvEES6_EE10hipError_tPvRmT2_T3_T4_T5_mT6_T7_P12ihipStream_tbENKUlT_T0_E_clISt17integral_constantIbLb1EES13_EEDaSY_SZ_EUlSY_E_NS1_11comp_targetILNS1_3genE5ELNS1_11target_archE942ELNS1_3gpuE9ELNS1_3repE0EEENS1_30default_config_static_selectorELNS0_4arch9wavefront6targetE0EEEvT1_,comdat
	.protected	_ZN7rocprim17ROCPRIM_400000_NS6detail17trampoline_kernelINS0_14default_configENS1_27scan_by_key_config_selectorIj11FixedVectorIiLj4EEEEZZNS1_16scan_by_key_implILNS1_25lookback_scan_determinismE0ELb1ES3_N6thrust23THRUST_200600_302600_NS6detail15normal_iteratorINSB_10device_ptrIjEEEENSD_INSE_IS6_EEEESI_S6_NSB_4plusIvEENSB_8equal_toIvEES6_EE10hipError_tPvRmT2_T3_T4_T5_mT6_T7_P12ihipStream_tbENKUlT_T0_E_clISt17integral_constantIbLb1EES13_EEDaSY_SZ_EUlSY_E_NS1_11comp_targetILNS1_3genE5ELNS1_11target_archE942ELNS1_3gpuE9ELNS1_3repE0EEENS1_30default_config_static_selectorELNS0_4arch9wavefront6targetE0EEEvT1_ ; -- Begin function _ZN7rocprim17ROCPRIM_400000_NS6detail17trampoline_kernelINS0_14default_configENS1_27scan_by_key_config_selectorIj11FixedVectorIiLj4EEEEZZNS1_16scan_by_key_implILNS1_25lookback_scan_determinismE0ELb1ES3_N6thrust23THRUST_200600_302600_NS6detail15normal_iteratorINSB_10device_ptrIjEEEENSD_INSE_IS6_EEEESI_S6_NSB_4plusIvEENSB_8equal_toIvEES6_EE10hipError_tPvRmT2_T3_T4_T5_mT6_T7_P12ihipStream_tbENKUlT_T0_E_clISt17integral_constantIbLb1EES13_EEDaSY_SZ_EUlSY_E_NS1_11comp_targetILNS1_3genE5ELNS1_11target_archE942ELNS1_3gpuE9ELNS1_3repE0EEENS1_30default_config_static_selectorELNS0_4arch9wavefront6targetE0EEEvT1_
	.globl	_ZN7rocprim17ROCPRIM_400000_NS6detail17trampoline_kernelINS0_14default_configENS1_27scan_by_key_config_selectorIj11FixedVectorIiLj4EEEEZZNS1_16scan_by_key_implILNS1_25lookback_scan_determinismE0ELb1ES3_N6thrust23THRUST_200600_302600_NS6detail15normal_iteratorINSB_10device_ptrIjEEEENSD_INSE_IS6_EEEESI_S6_NSB_4plusIvEENSB_8equal_toIvEES6_EE10hipError_tPvRmT2_T3_T4_T5_mT6_T7_P12ihipStream_tbENKUlT_T0_E_clISt17integral_constantIbLb1EES13_EEDaSY_SZ_EUlSY_E_NS1_11comp_targetILNS1_3genE5ELNS1_11target_archE942ELNS1_3gpuE9ELNS1_3repE0EEENS1_30default_config_static_selectorELNS0_4arch9wavefront6targetE0EEEvT1_
	.p2align	8
	.type	_ZN7rocprim17ROCPRIM_400000_NS6detail17trampoline_kernelINS0_14default_configENS1_27scan_by_key_config_selectorIj11FixedVectorIiLj4EEEEZZNS1_16scan_by_key_implILNS1_25lookback_scan_determinismE0ELb1ES3_N6thrust23THRUST_200600_302600_NS6detail15normal_iteratorINSB_10device_ptrIjEEEENSD_INSE_IS6_EEEESI_S6_NSB_4plusIvEENSB_8equal_toIvEES6_EE10hipError_tPvRmT2_T3_T4_T5_mT6_T7_P12ihipStream_tbENKUlT_T0_E_clISt17integral_constantIbLb1EES13_EEDaSY_SZ_EUlSY_E_NS1_11comp_targetILNS1_3genE5ELNS1_11target_archE942ELNS1_3gpuE9ELNS1_3repE0EEENS1_30default_config_static_selectorELNS0_4arch9wavefront6targetE0EEEvT1_,@function
_ZN7rocprim17ROCPRIM_400000_NS6detail17trampoline_kernelINS0_14default_configENS1_27scan_by_key_config_selectorIj11FixedVectorIiLj4EEEEZZNS1_16scan_by_key_implILNS1_25lookback_scan_determinismE0ELb1ES3_N6thrust23THRUST_200600_302600_NS6detail15normal_iteratorINSB_10device_ptrIjEEEENSD_INSE_IS6_EEEESI_S6_NSB_4plusIvEENSB_8equal_toIvEES6_EE10hipError_tPvRmT2_T3_T4_T5_mT6_T7_P12ihipStream_tbENKUlT_T0_E_clISt17integral_constantIbLb1EES13_EEDaSY_SZ_EUlSY_E_NS1_11comp_targetILNS1_3genE5ELNS1_11target_archE942ELNS1_3gpuE9ELNS1_3repE0EEENS1_30default_config_static_selectorELNS0_4arch9wavefront6targetE0EEEvT1_: ; @_ZN7rocprim17ROCPRIM_400000_NS6detail17trampoline_kernelINS0_14default_configENS1_27scan_by_key_config_selectorIj11FixedVectorIiLj4EEEEZZNS1_16scan_by_key_implILNS1_25lookback_scan_determinismE0ELb1ES3_N6thrust23THRUST_200600_302600_NS6detail15normal_iteratorINSB_10device_ptrIjEEEENSD_INSE_IS6_EEEESI_S6_NSB_4plusIvEENSB_8equal_toIvEES6_EE10hipError_tPvRmT2_T3_T4_T5_mT6_T7_P12ihipStream_tbENKUlT_T0_E_clISt17integral_constantIbLb1EES13_EEDaSY_SZ_EUlSY_E_NS1_11comp_targetILNS1_3genE5ELNS1_11target_archE942ELNS1_3gpuE9ELNS1_3repE0EEENS1_30default_config_static_selectorELNS0_4arch9wavefront6targetE0EEEvT1_
; %bb.0:
	.section	.rodata,"a",@progbits
	.p2align	6, 0x0
	.amdhsa_kernel _ZN7rocprim17ROCPRIM_400000_NS6detail17trampoline_kernelINS0_14default_configENS1_27scan_by_key_config_selectorIj11FixedVectorIiLj4EEEEZZNS1_16scan_by_key_implILNS1_25lookback_scan_determinismE0ELb1ES3_N6thrust23THRUST_200600_302600_NS6detail15normal_iteratorINSB_10device_ptrIjEEEENSD_INSE_IS6_EEEESI_S6_NSB_4plusIvEENSB_8equal_toIvEES6_EE10hipError_tPvRmT2_T3_T4_T5_mT6_T7_P12ihipStream_tbENKUlT_T0_E_clISt17integral_constantIbLb1EES13_EEDaSY_SZ_EUlSY_E_NS1_11comp_targetILNS1_3genE5ELNS1_11target_archE942ELNS1_3gpuE9ELNS1_3repE0EEENS1_30default_config_static_selectorELNS0_4arch9wavefront6targetE0EEEvT1_
		.amdhsa_group_segment_fixed_size 0
		.amdhsa_private_segment_fixed_size 0
		.amdhsa_kernarg_size 144
		.amdhsa_user_sgpr_count 6
		.amdhsa_user_sgpr_private_segment_buffer 1
		.amdhsa_user_sgpr_dispatch_ptr 0
		.amdhsa_user_sgpr_queue_ptr 0
		.amdhsa_user_sgpr_kernarg_segment_ptr 1
		.amdhsa_user_sgpr_dispatch_id 0
		.amdhsa_user_sgpr_flat_scratch_init 0
		.amdhsa_user_sgpr_private_segment_size 0
		.amdhsa_wavefront_size32 1
		.amdhsa_uses_dynamic_stack 0
		.amdhsa_system_sgpr_private_segment_wavefront_offset 0
		.amdhsa_system_sgpr_workgroup_id_x 1
		.amdhsa_system_sgpr_workgroup_id_y 0
		.amdhsa_system_sgpr_workgroup_id_z 0
		.amdhsa_system_sgpr_workgroup_info 0
		.amdhsa_system_vgpr_workitem_id 0
		.amdhsa_next_free_vgpr 1
		.amdhsa_next_free_sgpr 1
		.amdhsa_reserve_vcc 0
		.amdhsa_reserve_flat_scratch 0
		.amdhsa_float_round_mode_32 0
		.amdhsa_float_round_mode_16_64 0
		.amdhsa_float_denorm_mode_32 3
		.amdhsa_float_denorm_mode_16_64 3
		.amdhsa_dx10_clamp 1
		.amdhsa_ieee_mode 1
		.amdhsa_fp16_overflow 0
		.amdhsa_workgroup_processor_mode 1
		.amdhsa_memory_ordered 1
		.amdhsa_forward_progress 1
		.amdhsa_shared_vgpr_count 0
		.amdhsa_exception_fp_ieee_invalid_op 0
		.amdhsa_exception_fp_denorm_src 0
		.amdhsa_exception_fp_ieee_div_zero 0
		.amdhsa_exception_fp_ieee_overflow 0
		.amdhsa_exception_fp_ieee_underflow 0
		.amdhsa_exception_fp_ieee_inexact 0
		.amdhsa_exception_int_div_zero 0
	.end_amdhsa_kernel
	.section	.text._ZN7rocprim17ROCPRIM_400000_NS6detail17trampoline_kernelINS0_14default_configENS1_27scan_by_key_config_selectorIj11FixedVectorIiLj4EEEEZZNS1_16scan_by_key_implILNS1_25lookback_scan_determinismE0ELb1ES3_N6thrust23THRUST_200600_302600_NS6detail15normal_iteratorINSB_10device_ptrIjEEEENSD_INSE_IS6_EEEESI_S6_NSB_4plusIvEENSB_8equal_toIvEES6_EE10hipError_tPvRmT2_T3_T4_T5_mT6_T7_P12ihipStream_tbENKUlT_T0_E_clISt17integral_constantIbLb1EES13_EEDaSY_SZ_EUlSY_E_NS1_11comp_targetILNS1_3genE5ELNS1_11target_archE942ELNS1_3gpuE9ELNS1_3repE0EEENS1_30default_config_static_selectorELNS0_4arch9wavefront6targetE0EEEvT1_,"axG",@progbits,_ZN7rocprim17ROCPRIM_400000_NS6detail17trampoline_kernelINS0_14default_configENS1_27scan_by_key_config_selectorIj11FixedVectorIiLj4EEEEZZNS1_16scan_by_key_implILNS1_25lookback_scan_determinismE0ELb1ES3_N6thrust23THRUST_200600_302600_NS6detail15normal_iteratorINSB_10device_ptrIjEEEENSD_INSE_IS6_EEEESI_S6_NSB_4plusIvEENSB_8equal_toIvEES6_EE10hipError_tPvRmT2_T3_T4_T5_mT6_T7_P12ihipStream_tbENKUlT_T0_E_clISt17integral_constantIbLb1EES13_EEDaSY_SZ_EUlSY_E_NS1_11comp_targetILNS1_3genE5ELNS1_11target_archE942ELNS1_3gpuE9ELNS1_3repE0EEENS1_30default_config_static_selectorELNS0_4arch9wavefront6targetE0EEEvT1_,comdat
.Lfunc_end2086:
	.size	_ZN7rocprim17ROCPRIM_400000_NS6detail17trampoline_kernelINS0_14default_configENS1_27scan_by_key_config_selectorIj11FixedVectorIiLj4EEEEZZNS1_16scan_by_key_implILNS1_25lookback_scan_determinismE0ELb1ES3_N6thrust23THRUST_200600_302600_NS6detail15normal_iteratorINSB_10device_ptrIjEEEENSD_INSE_IS6_EEEESI_S6_NSB_4plusIvEENSB_8equal_toIvEES6_EE10hipError_tPvRmT2_T3_T4_T5_mT6_T7_P12ihipStream_tbENKUlT_T0_E_clISt17integral_constantIbLb1EES13_EEDaSY_SZ_EUlSY_E_NS1_11comp_targetILNS1_3genE5ELNS1_11target_archE942ELNS1_3gpuE9ELNS1_3repE0EEENS1_30default_config_static_selectorELNS0_4arch9wavefront6targetE0EEEvT1_, .Lfunc_end2086-_ZN7rocprim17ROCPRIM_400000_NS6detail17trampoline_kernelINS0_14default_configENS1_27scan_by_key_config_selectorIj11FixedVectorIiLj4EEEEZZNS1_16scan_by_key_implILNS1_25lookback_scan_determinismE0ELb1ES3_N6thrust23THRUST_200600_302600_NS6detail15normal_iteratorINSB_10device_ptrIjEEEENSD_INSE_IS6_EEEESI_S6_NSB_4plusIvEENSB_8equal_toIvEES6_EE10hipError_tPvRmT2_T3_T4_T5_mT6_T7_P12ihipStream_tbENKUlT_T0_E_clISt17integral_constantIbLb1EES13_EEDaSY_SZ_EUlSY_E_NS1_11comp_targetILNS1_3genE5ELNS1_11target_archE942ELNS1_3gpuE9ELNS1_3repE0EEENS1_30default_config_static_selectorELNS0_4arch9wavefront6targetE0EEEvT1_
                                        ; -- End function
	.set _ZN7rocprim17ROCPRIM_400000_NS6detail17trampoline_kernelINS0_14default_configENS1_27scan_by_key_config_selectorIj11FixedVectorIiLj4EEEEZZNS1_16scan_by_key_implILNS1_25lookback_scan_determinismE0ELb1ES3_N6thrust23THRUST_200600_302600_NS6detail15normal_iteratorINSB_10device_ptrIjEEEENSD_INSE_IS6_EEEESI_S6_NSB_4plusIvEENSB_8equal_toIvEES6_EE10hipError_tPvRmT2_T3_T4_T5_mT6_T7_P12ihipStream_tbENKUlT_T0_E_clISt17integral_constantIbLb1EES13_EEDaSY_SZ_EUlSY_E_NS1_11comp_targetILNS1_3genE5ELNS1_11target_archE942ELNS1_3gpuE9ELNS1_3repE0EEENS1_30default_config_static_selectorELNS0_4arch9wavefront6targetE0EEEvT1_.num_vgpr, 0
	.set _ZN7rocprim17ROCPRIM_400000_NS6detail17trampoline_kernelINS0_14default_configENS1_27scan_by_key_config_selectorIj11FixedVectorIiLj4EEEEZZNS1_16scan_by_key_implILNS1_25lookback_scan_determinismE0ELb1ES3_N6thrust23THRUST_200600_302600_NS6detail15normal_iteratorINSB_10device_ptrIjEEEENSD_INSE_IS6_EEEESI_S6_NSB_4plusIvEENSB_8equal_toIvEES6_EE10hipError_tPvRmT2_T3_T4_T5_mT6_T7_P12ihipStream_tbENKUlT_T0_E_clISt17integral_constantIbLb1EES13_EEDaSY_SZ_EUlSY_E_NS1_11comp_targetILNS1_3genE5ELNS1_11target_archE942ELNS1_3gpuE9ELNS1_3repE0EEENS1_30default_config_static_selectorELNS0_4arch9wavefront6targetE0EEEvT1_.num_agpr, 0
	.set _ZN7rocprim17ROCPRIM_400000_NS6detail17trampoline_kernelINS0_14default_configENS1_27scan_by_key_config_selectorIj11FixedVectorIiLj4EEEEZZNS1_16scan_by_key_implILNS1_25lookback_scan_determinismE0ELb1ES3_N6thrust23THRUST_200600_302600_NS6detail15normal_iteratorINSB_10device_ptrIjEEEENSD_INSE_IS6_EEEESI_S6_NSB_4plusIvEENSB_8equal_toIvEES6_EE10hipError_tPvRmT2_T3_T4_T5_mT6_T7_P12ihipStream_tbENKUlT_T0_E_clISt17integral_constantIbLb1EES13_EEDaSY_SZ_EUlSY_E_NS1_11comp_targetILNS1_3genE5ELNS1_11target_archE942ELNS1_3gpuE9ELNS1_3repE0EEENS1_30default_config_static_selectorELNS0_4arch9wavefront6targetE0EEEvT1_.numbered_sgpr, 0
	.set _ZN7rocprim17ROCPRIM_400000_NS6detail17trampoline_kernelINS0_14default_configENS1_27scan_by_key_config_selectorIj11FixedVectorIiLj4EEEEZZNS1_16scan_by_key_implILNS1_25lookback_scan_determinismE0ELb1ES3_N6thrust23THRUST_200600_302600_NS6detail15normal_iteratorINSB_10device_ptrIjEEEENSD_INSE_IS6_EEEESI_S6_NSB_4plusIvEENSB_8equal_toIvEES6_EE10hipError_tPvRmT2_T3_T4_T5_mT6_T7_P12ihipStream_tbENKUlT_T0_E_clISt17integral_constantIbLb1EES13_EEDaSY_SZ_EUlSY_E_NS1_11comp_targetILNS1_3genE5ELNS1_11target_archE942ELNS1_3gpuE9ELNS1_3repE0EEENS1_30default_config_static_selectorELNS0_4arch9wavefront6targetE0EEEvT1_.num_named_barrier, 0
	.set _ZN7rocprim17ROCPRIM_400000_NS6detail17trampoline_kernelINS0_14default_configENS1_27scan_by_key_config_selectorIj11FixedVectorIiLj4EEEEZZNS1_16scan_by_key_implILNS1_25lookback_scan_determinismE0ELb1ES3_N6thrust23THRUST_200600_302600_NS6detail15normal_iteratorINSB_10device_ptrIjEEEENSD_INSE_IS6_EEEESI_S6_NSB_4plusIvEENSB_8equal_toIvEES6_EE10hipError_tPvRmT2_T3_T4_T5_mT6_T7_P12ihipStream_tbENKUlT_T0_E_clISt17integral_constantIbLb1EES13_EEDaSY_SZ_EUlSY_E_NS1_11comp_targetILNS1_3genE5ELNS1_11target_archE942ELNS1_3gpuE9ELNS1_3repE0EEENS1_30default_config_static_selectorELNS0_4arch9wavefront6targetE0EEEvT1_.private_seg_size, 0
	.set _ZN7rocprim17ROCPRIM_400000_NS6detail17trampoline_kernelINS0_14default_configENS1_27scan_by_key_config_selectorIj11FixedVectorIiLj4EEEEZZNS1_16scan_by_key_implILNS1_25lookback_scan_determinismE0ELb1ES3_N6thrust23THRUST_200600_302600_NS6detail15normal_iteratorINSB_10device_ptrIjEEEENSD_INSE_IS6_EEEESI_S6_NSB_4plusIvEENSB_8equal_toIvEES6_EE10hipError_tPvRmT2_T3_T4_T5_mT6_T7_P12ihipStream_tbENKUlT_T0_E_clISt17integral_constantIbLb1EES13_EEDaSY_SZ_EUlSY_E_NS1_11comp_targetILNS1_3genE5ELNS1_11target_archE942ELNS1_3gpuE9ELNS1_3repE0EEENS1_30default_config_static_selectorELNS0_4arch9wavefront6targetE0EEEvT1_.uses_vcc, 0
	.set _ZN7rocprim17ROCPRIM_400000_NS6detail17trampoline_kernelINS0_14default_configENS1_27scan_by_key_config_selectorIj11FixedVectorIiLj4EEEEZZNS1_16scan_by_key_implILNS1_25lookback_scan_determinismE0ELb1ES3_N6thrust23THRUST_200600_302600_NS6detail15normal_iteratorINSB_10device_ptrIjEEEENSD_INSE_IS6_EEEESI_S6_NSB_4plusIvEENSB_8equal_toIvEES6_EE10hipError_tPvRmT2_T3_T4_T5_mT6_T7_P12ihipStream_tbENKUlT_T0_E_clISt17integral_constantIbLb1EES13_EEDaSY_SZ_EUlSY_E_NS1_11comp_targetILNS1_3genE5ELNS1_11target_archE942ELNS1_3gpuE9ELNS1_3repE0EEENS1_30default_config_static_selectorELNS0_4arch9wavefront6targetE0EEEvT1_.uses_flat_scratch, 0
	.set _ZN7rocprim17ROCPRIM_400000_NS6detail17trampoline_kernelINS0_14default_configENS1_27scan_by_key_config_selectorIj11FixedVectorIiLj4EEEEZZNS1_16scan_by_key_implILNS1_25lookback_scan_determinismE0ELb1ES3_N6thrust23THRUST_200600_302600_NS6detail15normal_iteratorINSB_10device_ptrIjEEEENSD_INSE_IS6_EEEESI_S6_NSB_4plusIvEENSB_8equal_toIvEES6_EE10hipError_tPvRmT2_T3_T4_T5_mT6_T7_P12ihipStream_tbENKUlT_T0_E_clISt17integral_constantIbLb1EES13_EEDaSY_SZ_EUlSY_E_NS1_11comp_targetILNS1_3genE5ELNS1_11target_archE942ELNS1_3gpuE9ELNS1_3repE0EEENS1_30default_config_static_selectorELNS0_4arch9wavefront6targetE0EEEvT1_.has_dyn_sized_stack, 0
	.set _ZN7rocprim17ROCPRIM_400000_NS6detail17trampoline_kernelINS0_14default_configENS1_27scan_by_key_config_selectorIj11FixedVectorIiLj4EEEEZZNS1_16scan_by_key_implILNS1_25lookback_scan_determinismE0ELb1ES3_N6thrust23THRUST_200600_302600_NS6detail15normal_iteratorINSB_10device_ptrIjEEEENSD_INSE_IS6_EEEESI_S6_NSB_4plusIvEENSB_8equal_toIvEES6_EE10hipError_tPvRmT2_T3_T4_T5_mT6_T7_P12ihipStream_tbENKUlT_T0_E_clISt17integral_constantIbLb1EES13_EEDaSY_SZ_EUlSY_E_NS1_11comp_targetILNS1_3genE5ELNS1_11target_archE942ELNS1_3gpuE9ELNS1_3repE0EEENS1_30default_config_static_selectorELNS0_4arch9wavefront6targetE0EEEvT1_.has_recursion, 0
	.set _ZN7rocprim17ROCPRIM_400000_NS6detail17trampoline_kernelINS0_14default_configENS1_27scan_by_key_config_selectorIj11FixedVectorIiLj4EEEEZZNS1_16scan_by_key_implILNS1_25lookback_scan_determinismE0ELb1ES3_N6thrust23THRUST_200600_302600_NS6detail15normal_iteratorINSB_10device_ptrIjEEEENSD_INSE_IS6_EEEESI_S6_NSB_4plusIvEENSB_8equal_toIvEES6_EE10hipError_tPvRmT2_T3_T4_T5_mT6_T7_P12ihipStream_tbENKUlT_T0_E_clISt17integral_constantIbLb1EES13_EEDaSY_SZ_EUlSY_E_NS1_11comp_targetILNS1_3genE5ELNS1_11target_archE942ELNS1_3gpuE9ELNS1_3repE0EEENS1_30default_config_static_selectorELNS0_4arch9wavefront6targetE0EEEvT1_.has_indirect_call, 0
	.section	.AMDGPU.csdata,"",@progbits
; Kernel info:
; codeLenInByte = 0
; TotalNumSgprs: 0
; NumVgprs: 0
; ScratchSize: 0
; MemoryBound: 0
; FloatMode: 240
; IeeeMode: 1
; LDSByteSize: 0 bytes/workgroup (compile time only)
; SGPRBlocks: 0
; VGPRBlocks: 0
; NumSGPRsForWavesPerEU: 1
; NumVGPRsForWavesPerEU: 1
; Occupancy: 16
; WaveLimiterHint : 0
; COMPUTE_PGM_RSRC2:SCRATCH_EN: 0
; COMPUTE_PGM_RSRC2:USER_SGPR: 6
; COMPUTE_PGM_RSRC2:TRAP_HANDLER: 0
; COMPUTE_PGM_RSRC2:TGID_X_EN: 1
; COMPUTE_PGM_RSRC2:TGID_Y_EN: 0
; COMPUTE_PGM_RSRC2:TGID_Z_EN: 0
; COMPUTE_PGM_RSRC2:TIDIG_COMP_CNT: 0
	.section	.text._ZN7rocprim17ROCPRIM_400000_NS6detail17trampoline_kernelINS0_14default_configENS1_27scan_by_key_config_selectorIj11FixedVectorIiLj4EEEEZZNS1_16scan_by_key_implILNS1_25lookback_scan_determinismE0ELb1ES3_N6thrust23THRUST_200600_302600_NS6detail15normal_iteratorINSB_10device_ptrIjEEEENSD_INSE_IS6_EEEESI_S6_NSB_4plusIvEENSB_8equal_toIvEES6_EE10hipError_tPvRmT2_T3_T4_T5_mT6_T7_P12ihipStream_tbENKUlT_T0_E_clISt17integral_constantIbLb1EES13_EEDaSY_SZ_EUlSY_E_NS1_11comp_targetILNS1_3genE4ELNS1_11target_archE910ELNS1_3gpuE8ELNS1_3repE0EEENS1_30default_config_static_selectorELNS0_4arch9wavefront6targetE0EEEvT1_,"axG",@progbits,_ZN7rocprim17ROCPRIM_400000_NS6detail17trampoline_kernelINS0_14default_configENS1_27scan_by_key_config_selectorIj11FixedVectorIiLj4EEEEZZNS1_16scan_by_key_implILNS1_25lookback_scan_determinismE0ELb1ES3_N6thrust23THRUST_200600_302600_NS6detail15normal_iteratorINSB_10device_ptrIjEEEENSD_INSE_IS6_EEEESI_S6_NSB_4plusIvEENSB_8equal_toIvEES6_EE10hipError_tPvRmT2_T3_T4_T5_mT6_T7_P12ihipStream_tbENKUlT_T0_E_clISt17integral_constantIbLb1EES13_EEDaSY_SZ_EUlSY_E_NS1_11comp_targetILNS1_3genE4ELNS1_11target_archE910ELNS1_3gpuE8ELNS1_3repE0EEENS1_30default_config_static_selectorELNS0_4arch9wavefront6targetE0EEEvT1_,comdat
	.protected	_ZN7rocprim17ROCPRIM_400000_NS6detail17trampoline_kernelINS0_14default_configENS1_27scan_by_key_config_selectorIj11FixedVectorIiLj4EEEEZZNS1_16scan_by_key_implILNS1_25lookback_scan_determinismE0ELb1ES3_N6thrust23THRUST_200600_302600_NS6detail15normal_iteratorINSB_10device_ptrIjEEEENSD_INSE_IS6_EEEESI_S6_NSB_4plusIvEENSB_8equal_toIvEES6_EE10hipError_tPvRmT2_T3_T4_T5_mT6_T7_P12ihipStream_tbENKUlT_T0_E_clISt17integral_constantIbLb1EES13_EEDaSY_SZ_EUlSY_E_NS1_11comp_targetILNS1_3genE4ELNS1_11target_archE910ELNS1_3gpuE8ELNS1_3repE0EEENS1_30default_config_static_selectorELNS0_4arch9wavefront6targetE0EEEvT1_ ; -- Begin function _ZN7rocprim17ROCPRIM_400000_NS6detail17trampoline_kernelINS0_14default_configENS1_27scan_by_key_config_selectorIj11FixedVectorIiLj4EEEEZZNS1_16scan_by_key_implILNS1_25lookback_scan_determinismE0ELb1ES3_N6thrust23THRUST_200600_302600_NS6detail15normal_iteratorINSB_10device_ptrIjEEEENSD_INSE_IS6_EEEESI_S6_NSB_4plusIvEENSB_8equal_toIvEES6_EE10hipError_tPvRmT2_T3_T4_T5_mT6_T7_P12ihipStream_tbENKUlT_T0_E_clISt17integral_constantIbLb1EES13_EEDaSY_SZ_EUlSY_E_NS1_11comp_targetILNS1_3genE4ELNS1_11target_archE910ELNS1_3gpuE8ELNS1_3repE0EEENS1_30default_config_static_selectorELNS0_4arch9wavefront6targetE0EEEvT1_
	.globl	_ZN7rocprim17ROCPRIM_400000_NS6detail17trampoline_kernelINS0_14default_configENS1_27scan_by_key_config_selectorIj11FixedVectorIiLj4EEEEZZNS1_16scan_by_key_implILNS1_25lookback_scan_determinismE0ELb1ES3_N6thrust23THRUST_200600_302600_NS6detail15normal_iteratorINSB_10device_ptrIjEEEENSD_INSE_IS6_EEEESI_S6_NSB_4plusIvEENSB_8equal_toIvEES6_EE10hipError_tPvRmT2_T3_T4_T5_mT6_T7_P12ihipStream_tbENKUlT_T0_E_clISt17integral_constantIbLb1EES13_EEDaSY_SZ_EUlSY_E_NS1_11comp_targetILNS1_3genE4ELNS1_11target_archE910ELNS1_3gpuE8ELNS1_3repE0EEENS1_30default_config_static_selectorELNS0_4arch9wavefront6targetE0EEEvT1_
	.p2align	8
	.type	_ZN7rocprim17ROCPRIM_400000_NS6detail17trampoline_kernelINS0_14default_configENS1_27scan_by_key_config_selectorIj11FixedVectorIiLj4EEEEZZNS1_16scan_by_key_implILNS1_25lookback_scan_determinismE0ELb1ES3_N6thrust23THRUST_200600_302600_NS6detail15normal_iteratorINSB_10device_ptrIjEEEENSD_INSE_IS6_EEEESI_S6_NSB_4plusIvEENSB_8equal_toIvEES6_EE10hipError_tPvRmT2_T3_T4_T5_mT6_T7_P12ihipStream_tbENKUlT_T0_E_clISt17integral_constantIbLb1EES13_EEDaSY_SZ_EUlSY_E_NS1_11comp_targetILNS1_3genE4ELNS1_11target_archE910ELNS1_3gpuE8ELNS1_3repE0EEENS1_30default_config_static_selectorELNS0_4arch9wavefront6targetE0EEEvT1_,@function
_ZN7rocprim17ROCPRIM_400000_NS6detail17trampoline_kernelINS0_14default_configENS1_27scan_by_key_config_selectorIj11FixedVectorIiLj4EEEEZZNS1_16scan_by_key_implILNS1_25lookback_scan_determinismE0ELb1ES3_N6thrust23THRUST_200600_302600_NS6detail15normal_iteratorINSB_10device_ptrIjEEEENSD_INSE_IS6_EEEESI_S6_NSB_4plusIvEENSB_8equal_toIvEES6_EE10hipError_tPvRmT2_T3_T4_T5_mT6_T7_P12ihipStream_tbENKUlT_T0_E_clISt17integral_constantIbLb1EES13_EEDaSY_SZ_EUlSY_E_NS1_11comp_targetILNS1_3genE4ELNS1_11target_archE910ELNS1_3gpuE8ELNS1_3repE0EEENS1_30default_config_static_selectorELNS0_4arch9wavefront6targetE0EEEvT1_: ; @_ZN7rocprim17ROCPRIM_400000_NS6detail17trampoline_kernelINS0_14default_configENS1_27scan_by_key_config_selectorIj11FixedVectorIiLj4EEEEZZNS1_16scan_by_key_implILNS1_25lookback_scan_determinismE0ELb1ES3_N6thrust23THRUST_200600_302600_NS6detail15normal_iteratorINSB_10device_ptrIjEEEENSD_INSE_IS6_EEEESI_S6_NSB_4plusIvEENSB_8equal_toIvEES6_EE10hipError_tPvRmT2_T3_T4_T5_mT6_T7_P12ihipStream_tbENKUlT_T0_E_clISt17integral_constantIbLb1EES13_EEDaSY_SZ_EUlSY_E_NS1_11comp_targetILNS1_3genE4ELNS1_11target_archE910ELNS1_3gpuE8ELNS1_3repE0EEENS1_30default_config_static_selectorELNS0_4arch9wavefront6targetE0EEEvT1_
; %bb.0:
	.section	.rodata,"a",@progbits
	.p2align	6, 0x0
	.amdhsa_kernel _ZN7rocprim17ROCPRIM_400000_NS6detail17trampoline_kernelINS0_14default_configENS1_27scan_by_key_config_selectorIj11FixedVectorIiLj4EEEEZZNS1_16scan_by_key_implILNS1_25lookback_scan_determinismE0ELb1ES3_N6thrust23THRUST_200600_302600_NS6detail15normal_iteratorINSB_10device_ptrIjEEEENSD_INSE_IS6_EEEESI_S6_NSB_4plusIvEENSB_8equal_toIvEES6_EE10hipError_tPvRmT2_T3_T4_T5_mT6_T7_P12ihipStream_tbENKUlT_T0_E_clISt17integral_constantIbLb1EES13_EEDaSY_SZ_EUlSY_E_NS1_11comp_targetILNS1_3genE4ELNS1_11target_archE910ELNS1_3gpuE8ELNS1_3repE0EEENS1_30default_config_static_selectorELNS0_4arch9wavefront6targetE0EEEvT1_
		.amdhsa_group_segment_fixed_size 0
		.amdhsa_private_segment_fixed_size 0
		.amdhsa_kernarg_size 144
		.amdhsa_user_sgpr_count 6
		.amdhsa_user_sgpr_private_segment_buffer 1
		.amdhsa_user_sgpr_dispatch_ptr 0
		.amdhsa_user_sgpr_queue_ptr 0
		.amdhsa_user_sgpr_kernarg_segment_ptr 1
		.amdhsa_user_sgpr_dispatch_id 0
		.amdhsa_user_sgpr_flat_scratch_init 0
		.amdhsa_user_sgpr_private_segment_size 0
		.amdhsa_wavefront_size32 1
		.amdhsa_uses_dynamic_stack 0
		.amdhsa_system_sgpr_private_segment_wavefront_offset 0
		.amdhsa_system_sgpr_workgroup_id_x 1
		.amdhsa_system_sgpr_workgroup_id_y 0
		.amdhsa_system_sgpr_workgroup_id_z 0
		.amdhsa_system_sgpr_workgroup_info 0
		.amdhsa_system_vgpr_workitem_id 0
		.amdhsa_next_free_vgpr 1
		.amdhsa_next_free_sgpr 1
		.amdhsa_reserve_vcc 0
		.amdhsa_reserve_flat_scratch 0
		.amdhsa_float_round_mode_32 0
		.amdhsa_float_round_mode_16_64 0
		.amdhsa_float_denorm_mode_32 3
		.amdhsa_float_denorm_mode_16_64 3
		.amdhsa_dx10_clamp 1
		.amdhsa_ieee_mode 1
		.amdhsa_fp16_overflow 0
		.amdhsa_workgroup_processor_mode 1
		.amdhsa_memory_ordered 1
		.amdhsa_forward_progress 1
		.amdhsa_shared_vgpr_count 0
		.amdhsa_exception_fp_ieee_invalid_op 0
		.amdhsa_exception_fp_denorm_src 0
		.amdhsa_exception_fp_ieee_div_zero 0
		.amdhsa_exception_fp_ieee_overflow 0
		.amdhsa_exception_fp_ieee_underflow 0
		.amdhsa_exception_fp_ieee_inexact 0
		.amdhsa_exception_int_div_zero 0
	.end_amdhsa_kernel
	.section	.text._ZN7rocprim17ROCPRIM_400000_NS6detail17trampoline_kernelINS0_14default_configENS1_27scan_by_key_config_selectorIj11FixedVectorIiLj4EEEEZZNS1_16scan_by_key_implILNS1_25lookback_scan_determinismE0ELb1ES3_N6thrust23THRUST_200600_302600_NS6detail15normal_iteratorINSB_10device_ptrIjEEEENSD_INSE_IS6_EEEESI_S6_NSB_4plusIvEENSB_8equal_toIvEES6_EE10hipError_tPvRmT2_T3_T4_T5_mT6_T7_P12ihipStream_tbENKUlT_T0_E_clISt17integral_constantIbLb1EES13_EEDaSY_SZ_EUlSY_E_NS1_11comp_targetILNS1_3genE4ELNS1_11target_archE910ELNS1_3gpuE8ELNS1_3repE0EEENS1_30default_config_static_selectorELNS0_4arch9wavefront6targetE0EEEvT1_,"axG",@progbits,_ZN7rocprim17ROCPRIM_400000_NS6detail17trampoline_kernelINS0_14default_configENS1_27scan_by_key_config_selectorIj11FixedVectorIiLj4EEEEZZNS1_16scan_by_key_implILNS1_25lookback_scan_determinismE0ELb1ES3_N6thrust23THRUST_200600_302600_NS6detail15normal_iteratorINSB_10device_ptrIjEEEENSD_INSE_IS6_EEEESI_S6_NSB_4plusIvEENSB_8equal_toIvEES6_EE10hipError_tPvRmT2_T3_T4_T5_mT6_T7_P12ihipStream_tbENKUlT_T0_E_clISt17integral_constantIbLb1EES13_EEDaSY_SZ_EUlSY_E_NS1_11comp_targetILNS1_3genE4ELNS1_11target_archE910ELNS1_3gpuE8ELNS1_3repE0EEENS1_30default_config_static_selectorELNS0_4arch9wavefront6targetE0EEEvT1_,comdat
.Lfunc_end2087:
	.size	_ZN7rocprim17ROCPRIM_400000_NS6detail17trampoline_kernelINS0_14default_configENS1_27scan_by_key_config_selectorIj11FixedVectorIiLj4EEEEZZNS1_16scan_by_key_implILNS1_25lookback_scan_determinismE0ELb1ES3_N6thrust23THRUST_200600_302600_NS6detail15normal_iteratorINSB_10device_ptrIjEEEENSD_INSE_IS6_EEEESI_S6_NSB_4plusIvEENSB_8equal_toIvEES6_EE10hipError_tPvRmT2_T3_T4_T5_mT6_T7_P12ihipStream_tbENKUlT_T0_E_clISt17integral_constantIbLb1EES13_EEDaSY_SZ_EUlSY_E_NS1_11comp_targetILNS1_3genE4ELNS1_11target_archE910ELNS1_3gpuE8ELNS1_3repE0EEENS1_30default_config_static_selectorELNS0_4arch9wavefront6targetE0EEEvT1_, .Lfunc_end2087-_ZN7rocprim17ROCPRIM_400000_NS6detail17trampoline_kernelINS0_14default_configENS1_27scan_by_key_config_selectorIj11FixedVectorIiLj4EEEEZZNS1_16scan_by_key_implILNS1_25lookback_scan_determinismE0ELb1ES3_N6thrust23THRUST_200600_302600_NS6detail15normal_iteratorINSB_10device_ptrIjEEEENSD_INSE_IS6_EEEESI_S6_NSB_4plusIvEENSB_8equal_toIvEES6_EE10hipError_tPvRmT2_T3_T4_T5_mT6_T7_P12ihipStream_tbENKUlT_T0_E_clISt17integral_constantIbLb1EES13_EEDaSY_SZ_EUlSY_E_NS1_11comp_targetILNS1_3genE4ELNS1_11target_archE910ELNS1_3gpuE8ELNS1_3repE0EEENS1_30default_config_static_selectorELNS0_4arch9wavefront6targetE0EEEvT1_
                                        ; -- End function
	.set _ZN7rocprim17ROCPRIM_400000_NS6detail17trampoline_kernelINS0_14default_configENS1_27scan_by_key_config_selectorIj11FixedVectorIiLj4EEEEZZNS1_16scan_by_key_implILNS1_25lookback_scan_determinismE0ELb1ES3_N6thrust23THRUST_200600_302600_NS6detail15normal_iteratorINSB_10device_ptrIjEEEENSD_INSE_IS6_EEEESI_S6_NSB_4plusIvEENSB_8equal_toIvEES6_EE10hipError_tPvRmT2_T3_T4_T5_mT6_T7_P12ihipStream_tbENKUlT_T0_E_clISt17integral_constantIbLb1EES13_EEDaSY_SZ_EUlSY_E_NS1_11comp_targetILNS1_3genE4ELNS1_11target_archE910ELNS1_3gpuE8ELNS1_3repE0EEENS1_30default_config_static_selectorELNS0_4arch9wavefront6targetE0EEEvT1_.num_vgpr, 0
	.set _ZN7rocprim17ROCPRIM_400000_NS6detail17trampoline_kernelINS0_14default_configENS1_27scan_by_key_config_selectorIj11FixedVectorIiLj4EEEEZZNS1_16scan_by_key_implILNS1_25lookback_scan_determinismE0ELb1ES3_N6thrust23THRUST_200600_302600_NS6detail15normal_iteratorINSB_10device_ptrIjEEEENSD_INSE_IS6_EEEESI_S6_NSB_4plusIvEENSB_8equal_toIvEES6_EE10hipError_tPvRmT2_T3_T4_T5_mT6_T7_P12ihipStream_tbENKUlT_T0_E_clISt17integral_constantIbLb1EES13_EEDaSY_SZ_EUlSY_E_NS1_11comp_targetILNS1_3genE4ELNS1_11target_archE910ELNS1_3gpuE8ELNS1_3repE0EEENS1_30default_config_static_selectorELNS0_4arch9wavefront6targetE0EEEvT1_.num_agpr, 0
	.set _ZN7rocprim17ROCPRIM_400000_NS6detail17trampoline_kernelINS0_14default_configENS1_27scan_by_key_config_selectorIj11FixedVectorIiLj4EEEEZZNS1_16scan_by_key_implILNS1_25lookback_scan_determinismE0ELb1ES3_N6thrust23THRUST_200600_302600_NS6detail15normal_iteratorINSB_10device_ptrIjEEEENSD_INSE_IS6_EEEESI_S6_NSB_4plusIvEENSB_8equal_toIvEES6_EE10hipError_tPvRmT2_T3_T4_T5_mT6_T7_P12ihipStream_tbENKUlT_T0_E_clISt17integral_constantIbLb1EES13_EEDaSY_SZ_EUlSY_E_NS1_11comp_targetILNS1_3genE4ELNS1_11target_archE910ELNS1_3gpuE8ELNS1_3repE0EEENS1_30default_config_static_selectorELNS0_4arch9wavefront6targetE0EEEvT1_.numbered_sgpr, 0
	.set _ZN7rocprim17ROCPRIM_400000_NS6detail17trampoline_kernelINS0_14default_configENS1_27scan_by_key_config_selectorIj11FixedVectorIiLj4EEEEZZNS1_16scan_by_key_implILNS1_25lookback_scan_determinismE0ELb1ES3_N6thrust23THRUST_200600_302600_NS6detail15normal_iteratorINSB_10device_ptrIjEEEENSD_INSE_IS6_EEEESI_S6_NSB_4plusIvEENSB_8equal_toIvEES6_EE10hipError_tPvRmT2_T3_T4_T5_mT6_T7_P12ihipStream_tbENKUlT_T0_E_clISt17integral_constantIbLb1EES13_EEDaSY_SZ_EUlSY_E_NS1_11comp_targetILNS1_3genE4ELNS1_11target_archE910ELNS1_3gpuE8ELNS1_3repE0EEENS1_30default_config_static_selectorELNS0_4arch9wavefront6targetE0EEEvT1_.num_named_barrier, 0
	.set _ZN7rocprim17ROCPRIM_400000_NS6detail17trampoline_kernelINS0_14default_configENS1_27scan_by_key_config_selectorIj11FixedVectorIiLj4EEEEZZNS1_16scan_by_key_implILNS1_25lookback_scan_determinismE0ELb1ES3_N6thrust23THRUST_200600_302600_NS6detail15normal_iteratorINSB_10device_ptrIjEEEENSD_INSE_IS6_EEEESI_S6_NSB_4plusIvEENSB_8equal_toIvEES6_EE10hipError_tPvRmT2_T3_T4_T5_mT6_T7_P12ihipStream_tbENKUlT_T0_E_clISt17integral_constantIbLb1EES13_EEDaSY_SZ_EUlSY_E_NS1_11comp_targetILNS1_3genE4ELNS1_11target_archE910ELNS1_3gpuE8ELNS1_3repE0EEENS1_30default_config_static_selectorELNS0_4arch9wavefront6targetE0EEEvT1_.private_seg_size, 0
	.set _ZN7rocprim17ROCPRIM_400000_NS6detail17trampoline_kernelINS0_14default_configENS1_27scan_by_key_config_selectorIj11FixedVectorIiLj4EEEEZZNS1_16scan_by_key_implILNS1_25lookback_scan_determinismE0ELb1ES3_N6thrust23THRUST_200600_302600_NS6detail15normal_iteratorINSB_10device_ptrIjEEEENSD_INSE_IS6_EEEESI_S6_NSB_4plusIvEENSB_8equal_toIvEES6_EE10hipError_tPvRmT2_T3_T4_T5_mT6_T7_P12ihipStream_tbENKUlT_T0_E_clISt17integral_constantIbLb1EES13_EEDaSY_SZ_EUlSY_E_NS1_11comp_targetILNS1_3genE4ELNS1_11target_archE910ELNS1_3gpuE8ELNS1_3repE0EEENS1_30default_config_static_selectorELNS0_4arch9wavefront6targetE0EEEvT1_.uses_vcc, 0
	.set _ZN7rocprim17ROCPRIM_400000_NS6detail17trampoline_kernelINS0_14default_configENS1_27scan_by_key_config_selectorIj11FixedVectorIiLj4EEEEZZNS1_16scan_by_key_implILNS1_25lookback_scan_determinismE0ELb1ES3_N6thrust23THRUST_200600_302600_NS6detail15normal_iteratorINSB_10device_ptrIjEEEENSD_INSE_IS6_EEEESI_S6_NSB_4plusIvEENSB_8equal_toIvEES6_EE10hipError_tPvRmT2_T3_T4_T5_mT6_T7_P12ihipStream_tbENKUlT_T0_E_clISt17integral_constantIbLb1EES13_EEDaSY_SZ_EUlSY_E_NS1_11comp_targetILNS1_3genE4ELNS1_11target_archE910ELNS1_3gpuE8ELNS1_3repE0EEENS1_30default_config_static_selectorELNS0_4arch9wavefront6targetE0EEEvT1_.uses_flat_scratch, 0
	.set _ZN7rocprim17ROCPRIM_400000_NS6detail17trampoline_kernelINS0_14default_configENS1_27scan_by_key_config_selectorIj11FixedVectorIiLj4EEEEZZNS1_16scan_by_key_implILNS1_25lookback_scan_determinismE0ELb1ES3_N6thrust23THRUST_200600_302600_NS6detail15normal_iteratorINSB_10device_ptrIjEEEENSD_INSE_IS6_EEEESI_S6_NSB_4plusIvEENSB_8equal_toIvEES6_EE10hipError_tPvRmT2_T3_T4_T5_mT6_T7_P12ihipStream_tbENKUlT_T0_E_clISt17integral_constantIbLb1EES13_EEDaSY_SZ_EUlSY_E_NS1_11comp_targetILNS1_3genE4ELNS1_11target_archE910ELNS1_3gpuE8ELNS1_3repE0EEENS1_30default_config_static_selectorELNS0_4arch9wavefront6targetE0EEEvT1_.has_dyn_sized_stack, 0
	.set _ZN7rocprim17ROCPRIM_400000_NS6detail17trampoline_kernelINS0_14default_configENS1_27scan_by_key_config_selectorIj11FixedVectorIiLj4EEEEZZNS1_16scan_by_key_implILNS1_25lookback_scan_determinismE0ELb1ES3_N6thrust23THRUST_200600_302600_NS6detail15normal_iteratorINSB_10device_ptrIjEEEENSD_INSE_IS6_EEEESI_S6_NSB_4plusIvEENSB_8equal_toIvEES6_EE10hipError_tPvRmT2_T3_T4_T5_mT6_T7_P12ihipStream_tbENKUlT_T0_E_clISt17integral_constantIbLb1EES13_EEDaSY_SZ_EUlSY_E_NS1_11comp_targetILNS1_3genE4ELNS1_11target_archE910ELNS1_3gpuE8ELNS1_3repE0EEENS1_30default_config_static_selectorELNS0_4arch9wavefront6targetE0EEEvT1_.has_recursion, 0
	.set _ZN7rocprim17ROCPRIM_400000_NS6detail17trampoline_kernelINS0_14default_configENS1_27scan_by_key_config_selectorIj11FixedVectorIiLj4EEEEZZNS1_16scan_by_key_implILNS1_25lookback_scan_determinismE0ELb1ES3_N6thrust23THRUST_200600_302600_NS6detail15normal_iteratorINSB_10device_ptrIjEEEENSD_INSE_IS6_EEEESI_S6_NSB_4plusIvEENSB_8equal_toIvEES6_EE10hipError_tPvRmT2_T3_T4_T5_mT6_T7_P12ihipStream_tbENKUlT_T0_E_clISt17integral_constantIbLb1EES13_EEDaSY_SZ_EUlSY_E_NS1_11comp_targetILNS1_3genE4ELNS1_11target_archE910ELNS1_3gpuE8ELNS1_3repE0EEENS1_30default_config_static_selectorELNS0_4arch9wavefront6targetE0EEEvT1_.has_indirect_call, 0
	.section	.AMDGPU.csdata,"",@progbits
; Kernel info:
; codeLenInByte = 0
; TotalNumSgprs: 0
; NumVgprs: 0
; ScratchSize: 0
; MemoryBound: 0
; FloatMode: 240
; IeeeMode: 1
; LDSByteSize: 0 bytes/workgroup (compile time only)
; SGPRBlocks: 0
; VGPRBlocks: 0
; NumSGPRsForWavesPerEU: 1
; NumVGPRsForWavesPerEU: 1
; Occupancy: 16
; WaveLimiterHint : 0
; COMPUTE_PGM_RSRC2:SCRATCH_EN: 0
; COMPUTE_PGM_RSRC2:USER_SGPR: 6
; COMPUTE_PGM_RSRC2:TRAP_HANDLER: 0
; COMPUTE_PGM_RSRC2:TGID_X_EN: 1
; COMPUTE_PGM_RSRC2:TGID_Y_EN: 0
; COMPUTE_PGM_RSRC2:TGID_Z_EN: 0
; COMPUTE_PGM_RSRC2:TIDIG_COMP_CNT: 0
	.section	.text._ZN7rocprim17ROCPRIM_400000_NS6detail17trampoline_kernelINS0_14default_configENS1_27scan_by_key_config_selectorIj11FixedVectorIiLj4EEEEZZNS1_16scan_by_key_implILNS1_25lookback_scan_determinismE0ELb1ES3_N6thrust23THRUST_200600_302600_NS6detail15normal_iteratorINSB_10device_ptrIjEEEENSD_INSE_IS6_EEEESI_S6_NSB_4plusIvEENSB_8equal_toIvEES6_EE10hipError_tPvRmT2_T3_T4_T5_mT6_T7_P12ihipStream_tbENKUlT_T0_E_clISt17integral_constantIbLb1EES13_EEDaSY_SZ_EUlSY_E_NS1_11comp_targetILNS1_3genE3ELNS1_11target_archE908ELNS1_3gpuE7ELNS1_3repE0EEENS1_30default_config_static_selectorELNS0_4arch9wavefront6targetE0EEEvT1_,"axG",@progbits,_ZN7rocprim17ROCPRIM_400000_NS6detail17trampoline_kernelINS0_14default_configENS1_27scan_by_key_config_selectorIj11FixedVectorIiLj4EEEEZZNS1_16scan_by_key_implILNS1_25lookback_scan_determinismE0ELb1ES3_N6thrust23THRUST_200600_302600_NS6detail15normal_iteratorINSB_10device_ptrIjEEEENSD_INSE_IS6_EEEESI_S6_NSB_4plusIvEENSB_8equal_toIvEES6_EE10hipError_tPvRmT2_T3_T4_T5_mT6_T7_P12ihipStream_tbENKUlT_T0_E_clISt17integral_constantIbLb1EES13_EEDaSY_SZ_EUlSY_E_NS1_11comp_targetILNS1_3genE3ELNS1_11target_archE908ELNS1_3gpuE7ELNS1_3repE0EEENS1_30default_config_static_selectorELNS0_4arch9wavefront6targetE0EEEvT1_,comdat
	.protected	_ZN7rocprim17ROCPRIM_400000_NS6detail17trampoline_kernelINS0_14default_configENS1_27scan_by_key_config_selectorIj11FixedVectorIiLj4EEEEZZNS1_16scan_by_key_implILNS1_25lookback_scan_determinismE0ELb1ES3_N6thrust23THRUST_200600_302600_NS6detail15normal_iteratorINSB_10device_ptrIjEEEENSD_INSE_IS6_EEEESI_S6_NSB_4plusIvEENSB_8equal_toIvEES6_EE10hipError_tPvRmT2_T3_T4_T5_mT6_T7_P12ihipStream_tbENKUlT_T0_E_clISt17integral_constantIbLb1EES13_EEDaSY_SZ_EUlSY_E_NS1_11comp_targetILNS1_3genE3ELNS1_11target_archE908ELNS1_3gpuE7ELNS1_3repE0EEENS1_30default_config_static_selectorELNS0_4arch9wavefront6targetE0EEEvT1_ ; -- Begin function _ZN7rocprim17ROCPRIM_400000_NS6detail17trampoline_kernelINS0_14default_configENS1_27scan_by_key_config_selectorIj11FixedVectorIiLj4EEEEZZNS1_16scan_by_key_implILNS1_25lookback_scan_determinismE0ELb1ES3_N6thrust23THRUST_200600_302600_NS6detail15normal_iteratorINSB_10device_ptrIjEEEENSD_INSE_IS6_EEEESI_S6_NSB_4plusIvEENSB_8equal_toIvEES6_EE10hipError_tPvRmT2_T3_T4_T5_mT6_T7_P12ihipStream_tbENKUlT_T0_E_clISt17integral_constantIbLb1EES13_EEDaSY_SZ_EUlSY_E_NS1_11comp_targetILNS1_3genE3ELNS1_11target_archE908ELNS1_3gpuE7ELNS1_3repE0EEENS1_30default_config_static_selectorELNS0_4arch9wavefront6targetE0EEEvT1_
	.globl	_ZN7rocprim17ROCPRIM_400000_NS6detail17trampoline_kernelINS0_14default_configENS1_27scan_by_key_config_selectorIj11FixedVectorIiLj4EEEEZZNS1_16scan_by_key_implILNS1_25lookback_scan_determinismE0ELb1ES3_N6thrust23THRUST_200600_302600_NS6detail15normal_iteratorINSB_10device_ptrIjEEEENSD_INSE_IS6_EEEESI_S6_NSB_4plusIvEENSB_8equal_toIvEES6_EE10hipError_tPvRmT2_T3_T4_T5_mT6_T7_P12ihipStream_tbENKUlT_T0_E_clISt17integral_constantIbLb1EES13_EEDaSY_SZ_EUlSY_E_NS1_11comp_targetILNS1_3genE3ELNS1_11target_archE908ELNS1_3gpuE7ELNS1_3repE0EEENS1_30default_config_static_selectorELNS0_4arch9wavefront6targetE0EEEvT1_
	.p2align	8
	.type	_ZN7rocprim17ROCPRIM_400000_NS6detail17trampoline_kernelINS0_14default_configENS1_27scan_by_key_config_selectorIj11FixedVectorIiLj4EEEEZZNS1_16scan_by_key_implILNS1_25lookback_scan_determinismE0ELb1ES3_N6thrust23THRUST_200600_302600_NS6detail15normal_iteratorINSB_10device_ptrIjEEEENSD_INSE_IS6_EEEESI_S6_NSB_4plusIvEENSB_8equal_toIvEES6_EE10hipError_tPvRmT2_T3_T4_T5_mT6_T7_P12ihipStream_tbENKUlT_T0_E_clISt17integral_constantIbLb1EES13_EEDaSY_SZ_EUlSY_E_NS1_11comp_targetILNS1_3genE3ELNS1_11target_archE908ELNS1_3gpuE7ELNS1_3repE0EEENS1_30default_config_static_selectorELNS0_4arch9wavefront6targetE0EEEvT1_,@function
_ZN7rocprim17ROCPRIM_400000_NS6detail17trampoline_kernelINS0_14default_configENS1_27scan_by_key_config_selectorIj11FixedVectorIiLj4EEEEZZNS1_16scan_by_key_implILNS1_25lookback_scan_determinismE0ELb1ES3_N6thrust23THRUST_200600_302600_NS6detail15normal_iteratorINSB_10device_ptrIjEEEENSD_INSE_IS6_EEEESI_S6_NSB_4plusIvEENSB_8equal_toIvEES6_EE10hipError_tPvRmT2_T3_T4_T5_mT6_T7_P12ihipStream_tbENKUlT_T0_E_clISt17integral_constantIbLb1EES13_EEDaSY_SZ_EUlSY_E_NS1_11comp_targetILNS1_3genE3ELNS1_11target_archE908ELNS1_3gpuE7ELNS1_3repE0EEENS1_30default_config_static_selectorELNS0_4arch9wavefront6targetE0EEEvT1_: ; @_ZN7rocprim17ROCPRIM_400000_NS6detail17trampoline_kernelINS0_14default_configENS1_27scan_by_key_config_selectorIj11FixedVectorIiLj4EEEEZZNS1_16scan_by_key_implILNS1_25lookback_scan_determinismE0ELb1ES3_N6thrust23THRUST_200600_302600_NS6detail15normal_iteratorINSB_10device_ptrIjEEEENSD_INSE_IS6_EEEESI_S6_NSB_4plusIvEENSB_8equal_toIvEES6_EE10hipError_tPvRmT2_T3_T4_T5_mT6_T7_P12ihipStream_tbENKUlT_T0_E_clISt17integral_constantIbLb1EES13_EEDaSY_SZ_EUlSY_E_NS1_11comp_targetILNS1_3genE3ELNS1_11target_archE908ELNS1_3gpuE7ELNS1_3repE0EEENS1_30default_config_static_selectorELNS0_4arch9wavefront6targetE0EEEvT1_
; %bb.0:
	.section	.rodata,"a",@progbits
	.p2align	6, 0x0
	.amdhsa_kernel _ZN7rocprim17ROCPRIM_400000_NS6detail17trampoline_kernelINS0_14default_configENS1_27scan_by_key_config_selectorIj11FixedVectorIiLj4EEEEZZNS1_16scan_by_key_implILNS1_25lookback_scan_determinismE0ELb1ES3_N6thrust23THRUST_200600_302600_NS6detail15normal_iteratorINSB_10device_ptrIjEEEENSD_INSE_IS6_EEEESI_S6_NSB_4plusIvEENSB_8equal_toIvEES6_EE10hipError_tPvRmT2_T3_T4_T5_mT6_T7_P12ihipStream_tbENKUlT_T0_E_clISt17integral_constantIbLb1EES13_EEDaSY_SZ_EUlSY_E_NS1_11comp_targetILNS1_3genE3ELNS1_11target_archE908ELNS1_3gpuE7ELNS1_3repE0EEENS1_30default_config_static_selectorELNS0_4arch9wavefront6targetE0EEEvT1_
		.amdhsa_group_segment_fixed_size 0
		.amdhsa_private_segment_fixed_size 0
		.amdhsa_kernarg_size 144
		.amdhsa_user_sgpr_count 6
		.amdhsa_user_sgpr_private_segment_buffer 1
		.amdhsa_user_sgpr_dispatch_ptr 0
		.amdhsa_user_sgpr_queue_ptr 0
		.amdhsa_user_sgpr_kernarg_segment_ptr 1
		.amdhsa_user_sgpr_dispatch_id 0
		.amdhsa_user_sgpr_flat_scratch_init 0
		.amdhsa_user_sgpr_private_segment_size 0
		.amdhsa_wavefront_size32 1
		.amdhsa_uses_dynamic_stack 0
		.amdhsa_system_sgpr_private_segment_wavefront_offset 0
		.amdhsa_system_sgpr_workgroup_id_x 1
		.amdhsa_system_sgpr_workgroup_id_y 0
		.amdhsa_system_sgpr_workgroup_id_z 0
		.amdhsa_system_sgpr_workgroup_info 0
		.amdhsa_system_vgpr_workitem_id 0
		.amdhsa_next_free_vgpr 1
		.amdhsa_next_free_sgpr 1
		.amdhsa_reserve_vcc 0
		.amdhsa_reserve_flat_scratch 0
		.amdhsa_float_round_mode_32 0
		.amdhsa_float_round_mode_16_64 0
		.amdhsa_float_denorm_mode_32 3
		.amdhsa_float_denorm_mode_16_64 3
		.amdhsa_dx10_clamp 1
		.amdhsa_ieee_mode 1
		.amdhsa_fp16_overflow 0
		.amdhsa_workgroup_processor_mode 1
		.amdhsa_memory_ordered 1
		.amdhsa_forward_progress 1
		.amdhsa_shared_vgpr_count 0
		.amdhsa_exception_fp_ieee_invalid_op 0
		.amdhsa_exception_fp_denorm_src 0
		.amdhsa_exception_fp_ieee_div_zero 0
		.amdhsa_exception_fp_ieee_overflow 0
		.amdhsa_exception_fp_ieee_underflow 0
		.amdhsa_exception_fp_ieee_inexact 0
		.amdhsa_exception_int_div_zero 0
	.end_amdhsa_kernel
	.section	.text._ZN7rocprim17ROCPRIM_400000_NS6detail17trampoline_kernelINS0_14default_configENS1_27scan_by_key_config_selectorIj11FixedVectorIiLj4EEEEZZNS1_16scan_by_key_implILNS1_25lookback_scan_determinismE0ELb1ES3_N6thrust23THRUST_200600_302600_NS6detail15normal_iteratorINSB_10device_ptrIjEEEENSD_INSE_IS6_EEEESI_S6_NSB_4plusIvEENSB_8equal_toIvEES6_EE10hipError_tPvRmT2_T3_T4_T5_mT6_T7_P12ihipStream_tbENKUlT_T0_E_clISt17integral_constantIbLb1EES13_EEDaSY_SZ_EUlSY_E_NS1_11comp_targetILNS1_3genE3ELNS1_11target_archE908ELNS1_3gpuE7ELNS1_3repE0EEENS1_30default_config_static_selectorELNS0_4arch9wavefront6targetE0EEEvT1_,"axG",@progbits,_ZN7rocprim17ROCPRIM_400000_NS6detail17trampoline_kernelINS0_14default_configENS1_27scan_by_key_config_selectorIj11FixedVectorIiLj4EEEEZZNS1_16scan_by_key_implILNS1_25lookback_scan_determinismE0ELb1ES3_N6thrust23THRUST_200600_302600_NS6detail15normal_iteratorINSB_10device_ptrIjEEEENSD_INSE_IS6_EEEESI_S6_NSB_4plusIvEENSB_8equal_toIvEES6_EE10hipError_tPvRmT2_T3_T4_T5_mT6_T7_P12ihipStream_tbENKUlT_T0_E_clISt17integral_constantIbLb1EES13_EEDaSY_SZ_EUlSY_E_NS1_11comp_targetILNS1_3genE3ELNS1_11target_archE908ELNS1_3gpuE7ELNS1_3repE0EEENS1_30default_config_static_selectorELNS0_4arch9wavefront6targetE0EEEvT1_,comdat
.Lfunc_end2088:
	.size	_ZN7rocprim17ROCPRIM_400000_NS6detail17trampoline_kernelINS0_14default_configENS1_27scan_by_key_config_selectorIj11FixedVectorIiLj4EEEEZZNS1_16scan_by_key_implILNS1_25lookback_scan_determinismE0ELb1ES3_N6thrust23THRUST_200600_302600_NS6detail15normal_iteratorINSB_10device_ptrIjEEEENSD_INSE_IS6_EEEESI_S6_NSB_4plusIvEENSB_8equal_toIvEES6_EE10hipError_tPvRmT2_T3_T4_T5_mT6_T7_P12ihipStream_tbENKUlT_T0_E_clISt17integral_constantIbLb1EES13_EEDaSY_SZ_EUlSY_E_NS1_11comp_targetILNS1_3genE3ELNS1_11target_archE908ELNS1_3gpuE7ELNS1_3repE0EEENS1_30default_config_static_selectorELNS0_4arch9wavefront6targetE0EEEvT1_, .Lfunc_end2088-_ZN7rocprim17ROCPRIM_400000_NS6detail17trampoline_kernelINS0_14default_configENS1_27scan_by_key_config_selectorIj11FixedVectorIiLj4EEEEZZNS1_16scan_by_key_implILNS1_25lookback_scan_determinismE0ELb1ES3_N6thrust23THRUST_200600_302600_NS6detail15normal_iteratorINSB_10device_ptrIjEEEENSD_INSE_IS6_EEEESI_S6_NSB_4plusIvEENSB_8equal_toIvEES6_EE10hipError_tPvRmT2_T3_T4_T5_mT6_T7_P12ihipStream_tbENKUlT_T0_E_clISt17integral_constantIbLb1EES13_EEDaSY_SZ_EUlSY_E_NS1_11comp_targetILNS1_3genE3ELNS1_11target_archE908ELNS1_3gpuE7ELNS1_3repE0EEENS1_30default_config_static_selectorELNS0_4arch9wavefront6targetE0EEEvT1_
                                        ; -- End function
	.set _ZN7rocprim17ROCPRIM_400000_NS6detail17trampoline_kernelINS0_14default_configENS1_27scan_by_key_config_selectorIj11FixedVectorIiLj4EEEEZZNS1_16scan_by_key_implILNS1_25lookback_scan_determinismE0ELb1ES3_N6thrust23THRUST_200600_302600_NS6detail15normal_iteratorINSB_10device_ptrIjEEEENSD_INSE_IS6_EEEESI_S6_NSB_4plusIvEENSB_8equal_toIvEES6_EE10hipError_tPvRmT2_T3_T4_T5_mT6_T7_P12ihipStream_tbENKUlT_T0_E_clISt17integral_constantIbLb1EES13_EEDaSY_SZ_EUlSY_E_NS1_11comp_targetILNS1_3genE3ELNS1_11target_archE908ELNS1_3gpuE7ELNS1_3repE0EEENS1_30default_config_static_selectorELNS0_4arch9wavefront6targetE0EEEvT1_.num_vgpr, 0
	.set _ZN7rocprim17ROCPRIM_400000_NS6detail17trampoline_kernelINS0_14default_configENS1_27scan_by_key_config_selectorIj11FixedVectorIiLj4EEEEZZNS1_16scan_by_key_implILNS1_25lookback_scan_determinismE0ELb1ES3_N6thrust23THRUST_200600_302600_NS6detail15normal_iteratorINSB_10device_ptrIjEEEENSD_INSE_IS6_EEEESI_S6_NSB_4plusIvEENSB_8equal_toIvEES6_EE10hipError_tPvRmT2_T3_T4_T5_mT6_T7_P12ihipStream_tbENKUlT_T0_E_clISt17integral_constantIbLb1EES13_EEDaSY_SZ_EUlSY_E_NS1_11comp_targetILNS1_3genE3ELNS1_11target_archE908ELNS1_3gpuE7ELNS1_3repE0EEENS1_30default_config_static_selectorELNS0_4arch9wavefront6targetE0EEEvT1_.num_agpr, 0
	.set _ZN7rocprim17ROCPRIM_400000_NS6detail17trampoline_kernelINS0_14default_configENS1_27scan_by_key_config_selectorIj11FixedVectorIiLj4EEEEZZNS1_16scan_by_key_implILNS1_25lookback_scan_determinismE0ELb1ES3_N6thrust23THRUST_200600_302600_NS6detail15normal_iteratorINSB_10device_ptrIjEEEENSD_INSE_IS6_EEEESI_S6_NSB_4plusIvEENSB_8equal_toIvEES6_EE10hipError_tPvRmT2_T3_T4_T5_mT6_T7_P12ihipStream_tbENKUlT_T0_E_clISt17integral_constantIbLb1EES13_EEDaSY_SZ_EUlSY_E_NS1_11comp_targetILNS1_3genE3ELNS1_11target_archE908ELNS1_3gpuE7ELNS1_3repE0EEENS1_30default_config_static_selectorELNS0_4arch9wavefront6targetE0EEEvT1_.numbered_sgpr, 0
	.set _ZN7rocprim17ROCPRIM_400000_NS6detail17trampoline_kernelINS0_14default_configENS1_27scan_by_key_config_selectorIj11FixedVectorIiLj4EEEEZZNS1_16scan_by_key_implILNS1_25lookback_scan_determinismE0ELb1ES3_N6thrust23THRUST_200600_302600_NS6detail15normal_iteratorINSB_10device_ptrIjEEEENSD_INSE_IS6_EEEESI_S6_NSB_4plusIvEENSB_8equal_toIvEES6_EE10hipError_tPvRmT2_T3_T4_T5_mT6_T7_P12ihipStream_tbENKUlT_T0_E_clISt17integral_constantIbLb1EES13_EEDaSY_SZ_EUlSY_E_NS1_11comp_targetILNS1_3genE3ELNS1_11target_archE908ELNS1_3gpuE7ELNS1_3repE0EEENS1_30default_config_static_selectorELNS0_4arch9wavefront6targetE0EEEvT1_.num_named_barrier, 0
	.set _ZN7rocprim17ROCPRIM_400000_NS6detail17trampoline_kernelINS0_14default_configENS1_27scan_by_key_config_selectorIj11FixedVectorIiLj4EEEEZZNS1_16scan_by_key_implILNS1_25lookback_scan_determinismE0ELb1ES3_N6thrust23THRUST_200600_302600_NS6detail15normal_iteratorINSB_10device_ptrIjEEEENSD_INSE_IS6_EEEESI_S6_NSB_4plusIvEENSB_8equal_toIvEES6_EE10hipError_tPvRmT2_T3_T4_T5_mT6_T7_P12ihipStream_tbENKUlT_T0_E_clISt17integral_constantIbLb1EES13_EEDaSY_SZ_EUlSY_E_NS1_11comp_targetILNS1_3genE3ELNS1_11target_archE908ELNS1_3gpuE7ELNS1_3repE0EEENS1_30default_config_static_selectorELNS0_4arch9wavefront6targetE0EEEvT1_.private_seg_size, 0
	.set _ZN7rocprim17ROCPRIM_400000_NS6detail17trampoline_kernelINS0_14default_configENS1_27scan_by_key_config_selectorIj11FixedVectorIiLj4EEEEZZNS1_16scan_by_key_implILNS1_25lookback_scan_determinismE0ELb1ES3_N6thrust23THRUST_200600_302600_NS6detail15normal_iteratorINSB_10device_ptrIjEEEENSD_INSE_IS6_EEEESI_S6_NSB_4plusIvEENSB_8equal_toIvEES6_EE10hipError_tPvRmT2_T3_T4_T5_mT6_T7_P12ihipStream_tbENKUlT_T0_E_clISt17integral_constantIbLb1EES13_EEDaSY_SZ_EUlSY_E_NS1_11comp_targetILNS1_3genE3ELNS1_11target_archE908ELNS1_3gpuE7ELNS1_3repE0EEENS1_30default_config_static_selectorELNS0_4arch9wavefront6targetE0EEEvT1_.uses_vcc, 0
	.set _ZN7rocprim17ROCPRIM_400000_NS6detail17trampoline_kernelINS0_14default_configENS1_27scan_by_key_config_selectorIj11FixedVectorIiLj4EEEEZZNS1_16scan_by_key_implILNS1_25lookback_scan_determinismE0ELb1ES3_N6thrust23THRUST_200600_302600_NS6detail15normal_iteratorINSB_10device_ptrIjEEEENSD_INSE_IS6_EEEESI_S6_NSB_4plusIvEENSB_8equal_toIvEES6_EE10hipError_tPvRmT2_T3_T4_T5_mT6_T7_P12ihipStream_tbENKUlT_T0_E_clISt17integral_constantIbLb1EES13_EEDaSY_SZ_EUlSY_E_NS1_11comp_targetILNS1_3genE3ELNS1_11target_archE908ELNS1_3gpuE7ELNS1_3repE0EEENS1_30default_config_static_selectorELNS0_4arch9wavefront6targetE0EEEvT1_.uses_flat_scratch, 0
	.set _ZN7rocprim17ROCPRIM_400000_NS6detail17trampoline_kernelINS0_14default_configENS1_27scan_by_key_config_selectorIj11FixedVectorIiLj4EEEEZZNS1_16scan_by_key_implILNS1_25lookback_scan_determinismE0ELb1ES3_N6thrust23THRUST_200600_302600_NS6detail15normal_iteratorINSB_10device_ptrIjEEEENSD_INSE_IS6_EEEESI_S6_NSB_4plusIvEENSB_8equal_toIvEES6_EE10hipError_tPvRmT2_T3_T4_T5_mT6_T7_P12ihipStream_tbENKUlT_T0_E_clISt17integral_constantIbLb1EES13_EEDaSY_SZ_EUlSY_E_NS1_11comp_targetILNS1_3genE3ELNS1_11target_archE908ELNS1_3gpuE7ELNS1_3repE0EEENS1_30default_config_static_selectorELNS0_4arch9wavefront6targetE0EEEvT1_.has_dyn_sized_stack, 0
	.set _ZN7rocprim17ROCPRIM_400000_NS6detail17trampoline_kernelINS0_14default_configENS1_27scan_by_key_config_selectorIj11FixedVectorIiLj4EEEEZZNS1_16scan_by_key_implILNS1_25lookback_scan_determinismE0ELb1ES3_N6thrust23THRUST_200600_302600_NS6detail15normal_iteratorINSB_10device_ptrIjEEEENSD_INSE_IS6_EEEESI_S6_NSB_4plusIvEENSB_8equal_toIvEES6_EE10hipError_tPvRmT2_T3_T4_T5_mT6_T7_P12ihipStream_tbENKUlT_T0_E_clISt17integral_constantIbLb1EES13_EEDaSY_SZ_EUlSY_E_NS1_11comp_targetILNS1_3genE3ELNS1_11target_archE908ELNS1_3gpuE7ELNS1_3repE0EEENS1_30default_config_static_selectorELNS0_4arch9wavefront6targetE0EEEvT1_.has_recursion, 0
	.set _ZN7rocprim17ROCPRIM_400000_NS6detail17trampoline_kernelINS0_14default_configENS1_27scan_by_key_config_selectorIj11FixedVectorIiLj4EEEEZZNS1_16scan_by_key_implILNS1_25lookback_scan_determinismE0ELb1ES3_N6thrust23THRUST_200600_302600_NS6detail15normal_iteratorINSB_10device_ptrIjEEEENSD_INSE_IS6_EEEESI_S6_NSB_4plusIvEENSB_8equal_toIvEES6_EE10hipError_tPvRmT2_T3_T4_T5_mT6_T7_P12ihipStream_tbENKUlT_T0_E_clISt17integral_constantIbLb1EES13_EEDaSY_SZ_EUlSY_E_NS1_11comp_targetILNS1_3genE3ELNS1_11target_archE908ELNS1_3gpuE7ELNS1_3repE0EEENS1_30default_config_static_selectorELNS0_4arch9wavefront6targetE0EEEvT1_.has_indirect_call, 0
	.section	.AMDGPU.csdata,"",@progbits
; Kernel info:
; codeLenInByte = 0
; TotalNumSgprs: 0
; NumVgprs: 0
; ScratchSize: 0
; MemoryBound: 0
; FloatMode: 240
; IeeeMode: 1
; LDSByteSize: 0 bytes/workgroup (compile time only)
; SGPRBlocks: 0
; VGPRBlocks: 0
; NumSGPRsForWavesPerEU: 1
; NumVGPRsForWavesPerEU: 1
; Occupancy: 16
; WaveLimiterHint : 0
; COMPUTE_PGM_RSRC2:SCRATCH_EN: 0
; COMPUTE_PGM_RSRC2:USER_SGPR: 6
; COMPUTE_PGM_RSRC2:TRAP_HANDLER: 0
; COMPUTE_PGM_RSRC2:TGID_X_EN: 1
; COMPUTE_PGM_RSRC2:TGID_Y_EN: 0
; COMPUTE_PGM_RSRC2:TGID_Z_EN: 0
; COMPUTE_PGM_RSRC2:TIDIG_COMP_CNT: 0
	.section	.text._ZN7rocprim17ROCPRIM_400000_NS6detail17trampoline_kernelINS0_14default_configENS1_27scan_by_key_config_selectorIj11FixedVectorIiLj4EEEEZZNS1_16scan_by_key_implILNS1_25lookback_scan_determinismE0ELb1ES3_N6thrust23THRUST_200600_302600_NS6detail15normal_iteratorINSB_10device_ptrIjEEEENSD_INSE_IS6_EEEESI_S6_NSB_4plusIvEENSB_8equal_toIvEES6_EE10hipError_tPvRmT2_T3_T4_T5_mT6_T7_P12ihipStream_tbENKUlT_T0_E_clISt17integral_constantIbLb1EES13_EEDaSY_SZ_EUlSY_E_NS1_11comp_targetILNS1_3genE2ELNS1_11target_archE906ELNS1_3gpuE6ELNS1_3repE0EEENS1_30default_config_static_selectorELNS0_4arch9wavefront6targetE0EEEvT1_,"axG",@progbits,_ZN7rocprim17ROCPRIM_400000_NS6detail17trampoline_kernelINS0_14default_configENS1_27scan_by_key_config_selectorIj11FixedVectorIiLj4EEEEZZNS1_16scan_by_key_implILNS1_25lookback_scan_determinismE0ELb1ES3_N6thrust23THRUST_200600_302600_NS6detail15normal_iteratorINSB_10device_ptrIjEEEENSD_INSE_IS6_EEEESI_S6_NSB_4plusIvEENSB_8equal_toIvEES6_EE10hipError_tPvRmT2_T3_T4_T5_mT6_T7_P12ihipStream_tbENKUlT_T0_E_clISt17integral_constantIbLb1EES13_EEDaSY_SZ_EUlSY_E_NS1_11comp_targetILNS1_3genE2ELNS1_11target_archE906ELNS1_3gpuE6ELNS1_3repE0EEENS1_30default_config_static_selectorELNS0_4arch9wavefront6targetE0EEEvT1_,comdat
	.protected	_ZN7rocprim17ROCPRIM_400000_NS6detail17trampoline_kernelINS0_14default_configENS1_27scan_by_key_config_selectorIj11FixedVectorIiLj4EEEEZZNS1_16scan_by_key_implILNS1_25lookback_scan_determinismE0ELb1ES3_N6thrust23THRUST_200600_302600_NS6detail15normal_iteratorINSB_10device_ptrIjEEEENSD_INSE_IS6_EEEESI_S6_NSB_4plusIvEENSB_8equal_toIvEES6_EE10hipError_tPvRmT2_T3_T4_T5_mT6_T7_P12ihipStream_tbENKUlT_T0_E_clISt17integral_constantIbLb1EES13_EEDaSY_SZ_EUlSY_E_NS1_11comp_targetILNS1_3genE2ELNS1_11target_archE906ELNS1_3gpuE6ELNS1_3repE0EEENS1_30default_config_static_selectorELNS0_4arch9wavefront6targetE0EEEvT1_ ; -- Begin function _ZN7rocprim17ROCPRIM_400000_NS6detail17trampoline_kernelINS0_14default_configENS1_27scan_by_key_config_selectorIj11FixedVectorIiLj4EEEEZZNS1_16scan_by_key_implILNS1_25lookback_scan_determinismE0ELb1ES3_N6thrust23THRUST_200600_302600_NS6detail15normal_iteratorINSB_10device_ptrIjEEEENSD_INSE_IS6_EEEESI_S6_NSB_4plusIvEENSB_8equal_toIvEES6_EE10hipError_tPvRmT2_T3_T4_T5_mT6_T7_P12ihipStream_tbENKUlT_T0_E_clISt17integral_constantIbLb1EES13_EEDaSY_SZ_EUlSY_E_NS1_11comp_targetILNS1_3genE2ELNS1_11target_archE906ELNS1_3gpuE6ELNS1_3repE0EEENS1_30default_config_static_selectorELNS0_4arch9wavefront6targetE0EEEvT1_
	.globl	_ZN7rocprim17ROCPRIM_400000_NS6detail17trampoline_kernelINS0_14default_configENS1_27scan_by_key_config_selectorIj11FixedVectorIiLj4EEEEZZNS1_16scan_by_key_implILNS1_25lookback_scan_determinismE0ELb1ES3_N6thrust23THRUST_200600_302600_NS6detail15normal_iteratorINSB_10device_ptrIjEEEENSD_INSE_IS6_EEEESI_S6_NSB_4plusIvEENSB_8equal_toIvEES6_EE10hipError_tPvRmT2_T3_T4_T5_mT6_T7_P12ihipStream_tbENKUlT_T0_E_clISt17integral_constantIbLb1EES13_EEDaSY_SZ_EUlSY_E_NS1_11comp_targetILNS1_3genE2ELNS1_11target_archE906ELNS1_3gpuE6ELNS1_3repE0EEENS1_30default_config_static_selectorELNS0_4arch9wavefront6targetE0EEEvT1_
	.p2align	8
	.type	_ZN7rocprim17ROCPRIM_400000_NS6detail17trampoline_kernelINS0_14default_configENS1_27scan_by_key_config_selectorIj11FixedVectorIiLj4EEEEZZNS1_16scan_by_key_implILNS1_25lookback_scan_determinismE0ELb1ES3_N6thrust23THRUST_200600_302600_NS6detail15normal_iteratorINSB_10device_ptrIjEEEENSD_INSE_IS6_EEEESI_S6_NSB_4plusIvEENSB_8equal_toIvEES6_EE10hipError_tPvRmT2_T3_T4_T5_mT6_T7_P12ihipStream_tbENKUlT_T0_E_clISt17integral_constantIbLb1EES13_EEDaSY_SZ_EUlSY_E_NS1_11comp_targetILNS1_3genE2ELNS1_11target_archE906ELNS1_3gpuE6ELNS1_3repE0EEENS1_30default_config_static_selectorELNS0_4arch9wavefront6targetE0EEEvT1_,@function
_ZN7rocprim17ROCPRIM_400000_NS6detail17trampoline_kernelINS0_14default_configENS1_27scan_by_key_config_selectorIj11FixedVectorIiLj4EEEEZZNS1_16scan_by_key_implILNS1_25lookback_scan_determinismE0ELb1ES3_N6thrust23THRUST_200600_302600_NS6detail15normal_iteratorINSB_10device_ptrIjEEEENSD_INSE_IS6_EEEESI_S6_NSB_4plusIvEENSB_8equal_toIvEES6_EE10hipError_tPvRmT2_T3_T4_T5_mT6_T7_P12ihipStream_tbENKUlT_T0_E_clISt17integral_constantIbLb1EES13_EEDaSY_SZ_EUlSY_E_NS1_11comp_targetILNS1_3genE2ELNS1_11target_archE906ELNS1_3gpuE6ELNS1_3repE0EEENS1_30default_config_static_selectorELNS0_4arch9wavefront6targetE0EEEvT1_: ; @_ZN7rocprim17ROCPRIM_400000_NS6detail17trampoline_kernelINS0_14default_configENS1_27scan_by_key_config_selectorIj11FixedVectorIiLj4EEEEZZNS1_16scan_by_key_implILNS1_25lookback_scan_determinismE0ELb1ES3_N6thrust23THRUST_200600_302600_NS6detail15normal_iteratorINSB_10device_ptrIjEEEENSD_INSE_IS6_EEEESI_S6_NSB_4plusIvEENSB_8equal_toIvEES6_EE10hipError_tPvRmT2_T3_T4_T5_mT6_T7_P12ihipStream_tbENKUlT_T0_E_clISt17integral_constantIbLb1EES13_EEDaSY_SZ_EUlSY_E_NS1_11comp_targetILNS1_3genE2ELNS1_11target_archE906ELNS1_3gpuE6ELNS1_3repE0EEENS1_30default_config_static_selectorELNS0_4arch9wavefront6targetE0EEEvT1_
; %bb.0:
	.section	.rodata,"a",@progbits
	.p2align	6, 0x0
	.amdhsa_kernel _ZN7rocprim17ROCPRIM_400000_NS6detail17trampoline_kernelINS0_14default_configENS1_27scan_by_key_config_selectorIj11FixedVectorIiLj4EEEEZZNS1_16scan_by_key_implILNS1_25lookback_scan_determinismE0ELb1ES3_N6thrust23THRUST_200600_302600_NS6detail15normal_iteratorINSB_10device_ptrIjEEEENSD_INSE_IS6_EEEESI_S6_NSB_4plusIvEENSB_8equal_toIvEES6_EE10hipError_tPvRmT2_T3_T4_T5_mT6_T7_P12ihipStream_tbENKUlT_T0_E_clISt17integral_constantIbLb1EES13_EEDaSY_SZ_EUlSY_E_NS1_11comp_targetILNS1_3genE2ELNS1_11target_archE906ELNS1_3gpuE6ELNS1_3repE0EEENS1_30default_config_static_selectorELNS0_4arch9wavefront6targetE0EEEvT1_
		.amdhsa_group_segment_fixed_size 0
		.amdhsa_private_segment_fixed_size 0
		.amdhsa_kernarg_size 144
		.amdhsa_user_sgpr_count 6
		.amdhsa_user_sgpr_private_segment_buffer 1
		.amdhsa_user_sgpr_dispatch_ptr 0
		.amdhsa_user_sgpr_queue_ptr 0
		.amdhsa_user_sgpr_kernarg_segment_ptr 1
		.amdhsa_user_sgpr_dispatch_id 0
		.amdhsa_user_sgpr_flat_scratch_init 0
		.amdhsa_user_sgpr_private_segment_size 0
		.amdhsa_wavefront_size32 1
		.amdhsa_uses_dynamic_stack 0
		.amdhsa_system_sgpr_private_segment_wavefront_offset 0
		.amdhsa_system_sgpr_workgroup_id_x 1
		.amdhsa_system_sgpr_workgroup_id_y 0
		.amdhsa_system_sgpr_workgroup_id_z 0
		.amdhsa_system_sgpr_workgroup_info 0
		.amdhsa_system_vgpr_workitem_id 0
		.amdhsa_next_free_vgpr 1
		.amdhsa_next_free_sgpr 1
		.amdhsa_reserve_vcc 0
		.amdhsa_reserve_flat_scratch 0
		.amdhsa_float_round_mode_32 0
		.amdhsa_float_round_mode_16_64 0
		.amdhsa_float_denorm_mode_32 3
		.amdhsa_float_denorm_mode_16_64 3
		.amdhsa_dx10_clamp 1
		.amdhsa_ieee_mode 1
		.amdhsa_fp16_overflow 0
		.amdhsa_workgroup_processor_mode 1
		.amdhsa_memory_ordered 1
		.amdhsa_forward_progress 1
		.amdhsa_shared_vgpr_count 0
		.amdhsa_exception_fp_ieee_invalid_op 0
		.amdhsa_exception_fp_denorm_src 0
		.amdhsa_exception_fp_ieee_div_zero 0
		.amdhsa_exception_fp_ieee_overflow 0
		.amdhsa_exception_fp_ieee_underflow 0
		.amdhsa_exception_fp_ieee_inexact 0
		.amdhsa_exception_int_div_zero 0
	.end_amdhsa_kernel
	.section	.text._ZN7rocprim17ROCPRIM_400000_NS6detail17trampoline_kernelINS0_14default_configENS1_27scan_by_key_config_selectorIj11FixedVectorIiLj4EEEEZZNS1_16scan_by_key_implILNS1_25lookback_scan_determinismE0ELb1ES3_N6thrust23THRUST_200600_302600_NS6detail15normal_iteratorINSB_10device_ptrIjEEEENSD_INSE_IS6_EEEESI_S6_NSB_4plusIvEENSB_8equal_toIvEES6_EE10hipError_tPvRmT2_T3_T4_T5_mT6_T7_P12ihipStream_tbENKUlT_T0_E_clISt17integral_constantIbLb1EES13_EEDaSY_SZ_EUlSY_E_NS1_11comp_targetILNS1_3genE2ELNS1_11target_archE906ELNS1_3gpuE6ELNS1_3repE0EEENS1_30default_config_static_selectorELNS0_4arch9wavefront6targetE0EEEvT1_,"axG",@progbits,_ZN7rocprim17ROCPRIM_400000_NS6detail17trampoline_kernelINS0_14default_configENS1_27scan_by_key_config_selectorIj11FixedVectorIiLj4EEEEZZNS1_16scan_by_key_implILNS1_25lookback_scan_determinismE0ELb1ES3_N6thrust23THRUST_200600_302600_NS6detail15normal_iteratorINSB_10device_ptrIjEEEENSD_INSE_IS6_EEEESI_S6_NSB_4plusIvEENSB_8equal_toIvEES6_EE10hipError_tPvRmT2_T3_T4_T5_mT6_T7_P12ihipStream_tbENKUlT_T0_E_clISt17integral_constantIbLb1EES13_EEDaSY_SZ_EUlSY_E_NS1_11comp_targetILNS1_3genE2ELNS1_11target_archE906ELNS1_3gpuE6ELNS1_3repE0EEENS1_30default_config_static_selectorELNS0_4arch9wavefront6targetE0EEEvT1_,comdat
.Lfunc_end2089:
	.size	_ZN7rocprim17ROCPRIM_400000_NS6detail17trampoline_kernelINS0_14default_configENS1_27scan_by_key_config_selectorIj11FixedVectorIiLj4EEEEZZNS1_16scan_by_key_implILNS1_25lookback_scan_determinismE0ELb1ES3_N6thrust23THRUST_200600_302600_NS6detail15normal_iteratorINSB_10device_ptrIjEEEENSD_INSE_IS6_EEEESI_S6_NSB_4plusIvEENSB_8equal_toIvEES6_EE10hipError_tPvRmT2_T3_T4_T5_mT6_T7_P12ihipStream_tbENKUlT_T0_E_clISt17integral_constantIbLb1EES13_EEDaSY_SZ_EUlSY_E_NS1_11comp_targetILNS1_3genE2ELNS1_11target_archE906ELNS1_3gpuE6ELNS1_3repE0EEENS1_30default_config_static_selectorELNS0_4arch9wavefront6targetE0EEEvT1_, .Lfunc_end2089-_ZN7rocprim17ROCPRIM_400000_NS6detail17trampoline_kernelINS0_14default_configENS1_27scan_by_key_config_selectorIj11FixedVectorIiLj4EEEEZZNS1_16scan_by_key_implILNS1_25lookback_scan_determinismE0ELb1ES3_N6thrust23THRUST_200600_302600_NS6detail15normal_iteratorINSB_10device_ptrIjEEEENSD_INSE_IS6_EEEESI_S6_NSB_4plusIvEENSB_8equal_toIvEES6_EE10hipError_tPvRmT2_T3_T4_T5_mT6_T7_P12ihipStream_tbENKUlT_T0_E_clISt17integral_constantIbLb1EES13_EEDaSY_SZ_EUlSY_E_NS1_11comp_targetILNS1_3genE2ELNS1_11target_archE906ELNS1_3gpuE6ELNS1_3repE0EEENS1_30default_config_static_selectorELNS0_4arch9wavefront6targetE0EEEvT1_
                                        ; -- End function
	.set _ZN7rocprim17ROCPRIM_400000_NS6detail17trampoline_kernelINS0_14default_configENS1_27scan_by_key_config_selectorIj11FixedVectorIiLj4EEEEZZNS1_16scan_by_key_implILNS1_25lookback_scan_determinismE0ELb1ES3_N6thrust23THRUST_200600_302600_NS6detail15normal_iteratorINSB_10device_ptrIjEEEENSD_INSE_IS6_EEEESI_S6_NSB_4plusIvEENSB_8equal_toIvEES6_EE10hipError_tPvRmT2_T3_T4_T5_mT6_T7_P12ihipStream_tbENKUlT_T0_E_clISt17integral_constantIbLb1EES13_EEDaSY_SZ_EUlSY_E_NS1_11comp_targetILNS1_3genE2ELNS1_11target_archE906ELNS1_3gpuE6ELNS1_3repE0EEENS1_30default_config_static_selectorELNS0_4arch9wavefront6targetE0EEEvT1_.num_vgpr, 0
	.set _ZN7rocprim17ROCPRIM_400000_NS6detail17trampoline_kernelINS0_14default_configENS1_27scan_by_key_config_selectorIj11FixedVectorIiLj4EEEEZZNS1_16scan_by_key_implILNS1_25lookback_scan_determinismE0ELb1ES3_N6thrust23THRUST_200600_302600_NS6detail15normal_iteratorINSB_10device_ptrIjEEEENSD_INSE_IS6_EEEESI_S6_NSB_4plusIvEENSB_8equal_toIvEES6_EE10hipError_tPvRmT2_T3_T4_T5_mT6_T7_P12ihipStream_tbENKUlT_T0_E_clISt17integral_constantIbLb1EES13_EEDaSY_SZ_EUlSY_E_NS1_11comp_targetILNS1_3genE2ELNS1_11target_archE906ELNS1_3gpuE6ELNS1_3repE0EEENS1_30default_config_static_selectorELNS0_4arch9wavefront6targetE0EEEvT1_.num_agpr, 0
	.set _ZN7rocprim17ROCPRIM_400000_NS6detail17trampoline_kernelINS0_14default_configENS1_27scan_by_key_config_selectorIj11FixedVectorIiLj4EEEEZZNS1_16scan_by_key_implILNS1_25lookback_scan_determinismE0ELb1ES3_N6thrust23THRUST_200600_302600_NS6detail15normal_iteratorINSB_10device_ptrIjEEEENSD_INSE_IS6_EEEESI_S6_NSB_4plusIvEENSB_8equal_toIvEES6_EE10hipError_tPvRmT2_T3_T4_T5_mT6_T7_P12ihipStream_tbENKUlT_T0_E_clISt17integral_constantIbLb1EES13_EEDaSY_SZ_EUlSY_E_NS1_11comp_targetILNS1_3genE2ELNS1_11target_archE906ELNS1_3gpuE6ELNS1_3repE0EEENS1_30default_config_static_selectorELNS0_4arch9wavefront6targetE0EEEvT1_.numbered_sgpr, 0
	.set _ZN7rocprim17ROCPRIM_400000_NS6detail17trampoline_kernelINS0_14default_configENS1_27scan_by_key_config_selectorIj11FixedVectorIiLj4EEEEZZNS1_16scan_by_key_implILNS1_25lookback_scan_determinismE0ELb1ES3_N6thrust23THRUST_200600_302600_NS6detail15normal_iteratorINSB_10device_ptrIjEEEENSD_INSE_IS6_EEEESI_S6_NSB_4plusIvEENSB_8equal_toIvEES6_EE10hipError_tPvRmT2_T3_T4_T5_mT6_T7_P12ihipStream_tbENKUlT_T0_E_clISt17integral_constantIbLb1EES13_EEDaSY_SZ_EUlSY_E_NS1_11comp_targetILNS1_3genE2ELNS1_11target_archE906ELNS1_3gpuE6ELNS1_3repE0EEENS1_30default_config_static_selectorELNS0_4arch9wavefront6targetE0EEEvT1_.num_named_barrier, 0
	.set _ZN7rocprim17ROCPRIM_400000_NS6detail17trampoline_kernelINS0_14default_configENS1_27scan_by_key_config_selectorIj11FixedVectorIiLj4EEEEZZNS1_16scan_by_key_implILNS1_25lookback_scan_determinismE0ELb1ES3_N6thrust23THRUST_200600_302600_NS6detail15normal_iteratorINSB_10device_ptrIjEEEENSD_INSE_IS6_EEEESI_S6_NSB_4plusIvEENSB_8equal_toIvEES6_EE10hipError_tPvRmT2_T3_T4_T5_mT6_T7_P12ihipStream_tbENKUlT_T0_E_clISt17integral_constantIbLb1EES13_EEDaSY_SZ_EUlSY_E_NS1_11comp_targetILNS1_3genE2ELNS1_11target_archE906ELNS1_3gpuE6ELNS1_3repE0EEENS1_30default_config_static_selectorELNS0_4arch9wavefront6targetE0EEEvT1_.private_seg_size, 0
	.set _ZN7rocprim17ROCPRIM_400000_NS6detail17trampoline_kernelINS0_14default_configENS1_27scan_by_key_config_selectorIj11FixedVectorIiLj4EEEEZZNS1_16scan_by_key_implILNS1_25lookback_scan_determinismE0ELb1ES3_N6thrust23THRUST_200600_302600_NS6detail15normal_iteratorINSB_10device_ptrIjEEEENSD_INSE_IS6_EEEESI_S6_NSB_4plusIvEENSB_8equal_toIvEES6_EE10hipError_tPvRmT2_T3_T4_T5_mT6_T7_P12ihipStream_tbENKUlT_T0_E_clISt17integral_constantIbLb1EES13_EEDaSY_SZ_EUlSY_E_NS1_11comp_targetILNS1_3genE2ELNS1_11target_archE906ELNS1_3gpuE6ELNS1_3repE0EEENS1_30default_config_static_selectorELNS0_4arch9wavefront6targetE0EEEvT1_.uses_vcc, 0
	.set _ZN7rocprim17ROCPRIM_400000_NS6detail17trampoline_kernelINS0_14default_configENS1_27scan_by_key_config_selectorIj11FixedVectorIiLj4EEEEZZNS1_16scan_by_key_implILNS1_25lookback_scan_determinismE0ELb1ES3_N6thrust23THRUST_200600_302600_NS6detail15normal_iteratorINSB_10device_ptrIjEEEENSD_INSE_IS6_EEEESI_S6_NSB_4plusIvEENSB_8equal_toIvEES6_EE10hipError_tPvRmT2_T3_T4_T5_mT6_T7_P12ihipStream_tbENKUlT_T0_E_clISt17integral_constantIbLb1EES13_EEDaSY_SZ_EUlSY_E_NS1_11comp_targetILNS1_3genE2ELNS1_11target_archE906ELNS1_3gpuE6ELNS1_3repE0EEENS1_30default_config_static_selectorELNS0_4arch9wavefront6targetE0EEEvT1_.uses_flat_scratch, 0
	.set _ZN7rocprim17ROCPRIM_400000_NS6detail17trampoline_kernelINS0_14default_configENS1_27scan_by_key_config_selectorIj11FixedVectorIiLj4EEEEZZNS1_16scan_by_key_implILNS1_25lookback_scan_determinismE0ELb1ES3_N6thrust23THRUST_200600_302600_NS6detail15normal_iteratorINSB_10device_ptrIjEEEENSD_INSE_IS6_EEEESI_S6_NSB_4plusIvEENSB_8equal_toIvEES6_EE10hipError_tPvRmT2_T3_T4_T5_mT6_T7_P12ihipStream_tbENKUlT_T0_E_clISt17integral_constantIbLb1EES13_EEDaSY_SZ_EUlSY_E_NS1_11comp_targetILNS1_3genE2ELNS1_11target_archE906ELNS1_3gpuE6ELNS1_3repE0EEENS1_30default_config_static_selectorELNS0_4arch9wavefront6targetE0EEEvT1_.has_dyn_sized_stack, 0
	.set _ZN7rocprim17ROCPRIM_400000_NS6detail17trampoline_kernelINS0_14default_configENS1_27scan_by_key_config_selectorIj11FixedVectorIiLj4EEEEZZNS1_16scan_by_key_implILNS1_25lookback_scan_determinismE0ELb1ES3_N6thrust23THRUST_200600_302600_NS6detail15normal_iteratorINSB_10device_ptrIjEEEENSD_INSE_IS6_EEEESI_S6_NSB_4plusIvEENSB_8equal_toIvEES6_EE10hipError_tPvRmT2_T3_T4_T5_mT6_T7_P12ihipStream_tbENKUlT_T0_E_clISt17integral_constantIbLb1EES13_EEDaSY_SZ_EUlSY_E_NS1_11comp_targetILNS1_3genE2ELNS1_11target_archE906ELNS1_3gpuE6ELNS1_3repE0EEENS1_30default_config_static_selectorELNS0_4arch9wavefront6targetE0EEEvT1_.has_recursion, 0
	.set _ZN7rocprim17ROCPRIM_400000_NS6detail17trampoline_kernelINS0_14default_configENS1_27scan_by_key_config_selectorIj11FixedVectorIiLj4EEEEZZNS1_16scan_by_key_implILNS1_25lookback_scan_determinismE0ELb1ES3_N6thrust23THRUST_200600_302600_NS6detail15normal_iteratorINSB_10device_ptrIjEEEENSD_INSE_IS6_EEEESI_S6_NSB_4plusIvEENSB_8equal_toIvEES6_EE10hipError_tPvRmT2_T3_T4_T5_mT6_T7_P12ihipStream_tbENKUlT_T0_E_clISt17integral_constantIbLb1EES13_EEDaSY_SZ_EUlSY_E_NS1_11comp_targetILNS1_3genE2ELNS1_11target_archE906ELNS1_3gpuE6ELNS1_3repE0EEENS1_30default_config_static_selectorELNS0_4arch9wavefront6targetE0EEEvT1_.has_indirect_call, 0
	.section	.AMDGPU.csdata,"",@progbits
; Kernel info:
; codeLenInByte = 0
; TotalNumSgprs: 0
; NumVgprs: 0
; ScratchSize: 0
; MemoryBound: 0
; FloatMode: 240
; IeeeMode: 1
; LDSByteSize: 0 bytes/workgroup (compile time only)
; SGPRBlocks: 0
; VGPRBlocks: 0
; NumSGPRsForWavesPerEU: 1
; NumVGPRsForWavesPerEU: 1
; Occupancy: 16
; WaveLimiterHint : 0
; COMPUTE_PGM_RSRC2:SCRATCH_EN: 0
; COMPUTE_PGM_RSRC2:USER_SGPR: 6
; COMPUTE_PGM_RSRC2:TRAP_HANDLER: 0
; COMPUTE_PGM_RSRC2:TGID_X_EN: 1
; COMPUTE_PGM_RSRC2:TGID_Y_EN: 0
; COMPUTE_PGM_RSRC2:TGID_Z_EN: 0
; COMPUTE_PGM_RSRC2:TIDIG_COMP_CNT: 0
	.section	.text._ZN7rocprim17ROCPRIM_400000_NS6detail17trampoline_kernelINS0_14default_configENS1_27scan_by_key_config_selectorIj11FixedVectorIiLj4EEEEZZNS1_16scan_by_key_implILNS1_25lookback_scan_determinismE0ELb1ES3_N6thrust23THRUST_200600_302600_NS6detail15normal_iteratorINSB_10device_ptrIjEEEENSD_INSE_IS6_EEEESI_S6_NSB_4plusIvEENSB_8equal_toIvEES6_EE10hipError_tPvRmT2_T3_T4_T5_mT6_T7_P12ihipStream_tbENKUlT_T0_E_clISt17integral_constantIbLb1EES13_EEDaSY_SZ_EUlSY_E_NS1_11comp_targetILNS1_3genE10ELNS1_11target_archE1200ELNS1_3gpuE4ELNS1_3repE0EEENS1_30default_config_static_selectorELNS0_4arch9wavefront6targetE0EEEvT1_,"axG",@progbits,_ZN7rocprim17ROCPRIM_400000_NS6detail17trampoline_kernelINS0_14default_configENS1_27scan_by_key_config_selectorIj11FixedVectorIiLj4EEEEZZNS1_16scan_by_key_implILNS1_25lookback_scan_determinismE0ELb1ES3_N6thrust23THRUST_200600_302600_NS6detail15normal_iteratorINSB_10device_ptrIjEEEENSD_INSE_IS6_EEEESI_S6_NSB_4plusIvEENSB_8equal_toIvEES6_EE10hipError_tPvRmT2_T3_T4_T5_mT6_T7_P12ihipStream_tbENKUlT_T0_E_clISt17integral_constantIbLb1EES13_EEDaSY_SZ_EUlSY_E_NS1_11comp_targetILNS1_3genE10ELNS1_11target_archE1200ELNS1_3gpuE4ELNS1_3repE0EEENS1_30default_config_static_selectorELNS0_4arch9wavefront6targetE0EEEvT1_,comdat
	.protected	_ZN7rocprim17ROCPRIM_400000_NS6detail17trampoline_kernelINS0_14default_configENS1_27scan_by_key_config_selectorIj11FixedVectorIiLj4EEEEZZNS1_16scan_by_key_implILNS1_25lookback_scan_determinismE0ELb1ES3_N6thrust23THRUST_200600_302600_NS6detail15normal_iteratorINSB_10device_ptrIjEEEENSD_INSE_IS6_EEEESI_S6_NSB_4plusIvEENSB_8equal_toIvEES6_EE10hipError_tPvRmT2_T3_T4_T5_mT6_T7_P12ihipStream_tbENKUlT_T0_E_clISt17integral_constantIbLb1EES13_EEDaSY_SZ_EUlSY_E_NS1_11comp_targetILNS1_3genE10ELNS1_11target_archE1200ELNS1_3gpuE4ELNS1_3repE0EEENS1_30default_config_static_selectorELNS0_4arch9wavefront6targetE0EEEvT1_ ; -- Begin function _ZN7rocprim17ROCPRIM_400000_NS6detail17trampoline_kernelINS0_14default_configENS1_27scan_by_key_config_selectorIj11FixedVectorIiLj4EEEEZZNS1_16scan_by_key_implILNS1_25lookback_scan_determinismE0ELb1ES3_N6thrust23THRUST_200600_302600_NS6detail15normal_iteratorINSB_10device_ptrIjEEEENSD_INSE_IS6_EEEESI_S6_NSB_4plusIvEENSB_8equal_toIvEES6_EE10hipError_tPvRmT2_T3_T4_T5_mT6_T7_P12ihipStream_tbENKUlT_T0_E_clISt17integral_constantIbLb1EES13_EEDaSY_SZ_EUlSY_E_NS1_11comp_targetILNS1_3genE10ELNS1_11target_archE1200ELNS1_3gpuE4ELNS1_3repE0EEENS1_30default_config_static_selectorELNS0_4arch9wavefront6targetE0EEEvT1_
	.globl	_ZN7rocprim17ROCPRIM_400000_NS6detail17trampoline_kernelINS0_14default_configENS1_27scan_by_key_config_selectorIj11FixedVectorIiLj4EEEEZZNS1_16scan_by_key_implILNS1_25lookback_scan_determinismE0ELb1ES3_N6thrust23THRUST_200600_302600_NS6detail15normal_iteratorINSB_10device_ptrIjEEEENSD_INSE_IS6_EEEESI_S6_NSB_4plusIvEENSB_8equal_toIvEES6_EE10hipError_tPvRmT2_T3_T4_T5_mT6_T7_P12ihipStream_tbENKUlT_T0_E_clISt17integral_constantIbLb1EES13_EEDaSY_SZ_EUlSY_E_NS1_11comp_targetILNS1_3genE10ELNS1_11target_archE1200ELNS1_3gpuE4ELNS1_3repE0EEENS1_30default_config_static_selectorELNS0_4arch9wavefront6targetE0EEEvT1_
	.p2align	8
	.type	_ZN7rocprim17ROCPRIM_400000_NS6detail17trampoline_kernelINS0_14default_configENS1_27scan_by_key_config_selectorIj11FixedVectorIiLj4EEEEZZNS1_16scan_by_key_implILNS1_25lookback_scan_determinismE0ELb1ES3_N6thrust23THRUST_200600_302600_NS6detail15normal_iteratorINSB_10device_ptrIjEEEENSD_INSE_IS6_EEEESI_S6_NSB_4plusIvEENSB_8equal_toIvEES6_EE10hipError_tPvRmT2_T3_T4_T5_mT6_T7_P12ihipStream_tbENKUlT_T0_E_clISt17integral_constantIbLb1EES13_EEDaSY_SZ_EUlSY_E_NS1_11comp_targetILNS1_3genE10ELNS1_11target_archE1200ELNS1_3gpuE4ELNS1_3repE0EEENS1_30default_config_static_selectorELNS0_4arch9wavefront6targetE0EEEvT1_,@function
_ZN7rocprim17ROCPRIM_400000_NS6detail17trampoline_kernelINS0_14default_configENS1_27scan_by_key_config_selectorIj11FixedVectorIiLj4EEEEZZNS1_16scan_by_key_implILNS1_25lookback_scan_determinismE0ELb1ES3_N6thrust23THRUST_200600_302600_NS6detail15normal_iteratorINSB_10device_ptrIjEEEENSD_INSE_IS6_EEEESI_S6_NSB_4plusIvEENSB_8equal_toIvEES6_EE10hipError_tPvRmT2_T3_T4_T5_mT6_T7_P12ihipStream_tbENKUlT_T0_E_clISt17integral_constantIbLb1EES13_EEDaSY_SZ_EUlSY_E_NS1_11comp_targetILNS1_3genE10ELNS1_11target_archE1200ELNS1_3gpuE4ELNS1_3repE0EEENS1_30default_config_static_selectorELNS0_4arch9wavefront6targetE0EEEvT1_: ; @_ZN7rocprim17ROCPRIM_400000_NS6detail17trampoline_kernelINS0_14default_configENS1_27scan_by_key_config_selectorIj11FixedVectorIiLj4EEEEZZNS1_16scan_by_key_implILNS1_25lookback_scan_determinismE0ELb1ES3_N6thrust23THRUST_200600_302600_NS6detail15normal_iteratorINSB_10device_ptrIjEEEENSD_INSE_IS6_EEEESI_S6_NSB_4plusIvEENSB_8equal_toIvEES6_EE10hipError_tPvRmT2_T3_T4_T5_mT6_T7_P12ihipStream_tbENKUlT_T0_E_clISt17integral_constantIbLb1EES13_EEDaSY_SZ_EUlSY_E_NS1_11comp_targetILNS1_3genE10ELNS1_11target_archE1200ELNS1_3gpuE4ELNS1_3repE0EEENS1_30default_config_static_selectorELNS0_4arch9wavefront6targetE0EEEvT1_
; %bb.0:
	.section	.rodata,"a",@progbits
	.p2align	6, 0x0
	.amdhsa_kernel _ZN7rocprim17ROCPRIM_400000_NS6detail17trampoline_kernelINS0_14default_configENS1_27scan_by_key_config_selectorIj11FixedVectorIiLj4EEEEZZNS1_16scan_by_key_implILNS1_25lookback_scan_determinismE0ELb1ES3_N6thrust23THRUST_200600_302600_NS6detail15normal_iteratorINSB_10device_ptrIjEEEENSD_INSE_IS6_EEEESI_S6_NSB_4plusIvEENSB_8equal_toIvEES6_EE10hipError_tPvRmT2_T3_T4_T5_mT6_T7_P12ihipStream_tbENKUlT_T0_E_clISt17integral_constantIbLb1EES13_EEDaSY_SZ_EUlSY_E_NS1_11comp_targetILNS1_3genE10ELNS1_11target_archE1200ELNS1_3gpuE4ELNS1_3repE0EEENS1_30default_config_static_selectorELNS0_4arch9wavefront6targetE0EEEvT1_
		.amdhsa_group_segment_fixed_size 0
		.amdhsa_private_segment_fixed_size 0
		.amdhsa_kernarg_size 144
		.amdhsa_user_sgpr_count 6
		.amdhsa_user_sgpr_private_segment_buffer 1
		.amdhsa_user_sgpr_dispatch_ptr 0
		.amdhsa_user_sgpr_queue_ptr 0
		.amdhsa_user_sgpr_kernarg_segment_ptr 1
		.amdhsa_user_sgpr_dispatch_id 0
		.amdhsa_user_sgpr_flat_scratch_init 0
		.amdhsa_user_sgpr_private_segment_size 0
		.amdhsa_wavefront_size32 1
		.amdhsa_uses_dynamic_stack 0
		.amdhsa_system_sgpr_private_segment_wavefront_offset 0
		.amdhsa_system_sgpr_workgroup_id_x 1
		.amdhsa_system_sgpr_workgroup_id_y 0
		.amdhsa_system_sgpr_workgroup_id_z 0
		.amdhsa_system_sgpr_workgroup_info 0
		.amdhsa_system_vgpr_workitem_id 0
		.amdhsa_next_free_vgpr 1
		.amdhsa_next_free_sgpr 1
		.amdhsa_reserve_vcc 0
		.amdhsa_reserve_flat_scratch 0
		.amdhsa_float_round_mode_32 0
		.amdhsa_float_round_mode_16_64 0
		.amdhsa_float_denorm_mode_32 3
		.amdhsa_float_denorm_mode_16_64 3
		.amdhsa_dx10_clamp 1
		.amdhsa_ieee_mode 1
		.amdhsa_fp16_overflow 0
		.amdhsa_workgroup_processor_mode 1
		.amdhsa_memory_ordered 1
		.amdhsa_forward_progress 1
		.amdhsa_shared_vgpr_count 0
		.amdhsa_exception_fp_ieee_invalid_op 0
		.amdhsa_exception_fp_denorm_src 0
		.amdhsa_exception_fp_ieee_div_zero 0
		.amdhsa_exception_fp_ieee_overflow 0
		.amdhsa_exception_fp_ieee_underflow 0
		.amdhsa_exception_fp_ieee_inexact 0
		.amdhsa_exception_int_div_zero 0
	.end_amdhsa_kernel
	.section	.text._ZN7rocprim17ROCPRIM_400000_NS6detail17trampoline_kernelINS0_14default_configENS1_27scan_by_key_config_selectorIj11FixedVectorIiLj4EEEEZZNS1_16scan_by_key_implILNS1_25lookback_scan_determinismE0ELb1ES3_N6thrust23THRUST_200600_302600_NS6detail15normal_iteratorINSB_10device_ptrIjEEEENSD_INSE_IS6_EEEESI_S6_NSB_4plusIvEENSB_8equal_toIvEES6_EE10hipError_tPvRmT2_T3_T4_T5_mT6_T7_P12ihipStream_tbENKUlT_T0_E_clISt17integral_constantIbLb1EES13_EEDaSY_SZ_EUlSY_E_NS1_11comp_targetILNS1_3genE10ELNS1_11target_archE1200ELNS1_3gpuE4ELNS1_3repE0EEENS1_30default_config_static_selectorELNS0_4arch9wavefront6targetE0EEEvT1_,"axG",@progbits,_ZN7rocprim17ROCPRIM_400000_NS6detail17trampoline_kernelINS0_14default_configENS1_27scan_by_key_config_selectorIj11FixedVectorIiLj4EEEEZZNS1_16scan_by_key_implILNS1_25lookback_scan_determinismE0ELb1ES3_N6thrust23THRUST_200600_302600_NS6detail15normal_iteratorINSB_10device_ptrIjEEEENSD_INSE_IS6_EEEESI_S6_NSB_4plusIvEENSB_8equal_toIvEES6_EE10hipError_tPvRmT2_T3_T4_T5_mT6_T7_P12ihipStream_tbENKUlT_T0_E_clISt17integral_constantIbLb1EES13_EEDaSY_SZ_EUlSY_E_NS1_11comp_targetILNS1_3genE10ELNS1_11target_archE1200ELNS1_3gpuE4ELNS1_3repE0EEENS1_30default_config_static_selectorELNS0_4arch9wavefront6targetE0EEEvT1_,comdat
.Lfunc_end2090:
	.size	_ZN7rocprim17ROCPRIM_400000_NS6detail17trampoline_kernelINS0_14default_configENS1_27scan_by_key_config_selectorIj11FixedVectorIiLj4EEEEZZNS1_16scan_by_key_implILNS1_25lookback_scan_determinismE0ELb1ES3_N6thrust23THRUST_200600_302600_NS6detail15normal_iteratorINSB_10device_ptrIjEEEENSD_INSE_IS6_EEEESI_S6_NSB_4plusIvEENSB_8equal_toIvEES6_EE10hipError_tPvRmT2_T3_T4_T5_mT6_T7_P12ihipStream_tbENKUlT_T0_E_clISt17integral_constantIbLb1EES13_EEDaSY_SZ_EUlSY_E_NS1_11comp_targetILNS1_3genE10ELNS1_11target_archE1200ELNS1_3gpuE4ELNS1_3repE0EEENS1_30default_config_static_selectorELNS0_4arch9wavefront6targetE0EEEvT1_, .Lfunc_end2090-_ZN7rocprim17ROCPRIM_400000_NS6detail17trampoline_kernelINS0_14default_configENS1_27scan_by_key_config_selectorIj11FixedVectorIiLj4EEEEZZNS1_16scan_by_key_implILNS1_25lookback_scan_determinismE0ELb1ES3_N6thrust23THRUST_200600_302600_NS6detail15normal_iteratorINSB_10device_ptrIjEEEENSD_INSE_IS6_EEEESI_S6_NSB_4plusIvEENSB_8equal_toIvEES6_EE10hipError_tPvRmT2_T3_T4_T5_mT6_T7_P12ihipStream_tbENKUlT_T0_E_clISt17integral_constantIbLb1EES13_EEDaSY_SZ_EUlSY_E_NS1_11comp_targetILNS1_3genE10ELNS1_11target_archE1200ELNS1_3gpuE4ELNS1_3repE0EEENS1_30default_config_static_selectorELNS0_4arch9wavefront6targetE0EEEvT1_
                                        ; -- End function
	.set _ZN7rocprim17ROCPRIM_400000_NS6detail17trampoline_kernelINS0_14default_configENS1_27scan_by_key_config_selectorIj11FixedVectorIiLj4EEEEZZNS1_16scan_by_key_implILNS1_25lookback_scan_determinismE0ELb1ES3_N6thrust23THRUST_200600_302600_NS6detail15normal_iteratorINSB_10device_ptrIjEEEENSD_INSE_IS6_EEEESI_S6_NSB_4plusIvEENSB_8equal_toIvEES6_EE10hipError_tPvRmT2_T3_T4_T5_mT6_T7_P12ihipStream_tbENKUlT_T0_E_clISt17integral_constantIbLb1EES13_EEDaSY_SZ_EUlSY_E_NS1_11comp_targetILNS1_3genE10ELNS1_11target_archE1200ELNS1_3gpuE4ELNS1_3repE0EEENS1_30default_config_static_selectorELNS0_4arch9wavefront6targetE0EEEvT1_.num_vgpr, 0
	.set _ZN7rocprim17ROCPRIM_400000_NS6detail17trampoline_kernelINS0_14default_configENS1_27scan_by_key_config_selectorIj11FixedVectorIiLj4EEEEZZNS1_16scan_by_key_implILNS1_25lookback_scan_determinismE0ELb1ES3_N6thrust23THRUST_200600_302600_NS6detail15normal_iteratorINSB_10device_ptrIjEEEENSD_INSE_IS6_EEEESI_S6_NSB_4plusIvEENSB_8equal_toIvEES6_EE10hipError_tPvRmT2_T3_T4_T5_mT6_T7_P12ihipStream_tbENKUlT_T0_E_clISt17integral_constantIbLb1EES13_EEDaSY_SZ_EUlSY_E_NS1_11comp_targetILNS1_3genE10ELNS1_11target_archE1200ELNS1_3gpuE4ELNS1_3repE0EEENS1_30default_config_static_selectorELNS0_4arch9wavefront6targetE0EEEvT1_.num_agpr, 0
	.set _ZN7rocprim17ROCPRIM_400000_NS6detail17trampoline_kernelINS0_14default_configENS1_27scan_by_key_config_selectorIj11FixedVectorIiLj4EEEEZZNS1_16scan_by_key_implILNS1_25lookback_scan_determinismE0ELb1ES3_N6thrust23THRUST_200600_302600_NS6detail15normal_iteratorINSB_10device_ptrIjEEEENSD_INSE_IS6_EEEESI_S6_NSB_4plusIvEENSB_8equal_toIvEES6_EE10hipError_tPvRmT2_T3_T4_T5_mT6_T7_P12ihipStream_tbENKUlT_T0_E_clISt17integral_constantIbLb1EES13_EEDaSY_SZ_EUlSY_E_NS1_11comp_targetILNS1_3genE10ELNS1_11target_archE1200ELNS1_3gpuE4ELNS1_3repE0EEENS1_30default_config_static_selectorELNS0_4arch9wavefront6targetE0EEEvT1_.numbered_sgpr, 0
	.set _ZN7rocprim17ROCPRIM_400000_NS6detail17trampoline_kernelINS0_14default_configENS1_27scan_by_key_config_selectorIj11FixedVectorIiLj4EEEEZZNS1_16scan_by_key_implILNS1_25lookback_scan_determinismE0ELb1ES3_N6thrust23THRUST_200600_302600_NS6detail15normal_iteratorINSB_10device_ptrIjEEEENSD_INSE_IS6_EEEESI_S6_NSB_4plusIvEENSB_8equal_toIvEES6_EE10hipError_tPvRmT2_T3_T4_T5_mT6_T7_P12ihipStream_tbENKUlT_T0_E_clISt17integral_constantIbLb1EES13_EEDaSY_SZ_EUlSY_E_NS1_11comp_targetILNS1_3genE10ELNS1_11target_archE1200ELNS1_3gpuE4ELNS1_3repE0EEENS1_30default_config_static_selectorELNS0_4arch9wavefront6targetE0EEEvT1_.num_named_barrier, 0
	.set _ZN7rocprim17ROCPRIM_400000_NS6detail17trampoline_kernelINS0_14default_configENS1_27scan_by_key_config_selectorIj11FixedVectorIiLj4EEEEZZNS1_16scan_by_key_implILNS1_25lookback_scan_determinismE0ELb1ES3_N6thrust23THRUST_200600_302600_NS6detail15normal_iteratorINSB_10device_ptrIjEEEENSD_INSE_IS6_EEEESI_S6_NSB_4plusIvEENSB_8equal_toIvEES6_EE10hipError_tPvRmT2_T3_T4_T5_mT6_T7_P12ihipStream_tbENKUlT_T0_E_clISt17integral_constantIbLb1EES13_EEDaSY_SZ_EUlSY_E_NS1_11comp_targetILNS1_3genE10ELNS1_11target_archE1200ELNS1_3gpuE4ELNS1_3repE0EEENS1_30default_config_static_selectorELNS0_4arch9wavefront6targetE0EEEvT1_.private_seg_size, 0
	.set _ZN7rocprim17ROCPRIM_400000_NS6detail17trampoline_kernelINS0_14default_configENS1_27scan_by_key_config_selectorIj11FixedVectorIiLj4EEEEZZNS1_16scan_by_key_implILNS1_25lookback_scan_determinismE0ELb1ES3_N6thrust23THRUST_200600_302600_NS6detail15normal_iteratorINSB_10device_ptrIjEEEENSD_INSE_IS6_EEEESI_S6_NSB_4plusIvEENSB_8equal_toIvEES6_EE10hipError_tPvRmT2_T3_T4_T5_mT6_T7_P12ihipStream_tbENKUlT_T0_E_clISt17integral_constantIbLb1EES13_EEDaSY_SZ_EUlSY_E_NS1_11comp_targetILNS1_3genE10ELNS1_11target_archE1200ELNS1_3gpuE4ELNS1_3repE0EEENS1_30default_config_static_selectorELNS0_4arch9wavefront6targetE0EEEvT1_.uses_vcc, 0
	.set _ZN7rocprim17ROCPRIM_400000_NS6detail17trampoline_kernelINS0_14default_configENS1_27scan_by_key_config_selectorIj11FixedVectorIiLj4EEEEZZNS1_16scan_by_key_implILNS1_25lookback_scan_determinismE0ELb1ES3_N6thrust23THRUST_200600_302600_NS6detail15normal_iteratorINSB_10device_ptrIjEEEENSD_INSE_IS6_EEEESI_S6_NSB_4plusIvEENSB_8equal_toIvEES6_EE10hipError_tPvRmT2_T3_T4_T5_mT6_T7_P12ihipStream_tbENKUlT_T0_E_clISt17integral_constantIbLb1EES13_EEDaSY_SZ_EUlSY_E_NS1_11comp_targetILNS1_3genE10ELNS1_11target_archE1200ELNS1_3gpuE4ELNS1_3repE0EEENS1_30default_config_static_selectorELNS0_4arch9wavefront6targetE0EEEvT1_.uses_flat_scratch, 0
	.set _ZN7rocprim17ROCPRIM_400000_NS6detail17trampoline_kernelINS0_14default_configENS1_27scan_by_key_config_selectorIj11FixedVectorIiLj4EEEEZZNS1_16scan_by_key_implILNS1_25lookback_scan_determinismE0ELb1ES3_N6thrust23THRUST_200600_302600_NS6detail15normal_iteratorINSB_10device_ptrIjEEEENSD_INSE_IS6_EEEESI_S6_NSB_4plusIvEENSB_8equal_toIvEES6_EE10hipError_tPvRmT2_T3_T4_T5_mT6_T7_P12ihipStream_tbENKUlT_T0_E_clISt17integral_constantIbLb1EES13_EEDaSY_SZ_EUlSY_E_NS1_11comp_targetILNS1_3genE10ELNS1_11target_archE1200ELNS1_3gpuE4ELNS1_3repE0EEENS1_30default_config_static_selectorELNS0_4arch9wavefront6targetE0EEEvT1_.has_dyn_sized_stack, 0
	.set _ZN7rocprim17ROCPRIM_400000_NS6detail17trampoline_kernelINS0_14default_configENS1_27scan_by_key_config_selectorIj11FixedVectorIiLj4EEEEZZNS1_16scan_by_key_implILNS1_25lookback_scan_determinismE0ELb1ES3_N6thrust23THRUST_200600_302600_NS6detail15normal_iteratorINSB_10device_ptrIjEEEENSD_INSE_IS6_EEEESI_S6_NSB_4plusIvEENSB_8equal_toIvEES6_EE10hipError_tPvRmT2_T3_T4_T5_mT6_T7_P12ihipStream_tbENKUlT_T0_E_clISt17integral_constantIbLb1EES13_EEDaSY_SZ_EUlSY_E_NS1_11comp_targetILNS1_3genE10ELNS1_11target_archE1200ELNS1_3gpuE4ELNS1_3repE0EEENS1_30default_config_static_selectorELNS0_4arch9wavefront6targetE0EEEvT1_.has_recursion, 0
	.set _ZN7rocprim17ROCPRIM_400000_NS6detail17trampoline_kernelINS0_14default_configENS1_27scan_by_key_config_selectorIj11FixedVectorIiLj4EEEEZZNS1_16scan_by_key_implILNS1_25lookback_scan_determinismE0ELb1ES3_N6thrust23THRUST_200600_302600_NS6detail15normal_iteratorINSB_10device_ptrIjEEEENSD_INSE_IS6_EEEESI_S6_NSB_4plusIvEENSB_8equal_toIvEES6_EE10hipError_tPvRmT2_T3_T4_T5_mT6_T7_P12ihipStream_tbENKUlT_T0_E_clISt17integral_constantIbLb1EES13_EEDaSY_SZ_EUlSY_E_NS1_11comp_targetILNS1_3genE10ELNS1_11target_archE1200ELNS1_3gpuE4ELNS1_3repE0EEENS1_30default_config_static_selectorELNS0_4arch9wavefront6targetE0EEEvT1_.has_indirect_call, 0
	.section	.AMDGPU.csdata,"",@progbits
; Kernel info:
; codeLenInByte = 0
; TotalNumSgprs: 0
; NumVgprs: 0
; ScratchSize: 0
; MemoryBound: 0
; FloatMode: 240
; IeeeMode: 1
; LDSByteSize: 0 bytes/workgroup (compile time only)
; SGPRBlocks: 0
; VGPRBlocks: 0
; NumSGPRsForWavesPerEU: 1
; NumVGPRsForWavesPerEU: 1
; Occupancy: 16
; WaveLimiterHint : 0
; COMPUTE_PGM_RSRC2:SCRATCH_EN: 0
; COMPUTE_PGM_RSRC2:USER_SGPR: 6
; COMPUTE_PGM_RSRC2:TRAP_HANDLER: 0
; COMPUTE_PGM_RSRC2:TGID_X_EN: 1
; COMPUTE_PGM_RSRC2:TGID_Y_EN: 0
; COMPUTE_PGM_RSRC2:TGID_Z_EN: 0
; COMPUTE_PGM_RSRC2:TIDIG_COMP_CNT: 0
	.section	.text._ZN7rocprim17ROCPRIM_400000_NS6detail17trampoline_kernelINS0_14default_configENS1_27scan_by_key_config_selectorIj11FixedVectorIiLj4EEEEZZNS1_16scan_by_key_implILNS1_25lookback_scan_determinismE0ELb1ES3_N6thrust23THRUST_200600_302600_NS6detail15normal_iteratorINSB_10device_ptrIjEEEENSD_INSE_IS6_EEEESI_S6_NSB_4plusIvEENSB_8equal_toIvEES6_EE10hipError_tPvRmT2_T3_T4_T5_mT6_T7_P12ihipStream_tbENKUlT_T0_E_clISt17integral_constantIbLb1EES13_EEDaSY_SZ_EUlSY_E_NS1_11comp_targetILNS1_3genE9ELNS1_11target_archE1100ELNS1_3gpuE3ELNS1_3repE0EEENS1_30default_config_static_selectorELNS0_4arch9wavefront6targetE0EEEvT1_,"axG",@progbits,_ZN7rocprim17ROCPRIM_400000_NS6detail17trampoline_kernelINS0_14default_configENS1_27scan_by_key_config_selectorIj11FixedVectorIiLj4EEEEZZNS1_16scan_by_key_implILNS1_25lookback_scan_determinismE0ELb1ES3_N6thrust23THRUST_200600_302600_NS6detail15normal_iteratorINSB_10device_ptrIjEEEENSD_INSE_IS6_EEEESI_S6_NSB_4plusIvEENSB_8equal_toIvEES6_EE10hipError_tPvRmT2_T3_T4_T5_mT6_T7_P12ihipStream_tbENKUlT_T0_E_clISt17integral_constantIbLb1EES13_EEDaSY_SZ_EUlSY_E_NS1_11comp_targetILNS1_3genE9ELNS1_11target_archE1100ELNS1_3gpuE3ELNS1_3repE0EEENS1_30default_config_static_selectorELNS0_4arch9wavefront6targetE0EEEvT1_,comdat
	.protected	_ZN7rocprim17ROCPRIM_400000_NS6detail17trampoline_kernelINS0_14default_configENS1_27scan_by_key_config_selectorIj11FixedVectorIiLj4EEEEZZNS1_16scan_by_key_implILNS1_25lookback_scan_determinismE0ELb1ES3_N6thrust23THRUST_200600_302600_NS6detail15normal_iteratorINSB_10device_ptrIjEEEENSD_INSE_IS6_EEEESI_S6_NSB_4plusIvEENSB_8equal_toIvEES6_EE10hipError_tPvRmT2_T3_T4_T5_mT6_T7_P12ihipStream_tbENKUlT_T0_E_clISt17integral_constantIbLb1EES13_EEDaSY_SZ_EUlSY_E_NS1_11comp_targetILNS1_3genE9ELNS1_11target_archE1100ELNS1_3gpuE3ELNS1_3repE0EEENS1_30default_config_static_selectorELNS0_4arch9wavefront6targetE0EEEvT1_ ; -- Begin function _ZN7rocprim17ROCPRIM_400000_NS6detail17trampoline_kernelINS0_14default_configENS1_27scan_by_key_config_selectorIj11FixedVectorIiLj4EEEEZZNS1_16scan_by_key_implILNS1_25lookback_scan_determinismE0ELb1ES3_N6thrust23THRUST_200600_302600_NS6detail15normal_iteratorINSB_10device_ptrIjEEEENSD_INSE_IS6_EEEESI_S6_NSB_4plusIvEENSB_8equal_toIvEES6_EE10hipError_tPvRmT2_T3_T4_T5_mT6_T7_P12ihipStream_tbENKUlT_T0_E_clISt17integral_constantIbLb1EES13_EEDaSY_SZ_EUlSY_E_NS1_11comp_targetILNS1_3genE9ELNS1_11target_archE1100ELNS1_3gpuE3ELNS1_3repE0EEENS1_30default_config_static_selectorELNS0_4arch9wavefront6targetE0EEEvT1_
	.globl	_ZN7rocprim17ROCPRIM_400000_NS6detail17trampoline_kernelINS0_14default_configENS1_27scan_by_key_config_selectorIj11FixedVectorIiLj4EEEEZZNS1_16scan_by_key_implILNS1_25lookback_scan_determinismE0ELb1ES3_N6thrust23THRUST_200600_302600_NS6detail15normal_iteratorINSB_10device_ptrIjEEEENSD_INSE_IS6_EEEESI_S6_NSB_4plusIvEENSB_8equal_toIvEES6_EE10hipError_tPvRmT2_T3_T4_T5_mT6_T7_P12ihipStream_tbENKUlT_T0_E_clISt17integral_constantIbLb1EES13_EEDaSY_SZ_EUlSY_E_NS1_11comp_targetILNS1_3genE9ELNS1_11target_archE1100ELNS1_3gpuE3ELNS1_3repE0EEENS1_30default_config_static_selectorELNS0_4arch9wavefront6targetE0EEEvT1_
	.p2align	8
	.type	_ZN7rocprim17ROCPRIM_400000_NS6detail17trampoline_kernelINS0_14default_configENS1_27scan_by_key_config_selectorIj11FixedVectorIiLj4EEEEZZNS1_16scan_by_key_implILNS1_25lookback_scan_determinismE0ELb1ES3_N6thrust23THRUST_200600_302600_NS6detail15normal_iteratorINSB_10device_ptrIjEEEENSD_INSE_IS6_EEEESI_S6_NSB_4plusIvEENSB_8equal_toIvEES6_EE10hipError_tPvRmT2_T3_T4_T5_mT6_T7_P12ihipStream_tbENKUlT_T0_E_clISt17integral_constantIbLb1EES13_EEDaSY_SZ_EUlSY_E_NS1_11comp_targetILNS1_3genE9ELNS1_11target_archE1100ELNS1_3gpuE3ELNS1_3repE0EEENS1_30default_config_static_selectorELNS0_4arch9wavefront6targetE0EEEvT1_,@function
_ZN7rocprim17ROCPRIM_400000_NS6detail17trampoline_kernelINS0_14default_configENS1_27scan_by_key_config_selectorIj11FixedVectorIiLj4EEEEZZNS1_16scan_by_key_implILNS1_25lookback_scan_determinismE0ELb1ES3_N6thrust23THRUST_200600_302600_NS6detail15normal_iteratorINSB_10device_ptrIjEEEENSD_INSE_IS6_EEEESI_S6_NSB_4plusIvEENSB_8equal_toIvEES6_EE10hipError_tPvRmT2_T3_T4_T5_mT6_T7_P12ihipStream_tbENKUlT_T0_E_clISt17integral_constantIbLb1EES13_EEDaSY_SZ_EUlSY_E_NS1_11comp_targetILNS1_3genE9ELNS1_11target_archE1100ELNS1_3gpuE3ELNS1_3repE0EEENS1_30default_config_static_selectorELNS0_4arch9wavefront6targetE0EEEvT1_: ; @_ZN7rocprim17ROCPRIM_400000_NS6detail17trampoline_kernelINS0_14default_configENS1_27scan_by_key_config_selectorIj11FixedVectorIiLj4EEEEZZNS1_16scan_by_key_implILNS1_25lookback_scan_determinismE0ELb1ES3_N6thrust23THRUST_200600_302600_NS6detail15normal_iteratorINSB_10device_ptrIjEEEENSD_INSE_IS6_EEEESI_S6_NSB_4plusIvEENSB_8equal_toIvEES6_EE10hipError_tPvRmT2_T3_T4_T5_mT6_T7_P12ihipStream_tbENKUlT_T0_E_clISt17integral_constantIbLb1EES13_EEDaSY_SZ_EUlSY_E_NS1_11comp_targetILNS1_3genE9ELNS1_11target_archE1100ELNS1_3gpuE3ELNS1_3repE0EEENS1_30default_config_static_selectorELNS0_4arch9wavefront6targetE0EEEvT1_
; %bb.0:
	.section	.rodata,"a",@progbits
	.p2align	6, 0x0
	.amdhsa_kernel _ZN7rocprim17ROCPRIM_400000_NS6detail17trampoline_kernelINS0_14default_configENS1_27scan_by_key_config_selectorIj11FixedVectorIiLj4EEEEZZNS1_16scan_by_key_implILNS1_25lookback_scan_determinismE0ELb1ES3_N6thrust23THRUST_200600_302600_NS6detail15normal_iteratorINSB_10device_ptrIjEEEENSD_INSE_IS6_EEEESI_S6_NSB_4plusIvEENSB_8equal_toIvEES6_EE10hipError_tPvRmT2_T3_T4_T5_mT6_T7_P12ihipStream_tbENKUlT_T0_E_clISt17integral_constantIbLb1EES13_EEDaSY_SZ_EUlSY_E_NS1_11comp_targetILNS1_3genE9ELNS1_11target_archE1100ELNS1_3gpuE3ELNS1_3repE0EEENS1_30default_config_static_selectorELNS0_4arch9wavefront6targetE0EEEvT1_
		.amdhsa_group_segment_fixed_size 0
		.amdhsa_private_segment_fixed_size 0
		.amdhsa_kernarg_size 144
		.amdhsa_user_sgpr_count 6
		.amdhsa_user_sgpr_private_segment_buffer 1
		.amdhsa_user_sgpr_dispatch_ptr 0
		.amdhsa_user_sgpr_queue_ptr 0
		.amdhsa_user_sgpr_kernarg_segment_ptr 1
		.amdhsa_user_sgpr_dispatch_id 0
		.amdhsa_user_sgpr_flat_scratch_init 0
		.amdhsa_user_sgpr_private_segment_size 0
		.amdhsa_wavefront_size32 1
		.amdhsa_uses_dynamic_stack 0
		.amdhsa_system_sgpr_private_segment_wavefront_offset 0
		.amdhsa_system_sgpr_workgroup_id_x 1
		.amdhsa_system_sgpr_workgroup_id_y 0
		.amdhsa_system_sgpr_workgroup_id_z 0
		.amdhsa_system_sgpr_workgroup_info 0
		.amdhsa_system_vgpr_workitem_id 0
		.amdhsa_next_free_vgpr 1
		.amdhsa_next_free_sgpr 1
		.amdhsa_reserve_vcc 0
		.amdhsa_reserve_flat_scratch 0
		.amdhsa_float_round_mode_32 0
		.amdhsa_float_round_mode_16_64 0
		.amdhsa_float_denorm_mode_32 3
		.amdhsa_float_denorm_mode_16_64 3
		.amdhsa_dx10_clamp 1
		.amdhsa_ieee_mode 1
		.amdhsa_fp16_overflow 0
		.amdhsa_workgroup_processor_mode 1
		.amdhsa_memory_ordered 1
		.amdhsa_forward_progress 1
		.amdhsa_shared_vgpr_count 0
		.amdhsa_exception_fp_ieee_invalid_op 0
		.amdhsa_exception_fp_denorm_src 0
		.amdhsa_exception_fp_ieee_div_zero 0
		.amdhsa_exception_fp_ieee_overflow 0
		.amdhsa_exception_fp_ieee_underflow 0
		.amdhsa_exception_fp_ieee_inexact 0
		.amdhsa_exception_int_div_zero 0
	.end_amdhsa_kernel
	.section	.text._ZN7rocprim17ROCPRIM_400000_NS6detail17trampoline_kernelINS0_14default_configENS1_27scan_by_key_config_selectorIj11FixedVectorIiLj4EEEEZZNS1_16scan_by_key_implILNS1_25lookback_scan_determinismE0ELb1ES3_N6thrust23THRUST_200600_302600_NS6detail15normal_iteratorINSB_10device_ptrIjEEEENSD_INSE_IS6_EEEESI_S6_NSB_4plusIvEENSB_8equal_toIvEES6_EE10hipError_tPvRmT2_T3_T4_T5_mT6_T7_P12ihipStream_tbENKUlT_T0_E_clISt17integral_constantIbLb1EES13_EEDaSY_SZ_EUlSY_E_NS1_11comp_targetILNS1_3genE9ELNS1_11target_archE1100ELNS1_3gpuE3ELNS1_3repE0EEENS1_30default_config_static_selectorELNS0_4arch9wavefront6targetE0EEEvT1_,"axG",@progbits,_ZN7rocprim17ROCPRIM_400000_NS6detail17trampoline_kernelINS0_14default_configENS1_27scan_by_key_config_selectorIj11FixedVectorIiLj4EEEEZZNS1_16scan_by_key_implILNS1_25lookback_scan_determinismE0ELb1ES3_N6thrust23THRUST_200600_302600_NS6detail15normal_iteratorINSB_10device_ptrIjEEEENSD_INSE_IS6_EEEESI_S6_NSB_4plusIvEENSB_8equal_toIvEES6_EE10hipError_tPvRmT2_T3_T4_T5_mT6_T7_P12ihipStream_tbENKUlT_T0_E_clISt17integral_constantIbLb1EES13_EEDaSY_SZ_EUlSY_E_NS1_11comp_targetILNS1_3genE9ELNS1_11target_archE1100ELNS1_3gpuE3ELNS1_3repE0EEENS1_30default_config_static_selectorELNS0_4arch9wavefront6targetE0EEEvT1_,comdat
.Lfunc_end2091:
	.size	_ZN7rocprim17ROCPRIM_400000_NS6detail17trampoline_kernelINS0_14default_configENS1_27scan_by_key_config_selectorIj11FixedVectorIiLj4EEEEZZNS1_16scan_by_key_implILNS1_25lookback_scan_determinismE0ELb1ES3_N6thrust23THRUST_200600_302600_NS6detail15normal_iteratorINSB_10device_ptrIjEEEENSD_INSE_IS6_EEEESI_S6_NSB_4plusIvEENSB_8equal_toIvEES6_EE10hipError_tPvRmT2_T3_T4_T5_mT6_T7_P12ihipStream_tbENKUlT_T0_E_clISt17integral_constantIbLb1EES13_EEDaSY_SZ_EUlSY_E_NS1_11comp_targetILNS1_3genE9ELNS1_11target_archE1100ELNS1_3gpuE3ELNS1_3repE0EEENS1_30default_config_static_selectorELNS0_4arch9wavefront6targetE0EEEvT1_, .Lfunc_end2091-_ZN7rocprim17ROCPRIM_400000_NS6detail17trampoline_kernelINS0_14default_configENS1_27scan_by_key_config_selectorIj11FixedVectorIiLj4EEEEZZNS1_16scan_by_key_implILNS1_25lookback_scan_determinismE0ELb1ES3_N6thrust23THRUST_200600_302600_NS6detail15normal_iteratorINSB_10device_ptrIjEEEENSD_INSE_IS6_EEEESI_S6_NSB_4plusIvEENSB_8equal_toIvEES6_EE10hipError_tPvRmT2_T3_T4_T5_mT6_T7_P12ihipStream_tbENKUlT_T0_E_clISt17integral_constantIbLb1EES13_EEDaSY_SZ_EUlSY_E_NS1_11comp_targetILNS1_3genE9ELNS1_11target_archE1100ELNS1_3gpuE3ELNS1_3repE0EEENS1_30default_config_static_selectorELNS0_4arch9wavefront6targetE0EEEvT1_
                                        ; -- End function
	.set _ZN7rocprim17ROCPRIM_400000_NS6detail17trampoline_kernelINS0_14default_configENS1_27scan_by_key_config_selectorIj11FixedVectorIiLj4EEEEZZNS1_16scan_by_key_implILNS1_25lookback_scan_determinismE0ELb1ES3_N6thrust23THRUST_200600_302600_NS6detail15normal_iteratorINSB_10device_ptrIjEEEENSD_INSE_IS6_EEEESI_S6_NSB_4plusIvEENSB_8equal_toIvEES6_EE10hipError_tPvRmT2_T3_T4_T5_mT6_T7_P12ihipStream_tbENKUlT_T0_E_clISt17integral_constantIbLb1EES13_EEDaSY_SZ_EUlSY_E_NS1_11comp_targetILNS1_3genE9ELNS1_11target_archE1100ELNS1_3gpuE3ELNS1_3repE0EEENS1_30default_config_static_selectorELNS0_4arch9wavefront6targetE0EEEvT1_.num_vgpr, 0
	.set _ZN7rocprim17ROCPRIM_400000_NS6detail17trampoline_kernelINS0_14default_configENS1_27scan_by_key_config_selectorIj11FixedVectorIiLj4EEEEZZNS1_16scan_by_key_implILNS1_25lookback_scan_determinismE0ELb1ES3_N6thrust23THRUST_200600_302600_NS6detail15normal_iteratorINSB_10device_ptrIjEEEENSD_INSE_IS6_EEEESI_S6_NSB_4plusIvEENSB_8equal_toIvEES6_EE10hipError_tPvRmT2_T3_T4_T5_mT6_T7_P12ihipStream_tbENKUlT_T0_E_clISt17integral_constantIbLb1EES13_EEDaSY_SZ_EUlSY_E_NS1_11comp_targetILNS1_3genE9ELNS1_11target_archE1100ELNS1_3gpuE3ELNS1_3repE0EEENS1_30default_config_static_selectorELNS0_4arch9wavefront6targetE0EEEvT1_.num_agpr, 0
	.set _ZN7rocprim17ROCPRIM_400000_NS6detail17trampoline_kernelINS0_14default_configENS1_27scan_by_key_config_selectorIj11FixedVectorIiLj4EEEEZZNS1_16scan_by_key_implILNS1_25lookback_scan_determinismE0ELb1ES3_N6thrust23THRUST_200600_302600_NS6detail15normal_iteratorINSB_10device_ptrIjEEEENSD_INSE_IS6_EEEESI_S6_NSB_4plusIvEENSB_8equal_toIvEES6_EE10hipError_tPvRmT2_T3_T4_T5_mT6_T7_P12ihipStream_tbENKUlT_T0_E_clISt17integral_constantIbLb1EES13_EEDaSY_SZ_EUlSY_E_NS1_11comp_targetILNS1_3genE9ELNS1_11target_archE1100ELNS1_3gpuE3ELNS1_3repE0EEENS1_30default_config_static_selectorELNS0_4arch9wavefront6targetE0EEEvT1_.numbered_sgpr, 0
	.set _ZN7rocprim17ROCPRIM_400000_NS6detail17trampoline_kernelINS0_14default_configENS1_27scan_by_key_config_selectorIj11FixedVectorIiLj4EEEEZZNS1_16scan_by_key_implILNS1_25lookback_scan_determinismE0ELb1ES3_N6thrust23THRUST_200600_302600_NS6detail15normal_iteratorINSB_10device_ptrIjEEEENSD_INSE_IS6_EEEESI_S6_NSB_4plusIvEENSB_8equal_toIvEES6_EE10hipError_tPvRmT2_T3_T4_T5_mT6_T7_P12ihipStream_tbENKUlT_T0_E_clISt17integral_constantIbLb1EES13_EEDaSY_SZ_EUlSY_E_NS1_11comp_targetILNS1_3genE9ELNS1_11target_archE1100ELNS1_3gpuE3ELNS1_3repE0EEENS1_30default_config_static_selectorELNS0_4arch9wavefront6targetE0EEEvT1_.num_named_barrier, 0
	.set _ZN7rocprim17ROCPRIM_400000_NS6detail17trampoline_kernelINS0_14default_configENS1_27scan_by_key_config_selectorIj11FixedVectorIiLj4EEEEZZNS1_16scan_by_key_implILNS1_25lookback_scan_determinismE0ELb1ES3_N6thrust23THRUST_200600_302600_NS6detail15normal_iteratorINSB_10device_ptrIjEEEENSD_INSE_IS6_EEEESI_S6_NSB_4plusIvEENSB_8equal_toIvEES6_EE10hipError_tPvRmT2_T3_T4_T5_mT6_T7_P12ihipStream_tbENKUlT_T0_E_clISt17integral_constantIbLb1EES13_EEDaSY_SZ_EUlSY_E_NS1_11comp_targetILNS1_3genE9ELNS1_11target_archE1100ELNS1_3gpuE3ELNS1_3repE0EEENS1_30default_config_static_selectorELNS0_4arch9wavefront6targetE0EEEvT1_.private_seg_size, 0
	.set _ZN7rocprim17ROCPRIM_400000_NS6detail17trampoline_kernelINS0_14default_configENS1_27scan_by_key_config_selectorIj11FixedVectorIiLj4EEEEZZNS1_16scan_by_key_implILNS1_25lookback_scan_determinismE0ELb1ES3_N6thrust23THRUST_200600_302600_NS6detail15normal_iteratorINSB_10device_ptrIjEEEENSD_INSE_IS6_EEEESI_S6_NSB_4plusIvEENSB_8equal_toIvEES6_EE10hipError_tPvRmT2_T3_T4_T5_mT6_T7_P12ihipStream_tbENKUlT_T0_E_clISt17integral_constantIbLb1EES13_EEDaSY_SZ_EUlSY_E_NS1_11comp_targetILNS1_3genE9ELNS1_11target_archE1100ELNS1_3gpuE3ELNS1_3repE0EEENS1_30default_config_static_selectorELNS0_4arch9wavefront6targetE0EEEvT1_.uses_vcc, 0
	.set _ZN7rocprim17ROCPRIM_400000_NS6detail17trampoline_kernelINS0_14default_configENS1_27scan_by_key_config_selectorIj11FixedVectorIiLj4EEEEZZNS1_16scan_by_key_implILNS1_25lookback_scan_determinismE0ELb1ES3_N6thrust23THRUST_200600_302600_NS6detail15normal_iteratorINSB_10device_ptrIjEEEENSD_INSE_IS6_EEEESI_S6_NSB_4plusIvEENSB_8equal_toIvEES6_EE10hipError_tPvRmT2_T3_T4_T5_mT6_T7_P12ihipStream_tbENKUlT_T0_E_clISt17integral_constantIbLb1EES13_EEDaSY_SZ_EUlSY_E_NS1_11comp_targetILNS1_3genE9ELNS1_11target_archE1100ELNS1_3gpuE3ELNS1_3repE0EEENS1_30default_config_static_selectorELNS0_4arch9wavefront6targetE0EEEvT1_.uses_flat_scratch, 0
	.set _ZN7rocprim17ROCPRIM_400000_NS6detail17trampoline_kernelINS0_14default_configENS1_27scan_by_key_config_selectorIj11FixedVectorIiLj4EEEEZZNS1_16scan_by_key_implILNS1_25lookback_scan_determinismE0ELb1ES3_N6thrust23THRUST_200600_302600_NS6detail15normal_iteratorINSB_10device_ptrIjEEEENSD_INSE_IS6_EEEESI_S6_NSB_4plusIvEENSB_8equal_toIvEES6_EE10hipError_tPvRmT2_T3_T4_T5_mT6_T7_P12ihipStream_tbENKUlT_T0_E_clISt17integral_constantIbLb1EES13_EEDaSY_SZ_EUlSY_E_NS1_11comp_targetILNS1_3genE9ELNS1_11target_archE1100ELNS1_3gpuE3ELNS1_3repE0EEENS1_30default_config_static_selectorELNS0_4arch9wavefront6targetE0EEEvT1_.has_dyn_sized_stack, 0
	.set _ZN7rocprim17ROCPRIM_400000_NS6detail17trampoline_kernelINS0_14default_configENS1_27scan_by_key_config_selectorIj11FixedVectorIiLj4EEEEZZNS1_16scan_by_key_implILNS1_25lookback_scan_determinismE0ELb1ES3_N6thrust23THRUST_200600_302600_NS6detail15normal_iteratorINSB_10device_ptrIjEEEENSD_INSE_IS6_EEEESI_S6_NSB_4plusIvEENSB_8equal_toIvEES6_EE10hipError_tPvRmT2_T3_T4_T5_mT6_T7_P12ihipStream_tbENKUlT_T0_E_clISt17integral_constantIbLb1EES13_EEDaSY_SZ_EUlSY_E_NS1_11comp_targetILNS1_3genE9ELNS1_11target_archE1100ELNS1_3gpuE3ELNS1_3repE0EEENS1_30default_config_static_selectorELNS0_4arch9wavefront6targetE0EEEvT1_.has_recursion, 0
	.set _ZN7rocprim17ROCPRIM_400000_NS6detail17trampoline_kernelINS0_14default_configENS1_27scan_by_key_config_selectorIj11FixedVectorIiLj4EEEEZZNS1_16scan_by_key_implILNS1_25lookback_scan_determinismE0ELb1ES3_N6thrust23THRUST_200600_302600_NS6detail15normal_iteratorINSB_10device_ptrIjEEEENSD_INSE_IS6_EEEESI_S6_NSB_4plusIvEENSB_8equal_toIvEES6_EE10hipError_tPvRmT2_T3_T4_T5_mT6_T7_P12ihipStream_tbENKUlT_T0_E_clISt17integral_constantIbLb1EES13_EEDaSY_SZ_EUlSY_E_NS1_11comp_targetILNS1_3genE9ELNS1_11target_archE1100ELNS1_3gpuE3ELNS1_3repE0EEENS1_30default_config_static_selectorELNS0_4arch9wavefront6targetE0EEEvT1_.has_indirect_call, 0
	.section	.AMDGPU.csdata,"",@progbits
; Kernel info:
; codeLenInByte = 0
; TotalNumSgprs: 0
; NumVgprs: 0
; ScratchSize: 0
; MemoryBound: 0
; FloatMode: 240
; IeeeMode: 1
; LDSByteSize: 0 bytes/workgroup (compile time only)
; SGPRBlocks: 0
; VGPRBlocks: 0
; NumSGPRsForWavesPerEU: 1
; NumVGPRsForWavesPerEU: 1
; Occupancy: 16
; WaveLimiterHint : 0
; COMPUTE_PGM_RSRC2:SCRATCH_EN: 0
; COMPUTE_PGM_RSRC2:USER_SGPR: 6
; COMPUTE_PGM_RSRC2:TRAP_HANDLER: 0
; COMPUTE_PGM_RSRC2:TGID_X_EN: 1
; COMPUTE_PGM_RSRC2:TGID_Y_EN: 0
; COMPUTE_PGM_RSRC2:TGID_Z_EN: 0
; COMPUTE_PGM_RSRC2:TIDIG_COMP_CNT: 0
	.section	.text._ZN7rocprim17ROCPRIM_400000_NS6detail17trampoline_kernelINS0_14default_configENS1_27scan_by_key_config_selectorIj11FixedVectorIiLj4EEEEZZNS1_16scan_by_key_implILNS1_25lookback_scan_determinismE0ELb1ES3_N6thrust23THRUST_200600_302600_NS6detail15normal_iteratorINSB_10device_ptrIjEEEENSD_INSE_IS6_EEEESI_S6_NSB_4plusIvEENSB_8equal_toIvEES6_EE10hipError_tPvRmT2_T3_T4_T5_mT6_T7_P12ihipStream_tbENKUlT_T0_E_clISt17integral_constantIbLb1EES13_EEDaSY_SZ_EUlSY_E_NS1_11comp_targetILNS1_3genE8ELNS1_11target_archE1030ELNS1_3gpuE2ELNS1_3repE0EEENS1_30default_config_static_selectorELNS0_4arch9wavefront6targetE0EEEvT1_,"axG",@progbits,_ZN7rocprim17ROCPRIM_400000_NS6detail17trampoline_kernelINS0_14default_configENS1_27scan_by_key_config_selectorIj11FixedVectorIiLj4EEEEZZNS1_16scan_by_key_implILNS1_25lookback_scan_determinismE0ELb1ES3_N6thrust23THRUST_200600_302600_NS6detail15normal_iteratorINSB_10device_ptrIjEEEENSD_INSE_IS6_EEEESI_S6_NSB_4plusIvEENSB_8equal_toIvEES6_EE10hipError_tPvRmT2_T3_T4_T5_mT6_T7_P12ihipStream_tbENKUlT_T0_E_clISt17integral_constantIbLb1EES13_EEDaSY_SZ_EUlSY_E_NS1_11comp_targetILNS1_3genE8ELNS1_11target_archE1030ELNS1_3gpuE2ELNS1_3repE0EEENS1_30default_config_static_selectorELNS0_4arch9wavefront6targetE0EEEvT1_,comdat
	.protected	_ZN7rocprim17ROCPRIM_400000_NS6detail17trampoline_kernelINS0_14default_configENS1_27scan_by_key_config_selectorIj11FixedVectorIiLj4EEEEZZNS1_16scan_by_key_implILNS1_25lookback_scan_determinismE0ELb1ES3_N6thrust23THRUST_200600_302600_NS6detail15normal_iteratorINSB_10device_ptrIjEEEENSD_INSE_IS6_EEEESI_S6_NSB_4plusIvEENSB_8equal_toIvEES6_EE10hipError_tPvRmT2_T3_T4_T5_mT6_T7_P12ihipStream_tbENKUlT_T0_E_clISt17integral_constantIbLb1EES13_EEDaSY_SZ_EUlSY_E_NS1_11comp_targetILNS1_3genE8ELNS1_11target_archE1030ELNS1_3gpuE2ELNS1_3repE0EEENS1_30default_config_static_selectorELNS0_4arch9wavefront6targetE0EEEvT1_ ; -- Begin function _ZN7rocprim17ROCPRIM_400000_NS6detail17trampoline_kernelINS0_14default_configENS1_27scan_by_key_config_selectorIj11FixedVectorIiLj4EEEEZZNS1_16scan_by_key_implILNS1_25lookback_scan_determinismE0ELb1ES3_N6thrust23THRUST_200600_302600_NS6detail15normal_iteratorINSB_10device_ptrIjEEEENSD_INSE_IS6_EEEESI_S6_NSB_4plusIvEENSB_8equal_toIvEES6_EE10hipError_tPvRmT2_T3_T4_T5_mT6_T7_P12ihipStream_tbENKUlT_T0_E_clISt17integral_constantIbLb1EES13_EEDaSY_SZ_EUlSY_E_NS1_11comp_targetILNS1_3genE8ELNS1_11target_archE1030ELNS1_3gpuE2ELNS1_3repE0EEENS1_30default_config_static_selectorELNS0_4arch9wavefront6targetE0EEEvT1_
	.globl	_ZN7rocprim17ROCPRIM_400000_NS6detail17trampoline_kernelINS0_14default_configENS1_27scan_by_key_config_selectorIj11FixedVectorIiLj4EEEEZZNS1_16scan_by_key_implILNS1_25lookback_scan_determinismE0ELb1ES3_N6thrust23THRUST_200600_302600_NS6detail15normal_iteratorINSB_10device_ptrIjEEEENSD_INSE_IS6_EEEESI_S6_NSB_4plusIvEENSB_8equal_toIvEES6_EE10hipError_tPvRmT2_T3_T4_T5_mT6_T7_P12ihipStream_tbENKUlT_T0_E_clISt17integral_constantIbLb1EES13_EEDaSY_SZ_EUlSY_E_NS1_11comp_targetILNS1_3genE8ELNS1_11target_archE1030ELNS1_3gpuE2ELNS1_3repE0EEENS1_30default_config_static_selectorELNS0_4arch9wavefront6targetE0EEEvT1_
	.p2align	8
	.type	_ZN7rocprim17ROCPRIM_400000_NS6detail17trampoline_kernelINS0_14default_configENS1_27scan_by_key_config_selectorIj11FixedVectorIiLj4EEEEZZNS1_16scan_by_key_implILNS1_25lookback_scan_determinismE0ELb1ES3_N6thrust23THRUST_200600_302600_NS6detail15normal_iteratorINSB_10device_ptrIjEEEENSD_INSE_IS6_EEEESI_S6_NSB_4plusIvEENSB_8equal_toIvEES6_EE10hipError_tPvRmT2_T3_T4_T5_mT6_T7_P12ihipStream_tbENKUlT_T0_E_clISt17integral_constantIbLb1EES13_EEDaSY_SZ_EUlSY_E_NS1_11comp_targetILNS1_3genE8ELNS1_11target_archE1030ELNS1_3gpuE2ELNS1_3repE0EEENS1_30default_config_static_selectorELNS0_4arch9wavefront6targetE0EEEvT1_,@function
_ZN7rocprim17ROCPRIM_400000_NS6detail17trampoline_kernelINS0_14default_configENS1_27scan_by_key_config_selectorIj11FixedVectorIiLj4EEEEZZNS1_16scan_by_key_implILNS1_25lookback_scan_determinismE0ELb1ES3_N6thrust23THRUST_200600_302600_NS6detail15normal_iteratorINSB_10device_ptrIjEEEENSD_INSE_IS6_EEEESI_S6_NSB_4plusIvEENSB_8equal_toIvEES6_EE10hipError_tPvRmT2_T3_T4_T5_mT6_T7_P12ihipStream_tbENKUlT_T0_E_clISt17integral_constantIbLb1EES13_EEDaSY_SZ_EUlSY_E_NS1_11comp_targetILNS1_3genE8ELNS1_11target_archE1030ELNS1_3gpuE2ELNS1_3repE0EEENS1_30default_config_static_selectorELNS0_4arch9wavefront6targetE0EEEvT1_: ; @_ZN7rocprim17ROCPRIM_400000_NS6detail17trampoline_kernelINS0_14default_configENS1_27scan_by_key_config_selectorIj11FixedVectorIiLj4EEEEZZNS1_16scan_by_key_implILNS1_25lookback_scan_determinismE0ELb1ES3_N6thrust23THRUST_200600_302600_NS6detail15normal_iteratorINSB_10device_ptrIjEEEENSD_INSE_IS6_EEEESI_S6_NSB_4plusIvEENSB_8equal_toIvEES6_EE10hipError_tPvRmT2_T3_T4_T5_mT6_T7_P12ihipStream_tbENKUlT_T0_E_clISt17integral_constantIbLb1EES13_EEDaSY_SZ_EUlSY_E_NS1_11comp_targetILNS1_3genE8ELNS1_11target_archE1030ELNS1_3gpuE2ELNS1_3repE0EEENS1_30default_config_static_selectorELNS0_4arch9wavefront6targetE0EEEvT1_
; %bb.0:
	s_endpgm
	.section	.rodata,"a",@progbits
	.p2align	6, 0x0
	.amdhsa_kernel _ZN7rocprim17ROCPRIM_400000_NS6detail17trampoline_kernelINS0_14default_configENS1_27scan_by_key_config_selectorIj11FixedVectorIiLj4EEEEZZNS1_16scan_by_key_implILNS1_25lookback_scan_determinismE0ELb1ES3_N6thrust23THRUST_200600_302600_NS6detail15normal_iteratorINSB_10device_ptrIjEEEENSD_INSE_IS6_EEEESI_S6_NSB_4plusIvEENSB_8equal_toIvEES6_EE10hipError_tPvRmT2_T3_T4_T5_mT6_T7_P12ihipStream_tbENKUlT_T0_E_clISt17integral_constantIbLb1EES13_EEDaSY_SZ_EUlSY_E_NS1_11comp_targetILNS1_3genE8ELNS1_11target_archE1030ELNS1_3gpuE2ELNS1_3repE0EEENS1_30default_config_static_selectorELNS0_4arch9wavefront6targetE0EEEvT1_
		.amdhsa_group_segment_fixed_size 0
		.amdhsa_private_segment_fixed_size 0
		.amdhsa_kernarg_size 144
		.amdhsa_user_sgpr_count 6
		.amdhsa_user_sgpr_private_segment_buffer 1
		.amdhsa_user_sgpr_dispatch_ptr 0
		.amdhsa_user_sgpr_queue_ptr 0
		.amdhsa_user_sgpr_kernarg_segment_ptr 1
		.amdhsa_user_sgpr_dispatch_id 0
		.amdhsa_user_sgpr_flat_scratch_init 0
		.amdhsa_user_sgpr_private_segment_size 0
		.amdhsa_wavefront_size32 1
		.amdhsa_uses_dynamic_stack 0
		.amdhsa_system_sgpr_private_segment_wavefront_offset 0
		.amdhsa_system_sgpr_workgroup_id_x 1
		.amdhsa_system_sgpr_workgroup_id_y 0
		.amdhsa_system_sgpr_workgroup_id_z 0
		.amdhsa_system_sgpr_workgroup_info 0
		.amdhsa_system_vgpr_workitem_id 0
		.amdhsa_next_free_vgpr 1
		.amdhsa_next_free_sgpr 1
		.amdhsa_reserve_vcc 0
		.amdhsa_reserve_flat_scratch 0
		.amdhsa_float_round_mode_32 0
		.amdhsa_float_round_mode_16_64 0
		.amdhsa_float_denorm_mode_32 3
		.amdhsa_float_denorm_mode_16_64 3
		.amdhsa_dx10_clamp 1
		.amdhsa_ieee_mode 1
		.amdhsa_fp16_overflow 0
		.amdhsa_workgroup_processor_mode 1
		.amdhsa_memory_ordered 1
		.amdhsa_forward_progress 1
		.amdhsa_shared_vgpr_count 0
		.amdhsa_exception_fp_ieee_invalid_op 0
		.amdhsa_exception_fp_denorm_src 0
		.amdhsa_exception_fp_ieee_div_zero 0
		.amdhsa_exception_fp_ieee_overflow 0
		.amdhsa_exception_fp_ieee_underflow 0
		.amdhsa_exception_fp_ieee_inexact 0
		.amdhsa_exception_int_div_zero 0
	.end_amdhsa_kernel
	.section	.text._ZN7rocprim17ROCPRIM_400000_NS6detail17trampoline_kernelINS0_14default_configENS1_27scan_by_key_config_selectorIj11FixedVectorIiLj4EEEEZZNS1_16scan_by_key_implILNS1_25lookback_scan_determinismE0ELb1ES3_N6thrust23THRUST_200600_302600_NS6detail15normal_iteratorINSB_10device_ptrIjEEEENSD_INSE_IS6_EEEESI_S6_NSB_4plusIvEENSB_8equal_toIvEES6_EE10hipError_tPvRmT2_T3_T4_T5_mT6_T7_P12ihipStream_tbENKUlT_T0_E_clISt17integral_constantIbLb1EES13_EEDaSY_SZ_EUlSY_E_NS1_11comp_targetILNS1_3genE8ELNS1_11target_archE1030ELNS1_3gpuE2ELNS1_3repE0EEENS1_30default_config_static_selectorELNS0_4arch9wavefront6targetE0EEEvT1_,"axG",@progbits,_ZN7rocprim17ROCPRIM_400000_NS6detail17trampoline_kernelINS0_14default_configENS1_27scan_by_key_config_selectorIj11FixedVectorIiLj4EEEEZZNS1_16scan_by_key_implILNS1_25lookback_scan_determinismE0ELb1ES3_N6thrust23THRUST_200600_302600_NS6detail15normal_iteratorINSB_10device_ptrIjEEEENSD_INSE_IS6_EEEESI_S6_NSB_4plusIvEENSB_8equal_toIvEES6_EE10hipError_tPvRmT2_T3_T4_T5_mT6_T7_P12ihipStream_tbENKUlT_T0_E_clISt17integral_constantIbLb1EES13_EEDaSY_SZ_EUlSY_E_NS1_11comp_targetILNS1_3genE8ELNS1_11target_archE1030ELNS1_3gpuE2ELNS1_3repE0EEENS1_30default_config_static_selectorELNS0_4arch9wavefront6targetE0EEEvT1_,comdat
.Lfunc_end2092:
	.size	_ZN7rocprim17ROCPRIM_400000_NS6detail17trampoline_kernelINS0_14default_configENS1_27scan_by_key_config_selectorIj11FixedVectorIiLj4EEEEZZNS1_16scan_by_key_implILNS1_25lookback_scan_determinismE0ELb1ES3_N6thrust23THRUST_200600_302600_NS6detail15normal_iteratorINSB_10device_ptrIjEEEENSD_INSE_IS6_EEEESI_S6_NSB_4plusIvEENSB_8equal_toIvEES6_EE10hipError_tPvRmT2_T3_T4_T5_mT6_T7_P12ihipStream_tbENKUlT_T0_E_clISt17integral_constantIbLb1EES13_EEDaSY_SZ_EUlSY_E_NS1_11comp_targetILNS1_3genE8ELNS1_11target_archE1030ELNS1_3gpuE2ELNS1_3repE0EEENS1_30default_config_static_selectorELNS0_4arch9wavefront6targetE0EEEvT1_, .Lfunc_end2092-_ZN7rocprim17ROCPRIM_400000_NS6detail17trampoline_kernelINS0_14default_configENS1_27scan_by_key_config_selectorIj11FixedVectorIiLj4EEEEZZNS1_16scan_by_key_implILNS1_25lookback_scan_determinismE0ELb1ES3_N6thrust23THRUST_200600_302600_NS6detail15normal_iteratorINSB_10device_ptrIjEEEENSD_INSE_IS6_EEEESI_S6_NSB_4plusIvEENSB_8equal_toIvEES6_EE10hipError_tPvRmT2_T3_T4_T5_mT6_T7_P12ihipStream_tbENKUlT_T0_E_clISt17integral_constantIbLb1EES13_EEDaSY_SZ_EUlSY_E_NS1_11comp_targetILNS1_3genE8ELNS1_11target_archE1030ELNS1_3gpuE2ELNS1_3repE0EEENS1_30default_config_static_selectorELNS0_4arch9wavefront6targetE0EEEvT1_
                                        ; -- End function
	.set _ZN7rocprim17ROCPRIM_400000_NS6detail17trampoline_kernelINS0_14default_configENS1_27scan_by_key_config_selectorIj11FixedVectorIiLj4EEEEZZNS1_16scan_by_key_implILNS1_25lookback_scan_determinismE0ELb1ES3_N6thrust23THRUST_200600_302600_NS6detail15normal_iteratorINSB_10device_ptrIjEEEENSD_INSE_IS6_EEEESI_S6_NSB_4plusIvEENSB_8equal_toIvEES6_EE10hipError_tPvRmT2_T3_T4_T5_mT6_T7_P12ihipStream_tbENKUlT_T0_E_clISt17integral_constantIbLb1EES13_EEDaSY_SZ_EUlSY_E_NS1_11comp_targetILNS1_3genE8ELNS1_11target_archE1030ELNS1_3gpuE2ELNS1_3repE0EEENS1_30default_config_static_selectorELNS0_4arch9wavefront6targetE0EEEvT1_.num_vgpr, 0
	.set _ZN7rocprim17ROCPRIM_400000_NS6detail17trampoline_kernelINS0_14default_configENS1_27scan_by_key_config_selectorIj11FixedVectorIiLj4EEEEZZNS1_16scan_by_key_implILNS1_25lookback_scan_determinismE0ELb1ES3_N6thrust23THRUST_200600_302600_NS6detail15normal_iteratorINSB_10device_ptrIjEEEENSD_INSE_IS6_EEEESI_S6_NSB_4plusIvEENSB_8equal_toIvEES6_EE10hipError_tPvRmT2_T3_T4_T5_mT6_T7_P12ihipStream_tbENKUlT_T0_E_clISt17integral_constantIbLb1EES13_EEDaSY_SZ_EUlSY_E_NS1_11comp_targetILNS1_3genE8ELNS1_11target_archE1030ELNS1_3gpuE2ELNS1_3repE0EEENS1_30default_config_static_selectorELNS0_4arch9wavefront6targetE0EEEvT1_.num_agpr, 0
	.set _ZN7rocprim17ROCPRIM_400000_NS6detail17trampoline_kernelINS0_14default_configENS1_27scan_by_key_config_selectorIj11FixedVectorIiLj4EEEEZZNS1_16scan_by_key_implILNS1_25lookback_scan_determinismE0ELb1ES3_N6thrust23THRUST_200600_302600_NS6detail15normal_iteratorINSB_10device_ptrIjEEEENSD_INSE_IS6_EEEESI_S6_NSB_4plusIvEENSB_8equal_toIvEES6_EE10hipError_tPvRmT2_T3_T4_T5_mT6_T7_P12ihipStream_tbENKUlT_T0_E_clISt17integral_constantIbLb1EES13_EEDaSY_SZ_EUlSY_E_NS1_11comp_targetILNS1_3genE8ELNS1_11target_archE1030ELNS1_3gpuE2ELNS1_3repE0EEENS1_30default_config_static_selectorELNS0_4arch9wavefront6targetE0EEEvT1_.numbered_sgpr, 0
	.set _ZN7rocprim17ROCPRIM_400000_NS6detail17trampoline_kernelINS0_14default_configENS1_27scan_by_key_config_selectorIj11FixedVectorIiLj4EEEEZZNS1_16scan_by_key_implILNS1_25lookback_scan_determinismE0ELb1ES3_N6thrust23THRUST_200600_302600_NS6detail15normal_iteratorINSB_10device_ptrIjEEEENSD_INSE_IS6_EEEESI_S6_NSB_4plusIvEENSB_8equal_toIvEES6_EE10hipError_tPvRmT2_T3_T4_T5_mT6_T7_P12ihipStream_tbENKUlT_T0_E_clISt17integral_constantIbLb1EES13_EEDaSY_SZ_EUlSY_E_NS1_11comp_targetILNS1_3genE8ELNS1_11target_archE1030ELNS1_3gpuE2ELNS1_3repE0EEENS1_30default_config_static_selectorELNS0_4arch9wavefront6targetE0EEEvT1_.num_named_barrier, 0
	.set _ZN7rocprim17ROCPRIM_400000_NS6detail17trampoline_kernelINS0_14default_configENS1_27scan_by_key_config_selectorIj11FixedVectorIiLj4EEEEZZNS1_16scan_by_key_implILNS1_25lookback_scan_determinismE0ELb1ES3_N6thrust23THRUST_200600_302600_NS6detail15normal_iteratorINSB_10device_ptrIjEEEENSD_INSE_IS6_EEEESI_S6_NSB_4plusIvEENSB_8equal_toIvEES6_EE10hipError_tPvRmT2_T3_T4_T5_mT6_T7_P12ihipStream_tbENKUlT_T0_E_clISt17integral_constantIbLb1EES13_EEDaSY_SZ_EUlSY_E_NS1_11comp_targetILNS1_3genE8ELNS1_11target_archE1030ELNS1_3gpuE2ELNS1_3repE0EEENS1_30default_config_static_selectorELNS0_4arch9wavefront6targetE0EEEvT1_.private_seg_size, 0
	.set _ZN7rocprim17ROCPRIM_400000_NS6detail17trampoline_kernelINS0_14default_configENS1_27scan_by_key_config_selectorIj11FixedVectorIiLj4EEEEZZNS1_16scan_by_key_implILNS1_25lookback_scan_determinismE0ELb1ES3_N6thrust23THRUST_200600_302600_NS6detail15normal_iteratorINSB_10device_ptrIjEEEENSD_INSE_IS6_EEEESI_S6_NSB_4plusIvEENSB_8equal_toIvEES6_EE10hipError_tPvRmT2_T3_T4_T5_mT6_T7_P12ihipStream_tbENKUlT_T0_E_clISt17integral_constantIbLb1EES13_EEDaSY_SZ_EUlSY_E_NS1_11comp_targetILNS1_3genE8ELNS1_11target_archE1030ELNS1_3gpuE2ELNS1_3repE0EEENS1_30default_config_static_selectorELNS0_4arch9wavefront6targetE0EEEvT1_.uses_vcc, 0
	.set _ZN7rocprim17ROCPRIM_400000_NS6detail17trampoline_kernelINS0_14default_configENS1_27scan_by_key_config_selectorIj11FixedVectorIiLj4EEEEZZNS1_16scan_by_key_implILNS1_25lookback_scan_determinismE0ELb1ES3_N6thrust23THRUST_200600_302600_NS6detail15normal_iteratorINSB_10device_ptrIjEEEENSD_INSE_IS6_EEEESI_S6_NSB_4plusIvEENSB_8equal_toIvEES6_EE10hipError_tPvRmT2_T3_T4_T5_mT6_T7_P12ihipStream_tbENKUlT_T0_E_clISt17integral_constantIbLb1EES13_EEDaSY_SZ_EUlSY_E_NS1_11comp_targetILNS1_3genE8ELNS1_11target_archE1030ELNS1_3gpuE2ELNS1_3repE0EEENS1_30default_config_static_selectorELNS0_4arch9wavefront6targetE0EEEvT1_.uses_flat_scratch, 0
	.set _ZN7rocprim17ROCPRIM_400000_NS6detail17trampoline_kernelINS0_14default_configENS1_27scan_by_key_config_selectorIj11FixedVectorIiLj4EEEEZZNS1_16scan_by_key_implILNS1_25lookback_scan_determinismE0ELb1ES3_N6thrust23THRUST_200600_302600_NS6detail15normal_iteratorINSB_10device_ptrIjEEEENSD_INSE_IS6_EEEESI_S6_NSB_4plusIvEENSB_8equal_toIvEES6_EE10hipError_tPvRmT2_T3_T4_T5_mT6_T7_P12ihipStream_tbENKUlT_T0_E_clISt17integral_constantIbLb1EES13_EEDaSY_SZ_EUlSY_E_NS1_11comp_targetILNS1_3genE8ELNS1_11target_archE1030ELNS1_3gpuE2ELNS1_3repE0EEENS1_30default_config_static_selectorELNS0_4arch9wavefront6targetE0EEEvT1_.has_dyn_sized_stack, 0
	.set _ZN7rocprim17ROCPRIM_400000_NS6detail17trampoline_kernelINS0_14default_configENS1_27scan_by_key_config_selectorIj11FixedVectorIiLj4EEEEZZNS1_16scan_by_key_implILNS1_25lookback_scan_determinismE0ELb1ES3_N6thrust23THRUST_200600_302600_NS6detail15normal_iteratorINSB_10device_ptrIjEEEENSD_INSE_IS6_EEEESI_S6_NSB_4plusIvEENSB_8equal_toIvEES6_EE10hipError_tPvRmT2_T3_T4_T5_mT6_T7_P12ihipStream_tbENKUlT_T0_E_clISt17integral_constantIbLb1EES13_EEDaSY_SZ_EUlSY_E_NS1_11comp_targetILNS1_3genE8ELNS1_11target_archE1030ELNS1_3gpuE2ELNS1_3repE0EEENS1_30default_config_static_selectorELNS0_4arch9wavefront6targetE0EEEvT1_.has_recursion, 0
	.set _ZN7rocprim17ROCPRIM_400000_NS6detail17trampoline_kernelINS0_14default_configENS1_27scan_by_key_config_selectorIj11FixedVectorIiLj4EEEEZZNS1_16scan_by_key_implILNS1_25lookback_scan_determinismE0ELb1ES3_N6thrust23THRUST_200600_302600_NS6detail15normal_iteratorINSB_10device_ptrIjEEEENSD_INSE_IS6_EEEESI_S6_NSB_4plusIvEENSB_8equal_toIvEES6_EE10hipError_tPvRmT2_T3_T4_T5_mT6_T7_P12ihipStream_tbENKUlT_T0_E_clISt17integral_constantIbLb1EES13_EEDaSY_SZ_EUlSY_E_NS1_11comp_targetILNS1_3genE8ELNS1_11target_archE1030ELNS1_3gpuE2ELNS1_3repE0EEENS1_30default_config_static_selectorELNS0_4arch9wavefront6targetE0EEEvT1_.has_indirect_call, 0
	.section	.AMDGPU.csdata,"",@progbits
; Kernel info:
; codeLenInByte = 4
; TotalNumSgprs: 0
; NumVgprs: 0
; ScratchSize: 0
; MemoryBound: 0
; FloatMode: 240
; IeeeMode: 1
; LDSByteSize: 0 bytes/workgroup (compile time only)
; SGPRBlocks: 0
; VGPRBlocks: 0
; NumSGPRsForWavesPerEU: 1
; NumVGPRsForWavesPerEU: 1
; Occupancy: 16
; WaveLimiterHint : 0
; COMPUTE_PGM_RSRC2:SCRATCH_EN: 0
; COMPUTE_PGM_RSRC2:USER_SGPR: 6
; COMPUTE_PGM_RSRC2:TRAP_HANDLER: 0
; COMPUTE_PGM_RSRC2:TGID_X_EN: 1
; COMPUTE_PGM_RSRC2:TGID_Y_EN: 0
; COMPUTE_PGM_RSRC2:TGID_Z_EN: 0
; COMPUTE_PGM_RSRC2:TIDIG_COMP_CNT: 0
	.section	.text._ZN7rocprim17ROCPRIM_400000_NS6detail17trampoline_kernelINS0_14default_configENS1_27scan_by_key_config_selectorIj11FixedVectorIiLj4EEEEZZNS1_16scan_by_key_implILNS1_25lookback_scan_determinismE0ELb1ES3_N6thrust23THRUST_200600_302600_NS6detail15normal_iteratorINSB_10device_ptrIjEEEENSD_INSE_IS6_EEEESI_S6_NSB_4plusIvEENSB_8equal_toIvEES6_EE10hipError_tPvRmT2_T3_T4_T5_mT6_T7_P12ihipStream_tbENKUlT_T0_E_clISt17integral_constantIbLb1EES12_IbLb0EEEEDaSY_SZ_EUlSY_E_NS1_11comp_targetILNS1_3genE0ELNS1_11target_archE4294967295ELNS1_3gpuE0ELNS1_3repE0EEENS1_30default_config_static_selectorELNS0_4arch9wavefront6targetE0EEEvT1_,"axG",@progbits,_ZN7rocprim17ROCPRIM_400000_NS6detail17trampoline_kernelINS0_14default_configENS1_27scan_by_key_config_selectorIj11FixedVectorIiLj4EEEEZZNS1_16scan_by_key_implILNS1_25lookback_scan_determinismE0ELb1ES3_N6thrust23THRUST_200600_302600_NS6detail15normal_iteratorINSB_10device_ptrIjEEEENSD_INSE_IS6_EEEESI_S6_NSB_4plusIvEENSB_8equal_toIvEES6_EE10hipError_tPvRmT2_T3_T4_T5_mT6_T7_P12ihipStream_tbENKUlT_T0_E_clISt17integral_constantIbLb1EES12_IbLb0EEEEDaSY_SZ_EUlSY_E_NS1_11comp_targetILNS1_3genE0ELNS1_11target_archE4294967295ELNS1_3gpuE0ELNS1_3repE0EEENS1_30default_config_static_selectorELNS0_4arch9wavefront6targetE0EEEvT1_,comdat
	.protected	_ZN7rocprim17ROCPRIM_400000_NS6detail17trampoline_kernelINS0_14default_configENS1_27scan_by_key_config_selectorIj11FixedVectorIiLj4EEEEZZNS1_16scan_by_key_implILNS1_25lookback_scan_determinismE0ELb1ES3_N6thrust23THRUST_200600_302600_NS6detail15normal_iteratorINSB_10device_ptrIjEEEENSD_INSE_IS6_EEEESI_S6_NSB_4plusIvEENSB_8equal_toIvEES6_EE10hipError_tPvRmT2_T3_T4_T5_mT6_T7_P12ihipStream_tbENKUlT_T0_E_clISt17integral_constantIbLb1EES12_IbLb0EEEEDaSY_SZ_EUlSY_E_NS1_11comp_targetILNS1_3genE0ELNS1_11target_archE4294967295ELNS1_3gpuE0ELNS1_3repE0EEENS1_30default_config_static_selectorELNS0_4arch9wavefront6targetE0EEEvT1_ ; -- Begin function _ZN7rocprim17ROCPRIM_400000_NS6detail17trampoline_kernelINS0_14default_configENS1_27scan_by_key_config_selectorIj11FixedVectorIiLj4EEEEZZNS1_16scan_by_key_implILNS1_25lookback_scan_determinismE0ELb1ES3_N6thrust23THRUST_200600_302600_NS6detail15normal_iteratorINSB_10device_ptrIjEEEENSD_INSE_IS6_EEEESI_S6_NSB_4plusIvEENSB_8equal_toIvEES6_EE10hipError_tPvRmT2_T3_T4_T5_mT6_T7_P12ihipStream_tbENKUlT_T0_E_clISt17integral_constantIbLb1EES12_IbLb0EEEEDaSY_SZ_EUlSY_E_NS1_11comp_targetILNS1_3genE0ELNS1_11target_archE4294967295ELNS1_3gpuE0ELNS1_3repE0EEENS1_30default_config_static_selectorELNS0_4arch9wavefront6targetE0EEEvT1_
	.globl	_ZN7rocprim17ROCPRIM_400000_NS6detail17trampoline_kernelINS0_14default_configENS1_27scan_by_key_config_selectorIj11FixedVectorIiLj4EEEEZZNS1_16scan_by_key_implILNS1_25lookback_scan_determinismE0ELb1ES3_N6thrust23THRUST_200600_302600_NS6detail15normal_iteratorINSB_10device_ptrIjEEEENSD_INSE_IS6_EEEESI_S6_NSB_4plusIvEENSB_8equal_toIvEES6_EE10hipError_tPvRmT2_T3_T4_T5_mT6_T7_P12ihipStream_tbENKUlT_T0_E_clISt17integral_constantIbLb1EES12_IbLb0EEEEDaSY_SZ_EUlSY_E_NS1_11comp_targetILNS1_3genE0ELNS1_11target_archE4294967295ELNS1_3gpuE0ELNS1_3repE0EEENS1_30default_config_static_selectorELNS0_4arch9wavefront6targetE0EEEvT1_
	.p2align	8
	.type	_ZN7rocprim17ROCPRIM_400000_NS6detail17trampoline_kernelINS0_14default_configENS1_27scan_by_key_config_selectorIj11FixedVectorIiLj4EEEEZZNS1_16scan_by_key_implILNS1_25lookback_scan_determinismE0ELb1ES3_N6thrust23THRUST_200600_302600_NS6detail15normal_iteratorINSB_10device_ptrIjEEEENSD_INSE_IS6_EEEESI_S6_NSB_4plusIvEENSB_8equal_toIvEES6_EE10hipError_tPvRmT2_T3_T4_T5_mT6_T7_P12ihipStream_tbENKUlT_T0_E_clISt17integral_constantIbLb1EES12_IbLb0EEEEDaSY_SZ_EUlSY_E_NS1_11comp_targetILNS1_3genE0ELNS1_11target_archE4294967295ELNS1_3gpuE0ELNS1_3repE0EEENS1_30default_config_static_selectorELNS0_4arch9wavefront6targetE0EEEvT1_,@function
_ZN7rocprim17ROCPRIM_400000_NS6detail17trampoline_kernelINS0_14default_configENS1_27scan_by_key_config_selectorIj11FixedVectorIiLj4EEEEZZNS1_16scan_by_key_implILNS1_25lookback_scan_determinismE0ELb1ES3_N6thrust23THRUST_200600_302600_NS6detail15normal_iteratorINSB_10device_ptrIjEEEENSD_INSE_IS6_EEEESI_S6_NSB_4plusIvEENSB_8equal_toIvEES6_EE10hipError_tPvRmT2_T3_T4_T5_mT6_T7_P12ihipStream_tbENKUlT_T0_E_clISt17integral_constantIbLb1EES12_IbLb0EEEEDaSY_SZ_EUlSY_E_NS1_11comp_targetILNS1_3genE0ELNS1_11target_archE4294967295ELNS1_3gpuE0ELNS1_3repE0EEENS1_30default_config_static_selectorELNS0_4arch9wavefront6targetE0EEEvT1_: ; @_ZN7rocprim17ROCPRIM_400000_NS6detail17trampoline_kernelINS0_14default_configENS1_27scan_by_key_config_selectorIj11FixedVectorIiLj4EEEEZZNS1_16scan_by_key_implILNS1_25lookback_scan_determinismE0ELb1ES3_N6thrust23THRUST_200600_302600_NS6detail15normal_iteratorINSB_10device_ptrIjEEEENSD_INSE_IS6_EEEESI_S6_NSB_4plusIvEENSB_8equal_toIvEES6_EE10hipError_tPvRmT2_T3_T4_T5_mT6_T7_P12ihipStream_tbENKUlT_T0_E_clISt17integral_constantIbLb1EES12_IbLb0EEEEDaSY_SZ_EUlSY_E_NS1_11comp_targetILNS1_3genE0ELNS1_11target_archE4294967295ELNS1_3gpuE0ELNS1_3repE0EEENS1_30default_config_static_selectorELNS0_4arch9wavefront6targetE0EEEvT1_
; %bb.0:
	.section	.rodata,"a",@progbits
	.p2align	6, 0x0
	.amdhsa_kernel _ZN7rocprim17ROCPRIM_400000_NS6detail17trampoline_kernelINS0_14default_configENS1_27scan_by_key_config_selectorIj11FixedVectorIiLj4EEEEZZNS1_16scan_by_key_implILNS1_25lookback_scan_determinismE0ELb1ES3_N6thrust23THRUST_200600_302600_NS6detail15normal_iteratorINSB_10device_ptrIjEEEENSD_INSE_IS6_EEEESI_S6_NSB_4plusIvEENSB_8equal_toIvEES6_EE10hipError_tPvRmT2_T3_T4_T5_mT6_T7_P12ihipStream_tbENKUlT_T0_E_clISt17integral_constantIbLb1EES12_IbLb0EEEEDaSY_SZ_EUlSY_E_NS1_11comp_targetILNS1_3genE0ELNS1_11target_archE4294967295ELNS1_3gpuE0ELNS1_3repE0EEENS1_30default_config_static_selectorELNS0_4arch9wavefront6targetE0EEEvT1_
		.amdhsa_group_segment_fixed_size 0
		.amdhsa_private_segment_fixed_size 0
		.amdhsa_kernarg_size 144
		.amdhsa_user_sgpr_count 6
		.amdhsa_user_sgpr_private_segment_buffer 1
		.amdhsa_user_sgpr_dispatch_ptr 0
		.amdhsa_user_sgpr_queue_ptr 0
		.amdhsa_user_sgpr_kernarg_segment_ptr 1
		.amdhsa_user_sgpr_dispatch_id 0
		.amdhsa_user_sgpr_flat_scratch_init 0
		.amdhsa_user_sgpr_private_segment_size 0
		.amdhsa_wavefront_size32 1
		.amdhsa_uses_dynamic_stack 0
		.amdhsa_system_sgpr_private_segment_wavefront_offset 0
		.amdhsa_system_sgpr_workgroup_id_x 1
		.amdhsa_system_sgpr_workgroup_id_y 0
		.amdhsa_system_sgpr_workgroup_id_z 0
		.amdhsa_system_sgpr_workgroup_info 0
		.amdhsa_system_vgpr_workitem_id 0
		.amdhsa_next_free_vgpr 1
		.amdhsa_next_free_sgpr 1
		.amdhsa_reserve_vcc 0
		.amdhsa_reserve_flat_scratch 0
		.amdhsa_float_round_mode_32 0
		.amdhsa_float_round_mode_16_64 0
		.amdhsa_float_denorm_mode_32 3
		.amdhsa_float_denorm_mode_16_64 3
		.amdhsa_dx10_clamp 1
		.amdhsa_ieee_mode 1
		.amdhsa_fp16_overflow 0
		.amdhsa_workgroup_processor_mode 1
		.amdhsa_memory_ordered 1
		.amdhsa_forward_progress 1
		.amdhsa_shared_vgpr_count 0
		.amdhsa_exception_fp_ieee_invalid_op 0
		.amdhsa_exception_fp_denorm_src 0
		.amdhsa_exception_fp_ieee_div_zero 0
		.amdhsa_exception_fp_ieee_overflow 0
		.amdhsa_exception_fp_ieee_underflow 0
		.amdhsa_exception_fp_ieee_inexact 0
		.amdhsa_exception_int_div_zero 0
	.end_amdhsa_kernel
	.section	.text._ZN7rocprim17ROCPRIM_400000_NS6detail17trampoline_kernelINS0_14default_configENS1_27scan_by_key_config_selectorIj11FixedVectorIiLj4EEEEZZNS1_16scan_by_key_implILNS1_25lookback_scan_determinismE0ELb1ES3_N6thrust23THRUST_200600_302600_NS6detail15normal_iteratorINSB_10device_ptrIjEEEENSD_INSE_IS6_EEEESI_S6_NSB_4plusIvEENSB_8equal_toIvEES6_EE10hipError_tPvRmT2_T3_T4_T5_mT6_T7_P12ihipStream_tbENKUlT_T0_E_clISt17integral_constantIbLb1EES12_IbLb0EEEEDaSY_SZ_EUlSY_E_NS1_11comp_targetILNS1_3genE0ELNS1_11target_archE4294967295ELNS1_3gpuE0ELNS1_3repE0EEENS1_30default_config_static_selectorELNS0_4arch9wavefront6targetE0EEEvT1_,"axG",@progbits,_ZN7rocprim17ROCPRIM_400000_NS6detail17trampoline_kernelINS0_14default_configENS1_27scan_by_key_config_selectorIj11FixedVectorIiLj4EEEEZZNS1_16scan_by_key_implILNS1_25lookback_scan_determinismE0ELb1ES3_N6thrust23THRUST_200600_302600_NS6detail15normal_iteratorINSB_10device_ptrIjEEEENSD_INSE_IS6_EEEESI_S6_NSB_4plusIvEENSB_8equal_toIvEES6_EE10hipError_tPvRmT2_T3_T4_T5_mT6_T7_P12ihipStream_tbENKUlT_T0_E_clISt17integral_constantIbLb1EES12_IbLb0EEEEDaSY_SZ_EUlSY_E_NS1_11comp_targetILNS1_3genE0ELNS1_11target_archE4294967295ELNS1_3gpuE0ELNS1_3repE0EEENS1_30default_config_static_selectorELNS0_4arch9wavefront6targetE0EEEvT1_,comdat
.Lfunc_end2093:
	.size	_ZN7rocprim17ROCPRIM_400000_NS6detail17trampoline_kernelINS0_14default_configENS1_27scan_by_key_config_selectorIj11FixedVectorIiLj4EEEEZZNS1_16scan_by_key_implILNS1_25lookback_scan_determinismE0ELb1ES3_N6thrust23THRUST_200600_302600_NS6detail15normal_iteratorINSB_10device_ptrIjEEEENSD_INSE_IS6_EEEESI_S6_NSB_4plusIvEENSB_8equal_toIvEES6_EE10hipError_tPvRmT2_T3_T4_T5_mT6_T7_P12ihipStream_tbENKUlT_T0_E_clISt17integral_constantIbLb1EES12_IbLb0EEEEDaSY_SZ_EUlSY_E_NS1_11comp_targetILNS1_3genE0ELNS1_11target_archE4294967295ELNS1_3gpuE0ELNS1_3repE0EEENS1_30default_config_static_selectorELNS0_4arch9wavefront6targetE0EEEvT1_, .Lfunc_end2093-_ZN7rocprim17ROCPRIM_400000_NS6detail17trampoline_kernelINS0_14default_configENS1_27scan_by_key_config_selectorIj11FixedVectorIiLj4EEEEZZNS1_16scan_by_key_implILNS1_25lookback_scan_determinismE0ELb1ES3_N6thrust23THRUST_200600_302600_NS6detail15normal_iteratorINSB_10device_ptrIjEEEENSD_INSE_IS6_EEEESI_S6_NSB_4plusIvEENSB_8equal_toIvEES6_EE10hipError_tPvRmT2_T3_T4_T5_mT6_T7_P12ihipStream_tbENKUlT_T0_E_clISt17integral_constantIbLb1EES12_IbLb0EEEEDaSY_SZ_EUlSY_E_NS1_11comp_targetILNS1_3genE0ELNS1_11target_archE4294967295ELNS1_3gpuE0ELNS1_3repE0EEENS1_30default_config_static_selectorELNS0_4arch9wavefront6targetE0EEEvT1_
                                        ; -- End function
	.set _ZN7rocprim17ROCPRIM_400000_NS6detail17trampoline_kernelINS0_14default_configENS1_27scan_by_key_config_selectorIj11FixedVectorIiLj4EEEEZZNS1_16scan_by_key_implILNS1_25lookback_scan_determinismE0ELb1ES3_N6thrust23THRUST_200600_302600_NS6detail15normal_iteratorINSB_10device_ptrIjEEEENSD_INSE_IS6_EEEESI_S6_NSB_4plusIvEENSB_8equal_toIvEES6_EE10hipError_tPvRmT2_T3_T4_T5_mT6_T7_P12ihipStream_tbENKUlT_T0_E_clISt17integral_constantIbLb1EES12_IbLb0EEEEDaSY_SZ_EUlSY_E_NS1_11comp_targetILNS1_3genE0ELNS1_11target_archE4294967295ELNS1_3gpuE0ELNS1_3repE0EEENS1_30default_config_static_selectorELNS0_4arch9wavefront6targetE0EEEvT1_.num_vgpr, 0
	.set _ZN7rocprim17ROCPRIM_400000_NS6detail17trampoline_kernelINS0_14default_configENS1_27scan_by_key_config_selectorIj11FixedVectorIiLj4EEEEZZNS1_16scan_by_key_implILNS1_25lookback_scan_determinismE0ELb1ES3_N6thrust23THRUST_200600_302600_NS6detail15normal_iteratorINSB_10device_ptrIjEEEENSD_INSE_IS6_EEEESI_S6_NSB_4plusIvEENSB_8equal_toIvEES6_EE10hipError_tPvRmT2_T3_T4_T5_mT6_T7_P12ihipStream_tbENKUlT_T0_E_clISt17integral_constantIbLb1EES12_IbLb0EEEEDaSY_SZ_EUlSY_E_NS1_11comp_targetILNS1_3genE0ELNS1_11target_archE4294967295ELNS1_3gpuE0ELNS1_3repE0EEENS1_30default_config_static_selectorELNS0_4arch9wavefront6targetE0EEEvT1_.num_agpr, 0
	.set _ZN7rocprim17ROCPRIM_400000_NS6detail17trampoline_kernelINS0_14default_configENS1_27scan_by_key_config_selectorIj11FixedVectorIiLj4EEEEZZNS1_16scan_by_key_implILNS1_25lookback_scan_determinismE0ELb1ES3_N6thrust23THRUST_200600_302600_NS6detail15normal_iteratorINSB_10device_ptrIjEEEENSD_INSE_IS6_EEEESI_S6_NSB_4plusIvEENSB_8equal_toIvEES6_EE10hipError_tPvRmT2_T3_T4_T5_mT6_T7_P12ihipStream_tbENKUlT_T0_E_clISt17integral_constantIbLb1EES12_IbLb0EEEEDaSY_SZ_EUlSY_E_NS1_11comp_targetILNS1_3genE0ELNS1_11target_archE4294967295ELNS1_3gpuE0ELNS1_3repE0EEENS1_30default_config_static_selectorELNS0_4arch9wavefront6targetE0EEEvT1_.numbered_sgpr, 0
	.set _ZN7rocprim17ROCPRIM_400000_NS6detail17trampoline_kernelINS0_14default_configENS1_27scan_by_key_config_selectorIj11FixedVectorIiLj4EEEEZZNS1_16scan_by_key_implILNS1_25lookback_scan_determinismE0ELb1ES3_N6thrust23THRUST_200600_302600_NS6detail15normal_iteratorINSB_10device_ptrIjEEEENSD_INSE_IS6_EEEESI_S6_NSB_4plusIvEENSB_8equal_toIvEES6_EE10hipError_tPvRmT2_T3_T4_T5_mT6_T7_P12ihipStream_tbENKUlT_T0_E_clISt17integral_constantIbLb1EES12_IbLb0EEEEDaSY_SZ_EUlSY_E_NS1_11comp_targetILNS1_3genE0ELNS1_11target_archE4294967295ELNS1_3gpuE0ELNS1_3repE0EEENS1_30default_config_static_selectorELNS0_4arch9wavefront6targetE0EEEvT1_.num_named_barrier, 0
	.set _ZN7rocprim17ROCPRIM_400000_NS6detail17trampoline_kernelINS0_14default_configENS1_27scan_by_key_config_selectorIj11FixedVectorIiLj4EEEEZZNS1_16scan_by_key_implILNS1_25lookback_scan_determinismE0ELb1ES3_N6thrust23THRUST_200600_302600_NS6detail15normal_iteratorINSB_10device_ptrIjEEEENSD_INSE_IS6_EEEESI_S6_NSB_4plusIvEENSB_8equal_toIvEES6_EE10hipError_tPvRmT2_T3_T4_T5_mT6_T7_P12ihipStream_tbENKUlT_T0_E_clISt17integral_constantIbLb1EES12_IbLb0EEEEDaSY_SZ_EUlSY_E_NS1_11comp_targetILNS1_3genE0ELNS1_11target_archE4294967295ELNS1_3gpuE0ELNS1_3repE0EEENS1_30default_config_static_selectorELNS0_4arch9wavefront6targetE0EEEvT1_.private_seg_size, 0
	.set _ZN7rocprim17ROCPRIM_400000_NS6detail17trampoline_kernelINS0_14default_configENS1_27scan_by_key_config_selectorIj11FixedVectorIiLj4EEEEZZNS1_16scan_by_key_implILNS1_25lookback_scan_determinismE0ELb1ES3_N6thrust23THRUST_200600_302600_NS6detail15normal_iteratorINSB_10device_ptrIjEEEENSD_INSE_IS6_EEEESI_S6_NSB_4plusIvEENSB_8equal_toIvEES6_EE10hipError_tPvRmT2_T3_T4_T5_mT6_T7_P12ihipStream_tbENKUlT_T0_E_clISt17integral_constantIbLb1EES12_IbLb0EEEEDaSY_SZ_EUlSY_E_NS1_11comp_targetILNS1_3genE0ELNS1_11target_archE4294967295ELNS1_3gpuE0ELNS1_3repE0EEENS1_30default_config_static_selectorELNS0_4arch9wavefront6targetE0EEEvT1_.uses_vcc, 0
	.set _ZN7rocprim17ROCPRIM_400000_NS6detail17trampoline_kernelINS0_14default_configENS1_27scan_by_key_config_selectorIj11FixedVectorIiLj4EEEEZZNS1_16scan_by_key_implILNS1_25lookback_scan_determinismE0ELb1ES3_N6thrust23THRUST_200600_302600_NS6detail15normal_iteratorINSB_10device_ptrIjEEEENSD_INSE_IS6_EEEESI_S6_NSB_4plusIvEENSB_8equal_toIvEES6_EE10hipError_tPvRmT2_T3_T4_T5_mT6_T7_P12ihipStream_tbENKUlT_T0_E_clISt17integral_constantIbLb1EES12_IbLb0EEEEDaSY_SZ_EUlSY_E_NS1_11comp_targetILNS1_3genE0ELNS1_11target_archE4294967295ELNS1_3gpuE0ELNS1_3repE0EEENS1_30default_config_static_selectorELNS0_4arch9wavefront6targetE0EEEvT1_.uses_flat_scratch, 0
	.set _ZN7rocprim17ROCPRIM_400000_NS6detail17trampoline_kernelINS0_14default_configENS1_27scan_by_key_config_selectorIj11FixedVectorIiLj4EEEEZZNS1_16scan_by_key_implILNS1_25lookback_scan_determinismE0ELb1ES3_N6thrust23THRUST_200600_302600_NS6detail15normal_iteratorINSB_10device_ptrIjEEEENSD_INSE_IS6_EEEESI_S6_NSB_4plusIvEENSB_8equal_toIvEES6_EE10hipError_tPvRmT2_T3_T4_T5_mT6_T7_P12ihipStream_tbENKUlT_T0_E_clISt17integral_constantIbLb1EES12_IbLb0EEEEDaSY_SZ_EUlSY_E_NS1_11comp_targetILNS1_3genE0ELNS1_11target_archE4294967295ELNS1_3gpuE0ELNS1_3repE0EEENS1_30default_config_static_selectorELNS0_4arch9wavefront6targetE0EEEvT1_.has_dyn_sized_stack, 0
	.set _ZN7rocprim17ROCPRIM_400000_NS6detail17trampoline_kernelINS0_14default_configENS1_27scan_by_key_config_selectorIj11FixedVectorIiLj4EEEEZZNS1_16scan_by_key_implILNS1_25lookback_scan_determinismE0ELb1ES3_N6thrust23THRUST_200600_302600_NS6detail15normal_iteratorINSB_10device_ptrIjEEEENSD_INSE_IS6_EEEESI_S6_NSB_4plusIvEENSB_8equal_toIvEES6_EE10hipError_tPvRmT2_T3_T4_T5_mT6_T7_P12ihipStream_tbENKUlT_T0_E_clISt17integral_constantIbLb1EES12_IbLb0EEEEDaSY_SZ_EUlSY_E_NS1_11comp_targetILNS1_3genE0ELNS1_11target_archE4294967295ELNS1_3gpuE0ELNS1_3repE0EEENS1_30default_config_static_selectorELNS0_4arch9wavefront6targetE0EEEvT1_.has_recursion, 0
	.set _ZN7rocprim17ROCPRIM_400000_NS6detail17trampoline_kernelINS0_14default_configENS1_27scan_by_key_config_selectorIj11FixedVectorIiLj4EEEEZZNS1_16scan_by_key_implILNS1_25lookback_scan_determinismE0ELb1ES3_N6thrust23THRUST_200600_302600_NS6detail15normal_iteratorINSB_10device_ptrIjEEEENSD_INSE_IS6_EEEESI_S6_NSB_4plusIvEENSB_8equal_toIvEES6_EE10hipError_tPvRmT2_T3_T4_T5_mT6_T7_P12ihipStream_tbENKUlT_T0_E_clISt17integral_constantIbLb1EES12_IbLb0EEEEDaSY_SZ_EUlSY_E_NS1_11comp_targetILNS1_3genE0ELNS1_11target_archE4294967295ELNS1_3gpuE0ELNS1_3repE0EEENS1_30default_config_static_selectorELNS0_4arch9wavefront6targetE0EEEvT1_.has_indirect_call, 0
	.section	.AMDGPU.csdata,"",@progbits
; Kernel info:
; codeLenInByte = 0
; TotalNumSgprs: 0
; NumVgprs: 0
; ScratchSize: 0
; MemoryBound: 0
; FloatMode: 240
; IeeeMode: 1
; LDSByteSize: 0 bytes/workgroup (compile time only)
; SGPRBlocks: 0
; VGPRBlocks: 0
; NumSGPRsForWavesPerEU: 1
; NumVGPRsForWavesPerEU: 1
; Occupancy: 16
; WaveLimiterHint : 0
; COMPUTE_PGM_RSRC2:SCRATCH_EN: 0
; COMPUTE_PGM_RSRC2:USER_SGPR: 6
; COMPUTE_PGM_RSRC2:TRAP_HANDLER: 0
; COMPUTE_PGM_RSRC2:TGID_X_EN: 1
; COMPUTE_PGM_RSRC2:TGID_Y_EN: 0
; COMPUTE_PGM_RSRC2:TGID_Z_EN: 0
; COMPUTE_PGM_RSRC2:TIDIG_COMP_CNT: 0
	.section	.text._ZN7rocprim17ROCPRIM_400000_NS6detail17trampoline_kernelINS0_14default_configENS1_27scan_by_key_config_selectorIj11FixedVectorIiLj4EEEEZZNS1_16scan_by_key_implILNS1_25lookback_scan_determinismE0ELb1ES3_N6thrust23THRUST_200600_302600_NS6detail15normal_iteratorINSB_10device_ptrIjEEEENSD_INSE_IS6_EEEESI_S6_NSB_4plusIvEENSB_8equal_toIvEES6_EE10hipError_tPvRmT2_T3_T4_T5_mT6_T7_P12ihipStream_tbENKUlT_T0_E_clISt17integral_constantIbLb1EES12_IbLb0EEEEDaSY_SZ_EUlSY_E_NS1_11comp_targetILNS1_3genE10ELNS1_11target_archE1201ELNS1_3gpuE5ELNS1_3repE0EEENS1_30default_config_static_selectorELNS0_4arch9wavefront6targetE0EEEvT1_,"axG",@progbits,_ZN7rocprim17ROCPRIM_400000_NS6detail17trampoline_kernelINS0_14default_configENS1_27scan_by_key_config_selectorIj11FixedVectorIiLj4EEEEZZNS1_16scan_by_key_implILNS1_25lookback_scan_determinismE0ELb1ES3_N6thrust23THRUST_200600_302600_NS6detail15normal_iteratorINSB_10device_ptrIjEEEENSD_INSE_IS6_EEEESI_S6_NSB_4plusIvEENSB_8equal_toIvEES6_EE10hipError_tPvRmT2_T3_T4_T5_mT6_T7_P12ihipStream_tbENKUlT_T0_E_clISt17integral_constantIbLb1EES12_IbLb0EEEEDaSY_SZ_EUlSY_E_NS1_11comp_targetILNS1_3genE10ELNS1_11target_archE1201ELNS1_3gpuE5ELNS1_3repE0EEENS1_30default_config_static_selectorELNS0_4arch9wavefront6targetE0EEEvT1_,comdat
	.protected	_ZN7rocprim17ROCPRIM_400000_NS6detail17trampoline_kernelINS0_14default_configENS1_27scan_by_key_config_selectorIj11FixedVectorIiLj4EEEEZZNS1_16scan_by_key_implILNS1_25lookback_scan_determinismE0ELb1ES3_N6thrust23THRUST_200600_302600_NS6detail15normal_iteratorINSB_10device_ptrIjEEEENSD_INSE_IS6_EEEESI_S6_NSB_4plusIvEENSB_8equal_toIvEES6_EE10hipError_tPvRmT2_T3_T4_T5_mT6_T7_P12ihipStream_tbENKUlT_T0_E_clISt17integral_constantIbLb1EES12_IbLb0EEEEDaSY_SZ_EUlSY_E_NS1_11comp_targetILNS1_3genE10ELNS1_11target_archE1201ELNS1_3gpuE5ELNS1_3repE0EEENS1_30default_config_static_selectorELNS0_4arch9wavefront6targetE0EEEvT1_ ; -- Begin function _ZN7rocprim17ROCPRIM_400000_NS6detail17trampoline_kernelINS0_14default_configENS1_27scan_by_key_config_selectorIj11FixedVectorIiLj4EEEEZZNS1_16scan_by_key_implILNS1_25lookback_scan_determinismE0ELb1ES3_N6thrust23THRUST_200600_302600_NS6detail15normal_iteratorINSB_10device_ptrIjEEEENSD_INSE_IS6_EEEESI_S6_NSB_4plusIvEENSB_8equal_toIvEES6_EE10hipError_tPvRmT2_T3_T4_T5_mT6_T7_P12ihipStream_tbENKUlT_T0_E_clISt17integral_constantIbLb1EES12_IbLb0EEEEDaSY_SZ_EUlSY_E_NS1_11comp_targetILNS1_3genE10ELNS1_11target_archE1201ELNS1_3gpuE5ELNS1_3repE0EEENS1_30default_config_static_selectorELNS0_4arch9wavefront6targetE0EEEvT1_
	.globl	_ZN7rocprim17ROCPRIM_400000_NS6detail17trampoline_kernelINS0_14default_configENS1_27scan_by_key_config_selectorIj11FixedVectorIiLj4EEEEZZNS1_16scan_by_key_implILNS1_25lookback_scan_determinismE0ELb1ES3_N6thrust23THRUST_200600_302600_NS6detail15normal_iteratorINSB_10device_ptrIjEEEENSD_INSE_IS6_EEEESI_S6_NSB_4plusIvEENSB_8equal_toIvEES6_EE10hipError_tPvRmT2_T3_T4_T5_mT6_T7_P12ihipStream_tbENKUlT_T0_E_clISt17integral_constantIbLb1EES12_IbLb0EEEEDaSY_SZ_EUlSY_E_NS1_11comp_targetILNS1_3genE10ELNS1_11target_archE1201ELNS1_3gpuE5ELNS1_3repE0EEENS1_30default_config_static_selectorELNS0_4arch9wavefront6targetE0EEEvT1_
	.p2align	8
	.type	_ZN7rocprim17ROCPRIM_400000_NS6detail17trampoline_kernelINS0_14default_configENS1_27scan_by_key_config_selectorIj11FixedVectorIiLj4EEEEZZNS1_16scan_by_key_implILNS1_25lookback_scan_determinismE0ELb1ES3_N6thrust23THRUST_200600_302600_NS6detail15normal_iteratorINSB_10device_ptrIjEEEENSD_INSE_IS6_EEEESI_S6_NSB_4plusIvEENSB_8equal_toIvEES6_EE10hipError_tPvRmT2_T3_T4_T5_mT6_T7_P12ihipStream_tbENKUlT_T0_E_clISt17integral_constantIbLb1EES12_IbLb0EEEEDaSY_SZ_EUlSY_E_NS1_11comp_targetILNS1_3genE10ELNS1_11target_archE1201ELNS1_3gpuE5ELNS1_3repE0EEENS1_30default_config_static_selectorELNS0_4arch9wavefront6targetE0EEEvT1_,@function
_ZN7rocprim17ROCPRIM_400000_NS6detail17trampoline_kernelINS0_14default_configENS1_27scan_by_key_config_selectorIj11FixedVectorIiLj4EEEEZZNS1_16scan_by_key_implILNS1_25lookback_scan_determinismE0ELb1ES3_N6thrust23THRUST_200600_302600_NS6detail15normal_iteratorINSB_10device_ptrIjEEEENSD_INSE_IS6_EEEESI_S6_NSB_4plusIvEENSB_8equal_toIvEES6_EE10hipError_tPvRmT2_T3_T4_T5_mT6_T7_P12ihipStream_tbENKUlT_T0_E_clISt17integral_constantIbLb1EES12_IbLb0EEEEDaSY_SZ_EUlSY_E_NS1_11comp_targetILNS1_3genE10ELNS1_11target_archE1201ELNS1_3gpuE5ELNS1_3repE0EEENS1_30default_config_static_selectorELNS0_4arch9wavefront6targetE0EEEvT1_: ; @_ZN7rocprim17ROCPRIM_400000_NS6detail17trampoline_kernelINS0_14default_configENS1_27scan_by_key_config_selectorIj11FixedVectorIiLj4EEEEZZNS1_16scan_by_key_implILNS1_25lookback_scan_determinismE0ELb1ES3_N6thrust23THRUST_200600_302600_NS6detail15normal_iteratorINSB_10device_ptrIjEEEENSD_INSE_IS6_EEEESI_S6_NSB_4plusIvEENSB_8equal_toIvEES6_EE10hipError_tPvRmT2_T3_T4_T5_mT6_T7_P12ihipStream_tbENKUlT_T0_E_clISt17integral_constantIbLb1EES12_IbLb0EEEEDaSY_SZ_EUlSY_E_NS1_11comp_targetILNS1_3genE10ELNS1_11target_archE1201ELNS1_3gpuE5ELNS1_3repE0EEENS1_30default_config_static_selectorELNS0_4arch9wavefront6targetE0EEEvT1_
; %bb.0:
	.section	.rodata,"a",@progbits
	.p2align	6, 0x0
	.amdhsa_kernel _ZN7rocprim17ROCPRIM_400000_NS6detail17trampoline_kernelINS0_14default_configENS1_27scan_by_key_config_selectorIj11FixedVectorIiLj4EEEEZZNS1_16scan_by_key_implILNS1_25lookback_scan_determinismE0ELb1ES3_N6thrust23THRUST_200600_302600_NS6detail15normal_iteratorINSB_10device_ptrIjEEEENSD_INSE_IS6_EEEESI_S6_NSB_4plusIvEENSB_8equal_toIvEES6_EE10hipError_tPvRmT2_T3_T4_T5_mT6_T7_P12ihipStream_tbENKUlT_T0_E_clISt17integral_constantIbLb1EES12_IbLb0EEEEDaSY_SZ_EUlSY_E_NS1_11comp_targetILNS1_3genE10ELNS1_11target_archE1201ELNS1_3gpuE5ELNS1_3repE0EEENS1_30default_config_static_selectorELNS0_4arch9wavefront6targetE0EEEvT1_
		.amdhsa_group_segment_fixed_size 0
		.amdhsa_private_segment_fixed_size 0
		.amdhsa_kernarg_size 144
		.amdhsa_user_sgpr_count 6
		.amdhsa_user_sgpr_private_segment_buffer 1
		.amdhsa_user_sgpr_dispatch_ptr 0
		.amdhsa_user_sgpr_queue_ptr 0
		.amdhsa_user_sgpr_kernarg_segment_ptr 1
		.amdhsa_user_sgpr_dispatch_id 0
		.amdhsa_user_sgpr_flat_scratch_init 0
		.amdhsa_user_sgpr_private_segment_size 0
		.amdhsa_wavefront_size32 1
		.amdhsa_uses_dynamic_stack 0
		.amdhsa_system_sgpr_private_segment_wavefront_offset 0
		.amdhsa_system_sgpr_workgroup_id_x 1
		.amdhsa_system_sgpr_workgroup_id_y 0
		.amdhsa_system_sgpr_workgroup_id_z 0
		.amdhsa_system_sgpr_workgroup_info 0
		.amdhsa_system_vgpr_workitem_id 0
		.amdhsa_next_free_vgpr 1
		.amdhsa_next_free_sgpr 1
		.amdhsa_reserve_vcc 0
		.amdhsa_reserve_flat_scratch 0
		.amdhsa_float_round_mode_32 0
		.amdhsa_float_round_mode_16_64 0
		.amdhsa_float_denorm_mode_32 3
		.amdhsa_float_denorm_mode_16_64 3
		.amdhsa_dx10_clamp 1
		.amdhsa_ieee_mode 1
		.amdhsa_fp16_overflow 0
		.amdhsa_workgroup_processor_mode 1
		.amdhsa_memory_ordered 1
		.amdhsa_forward_progress 1
		.amdhsa_shared_vgpr_count 0
		.amdhsa_exception_fp_ieee_invalid_op 0
		.amdhsa_exception_fp_denorm_src 0
		.amdhsa_exception_fp_ieee_div_zero 0
		.amdhsa_exception_fp_ieee_overflow 0
		.amdhsa_exception_fp_ieee_underflow 0
		.amdhsa_exception_fp_ieee_inexact 0
		.amdhsa_exception_int_div_zero 0
	.end_amdhsa_kernel
	.section	.text._ZN7rocprim17ROCPRIM_400000_NS6detail17trampoline_kernelINS0_14default_configENS1_27scan_by_key_config_selectorIj11FixedVectorIiLj4EEEEZZNS1_16scan_by_key_implILNS1_25lookback_scan_determinismE0ELb1ES3_N6thrust23THRUST_200600_302600_NS6detail15normal_iteratorINSB_10device_ptrIjEEEENSD_INSE_IS6_EEEESI_S6_NSB_4plusIvEENSB_8equal_toIvEES6_EE10hipError_tPvRmT2_T3_T4_T5_mT6_T7_P12ihipStream_tbENKUlT_T0_E_clISt17integral_constantIbLb1EES12_IbLb0EEEEDaSY_SZ_EUlSY_E_NS1_11comp_targetILNS1_3genE10ELNS1_11target_archE1201ELNS1_3gpuE5ELNS1_3repE0EEENS1_30default_config_static_selectorELNS0_4arch9wavefront6targetE0EEEvT1_,"axG",@progbits,_ZN7rocprim17ROCPRIM_400000_NS6detail17trampoline_kernelINS0_14default_configENS1_27scan_by_key_config_selectorIj11FixedVectorIiLj4EEEEZZNS1_16scan_by_key_implILNS1_25lookback_scan_determinismE0ELb1ES3_N6thrust23THRUST_200600_302600_NS6detail15normal_iteratorINSB_10device_ptrIjEEEENSD_INSE_IS6_EEEESI_S6_NSB_4plusIvEENSB_8equal_toIvEES6_EE10hipError_tPvRmT2_T3_T4_T5_mT6_T7_P12ihipStream_tbENKUlT_T0_E_clISt17integral_constantIbLb1EES12_IbLb0EEEEDaSY_SZ_EUlSY_E_NS1_11comp_targetILNS1_3genE10ELNS1_11target_archE1201ELNS1_3gpuE5ELNS1_3repE0EEENS1_30default_config_static_selectorELNS0_4arch9wavefront6targetE0EEEvT1_,comdat
.Lfunc_end2094:
	.size	_ZN7rocprim17ROCPRIM_400000_NS6detail17trampoline_kernelINS0_14default_configENS1_27scan_by_key_config_selectorIj11FixedVectorIiLj4EEEEZZNS1_16scan_by_key_implILNS1_25lookback_scan_determinismE0ELb1ES3_N6thrust23THRUST_200600_302600_NS6detail15normal_iteratorINSB_10device_ptrIjEEEENSD_INSE_IS6_EEEESI_S6_NSB_4plusIvEENSB_8equal_toIvEES6_EE10hipError_tPvRmT2_T3_T4_T5_mT6_T7_P12ihipStream_tbENKUlT_T0_E_clISt17integral_constantIbLb1EES12_IbLb0EEEEDaSY_SZ_EUlSY_E_NS1_11comp_targetILNS1_3genE10ELNS1_11target_archE1201ELNS1_3gpuE5ELNS1_3repE0EEENS1_30default_config_static_selectorELNS0_4arch9wavefront6targetE0EEEvT1_, .Lfunc_end2094-_ZN7rocprim17ROCPRIM_400000_NS6detail17trampoline_kernelINS0_14default_configENS1_27scan_by_key_config_selectorIj11FixedVectorIiLj4EEEEZZNS1_16scan_by_key_implILNS1_25lookback_scan_determinismE0ELb1ES3_N6thrust23THRUST_200600_302600_NS6detail15normal_iteratorINSB_10device_ptrIjEEEENSD_INSE_IS6_EEEESI_S6_NSB_4plusIvEENSB_8equal_toIvEES6_EE10hipError_tPvRmT2_T3_T4_T5_mT6_T7_P12ihipStream_tbENKUlT_T0_E_clISt17integral_constantIbLb1EES12_IbLb0EEEEDaSY_SZ_EUlSY_E_NS1_11comp_targetILNS1_3genE10ELNS1_11target_archE1201ELNS1_3gpuE5ELNS1_3repE0EEENS1_30default_config_static_selectorELNS0_4arch9wavefront6targetE0EEEvT1_
                                        ; -- End function
	.set _ZN7rocprim17ROCPRIM_400000_NS6detail17trampoline_kernelINS0_14default_configENS1_27scan_by_key_config_selectorIj11FixedVectorIiLj4EEEEZZNS1_16scan_by_key_implILNS1_25lookback_scan_determinismE0ELb1ES3_N6thrust23THRUST_200600_302600_NS6detail15normal_iteratorINSB_10device_ptrIjEEEENSD_INSE_IS6_EEEESI_S6_NSB_4plusIvEENSB_8equal_toIvEES6_EE10hipError_tPvRmT2_T3_T4_T5_mT6_T7_P12ihipStream_tbENKUlT_T0_E_clISt17integral_constantIbLb1EES12_IbLb0EEEEDaSY_SZ_EUlSY_E_NS1_11comp_targetILNS1_3genE10ELNS1_11target_archE1201ELNS1_3gpuE5ELNS1_3repE0EEENS1_30default_config_static_selectorELNS0_4arch9wavefront6targetE0EEEvT1_.num_vgpr, 0
	.set _ZN7rocprim17ROCPRIM_400000_NS6detail17trampoline_kernelINS0_14default_configENS1_27scan_by_key_config_selectorIj11FixedVectorIiLj4EEEEZZNS1_16scan_by_key_implILNS1_25lookback_scan_determinismE0ELb1ES3_N6thrust23THRUST_200600_302600_NS6detail15normal_iteratorINSB_10device_ptrIjEEEENSD_INSE_IS6_EEEESI_S6_NSB_4plusIvEENSB_8equal_toIvEES6_EE10hipError_tPvRmT2_T3_T4_T5_mT6_T7_P12ihipStream_tbENKUlT_T0_E_clISt17integral_constantIbLb1EES12_IbLb0EEEEDaSY_SZ_EUlSY_E_NS1_11comp_targetILNS1_3genE10ELNS1_11target_archE1201ELNS1_3gpuE5ELNS1_3repE0EEENS1_30default_config_static_selectorELNS0_4arch9wavefront6targetE0EEEvT1_.num_agpr, 0
	.set _ZN7rocprim17ROCPRIM_400000_NS6detail17trampoline_kernelINS0_14default_configENS1_27scan_by_key_config_selectorIj11FixedVectorIiLj4EEEEZZNS1_16scan_by_key_implILNS1_25lookback_scan_determinismE0ELb1ES3_N6thrust23THRUST_200600_302600_NS6detail15normal_iteratorINSB_10device_ptrIjEEEENSD_INSE_IS6_EEEESI_S6_NSB_4plusIvEENSB_8equal_toIvEES6_EE10hipError_tPvRmT2_T3_T4_T5_mT6_T7_P12ihipStream_tbENKUlT_T0_E_clISt17integral_constantIbLb1EES12_IbLb0EEEEDaSY_SZ_EUlSY_E_NS1_11comp_targetILNS1_3genE10ELNS1_11target_archE1201ELNS1_3gpuE5ELNS1_3repE0EEENS1_30default_config_static_selectorELNS0_4arch9wavefront6targetE0EEEvT1_.numbered_sgpr, 0
	.set _ZN7rocprim17ROCPRIM_400000_NS6detail17trampoline_kernelINS0_14default_configENS1_27scan_by_key_config_selectorIj11FixedVectorIiLj4EEEEZZNS1_16scan_by_key_implILNS1_25lookback_scan_determinismE0ELb1ES3_N6thrust23THRUST_200600_302600_NS6detail15normal_iteratorINSB_10device_ptrIjEEEENSD_INSE_IS6_EEEESI_S6_NSB_4plusIvEENSB_8equal_toIvEES6_EE10hipError_tPvRmT2_T3_T4_T5_mT6_T7_P12ihipStream_tbENKUlT_T0_E_clISt17integral_constantIbLb1EES12_IbLb0EEEEDaSY_SZ_EUlSY_E_NS1_11comp_targetILNS1_3genE10ELNS1_11target_archE1201ELNS1_3gpuE5ELNS1_3repE0EEENS1_30default_config_static_selectorELNS0_4arch9wavefront6targetE0EEEvT1_.num_named_barrier, 0
	.set _ZN7rocprim17ROCPRIM_400000_NS6detail17trampoline_kernelINS0_14default_configENS1_27scan_by_key_config_selectorIj11FixedVectorIiLj4EEEEZZNS1_16scan_by_key_implILNS1_25lookback_scan_determinismE0ELb1ES3_N6thrust23THRUST_200600_302600_NS6detail15normal_iteratorINSB_10device_ptrIjEEEENSD_INSE_IS6_EEEESI_S6_NSB_4plusIvEENSB_8equal_toIvEES6_EE10hipError_tPvRmT2_T3_T4_T5_mT6_T7_P12ihipStream_tbENKUlT_T0_E_clISt17integral_constantIbLb1EES12_IbLb0EEEEDaSY_SZ_EUlSY_E_NS1_11comp_targetILNS1_3genE10ELNS1_11target_archE1201ELNS1_3gpuE5ELNS1_3repE0EEENS1_30default_config_static_selectorELNS0_4arch9wavefront6targetE0EEEvT1_.private_seg_size, 0
	.set _ZN7rocprim17ROCPRIM_400000_NS6detail17trampoline_kernelINS0_14default_configENS1_27scan_by_key_config_selectorIj11FixedVectorIiLj4EEEEZZNS1_16scan_by_key_implILNS1_25lookback_scan_determinismE0ELb1ES3_N6thrust23THRUST_200600_302600_NS6detail15normal_iteratorINSB_10device_ptrIjEEEENSD_INSE_IS6_EEEESI_S6_NSB_4plusIvEENSB_8equal_toIvEES6_EE10hipError_tPvRmT2_T3_T4_T5_mT6_T7_P12ihipStream_tbENKUlT_T0_E_clISt17integral_constantIbLb1EES12_IbLb0EEEEDaSY_SZ_EUlSY_E_NS1_11comp_targetILNS1_3genE10ELNS1_11target_archE1201ELNS1_3gpuE5ELNS1_3repE0EEENS1_30default_config_static_selectorELNS0_4arch9wavefront6targetE0EEEvT1_.uses_vcc, 0
	.set _ZN7rocprim17ROCPRIM_400000_NS6detail17trampoline_kernelINS0_14default_configENS1_27scan_by_key_config_selectorIj11FixedVectorIiLj4EEEEZZNS1_16scan_by_key_implILNS1_25lookback_scan_determinismE0ELb1ES3_N6thrust23THRUST_200600_302600_NS6detail15normal_iteratorINSB_10device_ptrIjEEEENSD_INSE_IS6_EEEESI_S6_NSB_4plusIvEENSB_8equal_toIvEES6_EE10hipError_tPvRmT2_T3_T4_T5_mT6_T7_P12ihipStream_tbENKUlT_T0_E_clISt17integral_constantIbLb1EES12_IbLb0EEEEDaSY_SZ_EUlSY_E_NS1_11comp_targetILNS1_3genE10ELNS1_11target_archE1201ELNS1_3gpuE5ELNS1_3repE0EEENS1_30default_config_static_selectorELNS0_4arch9wavefront6targetE0EEEvT1_.uses_flat_scratch, 0
	.set _ZN7rocprim17ROCPRIM_400000_NS6detail17trampoline_kernelINS0_14default_configENS1_27scan_by_key_config_selectorIj11FixedVectorIiLj4EEEEZZNS1_16scan_by_key_implILNS1_25lookback_scan_determinismE0ELb1ES3_N6thrust23THRUST_200600_302600_NS6detail15normal_iteratorINSB_10device_ptrIjEEEENSD_INSE_IS6_EEEESI_S6_NSB_4plusIvEENSB_8equal_toIvEES6_EE10hipError_tPvRmT2_T3_T4_T5_mT6_T7_P12ihipStream_tbENKUlT_T0_E_clISt17integral_constantIbLb1EES12_IbLb0EEEEDaSY_SZ_EUlSY_E_NS1_11comp_targetILNS1_3genE10ELNS1_11target_archE1201ELNS1_3gpuE5ELNS1_3repE0EEENS1_30default_config_static_selectorELNS0_4arch9wavefront6targetE0EEEvT1_.has_dyn_sized_stack, 0
	.set _ZN7rocprim17ROCPRIM_400000_NS6detail17trampoline_kernelINS0_14default_configENS1_27scan_by_key_config_selectorIj11FixedVectorIiLj4EEEEZZNS1_16scan_by_key_implILNS1_25lookback_scan_determinismE0ELb1ES3_N6thrust23THRUST_200600_302600_NS6detail15normal_iteratorINSB_10device_ptrIjEEEENSD_INSE_IS6_EEEESI_S6_NSB_4plusIvEENSB_8equal_toIvEES6_EE10hipError_tPvRmT2_T3_T4_T5_mT6_T7_P12ihipStream_tbENKUlT_T0_E_clISt17integral_constantIbLb1EES12_IbLb0EEEEDaSY_SZ_EUlSY_E_NS1_11comp_targetILNS1_3genE10ELNS1_11target_archE1201ELNS1_3gpuE5ELNS1_3repE0EEENS1_30default_config_static_selectorELNS0_4arch9wavefront6targetE0EEEvT1_.has_recursion, 0
	.set _ZN7rocprim17ROCPRIM_400000_NS6detail17trampoline_kernelINS0_14default_configENS1_27scan_by_key_config_selectorIj11FixedVectorIiLj4EEEEZZNS1_16scan_by_key_implILNS1_25lookback_scan_determinismE0ELb1ES3_N6thrust23THRUST_200600_302600_NS6detail15normal_iteratorINSB_10device_ptrIjEEEENSD_INSE_IS6_EEEESI_S6_NSB_4plusIvEENSB_8equal_toIvEES6_EE10hipError_tPvRmT2_T3_T4_T5_mT6_T7_P12ihipStream_tbENKUlT_T0_E_clISt17integral_constantIbLb1EES12_IbLb0EEEEDaSY_SZ_EUlSY_E_NS1_11comp_targetILNS1_3genE10ELNS1_11target_archE1201ELNS1_3gpuE5ELNS1_3repE0EEENS1_30default_config_static_selectorELNS0_4arch9wavefront6targetE0EEEvT1_.has_indirect_call, 0
	.section	.AMDGPU.csdata,"",@progbits
; Kernel info:
; codeLenInByte = 0
; TotalNumSgprs: 0
; NumVgprs: 0
; ScratchSize: 0
; MemoryBound: 0
; FloatMode: 240
; IeeeMode: 1
; LDSByteSize: 0 bytes/workgroup (compile time only)
; SGPRBlocks: 0
; VGPRBlocks: 0
; NumSGPRsForWavesPerEU: 1
; NumVGPRsForWavesPerEU: 1
; Occupancy: 16
; WaveLimiterHint : 0
; COMPUTE_PGM_RSRC2:SCRATCH_EN: 0
; COMPUTE_PGM_RSRC2:USER_SGPR: 6
; COMPUTE_PGM_RSRC2:TRAP_HANDLER: 0
; COMPUTE_PGM_RSRC2:TGID_X_EN: 1
; COMPUTE_PGM_RSRC2:TGID_Y_EN: 0
; COMPUTE_PGM_RSRC2:TGID_Z_EN: 0
; COMPUTE_PGM_RSRC2:TIDIG_COMP_CNT: 0
	.section	.text._ZN7rocprim17ROCPRIM_400000_NS6detail17trampoline_kernelINS0_14default_configENS1_27scan_by_key_config_selectorIj11FixedVectorIiLj4EEEEZZNS1_16scan_by_key_implILNS1_25lookback_scan_determinismE0ELb1ES3_N6thrust23THRUST_200600_302600_NS6detail15normal_iteratorINSB_10device_ptrIjEEEENSD_INSE_IS6_EEEESI_S6_NSB_4plusIvEENSB_8equal_toIvEES6_EE10hipError_tPvRmT2_T3_T4_T5_mT6_T7_P12ihipStream_tbENKUlT_T0_E_clISt17integral_constantIbLb1EES12_IbLb0EEEEDaSY_SZ_EUlSY_E_NS1_11comp_targetILNS1_3genE5ELNS1_11target_archE942ELNS1_3gpuE9ELNS1_3repE0EEENS1_30default_config_static_selectorELNS0_4arch9wavefront6targetE0EEEvT1_,"axG",@progbits,_ZN7rocprim17ROCPRIM_400000_NS6detail17trampoline_kernelINS0_14default_configENS1_27scan_by_key_config_selectorIj11FixedVectorIiLj4EEEEZZNS1_16scan_by_key_implILNS1_25lookback_scan_determinismE0ELb1ES3_N6thrust23THRUST_200600_302600_NS6detail15normal_iteratorINSB_10device_ptrIjEEEENSD_INSE_IS6_EEEESI_S6_NSB_4plusIvEENSB_8equal_toIvEES6_EE10hipError_tPvRmT2_T3_T4_T5_mT6_T7_P12ihipStream_tbENKUlT_T0_E_clISt17integral_constantIbLb1EES12_IbLb0EEEEDaSY_SZ_EUlSY_E_NS1_11comp_targetILNS1_3genE5ELNS1_11target_archE942ELNS1_3gpuE9ELNS1_3repE0EEENS1_30default_config_static_selectorELNS0_4arch9wavefront6targetE0EEEvT1_,comdat
	.protected	_ZN7rocprim17ROCPRIM_400000_NS6detail17trampoline_kernelINS0_14default_configENS1_27scan_by_key_config_selectorIj11FixedVectorIiLj4EEEEZZNS1_16scan_by_key_implILNS1_25lookback_scan_determinismE0ELb1ES3_N6thrust23THRUST_200600_302600_NS6detail15normal_iteratorINSB_10device_ptrIjEEEENSD_INSE_IS6_EEEESI_S6_NSB_4plusIvEENSB_8equal_toIvEES6_EE10hipError_tPvRmT2_T3_T4_T5_mT6_T7_P12ihipStream_tbENKUlT_T0_E_clISt17integral_constantIbLb1EES12_IbLb0EEEEDaSY_SZ_EUlSY_E_NS1_11comp_targetILNS1_3genE5ELNS1_11target_archE942ELNS1_3gpuE9ELNS1_3repE0EEENS1_30default_config_static_selectorELNS0_4arch9wavefront6targetE0EEEvT1_ ; -- Begin function _ZN7rocprim17ROCPRIM_400000_NS6detail17trampoline_kernelINS0_14default_configENS1_27scan_by_key_config_selectorIj11FixedVectorIiLj4EEEEZZNS1_16scan_by_key_implILNS1_25lookback_scan_determinismE0ELb1ES3_N6thrust23THRUST_200600_302600_NS6detail15normal_iteratorINSB_10device_ptrIjEEEENSD_INSE_IS6_EEEESI_S6_NSB_4plusIvEENSB_8equal_toIvEES6_EE10hipError_tPvRmT2_T3_T4_T5_mT6_T7_P12ihipStream_tbENKUlT_T0_E_clISt17integral_constantIbLb1EES12_IbLb0EEEEDaSY_SZ_EUlSY_E_NS1_11comp_targetILNS1_3genE5ELNS1_11target_archE942ELNS1_3gpuE9ELNS1_3repE0EEENS1_30default_config_static_selectorELNS0_4arch9wavefront6targetE0EEEvT1_
	.globl	_ZN7rocprim17ROCPRIM_400000_NS6detail17trampoline_kernelINS0_14default_configENS1_27scan_by_key_config_selectorIj11FixedVectorIiLj4EEEEZZNS1_16scan_by_key_implILNS1_25lookback_scan_determinismE0ELb1ES3_N6thrust23THRUST_200600_302600_NS6detail15normal_iteratorINSB_10device_ptrIjEEEENSD_INSE_IS6_EEEESI_S6_NSB_4plusIvEENSB_8equal_toIvEES6_EE10hipError_tPvRmT2_T3_T4_T5_mT6_T7_P12ihipStream_tbENKUlT_T0_E_clISt17integral_constantIbLb1EES12_IbLb0EEEEDaSY_SZ_EUlSY_E_NS1_11comp_targetILNS1_3genE5ELNS1_11target_archE942ELNS1_3gpuE9ELNS1_3repE0EEENS1_30default_config_static_selectorELNS0_4arch9wavefront6targetE0EEEvT1_
	.p2align	8
	.type	_ZN7rocprim17ROCPRIM_400000_NS6detail17trampoline_kernelINS0_14default_configENS1_27scan_by_key_config_selectorIj11FixedVectorIiLj4EEEEZZNS1_16scan_by_key_implILNS1_25lookback_scan_determinismE0ELb1ES3_N6thrust23THRUST_200600_302600_NS6detail15normal_iteratorINSB_10device_ptrIjEEEENSD_INSE_IS6_EEEESI_S6_NSB_4plusIvEENSB_8equal_toIvEES6_EE10hipError_tPvRmT2_T3_T4_T5_mT6_T7_P12ihipStream_tbENKUlT_T0_E_clISt17integral_constantIbLb1EES12_IbLb0EEEEDaSY_SZ_EUlSY_E_NS1_11comp_targetILNS1_3genE5ELNS1_11target_archE942ELNS1_3gpuE9ELNS1_3repE0EEENS1_30default_config_static_selectorELNS0_4arch9wavefront6targetE0EEEvT1_,@function
_ZN7rocprim17ROCPRIM_400000_NS6detail17trampoline_kernelINS0_14default_configENS1_27scan_by_key_config_selectorIj11FixedVectorIiLj4EEEEZZNS1_16scan_by_key_implILNS1_25lookback_scan_determinismE0ELb1ES3_N6thrust23THRUST_200600_302600_NS6detail15normal_iteratorINSB_10device_ptrIjEEEENSD_INSE_IS6_EEEESI_S6_NSB_4plusIvEENSB_8equal_toIvEES6_EE10hipError_tPvRmT2_T3_T4_T5_mT6_T7_P12ihipStream_tbENKUlT_T0_E_clISt17integral_constantIbLb1EES12_IbLb0EEEEDaSY_SZ_EUlSY_E_NS1_11comp_targetILNS1_3genE5ELNS1_11target_archE942ELNS1_3gpuE9ELNS1_3repE0EEENS1_30default_config_static_selectorELNS0_4arch9wavefront6targetE0EEEvT1_: ; @_ZN7rocprim17ROCPRIM_400000_NS6detail17trampoline_kernelINS0_14default_configENS1_27scan_by_key_config_selectorIj11FixedVectorIiLj4EEEEZZNS1_16scan_by_key_implILNS1_25lookback_scan_determinismE0ELb1ES3_N6thrust23THRUST_200600_302600_NS6detail15normal_iteratorINSB_10device_ptrIjEEEENSD_INSE_IS6_EEEESI_S6_NSB_4plusIvEENSB_8equal_toIvEES6_EE10hipError_tPvRmT2_T3_T4_T5_mT6_T7_P12ihipStream_tbENKUlT_T0_E_clISt17integral_constantIbLb1EES12_IbLb0EEEEDaSY_SZ_EUlSY_E_NS1_11comp_targetILNS1_3genE5ELNS1_11target_archE942ELNS1_3gpuE9ELNS1_3repE0EEENS1_30default_config_static_selectorELNS0_4arch9wavefront6targetE0EEEvT1_
; %bb.0:
	.section	.rodata,"a",@progbits
	.p2align	6, 0x0
	.amdhsa_kernel _ZN7rocprim17ROCPRIM_400000_NS6detail17trampoline_kernelINS0_14default_configENS1_27scan_by_key_config_selectorIj11FixedVectorIiLj4EEEEZZNS1_16scan_by_key_implILNS1_25lookback_scan_determinismE0ELb1ES3_N6thrust23THRUST_200600_302600_NS6detail15normal_iteratorINSB_10device_ptrIjEEEENSD_INSE_IS6_EEEESI_S6_NSB_4plusIvEENSB_8equal_toIvEES6_EE10hipError_tPvRmT2_T3_T4_T5_mT6_T7_P12ihipStream_tbENKUlT_T0_E_clISt17integral_constantIbLb1EES12_IbLb0EEEEDaSY_SZ_EUlSY_E_NS1_11comp_targetILNS1_3genE5ELNS1_11target_archE942ELNS1_3gpuE9ELNS1_3repE0EEENS1_30default_config_static_selectorELNS0_4arch9wavefront6targetE0EEEvT1_
		.amdhsa_group_segment_fixed_size 0
		.amdhsa_private_segment_fixed_size 0
		.amdhsa_kernarg_size 144
		.amdhsa_user_sgpr_count 6
		.amdhsa_user_sgpr_private_segment_buffer 1
		.amdhsa_user_sgpr_dispatch_ptr 0
		.amdhsa_user_sgpr_queue_ptr 0
		.amdhsa_user_sgpr_kernarg_segment_ptr 1
		.amdhsa_user_sgpr_dispatch_id 0
		.amdhsa_user_sgpr_flat_scratch_init 0
		.amdhsa_user_sgpr_private_segment_size 0
		.amdhsa_wavefront_size32 1
		.amdhsa_uses_dynamic_stack 0
		.amdhsa_system_sgpr_private_segment_wavefront_offset 0
		.amdhsa_system_sgpr_workgroup_id_x 1
		.amdhsa_system_sgpr_workgroup_id_y 0
		.amdhsa_system_sgpr_workgroup_id_z 0
		.amdhsa_system_sgpr_workgroup_info 0
		.amdhsa_system_vgpr_workitem_id 0
		.amdhsa_next_free_vgpr 1
		.amdhsa_next_free_sgpr 1
		.amdhsa_reserve_vcc 0
		.amdhsa_reserve_flat_scratch 0
		.amdhsa_float_round_mode_32 0
		.amdhsa_float_round_mode_16_64 0
		.amdhsa_float_denorm_mode_32 3
		.amdhsa_float_denorm_mode_16_64 3
		.amdhsa_dx10_clamp 1
		.amdhsa_ieee_mode 1
		.amdhsa_fp16_overflow 0
		.amdhsa_workgroup_processor_mode 1
		.amdhsa_memory_ordered 1
		.amdhsa_forward_progress 1
		.amdhsa_shared_vgpr_count 0
		.amdhsa_exception_fp_ieee_invalid_op 0
		.amdhsa_exception_fp_denorm_src 0
		.amdhsa_exception_fp_ieee_div_zero 0
		.amdhsa_exception_fp_ieee_overflow 0
		.amdhsa_exception_fp_ieee_underflow 0
		.amdhsa_exception_fp_ieee_inexact 0
		.amdhsa_exception_int_div_zero 0
	.end_amdhsa_kernel
	.section	.text._ZN7rocprim17ROCPRIM_400000_NS6detail17trampoline_kernelINS0_14default_configENS1_27scan_by_key_config_selectorIj11FixedVectorIiLj4EEEEZZNS1_16scan_by_key_implILNS1_25lookback_scan_determinismE0ELb1ES3_N6thrust23THRUST_200600_302600_NS6detail15normal_iteratorINSB_10device_ptrIjEEEENSD_INSE_IS6_EEEESI_S6_NSB_4plusIvEENSB_8equal_toIvEES6_EE10hipError_tPvRmT2_T3_T4_T5_mT6_T7_P12ihipStream_tbENKUlT_T0_E_clISt17integral_constantIbLb1EES12_IbLb0EEEEDaSY_SZ_EUlSY_E_NS1_11comp_targetILNS1_3genE5ELNS1_11target_archE942ELNS1_3gpuE9ELNS1_3repE0EEENS1_30default_config_static_selectorELNS0_4arch9wavefront6targetE0EEEvT1_,"axG",@progbits,_ZN7rocprim17ROCPRIM_400000_NS6detail17trampoline_kernelINS0_14default_configENS1_27scan_by_key_config_selectorIj11FixedVectorIiLj4EEEEZZNS1_16scan_by_key_implILNS1_25lookback_scan_determinismE0ELb1ES3_N6thrust23THRUST_200600_302600_NS6detail15normal_iteratorINSB_10device_ptrIjEEEENSD_INSE_IS6_EEEESI_S6_NSB_4plusIvEENSB_8equal_toIvEES6_EE10hipError_tPvRmT2_T3_T4_T5_mT6_T7_P12ihipStream_tbENKUlT_T0_E_clISt17integral_constantIbLb1EES12_IbLb0EEEEDaSY_SZ_EUlSY_E_NS1_11comp_targetILNS1_3genE5ELNS1_11target_archE942ELNS1_3gpuE9ELNS1_3repE0EEENS1_30default_config_static_selectorELNS0_4arch9wavefront6targetE0EEEvT1_,comdat
.Lfunc_end2095:
	.size	_ZN7rocprim17ROCPRIM_400000_NS6detail17trampoline_kernelINS0_14default_configENS1_27scan_by_key_config_selectorIj11FixedVectorIiLj4EEEEZZNS1_16scan_by_key_implILNS1_25lookback_scan_determinismE0ELb1ES3_N6thrust23THRUST_200600_302600_NS6detail15normal_iteratorINSB_10device_ptrIjEEEENSD_INSE_IS6_EEEESI_S6_NSB_4plusIvEENSB_8equal_toIvEES6_EE10hipError_tPvRmT2_T3_T4_T5_mT6_T7_P12ihipStream_tbENKUlT_T0_E_clISt17integral_constantIbLb1EES12_IbLb0EEEEDaSY_SZ_EUlSY_E_NS1_11comp_targetILNS1_3genE5ELNS1_11target_archE942ELNS1_3gpuE9ELNS1_3repE0EEENS1_30default_config_static_selectorELNS0_4arch9wavefront6targetE0EEEvT1_, .Lfunc_end2095-_ZN7rocprim17ROCPRIM_400000_NS6detail17trampoline_kernelINS0_14default_configENS1_27scan_by_key_config_selectorIj11FixedVectorIiLj4EEEEZZNS1_16scan_by_key_implILNS1_25lookback_scan_determinismE0ELb1ES3_N6thrust23THRUST_200600_302600_NS6detail15normal_iteratorINSB_10device_ptrIjEEEENSD_INSE_IS6_EEEESI_S6_NSB_4plusIvEENSB_8equal_toIvEES6_EE10hipError_tPvRmT2_T3_T4_T5_mT6_T7_P12ihipStream_tbENKUlT_T0_E_clISt17integral_constantIbLb1EES12_IbLb0EEEEDaSY_SZ_EUlSY_E_NS1_11comp_targetILNS1_3genE5ELNS1_11target_archE942ELNS1_3gpuE9ELNS1_3repE0EEENS1_30default_config_static_selectorELNS0_4arch9wavefront6targetE0EEEvT1_
                                        ; -- End function
	.set _ZN7rocprim17ROCPRIM_400000_NS6detail17trampoline_kernelINS0_14default_configENS1_27scan_by_key_config_selectorIj11FixedVectorIiLj4EEEEZZNS1_16scan_by_key_implILNS1_25lookback_scan_determinismE0ELb1ES3_N6thrust23THRUST_200600_302600_NS6detail15normal_iteratorINSB_10device_ptrIjEEEENSD_INSE_IS6_EEEESI_S6_NSB_4plusIvEENSB_8equal_toIvEES6_EE10hipError_tPvRmT2_T3_T4_T5_mT6_T7_P12ihipStream_tbENKUlT_T0_E_clISt17integral_constantIbLb1EES12_IbLb0EEEEDaSY_SZ_EUlSY_E_NS1_11comp_targetILNS1_3genE5ELNS1_11target_archE942ELNS1_3gpuE9ELNS1_3repE0EEENS1_30default_config_static_selectorELNS0_4arch9wavefront6targetE0EEEvT1_.num_vgpr, 0
	.set _ZN7rocprim17ROCPRIM_400000_NS6detail17trampoline_kernelINS0_14default_configENS1_27scan_by_key_config_selectorIj11FixedVectorIiLj4EEEEZZNS1_16scan_by_key_implILNS1_25lookback_scan_determinismE0ELb1ES3_N6thrust23THRUST_200600_302600_NS6detail15normal_iteratorINSB_10device_ptrIjEEEENSD_INSE_IS6_EEEESI_S6_NSB_4plusIvEENSB_8equal_toIvEES6_EE10hipError_tPvRmT2_T3_T4_T5_mT6_T7_P12ihipStream_tbENKUlT_T0_E_clISt17integral_constantIbLb1EES12_IbLb0EEEEDaSY_SZ_EUlSY_E_NS1_11comp_targetILNS1_3genE5ELNS1_11target_archE942ELNS1_3gpuE9ELNS1_3repE0EEENS1_30default_config_static_selectorELNS0_4arch9wavefront6targetE0EEEvT1_.num_agpr, 0
	.set _ZN7rocprim17ROCPRIM_400000_NS6detail17trampoline_kernelINS0_14default_configENS1_27scan_by_key_config_selectorIj11FixedVectorIiLj4EEEEZZNS1_16scan_by_key_implILNS1_25lookback_scan_determinismE0ELb1ES3_N6thrust23THRUST_200600_302600_NS6detail15normal_iteratorINSB_10device_ptrIjEEEENSD_INSE_IS6_EEEESI_S6_NSB_4plusIvEENSB_8equal_toIvEES6_EE10hipError_tPvRmT2_T3_T4_T5_mT6_T7_P12ihipStream_tbENKUlT_T0_E_clISt17integral_constantIbLb1EES12_IbLb0EEEEDaSY_SZ_EUlSY_E_NS1_11comp_targetILNS1_3genE5ELNS1_11target_archE942ELNS1_3gpuE9ELNS1_3repE0EEENS1_30default_config_static_selectorELNS0_4arch9wavefront6targetE0EEEvT1_.numbered_sgpr, 0
	.set _ZN7rocprim17ROCPRIM_400000_NS6detail17trampoline_kernelINS0_14default_configENS1_27scan_by_key_config_selectorIj11FixedVectorIiLj4EEEEZZNS1_16scan_by_key_implILNS1_25lookback_scan_determinismE0ELb1ES3_N6thrust23THRUST_200600_302600_NS6detail15normal_iteratorINSB_10device_ptrIjEEEENSD_INSE_IS6_EEEESI_S6_NSB_4plusIvEENSB_8equal_toIvEES6_EE10hipError_tPvRmT2_T3_T4_T5_mT6_T7_P12ihipStream_tbENKUlT_T0_E_clISt17integral_constantIbLb1EES12_IbLb0EEEEDaSY_SZ_EUlSY_E_NS1_11comp_targetILNS1_3genE5ELNS1_11target_archE942ELNS1_3gpuE9ELNS1_3repE0EEENS1_30default_config_static_selectorELNS0_4arch9wavefront6targetE0EEEvT1_.num_named_barrier, 0
	.set _ZN7rocprim17ROCPRIM_400000_NS6detail17trampoline_kernelINS0_14default_configENS1_27scan_by_key_config_selectorIj11FixedVectorIiLj4EEEEZZNS1_16scan_by_key_implILNS1_25lookback_scan_determinismE0ELb1ES3_N6thrust23THRUST_200600_302600_NS6detail15normal_iteratorINSB_10device_ptrIjEEEENSD_INSE_IS6_EEEESI_S6_NSB_4plusIvEENSB_8equal_toIvEES6_EE10hipError_tPvRmT2_T3_T4_T5_mT6_T7_P12ihipStream_tbENKUlT_T0_E_clISt17integral_constantIbLb1EES12_IbLb0EEEEDaSY_SZ_EUlSY_E_NS1_11comp_targetILNS1_3genE5ELNS1_11target_archE942ELNS1_3gpuE9ELNS1_3repE0EEENS1_30default_config_static_selectorELNS0_4arch9wavefront6targetE0EEEvT1_.private_seg_size, 0
	.set _ZN7rocprim17ROCPRIM_400000_NS6detail17trampoline_kernelINS0_14default_configENS1_27scan_by_key_config_selectorIj11FixedVectorIiLj4EEEEZZNS1_16scan_by_key_implILNS1_25lookback_scan_determinismE0ELb1ES3_N6thrust23THRUST_200600_302600_NS6detail15normal_iteratorINSB_10device_ptrIjEEEENSD_INSE_IS6_EEEESI_S6_NSB_4plusIvEENSB_8equal_toIvEES6_EE10hipError_tPvRmT2_T3_T4_T5_mT6_T7_P12ihipStream_tbENKUlT_T0_E_clISt17integral_constantIbLb1EES12_IbLb0EEEEDaSY_SZ_EUlSY_E_NS1_11comp_targetILNS1_3genE5ELNS1_11target_archE942ELNS1_3gpuE9ELNS1_3repE0EEENS1_30default_config_static_selectorELNS0_4arch9wavefront6targetE0EEEvT1_.uses_vcc, 0
	.set _ZN7rocprim17ROCPRIM_400000_NS6detail17trampoline_kernelINS0_14default_configENS1_27scan_by_key_config_selectorIj11FixedVectorIiLj4EEEEZZNS1_16scan_by_key_implILNS1_25lookback_scan_determinismE0ELb1ES3_N6thrust23THRUST_200600_302600_NS6detail15normal_iteratorINSB_10device_ptrIjEEEENSD_INSE_IS6_EEEESI_S6_NSB_4plusIvEENSB_8equal_toIvEES6_EE10hipError_tPvRmT2_T3_T4_T5_mT6_T7_P12ihipStream_tbENKUlT_T0_E_clISt17integral_constantIbLb1EES12_IbLb0EEEEDaSY_SZ_EUlSY_E_NS1_11comp_targetILNS1_3genE5ELNS1_11target_archE942ELNS1_3gpuE9ELNS1_3repE0EEENS1_30default_config_static_selectorELNS0_4arch9wavefront6targetE0EEEvT1_.uses_flat_scratch, 0
	.set _ZN7rocprim17ROCPRIM_400000_NS6detail17trampoline_kernelINS0_14default_configENS1_27scan_by_key_config_selectorIj11FixedVectorIiLj4EEEEZZNS1_16scan_by_key_implILNS1_25lookback_scan_determinismE0ELb1ES3_N6thrust23THRUST_200600_302600_NS6detail15normal_iteratorINSB_10device_ptrIjEEEENSD_INSE_IS6_EEEESI_S6_NSB_4plusIvEENSB_8equal_toIvEES6_EE10hipError_tPvRmT2_T3_T4_T5_mT6_T7_P12ihipStream_tbENKUlT_T0_E_clISt17integral_constantIbLb1EES12_IbLb0EEEEDaSY_SZ_EUlSY_E_NS1_11comp_targetILNS1_3genE5ELNS1_11target_archE942ELNS1_3gpuE9ELNS1_3repE0EEENS1_30default_config_static_selectorELNS0_4arch9wavefront6targetE0EEEvT1_.has_dyn_sized_stack, 0
	.set _ZN7rocprim17ROCPRIM_400000_NS6detail17trampoline_kernelINS0_14default_configENS1_27scan_by_key_config_selectorIj11FixedVectorIiLj4EEEEZZNS1_16scan_by_key_implILNS1_25lookback_scan_determinismE0ELb1ES3_N6thrust23THRUST_200600_302600_NS6detail15normal_iteratorINSB_10device_ptrIjEEEENSD_INSE_IS6_EEEESI_S6_NSB_4plusIvEENSB_8equal_toIvEES6_EE10hipError_tPvRmT2_T3_T4_T5_mT6_T7_P12ihipStream_tbENKUlT_T0_E_clISt17integral_constantIbLb1EES12_IbLb0EEEEDaSY_SZ_EUlSY_E_NS1_11comp_targetILNS1_3genE5ELNS1_11target_archE942ELNS1_3gpuE9ELNS1_3repE0EEENS1_30default_config_static_selectorELNS0_4arch9wavefront6targetE0EEEvT1_.has_recursion, 0
	.set _ZN7rocprim17ROCPRIM_400000_NS6detail17trampoline_kernelINS0_14default_configENS1_27scan_by_key_config_selectorIj11FixedVectorIiLj4EEEEZZNS1_16scan_by_key_implILNS1_25lookback_scan_determinismE0ELb1ES3_N6thrust23THRUST_200600_302600_NS6detail15normal_iteratorINSB_10device_ptrIjEEEENSD_INSE_IS6_EEEESI_S6_NSB_4plusIvEENSB_8equal_toIvEES6_EE10hipError_tPvRmT2_T3_T4_T5_mT6_T7_P12ihipStream_tbENKUlT_T0_E_clISt17integral_constantIbLb1EES12_IbLb0EEEEDaSY_SZ_EUlSY_E_NS1_11comp_targetILNS1_3genE5ELNS1_11target_archE942ELNS1_3gpuE9ELNS1_3repE0EEENS1_30default_config_static_selectorELNS0_4arch9wavefront6targetE0EEEvT1_.has_indirect_call, 0
	.section	.AMDGPU.csdata,"",@progbits
; Kernel info:
; codeLenInByte = 0
; TotalNumSgprs: 0
; NumVgprs: 0
; ScratchSize: 0
; MemoryBound: 0
; FloatMode: 240
; IeeeMode: 1
; LDSByteSize: 0 bytes/workgroup (compile time only)
; SGPRBlocks: 0
; VGPRBlocks: 0
; NumSGPRsForWavesPerEU: 1
; NumVGPRsForWavesPerEU: 1
; Occupancy: 16
; WaveLimiterHint : 0
; COMPUTE_PGM_RSRC2:SCRATCH_EN: 0
; COMPUTE_PGM_RSRC2:USER_SGPR: 6
; COMPUTE_PGM_RSRC2:TRAP_HANDLER: 0
; COMPUTE_PGM_RSRC2:TGID_X_EN: 1
; COMPUTE_PGM_RSRC2:TGID_Y_EN: 0
; COMPUTE_PGM_RSRC2:TGID_Z_EN: 0
; COMPUTE_PGM_RSRC2:TIDIG_COMP_CNT: 0
	.section	.text._ZN7rocprim17ROCPRIM_400000_NS6detail17trampoline_kernelINS0_14default_configENS1_27scan_by_key_config_selectorIj11FixedVectorIiLj4EEEEZZNS1_16scan_by_key_implILNS1_25lookback_scan_determinismE0ELb1ES3_N6thrust23THRUST_200600_302600_NS6detail15normal_iteratorINSB_10device_ptrIjEEEENSD_INSE_IS6_EEEESI_S6_NSB_4plusIvEENSB_8equal_toIvEES6_EE10hipError_tPvRmT2_T3_T4_T5_mT6_T7_P12ihipStream_tbENKUlT_T0_E_clISt17integral_constantIbLb1EES12_IbLb0EEEEDaSY_SZ_EUlSY_E_NS1_11comp_targetILNS1_3genE4ELNS1_11target_archE910ELNS1_3gpuE8ELNS1_3repE0EEENS1_30default_config_static_selectorELNS0_4arch9wavefront6targetE0EEEvT1_,"axG",@progbits,_ZN7rocprim17ROCPRIM_400000_NS6detail17trampoline_kernelINS0_14default_configENS1_27scan_by_key_config_selectorIj11FixedVectorIiLj4EEEEZZNS1_16scan_by_key_implILNS1_25lookback_scan_determinismE0ELb1ES3_N6thrust23THRUST_200600_302600_NS6detail15normal_iteratorINSB_10device_ptrIjEEEENSD_INSE_IS6_EEEESI_S6_NSB_4plusIvEENSB_8equal_toIvEES6_EE10hipError_tPvRmT2_T3_T4_T5_mT6_T7_P12ihipStream_tbENKUlT_T0_E_clISt17integral_constantIbLb1EES12_IbLb0EEEEDaSY_SZ_EUlSY_E_NS1_11comp_targetILNS1_3genE4ELNS1_11target_archE910ELNS1_3gpuE8ELNS1_3repE0EEENS1_30default_config_static_selectorELNS0_4arch9wavefront6targetE0EEEvT1_,comdat
	.protected	_ZN7rocprim17ROCPRIM_400000_NS6detail17trampoline_kernelINS0_14default_configENS1_27scan_by_key_config_selectorIj11FixedVectorIiLj4EEEEZZNS1_16scan_by_key_implILNS1_25lookback_scan_determinismE0ELb1ES3_N6thrust23THRUST_200600_302600_NS6detail15normal_iteratorINSB_10device_ptrIjEEEENSD_INSE_IS6_EEEESI_S6_NSB_4plusIvEENSB_8equal_toIvEES6_EE10hipError_tPvRmT2_T3_T4_T5_mT6_T7_P12ihipStream_tbENKUlT_T0_E_clISt17integral_constantIbLb1EES12_IbLb0EEEEDaSY_SZ_EUlSY_E_NS1_11comp_targetILNS1_3genE4ELNS1_11target_archE910ELNS1_3gpuE8ELNS1_3repE0EEENS1_30default_config_static_selectorELNS0_4arch9wavefront6targetE0EEEvT1_ ; -- Begin function _ZN7rocprim17ROCPRIM_400000_NS6detail17trampoline_kernelINS0_14default_configENS1_27scan_by_key_config_selectorIj11FixedVectorIiLj4EEEEZZNS1_16scan_by_key_implILNS1_25lookback_scan_determinismE0ELb1ES3_N6thrust23THRUST_200600_302600_NS6detail15normal_iteratorINSB_10device_ptrIjEEEENSD_INSE_IS6_EEEESI_S6_NSB_4plusIvEENSB_8equal_toIvEES6_EE10hipError_tPvRmT2_T3_T4_T5_mT6_T7_P12ihipStream_tbENKUlT_T0_E_clISt17integral_constantIbLb1EES12_IbLb0EEEEDaSY_SZ_EUlSY_E_NS1_11comp_targetILNS1_3genE4ELNS1_11target_archE910ELNS1_3gpuE8ELNS1_3repE0EEENS1_30default_config_static_selectorELNS0_4arch9wavefront6targetE0EEEvT1_
	.globl	_ZN7rocprim17ROCPRIM_400000_NS6detail17trampoline_kernelINS0_14default_configENS1_27scan_by_key_config_selectorIj11FixedVectorIiLj4EEEEZZNS1_16scan_by_key_implILNS1_25lookback_scan_determinismE0ELb1ES3_N6thrust23THRUST_200600_302600_NS6detail15normal_iteratorINSB_10device_ptrIjEEEENSD_INSE_IS6_EEEESI_S6_NSB_4plusIvEENSB_8equal_toIvEES6_EE10hipError_tPvRmT2_T3_T4_T5_mT6_T7_P12ihipStream_tbENKUlT_T0_E_clISt17integral_constantIbLb1EES12_IbLb0EEEEDaSY_SZ_EUlSY_E_NS1_11comp_targetILNS1_3genE4ELNS1_11target_archE910ELNS1_3gpuE8ELNS1_3repE0EEENS1_30default_config_static_selectorELNS0_4arch9wavefront6targetE0EEEvT1_
	.p2align	8
	.type	_ZN7rocprim17ROCPRIM_400000_NS6detail17trampoline_kernelINS0_14default_configENS1_27scan_by_key_config_selectorIj11FixedVectorIiLj4EEEEZZNS1_16scan_by_key_implILNS1_25lookback_scan_determinismE0ELb1ES3_N6thrust23THRUST_200600_302600_NS6detail15normal_iteratorINSB_10device_ptrIjEEEENSD_INSE_IS6_EEEESI_S6_NSB_4plusIvEENSB_8equal_toIvEES6_EE10hipError_tPvRmT2_T3_T4_T5_mT6_T7_P12ihipStream_tbENKUlT_T0_E_clISt17integral_constantIbLb1EES12_IbLb0EEEEDaSY_SZ_EUlSY_E_NS1_11comp_targetILNS1_3genE4ELNS1_11target_archE910ELNS1_3gpuE8ELNS1_3repE0EEENS1_30default_config_static_selectorELNS0_4arch9wavefront6targetE0EEEvT1_,@function
_ZN7rocprim17ROCPRIM_400000_NS6detail17trampoline_kernelINS0_14default_configENS1_27scan_by_key_config_selectorIj11FixedVectorIiLj4EEEEZZNS1_16scan_by_key_implILNS1_25lookback_scan_determinismE0ELb1ES3_N6thrust23THRUST_200600_302600_NS6detail15normal_iteratorINSB_10device_ptrIjEEEENSD_INSE_IS6_EEEESI_S6_NSB_4plusIvEENSB_8equal_toIvEES6_EE10hipError_tPvRmT2_T3_T4_T5_mT6_T7_P12ihipStream_tbENKUlT_T0_E_clISt17integral_constantIbLb1EES12_IbLb0EEEEDaSY_SZ_EUlSY_E_NS1_11comp_targetILNS1_3genE4ELNS1_11target_archE910ELNS1_3gpuE8ELNS1_3repE0EEENS1_30default_config_static_selectorELNS0_4arch9wavefront6targetE0EEEvT1_: ; @_ZN7rocprim17ROCPRIM_400000_NS6detail17trampoline_kernelINS0_14default_configENS1_27scan_by_key_config_selectorIj11FixedVectorIiLj4EEEEZZNS1_16scan_by_key_implILNS1_25lookback_scan_determinismE0ELb1ES3_N6thrust23THRUST_200600_302600_NS6detail15normal_iteratorINSB_10device_ptrIjEEEENSD_INSE_IS6_EEEESI_S6_NSB_4plusIvEENSB_8equal_toIvEES6_EE10hipError_tPvRmT2_T3_T4_T5_mT6_T7_P12ihipStream_tbENKUlT_T0_E_clISt17integral_constantIbLb1EES12_IbLb0EEEEDaSY_SZ_EUlSY_E_NS1_11comp_targetILNS1_3genE4ELNS1_11target_archE910ELNS1_3gpuE8ELNS1_3repE0EEENS1_30default_config_static_selectorELNS0_4arch9wavefront6targetE0EEEvT1_
; %bb.0:
	.section	.rodata,"a",@progbits
	.p2align	6, 0x0
	.amdhsa_kernel _ZN7rocprim17ROCPRIM_400000_NS6detail17trampoline_kernelINS0_14default_configENS1_27scan_by_key_config_selectorIj11FixedVectorIiLj4EEEEZZNS1_16scan_by_key_implILNS1_25lookback_scan_determinismE0ELb1ES3_N6thrust23THRUST_200600_302600_NS6detail15normal_iteratorINSB_10device_ptrIjEEEENSD_INSE_IS6_EEEESI_S6_NSB_4plusIvEENSB_8equal_toIvEES6_EE10hipError_tPvRmT2_T3_T4_T5_mT6_T7_P12ihipStream_tbENKUlT_T0_E_clISt17integral_constantIbLb1EES12_IbLb0EEEEDaSY_SZ_EUlSY_E_NS1_11comp_targetILNS1_3genE4ELNS1_11target_archE910ELNS1_3gpuE8ELNS1_3repE0EEENS1_30default_config_static_selectorELNS0_4arch9wavefront6targetE0EEEvT1_
		.amdhsa_group_segment_fixed_size 0
		.amdhsa_private_segment_fixed_size 0
		.amdhsa_kernarg_size 144
		.amdhsa_user_sgpr_count 6
		.amdhsa_user_sgpr_private_segment_buffer 1
		.amdhsa_user_sgpr_dispatch_ptr 0
		.amdhsa_user_sgpr_queue_ptr 0
		.amdhsa_user_sgpr_kernarg_segment_ptr 1
		.amdhsa_user_sgpr_dispatch_id 0
		.amdhsa_user_sgpr_flat_scratch_init 0
		.amdhsa_user_sgpr_private_segment_size 0
		.amdhsa_wavefront_size32 1
		.amdhsa_uses_dynamic_stack 0
		.amdhsa_system_sgpr_private_segment_wavefront_offset 0
		.amdhsa_system_sgpr_workgroup_id_x 1
		.amdhsa_system_sgpr_workgroup_id_y 0
		.amdhsa_system_sgpr_workgroup_id_z 0
		.amdhsa_system_sgpr_workgroup_info 0
		.amdhsa_system_vgpr_workitem_id 0
		.amdhsa_next_free_vgpr 1
		.amdhsa_next_free_sgpr 1
		.amdhsa_reserve_vcc 0
		.amdhsa_reserve_flat_scratch 0
		.amdhsa_float_round_mode_32 0
		.amdhsa_float_round_mode_16_64 0
		.amdhsa_float_denorm_mode_32 3
		.amdhsa_float_denorm_mode_16_64 3
		.amdhsa_dx10_clamp 1
		.amdhsa_ieee_mode 1
		.amdhsa_fp16_overflow 0
		.amdhsa_workgroup_processor_mode 1
		.amdhsa_memory_ordered 1
		.amdhsa_forward_progress 1
		.amdhsa_shared_vgpr_count 0
		.amdhsa_exception_fp_ieee_invalid_op 0
		.amdhsa_exception_fp_denorm_src 0
		.amdhsa_exception_fp_ieee_div_zero 0
		.amdhsa_exception_fp_ieee_overflow 0
		.amdhsa_exception_fp_ieee_underflow 0
		.amdhsa_exception_fp_ieee_inexact 0
		.amdhsa_exception_int_div_zero 0
	.end_amdhsa_kernel
	.section	.text._ZN7rocprim17ROCPRIM_400000_NS6detail17trampoline_kernelINS0_14default_configENS1_27scan_by_key_config_selectorIj11FixedVectorIiLj4EEEEZZNS1_16scan_by_key_implILNS1_25lookback_scan_determinismE0ELb1ES3_N6thrust23THRUST_200600_302600_NS6detail15normal_iteratorINSB_10device_ptrIjEEEENSD_INSE_IS6_EEEESI_S6_NSB_4plusIvEENSB_8equal_toIvEES6_EE10hipError_tPvRmT2_T3_T4_T5_mT6_T7_P12ihipStream_tbENKUlT_T0_E_clISt17integral_constantIbLb1EES12_IbLb0EEEEDaSY_SZ_EUlSY_E_NS1_11comp_targetILNS1_3genE4ELNS1_11target_archE910ELNS1_3gpuE8ELNS1_3repE0EEENS1_30default_config_static_selectorELNS0_4arch9wavefront6targetE0EEEvT1_,"axG",@progbits,_ZN7rocprim17ROCPRIM_400000_NS6detail17trampoline_kernelINS0_14default_configENS1_27scan_by_key_config_selectorIj11FixedVectorIiLj4EEEEZZNS1_16scan_by_key_implILNS1_25lookback_scan_determinismE0ELb1ES3_N6thrust23THRUST_200600_302600_NS6detail15normal_iteratorINSB_10device_ptrIjEEEENSD_INSE_IS6_EEEESI_S6_NSB_4plusIvEENSB_8equal_toIvEES6_EE10hipError_tPvRmT2_T3_T4_T5_mT6_T7_P12ihipStream_tbENKUlT_T0_E_clISt17integral_constantIbLb1EES12_IbLb0EEEEDaSY_SZ_EUlSY_E_NS1_11comp_targetILNS1_3genE4ELNS1_11target_archE910ELNS1_3gpuE8ELNS1_3repE0EEENS1_30default_config_static_selectorELNS0_4arch9wavefront6targetE0EEEvT1_,comdat
.Lfunc_end2096:
	.size	_ZN7rocprim17ROCPRIM_400000_NS6detail17trampoline_kernelINS0_14default_configENS1_27scan_by_key_config_selectorIj11FixedVectorIiLj4EEEEZZNS1_16scan_by_key_implILNS1_25lookback_scan_determinismE0ELb1ES3_N6thrust23THRUST_200600_302600_NS6detail15normal_iteratorINSB_10device_ptrIjEEEENSD_INSE_IS6_EEEESI_S6_NSB_4plusIvEENSB_8equal_toIvEES6_EE10hipError_tPvRmT2_T3_T4_T5_mT6_T7_P12ihipStream_tbENKUlT_T0_E_clISt17integral_constantIbLb1EES12_IbLb0EEEEDaSY_SZ_EUlSY_E_NS1_11comp_targetILNS1_3genE4ELNS1_11target_archE910ELNS1_3gpuE8ELNS1_3repE0EEENS1_30default_config_static_selectorELNS0_4arch9wavefront6targetE0EEEvT1_, .Lfunc_end2096-_ZN7rocprim17ROCPRIM_400000_NS6detail17trampoline_kernelINS0_14default_configENS1_27scan_by_key_config_selectorIj11FixedVectorIiLj4EEEEZZNS1_16scan_by_key_implILNS1_25lookback_scan_determinismE0ELb1ES3_N6thrust23THRUST_200600_302600_NS6detail15normal_iteratorINSB_10device_ptrIjEEEENSD_INSE_IS6_EEEESI_S6_NSB_4plusIvEENSB_8equal_toIvEES6_EE10hipError_tPvRmT2_T3_T4_T5_mT6_T7_P12ihipStream_tbENKUlT_T0_E_clISt17integral_constantIbLb1EES12_IbLb0EEEEDaSY_SZ_EUlSY_E_NS1_11comp_targetILNS1_3genE4ELNS1_11target_archE910ELNS1_3gpuE8ELNS1_3repE0EEENS1_30default_config_static_selectorELNS0_4arch9wavefront6targetE0EEEvT1_
                                        ; -- End function
	.set _ZN7rocprim17ROCPRIM_400000_NS6detail17trampoline_kernelINS0_14default_configENS1_27scan_by_key_config_selectorIj11FixedVectorIiLj4EEEEZZNS1_16scan_by_key_implILNS1_25lookback_scan_determinismE0ELb1ES3_N6thrust23THRUST_200600_302600_NS6detail15normal_iteratorINSB_10device_ptrIjEEEENSD_INSE_IS6_EEEESI_S6_NSB_4plusIvEENSB_8equal_toIvEES6_EE10hipError_tPvRmT2_T3_T4_T5_mT6_T7_P12ihipStream_tbENKUlT_T0_E_clISt17integral_constantIbLb1EES12_IbLb0EEEEDaSY_SZ_EUlSY_E_NS1_11comp_targetILNS1_3genE4ELNS1_11target_archE910ELNS1_3gpuE8ELNS1_3repE0EEENS1_30default_config_static_selectorELNS0_4arch9wavefront6targetE0EEEvT1_.num_vgpr, 0
	.set _ZN7rocprim17ROCPRIM_400000_NS6detail17trampoline_kernelINS0_14default_configENS1_27scan_by_key_config_selectorIj11FixedVectorIiLj4EEEEZZNS1_16scan_by_key_implILNS1_25lookback_scan_determinismE0ELb1ES3_N6thrust23THRUST_200600_302600_NS6detail15normal_iteratorINSB_10device_ptrIjEEEENSD_INSE_IS6_EEEESI_S6_NSB_4plusIvEENSB_8equal_toIvEES6_EE10hipError_tPvRmT2_T3_T4_T5_mT6_T7_P12ihipStream_tbENKUlT_T0_E_clISt17integral_constantIbLb1EES12_IbLb0EEEEDaSY_SZ_EUlSY_E_NS1_11comp_targetILNS1_3genE4ELNS1_11target_archE910ELNS1_3gpuE8ELNS1_3repE0EEENS1_30default_config_static_selectorELNS0_4arch9wavefront6targetE0EEEvT1_.num_agpr, 0
	.set _ZN7rocprim17ROCPRIM_400000_NS6detail17trampoline_kernelINS0_14default_configENS1_27scan_by_key_config_selectorIj11FixedVectorIiLj4EEEEZZNS1_16scan_by_key_implILNS1_25lookback_scan_determinismE0ELb1ES3_N6thrust23THRUST_200600_302600_NS6detail15normal_iteratorINSB_10device_ptrIjEEEENSD_INSE_IS6_EEEESI_S6_NSB_4plusIvEENSB_8equal_toIvEES6_EE10hipError_tPvRmT2_T3_T4_T5_mT6_T7_P12ihipStream_tbENKUlT_T0_E_clISt17integral_constantIbLb1EES12_IbLb0EEEEDaSY_SZ_EUlSY_E_NS1_11comp_targetILNS1_3genE4ELNS1_11target_archE910ELNS1_3gpuE8ELNS1_3repE0EEENS1_30default_config_static_selectorELNS0_4arch9wavefront6targetE0EEEvT1_.numbered_sgpr, 0
	.set _ZN7rocprim17ROCPRIM_400000_NS6detail17trampoline_kernelINS0_14default_configENS1_27scan_by_key_config_selectorIj11FixedVectorIiLj4EEEEZZNS1_16scan_by_key_implILNS1_25lookback_scan_determinismE0ELb1ES3_N6thrust23THRUST_200600_302600_NS6detail15normal_iteratorINSB_10device_ptrIjEEEENSD_INSE_IS6_EEEESI_S6_NSB_4plusIvEENSB_8equal_toIvEES6_EE10hipError_tPvRmT2_T3_T4_T5_mT6_T7_P12ihipStream_tbENKUlT_T0_E_clISt17integral_constantIbLb1EES12_IbLb0EEEEDaSY_SZ_EUlSY_E_NS1_11comp_targetILNS1_3genE4ELNS1_11target_archE910ELNS1_3gpuE8ELNS1_3repE0EEENS1_30default_config_static_selectorELNS0_4arch9wavefront6targetE0EEEvT1_.num_named_barrier, 0
	.set _ZN7rocprim17ROCPRIM_400000_NS6detail17trampoline_kernelINS0_14default_configENS1_27scan_by_key_config_selectorIj11FixedVectorIiLj4EEEEZZNS1_16scan_by_key_implILNS1_25lookback_scan_determinismE0ELb1ES3_N6thrust23THRUST_200600_302600_NS6detail15normal_iteratorINSB_10device_ptrIjEEEENSD_INSE_IS6_EEEESI_S6_NSB_4plusIvEENSB_8equal_toIvEES6_EE10hipError_tPvRmT2_T3_T4_T5_mT6_T7_P12ihipStream_tbENKUlT_T0_E_clISt17integral_constantIbLb1EES12_IbLb0EEEEDaSY_SZ_EUlSY_E_NS1_11comp_targetILNS1_3genE4ELNS1_11target_archE910ELNS1_3gpuE8ELNS1_3repE0EEENS1_30default_config_static_selectorELNS0_4arch9wavefront6targetE0EEEvT1_.private_seg_size, 0
	.set _ZN7rocprim17ROCPRIM_400000_NS6detail17trampoline_kernelINS0_14default_configENS1_27scan_by_key_config_selectorIj11FixedVectorIiLj4EEEEZZNS1_16scan_by_key_implILNS1_25lookback_scan_determinismE0ELb1ES3_N6thrust23THRUST_200600_302600_NS6detail15normal_iteratorINSB_10device_ptrIjEEEENSD_INSE_IS6_EEEESI_S6_NSB_4plusIvEENSB_8equal_toIvEES6_EE10hipError_tPvRmT2_T3_T4_T5_mT6_T7_P12ihipStream_tbENKUlT_T0_E_clISt17integral_constantIbLb1EES12_IbLb0EEEEDaSY_SZ_EUlSY_E_NS1_11comp_targetILNS1_3genE4ELNS1_11target_archE910ELNS1_3gpuE8ELNS1_3repE0EEENS1_30default_config_static_selectorELNS0_4arch9wavefront6targetE0EEEvT1_.uses_vcc, 0
	.set _ZN7rocprim17ROCPRIM_400000_NS6detail17trampoline_kernelINS0_14default_configENS1_27scan_by_key_config_selectorIj11FixedVectorIiLj4EEEEZZNS1_16scan_by_key_implILNS1_25lookback_scan_determinismE0ELb1ES3_N6thrust23THRUST_200600_302600_NS6detail15normal_iteratorINSB_10device_ptrIjEEEENSD_INSE_IS6_EEEESI_S6_NSB_4plusIvEENSB_8equal_toIvEES6_EE10hipError_tPvRmT2_T3_T4_T5_mT6_T7_P12ihipStream_tbENKUlT_T0_E_clISt17integral_constantIbLb1EES12_IbLb0EEEEDaSY_SZ_EUlSY_E_NS1_11comp_targetILNS1_3genE4ELNS1_11target_archE910ELNS1_3gpuE8ELNS1_3repE0EEENS1_30default_config_static_selectorELNS0_4arch9wavefront6targetE0EEEvT1_.uses_flat_scratch, 0
	.set _ZN7rocprim17ROCPRIM_400000_NS6detail17trampoline_kernelINS0_14default_configENS1_27scan_by_key_config_selectorIj11FixedVectorIiLj4EEEEZZNS1_16scan_by_key_implILNS1_25lookback_scan_determinismE0ELb1ES3_N6thrust23THRUST_200600_302600_NS6detail15normal_iteratorINSB_10device_ptrIjEEEENSD_INSE_IS6_EEEESI_S6_NSB_4plusIvEENSB_8equal_toIvEES6_EE10hipError_tPvRmT2_T3_T4_T5_mT6_T7_P12ihipStream_tbENKUlT_T0_E_clISt17integral_constantIbLb1EES12_IbLb0EEEEDaSY_SZ_EUlSY_E_NS1_11comp_targetILNS1_3genE4ELNS1_11target_archE910ELNS1_3gpuE8ELNS1_3repE0EEENS1_30default_config_static_selectorELNS0_4arch9wavefront6targetE0EEEvT1_.has_dyn_sized_stack, 0
	.set _ZN7rocprim17ROCPRIM_400000_NS6detail17trampoline_kernelINS0_14default_configENS1_27scan_by_key_config_selectorIj11FixedVectorIiLj4EEEEZZNS1_16scan_by_key_implILNS1_25lookback_scan_determinismE0ELb1ES3_N6thrust23THRUST_200600_302600_NS6detail15normal_iteratorINSB_10device_ptrIjEEEENSD_INSE_IS6_EEEESI_S6_NSB_4plusIvEENSB_8equal_toIvEES6_EE10hipError_tPvRmT2_T3_T4_T5_mT6_T7_P12ihipStream_tbENKUlT_T0_E_clISt17integral_constantIbLb1EES12_IbLb0EEEEDaSY_SZ_EUlSY_E_NS1_11comp_targetILNS1_3genE4ELNS1_11target_archE910ELNS1_3gpuE8ELNS1_3repE0EEENS1_30default_config_static_selectorELNS0_4arch9wavefront6targetE0EEEvT1_.has_recursion, 0
	.set _ZN7rocprim17ROCPRIM_400000_NS6detail17trampoline_kernelINS0_14default_configENS1_27scan_by_key_config_selectorIj11FixedVectorIiLj4EEEEZZNS1_16scan_by_key_implILNS1_25lookback_scan_determinismE0ELb1ES3_N6thrust23THRUST_200600_302600_NS6detail15normal_iteratorINSB_10device_ptrIjEEEENSD_INSE_IS6_EEEESI_S6_NSB_4plusIvEENSB_8equal_toIvEES6_EE10hipError_tPvRmT2_T3_T4_T5_mT6_T7_P12ihipStream_tbENKUlT_T0_E_clISt17integral_constantIbLb1EES12_IbLb0EEEEDaSY_SZ_EUlSY_E_NS1_11comp_targetILNS1_3genE4ELNS1_11target_archE910ELNS1_3gpuE8ELNS1_3repE0EEENS1_30default_config_static_selectorELNS0_4arch9wavefront6targetE0EEEvT1_.has_indirect_call, 0
	.section	.AMDGPU.csdata,"",@progbits
; Kernel info:
; codeLenInByte = 0
; TotalNumSgprs: 0
; NumVgprs: 0
; ScratchSize: 0
; MemoryBound: 0
; FloatMode: 240
; IeeeMode: 1
; LDSByteSize: 0 bytes/workgroup (compile time only)
; SGPRBlocks: 0
; VGPRBlocks: 0
; NumSGPRsForWavesPerEU: 1
; NumVGPRsForWavesPerEU: 1
; Occupancy: 16
; WaveLimiterHint : 0
; COMPUTE_PGM_RSRC2:SCRATCH_EN: 0
; COMPUTE_PGM_RSRC2:USER_SGPR: 6
; COMPUTE_PGM_RSRC2:TRAP_HANDLER: 0
; COMPUTE_PGM_RSRC2:TGID_X_EN: 1
; COMPUTE_PGM_RSRC2:TGID_Y_EN: 0
; COMPUTE_PGM_RSRC2:TGID_Z_EN: 0
; COMPUTE_PGM_RSRC2:TIDIG_COMP_CNT: 0
	.section	.text._ZN7rocprim17ROCPRIM_400000_NS6detail17trampoline_kernelINS0_14default_configENS1_27scan_by_key_config_selectorIj11FixedVectorIiLj4EEEEZZNS1_16scan_by_key_implILNS1_25lookback_scan_determinismE0ELb1ES3_N6thrust23THRUST_200600_302600_NS6detail15normal_iteratorINSB_10device_ptrIjEEEENSD_INSE_IS6_EEEESI_S6_NSB_4plusIvEENSB_8equal_toIvEES6_EE10hipError_tPvRmT2_T3_T4_T5_mT6_T7_P12ihipStream_tbENKUlT_T0_E_clISt17integral_constantIbLb1EES12_IbLb0EEEEDaSY_SZ_EUlSY_E_NS1_11comp_targetILNS1_3genE3ELNS1_11target_archE908ELNS1_3gpuE7ELNS1_3repE0EEENS1_30default_config_static_selectorELNS0_4arch9wavefront6targetE0EEEvT1_,"axG",@progbits,_ZN7rocprim17ROCPRIM_400000_NS6detail17trampoline_kernelINS0_14default_configENS1_27scan_by_key_config_selectorIj11FixedVectorIiLj4EEEEZZNS1_16scan_by_key_implILNS1_25lookback_scan_determinismE0ELb1ES3_N6thrust23THRUST_200600_302600_NS6detail15normal_iteratorINSB_10device_ptrIjEEEENSD_INSE_IS6_EEEESI_S6_NSB_4plusIvEENSB_8equal_toIvEES6_EE10hipError_tPvRmT2_T3_T4_T5_mT6_T7_P12ihipStream_tbENKUlT_T0_E_clISt17integral_constantIbLb1EES12_IbLb0EEEEDaSY_SZ_EUlSY_E_NS1_11comp_targetILNS1_3genE3ELNS1_11target_archE908ELNS1_3gpuE7ELNS1_3repE0EEENS1_30default_config_static_selectorELNS0_4arch9wavefront6targetE0EEEvT1_,comdat
	.protected	_ZN7rocprim17ROCPRIM_400000_NS6detail17trampoline_kernelINS0_14default_configENS1_27scan_by_key_config_selectorIj11FixedVectorIiLj4EEEEZZNS1_16scan_by_key_implILNS1_25lookback_scan_determinismE0ELb1ES3_N6thrust23THRUST_200600_302600_NS6detail15normal_iteratorINSB_10device_ptrIjEEEENSD_INSE_IS6_EEEESI_S6_NSB_4plusIvEENSB_8equal_toIvEES6_EE10hipError_tPvRmT2_T3_T4_T5_mT6_T7_P12ihipStream_tbENKUlT_T0_E_clISt17integral_constantIbLb1EES12_IbLb0EEEEDaSY_SZ_EUlSY_E_NS1_11comp_targetILNS1_3genE3ELNS1_11target_archE908ELNS1_3gpuE7ELNS1_3repE0EEENS1_30default_config_static_selectorELNS0_4arch9wavefront6targetE0EEEvT1_ ; -- Begin function _ZN7rocprim17ROCPRIM_400000_NS6detail17trampoline_kernelINS0_14default_configENS1_27scan_by_key_config_selectorIj11FixedVectorIiLj4EEEEZZNS1_16scan_by_key_implILNS1_25lookback_scan_determinismE0ELb1ES3_N6thrust23THRUST_200600_302600_NS6detail15normal_iteratorINSB_10device_ptrIjEEEENSD_INSE_IS6_EEEESI_S6_NSB_4plusIvEENSB_8equal_toIvEES6_EE10hipError_tPvRmT2_T3_T4_T5_mT6_T7_P12ihipStream_tbENKUlT_T0_E_clISt17integral_constantIbLb1EES12_IbLb0EEEEDaSY_SZ_EUlSY_E_NS1_11comp_targetILNS1_3genE3ELNS1_11target_archE908ELNS1_3gpuE7ELNS1_3repE0EEENS1_30default_config_static_selectorELNS0_4arch9wavefront6targetE0EEEvT1_
	.globl	_ZN7rocprim17ROCPRIM_400000_NS6detail17trampoline_kernelINS0_14default_configENS1_27scan_by_key_config_selectorIj11FixedVectorIiLj4EEEEZZNS1_16scan_by_key_implILNS1_25lookback_scan_determinismE0ELb1ES3_N6thrust23THRUST_200600_302600_NS6detail15normal_iteratorINSB_10device_ptrIjEEEENSD_INSE_IS6_EEEESI_S6_NSB_4plusIvEENSB_8equal_toIvEES6_EE10hipError_tPvRmT2_T3_T4_T5_mT6_T7_P12ihipStream_tbENKUlT_T0_E_clISt17integral_constantIbLb1EES12_IbLb0EEEEDaSY_SZ_EUlSY_E_NS1_11comp_targetILNS1_3genE3ELNS1_11target_archE908ELNS1_3gpuE7ELNS1_3repE0EEENS1_30default_config_static_selectorELNS0_4arch9wavefront6targetE0EEEvT1_
	.p2align	8
	.type	_ZN7rocprim17ROCPRIM_400000_NS6detail17trampoline_kernelINS0_14default_configENS1_27scan_by_key_config_selectorIj11FixedVectorIiLj4EEEEZZNS1_16scan_by_key_implILNS1_25lookback_scan_determinismE0ELb1ES3_N6thrust23THRUST_200600_302600_NS6detail15normal_iteratorINSB_10device_ptrIjEEEENSD_INSE_IS6_EEEESI_S6_NSB_4plusIvEENSB_8equal_toIvEES6_EE10hipError_tPvRmT2_T3_T4_T5_mT6_T7_P12ihipStream_tbENKUlT_T0_E_clISt17integral_constantIbLb1EES12_IbLb0EEEEDaSY_SZ_EUlSY_E_NS1_11comp_targetILNS1_3genE3ELNS1_11target_archE908ELNS1_3gpuE7ELNS1_3repE0EEENS1_30default_config_static_selectorELNS0_4arch9wavefront6targetE0EEEvT1_,@function
_ZN7rocprim17ROCPRIM_400000_NS6detail17trampoline_kernelINS0_14default_configENS1_27scan_by_key_config_selectorIj11FixedVectorIiLj4EEEEZZNS1_16scan_by_key_implILNS1_25lookback_scan_determinismE0ELb1ES3_N6thrust23THRUST_200600_302600_NS6detail15normal_iteratorINSB_10device_ptrIjEEEENSD_INSE_IS6_EEEESI_S6_NSB_4plusIvEENSB_8equal_toIvEES6_EE10hipError_tPvRmT2_T3_T4_T5_mT6_T7_P12ihipStream_tbENKUlT_T0_E_clISt17integral_constantIbLb1EES12_IbLb0EEEEDaSY_SZ_EUlSY_E_NS1_11comp_targetILNS1_3genE3ELNS1_11target_archE908ELNS1_3gpuE7ELNS1_3repE0EEENS1_30default_config_static_selectorELNS0_4arch9wavefront6targetE0EEEvT1_: ; @_ZN7rocprim17ROCPRIM_400000_NS6detail17trampoline_kernelINS0_14default_configENS1_27scan_by_key_config_selectorIj11FixedVectorIiLj4EEEEZZNS1_16scan_by_key_implILNS1_25lookback_scan_determinismE0ELb1ES3_N6thrust23THRUST_200600_302600_NS6detail15normal_iteratorINSB_10device_ptrIjEEEENSD_INSE_IS6_EEEESI_S6_NSB_4plusIvEENSB_8equal_toIvEES6_EE10hipError_tPvRmT2_T3_T4_T5_mT6_T7_P12ihipStream_tbENKUlT_T0_E_clISt17integral_constantIbLb1EES12_IbLb0EEEEDaSY_SZ_EUlSY_E_NS1_11comp_targetILNS1_3genE3ELNS1_11target_archE908ELNS1_3gpuE7ELNS1_3repE0EEENS1_30default_config_static_selectorELNS0_4arch9wavefront6targetE0EEEvT1_
; %bb.0:
	.section	.rodata,"a",@progbits
	.p2align	6, 0x0
	.amdhsa_kernel _ZN7rocprim17ROCPRIM_400000_NS6detail17trampoline_kernelINS0_14default_configENS1_27scan_by_key_config_selectorIj11FixedVectorIiLj4EEEEZZNS1_16scan_by_key_implILNS1_25lookback_scan_determinismE0ELb1ES3_N6thrust23THRUST_200600_302600_NS6detail15normal_iteratorINSB_10device_ptrIjEEEENSD_INSE_IS6_EEEESI_S6_NSB_4plusIvEENSB_8equal_toIvEES6_EE10hipError_tPvRmT2_T3_T4_T5_mT6_T7_P12ihipStream_tbENKUlT_T0_E_clISt17integral_constantIbLb1EES12_IbLb0EEEEDaSY_SZ_EUlSY_E_NS1_11comp_targetILNS1_3genE3ELNS1_11target_archE908ELNS1_3gpuE7ELNS1_3repE0EEENS1_30default_config_static_selectorELNS0_4arch9wavefront6targetE0EEEvT1_
		.amdhsa_group_segment_fixed_size 0
		.amdhsa_private_segment_fixed_size 0
		.amdhsa_kernarg_size 144
		.amdhsa_user_sgpr_count 6
		.amdhsa_user_sgpr_private_segment_buffer 1
		.amdhsa_user_sgpr_dispatch_ptr 0
		.amdhsa_user_sgpr_queue_ptr 0
		.amdhsa_user_sgpr_kernarg_segment_ptr 1
		.amdhsa_user_sgpr_dispatch_id 0
		.amdhsa_user_sgpr_flat_scratch_init 0
		.amdhsa_user_sgpr_private_segment_size 0
		.amdhsa_wavefront_size32 1
		.amdhsa_uses_dynamic_stack 0
		.amdhsa_system_sgpr_private_segment_wavefront_offset 0
		.amdhsa_system_sgpr_workgroup_id_x 1
		.amdhsa_system_sgpr_workgroup_id_y 0
		.amdhsa_system_sgpr_workgroup_id_z 0
		.amdhsa_system_sgpr_workgroup_info 0
		.amdhsa_system_vgpr_workitem_id 0
		.amdhsa_next_free_vgpr 1
		.amdhsa_next_free_sgpr 1
		.amdhsa_reserve_vcc 0
		.amdhsa_reserve_flat_scratch 0
		.amdhsa_float_round_mode_32 0
		.amdhsa_float_round_mode_16_64 0
		.amdhsa_float_denorm_mode_32 3
		.amdhsa_float_denorm_mode_16_64 3
		.amdhsa_dx10_clamp 1
		.amdhsa_ieee_mode 1
		.amdhsa_fp16_overflow 0
		.amdhsa_workgroup_processor_mode 1
		.amdhsa_memory_ordered 1
		.amdhsa_forward_progress 1
		.amdhsa_shared_vgpr_count 0
		.amdhsa_exception_fp_ieee_invalid_op 0
		.amdhsa_exception_fp_denorm_src 0
		.amdhsa_exception_fp_ieee_div_zero 0
		.amdhsa_exception_fp_ieee_overflow 0
		.amdhsa_exception_fp_ieee_underflow 0
		.amdhsa_exception_fp_ieee_inexact 0
		.amdhsa_exception_int_div_zero 0
	.end_amdhsa_kernel
	.section	.text._ZN7rocprim17ROCPRIM_400000_NS6detail17trampoline_kernelINS0_14default_configENS1_27scan_by_key_config_selectorIj11FixedVectorIiLj4EEEEZZNS1_16scan_by_key_implILNS1_25lookback_scan_determinismE0ELb1ES3_N6thrust23THRUST_200600_302600_NS6detail15normal_iteratorINSB_10device_ptrIjEEEENSD_INSE_IS6_EEEESI_S6_NSB_4plusIvEENSB_8equal_toIvEES6_EE10hipError_tPvRmT2_T3_T4_T5_mT6_T7_P12ihipStream_tbENKUlT_T0_E_clISt17integral_constantIbLb1EES12_IbLb0EEEEDaSY_SZ_EUlSY_E_NS1_11comp_targetILNS1_3genE3ELNS1_11target_archE908ELNS1_3gpuE7ELNS1_3repE0EEENS1_30default_config_static_selectorELNS0_4arch9wavefront6targetE0EEEvT1_,"axG",@progbits,_ZN7rocprim17ROCPRIM_400000_NS6detail17trampoline_kernelINS0_14default_configENS1_27scan_by_key_config_selectorIj11FixedVectorIiLj4EEEEZZNS1_16scan_by_key_implILNS1_25lookback_scan_determinismE0ELb1ES3_N6thrust23THRUST_200600_302600_NS6detail15normal_iteratorINSB_10device_ptrIjEEEENSD_INSE_IS6_EEEESI_S6_NSB_4plusIvEENSB_8equal_toIvEES6_EE10hipError_tPvRmT2_T3_T4_T5_mT6_T7_P12ihipStream_tbENKUlT_T0_E_clISt17integral_constantIbLb1EES12_IbLb0EEEEDaSY_SZ_EUlSY_E_NS1_11comp_targetILNS1_3genE3ELNS1_11target_archE908ELNS1_3gpuE7ELNS1_3repE0EEENS1_30default_config_static_selectorELNS0_4arch9wavefront6targetE0EEEvT1_,comdat
.Lfunc_end2097:
	.size	_ZN7rocprim17ROCPRIM_400000_NS6detail17trampoline_kernelINS0_14default_configENS1_27scan_by_key_config_selectorIj11FixedVectorIiLj4EEEEZZNS1_16scan_by_key_implILNS1_25lookback_scan_determinismE0ELb1ES3_N6thrust23THRUST_200600_302600_NS6detail15normal_iteratorINSB_10device_ptrIjEEEENSD_INSE_IS6_EEEESI_S6_NSB_4plusIvEENSB_8equal_toIvEES6_EE10hipError_tPvRmT2_T3_T4_T5_mT6_T7_P12ihipStream_tbENKUlT_T0_E_clISt17integral_constantIbLb1EES12_IbLb0EEEEDaSY_SZ_EUlSY_E_NS1_11comp_targetILNS1_3genE3ELNS1_11target_archE908ELNS1_3gpuE7ELNS1_3repE0EEENS1_30default_config_static_selectorELNS0_4arch9wavefront6targetE0EEEvT1_, .Lfunc_end2097-_ZN7rocprim17ROCPRIM_400000_NS6detail17trampoline_kernelINS0_14default_configENS1_27scan_by_key_config_selectorIj11FixedVectorIiLj4EEEEZZNS1_16scan_by_key_implILNS1_25lookback_scan_determinismE0ELb1ES3_N6thrust23THRUST_200600_302600_NS6detail15normal_iteratorINSB_10device_ptrIjEEEENSD_INSE_IS6_EEEESI_S6_NSB_4plusIvEENSB_8equal_toIvEES6_EE10hipError_tPvRmT2_T3_T4_T5_mT6_T7_P12ihipStream_tbENKUlT_T0_E_clISt17integral_constantIbLb1EES12_IbLb0EEEEDaSY_SZ_EUlSY_E_NS1_11comp_targetILNS1_3genE3ELNS1_11target_archE908ELNS1_3gpuE7ELNS1_3repE0EEENS1_30default_config_static_selectorELNS0_4arch9wavefront6targetE0EEEvT1_
                                        ; -- End function
	.set _ZN7rocprim17ROCPRIM_400000_NS6detail17trampoline_kernelINS0_14default_configENS1_27scan_by_key_config_selectorIj11FixedVectorIiLj4EEEEZZNS1_16scan_by_key_implILNS1_25lookback_scan_determinismE0ELb1ES3_N6thrust23THRUST_200600_302600_NS6detail15normal_iteratorINSB_10device_ptrIjEEEENSD_INSE_IS6_EEEESI_S6_NSB_4plusIvEENSB_8equal_toIvEES6_EE10hipError_tPvRmT2_T3_T4_T5_mT6_T7_P12ihipStream_tbENKUlT_T0_E_clISt17integral_constantIbLb1EES12_IbLb0EEEEDaSY_SZ_EUlSY_E_NS1_11comp_targetILNS1_3genE3ELNS1_11target_archE908ELNS1_3gpuE7ELNS1_3repE0EEENS1_30default_config_static_selectorELNS0_4arch9wavefront6targetE0EEEvT1_.num_vgpr, 0
	.set _ZN7rocprim17ROCPRIM_400000_NS6detail17trampoline_kernelINS0_14default_configENS1_27scan_by_key_config_selectorIj11FixedVectorIiLj4EEEEZZNS1_16scan_by_key_implILNS1_25lookback_scan_determinismE0ELb1ES3_N6thrust23THRUST_200600_302600_NS6detail15normal_iteratorINSB_10device_ptrIjEEEENSD_INSE_IS6_EEEESI_S6_NSB_4plusIvEENSB_8equal_toIvEES6_EE10hipError_tPvRmT2_T3_T4_T5_mT6_T7_P12ihipStream_tbENKUlT_T0_E_clISt17integral_constantIbLb1EES12_IbLb0EEEEDaSY_SZ_EUlSY_E_NS1_11comp_targetILNS1_3genE3ELNS1_11target_archE908ELNS1_3gpuE7ELNS1_3repE0EEENS1_30default_config_static_selectorELNS0_4arch9wavefront6targetE0EEEvT1_.num_agpr, 0
	.set _ZN7rocprim17ROCPRIM_400000_NS6detail17trampoline_kernelINS0_14default_configENS1_27scan_by_key_config_selectorIj11FixedVectorIiLj4EEEEZZNS1_16scan_by_key_implILNS1_25lookback_scan_determinismE0ELb1ES3_N6thrust23THRUST_200600_302600_NS6detail15normal_iteratorINSB_10device_ptrIjEEEENSD_INSE_IS6_EEEESI_S6_NSB_4plusIvEENSB_8equal_toIvEES6_EE10hipError_tPvRmT2_T3_T4_T5_mT6_T7_P12ihipStream_tbENKUlT_T0_E_clISt17integral_constantIbLb1EES12_IbLb0EEEEDaSY_SZ_EUlSY_E_NS1_11comp_targetILNS1_3genE3ELNS1_11target_archE908ELNS1_3gpuE7ELNS1_3repE0EEENS1_30default_config_static_selectorELNS0_4arch9wavefront6targetE0EEEvT1_.numbered_sgpr, 0
	.set _ZN7rocprim17ROCPRIM_400000_NS6detail17trampoline_kernelINS0_14default_configENS1_27scan_by_key_config_selectorIj11FixedVectorIiLj4EEEEZZNS1_16scan_by_key_implILNS1_25lookback_scan_determinismE0ELb1ES3_N6thrust23THRUST_200600_302600_NS6detail15normal_iteratorINSB_10device_ptrIjEEEENSD_INSE_IS6_EEEESI_S6_NSB_4plusIvEENSB_8equal_toIvEES6_EE10hipError_tPvRmT2_T3_T4_T5_mT6_T7_P12ihipStream_tbENKUlT_T0_E_clISt17integral_constantIbLb1EES12_IbLb0EEEEDaSY_SZ_EUlSY_E_NS1_11comp_targetILNS1_3genE3ELNS1_11target_archE908ELNS1_3gpuE7ELNS1_3repE0EEENS1_30default_config_static_selectorELNS0_4arch9wavefront6targetE0EEEvT1_.num_named_barrier, 0
	.set _ZN7rocprim17ROCPRIM_400000_NS6detail17trampoline_kernelINS0_14default_configENS1_27scan_by_key_config_selectorIj11FixedVectorIiLj4EEEEZZNS1_16scan_by_key_implILNS1_25lookback_scan_determinismE0ELb1ES3_N6thrust23THRUST_200600_302600_NS6detail15normal_iteratorINSB_10device_ptrIjEEEENSD_INSE_IS6_EEEESI_S6_NSB_4plusIvEENSB_8equal_toIvEES6_EE10hipError_tPvRmT2_T3_T4_T5_mT6_T7_P12ihipStream_tbENKUlT_T0_E_clISt17integral_constantIbLb1EES12_IbLb0EEEEDaSY_SZ_EUlSY_E_NS1_11comp_targetILNS1_3genE3ELNS1_11target_archE908ELNS1_3gpuE7ELNS1_3repE0EEENS1_30default_config_static_selectorELNS0_4arch9wavefront6targetE0EEEvT1_.private_seg_size, 0
	.set _ZN7rocprim17ROCPRIM_400000_NS6detail17trampoline_kernelINS0_14default_configENS1_27scan_by_key_config_selectorIj11FixedVectorIiLj4EEEEZZNS1_16scan_by_key_implILNS1_25lookback_scan_determinismE0ELb1ES3_N6thrust23THRUST_200600_302600_NS6detail15normal_iteratorINSB_10device_ptrIjEEEENSD_INSE_IS6_EEEESI_S6_NSB_4plusIvEENSB_8equal_toIvEES6_EE10hipError_tPvRmT2_T3_T4_T5_mT6_T7_P12ihipStream_tbENKUlT_T0_E_clISt17integral_constantIbLb1EES12_IbLb0EEEEDaSY_SZ_EUlSY_E_NS1_11comp_targetILNS1_3genE3ELNS1_11target_archE908ELNS1_3gpuE7ELNS1_3repE0EEENS1_30default_config_static_selectorELNS0_4arch9wavefront6targetE0EEEvT1_.uses_vcc, 0
	.set _ZN7rocprim17ROCPRIM_400000_NS6detail17trampoline_kernelINS0_14default_configENS1_27scan_by_key_config_selectorIj11FixedVectorIiLj4EEEEZZNS1_16scan_by_key_implILNS1_25lookback_scan_determinismE0ELb1ES3_N6thrust23THRUST_200600_302600_NS6detail15normal_iteratorINSB_10device_ptrIjEEEENSD_INSE_IS6_EEEESI_S6_NSB_4plusIvEENSB_8equal_toIvEES6_EE10hipError_tPvRmT2_T3_T4_T5_mT6_T7_P12ihipStream_tbENKUlT_T0_E_clISt17integral_constantIbLb1EES12_IbLb0EEEEDaSY_SZ_EUlSY_E_NS1_11comp_targetILNS1_3genE3ELNS1_11target_archE908ELNS1_3gpuE7ELNS1_3repE0EEENS1_30default_config_static_selectorELNS0_4arch9wavefront6targetE0EEEvT1_.uses_flat_scratch, 0
	.set _ZN7rocprim17ROCPRIM_400000_NS6detail17trampoline_kernelINS0_14default_configENS1_27scan_by_key_config_selectorIj11FixedVectorIiLj4EEEEZZNS1_16scan_by_key_implILNS1_25lookback_scan_determinismE0ELb1ES3_N6thrust23THRUST_200600_302600_NS6detail15normal_iteratorINSB_10device_ptrIjEEEENSD_INSE_IS6_EEEESI_S6_NSB_4plusIvEENSB_8equal_toIvEES6_EE10hipError_tPvRmT2_T3_T4_T5_mT6_T7_P12ihipStream_tbENKUlT_T0_E_clISt17integral_constantIbLb1EES12_IbLb0EEEEDaSY_SZ_EUlSY_E_NS1_11comp_targetILNS1_3genE3ELNS1_11target_archE908ELNS1_3gpuE7ELNS1_3repE0EEENS1_30default_config_static_selectorELNS0_4arch9wavefront6targetE0EEEvT1_.has_dyn_sized_stack, 0
	.set _ZN7rocprim17ROCPRIM_400000_NS6detail17trampoline_kernelINS0_14default_configENS1_27scan_by_key_config_selectorIj11FixedVectorIiLj4EEEEZZNS1_16scan_by_key_implILNS1_25lookback_scan_determinismE0ELb1ES3_N6thrust23THRUST_200600_302600_NS6detail15normal_iteratorINSB_10device_ptrIjEEEENSD_INSE_IS6_EEEESI_S6_NSB_4plusIvEENSB_8equal_toIvEES6_EE10hipError_tPvRmT2_T3_T4_T5_mT6_T7_P12ihipStream_tbENKUlT_T0_E_clISt17integral_constantIbLb1EES12_IbLb0EEEEDaSY_SZ_EUlSY_E_NS1_11comp_targetILNS1_3genE3ELNS1_11target_archE908ELNS1_3gpuE7ELNS1_3repE0EEENS1_30default_config_static_selectorELNS0_4arch9wavefront6targetE0EEEvT1_.has_recursion, 0
	.set _ZN7rocprim17ROCPRIM_400000_NS6detail17trampoline_kernelINS0_14default_configENS1_27scan_by_key_config_selectorIj11FixedVectorIiLj4EEEEZZNS1_16scan_by_key_implILNS1_25lookback_scan_determinismE0ELb1ES3_N6thrust23THRUST_200600_302600_NS6detail15normal_iteratorINSB_10device_ptrIjEEEENSD_INSE_IS6_EEEESI_S6_NSB_4plusIvEENSB_8equal_toIvEES6_EE10hipError_tPvRmT2_T3_T4_T5_mT6_T7_P12ihipStream_tbENKUlT_T0_E_clISt17integral_constantIbLb1EES12_IbLb0EEEEDaSY_SZ_EUlSY_E_NS1_11comp_targetILNS1_3genE3ELNS1_11target_archE908ELNS1_3gpuE7ELNS1_3repE0EEENS1_30default_config_static_selectorELNS0_4arch9wavefront6targetE0EEEvT1_.has_indirect_call, 0
	.section	.AMDGPU.csdata,"",@progbits
; Kernel info:
; codeLenInByte = 0
; TotalNumSgprs: 0
; NumVgprs: 0
; ScratchSize: 0
; MemoryBound: 0
; FloatMode: 240
; IeeeMode: 1
; LDSByteSize: 0 bytes/workgroup (compile time only)
; SGPRBlocks: 0
; VGPRBlocks: 0
; NumSGPRsForWavesPerEU: 1
; NumVGPRsForWavesPerEU: 1
; Occupancy: 16
; WaveLimiterHint : 0
; COMPUTE_PGM_RSRC2:SCRATCH_EN: 0
; COMPUTE_PGM_RSRC2:USER_SGPR: 6
; COMPUTE_PGM_RSRC2:TRAP_HANDLER: 0
; COMPUTE_PGM_RSRC2:TGID_X_EN: 1
; COMPUTE_PGM_RSRC2:TGID_Y_EN: 0
; COMPUTE_PGM_RSRC2:TGID_Z_EN: 0
; COMPUTE_PGM_RSRC2:TIDIG_COMP_CNT: 0
	.section	.text._ZN7rocprim17ROCPRIM_400000_NS6detail17trampoline_kernelINS0_14default_configENS1_27scan_by_key_config_selectorIj11FixedVectorIiLj4EEEEZZNS1_16scan_by_key_implILNS1_25lookback_scan_determinismE0ELb1ES3_N6thrust23THRUST_200600_302600_NS6detail15normal_iteratorINSB_10device_ptrIjEEEENSD_INSE_IS6_EEEESI_S6_NSB_4plusIvEENSB_8equal_toIvEES6_EE10hipError_tPvRmT2_T3_T4_T5_mT6_T7_P12ihipStream_tbENKUlT_T0_E_clISt17integral_constantIbLb1EES12_IbLb0EEEEDaSY_SZ_EUlSY_E_NS1_11comp_targetILNS1_3genE2ELNS1_11target_archE906ELNS1_3gpuE6ELNS1_3repE0EEENS1_30default_config_static_selectorELNS0_4arch9wavefront6targetE0EEEvT1_,"axG",@progbits,_ZN7rocprim17ROCPRIM_400000_NS6detail17trampoline_kernelINS0_14default_configENS1_27scan_by_key_config_selectorIj11FixedVectorIiLj4EEEEZZNS1_16scan_by_key_implILNS1_25lookback_scan_determinismE0ELb1ES3_N6thrust23THRUST_200600_302600_NS6detail15normal_iteratorINSB_10device_ptrIjEEEENSD_INSE_IS6_EEEESI_S6_NSB_4plusIvEENSB_8equal_toIvEES6_EE10hipError_tPvRmT2_T3_T4_T5_mT6_T7_P12ihipStream_tbENKUlT_T0_E_clISt17integral_constantIbLb1EES12_IbLb0EEEEDaSY_SZ_EUlSY_E_NS1_11comp_targetILNS1_3genE2ELNS1_11target_archE906ELNS1_3gpuE6ELNS1_3repE0EEENS1_30default_config_static_selectorELNS0_4arch9wavefront6targetE0EEEvT1_,comdat
	.protected	_ZN7rocprim17ROCPRIM_400000_NS6detail17trampoline_kernelINS0_14default_configENS1_27scan_by_key_config_selectorIj11FixedVectorIiLj4EEEEZZNS1_16scan_by_key_implILNS1_25lookback_scan_determinismE0ELb1ES3_N6thrust23THRUST_200600_302600_NS6detail15normal_iteratorINSB_10device_ptrIjEEEENSD_INSE_IS6_EEEESI_S6_NSB_4plusIvEENSB_8equal_toIvEES6_EE10hipError_tPvRmT2_T3_T4_T5_mT6_T7_P12ihipStream_tbENKUlT_T0_E_clISt17integral_constantIbLb1EES12_IbLb0EEEEDaSY_SZ_EUlSY_E_NS1_11comp_targetILNS1_3genE2ELNS1_11target_archE906ELNS1_3gpuE6ELNS1_3repE0EEENS1_30default_config_static_selectorELNS0_4arch9wavefront6targetE0EEEvT1_ ; -- Begin function _ZN7rocprim17ROCPRIM_400000_NS6detail17trampoline_kernelINS0_14default_configENS1_27scan_by_key_config_selectorIj11FixedVectorIiLj4EEEEZZNS1_16scan_by_key_implILNS1_25lookback_scan_determinismE0ELb1ES3_N6thrust23THRUST_200600_302600_NS6detail15normal_iteratorINSB_10device_ptrIjEEEENSD_INSE_IS6_EEEESI_S6_NSB_4plusIvEENSB_8equal_toIvEES6_EE10hipError_tPvRmT2_T3_T4_T5_mT6_T7_P12ihipStream_tbENKUlT_T0_E_clISt17integral_constantIbLb1EES12_IbLb0EEEEDaSY_SZ_EUlSY_E_NS1_11comp_targetILNS1_3genE2ELNS1_11target_archE906ELNS1_3gpuE6ELNS1_3repE0EEENS1_30default_config_static_selectorELNS0_4arch9wavefront6targetE0EEEvT1_
	.globl	_ZN7rocprim17ROCPRIM_400000_NS6detail17trampoline_kernelINS0_14default_configENS1_27scan_by_key_config_selectorIj11FixedVectorIiLj4EEEEZZNS1_16scan_by_key_implILNS1_25lookback_scan_determinismE0ELb1ES3_N6thrust23THRUST_200600_302600_NS6detail15normal_iteratorINSB_10device_ptrIjEEEENSD_INSE_IS6_EEEESI_S6_NSB_4plusIvEENSB_8equal_toIvEES6_EE10hipError_tPvRmT2_T3_T4_T5_mT6_T7_P12ihipStream_tbENKUlT_T0_E_clISt17integral_constantIbLb1EES12_IbLb0EEEEDaSY_SZ_EUlSY_E_NS1_11comp_targetILNS1_3genE2ELNS1_11target_archE906ELNS1_3gpuE6ELNS1_3repE0EEENS1_30default_config_static_selectorELNS0_4arch9wavefront6targetE0EEEvT1_
	.p2align	8
	.type	_ZN7rocprim17ROCPRIM_400000_NS6detail17trampoline_kernelINS0_14default_configENS1_27scan_by_key_config_selectorIj11FixedVectorIiLj4EEEEZZNS1_16scan_by_key_implILNS1_25lookback_scan_determinismE0ELb1ES3_N6thrust23THRUST_200600_302600_NS6detail15normal_iteratorINSB_10device_ptrIjEEEENSD_INSE_IS6_EEEESI_S6_NSB_4plusIvEENSB_8equal_toIvEES6_EE10hipError_tPvRmT2_T3_T4_T5_mT6_T7_P12ihipStream_tbENKUlT_T0_E_clISt17integral_constantIbLb1EES12_IbLb0EEEEDaSY_SZ_EUlSY_E_NS1_11comp_targetILNS1_3genE2ELNS1_11target_archE906ELNS1_3gpuE6ELNS1_3repE0EEENS1_30default_config_static_selectorELNS0_4arch9wavefront6targetE0EEEvT1_,@function
_ZN7rocprim17ROCPRIM_400000_NS6detail17trampoline_kernelINS0_14default_configENS1_27scan_by_key_config_selectorIj11FixedVectorIiLj4EEEEZZNS1_16scan_by_key_implILNS1_25lookback_scan_determinismE0ELb1ES3_N6thrust23THRUST_200600_302600_NS6detail15normal_iteratorINSB_10device_ptrIjEEEENSD_INSE_IS6_EEEESI_S6_NSB_4plusIvEENSB_8equal_toIvEES6_EE10hipError_tPvRmT2_T3_T4_T5_mT6_T7_P12ihipStream_tbENKUlT_T0_E_clISt17integral_constantIbLb1EES12_IbLb0EEEEDaSY_SZ_EUlSY_E_NS1_11comp_targetILNS1_3genE2ELNS1_11target_archE906ELNS1_3gpuE6ELNS1_3repE0EEENS1_30default_config_static_selectorELNS0_4arch9wavefront6targetE0EEEvT1_: ; @_ZN7rocprim17ROCPRIM_400000_NS6detail17trampoline_kernelINS0_14default_configENS1_27scan_by_key_config_selectorIj11FixedVectorIiLj4EEEEZZNS1_16scan_by_key_implILNS1_25lookback_scan_determinismE0ELb1ES3_N6thrust23THRUST_200600_302600_NS6detail15normal_iteratorINSB_10device_ptrIjEEEENSD_INSE_IS6_EEEESI_S6_NSB_4plusIvEENSB_8equal_toIvEES6_EE10hipError_tPvRmT2_T3_T4_T5_mT6_T7_P12ihipStream_tbENKUlT_T0_E_clISt17integral_constantIbLb1EES12_IbLb0EEEEDaSY_SZ_EUlSY_E_NS1_11comp_targetILNS1_3genE2ELNS1_11target_archE906ELNS1_3gpuE6ELNS1_3repE0EEENS1_30default_config_static_selectorELNS0_4arch9wavefront6targetE0EEEvT1_
; %bb.0:
	.section	.rodata,"a",@progbits
	.p2align	6, 0x0
	.amdhsa_kernel _ZN7rocprim17ROCPRIM_400000_NS6detail17trampoline_kernelINS0_14default_configENS1_27scan_by_key_config_selectorIj11FixedVectorIiLj4EEEEZZNS1_16scan_by_key_implILNS1_25lookback_scan_determinismE0ELb1ES3_N6thrust23THRUST_200600_302600_NS6detail15normal_iteratorINSB_10device_ptrIjEEEENSD_INSE_IS6_EEEESI_S6_NSB_4plusIvEENSB_8equal_toIvEES6_EE10hipError_tPvRmT2_T3_T4_T5_mT6_T7_P12ihipStream_tbENKUlT_T0_E_clISt17integral_constantIbLb1EES12_IbLb0EEEEDaSY_SZ_EUlSY_E_NS1_11comp_targetILNS1_3genE2ELNS1_11target_archE906ELNS1_3gpuE6ELNS1_3repE0EEENS1_30default_config_static_selectorELNS0_4arch9wavefront6targetE0EEEvT1_
		.amdhsa_group_segment_fixed_size 0
		.amdhsa_private_segment_fixed_size 0
		.amdhsa_kernarg_size 144
		.amdhsa_user_sgpr_count 6
		.amdhsa_user_sgpr_private_segment_buffer 1
		.amdhsa_user_sgpr_dispatch_ptr 0
		.amdhsa_user_sgpr_queue_ptr 0
		.amdhsa_user_sgpr_kernarg_segment_ptr 1
		.amdhsa_user_sgpr_dispatch_id 0
		.amdhsa_user_sgpr_flat_scratch_init 0
		.amdhsa_user_sgpr_private_segment_size 0
		.amdhsa_wavefront_size32 1
		.amdhsa_uses_dynamic_stack 0
		.amdhsa_system_sgpr_private_segment_wavefront_offset 0
		.amdhsa_system_sgpr_workgroup_id_x 1
		.amdhsa_system_sgpr_workgroup_id_y 0
		.amdhsa_system_sgpr_workgroup_id_z 0
		.amdhsa_system_sgpr_workgroup_info 0
		.amdhsa_system_vgpr_workitem_id 0
		.amdhsa_next_free_vgpr 1
		.amdhsa_next_free_sgpr 1
		.amdhsa_reserve_vcc 0
		.amdhsa_reserve_flat_scratch 0
		.amdhsa_float_round_mode_32 0
		.amdhsa_float_round_mode_16_64 0
		.amdhsa_float_denorm_mode_32 3
		.amdhsa_float_denorm_mode_16_64 3
		.amdhsa_dx10_clamp 1
		.amdhsa_ieee_mode 1
		.amdhsa_fp16_overflow 0
		.amdhsa_workgroup_processor_mode 1
		.amdhsa_memory_ordered 1
		.amdhsa_forward_progress 1
		.amdhsa_shared_vgpr_count 0
		.amdhsa_exception_fp_ieee_invalid_op 0
		.amdhsa_exception_fp_denorm_src 0
		.amdhsa_exception_fp_ieee_div_zero 0
		.amdhsa_exception_fp_ieee_overflow 0
		.amdhsa_exception_fp_ieee_underflow 0
		.amdhsa_exception_fp_ieee_inexact 0
		.amdhsa_exception_int_div_zero 0
	.end_amdhsa_kernel
	.section	.text._ZN7rocprim17ROCPRIM_400000_NS6detail17trampoline_kernelINS0_14default_configENS1_27scan_by_key_config_selectorIj11FixedVectorIiLj4EEEEZZNS1_16scan_by_key_implILNS1_25lookback_scan_determinismE0ELb1ES3_N6thrust23THRUST_200600_302600_NS6detail15normal_iteratorINSB_10device_ptrIjEEEENSD_INSE_IS6_EEEESI_S6_NSB_4plusIvEENSB_8equal_toIvEES6_EE10hipError_tPvRmT2_T3_T4_T5_mT6_T7_P12ihipStream_tbENKUlT_T0_E_clISt17integral_constantIbLb1EES12_IbLb0EEEEDaSY_SZ_EUlSY_E_NS1_11comp_targetILNS1_3genE2ELNS1_11target_archE906ELNS1_3gpuE6ELNS1_3repE0EEENS1_30default_config_static_selectorELNS0_4arch9wavefront6targetE0EEEvT1_,"axG",@progbits,_ZN7rocprim17ROCPRIM_400000_NS6detail17trampoline_kernelINS0_14default_configENS1_27scan_by_key_config_selectorIj11FixedVectorIiLj4EEEEZZNS1_16scan_by_key_implILNS1_25lookback_scan_determinismE0ELb1ES3_N6thrust23THRUST_200600_302600_NS6detail15normal_iteratorINSB_10device_ptrIjEEEENSD_INSE_IS6_EEEESI_S6_NSB_4plusIvEENSB_8equal_toIvEES6_EE10hipError_tPvRmT2_T3_T4_T5_mT6_T7_P12ihipStream_tbENKUlT_T0_E_clISt17integral_constantIbLb1EES12_IbLb0EEEEDaSY_SZ_EUlSY_E_NS1_11comp_targetILNS1_3genE2ELNS1_11target_archE906ELNS1_3gpuE6ELNS1_3repE0EEENS1_30default_config_static_selectorELNS0_4arch9wavefront6targetE0EEEvT1_,comdat
.Lfunc_end2098:
	.size	_ZN7rocprim17ROCPRIM_400000_NS6detail17trampoline_kernelINS0_14default_configENS1_27scan_by_key_config_selectorIj11FixedVectorIiLj4EEEEZZNS1_16scan_by_key_implILNS1_25lookback_scan_determinismE0ELb1ES3_N6thrust23THRUST_200600_302600_NS6detail15normal_iteratorINSB_10device_ptrIjEEEENSD_INSE_IS6_EEEESI_S6_NSB_4plusIvEENSB_8equal_toIvEES6_EE10hipError_tPvRmT2_T3_T4_T5_mT6_T7_P12ihipStream_tbENKUlT_T0_E_clISt17integral_constantIbLb1EES12_IbLb0EEEEDaSY_SZ_EUlSY_E_NS1_11comp_targetILNS1_3genE2ELNS1_11target_archE906ELNS1_3gpuE6ELNS1_3repE0EEENS1_30default_config_static_selectorELNS0_4arch9wavefront6targetE0EEEvT1_, .Lfunc_end2098-_ZN7rocprim17ROCPRIM_400000_NS6detail17trampoline_kernelINS0_14default_configENS1_27scan_by_key_config_selectorIj11FixedVectorIiLj4EEEEZZNS1_16scan_by_key_implILNS1_25lookback_scan_determinismE0ELb1ES3_N6thrust23THRUST_200600_302600_NS6detail15normal_iteratorINSB_10device_ptrIjEEEENSD_INSE_IS6_EEEESI_S6_NSB_4plusIvEENSB_8equal_toIvEES6_EE10hipError_tPvRmT2_T3_T4_T5_mT6_T7_P12ihipStream_tbENKUlT_T0_E_clISt17integral_constantIbLb1EES12_IbLb0EEEEDaSY_SZ_EUlSY_E_NS1_11comp_targetILNS1_3genE2ELNS1_11target_archE906ELNS1_3gpuE6ELNS1_3repE0EEENS1_30default_config_static_selectorELNS0_4arch9wavefront6targetE0EEEvT1_
                                        ; -- End function
	.set _ZN7rocprim17ROCPRIM_400000_NS6detail17trampoline_kernelINS0_14default_configENS1_27scan_by_key_config_selectorIj11FixedVectorIiLj4EEEEZZNS1_16scan_by_key_implILNS1_25lookback_scan_determinismE0ELb1ES3_N6thrust23THRUST_200600_302600_NS6detail15normal_iteratorINSB_10device_ptrIjEEEENSD_INSE_IS6_EEEESI_S6_NSB_4plusIvEENSB_8equal_toIvEES6_EE10hipError_tPvRmT2_T3_T4_T5_mT6_T7_P12ihipStream_tbENKUlT_T0_E_clISt17integral_constantIbLb1EES12_IbLb0EEEEDaSY_SZ_EUlSY_E_NS1_11comp_targetILNS1_3genE2ELNS1_11target_archE906ELNS1_3gpuE6ELNS1_3repE0EEENS1_30default_config_static_selectorELNS0_4arch9wavefront6targetE0EEEvT1_.num_vgpr, 0
	.set _ZN7rocprim17ROCPRIM_400000_NS6detail17trampoline_kernelINS0_14default_configENS1_27scan_by_key_config_selectorIj11FixedVectorIiLj4EEEEZZNS1_16scan_by_key_implILNS1_25lookback_scan_determinismE0ELb1ES3_N6thrust23THRUST_200600_302600_NS6detail15normal_iteratorINSB_10device_ptrIjEEEENSD_INSE_IS6_EEEESI_S6_NSB_4plusIvEENSB_8equal_toIvEES6_EE10hipError_tPvRmT2_T3_T4_T5_mT6_T7_P12ihipStream_tbENKUlT_T0_E_clISt17integral_constantIbLb1EES12_IbLb0EEEEDaSY_SZ_EUlSY_E_NS1_11comp_targetILNS1_3genE2ELNS1_11target_archE906ELNS1_3gpuE6ELNS1_3repE0EEENS1_30default_config_static_selectorELNS0_4arch9wavefront6targetE0EEEvT1_.num_agpr, 0
	.set _ZN7rocprim17ROCPRIM_400000_NS6detail17trampoline_kernelINS0_14default_configENS1_27scan_by_key_config_selectorIj11FixedVectorIiLj4EEEEZZNS1_16scan_by_key_implILNS1_25lookback_scan_determinismE0ELb1ES3_N6thrust23THRUST_200600_302600_NS6detail15normal_iteratorINSB_10device_ptrIjEEEENSD_INSE_IS6_EEEESI_S6_NSB_4plusIvEENSB_8equal_toIvEES6_EE10hipError_tPvRmT2_T3_T4_T5_mT6_T7_P12ihipStream_tbENKUlT_T0_E_clISt17integral_constantIbLb1EES12_IbLb0EEEEDaSY_SZ_EUlSY_E_NS1_11comp_targetILNS1_3genE2ELNS1_11target_archE906ELNS1_3gpuE6ELNS1_3repE0EEENS1_30default_config_static_selectorELNS0_4arch9wavefront6targetE0EEEvT1_.numbered_sgpr, 0
	.set _ZN7rocprim17ROCPRIM_400000_NS6detail17trampoline_kernelINS0_14default_configENS1_27scan_by_key_config_selectorIj11FixedVectorIiLj4EEEEZZNS1_16scan_by_key_implILNS1_25lookback_scan_determinismE0ELb1ES3_N6thrust23THRUST_200600_302600_NS6detail15normal_iteratorINSB_10device_ptrIjEEEENSD_INSE_IS6_EEEESI_S6_NSB_4plusIvEENSB_8equal_toIvEES6_EE10hipError_tPvRmT2_T3_T4_T5_mT6_T7_P12ihipStream_tbENKUlT_T0_E_clISt17integral_constantIbLb1EES12_IbLb0EEEEDaSY_SZ_EUlSY_E_NS1_11comp_targetILNS1_3genE2ELNS1_11target_archE906ELNS1_3gpuE6ELNS1_3repE0EEENS1_30default_config_static_selectorELNS0_4arch9wavefront6targetE0EEEvT1_.num_named_barrier, 0
	.set _ZN7rocprim17ROCPRIM_400000_NS6detail17trampoline_kernelINS0_14default_configENS1_27scan_by_key_config_selectorIj11FixedVectorIiLj4EEEEZZNS1_16scan_by_key_implILNS1_25lookback_scan_determinismE0ELb1ES3_N6thrust23THRUST_200600_302600_NS6detail15normal_iteratorINSB_10device_ptrIjEEEENSD_INSE_IS6_EEEESI_S6_NSB_4plusIvEENSB_8equal_toIvEES6_EE10hipError_tPvRmT2_T3_T4_T5_mT6_T7_P12ihipStream_tbENKUlT_T0_E_clISt17integral_constantIbLb1EES12_IbLb0EEEEDaSY_SZ_EUlSY_E_NS1_11comp_targetILNS1_3genE2ELNS1_11target_archE906ELNS1_3gpuE6ELNS1_3repE0EEENS1_30default_config_static_selectorELNS0_4arch9wavefront6targetE0EEEvT1_.private_seg_size, 0
	.set _ZN7rocprim17ROCPRIM_400000_NS6detail17trampoline_kernelINS0_14default_configENS1_27scan_by_key_config_selectorIj11FixedVectorIiLj4EEEEZZNS1_16scan_by_key_implILNS1_25lookback_scan_determinismE0ELb1ES3_N6thrust23THRUST_200600_302600_NS6detail15normal_iteratorINSB_10device_ptrIjEEEENSD_INSE_IS6_EEEESI_S6_NSB_4plusIvEENSB_8equal_toIvEES6_EE10hipError_tPvRmT2_T3_T4_T5_mT6_T7_P12ihipStream_tbENKUlT_T0_E_clISt17integral_constantIbLb1EES12_IbLb0EEEEDaSY_SZ_EUlSY_E_NS1_11comp_targetILNS1_3genE2ELNS1_11target_archE906ELNS1_3gpuE6ELNS1_3repE0EEENS1_30default_config_static_selectorELNS0_4arch9wavefront6targetE0EEEvT1_.uses_vcc, 0
	.set _ZN7rocprim17ROCPRIM_400000_NS6detail17trampoline_kernelINS0_14default_configENS1_27scan_by_key_config_selectorIj11FixedVectorIiLj4EEEEZZNS1_16scan_by_key_implILNS1_25lookback_scan_determinismE0ELb1ES3_N6thrust23THRUST_200600_302600_NS6detail15normal_iteratorINSB_10device_ptrIjEEEENSD_INSE_IS6_EEEESI_S6_NSB_4plusIvEENSB_8equal_toIvEES6_EE10hipError_tPvRmT2_T3_T4_T5_mT6_T7_P12ihipStream_tbENKUlT_T0_E_clISt17integral_constantIbLb1EES12_IbLb0EEEEDaSY_SZ_EUlSY_E_NS1_11comp_targetILNS1_3genE2ELNS1_11target_archE906ELNS1_3gpuE6ELNS1_3repE0EEENS1_30default_config_static_selectorELNS0_4arch9wavefront6targetE0EEEvT1_.uses_flat_scratch, 0
	.set _ZN7rocprim17ROCPRIM_400000_NS6detail17trampoline_kernelINS0_14default_configENS1_27scan_by_key_config_selectorIj11FixedVectorIiLj4EEEEZZNS1_16scan_by_key_implILNS1_25lookback_scan_determinismE0ELb1ES3_N6thrust23THRUST_200600_302600_NS6detail15normal_iteratorINSB_10device_ptrIjEEEENSD_INSE_IS6_EEEESI_S6_NSB_4plusIvEENSB_8equal_toIvEES6_EE10hipError_tPvRmT2_T3_T4_T5_mT6_T7_P12ihipStream_tbENKUlT_T0_E_clISt17integral_constantIbLb1EES12_IbLb0EEEEDaSY_SZ_EUlSY_E_NS1_11comp_targetILNS1_3genE2ELNS1_11target_archE906ELNS1_3gpuE6ELNS1_3repE0EEENS1_30default_config_static_selectorELNS0_4arch9wavefront6targetE0EEEvT1_.has_dyn_sized_stack, 0
	.set _ZN7rocprim17ROCPRIM_400000_NS6detail17trampoline_kernelINS0_14default_configENS1_27scan_by_key_config_selectorIj11FixedVectorIiLj4EEEEZZNS1_16scan_by_key_implILNS1_25lookback_scan_determinismE0ELb1ES3_N6thrust23THRUST_200600_302600_NS6detail15normal_iteratorINSB_10device_ptrIjEEEENSD_INSE_IS6_EEEESI_S6_NSB_4plusIvEENSB_8equal_toIvEES6_EE10hipError_tPvRmT2_T3_T4_T5_mT6_T7_P12ihipStream_tbENKUlT_T0_E_clISt17integral_constantIbLb1EES12_IbLb0EEEEDaSY_SZ_EUlSY_E_NS1_11comp_targetILNS1_3genE2ELNS1_11target_archE906ELNS1_3gpuE6ELNS1_3repE0EEENS1_30default_config_static_selectorELNS0_4arch9wavefront6targetE0EEEvT1_.has_recursion, 0
	.set _ZN7rocprim17ROCPRIM_400000_NS6detail17trampoline_kernelINS0_14default_configENS1_27scan_by_key_config_selectorIj11FixedVectorIiLj4EEEEZZNS1_16scan_by_key_implILNS1_25lookback_scan_determinismE0ELb1ES3_N6thrust23THRUST_200600_302600_NS6detail15normal_iteratorINSB_10device_ptrIjEEEENSD_INSE_IS6_EEEESI_S6_NSB_4plusIvEENSB_8equal_toIvEES6_EE10hipError_tPvRmT2_T3_T4_T5_mT6_T7_P12ihipStream_tbENKUlT_T0_E_clISt17integral_constantIbLb1EES12_IbLb0EEEEDaSY_SZ_EUlSY_E_NS1_11comp_targetILNS1_3genE2ELNS1_11target_archE906ELNS1_3gpuE6ELNS1_3repE0EEENS1_30default_config_static_selectorELNS0_4arch9wavefront6targetE0EEEvT1_.has_indirect_call, 0
	.section	.AMDGPU.csdata,"",@progbits
; Kernel info:
; codeLenInByte = 0
; TotalNumSgprs: 0
; NumVgprs: 0
; ScratchSize: 0
; MemoryBound: 0
; FloatMode: 240
; IeeeMode: 1
; LDSByteSize: 0 bytes/workgroup (compile time only)
; SGPRBlocks: 0
; VGPRBlocks: 0
; NumSGPRsForWavesPerEU: 1
; NumVGPRsForWavesPerEU: 1
; Occupancy: 16
; WaveLimiterHint : 0
; COMPUTE_PGM_RSRC2:SCRATCH_EN: 0
; COMPUTE_PGM_RSRC2:USER_SGPR: 6
; COMPUTE_PGM_RSRC2:TRAP_HANDLER: 0
; COMPUTE_PGM_RSRC2:TGID_X_EN: 1
; COMPUTE_PGM_RSRC2:TGID_Y_EN: 0
; COMPUTE_PGM_RSRC2:TGID_Z_EN: 0
; COMPUTE_PGM_RSRC2:TIDIG_COMP_CNT: 0
	.section	.text._ZN7rocprim17ROCPRIM_400000_NS6detail17trampoline_kernelINS0_14default_configENS1_27scan_by_key_config_selectorIj11FixedVectorIiLj4EEEEZZNS1_16scan_by_key_implILNS1_25lookback_scan_determinismE0ELb1ES3_N6thrust23THRUST_200600_302600_NS6detail15normal_iteratorINSB_10device_ptrIjEEEENSD_INSE_IS6_EEEESI_S6_NSB_4plusIvEENSB_8equal_toIvEES6_EE10hipError_tPvRmT2_T3_T4_T5_mT6_T7_P12ihipStream_tbENKUlT_T0_E_clISt17integral_constantIbLb1EES12_IbLb0EEEEDaSY_SZ_EUlSY_E_NS1_11comp_targetILNS1_3genE10ELNS1_11target_archE1200ELNS1_3gpuE4ELNS1_3repE0EEENS1_30default_config_static_selectorELNS0_4arch9wavefront6targetE0EEEvT1_,"axG",@progbits,_ZN7rocprim17ROCPRIM_400000_NS6detail17trampoline_kernelINS0_14default_configENS1_27scan_by_key_config_selectorIj11FixedVectorIiLj4EEEEZZNS1_16scan_by_key_implILNS1_25lookback_scan_determinismE0ELb1ES3_N6thrust23THRUST_200600_302600_NS6detail15normal_iteratorINSB_10device_ptrIjEEEENSD_INSE_IS6_EEEESI_S6_NSB_4plusIvEENSB_8equal_toIvEES6_EE10hipError_tPvRmT2_T3_T4_T5_mT6_T7_P12ihipStream_tbENKUlT_T0_E_clISt17integral_constantIbLb1EES12_IbLb0EEEEDaSY_SZ_EUlSY_E_NS1_11comp_targetILNS1_3genE10ELNS1_11target_archE1200ELNS1_3gpuE4ELNS1_3repE0EEENS1_30default_config_static_selectorELNS0_4arch9wavefront6targetE0EEEvT1_,comdat
	.protected	_ZN7rocprim17ROCPRIM_400000_NS6detail17trampoline_kernelINS0_14default_configENS1_27scan_by_key_config_selectorIj11FixedVectorIiLj4EEEEZZNS1_16scan_by_key_implILNS1_25lookback_scan_determinismE0ELb1ES3_N6thrust23THRUST_200600_302600_NS6detail15normal_iteratorINSB_10device_ptrIjEEEENSD_INSE_IS6_EEEESI_S6_NSB_4plusIvEENSB_8equal_toIvEES6_EE10hipError_tPvRmT2_T3_T4_T5_mT6_T7_P12ihipStream_tbENKUlT_T0_E_clISt17integral_constantIbLb1EES12_IbLb0EEEEDaSY_SZ_EUlSY_E_NS1_11comp_targetILNS1_3genE10ELNS1_11target_archE1200ELNS1_3gpuE4ELNS1_3repE0EEENS1_30default_config_static_selectorELNS0_4arch9wavefront6targetE0EEEvT1_ ; -- Begin function _ZN7rocprim17ROCPRIM_400000_NS6detail17trampoline_kernelINS0_14default_configENS1_27scan_by_key_config_selectorIj11FixedVectorIiLj4EEEEZZNS1_16scan_by_key_implILNS1_25lookback_scan_determinismE0ELb1ES3_N6thrust23THRUST_200600_302600_NS6detail15normal_iteratorINSB_10device_ptrIjEEEENSD_INSE_IS6_EEEESI_S6_NSB_4plusIvEENSB_8equal_toIvEES6_EE10hipError_tPvRmT2_T3_T4_T5_mT6_T7_P12ihipStream_tbENKUlT_T0_E_clISt17integral_constantIbLb1EES12_IbLb0EEEEDaSY_SZ_EUlSY_E_NS1_11comp_targetILNS1_3genE10ELNS1_11target_archE1200ELNS1_3gpuE4ELNS1_3repE0EEENS1_30default_config_static_selectorELNS0_4arch9wavefront6targetE0EEEvT1_
	.globl	_ZN7rocprim17ROCPRIM_400000_NS6detail17trampoline_kernelINS0_14default_configENS1_27scan_by_key_config_selectorIj11FixedVectorIiLj4EEEEZZNS1_16scan_by_key_implILNS1_25lookback_scan_determinismE0ELb1ES3_N6thrust23THRUST_200600_302600_NS6detail15normal_iteratorINSB_10device_ptrIjEEEENSD_INSE_IS6_EEEESI_S6_NSB_4plusIvEENSB_8equal_toIvEES6_EE10hipError_tPvRmT2_T3_T4_T5_mT6_T7_P12ihipStream_tbENKUlT_T0_E_clISt17integral_constantIbLb1EES12_IbLb0EEEEDaSY_SZ_EUlSY_E_NS1_11comp_targetILNS1_3genE10ELNS1_11target_archE1200ELNS1_3gpuE4ELNS1_3repE0EEENS1_30default_config_static_selectorELNS0_4arch9wavefront6targetE0EEEvT1_
	.p2align	8
	.type	_ZN7rocprim17ROCPRIM_400000_NS6detail17trampoline_kernelINS0_14default_configENS1_27scan_by_key_config_selectorIj11FixedVectorIiLj4EEEEZZNS1_16scan_by_key_implILNS1_25lookback_scan_determinismE0ELb1ES3_N6thrust23THRUST_200600_302600_NS6detail15normal_iteratorINSB_10device_ptrIjEEEENSD_INSE_IS6_EEEESI_S6_NSB_4plusIvEENSB_8equal_toIvEES6_EE10hipError_tPvRmT2_T3_T4_T5_mT6_T7_P12ihipStream_tbENKUlT_T0_E_clISt17integral_constantIbLb1EES12_IbLb0EEEEDaSY_SZ_EUlSY_E_NS1_11comp_targetILNS1_3genE10ELNS1_11target_archE1200ELNS1_3gpuE4ELNS1_3repE0EEENS1_30default_config_static_selectorELNS0_4arch9wavefront6targetE0EEEvT1_,@function
_ZN7rocprim17ROCPRIM_400000_NS6detail17trampoline_kernelINS0_14default_configENS1_27scan_by_key_config_selectorIj11FixedVectorIiLj4EEEEZZNS1_16scan_by_key_implILNS1_25lookback_scan_determinismE0ELb1ES3_N6thrust23THRUST_200600_302600_NS6detail15normal_iteratorINSB_10device_ptrIjEEEENSD_INSE_IS6_EEEESI_S6_NSB_4plusIvEENSB_8equal_toIvEES6_EE10hipError_tPvRmT2_T3_T4_T5_mT6_T7_P12ihipStream_tbENKUlT_T0_E_clISt17integral_constantIbLb1EES12_IbLb0EEEEDaSY_SZ_EUlSY_E_NS1_11comp_targetILNS1_3genE10ELNS1_11target_archE1200ELNS1_3gpuE4ELNS1_3repE0EEENS1_30default_config_static_selectorELNS0_4arch9wavefront6targetE0EEEvT1_: ; @_ZN7rocprim17ROCPRIM_400000_NS6detail17trampoline_kernelINS0_14default_configENS1_27scan_by_key_config_selectorIj11FixedVectorIiLj4EEEEZZNS1_16scan_by_key_implILNS1_25lookback_scan_determinismE0ELb1ES3_N6thrust23THRUST_200600_302600_NS6detail15normal_iteratorINSB_10device_ptrIjEEEENSD_INSE_IS6_EEEESI_S6_NSB_4plusIvEENSB_8equal_toIvEES6_EE10hipError_tPvRmT2_T3_T4_T5_mT6_T7_P12ihipStream_tbENKUlT_T0_E_clISt17integral_constantIbLb1EES12_IbLb0EEEEDaSY_SZ_EUlSY_E_NS1_11comp_targetILNS1_3genE10ELNS1_11target_archE1200ELNS1_3gpuE4ELNS1_3repE0EEENS1_30default_config_static_selectorELNS0_4arch9wavefront6targetE0EEEvT1_
; %bb.0:
	.section	.rodata,"a",@progbits
	.p2align	6, 0x0
	.amdhsa_kernel _ZN7rocprim17ROCPRIM_400000_NS6detail17trampoline_kernelINS0_14default_configENS1_27scan_by_key_config_selectorIj11FixedVectorIiLj4EEEEZZNS1_16scan_by_key_implILNS1_25lookback_scan_determinismE0ELb1ES3_N6thrust23THRUST_200600_302600_NS6detail15normal_iteratorINSB_10device_ptrIjEEEENSD_INSE_IS6_EEEESI_S6_NSB_4plusIvEENSB_8equal_toIvEES6_EE10hipError_tPvRmT2_T3_T4_T5_mT6_T7_P12ihipStream_tbENKUlT_T0_E_clISt17integral_constantIbLb1EES12_IbLb0EEEEDaSY_SZ_EUlSY_E_NS1_11comp_targetILNS1_3genE10ELNS1_11target_archE1200ELNS1_3gpuE4ELNS1_3repE0EEENS1_30default_config_static_selectorELNS0_4arch9wavefront6targetE0EEEvT1_
		.amdhsa_group_segment_fixed_size 0
		.amdhsa_private_segment_fixed_size 0
		.amdhsa_kernarg_size 144
		.amdhsa_user_sgpr_count 6
		.amdhsa_user_sgpr_private_segment_buffer 1
		.amdhsa_user_sgpr_dispatch_ptr 0
		.amdhsa_user_sgpr_queue_ptr 0
		.amdhsa_user_sgpr_kernarg_segment_ptr 1
		.amdhsa_user_sgpr_dispatch_id 0
		.amdhsa_user_sgpr_flat_scratch_init 0
		.amdhsa_user_sgpr_private_segment_size 0
		.amdhsa_wavefront_size32 1
		.amdhsa_uses_dynamic_stack 0
		.amdhsa_system_sgpr_private_segment_wavefront_offset 0
		.amdhsa_system_sgpr_workgroup_id_x 1
		.amdhsa_system_sgpr_workgroup_id_y 0
		.amdhsa_system_sgpr_workgroup_id_z 0
		.amdhsa_system_sgpr_workgroup_info 0
		.amdhsa_system_vgpr_workitem_id 0
		.amdhsa_next_free_vgpr 1
		.amdhsa_next_free_sgpr 1
		.amdhsa_reserve_vcc 0
		.amdhsa_reserve_flat_scratch 0
		.amdhsa_float_round_mode_32 0
		.amdhsa_float_round_mode_16_64 0
		.amdhsa_float_denorm_mode_32 3
		.amdhsa_float_denorm_mode_16_64 3
		.amdhsa_dx10_clamp 1
		.amdhsa_ieee_mode 1
		.amdhsa_fp16_overflow 0
		.amdhsa_workgroup_processor_mode 1
		.amdhsa_memory_ordered 1
		.amdhsa_forward_progress 1
		.amdhsa_shared_vgpr_count 0
		.amdhsa_exception_fp_ieee_invalid_op 0
		.amdhsa_exception_fp_denorm_src 0
		.amdhsa_exception_fp_ieee_div_zero 0
		.amdhsa_exception_fp_ieee_overflow 0
		.amdhsa_exception_fp_ieee_underflow 0
		.amdhsa_exception_fp_ieee_inexact 0
		.amdhsa_exception_int_div_zero 0
	.end_amdhsa_kernel
	.section	.text._ZN7rocprim17ROCPRIM_400000_NS6detail17trampoline_kernelINS0_14default_configENS1_27scan_by_key_config_selectorIj11FixedVectorIiLj4EEEEZZNS1_16scan_by_key_implILNS1_25lookback_scan_determinismE0ELb1ES3_N6thrust23THRUST_200600_302600_NS6detail15normal_iteratorINSB_10device_ptrIjEEEENSD_INSE_IS6_EEEESI_S6_NSB_4plusIvEENSB_8equal_toIvEES6_EE10hipError_tPvRmT2_T3_T4_T5_mT6_T7_P12ihipStream_tbENKUlT_T0_E_clISt17integral_constantIbLb1EES12_IbLb0EEEEDaSY_SZ_EUlSY_E_NS1_11comp_targetILNS1_3genE10ELNS1_11target_archE1200ELNS1_3gpuE4ELNS1_3repE0EEENS1_30default_config_static_selectorELNS0_4arch9wavefront6targetE0EEEvT1_,"axG",@progbits,_ZN7rocprim17ROCPRIM_400000_NS6detail17trampoline_kernelINS0_14default_configENS1_27scan_by_key_config_selectorIj11FixedVectorIiLj4EEEEZZNS1_16scan_by_key_implILNS1_25lookback_scan_determinismE0ELb1ES3_N6thrust23THRUST_200600_302600_NS6detail15normal_iteratorINSB_10device_ptrIjEEEENSD_INSE_IS6_EEEESI_S6_NSB_4plusIvEENSB_8equal_toIvEES6_EE10hipError_tPvRmT2_T3_T4_T5_mT6_T7_P12ihipStream_tbENKUlT_T0_E_clISt17integral_constantIbLb1EES12_IbLb0EEEEDaSY_SZ_EUlSY_E_NS1_11comp_targetILNS1_3genE10ELNS1_11target_archE1200ELNS1_3gpuE4ELNS1_3repE0EEENS1_30default_config_static_selectorELNS0_4arch9wavefront6targetE0EEEvT1_,comdat
.Lfunc_end2099:
	.size	_ZN7rocprim17ROCPRIM_400000_NS6detail17trampoline_kernelINS0_14default_configENS1_27scan_by_key_config_selectorIj11FixedVectorIiLj4EEEEZZNS1_16scan_by_key_implILNS1_25lookback_scan_determinismE0ELb1ES3_N6thrust23THRUST_200600_302600_NS6detail15normal_iteratorINSB_10device_ptrIjEEEENSD_INSE_IS6_EEEESI_S6_NSB_4plusIvEENSB_8equal_toIvEES6_EE10hipError_tPvRmT2_T3_T4_T5_mT6_T7_P12ihipStream_tbENKUlT_T0_E_clISt17integral_constantIbLb1EES12_IbLb0EEEEDaSY_SZ_EUlSY_E_NS1_11comp_targetILNS1_3genE10ELNS1_11target_archE1200ELNS1_3gpuE4ELNS1_3repE0EEENS1_30default_config_static_selectorELNS0_4arch9wavefront6targetE0EEEvT1_, .Lfunc_end2099-_ZN7rocprim17ROCPRIM_400000_NS6detail17trampoline_kernelINS0_14default_configENS1_27scan_by_key_config_selectorIj11FixedVectorIiLj4EEEEZZNS1_16scan_by_key_implILNS1_25lookback_scan_determinismE0ELb1ES3_N6thrust23THRUST_200600_302600_NS6detail15normal_iteratorINSB_10device_ptrIjEEEENSD_INSE_IS6_EEEESI_S6_NSB_4plusIvEENSB_8equal_toIvEES6_EE10hipError_tPvRmT2_T3_T4_T5_mT6_T7_P12ihipStream_tbENKUlT_T0_E_clISt17integral_constantIbLb1EES12_IbLb0EEEEDaSY_SZ_EUlSY_E_NS1_11comp_targetILNS1_3genE10ELNS1_11target_archE1200ELNS1_3gpuE4ELNS1_3repE0EEENS1_30default_config_static_selectorELNS0_4arch9wavefront6targetE0EEEvT1_
                                        ; -- End function
	.set _ZN7rocprim17ROCPRIM_400000_NS6detail17trampoline_kernelINS0_14default_configENS1_27scan_by_key_config_selectorIj11FixedVectorIiLj4EEEEZZNS1_16scan_by_key_implILNS1_25lookback_scan_determinismE0ELb1ES3_N6thrust23THRUST_200600_302600_NS6detail15normal_iteratorINSB_10device_ptrIjEEEENSD_INSE_IS6_EEEESI_S6_NSB_4plusIvEENSB_8equal_toIvEES6_EE10hipError_tPvRmT2_T3_T4_T5_mT6_T7_P12ihipStream_tbENKUlT_T0_E_clISt17integral_constantIbLb1EES12_IbLb0EEEEDaSY_SZ_EUlSY_E_NS1_11comp_targetILNS1_3genE10ELNS1_11target_archE1200ELNS1_3gpuE4ELNS1_3repE0EEENS1_30default_config_static_selectorELNS0_4arch9wavefront6targetE0EEEvT1_.num_vgpr, 0
	.set _ZN7rocprim17ROCPRIM_400000_NS6detail17trampoline_kernelINS0_14default_configENS1_27scan_by_key_config_selectorIj11FixedVectorIiLj4EEEEZZNS1_16scan_by_key_implILNS1_25lookback_scan_determinismE0ELb1ES3_N6thrust23THRUST_200600_302600_NS6detail15normal_iteratorINSB_10device_ptrIjEEEENSD_INSE_IS6_EEEESI_S6_NSB_4plusIvEENSB_8equal_toIvEES6_EE10hipError_tPvRmT2_T3_T4_T5_mT6_T7_P12ihipStream_tbENKUlT_T0_E_clISt17integral_constantIbLb1EES12_IbLb0EEEEDaSY_SZ_EUlSY_E_NS1_11comp_targetILNS1_3genE10ELNS1_11target_archE1200ELNS1_3gpuE4ELNS1_3repE0EEENS1_30default_config_static_selectorELNS0_4arch9wavefront6targetE0EEEvT1_.num_agpr, 0
	.set _ZN7rocprim17ROCPRIM_400000_NS6detail17trampoline_kernelINS0_14default_configENS1_27scan_by_key_config_selectorIj11FixedVectorIiLj4EEEEZZNS1_16scan_by_key_implILNS1_25lookback_scan_determinismE0ELb1ES3_N6thrust23THRUST_200600_302600_NS6detail15normal_iteratorINSB_10device_ptrIjEEEENSD_INSE_IS6_EEEESI_S6_NSB_4plusIvEENSB_8equal_toIvEES6_EE10hipError_tPvRmT2_T3_T4_T5_mT6_T7_P12ihipStream_tbENKUlT_T0_E_clISt17integral_constantIbLb1EES12_IbLb0EEEEDaSY_SZ_EUlSY_E_NS1_11comp_targetILNS1_3genE10ELNS1_11target_archE1200ELNS1_3gpuE4ELNS1_3repE0EEENS1_30default_config_static_selectorELNS0_4arch9wavefront6targetE0EEEvT1_.numbered_sgpr, 0
	.set _ZN7rocprim17ROCPRIM_400000_NS6detail17trampoline_kernelINS0_14default_configENS1_27scan_by_key_config_selectorIj11FixedVectorIiLj4EEEEZZNS1_16scan_by_key_implILNS1_25lookback_scan_determinismE0ELb1ES3_N6thrust23THRUST_200600_302600_NS6detail15normal_iteratorINSB_10device_ptrIjEEEENSD_INSE_IS6_EEEESI_S6_NSB_4plusIvEENSB_8equal_toIvEES6_EE10hipError_tPvRmT2_T3_T4_T5_mT6_T7_P12ihipStream_tbENKUlT_T0_E_clISt17integral_constantIbLb1EES12_IbLb0EEEEDaSY_SZ_EUlSY_E_NS1_11comp_targetILNS1_3genE10ELNS1_11target_archE1200ELNS1_3gpuE4ELNS1_3repE0EEENS1_30default_config_static_selectorELNS0_4arch9wavefront6targetE0EEEvT1_.num_named_barrier, 0
	.set _ZN7rocprim17ROCPRIM_400000_NS6detail17trampoline_kernelINS0_14default_configENS1_27scan_by_key_config_selectorIj11FixedVectorIiLj4EEEEZZNS1_16scan_by_key_implILNS1_25lookback_scan_determinismE0ELb1ES3_N6thrust23THRUST_200600_302600_NS6detail15normal_iteratorINSB_10device_ptrIjEEEENSD_INSE_IS6_EEEESI_S6_NSB_4plusIvEENSB_8equal_toIvEES6_EE10hipError_tPvRmT2_T3_T4_T5_mT6_T7_P12ihipStream_tbENKUlT_T0_E_clISt17integral_constantIbLb1EES12_IbLb0EEEEDaSY_SZ_EUlSY_E_NS1_11comp_targetILNS1_3genE10ELNS1_11target_archE1200ELNS1_3gpuE4ELNS1_3repE0EEENS1_30default_config_static_selectorELNS0_4arch9wavefront6targetE0EEEvT1_.private_seg_size, 0
	.set _ZN7rocprim17ROCPRIM_400000_NS6detail17trampoline_kernelINS0_14default_configENS1_27scan_by_key_config_selectorIj11FixedVectorIiLj4EEEEZZNS1_16scan_by_key_implILNS1_25lookback_scan_determinismE0ELb1ES3_N6thrust23THRUST_200600_302600_NS6detail15normal_iteratorINSB_10device_ptrIjEEEENSD_INSE_IS6_EEEESI_S6_NSB_4plusIvEENSB_8equal_toIvEES6_EE10hipError_tPvRmT2_T3_T4_T5_mT6_T7_P12ihipStream_tbENKUlT_T0_E_clISt17integral_constantIbLb1EES12_IbLb0EEEEDaSY_SZ_EUlSY_E_NS1_11comp_targetILNS1_3genE10ELNS1_11target_archE1200ELNS1_3gpuE4ELNS1_3repE0EEENS1_30default_config_static_selectorELNS0_4arch9wavefront6targetE0EEEvT1_.uses_vcc, 0
	.set _ZN7rocprim17ROCPRIM_400000_NS6detail17trampoline_kernelINS0_14default_configENS1_27scan_by_key_config_selectorIj11FixedVectorIiLj4EEEEZZNS1_16scan_by_key_implILNS1_25lookback_scan_determinismE0ELb1ES3_N6thrust23THRUST_200600_302600_NS6detail15normal_iteratorINSB_10device_ptrIjEEEENSD_INSE_IS6_EEEESI_S6_NSB_4plusIvEENSB_8equal_toIvEES6_EE10hipError_tPvRmT2_T3_T4_T5_mT6_T7_P12ihipStream_tbENKUlT_T0_E_clISt17integral_constantIbLb1EES12_IbLb0EEEEDaSY_SZ_EUlSY_E_NS1_11comp_targetILNS1_3genE10ELNS1_11target_archE1200ELNS1_3gpuE4ELNS1_3repE0EEENS1_30default_config_static_selectorELNS0_4arch9wavefront6targetE0EEEvT1_.uses_flat_scratch, 0
	.set _ZN7rocprim17ROCPRIM_400000_NS6detail17trampoline_kernelINS0_14default_configENS1_27scan_by_key_config_selectorIj11FixedVectorIiLj4EEEEZZNS1_16scan_by_key_implILNS1_25lookback_scan_determinismE0ELb1ES3_N6thrust23THRUST_200600_302600_NS6detail15normal_iteratorINSB_10device_ptrIjEEEENSD_INSE_IS6_EEEESI_S6_NSB_4plusIvEENSB_8equal_toIvEES6_EE10hipError_tPvRmT2_T3_T4_T5_mT6_T7_P12ihipStream_tbENKUlT_T0_E_clISt17integral_constantIbLb1EES12_IbLb0EEEEDaSY_SZ_EUlSY_E_NS1_11comp_targetILNS1_3genE10ELNS1_11target_archE1200ELNS1_3gpuE4ELNS1_3repE0EEENS1_30default_config_static_selectorELNS0_4arch9wavefront6targetE0EEEvT1_.has_dyn_sized_stack, 0
	.set _ZN7rocprim17ROCPRIM_400000_NS6detail17trampoline_kernelINS0_14default_configENS1_27scan_by_key_config_selectorIj11FixedVectorIiLj4EEEEZZNS1_16scan_by_key_implILNS1_25lookback_scan_determinismE0ELb1ES3_N6thrust23THRUST_200600_302600_NS6detail15normal_iteratorINSB_10device_ptrIjEEEENSD_INSE_IS6_EEEESI_S6_NSB_4plusIvEENSB_8equal_toIvEES6_EE10hipError_tPvRmT2_T3_T4_T5_mT6_T7_P12ihipStream_tbENKUlT_T0_E_clISt17integral_constantIbLb1EES12_IbLb0EEEEDaSY_SZ_EUlSY_E_NS1_11comp_targetILNS1_3genE10ELNS1_11target_archE1200ELNS1_3gpuE4ELNS1_3repE0EEENS1_30default_config_static_selectorELNS0_4arch9wavefront6targetE0EEEvT1_.has_recursion, 0
	.set _ZN7rocprim17ROCPRIM_400000_NS6detail17trampoline_kernelINS0_14default_configENS1_27scan_by_key_config_selectorIj11FixedVectorIiLj4EEEEZZNS1_16scan_by_key_implILNS1_25lookback_scan_determinismE0ELb1ES3_N6thrust23THRUST_200600_302600_NS6detail15normal_iteratorINSB_10device_ptrIjEEEENSD_INSE_IS6_EEEESI_S6_NSB_4plusIvEENSB_8equal_toIvEES6_EE10hipError_tPvRmT2_T3_T4_T5_mT6_T7_P12ihipStream_tbENKUlT_T0_E_clISt17integral_constantIbLb1EES12_IbLb0EEEEDaSY_SZ_EUlSY_E_NS1_11comp_targetILNS1_3genE10ELNS1_11target_archE1200ELNS1_3gpuE4ELNS1_3repE0EEENS1_30default_config_static_selectorELNS0_4arch9wavefront6targetE0EEEvT1_.has_indirect_call, 0
	.section	.AMDGPU.csdata,"",@progbits
; Kernel info:
; codeLenInByte = 0
; TotalNumSgprs: 0
; NumVgprs: 0
; ScratchSize: 0
; MemoryBound: 0
; FloatMode: 240
; IeeeMode: 1
; LDSByteSize: 0 bytes/workgroup (compile time only)
; SGPRBlocks: 0
; VGPRBlocks: 0
; NumSGPRsForWavesPerEU: 1
; NumVGPRsForWavesPerEU: 1
; Occupancy: 16
; WaveLimiterHint : 0
; COMPUTE_PGM_RSRC2:SCRATCH_EN: 0
; COMPUTE_PGM_RSRC2:USER_SGPR: 6
; COMPUTE_PGM_RSRC2:TRAP_HANDLER: 0
; COMPUTE_PGM_RSRC2:TGID_X_EN: 1
; COMPUTE_PGM_RSRC2:TGID_Y_EN: 0
; COMPUTE_PGM_RSRC2:TGID_Z_EN: 0
; COMPUTE_PGM_RSRC2:TIDIG_COMP_CNT: 0
	.section	.text._ZN7rocprim17ROCPRIM_400000_NS6detail17trampoline_kernelINS0_14default_configENS1_27scan_by_key_config_selectorIj11FixedVectorIiLj4EEEEZZNS1_16scan_by_key_implILNS1_25lookback_scan_determinismE0ELb1ES3_N6thrust23THRUST_200600_302600_NS6detail15normal_iteratorINSB_10device_ptrIjEEEENSD_INSE_IS6_EEEESI_S6_NSB_4plusIvEENSB_8equal_toIvEES6_EE10hipError_tPvRmT2_T3_T4_T5_mT6_T7_P12ihipStream_tbENKUlT_T0_E_clISt17integral_constantIbLb1EES12_IbLb0EEEEDaSY_SZ_EUlSY_E_NS1_11comp_targetILNS1_3genE9ELNS1_11target_archE1100ELNS1_3gpuE3ELNS1_3repE0EEENS1_30default_config_static_selectorELNS0_4arch9wavefront6targetE0EEEvT1_,"axG",@progbits,_ZN7rocprim17ROCPRIM_400000_NS6detail17trampoline_kernelINS0_14default_configENS1_27scan_by_key_config_selectorIj11FixedVectorIiLj4EEEEZZNS1_16scan_by_key_implILNS1_25lookback_scan_determinismE0ELb1ES3_N6thrust23THRUST_200600_302600_NS6detail15normal_iteratorINSB_10device_ptrIjEEEENSD_INSE_IS6_EEEESI_S6_NSB_4plusIvEENSB_8equal_toIvEES6_EE10hipError_tPvRmT2_T3_T4_T5_mT6_T7_P12ihipStream_tbENKUlT_T0_E_clISt17integral_constantIbLb1EES12_IbLb0EEEEDaSY_SZ_EUlSY_E_NS1_11comp_targetILNS1_3genE9ELNS1_11target_archE1100ELNS1_3gpuE3ELNS1_3repE0EEENS1_30default_config_static_selectorELNS0_4arch9wavefront6targetE0EEEvT1_,comdat
	.protected	_ZN7rocprim17ROCPRIM_400000_NS6detail17trampoline_kernelINS0_14default_configENS1_27scan_by_key_config_selectorIj11FixedVectorIiLj4EEEEZZNS1_16scan_by_key_implILNS1_25lookback_scan_determinismE0ELb1ES3_N6thrust23THRUST_200600_302600_NS6detail15normal_iteratorINSB_10device_ptrIjEEEENSD_INSE_IS6_EEEESI_S6_NSB_4plusIvEENSB_8equal_toIvEES6_EE10hipError_tPvRmT2_T3_T4_T5_mT6_T7_P12ihipStream_tbENKUlT_T0_E_clISt17integral_constantIbLb1EES12_IbLb0EEEEDaSY_SZ_EUlSY_E_NS1_11comp_targetILNS1_3genE9ELNS1_11target_archE1100ELNS1_3gpuE3ELNS1_3repE0EEENS1_30default_config_static_selectorELNS0_4arch9wavefront6targetE0EEEvT1_ ; -- Begin function _ZN7rocprim17ROCPRIM_400000_NS6detail17trampoline_kernelINS0_14default_configENS1_27scan_by_key_config_selectorIj11FixedVectorIiLj4EEEEZZNS1_16scan_by_key_implILNS1_25lookback_scan_determinismE0ELb1ES3_N6thrust23THRUST_200600_302600_NS6detail15normal_iteratorINSB_10device_ptrIjEEEENSD_INSE_IS6_EEEESI_S6_NSB_4plusIvEENSB_8equal_toIvEES6_EE10hipError_tPvRmT2_T3_T4_T5_mT6_T7_P12ihipStream_tbENKUlT_T0_E_clISt17integral_constantIbLb1EES12_IbLb0EEEEDaSY_SZ_EUlSY_E_NS1_11comp_targetILNS1_3genE9ELNS1_11target_archE1100ELNS1_3gpuE3ELNS1_3repE0EEENS1_30default_config_static_selectorELNS0_4arch9wavefront6targetE0EEEvT1_
	.globl	_ZN7rocprim17ROCPRIM_400000_NS6detail17trampoline_kernelINS0_14default_configENS1_27scan_by_key_config_selectorIj11FixedVectorIiLj4EEEEZZNS1_16scan_by_key_implILNS1_25lookback_scan_determinismE0ELb1ES3_N6thrust23THRUST_200600_302600_NS6detail15normal_iteratorINSB_10device_ptrIjEEEENSD_INSE_IS6_EEEESI_S6_NSB_4plusIvEENSB_8equal_toIvEES6_EE10hipError_tPvRmT2_T3_T4_T5_mT6_T7_P12ihipStream_tbENKUlT_T0_E_clISt17integral_constantIbLb1EES12_IbLb0EEEEDaSY_SZ_EUlSY_E_NS1_11comp_targetILNS1_3genE9ELNS1_11target_archE1100ELNS1_3gpuE3ELNS1_3repE0EEENS1_30default_config_static_selectorELNS0_4arch9wavefront6targetE0EEEvT1_
	.p2align	8
	.type	_ZN7rocprim17ROCPRIM_400000_NS6detail17trampoline_kernelINS0_14default_configENS1_27scan_by_key_config_selectorIj11FixedVectorIiLj4EEEEZZNS1_16scan_by_key_implILNS1_25lookback_scan_determinismE0ELb1ES3_N6thrust23THRUST_200600_302600_NS6detail15normal_iteratorINSB_10device_ptrIjEEEENSD_INSE_IS6_EEEESI_S6_NSB_4plusIvEENSB_8equal_toIvEES6_EE10hipError_tPvRmT2_T3_T4_T5_mT6_T7_P12ihipStream_tbENKUlT_T0_E_clISt17integral_constantIbLb1EES12_IbLb0EEEEDaSY_SZ_EUlSY_E_NS1_11comp_targetILNS1_3genE9ELNS1_11target_archE1100ELNS1_3gpuE3ELNS1_3repE0EEENS1_30default_config_static_selectorELNS0_4arch9wavefront6targetE0EEEvT1_,@function
_ZN7rocprim17ROCPRIM_400000_NS6detail17trampoline_kernelINS0_14default_configENS1_27scan_by_key_config_selectorIj11FixedVectorIiLj4EEEEZZNS1_16scan_by_key_implILNS1_25lookback_scan_determinismE0ELb1ES3_N6thrust23THRUST_200600_302600_NS6detail15normal_iteratorINSB_10device_ptrIjEEEENSD_INSE_IS6_EEEESI_S6_NSB_4plusIvEENSB_8equal_toIvEES6_EE10hipError_tPvRmT2_T3_T4_T5_mT6_T7_P12ihipStream_tbENKUlT_T0_E_clISt17integral_constantIbLb1EES12_IbLb0EEEEDaSY_SZ_EUlSY_E_NS1_11comp_targetILNS1_3genE9ELNS1_11target_archE1100ELNS1_3gpuE3ELNS1_3repE0EEENS1_30default_config_static_selectorELNS0_4arch9wavefront6targetE0EEEvT1_: ; @_ZN7rocprim17ROCPRIM_400000_NS6detail17trampoline_kernelINS0_14default_configENS1_27scan_by_key_config_selectorIj11FixedVectorIiLj4EEEEZZNS1_16scan_by_key_implILNS1_25lookback_scan_determinismE0ELb1ES3_N6thrust23THRUST_200600_302600_NS6detail15normal_iteratorINSB_10device_ptrIjEEEENSD_INSE_IS6_EEEESI_S6_NSB_4plusIvEENSB_8equal_toIvEES6_EE10hipError_tPvRmT2_T3_T4_T5_mT6_T7_P12ihipStream_tbENKUlT_T0_E_clISt17integral_constantIbLb1EES12_IbLb0EEEEDaSY_SZ_EUlSY_E_NS1_11comp_targetILNS1_3genE9ELNS1_11target_archE1100ELNS1_3gpuE3ELNS1_3repE0EEENS1_30default_config_static_selectorELNS0_4arch9wavefront6targetE0EEEvT1_
; %bb.0:
	.section	.rodata,"a",@progbits
	.p2align	6, 0x0
	.amdhsa_kernel _ZN7rocprim17ROCPRIM_400000_NS6detail17trampoline_kernelINS0_14default_configENS1_27scan_by_key_config_selectorIj11FixedVectorIiLj4EEEEZZNS1_16scan_by_key_implILNS1_25lookback_scan_determinismE0ELb1ES3_N6thrust23THRUST_200600_302600_NS6detail15normal_iteratorINSB_10device_ptrIjEEEENSD_INSE_IS6_EEEESI_S6_NSB_4plusIvEENSB_8equal_toIvEES6_EE10hipError_tPvRmT2_T3_T4_T5_mT6_T7_P12ihipStream_tbENKUlT_T0_E_clISt17integral_constantIbLb1EES12_IbLb0EEEEDaSY_SZ_EUlSY_E_NS1_11comp_targetILNS1_3genE9ELNS1_11target_archE1100ELNS1_3gpuE3ELNS1_3repE0EEENS1_30default_config_static_selectorELNS0_4arch9wavefront6targetE0EEEvT1_
		.amdhsa_group_segment_fixed_size 0
		.amdhsa_private_segment_fixed_size 0
		.amdhsa_kernarg_size 144
		.amdhsa_user_sgpr_count 6
		.amdhsa_user_sgpr_private_segment_buffer 1
		.amdhsa_user_sgpr_dispatch_ptr 0
		.amdhsa_user_sgpr_queue_ptr 0
		.amdhsa_user_sgpr_kernarg_segment_ptr 1
		.amdhsa_user_sgpr_dispatch_id 0
		.amdhsa_user_sgpr_flat_scratch_init 0
		.amdhsa_user_sgpr_private_segment_size 0
		.amdhsa_wavefront_size32 1
		.amdhsa_uses_dynamic_stack 0
		.amdhsa_system_sgpr_private_segment_wavefront_offset 0
		.amdhsa_system_sgpr_workgroup_id_x 1
		.amdhsa_system_sgpr_workgroup_id_y 0
		.amdhsa_system_sgpr_workgroup_id_z 0
		.amdhsa_system_sgpr_workgroup_info 0
		.amdhsa_system_vgpr_workitem_id 0
		.amdhsa_next_free_vgpr 1
		.amdhsa_next_free_sgpr 1
		.amdhsa_reserve_vcc 0
		.amdhsa_reserve_flat_scratch 0
		.amdhsa_float_round_mode_32 0
		.amdhsa_float_round_mode_16_64 0
		.amdhsa_float_denorm_mode_32 3
		.amdhsa_float_denorm_mode_16_64 3
		.amdhsa_dx10_clamp 1
		.amdhsa_ieee_mode 1
		.amdhsa_fp16_overflow 0
		.amdhsa_workgroup_processor_mode 1
		.amdhsa_memory_ordered 1
		.amdhsa_forward_progress 1
		.amdhsa_shared_vgpr_count 0
		.amdhsa_exception_fp_ieee_invalid_op 0
		.amdhsa_exception_fp_denorm_src 0
		.amdhsa_exception_fp_ieee_div_zero 0
		.amdhsa_exception_fp_ieee_overflow 0
		.amdhsa_exception_fp_ieee_underflow 0
		.amdhsa_exception_fp_ieee_inexact 0
		.amdhsa_exception_int_div_zero 0
	.end_amdhsa_kernel
	.section	.text._ZN7rocprim17ROCPRIM_400000_NS6detail17trampoline_kernelINS0_14default_configENS1_27scan_by_key_config_selectorIj11FixedVectorIiLj4EEEEZZNS1_16scan_by_key_implILNS1_25lookback_scan_determinismE0ELb1ES3_N6thrust23THRUST_200600_302600_NS6detail15normal_iteratorINSB_10device_ptrIjEEEENSD_INSE_IS6_EEEESI_S6_NSB_4plusIvEENSB_8equal_toIvEES6_EE10hipError_tPvRmT2_T3_T4_T5_mT6_T7_P12ihipStream_tbENKUlT_T0_E_clISt17integral_constantIbLb1EES12_IbLb0EEEEDaSY_SZ_EUlSY_E_NS1_11comp_targetILNS1_3genE9ELNS1_11target_archE1100ELNS1_3gpuE3ELNS1_3repE0EEENS1_30default_config_static_selectorELNS0_4arch9wavefront6targetE0EEEvT1_,"axG",@progbits,_ZN7rocprim17ROCPRIM_400000_NS6detail17trampoline_kernelINS0_14default_configENS1_27scan_by_key_config_selectorIj11FixedVectorIiLj4EEEEZZNS1_16scan_by_key_implILNS1_25lookback_scan_determinismE0ELb1ES3_N6thrust23THRUST_200600_302600_NS6detail15normal_iteratorINSB_10device_ptrIjEEEENSD_INSE_IS6_EEEESI_S6_NSB_4plusIvEENSB_8equal_toIvEES6_EE10hipError_tPvRmT2_T3_T4_T5_mT6_T7_P12ihipStream_tbENKUlT_T0_E_clISt17integral_constantIbLb1EES12_IbLb0EEEEDaSY_SZ_EUlSY_E_NS1_11comp_targetILNS1_3genE9ELNS1_11target_archE1100ELNS1_3gpuE3ELNS1_3repE0EEENS1_30default_config_static_selectorELNS0_4arch9wavefront6targetE0EEEvT1_,comdat
.Lfunc_end2100:
	.size	_ZN7rocprim17ROCPRIM_400000_NS6detail17trampoline_kernelINS0_14default_configENS1_27scan_by_key_config_selectorIj11FixedVectorIiLj4EEEEZZNS1_16scan_by_key_implILNS1_25lookback_scan_determinismE0ELb1ES3_N6thrust23THRUST_200600_302600_NS6detail15normal_iteratorINSB_10device_ptrIjEEEENSD_INSE_IS6_EEEESI_S6_NSB_4plusIvEENSB_8equal_toIvEES6_EE10hipError_tPvRmT2_T3_T4_T5_mT6_T7_P12ihipStream_tbENKUlT_T0_E_clISt17integral_constantIbLb1EES12_IbLb0EEEEDaSY_SZ_EUlSY_E_NS1_11comp_targetILNS1_3genE9ELNS1_11target_archE1100ELNS1_3gpuE3ELNS1_3repE0EEENS1_30default_config_static_selectorELNS0_4arch9wavefront6targetE0EEEvT1_, .Lfunc_end2100-_ZN7rocprim17ROCPRIM_400000_NS6detail17trampoline_kernelINS0_14default_configENS1_27scan_by_key_config_selectorIj11FixedVectorIiLj4EEEEZZNS1_16scan_by_key_implILNS1_25lookback_scan_determinismE0ELb1ES3_N6thrust23THRUST_200600_302600_NS6detail15normal_iteratorINSB_10device_ptrIjEEEENSD_INSE_IS6_EEEESI_S6_NSB_4plusIvEENSB_8equal_toIvEES6_EE10hipError_tPvRmT2_T3_T4_T5_mT6_T7_P12ihipStream_tbENKUlT_T0_E_clISt17integral_constantIbLb1EES12_IbLb0EEEEDaSY_SZ_EUlSY_E_NS1_11comp_targetILNS1_3genE9ELNS1_11target_archE1100ELNS1_3gpuE3ELNS1_3repE0EEENS1_30default_config_static_selectorELNS0_4arch9wavefront6targetE0EEEvT1_
                                        ; -- End function
	.set _ZN7rocprim17ROCPRIM_400000_NS6detail17trampoline_kernelINS0_14default_configENS1_27scan_by_key_config_selectorIj11FixedVectorIiLj4EEEEZZNS1_16scan_by_key_implILNS1_25lookback_scan_determinismE0ELb1ES3_N6thrust23THRUST_200600_302600_NS6detail15normal_iteratorINSB_10device_ptrIjEEEENSD_INSE_IS6_EEEESI_S6_NSB_4plusIvEENSB_8equal_toIvEES6_EE10hipError_tPvRmT2_T3_T4_T5_mT6_T7_P12ihipStream_tbENKUlT_T0_E_clISt17integral_constantIbLb1EES12_IbLb0EEEEDaSY_SZ_EUlSY_E_NS1_11comp_targetILNS1_3genE9ELNS1_11target_archE1100ELNS1_3gpuE3ELNS1_3repE0EEENS1_30default_config_static_selectorELNS0_4arch9wavefront6targetE0EEEvT1_.num_vgpr, 0
	.set _ZN7rocprim17ROCPRIM_400000_NS6detail17trampoline_kernelINS0_14default_configENS1_27scan_by_key_config_selectorIj11FixedVectorIiLj4EEEEZZNS1_16scan_by_key_implILNS1_25lookback_scan_determinismE0ELb1ES3_N6thrust23THRUST_200600_302600_NS6detail15normal_iteratorINSB_10device_ptrIjEEEENSD_INSE_IS6_EEEESI_S6_NSB_4plusIvEENSB_8equal_toIvEES6_EE10hipError_tPvRmT2_T3_T4_T5_mT6_T7_P12ihipStream_tbENKUlT_T0_E_clISt17integral_constantIbLb1EES12_IbLb0EEEEDaSY_SZ_EUlSY_E_NS1_11comp_targetILNS1_3genE9ELNS1_11target_archE1100ELNS1_3gpuE3ELNS1_3repE0EEENS1_30default_config_static_selectorELNS0_4arch9wavefront6targetE0EEEvT1_.num_agpr, 0
	.set _ZN7rocprim17ROCPRIM_400000_NS6detail17trampoline_kernelINS0_14default_configENS1_27scan_by_key_config_selectorIj11FixedVectorIiLj4EEEEZZNS1_16scan_by_key_implILNS1_25lookback_scan_determinismE0ELb1ES3_N6thrust23THRUST_200600_302600_NS6detail15normal_iteratorINSB_10device_ptrIjEEEENSD_INSE_IS6_EEEESI_S6_NSB_4plusIvEENSB_8equal_toIvEES6_EE10hipError_tPvRmT2_T3_T4_T5_mT6_T7_P12ihipStream_tbENKUlT_T0_E_clISt17integral_constantIbLb1EES12_IbLb0EEEEDaSY_SZ_EUlSY_E_NS1_11comp_targetILNS1_3genE9ELNS1_11target_archE1100ELNS1_3gpuE3ELNS1_3repE0EEENS1_30default_config_static_selectorELNS0_4arch9wavefront6targetE0EEEvT1_.numbered_sgpr, 0
	.set _ZN7rocprim17ROCPRIM_400000_NS6detail17trampoline_kernelINS0_14default_configENS1_27scan_by_key_config_selectorIj11FixedVectorIiLj4EEEEZZNS1_16scan_by_key_implILNS1_25lookback_scan_determinismE0ELb1ES3_N6thrust23THRUST_200600_302600_NS6detail15normal_iteratorINSB_10device_ptrIjEEEENSD_INSE_IS6_EEEESI_S6_NSB_4plusIvEENSB_8equal_toIvEES6_EE10hipError_tPvRmT2_T3_T4_T5_mT6_T7_P12ihipStream_tbENKUlT_T0_E_clISt17integral_constantIbLb1EES12_IbLb0EEEEDaSY_SZ_EUlSY_E_NS1_11comp_targetILNS1_3genE9ELNS1_11target_archE1100ELNS1_3gpuE3ELNS1_3repE0EEENS1_30default_config_static_selectorELNS0_4arch9wavefront6targetE0EEEvT1_.num_named_barrier, 0
	.set _ZN7rocprim17ROCPRIM_400000_NS6detail17trampoline_kernelINS0_14default_configENS1_27scan_by_key_config_selectorIj11FixedVectorIiLj4EEEEZZNS1_16scan_by_key_implILNS1_25lookback_scan_determinismE0ELb1ES3_N6thrust23THRUST_200600_302600_NS6detail15normal_iteratorINSB_10device_ptrIjEEEENSD_INSE_IS6_EEEESI_S6_NSB_4plusIvEENSB_8equal_toIvEES6_EE10hipError_tPvRmT2_T3_T4_T5_mT6_T7_P12ihipStream_tbENKUlT_T0_E_clISt17integral_constantIbLb1EES12_IbLb0EEEEDaSY_SZ_EUlSY_E_NS1_11comp_targetILNS1_3genE9ELNS1_11target_archE1100ELNS1_3gpuE3ELNS1_3repE0EEENS1_30default_config_static_selectorELNS0_4arch9wavefront6targetE0EEEvT1_.private_seg_size, 0
	.set _ZN7rocprim17ROCPRIM_400000_NS6detail17trampoline_kernelINS0_14default_configENS1_27scan_by_key_config_selectorIj11FixedVectorIiLj4EEEEZZNS1_16scan_by_key_implILNS1_25lookback_scan_determinismE0ELb1ES3_N6thrust23THRUST_200600_302600_NS6detail15normal_iteratorINSB_10device_ptrIjEEEENSD_INSE_IS6_EEEESI_S6_NSB_4plusIvEENSB_8equal_toIvEES6_EE10hipError_tPvRmT2_T3_T4_T5_mT6_T7_P12ihipStream_tbENKUlT_T0_E_clISt17integral_constantIbLb1EES12_IbLb0EEEEDaSY_SZ_EUlSY_E_NS1_11comp_targetILNS1_3genE9ELNS1_11target_archE1100ELNS1_3gpuE3ELNS1_3repE0EEENS1_30default_config_static_selectorELNS0_4arch9wavefront6targetE0EEEvT1_.uses_vcc, 0
	.set _ZN7rocprim17ROCPRIM_400000_NS6detail17trampoline_kernelINS0_14default_configENS1_27scan_by_key_config_selectorIj11FixedVectorIiLj4EEEEZZNS1_16scan_by_key_implILNS1_25lookback_scan_determinismE0ELb1ES3_N6thrust23THRUST_200600_302600_NS6detail15normal_iteratorINSB_10device_ptrIjEEEENSD_INSE_IS6_EEEESI_S6_NSB_4plusIvEENSB_8equal_toIvEES6_EE10hipError_tPvRmT2_T3_T4_T5_mT6_T7_P12ihipStream_tbENKUlT_T0_E_clISt17integral_constantIbLb1EES12_IbLb0EEEEDaSY_SZ_EUlSY_E_NS1_11comp_targetILNS1_3genE9ELNS1_11target_archE1100ELNS1_3gpuE3ELNS1_3repE0EEENS1_30default_config_static_selectorELNS0_4arch9wavefront6targetE0EEEvT1_.uses_flat_scratch, 0
	.set _ZN7rocprim17ROCPRIM_400000_NS6detail17trampoline_kernelINS0_14default_configENS1_27scan_by_key_config_selectorIj11FixedVectorIiLj4EEEEZZNS1_16scan_by_key_implILNS1_25lookback_scan_determinismE0ELb1ES3_N6thrust23THRUST_200600_302600_NS6detail15normal_iteratorINSB_10device_ptrIjEEEENSD_INSE_IS6_EEEESI_S6_NSB_4plusIvEENSB_8equal_toIvEES6_EE10hipError_tPvRmT2_T3_T4_T5_mT6_T7_P12ihipStream_tbENKUlT_T0_E_clISt17integral_constantIbLb1EES12_IbLb0EEEEDaSY_SZ_EUlSY_E_NS1_11comp_targetILNS1_3genE9ELNS1_11target_archE1100ELNS1_3gpuE3ELNS1_3repE0EEENS1_30default_config_static_selectorELNS0_4arch9wavefront6targetE0EEEvT1_.has_dyn_sized_stack, 0
	.set _ZN7rocprim17ROCPRIM_400000_NS6detail17trampoline_kernelINS0_14default_configENS1_27scan_by_key_config_selectorIj11FixedVectorIiLj4EEEEZZNS1_16scan_by_key_implILNS1_25lookback_scan_determinismE0ELb1ES3_N6thrust23THRUST_200600_302600_NS6detail15normal_iteratorINSB_10device_ptrIjEEEENSD_INSE_IS6_EEEESI_S6_NSB_4plusIvEENSB_8equal_toIvEES6_EE10hipError_tPvRmT2_T3_T4_T5_mT6_T7_P12ihipStream_tbENKUlT_T0_E_clISt17integral_constantIbLb1EES12_IbLb0EEEEDaSY_SZ_EUlSY_E_NS1_11comp_targetILNS1_3genE9ELNS1_11target_archE1100ELNS1_3gpuE3ELNS1_3repE0EEENS1_30default_config_static_selectorELNS0_4arch9wavefront6targetE0EEEvT1_.has_recursion, 0
	.set _ZN7rocprim17ROCPRIM_400000_NS6detail17trampoline_kernelINS0_14default_configENS1_27scan_by_key_config_selectorIj11FixedVectorIiLj4EEEEZZNS1_16scan_by_key_implILNS1_25lookback_scan_determinismE0ELb1ES3_N6thrust23THRUST_200600_302600_NS6detail15normal_iteratorINSB_10device_ptrIjEEEENSD_INSE_IS6_EEEESI_S6_NSB_4plusIvEENSB_8equal_toIvEES6_EE10hipError_tPvRmT2_T3_T4_T5_mT6_T7_P12ihipStream_tbENKUlT_T0_E_clISt17integral_constantIbLb1EES12_IbLb0EEEEDaSY_SZ_EUlSY_E_NS1_11comp_targetILNS1_3genE9ELNS1_11target_archE1100ELNS1_3gpuE3ELNS1_3repE0EEENS1_30default_config_static_selectorELNS0_4arch9wavefront6targetE0EEEvT1_.has_indirect_call, 0
	.section	.AMDGPU.csdata,"",@progbits
; Kernel info:
; codeLenInByte = 0
; TotalNumSgprs: 0
; NumVgprs: 0
; ScratchSize: 0
; MemoryBound: 0
; FloatMode: 240
; IeeeMode: 1
; LDSByteSize: 0 bytes/workgroup (compile time only)
; SGPRBlocks: 0
; VGPRBlocks: 0
; NumSGPRsForWavesPerEU: 1
; NumVGPRsForWavesPerEU: 1
; Occupancy: 16
; WaveLimiterHint : 0
; COMPUTE_PGM_RSRC2:SCRATCH_EN: 0
; COMPUTE_PGM_RSRC2:USER_SGPR: 6
; COMPUTE_PGM_RSRC2:TRAP_HANDLER: 0
; COMPUTE_PGM_RSRC2:TGID_X_EN: 1
; COMPUTE_PGM_RSRC2:TGID_Y_EN: 0
; COMPUTE_PGM_RSRC2:TGID_Z_EN: 0
; COMPUTE_PGM_RSRC2:TIDIG_COMP_CNT: 0
	.section	.text._ZN7rocprim17ROCPRIM_400000_NS6detail17trampoline_kernelINS0_14default_configENS1_27scan_by_key_config_selectorIj11FixedVectorIiLj4EEEEZZNS1_16scan_by_key_implILNS1_25lookback_scan_determinismE0ELb1ES3_N6thrust23THRUST_200600_302600_NS6detail15normal_iteratorINSB_10device_ptrIjEEEENSD_INSE_IS6_EEEESI_S6_NSB_4plusIvEENSB_8equal_toIvEES6_EE10hipError_tPvRmT2_T3_T4_T5_mT6_T7_P12ihipStream_tbENKUlT_T0_E_clISt17integral_constantIbLb1EES12_IbLb0EEEEDaSY_SZ_EUlSY_E_NS1_11comp_targetILNS1_3genE8ELNS1_11target_archE1030ELNS1_3gpuE2ELNS1_3repE0EEENS1_30default_config_static_selectorELNS0_4arch9wavefront6targetE0EEEvT1_,"axG",@progbits,_ZN7rocprim17ROCPRIM_400000_NS6detail17trampoline_kernelINS0_14default_configENS1_27scan_by_key_config_selectorIj11FixedVectorIiLj4EEEEZZNS1_16scan_by_key_implILNS1_25lookback_scan_determinismE0ELb1ES3_N6thrust23THRUST_200600_302600_NS6detail15normal_iteratorINSB_10device_ptrIjEEEENSD_INSE_IS6_EEEESI_S6_NSB_4plusIvEENSB_8equal_toIvEES6_EE10hipError_tPvRmT2_T3_T4_T5_mT6_T7_P12ihipStream_tbENKUlT_T0_E_clISt17integral_constantIbLb1EES12_IbLb0EEEEDaSY_SZ_EUlSY_E_NS1_11comp_targetILNS1_3genE8ELNS1_11target_archE1030ELNS1_3gpuE2ELNS1_3repE0EEENS1_30default_config_static_selectorELNS0_4arch9wavefront6targetE0EEEvT1_,comdat
	.protected	_ZN7rocprim17ROCPRIM_400000_NS6detail17trampoline_kernelINS0_14default_configENS1_27scan_by_key_config_selectorIj11FixedVectorIiLj4EEEEZZNS1_16scan_by_key_implILNS1_25lookback_scan_determinismE0ELb1ES3_N6thrust23THRUST_200600_302600_NS6detail15normal_iteratorINSB_10device_ptrIjEEEENSD_INSE_IS6_EEEESI_S6_NSB_4plusIvEENSB_8equal_toIvEES6_EE10hipError_tPvRmT2_T3_T4_T5_mT6_T7_P12ihipStream_tbENKUlT_T0_E_clISt17integral_constantIbLb1EES12_IbLb0EEEEDaSY_SZ_EUlSY_E_NS1_11comp_targetILNS1_3genE8ELNS1_11target_archE1030ELNS1_3gpuE2ELNS1_3repE0EEENS1_30default_config_static_selectorELNS0_4arch9wavefront6targetE0EEEvT1_ ; -- Begin function _ZN7rocprim17ROCPRIM_400000_NS6detail17trampoline_kernelINS0_14default_configENS1_27scan_by_key_config_selectorIj11FixedVectorIiLj4EEEEZZNS1_16scan_by_key_implILNS1_25lookback_scan_determinismE0ELb1ES3_N6thrust23THRUST_200600_302600_NS6detail15normal_iteratorINSB_10device_ptrIjEEEENSD_INSE_IS6_EEEESI_S6_NSB_4plusIvEENSB_8equal_toIvEES6_EE10hipError_tPvRmT2_T3_T4_T5_mT6_T7_P12ihipStream_tbENKUlT_T0_E_clISt17integral_constantIbLb1EES12_IbLb0EEEEDaSY_SZ_EUlSY_E_NS1_11comp_targetILNS1_3genE8ELNS1_11target_archE1030ELNS1_3gpuE2ELNS1_3repE0EEENS1_30default_config_static_selectorELNS0_4arch9wavefront6targetE0EEEvT1_
	.globl	_ZN7rocprim17ROCPRIM_400000_NS6detail17trampoline_kernelINS0_14default_configENS1_27scan_by_key_config_selectorIj11FixedVectorIiLj4EEEEZZNS1_16scan_by_key_implILNS1_25lookback_scan_determinismE0ELb1ES3_N6thrust23THRUST_200600_302600_NS6detail15normal_iteratorINSB_10device_ptrIjEEEENSD_INSE_IS6_EEEESI_S6_NSB_4plusIvEENSB_8equal_toIvEES6_EE10hipError_tPvRmT2_T3_T4_T5_mT6_T7_P12ihipStream_tbENKUlT_T0_E_clISt17integral_constantIbLb1EES12_IbLb0EEEEDaSY_SZ_EUlSY_E_NS1_11comp_targetILNS1_3genE8ELNS1_11target_archE1030ELNS1_3gpuE2ELNS1_3repE0EEENS1_30default_config_static_selectorELNS0_4arch9wavefront6targetE0EEEvT1_
	.p2align	8
	.type	_ZN7rocprim17ROCPRIM_400000_NS6detail17trampoline_kernelINS0_14default_configENS1_27scan_by_key_config_selectorIj11FixedVectorIiLj4EEEEZZNS1_16scan_by_key_implILNS1_25lookback_scan_determinismE0ELb1ES3_N6thrust23THRUST_200600_302600_NS6detail15normal_iteratorINSB_10device_ptrIjEEEENSD_INSE_IS6_EEEESI_S6_NSB_4plusIvEENSB_8equal_toIvEES6_EE10hipError_tPvRmT2_T3_T4_T5_mT6_T7_P12ihipStream_tbENKUlT_T0_E_clISt17integral_constantIbLb1EES12_IbLb0EEEEDaSY_SZ_EUlSY_E_NS1_11comp_targetILNS1_3genE8ELNS1_11target_archE1030ELNS1_3gpuE2ELNS1_3repE0EEENS1_30default_config_static_selectorELNS0_4arch9wavefront6targetE0EEEvT1_,@function
_ZN7rocprim17ROCPRIM_400000_NS6detail17trampoline_kernelINS0_14default_configENS1_27scan_by_key_config_selectorIj11FixedVectorIiLj4EEEEZZNS1_16scan_by_key_implILNS1_25lookback_scan_determinismE0ELb1ES3_N6thrust23THRUST_200600_302600_NS6detail15normal_iteratorINSB_10device_ptrIjEEEENSD_INSE_IS6_EEEESI_S6_NSB_4plusIvEENSB_8equal_toIvEES6_EE10hipError_tPvRmT2_T3_T4_T5_mT6_T7_P12ihipStream_tbENKUlT_T0_E_clISt17integral_constantIbLb1EES12_IbLb0EEEEDaSY_SZ_EUlSY_E_NS1_11comp_targetILNS1_3genE8ELNS1_11target_archE1030ELNS1_3gpuE2ELNS1_3repE0EEENS1_30default_config_static_selectorELNS0_4arch9wavefront6targetE0EEEvT1_: ; @_ZN7rocprim17ROCPRIM_400000_NS6detail17trampoline_kernelINS0_14default_configENS1_27scan_by_key_config_selectorIj11FixedVectorIiLj4EEEEZZNS1_16scan_by_key_implILNS1_25lookback_scan_determinismE0ELb1ES3_N6thrust23THRUST_200600_302600_NS6detail15normal_iteratorINSB_10device_ptrIjEEEENSD_INSE_IS6_EEEESI_S6_NSB_4plusIvEENSB_8equal_toIvEES6_EE10hipError_tPvRmT2_T3_T4_T5_mT6_T7_P12ihipStream_tbENKUlT_T0_E_clISt17integral_constantIbLb1EES12_IbLb0EEEEDaSY_SZ_EUlSY_E_NS1_11comp_targetILNS1_3genE8ELNS1_11target_archE1030ELNS1_3gpuE2ELNS1_3repE0EEENS1_30default_config_static_selectorELNS0_4arch9wavefront6targetE0EEEvT1_
; %bb.0:
	s_endpgm
	.section	.rodata,"a",@progbits
	.p2align	6, 0x0
	.amdhsa_kernel _ZN7rocprim17ROCPRIM_400000_NS6detail17trampoline_kernelINS0_14default_configENS1_27scan_by_key_config_selectorIj11FixedVectorIiLj4EEEEZZNS1_16scan_by_key_implILNS1_25lookback_scan_determinismE0ELb1ES3_N6thrust23THRUST_200600_302600_NS6detail15normal_iteratorINSB_10device_ptrIjEEEENSD_INSE_IS6_EEEESI_S6_NSB_4plusIvEENSB_8equal_toIvEES6_EE10hipError_tPvRmT2_T3_T4_T5_mT6_T7_P12ihipStream_tbENKUlT_T0_E_clISt17integral_constantIbLb1EES12_IbLb0EEEEDaSY_SZ_EUlSY_E_NS1_11comp_targetILNS1_3genE8ELNS1_11target_archE1030ELNS1_3gpuE2ELNS1_3repE0EEENS1_30default_config_static_selectorELNS0_4arch9wavefront6targetE0EEEvT1_
		.amdhsa_group_segment_fixed_size 0
		.amdhsa_private_segment_fixed_size 0
		.amdhsa_kernarg_size 144
		.amdhsa_user_sgpr_count 6
		.amdhsa_user_sgpr_private_segment_buffer 1
		.amdhsa_user_sgpr_dispatch_ptr 0
		.amdhsa_user_sgpr_queue_ptr 0
		.amdhsa_user_sgpr_kernarg_segment_ptr 1
		.amdhsa_user_sgpr_dispatch_id 0
		.amdhsa_user_sgpr_flat_scratch_init 0
		.amdhsa_user_sgpr_private_segment_size 0
		.amdhsa_wavefront_size32 1
		.amdhsa_uses_dynamic_stack 0
		.amdhsa_system_sgpr_private_segment_wavefront_offset 0
		.amdhsa_system_sgpr_workgroup_id_x 1
		.amdhsa_system_sgpr_workgroup_id_y 0
		.amdhsa_system_sgpr_workgroup_id_z 0
		.amdhsa_system_sgpr_workgroup_info 0
		.amdhsa_system_vgpr_workitem_id 0
		.amdhsa_next_free_vgpr 1
		.amdhsa_next_free_sgpr 1
		.amdhsa_reserve_vcc 0
		.amdhsa_reserve_flat_scratch 0
		.amdhsa_float_round_mode_32 0
		.amdhsa_float_round_mode_16_64 0
		.amdhsa_float_denorm_mode_32 3
		.amdhsa_float_denorm_mode_16_64 3
		.amdhsa_dx10_clamp 1
		.amdhsa_ieee_mode 1
		.amdhsa_fp16_overflow 0
		.amdhsa_workgroup_processor_mode 1
		.amdhsa_memory_ordered 1
		.amdhsa_forward_progress 1
		.amdhsa_shared_vgpr_count 0
		.amdhsa_exception_fp_ieee_invalid_op 0
		.amdhsa_exception_fp_denorm_src 0
		.amdhsa_exception_fp_ieee_div_zero 0
		.amdhsa_exception_fp_ieee_overflow 0
		.amdhsa_exception_fp_ieee_underflow 0
		.amdhsa_exception_fp_ieee_inexact 0
		.amdhsa_exception_int_div_zero 0
	.end_amdhsa_kernel
	.section	.text._ZN7rocprim17ROCPRIM_400000_NS6detail17trampoline_kernelINS0_14default_configENS1_27scan_by_key_config_selectorIj11FixedVectorIiLj4EEEEZZNS1_16scan_by_key_implILNS1_25lookback_scan_determinismE0ELb1ES3_N6thrust23THRUST_200600_302600_NS6detail15normal_iteratorINSB_10device_ptrIjEEEENSD_INSE_IS6_EEEESI_S6_NSB_4plusIvEENSB_8equal_toIvEES6_EE10hipError_tPvRmT2_T3_T4_T5_mT6_T7_P12ihipStream_tbENKUlT_T0_E_clISt17integral_constantIbLb1EES12_IbLb0EEEEDaSY_SZ_EUlSY_E_NS1_11comp_targetILNS1_3genE8ELNS1_11target_archE1030ELNS1_3gpuE2ELNS1_3repE0EEENS1_30default_config_static_selectorELNS0_4arch9wavefront6targetE0EEEvT1_,"axG",@progbits,_ZN7rocprim17ROCPRIM_400000_NS6detail17trampoline_kernelINS0_14default_configENS1_27scan_by_key_config_selectorIj11FixedVectorIiLj4EEEEZZNS1_16scan_by_key_implILNS1_25lookback_scan_determinismE0ELb1ES3_N6thrust23THRUST_200600_302600_NS6detail15normal_iteratorINSB_10device_ptrIjEEEENSD_INSE_IS6_EEEESI_S6_NSB_4plusIvEENSB_8equal_toIvEES6_EE10hipError_tPvRmT2_T3_T4_T5_mT6_T7_P12ihipStream_tbENKUlT_T0_E_clISt17integral_constantIbLb1EES12_IbLb0EEEEDaSY_SZ_EUlSY_E_NS1_11comp_targetILNS1_3genE8ELNS1_11target_archE1030ELNS1_3gpuE2ELNS1_3repE0EEENS1_30default_config_static_selectorELNS0_4arch9wavefront6targetE0EEEvT1_,comdat
.Lfunc_end2101:
	.size	_ZN7rocprim17ROCPRIM_400000_NS6detail17trampoline_kernelINS0_14default_configENS1_27scan_by_key_config_selectorIj11FixedVectorIiLj4EEEEZZNS1_16scan_by_key_implILNS1_25lookback_scan_determinismE0ELb1ES3_N6thrust23THRUST_200600_302600_NS6detail15normal_iteratorINSB_10device_ptrIjEEEENSD_INSE_IS6_EEEESI_S6_NSB_4plusIvEENSB_8equal_toIvEES6_EE10hipError_tPvRmT2_T3_T4_T5_mT6_T7_P12ihipStream_tbENKUlT_T0_E_clISt17integral_constantIbLb1EES12_IbLb0EEEEDaSY_SZ_EUlSY_E_NS1_11comp_targetILNS1_3genE8ELNS1_11target_archE1030ELNS1_3gpuE2ELNS1_3repE0EEENS1_30default_config_static_selectorELNS0_4arch9wavefront6targetE0EEEvT1_, .Lfunc_end2101-_ZN7rocprim17ROCPRIM_400000_NS6detail17trampoline_kernelINS0_14default_configENS1_27scan_by_key_config_selectorIj11FixedVectorIiLj4EEEEZZNS1_16scan_by_key_implILNS1_25lookback_scan_determinismE0ELb1ES3_N6thrust23THRUST_200600_302600_NS6detail15normal_iteratorINSB_10device_ptrIjEEEENSD_INSE_IS6_EEEESI_S6_NSB_4plusIvEENSB_8equal_toIvEES6_EE10hipError_tPvRmT2_T3_T4_T5_mT6_T7_P12ihipStream_tbENKUlT_T0_E_clISt17integral_constantIbLb1EES12_IbLb0EEEEDaSY_SZ_EUlSY_E_NS1_11comp_targetILNS1_3genE8ELNS1_11target_archE1030ELNS1_3gpuE2ELNS1_3repE0EEENS1_30default_config_static_selectorELNS0_4arch9wavefront6targetE0EEEvT1_
                                        ; -- End function
	.set _ZN7rocprim17ROCPRIM_400000_NS6detail17trampoline_kernelINS0_14default_configENS1_27scan_by_key_config_selectorIj11FixedVectorIiLj4EEEEZZNS1_16scan_by_key_implILNS1_25lookback_scan_determinismE0ELb1ES3_N6thrust23THRUST_200600_302600_NS6detail15normal_iteratorINSB_10device_ptrIjEEEENSD_INSE_IS6_EEEESI_S6_NSB_4plusIvEENSB_8equal_toIvEES6_EE10hipError_tPvRmT2_T3_T4_T5_mT6_T7_P12ihipStream_tbENKUlT_T0_E_clISt17integral_constantIbLb1EES12_IbLb0EEEEDaSY_SZ_EUlSY_E_NS1_11comp_targetILNS1_3genE8ELNS1_11target_archE1030ELNS1_3gpuE2ELNS1_3repE0EEENS1_30default_config_static_selectorELNS0_4arch9wavefront6targetE0EEEvT1_.num_vgpr, 0
	.set _ZN7rocprim17ROCPRIM_400000_NS6detail17trampoline_kernelINS0_14default_configENS1_27scan_by_key_config_selectorIj11FixedVectorIiLj4EEEEZZNS1_16scan_by_key_implILNS1_25lookback_scan_determinismE0ELb1ES3_N6thrust23THRUST_200600_302600_NS6detail15normal_iteratorINSB_10device_ptrIjEEEENSD_INSE_IS6_EEEESI_S6_NSB_4plusIvEENSB_8equal_toIvEES6_EE10hipError_tPvRmT2_T3_T4_T5_mT6_T7_P12ihipStream_tbENKUlT_T0_E_clISt17integral_constantIbLb1EES12_IbLb0EEEEDaSY_SZ_EUlSY_E_NS1_11comp_targetILNS1_3genE8ELNS1_11target_archE1030ELNS1_3gpuE2ELNS1_3repE0EEENS1_30default_config_static_selectorELNS0_4arch9wavefront6targetE0EEEvT1_.num_agpr, 0
	.set _ZN7rocprim17ROCPRIM_400000_NS6detail17trampoline_kernelINS0_14default_configENS1_27scan_by_key_config_selectorIj11FixedVectorIiLj4EEEEZZNS1_16scan_by_key_implILNS1_25lookback_scan_determinismE0ELb1ES3_N6thrust23THRUST_200600_302600_NS6detail15normal_iteratorINSB_10device_ptrIjEEEENSD_INSE_IS6_EEEESI_S6_NSB_4plusIvEENSB_8equal_toIvEES6_EE10hipError_tPvRmT2_T3_T4_T5_mT6_T7_P12ihipStream_tbENKUlT_T0_E_clISt17integral_constantIbLb1EES12_IbLb0EEEEDaSY_SZ_EUlSY_E_NS1_11comp_targetILNS1_3genE8ELNS1_11target_archE1030ELNS1_3gpuE2ELNS1_3repE0EEENS1_30default_config_static_selectorELNS0_4arch9wavefront6targetE0EEEvT1_.numbered_sgpr, 0
	.set _ZN7rocprim17ROCPRIM_400000_NS6detail17trampoline_kernelINS0_14default_configENS1_27scan_by_key_config_selectorIj11FixedVectorIiLj4EEEEZZNS1_16scan_by_key_implILNS1_25lookback_scan_determinismE0ELb1ES3_N6thrust23THRUST_200600_302600_NS6detail15normal_iteratorINSB_10device_ptrIjEEEENSD_INSE_IS6_EEEESI_S6_NSB_4plusIvEENSB_8equal_toIvEES6_EE10hipError_tPvRmT2_T3_T4_T5_mT6_T7_P12ihipStream_tbENKUlT_T0_E_clISt17integral_constantIbLb1EES12_IbLb0EEEEDaSY_SZ_EUlSY_E_NS1_11comp_targetILNS1_3genE8ELNS1_11target_archE1030ELNS1_3gpuE2ELNS1_3repE0EEENS1_30default_config_static_selectorELNS0_4arch9wavefront6targetE0EEEvT1_.num_named_barrier, 0
	.set _ZN7rocprim17ROCPRIM_400000_NS6detail17trampoline_kernelINS0_14default_configENS1_27scan_by_key_config_selectorIj11FixedVectorIiLj4EEEEZZNS1_16scan_by_key_implILNS1_25lookback_scan_determinismE0ELb1ES3_N6thrust23THRUST_200600_302600_NS6detail15normal_iteratorINSB_10device_ptrIjEEEENSD_INSE_IS6_EEEESI_S6_NSB_4plusIvEENSB_8equal_toIvEES6_EE10hipError_tPvRmT2_T3_T4_T5_mT6_T7_P12ihipStream_tbENKUlT_T0_E_clISt17integral_constantIbLb1EES12_IbLb0EEEEDaSY_SZ_EUlSY_E_NS1_11comp_targetILNS1_3genE8ELNS1_11target_archE1030ELNS1_3gpuE2ELNS1_3repE0EEENS1_30default_config_static_selectorELNS0_4arch9wavefront6targetE0EEEvT1_.private_seg_size, 0
	.set _ZN7rocprim17ROCPRIM_400000_NS6detail17trampoline_kernelINS0_14default_configENS1_27scan_by_key_config_selectorIj11FixedVectorIiLj4EEEEZZNS1_16scan_by_key_implILNS1_25lookback_scan_determinismE0ELb1ES3_N6thrust23THRUST_200600_302600_NS6detail15normal_iteratorINSB_10device_ptrIjEEEENSD_INSE_IS6_EEEESI_S6_NSB_4plusIvEENSB_8equal_toIvEES6_EE10hipError_tPvRmT2_T3_T4_T5_mT6_T7_P12ihipStream_tbENKUlT_T0_E_clISt17integral_constantIbLb1EES12_IbLb0EEEEDaSY_SZ_EUlSY_E_NS1_11comp_targetILNS1_3genE8ELNS1_11target_archE1030ELNS1_3gpuE2ELNS1_3repE0EEENS1_30default_config_static_selectorELNS0_4arch9wavefront6targetE0EEEvT1_.uses_vcc, 0
	.set _ZN7rocprim17ROCPRIM_400000_NS6detail17trampoline_kernelINS0_14default_configENS1_27scan_by_key_config_selectorIj11FixedVectorIiLj4EEEEZZNS1_16scan_by_key_implILNS1_25lookback_scan_determinismE0ELb1ES3_N6thrust23THRUST_200600_302600_NS6detail15normal_iteratorINSB_10device_ptrIjEEEENSD_INSE_IS6_EEEESI_S6_NSB_4plusIvEENSB_8equal_toIvEES6_EE10hipError_tPvRmT2_T3_T4_T5_mT6_T7_P12ihipStream_tbENKUlT_T0_E_clISt17integral_constantIbLb1EES12_IbLb0EEEEDaSY_SZ_EUlSY_E_NS1_11comp_targetILNS1_3genE8ELNS1_11target_archE1030ELNS1_3gpuE2ELNS1_3repE0EEENS1_30default_config_static_selectorELNS0_4arch9wavefront6targetE0EEEvT1_.uses_flat_scratch, 0
	.set _ZN7rocprim17ROCPRIM_400000_NS6detail17trampoline_kernelINS0_14default_configENS1_27scan_by_key_config_selectorIj11FixedVectorIiLj4EEEEZZNS1_16scan_by_key_implILNS1_25lookback_scan_determinismE0ELb1ES3_N6thrust23THRUST_200600_302600_NS6detail15normal_iteratorINSB_10device_ptrIjEEEENSD_INSE_IS6_EEEESI_S6_NSB_4plusIvEENSB_8equal_toIvEES6_EE10hipError_tPvRmT2_T3_T4_T5_mT6_T7_P12ihipStream_tbENKUlT_T0_E_clISt17integral_constantIbLb1EES12_IbLb0EEEEDaSY_SZ_EUlSY_E_NS1_11comp_targetILNS1_3genE8ELNS1_11target_archE1030ELNS1_3gpuE2ELNS1_3repE0EEENS1_30default_config_static_selectorELNS0_4arch9wavefront6targetE0EEEvT1_.has_dyn_sized_stack, 0
	.set _ZN7rocprim17ROCPRIM_400000_NS6detail17trampoline_kernelINS0_14default_configENS1_27scan_by_key_config_selectorIj11FixedVectorIiLj4EEEEZZNS1_16scan_by_key_implILNS1_25lookback_scan_determinismE0ELb1ES3_N6thrust23THRUST_200600_302600_NS6detail15normal_iteratorINSB_10device_ptrIjEEEENSD_INSE_IS6_EEEESI_S6_NSB_4plusIvEENSB_8equal_toIvEES6_EE10hipError_tPvRmT2_T3_T4_T5_mT6_T7_P12ihipStream_tbENKUlT_T0_E_clISt17integral_constantIbLb1EES12_IbLb0EEEEDaSY_SZ_EUlSY_E_NS1_11comp_targetILNS1_3genE8ELNS1_11target_archE1030ELNS1_3gpuE2ELNS1_3repE0EEENS1_30default_config_static_selectorELNS0_4arch9wavefront6targetE0EEEvT1_.has_recursion, 0
	.set _ZN7rocprim17ROCPRIM_400000_NS6detail17trampoline_kernelINS0_14default_configENS1_27scan_by_key_config_selectorIj11FixedVectorIiLj4EEEEZZNS1_16scan_by_key_implILNS1_25lookback_scan_determinismE0ELb1ES3_N6thrust23THRUST_200600_302600_NS6detail15normal_iteratorINSB_10device_ptrIjEEEENSD_INSE_IS6_EEEESI_S6_NSB_4plusIvEENSB_8equal_toIvEES6_EE10hipError_tPvRmT2_T3_T4_T5_mT6_T7_P12ihipStream_tbENKUlT_T0_E_clISt17integral_constantIbLb1EES12_IbLb0EEEEDaSY_SZ_EUlSY_E_NS1_11comp_targetILNS1_3genE8ELNS1_11target_archE1030ELNS1_3gpuE2ELNS1_3repE0EEENS1_30default_config_static_selectorELNS0_4arch9wavefront6targetE0EEEvT1_.has_indirect_call, 0
	.section	.AMDGPU.csdata,"",@progbits
; Kernel info:
; codeLenInByte = 4
; TotalNumSgprs: 0
; NumVgprs: 0
; ScratchSize: 0
; MemoryBound: 0
; FloatMode: 240
; IeeeMode: 1
; LDSByteSize: 0 bytes/workgroup (compile time only)
; SGPRBlocks: 0
; VGPRBlocks: 0
; NumSGPRsForWavesPerEU: 1
; NumVGPRsForWavesPerEU: 1
; Occupancy: 16
; WaveLimiterHint : 0
; COMPUTE_PGM_RSRC2:SCRATCH_EN: 0
; COMPUTE_PGM_RSRC2:USER_SGPR: 6
; COMPUTE_PGM_RSRC2:TRAP_HANDLER: 0
; COMPUTE_PGM_RSRC2:TGID_X_EN: 1
; COMPUTE_PGM_RSRC2:TGID_Y_EN: 0
; COMPUTE_PGM_RSRC2:TGID_Z_EN: 0
; COMPUTE_PGM_RSRC2:TIDIG_COMP_CNT: 0
	.section	.text._ZN7rocprim17ROCPRIM_400000_NS6detail17trampoline_kernelINS0_14default_configENS1_27scan_by_key_config_selectorIj11FixedVectorIiLj4EEEEZZNS1_16scan_by_key_implILNS1_25lookback_scan_determinismE0ELb1ES3_N6thrust23THRUST_200600_302600_NS6detail15normal_iteratorINSB_10device_ptrIjEEEENSD_INSE_IS6_EEEESI_S6_NSB_4plusIvEENSB_8equal_toIvEES6_EE10hipError_tPvRmT2_T3_T4_T5_mT6_T7_P12ihipStream_tbENKUlT_T0_E_clISt17integral_constantIbLb0EES12_IbLb1EEEEDaSY_SZ_EUlSY_E_NS1_11comp_targetILNS1_3genE0ELNS1_11target_archE4294967295ELNS1_3gpuE0ELNS1_3repE0EEENS1_30default_config_static_selectorELNS0_4arch9wavefront6targetE0EEEvT1_,"axG",@progbits,_ZN7rocprim17ROCPRIM_400000_NS6detail17trampoline_kernelINS0_14default_configENS1_27scan_by_key_config_selectorIj11FixedVectorIiLj4EEEEZZNS1_16scan_by_key_implILNS1_25lookback_scan_determinismE0ELb1ES3_N6thrust23THRUST_200600_302600_NS6detail15normal_iteratorINSB_10device_ptrIjEEEENSD_INSE_IS6_EEEESI_S6_NSB_4plusIvEENSB_8equal_toIvEES6_EE10hipError_tPvRmT2_T3_T4_T5_mT6_T7_P12ihipStream_tbENKUlT_T0_E_clISt17integral_constantIbLb0EES12_IbLb1EEEEDaSY_SZ_EUlSY_E_NS1_11comp_targetILNS1_3genE0ELNS1_11target_archE4294967295ELNS1_3gpuE0ELNS1_3repE0EEENS1_30default_config_static_selectorELNS0_4arch9wavefront6targetE0EEEvT1_,comdat
	.protected	_ZN7rocprim17ROCPRIM_400000_NS6detail17trampoline_kernelINS0_14default_configENS1_27scan_by_key_config_selectorIj11FixedVectorIiLj4EEEEZZNS1_16scan_by_key_implILNS1_25lookback_scan_determinismE0ELb1ES3_N6thrust23THRUST_200600_302600_NS6detail15normal_iteratorINSB_10device_ptrIjEEEENSD_INSE_IS6_EEEESI_S6_NSB_4plusIvEENSB_8equal_toIvEES6_EE10hipError_tPvRmT2_T3_T4_T5_mT6_T7_P12ihipStream_tbENKUlT_T0_E_clISt17integral_constantIbLb0EES12_IbLb1EEEEDaSY_SZ_EUlSY_E_NS1_11comp_targetILNS1_3genE0ELNS1_11target_archE4294967295ELNS1_3gpuE0ELNS1_3repE0EEENS1_30default_config_static_selectorELNS0_4arch9wavefront6targetE0EEEvT1_ ; -- Begin function _ZN7rocprim17ROCPRIM_400000_NS6detail17trampoline_kernelINS0_14default_configENS1_27scan_by_key_config_selectorIj11FixedVectorIiLj4EEEEZZNS1_16scan_by_key_implILNS1_25lookback_scan_determinismE0ELb1ES3_N6thrust23THRUST_200600_302600_NS6detail15normal_iteratorINSB_10device_ptrIjEEEENSD_INSE_IS6_EEEESI_S6_NSB_4plusIvEENSB_8equal_toIvEES6_EE10hipError_tPvRmT2_T3_T4_T5_mT6_T7_P12ihipStream_tbENKUlT_T0_E_clISt17integral_constantIbLb0EES12_IbLb1EEEEDaSY_SZ_EUlSY_E_NS1_11comp_targetILNS1_3genE0ELNS1_11target_archE4294967295ELNS1_3gpuE0ELNS1_3repE0EEENS1_30default_config_static_selectorELNS0_4arch9wavefront6targetE0EEEvT1_
	.globl	_ZN7rocprim17ROCPRIM_400000_NS6detail17trampoline_kernelINS0_14default_configENS1_27scan_by_key_config_selectorIj11FixedVectorIiLj4EEEEZZNS1_16scan_by_key_implILNS1_25lookback_scan_determinismE0ELb1ES3_N6thrust23THRUST_200600_302600_NS6detail15normal_iteratorINSB_10device_ptrIjEEEENSD_INSE_IS6_EEEESI_S6_NSB_4plusIvEENSB_8equal_toIvEES6_EE10hipError_tPvRmT2_T3_T4_T5_mT6_T7_P12ihipStream_tbENKUlT_T0_E_clISt17integral_constantIbLb0EES12_IbLb1EEEEDaSY_SZ_EUlSY_E_NS1_11comp_targetILNS1_3genE0ELNS1_11target_archE4294967295ELNS1_3gpuE0ELNS1_3repE0EEENS1_30default_config_static_selectorELNS0_4arch9wavefront6targetE0EEEvT1_
	.p2align	8
	.type	_ZN7rocprim17ROCPRIM_400000_NS6detail17trampoline_kernelINS0_14default_configENS1_27scan_by_key_config_selectorIj11FixedVectorIiLj4EEEEZZNS1_16scan_by_key_implILNS1_25lookback_scan_determinismE0ELb1ES3_N6thrust23THRUST_200600_302600_NS6detail15normal_iteratorINSB_10device_ptrIjEEEENSD_INSE_IS6_EEEESI_S6_NSB_4plusIvEENSB_8equal_toIvEES6_EE10hipError_tPvRmT2_T3_T4_T5_mT6_T7_P12ihipStream_tbENKUlT_T0_E_clISt17integral_constantIbLb0EES12_IbLb1EEEEDaSY_SZ_EUlSY_E_NS1_11comp_targetILNS1_3genE0ELNS1_11target_archE4294967295ELNS1_3gpuE0ELNS1_3repE0EEENS1_30default_config_static_selectorELNS0_4arch9wavefront6targetE0EEEvT1_,@function
_ZN7rocprim17ROCPRIM_400000_NS6detail17trampoline_kernelINS0_14default_configENS1_27scan_by_key_config_selectorIj11FixedVectorIiLj4EEEEZZNS1_16scan_by_key_implILNS1_25lookback_scan_determinismE0ELb1ES3_N6thrust23THRUST_200600_302600_NS6detail15normal_iteratorINSB_10device_ptrIjEEEENSD_INSE_IS6_EEEESI_S6_NSB_4plusIvEENSB_8equal_toIvEES6_EE10hipError_tPvRmT2_T3_T4_T5_mT6_T7_P12ihipStream_tbENKUlT_T0_E_clISt17integral_constantIbLb0EES12_IbLb1EEEEDaSY_SZ_EUlSY_E_NS1_11comp_targetILNS1_3genE0ELNS1_11target_archE4294967295ELNS1_3gpuE0ELNS1_3repE0EEENS1_30default_config_static_selectorELNS0_4arch9wavefront6targetE0EEEvT1_: ; @_ZN7rocprim17ROCPRIM_400000_NS6detail17trampoline_kernelINS0_14default_configENS1_27scan_by_key_config_selectorIj11FixedVectorIiLj4EEEEZZNS1_16scan_by_key_implILNS1_25lookback_scan_determinismE0ELb1ES3_N6thrust23THRUST_200600_302600_NS6detail15normal_iteratorINSB_10device_ptrIjEEEENSD_INSE_IS6_EEEESI_S6_NSB_4plusIvEENSB_8equal_toIvEES6_EE10hipError_tPvRmT2_T3_T4_T5_mT6_T7_P12ihipStream_tbENKUlT_T0_E_clISt17integral_constantIbLb0EES12_IbLb1EEEEDaSY_SZ_EUlSY_E_NS1_11comp_targetILNS1_3genE0ELNS1_11target_archE4294967295ELNS1_3gpuE0ELNS1_3repE0EEENS1_30default_config_static_selectorELNS0_4arch9wavefront6targetE0EEEvT1_
; %bb.0:
	.section	.rodata,"a",@progbits
	.p2align	6, 0x0
	.amdhsa_kernel _ZN7rocprim17ROCPRIM_400000_NS6detail17trampoline_kernelINS0_14default_configENS1_27scan_by_key_config_selectorIj11FixedVectorIiLj4EEEEZZNS1_16scan_by_key_implILNS1_25lookback_scan_determinismE0ELb1ES3_N6thrust23THRUST_200600_302600_NS6detail15normal_iteratorINSB_10device_ptrIjEEEENSD_INSE_IS6_EEEESI_S6_NSB_4plusIvEENSB_8equal_toIvEES6_EE10hipError_tPvRmT2_T3_T4_T5_mT6_T7_P12ihipStream_tbENKUlT_T0_E_clISt17integral_constantIbLb0EES12_IbLb1EEEEDaSY_SZ_EUlSY_E_NS1_11comp_targetILNS1_3genE0ELNS1_11target_archE4294967295ELNS1_3gpuE0ELNS1_3repE0EEENS1_30default_config_static_selectorELNS0_4arch9wavefront6targetE0EEEvT1_
		.amdhsa_group_segment_fixed_size 0
		.amdhsa_private_segment_fixed_size 0
		.amdhsa_kernarg_size 144
		.amdhsa_user_sgpr_count 6
		.amdhsa_user_sgpr_private_segment_buffer 1
		.amdhsa_user_sgpr_dispatch_ptr 0
		.amdhsa_user_sgpr_queue_ptr 0
		.amdhsa_user_sgpr_kernarg_segment_ptr 1
		.amdhsa_user_sgpr_dispatch_id 0
		.amdhsa_user_sgpr_flat_scratch_init 0
		.amdhsa_user_sgpr_private_segment_size 0
		.amdhsa_wavefront_size32 1
		.amdhsa_uses_dynamic_stack 0
		.amdhsa_system_sgpr_private_segment_wavefront_offset 0
		.amdhsa_system_sgpr_workgroup_id_x 1
		.amdhsa_system_sgpr_workgroup_id_y 0
		.amdhsa_system_sgpr_workgroup_id_z 0
		.amdhsa_system_sgpr_workgroup_info 0
		.amdhsa_system_vgpr_workitem_id 0
		.amdhsa_next_free_vgpr 1
		.amdhsa_next_free_sgpr 1
		.amdhsa_reserve_vcc 0
		.amdhsa_reserve_flat_scratch 0
		.amdhsa_float_round_mode_32 0
		.amdhsa_float_round_mode_16_64 0
		.amdhsa_float_denorm_mode_32 3
		.amdhsa_float_denorm_mode_16_64 3
		.amdhsa_dx10_clamp 1
		.amdhsa_ieee_mode 1
		.amdhsa_fp16_overflow 0
		.amdhsa_workgroup_processor_mode 1
		.amdhsa_memory_ordered 1
		.amdhsa_forward_progress 1
		.amdhsa_shared_vgpr_count 0
		.amdhsa_exception_fp_ieee_invalid_op 0
		.amdhsa_exception_fp_denorm_src 0
		.amdhsa_exception_fp_ieee_div_zero 0
		.amdhsa_exception_fp_ieee_overflow 0
		.amdhsa_exception_fp_ieee_underflow 0
		.amdhsa_exception_fp_ieee_inexact 0
		.amdhsa_exception_int_div_zero 0
	.end_amdhsa_kernel
	.section	.text._ZN7rocprim17ROCPRIM_400000_NS6detail17trampoline_kernelINS0_14default_configENS1_27scan_by_key_config_selectorIj11FixedVectorIiLj4EEEEZZNS1_16scan_by_key_implILNS1_25lookback_scan_determinismE0ELb1ES3_N6thrust23THRUST_200600_302600_NS6detail15normal_iteratorINSB_10device_ptrIjEEEENSD_INSE_IS6_EEEESI_S6_NSB_4plusIvEENSB_8equal_toIvEES6_EE10hipError_tPvRmT2_T3_T4_T5_mT6_T7_P12ihipStream_tbENKUlT_T0_E_clISt17integral_constantIbLb0EES12_IbLb1EEEEDaSY_SZ_EUlSY_E_NS1_11comp_targetILNS1_3genE0ELNS1_11target_archE4294967295ELNS1_3gpuE0ELNS1_3repE0EEENS1_30default_config_static_selectorELNS0_4arch9wavefront6targetE0EEEvT1_,"axG",@progbits,_ZN7rocprim17ROCPRIM_400000_NS6detail17trampoline_kernelINS0_14default_configENS1_27scan_by_key_config_selectorIj11FixedVectorIiLj4EEEEZZNS1_16scan_by_key_implILNS1_25lookback_scan_determinismE0ELb1ES3_N6thrust23THRUST_200600_302600_NS6detail15normal_iteratorINSB_10device_ptrIjEEEENSD_INSE_IS6_EEEESI_S6_NSB_4plusIvEENSB_8equal_toIvEES6_EE10hipError_tPvRmT2_T3_T4_T5_mT6_T7_P12ihipStream_tbENKUlT_T0_E_clISt17integral_constantIbLb0EES12_IbLb1EEEEDaSY_SZ_EUlSY_E_NS1_11comp_targetILNS1_3genE0ELNS1_11target_archE4294967295ELNS1_3gpuE0ELNS1_3repE0EEENS1_30default_config_static_selectorELNS0_4arch9wavefront6targetE0EEEvT1_,comdat
.Lfunc_end2102:
	.size	_ZN7rocprim17ROCPRIM_400000_NS6detail17trampoline_kernelINS0_14default_configENS1_27scan_by_key_config_selectorIj11FixedVectorIiLj4EEEEZZNS1_16scan_by_key_implILNS1_25lookback_scan_determinismE0ELb1ES3_N6thrust23THRUST_200600_302600_NS6detail15normal_iteratorINSB_10device_ptrIjEEEENSD_INSE_IS6_EEEESI_S6_NSB_4plusIvEENSB_8equal_toIvEES6_EE10hipError_tPvRmT2_T3_T4_T5_mT6_T7_P12ihipStream_tbENKUlT_T0_E_clISt17integral_constantIbLb0EES12_IbLb1EEEEDaSY_SZ_EUlSY_E_NS1_11comp_targetILNS1_3genE0ELNS1_11target_archE4294967295ELNS1_3gpuE0ELNS1_3repE0EEENS1_30default_config_static_selectorELNS0_4arch9wavefront6targetE0EEEvT1_, .Lfunc_end2102-_ZN7rocprim17ROCPRIM_400000_NS6detail17trampoline_kernelINS0_14default_configENS1_27scan_by_key_config_selectorIj11FixedVectorIiLj4EEEEZZNS1_16scan_by_key_implILNS1_25lookback_scan_determinismE0ELb1ES3_N6thrust23THRUST_200600_302600_NS6detail15normal_iteratorINSB_10device_ptrIjEEEENSD_INSE_IS6_EEEESI_S6_NSB_4plusIvEENSB_8equal_toIvEES6_EE10hipError_tPvRmT2_T3_T4_T5_mT6_T7_P12ihipStream_tbENKUlT_T0_E_clISt17integral_constantIbLb0EES12_IbLb1EEEEDaSY_SZ_EUlSY_E_NS1_11comp_targetILNS1_3genE0ELNS1_11target_archE4294967295ELNS1_3gpuE0ELNS1_3repE0EEENS1_30default_config_static_selectorELNS0_4arch9wavefront6targetE0EEEvT1_
                                        ; -- End function
	.set _ZN7rocprim17ROCPRIM_400000_NS6detail17trampoline_kernelINS0_14default_configENS1_27scan_by_key_config_selectorIj11FixedVectorIiLj4EEEEZZNS1_16scan_by_key_implILNS1_25lookback_scan_determinismE0ELb1ES3_N6thrust23THRUST_200600_302600_NS6detail15normal_iteratorINSB_10device_ptrIjEEEENSD_INSE_IS6_EEEESI_S6_NSB_4plusIvEENSB_8equal_toIvEES6_EE10hipError_tPvRmT2_T3_T4_T5_mT6_T7_P12ihipStream_tbENKUlT_T0_E_clISt17integral_constantIbLb0EES12_IbLb1EEEEDaSY_SZ_EUlSY_E_NS1_11comp_targetILNS1_3genE0ELNS1_11target_archE4294967295ELNS1_3gpuE0ELNS1_3repE0EEENS1_30default_config_static_selectorELNS0_4arch9wavefront6targetE0EEEvT1_.num_vgpr, 0
	.set _ZN7rocprim17ROCPRIM_400000_NS6detail17trampoline_kernelINS0_14default_configENS1_27scan_by_key_config_selectorIj11FixedVectorIiLj4EEEEZZNS1_16scan_by_key_implILNS1_25lookback_scan_determinismE0ELb1ES3_N6thrust23THRUST_200600_302600_NS6detail15normal_iteratorINSB_10device_ptrIjEEEENSD_INSE_IS6_EEEESI_S6_NSB_4plusIvEENSB_8equal_toIvEES6_EE10hipError_tPvRmT2_T3_T4_T5_mT6_T7_P12ihipStream_tbENKUlT_T0_E_clISt17integral_constantIbLb0EES12_IbLb1EEEEDaSY_SZ_EUlSY_E_NS1_11comp_targetILNS1_3genE0ELNS1_11target_archE4294967295ELNS1_3gpuE0ELNS1_3repE0EEENS1_30default_config_static_selectorELNS0_4arch9wavefront6targetE0EEEvT1_.num_agpr, 0
	.set _ZN7rocprim17ROCPRIM_400000_NS6detail17trampoline_kernelINS0_14default_configENS1_27scan_by_key_config_selectorIj11FixedVectorIiLj4EEEEZZNS1_16scan_by_key_implILNS1_25lookback_scan_determinismE0ELb1ES3_N6thrust23THRUST_200600_302600_NS6detail15normal_iteratorINSB_10device_ptrIjEEEENSD_INSE_IS6_EEEESI_S6_NSB_4plusIvEENSB_8equal_toIvEES6_EE10hipError_tPvRmT2_T3_T4_T5_mT6_T7_P12ihipStream_tbENKUlT_T0_E_clISt17integral_constantIbLb0EES12_IbLb1EEEEDaSY_SZ_EUlSY_E_NS1_11comp_targetILNS1_3genE0ELNS1_11target_archE4294967295ELNS1_3gpuE0ELNS1_3repE0EEENS1_30default_config_static_selectorELNS0_4arch9wavefront6targetE0EEEvT1_.numbered_sgpr, 0
	.set _ZN7rocprim17ROCPRIM_400000_NS6detail17trampoline_kernelINS0_14default_configENS1_27scan_by_key_config_selectorIj11FixedVectorIiLj4EEEEZZNS1_16scan_by_key_implILNS1_25lookback_scan_determinismE0ELb1ES3_N6thrust23THRUST_200600_302600_NS6detail15normal_iteratorINSB_10device_ptrIjEEEENSD_INSE_IS6_EEEESI_S6_NSB_4plusIvEENSB_8equal_toIvEES6_EE10hipError_tPvRmT2_T3_T4_T5_mT6_T7_P12ihipStream_tbENKUlT_T0_E_clISt17integral_constantIbLb0EES12_IbLb1EEEEDaSY_SZ_EUlSY_E_NS1_11comp_targetILNS1_3genE0ELNS1_11target_archE4294967295ELNS1_3gpuE0ELNS1_3repE0EEENS1_30default_config_static_selectorELNS0_4arch9wavefront6targetE0EEEvT1_.num_named_barrier, 0
	.set _ZN7rocprim17ROCPRIM_400000_NS6detail17trampoline_kernelINS0_14default_configENS1_27scan_by_key_config_selectorIj11FixedVectorIiLj4EEEEZZNS1_16scan_by_key_implILNS1_25lookback_scan_determinismE0ELb1ES3_N6thrust23THRUST_200600_302600_NS6detail15normal_iteratorINSB_10device_ptrIjEEEENSD_INSE_IS6_EEEESI_S6_NSB_4plusIvEENSB_8equal_toIvEES6_EE10hipError_tPvRmT2_T3_T4_T5_mT6_T7_P12ihipStream_tbENKUlT_T0_E_clISt17integral_constantIbLb0EES12_IbLb1EEEEDaSY_SZ_EUlSY_E_NS1_11comp_targetILNS1_3genE0ELNS1_11target_archE4294967295ELNS1_3gpuE0ELNS1_3repE0EEENS1_30default_config_static_selectorELNS0_4arch9wavefront6targetE0EEEvT1_.private_seg_size, 0
	.set _ZN7rocprim17ROCPRIM_400000_NS6detail17trampoline_kernelINS0_14default_configENS1_27scan_by_key_config_selectorIj11FixedVectorIiLj4EEEEZZNS1_16scan_by_key_implILNS1_25lookback_scan_determinismE0ELb1ES3_N6thrust23THRUST_200600_302600_NS6detail15normal_iteratorINSB_10device_ptrIjEEEENSD_INSE_IS6_EEEESI_S6_NSB_4plusIvEENSB_8equal_toIvEES6_EE10hipError_tPvRmT2_T3_T4_T5_mT6_T7_P12ihipStream_tbENKUlT_T0_E_clISt17integral_constantIbLb0EES12_IbLb1EEEEDaSY_SZ_EUlSY_E_NS1_11comp_targetILNS1_3genE0ELNS1_11target_archE4294967295ELNS1_3gpuE0ELNS1_3repE0EEENS1_30default_config_static_selectorELNS0_4arch9wavefront6targetE0EEEvT1_.uses_vcc, 0
	.set _ZN7rocprim17ROCPRIM_400000_NS6detail17trampoline_kernelINS0_14default_configENS1_27scan_by_key_config_selectorIj11FixedVectorIiLj4EEEEZZNS1_16scan_by_key_implILNS1_25lookback_scan_determinismE0ELb1ES3_N6thrust23THRUST_200600_302600_NS6detail15normal_iteratorINSB_10device_ptrIjEEEENSD_INSE_IS6_EEEESI_S6_NSB_4plusIvEENSB_8equal_toIvEES6_EE10hipError_tPvRmT2_T3_T4_T5_mT6_T7_P12ihipStream_tbENKUlT_T0_E_clISt17integral_constantIbLb0EES12_IbLb1EEEEDaSY_SZ_EUlSY_E_NS1_11comp_targetILNS1_3genE0ELNS1_11target_archE4294967295ELNS1_3gpuE0ELNS1_3repE0EEENS1_30default_config_static_selectorELNS0_4arch9wavefront6targetE0EEEvT1_.uses_flat_scratch, 0
	.set _ZN7rocprim17ROCPRIM_400000_NS6detail17trampoline_kernelINS0_14default_configENS1_27scan_by_key_config_selectorIj11FixedVectorIiLj4EEEEZZNS1_16scan_by_key_implILNS1_25lookback_scan_determinismE0ELb1ES3_N6thrust23THRUST_200600_302600_NS6detail15normal_iteratorINSB_10device_ptrIjEEEENSD_INSE_IS6_EEEESI_S6_NSB_4plusIvEENSB_8equal_toIvEES6_EE10hipError_tPvRmT2_T3_T4_T5_mT6_T7_P12ihipStream_tbENKUlT_T0_E_clISt17integral_constantIbLb0EES12_IbLb1EEEEDaSY_SZ_EUlSY_E_NS1_11comp_targetILNS1_3genE0ELNS1_11target_archE4294967295ELNS1_3gpuE0ELNS1_3repE0EEENS1_30default_config_static_selectorELNS0_4arch9wavefront6targetE0EEEvT1_.has_dyn_sized_stack, 0
	.set _ZN7rocprim17ROCPRIM_400000_NS6detail17trampoline_kernelINS0_14default_configENS1_27scan_by_key_config_selectorIj11FixedVectorIiLj4EEEEZZNS1_16scan_by_key_implILNS1_25lookback_scan_determinismE0ELb1ES3_N6thrust23THRUST_200600_302600_NS6detail15normal_iteratorINSB_10device_ptrIjEEEENSD_INSE_IS6_EEEESI_S6_NSB_4plusIvEENSB_8equal_toIvEES6_EE10hipError_tPvRmT2_T3_T4_T5_mT6_T7_P12ihipStream_tbENKUlT_T0_E_clISt17integral_constantIbLb0EES12_IbLb1EEEEDaSY_SZ_EUlSY_E_NS1_11comp_targetILNS1_3genE0ELNS1_11target_archE4294967295ELNS1_3gpuE0ELNS1_3repE0EEENS1_30default_config_static_selectorELNS0_4arch9wavefront6targetE0EEEvT1_.has_recursion, 0
	.set _ZN7rocprim17ROCPRIM_400000_NS6detail17trampoline_kernelINS0_14default_configENS1_27scan_by_key_config_selectorIj11FixedVectorIiLj4EEEEZZNS1_16scan_by_key_implILNS1_25lookback_scan_determinismE0ELb1ES3_N6thrust23THRUST_200600_302600_NS6detail15normal_iteratorINSB_10device_ptrIjEEEENSD_INSE_IS6_EEEESI_S6_NSB_4plusIvEENSB_8equal_toIvEES6_EE10hipError_tPvRmT2_T3_T4_T5_mT6_T7_P12ihipStream_tbENKUlT_T0_E_clISt17integral_constantIbLb0EES12_IbLb1EEEEDaSY_SZ_EUlSY_E_NS1_11comp_targetILNS1_3genE0ELNS1_11target_archE4294967295ELNS1_3gpuE0ELNS1_3repE0EEENS1_30default_config_static_selectorELNS0_4arch9wavefront6targetE0EEEvT1_.has_indirect_call, 0
	.section	.AMDGPU.csdata,"",@progbits
; Kernel info:
; codeLenInByte = 0
; TotalNumSgprs: 0
; NumVgprs: 0
; ScratchSize: 0
; MemoryBound: 0
; FloatMode: 240
; IeeeMode: 1
; LDSByteSize: 0 bytes/workgroup (compile time only)
; SGPRBlocks: 0
; VGPRBlocks: 0
; NumSGPRsForWavesPerEU: 1
; NumVGPRsForWavesPerEU: 1
; Occupancy: 16
; WaveLimiterHint : 0
; COMPUTE_PGM_RSRC2:SCRATCH_EN: 0
; COMPUTE_PGM_RSRC2:USER_SGPR: 6
; COMPUTE_PGM_RSRC2:TRAP_HANDLER: 0
; COMPUTE_PGM_RSRC2:TGID_X_EN: 1
; COMPUTE_PGM_RSRC2:TGID_Y_EN: 0
; COMPUTE_PGM_RSRC2:TGID_Z_EN: 0
; COMPUTE_PGM_RSRC2:TIDIG_COMP_CNT: 0
	.section	.text._ZN7rocprim17ROCPRIM_400000_NS6detail17trampoline_kernelINS0_14default_configENS1_27scan_by_key_config_selectorIj11FixedVectorIiLj4EEEEZZNS1_16scan_by_key_implILNS1_25lookback_scan_determinismE0ELb1ES3_N6thrust23THRUST_200600_302600_NS6detail15normal_iteratorINSB_10device_ptrIjEEEENSD_INSE_IS6_EEEESI_S6_NSB_4plusIvEENSB_8equal_toIvEES6_EE10hipError_tPvRmT2_T3_T4_T5_mT6_T7_P12ihipStream_tbENKUlT_T0_E_clISt17integral_constantIbLb0EES12_IbLb1EEEEDaSY_SZ_EUlSY_E_NS1_11comp_targetILNS1_3genE10ELNS1_11target_archE1201ELNS1_3gpuE5ELNS1_3repE0EEENS1_30default_config_static_selectorELNS0_4arch9wavefront6targetE0EEEvT1_,"axG",@progbits,_ZN7rocprim17ROCPRIM_400000_NS6detail17trampoline_kernelINS0_14default_configENS1_27scan_by_key_config_selectorIj11FixedVectorIiLj4EEEEZZNS1_16scan_by_key_implILNS1_25lookback_scan_determinismE0ELb1ES3_N6thrust23THRUST_200600_302600_NS6detail15normal_iteratorINSB_10device_ptrIjEEEENSD_INSE_IS6_EEEESI_S6_NSB_4plusIvEENSB_8equal_toIvEES6_EE10hipError_tPvRmT2_T3_T4_T5_mT6_T7_P12ihipStream_tbENKUlT_T0_E_clISt17integral_constantIbLb0EES12_IbLb1EEEEDaSY_SZ_EUlSY_E_NS1_11comp_targetILNS1_3genE10ELNS1_11target_archE1201ELNS1_3gpuE5ELNS1_3repE0EEENS1_30default_config_static_selectorELNS0_4arch9wavefront6targetE0EEEvT1_,comdat
	.protected	_ZN7rocprim17ROCPRIM_400000_NS6detail17trampoline_kernelINS0_14default_configENS1_27scan_by_key_config_selectorIj11FixedVectorIiLj4EEEEZZNS1_16scan_by_key_implILNS1_25lookback_scan_determinismE0ELb1ES3_N6thrust23THRUST_200600_302600_NS6detail15normal_iteratorINSB_10device_ptrIjEEEENSD_INSE_IS6_EEEESI_S6_NSB_4plusIvEENSB_8equal_toIvEES6_EE10hipError_tPvRmT2_T3_T4_T5_mT6_T7_P12ihipStream_tbENKUlT_T0_E_clISt17integral_constantIbLb0EES12_IbLb1EEEEDaSY_SZ_EUlSY_E_NS1_11comp_targetILNS1_3genE10ELNS1_11target_archE1201ELNS1_3gpuE5ELNS1_3repE0EEENS1_30default_config_static_selectorELNS0_4arch9wavefront6targetE0EEEvT1_ ; -- Begin function _ZN7rocprim17ROCPRIM_400000_NS6detail17trampoline_kernelINS0_14default_configENS1_27scan_by_key_config_selectorIj11FixedVectorIiLj4EEEEZZNS1_16scan_by_key_implILNS1_25lookback_scan_determinismE0ELb1ES3_N6thrust23THRUST_200600_302600_NS6detail15normal_iteratorINSB_10device_ptrIjEEEENSD_INSE_IS6_EEEESI_S6_NSB_4plusIvEENSB_8equal_toIvEES6_EE10hipError_tPvRmT2_T3_T4_T5_mT6_T7_P12ihipStream_tbENKUlT_T0_E_clISt17integral_constantIbLb0EES12_IbLb1EEEEDaSY_SZ_EUlSY_E_NS1_11comp_targetILNS1_3genE10ELNS1_11target_archE1201ELNS1_3gpuE5ELNS1_3repE0EEENS1_30default_config_static_selectorELNS0_4arch9wavefront6targetE0EEEvT1_
	.globl	_ZN7rocprim17ROCPRIM_400000_NS6detail17trampoline_kernelINS0_14default_configENS1_27scan_by_key_config_selectorIj11FixedVectorIiLj4EEEEZZNS1_16scan_by_key_implILNS1_25lookback_scan_determinismE0ELb1ES3_N6thrust23THRUST_200600_302600_NS6detail15normal_iteratorINSB_10device_ptrIjEEEENSD_INSE_IS6_EEEESI_S6_NSB_4plusIvEENSB_8equal_toIvEES6_EE10hipError_tPvRmT2_T3_T4_T5_mT6_T7_P12ihipStream_tbENKUlT_T0_E_clISt17integral_constantIbLb0EES12_IbLb1EEEEDaSY_SZ_EUlSY_E_NS1_11comp_targetILNS1_3genE10ELNS1_11target_archE1201ELNS1_3gpuE5ELNS1_3repE0EEENS1_30default_config_static_selectorELNS0_4arch9wavefront6targetE0EEEvT1_
	.p2align	8
	.type	_ZN7rocprim17ROCPRIM_400000_NS6detail17trampoline_kernelINS0_14default_configENS1_27scan_by_key_config_selectorIj11FixedVectorIiLj4EEEEZZNS1_16scan_by_key_implILNS1_25lookback_scan_determinismE0ELb1ES3_N6thrust23THRUST_200600_302600_NS6detail15normal_iteratorINSB_10device_ptrIjEEEENSD_INSE_IS6_EEEESI_S6_NSB_4plusIvEENSB_8equal_toIvEES6_EE10hipError_tPvRmT2_T3_T4_T5_mT6_T7_P12ihipStream_tbENKUlT_T0_E_clISt17integral_constantIbLb0EES12_IbLb1EEEEDaSY_SZ_EUlSY_E_NS1_11comp_targetILNS1_3genE10ELNS1_11target_archE1201ELNS1_3gpuE5ELNS1_3repE0EEENS1_30default_config_static_selectorELNS0_4arch9wavefront6targetE0EEEvT1_,@function
_ZN7rocprim17ROCPRIM_400000_NS6detail17trampoline_kernelINS0_14default_configENS1_27scan_by_key_config_selectorIj11FixedVectorIiLj4EEEEZZNS1_16scan_by_key_implILNS1_25lookback_scan_determinismE0ELb1ES3_N6thrust23THRUST_200600_302600_NS6detail15normal_iteratorINSB_10device_ptrIjEEEENSD_INSE_IS6_EEEESI_S6_NSB_4plusIvEENSB_8equal_toIvEES6_EE10hipError_tPvRmT2_T3_T4_T5_mT6_T7_P12ihipStream_tbENKUlT_T0_E_clISt17integral_constantIbLb0EES12_IbLb1EEEEDaSY_SZ_EUlSY_E_NS1_11comp_targetILNS1_3genE10ELNS1_11target_archE1201ELNS1_3gpuE5ELNS1_3repE0EEENS1_30default_config_static_selectorELNS0_4arch9wavefront6targetE0EEEvT1_: ; @_ZN7rocprim17ROCPRIM_400000_NS6detail17trampoline_kernelINS0_14default_configENS1_27scan_by_key_config_selectorIj11FixedVectorIiLj4EEEEZZNS1_16scan_by_key_implILNS1_25lookback_scan_determinismE0ELb1ES3_N6thrust23THRUST_200600_302600_NS6detail15normal_iteratorINSB_10device_ptrIjEEEENSD_INSE_IS6_EEEESI_S6_NSB_4plusIvEENSB_8equal_toIvEES6_EE10hipError_tPvRmT2_T3_T4_T5_mT6_T7_P12ihipStream_tbENKUlT_T0_E_clISt17integral_constantIbLb0EES12_IbLb1EEEEDaSY_SZ_EUlSY_E_NS1_11comp_targetILNS1_3genE10ELNS1_11target_archE1201ELNS1_3gpuE5ELNS1_3repE0EEENS1_30default_config_static_selectorELNS0_4arch9wavefront6targetE0EEEvT1_
; %bb.0:
	.section	.rodata,"a",@progbits
	.p2align	6, 0x0
	.amdhsa_kernel _ZN7rocprim17ROCPRIM_400000_NS6detail17trampoline_kernelINS0_14default_configENS1_27scan_by_key_config_selectorIj11FixedVectorIiLj4EEEEZZNS1_16scan_by_key_implILNS1_25lookback_scan_determinismE0ELb1ES3_N6thrust23THRUST_200600_302600_NS6detail15normal_iteratorINSB_10device_ptrIjEEEENSD_INSE_IS6_EEEESI_S6_NSB_4plusIvEENSB_8equal_toIvEES6_EE10hipError_tPvRmT2_T3_T4_T5_mT6_T7_P12ihipStream_tbENKUlT_T0_E_clISt17integral_constantIbLb0EES12_IbLb1EEEEDaSY_SZ_EUlSY_E_NS1_11comp_targetILNS1_3genE10ELNS1_11target_archE1201ELNS1_3gpuE5ELNS1_3repE0EEENS1_30default_config_static_selectorELNS0_4arch9wavefront6targetE0EEEvT1_
		.amdhsa_group_segment_fixed_size 0
		.amdhsa_private_segment_fixed_size 0
		.amdhsa_kernarg_size 144
		.amdhsa_user_sgpr_count 6
		.amdhsa_user_sgpr_private_segment_buffer 1
		.amdhsa_user_sgpr_dispatch_ptr 0
		.amdhsa_user_sgpr_queue_ptr 0
		.amdhsa_user_sgpr_kernarg_segment_ptr 1
		.amdhsa_user_sgpr_dispatch_id 0
		.amdhsa_user_sgpr_flat_scratch_init 0
		.amdhsa_user_sgpr_private_segment_size 0
		.amdhsa_wavefront_size32 1
		.amdhsa_uses_dynamic_stack 0
		.amdhsa_system_sgpr_private_segment_wavefront_offset 0
		.amdhsa_system_sgpr_workgroup_id_x 1
		.amdhsa_system_sgpr_workgroup_id_y 0
		.amdhsa_system_sgpr_workgroup_id_z 0
		.amdhsa_system_sgpr_workgroup_info 0
		.amdhsa_system_vgpr_workitem_id 0
		.amdhsa_next_free_vgpr 1
		.amdhsa_next_free_sgpr 1
		.amdhsa_reserve_vcc 0
		.amdhsa_reserve_flat_scratch 0
		.amdhsa_float_round_mode_32 0
		.amdhsa_float_round_mode_16_64 0
		.amdhsa_float_denorm_mode_32 3
		.amdhsa_float_denorm_mode_16_64 3
		.amdhsa_dx10_clamp 1
		.amdhsa_ieee_mode 1
		.amdhsa_fp16_overflow 0
		.amdhsa_workgroup_processor_mode 1
		.amdhsa_memory_ordered 1
		.amdhsa_forward_progress 1
		.amdhsa_shared_vgpr_count 0
		.amdhsa_exception_fp_ieee_invalid_op 0
		.amdhsa_exception_fp_denorm_src 0
		.amdhsa_exception_fp_ieee_div_zero 0
		.amdhsa_exception_fp_ieee_overflow 0
		.amdhsa_exception_fp_ieee_underflow 0
		.amdhsa_exception_fp_ieee_inexact 0
		.amdhsa_exception_int_div_zero 0
	.end_amdhsa_kernel
	.section	.text._ZN7rocprim17ROCPRIM_400000_NS6detail17trampoline_kernelINS0_14default_configENS1_27scan_by_key_config_selectorIj11FixedVectorIiLj4EEEEZZNS1_16scan_by_key_implILNS1_25lookback_scan_determinismE0ELb1ES3_N6thrust23THRUST_200600_302600_NS6detail15normal_iteratorINSB_10device_ptrIjEEEENSD_INSE_IS6_EEEESI_S6_NSB_4plusIvEENSB_8equal_toIvEES6_EE10hipError_tPvRmT2_T3_T4_T5_mT6_T7_P12ihipStream_tbENKUlT_T0_E_clISt17integral_constantIbLb0EES12_IbLb1EEEEDaSY_SZ_EUlSY_E_NS1_11comp_targetILNS1_3genE10ELNS1_11target_archE1201ELNS1_3gpuE5ELNS1_3repE0EEENS1_30default_config_static_selectorELNS0_4arch9wavefront6targetE0EEEvT1_,"axG",@progbits,_ZN7rocprim17ROCPRIM_400000_NS6detail17trampoline_kernelINS0_14default_configENS1_27scan_by_key_config_selectorIj11FixedVectorIiLj4EEEEZZNS1_16scan_by_key_implILNS1_25lookback_scan_determinismE0ELb1ES3_N6thrust23THRUST_200600_302600_NS6detail15normal_iteratorINSB_10device_ptrIjEEEENSD_INSE_IS6_EEEESI_S6_NSB_4plusIvEENSB_8equal_toIvEES6_EE10hipError_tPvRmT2_T3_T4_T5_mT6_T7_P12ihipStream_tbENKUlT_T0_E_clISt17integral_constantIbLb0EES12_IbLb1EEEEDaSY_SZ_EUlSY_E_NS1_11comp_targetILNS1_3genE10ELNS1_11target_archE1201ELNS1_3gpuE5ELNS1_3repE0EEENS1_30default_config_static_selectorELNS0_4arch9wavefront6targetE0EEEvT1_,comdat
.Lfunc_end2103:
	.size	_ZN7rocprim17ROCPRIM_400000_NS6detail17trampoline_kernelINS0_14default_configENS1_27scan_by_key_config_selectorIj11FixedVectorIiLj4EEEEZZNS1_16scan_by_key_implILNS1_25lookback_scan_determinismE0ELb1ES3_N6thrust23THRUST_200600_302600_NS6detail15normal_iteratorINSB_10device_ptrIjEEEENSD_INSE_IS6_EEEESI_S6_NSB_4plusIvEENSB_8equal_toIvEES6_EE10hipError_tPvRmT2_T3_T4_T5_mT6_T7_P12ihipStream_tbENKUlT_T0_E_clISt17integral_constantIbLb0EES12_IbLb1EEEEDaSY_SZ_EUlSY_E_NS1_11comp_targetILNS1_3genE10ELNS1_11target_archE1201ELNS1_3gpuE5ELNS1_3repE0EEENS1_30default_config_static_selectorELNS0_4arch9wavefront6targetE0EEEvT1_, .Lfunc_end2103-_ZN7rocprim17ROCPRIM_400000_NS6detail17trampoline_kernelINS0_14default_configENS1_27scan_by_key_config_selectorIj11FixedVectorIiLj4EEEEZZNS1_16scan_by_key_implILNS1_25lookback_scan_determinismE0ELb1ES3_N6thrust23THRUST_200600_302600_NS6detail15normal_iteratorINSB_10device_ptrIjEEEENSD_INSE_IS6_EEEESI_S6_NSB_4plusIvEENSB_8equal_toIvEES6_EE10hipError_tPvRmT2_T3_T4_T5_mT6_T7_P12ihipStream_tbENKUlT_T0_E_clISt17integral_constantIbLb0EES12_IbLb1EEEEDaSY_SZ_EUlSY_E_NS1_11comp_targetILNS1_3genE10ELNS1_11target_archE1201ELNS1_3gpuE5ELNS1_3repE0EEENS1_30default_config_static_selectorELNS0_4arch9wavefront6targetE0EEEvT1_
                                        ; -- End function
	.set _ZN7rocprim17ROCPRIM_400000_NS6detail17trampoline_kernelINS0_14default_configENS1_27scan_by_key_config_selectorIj11FixedVectorIiLj4EEEEZZNS1_16scan_by_key_implILNS1_25lookback_scan_determinismE0ELb1ES3_N6thrust23THRUST_200600_302600_NS6detail15normal_iteratorINSB_10device_ptrIjEEEENSD_INSE_IS6_EEEESI_S6_NSB_4plusIvEENSB_8equal_toIvEES6_EE10hipError_tPvRmT2_T3_T4_T5_mT6_T7_P12ihipStream_tbENKUlT_T0_E_clISt17integral_constantIbLb0EES12_IbLb1EEEEDaSY_SZ_EUlSY_E_NS1_11comp_targetILNS1_3genE10ELNS1_11target_archE1201ELNS1_3gpuE5ELNS1_3repE0EEENS1_30default_config_static_selectorELNS0_4arch9wavefront6targetE0EEEvT1_.num_vgpr, 0
	.set _ZN7rocprim17ROCPRIM_400000_NS6detail17trampoline_kernelINS0_14default_configENS1_27scan_by_key_config_selectorIj11FixedVectorIiLj4EEEEZZNS1_16scan_by_key_implILNS1_25lookback_scan_determinismE0ELb1ES3_N6thrust23THRUST_200600_302600_NS6detail15normal_iteratorINSB_10device_ptrIjEEEENSD_INSE_IS6_EEEESI_S6_NSB_4plusIvEENSB_8equal_toIvEES6_EE10hipError_tPvRmT2_T3_T4_T5_mT6_T7_P12ihipStream_tbENKUlT_T0_E_clISt17integral_constantIbLb0EES12_IbLb1EEEEDaSY_SZ_EUlSY_E_NS1_11comp_targetILNS1_3genE10ELNS1_11target_archE1201ELNS1_3gpuE5ELNS1_3repE0EEENS1_30default_config_static_selectorELNS0_4arch9wavefront6targetE0EEEvT1_.num_agpr, 0
	.set _ZN7rocprim17ROCPRIM_400000_NS6detail17trampoline_kernelINS0_14default_configENS1_27scan_by_key_config_selectorIj11FixedVectorIiLj4EEEEZZNS1_16scan_by_key_implILNS1_25lookback_scan_determinismE0ELb1ES3_N6thrust23THRUST_200600_302600_NS6detail15normal_iteratorINSB_10device_ptrIjEEEENSD_INSE_IS6_EEEESI_S6_NSB_4plusIvEENSB_8equal_toIvEES6_EE10hipError_tPvRmT2_T3_T4_T5_mT6_T7_P12ihipStream_tbENKUlT_T0_E_clISt17integral_constantIbLb0EES12_IbLb1EEEEDaSY_SZ_EUlSY_E_NS1_11comp_targetILNS1_3genE10ELNS1_11target_archE1201ELNS1_3gpuE5ELNS1_3repE0EEENS1_30default_config_static_selectorELNS0_4arch9wavefront6targetE0EEEvT1_.numbered_sgpr, 0
	.set _ZN7rocprim17ROCPRIM_400000_NS6detail17trampoline_kernelINS0_14default_configENS1_27scan_by_key_config_selectorIj11FixedVectorIiLj4EEEEZZNS1_16scan_by_key_implILNS1_25lookback_scan_determinismE0ELb1ES3_N6thrust23THRUST_200600_302600_NS6detail15normal_iteratorINSB_10device_ptrIjEEEENSD_INSE_IS6_EEEESI_S6_NSB_4plusIvEENSB_8equal_toIvEES6_EE10hipError_tPvRmT2_T3_T4_T5_mT6_T7_P12ihipStream_tbENKUlT_T0_E_clISt17integral_constantIbLb0EES12_IbLb1EEEEDaSY_SZ_EUlSY_E_NS1_11comp_targetILNS1_3genE10ELNS1_11target_archE1201ELNS1_3gpuE5ELNS1_3repE0EEENS1_30default_config_static_selectorELNS0_4arch9wavefront6targetE0EEEvT1_.num_named_barrier, 0
	.set _ZN7rocprim17ROCPRIM_400000_NS6detail17trampoline_kernelINS0_14default_configENS1_27scan_by_key_config_selectorIj11FixedVectorIiLj4EEEEZZNS1_16scan_by_key_implILNS1_25lookback_scan_determinismE0ELb1ES3_N6thrust23THRUST_200600_302600_NS6detail15normal_iteratorINSB_10device_ptrIjEEEENSD_INSE_IS6_EEEESI_S6_NSB_4plusIvEENSB_8equal_toIvEES6_EE10hipError_tPvRmT2_T3_T4_T5_mT6_T7_P12ihipStream_tbENKUlT_T0_E_clISt17integral_constantIbLb0EES12_IbLb1EEEEDaSY_SZ_EUlSY_E_NS1_11comp_targetILNS1_3genE10ELNS1_11target_archE1201ELNS1_3gpuE5ELNS1_3repE0EEENS1_30default_config_static_selectorELNS0_4arch9wavefront6targetE0EEEvT1_.private_seg_size, 0
	.set _ZN7rocprim17ROCPRIM_400000_NS6detail17trampoline_kernelINS0_14default_configENS1_27scan_by_key_config_selectorIj11FixedVectorIiLj4EEEEZZNS1_16scan_by_key_implILNS1_25lookback_scan_determinismE0ELb1ES3_N6thrust23THRUST_200600_302600_NS6detail15normal_iteratorINSB_10device_ptrIjEEEENSD_INSE_IS6_EEEESI_S6_NSB_4plusIvEENSB_8equal_toIvEES6_EE10hipError_tPvRmT2_T3_T4_T5_mT6_T7_P12ihipStream_tbENKUlT_T0_E_clISt17integral_constantIbLb0EES12_IbLb1EEEEDaSY_SZ_EUlSY_E_NS1_11comp_targetILNS1_3genE10ELNS1_11target_archE1201ELNS1_3gpuE5ELNS1_3repE0EEENS1_30default_config_static_selectorELNS0_4arch9wavefront6targetE0EEEvT1_.uses_vcc, 0
	.set _ZN7rocprim17ROCPRIM_400000_NS6detail17trampoline_kernelINS0_14default_configENS1_27scan_by_key_config_selectorIj11FixedVectorIiLj4EEEEZZNS1_16scan_by_key_implILNS1_25lookback_scan_determinismE0ELb1ES3_N6thrust23THRUST_200600_302600_NS6detail15normal_iteratorINSB_10device_ptrIjEEEENSD_INSE_IS6_EEEESI_S6_NSB_4plusIvEENSB_8equal_toIvEES6_EE10hipError_tPvRmT2_T3_T4_T5_mT6_T7_P12ihipStream_tbENKUlT_T0_E_clISt17integral_constantIbLb0EES12_IbLb1EEEEDaSY_SZ_EUlSY_E_NS1_11comp_targetILNS1_3genE10ELNS1_11target_archE1201ELNS1_3gpuE5ELNS1_3repE0EEENS1_30default_config_static_selectorELNS0_4arch9wavefront6targetE0EEEvT1_.uses_flat_scratch, 0
	.set _ZN7rocprim17ROCPRIM_400000_NS6detail17trampoline_kernelINS0_14default_configENS1_27scan_by_key_config_selectorIj11FixedVectorIiLj4EEEEZZNS1_16scan_by_key_implILNS1_25lookback_scan_determinismE0ELb1ES3_N6thrust23THRUST_200600_302600_NS6detail15normal_iteratorINSB_10device_ptrIjEEEENSD_INSE_IS6_EEEESI_S6_NSB_4plusIvEENSB_8equal_toIvEES6_EE10hipError_tPvRmT2_T3_T4_T5_mT6_T7_P12ihipStream_tbENKUlT_T0_E_clISt17integral_constantIbLb0EES12_IbLb1EEEEDaSY_SZ_EUlSY_E_NS1_11comp_targetILNS1_3genE10ELNS1_11target_archE1201ELNS1_3gpuE5ELNS1_3repE0EEENS1_30default_config_static_selectorELNS0_4arch9wavefront6targetE0EEEvT1_.has_dyn_sized_stack, 0
	.set _ZN7rocprim17ROCPRIM_400000_NS6detail17trampoline_kernelINS0_14default_configENS1_27scan_by_key_config_selectorIj11FixedVectorIiLj4EEEEZZNS1_16scan_by_key_implILNS1_25lookback_scan_determinismE0ELb1ES3_N6thrust23THRUST_200600_302600_NS6detail15normal_iteratorINSB_10device_ptrIjEEEENSD_INSE_IS6_EEEESI_S6_NSB_4plusIvEENSB_8equal_toIvEES6_EE10hipError_tPvRmT2_T3_T4_T5_mT6_T7_P12ihipStream_tbENKUlT_T0_E_clISt17integral_constantIbLb0EES12_IbLb1EEEEDaSY_SZ_EUlSY_E_NS1_11comp_targetILNS1_3genE10ELNS1_11target_archE1201ELNS1_3gpuE5ELNS1_3repE0EEENS1_30default_config_static_selectorELNS0_4arch9wavefront6targetE0EEEvT1_.has_recursion, 0
	.set _ZN7rocprim17ROCPRIM_400000_NS6detail17trampoline_kernelINS0_14default_configENS1_27scan_by_key_config_selectorIj11FixedVectorIiLj4EEEEZZNS1_16scan_by_key_implILNS1_25lookback_scan_determinismE0ELb1ES3_N6thrust23THRUST_200600_302600_NS6detail15normal_iteratorINSB_10device_ptrIjEEEENSD_INSE_IS6_EEEESI_S6_NSB_4plusIvEENSB_8equal_toIvEES6_EE10hipError_tPvRmT2_T3_T4_T5_mT6_T7_P12ihipStream_tbENKUlT_T0_E_clISt17integral_constantIbLb0EES12_IbLb1EEEEDaSY_SZ_EUlSY_E_NS1_11comp_targetILNS1_3genE10ELNS1_11target_archE1201ELNS1_3gpuE5ELNS1_3repE0EEENS1_30default_config_static_selectorELNS0_4arch9wavefront6targetE0EEEvT1_.has_indirect_call, 0
	.section	.AMDGPU.csdata,"",@progbits
; Kernel info:
; codeLenInByte = 0
; TotalNumSgprs: 0
; NumVgprs: 0
; ScratchSize: 0
; MemoryBound: 0
; FloatMode: 240
; IeeeMode: 1
; LDSByteSize: 0 bytes/workgroup (compile time only)
; SGPRBlocks: 0
; VGPRBlocks: 0
; NumSGPRsForWavesPerEU: 1
; NumVGPRsForWavesPerEU: 1
; Occupancy: 16
; WaveLimiterHint : 0
; COMPUTE_PGM_RSRC2:SCRATCH_EN: 0
; COMPUTE_PGM_RSRC2:USER_SGPR: 6
; COMPUTE_PGM_RSRC2:TRAP_HANDLER: 0
; COMPUTE_PGM_RSRC2:TGID_X_EN: 1
; COMPUTE_PGM_RSRC2:TGID_Y_EN: 0
; COMPUTE_PGM_RSRC2:TGID_Z_EN: 0
; COMPUTE_PGM_RSRC2:TIDIG_COMP_CNT: 0
	.section	.text._ZN7rocprim17ROCPRIM_400000_NS6detail17trampoline_kernelINS0_14default_configENS1_27scan_by_key_config_selectorIj11FixedVectorIiLj4EEEEZZNS1_16scan_by_key_implILNS1_25lookback_scan_determinismE0ELb1ES3_N6thrust23THRUST_200600_302600_NS6detail15normal_iteratorINSB_10device_ptrIjEEEENSD_INSE_IS6_EEEESI_S6_NSB_4plusIvEENSB_8equal_toIvEES6_EE10hipError_tPvRmT2_T3_T4_T5_mT6_T7_P12ihipStream_tbENKUlT_T0_E_clISt17integral_constantIbLb0EES12_IbLb1EEEEDaSY_SZ_EUlSY_E_NS1_11comp_targetILNS1_3genE5ELNS1_11target_archE942ELNS1_3gpuE9ELNS1_3repE0EEENS1_30default_config_static_selectorELNS0_4arch9wavefront6targetE0EEEvT1_,"axG",@progbits,_ZN7rocprim17ROCPRIM_400000_NS6detail17trampoline_kernelINS0_14default_configENS1_27scan_by_key_config_selectorIj11FixedVectorIiLj4EEEEZZNS1_16scan_by_key_implILNS1_25lookback_scan_determinismE0ELb1ES3_N6thrust23THRUST_200600_302600_NS6detail15normal_iteratorINSB_10device_ptrIjEEEENSD_INSE_IS6_EEEESI_S6_NSB_4plusIvEENSB_8equal_toIvEES6_EE10hipError_tPvRmT2_T3_T4_T5_mT6_T7_P12ihipStream_tbENKUlT_T0_E_clISt17integral_constantIbLb0EES12_IbLb1EEEEDaSY_SZ_EUlSY_E_NS1_11comp_targetILNS1_3genE5ELNS1_11target_archE942ELNS1_3gpuE9ELNS1_3repE0EEENS1_30default_config_static_selectorELNS0_4arch9wavefront6targetE0EEEvT1_,comdat
	.protected	_ZN7rocprim17ROCPRIM_400000_NS6detail17trampoline_kernelINS0_14default_configENS1_27scan_by_key_config_selectorIj11FixedVectorIiLj4EEEEZZNS1_16scan_by_key_implILNS1_25lookback_scan_determinismE0ELb1ES3_N6thrust23THRUST_200600_302600_NS6detail15normal_iteratorINSB_10device_ptrIjEEEENSD_INSE_IS6_EEEESI_S6_NSB_4plusIvEENSB_8equal_toIvEES6_EE10hipError_tPvRmT2_T3_T4_T5_mT6_T7_P12ihipStream_tbENKUlT_T0_E_clISt17integral_constantIbLb0EES12_IbLb1EEEEDaSY_SZ_EUlSY_E_NS1_11comp_targetILNS1_3genE5ELNS1_11target_archE942ELNS1_3gpuE9ELNS1_3repE0EEENS1_30default_config_static_selectorELNS0_4arch9wavefront6targetE0EEEvT1_ ; -- Begin function _ZN7rocprim17ROCPRIM_400000_NS6detail17trampoline_kernelINS0_14default_configENS1_27scan_by_key_config_selectorIj11FixedVectorIiLj4EEEEZZNS1_16scan_by_key_implILNS1_25lookback_scan_determinismE0ELb1ES3_N6thrust23THRUST_200600_302600_NS6detail15normal_iteratorINSB_10device_ptrIjEEEENSD_INSE_IS6_EEEESI_S6_NSB_4plusIvEENSB_8equal_toIvEES6_EE10hipError_tPvRmT2_T3_T4_T5_mT6_T7_P12ihipStream_tbENKUlT_T0_E_clISt17integral_constantIbLb0EES12_IbLb1EEEEDaSY_SZ_EUlSY_E_NS1_11comp_targetILNS1_3genE5ELNS1_11target_archE942ELNS1_3gpuE9ELNS1_3repE0EEENS1_30default_config_static_selectorELNS0_4arch9wavefront6targetE0EEEvT1_
	.globl	_ZN7rocprim17ROCPRIM_400000_NS6detail17trampoline_kernelINS0_14default_configENS1_27scan_by_key_config_selectorIj11FixedVectorIiLj4EEEEZZNS1_16scan_by_key_implILNS1_25lookback_scan_determinismE0ELb1ES3_N6thrust23THRUST_200600_302600_NS6detail15normal_iteratorINSB_10device_ptrIjEEEENSD_INSE_IS6_EEEESI_S6_NSB_4plusIvEENSB_8equal_toIvEES6_EE10hipError_tPvRmT2_T3_T4_T5_mT6_T7_P12ihipStream_tbENKUlT_T0_E_clISt17integral_constantIbLb0EES12_IbLb1EEEEDaSY_SZ_EUlSY_E_NS1_11comp_targetILNS1_3genE5ELNS1_11target_archE942ELNS1_3gpuE9ELNS1_3repE0EEENS1_30default_config_static_selectorELNS0_4arch9wavefront6targetE0EEEvT1_
	.p2align	8
	.type	_ZN7rocprim17ROCPRIM_400000_NS6detail17trampoline_kernelINS0_14default_configENS1_27scan_by_key_config_selectorIj11FixedVectorIiLj4EEEEZZNS1_16scan_by_key_implILNS1_25lookback_scan_determinismE0ELb1ES3_N6thrust23THRUST_200600_302600_NS6detail15normal_iteratorINSB_10device_ptrIjEEEENSD_INSE_IS6_EEEESI_S6_NSB_4plusIvEENSB_8equal_toIvEES6_EE10hipError_tPvRmT2_T3_T4_T5_mT6_T7_P12ihipStream_tbENKUlT_T0_E_clISt17integral_constantIbLb0EES12_IbLb1EEEEDaSY_SZ_EUlSY_E_NS1_11comp_targetILNS1_3genE5ELNS1_11target_archE942ELNS1_3gpuE9ELNS1_3repE0EEENS1_30default_config_static_selectorELNS0_4arch9wavefront6targetE0EEEvT1_,@function
_ZN7rocprim17ROCPRIM_400000_NS6detail17trampoline_kernelINS0_14default_configENS1_27scan_by_key_config_selectorIj11FixedVectorIiLj4EEEEZZNS1_16scan_by_key_implILNS1_25lookback_scan_determinismE0ELb1ES3_N6thrust23THRUST_200600_302600_NS6detail15normal_iteratorINSB_10device_ptrIjEEEENSD_INSE_IS6_EEEESI_S6_NSB_4plusIvEENSB_8equal_toIvEES6_EE10hipError_tPvRmT2_T3_T4_T5_mT6_T7_P12ihipStream_tbENKUlT_T0_E_clISt17integral_constantIbLb0EES12_IbLb1EEEEDaSY_SZ_EUlSY_E_NS1_11comp_targetILNS1_3genE5ELNS1_11target_archE942ELNS1_3gpuE9ELNS1_3repE0EEENS1_30default_config_static_selectorELNS0_4arch9wavefront6targetE0EEEvT1_: ; @_ZN7rocprim17ROCPRIM_400000_NS6detail17trampoline_kernelINS0_14default_configENS1_27scan_by_key_config_selectorIj11FixedVectorIiLj4EEEEZZNS1_16scan_by_key_implILNS1_25lookback_scan_determinismE0ELb1ES3_N6thrust23THRUST_200600_302600_NS6detail15normal_iteratorINSB_10device_ptrIjEEEENSD_INSE_IS6_EEEESI_S6_NSB_4plusIvEENSB_8equal_toIvEES6_EE10hipError_tPvRmT2_T3_T4_T5_mT6_T7_P12ihipStream_tbENKUlT_T0_E_clISt17integral_constantIbLb0EES12_IbLb1EEEEDaSY_SZ_EUlSY_E_NS1_11comp_targetILNS1_3genE5ELNS1_11target_archE942ELNS1_3gpuE9ELNS1_3repE0EEENS1_30default_config_static_selectorELNS0_4arch9wavefront6targetE0EEEvT1_
; %bb.0:
	.section	.rodata,"a",@progbits
	.p2align	6, 0x0
	.amdhsa_kernel _ZN7rocprim17ROCPRIM_400000_NS6detail17trampoline_kernelINS0_14default_configENS1_27scan_by_key_config_selectorIj11FixedVectorIiLj4EEEEZZNS1_16scan_by_key_implILNS1_25lookback_scan_determinismE0ELb1ES3_N6thrust23THRUST_200600_302600_NS6detail15normal_iteratorINSB_10device_ptrIjEEEENSD_INSE_IS6_EEEESI_S6_NSB_4plusIvEENSB_8equal_toIvEES6_EE10hipError_tPvRmT2_T3_T4_T5_mT6_T7_P12ihipStream_tbENKUlT_T0_E_clISt17integral_constantIbLb0EES12_IbLb1EEEEDaSY_SZ_EUlSY_E_NS1_11comp_targetILNS1_3genE5ELNS1_11target_archE942ELNS1_3gpuE9ELNS1_3repE0EEENS1_30default_config_static_selectorELNS0_4arch9wavefront6targetE0EEEvT1_
		.amdhsa_group_segment_fixed_size 0
		.amdhsa_private_segment_fixed_size 0
		.amdhsa_kernarg_size 144
		.amdhsa_user_sgpr_count 6
		.amdhsa_user_sgpr_private_segment_buffer 1
		.amdhsa_user_sgpr_dispatch_ptr 0
		.amdhsa_user_sgpr_queue_ptr 0
		.amdhsa_user_sgpr_kernarg_segment_ptr 1
		.amdhsa_user_sgpr_dispatch_id 0
		.amdhsa_user_sgpr_flat_scratch_init 0
		.amdhsa_user_sgpr_private_segment_size 0
		.amdhsa_wavefront_size32 1
		.amdhsa_uses_dynamic_stack 0
		.amdhsa_system_sgpr_private_segment_wavefront_offset 0
		.amdhsa_system_sgpr_workgroup_id_x 1
		.amdhsa_system_sgpr_workgroup_id_y 0
		.amdhsa_system_sgpr_workgroup_id_z 0
		.amdhsa_system_sgpr_workgroup_info 0
		.amdhsa_system_vgpr_workitem_id 0
		.amdhsa_next_free_vgpr 1
		.amdhsa_next_free_sgpr 1
		.amdhsa_reserve_vcc 0
		.amdhsa_reserve_flat_scratch 0
		.amdhsa_float_round_mode_32 0
		.amdhsa_float_round_mode_16_64 0
		.amdhsa_float_denorm_mode_32 3
		.amdhsa_float_denorm_mode_16_64 3
		.amdhsa_dx10_clamp 1
		.amdhsa_ieee_mode 1
		.amdhsa_fp16_overflow 0
		.amdhsa_workgroup_processor_mode 1
		.amdhsa_memory_ordered 1
		.amdhsa_forward_progress 1
		.amdhsa_shared_vgpr_count 0
		.amdhsa_exception_fp_ieee_invalid_op 0
		.amdhsa_exception_fp_denorm_src 0
		.amdhsa_exception_fp_ieee_div_zero 0
		.amdhsa_exception_fp_ieee_overflow 0
		.amdhsa_exception_fp_ieee_underflow 0
		.amdhsa_exception_fp_ieee_inexact 0
		.amdhsa_exception_int_div_zero 0
	.end_amdhsa_kernel
	.section	.text._ZN7rocprim17ROCPRIM_400000_NS6detail17trampoline_kernelINS0_14default_configENS1_27scan_by_key_config_selectorIj11FixedVectorIiLj4EEEEZZNS1_16scan_by_key_implILNS1_25lookback_scan_determinismE0ELb1ES3_N6thrust23THRUST_200600_302600_NS6detail15normal_iteratorINSB_10device_ptrIjEEEENSD_INSE_IS6_EEEESI_S6_NSB_4plusIvEENSB_8equal_toIvEES6_EE10hipError_tPvRmT2_T3_T4_T5_mT6_T7_P12ihipStream_tbENKUlT_T0_E_clISt17integral_constantIbLb0EES12_IbLb1EEEEDaSY_SZ_EUlSY_E_NS1_11comp_targetILNS1_3genE5ELNS1_11target_archE942ELNS1_3gpuE9ELNS1_3repE0EEENS1_30default_config_static_selectorELNS0_4arch9wavefront6targetE0EEEvT1_,"axG",@progbits,_ZN7rocprim17ROCPRIM_400000_NS6detail17trampoline_kernelINS0_14default_configENS1_27scan_by_key_config_selectorIj11FixedVectorIiLj4EEEEZZNS1_16scan_by_key_implILNS1_25lookback_scan_determinismE0ELb1ES3_N6thrust23THRUST_200600_302600_NS6detail15normal_iteratorINSB_10device_ptrIjEEEENSD_INSE_IS6_EEEESI_S6_NSB_4plusIvEENSB_8equal_toIvEES6_EE10hipError_tPvRmT2_T3_T4_T5_mT6_T7_P12ihipStream_tbENKUlT_T0_E_clISt17integral_constantIbLb0EES12_IbLb1EEEEDaSY_SZ_EUlSY_E_NS1_11comp_targetILNS1_3genE5ELNS1_11target_archE942ELNS1_3gpuE9ELNS1_3repE0EEENS1_30default_config_static_selectorELNS0_4arch9wavefront6targetE0EEEvT1_,comdat
.Lfunc_end2104:
	.size	_ZN7rocprim17ROCPRIM_400000_NS6detail17trampoline_kernelINS0_14default_configENS1_27scan_by_key_config_selectorIj11FixedVectorIiLj4EEEEZZNS1_16scan_by_key_implILNS1_25lookback_scan_determinismE0ELb1ES3_N6thrust23THRUST_200600_302600_NS6detail15normal_iteratorINSB_10device_ptrIjEEEENSD_INSE_IS6_EEEESI_S6_NSB_4plusIvEENSB_8equal_toIvEES6_EE10hipError_tPvRmT2_T3_T4_T5_mT6_T7_P12ihipStream_tbENKUlT_T0_E_clISt17integral_constantIbLb0EES12_IbLb1EEEEDaSY_SZ_EUlSY_E_NS1_11comp_targetILNS1_3genE5ELNS1_11target_archE942ELNS1_3gpuE9ELNS1_3repE0EEENS1_30default_config_static_selectorELNS0_4arch9wavefront6targetE0EEEvT1_, .Lfunc_end2104-_ZN7rocprim17ROCPRIM_400000_NS6detail17trampoline_kernelINS0_14default_configENS1_27scan_by_key_config_selectorIj11FixedVectorIiLj4EEEEZZNS1_16scan_by_key_implILNS1_25lookback_scan_determinismE0ELb1ES3_N6thrust23THRUST_200600_302600_NS6detail15normal_iteratorINSB_10device_ptrIjEEEENSD_INSE_IS6_EEEESI_S6_NSB_4plusIvEENSB_8equal_toIvEES6_EE10hipError_tPvRmT2_T3_T4_T5_mT6_T7_P12ihipStream_tbENKUlT_T0_E_clISt17integral_constantIbLb0EES12_IbLb1EEEEDaSY_SZ_EUlSY_E_NS1_11comp_targetILNS1_3genE5ELNS1_11target_archE942ELNS1_3gpuE9ELNS1_3repE0EEENS1_30default_config_static_selectorELNS0_4arch9wavefront6targetE0EEEvT1_
                                        ; -- End function
	.set _ZN7rocprim17ROCPRIM_400000_NS6detail17trampoline_kernelINS0_14default_configENS1_27scan_by_key_config_selectorIj11FixedVectorIiLj4EEEEZZNS1_16scan_by_key_implILNS1_25lookback_scan_determinismE0ELb1ES3_N6thrust23THRUST_200600_302600_NS6detail15normal_iteratorINSB_10device_ptrIjEEEENSD_INSE_IS6_EEEESI_S6_NSB_4plusIvEENSB_8equal_toIvEES6_EE10hipError_tPvRmT2_T3_T4_T5_mT6_T7_P12ihipStream_tbENKUlT_T0_E_clISt17integral_constantIbLb0EES12_IbLb1EEEEDaSY_SZ_EUlSY_E_NS1_11comp_targetILNS1_3genE5ELNS1_11target_archE942ELNS1_3gpuE9ELNS1_3repE0EEENS1_30default_config_static_selectorELNS0_4arch9wavefront6targetE0EEEvT1_.num_vgpr, 0
	.set _ZN7rocprim17ROCPRIM_400000_NS6detail17trampoline_kernelINS0_14default_configENS1_27scan_by_key_config_selectorIj11FixedVectorIiLj4EEEEZZNS1_16scan_by_key_implILNS1_25lookback_scan_determinismE0ELb1ES3_N6thrust23THRUST_200600_302600_NS6detail15normal_iteratorINSB_10device_ptrIjEEEENSD_INSE_IS6_EEEESI_S6_NSB_4plusIvEENSB_8equal_toIvEES6_EE10hipError_tPvRmT2_T3_T4_T5_mT6_T7_P12ihipStream_tbENKUlT_T0_E_clISt17integral_constantIbLb0EES12_IbLb1EEEEDaSY_SZ_EUlSY_E_NS1_11comp_targetILNS1_3genE5ELNS1_11target_archE942ELNS1_3gpuE9ELNS1_3repE0EEENS1_30default_config_static_selectorELNS0_4arch9wavefront6targetE0EEEvT1_.num_agpr, 0
	.set _ZN7rocprim17ROCPRIM_400000_NS6detail17trampoline_kernelINS0_14default_configENS1_27scan_by_key_config_selectorIj11FixedVectorIiLj4EEEEZZNS1_16scan_by_key_implILNS1_25lookback_scan_determinismE0ELb1ES3_N6thrust23THRUST_200600_302600_NS6detail15normal_iteratorINSB_10device_ptrIjEEEENSD_INSE_IS6_EEEESI_S6_NSB_4plusIvEENSB_8equal_toIvEES6_EE10hipError_tPvRmT2_T3_T4_T5_mT6_T7_P12ihipStream_tbENKUlT_T0_E_clISt17integral_constantIbLb0EES12_IbLb1EEEEDaSY_SZ_EUlSY_E_NS1_11comp_targetILNS1_3genE5ELNS1_11target_archE942ELNS1_3gpuE9ELNS1_3repE0EEENS1_30default_config_static_selectorELNS0_4arch9wavefront6targetE0EEEvT1_.numbered_sgpr, 0
	.set _ZN7rocprim17ROCPRIM_400000_NS6detail17trampoline_kernelINS0_14default_configENS1_27scan_by_key_config_selectorIj11FixedVectorIiLj4EEEEZZNS1_16scan_by_key_implILNS1_25lookback_scan_determinismE0ELb1ES3_N6thrust23THRUST_200600_302600_NS6detail15normal_iteratorINSB_10device_ptrIjEEEENSD_INSE_IS6_EEEESI_S6_NSB_4plusIvEENSB_8equal_toIvEES6_EE10hipError_tPvRmT2_T3_T4_T5_mT6_T7_P12ihipStream_tbENKUlT_T0_E_clISt17integral_constantIbLb0EES12_IbLb1EEEEDaSY_SZ_EUlSY_E_NS1_11comp_targetILNS1_3genE5ELNS1_11target_archE942ELNS1_3gpuE9ELNS1_3repE0EEENS1_30default_config_static_selectorELNS0_4arch9wavefront6targetE0EEEvT1_.num_named_barrier, 0
	.set _ZN7rocprim17ROCPRIM_400000_NS6detail17trampoline_kernelINS0_14default_configENS1_27scan_by_key_config_selectorIj11FixedVectorIiLj4EEEEZZNS1_16scan_by_key_implILNS1_25lookback_scan_determinismE0ELb1ES3_N6thrust23THRUST_200600_302600_NS6detail15normal_iteratorINSB_10device_ptrIjEEEENSD_INSE_IS6_EEEESI_S6_NSB_4plusIvEENSB_8equal_toIvEES6_EE10hipError_tPvRmT2_T3_T4_T5_mT6_T7_P12ihipStream_tbENKUlT_T0_E_clISt17integral_constantIbLb0EES12_IbLb1EEEEDaSY_SZ_EUlSY_E_NS1_11comp_targetILNS1_3genE5ELNS1_11target_archE942ELNS1_3gpuE9ELNS1_3repE0EEENS1_30default_config_static_selectorELNS0_4arch9wavefront6targetE0EEEvT1_.private_seg_size, 0
	.set _ZN7rocprim17ROCPRIM_400000_NS6detail17trampoline_kernelINS0_14default_configENS1_27scan_by_key_config_selectorIj11FixedVectorIiLj4EEEEZZNS1_16scan_by_key_implILNS1_25lookback_scan_determinismE0ELb1ES3_N6thrust23THRUST_200600_302600_NS6detail15normal_iteratorINSB_10device_ptrIjEEEENSD_INSE_IS6_EEEESI_S6_NSB_4plusIvEENSB_8equal_toIvEES6_EE10hipError_tPvRmT2_T3_T4_T5_mT6_T7_P12ihipStream_tbENKUlT_T0_E_clISt17integral_constantIbLb0EES12_IbLb1EEEEDaSY_SZ_EUlSY_E_NS1_11comp_targetILNS1_3genE5ELNS1_11target_archE942ELNS1_3gpuE9ELNS1_3repE0EEENS1_30default_config_static_selectorELNS0_4arch9wavefront6targetE0EEEvT1_.uses_vcc, 0
	.set _ZN7rocprim17ROCPRIM_400000_NS6detail17trampoline_kernelINS0_14default_configENS1_27scan_by_key_config_selectorIj11FixedVectorIiLj4EEEEZZNS1_16scan_by_key_implILNS1_25lookback_scan_determinismE0ELb1ES3_N6thrust23THRUST_200600_302600_NS6detail15normal_iteratorINSB_10device_ptrIjEEEENSD_INSE_IS6_EEEESI_S6_NSB_4plusIvEENSB_8equal_toIvEES6_EE10hipError_tPvRmT2_T3_T4_T5_mT6_T7_P12ihipStream_tbENKUlT_T0_E_clISt17integral_constantIbLb0EES12_IbLb1EEEEDaSY_SZ_EUlSY_E_NS1_11comp_targetILNS1_3genE5ELNS1_11target_archE942ELNS1_3gpuE9ELNS1_3repE0EEENS1_30default_config_static_selectorELNS0_4arch9wavefront6targetE0EEEvT1_.uses_flat_scratch, 0
	.set _ZN7rocprim17ROCPRIM_400000_NS6detail17trampoline_kernelINS0_14default_configENS1_27scan_by_key_config_selectorIj11FixedVectorIiLj4EEEEZZNS1_16scan_by_key_implILNS1_25lookback_scan_determinismE0ELb1ES3_N6thrust23THRUST_200600_302600_NS6detail15normal_iteratorINSB_10device_ptrIjEEEENSD_INSE_IS6_EEEESI_S6_NSB_4plusIvEENSB_8equal_toIvEES6_EE10hipError_tPvRmT2_T3_T4_T5_mT6_T7_P12ihipStream_tbENKUlT_T0_E_clISt17integral_constantIbLb0EES12_IbLb1EEEEDaSY_SZ_EUlSY_E_NS1_11comp_targetILNS1_3genE5ELNS1_11target_archE942ELNS1_3gpuE9ELNS1_3repE0EEENS1_30default_config_static_selectorELNS0_4arch9wavefront6targetE0EEEvT1_.has_dyn_sized_stack, 0
	.set _ZN7rocprim17ROCPRIM_400000_NS6detail17trampoline_kernelINS0_14default_configENS1_27scan_by_key_config_selectorIj11FixedVectorIiLj4EEEEZZNS1_16scan_by_key_implILNS1_25lookback_scan_determinismE0ELb1ES3_N6thrust23THRUST_200600_302600_NS6detail15normal_iteratorINSB_10device_ptrIjEEEENSD_INSE_IS6_EEEESI_S6_NSB_4plusIvEENSB_8equal_toIvEES6_EE10hipError_tPvRmT2_T3_T4_T5_mT6_T7_P12ihipStream_tbENKUlT_T0_E_clISt17integral_constantIbLb0EES12_IbLb1EEEEDaSY_SZ_EUlSY_E_NS1_11comp_targetILNS1_3genE5ELNS1_11target_archE942ELNS1_3gpuE9ELNS1_3repE0EEENS1_30default_config_static_selectorELNS0_4arch9wavefront6targetE0EEEvT1_.has_recursion, 0
	.set _ZN7rocprim17ROCPRIM_400000_NS6detail17trampoline_kernelINS0_14default_configENS1_27scan_by_key_config_selectorIj11FixedVectorIiLj4EEEEZZNS1_16scan_by_key_implILNS1_25lookback_scan_determinismE0ELb1ES3_N6thrust23THRUST_200600_302600_NS6detail15normal_iteratorINSB_10device_ptrIjEEEENSD_INSE_IS6_EEEESI_S6_NSB_4plusIvEENSB_8equal_toIvEES6_EE10hipError_tPvRmT2_T3_T4_T5_mT6_T7_P12ihipStream_tbENKUlT_T0_E_clISt17integral_constantIbLb0EES12_IbLb1EEEEDaSY_SZ_EUlSY_E_NS1_11comp_targetILNS1_3genE5ELNS1_11target_archE942ELNS1_3gpuE9ELNS1_3repE0EEENS1_30default_config_static_selectorELNS0_4arch9wavefront6targetE0EEEvT1_.has_indirect_call, 0
	.section	.AMDGPU.csdata,"",@progbits
; Kernel info:
; codeLenInByte = 0
; TotalNumSgprs: 0
; NumVgprs: 0
; ScratchSize: 0
; MemoryBound: 0
; FloatMode: 240
; IeeeMode: 1
; LDSByteSize: 0 bytes/workgroup (compile time only)
; SGPRBlocks: 0
; VGPRBlocks: 0
; NumSGPRsForWavesPerEU: 1
; NumVGPRsForWavesPerEU: 1
; Occupancy: 16
; WaveLimiterHint : 0
; COMPUTE_PGM_RSRC2:SCRATCH_EN: 0
; COMPUTE_PGM_RSRC2:USER_SGPR: 6
; COMPUTE_PGM_RSRC2:TRAP_HANDLER: 0
; COMPUTE_PGM_RSRC2:TGID_X_EN: 1
; COMPUTE_PGM_RSRC2:TGID_Y_EN: 0
; COMPUTE_PGM_RSRC2:TGID_Z_EN: 0
; COMPUTE_PGM_RSRC2:TIDIG_COMP_CNT: 0
	.section	.text._ZN7rocprim17ROCPRIM_400000_NS6detail17trampoline_kernelINS0_14default_configENS1_27scan_by_key_config_selectorIj11FixedVectorIiLj4EEEEZZNS1_16scan_by_key_implILNS1_25lookback_scan_determinismE0ELb1ES3_N6thrust23THRUST_200600_302600_NS6detail15normal_iteratorINSB_10device_ptrIjEEEENSD_INSE_IS6_EEEESI_S6_NSB_4plusIvEENSB_8equal_toIvEES6_EE10hipError_tPvRmT2_T3_T4_T5_mT6_T7_P12ihipStream_tbENKUlT_T0_E_clISt17integral_constantIbLb0EES12_IbLb1EEEEDaSY_SZ_EUlSY_E_NS1_11comp_targetILNS1_3genE4ELNS1_11target_archE910ELNS1_3gpuE8ELNS1_3repE0EEENS1_30default_config_static_selectorELNS0_4arch9wavefront6targetE0EEEvT1_,"axG",@progbits,_ZN7rocprim17ROCPRIM_400000_NS6detail17trampoline_kernelINS0_14default_configENS1_27scan_by_key_config_selectorIj11FixedVectorIiLj4EEEEZZNS1_16scan_by_key_implILNS1_25lookback_scan_determinismE0ELb1ES3_N6thrust23THRUST_200600_302600_NS6detail15normal_iteratorINSB_10device_ptrIjEEEENSD_INSE_IS6_EEEESI_S6_NSB_4plusIvEENSB_8equal_toIvEES6_EE10hipError_tPvRmT2_T3_T4_T5_mT6_T7_P12ihipStream_tbENKUlT_T0_E_clISt17integral_constantIbLb0EES12_IbLb1EEEEDaSY_SZ_EUlSY_E_NS1_11comp_targetILNS1_3genE4ELNS1_11target_archE910ELNS1_3gpuE8ELNS1_3repE0EEENS1_30default_config_static_selectorELNS0_4arch9wavefront6targetE0EEEvT1_,comdat
	.protected	_ZN7rocprim17ROCPRIM_400000_NS6detail17trampoline_kernelINS0_14default_configENS1_27scan_by_key_config_selectorIj11FixedVectorIiLj4EEEEZZNS1_16scan_by_key_implILNS1_25lookback_scan_determinismE0ELb1ES3_N6thrust23THRUST_200600_302600_NS6detail15normal_iteratorINSB_10device_ptrIjEEEENSD_INSE_IS6_EEEESI_S6_NSB_4plusIvEENSB_8equal_toIvEES6_EE10hipError_tPvRmT2_T3_T4_T5_mT6_T7_P12ihipStream_tbENKUlT_T0_E_clISt17integral_constantIbLb0EES12_IbLb1EEEEDaSY_SZ_EUlSY_E_NS1_11comp_targetILNS1_3genE4ELNS1_11target_archE910ELNS1_3gpuE8ELNS1_3repE0EEENS1_30default_config_static_selectorELNS0_4arch9wavefront6targetE0EEEvT1_ ; -- Begin function _ZN7rocprim17ROCPRIM_400000_NS6detail17trampoline_kernelINS0_14default_configENS1_27scan_by_key_config_selectorIj11FixedVectorIiLj4EEEEZZNS1_16scan_by_key_implILNS1_25lookback_scan_determinismE0ELb1ES3_N6thrust23THRUST_200600_302600_NS6detail15normal_iteratorINSB_10device_ptrIjEEEENSD_INSE_IS6_EEEESI_S6_NSB_4plusIvEENSB_8equal_toIvEES6_EE10hipError_tPvRmT2_T3_T4_T5_mT6_T7_P12ihipStream_tbENKUlT_T0_E_clISt17integral_constantIbLb0EES12_IbLb1EEEEDaSY_SZ_EUlSY_E_NS1_11comp_targetILNS1_3genE4ELNS1_11target_archE910ELNS1_3gpuE8ELNS1_3repE0EEENS1_30default_config_static_selectorELNS0_4arch9wavefront6targetE0EEEvT1_
	.globl	_ZN7rocprim17ROCPRIM_400000_NS6detail17trampoline_kernelINS0_14default_configENS1_27scan_by_key_config_selectorIj11FixedVectorIiLj4EEEEZZNS1_16scan_by_key_implILNS1_25lookback_scan_determinismE0ELb1ES3_N6thrust23THRUST_200600_302600_NS6detail15normal_iteratorINSB_10device_ptrIjEEEENSD_INSE_IS6_EEEESI_S6_NSB_4plusIvEENSB_8equal_toIvEES6_EE10hipError_tPvRmT2_T3_T4_T5_mT6_T7_P12ihipStream_tbENKUlT_T0_E_clISt17integral_constantIbLb0EES12_IbLb1EEEEDaSY_SZ_EUlSY_E_NS1_11comp_targetILNS1_3genE4ELNS1_11target_archE910ELNS1_3gpuE8ELNS1_3repE0EEENS1_30default_config_static_selectorELNS0_4arch9wavefront6targetE0EEEvT1_
	.p2align	8
	.type	_ZN7rocprim17ROCPRIM_400000_NS6detail17trampoline_kernelINS0_14default_configENS1_27scan_by_key_config_selectorIj11FixedVectorIiLj4EEEEZZNS1_16scan_by_key_implILNS1_25lookback_scan_determinismE0ELb1ES3_N6thrust23THRUST_200600_302600_NS6detail15normal_iteratorINSB_10device_ptrIjEEEENSD_INSE_IS6_EEEESI_S6_NSB_4plusIvEENSB_8equal_toIvEES6_EE10hipError_tPvRmT2_T3_T4_T5_mT6_T7_P12ihipStream_tbENKUlT_T0_E_clISt17integral_constantIbLb0EES12_IbLb1EEEEDaSY_SZ_EUlSY_E_NS1_11comp_targetILNS1_3genE4ELNS1_11target_archE910ELNS1_3gpuE8ELNS1_3repE0EEENS1_30default_config_static_selectorELNS0_4arch9wavefront6targetE0EEEvT1_,@function
_ZN7rocprim17ROCPRIM_400000_NS6detail17trampoline_kernelINS0_14default_configENS1_27scan_by_key_config_selectorIj11FixedVectorIiLj4EEEEZZNS1_16scan_by_key_implILNS1_25lookback_scan_determinismE0ELb1ES3_N6thrust23THRUST_200600_302600_NS6detail15normal_iteratorINSB_10device_ptrIjEEEENSD_INSE_IS6_EEEESI_S6_NSB_4plusIvEENSB_8equal_toIvEES6_EE10hipError_tPvRmT2_T3_T4_T5_mT6_T7_P12ihipStream_tbENKUlT_T0_E_clISt17integral_constantIbLb0EES12_IbLb1EEEEDaSY_SZ_EUlSY_E_NS1_11comp_targetILNS1_3genE4ELNS1_11target_archE910ELNS1_3gpuE8ELNS1_3repE0EEENS1_30default_config_static_selectorELNS0_4arch9wavefront6targetE0EEEvT1_: ; @_ZN7rocprim17ROCPRIM_400000_NS6detail17trampoline_kernelINS0_14default_configENS1_27scan_by_key_config_selectorIj11FixedVectorIiLj4EEEEZZNS1_16scan_by_key_implILNS1_25lookback_scan_determinismE0ELb1ES3_N6thrust23THRUST_200600_302600_NS6detail15normal_iteratorINSB_10device_ptrIjEEEENSD_INSE_IS6_EEEESI_S6_NSB_4plusIvEENSB_8equal_toIvEES6_EE10hipError_tPvRmT2_T3_T4_T5_mT6_T7_P12ihipStream_tbENKUlT_T0_E_clISt17integral_constantIbLb0EES12_IbLb1EEEEDaSY_SZ_EUlSY_E_NS1_11comp_targetILNS1_3genE4ELNS1_11target_archE910ELNS1_3gpuE8ELNS1_3repE0EEENS1_30default_config_static_selectorELNS0_4arch9wavefront6targetE0EEEvT1_
; %bb.0:
	.section	.rodata,"a",@progbits
	.p2align	6, 0x0
	.amdhsa_kernel _ZN7rocprim17ROCPRIM_400000_NS6detail17trampoline_kernelINS0_14default_configENS1_27scan_by_key_config_selectorIj11FixedVectorIiLj4EEEEZZNS1_16scan_by_key_implILNS1_25lookback_scan_determinismE0ELb1ES3_N6thrust23THRUST_200600_302600_NS6detail15normal_iteratorINSB_10device_ptrIjEEEENSD_INSE_IS6_EEEESI_S6_NSB_4plusIvEENSB_8equal_toIvEES6_EE10hipError_tPvRmT2_T3_T4_T5_mT6_T7_P12ihipStream_tbENKUlT_T0_E_clISt17integral_constantIbLb0EES12_IbLb1EEEEDaSY_SZ_EUlSY_E_NS1_11comp_targetILNS1_3genE4ELNS1_11target_archE910ELNS1_3gpuE8ELNS1_3repE0EEENS1_30default_config_static_selectorELNS0_4arch9wavefront6targetE0EEEvT1_
		.amdhsa_group_segment_fixed_size 0
		.amdhsa_private_segment_fixed_size 0
		.amdhsa_kernarg_size 144
		.amdhsa_user_sgpr_count 6
		.amdhsa_user_sgpr_private_segment_buffer 1
		.amdhsa_user_sgpr_dispatch_ptr 0
		.amdhsa_user_sgpr_queue_ptr 0
		.amdhsa_user_sgpr_kernarg_segment_ptr 1
		.amdhsa_user_sgpr_dispatch_id 0
		.amdhsa_user_sgpr_flat_scratch_init 0
		.amdhsa_user_sgpr_private_segment_size 0
		.amdhsa_wavefront_size32 1
		.amdhsa_uses_dynamic_stack 0
		.amdhsa_system_sgpr_private_segment_wavefront_offset 0
		.amdhsa_system_sgpr_workgroup_id_x 1
		.amdhsa_system_sgpr_workgroup_id_y 0
		.amdhsa_system_sgpr_workgroup_id_z 0
		.amdhsa_system_sgpr_workgroup_info 0
		.amdhsa_system_vgpr_workitem_id 0
		.amdhsa_next_free_vgpr 1
		.amdhsa_next_free_sgpr 1
		.amdhsa_reserve_vcc 0
		.amdhsa_reserve_flat_scratch 0
		.amdhsa_float_round_mode_32 0
		.amdhsa_float_round_mode_16_64 0
		.amdhsa_float_denorm_mode_32 3
		.amdhsa_float_denorm_mode_16_64 3
		.amdhsa_dx10_clamp 1
		.amdhsa_ieee_mode 1
		.amdhsa_fp16_overflow 0
		.amdhsa_workgroup_processor_mode 1
		.amdhsa_memory_ordered 1
		.amdhsa_forward_progress 1
		.amdhsa_shared_vgpr_count 0
		.amdhsa_exception_fp_ieee_invalid_op 0
		.amdhsa_exception_fp_denorm_src 0
		.amdhsa_exception_fp_ieee_div_zero 0
		.amdhsa_exception_fp_ieee_overflow 0
		.amdhsa_exception_fp_ieee_underflow 0
		.amdhsa_exception_fp_ieee_inexact 0
		.amdhsa_exception_int_div_zero 0
	.end_amdhsa_kernel
	.section	.text._ZN7rocprim17ROCPRIM_400000_NS6detail17trampoline_kernelINS0_14default_configENS1_27scan_by_key_config_selectorIj11FixedVectorIiLj4EEEEZZNS1_16scan_by_key_implILNS1_25lookback_scan_determinismE0ELb1ES3_N6thrust23THRUST_200600_302600_NS6detail15normal_iteratorINSB_10device_ptrIjEEEENSD_INSE_IS6_EEEESI_S6_NSB_4plusIvEENSB_8equal_toIvEES6_EE10hipError_tPvRmT2_T3_T4_T5_mT6_T7_P12ihipStream_tbENKUlT_T0_E_clISt17integral_constantIbLb0EES12_IbLb1EEEEDaSY_SZ_EUlSY_E_NS1_11comp_targetILNS1_3genE4ELNS1_11target_archE910ELNS1_3gpuE8ELNS1_3repE0EEENS1_30default_config_static_selectorELNS0_4arch9wavefront6targetE0EEEvT1_,"axG",@progbits,_ZN7rocprim17ROCPRIM_400000_NS6detail17trampoline_kernelINS0_14default_configENS1_27scan_by_key_config_selectorIj11FixedVectorIiLj4EEEEZZNS1_16scan_by_key_implILNS1_25lookback_scan_determinismE0ELb1ES3_N6thrust23THRUST_200600_302600_NS6detail15normal_iteratorINSB_10device_ptrIjEEEENSD_INSE_IS6_EEEESI_S6_NSB_4plusIvEENSB_8equal_toIvEES6_EE10hipError_tPvRmT2_T3_T4_T5_mT6_T7_P12ihipStream_tbENKUlT_T0_E_clISt17integral_constantIbLb0EES12_IbLb1EEEEDaSY_SZ_EUlSY_E_NS1_11comp_targetILNS1_3genE4ELNS1_11target_archE910ELNS1_3gpuE8ELNS1_3repE0EEENS1_30default_config_static_selectorELNS0_4arch9wavefront6targetE0EEEvT1_,comdat
.Lfunc_end2105:
	.size	_ZN7rocprim17ROCPRIM_400000_NS6detail17trampoline_kernelINS0_14default_configENS1_27scan_by_key_config_selectorIj11FixedVectorIiLj4EEEEZZNS1_16scan_by_key_implILNS1_25lookback_scan_determinismE0ELb1ES3_N6thrust23THRUST_200600_302600_NS6detail15normal_iteratorINSB_10device_ptrIjEEEENSD_INSE_IS6_EEEESI_S6_NSB_4plusIvEENSB_8equal_toIvEES6_EE10hipError_tPvRmT2_T3_T4_T5_mT6_T7_P12ihipStream_tbENKUlT_T0_E_clISt17integral_constantIbLb0EES12_IbLb1EEEEDaSY_SZ_EUlSY_E_NS1_11comp_targetILNS1_3genE4ELNS1_11target_archE910ELNS1_3gpuE8ELNS1_3repE0EEENS1_30default_config_static_selectorELNS0_4arch9wavefront6targetE0EEEvT1_, .Lfunc_end2105-_ZN7rocprim17ROCPRIM_400000_NS6detail17trampoline_kernelINS0_14default_configENS1_27scan_by_key_config_selectorIj11FixedVectorIiLj4EEEEZZNS1_16scan_by_key_implILNS1_25lookback_scan_determinismE0ELb1ES3_N6thrust23THRUST_200600_302600_NS6detail15normal_iteratorINSB_10device_ptrIjEEEENSD_INSE_IS6_EEEESI_S6_NSB_4plusIvEENSB_8equal_toIvEES6_EE10hipError_tPvRmT2_T3_T4_T5_mT6_T7_P12ihipStream_tbENKUlT_T0_E_clISt17integral_constantIbLb0EES12_IbLb1EEEEDaSY_SZ_EUlSY_E_NS1_11comp_targetILNS1_3genE4ELNS1_11target_archE910ELNS1_3gpuE8ELNS1_3repE0EEENS1_30default_config_static_selectorELNS0_4arch9wavefront6targetE0EEEvT1_
                                        ; -- End function
	.set _ZN7rocprim17ROCPRIM_400000_NS6detail17trampoline_kernelINS0_14default_configENS1_27scan_by_key_config_selectorIj11FixedVectorIiLj4EEEEZZNS1_16scan_by_key_implILNS1_25lookback_scan_determinismE0ELb1ES3_N6thrust23THRUST_200600_302600_NS6detail15normal_iteratorINSB_10device_ptrIjEEEENSD_INSE_IS6_EEEESI_S6_NSB_4plusIvEENSB_8equal_toIvEES6_EE10hipError_tPvRmT2_T3_T4_T5_mT6_T7_P12ihipStream_tbENKUlT_T0_E_clISt17integral_constantIbLb0EES12_IbLb1EEEEDaSY_SZ_EUlSY_E_NS1_11comp_targetILNS1_3genE4ELNS1_11target_archE910ELNS1_3gpuE8ELNS1_3repE0EEENS1_30default_config_static_selectorELNS0_4arch9wavefront6targetE0EEEvT1_.num_vgpr, 0
	.set _ZN7rocprim17ROCPRIM_400000_NS6detail17trampoline_kernelINS0_14default_configENS1_27scan_by_key_config_selectorIj11FixedVectorIiLj4EEEEZZNS1_16scan_by_key_implILNS1_25lookback_scan_determinismE0ELb1ES3_N6thrust23THRUST_200600_302600_NS6detail15normal_iteratorINSB_10device_ptrIjEEEENSD_INSE_IS6_EEEESI_S6_NSB_4plusIvEENSB_8equal_toIvEES6_EE10hipError_tPvRmT2_T3_T4_T5_mT6_T7_P12ihipStream_tbENKUlT_T0_E_clISt17integral_constantIbLb0EES12_IbLb1EEEEDaSY_SZ_EUlSY_E_NS1_11comp_targetILNS1_3genE4ELNS1_11target_archE910ELNS1_3gpuE8ELNS1_3repE0EEENS1_30default_config_static_selectorELNS0_4arch9wavefront6targetE0EEEvT1_.num_agpr, 0
	.set _ZN7rocprim17ROCPRIM_400000_NS6detail17trampoline_kernelINS0_14default_configENS1_27scan_by_key_config_selectorIj11FixedVectorIiLj4EEEEZZNS1_16scan_by_key_implILNS1_25lookback_scan_determinismE0ELb1ES3_N6thrust23THRUST_200600_302600_NS6detail15normal_iteratorINSB_10device_ptrIjEEEENSD_INSE_IS6_EEEESI_S6_NSB_4plusIvEENSB_8equal_toIvEES6_EE10hipError_tPvRmT2_T3_T4_T5_mT6_T7_P12ihipStream_tbENKUlT_T0_E_clISt17integral_constantIbLb0EES12_IbLb1EEEEDaSY_SZ_EUlSY_E_NS1_11comp_targetILNS1_3genE4ELNS1_11target_archE910ELNS1_3gpuE8ELNS1_3repE0EEENS1_30default_config_static_selectorELNS0_4arch9wavefront6targetE0EEEvT1_.numbered_sgpr, 0
	.set _ZN7rocprim17ROCPRIM_400000_NS6detail17trampoline_kernelINS0_14default_configENS1_27scan_by_key_config_selectorIj11FixedVectorIiLj4EEEEZZNS1_16scan_by_key_implILNS1_25lookback_scan_determinismE0ELb1ES3_N6thrust23THRUST_200600_302600_NS6detail15normal_iteratorINSB_10device_ptrIjEEEENSD_INSE_IS6_EEEESI_S6_NSB_4plusIvEENSB_8equal_toIvEES6_EE10hipError_tPvRmT2_T3_T4_T5_mT6_T7_P12ihipStream_tbENKUlT_T0_E_clISt17integral_constantIbLb0EES12_IbLb1EEEEDaSY_SZ_EUlSY_E_NS1_11comp_targetILNS1_3genE4ELNS1_11target_archE910ELNS1_3gpuE8ELNS1_3repE0EEENS1_30default_config_static_selectorELNS0_4arch9wavefront6targetE0EEEvT1_.num_named_barrier, 0
	.set _ZN7rocprim17ROCPRIM_400000_NS6detail17trampoline_kernelINS0_14default_configENS1_27scan_by_key_config_selectorIj11FixedVectorIiLj4EEEEZZNS1_16scan_by_key_implILNS1_25lookback_scan_determinismE0ELb1ES3_N6thrust23THRUST_200600_302600_NS6detail15normal_iteratorINSB_10device_ptrIjEEEENSD_INSE_IS6_EEEESI_S6_NSB_4plusIvEENSB_8equal_toIvEES6_EE10hipError_tPvRmT2_T3_T4_T5_mT6_T7_P12ihipStream_tbENKUlT_T0_E_clISt17integral_constantIbLb0EES12_IbLb1EEEEDaSY_SZ_EUlSY_E_NS1_11comp_targetILNS1_3genE4ELNS1_11target_archE910ELNS1_3gpuE8ELNS1_3repE0EEENS1_30default_config_static_selectorELNS0_4arch9wavefront6targetE0EEEvT1_.private_seg_size, 0
	.set _ZN7rocprim17ROCPRIM_400000_NS6detail17trampoline_kernelINS0_14default_configENS1_27scan_by_key_config_selectorIj11FixedVectorIiLj4EEEEZZNS1_16scan_by_key_implILNS1_25lookback_scan_determinismE0ELb1ES3_N6thrust23THRUST_200600_302600_NS6detail15normal_iteratorINSB_10device_ptrIjEEEENSD_INSE_IS6_EEEESI_S6_NSB_4plusIvEENSB_8equal_toIvEES6_EE10hipError_tPvRmT2_T3_T4_T5_mT6_T7_P12ihipStream_tbENKUlT_T0_E_clISt17integral_constantIbLb0EES12_IbLb1EEEEDaSY_SZ_EUlSY_E_NS1_11comp_targetILNS1_3genE4ELNS1_11target_archE910ELNS1_3gpuE8ELNS1_3repE0EEENS1_30default_config_static_selectorELNS0_4arch9wavefront6targetE0EEEvT1_.uses_vcc, 0
	.set _ZN7rocprim17ROCPRIM_400000_NS6detail17trampoline_kernelINS0_14default_configENS1_27scan_by_key_config_selectorIj11FixedVectorIiLj4EEEEZZNS1_16scan_by_key_implILNS1_25lookback_scan_determinismE0ELb1ES3_N6thrust23THRUST_200600_302600_NS6detail15normal_iteratorINSB_10device_ptrIjEEEENSD_INSE_IS6_EEEESI_S6_NSB_4plusIvEENSB_8equal_toIvEES6_EE10hipError_tPvRmT2_T3_T4_T5_mT6_T7_P12ihipStream_tbENKUlT_T0_E_clISt17integral_constantIbLb0EES12_IbLb1EEEEDaSY_SZ_EUlSY_E_NS1_11comp_targetILNS1_3genE4ELNS1_11target_archE910ELNS1_3gpuE8ELNS1_3repE0EEENS1_30default_config_static_selectorELNS0_4arch9wavefront6targetE0EEEvT1_.uses_flat_scratch, 0
	.set _ZN7rocprim17ROCPRIM_400000_NS6detail17trampoline_kernelINS0_14default_configENS1_27scan_by_key_config_selectorIj11FixedVectorIiLj4EEEEZZNS1_16scan_by_key_implILNS1_25lookback_scan_determinismE0ELb1ES3_N6thrust23THRUST_200600_302600_NS6detail15normal_iteratorINSB_10device_ptrIjEEEENSD_INSE_IS6_EEEESI_S6_NSB_4plusIvEENSB_8equal_toIvEES6_EE10hipError_tPvRmT2_T3_T4_T5_mT6_T7_P12ihipStream_tbENKUlT_T0_E_clISt17integral_constantIbLb0EES12_IbLb1EEEEDaSY_SZ_EUlSY_E_NS1_11comp_targetILNS1_3genE4ELNS1_11target_archE910ELNS1_3gpuE8ELNS1_3repE0EEENS1_30default_config_static_selectorELNS0_4arch9wavefront6targetE0EEEvT1_.has_dyn_sized_stack, 0
	.set _ZN7rocprim17ROCPRIM_400000_NS6detail17trampoline_kernelINS0_14default_configENS1_27scan_by_key_config_selectorIj11FixedVectorIiLj4EEEEZZNS1_16scan_by_key_implILNS1_25lookback_scan_determinismE0ELb1ES3_N6thrust23THRUST_200600_302600_NS6detail15normal_iteratorINSB_10device_ptrIjEEEENSD_INSE_IS6_EEEESI_S6_NSB_4plusIvEENSB_8equal_toIvEES6_EE10hipError_tPvRmT2_T3_T4_T5_mT6_T7_P12ihipStream_tbENKUlT_T0_E_clISt17integral_constantIbLb0EES12_IbLb1EEEEDaSY_SZ_EUlSY_E_NS1_11comp_targetILNS1_3genE4ELNS1_11target_archE910ELNS1_3gpuE8ELNS1_3repE0EEENS1_30default_config_static_selectorELNS0_4arch9wavefront6targetE0EEEvT1_.has_recursion, 0
	.set _ZN7rocprim17ROCPRIM_400000_NS6detail17trampoline_kernelINS0_14default_configENS1_27scan_by_key_config_selectorIj11FixedVectorIiLj4EEEEZZNS1_16scan_by_key_implILNS1_25lookback_scan_determinismE0ELb1ES3_N6thrust23THRUST_200600_302600_NS6detail15normal_iteratorINSB_10device_ptrIjEEEENSD_INSE_IS6_EEEESI_S6_NSB_4plusIvEENSB_8equal_toIvEES6_EE10hipError_tPvRmT2_T3_T4_T5_mT6_T7_P12ihipStream_tbENKUlT_T0_E_clISt17integral_constantIbLb0EES12_IbLb1EEEEDaSY_SZ_EUlSY_E_NS1_11comp_targetILNS1_3genE4ELNS1_11target_archE910ELNS1_3gpuE8ELNS1_3repE0EEENS1_30default_config_static_selectorELNS0_4arch9wavefront6targetE0EEEvT1_.has_indirect_call, 0
	.section	.AMDGPU.csdata,"",@progbits
; Kernel info:
; codeLenInByte = 0
; TotalNumSgprs: 0
; NumVgprs: 0
; ScratchSize: 0
; MemoryBound: 0
; FloatMode: 240
; IeeeMode: 1
; LDSByteSize: 0 bytes/workgroup (compile time only)
; SGPRBlocks: 0
; VGPRBlocks: 0
; NumSGPRsForWavesPerEU: 1
; NumVGPRsForWavesPerEU: 1
; Occupancy: 16
; WaveLimiterHint : 0
; COMPUTE_PGM_RSRC2:SCRATCH_EN: 0
; COMPUTE_PGM_RSRC2:USER_SGPR: 6
; COMPUTE_PGM_RSRC2:TRAP_HANDLER: 0
; COMPUTE_PGM_RSRC2:TGID_X_EN: 1
; COMPUTE_PGM_RSRC2:TGID_Y_EN: 0
; COMPUTE_PGM_RSRC2:TGID_Z_EN: 0
; COMPUTE_PGM_RSRC2:TIDIG_COMP_CNT: 0
	.section	.text._ZN7rocprim17ROCPRIM_400000_NS6detail17trampoline_kernelINS0_14default_configENS1_27scan_by_key_config_selectorIj11FixedVectorIiLj4EEEEZZNS1_16scan_by_key_implILNS1_25lookback_scan_determinismE0ELb1ES3_N6thrust23THRUST_200600_302600_NS6detail15normal_iteratorINSB_10device_ptrIjEEEENSD_INSE_IS6_EEEESI_S6_NSB_4plusIvEENSB_8equal_toIvEES6_EE10hipError_tPvRmT2_T3_T4_T5_mT6_T7_P12ihipStream_tbENKUlT_T0_E_clISt17integral_constantIbLb0EES12_IbLb1EEEEDaSY_SZ_EUlSY_E_NS1_11comp_targetILNS1_3genE3ELNS1_11target_archE908ELNS1_3gpuE7ELNS1_3repE0EEENS1_30default_config_static_selectorELNS0_4arch9wavefront6targetE0EEEvT1_,"axG",@progbits,_ZN7rocprim17ROCPRIM_400000_NS6detail17trampoline_kernelINS0_14default_configENS1_27scan_by_key_config_selectorIj11FixedVectorIiLj4EEEEZZNS1_16scan_by_key_implILNS1_25lookback_scan_determinismE0ELb1ES3_N6thrust23THRUST_200600_302600_NS6detail15normal_iteratorINSB_10device_ptrIjEEEENSD_INSE_IS6_EEEESI_S6_NSB_4plusIvEENSB_8equal_toIvEES6_EE10hipError_tPvRmT2_T3_T4_T5_mT6_T7_P12ihipStream_tbENKUlT_T0_E_clISt17integral_constantIbLb0EES12_IbLb1EEEEDaSY_SZ_EUlSY_E_NS1_11comp_targetILNS1_3genE3ELNS1_11target_archE908ELNS1_3gpuE7ELNS1_3repE0EEENS1_30default_config_static_selectorELNS0_4arch9wavefront6targetE0EEEvT1_,comdat
	.protected	_ZN7rocprim17ROCPRIM_400000_NS6detail17trampoline_kernelINS0_14default_configENS1_27scan_by_key_config_selectorIj11FixedVectorIiLj4EEEEZZNS1_16scan_by_key_implILNS1_25lookback_scan_determinismE0ELb1ES3_N6thrust23THRUST_200600_302600_NS6detail15normal_iteratorINSB_10device_ptrIjEEEENSD_INSE_IS6_EEEESI_S6_NSB_4plusIvEENSB_8equal_toIvEES6_EE10hipError_tPvRmT2_T3_T4_T5_mT6_T7_P12ihipStream_tbENKUlT_T0_E_clISt17integral_constantIbLb0EES12_IbLb1EEEEDaSY_SZ_EUlSY_E_NS1_11comp_targetILNS1_3genE3ELNS1_11target_archE908ELNS1_3gpuE7ELNS1_3repE0EEENS1_30default_config_static_selectorELNS0_4arch9wavefront6targetE0EEEvT1_ ; -- Begin function _ZN7rocprim17ROCPRIM_400000_NS6detail17trampoline_kernelINS0_14default_configENS1_27scan_by_key_config_selectorIj11FixedVectorIiLj4EEEEZZNS1_16scan_by_key_implILNS1_25lookback_scan_determinismE0ELb1ES3_N6thrust23THRUST_200600_302600_NS6detail15normal_iteratorINSB_10device_ptrIjEEEENSD_INSE_IS6_EEEESI_S6_NSB_4plusIvEENSB_8equal_toIvEES6_EE10hipError_tPvRmT2_T3_T4_T5_mT6_T7_P12ihipStream_tbENKUlT_T0_E_clISt17integral_constantIbLb0EES12_IbLb1EEEEDaSY_SZ_EUlSY_E_NS1_11comp_targetILNS1_3genE3ELNS1_11target_archE908ELNS1_3gpuE7ELNS1_3repE0EEENS1_30default_config_static_selectorELNS0_4arch9wavefront6targetE0EEEvT1_
	.globl	_ZN7rocprim17ROCPRIM_400000_NS6detail17trampoline_kernelINS0_14default_configENS1_27scan_by_key_config_selectorIj11FixedVectorIiLj4EEEEZZNS1_16scan_by_key_implILNS1_25lookback_scan_determinismE0ELb1ES3_N6thrust23THRUST_200600_302600_NS6detail15normal_iteratorINSB_10device_ptrIjEEEENSD_INSE_IS6_EEEESI_S6_NSB_4plusIvEENSB_8equal_toIvEES6_EE10hipError_tPvRmT2_T3_T4_T5_mT6_T7_P12ihipStream_tbENKUlT_T0_E_clISt17integral_constantIbLb0EES12_IbLb1EEEEDaSY_SZ_EUlSY_E_NS1_11comp_targetILNS1_3genE3ELNS1_11target_archE908ELNS1_3gpuE7ELNS1_3repE0EEENS1_30default_config_static_selectorELNS0_4arch9wavefront6targetE0EEEvT1_
	.p2align	8
	.type	_ZN7rocprim17ROCPRIM_400000_NS6detail17trampoline_kernelINS0_14default_configENS1_27scan_by_key_config_selectorIj11FixedVectorIiLj4EEEEZZNS1_16scan_by_key_implILNS1_25lookback_scan_determinismE0ELb1ES3_N6thrust23THRUST_200600_302600_NS6detail15normal_iteratorINSB_10device_ptrIjEEEENSD_INSE_IS6_EEEESI_S6_NSB_4plusIvEENSB_8equal_toIvEES6_EE10hipError_tPvRmT2_T3_T4_T5_mT6_T7_P12ihipStream_tbENKUlT_T0_E_clISt17integral_constantIbLb0EES12_IbLb1EEEEDaSY_SZ_EUlSY_E_NS1_11comp_targetILNS1_3genE3ELNS1_11target_archE908ELNS1_3gpuE7ELNS1_3repE0EEENS1_30default_config_static_selectorELNS0_4arch9wavefront6targetE0EEEvT1_,@function
_ZN7rocprim17ROCPRIM_400000_NS6detail17trampoline_kernelINS0_14default_configENS1_27scan_by_key_config_selectorIj11FixedVectorIiLj4EEEEZZNS1_16scan_by_key_implILNS1_25lookback_scan_determinismE0ELb1ES3_N6thrust23THRUST_200600_302600_NS6detail15normal_iteratorINSB_10device_ptrIjEEEENSD_INSE_IS6_EEEESI_S6_NSB_4plusIvEENSB_8equal_toIvEES6_EE10hipError_tPvRmT2_T3_T4_T5_mT6_T7_P12ihipStream_tbENKUlT_T0_E_clISt17integral_constantIbLb0EES12_IbLb1EEEEDaSY_SZ_EUlSY_E_NS1_11comp_targetILNS1_3genE3ELNS1_11target_archE908ELNS1_3gpuE7ELNS1_3repE0EEENS1_30default_config_static_selectorELNS0_4arch9wavefront6targetE0EEEvT1_: ; @_ZN7rocprim17ROCPRIM_400000_NS6detail17trampoline_kernelINS0_14default_configENS1_27scan_by_key_config_selectorIj11FixedVectorIiLj4EEEEZZNS1_16scan_by_key_implILNS1_25lookback_scan_determinismE0ELb1ES3_N6thrust23THRUST_200600_302600_NS6detail15normal_iteratorINSB_10device_ptrIjEEEENSD_INSE_IS6_EEEESI_S6_NSB_4plusIvEENSB_8equal_toIvEES6_EE10hipError_tPvRmT2_T3_T4_T5_mT6_T7_P12ihipStream_tbENKUlT_T0_E_clISt17integral_constantIbLb0EES12_IbLb1EEEEDaSY_SZ_EUlSY_E_NS1_11comp_targetILNS1_3genE3ELNS1_11target_archE908ELNS1_3gpuE7ELNS1_3repE0EEENS1_30default_config_static_selectorELNS0_4arch9wavefront6targetE0EEEvT1_
; %bb.0:
	.section	.rodata,"a",@progbits
	.p2align	6, 0x0
	.amdhsa_kernel _ZN7rocprim17ROCPRIM_400000_NS6detail17trampoline_kernelINS0_14default_configENS1_27scan_by_key_config_selectorIj11FixedVectorIiLj4EEEEZZNS1_16scan_by_key_implILNS1_25lookback_scan_determinismE0ELb1ES3_N6thrust23THRUST_200600_302600_NS6detail15normal_iteratorINSB_10device_ptrIjEEEENSD_INSE_IS6_EEEESI_S6_NSB_4plusIvEENSB_8equal_toIvEES6_EE10hipError_tPvRmT2_T3_T4_T5_mT6_T7_P12ihipStream_tbENKUlT_T0_E_clISt17integral_constantIbLb0EES12_IbLb1EEEEDaSY_SZ_EUlSY_E_NS1_11comp_targetILNS1_3genE3ELNS1_11target_archE908ELNS1_3gpuE7ELNS1_3repE0EEENS1_30default_config_static_selectorELNS0_4arch9wavefront6targetE0EEEvT1_
		.amdhsa_group_segment_fixed_size 0
		.amdhsa_private_segment_fixed_size 0
		.amdhsa_kernarg_size 144
		.amdhsa_user_sgpr_count 6
		.amdhsa_user_sgpr_private_segment_buffer 1
		.amdhsa_user_sgpr_dispatch_ptr 0
		.amdhsa_user_sgpr_queue_ptr 0
		.amdhsa_user_sgpr_kernarg_segment_ptr 1
		.amdhsa_user_sgpr_dispatch_id 0
		.amdhsa_user_sgpr_flat_scratch_init 0
		.amdhsa_user_sgpr_private_segment_size 0
		.amdhsa_wavefront_size32 1
		.amdhsa_uses_dynamic_stack 0
		.amdhsa_system_sgpr_private_segment_wavefront_offset 0
		.amdhsa_system_sgpr_workgroup_id_x 1
		.amdhsa_system_sgpr_workgroup_id_y 0
		.amdhsa_system_sgpr_workgroup_id_z 0
		.amdhsa_system_sgpr_workgroup_info 0
		.amdhsa_system_vgpr_workitem_id 0
		.amdhsa_next_free_vgpr 1
		.amdhsa_next_free_sgpr 1
		.amdhsa_reserve_vcc 0
		.amdhsa_reserve_flat_scratch 0
		.amdhsa_float_round_mode_32 0
		.amdhsa_float_round_mode_16_64 0
		.amdhsa_float_denorm_mode_32 3
		.amdhsa_float_denorm_mode_16_64 3
		.amdhsa_dx10_clamp 1
		.amdhsa_ieee_mode 1
		.amdhsa_fp16_overflow 0
		.amdhsa_workgroup_processor_mode 1
		.amdhsa_memory_ordered 1
		.amdhsa_forward_progress 1
		.amdhsa_shared_vgpr_count 0
		.amdhsa_exception_fp_ieee_invalid_op 0
		.amdhsa_exception_fp_denorm_src 0
		.amdhsa_exception_fp_ieee_div_zero 0
		.amdhsa_exception_fp_ieee_overflow 0
		.amdhsa_exception_fp_ieee_underflow 0
		.amdhsa_exception_fp_ieee_inexact 0
		.amdhsa_exception_int_div_zero 0
	.end_amdhsa_kernel
	.section	.text._ZN7rocprim17ROCPRIM_400000_NS6detail17trampoline_kernelINS0_14default_configENS1_27scan_by_key_config_selectorIj11FixedVectorIiLj4EEEEZZNS1_16scan_by_key_implILNS1_25lookback_scan_determinismE0ELb1ES3_N6thrust23THRUST_200600_302600_NS6detail15normal_iteratorINSB_10device_ptrIjEEEENSD_INSE_IS6_EEEESI_S6_NSB_4plusIvEENSB_8equal_toIvEES6_EE10hipError_tPvRmT2_T3_T4_T5_mT6_T7_P12ihipStream_tbENKUlT_T0_E_clISt17integral_constantIbLb0EES12_IbLb1EEEEDaSY_SZ_EUlSY_E_NS1_11comp_targetILNS1_3genE3ELNS1_11target_archE908ELNS1_3gpuE7ELNS1_3repE0EEENS1_30default_config_static_selectorELNS0_4arch9wavefront6targetE0EEEvT1_,"axG",@progbits,_ZN7rocprim17ROCPRIM_400000_NS6detail17trampoline_kernelINS0_14default_configENS1_27scan_by_key_config_selectorIj11FixedVectorIiLj4EEEEZZNS1_16scan_by_key_implILNS1_25lookback_scan_determinismE0ELb1ES3_N6thrust23THRUST_200600_302600_NS6detail15normal_iteratorINSB_10device_ptrIjEEEENSD_INSE_IS6_EEEESI_S6_NSB_4plusIvEENSB_8equal_toIvEES6_EE10hipError_tPvRmT2_T3_T4_T5_mT6_T7_P12ihipStream_tbENKUlT_T0_E_clISt17integral_constantIbLb0EES12_IbLb1EEEEDaSY_SZ_EUlSY_E_NS1_11comp_targetILNS1_3genE3ELNS1_11target_archE908ELNS1_3gpuE7ELNS1_3repE0EEENS1_30default_config_static_selectorELNS0_4arch9wavefront6targetE0EEEvT1_,comdat
.Lfunc_end2106:
	.size	_ZN7rocprim17ROCPRIM_400000_NS6detail17trampoline_kernelINS0_14default_configENS1_27scan_by_key_config_selectorIj11FixedVectorIiLj4EEEEZZNS1_16scan_by_key_implILNS1_25lookback_scan_determinismE0ELb1ES3_N6thrust23THRUST_200600_302600_NS6detail15normal_iteratorINSB_10device_ptrIjEEEENSD_INSE_IS6_EEEESI_S6_NSB_4plusIvEENSB_8equal_toIvEES6_EE10hipError_tPvRmT2_T3_T4_T5_mT6_T7_P12ihipStream_tbENKUlT_T0_E_clISt17integral_constantIbLb0EES12_IbLb1EEEEDaSY_SZ_EUlSY_E_NS1_11comp_targetILNS1_3genE3ELNS1_11target_archE908ELNS1_3gpuE7ELNS1_3repE0EEENS1_30default_config_static_selectorELNS0_4arch9wavefront6targetE0EEEvT1_, .Lfunc_end2106-_ZN7rocprim17ROCPRIM_400000_NS6detail17trampoline_kernelINS0_14default_configENS1_27scan_by_key_config_selectorIj11FixedVectorIiLj4EEEEZZNS1_16scan_by_key_implILNS1_25lookback_scan_determinismE0ELb1ES3_N6thrust23THRUST_200600_302600_NS6detail15normal_iteratorINSB_10device_ptrIjEEEENSD_INSE_IS6_EEEESI_S6_NSB_4plusIvEENSB_8equal_toIvEES6_EE10hipError_tPvRmT2_T3_T4_T5_mT6_T7_P12ihipStream_tbENKUlT_T0_E_clISt17integral_constantIbLb0EES12_IbLb1EEEEDaSY_SZ_EUlSY_E_NS1_11comp_targetILNS1_3genE3ELNS1_11target_archE908ELNS1_3gpuE7ELNS1_3repE0EEENS1_30default_config_static_selectorELNS0_4arch9wavefront6targetE0EEEvT1_
                                        ; -- End function
	.set _ZN7rocprim17ROCPRIM_400000_NS6detail17trampoline_kernelINS0_14default_configENS1_27scan_by_key_config_selectorIj11FixedVectorIiLj4EEEEZZNS1_16scan_by_key_implILNS1_25lookback_scan_determinismE0ELb1ES3_N6thrust23THRUST_200600_302600_NS6detail15normal_iteratorINSB_10device_ptrIjEEEENSD_INSE_IS6_EEEESI_S6_NSB_4plusIvEENSB_8equal_toIvEES6_EE10hipError_tPvRmT2_T3_T4_T5_mT6_T7_P12ihipStream_tbENKUlT_T0_E_clISt17integral_constantIbLb0EES12_IbLb1EEEEDaSY_SZ_EUlSY_E_NS1_11comp_targetILNS1_3genE3ELNS1_11target_archE908ELNS1_3gpuE7ELNS1_3repE0EEENS1_30default_config_static_selectorELNS0_4arch9wavefront6targetE0EEEvT1_.num_vgpr, 0
	.set _ZN7rocprim17ROCPRIM_400000_NS6detail17trampoline_kernelINS0_14default_configENS1_27scan_by_key_config_selectorIj11FixedVectorIiLj4EEEEZZNS1_16scan_by_key_implILNS1_25lookback_scan_determinismE0ELb1ES3_N6thrust23THRUST_200600_302600_NS6detail15normal_iteratorINSB_10device_ptrIjEEEENSD_INSE_IS6_EEEESI_S6_NSB_4plusIvEENSB_8equal_toIvEES6_EE10hipError_tPvRmT2_T3_T4_T5_mT6_T7_P12ihipStream_tbENKUlT_T0_E_clISt17integral_constantIbLb0EES12_IbLb1EEEEDaSY_SZ_EUlSY_E_NS1_11comp_targetILNS1_3genE3ELNS1_11target_archE908ELNS1_3gpuE7ELNS1_3repE0EEENS1_30default_config_static_selectorELNS0_4arch9wavefront6targetE0EEEvT1_.num_agpr, 0
	.set _ZN7rocprim17ROCPRIM_400000_NS6detail17trampoline_kernelINS0_14default_configENS1_27scan_by_key_config_selectorIj11FixedVectorIiLj4EEEEZZNS1_16scan_by_key_implILNS1_25lookback_scan_determinismE0ELb1ES3_N6thrust23THRUST_200600_302600_NS6detail15normal_iteratorINSB_10device_ptrIjEEEENSD_INSE_IS6_EEEESI_S6_NSB_4plusIvEENSB_8equal_toIvEES6_EE10hipError_tPvRmT2_T3_T4_T5_mT6_T7_P12ihipStream_tbENKUlT_T0_E_clISt17integral_constantIbLb0EES12_IbLb1EEEEDaSY_SZ_EUlSY_E_NS1_11comp_targetILNS1_3genE3ELNS1_11target_archE908ELNS1_3gpuE7ELNS1_3repE0EEENS1_30default_config_static_selectorELNS0_4arch9wavefront6targetE0EEEvT1_.numbered_sgpr, 0
	.set _ZN7rocprim17ROCPRIM_400000_NS6detail17trampoline_kernelINS0_14default_configENS1_27scan_by_key_config_selectorIj11FixedVectorIiLj4EEEEZZNS1_16scan_by_key_implILNS1_25lookback_scan_determinismE0ELb1ES3_N6thrust23THRUST_200600_302600_NS6detail15normal_iteratorINSB_10device_ptrIjEEEENSD_INSE_IS6_EEEESI_S6_NSB_4plusIvEENSB_8equal_toIvEES6_EE10hipError_tPvRmT2_T3_T4_T5_mT6_T7_P12ihipStream_tbENKUlT_T0_E_clISt17integral_constantIbLb0EES12_IbLb1EEEEDaSY_SZ_EUlSY_E_NS1_11comp_targetILNS1_3genE3ELNS1_11target_archE908ELNS1_3gpuE7ELNS1_3repE0EEENS1_30default_config_static_selectorELNS0_4arch9wavefront6targetE0EEEvT1_.num_named_barrier, 0
	.set _ZN7rocprim17ROCPRIM_400000_NS6detail17trampoline_kernelINS0_14default_configENS1_27scan_by_key_config_selectorIj11FixedVectorIiLj4EEEEZZNS1_16scan_by_key_implILNS1_25lookback_scan_determinismE0ELb1ES3_N6thrust23THRUST_200600_302600_NS6detail15normal_iteratorINSB_10device_ptrIjEEEENSD_INSE_IS6_EEEESI_S6_NSB_4plusIvEENSB_8equal_toIvEES6_EE10hipError_tPvRmT2_T3_T4_T5_mT6_T7_P12ihipStream_tbENKUlT_T0_E_clISt17integral_constantIbLb0EES12_IbLb1EEEEDaSY_SZ_EUlSY_E_NS1_11comp_targetILNS1_3genE3ELNS1_11target_archE908ELNS1_3gpuE7ELNS1_3repE0EEENS1_30default_config_static_selectorELNS0_4arch9wavefront6targetE0EEEvT1_.private_seg_size, 0
	.set _ZN7rocprim17ROCPRIM_400000_NS6detail17trampoline_kernelINS0_14default_configENS1_27scan_by_key_config_selectorIj11FixedVectorIiLj4EEEEZZNS1_16scan_by_key_implILNS1_25lookback_scan_determinismE0ELb1ES3_N6thrust23THRUST_200600_302600_NS6detail15normal_iteratorINSB_10device_ptrIjEEEENSD_INSE_IS6_EEEESI_S6_NSB_4plusIvEENSB_8equal_toIvEES6_EE10hipError_tPvRmT2_T3_T4_T5_mT6_T7_P12ihipStream_tbENKUlT_T0_E_clISt17integral_constantIbLb0EES12_IbLb1EEEEDaSY_SZ_EUlSY_E_NS1_11comp_targetILNS1_3genE3ELNS1_11target_archE908ELNS1_3gpuE7ELNS1_3repE0EEENS1_30default_config_static_selectorELNS0_4arch9wavefront6targetE0EEEvT1_.uses_vcc, 0
	.set _ZN7rocprim17ROCPRIM_400000_NS6detail17trampoline_kernelINS0_14default_configENS1_27scan_by_key_config_selectorIj11FixedVectorIiLj4EEEEZZNS1_16scan_by_key_implILNS1_25lookback_scan_determinismE0ELb1ES3_N6thrust23THRUST_200600_302600_NS6detail15normal_iteratorINSB_10device_ptrIjEEEENSD_INSE_IS6_EEEESI_S6_NSB_4plusIvEENSB_8equal_toIvEES6_EE10hipError_tPvRmT2_T3_T4_T5_mT6_T7_P12ihipStream_tbENKUlT_T0_E_clISt17integral_constantIbLb0EES12_IbLb1EEEEDaSY_SZ_EUlSY_E_NS1_11comp_targetILNS1_3genE3ELNS1_11target_archE908ELNS1_3gpuE7ELNS1_3repE0EEENS1_30default_config_static_selectorELNS0_4arch9wavefront6targetE0EEEvT1_.uses_flat_scratch, 0
	.set _ZN7rocprim17ROCPRIM_400000_NS6detail17trampoline_kernelINS0_14default_configENS1_27scan_by_key_config_selectorIj11FixedVectorIiLj4EEEEZZNS1_16scan_by_key_implILNS1_25lookback_scan_determinismE0ELb1ES3_N6thrust23THRUST_200600_302600_NS6detail15normal_iteratorINSB_10device_ptrIjEEEENSD_INSE_IS6_EEEESI_S6_NSB_4plusIvEENSB_8equal_toIvEES6_EE10hipError_tPvRmT2_T3_T4_T5_mT6_T7_P12ihipStream_tbENKUlT_T0_E_clISt17integral_constantIbLb0EES12_IbLb1EEEEDaSY_SZ_EUlSY_E_NS1_11comp_targetILNS1_3genE3ELNS1_11target_archE908ELNS1_3gpuE7ELNS1_3repE0EEENS1_30default_config_static_selectorELNS0_4arch9wavefront6targetE0EEEvT1_.has_dyn_sized_stack, 0
	.set _ZN7rocprim17ROCPRIM_400000_NS6detail17trampoline_kernelINS0_14default_configENS1_27scan_by_key_config_selectorIj11FixedVectorIiLj4EEEEZZNS1_16scan_by_key_implILNS1_25lookback_scan_determinismE0ELb1ES3_N6thrust23THRUST_200600_302600_NS6detail15normal_iteratorINSB_10device_ptrIjEEEENSD_INSE_IS6_EEEESI_S6_NSB_4plusIvEENSB_8equal_toIvEES6_EE10hipError_tPvRmT2_T3_T4_T5_mT6_T7_P12ihipStream_tbENKUlT_T0_E_clISt17integral_constantIbLb0EES12_IbLb1EEEEDaSY_SZ_EUlSY_E_NS1_11comp_targetILNS1_3genE3ELNS1_11target_archE908ELNS1_3gpuE7ELNS1_3repE0EEENS1_30default_config_static_selectorELNS0_4arch9wavefront6targetE0EEEvT1_.has_recursion, 0
	.set _ZN7rocprim17ROCPRIM_400000_NS6detail17trampoline_kernelINS0_14default_configENS1_27scan_by_key_config_selectorIj11FixedVectorIiLj4EEEEZZNS1_16scan_by_key_implILNS1_25lookback_scan_determinismE0ELb1ES3_N6thrust23THRUST_200600_302600_NS6detail15normal_iteratorINSB_10device_ptrIjEEEENSD_INSE_IS6_EEEESI_S6_NSB_4plusIvEENSB_8equal_toIvEES6_EE10hipError_tPvRmT2_T3_T4_T5_mT6_T7_P12ihipStream_tbENKUlT_T0_E_clISt17integral_constantIbLb0EES12_IbLb1EEEEDaSY_SZ_EUlSY_E_NS1_11comp_targetILNS1_3genE3ELNS1_11target_archE908ELNS1_3gpuE7ELNS1_3repE0EEENS1_30default_config_static_selectorELNS0_4arch9wavefront6targetE0EEEvT1_.has_indirect_call, 0
	.section	.AMDGPU.csdata,"",@progbits
; Kernel info:
; codeLenInByte = 0
; TotalNumSgprs: 0
; NumVgprs: 0
; ScratchSize: 0
; MemoryBound: 0
; FloatMode: 240
; IeeeMode: 1
; LDSByteSize: 0 bytes/workgroup (compile time only)
; SGPRBlocks: 0
; VGPRBlocks: 0
; NumSGPRsForWavesPerEU: 1
; NumVGPRsForWavesPerEU: 1
; Occupancy: 16
; WaveLimiterHint : 0
; COMPUTE_PGM_RSRC2:SCRATCH_EN: 0
; COMPUTE_PGM_RSRC2:USER_SGPR: 6
; COMPUTE_PGM_RSRC2:TRAP_HANDLER: 0
; COMPUTE_PGM_RSRC2:TGID_X_EN: 1
; COMPUTE_PGM_RSRC2:TGID_Y_EN: 0
; COMPUTE_PGM_RSRC2:TGID_Z_EN: 0
; COMPUTE_PGM_RSRC2:TIDIG_COMP_CNT: 0
	.section	.text._ZN7rocprim17ROCPRIM_400000_NS6detail17trampoline_kernelINS0_14default_configENS1_27scan_by_key_config_selectorIj11FixedVectorIiLj4EEEEZZNS1_16scan_by_key_implILNS1_25lookback_scan_determinismE0ELb1ES3_N6thrust23THRUST_200600_302600_NS6detail15normal_iteratorINSB_10device_ptrIjEEEENSD_INSE_IS6_EEEESI_S6_NSB_4plusIvEENSB_8equal_toIvEES6_EE10hipError_tPvRmT2_T3_T4_T5_mT6_T7_P12ihipStream_tbENKUlT_T0_E_clISt17integral_constantIbLb0EES12_IbLb1EEEEDaSY_SZ_EUlSY_E_NS1_11comp_targetILNS1_3genE2ELNS1_11target_archE906ELNS1_3gpuE6ELNS1_3repE0EEENS1_30default_config_static_selectorELNS0_4arch9wavefront6targetE0EEEvT1_,"axG",@progbits,_ZN7rocprim17ROCPRIM_400000_NS6detail17trampoline_kernelINS0_14default_configENS1_27scan_by_key_config_selectorIj11FixedVectorIiLj4EEEEZZNS1_16scan_by_key_implILNS1_25lookback_scan_determinismE0ELb1ES3_N6thrust23THRUST_200600_302600_NS6detail15normal_iteratorINSB_10device_ptrIjEEEENSD_INSE_IS6_EEEESI_S6_NSB_4plusIvEENSB_8equal_toIvEES6_EE10hipError_tPvRmT2_T3_T4_T5_mT6_T7_P12ihipStream_tbENKUlT_T0_E_clISt17integral_constantIbLb0EES12_IbLb1EEEEDaSY_SZ_EUlSY_E_NS1_11comp_targetILNS1_3genE2ELNS1_11target_archE906ELNS1_3gpuE6ELNS1_3repE0EEENS1_30default_config_static_selectorELNS0_4arch9wavefront6targetE0EEEvT1_,comdat
	.protected	_ZN7rocprim17ROCPRIM_400000_NS6detail17trampoline_kernelINS0_14default_configENS1_27scan_by_key_config_selectorIj11FixedVectorIiLj4EEEEZZNS1_16scan_by_key_implILNS1_25lookback_scan_determinismE0ELb1ES3_N6thrust23THRUST_200600_302600_NS6detail15normal_iteratorINSB_10device_ptrIjEEEENSD_INSE_IS6_EEEESI_S6_NSB_4plusIvEENSB_8equal_toIvEES6_EE10hipError_tPvRmT2_T3_T4_T5_mT6_T7_P12ihipStream_tbENKUlT_T0_E_clISt17integral_constantIbLb0EES12_IbLb1EEEEDaSY_SZ_EUlSY_E_NS1_11comp_targetILNS1_3genE2ELNS1_11target_archE906ELNS1_3gpuE6ELNS1_3repE0EEENS1_30default_config_static_selectorELNS0_4arch9wavefront6targetE0EEEvT1_ ; -- Begin function _ZN7rocprim17ROCPRIM_400000_NS6detail17trampoline_kernelINS0_14default_configENS1_27scan_by_key_config_selectorIj11FixedVectorIiLj4EEEEZZNS1_16scan_by_key_implILNS1_25lookback_scan_determinismE0ELb1ES3_N6thrust23THRUST_200600_302600_NS6detail15normal_iteratorINSB_10device_ptrIjEEEENSD_INSE_IS6_EEEESI_S6_NSB_4plusIvEENSB_8equal_toIvEES6_EE10hipError_tPvRmT2_T3_T4_T5_mT6_T7_P12ihipStream_tbENKUlT_T0_E_clISt17integral_constantIbLb0EES12_IbLb1EEEEDaSY_SZ_EUlSY_E_NS1_11comp_targetILNS1_3genE2ELNS1_11target_archE906ELNS1_3gpuE6ELNS1_3repE0EEENS1_30default_config_static_selectorELNS0_4arch9wavefront6targetE0EEEvT1_
	.globl	_ZN7rocprim17ROCPRIM_400000_NS6detail17trampoline_kernelINS0_14default_configENS1_27scan_by_key_config_selectorIj11FixedVectorIiLj4EEEEZZNS1_16scan_by_key_implILNS1_25lookback_scan_determinismE0ELb1ES3_N6thrust23THRUST_200600_302600_NS6detail15normal_iteratorINSB_10device_ptrIjEEEENSD_INSE_IS6_EEEESI_S6_NSB_4plusIvEENSB_8equal_toIvEES6_EE10hipError_tPvRmT2_T3_T4_T5_mT6_T7_P12ihipStream_tbENKUlT_T0_E_clISt17integral_constantIbLb0EES12_IbLb1EEEEDaSY_SZ_EUlSY_E_NS1_11comp_targetILNS1_3genE2ELNS1_11target_archE906ELNS1_3gpuE6ELNS1_3repE0EEENS1_30default_config_static_selectorELNS0_4arch9wavefront6targetE0EEEvT1_
	.p2align	8
	.type	_ZN7rocprim17ROCPRIM_400000_NS6detail17trampoline_kernelINS0_14default_configENS1_27scan_by_key_config_selectorIj11FixedVectorIiLj4EEEEZZNS1_16scan_by_key_implILNS1_25lookback_scan_determinismE0ELb1ES3_N6thrust23THRUST_200600_302600_NS6detail15normal_iteratorINSB_10device_ptrIjEEEENSD_INSE_IS6_EEEESI_S6_NSB_4plusIvEENSB_8equal_toIvEES6_EE10hipError_tPvRmT2_T3_T4_T5_mT6_T7_P12ihipStream_tbENKUlT_T0_E_clISt17integral_constantIbLb0EES12_IbLb1EEEEDaSY_SZ_EUlSY_E_NS1_11comp_targetILNS1_3genE2ELNS1_11target_archE906ELNS1_3gpuE6ELNS1_3repE0EEENS1_30default_config_static_selectorELNS0_4arch9wavefront6targetE0EEEvT1_,@function
_ZN7rocprim17ROCPRIM_400000_NS6detail17trampoline_kernelINS0_14default_configENS1_27scan_by_key_config_selectorIj11FixedVectorIiLj4EEEEZZNS1_16scan_by_key_implILNS1_25lookback_scan_determinismE0ELb1ES3_N6thrust23THRUST_200600_302600_NS6detail15normal_iteratorINSB_10device_ptrIjEEEENSD_INSE_IS6_EEEESI_S6_NSB_4plusIvEENSB_8equal_toIvEES6_EE10hipError_tPvRmT2_T3_T4_T5_mT6_T7_P12ihipStream_tbENKUlT_T0_E_clISt17integral_constantIbLb0EES12_IbLb1EEEEDaSY_SZ_EUlSY_E_NS1_11comp_targetILNS1_3genE2ELNS1_11target_archE906ELNS1_3gpuE6ELNS1_3repE0EEENS1_30default_config_static_selectorELNS0_4arch9wavefront6targetE0EEEvT1_: ; @_ZN7rocprim17ROCPRIM_400000_NS6detail17trampoline_kernelINS0_14default_configENS1_27scan_by_key_config_selectorIj11FixedVectorIiLj4EEEEZZNS1_16scan_by_key_implILNS1_25lookback_scan_determinismE0ELb1ES3_N6thrust23THRUST_200600_302600_NS6detail15normal_iteratorINSB_10device_ptrIjEEEENSD_INSE_IS6_EEEESI_S6_NSB_4plusIvEENSB_8equal_toIvEES6_EE10hipError_tPvRmT2_T3_T4_T5_mT6_T7_P12ihipStream_tbENKUlT_T0_E_clISt17integral_constantIbLb0EES12_IbLb1EEEEDaSY_SZ_EUlSY_E_NS1_11comp_targetILNS1_3genE2ELNS1_11target_archE906ELNS1_3gpuE6ELNS1_3repE0EEENS1_30default_config_static_selectorELNS0_4arch9wavefront6targetE0EEEvT1_
; %bb.0:
	.section	.rodata,"a",@progbits
	.p2align	6, 0x0
	.amdhsa_kernel _ZN7rocprim17ROCPRIM_400000_NS6detail17trampoline_kernelINS0_14default_configENS1_27scan_by_key_config_selectorIj11FixedVectorIiLj4EEEEZZNS1_16scan_by_key_implILNS1_25lookback_scan_determinismE0ELb1ES3_N6thrust23THRUST_200600_302600_NS6detail15normal_iteratorINSB_10device_ptrIjEEEENSD_INSE_IS6_EEEESI_S6_NSB_4plusIvEENSB_8equal_toIvEES6_EE10hipError_tPvRmT2_T3_T4_T5_mT6_T7_P12ihipStream_tbENKUlT_T0_E_clISt17integral_constantIbLb0EES12_IbLb1EEEEDaSY_SZ_EUlSY_E_NS1_11comp_targetILNS1_3genE2ELNS1_11target_archE906ELNS1_3gpuE6ELNS1_3repE0EEENS1_30default_config_static_selectorELNS0_4arch9wavefront6targetE0EEEvT1_
		.amdhsa_group_segment_fixed_size 0
		.amdhsa_private_segment_fixed_size 0
		.amdhsa_kernarg_size 144
		.amdhsa_user_sgpr_count 6
		.amdhsa_user_sgpr_private_segment_buffer 1
		.amdhsa_user_sgpr_dispatch_ptr 0
		.amdhsa_user_sgpr_queue_ptr 0
		.amdhsa_user_sgpr_kernarg_segment_ptr 1
		.amdhsa_user_sgpr_dispatch_id 0
		.amdhsa_user_sgpr_flat_scratch_init 0
		.amdhsa_user_sgpr_private_segment_size 0
		.amdhsa_wavefront_size32 1
		.amdhsa_uses_dynamic_stack 0
		.amdhsa_system_sgpr_private_segment_wavefront_offset 0
		.amdhsa_system_sgpr_workgroup_id_x 1
		.amdhsa_system_sgpr_workgroup_id_y 0
		.amdhsa_system_sgpr_workgroup_id_z 0
		.amdhsa_system_sgpr_workgroup_info 0
		.amdhsa_system_vgpr_workitem_id 0
		.amdhsa_next_free_vgpr 1
		.amdhsa_next_free_sgpr 1
		.amdhsa_reserve_vcc 0
		.amdhsa_reserve_flat_scratch 0
		.amdhsa_float_round_mode_32 0
		.amdhsa_float_round_mode_16_64 0
		.amdhsa_float_denorm_mode_32 3
		.amdhsa_float_denorm_mode_16_64 3
		.amdhsa_dx10_clamp 1
		.amdhsa_ieee_mode 1
		.amdhsa_fp16_overflow 0
		.amdhsa_workgroup_processor_mode 1
		.amdhsa_memory_ordered 1
		.amdhsa_forward_progress 1
		.amdhsa_shared_vgpr_count 0
		.amdhsa_exception_fp_ieee_invalid_op 0
		.amdhsa_exception_fp_denorm_src 0
		.amdhsa_exception_fp_ieee_div_zero 0
		.amdhsa_exception_fp_ieee_overflow 0
		.amdhsa_exception_fp_ieee_underflow 0
		.amdhsa_exception_fp_ieee_inexact 0
		.amdhsa_exception_int_div_zero 0
	.end_amdhsa_kernel
	.section	.text._ZN7rocprim17ROCPRIM_400000_NS6detail17trampoline_kernelINS0_14default_configENS1_27scan_by_key_config_selectorIj11FixedVectorIiLj4EEEEZZNS1_16scan_by_key_implILNS1_25lookback_scan_determinismE0ELb1ES3_N6thrust23THRUST_200600_302600_NS6detail15normal_iteratorINSB_10device_ptrIjEEEENSD_INSE_IS6_EEEESI_S6_NSB_4plusIvEENSB_8equal_toIvEES6_EE10hipError_tPvRmT2_T3_T4_T5_mT6_T7_P12ihipStream_tbENKUlT_T0_E_clISt17integral_constantIbLb0EES12_IbLb1EEEEDaSY_SZ_EUlSY_E_NS1_11comp_targetILNS1_3genE2ELNS1_11target_archE906ELNS1_3gpuE6ELNS1_3repE0EEENS1_30default_config_static_selectorELNS0_4arch9wavefront6targetE0EEEvT1_,"axG",@progbits,_ZN7rocprim17ROCPRIM_400000_NS6detail17trampoline_kernelINS0_14default_configENS1_27scan_by_key_config_selectorIj11FixedVectorIiLj4EEEEZZNS1_16scan_by_key_implILNS1_25lookback_scan_determinismE0ELb1ES3_N6thrust23THRUST_200600_302600_NS6detail15normal_iteratorINSB_10device_ptrIjEEEENSD_INSE_IS6_EEEESI_S6_NSB_4plusIvEENSB_8equal_toIvEES6_EE10hipError_tPvRmT2_T3_T4_T5_mT6_T7_P12ihipStream_tbENKUlT_T0_E_clISt17integral_constantIbLb0EES12_IbLb1EEEEDaSY_SZ_EUlSY_E_NS1_11comp_targetILNS1_3genE2ELNS1_11target_archE906ELNS1_3gpuE6ELNS1_3repE0EEENS1_30default_config_static_selectorELNS0_4arch9wavefront6targetE0EEEvT1_,comdat
.Lfunc_end2107:
	.size	_ZN7rocprim17ROCPRIM_400000_NS6detail17trampoline_kernelINS0_14default_configENS1_27scan_by_key_config_selectorIj11FixedVectorIiLj4EEEEZZNS1_16scan_by_key_implILNS1_25lookback_scan_determinismE0ELb1ES3_N6thrust23THRUST_200600_302600_NS6detail15normal_iteratorINSB_10device_ptrIjEEEENSD_INSE_IS6_EEEESI_S6_NSB_4plusIvEENSB_8equal_toIvEES6_EE10hipError_tPvRmT2_T3_T4_T5_mT6_T7_P12ihipStream_tbENKUlT_T0_E_clISt17integral_constantIbLb0EES12_IbLb1EEEEDaSY_SZ_EUlSY_E_NS1_11comp_targetILNS1_3genE2ELNS1_11target_archE906ELNS1_3gpuE6ELNS1_3repE0EEENS1_30default_config_static_selectorELNS0_4arch9wavefront6targetE0EEEvT1_, .Lfunc_end2107-_ZN7rocprim17ROCPRIM_400000_NS6detail17trampoline_kernelINS0_14default_configENS1_27scan_by_key_config_selectorIj11FixedVectorIiLj4EEEEZZNS1_16scan_by_key_implILNS1_25lookback_scan_determinismE0ELb1ES3_N6thrust23THRUST_200600_302600_NS6detail15normal_iteratorINSB_10device_ptrIjEEEENSD_INSE_IS6_EEEESI_S6_NSB_4plusIvEENSB_8equal_toIvEES6_EE10hipError_tPvRmT2_T3_T4_T5_mT6_T7_P12ihipStream_tbENKUlT_T0_E_clISt17integral_constantIbLb0EES12_IbLb1EEEEDaSY_SZ_EUlSY_E_NS1_11comp_targetILNS1_3genE2ELNS1_11target_archE906ELNS1_3gpuE6ELNS1_3repE0EEENS1_30default_config_static_selectorELNS0_4arch9wavefront6targetE0EEEvT1_
                                        ; -- End function
	.set _ZN7rocprim17ROCPRIM_400000_NS6detail17trampoline_kernelINS0_14default_configENS1_27scan_by_key_config_selectorIj11FixedVectorIiLj4EEEEZZNS1_16scan_by_key_implILNS1_25lookback_scan_determinismE0ELb1ES3_N6thrust23THRUST_200600_302600_NS6detail15normal_iteratorINSB_10device_ptrIjEEEENSD_INSE_IS6_EEEESI_S6_NSB_4plusIvEENSB_8equal_toIvEES6_EE10hipError_tPvRmT2_T3_T4_T5_mT6_T7_P12ihipStream_tbENKUlT_T0_E_clISt17integral_constantIbLb0EES12_IbLb1EEEEDaSY_SZ_EUlSY_E_NS1_11comp_targetILNS1_3genE2ELNS1_11target_archE906ELNS1_3gpuE6ELNS1_3repE0EEENS1_30default_config_static_selectorELNS0_4arch9wavefront6targetE0EEEvT1_.num_vgpr, 0
	.set _ZN7rocprim17ROCPRIM_400000_NS6detail17trampoline_kernelINS0_14default_configENS1_27scan_by_key_config_selectorIj11FixedVectorIiLj4EEEEZZNS1_16scan_by_key_implILNS1_25lookback_scan_determinismE0ELb1ES3_N6thrust23THRUST_200600_302600_NS6detail15normal_iteratorINSB_10device_ptrIjEEEENSD_INSE_IS6_EEEESI_S6_NSB_4plusIvEENSB_8equal_toIvEES6_EE10hipError_tPvRmT2_T3_T4_T5_mT6_T7_P12ihipStream_tbENKUlT_T0_E_clISt17integral_constantIbLb0EES12_IbLb1EEEEDaSY_SZ_EUlSY_E_NS1_11comp_targetILNS1_3genE2ELNS1_11target_archE906ELNS1_3gpuE6ELNS1_3repE0EEENS1_30default_config_static_selectorELNS0_4arch9wavefront6targetE0EEEvT1_.num_agpr, 0
	.set _ZN7rocprim17ROCPRIM_400000_NS6detail17trampoline_kernelINS0_14default_configENS1_27scan_by_key_config_selectorIj11FixedVectorIiLj4EEEEZZNS1_16scan_by_key_implILNS1_25lookback_scan_determinismE0ELb1ES3_N6thrust23THRUST_200600_302600_NS6detail15normal_iteratorINSB_10device_ptrIjEEEENSD_INSE_IS6_EEEESI_S6_NSB_4plusIvEENSB_8equal_toIvEES6_EE10hipError_tPvRmT2_T3_T4_T5_mT6_T7_P12ihipStream_tbENKUlT_T0_E_clISt17integral_constantIbLb0EES12_IbLb1EEEEDaSY_SZ_EUlSY_E_NS1_11comp_targetILNS1_3genE2ELNS1_11target_archE906ELNS1_3gpuE6ELNS1_3repE0EEENS1_30default_config_static_selectorELNS0_4arch9wavefront6targetE0EEEvT1_.numbered_sgpr, 0
	.set _ZN7rocprim17ROCPRIM_400000_NS6detail17trampoline_kernelINS0_14default_configENS1_27scan_by_key_config_selectorIj11FixedVectorIiLj4EEEEZZNS1_16scan_by_key_implILNS1_25lookback_scan_determinismE0ELb1ES3_N6thrust23THRUST_200600_302600_NS6detail15normal_iteratorINSB_10device_ptrIjEEEENSD_INSE_IS6_EEEESI_S6_NSB_4plusIvEENSB_8equal_toIvEES6_EE10hipError_tPvRmT2_T3_T4_T5_mT6_T7_P12ihipStream_tbENKUlT_T0_E_clISt17integral_constantIbLb0EES12_IbLb1EEEEDaSY_SZ_EUlSY_E_NS1_11comp_targetILNS1_3genE2ELNS1_11target_archE906ELNS1_3gpuE6ELNS1_3repE0EEENS1_30default_config_static_selectorELNS0_4arch9wavefront6targetE0EEEvT1_.num_named_barrier, 0
	.set _ZN7rocprim17ROCPRIM_400000_NS6detail17trampoline_kernelINS0_14default_configENS1_27scan_by_key_config_selectorIj11FixedVectorIiLj4EEEEZZNS1_16scan_by_key_implILNS1_25lookback_scan_determinismE0ELb1ES3_N6thrust23THRUST_200600_302600_NS6detail15normal_iteratorINSB_10device_ptrIjEEEENSD_INSE_IS6_EEEESI_S6_NSB_4plusIvEENSB_8equal_toIvEES6_EE10hipError_tPvRmT2_T3_T4_T5_mT6_T7_P12ihipStream_tbENKUlT_T0_E_clISt17integral_constantIbLb0EES12_IbLb1EEEEDaSY_SZ_EUlSY_E_NS1_11comp_targetILNS1_3genE2ELNS1_11target_archE906ELNS1_3gpuE6ELNS1_3repE0EEENS1_30default_config_static_selectorELNS0_4arch9wavefront6targetE0EEEvT1_.private_seg_size, 0
	.set _ZN7rocprim17ROCPRIM_400000_NS6detail17trampoline_kernelINS0_14default_configENS1_27scan_by_key_config_selectorIj11FixedVectorIiLj4EEEEZZNS1_16scan_by_key_implILNS1_25lookback_scan_determinismE0ELb1ES3_N6thrust23THRUST_200600_302600_NS6detail15normal_iteratorINSB_10device_ptrIjEEEENSD_INSE_IS6_EEEESI_S6_NSB_4plusIvEENSB_8equal_toIvEES6_EE10hipError_tPvRmT2_T3_T4_T5_mT6_T7_P12ihipStream_tbENKUlT_T0_E_clISt17integral_constantIbLb0EES12_IbLb1EEEEDaSY_SZ_EUlSY_E_NS1_11comp_targetILNS1_3genE2ELNS1_11target_archE906ELNS1_3gpuE6ELNS1_3repE0EEENS1_30default_config_static_selectorELNS0_4arch9wavefront6targetE0EEEvT1_.uses_vcc, 0
	.set _ZN7rocprim17ROCPRIM_400000_NS6detail17trampoline_kernelINS0_14default_configENS1_27scan_by_key_config_selectorIj11FixedVectorIiLj4EEEEZZNS1_16scan_by_key_implILNS1_25lookback_scan_determinismE0ELb1ES3_N6thrust23THRUST_200600_302600_NS6detail15normal_iteratorINSB_10device_ptrIjEEEENSD_INSE_IS6_EEEESI_S6_NSB_4plusIvEENSB_8equal_toIvEES6_EE10hipError_tPvRmT2_T3_T4_T5_mT6_T7_P12ihipStream_tbENKUlT_T0_E_clISt17integral_constantIbLb0EES12_IbLb1EEEEDaSY_SZ_EUlSY_E_NS1_11comp_targetILNS1_3genE2ELNS1_11target_archE906ELNS1_3gpuE6ELNS1_3repE0EEENS1_30default_config_static_selectorELNS0_4arch9wavefront6targetE0EEEvT1_.uses_flat_scratch, 0
	.set _ZN7rocprim17ROCPRIM_400000_NS6detail17trampoline_kernelINS0_14default_configENS1_27scan_by_key_config_selectorIj11FixedVectorIiLj4EEEEZZNS1_16scan_by_key_implILNS1_25lookback_scan_determinismE0ELb1ES3_N6thrust23THRUST_200600_302600_NS6detail15normal_iteratorINSB_10device_ptrIjEEEENSD_INSE_IS6_EEEESI_S6_NSB_4plusIvEENSB_8equal_toIvEES6_EE10hipError_tPvRmT2_T3_T4_T5_mT6_T7_P12ihipStream_tbENKUlT_T0_E_clISt17integral_constantIbLb0EES12_IbLb1EEEEDaSY_SZ_EUlSY_E_NS1_11comp_targetILNS1_3genE2ELNS1_11target_archE906ELNS1_3gpuE6ELNS1_3repE0EEENS1_30default_config_static_selectorELNS0_4arch9wavefront6targetE0EEEvT1_.has_dyn_sized_stack, 0
	.set _ZN7rocprim17ROCPRIM_400000_NS6detail17trampoline_kernelINS0_14default_configENS1_27scan_by_key_config_selectorIj11FixedVectorIiLj4EEEEZZNS1_16scan_by_key_implILNS1_25lookback_scan_determinismE0ELb1ES3_N6thrust23THRUST_200600_302600_NS6detail15normal_iteratorINSB_10device_ptrIjEEEENSD_INSE_IS6_EEEESI_S6_NSB_4plusIvEENSB_8equal_toIvEES6_EE10hipError_tPvRmT2_T3_T4_T5_mT6_T7_P12ihipStream_tbENKUlT_T0_E_clISt17integral_constantIbLb0EES12_IbLb1EEEEDaSY_SZ_EUlSY_E_NS1_11comp_targetILNS1_3genE2ELNS1_11target_archE906ELNS1_3gpuE6ELNS1_3repE0EEENS1_30default_config_static_selectorELNS0_4arch9wavefront6targetE0EEEvT1_.has_recursion, 0
	.set _ZN7rocprim17ROCPRIM_400000_NS6detail17trampoline_kernelINS0_14default_configENS1_27scan_by_key_config_selectorIj11FixedVectorIiLj4EEEEZZNS1_16scan_by_key_implILNS1_25lookback_scan_determinismE0ELb1ES3_N6thrust23THRUST_200600_302600_NS6detail15normal_iteratorINSB_10device_ptrIjEEEENSD_INSE_IS6_EEEESI_S6_NSB_4plusIvEENSB_8equal_toIvEES6_EE10hipError_tPvRmT2_T3_T4_T5_mT6_T7_P12ihipStream_tbENKUlT_T0_E_clISt17integral_constantIbLb0EES12_IbLb1EEEEDaSY_SZ_EUlSY_E_NS1_11comp_targetILNS1_3genE2ELNS1_11target_archE906ELNS1_3gpuE6ELNS1_3repE0EEENS1_30default_config_static_selectorELNS0_4arch9wavefront6targetE0EEEvT1_.has_indirect_call, 0
	.section	.AMDGPU.csdata,"",@progbits
; Kernel info:
; codeLenInByte = 0
; TotalNumSgprs: 0
; NumVgprs: 0
; ScratchSize: 0
; MemoryBound: 0
; FloatMode: 240
; IeeeMode: 1
; LDSByteSize: 0 bytes/workgroup (compile time only)
; SGPRBlocks: 0
; VGPRBlocks: 0
; NumSGPRsForWavesPerEU: 1
; NumVGPRsForWavesPerEU: 1
; Occupancy: 16
; WaveLimiterHint : 0
; COMPUTE_PGM_RSRC2:SCRATCH_EN: 0
; COMPUTE_PGM_RSRC2:USER_SGPR: 6
; COMPUTE_PGM_RSRC2:TRAP_HANDLER: 0
; COMPUTE_PGM_RSRC2:TGID_X_EN: 1
; COMPUTE_PGM_RSRC2:TGID_Y_EN: 0
; COMPUTE_PGM_RSRC2:TGID_Z_EN: 0
; COMPUTE_PGM_RSRC2:TIDIG_COMP_CNT: 0
	.section	.text._ZN7rocprim17ROCPRIM_400000_NS6detail17trampoline_kernelINS0_14default_configENS1_27scan_by_key_config_selectorIj11FixedVectorIiLj4EEEEZZNS1_16scan_by_key_implILNS1_25lookback_scan_determinismE0ELb1ES3_N6thrust23THRUST_200600_302600_NS6detail15normal_iteratorINSB_10device_ptrIjEEEENSD_INSE_IS6_EEEESI_S6_NSB_4plusIvEENSB_8equal_toIvEES6_EE10hipError_tPvRmT2_T3_T4_T5_mT6_T7_P12ihipStream_tbENKUlT_T0_E_clISt17integral_constantIbLb0EES12_IbLb1EEEEDaSY_SZ_EUlSY_E_NS1_11comp_targetILNS1_3genE10ELNS1_11target_archE1200ELNS1_3gpuE4ELNS1_3repE0EEENS1_30default_config_static_selectorELNS0_4arch9wavefront6targetE0EEEvT1_,"axG",@progbits,_ZN7rocprim17ROCPRIM_400000_NS6detail17trampoline_kernelINS0_14default_configENS1_27scan_by_key_config_selectorIj11FixedVectorIiLj4EEEEZZNS1_16scan_by_key_implILNS1_25lookback_scan_determinismE0ELb1ES3_N6thrust23THRUST_200600_302600_NS6detail15normal_iteratorINSB_10device_ptrIjEEEENSD_INSE_IS6_EEEESI_S6_NSB_4plusIvEENSB_8equal_toIvEES6_EE10hipError_tPvRmT2_T3_T4_T5_mT6_T7_P12ihipStream_tbENKUlT_T0_E_clISt17integral_constantIbLb0EES12_IbLb1EEEEDaSY_SZ_EUlSY_E_NS1_11comp_targetILNS1_3genE10ELNS1_11target_archE1200ELNS1_3gpuE4ELNS1_3repE0EEENS1_30default_config_static_selectorELNS0_4arch9wavefront6targetE0EEEvT1_,comdat
	.protected	_ZN7rocprim17ROCPRIM_400000_NS6detail17trampoline_kernelINS0_14default_configENS1_27scan_by_key_config_selectorIj11FixedVectorIiLj4EEEEZZNS1_16scan_by_key_implILNS1_25lookback_scan_determinismE0ELb1ES3_N6thrust23THRUST_200600_302600_NS6detail15normal_iteratorINSB_10device_ptrIjEEEENSD_INSE_IS6_EEEESI_S6_NSB_4plusIvEENSB_8equal_toIvEES6_EE10hipError_tPvRmT2_T3_T4_T5_mT6_T7_P12ihipStream_tbENKUlT_T0_E_clISt17integral_constantIbLb0EES12_IbLb1EEEEDaSY_SZ_EUlSY_E_NS1_11comp_targetILNS1_3genE10ELNS1_11target_archE1200ELNS1_3gpuE4ELNS1_3repE0EEENS1_30default_config_static_selectorELNS0_4arch9wavefront6targetE0EEEvT1_ ; -- Begin function _ZN7rocprim17ROCPRIM_400000_NS6detail17trampoline_kernelINS0_14default_configENS1_27scan_by_key_config_selectorIj11FixedVectorIiLj4EEEEZZNS1_16scan_by_key_implILNS1_25lookback_scan_determinismE0ELb1ES3_N6thrust23THRUST_200600_302600_NS6detail15normal_iteratorINSB_10device_ptrIjEEEENSD_INSE_IS6_EEEESI_S6_NSB_4plusIvEENSB_8equal_toIvEES6_EE10hipError_tPvRmT2_T3_T4_T5_mT6_T7_P12ihipStream_tbENKUlT_T0_E_clISt17integral_constantIbLb0EES12_IbLb1EEEEDaSY_SZ_EUlSY_E_NS1_11comp_targetILNS1_3genE10ELNS1_11target_archE1200ELNS1_3gpuE4ELNS1_3repE0EEENS1_30default_config_static_selectorELNS0_4arch9wavefront6targetE0EEEvT1_
	.globl	_ZN7rocprim17ROCPRIM_400000_NS6detail17trampoline_kernelINS0_14default_configENS1_27scan_by_key_config_selectorIj11FixedVectorIiLj4EEEEZZNS1_16scan_by_key_implILNS1_25lookback_scan_determinismE0ELb1ES3_N6thrust23THRUST_200600_302600_NS6detail15normal_iteratorINSB_10device_ptrIjEEEENSD_INSE_IS6_EEEESI_S6_NSB_4plusIvEENSB_8equal_toIvEES6_EE10hipError_tPvRmT2_T3_T4_T5_mT6_T7_P12ihipStream_tbENKUlT_T0_E_clISt17integral_constantIbLb0EES12_IbLb1EEEEDaSY_SZ_EUlSY_E_NS1_11comp_targetILNS1_3genE10ELNS1_11target_archE1200ELNS1_3gpuE4ELNS1_3repE0EEENS1_30default_config_static_selectorELNS0_4arch9wavefront6targetE0EEEvT1_
	.p2align	8
	.type	_ZN7rocprim17ROCPRIM_400000_NS6detail17trampoline_kernelINS0_14default_configENS1_27scan_by_key_config_selectorIj11FixedVectorIiLj4EEEEZZNS1_16scan_by_key_implILNS1_25lookback_scan_determinismE0ELb1ES3_N6thrust23THRUST_200600_302600_NS6detail15normal_iteratorINSB_10device_ptrIjEEEENSD_INSE_IS6_EEEESI_S6_NSB_4plusIvEENSB_8equal_toIvEES6_EE10hipError_tPvRmT2_T3_T4_T5_mT6_T7_P12ihipStream_tbENKUlT_T0_E_clISt17integral_constantIbLb0EES12_IbLb1EEEEDaSY_SZ_EUlSY_E_NS1_11comp_targetILNS1_3genE10ELNS1_11target_archE1200ELNS1_3gpuE4ELNS1_3repE0EEENS1_30default_config_static_selectorELNS0_4arch9wavefront6targetE0EEEvT1_,@function
_ZN7rocprim17ROCPRIM_400000_NS6detail17trampoline_kernelINS0_14default_configENS1_27scan_by_key_config_selectorIj11FixedVectorIiLj4EEEEZZNS1_16scan_by_key_implILNS1_25lookback_scan_determinismE0ELb1ES3_N6thrust23THRUST_200600_302600_NS6detail15normal_iteratorINSB_10device_ptrIjEEEENSD_INSE_IS6_EEEESI_S6_NSB_4plusIvEENSB_8equal_toIvEES6_EE10hipError_tPvRmT2_T3_T4_T5_mT6_T7_P12ihipStream_tbENKUlT_T0_E_clISt17integral_constantIbLb0EES12_IbLb1EEEEDaSY_SZ_EUlSY_E_NS1_11comp_targetILNS1_3genE10ELNS1_11target_archE1200ELNS1_3gpuE4ELNS1_3repE0EEENS1_30default_config_static_selectorELNS0_4arch9wavefront6targetE0EEEvT1_: ; @_ZN7rocprim17ROCPRIM_400000_NS6detail17trampoline_kernelINS0_14default_configENS1_27scan_by_key_config_selectorIj11FixedVectorIiLj4EEEEZZNS1_16scan_by_key_implILNS1_25lookback_scan_determinismE0ELb1ES3_N6thrust23THRUST_200600_302600_NS6detail15normal_iteratorINSB_10device_ptrIjEEEENSD_INSE_IS6_EEEESI_S6_NSB_4plusIvEENSB_8equal_toIvEES6_EE10hipError_tPvRmT2_T3_T4_T5_mT6_T7_P12ihipStream_tbENKUlT_T0_E_clISt17integral_constantIbLb0EES12_IbLb1EEEEDaSY_SZ_EUlSY_E_NS1_11comp_targetILNS1_3genE10ELNS1_11target_archE1200ELNS1_3gpuE4ELNS1_3repE0EEENS1_30default_config_static_selectorELNS0_4arch9wavefront6targetE0EEEvT1_
; %bb.0:
	.section	.rodata,"a",@progbits
	.p2align	6, 0x0
	.amdhsa_kernel _ZN7rocprim17ROCPRIM_400000_NS6detail17trampoline_kernelINS0_14default_configENS1_27scan_by_key_config_selectorIj11FixedVectorIiLj4EEEEZZNS1_16scan_by_key_implILNS1_25lookback_scan_determinismE0ELb1ES3_N6thrust23THRUST_200600_302600_NS6detail15normal_iteratorINSB_10device_ptrIjEEEENSD_INSE_IS6_EEEESI_S6_NSB_4plusIvEENSB_8equal_toIvEES6_EE10hipError_tPvRmT2_T3_T4_T5_mT6_T7_P12ihipStream_tbENKUlT_T0_E_clISt17integral_constantIbLb0EES12_IbLb1EEEEDaSY_SZ_EUlSY_E_NS1_11comp_targetILNS1_3genE10ELNS1_11target_archE1200ELNS1_3gpuE4ELNS1_3repE0EEENS1_30default_config_static_selectorELNS0_4arch9wavefront6targetE0EEEvT1_
		.amdhsa_group_segment_fixed_size 0
		.amdhsa_private_segment_fixed_size 0
		.amdhsa_kernarg_size 144
		.amdhsa_user_sgpr_count 6
		.amdhsa_user_sgpr_private_segment_buffer 1
		.amdhsa_user_sgpr_dispatch_ptr 0
		.amdhsa_user_sgpr_queue_ptr 0
		.amdhsa_user_sgpr_kernarg_segment_ptr 1
		.amdhsa_user_sgpr_dispatch_id 0
		.amdhsa_user_sgpr_flat_scratch_init 0
		.amdhsa_user_sgpr_private_segment_size 0
		.amdhsa_wavefront_size32 1
		.amdhsa_uses_dynamic_stack 0
		.amdhsa_system_sgpr_private_segment_wavefront_offset 0
		.amdhsa_system_sgpr_workgroup_id_x 1
		.amdhsa_system_sgpr_workgroup_id_y 0
		.amdhsa_system_sgpr_workgroup_id_z 0
		.amdhsa_system_sgpr_workgroup_info 0
		.amdhsa_system_vgpr_workitem_id 0
		.amdhsa_next_free_vgpr 1
		.amdhsa_next_free_sgpr 1
		.amdhsa_reserve_vcc 0
		.amdhsa_reserve_flat_scratch 0
		.amdhsa_float_round_mode_32 0
		.amdhsa_float_round_mode_16_64 0
		.amdhsa_float_denorm_mode_32 3
		.amdhsa_float_denorm_mode_16_64 3
		.amdhsa_dx10_clamp 1
		.amdhsa_ieee_mode 1
		.amdhsa_fp16_overflow 0
		.amdhsa_workgroup_processor_mode 1
		.amdhsa_memory_ordered 1
		.amdhsa_forward_progress 1
		.amdhsa_shared_vgpr_count 0
		.amdhsa_exception_fp_ieee_invalid_op 0
		.amdhsa_exception_fp_denorm_src 0
		.amdhsa_exception_fp_ieee_div_zero 0
		.amdhsa_exception_fp_ieee_overflow 0
		.amdhsa_exception_fp_ieee_underflow 0
		.amdhsa_exception_fp_ieee_inexact 0
		.amdhsa_exception_int_div_zero 0
	.end_amdhsa_kernel
	.section	.text._ZN7rocprim17ROCPRIM_400000_NS6detail17trampoline_kernelINS0_14default_configENS1_27scan_by_key_config_selectorIj11FixedVectorIiLj4EEEEZZNS1_16scan_by_key_implILNS1_25lookback_scan_determinismE0ELb1ES3_N6thrust23THRUST_200600_302600_NS6detail15normal_iteratorINSB_10device_ptrIjEEEENSD_INSE_IS6_EEEESI_S6_NSB_4plusIvEENSB_8equal_toIvEES6_EE10hipError_tPvRmT2_T3_T4_T5_mT6_T7_P12ihipStream_tbENKUlT_T0_E_clISt17integral_constantIbLb0EES12_IbLb1EEEEDaSY_SZ_EUlSY_E_NS1_11comp_targetILNS1_3genE10ELNS1_11target_archE1200ELNS1_3gpuE4ELNS1_3repE0EEENS1_30default_config_static_selectorELNS0_4arch9wavefront6targetE0EEEvT1_,"axG",@progbits,_ZN7rocprim17ROCPRIM_400000_NS6detail17trampoline_kernelINS0_14default_configENS1_27scan_by_key_config_selectorIj11FixedVectorIiLj4EEEEZZNS1_16scan_by_key_implILNS1_25lookback_scan_determinismE0ELb1ES3_N6thrust23THRUST_200600_302600_NS6detail15normal_iteratorINSB_10device_ptrIjEEEENSD_INSE_IS6_EEEESI_S6_NSB_4plusIvEENSB_8equal_toIvEES6_EE10hipError_tPvRmT2_T3_T4_T5_mT6_T7_P12ihipStream_tbENKUlT_T0_E_clISt17integral_constantIbLb0EES12_IbLb1EEEEDaSY_SZ_EUlSY_E_NS1_11comp_targetILNS1_3genE10ELNS1_11target_archE1200ELNS1_3gpuE4ELNS1_3repE0EEENS1_30default_config_static_selectorELNS0_4arch9wavefront6targetE0EEEvT1_,comdat
.Lfunc_end2108:
	.size	_ZN7rocprim17ROCPRIM_400000_NS6detail17trampoline_kernelINS0_14default_configENS1_27scan_by_key_config_selectorIj11FixedVectorIiLj4EEEEZZNS1_16scan_by_key_implILNS1_25lookback_scan_determinismE0ELb1ES3_N6thrust23THRUST_200600_302600_NS6detail15normal_iteratorINSB_10device_ptrIjEEEENSD_INSE_IS6_EEEESI_S6_NSB_4plusIvEENSB_8equal_toIvEES6_EE10hipError_tPvRmT2_T3_T4_T5_mT6_T7_P12ihipStream_tbENKUlT_T0_E_clISt17integral_constantIbLb0EES12_IbLb1EEEEDaSY_SZ_EUlSY_E_NS1_11comp_targetILNS1_3genE10ELNS1_11target_archE1200ELNS1_3gpuE4ELNS1_3repE0EEENS1_30default_config_static_selectorELNS0_4arch9wavefront6targetE0EEEvT1_, .Lfunc_end2108-_ZN7rocprim17ROCPRIM_400000_NS6detail17trampoline_kernelINS0_14default_configENS1_27scan_by_key_config_selectorIj11FixedVectorIiLj4EEEEZZNS1_16scan_by_key_implILNS1_25lookback_scan_determinismE0ELb1ES3_N6thrust23THRUST_200600_302600_NS6detail15normal_iteratorINSB_10device_ptrIjEEEENSD_INSE_IS6_EEEESI_S6_NSB_4plusIvEENSB_8equal_toIvEES6_EE10hipError_tPvRmT2_T3_T4_T5_mT6_T7_P12ihipStream_tbENKUlT_T0_E_clISt17integral_constantIbLb0EES12_IbLb1EEEEDaSY_SZ_EUlSY_E_NS1_11comp_targetILNS1_3genE10ELNS1_11target_archE1200ELNS1_3gpuE4ELNS1_3repE0EEENS1_30default_config_static_selectorELNS0_4arch9wavefront6targetE0EEEvT1_
                                        ; -- End function
	.set _ZN7rocprim17ROCPRIM_400000_NS6detail17trampoline_kernelINS0_14default_configENS1_27scan_by_key_config_selectorIj11FixedVectorIiLj4EEEEZZNS1_16scan_by_key_implILNS1_25lookback_scan_determinismE0ELb1ES3_N6thrust23THRUST_200600_302600_NS6detail15normal_iteratorINSB_10device_ptrIjEEEENSD_INSE_IS6_EEEESI_S6_NSB_4plusIvEENSB_8equal_toIvEES6_EE10hipError_tPvRmT2_T3_T4_T5_mT6_T7_P12ihipStream_tbENKUlT_T0_E_clISt17integral_constantIbLb0EES12_IbLb1EEEEDaSY_SZ_EUlSY_E_NS1_11comp_targetILNS1_3genE10ELNS1_11target_archE1200ELNS1_3gpuE4ELNS1_3repE0EEENS1_30default_config_static_selectorELNS0_4arch9wavefront6targetE0EEEvT1_.num_vgpr, 0
	.set _ZN7rocprim17ROCPRIM_400000_NS6detail17trampoline_kernelINS0_14default_configENS1_27scan_by_key_config_selectorIj11FixedVectorIiLj4EEEEZZNS1_16scan_by_key_implILNS1_25lookback_scan_determinismE0ELb1ES3_N6thrust23THRUST_200600_302600_NS6detail15normal_iteratorINSB_10device_ptrIjEEEENSD_INSE_IS6_EEEESI_S6_NSB_4plusIvEENSB_8equal_toIvEES6_EE10hipError_tPvRmT2_T3_T4_T5_mT6_T7_P12ihipStream_tbENKUlT_T0_E_clISt17integral_constantIbLb0EES12_IbLb1EEEEDaSY_SZ_EUlSY_E_NS1_11comp_targetILNS1_3genE10ELNS1_11target_archE1200ELNS1_3gpuE4ELNS1_3repE0EEENS1_30default_config_static_selectorELNS0_4arch9wavefront6targetE0EEEvT1_.num_agpr, 0
	.set _ZN7rocprim17ROCPRIM_400000_NS6detail17trampoline_kernelINS0_14default_configENS1_27scan_by_key_config_selectorIj11FixedVectorIiLj4EEEEZZNS1_16scan_by_key_implILNS1_25lookback_scan_determinismE0ELb1ES3_N6thrust23THRUST_200600_302600_NS6detail15normal_iteratorINSB_10device_ptrIjEEEENSD_INSE_IS6_EEEESI_S6_NSB_4plusIvEENSB_8equal_toIvEES6_EE10hipError_tPvRmT2_T3_T4_T5_mT6_T7_P12ihipStream_tbENKUlT_T0_E_clISt17integral_constantIbLb0EES12_IbLb1EEEEDaSY_SZ_EUlSY_E_NS1_11comp_targetILNS1_3genE10ELNS1_11target_archE1200ELNS1_3gpuE4ELNS1_3repE0EEENS1_30default_config_static_selectorELNS0_4arch9wavefront6targetE0EEEvT1_.numbered_sgpr, 0
	.set _ZN7rocprim17ROCPRIM_400000_NS6detail17trampoline_kernelINS0_14default_configENS1_27scan_by_key_config_selectorIj11FixedVectorIiLj4EEEEZZNS1_16scan_by_key_implILNS1_25lookback_scan_determinismE0ELb1ES3_N6thrust23THRUST_200600_302600_NS6detail15normal_iteratorINSB_10device_ptrIjEEEENSD_INSE_IS6_EEEESI_S6_NSB_4plusIvEENSB_8equal_toIvEES6_EE10hipError_tPvRmT2_T3_T4_T5_mT6_T7_P12ihipStream_tbENKUlT_T0_E_clISt17integral_constantIbLb0EES12_IbLb1EEEEDaSY_SZ_EUlSY_E_NS1_11comp_targetILNS1_3genE10ELNS1_11target_archE1200ELNS1_3gpuE4ELNS1_3repE0EEENS1_30default_config_static_selectorELNS0_4arch9wavefront6targetE0EEEvT1_.num_named_barrier, 0
	.set _ZN7rocprim17ROCPRIM_400000_NS6detail17trampoline_kernelINS0_14default_configENS1_27scan_by_key_config_selectorIj11FixedVectorIiLj4EEEEZZNS1_16scan_by_key_implILNS1_25lookback_scan_determinismE0ELb1ES3_N6thrust23THRUST_200600_302600_NS6detail15normal_iteratorINSB_10device_ptrIjEEEENSD_INSE_IS6_EEEESI_S6_NSB_4plusIvEENSB_8equal_toIvEES6_EE10hipError_tPvRmT2_T3_T4_T5_mT6_T7_P12ihipStream_tbENKUlT_T0_E_clISt17integral_constantIbLb0EES12_IbLb1EEEEDaSY_SZ_EUlSY_E_NS1_11comp_targetILNS1_3genE10ELNS1_11target_archE1200ELNS1_3gpuE4ELNS1_3repE0EEENS1_30default_config_static_selectorELNS0_4arch9wavefront6targetE0EEEvT1_.private_seg_size, 0
	.set _ZN7rocprim17ROCPRIM_400000_NS6detail17trampoline_kernelINS0_14default_configENS1_27scan_by_key_config_selectorIj11FixedVectorIiLj4EEEEZZNS1_16scan_by_key_implILNS1_25lookback_scan_determinismE0ELb1ES3_N6thrust23THRUST_200600_302600_NS6detail15normal_iteratorINSB_10device_ptrIjEEEENSD_INSE_IS6_EEEESI_S6_NSB_4plusIvEENSB_8equal_toIvEES6_EE10hipError_tPvRmT2_T3_T4_T5_mT6_T7_P12ihipStream_tbENKUlT_T0_E_clISt17integral_constantIbLb0EES12_IbLb1EEEEDaSY_SZ_EUlSY_E_NS1_11comp_targetILNS1_3genE10ELNS1_11target_archE1200ELNS1_3gpuE4ELNS1_3repE0EEENS1_30default_config_static_selectorELNS0_4arch9wavefront6targetE0EEEvT1_.uses_vcc, 0
	.set _ZN7rocprim17ROCPRIM_400000_NS6detail17trampoline_kernelINS0_14default_configENS1_27scan_by_key_config_selectorIj11FixedVectorIiLj4EEEEZZNS1_16scan_by_key_implILNS1_25lookback_scan_determinismE0ELb1ES3_N6thrust23THRUST_200600_302600_NS6detail15normal_iteratorINSB_10device_ptrIjEEEENSD_INSE_IS6_EEEESI_S6_NSB_4plusIvEENSB_8equal_toIvEES6_EE10hipError_tPvRmT2_T3_T4_T5_mT6_T7_P12ihipStream_tbENKUlT_T0_E_clISt17integral_constantIbLb0EES12_IbLb1EEEEDaSY_SZ_EUlSY_E_NS1_11comp_targetILNS1_3genE10ELNS1_11target_archE1200ELNS1_3gpuE4ELNS1_3repE0EEENS1_30default_config_static_selectorELNS0_4arch9wavefront6targetE0EEEvT1_.uses_flat_scratch, 0
	.set _ZN7rocprim17ROCPRIM_400000_NS6detail17trampoline_kernelINS0_14default_configENS1_27scan_by_key_config_selectorIj11FixedVectorIiLj4EEEEZZNS1_16scan_by_key_implILNS1_25lookback_scan_determinismE0ELb1ES3_N6thrust23THRUST_200600_302600_NS6detail15normal_iteratorINSB_10device_ptrIjEEEENSD_INSE_IS6_EEEESI_S6_NSB_4plusIvEENSB_8equal_toIvEES6_EE10hipError_tPvRmT2_T3_T4_T5_mT6_T7_P12ihipStream_tbENKUlT_T0_E_clISt17integral_constantIbLb0EES12_IbLb1EEEEDaSY_SZ_EUlSY_E_NS1_11comp_targetILNS1_3genE10ELNS1_11target_archE1200ELNS1_3gpuE4ELNS1_3repE0EEENS1_30default_config_static_selectorELNS0_4arch9wavefront6targetE0EEEvT1_.has_dyn_sized_stack, 0
	.set _ZN7rocprim17ROCPRIM_400000_NS6detail17trampoline_kernelINS0_14default_configENS1_27scan_by_key_config_selectorIj11FixedVectorIiLj4EEEEZZNS1_16scan_by_key_implILNS1_25lookback_scan_determinismE0ELb1ES3_N6thrust23THRUST_200600_302600_NS6detail15normal_iteratorINSB_10device_ptrIjEEEENSD_INSE_IS6_EEEESI_S6_NSB_4plusIvEENSB_8equal_toIvEES6_EE10hipError_tPvRmT2_T3_T4_T5_mT6_T7_P12ihipStream_tbENKUlT_T0_E_clISt17integral_constantIbLb0EES12_IbLb1EEEEDaSY_SZ_EUlSY_E_NS1_11comp_targetILNS1_3genE10ELNS1_11target_archE1200ELNS1_3gpuE4ELNS1_3repE0EEENS1_30default_config_static_selectorELNS0_4arch9wavefront6targetE0EEEvT1_.has_recursion, 0
	.set _ZN7rocprim17ROCPRIM_400000_NS6detail17trampoline_kernelINS0_14default_configENS1_27scan_by_key_config_selectorIj11FixedVectorIiLj4EEEEZZNS1_16scan_by_key_implILNS1_25lookback_scan_determinismE0ELb1ES3_N6thrust23THRUST_200600_302600_NS6detail15normal_iteratorINSB_10device_ptrIjEEEENSD_INSE_IS6_EEEESI_S6_NSB_4plusIvEENSB_8equal_toIvEES6_EE10hipError_tPvRmT2_T3_T4_T5_mT6_T7_P12ihipStream_tbENKUlT_T0_E_clISt17integral_constantIbLb0EES12_IbLb1EEEEDaSY_SZ_EUlSY_E_NS1_11comp_targetILNS1_3genE10ELNS1_11target_archE1200ELNS1_3gpuE4ELNS1_3repE0EEENS1_30default_config_static_selectorELNS0_4arch9wavefront6targetE0EEEvT1_.has_indirect_call, 0
	.section	.AMDGPU.csdata,"",@progbits
; Kernel info:
; codeLenInByte = 0
; TotalNumSgprs: 0
; NumVgprs: 0
; ScratchSize: 0
; MemoryBound: 0
; FloatMode: 240
; IeeeMode: 1
; LDSByteSize: 0 bytes/workgroup (compile time only)
; SGPRBlocks: 0
; VGPRBlocks: 0
; NumSGPRsForWavesPerEU: 1
; NumVGPRsForWavesPerEU: 1
; Occupancy: 16
; WaveLimiterHint : 0
; COMPUTE_PGM_RSRC2:SCRATCH_EN: 0
; COMPUTE_PGM_RSRC2:USER_SGPR: 6
; COMPUTE_PGM_RSRC2:TRAP_HANDLER: 0
; COMPUTE_PGM_RSRC2:TGID_X_EN: 1
; COMPUTE_PGM_RSRC2:TGID_Y_EN: 0
; COMPUTE_PGM_RSRC2:TGID_Z_EN: 0
; COMPUTE_PGM_RSRC2:TIDIG_COMP_CNT: 0
	.section	.text._ZN7rocprim17ROCPRIM_400000_NS6detail17trampoline_kernelINS0_14default_configENS1_27scan_by_key_config_selectorIj11FixedVectorIiLj4EEEEZZNS1_16scan_by_key_implILNS1_25lookback_scan_determinismE0ELb1ES3_N6thrust23THRUST_200600_302600_NS6detail15normal_iteratorINSB_10device_ptrIjEEEENSD_INSE_IS6_EEEESI_S6_NSB_4plusIvEENSB_8equal_toIvEES6_EE10hipError_tPvRmT2_T3_T4_T5_mT6_T7_P12ihipStream_tbENKUlT_T0_E_clISt17integral_constantIbLb0EES12_IbLb1EEEEDaSY_SZ_EUlSY_E_NS1_11comp_targetILNS1_3genE9ELNS1_11target_archE1100ELNS1_3gpuE3ELNS1_3repE0EEENS1_30default_config_static_selectorELNS0_4arch9wavefront6targetE0EEEvT1_,"axG",@progbits,_ZN7rocprim17ROCPRIM_400000_NS6detail17trampoline_kernelINS0_14default_configENS1_27scan_by_key_config_selectorIj11FixedVectorIiLj4EEEEZZNS1_16scan_by_key_implILNS1_25lookback_scan_determinismE0ELb1ES3_N6thrust23THRUST_200600_302600_NS6detail15normal_iteratorINSB_10device_ptrIjEEEENSD_INSE_IS6_EEEESI_S6_NSB_4plusIvEENSB_8equal_toIvEES6_EE10hipError_tPvRmT2_T3_T4_T5_mT6_T7_P12ihipStream_tbENKUlT_T0_E_clISt17integral_constantIbLb0EES12_IbLb1EEEEDaSY_SZ_EUlSY_E_NS1_11comp_targetILNS1_3genE9ELNS1_11target_archE1100ELNS1_3gpuE3ELNS1_3repE0EEENS1_30default_config_static_selectorELNS0_4arch9wavefront6targetE0EEEvT1_,comdat
	.protected	_ZN7rocprim17ROCPRIM_400000_NS6detail17trampoline_kernelINS0_14default_configENS1_27scan_by_key_config_selectorIj11FixedVectorIiLj4EEEEZZNS1_16scan_by_key_implILNS1_25lookback_scan_determinismE0ELb1ES3_N6thrust23THRUST_200600_302600_NS6detail15normal_iteratorINSB_10device_ptrIjEEEENSD_INSE_IS6_EEEESI_S6_NSB_4plusIvEENSB_8equal_toIvEES6_EE10hipError_tPvRmT2_T3_T4_T5_mT6_T7_P12ihipStream_tbENKUlT_T0_E_clISt17integral_constantIbLb0EES12_IbLb1EEEEDaSY_SZ_EUlSY_E_NS1_11comp_targetILNS1_3genE9ELNS1_11target_archE1100ELNS1_3gpuE3ELNS1_3repE0EEENS1_30default_config_static_selectorELNS0_4arch9wavefront6targetE0EEEvT1_ ; -- Begin function _ZN7rocprim17ROCPRIM_400000_NS6detail17trampoline_kernelINS0_14default_configENS1_27scan_by_key_config_selectorIj11FixedVectorIiLj4EEEEZZNS1_16scan_by_key_implILNS1_25lookback_scan_determinismE0ELb1ES3_N6thrust23THRUST_200600_302600_NS6detail15normal_iteratorINSB_10device_ptrIjEEEENSD_INSE_IS6_EEEESI_S6_NSB_4plusIvEENSB_8equal_toIvEES6_EE10hipError_tPvRmT2_T3_T4_T5_mT6_T7_P12ihipStream_tbENKUlT_T0_E_clISt17integral_constantIbLb0EES12_IbLb1EEEEDaSY_SZ_EUlSY_E_NS1_11comp_targetILNS1_3genE9ELNS1_11target_archE1100ELNS1_3gpuE3ELNS1_3repE0EEENS1_30default_config_static_selectorELNS0_4arch9wavefront6targetE0EEEvT1_
	.globl	_ZN7rocprim17ROCPRIM_400000_NS6detail17trampoline_kernelINS0_14default_configENS1_27scan_by_key_config_selectorIj11FixedVectorIiLj4EEEEZZNS1_16scan_by_key_implILNS1_25lookback_scan_determinismE0ELb1ES3_N6thrust23THRUST_200600_302600_NS6detail15normal_iteratorINSB_10device_ptrIjEEEENSD_INSE_IS6_EEEESI_S6_NSB_4plusIvEENSB_8equal_toIvEES6_EE10hipError_tPvRmT2_T3_T4_T5_mT6_T7_P12ihipStream_tbENKUlT_T0_E_clISt17integral_constantIbLb0EES12_IbLb1EEEEDaSY_SZ_EUlSY_E_NS1_11comp_targetILNS1_3genE9ELNS1_11target_archE1100ELNS1_3gpuE3ELNS1_3repE0EEENS1_30default_config_static_selectorELNS0_4arch9wavefront6targetE0EEEvT1_
	.p2align	8
	.type	_ZN7rocprim17ROCPRIM_400000_NS6detail17trampoline_kernelINS0_14default_configENS1_27scan_by_key_config_selectorIj11FixedVectorIiLj4EEEEZZNS1_16scan_by_key_implILNS1_25lookback_scan_determinismE0ELb1ES3_N6thrust23THRUST_200600_302600_NS6detail15normal_iteratorINSB_10device_ptrIjEEEENSD_INSE_IS6_EEEESI_S6_NSB_4plusIvEENSB_8equal_toIvEES6_EE10hipError_tPvRmT2_T3_T4_T5_mT6_T7_P12ihipStream_tbENKUlT_T0_E_clISt17integral_constantIbLb0EES12_IbLb1EEEEDaSY_SZ_EUlSY_E_NS1_11comp_targetILNS1_3genE9ELNS1_11target_archE1100ELNS1_3gpuE3ELNS1_3repE0EEENS1_30default_config_static_selectorELNS0_4arch9wavefront6targetE0EEEvT1_,@function
_ZN7rocprim17ROCPRIM_400000_NS6detail17trampoline_kernelINS0_14default_configENS1_27scan_by_key_config_selectorIj11FixedVectorIiLj4EEEEZZNS1_16scan_by_key_implILNS1_25lookback_scan_determinismE0ELb1ES3_N6thrust23THRUST_200600_302600_NS6detail15normal_iteratorINSB_10device_ptrIjEEEENSD_INSE_IS6_EEEESI_S6_NSB_4plusIvEENSB_8equal_toIvEES6_EE10hipError_tPvRmT2_T3_T4_T5_mT6_T7_P12ihipStream_tbENKUlT_T0_E_clISt17integral_constantIbLb0EES12_IbLb1EEEEDaSY_SZ_EUlSY_E_NS1_11comp_targetILNS1_3genE9ELNS1_11target_archE1100ELNS1_3gpuE3ELNS1_3repE0EEENS1_30default_config_static_selectorELNS0_4arch9wavefront6targetE0EEEvT1_: ; @_ZN7rocprim17ROCPRIM_400000_NS6detail17trampoline_kernelINS0_14default_configENS1_27scan_by_key_config_selectorIj11FixedVectorIiLj4EEEEZZNS1_16scan_by_key_implILNS1_25lookback_scan_determinismE0ELb1ES3_N6thrust23THRUST_200600_302600_NS6detail15normal_iteratorINSB_10device_ptrIjEEEENSD_INSE_IS6_EEEESI_S6_NSB_4plusIvEENSB_8equal_toIvEES6_EE10hipError_tPvRmT2_T3_T4_T5_mT6_T7_P12ihipStream_tbENKUlT_T0_E_clISt17integral_constantIbLb0EES12_IbLb1EEEEDaSY_SZ_EUlSY_E_NS1_11comp_targetILNS1_3genE9ELNS1_11target_archE1100ELNS1_3gpuE3ELNS1_3repE0EEENS1_30default_config_static_selectorELNS0_4arch9wavefront6targetE0EEEvT1_
; %bb.0:
	.section	.rodata,"a",@progbits
	.p2align	6, 0x0
	.amdhsa_kernel _ZN7rocprim17ROCPRIM_400000_NS6detail17trampoline_kernelINS0_14default_configENS1_27scan_by_key_config_selectorIj11FixedVectorIiLj4EEEEZZNS1_16scan_by_key_implILNS1_25lookback_scan_determinismE0ELb1ES3_N6thrust23THRUST_200600_302600_NS6detail15normal_iteratorINSB_10device_ptrIjEEEENSD_INSE_IS6_EEEESI_S6_NSB_4plusIvEENSB_8equal_toIvEES6_EE10hipError_tPvRmT2_T3_T4_T5_mT6_T7_P12ihipStream_tbENKUlT_T0_E_clISt17integral_constantIbLb0EES12_IbLb1EEEEDaSY_SZ_EUlSY_E_NS1_11comp_targetILNS1_3genE9ELNS1_11target_archE1100ELNS1_3gpuE3ELNS1_3repE0EEENS1_30default_config_static_selectorELNS0_4arch9wavefront6targetE0EEEvT1_
		.amdhsa_group_segment_fixed_size 0
		.amdhsa_private_segment_fixed_size 0
		.amdhsa_kernarg_size 144
		.amdhsa_user_sgpr_count 6
		.amdhsa_user_sgpr_private_segment_buffer 1
		.amdhsa_user_sgpr_dispatch_ptr 0
		.amdhsa_user_sgpr_queue_ptr 0
		.amdhsa_user_sgpr_kernarg_segment_ptr 1
		.amdhsa_user_sgpr_dispatch_id 0
		.amdhsa_user_sgpr_flat_scratch_init 0
		.amdhsa_user_sgpr_private_segment_size 0
		.amdhsa_wavefront_size32 1
		.amdhsa_uses_dynamic_stack 0
		.amdhsa_system_sgpr_private_segment_wavefront_offset 0
		.amdhsa_system_sgpr_workgroup_id_x 1
		.amdhsa_system_sgpr_workgroup_id_y 0
		.amdhsa_system_sgpr_workgroup_id_z 0
		.amdhsa_system_sgpr_workgroup_info 0
		.amdhsa_system_vgpr_workitem_id 0
		.amdhsa_next_free_vgpr 1
		.amdhsa_next_free_sgpr 1
		.amdhsa_reserve_vcc 0
		.amdhsa_reserve_flat_scratch 0
		.amdhsa_float_round_mode_32 0
		.amdhsa_float_round_mode_16_64 0
		.amdhsa_float_denorm_mode_32 3
		.amdhsa_float_denorm_mode_16_64 3
		.amdhsa_dx10_clamp 1
		.amdhsa_ieee_mode 1
		.amdhsa_fp16_overflow 0
		.amdhsa_workgroup_processor_mode 1
		.amdhsa_memory_ordered 1
		.amdhsa_forward_progress 1
		.amdhsa_shared_vgpr_count 0
		.amdhsa_exception_fp_ieee_invalid_op 0
		.amdhsa_exception_fp_denorm_src 0
		.amdhsa_exception_fp_ieee_div_zero 0
		.amdhsa_exception_fp_ieee_overflow 0
		.amdhsa_exception_fp_ieee_underflow 0
		.amdhsa_exception_fp_ieee_inexact 0
		.amdhsa_exception_int_div_zero 0
	.end_amdhsa_kernel
	.section	.text._ZN7rocprim17ROCPRIM_400000_NS6detail17trampoline_kernelINS0_14default_configENS1_27scan_by_key_config_selectorIj11FixedVectorIiLj4EEEEZZNS1_16scan_by_key_implILNS1_25lookback_scan_determinismE0ELb1ES3_N6thrust23THRUST_200600_302600_NS6detail15normal_iteratorINSB_10device_ptrIjEEEENSD_INSE_IS6_EEEESI_S6_NSB_4plusIvEENSB_8equal_toIvEES6_EE10hipError_tPvRmT2_T3_T4_T5_mT6_T7_P12ihipStream_tbENKUlT_T0_E_clISt17integral_constantIbLb0EES12_IbLb1EEEEDaSY_SZ_EUlSY_E_NS1_11comp_targetILNS1_3genE9ELNS1_11target_archE1100ELNS1_3gpuE3ELNS1_3repE0EEENS1_30default_config_static_selectorELNS0_4arch9wavefront6targetE0EEEvT1_,"axG",@progbits,_ZN7rocprim17ROCPRIM_400000_NS6detail17trampoline_kernelINS0_14default_configENS1_27scan_by_key_config_selectorIj11FixedVectorIiLj4EEEEZZNS1_16scan_by_key_implILNS1_25lookback_scan_determinismE0ELb1ES3_N6thrust23THRUST_200600_302600_NS6detail15normal_iteratorINSB_10device_ptrIjEEEENSD_INSE_IS6_EEEESI_S6_NSB_4plusIvEENSB_8equal_toIvEES6_EE10hipError_tPvRmT2_T3_T4_T5_mT6_T7_P12ihipStream_tbENKUlT_T0_E_clISt17integral_constantIbLb0EES12_IbLb1EEEEDaSY_SZ_EUlSY_E_NS1_11comp_targetILNS1_3genE9ELNS1_11target_archE1100ELNS1_3gpuE3ELNS1_3repE0EEENS1_30default_config_static_selectorELNS0_4arch9wavefront6targetE0EEEvT1_,comdat
.Lfunc_end2109:
	.size	_ZN7rocprim17ROCPRIM_400000_NS6detail17trampoline_kernelINS0_14default_configENS1_27scan_by_key_config_selectorIj11FixedVectorIiLj4EEEEZZNS1_16scan_by_key_implILNS1_25lookback_scan_determinismE0ELb1ES3_N6thrust23THRUST_200600_302600_NS6detail15normal_iteratorINSB_10device_ptrIjEEEENSD_INSE_IS6_EEEESI_S6_NSB_4plusIvEENSB_8equal_toIvEES6_EE10hipError_tPvRmT2_T3_T4_T5_mT6_T7_P12ihipStream_tbENKUlT_T0_E_clISt17integral_constantIbLb0EES12_IbLb1EEEEDaSY_SZ_EUlSY_E_NS1_11comp_targetILNS1_3genE9ELNS1_11target_archE1100ELNS1_3gpuE3ELNS1_3repE0EEENS1_30default_config_static_selectorELNS0_4arch9wavefront6targetE0EEEvT1_, .Lfunc_end2109-_ZN7rocprim17ROCPRIM_400000_NS6detail17trampoline_kernelINS0_14default_configENS1_27scan_by_key_config_selectorIj11FixedVectorIiLj4EEEEZZNS1_16scan_by_key_implILNS1_25lookback_scan_determinismE0ELb1ES3_N6thrust23THRUST_200600_302600_NS6detail15normal_iteratorINSB_10device_ptrIjEEEENSD_INSE_IS6_EEEESI_S6_NSB_4plusIvEENSB_8equal_toIvEES6_EE10hipError_tPvRmT2_T3_T4_T5_mT6_T7_P12ihipStream_tbENKUlT_T0_E_clISt17integral_constantIbLb0EES12_IbLb1EEEEDaSY_SZ_EUlSY_E_NS1_11comp_targetILNS1_3genE9ELNS1_11target_archE1100ELNS1_3gpuE3ELNS1_3repE0EEENS1_30default_config_static_selectorELNS0_4arch9wavefront6targetE0EEEvT1_
                                        ; -- End function
	.set _ZN7rocprim17ROCPRIM_400000_NS6detail17trampoline_kernelINS0_14default_configENS1_27scan_by_key_config_selectorIj11FixedVectorIiLj4EEEEZZNS1_16scan_by_key_implILNS1_25lookback_scan_determinismE0ELb1ES3_N6thrust23THRUST_200600_302600_NS6detail15normal_iteratorINSB_10device_ptrIjEEEENSD_INSE_IS6_EEEESI_S6_NSB_4plusIvEENSB_8equal_toIvEES6_EE10hipError_tPvRmT2_T3_T4_T5_mT6_T7_P12ihipStream_tbENKUlT_T0_E_clISt17integral_constantIbLb0EES12_IbLb1EEEEDaSY_SZ_EUlSY_E_NS1_11comp_targetILNS1_3genE9ELNS1_11target_archE1100ELNS1_3gpuE3ELNS1_3repE0EEENS1_30default_config_static_selectorELNS0_4arch9wavefront6targetE0EEEvT1_.num_vgpr, 0
	.set _ZN7rocprim17ROCPRIM_400000_NS6detail17trampoline_kernelINS0_14default_configENS1_27scan_by_key_config_selectorIj11FixedVectorIiLj4EEEEZZNS1_16scan_by_key_implILNS1_25lookback_scan_determinismE0ELb1ES3_N6thrust23THRUST_200600_302600_NS6detail15normal_iteratorINSB_10device_ptrIjEEEENSD_INSE_IS6_EEEESI_S6_NSB_4plusIvEENSB_8equal_toIvEES6_EE10hipError_tPvRmT2_T3_T4_T5_mT6_T7_P12ihipStream_tbENKUlT_T0_E_clISt17integral_constantIbLb0EES12_IbLb1EEEEDaSY_SZ_EUlSY_E_NS1_11comp_targetILNS1_3genE9ELNS1_11target_archE1100ELNS1_3gpuE3ELNS1_3repE0EEENS1_30default_config_static_selectorELNS0_4arch9wavefront6targetE0EEEvT1_.num_agpr, 0
	.set _ZN7rocprim17ROCPRIM_400000_NS6detail17trampoline_kernelINS0_14default_configENS1_27scan_by_key_config_selectorIj11FixedVectorIiLj4EEEEZZNS1_16scan_by_key_implILNS1_25lookback_scan_determinismE0ELb1ES3_N6thrust23THRUST_200600_302600_NS6detail15normal_iteratorINSB_10device_ptrIjEEEENSD_INSE_IS6_EEEESI_S6_NSB_4plusIvEENSB_8equal_toIvEES6_EE10hipError_tPvRmT2_T3_T4_T5_mT6_T7_P12ihipStream_tbENKUlT_T0_E_clISt17integral_constantIbLb0EES12_IbLb1EEEEDaSY_SZ_EUlSY_E_NS1_11comp_targetILNS1_3genE9ELNS1_11target_archE1100ELNS1_3gpuE3ELNS1_3repE0EEENS1_30default_config_static_selectorELNS0_4arch9wavefront6targetE0EEEvT1_.numbered_sgpr, 0
	.set _ZN7rocprim17ROCPRIM_400000_NS6detail17trampoline_kernelINS0_14default_configENS1_27scan_by_key_config_selectorIj11FixedVectorIiLj4EEEEZZNS1_16scan_by_key_implILNS1_25lookback_scan_determinismE0ELb1ES3_N6thrust23THRUST_200600_302600_NS6detail15normal_iteratorINSB_10device_ptrIjEEEENSD_INSE_IS6_EEEESI_S6_NSB_4plusIvEENSB_8equal_toIvEES6_EE10hipError_tPvRmT2_T3_T4_T5_mT6_T7_P12ihipStream_tbENKUlT_T0_E_clISt17integral_constantIbLb0EES12_IbLb1EEEEDaSY_SZ_EUlSY_E_NS1_11comp_targetILNS1_3genE9ELNS1_11target_archE1100ELNS1_3gpuE3ELNS1_3repE0EEENS1_30default_config_static_selectorELNS0_4arch9wavefront6targetE0EEEvT1_.num_named_barrier, 0
	.set _ZN7rocprim17ROCPRIM_400000_NS6detail17trampoline_kernelINS0_14default_configENS1_27scan_by_key_config_selectorIj11FixedVectorIiLj4EEEEZZNS1_16scan_by_key_implILNS1_25lookback_scan_determinismE0ELb1ES3_N6thrust23THRUST_200600_302600_NS6detail15normal_iteratorINSB_10device_ptrIjEEEENSD_INSE_IS6_EEEESI_S6_NSB_4plusIvEENSB_8equal_toIvEES6_EE10hipError_tPvRmT2_T3_T4_T5_mT6_T7_P12ihipStream_tbENKUlT_T0_E_clISt17integral_constantIbLb0EES12_IbLb1EEEEDaSY_SZ_EUlSY_E_NS1_11comp_targetILNS1_3genE9ELNS1_11target_archE1100ELNS1_3gpuE3ELNS1_3repE0EEENS1_30default_config_static_selectorELNS0_4arch9wavefront6targetE0EEEvT1_.private_seg_size, 0
	.set _ZN7rocprim17ROCPRIM_400000_NS6detail17trampoline_kernelINS0_14default_configENS1_27scan_by_key_config_selectorIj11FixedVectorIiLj4EEEEZZNS1_16scan_by_key_implILNS1_25lookback_scan_determinismE0ELb1ES3_N6thrust23THRUST_200600_302600_NS6detail15normal_iteratorINSB_10device_ptrIjEEEENSD_INSE_IS6_EEEESI_S6_NSB_4plusIvEENSB_8equal_toIvEES6_EE10hipError_tPvRmT2_T3_T4_T5_mT6_T7_P12ihipStream_tbENKUlT_T0_E_clISt17integral_constantIbLb0EES12_IbLb1EEEEDaSY_SZ_EUlSY_E_NS1_11comp_targetILNS1_3genE9ELNS1_11target_archE1100ELNS1_3gpuE3ELNS1_3repE0EEENS1_30default_config_static_selectorELNS0_4arch9wavefront6targetE0EEEvT1_.uses_vcc, 0
	.set _ZN7rocprim17ROCPRIM_400000_NS6detail17trampoline_kernelINS0_14default_configENS1_27scan_by_key_config_selectorIj11FixedVectorIiLj4EEEEZZNS1_16scan_by_key_implILNS1_25lookback_scan_determinismE0ELb1ES3_N6thrust23THRUST_200600_302600_NS6detail15normal_iteratorINSB_10device_ptrIjEEEENSD_INSE_IS6_EEEESI_S6_NSB_4plusIvEENSB_8equal_toIvEES6_EE10hipError_tPvRmT2_T3_T4_T5_mT6_T7_P12ihipStream_tbENKUlT_T0_E_clISt17integral_constantIbLb0EES12_IbLb1EEEEDaSY_SZ_EUlSY_E_NS1_11comp_targetILNS1_3genE9ELNS1_11target_archE1100ELNS1_3gpuE3ELNS1_3repE0EEENS1_30default_config_static_selectorELNS0_4arch9wavefront6targetE0EEEvT1_.uses_flat_scratch, 0
	.set _ZN7rocprim17ROCPRIM_400000_NS6detail17trampoline_kernelINS0_14default_configENS1_27scan_by_key_config_selectorIj11FixedVectorIiLj4EEEEZZNS1_16scan_by_key_implILNS1_25lookback_scan_determinismE0ELb1ES3_N6thrust23THRUST_200600_302600_NS6detail15normal_iteratorINSB_10device_ptrIjEEEENSD_INSE_IS6_EEEESI_S6_NSB_4plusIvEENSB_8equal_toIvEES6_EE10hipError_tPvRmT2_T3_T4_T5_mT6_T7_P12ihipStream_tbENKUlT_T0_E_clISt17integral_constantIbLb0EES12_IbLb1EEEEDaSY_SZ_EUlSY_E_NS1_11comp_targetILNS1_3genE9ELNS1_11target_archE1100ELNS1_3gpuE3ELNS1_3repE0EEENS1_30default_config_static_selectorELNS0_4arch9wavefront6targetE0EEEvT1_.has_dyn_sized_stack, 0
	.set _ZN7rocprim17ROCPRIM_400000_NS6detail17trampoline_kernelINS0_14default_configENS1_27scan_by_key_config_selectorIj11FixedVectorIiLj4EEEEZZNS1_16scan_by_key_implILNS1_25lookback_scan_determinismE0ELb1ES3_N6thrust23THRUST_200600_302600_NS6detail15normal_iteratorINSB_10device_ptrIjEEEENSD_INSE_IS6_EEEESI_S6_NSB_4plusIvEENSB_8equal_toIvEES6_EE10hipError_tPvRmT2_T3_T4_T5_mT6_T7_P12ihipStream_tbENKUlT_T0_E_clISt17integral_constantIbLb0EES12_IbLb1EEEEDaSY_SZ_EUlSY_E_NS1_11comp_targetILNS1_3genE9ELNS1_11target_archE1100ELNS1_3gpuE3ELNS1_3repE0EEENS1_30default_config_static_selectorELNS0_4arch9wavefront6targetE0EEEvT1_.has_recursion, 0
	.set _ZN7rocprim17ROCPRIM_400000_NS6detail17trampoline_kernelINS0_14default_configENS1_27scan_by_key_config_selectorIj11FixedVectorIiLj4EEEEZZNS1_16scan_by_key_implILNS1_25lookback_scan_determinismE0ELb1ES3_N6thrust23THRUST_200600_302600_NS6detail15normal_iteratorINSB_10device_ptrIjEEEENSD_INSE_IS6_EEEESI_S6_NSB_4plusIvEENSB_8equal_toIvEES6_EE10hipError_tPvRmT2_T3_T4_T5_mT6_T7_P12ihipStream_tbENKUlT_T0_E_clISt17integral_constantIbLb0EES12_IbLb1EEEEDaSY_SZ_EUlSY_E_NS1_11comp_targetILNS1_3genE9ELNS1_11target_archE1100ELNS1_3gpuE3ELNS1_3repE0EEENS1_30default_config_static_selectorELNS0_4arch9wavefront6targetE0EEEvT1_.has_indirect_call, 0
	.section	.AMDGPU.csdata,"",@progbits
; Kernel info:
; codeLenInByte = 0
; TotalNumSgprs: 0
; NumVgprs: 0
; ScratchSize: 0
; MemoryBound: 0
; FloatMode: 240
; IeeeMode: 1
; LDSByteSize: 0 bytes/workgroup (compile time only)
; SGPRBlocks: 0
; VGPRBlocks: 0
; NumSGPRsForWavesPerEU: 1
; NumVGPRsForWavesPerEU: 1
; Occupancy: 16
; WaveLimiterHint : 0
; COMPUTE_PGM_RSRC2:SCRATCH_EN: 0
; COMPUTE_PGM_RSRC2:USER_SGPR: 6
; COMPUTE_PGM_RSRC2:TRAP_HANDLER: 0
; COMPUTE_PGM_RSRC2:TGID_X_EN: 1
; COMPUTE_PGM_RSRC2:TGID_Y_EN: 0
; COMPUTE_PGM_RSRC2:TGID_Z_EN: 0
; COMPUTE_PGM_RSRC2:TIDIG_COMP_CNT: 0
	.section	.text._ZN7rocprim17ROCPRIM_400000_NS6detail17trampoline_kernelINS0_14default_configENS1_27scan_by_key_config_selectorIj11FixedVectorIiLj4EEEEZZNS1_16scan_by_key_implILNS1_25lookback_scan_determinismE0ELb1ES3_N6thrust23THRUST_200600_302600_NS6detail15normal_iteratorINSB_10device_ptrIjEEEENSD_INSE_IS6_EEEESI_S6_NSB_4plusIvEENSB_8equal_toIvEES6_EE10hipError_tPvRmT2_T3_T4_T5_mT6_T7_P12ihipStream_tbENKUlT_T0_E_clISt17integral_constantIbLb0EES12_IbLb1EEEEDaSY_SZ_EUlSY_E_NS1_11comp_targetILNS1_3genE8ELNS1_11target_archE1030ELNS1_3gpuE2ELNS1_3repE0EEENS1_30default_config_static_selectorELNS0_4arch9wavefront6targetE0EEEvT1_,"axG",@progbits,_ZN7rocprim17ROCPRIM_400000_NS6detail17trampoline_kernelINS0_14default_configENS1_27scan_by_key_config_selectorIj11FixedVectorIiLj4EEEEZZNS1_16scan_by_key_implILNS1_25lookback_scan_determinismE0ELb1ES3_N6thrust23THRUST_200600_302600_NS6detail15normal_iteratorINSB_10device_ptrIjEEEENSD_INSE_IS6_EEEESI_S6_NSB_4plusIvEENSB_8equal_toIvEES6_EE10hipError_tPvRmT2_T3_T4_T5_mT6_T7_P12ihipStream_tbENKUlT_T0_E_clISt17integral_constantIbLb0EES12_IbLb1EEEEDaSY_SZ_EUlSY_E_NS1_11comp_targetILNS1_3genE8ELNS1_11target_archE1030ELNS1_3gpuE2ELNS1_3repE0EEENS1_30default_config_static_selectorELNS0_4arch9wavefront6targetE0EEEvT1_,comdat
	.protected	_ZN7rocprim17ROCPRIM_400000_NS6detail17trampoline_kernelINS0_14default_configENS1_27scan_by_key_config_selectorIj11FixedVectorIiLj4EEEEZZNS1_16scan_by_key_implILNS1_25lookback_scan_determinismE0ELb1ES3_N6thrust23THRUST_200600_302600_NS6detail15normal_iteratorINSB_10device_ptrIjEEEENSD_INSE_IS6_EEEESI_S6_NSB_4plusIvEENSB_8equal_toIvEES6_EE10hipError_tPvRmT2_T3_T4_T5_mT6_T7_P12ihipStream_tbENKUlT_T0_E_clISt17integral_constantIbLb0EES12_IbLb1EEEEDaSY_SZ_EUlSY_E_NS1_11comp_targetILNS1_3genE8ELNS1_11target_archE1030ELNS1_3gpuE2ELNS1_3repE0EEENS1_30default_config_static_selectorELNS0_4arch9wavefront6targetE0EEEvT1_ ; -- Begin function _ZN7rocprim17ROCPRIM_400000_NS6detail17trampoline_kernelINS0_14default_configENS1_27scan_by_key_config_selectorIj11FixedVectorIiLj4EEEEZZNS1_16scan_by_key_implILNS1_25lookback_scan_determinismE0ELb1ES3_N6thrust23THRUST_200600_302600_NS6detail15normal_iteratorINSB_10device_ptrIjEEEENSD_INSE_IS6_EEEESI_S6_NSB_4plusIvEENSB_8equal_toIvEES6_EE10hipError_tPvRmT2_T3_T4_T5_mT6_T7_P12ihipStream_tbENKUlT_T0_E_clISt17integral_constantIbLb0EES12_IbLb1EEEEDaSY_SZ_EUlSY_E_NS1_11comp_targetILNS1_3genE8ELNS1_11target_archE1030ELNS1_3gpuE2ELNS1_3repE0EEENS1_30default_config_static_selectorELNS0_4arch9wavefront6targetE0EEEvT1_
	.globl	_ZN7rocprim17ROCPRIM_400000_NS6detail17trampoline_kernelINS0_14default_configENS1_27scan_by_key_config_selectorIj11FixedVectorIiLj4EEEEZZNS1_16scan_by_key_implILNS1_25lookback_scan_determinismE0ELb1ES3_N6thrust23THRUST_200600_302600_NS6detail15normal_iteratorINSB_10device_ptrIjEEEENSD_INSE_IS6_EEEESI_S6_NSB_4plusIvEENSB_8equal_toIvEES6_EE10hipError_tPvRmT2_T3_T4_T5_mT6_T7_P12ihipStream_tbENKUlT_T0_E_clISt17integral_constantIbLb0EES12_IbLb1EEEEDaSY_SZ_EUlSY_E_NS1_11comp_targetILNS1_3genE8ELNS1_11target_archE1030ELNS1_3gpuE2ELNS1_3repE0EEENS1_30default_config_static_selectorELNS0_4arch9wavefront6targetE0EEEvT1_
	.p2align	8
	.type	_ZN7rocprim17ROCPRIM_400000_NS6detail17trampoline_kernelINS0_14default_configENS1_27scan_by_key_config_selectorIj11FixedVectorIiLj4EEEEZZNS1_16scan_by_key_implILNS1_25lookback_scan_determinismE0ELb1ES3_N6thrust23THRUST_200600_302600_NS6detail15normal_iteratorINSB_10device_ptrIjEEEENSD_INSE_IS6_EEEESI_S6_NSB_4plusIvEENSB_8equal_toIvEES6_EE10hipError_tPvRmT2_T3_T4_T5_mT6_T7_P12ihipStream_tbENKUlT_T0_E_clISt17integral_constantIbLb0EES12_IbLb1EEEEDaSY_SZ_EUlSY_E_NS1_11comp_targetILNS1_3genE8ELNS1_11target_archE1030ELNS1_3gpuE2ELNS1_3repE0EEENS1_30default_config_static_selectorELNS0_4arch9wavefront6targetE0EEEvT1_,@function
_ZN7rocprim17ROCPRIM_400000_NS6detail17trampoline_kernelINS0_14default_configENS1_27scan_by_key_config_selectorIj11FixedVectorIiLj4EEEEZZNS1_16scan_by_key_implILNS1_25lookback_scan_determinismE0ELb1ES3_N6thrust23THRUST_200600_302600_NS6detail15normal_iteratorINSB_10device_ptrIjEEEENSD_INSE_IS6_EEEESI_S6_NSB_4plusIvEENSB_8equal_toIvEES6_EE10hipError_tPvRmT2_T3_T4_T5_mT6_T7_P12ihipStream_tbENKUlT_T0_E_clISt17integral_constantIbLb0EES12_IbLb1EEEEDaSY_SZ_EUlSY_E_NS1_11comp_targetILNS1_3genE8ELNS1_11target_archE1030ELNS1_3gpuE2ELNS1_3repE0EEENS1_30default_config_static_selectorELNS0_4arch9wavefront6targetE0EEEvT1_: ; @_ZN7rocprim17ROCPRIM_400000_NS6detail17trampoline_kernelINS0_14default_configENS1_27scan_by_key_config_selectorIj11FixedVectorIiLj4EEEEZZNS1_16scan_by_key_implILNS1_25lookback_scan_determinismE0ELb1ES3_N6thrust23THRUST_200600_302600_NS6detail15normal_iteratorINSB_10device_ptrIjEEEENSD_INSE_IS6_EEEESI_S6_NSB_4plusIvEENSB_8equal_toIvEES6_EE10hipError_tPvRmT2_T3_T4_T5_mT6_T7_P12ihipStream_tbENKUlT_T0_E_clISt17integral_constantIbLb0EES12_IbLb1EEEEDaSY_SZ_EUlSY_E_NS1_11comp_targetILNS1_3genE8ELNS1_11target_archE1030ELNS1_3gpuE2ELNS1_3repE0EEENS1_30default_config_static_selectorELNS0_4arch9wavefront6targetE0EEEvT1_
; %bb.0:
	s_clause 0x1
	s_load_dwordx8 s[12:19], s[4:5], 0x38
	s_load_dwordx2 s[34:35], s[4:5], 0x58
	s_add_u32 s0, s0, s7
	v_cmp_ne_u32_e64 s7, 0, v0
	v_cmp_eq_u32_e64 s6, 0, v0
	s_addc_u32 s1, s1, 0
	s_and_saveexec_b32 s8, s6
	s_cbranch_execz .LBB2110_4
; %bb.1:
	s_mov_b32 s10, exec_lo
	s_mov_b32 s9, exec_lo
	v_mbcnt_lo_u32_b32 v1, s10, 0
                                        ; implicit-def: $vgpr2
	v_cmpx_eq_u32_e32 0, v1
	s_cbranch_execz .LBB2110_3
; %bb.2:
	s_load_dwordx2 s[20:21], s[4:5], 0x88
	s_bcnt1_i32_b32 s10, s10
	v_mov_b32_e32 v2, 0
	v_mov_b32_e32 v3, s10
	s_waitcnt lgkmcnt(0)
	global_atomic_add v2, v2, v3, s[20:21] glc
.LBB2110_3:
	s_or_b32 exec_lo, exec_lo, s9
	s_waitcnt vmcnt(0)
	v_readfirstlane_b32 s9, v2
	v_mov_b32_e32 v2, 0
	v_add_nc_u32_e32 v1, s9, v1
	ds_write_b32 v2, v1
.LBB2110_4:
	s_or_b32 exec_lo, exec_lo, s8
	v_mov_b32_e32 v1, 0
	s_clause 0x3
	s_load_dwordx8 s[20:27], s[4:5], 0x0
	s_load_dwordx4 s[36:39], s[4:5], 0x20
	s_load_dword s8, s[4:5], 0x60
	s_load_dwordx4 s[28:31], s[4:5], 0x68
	s_waitcnt lgkmcnt(0)
	s_barrier
	buffer_gl0_inv
	ds_read_b32 v2, v1
	s_mov_b32 s4, 0
	s_waitcnt lgkmcnt(0)
	s_barrier
	buffer_gl0_inv
	s_barrier
	buffer_gl0_inv
	buffer_store_dword v1, off, s[0:3], 0 offset:220
	buffer_store_dword v1, off, s[0:3], 0 offset:216
	;; [unrolled: 1-line block ×5, first 2 shown]
	v_readfirstlane_b32 s41, v2
.LBB2110_5:                             ; =>This Inner Loop Header: Depth=1
	v_add_nc_u32_e64 v2, 0xd0, s4
	s_add_i32 s4, s4, 4
	s_cmp_lg_u32 s4, 16
	buffer_store_dword v1, v2, s[0:3], 0 offen
	s_cbranch_scc1 .LBB2110_5
; %bb.6:
	v_mov_b32_e32 v1, 0
	s_mov_b32 s4, 20
	s_movk_i32 s11, 0xe4
	buffer_store_byte v1, off, s[0:3], 0 offset:224
	buffer_store_dword v1, off, s[0:3], 0 offset:240
	buffer_store_dword v1, off, s[0:3], 0 offset:236
	buffer_store_dword v1, off, s[0:3], 0 offset:232
	buffer_store_dword v1, off, s[0:3], 0 offset:228
	buffer_store_dword v1, off, s[0:3], 0 offset:244
.LBB2110_7:                             ; =>This Inner Loop Header: Depth=1
	v_add_nc_u32_e64 v2, 0xd0, s4
	s_add_i32 s4, s4, 4
	s_cmp_lg_u32 s4, 36
	buffer_store_dword v1, v2, s[0:3], 0 offen
	s_cbranch_scc1 .LBB2110_7
; %bb.8:
	v_mov_b32_e32 v1, 0
	s_mov_b32 s4, 40
	s_movk_i32 s19, 0xf8
	buffer_store_byte v1, off, s[0:3], 0 offset:244
	buffer_store_dword v1, off, s[0:3], 0 offset:260
	buffer_store_dword v1, off, s[0:3], 0 offset:256
	buffer_store_dword v1, off, s[0:3], 0 offset:252
	buffer_store_dword v1, off, s[0:3], 0 offset:248
	buffer_store_dword v1, off, s[0:3], 0 offset:264
	;; [unrolled: 16-line block ×3, first 2 shown]
.LBB2110_11:                            ; =>This Inner Loop Header: Depth=1
	v_add_nc_u32_e64 v2, 0xd0, s4
	s_add_i32 s4, s4, 4
	s_cmpk_lg_i32 s4, 0x4c
	buffer_store_dword v1, v2, s[0:3], 0 offen
	s_cbranch_scc1 .LBB2110_11
; %bb.12:
	v_mov_b32_e32 v1, 0
	s_movk_i32 s4, 0x50
	s_movk_i32 s40, 0x120
	buffer_store_byte v1, off, s[0:3], 0 offset:284
	buffer_store_dword v1, off, s[0:3], 0 offset:300
	buffer_store_dword v1, off, s[0:3], 0 offset:296
	;; [unrolled: 1-line block ×5, first 2 shown]
.LBB2110_13:                            ; =>This Inner Loop Header: Depth=1
	v_add_nc_u32_e64 v2, 0xd0, s4
	s_add_i32 s4, s4, 4
	s_cmpk_lg_i32 s4, 0x60
	buffer_store_dword v1, v2, s[0:3], 0 offen
	s_cbranch_scc1 .LBB2110_13
; %bb.14:
	v_mov_b32_e32 v1, 0
	v_mov_b32_e32 v5, s39
	v_mov_b32_e32 v2, s36
	v_mov_b32_e32 v3, s37
	v_mov_b32_e32 v4, s38
	s_mov_b32 s4, 0
	buffer_store_byte v1, off, s[0:3], 0 offset:304
	buffer_store_dword v2, off, s[0:3], 0 offset:96
	buffer_store_dword v3, off, s[0:3], 0 offset:100
	;; [unrolled: 1-line block ×4, first 2 shown]
.LBB2110_15:                            ; =>This Inner Loop Header: Depth=1
	v_mov_b32_e32 v2, s4
	s_add_i32 s4, s4, 4
	s_cmp_lg_u32 s4, 16
	buffer_store_dword v1, v2, s[0:3], 0 offen
	s_cbranch_scc1 .LBB2110_15
; %bb.16:
	v_mov_b32_e32 v1, 0
	s_mov_b32 s4, 16
.LBB2110_17:                            ; =>This Inner Loop Header: Depth=1
	v_mov_b32_e32 v2, s4
	s_add_i32 s4, s4, 4
	s_cmp_lg_u32 s4, 32
	buffer_store_dword v1, v2, s[0:3], 0 offen
	s_cbranch_scc1 .LBB2110_17
; %bb.18:
	v_mov_b32_e32 v1, 0
	s_mov_b32 s4, 32
	;; [unrolled: 9-line block ×4, first 2 shown]
.LBB2110_23:                            ; =>This Inner Loop Header: Depth=1
	v_mov_b32_e32 v2, s4
	s_add_i32 s4, s4, 4
	s_cmpk_lg_i32 s4, 0x50
	buffer_store_dword v1, v2, s[0:3], 0 offen
	s_cbranch_scc1 .LBB2110_23
; %bb.24:
	s_lshl_b64 s[4:5], s[22:23], 2
	s_mov_b32 s42, 64
	s_add_u32 s9, s20, s4
	s_addc_u32 s10, s21, s5
	s_lshl_b64 s[20:21], s[22:23], 4
	s_mul_i32 s4, s41, 0x500
	s_add_u32 s46, s24, s20
	s_mov_b32 s5, 0
	s_addc_u32 s47, s25, s21
	s_mul_i32 s24, s35, s8
	s_mul_hi_u32 s25, s34, s8
	s_lshl_b64 s[22:23], s[4:5], 2
	s_add_i32 s48, s25, s24
	s_add_u32 s24, s9, s22
	s_addc_u32 s25, s10, s23
	s_lshl_b64 s[22:23], s[4:5], 4
	s_mul_i32 s4, s34, s8
	s_add_u32 s46, s46, s22
	s_addc_u32 s47, s47, s23
	s_add_u32 s8, s4, s41
	s_addc_u32 s9, s48, 0
	s_add_u32 s28, s28, -1
	s_addc_u32 s29, s29, -1
	s_mov_b32 s43, 48
	v_cmp_ge_u64_e64 s29, s[8:9], s[28:29]
	s_mov_b32 s44, 32
	s_mov_b32 s45, 16
	s_mulk_i32 s28, 0xfb00
	s_and_b32 vcc_lo, exec_lo, s29
	s_cbranch_vccz .LBB2110_52
; %bb.25:
	v_mov_b32_e32 v1, s24
	v_mov_b32_e32 v2, s25
	s_add_i32 s48, s28, s18
	v_cmp_gt_u32_e32 vcc_lo, s48, v0
	flat_load_dword v1, v[1:2]
	s_waitcnt vmcnt(0) lgkmcnt(0)
	v_mov_b32_e32 v2, v1
	s_and_saveexec_b32 s4, vcc_lo
	s_cbranch_execz .LBB2110_27
; %bb.26:
	v_lshlrev_b32_e32 v2, 2, v0
	v_add_co_u32 v2, s5, s24, v2
	v_add_co_ci_u32_e64 v3, null, s25, 0, s5
	flat_load_dword v2, v[2:3]
.LBB2110_27:
	s_or_b32 exec_lo, exec_lo, s4
	v_or_b32_e32 v6, 0x100, v0
	v_mov_b32_e32 v3, v1
	v_cmp_gt_u32_e64 s4, s48, v6
	s_and_saveexec_b32 s5, s4
	s_cbranch_execz .LBB2110_29
; %bb.28:
	v_lshlrev_b32_e32 v3, 2, v0
	v_add_co_u32 v3, s8, s24, v3
	v_add_co_ci_u32_e64 v4, null, s25, 0, s8
	flat_load_dword v3, v[3:4] offset:1024
.LBB2110_29:
	s_or_b32 exec_lo, exec_lo, s5
	v_or_b32_e32 v9, 0x200, v0
	v_mov_b32_e32 v4, v1
	v_cmp_gt_u32_e64 s5, s48, v9
	s_and_saveexec_b32 s8, s5
	s_cbranch_execz .LBB2110_31
; %bb.30:
	v_lshlrev_b32_e32 v4, 2, v9
	v_add_co_u32 v4, s9, s24, v4
	v_add_co_ci_u32_e64 v5, null, s25, 0, s9
	flat_load_dword v4, v[4:5]
.LBB2110_31:
	s_or_b32 exec_lo, exec_lo, s8
	v_or_b32_e32 v10, 0x300, v0
	v_mov_b32_e32 v5, v1
	v_cmp_gt_u32_e64 s8, s48, v10
	s_and_saveexec_b32 s9, s8
	s_cbranch_execz .LBB2110_33
; %bb.32:
	v_lshlrev_b32_e32 v5, 2, v10
	v_add_co_u32 v7, s10, s24, v5
	v_add_co_ci_u32_e64 v8, null, s25, 0, s10
	flat_load_dword v5, v[7:8]
.LBB2110_33:
	s_or_b32 exec_lo, exec_lo, s9
	v_or_b32_e32 v11, 0x400, v0
	v_cmp_gt_u32_e64 s9, s48, v11
	s_and_saveexec_b32 s10, s9
	s_cbranch_execz .LBB2110_35
; %bb.34:
	v_lshlrev_b32_e32 v1, 2, v11
	v_add_co_u32 v7, s49, s24, v1
	v_add_co_ci_u32_e64 v8, null, s25, 0, s49
	flat_load_dword v1, v[7:8]
.LBB2110_35:
	s_or_b32 exec_lo, exec_lo, s10
	v_mov_b32_e32 v12, s24
	v_lshlrev_b32_e32 v8, 2, v0
	v_mov_b32_e32 v13, s25
	s_mov_b32 s49, exec_lo
	s_waitcnt vmcnt(0) lgkmcnt(0)
	ds_write2st64_b32 v8, v2, v3 offset1:4
	ds_write2st64_b32 v8, v4, v5 offset0:8 offset1:12
	ds_write_b32 v8, v1 offset:4096
	s_waitcnt lgkmcnt(0)
	s_waitcnt_vscnt null, 0x0
	s_barrier
	buffer_gl0_inv
	flat_load_dword v5, v[12:13]
	v_lshl_add_u32 v1, v0, 4, v8
	ds_read_b32 v7, v1
	ds_read2_b32 v[3:4], v1 offset0:1 offset1:2
	ds_read2_b32 v[1:2], v1 offset0:3 offset1:4
	s_waitcnt lgkmcnt(2)
	ds_write_b32 v8, v7 offset:6144
	s_waitcnt vmcnt(0) lgkmcnt(0)
	s_barrier
	buffer_gl0_inv
	v_cmpx_ne_u32_e32 0xff, v0
; %bb.36:
	ds_read_b32 v5, v8 offset:6148
; %bb.37:
	s_or_b32 exec_lo, exec_lo, s49
	s_waitcnt lgkmcnt(0)
	s_barrier
	buffer_gl0_inv
	s_and_saveexec_b32 s10, vcc_lo
	s_cbranch_execnz .LBB2110_490
; %bb.38:
	s_or_b32 exec_lo, exec_lo, s10
	s_and_saveexec_b32 s10, s4
	s_cbranch_execnz .LBB2110_491
.LBB2110_39:
	s_or_b32 exec_lo, exec_lo, s10
	s_and_saveexec_b32 s4, s5
	s_cbranch_execnz .LBB2110_492
.LBB2110_40:
	s_or_b32 exec_lo, exec_lo, s4
	s_and_saveexec_b32 s4, s8
	s_cbranch_execnz .LBB2110_493
.LBB2110_41:
	s_or_b32 exec_lo, exec_lo, s4
	v_mul_u32_u24_e32 v6, 5, v0
	s_and_saveexec_b32 s4, s9
	s_cbranch_execz .LBB2110_43
.LBB2110_42:
	v_lshlrev_b32_e32 v9, 4, v11
	v_add_co_u32 v9, s5, s46, v9
	v_add_co_ci_u32_e64 v10, null, s47, 0, s5
	flat_load_dwordx4 v[9:12], v[9:10]
	s_waitcnt vmcnt(0) lgkmcnt(0)
	buffer_store_dword v9, off, s[0:3], 0 offset:64
	buffer_store_dword v10, off, s[0:3], 0 offset:68
	;; [unrolled: 1-line block ×4, first 2 shown]
.LBB2110_43:
	s_or_b32 exec_lo, exec_lo, s4
	v_mov_b32_e32 v30, s44
	v_mov_b32_e32 v29, s45
	;; [unrolled: 1-line block ×3, first 2 shown]
	s_clause 0x7
	buffer_load_dword v9, off, s[0:3], 0
	buffer_load_dword v10, off, s[0:3], 0 offset:4
	buffer_load_dword v11, off, s[0:3], 0 offset:8
	;; [unrolled: 1-line block ×3, first 2 shown]
	buffer_load_dword v13, v29, s[0:3], 0 offen
	buffer_load_dword v14, v29, s[0:3], 0 offen offset:4
	buffer_load_dword v15, v29, s[0:3], 0 offen offset:8
	;; [unrolled: 1-line block ×3, first 2 shown]
	v_mov_b32_e32 v32, s42
	s_clause 0xb
	buffer_load_dword v17, v30, s[0:3], 0 offen
	buffer_load_dword v18, v30, s[0:3], 0 offen offset:4
	buffer_load_dword v19, v30, s[0:3], 0 offen offset:8
	buffer_load_dword v20, v30, s[0:3], 0 offen offset:12
	buffer_load_dword v21, v31, s[0:3], 0 offen
	buffer_load_dword v22, v31, s[0:3], 0 offen offset:4
	buffer_load_dword v23, v31, s[0:3], 0 offen offset:8
	buffer_load_dword v24, v31, s[0:3], 0 offen offset:12
	;; [unrolled: 4-line block ×3, first 2 shown]
	v_mad_u32_u24 v8, v0, 12, v8
	v_cmp_gt_u32_e32 vcc_lo, s48, v6
	s_mov_b32 s4, 0
	s_mov_b32 s5, 0
                                        ; implicit-def: $sgpr9
	s_waitcnt vmcnt(16)
	ds_write_b128 v8, v[9:12]
	s_waitcnt vmcnt(12)
	ds_write_b128 v8, v[13:16] offset:4096
	s_waitcnt vmcnt(8)
	ds_write_b128 v8, v[17:20] offset:8192
	;; [unrolled: 2-line block ×4, first 2 shown]
	v_lshl_add_u32 v33, v0, 6, v8
	s_waitcnt lgkmcnt(0)
	s_waitcnt_vscnt null, 0x0
	s_barrier
	buffer_gl0_inv
	ds_read_b128 v[8:11], v33
	ds_read_b128 v[12:15], v33 offset:16
	ds_read_b128 v[16:19], v33 offset:32
	;; [unrolled: 1-line block ×4, first 2 shown]
	s_waitcnt lgkmcnt(4)
	buffer_store_dword v11, off, s[0:3], 0 offset:12
	buffer_store_dword v10, off, s[0:3], 0 offset:8
	buffer_store_dword v9, off, s[0:3], 0 offset:4
	buffer_store_dword v8, off, s[0:3], 0
	s_waitcnt lgkmcnt(3)
	buffer_store_dword v15, v29, s[0:3], 0 offen offset:12
	buffer_store_dword v14, v29, s[0:3], 0 offen offset:8
	buffer_store_dword v13, v29, s[0:3], 0 offen offset:4
	buffer_store_dword v12, v29, s[0:3], 0 offen
	s_waitcnt lgkmcnt(2)
	buffer_store_dword v19, v30, s[0:3], 0 offen offset:12
	buffer_store_dword v18, v30, s[0:3], 0 offen offset:8
	buffer_store_dword v17, v30, s[0:3], 0 offen offset:4
	buffer_store_dword v16, v30, s[0:3], 0 offen
	;; [unrolled: 5-line block ×4, first 2 shown]
	s_and_saveexec_b32 s8, vcc_lo
	s_cbranch_execz .LBB2110_51
; %bb.44:
	v_mov_b32_e32 v8, 0x60
	v_cmp_ne_u32_e32 vcc_lo, v7, v3
	v_add_nc_u32_e32 v13, 1, v6
	s_mov_b32 s10, 0
	s_mov_b32 s5, exec_lo
                                        ; implicit-def: $sgpr9
	v_cndmask_b32_e32 v9, 0, v8, vcc_lo
	v_cndmask_b32_e64 v7, 0, 1, vcc_lo
	s_clause 0x3
	buffer_load_dword v10, v9, s[0:3], 0 offen offset:12
	buffer_load_dword v11, v9, s[0:3], 0 offen offset:8
	;; [unrolled: 1-line block ×3, first 2 shown]
	buffer_load_dword v9, v9, s[0:3], 0 offen
	s_waitcnt vmcnt(3)
	buffer_store_dword v10, off, s[0:3], 0 offset:220
	s_waitcnt vmcnt(2)
	buffer_store_dword v11, off, s[0:3], 0 offset:216
	;; [unrolled: 2-line block ×4, first 2 shown]
	buffer_store_byte v7, off, s[0:3], 0 offset:224
	v_cmpx_gt_u32_e64 s48, v13
	s_cbranch_execz .LBB2110_50
; %bb.45:
	v_cmp_ne_u32_e32 vcc_lo, v3, v4
	v_add_nc_u32_e32 v11, 2, v6
	v_mov_b32_e32 v12, s11
	s_mov_b32 s49, 0
	s_mov_b32 s10, exec_lo
	v_cndmask_b32_e32 v7, s45, v8, vcc_lo
	v_cndmask_b32_e64 v3, 0, 1, vcc_lo
                                        ; implicit-def: $sgpr9
	s_clause 0x3
	buffer_load_dword v8, v7, s[0:3], 0 offen offset:12
	buffer_load_dword v9, v7, s[0:3], 0 offen offset:8
	;; [unrolled: 1-line block ×3, first 2 shown]
	buffer_load_dword v7, v7, s[0:3], 0 offen
	s_waitcnt vmcnt(3)
	buffer_store_dword v8, v12, s[0:3], 0 offen offset:12
	s_waitcnt vmcnt(2)
	buffer_store_dword v9, v12, s[0:3], 0 offen offset:8
	;; [unrolled: 2-line block ×3, first 2 shown]
	s_waitcnt vmcnt(0)
	buffer_store_dword v7, v12, s[0:3], 0 offen
	buffer_store_byte v3, off, s[0:3], 0 offset:244
	v_cmpx_gt_u32_e64 s48, v11
	s_cbranch_execz .LBB2110_49
; %bb.46:
	v_mov_b32_e32 v3, 0x60
	v_cmp_ne_u32_e32 vcc_lo, v4, v1
	v_add_nc_u32_e32 v11, 3, v6
	v_mov_b32_e32 v12, s19
	s_mov_b32 s50, 0
	s_mov_b32 s49, exec_lo
	v_cndmask_b32_e32 v7, s44, v3, vcc_lo
	v_cndmask_b32_e64 v4, 0, 1, vcc_lo
                                        ; implicit-def: $sgpr9
	s_clause 0x3
	buffer_load_dword v8, v7, s[0:3], 0 offen offset:12
	buffer_load_dword v9, v7, s[0:3], 0 offen offset:8
	;; [unrolled: 1-line block ×3, first 2 shown]
	buffer_load_dword v7, v7, s[0:3], 0 offen
	s_waitcnt vmcnt(3)
	buffer_store_dword v8, v12, s[0:3], 0 offen offset:12
	s_waitcnt vmcnt(2)
	buffer_store_dword v9, v12, s[0:3], 0 offen offset:8
	;; [unrolled: 2-line block ×3, first 2 shown]
	s_waitcnt vmcnt(0)
	buffer_store_dword v7, v12, s[0:3], 0 offen
	buffer_store_byte v4, off, s[0:3], 0 offset:264
	v_cmpx_gt_u32_e64 s48, v11
	s_xor_b32 s49, exec_lo, s49
	s_cbranch_execz .LBB2110_48
; %bb.47:
	v_cmp_ne_u32_e32 vcc_lo, v1, v2
	v_add_nc_u32_e32 v6, 4, v6
	v_cmp_ne_u32_e64 s9, v2, v5
	v_cndmask_b32_e32 v3, s43, v3, vcc_lo
	v_cndmask_b32_e64 v1, 0, 1, vcc_lo
	v_cmp_gt_u32_e32 vcc_lo, s48, v6
	v_mov_b32_e32 v6, s33
	s_clause 0x3
	buffer_load_dword v4, v3, s[0:3], 0 offen offset:12
	buffer_load_dword v7, v3, s[0:3], 0 offen offset:8
	buffer_load_dword v8, v3, s[0:3], 0 offen offset:4
	buffer_load_dword v3, v3, s[0:3], 0 offen
	s_waitcnt vmcnt(3)
	buffer_store_dword v4, v6, s[0:3], 0 offen offset:12
	s_waitcnt vmcnt(2)
	buffer_store_dword v7, v6, s[0:3], 0 offen offset:8
	;; [unrolled: 2-line block ×3, first 2 shown]
	s_waitcnt vmcnt(0)
	buffer_store_dword v3, v6, s[0:3], 0 offen
	buffer_store_byte v1, off, s[0:3], 0 offset:284
	s_and_b32 s50, vcc_lo, exec_lo
.LBB2110_48:
	s_or_b32 exec_lo, exec_lo, s49
	s_and_b32 s49, s50, exec_lo
.LBB2110_49:
	s_or_b32 exec_lo, exec_lo, s10
	s_and_b32 s10, s49, exec_lo
.LBB2110_50:
	s_or_b32 exec_lo, exec_lo, s5
	s_and_b32 s5, s10, exec_lo
.LBB2110_51:
	s_or_b32 exec_lo, exec_lo, s8
	s_and_b32 vcc_lo, exec_lo, s4
	s_cbranch_vccnz .LBB2110_53
	s_branch .LBB2110_56
.LBB2110_52:
                                        ; implicit-def: $sgpr9
	s_cbranch_execz .LBB2110_56
.LBB2110_53:
	v_lshlrev_b32_e32 v6, 2, v0
	v_add_co_u32 v1, s4, s24, v6
	v_add_co_ci_u32_e64 v2, null, s25, 0, s4
	v_add_co_u32 v3, vcc_lo, 0x800, v1
	v_add_co_ci_u32_e64 v4, null, 0, v2, vcc_lo
	v_add_co_u32 v7, vcc_lo, 0x1000, v1
	v_add_co_ci_u32_e64 v8, null, 0, v2, vcc_lo
	s_clause 0x4
	flat_load_dword v5, v[1:2]
	flat_load_dword v9, v[1:2] offset:1024
	flat_load_dword v10, v[3:4]
	flat_load_dword v3, v[3:4] offset:1024
	flat_load_dword v4, v[7:8]
	v_add_co_u32 v1, s4, 0x1000, s24
	v_add_co_ci_u32_e64 v2, null, 0, s25, s4
	s_mov_b32 s4, exec_lo
	s_waitcnt vmcnt(3) lgkmcnt(3)
	ds_write2st64_b32 v6, v5, v9 offset1:4
	s_waitcnt vmcnt(1) lgkmcnt(2)
	ds_write2st64_b32 v6, v10, v3 offset0:8 offset1:12
	s_waitcnt vmcnt(0) lgkmcnt(2)
	ds_write_b32 v6, v4 offset:4096
	s_waitcnt lgkmcnt(0)
	s_waitcnt_vscnt null, 0x0
	s_barrier
	buffer_gl0_inv
	flat_load_dword v5, v[1:2] offset:1024
	v_lshl_add_u32 v1, v0, 4, v6
	ds_read_b32 v7, v1
	ds_read2_b32 v[3:4], v1 offset0:1 offset1:2
	ds_read2_b32 v[1:2], v1 offset0:3 offset1:4
	s_waitcnt lgkmcnt(2)
	ds_write_b32 v6, v7 offset:6144
	s_waitcnt vmcnt(0) lgkmcnt(0)
	s_barrier
	buffer_gl0_inv
	v_cmpx_ne_u32_e32 0xff, v0
; %bb.54:
	ds_read_b32 v5, v6 offset:6148
; %bb.55:
	s_or_b32 exec_lo, exec_lo, s4
	v_lshlrev_b32_e32 v8, 4, v0
	s_waitcnt lgkmcnt(0)
	s_barrier
	buffer_gl0_inv
	v_mov_b32_e32 v31, s42
	v_add_co_u32 v12, s4, s46, v8
	v_add_co_ci_u32_e64 v13, null, s47, 0, s4
	v_mov_b32_e32 v28, s45
	v_add_co_u32 v14, vcc_lo, 0x1000, v12
	flat_load_dwordx4 v[8:11], v[12:13]
	v_add_co_ci_u32_e64 v15, null, 0, v13, vcc_lo
	v_mov_b32_e32 v29, s44
	v_mov_b32_e32 v30, s43
	v_mad_u32_u24 v6, v0, 12, v6
	v_cmp_ne_u32_e64 s5, v4, v1
	v_cmp_ne_u32_e64 s4, v3, v4
	;; [unrolled: 1-line block ×4, first 2 shown]
	v_lshl_add_u32 v32, v0, 6, v6
	v_cndmask_b32_e64 v4, 0, 1, s5
	v_mov_b32_e32 v2, s11
	v_cndmask_b32_e64 v1, 0, 1, s8
	v_mov_b32_e32 v5, s19
	s_waitcnt vmcnt(0) lgkmcnt(0)
	buffer_store_dword v8, off, s[0:3], 0
	buffer_store_dword v9, off, s[0:3], 0 offset:4
	buffer_store_dword v10, off, s[0:3], 0 offset:8
	;; [unrolled: 1-line block ×3, first 2 shown]
	flat_load_dwordx4 v[8:11], v[14:15]
	v_add_co_u32 v14, vcc_lo, 0x2000, v12
	v_add_co_ci_u32_e64 v15, null, 0, v13, vcc_lo
	s_waitcnt vmcnt(0) lgkmcnt(0)
	buffer_store_dword v8, off, s[0:3], 0 offset:16
	buffer_store_dword v9, off, s[0:3], 0 offset:20
	;; [unrolled: 1-line block ×4, first 2 shown]
	flat_load_dwordx4 v[8:11], v[14:15]
	v_add_co_u32 v14, vcc_lo, 0x3000, v12
	v_add_co_ci_u32_e64 v15, null, 0, v13, vcc_lo
	v_add_co_u32 v12, vcc_lo, 0x4000, v12
	v_add_co_ci_u32_e64 v13, null, 0, v13, vcc_lo
	v_cmp_ne_u32_e32 vcc_lo, v7, v3
	v_cndmask_b32_e64 v3, 0, 1, s4
	s_waitcnt vmcnt(0) lgkmcnt(0)
	buffer_store_dword v8, off, s[0:3], 0 offset:32
	buffer_store_dword v9, off, s[0:3], 0 offset:36
	;; [unrolled: 1-line block ×4, first 2 shown]
	flat_load_dwordx4 v[8:11], v[14:15]
	s_waitcnt vmcnt(0) lgkmcnt(0)
	buffer_store_dword v8, off, s[0:3], 0 offset:48
	buffer_store_dword v9, off, s[0:3], 0 offset:52
	buffer_store_dword v10, off, s[0:3], 0 offset:56
	buffer_store_dword v11, off, s[0:3], 0 offset:60
	flat_load_dwordx4 v[8:11], v[12:13]
	s_clause 0xf
	buffer_load_dword v12, off, s[0:3], 0
	buffer_load_dword v13, off, s[0:3], 0 offset:4
	buffer_load_dword v14, off, s[0:3], 0 offset:8
	;; [unrolled: 1-line block ×3, first 2 shown]
	buffer_load_dword v16, v28, s[0:3], 0 offen
	buffer_load_dword v17, v28, s[0:3], 0 offen offset:4
	buffer_load_dword v18, v28, s[0:3], 0 offen offset:8
	buffer_load_dword v19, v28, s[0:3], 0 offen offset:12
	buffer_load_dword v23, v29, s[0:3], 0 offen offset:12
	buffer_load_dword v24, v30, s[0:3], 0 offen
	buffer_load_dword v25, v30, s[0:3], 0 offen offset:4
	buffer_load_dword v26, v30, s[0:3], 0 offen offset:8
	;; [unrolled: 1-line block ×5, first 2 shown]
	buffer_load_dword v20, v29, s[0:3], 0 offen
	s_waitcnt vmcnt(16) lgkmcnt(0)
	buffer_store_dword v8, off, s[0:3], 0 offset:64
	buffer_store_dword v9, off, s[0:3], 0 offset:68
	;; [unrolled: 1-line block ×4, first 2 shown]
	s_clause 0x3
	buffer_load_dword v8, v31, s[0:3], 0 offen
	buffer_load_dword v9, v31, s[0:3], 0 offen offset:4
	buffer_load_dword v10, v31, s[0:3], 0 offen offset:8
	;; [unrolled: 1-line block ×3, first 2 shown]
	s_waitcnt vmcnt(16)
	ds_write_b128 v6, v[12:15]
	s_waitcnt vmcnt(12)
	ds_write_b128 v6, v[16:19] offset:4096
	s_waitcnt vmcnt(4)
	ds_write_b128 v6, v[20:23] offset:8192
	ds_write_b128 v6, v[24:27] offset:12288
	s_waitcnt vmcnt(0)
	ds_write_b128 v6, v[8:11] offset:16384
	s_waitcnt lgkmcnt(0)
	s_waitcnt_vscnt null, 0x0
	s_barrier
	buffer_gl0_inv
	ds_read_b128 v[8:11], v32
	ds_read_b128 v[12:15], v32 offset:16
	ds_read_b128 v[16:19], v32 offset:32
	;; [unrolled: 1-line block ×3, first 2 shown]
	v_mov_b32_e32 v6, 0x60
	v_cndmask_b32_e64 v24, 0, 1, vcc_lo
	v_mov_b32_e32 v27, s33
	s_waitcnt lgkmcnt(3)
	buffer_store_dword v11, off, s[0:3], 0 offset:12
	buffer_store_dword v10, off, s[0:3], 0 offset:8
	;; [unrolled: 1-line block ×3, first 2 shown]
	buffer_store_dword v8, off, s[0:3], 0
	s_waitcnt lgkmcnt(2)
	buffer_store_dword v15, v28, s[0:3], 0 offen offset:12
	buffer_store_dword v14, v28, s[0:3], 0 offen offset:8
	;; [unrolled: 1-line block ×3, first 2 shown]
	buffer_store_dword v12, v28, s[0:3], 0 offen
	s_waitcnt lgkmcnt(1)
	buffer_store_dword v19, v29, s[0:3], 0 offen offset:12
	buffer_store_dword v18, v29, s[0:3], 0 offen offset:8
	;; [unrolled: 1-line block ×3, first 2 shown]
	buffer_store_dword v16, v29, s[0:3], 0 offen
	s_waitcnt lgkmcnt(0)
	buffer_store_dword v23, v30, s[0:3], 0 offen offset:12
	v_cndmask_b32_e32 v7, 0, v6, vcc_lo
	v_cndmask_b32_e64 v26, s44, v6, s5
	v_cndmask_b32_e64 v25, s45, v6, s4
	;; [unrolled: 1-line block ×3, first 2 shown]
	s_clause 0x7
	buffer_load_dword v10, v7, s[0:3], 0 offen
	buffer_load_dword v11, v7, s[0:3], 0 offen offset:4
	buffer_load_dword v12, v7, s[0:3], 0 offen offset:8
	;; [unrolled: 1-line block ×3, first 2 shown]
	buffer_load_dword v14, v25, s[0:3], 0 offen
	buffer_load_dword v15, v25, s[0:3], 0 offen offset:4
	buffer_load_dword v16, v25, s[0:3], 0 offen offset:8
	;; [unrolled: 1-line block ×3, first 2 shown]
	buffer_store_dword v22, v30, s[0:3], 0 offen offset:8
	buffer_store_dword v21, v30, s[0:3], 0 offen offset:4
	buffer_store_dword v20, v30, s[0:3], 0 offen
	s_clause 0x7
	buffer_load_dword v18, v26, s[0:3], 0 offen offset:12
	buffer_load_dword v19, v26, s[0:3], 0 offen offset:8
	buffer_load_dword v20, v26, s[0:3], 0 offen offset:4
	buffer_load_dword v21, v26, s[0:3], 0 offen
	buffer_load_dword v22, v6, s[0:3], 0 offen offset:12
	buffer_load_dword v23, v6, s[0:3], 0 offen offset:8
	;; [unrolled: 1-line block ×3, first 2 shown]
	buffer_load_dword v26, v6, s[0:3], 0 offen
	ds_read_b128 v[6:9], v32 offset:64
	s_mov_b32 s5, -1
	buffer_store_byte v24, off, s[0:3], 0 offset:224
	buffer_store_byte v3, off, s[0:3], 0 offset:244
	;; [unrolled: 1-line block ×3, first 2 shown]
	s_waitcnt lgkmcnt(0)
	buffer_store_dword v9, v31, s[0:3], 0 offen offset:12
	buffer_store_dword v8, v31, s[0:3], 0 offen offset:8
	buffer_store_dword v7, v31, s[0:3], 0 offen offset:4
	buffer_store_dword v6, v31, s[0:3], 0 offen
	s_waitcnt vmcnt(12)
	buffer_store_dword v13, off, s[0:3], 0 offset:220
	buffer_store_dword v12, off, s[0:3], 0 offset:216
	buffer_store_dword v11, off, s[0:3], 0 offset:212
	buffer_store_dword v10, off, s[0:3], 0 offset:208
	s_waitcnt vmcnt(8)
	buffer_store_dword v17, v2, s[0:3], 0 offen offset:12
	buffer_store_dword v16, v2, s[0:3], 0 offen offset:8
	;; [unrolled: 1-line block ×3, first 2 shown]
	buffer_store_dword v14, v2, s[0:3], 0 offen
	s_waitcnt vmcnt(7)
	buffer_store_dword v18, v5, s[0:3], 0 offen offset:12
	s_waitcnt vmcnt(6)
	buffer_store_dword v19, v5, s[0:3], 0 offen offset:8
	;; [unrolled: 2-line block ×3, first 2 shown]
	s_waitcnt vmcnt(4)
	buffer_store_dword v21, v5, s[0:3], 0 offen
	s_waitcnt vmcnt(3)
	buffer_store_dword v22, v27, s[0:3], 0 offen offset:12
	s_waitcnt vmcnt(2)
	buffer_store_dword v23, v27, s[0:3], 0 offen offset:8
	;; [unrolled: 2-line block ×3, first 2 shown]
	s_waitcnt vmcnt(0)
	buffer_store_dword v26, v27, s[0:3], 0 offen
	buffer_store_byte v1, off, s[0:3], 0 offset:284
.LBB2110_56:
	s_and_saveexec_b32 s4, s5
	s_cbranch_execz .LBB2110_58
; %bb.57:
	v_mov_b32_e32 v1, 0x60
	v_mov_b32_e32 v5, s40
	v_cndmask_b32_e64 v6, 0, 1, s9
	v_cndmask_b32_e64 v1, s42, v1, s9
	s_clause 0x3
	buffer_load_dword v2, v1, s[0:3], 0 offen offset:12
	buffer_load_dword v3, v1, s[0:3], 0 offen offset:8
	;; [unrolled: 1-line block ×3, first 2 shown]
	buffer_load_dword v1, v1, s[0:3], 0 offen
	s_waitcnt vmcnt(3)
	buffer_store_dword v2, v5, s[0:3], 0 offen offset:12
	s_waitcnt vmcnt(2)
	buffer_store_dword v3, v5, s[0:3], 0 offen offset:8
	;; [unrolled: 2-line block ×3, first 2 shown]
	s_waitcnt vmcnt(0)
	buffer_store_dword v1, v5, s[0:3], 0 offen
	buffer_store_byte v6, off, s[0:3], 0 offset:304
.LBB2110_58:
	s_or_b32 exec_lo, exec_lo, s4
	s_cmp_lg_u32 s41, 0
	s_waitcnt_vscnt null, 0x0
	s_barrier
	buffer_gl0_inv
	s_cbranch_scc0 .LBB2110_281
; %bb.59:
	s_clause 0x5
	buffer_load_dword v2, off, s[0:3], 0 offset:220
	buffer_load_ubyte v6, off, s[0:3], 0 offset:244
	buffer_load_dword v3, off, s[0:3], 0 offset:216
	buffer_load_dword v4, off, s[0:3], 0 offset:212
	;; [unrolled: 1-line block ×4, first 2 shown]
	s_mov_b32 s4, exec_lo
	s_waitcnt vmcnt(5)
	buffer_store_dword v2, off, s[0:3], 0 offset:188
	s_waitcnt vmcnt(3)
	buffer_store_dword v3, off, s[0:3], 0 offset:184
	;; [unrolled: 2-line block ×5, first 2 shown]
                                        ; implicit-def: $vgpr3
                                        ; implicit-def: $vgpr2
                                        ; implicit-def: $vgpr4
                                        ; implicit-def: $vgpr5
	v_cmpx_ne_u16_e32 0, v6
	s_xor_b32 s4, exec_lo, s4
	s_cbranch_execz .LBB2110_61
; %bb.60:
	s_clause 0x3
	buffer_load_dword v2, off, s[0:3], 0 offset:228
	buffer_load_dword v4, off, s[0:3], 0 offset:232
	;; [unrolled: 1-line block ×4, first 2 shown]
.LBB2110_61:
	s_andn2_saveexec_b32 s4, s4
	s_cbranch_execz .LBB2110_67
; %bb.62:
	s_waitcnt vmcnt(3)
	v_mov_b32_e32 v2, 0
	s_mov_b32 s5, 0
.LBB2110_63:                            ; =>This Inner Loop Header: Depth=1
	s_waitcnt vmcnt(0)
	v_mov_b32_e32 v3, s5
	s_add_i32 s5, s5, 4
	s_cmp_lg_u32 s5, 16
	buffer_store_dword v2, v3, s[0:3], 0 offen
	s_cbranch_scc1 .LBB2110_63
; %bb.64:
	s_mov_b32 s5, 0
	.p2align	6
.LBB2110_65:                            ; =>This Inner Loop Header: Depth=1
	v_add_nc_u32_e64 v2, 0xb0, s5
	v_add_nc_u32_e64 v3, 0xd0, s5
	v_mov_b32_e32 v4, s5
	s_add_i32 s5, s5, 4
	s_clause 0x1
	buffer_load_dword v2, v2, s[0:3], 0 offen
	buffer_load_dword v3, v3, s[0:3], 0 offen offset:20
	s_cmp_lg_u32 s5, 16
	s_waitcnt vmcnt(0)
	v_add_nc_u32_e32 v2, v3, v2
	buffer_store_dword v2, v4, s[0:3], 0 offen
	s_cbranch_scc1 .LBB2110_65
; %bb.66:
	s_clause 0x3
	buffer_load_dword v2, off, s[0:3], 0
	buffer_load_dword v4, off, s[0:3], 0 offset:4
	buffer_load_dword v5, off, s[0:3], 0 offset:8
	;; [unrolled: 1-line block ×3, first 2 shown]
.LBB2110_67:
	s_or_b32 exec_lo, exec_lo, s4
	buffer_load_ubyte v7, off, s[0:3], 0 offset:264
	s_mov_b32 s4, exec_lo
	s_waitcnt vmcnt(4)
	buffer_store_dword v2, off, s[0:3], 0 offset:176
	s_waitcnt vmcnt(3)
	buffer_store_dword v4, off, s[0:3], 0 offset:180
	;; [unrolled: 2-line block ×4, first 2 shown]
                                        ; implicit-def: $vgpr3
                                        ; implicit-def: $vgpr2
                                        ; implicit-def: $vgpr4
                                        ; implicit-def: $vgpr5
	s_waitcnt vmcnt(0)
	v_cmpx_ne_u16_e32 0, v7
	s_xor_b32 s4, exec_lo, s4
	s_cbranch_execz .LBB2110_69
; %bb.68:
	s_clause 0x3
	buffer_load_dword v2, off, s[0:3], 0 offset:248
	buffer_load_dword v4, off, s[0:3], 0 offset:252
	;; [unrolled: 1-line block ×4, first 2 shown]
.LBB2110_69:
	s_andn2_saveexec_b32 s4, s4
	s_cbranch_execz .LBB2110_75
; %bb.70:
	s_waitcnt vmcnt(3)
	v_mov_b32_e32 v2, 0
	s_mov_b32 s5, 0
.LBB2110_71:                            ; =>This Inner Loop Header: Depth=1
	s_waitcnt vmcnt(0)
	v_mov_b32_e32 v3, s5
	s_add_i32 s5, s5, 4
	s_cmp_lg_u32 s5, 16
	buffer_store_dword v2, v3, s[0:3], 0 offen
	s_cbranch_scc1 .LBB2110_71
; %bb.72:
	s_mov_b32 s5, 0
	.p2align	6
.LBB2110_73:                            ; =>This Inner Loop Header: Depth=1
	v_add_nc_u32_e64 v2, 0xb0, s5
	v_add_nc_u32_e64 v3, 0xd0, s5
	v_mov_b32_e32 v4, s5
	s_add_i32 s5, s5, 4
	s_clause 0x1
	buffer_load_dword v2, v2, s[0:3], 0 offen
	buffer_load_dword v3, v3, s[0:3], 0 offen offset:40
	s_cmp_lg_u32 s5, 16
	s_waitcnt vmcnt(0)
	v_add_nc_u32_e32 v2, v3, v2
	buffer_store_dword v2, v4, s[0:3], 0 offen
	s_cbranch_scc1 .LBB2110_73
; %bb.74:
	s_clause 0x3
	buffer_load_dword v2, off, s[0:3], 0
	buffer_load_dword v4, off, s[0:3], 0 offset:4
	buffer_load_dword v5, off, s[0:3], 0 offset:8
	;; [unrolled: 1-line block ×3, first 2 shown]
.LBB2110_75:
	s_or_b32 exec_lo, exec_lo, s4
	buffer_load_ubyte v8, off, s[0:3], 0 offset:284
	s_mov_b32 s4, exec_lo
	s_waitcnt vmcnt(4)
	buffer_store_dword v2, off, s[0:3], 0 offset:176
	s_waitcnt vmcnt(3)
	buffer_store_dword v4, off, s[0:3], 0 offset:180
	;; [unrolled: 2-line block ×4, first 2 shown]
                                        ; implicit-def: $vgpr3
                                        ; implicit-def: $vgpr2
                                        ; implicit-def: $vgpr4
                                        ; implicit-def: $vgpr5
	s_waitcnt vmcnt(0)
	v_cmpx_ne_u16_e32 0, v8
	s_xor_b32 s4, exec_lo, s4
	s_cbranch_execz .LBB2110_77
; %bb.76:
	s_clause 0x3
	buffer_load_dword v2, off, s[0:3], 0 offset:268
	buffer_load_dword v4, off, s[0:3], 0 offset:272
	;; [unrolled: 1-line block ×4, first 2 shown]
.LBB2110_77:
	s_andn2_saveexec_b32 s4, s4
	s_cbranch_execz .LBB2110_83
; %bb.78:
	s_waitcnt vmcnt(3)
	v_mov_b32_e32 v2, 0
	s_mov_b32 s5, 0
.LBB2110_79:                            ; =>This Inner Loop Header: Depth=1
	s_waitcnt vmcnt(0)
	v_mov_b32_e32 v3, s5
	s_add_i32 s5, s5, 4
	s_cmp_lg_u32 s5, 16
	buffer_store_dword v2, v3, s[0:3], 0 offen
	s_cbranch_scc1 .LBB2110_79
; %bb.80:
	s_mov_b32 s5, 0
	.p2align	6
.LBB2110_81:                            ; =>This Inner Loop Header: Depth=1
	v_add_nc_u32_e64 v2, 0xb0, s5
	v_add_nc_u32_e64 v3, 0xd0, s5
	v_mov_b32_e32 v4, s5
	s_add_i32 s5, s5, 4
	s_clause 0x1
	buffer_load_dword v2, v2, s[0:3], 0 offen
	buffer_load_dword v3, v3, s[0:3], 0 offen offset:60
	s_cmp_lg_u32 s5, 16
	s_waitcnt vmcnt(0)
	v_add_nc_u32_e32 v2, v3, v2
	buffer_store_dword v2, v4, s[0:3], 0 offen
	s_cbranch_scc1 .LBB2110_81
; %bb.82:
	s_clause 0x3
	buffer_load_dword v2, off, s[0:3], 0
	buffer_load_dword v4, off, s[0:3], 0 offset:4
	buffer_load_dword v5, off, s[0:3], 0 offset:8
	;; [unrolled: 1-line block ×3, first 2 shown]
.LBB2110_83:
	s_or_b32 exec_lo, exec_lo, s4
	buffer_load_ubyte v9, off, s[0:3], 0 offset:304
	s_mov_b32 s4, exec_lo
	s_waitcnt vmcnt(4)
	buffer_store_dword v2, off, s[0:3], 0 offset:176
	s_waitcnt vmcnt(3)
	buffer_store_dword v4, off, s[0:3], 0 offset:180
	;; [unrolled: 2-line block ×4, first 2 shown]
                                        ; implicit-def: $vgpr5
                                        ; implicit-def: $vgpr2
                                        ; implicit-def: $vgpr3
                                        ; implicit-def: $vgpr4
	s_waitcnt vmcnt(0)
	v_cmpx_ne_u16_e32 0, v9
	s_xor_b32 s4, exec_lo, s4
	s_cbranch_execz .LBB2110_85
; %bb.84:
	s_clause 0x3
	buffer_load_dword v2, off, s[0:3], 0 offset:288
	buffer_load_dword v3, off, s[0:3], 0 offset:292
	;; [unrolled: 1-line block ×4, first 2 shown]
.LBB2110_85:
	s_andn2_saveexec_b32 s4, s4
	s_cbranch_execz .LBB2110_91
; %bb.86:
	s_waitcnt vmcnt(3)
	v_mov_b32_e32 v2, 0
	s_mov_b32 s5, 0
.LBB2110_87:                            ; =>This Inner Loop Header: Depth=1
	s_waitcnt vmcnt(2)
	v_mov_b32_e32 v3, s5
	s_add_i32 s5, s5, 4
	s_cmp_lg_u32 s5, 16
	buffer_store_dword v2, v3, s[0:3], 0 offen
	s_cbranch_scc1 .LBB2110_87
; %bb.88:
	s_mov_b32 s5, 0
	.p2align	6
.LBB2110_89:                            ; =>This Inner Loop Header: Depth=1
	v_add_nc_u32_e64 v2, 0xb0, s5
	v_add_nc_u32_e64 v3, 0xd0, s5
	s_waitcnt vmcnt(1)
	v_mov_b32_e32 v4, s5
	s_add_i32 s5, s5, 4
	s_clause 0x1
	buffer_load_dword v2, v2, s[0:3], 0 offen
	buffer_load_dword v3, v3, s[0:3], 0 offen offset:80
	s_cmp_lg_u32 s5, 16
	s_waitcnt vmcnt(0)
	v_add_nc_u32_e32 v2, v3, v2
	buffer_store_dword v2, v4, s[0:3], 0 offen
	s_cbranch_scc1 .LBB2110_89
; %bb.90:
	s_clause 0x3
	buffer_load_dword v2, off, s[0:3], 0
	buffer_load_dword v3, off, s[0:3], 0 offset:4
	buffer_load_dword v4, off, s[0:3], 0 offset:8
	;; [unrolled: 1-line block ×3, first 2 shown]
.LBB2110_91:
	s_or_b32 exec_lo, exec_lo, s4
	v_or_b32_e32 v6, v7, v6
	v_and_b32_e32 v7, 1, v8
	v_and_b32_e32 v8, 1, v9
	;; [unrolled: 1-line block ×3, first 2 shown]
	v_mbcnt_lo_u32_b32 v9, -1, 0
	v_cmp_ne_u16_e32 vcc_lo, 0, v6
	v_cmp_eq_u32_e64 s4, 1, v7
	v_cmp_eq_u32_e64 s5, 1, v8
	;; [unrolled: 1-line block ×3, first 2 shown]
	s_waitcnt vmcnt(3)
	v_mov_b32_dpp v8, v2 row_shr:1 row_mask:0xf bank_mask:0xf
	v_and_b32_e32 v6, 15, v9
	s_or_b32 s4, vcc_lo, s4
	s_waitcnt vmcnt(2)
	v_mov_b32_dpp v10, v3 row_shr:1 row_mask:0xf bank_mask:0xf
	s_or_b32 s4, s5, s4
	s_waitcnt vmcnt(1)
	v_mov_b32_dpp v11, v4 row_shr:1 row_mask:0xf bank_mask:0xf
	s_or_b32 s4, s4, s8
	s_waitcnt vmcnt(0)
	v_mov_b32_dpp v12, v5 row_shr:1 row_mask:0xf bank_mask:0xf
	v_cndmask_b32_e64 v1, 0, 1, s4
	s_mov_b32 s4, exec_lo
	buffer_store_byte v1, off, s[0:3], 0 offset:192
	buffer_load_dword v1, off, s[0:3], 0 offset:192
	buffer_store_dword v2, off, s[0:3], 0 offset:176
	buffer_store_dword v3, off, s[0:3], 0 offset:180
	;; [unrolled: 1-line block ×4, first 2 shown]
	s_waitcnt vmcnt(0)
	v_mov_b32_dpp v7, v1 row_shr:1 row_mask:0xf bank_mask:0xf
	buffer_store_dword v8, off, s[0:3], 0
	buffer_store_dword v10, off, s[0:3], 0 offset:4
	buffer_store_dword v11, off, s[0:3], 0 offset:8
	;; [unrolled: 1-line block ×4, first 2 shown]
	v_cmpx_ne_u32_e32 0, v6
	s_xor_b32 s4, exec_lo, s4
	s_cbranch_execz .LBB2110_99
; %bb.92:
	v_mov_b32_e32 v8, 0
	v_cmp_eq_u16_sdwa s8, v1, v8 src0_sel:BYTE_0 src1_sel:DWORD
	s_and_saveexec_b32 s5, s8
	s_cbranch_execz .LBB2110_98
; %bb.93:
	s_mov_b32 s8, 0
.LBB2110_94:                            ; =>This Inner Loop Header: Depth=1
	v_add_nc_u32_e64 v2, 0x60, s8
	s_add_i32 s8, s8, 4
	s_cmp_lg_u32 s8, 16
	buffer_store_dword v8, v2, s[0:3], 0 offen
	s_cbranch_scc1 .LBB2110_94
; %bb.95:
	s_mov_b32 s8, 0
	.p2align	6
.LBB2110_96:                            ; =>This Inner Loop Header: Depth=1
	v_mov_b32_e32 v2, s8
	v_add_nc_u32_e64 v3, 0xb0, s8
	v_add_nc_u32_e64 v4, 0x60, s8
	s_add_i32 s8, s8, 4
	s_clause 0x1
	buffer_load_dword v2, v2, s[0:3], 0 offen
	buffer_load_dword v3, v3, s[0:3], 0 offen
	s_cmp_lg_u32 s8, 16
	s_waitcnt vmcnt(0)
	v_add_nc_u32_e32 v2, v3, v2
	buffer_store_dword v2, v4, s[0:3], 0 offen
	s_cbranch_scc1 .LBB2110_96
; %bb.97:
	s_clause 0x3
	buffer_load_dword v2, off, s[0:3], 0 offset:96
	buffer_load_dword v3, off, s[0:3], 0 offset:100
	;; [unrolled: 1-line block ×4, first 2 shown]
.LBB2110_98:
	s_or_b32 exec_lo, exec_lo, s5
	v_or_b32_e32 v1, v7, v1
	v_and_b32_e32 v1, 1, v1
	buffer_store_byte v1, off, s[0:3], 0 offset:192
	buffer_load_dword v1, off, s[0:3], 0 offset:192
	s_waitcnt vmcnt(4)
	buffer_store_dword v2, off, s[0:3], 0 offset:176
	s_waitcnt vmcnt(3)
	buffer_store_dword v3, off, s[0:3], 0 offset:180
	s_waitcnt vmcnt(2)
	buffer_store_dword v4, off, s[0:3], 0 offset:184
	s_waitcnt vmcnt(1)
	buffer_store_dword v5, off, s[0:3], 0 offset:188
.LBB2110_99:
	s_or_b32 exec_lo, exec_lo, s4
	v_mov_b32_dpp v8, v2 row_shr:2 row_mask:0xf bank_mask:0xf
	s_waitcnt vmcnt(0)
	v_mov_b32_dpp v7, v1 row_shr:2 row_mask:0xf bank_mask:0xf
	v_mov_b32_dpp v10, v3 row_shr:2 row_mask:0xf bank_mask:0xf
	;; [unrolled: 1-line block ×4, first 2 shown]
	s_mov_b32 s5, exec_lo
	buffer_store_dword v8, off, s[0:3], 0
	buffer_store_dword v10, off, s[0:3], 0 offset:4
	buffer_store_dword v11, off, s[0:3], 0 offset:8
	buffer_store_dword v12, off, s[0:3], 0 offset:12
	buffer_store_dword v7, off, s[0:3], 0 offset:16
	v_cmpx_lt_u32_e32 1, v6
	s_cbranch_execz .LBB2110_106
; %bb.100:
	v_mov_b32_e32 v8, 0
	s_mov_b32 s8, 0
	v_cmp_eq_u16_sdwa s9, v1, v8 src0_sel:BYTE_0 src1_sel:DWORD
	s_and_saveexec_b32 s4, s9
	s_cbranch_execz .LBB2110_105
.LBB2110_101:                           ; =>This Inner Loop Header: Depth=1
	v_add_nc_u32_e64 v2, 0x60, s8
	s_add_i32 s8, s8, 4
	s_cmp_lg_u32 s8, 16
	buffer_store_dword v8, v2, s[0:3], 0 offen
	s_cbranch_scc1 .LBB2110_101
; %bb.102:
	s_mov_b32 s8, 0
	.p2align	6
.LBB2110_103:                           ; =>This Inner Loop Header: Depth=1
	v_mov_b32_e32 v2, s8
	v_add_nc_u32_e64 v3, 0xb0, s8
	v_add_nc_u32_e64 v4, 0x60, s8
	s_add_i32 s8, s8, 4
	s_clause 0x1
	buffer_load_dword v2, v2, s[0:3], 0 offen
	buffer_load_dword v3, v3, s[0:3], 0 offen
	s_cmp_lg_u32 s8, 16
	s_waitcnt vmcnt(0)
	v_add_nc_u32_e32 v2, v3, v2
	buffer_store_dword v2, v4, s[0:3], 0 offen
	s_cbranch_scc1 .LBB2110_103
; %bb.104:
	s_clause 0x3
	buffer_load_dword v2, off, s[0:3], 0 offset:96
	buffer_load_dword v3, off, s[0:3], 0 offset:100
	buffer_load_dword v4, off, s[0:3], 0 offset:104
	buffer_load_dword v5, off, s[0:3], 0 offset:108
.LBB2110_105:
	s_or_b32 exec_lo, exec_lo, s4
	v_and_b32_e32 v1, 1, v1
	v_and_b32_e32 v7, 1, v7
	v_cmp_eq_u32_e32 vcc_lo, 1, v1
	v_cmp_eq_u32_e64 s4, 1, v7
	s_or_b32 s4, vcc_lo, s4
	v_cndmask_b32_e64 v1, 0, 1, s4
	buffer_store_byte v1, off, s[0:3], 0 offset:192
	buffer_load_dword v1, off, s[0:3], 0 offset:192
	s_waitcnt vmcnt(4)
	buffer_store_dword v2, off, s[0:3], 0 offset:176
	s_waitcnt vmcnt(3)
	buffer_store_dword v3, off, s[0:3], 0 offset:180
	;; [unrolled: 2-line block ×4, first 2 shown]
.LBB2110_106:
	s_or_b32 exec_lo, exec_lo, s5
	v_mov_b32_dpp v8, v2 row_shr:4 row_mask:0xf bank_mask:0xf
	s_waitcnt vmcnt(0)
	v_mov_b32_dpp v7, v1 row_shr:4 row_mask:0xf bank_mask:0xf
	v_mov_b32_dpp v10, v3 row_shr:4 row_mask:0xf bank_mask:0xf
	;; [unrolled: 1-line block ×4, first 2 shown]
	s_mov_b32 s5, exec_lo
	buffer_store_dword v8, off, s[0:3], 0
	buffer_store_dword v10, off, s[0:3], 0 offset:4
	buffer_store_dword v11, off, s[0:3], 0 offset:8
	;; [unrolled: 1-line block ×4, first 2 shown]
	v_cmpx_lt_u32_e32 3, v6
	s_cbranch_execz .LBB2110_113
; %bb.107:
	v_mov_b32_e32 v8, 0
	s_mov_b32 s8, 0
	v_cmp_eq_u16_sdwa s9, v1, v8 src0_sel:BYTE_0 src1_sel:DWORD
	s_and_saveexec_b32 s4, s9
	s_cbranch_execz .LBB2110_112
.LBB2110_108:                           ; =>This Inner Loop Header: Depth=1
	v_add_nc_u32_e64 v2, 0x60, s8
	s_add_i32 s8, s8, 4
	s_cmp_lg_u32 s8, 16
	buffer_store_dword v8, v2, s[0:3], 0 offen
	s_cbranch_scc1 .LBB2110_108
; %bb.109:
	s_mov_b32 s8, 0
	.p2align	6
.LBB2110_110:                           ; =>This Inner Loop Header: Depth=1
	v_mov_b32_e32 v2, s8
	v_add_nc_u32_e64 v3, 0xb0, s8
	v_add_nc_u32_e64 v4, 0x60, s8
	s_add_i32 s8, s8, 4
	s_clause 0x1
	buffer_load_dword v2, v2, s[0:3], 0 offen
	buffer_load_dword v3, v3, s[0:3], 0 offen
	s_cmp_lg_u32 s8, 16
	s_waitcnt vmcnt(0)
	v_add_nc_u32_e32 v2, v3, v2
	buffer_store_dword v2, v4, s[0:3], 0 offen
	s_cbranch_scc1 .LBB2110_110
; %bb.111:
	s_clause 0x3
	buffer_load_dword v2, off, s[0:3], 0 offset:96
	buffer_load_dword v3, off, s[0:3], 0 offset:100
	;; [unrolled: 1-line block ×4, first 2 shown]
.LBB2110_112:
	s_or_b32 exec_lo, exec_lo, s4
	v_and_b32_e32 v1, 1, v1
	v_and_b32_e32 v7, 1, v7
	v_cmp_eq_u32_e32 vcc_lo, 1, v1
	v_cmp_eq_u32_e64 s4, 1, v7
	s_or_b32 s4, vcc_lo, s4
	v_cndmask_b32_e64 v1, 0, 1, s4
	buffer_store_byte v1, off, s[0:3], 0 offset:192
	buffer_load_dword v1, off, s[0:3], 0 offset:192
	s_waitcnt vmcnt(4)
	buffer_store_dword v2, off, s[0:3], 0 offset:176
	s_waitcnt vmcnt(3)
	buffer_store_dword v3, off, s[0:3], 0 offset:180
	;; [unrolled: 2-line block ×4, first 2 shown]
.LBB2110_113:
	s_or_b32 exec_lo, exec_lo, s5
	v_mov_b32_dpp v8, v2 row_shr:8 row_mask:0xf bank_mask:0xf
	s_waitcnt vmcnt(0)
	v_mov_b32_dpp v7, v1 row_shr:8 row_mask:0xf bank_mask:0xf
	v_mov_b32_dpp v10, v3 row_shr:8 row_mask:0xf bank_mask:0xf
	;; [unrolled: 1-line block ×4, first 2 shown]
	s_mov_b32 s5, exec_lo
	buffer_store_dword v8, off, s[0:3], 0
	buffer_store_dword v10, off, s[0:3], 0 offset:4
	buffer_store_dword v11, off, s[0:3], 0 offset:8
	buffer_store_dword v12, off, s[0:3], 0 offset:12
	buffer_store_dword v7, off, s[0:3], 0 offset:16
	v_cmpx_lt_u32_e32 7, v6
	s_cbranch_execz .LBB2110_120
; %bb.114:
	v_mov_b32_e32 v6, 0
	s_mov_b32 s8, 0
	v_cmp_eq_u16_sdwa s9, v1, v6 src0_sel:BYTE_0 src1_sel:DWORD
	s_and_saveexec_b32 s4, s9
	s_cbranch_execz .LBB2110_119
.LBB2110_115:                           ; =>This Inner Loop Header: Depth=1
	v_add_nc_u32_e64 v2, 0x60, s8
	s_add_i32 s8, s8, 4
	s_cmp_lg_u32 s8, 16
	buffer_store_dword v6, v2, s[0:3], 0 offen
	s_cbranch_scc1 .LBB2110_115
; %bb.116:
	s_mov_b32 s8, 0
	.p2align	6
.LBB2110_117:                           ; =>This Inner Loop Header: Depth=1
	v_mov_b32_e32 v2, s8
	v_add_nc_u32_e64 v3, 0xb0, s8
	v_add_nc_u32_e64 v4, 0x60, s8
	s_add_i32 s8, s8, 4
	s_clause 0x1
	buffer_load_dword v2, v2, s[0:3], 0 offen
	buffer_load_dword v3, v3, s[0:3], 0 offen
	s_cmp_lg_u32 s8, 16
	s_waitcnt vmcnt(0)
	v_add_nc_u32_e32 v2, v3, v2
	buffer_store_dword v2, v4, s[0:3], 0 offen
	s_cbranch_scc1 .LBB2110_117
; %bb.118:
	s_clause 0x3
	buffer_load_dword v2, off, s[0:3], 0 offset:96
	buffer_load_dword v3, off, s[0:3], 0 offset:100
	;; [unrolled: 1-line block ×4, first 2 shown]
.LBB2110_119:
	s_or_b32 exec_lo, exec_lo, s4
	v_and_b32_e32 v1, 1, v1
	v_and_b32_e32 v6, 1, v7
	v_cmp_eq_u32_e32 vcc_lo, 1, v1
	v_cmp_eq_u32_e64 s4, 1, v6
	s_or_b32 s4, vcc_lo, s4
	v_cndmask_b32_e64 v1, 0, 1, s4
	buffer_store_byte v1, off, s[0:3], 0 offset:192
	buffer_load_dword v1, off, s[0:3], 0 offset:192
	s_waitcnt vmcnt(4)
	buffer_store_dword v2, off, s[0:3], 0 offset:176
	s_waitcnt vmcnt(3)
	buffer_store_dword v3, off, s[0:3], 0 offset:180
	;; [unrolled: 2-line block ×4, first 2 shown]
.LBB2110_120:
	s_or_b32 exec_lo, exec_lo, s5
	ds_swizzle_b32 v7, v2 offset:swizzle(BROADCAST,32,15)
	s_waitcnt vmcnt(0)
	ds_swizzle_b32 v6, v1 offset:swizzle(BROADCAST,32,15)
	ds_swizzle_b32 v8, v3 offset:swizzle(BROADCAST,32,15)
	;; [unrolled: 1-line block ×4, first 2 shown]
	v_and_b32_e32 v12, 16, v9
	s_mov_b32 s5, exec_lo
	s_waitcnt lgkmcnt(4)
	buffer_store_dword v7, off, s[0:3], 0
	s_waitcnt lgkmcnt(2)
	buffer_store_dword v8, off, s[0:3], 0 offset:4
	s_waitcnt lgkmcnt(1)
	buffer_store_dword v10, off, s[0:3], 0 offset:8
	;; [unrolled: 2-line block ×3, first 2 shown]
	buffer_store_dword v6, off, s[0:3], 0 offset:16
	v_cmpx_ne_u32_e32 0, v12
	s_cbranch_execz .LBB2110_127
; %bb.121:
	v_mov_b32_e32 v7, 0
	s_mov_b32 s8, 0
	v_cmp_eq_u16_sdwa s9, v1, v7 src0_sel:BYTE_0 src1_sel:DWORD
	s_and_saveexec_b32 s4, s9
	s_cbranch_execz .LBB2110_126
.LBB2110_122:                           ; =>This Inner Loop Header: Depth=1
	v_add_nc_u32_e64 v2, 0x60, s8
	s_add_i32 s8, s8, 4
	s_cmp_lg_u32 s8, 16
	buffer_store_dword v7, v2, s[0:3], 0 offen
	s_cbranch_scc1 .LBB2110_122
; %bb.123:
	s_mov_b32 s8, 0
	.p2align	6
.LBB2110_124:                           ; =>This Inner Loop Header: Depth=1
	v_mov_b32_e32 v2, s8
	v_add_nc_u32_e64 v3, 0xb0, s8
	v_add_nc_u32_e64 v4, 0x60, s8
	s_add_i32 s8, s8, 4
	s_clause 0x1
	buffer_load_dword v2, v2, s[0:3], 0 offen
	buffer_load_dword v3, v3, s[0:3], 0 offen
	s_cmp_lg_u32 s8, 16
	s_waitcnt vmcnt(0)
	v_add_nc_u32_e32 v2, v3, v2
	buffer_store_dword v2, v4, s[0:3], 0 offen
	s_cbranch_scc1 .LBB2110_124
; %bb.125:
	s_clause 0x3
	buffer_load_dword v2, off, s[0:3], 0 offset:96
	buffer_load_dword v3, off, s[0:3], 0 offset:100
	buffer_load_dword v4, off, s[0:3], 0 offset:104
	buffer_load_dword v5, off, s[0:3], 0 offset:108
.LBB2110_126:
	s_or_b32 exec_lo, exec_lo, s4
	v_and_b32_e32 v1, 1, v1
	v_and_b32_e32 v6, 1, v6
	v_cmp_eq_u32_e32 vcc_lo, 1, v1
	v_cmp_eq_u32_e64 s4, 1, v6
	s_or_b32 s4, vcc_lo, s4
	v_cndmask_b32_e64 v1, 0, 1, s4
	s_waitcnt vmcnt(3)
	buffer_store_dword v2, off, s[0:3], 0 offset:176
	s_waitcnt vmcnt(2)
	buffer_store_dword v3, off, s[0:3], 0 offset:180
	;; [unrolled: 2-line block ×4, first 2 shown]
	buffer_store_byte v1, off, s[0:3], 0 offset:192
.LBB2110_127:
	s_or_b32 exec_lo, exec_lo, s5
	v_or_b32_e32 v7, 31, v0
	v_lshrrev_b32_e32 v6, 5, v0
	s_mov_b32 s4, exec_lo
	v_cmpx_eq_u32_e64 v0, v7
	s_cbranch_execz .LBB2110_129
; %bb.128:
	v_mul_u32_u24_e32 v7, 20, v6
	ds_write2_b32 v7, v2, v3 offset1:1
	ds_write2_b32 v7, v4, v5 offset0:2 offset1:3
	ds_write_b8 v7, v1 offset:16
.LBB2110_129:
	s_or_b32 exec_lo, exec_lo, s4
	s_mov_b32 s5, exec_lo
	s_waitcnt lgkmcnt(0)
	s_waitcnt_vscnt null, 0x0
	s_barrier
	buffer_gl0_inv
	v_cmpx_gt_u32_e32 8, v0
	s_cbranch_execz .LBB2110_153
; %bb.130:
	v_mul_u32_u24_e32 v5, 20, v0
	v_and_b32_e32 v8, 7, v9
	s_mov_b32 s4, exec_lo
	ds_read_b32 v7, v5 offset:16
	ds_read2_b32 v[1:2], v5 offset0:2 offset1:3
	ds_read2_b32 v[3:4], v5 offset1:1
	s_waitcnt lgkmcnt(2)
	buffer_store_dword v7, off, s[0:3], 0 offset:112
	s_waitcnt lgkmcnt(1)
	buffer_store_dword v2, off, s[0:3], 0 offset:108
	buffer_store_dword v1, off, s[0:3], 0 offset:104
	s_waitcnt lgkmcnt(0)
	buffer_store_dword v4, off, s[0:3], 0 offset:100
	buffer_store_dword v3, off, s[0:3], 0 offset:96
	v_mov_b32_dpp v11, v3 row_shr:1 row_mask:0xf bank_mask:0xf
	v_mov_b32_dpp v10, v7 row_shr:1 row_mask:0xf bank_mask:0xf
	;; [unrolled: 1-line block ×5, first 2 shown]
	buffer_store_dword v11, off, s[0:3], 0
	buffer_store_dword v12, off, s[0:3], 0 offset:4
	buffer_store_dword v13, off, s[0:3], 0 offset:8
	;; [unrolled: 1-line block ×4, first 2 shown]
	v_cmpx_ne_u32_e32 0, v8
	s_cbranch_execz .LBB2110_138
; %bb.131:
	v_mov_b32_e32 v11, 0
	v_cmp_eq_u16_sdwa s9, v7, v11 src0_sel:BYTE_0 src1_sel:DWORD
	s_and_saveexec_b32 s8, s9
	s_cbranch_execz .LBB2110_137
; %bb.132:
	s_mov_b32 s9, 0
.LBB2110_133:                           ; =>This Inner Loop Header: Depth=1
	v_add_nc_u32_e64 v1, 0x74, s9
	s_add_i32 s9, s9, 4
	s_cmp_lg_u32 s9, 16
	buffer_store_dword v11, v1, s[0:3], 0 offen
	s_cbranch_scc1 .LBB2110_133
; %bb.134:
	s_mov_b32 s9, 0
	.p2align	6
.LBB2110_135:                           ; =>This Inner Loop Header: Depth=1
	v_mov_b32_e32 v1, s9
	v_add_nc_u32_e64 v2, 0x60, s9
	v_add_nc_u32_e64 v3, 0x74, s9
	s_add_i32 s9, s9, 4
	s_clause 0x1
	buffer_load_dword v1, v1, s[0:3], 0 offen
	buffer_load_dword v2, v2, s[0:3], 0 offen
	s_cmp_lg_u32 s9, 16
	s_waitcnt vmcnt(0)
	v_add_nc_u32_e32 v1, v2, v1
	buffer_store_dword v1, v3, s[0:3], 0 offen
	s_cbranch_scc1 .LBB2110_135
; %bb.136:
	s_clause 0x3
	buffer_load_dword v3, off, s[0:3], 0 offset:116
	buffer_load_dword v4, off, s[0:3], 0 offset:120
	;; [unrolled: 1-line block ×4, first 2 shown]
.LBB2110_137:
	s_or_b32 exec_lo, exec_lo, s8
	v_or_b32_e32 v7, v10, v7
	v_and_b32_e32 v7, 1, v7
	buffer_store_byte v7, off, s[0:3], 0 offset:112
	buffer_load_dword v7, off, s[0:3], 0 offset:112
	s_waitcnt vmcnt(4)
	buffer_store_dword v3, off, s[0:3], 0 offset:96
	s_waitcnt vmcnt(3)
	buffer_store_dword v4, off, s[0:3], 0 offset:100
	;; [unrolled: 2-line block ×4, first 2 shown]
.LBB2110_138:
	s_or_b32 exec_lo, exec_lo, s4
	v_mov_b32_dpp v11, v3 row_shr:2 row_mask:0xf bank_mask:0xf
	s_waitcnt vmcnt(0)
	v_mov_b32_dpp v10, v7 row_shr:2 row_mask:0xf bank_mask:0xf
	v_mov_b32_dpp v12, v4 row_shr:2 row_mask:0xf bank_mask:0xf
	;; [unrolled: 1-line block ×4, first 2 shown]
	s_mov_b32 s8, exec_lo
	buffer_store_dword v11, off, s[0:3], 0
	buffer_store_dword v12, off, s[0:3], 0 offset:4
	buffer_store_dword v13, off, s[0:3], 0 offset:8
	;; [unrolled: 1-line block ×4, first 2 shown]
	v_cmpx_lt_u32_e32 1, v8
	s_cbranch_execz .LBB2110_145
; %bb.139:
	v_mov_b32_e32 v11, 0
	s_mov_b32 s9, 0
	v_cmp_eq_u16_sdwa s10, v7, v11 src0_sel:BYTE_0 src1_sel:DWORD
	s_and_saveexec_b32 s4, s10
	s_cbranch_execz .LBB2110_144
.LBB2110_140:                           ; =>This Inner Loop Header: Depth=1
	v_add_nc_u32_e64 v1, 0x74, s9
	s_add_i32 s9, s9, 4
	s_cmp_lg_u32 s9, 16
	buffer_store_dword v11, v1, s[0:3], 0 offen
	s_cbranch_scc1 .LBB2110_140
; %bb.141:
	s_mov_b32 s9, 0
	.p2align	6
.LBB2110_142:                           ; =>This Inner Loop Header: Depth=1
	v_mov_b32_e32 v1, s9
	v_add_nc_u32_e64 v2, 0x60, s9
	v_add_nc_u32_e64 v3, 0x74, s9
	s_add_i32 s9, s9, 4
	s_clause 0x1
	buffer_load_dword v1, v1, s[0:3], 0 offen
	buffer_load_dword v2, v2, s[0:3], 0 offen
	s_cmp_lg_u32 s9, 16
	s_waitcnt vmcnt(0)
	v_add_nc_u32_e32 v1, v2, v1
	buffer_store_dword v1, v3, s[0:3], 0 offen
	s_cbranch_scc1 .LBB2110_142
; %bb.143:
	s_clause 0x3
	buffer_load_dword v3, off, s[0:3], 0 offset:116
	buffer_load_dword v4, off, s[0:3], 0 offset:120
	;; [unrolled: 1-line block ×4, first 2 shown]
.LBB2110_144:
	s_or_b32 exec_lo, exec_lo, s4
	v_and_b32_e32 v7, 1, v7
	v_and_b32_e32 v10, 1, v10
	v_cmp_eq_u32_e32 vcc_lo, 1, v7
	v_cmp_eq_u32_e64 s4, 1, v10
	s_or_b32 s4, vcc_lo, s4
	v_cndmask_b32_e64 v7, 0, 1, s4
	buffer_store_byte v7, off, s[0:3], 0 offset:112
	buffer_load_dword v7, off, s[0:3], 0 offset:112
	s_waitcnt vmcnt(4)
	buffer_store_dword v3, off, s[0:3], 0 offset:96
	s_waitcnt vmcnt(3)
	buffer_store_dword v4, off, s[0:3], 0 offset:100
	;; [unrolled: 2-line block ×4, first 2 shown]
.LBB2110_145:
	s_or_b32 exec_lo, exec_lo, s8
	v_mov_b32_dpp v11, v3 row_shr:4 row_mask:0xf bank_mask:0xf
	s_waitcnt vmcnt(0)
	v_mov_b32_dpp v10, v7 row_shr:4 row_mask:0xf bank_mask:0xf
	v_mov_b32_dpp v12, v4 row_shr:4 row_mask:0xf bank_mask:0xf
	;; [unrolled: 1-line block ×4, first 2 shown]
	s_mov_b32 s8, exec_lo
	buffer_store_dword v11, off, s[0:3], 0
	buffer_store_dword v12, off, s[0:3], 0 offset:4
	buffer_store_dword v13, off, s[0:3], 0 offset:8
	buffer_store_dword v14, off, s[0:3], 0 offset:12
	buffer_store_dword v10, off, s[0:3], 0 offset:16
	v_cmpx_lt_u32_e32 3, v8
	s_cbranch_execz .LBB2110_152
; %bb.146:
	v_mov_b32_e32 v8, 0
	s_mov_b32 s9, 0
	v_cmp_eq_u16_sdwa s10, v7, v8 src0_sel:BYTE_0 src1_sel:DWORD
	s_and_saveexec_b32 s4, s10
	s_cbranch_execz .LBB2110_151
.LBB2110_147:                           ; =>This Inner Loop Header: Depth=1
	v_add_nc_u32_e64 v1, 0x74, s9
	s_add_i32 s9, s9, 4
	s_cmp_lg_u32 s9, 16
	buffer_store_dword v8, v1, s[0:3], 0 offen
	s_cbranch_scc1 .LBB2110_147
; %bb.148:
	s_mov_b32 s9, 0
	.p2align	6
.LBB2110_149:                           ; =>This Inner Loop Header: Depth=1
	v_mov_b32_e32 v1, s9
	v_add_nc_u32_e64 v2, 0x60, s9
	v_add_nc_u32_e64 v3, 0x74, s9
	s_add_i32 s9, s9, 4
	s_clause 0x1
	buffer_load_dword v1, v1, s[0:3], 0 offen
	buffer_load_dword v2, v2, s[0:3], 0 offen
	s_cmp_lg_u32 s9, 16
	s_waitcnt vmcnt(0)
	v_add_nc_u32_e32 v1, v2, v1
	buffer_store_dword v1, v3, s[0:3], 0 offen
	s_cbranch_scc1 .LBB2110_149
; %bb.150:
	s_clause 0x3
	buffer_load_dword v3, off, s[0:3], 0 offset:116
	buffer_load_dword v4, off, s[0:3], 0 offset:120
	;; [unrolled: 1-line block ×4, first 2 shown]
.LBB2110_151:
	s_or_b32 exec_lo, exec_lo, s4
	v_and_b32_e32 v7, 1, v7
	v_and_b32_e32 v8, 1, v10
	s_waitcnt vmcnt(3)
	buffer_store_dword v3, off, s[0:3], 0 offset:96
	s_waitcnt vmcnt(2)
	buffer_store_dword v4, off, s[0:3], 0 offset:100
	;; [unrolled: 2-line block ×4, first 2 shown]
	v_cmp_eq_u32_e32 vcc_lo, 1, v7
	v_cmp_eq_u32_e64 s4, 1, v8
	s_or_b32 s4, vcc_lo, s4
	v_cndmask_b32_e64 v7, 0, 1, s4
.LBB2110_152:
	s_or_b32 exec_lo, exec_lo, s8
	s_clause 0x3
	buffer_load_dword v1, off, s[0:3], 0 offset:96
	buffer_load_dword v2, off, s[0:3], 0 offset:104
	buffer_load_dword v3, off, s[0:3], 0 offset:108
	buffer_load_dword v4, off, s[0:3], 0 offset:100
	s_waitcnt vmcnt(1)
	ds_write2_b32 v5, v2, v3 offset0:2 offset1:3
	s_waitcnt vmcnt(0)
	ds_write2_b32 v5, v1, v4 offset1:1
	ds_write_b8 v5, v7 offset:16
.LBB2110_153:
	s_or_b32 exec_lo, exec_lo, s5
	v_mov_b32_e32 v1, 0
	s_mov_b32 s4, 0
	s_waitcnt lgkmcnt(0)
	s_waitcnt_vscnt null, 0x0
	s_barrier
	buffer_gl0_inv
	buffer_store_dword v1, off, s[0:3], 0 offset:12
	buffer_store_dword v1, off, s[0:3], 0 offset:8
	;; [unrolled: 1-line block ×3, first 2 shown]
	buffer_store_dword v1, off, s[0:3], 0
	buffer_store_dword v1, off, s[0:3], 0 offset:16
.LBB2110_154:                           ; =>This Inner Loop Header: Depth=1
	v_mov_b32_e32 v2, s4
	s_add_i32 s4, s4, 4
	s_cmp_lg_u32 s4, 16
	buffer_store_dword v1, v2, s[0:3], 0 offen
	s_cbranch_scc1 .LBB2110_154
; %bb.155:
	s_mov_b32 s5, exec_lo
	v_cmp_gt_u32_e32 vcc_lo, 32, v0
                                        ; implicit-def: $vgpr2
                                        ; implicit-def: $vgpr3
                                        ; implicit-def: $vgpr5
                                        ; implicit-def: $vgpr4
                                        ; implicit-def: $vgpr1
	v_cmpx_lt_u32_e32 31, v0
	s_xor_b32 s5, exec_lo, s5
	s_cbranch_execz .LBB2110_165
; %bb.156:
	buffer_load_ubyte v7, off, s[0:3], 0 offset:192
	v_mad_u32_u24 v4, v6, 20, 0xffffffec
	v_mad_u32_u24 v1, v6, 20, -4
	ds_read2_b32 v[2:3], v4 offset0:2 offset1:3
	ds_read_u8 v1, v1
	ds_read2_b32 v[4:5], v4 offset1:1
	s_waitcnt lgkmcnt(2)
	buffer_store_dword v3, off, s[0:3], 0 offset:12
	buffer_store_dword v2, off, s[0:3], 0 offset:8
	s_waitcnt lgkmcnt(0)
	buffer_store_dword v5, off, s[0:3], 0 offset:4
	buffer_store_dword v4, off, s[0:3], 0
                                        ; implicit-def: $vgpr4
                                        ; implicit-def: $vgpr2
                                        ; implicit-def: $vgpr3
                                        ; implicit-def: $vgpr5
	s_waitcnt vmcnt(0)
	v_cmp_ne_u16_e64 s4, 0, v7
	s_and_saveexec_b32 s8, s4
	s_xor_b32 s4, exec_lo, s8
	s_cbranch_execz .LBB2110_158
; %bb.157:
	s_clause 0x3
	buffer_load_dword v2, off, s[0:3], 0 offset:176
	buffer_load_dword v3, off, s[0:3], 0 offset:180
	;; [unrolled: 1-line block ×4, first 2 shown]
.LBB2110_158:
	s_andn2_saveexec_b32 s4, s4
	s_cbranch_execz .LBB2110_164
; %bb.159:
	s_waitcnt vmcnt(3)
	v_mov_b32_e32 v2, 0
	s_mov_b32 s8, 0
.LBB2110_160:                           ; =>This Inner Loop Header: Depth=1
	s_waitcnt vmcnt(2)
	v_add_nc_u32_e64 v3, 0x60, s8
	s_add_i32 s8, s8, 4
	s_cmp_lg_u32 s8, 16
	buffer_store_dword v2, v3, s[0:3], 0 offen
	s_cbranch_scc1 .LBB2110_160
; %bb.161:
	s_mov_b32 s8, 0
	.p2align	6
.LBB2110_162:                           ; =>This Inner Loop Header: Depth=1
	v_mov_b32_e32 v2, s8
	v_add_nc_u32_e64 v3, 0xb0, s8
	s_waitcnt vmcnt(0)
	v_add_nc_u32_e64 v4, 0x60, s8
	s_add_i32 s8, s8, 4
	s_clause 0x1
	buffer_load_dword v2, v2, s[0:3], 0 offen
	buffer_load_dword v3, v3, s[0:3], 0 offen
	s_cmp_lg_u32 s8, 16
	s_waitcnt vmcnt(0)
	v_add_nc_u32_e32 v2, v3, v2
	buffer_store_dword v2, v4, s[0:3], 0 offen
	s_cbranch_scc1 .LBB2110_162
; %bb.163:
	s_clause 0x3
	buffer_load_dword v2, off, s[0:3], 0 offset:96
	buffer_load_dword v3, off, s[0:3], 0 offset:100
	;; [unrolled: 1-line block ×4, first 2 shown]
.LBB2110_164:
	s_or_b32 exec_lo, exec_lo, s4
	v_or_b32_e32 v6, v7, v1
	buffer_store_byte v6, off, s[0:3], 0 offset:192
.LBB2110_165:
	s_andn2_saveexec_b32 s4, s5
	s_cbranch_execz .LBB2110_167
; %bb.166:
	s_clause 0x3
	buffer_load_dword v2, off, s[0:3], 0 offset:176
	buffer_load_dword v3, off, s[0:3], 0 offset:180
	;; [unrolled: 1-line block ×4, first 2 shown]
	v_mov_b32_e32 v1, 0
.LBB2110_167:
	s_or_b32 exec_lo, exec_lo, s4
	buffer_load_dword v6, off, s[0:3], 0 offset:192
	v_sub_co_u32 v7, s8, v9, 1
	v_cmp_gt_i32_e64 s4, 0, v7
	v_cndmask_b32_e64 v7, v7, v9, s4
	v_lshlrev_b32_e32 v7, 2, v7
	s_waitcnt vmcnt(4)
	ds_bpermute_b32 v2, v7, v2
	s_waitcnt vmcnt(3)
	ds_bpermute_b32 v3, v7, v3
	;; [unrolled: 2-line block ×5, first 2 shown]
	s_waitcnt lgkmcnt(4)
	buffer_store_dword v2, off, s[0:3], 0 offset:176
	s_waitcnt lgkmcnt(3)
	buffer_store_dword v3, off, s[0:3], 0 offset:180
	;; [unrolled: 2-line block ×4, first 2 shown]
	s_waitcnt lgkmcnt(0)
	buffer_store_byte v6, off, s[0:3], 0 offset:192
	s_and_saveexec_b32 s4, s8
	s_cbranch_execz .LBB2110_169
; %bb.168:
	s_clause 0x3
	buffer_load_dword v2, off, s[0:3], 0 offset:12
	buffer_load_dword v3, off, s[0:3], 0 offset:8
	;; [unrolled: 1-line block ×3, first 2 shown]
	buffer_load_dword v5, off, s[0:3], 0
	s_waitcnt vmcnt(3)
	buffer_store_dword v2, off, s[0:3], 0 offset:188
	s_waitcnt vmcnt(2)
	buffer_store_dword v3, off, s[0:3], 0 offset:184
	;; [unrolled: 2-line block ×4, first 2 shown]
	buffer_store_byte v1, off, s[0:3], 0 offset:192
.LBB2110_169:
	s_or_b32 exec_lo, exec_lo, s4
	s_and_saveexec_b32 s5, vcc_lo
	s_cbranch_execz .LBB2110_291
; %bb.170:
	v_mov_b32_e32 v5, 0
	ds_read2_b32 v[1:2], v5 offset0:35 offset1:36
	ds_read2_b32 v[3:4], v5 offset0:37 offset1:38
	ds_read_b32 v10, v5 offset:156
	s_waitcnt lgkmcnt(2)
	buffer_store_dword v1, off, s[0:3], 0 offset:156
	buffer_store_dword v2, off, s[0:3], 0 offset:160
	s_waitcnt lgkmcnt(1)
	buffer_store_dword v3, off, s[0:3], 0 offset:164
	buffer_store_dword v4, off, s[0:3], 0 offset:168
	s_waitcnt lgkmcnt(0)
	buffer_store_dword v10, off, s[0:3], 0 offset:172
	s_and_saveexec_b32 s4, s8
	s_cbranch_execz .LBB2110_172
; %bb.171:
	s_add_i32 s9, s41, 32
	v_mov_b32_e32 v6, 1
	s_mul_i32 s10, s9, 20
	v_mov_b32_e32 v7, s9
	s_mul_hi_u32 s25, s9, 20
	s_add_u32 s24, s12, s10
	s_addc_u32 s25, s13, s25
	global_store_dwordx4 v5, v[1:4], s[24:25]
	global_store_byte v5, v10, s[24:25] offset:16
	s_waitcnt_vscnt null, 0x0
	buffer_gl1_inv
	buffer_gl0_inv
	global_store_byte v7, v6, s[16:17]
.LBB2110_172:
	s_or_b32 exec_lo, exec_lo, s4
	s_mov_b32 s4, 0
	buffer_store_dword v5, off, s[0:3], 0 offset:148
	buffer_store_dword v5, off, s[0:3], 0 offset:144
	;; [unrolled: 1-line block ×5, first 2 shown]
.LBB2110_173:                           ; =>This Inner Loop Header: Depth=1
	v_add_nc_u32_e64 v6, 0x88, s4
	s_add_i32 s4, s4, 4
	s_cmp_lg_u32 s4, 16
	buffer_store_dword v5, v6, s[0:3], 0 offen
	s_cbranch_scc1 .LBB2110_173
; %bb.174:
	v_mov_b32_e32 v5, 0
	s_mov_b32 s4, 0
	buffer_store_byte v5, off, s[0:3], 0 offset:152
	buffer_store_dword v5, off, s[0:3], 0 offset:108
	buffer_store_dword v5, off, s[0:3], 0 offset:104
	buffer_store_dword v5, off, s[0:3], 0 offset:100
	buffer_store_dword v5, off, s[0:3], 0 offset:96
	buffer_store_dword v5, off, s[0:3], 0 offset:112
.LBB2110_175:                           ; =>This Inner Loop Header: Depth=1
	v_add_nc_u32_e64 v6, 0x60, s4
	s_add_i32 s4, s4, 4
	s_cmp_lg_u32 s4, 16
	buffer_store_dword v5, v6, s[0:3], 0 offen
	s_cbranch_scc1 .LBB2110_175
; %bb.176:
	v_xad_u32 v11, v9, -1, s41
	v_mov_b32_e32 v5, 0
	s_mov_b32 s4, exec_lo
	v_add_nc_u32_e32 v7, 32, v11
	buffer_store_byte v5, off, s[0:3], 0 offset:112
	global_load_ubyte v12, v7, s[16:17] glc dlc
	s_waitcnt vmcnt(0)
	v_cmpx_eq_u16_e32 0, v12
	s_cbranch_execz .LBB2110_180
; %bb.177:
	v_add_co_u32 v5, s9, s16, v7
	v_add_co_ci_u32_e64 v6, null, s17, 0, s9
	s_mov_b32 s9, 0
.LBB2110_178:                           ; =>This Inner Loop Header: Depth=1
	global_load_ubyte v12, v[5:6], off glc dlc
	s_waitcnt vmcnt(0)
	v_cmp_ne_u16_e32 vcc_lo, 0, v12
	s_or_b32 s9, vcc_lo, s9
	s_andn2_b32 exec_lo, exec_lo, s9
	s_cbranch_execnz .LBB2110_178
; %bb.179:
	s_or_b32 exec_lo, exec_lo, s9
.LBB2110_180:
	s_or_b32 exec_lo, exec_lo, s4
	v_mov_b32_e32 v5, s13
	v_mov_b32_e32 v8, s12
	v_cmp_eq_u16_e32 vcc_lo, 1, v12
	s_waitcnt_vscnt null, 0x0
	buffer_gl1_inv
	buffer_gl0_inv
	s_mov_b32 s4, 0
	v_cndmask_b32_e32 v6, s15, v5, vcc_lo
	v_cndmask_b32_e32 v5, s14, v8, vcc_lo
	v_mad_u64_u32 v[13:14], null, v7, 20, v[5:6]
	s_clause 0x1
	global_load_dwordx4 v[5:8], v[13:14], off
	global_load_ubyte v14, v[13:14], off offset:16
	v_mov_b32_e32 v13, 0
	s_waitcnt vmcnt(1)
	buffer_store_dword v6, off, s[0:3], 0 offset:100
	buffer_store_dword v5, off, s[0:3], 0 offset:96
	;; [unrolled: 1-line block ×8, first 2 shown]
	s_waitcnt vmcnt(0)
	buffer_store_byte v14, off, s[0:3], 0 offset:152
	buffer_store_dword v13, off, s[0:3], 0 offset:16
.LBB2110_181:                           ; =>This Inner Loop Header: Depth=1
	v_mov_b32_e32 v14, s4
	s_add_i32 s4, s4, 4
	s_cmp_lg_u32 s4, 16
	buffer_store_dword v13, v14, s[0:3], 0 offen
	s_cbranch_scc1 .LBB2110_181
; %bb.182:
	buffer_load_dword v23, off, s[0:3], 0 offset:152
	v_cmp_ne_u32_e32 vcc_lo, 31, v9
	v_lshlrev_b32_e64 v14, v9, -1
	s_mov_b32 s4, exec_lo
	v_add_co_ci_u32_e64 v13, null, 0, v9, vcc_lo
	v_cmp_eq_u16_e32 vcc_lo, 2, v12
	v_lshlrev_b32_e32 v13, 2, v13
	v_and_or_b32 v20, vcc_lo, v14, 0x80000000
	ds_bpermute_b32 v16, v13, v5
	ds_bpermute_b32 v17, v13, v6
	;; [unrolled: 1-line block ×4, first 2 shown]
	v_ffbl_b32_e32 v24, v20
	s_waitcnt lgkmcnt(3)
	buffer_store_dword v16, off, s[0:3], 0
	s_waitcnt lgkmcnt(2)
	buffer_store_dword v17, off, s[0:3], 0 offset:4
	s_waitcnt lgkmcnt(1)
	buffer_store_dword v18, off, s[0:3], 0 offset:8
	;; [unrolled: 2-line block ×3, first 2 shown]
	s_waitcnt vmcnt(0)
	ds_bpermute_b32 v15, v13, v23
	v_cmpx_lt_u32_e64 v9, v24
	s_cbranch_execz .LBB2110_190
; %bb.183:
	v_mov_b32_e32 v16, 0
	v_cmp_eq_u16_sdwa s10, v23, v16 src0_sel:BYTE_0 src1_sel:DWORD
	s_and_saveexec_b32 s9, s10
	s_cbranch_execz .LBB2110_189
; %bb.184:
	s_mov_b32 s10, 0
.LBB2110_185:                           ; =>This Inner Loop Header: Depth=1
	v_add_nc_u32_e64 v5, 0x74, s10
	s_add_i32 s10, s10, 4
	s_cmp_lg_u32 s10, 16
	buffer_store_dword v16, v5, s[0:3], 0 offen
	s_cbranch_scc1 .LBB2110_185
; %bb.186:
	s_mov_b32 s10, 0
	.p2align	6
.LBB2110_187:                           ; =>This Inner Loop Header: Depth=1
	v_mov_b32_e32 v5, s10
	v_add_nc_u32_e64 v6, 0x88, s10
	v_add_nc_u32_e64 v7, 0x74, s10
	s_add_i32 s10, s10, 4
	s_clause 0x1
	buffer_load_dword v5, v5, s[0:3], 0 offen
	buffer_load_dword v6, v6, s[0:3], 0 offen
	s_cmp_lg_u32 s10, 16
	s_waitcnt vmcnt(0)
	v_add_nc_u32_e32 v5, v6, v5
	buffer_store_dword v5, v7, s[0:3], 0 offen
	s_cbranch_scc1 .LBB2110_187
; %bb.188:
	s_clause 0x3
	buffer_load_dword v5, off, s[0:3], 0 offset:116
	buffer_load_dword v6, off, s[0:3], 0 offset:120
	buffer_load_dword v7, off, s[0:3], 0 offset:124
	buffer_load_dword v8, off, s[0:3], 0 offset:128
.LBB2110_189:
	s_or_b32 exec_lo, exec_lo, s9
	s_waitcnt lgkmcnt(0)
	v_or_b32_e32 v15, v15, v23
	v_and_b32_e32 v15, 1, v15
	buffer_store_byte v15, off, s[0:3], 0 offset:152
	buffer_load_dword v23, off, s[0:3], 0 offset:152
	s_waitcnt vmcnt(4)
	buffer_store_dword v5, off, s[0:3], 0 offset:136
	s_waitcnt vmcnt(3)
	buffer_store_dword v6, off, s[0:3], 0 offset:140
	;; [unrolled: 2-line block ×4, first 2 shown]
.LBB2110_190:
	s_or_b32 exec_lo, exec_lo, s4
	v_cmp_gt_u32_e32 vcc_lo, 30, v9
	v_add_nc_u32_e32 v16, 2, v9
	s_mov_b32 s9, exec_lo
	s_waitcnt lgkmcnt(0)
	v_cndmask_b32_e64 v15, 0, 2, vcc_lo
	v_add_lshl_u32 v15, v15, v9, 2
	ds_bpermute_b32 v18, v15, v5
	s_waitcnt vmcnt(0)
	ds_bpermute_b32 v17, v15, v23
	ds_bpermute_b32 v19, v15, v6
	;; [unrolled: 1-line block ×4, first 2 shown]
	s_waitcnt lgkmcnt(4)
	buffer_store_dword v18, off, s[0:3], 0
	s_waitcnt lgkmcnt(2)
	buffer_store_dword v19, off, s[0:3], 0 offset:4
	s_waitcnt lgkmcnt(1)
	buffer_store_dword v20, off, s[0:3], 0 offset:8
	;; [unrolled: 2-line block ×3, first 2 shown]
	v_cmpx_le_u32_e64 v16, v24
	s_cbranch_execz .LBB2110_198
; %bb.191:
	v_mov_b32_e32 v18, 0
	v_cmp_eq_u16_sdwa s10, v23, v18 src0_sel:BYTE_0 src1_sel:DWORD
	s_and_saveexec_b32 s4, s10
	s_cbranch_execz .LBB2110_197
; %bb.192:
	s_mov_b32 s10, 0
.LBB2110_193:                           ; =>This Inner Loop Header: Depth=1
	v_add_nc_u32_e64 v5, 0x74, s10
	s_add_i32 s10, s10, 4
	s_cmp_lg_u32 s10, 16
	buffer_store_dword v18, v5, s[0:3], 0 offen
	s_cbranch_scc1 .LBB2110_193
; %bb.194:
	s_mov_b32 s10, 0
	.p2align	6
.LBB2110_195:                           ; =>This Inner Loop Header: Depth=1
	v_mov_b32_e32 v5, s10
	v_add_nc_u32_e64 v6, 0x88, s10
	v_add_nc_u32_e64 v7, 0x74, s10
	s_add_i32 s10, s10, 4
	s_clause 0x1
	buffer_load_dword v5, v5, s[0:3], 0 offen
	buffer_load_dword v6, v6, s[0:3], 0 offen
	s_cmp_lg_u32 s10, 16
	s_waitcnt vmcnt(0)
	v_add_nc_u32_e32 v5, v6, v5
	buffer_store_dword v5, v7, s[0:3], 0 offen
	s_cbranch_scc1 .LBB2110_195
; %bb.196:
	s_clause 0x3
	buffer_load_dword v5, off, s[0:3], 0 offset:116
	buffer_load_dword v6, off, s[0:3], 0 offset:120
	;; [unrolled: 1-line block ×4, first 2 shown]
.LBB2110_197:
	s_or_b32 exec_lo, exec_lo, s4
	v_and_b32_e32 v18, 1, v23
	v_and_b32_e32 v17, 1, v17
	v_cmp_eq_u32_e32 vcc_lo, 1, v18
	v_cmp_eq_u32_e64 s4, 1, v17
	s_or_b32 s4, vcc_lo, s4
	v_cndmask_b32_e64 v17, 0, 1, s4
	buffer_store_byte v17, off, s[0:3], 0 offset:152
	buffer_load_dword v23, off, s[0:3], 0 offset:152
	s_waitcnt vmcnt(4)
	buffer_store_dword v5, off, s[0:3], 0 offset:136
	s_waitcnt vmcnt(3)
	buffer_store_dword v6, off, s[0:3], 0 offset:140
	;; [unrolled: 2-line block ×4, first 2 shown]
.LBB2110_198:
	s_or_b32 exec_lo, exec_lo, s9
	v_cmp_gt_u32_e32 vcc_lo, 28, v9
	v_add_nc_u32_e32 v18, 4, v9
	s_mov_b32 s9, exec_lo
	v_cndmask_b32_e64 v17, 0, 4, vcc_lo
	v_add_lshl_u32 v17, v17, v9, 2
	ds_bpermute_b32 v20, v17, v5
	s_waitcnt vmcnt(0)
	ds_bpermute_b32 v19, v17, v23
	ds_bpermute_b32 v21, v17, v6
	;; [unrolled: 1-line block ×4, first 2 shown]
	s_waitcnt lgkmcnt(4)
	buffer_store_dword v20, off, s[0:3], 0
	s_waitcnt lgkmcnt(2)
	buffer_store_dword v21, off, s[0:3], 0 offset:4
	s_waitcnt lgkmcnt(1)
	buffer_store_dword v22, off, s[0:3], 0 offset:8
	;; [unrolled: 2-line block ×3, first 2 shown]
	v_cmpx_le_u32_e64 v18, v24
	s_cbranch_execz .LBB2110_206
; %bb.199:
	v_mov_b32_e32 v20, 0
	v_cmp_eq_u16_sdwa s10, v23, v20 src0_sel:BYTE_0 src1_sel:DWORD
	s_and_saveexec_b32 s4, s10
	s_cbranch_execz .LBB2110_205
; %bb.200:
	s_mov_b32 s10, 0
.LBB2110_201:                           ; =>This Inner Loop Header: Depth=1
	v_add_nc_u32_e64 v5, 0x74, s10
	s_add_i32 s10, s10, 4
	s_cmp_lg_u32 s10, 16
	buffer_store_dword v20, v5, s[0:3], 0 offen
	s_cbranch_scc1 .LBB2110_201
; %bb.202:
	s_mov_b32 s10, 0
	.p2align	6
.LBB2110_203:                           ; =>This Inner Loop Header: Depth=1
	v_mov_b32_e32 v5, s10
	v_add_nc_u32_e64 v6, 0x88, s10
	v_add_nc_u32_e64 v7, 0x74, s10
	s_add_i32 s10, s10, 4
	s_clause 0x1
	buffer_load_dword v5, v5, s[0:3], 0 offen
	buffer_load_dword v6, v6, s[0:3], 0 offen
	s_cmp_lg_u32 s10, 16
	s_waitcnt vmcnt(0)
	v_add_nc_u32_e32 v5, v6, v5
	buffer_store_dword v5, v7, s[0:3], 0 offen
	s_cbranch_scc1 .LBB2110_203
; %bb.204:
	s_clause 0x3
	buffer_load_dword v5, off, s[0:3], 0 offset:116
	buffer_load_dword v6, off, s[0:3], 0 offset:120
	;; [unrolled: 1-line block ×4, first 2 shown]
.LBB2110_205:
	s_or_b32 exec_lo, exec_lo, s4
	v_and_b32_e32 v20, 1, v23
	v_and_b32_e32 v19, 1, v19
	v_cmp_eq_u32_e32 vcc_lo, 1, v20
	v_cmp_eq_u32_e64 s4, 1, v19
	s_or_b32 s4, vcc_lo, s4
	v_cndmask_b32_e64 v19, 0, 1, s4
	buffer_store_byte v19, off, s[0:3], 0 offset:152
	buffer_load_dword v23, off, s[0:3], 0 offset:152
	s_waitcnt vmcnt(4)
	buffer_store_dword v5, off, s[0:3], 0 offset:136
	s_waitcnt vmcnt(3)
	buffer_store_dword v6, off, s[0:3], 0 offset:140
	;; [unrolled: 2-line block ×4, first 2 shown]
.LBB2110_206:
	s_or_b32 exec_lo, exec_lo, s9
	v_cmp_gt_u32_e32 vcc_lo, 24, v9
	v_add_nc_u32_e32 v20, 8, v9
	s_mov_b32 s9, exec_lo
	v_cndmask_b32_e64 v19, 0, 8, vcc_lo
	v_add_lshl_u32 v19, v19, v9, 2
	ds_bpermute_b32 v22, v19, v5
	s_waitcnt vmcnt(0)
	ds_bpermute_b32 v21, v19, v23
	ds_bpermute_b32 v25, v19, v6
	;; [unrolled: 1-line block ×4, first 2 shown]
	s_waitcnt lgkmcnt(4)
	buffer_store_dword v22, off, s[0:3], 0
	s_waitcnt lgkmcnt(2)
	buffer_store_dword v25, off, s[0:3], 0 offset:4
	s_waitcnt lgkmcnt(1)
	buffer_store_dword v26, off, s[0:3], 0 offset:8
	;; [unrolled: 2-line block ×3, first 2 shown]
	v_cmpx_le_u32_e64 v20, v24
	s_cbranch_execz .LBB2110_214
; %bb.207:
	v_mov_b32_e32 v22, 0
	v_cmp_eq_u16_sdwa s10, v23, v22 src0_sel:BYTE_0 src1_sel:DWORD
	s_and_saveexec_b32 s4, s10
	s_cbranch_execz .LBB2110_213
; %bb.208:
	s_mov_b32 s10, 0
.LBB2110_209:                           ; =>This Inner Loop Header: Depth=1
	v_add_nc_u32_e64 v5, 0x74, s10
	s_add_i32 s10, s10, 4
	s_cmp_lg_u32 s10, 16
	buffer_store_dword v22, v5, s[0:3], 0 offen
	s_cbranch_scc1 .LBB2110_209
; %bb.210:
	s_mov_b32 s10, 0
	.p2align	6
.LBB2110_211:                           ; =>This Inner Loop Header: Depth=1
	v_mov_b32_e32 v5, s10
	v_add_nc_u32_e64 v6, 0x88, s10
	v_add_nc_u32_e64 v7, 0x74, s10
	s_add_i32 s10, s10, 4
	s_clause 0x1
	buffer_load_dword v5, v5, s[0:3], 0 offen
	buffer_load_dword v6, v6, s[0:3], 0 offen
	s_cmp_lg_u32 s10, 16
	s_waitcnt vmcnt(0)
	v_add_nc_u32_e32 v5, v6, v5
	buffer_store_dword v5, v7, s[0:3], 0 offen
	s_cbranch_scc1 .LBB2110_211
; %bb.212:
	s_clause 0x3
	buffer_load_dword v5, off, s[0:3], 0 offset:116
	buffer_load_dword v6, off, s[0:3], 0 offset:120
	;; [unrolled: 1-line block ×4, first 2 shown]
.LBB2110_213:
	s_or_b32 exec_lo, exec_lo, s4
	v_and_b32_e32 v22, 1, v23
	v_and_b32_e32 v21, 1, v21
	v_cmp_eq_u32_e32 vcc_lo, 1, v22
	v_cmp_eq_u32_e64 s4, 1, v21
	s_or_b32 s4, vcc_lo, s4
	v_cndmask_b32_e64 v21, 0, 1, s4
	buffer_store_byte v21, off, s[0:3], 0 offset:152
	buffer_load_dword v23, off, s[0:3], 0 offset:152
	s_waitcnt vmcnt(4)
	buffer_store_dword v5, off, s[0:3], 0 offset:136
	s_waitcnt vmcnt(3)
	buffer_store_dword v6, off, s[0:3], 0 offset:140
	;; [unrolled: 2-line block ×4, first 2 shown]
.LBB2110_214:
	s_or_b32 exec_lo, exec_lo, s9
	v_lshl_or_b32 v21, v9, 2, 64
	v_add_nc_u32_e32 v22, 16, v9
	s_mov_b32 s9, exec_lo
	ds_bpermute_b32 v26, v21, v5
	s_waitcnt vmcnt(0)
	ds_bpermute_b32 v25, v21, v23
	ds_bpermute_b32 v27, v21, v6
	;; [unrolled: 1-line block ×4, first 2 shown]
	s_waitcnt lgkmcnt(4)
	buffer_store_dword v26, off, s[0:3], 0
	s_waitcnt lgkmcnt(2)
	buffer_store_dword v27, off, s[0:3], 0 offset:4
	s_waitcnt lgkmcnt(1)
	buffer_store_dword v28, off, s[0:3], 0 offset:8
	;; [unrolled: 2-line block ×3, first 2 shown]
	v_cmpx_le_u32_e64 v22, v24
	s_cbranch_execz .LBB2110_221
; %bb.215:
	v_mov_b32_e32 v24, 0
	s_mov_b32 s10, 0
	v_cmp_eq_u16_sdwa s24, v23, v24 src0_sel:BYTE_0 src1_sel:DWORD
	s_and_saveexec_b32 s4, s24
	s_cbranch_execz .LBB2110_220
.LBB2110_216:                           ; =>This Inner Loop Header: Depth=1
	v_add_nc_u32_e64 v5, 0x74, s10
	s_add_i32 s10, s10, 4
	s_cmp_lg_u32 s10, 16
	buffer_store_dword v24, v5, s[0:3], 0 offen
	s_cbranch_scc1 .LBB2110_216
; %bb.217:
	s_mov_b32 s10, 0
	.p2align	6
.LBB2110_218:                           ; =>This Inner Loop Header: Depth=1
	v_mov_b32_e32 v5, s10
	v_add_nc_u32_e64 v6, 0x88, s10
	v_add_nc_u32_e64 v7, 0x74, s10
	s_add_i32 s10, s10, 4
	s_clause 0x1
	buffer_load_dword v5, v5, s[0:3], 0 offen
	buffer_load_dword v6, v6, s[0:3], 0 offen
	s_cmp_lg_u32 s10, 16
	s_waitcnt vmcnt(0)
	v_add_nc_u32_e32 v5, v6, v5
	buffer_store_dword v5, v7, s[0:3], 0 offen
	s_cbranch_scc1 .LBB2110_218
; %bb.219:
	s_clause 0x3
	buffer_load_dword v5, off, s[0:3], 0 offset:116
	buffer_load_dword v6, off, s[0:3], 0 offset:120
	;; [unrolled: 1-line block ×4, first 2 shown]
.LBB2110_220:
	s_or_b32 exec_lo, exec_lo, s4
	v_and_b32_e32 v23, 1, v23
	v_and_b32_e32 v24, 1, v25
	v_cmp_eq_u32_e32 vcc_lo, 1, v23
	v_cmp_eq_u32_e64 s4, 1, v24
	s_or_b32 s4, vcc_lo, s4
	v_cndmask_b32_e64 v23, 0, 1, s4
	s_waitcnt vmcnt(3)
	buffer_store_dword v5, off, s[0:3], 0 offset:136
	s_waitcnt vmcnt(2)
	buffer_store_dword v6, off, s[0:3], 0 offset:140
	;; [unrolled: 2-line block ×4, first 2 shown]
	buffer_store_byte v23, off, s[0:3], 0 offset:152
.LBB2110_221:
	s_or_b32 exec_lo, exec_lo, s9
	s_clause 0x4
	buffer_load_dword v5, off, s[0:3], 0 offset:148
	buffer_load_dword v6, off, s[0:3], 0 offset:144
	buffer_load_dword v7, off, s[0:3], 0 offset:140
	buffer_load_dword v8, off, s[0:3], 0 offset:136
	buffer_load_dword v25, off, s[0:3], 0 offset:152
	v_mov_b32_e32 v23, 0
	v_mov_b32_e32 v24, 2
	s_waitcnt vmcnt(4)
	buffer_store_dword v5, off, s[0:3], 0 offset:128
	s_waitcnt vmcnt(3)
	buffer_store_dword v6, off, s[0:3], 0 offset:124
	s_waitcnt vmcnt(2)
	buffer_store_dword v7, off, s[0:3], 0 offset:120
	s_waitcnt vmcnt(1)
	buffer_store_dword v8, off, s[0:3], 0 offset:116
	s_waitcnt vmcnt(0)
	buffer_store_dword v25, off, s[0:3], 0 offset:132
	s_branch .LBB2110_225
.LBB2110_222:                           ;   in Loop: Header=BB2110_225 Depth=1
	s_clause 0x3
	buffer_load_dword v6, off, s[0:3], 0
	buffer_load_dword v8, off, s[0:3], 0 offset:4
	buffer_load_dword v25, off, s[0:3], 0 offset:8
	;; [unrolled: 1-line block ×3, first 2 shown]
.LBB2110_223:                           ;   in Loop: Header=BB2110_225 Depth=1
	s_or_b32 exec_lo, exec_lo, s9
	v_and_b32_e32 v5, 1, v5
	v_subrev_nc_u32_e32 v11, 32, v11
	s_waitcnt vmcnt(3)
	buffer_store_dword v6, off, s[0:3], 0 offset:116
	s_waitcnt vmcnt(2)
	buffer_store_dword v8, off, s[0:3], 0 offset:120
	;; [unrolled: 2-line block ×4, first 2 shown]
	v_cmp_eq_u32_e32 vcc_lo, 1, v5
	s_or_b32 s4, vcc_lo, s4
	v_cndmask_b32_e64 v5, 0, 1, s4
	s_mov_b32 s4, 0
	buffer_store_byte v5, off, s[0:3], 0 offset:132
.LBB2110_224:                           ;   in Loop: Header=BB2110_225 Depth=1
	s_and_b32 vcc_lo, exec_lo, s4
	s_cbranch_vccnz .LBB2110_282
.LBB2110_225:                           ; =>This Loop Header: Depth=1
                                        ;     Child Loop BB2110_227 Depth 2
                                        ;     Child Loop BB2110_230 Depth 2
	;; [unrolled: 1-line block ×15, first 2 shown]
	v_cmp_ne_u16_sdwa s4, v12, v24 src0_sel:BYTE_0 src1_sel:DWORD
                                        ; implicit-def: $vgpr12
	s_cmp_lg_u32 s4, exec_lo
	s_mov_b32 s4, -1
	s_cbranch_scc1 .LBB2110_224
; %bb.226:                              ;   in Loop: Header=BB2110_225 Depth=1
	s_mov_b32 s4, 0
	buffer_store_dword v23, off, s[0:3], 0 offset:108
	buffer_store_dword v23, off, s[0:3], 0 offset:104
	;; [unrolled: 1-line block ×5, first 2 shown]
.LBB2110_227:                           ;   Parent Loop BB2110_225 Depth=1
                                        ; =>  This Inner Loop Header: Depth=2
	v_add_nc_u32_e64 v5, 0x60, s4
	s_add_i32 s4, s4, 4
	s_cmp_lg_u32 s4, 16
	buffer_store_dword v23, v5, s[0:3], 0 offen
	s_cbranch_scc1 .LBB2110_227
; %bb.228:                              ;   in Loop: Header=BB2110_225 Depth=1
	buffer_store_byte v23, off, s[0:3], 0 offset:112
	global_load_ubyte v12, v11, s[16:17] glc dlc
	s_mov_b32 s4, exec_lo
	s_waitcnt vmcnt(0)
	v_cmpx_eq_u16_e32 0, v12
	s_cbranch_execz .LBB2110_232
; %bb.229:                              ;   in Loop: Header=BB2110_225 Depth=1
	v_add_co_u32 v5, s9, s16, v11
	v_add_co_ci_u32_e64 v6, null, s17, 0, s9
	s_mov_b32 s9, 0
.LBB2110_230:                           ;   Parent Loop BB2110_225 Depth=1
                                        ; =>  This Inner Loop Header: Depth=2
	global_load_ubyte v12, v[5:6], off glc dlc
	s_waitcnt vmcnt(0)
	v_cmp_ne_u16_e32 vcc_lo, 0, v12
	s_or_b32 s9, vcc_lo, s9
	s_andn2_b32 exec_lo, exec_lo, s9
	s_cbranch_execnz .LBB2110_230
; %bb.231:                              ;   in Loop: Header=BB2110_225 Depth=1
	s_or_b32 exec_lo, exec_lo, s9
.LBB2110_232:                           ;   in Loop: Header=BB2110_225 Depth=1
	s_or_b32 exec_lo, exec_lo, s4
	v_mov_b32_e32 v5, s13
	v_mov_b32_e32 v7, s12
	v_cmp_eq_u16_e32 vcc_lo, 1, v12
	s_waitcnt_vscnt null, 0x0
	buffer_gl1_inv
	buffer_gl0_inv
	s_mov_b32 s4, 0
	v_cndmask_b32_e32 v6, s15, v5, vcc_lo
	v_cndmask_b32_e32 v5, s14, v7, vcc_lo
	v_mad_u64_u32 v[25:26], null, v11, 20, v[5:6]
	s_clause 0x1
	global_load_dwordx4 v[5:8], v[25:26], off
	global_load_ubyte v25, v[25:26], off offset:16
	s_waitcnt vmcnt(1)
	buffer_store_dword v6, off, s[0:3], 0 offset:100
	buffer_store_dword v5, off, s[0:3], 0 offset:96
	;; [unrolled: 1-line block ×8, first 2 shown]
	s_waitcnt vmcnt(0)
	buffer_store_byte v25, off, s[0:3], 0 offset:152
	buffer_store_dword v23, off, s[0:3], 0 offset:16
.LBB2110_233:                           ;   Parent Loop BB2110_225 Depth=1
                                        ; =>  This Inner Loop Header: Depth=2
	v_mov_b32_e32 v25, s4
	s_add_i32 s4, s4, 4
	s_cmp_lg_u32 s4, 16
	buffer_store_dword v23, v25, s[0:3], 0 offen
	s_cbranch_scc1 .LBB2110_233
; %bb.234:                              ;   in Loop: Header=BB2110_225 Depth=1
	buffer_load_dword v26, off, s[0:3], 0 offset:152
	ds_bpermute_b32 v28, v13, v5
	ds_bpermute_b32 v29, v13, v6
	;; [unrolled: 1-line block ×4, first 2 shown]
	v_cmp_eq_u16_e32 vcc_lo, 2, v12
	s_mov_b32 s4, exec_lo
	s_waitcnt lgkmcnt(3)
	buffer_store_dword v28, off, s[0:3], 0
	s_waitcnt lgkmcnt(2)
	buffer_store_dword v29, off, s[0:3], 0 offset:4
	s_waitcnt lgkmcnt(1)
	buffer_store_dword v30, off, s[0:3], 0 offset:8
	;; [unrolled: 2-line block ×3, first 2 shown]
	v_and_or_b32 v25, vcc_lo, v14, 0x80000000
	v_ffbl_b32_e32 v25, v25
	s_waitcnt vmcnt(0)
	ds_bpermute_b32 v27, v13, v26
	v_cmpx_lt_u32_e64 v9, v25
	s_cbranch_execz .LBB2110_242
; %bb.235:                              ;   in Loop: Header=BB2110_225 Depth=1
	v_cmp_eq_u16_sdwa s10, v26, v23 src0_sel:BYTE_0 src1_sel:DWORD
	s_and_saveexec_b32 s9, s10
	s_cbranch_execz .LBB2110_241
; %bb.236:                              ;   in Loop: Header=BB2110_225 Depth=1
	s_mov_b32 s10, 0
.LBB2110_237:                           ;   Parent Loop BB2110_225 Depth=1
                                        ; =>  This Inner Loop Header: Depth=2
	v_add_nc_u32_e64 v5, 0x50, s10
	s_add_i32 s10, s10, 4
	s_cmp_lg_u32 s10, 16
	buffer_store_dword v23, v5, s[0:3], 0 offen
	s_cbranch_scc1 .LBB2110_237
; %bb.238:                              ;   in Loop: Header=BB2110_225 Depth=1
	s_mov_b32 s10, 0
	.p2align	6
.LBB2110_239:                           ;   Parent Loop BB2110_225 Depth=1
                                        ; =>  This Inner Loop Header: Depth=2
	v_mov_b32_e32 v5, s10
	v_add_nc_u32_e64 v6, 0x88, s10
	v_add_nc_u32_e64 v7, 0x50, s10
	s_add_i32 s10, s10, 4
	s_clause 0x1
	buffer_load_dword v5, v5, s[0:3], 0 offen
	buffer_load_dword v6, v6, s[0:3], 0 offen
	s_cmp_lg_u32 s10, 16
	s_waitcnt vmcnt(0)
	v_add_nc_u32_e32 v5, v6, v5
	buffer_store_dword v5, v7, s[0:3], 0 offen
	s_cbranch_scc1 .LBB2110_239
; %bb.240:                              ;   in Loop: Header=BB2110_225 Depth=1
	s_clause 0x3
	buffer_load_dword v5, off, s[0:3], 0 offset:80
	buffer_load_dword v6, off, s[0:3], 0 offset:84
	buffer_load_dword v7, off, s[0:3], 0 offset:88
	buffer_load_dword v8, off, s[0:3], 0 offset:92
.LBB2110_241:                           ;   in Loop: Header=BB2110_225 Depth=1
	s_or_b32 exec_lo, exec_lo, s9
	s_waitcnt lgkmcnt(0)
	v_or_b32_e32 v26, v27, v26
	v_and_b32_e32 v26, 1, v26
	buffer_store_byte v26, off, s[0:3], 0 offset:152
	buffer_load_dword v26, off, s[0:3], 0 offset:152
	s_waitcnt vmcnt(4)
	buffer_store_dword v5, off, s[0:3], 0 offset:136
	s_waitcnt vmcnt(3)
	buffer_store_dword v6, off, s[0:3], 0 offset:140
	;; [unrolled: 2-line block ×4, first 2 shown]
.LBB2110_242:                           ;   in Loop: Header=BB2110_225 Depth=1
	s_or_b32 exec_lo, exec_lo, s4
	ds_bpermute_b32 v28, v15, v5
	s_waitcnt vmcnt(0) lgkmcnt(1)
	ds_bpermute_b32 v27, v15, v26
	ds_bpermute_b32 v29, v15, v6
	;; [unrolled: 1-line block ×4, first 2 shown]
	s_mov_b32 s9, exec_lo
	s_waitcnt lgkmcnt(4)
	buffer_store_dword v28, off, s[0:3], 0
	s_waitcnt lgkmcnt(2)
	buffer_store_dword v29, off, s[0:3], 0 offset:4
	s_waitcnt lgkmcnt(1)
	buffer_store_dword v30, off, s[0:3], 0 offset:8
	;; [unrolled: 2-line block ×3, first 2 shown]
	v_cmpx_le_u32_e64 v16, v25
	s_cbranch_execz .LBB2110_250
; %bb.243:                              ;   in Loop: Header=BB2110_225 Depth=1
	v_cmp_eq_u16_sdwa s10, v26, v23 src0_sel:BYTE_0 src1_sel:DWORD
	s_and_saveexec_b32 s4, s10
	s_cbranch_execz .LBB2110_249
; %bb.244:                              ;   in Loop: Header=BB2110_225 Depth=1
	s_mov_b32 s10, 0
.LBB2110_245:                           ;   Parent Loop BB2110_225 Depth=1
                                        ; =>  This Inner Loop Header: Depth=2
	v_add_nc_u32_e64 v5, 0x50, s10
	s_add_i32 s10, s10, 4
	s_cmp_lg_u32 s10, 16
	buffer_store_dword v23, v5, s[0:3], 0 offen
	s_cbranch_scc1 .LBB2110_245
; %bb.246:                              ;   in Loop: Header=BB2110_225 Depth=1
	s_mov_b32 s10, 0
	.p2align	6
.LBB2110_247:                           ;   Parent Loop BB2110_225 Depth=1
                                        ; =>  This Inner Loop Header: Depth=2
	v_mov_b32_e32 v5, s10
	v_add_nc_u32_e64 v6, 0x88, s10
	v_add_nc_u32_e64 v7, 0x50, s10
	s_add_i32 s10, s10, 4
	s_clause 0x1
	buffer_load_dword v5, v5, s[0:3], 0 offen
	buffer_load_dword v6, v6, s[0:3], 0 offen
	s_cmp_lg_u32 s10, 16
	s_waitcnt vmcnt(0)
	v_add_nc_u32_e32 v5, v6, v5
	buffer_store_dword v5, v7, s[0:3], 0 offen
	s_cbranch_scc1 .LBB2110_247
; %bb.248:                              ;   in Loop: Header=BB2110_225 Depth=1
	s_clause 0x3
	buffer_load_dword v5, off, s[0:3], 0 offset:80
	buffer_load_dword v6, off, s[0:3], 0 offset:84
	;; [unrolled: 1-line block ×4, first 2 shown]
.LBB2110_249:                           ;   in Loop: Header=BB2110_225 Depth=1
	s_or_b32 exec_lo, exec_lo, s4
	v_and_b32_e32 v26, 1, v26
	v_and_b32_e32 v27, 1, v27
	v_cmp_eq_u32_e32 vcc_lo, 1, v26
	v_cmp_eq_u32_e64 s4, 1, v27
	s_or_b32 s4, vcc_lo, s4
	v_cndmask_b32_e64 v26, 0, 1, s4
	buffer_store_byte v26, off, s[0:3], 0 offset:152
	buffer_load_dword v26, off, s[0:3], 0 offset:152
	s_waitcnt vmcnt(4)
	buffer_store_dword v5, off, s[0:3], 0 offset:136
	s_waitcnt vmcnt(3)
	buffer_store_dword v6, off, s[0:3], 0 offset:140
	;; [unrolled: 2-line block ×4, first 2 shown]
.LBB2110_250:                           ;   in Loop: Header=BB2110_225 Depth=1
	s_or_b32 exec_lo, exec_lo, s9
	ds_bpermute_b32 v28, v17, v5
	s_waitcnt vmcnt(0)
	ds_bpermute_b32 v27, v17, v26
	ds_bpermute_b32 v29, v17, v6
	;; [unrolled: 1-line block ×4, first 2 shown]
	s_mov_b32 s9, exec_lo
	s_waitcnt lgkmcnt(4)
	buffer_store_dword v28, off, s[0:3], 0
	s_waitcnt lgkmcnt(2)
	buffer_store_dword v29, off, s[0:3], 0 offset:4
	s_waitcnt lgkmcnt(1)
	buffer_store_dword v30, off, s[0:3], 0 offset:8
	;; [unrolled: 2-line block ×3, first 2 shown]
	v_cmpx_le_u32_e64 v18, v25
	s_cbranch_execz .LBB2110_258
; %bb.251:                              ;   in Loop: Header=BB2110_225 Depth=1
	v_cmp_eq_u16_sdwa s10, v26, v23 src0_sel:BYTE_0 src1_sel:DWORD
	s_and_saveexec_b32 s4, s10
	s_cbranch_execz .LBB2110_257
; %bb.252:                              ;   in Loop: Header=BB2110_225 Depth=1
	s_mov_b32 s10, 0
.LBB2110_253:                           ;   Parent Loop BB2110_225 Depth=1
                                        ; =>  This Inner Loop Header: Depth=2
	v_add_nc_u32_e64 v5, 0x50, s10
	s_add_i32 s10, s10, 4
	s_cmp_lg_u32 s10, 16
	buffer_store_dword v23, v5, s[0:3], 0 offen
	s_cbranch_scc1 .LBB2110_253
; %bb.254:                              ;   in Loop: Header=BB2110_225 Depth=1
	s_mov_b32 s10, 0
	.p2align	6
.LBB2110_255:                           ;   Parent Loop BB2110_225 Depth=1
                                        ; =>  This Inner Loop Header: Depth=2
	v_mov_b32_e32 v5, s10
	v_add_nc_u32_e64 v6, 0x88, s10
	v_add_nc_u32_e64 v7, 0x50, s10
	s_add_i32 s10, s10, 4
	s_clause 0x1
	buffer_load_dword v5, v5, s[0:3], 0 offen
	buffer_load_dword v6, v6, s[0:3], 0 offen
	s_cmp_lg_u32 s10, 16
	s_waitcnt vmcnt(0)
	v_add_nc_u32_e32 v5, v6, v5
	buffer_store_dword v5, v7, s[0:3], 0 offen
	s_cbranch_scc1 .LBB2110_255
; %bb.256:                              ;   in Loop: Header=BB2110_225 Depth=1
	s_clause 0x3
	buffer_load_dword v5, off, s[0:3], 0 offset:80
	buffer_load_dword v6, off, s[0:3], 0 offset:84
	;; [unrolled: 1-line block ×4, first 2 shown]
.LBB2110_257:                           ;   in Loop: Header=BB2110_225 Depth=1
	s_or_b32 exec_lo, exec_lo, s4
	v_and_b32_e32 v26, 1, v26
	v_and_b32_e32 v27, 1, v27
	v_cmp_eq_u32_e32 vcc_lo, 1, v26
	v_cmp_eq_u32_e64 s4, 1, v27
	s_or_b32 s4, vcc_lo, s4
	v_cndmask_b32_e64 v26, 0, 1, s4
	buffer_store_byte v26, off, s[0:3], 0 offset:152
	buffer_load_dword v26, off, s[0:3], 0 offset:152
	s_waitcnt vmcnt(4)
	buffer_store_dword v5, off, s[0:3], 0 offset:136
	s_waitcnt vmcnt(3)
	buffer_store_dword v6, off, s[0:3], 0 offset:140
	;; [unrolled: 2-line block ×4, first 2 shown]
.LBB2110_258:                           ;   in Loop: Header=BB2110_225 Depth=1
	s_or_b32 exec_lo, exec_lo, s9
	ds_bpermute_b32 v28, v19, v5
	s_waitcnt vmcnt(0)
	ds_bpermute_b32 v27, v19, v26
	ds_bpermute_b32 v29, v19, v6
	;; [unrolled: 1-line block ×4, first 2 shown]
	s_mov_b32 s9, exec_lo
	s_waitcnt lgkmcnt(4)
	buffer_store_dword v28, off, s[0:3], 0
	s_waitcnt lgkmcnt(2)
	buffer_store_dword v29, off, s[0:3], 0 offset:4
	s_waitcnt lgkmcnt(1)
	buffer_store_dword v30, off, s[0:3], 0 offset:8
	;; [unrolled: 2-line block ×3, first 2 shown]
	v_cmpx_le_u32_e64 v20, v25
	s_cbranch_execz .LBB2110_266
; %bb.259:                              ;   in Loop: Header=BB2110_225 Depth=1
	v_cmp_eq_u16_sdwa s10, v26, v23 src0_sel:BYTE_0 src1_sel:DWORD
	s_and_saveexec_b32 s4, s10
	s_cbranch_execz .LBB2110_265
; %bb.260:                              ;   in Loop: Header=BB2110_225 Depth=1
	s_mov_b32 s10, 0
.LBB2110_261:                           ;   Parent Loop BB2110_225 Depth=1
                                        ; =>  This Inner Loop Header: Depth=2
	v_add_nc_u32_e64 v5, 0x50, s10
	s_add_i32 s10, s10, 4
	s_cmp_lg_u32 s10, 16
	buffer_store_dword v23, v5, s[0:3], 0 offen
	s_cbranch_scc1 .LBB2110_261
; %bb.262:                              ;   in Loop: Header=BB2110_225 Depth=1
	s_mov_b32 s10, 0
	.p2align	6
.LBB2110_263:                           ;   Parent Loop BB2110_225 Depth=1
                                        ; =>  This Inner Loop Header: Depth=2
	v_mov_b32_e32 v5, s10
	v_add_nc_u32_e64 v6, 0x88, s10
	v_add_nc_u32_e64 v7, 0x50, s10
	s_add_i32 s10, s10, 4
	s_clause 0x1
	buffer_load_dword v5, v5, s[0:3], 0 offen
	buffer_load_dword v6, v6, s[0:3], 0 offen
	s_cmp_lg_u32 s10, 16
	s_waitcnt vmcnt(0)
	v_add_nc_u32_e32 v5, v6, v5
	buffer_store_dword v5, v7, s[0:3], 0 offen
	s_cbranch_scc1 .LBB2110_263
; %bb.264:                              ;   in Loop: Header=BB2110_225 Depth=1
	s_clause 0x3
	buffer_load_dword v5, off, s[0:3], 0 offset:80
	buffer_load_dword v6, off, s[0:3], 0 offset:84
	buffer_load_dword v7, off, s[0:3], 0 offset:88
	buffer_load_dword v8, off, s[0:3], 0 offset:92
.LBB2110_265:                           ;   in Loop: Header=BB2110_225 Depth=1
	s_or_b32 exec_lo, exec_lo, s4
	v_and_b32_e32 v26, 1, v26
	v_and_b32_e32 v27, 1, v27
	v_cmp_eq_u32_e32 vcc_lo, 1, v26
	v_cmp_eq_u32_e64 s4, 1, v27
	s_or_b32 s4, vcc_lo, s4
	v_cndmask_b32_e64 v26, 0, 1, s4
	buffer_store_byte v26, off, s[0:3], 0 offset:152
	buffer_load_dword v26, off, s[0:3], 0 offset:152
	s_waitcnt vmcnt(4)
	buffer_store_dword v5, off, s[0:3], 0 offset:136
	s_waitcnt vmcnt(3)
	buffer_store_dword v6, off, s[0:3], 0 offset:140
	;; [unrolled: 2-line block ×4, first 2 shown]
.LBB2110_266:                           ;   in Loop: Header=BB2110_225 Depth=1
	s_or_b32 exec_lo, exec_lo, s9
	ds_bpermute_b32 v28, v21, v5
	s_waitcnt vmcnt(0)
	ds_bpermute_b32 v27, v21, v26
	ds_bpermute_b32 v29, v21, v6
	;; [unrolled: 1-line block ×4, first 2 shown]
	v_and_b32_e32 v32, 1, v26
	s_mov_b32 s9, exec_lo
	s_waitcnt lgkmcnt(4)
	buffer_store_dword v28, off, s[0:3], 0
	s_waitcnt lgkmcnt(2)
	buffer_store_dword v29, off, s[0:3], 0 offset:4
	s_waitcnt lgkmcnt(1)
	buffer_store_dword v30, off, s[0:3], 0 offset:8
	;; [unrolled: 2-line block ×3, first 2 shown]
	v_cmp_eq_u32_e64 s4, 1, v32
	v_cmpx_le_u32_e64 v22, v25
	s_cbranch_execz .LBB2110_274
; %bb.267:                              ;   in Loop: Header=BB2110_225 Depth=1
	v_cmp_eq_u16_sdwa s24, v26, v23 src0_sel:BYTE_0 src1_sel:DWORD
	s_and_saveexec_b32 s10, s24
	s_cbranch_execz .LBB2110_273
; %bb.268:                              ;   in Loop: Header=BB2110_225 Depth=1
	s_mov_b32 s24, 0
.LBB2110_269:                           ;   Parent Loop BB2110_225 Depth=1
                                        ; =>  This Inner Loop Header: Depth=2
	v_add_nc_u32_e64 v5, 0x50, s24
	s_add_i32 s24, s24, 4
	s_cmp_lg_u32 s24, 16
	buffer_store_dword v23, v5, s[0:3], 0 offen
	s_cbranch_scc1 .LBB2110_269
; %bb.270:                              ;   in Loop: Header=BB2110_225 Depth=1
	s_mov_b32 s24, 0
	.p2align	6
.LBB2110_271:                           ;   Parent Loop BB2110_225 Depth=1
                                        ; =>  This Inner Loop Header: Depth=2
	v_mov_b32_e32 v5, s24
	v_add_nc_u32_e64 v6, 0x88, s24
	v_add_nc_u32_e64 v7, 0x50, s24
	s_add_i32 s24, s24, 4
	s_clause 0x1
	buffer_load_dword v5, v5, s[0:3], 0 offen
	buffer_load_dword v6, v6, s[0:3], 0 offen
	s_cmp_lg_u32 s24, 16
	s_waitcnt vmcnt(0)
	v_add_nc_u32_e32 v5, v6, v5
	buffer_store_dword v5, v7, s[0:3], 0 offen
	s_cbranch_scc1 .LBB2110_271
; %bb.272:                              ;   in Loop: Header=BB2110_225 Depth=1
	s_clause 0x3
	buffer_load_dword v5, off, s[0:3], 0 offset:80
	buffer_load_dword v6, off, s[0:3], 0 offset:84
	;; [unrolled: 1-line block ×4, first 2 shown]
.LBB2110_273:                           ;   in Loop: Header=BB2110_225 Depth=1
	s_or_b32 exec_lo, exec_lo, s10
	v_and_b32_e32 v25, 1, v27
	s_waitcnt vmcnt(3)
	buffer_store_dword v5, off, s[0:3], 0 offset:136
	s_waitcnt vmcnt(2)
	buffer_store_dword v6, off, s[0:3], 0 offset:140
	;; [unrolled: 2-line block ×4, first 2 shown]
	v_cmp_eq_u32_e32 vcc_lo, 1, v25
	s_or_b32 s10, s4, vcc_lo
	s_andn2_b32 s4, s4, exec_lo
	v_cndmask_b32_e64 v5, 0, 1, s10
	s_and_b32 s10, s10, exec_lo
	s_or_b32 s4, s4, s10
	buffer_store_byte v5, off, s[0:3], 0 offset:152
.LBB2110_274:                           ;   in Loop: Header=BB2110_225 Depth=1
	s_or_b32 exec_lo, exec_lo, s9
	buffer_load_ubyte v5, off, s[0:3], 0 offset:132
	s_mov_b32 s9, exec_lo
                                        ; implicit-def: $vgpr7
                                        ; implicit-def: $vgpr6
                                        ; implicit-def: $vgpr8
                                        ; implicit-def: $vgpr25
	s_waitcnt vmcnt(0)
	v_cmpx_ne_u16_e32 0, v5
	s_xor_b32 s9, exec_lo, s9
	s_cbranch_execz .LBB2110_276
; %bb.275:                              ;   in Loop: Header=BB2110_225 Depth=1
	s_clause 0x3
	buffer_load_dword v6, off, s[0:3], 0 offset:116
	buffer_load_dword v8, off, s[0:3], 0 offset:120
	;; [unrolled: 1-line block ×4, first 2 shown]
.LBB2110_276:                           ;   in Loop: Header=BB2110_225 Depth=1
	s_andn2_saveexec_b32 s9, s9
	s_cbranch_execz .LBB2110_223
; %bb.277:                              ;   in Loop: Header=BB2110_225 Depth=1
	s_mov_b32 s10, 0
.LBB2110_278:                           ;   Parent Loop BB2110_225 Depth=1
                                        ; =>  This Inner Loop Header: Depth=2
	s_waitcnt vmcnt(3)
	v_mov_b32_e32 v6, s10
	s_add_i32 s10, s10, 4
	s_cmp_lg_u32 s10, 16
	buffer_store_dword v23, v6, s[0:3], 0 offen
	s_cbranch_scc1 .LBB2110_278
; %bb.279:                              ;   in Loop: Header=BB2110_225 Depth=1
	s_mov_b32 s10, 0
	.p2align	6
.LBB2110_280:                           ;   Parent Loop BB2110_225 Depth=1
                                        ; =>  This Inner Loop Header: Depth=2
	v_add_nc_u32_e64 v6, 0x88, s10
	s_waitcnt vmcnt(0)
	v_add_nc_u32_e64 v7, 0x74, s10
	v_mov_b32_e32 v8, s10
	s_add_i32 s10, s10, 4
	s_clause 0x1
	buffer_load_dword v6, v6, s[0:3], 0 offen
	buffer_load_dword v7, v7, s[0:3], 0 offen
	s_cmp_lg_u32 s10, 16
	s_waitcnt vmcnt(0)
	v_add_nc_u32_e32 v6, v7, v6
	buffer_store_dword v6, v8, s[0:3], 0 offen
	s_cbranch_scc1 .LBB2110_280
	s_branch .LBB2110_222
.LBB2110_281:
	s_cbranch_execnz .LBB2110_336
	s_branch .LBB2110_503
.LBB2110_282:
	s_clause 0x4
	buffer_load_dword v5, off, s[0:3], 0 offset:116
	buffer_load_dword v6, off, s[0:3], 0 offset:120
	;; [unrolled: 1-line block ×5, first 2 shown]
	s_waitcnt vmcnt(4)
	buffer_store_dword v5, off, s[0:3], 0
	s_waitcnt vmcnt(3)
	buffer_store_dword v6, off, s[0:3], 0 offset:4
	s_waitcnt vmcnt(2)
	buffer_store_dword v7, off, s[0:3], 0 offset:8
	;; [unrolled: 2-line block ×4, first 2 shown]
	s_and_saveexec_b32 s4, s8
	s_cbranch_execz .LBB2110_289
; %bb.283:
	v_mov_b32_e32 v11, 0
	v_cmp_ne_u32_sdwa s8, v10, v11 src0_sel:BYTE_0 src1_sel:DWORD
	s_and_b32 vcc_lo, exec_lo, s8
	s_mov_b32 s8, 0
	s_cbranch_vccnz .LBB2110_288
.LBB2110_284:                           ; =>This Inner Loop Header: Depth=1
	v_add_nc_u32_e64 v1, 0x60, s8
	s_add_i32 s8, s8, 4
	s_cmp_lg_u32 s8, 16
	buffer_store_dword v11, v1, s[0:3], 0 offen
	s_cbranch_scc1 .LBB2110_284
; %bb.285:
	s_mov_b32 s8, 0
	.p2align	6
.LBB2110_286:                           ; =>This Inner Loop Header: Depth=1
	v_mov_b32_e32 v1, s8
	v_add_nc_u32_e64 v2, 0x9c, s8
	v_add_nc_u32_e64 v3, 0x60, s8
	s_add_i32 s8, s8, 4
	s_clause 0x1
	buffer_load_dword v1, v1, s[0:3], 0 offen
	buffer_load_dword v2, v2, s[0:3], 0 offen
	s_cmp_lg_u32 s8, 16
	s_waitcnt vmcnt(0)
	v_add_nc_u32_e32 v1, v2, v1
	buffer_store_dword v1, v3, s[0:3], 0 offen
	s_cbranch_scc1 .LBB2110_286
; %bb.287:
	s_clause 0x3
	buffer_load_dword v1, off, s[0:3], 0 offset:96
	buffer_load_dword v2, off, s[0:3], 0 offset:100
	;; [unrolled: 1-line block ×4, first 2 shown]
.LBB2110_288:
	v_or_b32_e32 v10, v10, v9
	s_add_i32 s10, s41, 32
	v_mov_b32_e32 v11, 0
	s_mul_i32 s8, s10, 20
	v_mov_b32_e32 v12, 2
	v_mov_b32_e32 v13, s10
	s_mul_hi_u32 s9, s10, 20
	v_and_b32_e32 v10, 1, v10
	s_add_u32 s8, s14, s8
	s_addc_u32 s9, s15, s9
	s_waitcnt vmcnt(0)
	global_store_dwordx4 v11, v[1:4], s[8:9]
	global_store_byte v11, v10, s[8:9] offset:16
	s_waitcnt_vscnt null, 0x0
	buffer_gl1_inv
	buffer_gl0_inv
	global_store_byte v13, v12, s[16:17]
.LBB2110_289:
	s_or_b32 exec_lo, exec_lo, s4
	s_and_b32 exec_lo, exec_lo, s6
	s_cbranch_execz .LBB2110_291
; %bb.290:
	v_mov_b32_e32 v1, 0
	ds_write2_b32 v1, v5, v6 offset0:35 offset1:36
	ds_write2_b32 v1, v7, v8 offset0:37 offset1:38
	ds_write_b8 v1, v9 offset:156
.LBB2110_291:
	s_or_b32 exec_lo, exec_lo, s5
	s_waitcnt lgkmcnt(0)
	s_waitcnt_vscnt null, 0x0
	s_barrier
	buffer_gl0_inv
	s_clause 0x4
	buffer_load_dword v1, off, s[0:3], 0 offset:220
	buffer_load_dword v7, off, s[0:3], 0 offset:216
	;; [unrolled: 1-line block ×5, first 2 shown]
	v_mov_b32_e32 v2, 0
	ds_read2_b32 v[3:4], v2 offset0:35 offset1:36
	ds_read2_b32 v[5:6], v2 offset0:37 offset1:38
	ds_read_b32 v2, v2 offset:156
	s_waitcnt lgkmcnt(2)
	buffer_store_dword v3, off, s[0:3], 0
	buffer_store_dword v4, off, s[0:3], 0 offset:4
	s_waitcnt lgkmcnt(1)
	buffer_store_dword v5, off, s[0:3], 0 offset:8
	buffer_store_dword v6, off, s[0:3], 0 offset:12
	s_waitcnt lgkmcnt(0)
	buffer_store_dword v2, off, s[0:3], 0 offset:16
	buffer_store_dword v6, off, s[0:3], 0 offset:128
	;; [unrolled: 1-line block ×5, first 2 shown]
	s_waitcnt vmcnt(4)
	buffer_store_dword v1, off, s[0:3], 0 offset:108
	s_waitcnt vmcnt(3)
	buffer_store_dword v7, off, s[0:3], 0 offset:104
	;; [unrolled: 2-line block ×5, first 2 shown]
	buffer_store_dword v2, off, s[0:3], 0 offset:132
                                        ; implicit-def: $vgpr1
	s_and_saveexec_b32 s4, s7
	s_xor_b32 s4, exec_lo, s4
	s_cbranch_execz .LBB2110_301
; %bb.292:
	buffer_load_ubyte v1, off, s[0:3], 0 offset:192
	s_mov_b32 s5, exec_lo
                                        ; implicit-def: $vgpr4
                                        ; implicit-def: $vgpr3
                                        ; implicit-def: $vgpr5
                                        ; implicit-def: $vgpr6
	s_waitcnt vmcnt(0)
	v_cmpx_ne_u16_e32 0, v1
	s_xor_b32 s5, exec_lo, s5
	s_cbranch_execz .LBB2110_294
; %bb.293:
	s_clause 0x3
	buffer_load_dword v3, off, s[0:3], 0 offset:176
	buffer_load_dword v5, off, s[0:3], 0 offset:180
	buffer_load_dword v6, off, s[0:3], 0 offset:184
	buffer_load_dword v4, off, s[0:3], 0 offset:188
.LBB2110_294:
	s_andn2_saveexec_b32 s5, s5
	s_cbranch_execz .LBB2110_300
; %bb.295:
	s_waitcnt vmcnt(3)
	v_mov_b32_e32 v3, 0
	s_mov_b32 s8, 0
.LBB2110_296:                           ; =>This Inner Loop Header: Depth=1
	s_waitcnt vmcnt(0)
	v_add_nc_u32_e64 v4, 0x88, s8
	s_add_i32 s8, s8, 4
	s_cmp_lg_u32 s8, 16
	buffer_store_dword v3, v4, s[0:3], 0 offen
	s_cbranch_scc1 .LBB2110_296
; %bb.297:
	s_mov_b32 s8, 0
	.p2align	6
.LBB2110_298:                           ; =>This Inner Loop Header: Depth=1
	v_mov_b32_e32 v3, s8
	v_add_nc_u32_e64 v4, 0xb0, s8
	v_add_nc_u32_e64 v5, 0x88, s8
	s_add_i32 s8, s8, 4
	s_clause 0x1
	buffer_load_dword v3, v3, s[0:3], 0 offen
	buffer_load_dword v4, v4, s[0:3], 0 offen
	s_cmp_lg_u32 s8, 16
	s_waitcnt vmcnt(0)
	v_add_nc_u32_e32 v3, v4, v3
	buffer_store_dword v3, v5, s[0:3], 0 offen
	s_cbranch_scc1 .LBB2110_298
; %bb.299:
	s_clause 0x3
	buffer_load_dword v3, off, s[0:3], 0 offset:136
	buffer_load_dword v5, off, s[0:3], 0 offset:140
	;; [unrolled: 1-line block ×4, first 2 shown]
.LBB2110_300:
	s_or_b32 exec_lo, exec_lo, s5
	v_or_b32_e32 v1, v1, v2
	s_waitcnt vmcnt(3)
	buffer_store_dword v3, off, s[0:3], 0 offset:116
	s_waitcnt vmcnt(2)
	buffer_store_dword v5, off, s[0:3], 0 offset:120
	;; [unrolled: 2-line block ×4, first 2 shown]
	v_and_b32_e32 v1, 1, v1
.LBB2110_301:
	s_andn2_saveexec_b32 s4, s4
	s_cbranch_execz .LBB2110_303
; %bb.302:
	buffer_load_ubyte v1, off, s[0:3], 0 offset:132
.LBB2110_303:
	s_or_b32 exec_lo, exec_lo, s4
	s_clause 0x4
	buffer_load_dword v2, off, s[0:3], 0 offset:128
	buffer_load_ubyte v3, off, s[0:3], 0 offset:112
	buffer_load_dword v4, off, s[0:3], 0 offset:124
	buffer_load_dword v5, off, s[0:3], 0 offset:120
	;; [unrolled: 1-line block ×3, first 2 shown]
	s_mov_b32 s4, exec_lo
                                        ; implicit-def: $vgpr7
	s_waitcnt vmcnt(4)
	buffer_store_dword v2, off, s[0:3], 0 offset:220
	s_waitcnt vmcnt(2)
	buffer_store_dword v4, off, s[0:3], 0 offset:216
	;; [unrolled: 2-line block ×4, first 2 shown]
	buffer_store_byte v1, off, s[0:3], 0 offset:224
                                        ; implicit-def: $vgpr4
                                        ; implicit-def: $vgpr5
                                        ; implicit-def: $vgpr6
	v_cmpx_ne_u16_e32 0, v3
	s_xor_b32 s4, exec_lo, s4
	s_cbranch_execz .LBB2110_305
; %bb.304:
	s_clause 0x3
	buffer_load_dword v7, off, s[0:3], 0 offset:96
	buffer_load_dword v5, off, s[0:3], 0 offset:100
	buffer_load_dword v6, off, s[0:3], 0 offset:104
	buffer_load_dword v4, off, s[0:3], 0 offset:108
.LBB2110_305:
	s_andn2_saveexec_b32 s4, s4
	s_cbranch_execz .LBB2110_311
; %bb.306:
	v_mov_b32_e32 v2, 0
	s_mov_b32 s5, 0
.LBB2110_307:                           ; =>This Inner Loop Header: Depth=1
	s_waitcnt vmcnt(0)
	v_add_nc_u32_e64 v4, 0x88, s5
	s_add_i32 s5, s5, 4
	s_cmp_lg_u32 s5, 16
	buffer_store_dword v2, v4, s[0:3], 0 offen
	s_cbranch_scc1 .LBB2110_307
; %bb.308:
	s_mov_b32 s5, 0
	.p2align	6
.LBB2110_309:                           ; =>This Inner Loop Header: Depth=1
	v_add_nc_u32_e64 v2, 0x74, s5
	v_add_nc_u32_e64 v4, 0x60, s5
	;; [unrolled: 1-line block ×3, first 2 shown]
	s_add_i32 s5, s5, 4
	s_clause 0x1
	buffer_load_dword v2, v2, s[0:3], 0 offen
	buffer_load_dword v4, v4, s[0:3], 0 offen
	s_cmp_lg_u32 s5, 16
	s_waitcnt vmcnt(0)
	v_add_nc_u32_e32 v2, v4, v2
	buffer_store_dword v2, v5, s[0:3], 0 offen
	s_cbranch_scc1 .LBB2110_309
; %bb.310:
	s_clause 0x3
	buffer_load_dword v7, off, s[0:3], 0 offset:136
	buffer_load_dword v5, off, s[0:3], 0 offset:140
	;; [unrolled: 1-line block ×4, first 2 shown]
.LBB2110_311:
	s_or_b32 exec_lo, exec_lo, s4
	v_mov_b32_e32 v8, s11
	v_or_b32_e32 v1, v3, v1
                                        ; implicit-def: $vgpr3
	s_clause 0x4
	buffer_load_dword v9, v8, s[0:3], 0 offen offset:12
	buffer_load_dword v10, v8, s[0:3], 0 offen offset:8
	;; [unrolled: 1-line block ×3, first 2 shown]
	buffer_load_dword v12, v8, s[0:3], 0 offen
	buffer_load_ubyte v2, off, s[0:3], 0 offset:244
	v_and_b32_e32 v1, 1, v1
	s_waitcnt vmcnt(8)
	buffer_store_dword v7, off, s[0:3], 0 offset:116
	s_waitcnt vmcnt(7)
	buffer_store_dword v5, off, s[0:3], 0 offset:120
	;; [unrolled: 2-line block ×4, first 2 shown]
	buffer_store_dword v7, v8, s[0:3], 0 offen
	s_waitcnt vmcnt(4)
	buffer_store_dword v9, off, s[0:3], 0 offset:108
	s_waitcnt vmcnt(3)
	buffer_store_dword v10, off, s[0:3], 0 offset:104
	;; [unrolled: 2-line block ×4, first 2 shown]
	s_waitcnt vmcnt(0)
	v_cmp_ne_u16_e64 s4, 0, v2
	v_cmp_eq_u32_e32 vcc_lo, 1, v1
	buffer_store_dword v5, v8, s[0:3], 0 offen offset:4
	buffer_store_dword v6, v8, s[0:3], 0 offen offset:8
	;; [unrolled: 1-line block ×3, first 2 shown]
	buffer_store_byte v1, off, s[0:3], 0 offset:244
                                        ; implicit-def: $vgpr6
                                        ; implicit-def: $vgpr4
                                        ; implicit-def: $vgpr5
	s_and_saveexec_b32 s5, s4
	s_xor_b32 s4, exec_lo, s5
	s_cbranch_execz .LBB2110_313
; %bb.312:
	s_clause 0x3
	buffer_load_dword v6, off, s[0:3], 0 offset:96
	buffer_load_dword v4, off, s[0:3], 0 offset:100
	;; [unrolled: 1-line block ×4, first 2 shown]
.LBB2110_313:
	s_andn2_saveexec_b32 s4, s4
	s_cbranch_execz .LBB2110_319
; %bb.314:
	v_mov_b32_e32 v1, 0
	s_mov_b32 s5, 0
.LBB2110_315:                           ; =>This Inner Loop Header: Depth=1
	s_waitcnt vmcnt(0)
	v_add_nc_u32_e64 v3, 0x88, s5
	s_add_i32 s5, s5, 4
	s_cmp_lg_u32 s5, 16
	buffer_store_dword v1, v3, s[0:3], 0 offen
	s_cbranch_scc1 .LBB2110_315
; %bb.316:
	s_mov_b32 s5, 0
	.p2align	6
.LBB2110_317:                           ; =>This Inner Loop Header: Depth=1
	v_add_nc_u32_e64 v1, 0x74, s5
	v_add_nc_u32_e64 v3, 0x60, s5
	;; [unrolled: 1-line block ×3, first 2 shown]
	s_add_i32 s5, s5, 4
	s_clause 0x1
	buffer_load_dword v1, v1, s[0:3], 0 offen
	buffer_load_dword v3, v3, s[0:3], 0 offen
	s_cmp_lg_u32 s5, 16
	s_waitcnt vmcnt(0)
	v_add_nc_u32_e32 v1, v3, v1
	buffer_store_dword v1, v4, s[0:3], 0 offen
	s_cbranch_scc1 .LBB2110_317
; %bb.318:
	s_clause 0x3
	buffer_load_dword v6, off, s[0:3], 0 offset:136
	buffer_load_dword v4, off, s[0:3], 0 offset:140
	;; [unrolled: 1-line block ×4, first 2 shown]
.LBB2110_319:
	s_or_b32 exec_lo, exec_lo, s4
	v_mov_b32_e32 v7, s19
	v_and_b32_e32 v2, 1, v2
	s_mov_b32 s5, exec_lo
	s_clause 0x4
	buffer_load_dword v8, v7, s[0:3], 0 offen offset:12
	buffer_load_dword v9, v7, s[0:3], 0 offen offset:8
	;; [unrolled: 1-line block ×3, first 2 shown]
	buffer_load_dword v11, v7, s[0:3], 0 offen
	buffer_load_ubyte v1, off, s[0:3], 0 offset:264
	v_cmp_eq_u32_e64 s4, 1, v2
	s_waitcnt vmcnt(8)
	buffer_store_dword v6, off, s[0:3], 0 offset:116
	s_waitcnt vmcnt(7)
	buffer_store_dword v4, off, s[0:3], 0 offset:120
	;; [unrolled: 2-line block ×4, first 2 shown]
	buffer_store_dword v6, v7, s[0:3], 0 offen
                                        ; implicit-def: $vgpr6
	s_or_b32 s4, s4, vcc_lo
	v_cndmask_b32_e64 v2, 0, 1, s4
	s_waitcnt vmcnt(4)
	buffer_store_dword v8, off, s[0:3], 0 offset:108
	s_waitcnt vmcnt(3)
	buffer_store_dword v9, off, s[0:3], 0 offset:104
	;; [unrolled: 2-line block ×4, first 2 shown]
	buffer_store_dword v4, v7, s[0:3], 0 offen offset:4
	buffer_store_dword v5, v7, s[0:3], 0 offen offset:8
	;; [unrolled: 1-line block ×3, first 2 shown]
	buffer_store_byte v2, off, s[0:3], 0 offset:264
                                        ; implicit-def: $vgpr3
                                        ; implicit-def: $vgpr4
                                        ; implicit-def: $vgpr5
	s_waitcnt vmcnt(0)
	v_cmpx_ne_u16_e32 0, v1
	s_xor_b32 s5, exec_lo, s5
	s_cbranch_execz .LBB2110_321
; %bb.320:
	s_clause 0x3
	buffer_load_dword v6, off, s[0:3], 0 offset:96
	buffer_load_dword v4, off, s[0:3], 0 offset:100
	;; [unrolled: 1-line block ×4, first 2 shown]
.LBB2110_321:
	s_andn2_saveexec_b32 s5, s5
	s_cbranch_execz .LBB2110_327
; %bb.322:
	v_mov_b32_e32 v2, 0
	s_mov_b32 s8, 0
.LBB2110_323:                           ; =>This Inner Loop Header: Depth=1
	s_waitcnt vmcnt(0)
	v_add_nc_u32_e64 v3, 0x88, s8
	s_add_i32 s8, s8, 4
	s_cmp_lg_u32 s8, 16
	buffer_store_dword v2, v3, s[0:3], 0 offen
	s_cbranch_scc1 .LBB2110_323
; %bb.324:
	s_mov_b32 s8, 0
	.p2align	6
.LBB2110_325:                           ; =>This Inner Loop Header: Depth=1
	v_add_nc_u32_e64 v2, 0x74, s8
	v_add_nc_u32_e64 v3, 0x60, s8
	;; [unrolled: 1-line block ×3, first 2 shown]
	s_add_i32 s8, s8, 4
	s_clause 0x1
	buffer_load_dword v2, v2, s[0:3], 0 offen
	buffer_load_dword v3, v3, s[0:3], 0 offen
	s_cmp_lg_u32 s8, 16
	s_waitcnt vmcnt(0)
	v_add_nc_u32_e32 v2, v3, v2
	buffer_store_dword v2, v4, s[0:3], 0 offen
	s_cbranch_scc1 .LBB2110_325
; %bb.326:
	s_clause 0x3
	buffer_load_dword v6, off, s[0:3], 0 offset:136
	buffer_load_dword v4, off, s[0:3], 0 offset:140
	;; [unrolled: 1-line block ×4, first 2 shown]
.LBB2110_327:
	s_or_b32 exec_lo, exec_lo, s5
	v_mov_b32_e32 v7, s33
	v_and_b32_e32 v1, 1, v1
	s_mov_b32 s5, exec_lo
	s_clause 0x4
	buffer_load_dword v8, v7, s[0:3], 0 offen offset:12
	buffer_load_dword v9, v7, s[0:3], 0 offen offset:8
	;; [unrolled: 1-line block ×3, first 2 shown]
	buffer_load_dword v11, v7, s[0:3], 0 offen
	buffer_load_ubyte v2, off, s[0:3], 0 offset:284
	v_cmp_eq_u32_e32 vcc_lo, 1, v1
	s_waitcnt vmcnt(8)
	buffer_store_dword v6, off, s[0:3], 0 offset:116
	s_waitcnt vmcnt(7)
	buffer_store_dword v4, off, s[0:3], 0 offset:120
	;; [unrolled: 2-line block ×4, first 2 shown]
	buffer_store_dword v6, v7, s[0:3], 0 offen
	s_or_b32 s4, vcc_lo, s4
	v_cndmask_b32_e64 v1, 0, 1, s4
	s_waitcnt vmcnt(4)
	buffer_store_dword v8, off, s[0:3], 0 offset:108
	s_waitcnt vmcnt(3)
	buffer_store_dword v9, off, s[0:3], 0 offset:104
	;; [unrolled: 2-line block ×4, first 2 shown]
	buffer_store_dword v4, v7, s[0:3], 0 offen offset:4
	buffer_store_dword v5, v7, s[0:3], 0 offen offset:8
	;; [unrolled: 1-line block ×3, first 2 shown]
	buffer_store_byte v1, off, s[0:3], 0 offset:284
                                        ; implicit-def: $vgpr4
                                        ; implicit-def: $vgpr1
                                        ; implicit-def: $vgpr3
                                        ; implicit-def: $vgpr5
	s_waitcnt vmcnt(0)
	v_cmpx_ne_u16_e32 0, v2
	s_xor_b32 s5, exec_lo, s5
	s_cbranch_execz .LBB2110_329
; %bb.328:
	s_clause 0x3
	buffer_load_dword v1, off, s[0:3], 0 offset:96
	buffer_load_dword v3, off, s[0:3], 0 offset:100
	;; [unrolled: 1-line block ×4, first 2 shown]
.LBB2110_329:
	s_andn2_saveexec_b32 s5, s5
	s_cbranch_execz .LBB2110_335
; %bb.330:
	s_waitcnt vmcnt(3)
	v_mov_b32_e32 v1, 0
	s_mov_b32 s8, 0
.LBB2110_331:                           ; =>This Inner Loop Header: Depth=1
	s_waitcnt vmcnt(2)
	v_add_nc_u32_e64 v3, 0x88, s8
	s_add_i32 s8, s8, 4
	s_cmp_lg_u32 s8, 16
	buffer_store_dword v1, v3, s[0:3], 0 offen
	s_cbranch_scc1 .LBB2110_331
; %bb.332:
	s_mov_b32 s8, 0
	.p2align	6
.LBB2110_333:                           ; =>This Inner Loop Header: Depth=1
	v_add_nc_u32_e64 v1, 0x74, s8
	v_add_nc_u32_e64 v3, 0x60, s8
	s_waitcnt vmcnt(0)
	v_add_nc_u32_e64 v4, 0x88, s8
	s_add_i32 s8, s8, 4
	s_clause 0x1
	buffer_load_dword v1, v1, s[0:3], 0 offen
	buffer_load_dword v3, v3, s[0:3], 0 offen
	s_cmp_lg_u32 s8, 16
	s_waitcnt vmcnt(0)
	v_add_nc_u32_e32 v1, v3, v1
	buffer_store_dword v1, v4, s[0:3], 0 offen
	s_cbranch_scc1 .LBB2110_333
; %bb.334:
	s_clause 0x3
	buffer_load_dword v1, off, s[0:3], 0 offset:136
	buffer_load_dword v3, off, s[0:3], 0 offset:140
	;; [unrolled: 1-line block ×4, first 2 shown]
.LBB2110_335:
	s_or_b32 exec_lo, exec_lo, s5
	v_and_b32_e32 v2, 1, v2
	v_cmp_eq_u32_e32 vcc_lo, 1, v2
	v_mov_b32_e32 v2, s40
	s_waitcnt vmcnt(0)
	buffer_store_dword v4, v2, s[0:3], 0 offen offset:12
	buffer_store_dword v5, v2, s[0:3], 0 offen offset:8
	;; [unrolled: 1-line block ×3, first 2 shown]
	buffer_store_dword v1, v2, s[0:3], 0 offen
	s_or_b32 s4, vcc_lo, s4
	v_cndmask_b32_e64 v6, 0, 1, s4
	buffer_store_byte v6, off, s[0:3], 0 offset:304
	s_branch .LBB2110_503
.LBB2110_336:
	s_cmp_eq_u64 s[34:35], 0
	v_mov_b32_e32 v4, s39
	s_cselect_b32 s4, -1, 0
	s_cmp_eq_u64 s[30:31], 0
	v_mov_b32_e32 v3, s38
	s_cselect_b32 s5, -1, 0
	v_mov_b32_e32 v2, s37
	v_mov_b32_e32 v1, s36
	s_or_b32 s4, s4, s5
	s_and_b32 vcc_lo, exec_lo, s4
	s_cbranch_vccnz .LBB2110_338
; %bb.337:
	v_mov_b32_e32 v1, 0
	global_load_dwordx4 v[1:4], v1, s[30:31]
.LBB2110_338:
	v_mov_b32_e32 v5, 0
	s_mov_b32 s4, 0
	buffer_store_dword v5, off, s[0:3], 0 offset:188
	buffer_store_dword v5, off, s[0:3], 0 offset:184
	;; [unrolled: 1-line block ×5, first 2 shown]
.LBB2110_339:                           ; =>This Inner Loop Header: Depth=1
	v_add_nc_u32_e64 v6, 0xb0, s4
	s_add_i32 s4, s4, 4
	s_cmp_lg_u32 s4, 16
	buffer_store_dword v5, v6, s[0:3], 0 offen
	s_cbranch_scc1 .LBB2110_339
; %bb.340:
	s_clause 0x5
	buffer_load_dword v6, off, s[0:3], 0 offset:220
	buffer_load_ubyte v9, off, s[0:3], 0 offset:244
	buffer_load_dword v7, off, s[0:3], 0 offset:216
	buffer_load_dword v8, off, s[0:3], 0 offset:212
	;; [unrolled: 1-line block ×4, first 2 shown]
	s_mov_b32 s4, exec_lo
	v_mov_b32_e32 v11, 0
	s_waitcnt vmcnt(6)
	buffer_store_dword v1, off, s[0:3], 0 offset:156
	buffer_store_dword v2, off, s[0:3], 0 offset:160
	;; [unrolled: 1-line block ×4, first 2 shown]
	buffer_store_byte v11, off, s[0:3], 0 offset:192
	buffer_store_byte v11, off, s[0:3], 0 offset:172
	s_waitcnt vmcnt(5)
	buffer_store_dword v6, off, s[0:3], 0 offset:148
	s_waitcnt vmcnt(3)
	buffer_store_dword v7, off, s[0:3], 0 offset:144
	;; [unrolled: 2-line block ×5, first 2 shown]
                                        ; implicit-def: $vgpr7
                                        ; implicit-def: $vgpr6
                                        ; implicit-def: $vgpr8
                                        ; implicit-def: $vgpr10
	v_cmpx_ne_u16_e32 0, v9
	s_xor_b32 s4, exec_lo, s4
	s_cbranch_execz .LBB2110_342
; %bb.341:
	s_clause 0x3
	buffer_load_dword v6, off, s[0:3], 0 offset:228
	buffer_load_dword v8, off, s[0:3], 0 offset:232
	;; [unrolled: 1-line block ×4, first 2 shown]
.LBB2110_342:
	s_andn2_saveexec_b32 s4, s4
	s_cbranch_execz .LBB2110_348
; %bb.343:
	s_waitcnt vmcnt(3)
	v_mov_b32_e32 v6, 0
	s_mov_b32 s5, 0
.LBB2110_344:                           ; =>This Inner Loop Header: Depth=1
	s_waitcnt vmcnt(0)
	v_mov_b32_e32 v7, s5
	s_add_i32 s5, s5, 4
	s_cmp_lg_u32 s5, 16
	buffer_store_dword v6, v7, s[0:3], 0 offen
	s_cbranch_scc1 .LBB2110_344
; %bb.345:
	s_mov_b32 s5, 0
	.p2align	6
.LBB2110_346:                           ; =>This Inner Loop Header: Depth=1
	v_add_nc_u32_e64 v6, 0x88, s5
	v_add_nc_u32_e64 v7, 0xd0, s5
	v_mov_b32_e32 v8, s5
	s_add_i32 s5, s5, 4
	s_clause 0x1
	buffer_load_dword v6, v6, s[0:3], 0 offen
	buffer_load_dword v7, v7, s[0:3], 0 offen offset:20
	s_cmp_lg_u32 s5, 16
	s_waitcnt vmcnt(0)
	v_add_nc_u32_e32 v6, v7, v6
	buffer_store_dword v6, v8, s[0:3], 0 offen
	s_cbranch_scc1 .LBB2110_346
; %bb.347:
	s_clause 0x3
	buffer_load_dword v6, off, s[0:3], 0
	buffer_load_dword v8, off, s[0:3], 0 offset:4
	buffer_load_dword v10, off, s[0:3], 0 offset:8
	;; [unrolled: 1-line block ×3, first 2 shown]
.LBB2110_348:
	s_or_b32 exec_lo, exec_lo, s4
	buffer_load_ubyte v11, off, s[0:3], 0 offset:264
	s_mov_b32 s4, exec_lo
	s_waitcnt vmcnt(4)
	buffer_store_dword v6, off, s[0:3], 0 offset:136
	s_waitcnt vmcnt(3)
	buffer_store_dword v8, off, s[0:3], 0 offset:140
	;; [unrolled: 2-line block ×4, first 2 shown]
                                        ; implicit-def: $vgpr7
                                        ; implicit-def: $vgpr6
                                        ; implicit-def: $vgpr8
                                        ; implicit-def: $vgpr10
	s_waitcnt vmcnt(0)
	v_cmpx_ne_u16_e32 0, v11
	s_xor_b32 s4, exec_lo, s4
	s_cbranch_execz .LBB2110_350
; %bb.349:
	s_clause 0x3
	buffer_load_dword v6, off, s[0:3], 0 offset:248
	buffer_load_dword v8, off, s[0:3], 0 offset:252
	;; [unrolled: 1-line block ×4, first 2 shown]
.LBB2110_350:
	s_andn2_saveexec_b32 s4, s4
	s_cbranch_execz .LBB2110_356
; %bb.351:
	s_waitcnt vmcnt(3)
	v_mov_b32_e32 v6, 0
	s_mov_b32 s5, 0
.LBB2110_352:                           ; =>This Inner Loop Header: Depth=1
	s_waitcnt vmcnt(0)
	v_mov_b32_e32 v7, s5
	s_add_i32 s5, s5, 4
	s_cmp_lg_u32 s5, 16
	buffer_store_dword v6, v7, s[0:3], 0 offen
	s_cbranch_scc1 .LBB2110_352
; %bb.353:
	s_mov_b32 s5, 0
	.p2align	6
.LBB2110_354:                           ; =>This Inner Loop Header: Depth=1
	v_add_nc_u32_e64 v6, 0x88, s5
	v_add_nc_u32_e64 v7, 0xd0, s5
	v_mov_b32_e32 v8, s5
	s_add_i32 s5, s5, 4
	s_clause 0x1
	buffer_load_dword v6, v6, s[0:3], 0 offen
	buffer_load_dword v7, v7, s[0:3], 0 offen offset:40
	s_cmp_lg_u32 s5, 16
	s_waitcnt vmcnt(0)
	v_add_nc_u32_e32 v6, v7, v6
	buffer_store_dword v6, v8, s[0:3], 0 offen
	s_cbranch_scc1 .LBB2110_354
; %bb.355:
	s_clause 0x3
	buffer_load_dword v6, off, s[0:3], 0
	buffer_load_dword v8, off, s[0:3], 0 offset:4
	buffer_load_dword v10, off, s[0:3], 0 offset:8
	buffer_load_dword v7, off, s[0:3], 0 offset:12
.LBB2110_356:
	s_or_b32 exec_lo, exec_lo, s4
	buffer_load_ubyte v12, off, s[0:3], 0 offset:284
	s_mov_b32 s4, exec_lo
	s_waitcnt vmcnt(4)
	buffer_store_dword v6, off, s[0:3], 0 offset:136
	s_waitcnt vmcnt(3)
	buffer_store_dword v8, off, s[0:3], 0 offset:140
	;; [unrolled: 2-line block ×4, first 2 shown]
                                        ; implicit-def: $vgpr7
                                        ; implicit-def: $vgpr6
                                        ; implicit-def: $vgpr8
                                        ; implicit-def: $vgpr10
	s_waitcnt vmcnt(0)
	v_cmpx_ne_u16_e32 0, v12
	s_xor_b32 s4, exec_lo, s4
	s_cbranch_execz .LBB2110_358
; %bb.357:
	s_clause 0x3
	buffer_load_dword v6, off, s[0:3], 0 offset:268
	buffer_load_dword v8, off, s[0:3], 0 offset:272
	;; [unrolled: 1-line block ×4, first 2 shown]
.LBB2110_358:
	s_andn2_saveexec_b32 s4, s4
	s_cbranch_execz .LBB2110_364
; %bb.359:
	s_waitcnt vmcnt(3)
	v_mov_b32_e32 v6, 0
	s_mov_b32 s5, 0
.LBB2110_360:                           ; =>This Inner Loop Header: Depth=1
	s_waitcnt vmcnt(0)
	v_mov_b32_e32 v7, s5
	s_add_i32 s5, s5, 4
	s_cmp_lg_u32 s5, 16
	buffer_store_dword v6, v7, s[0:3], 0 offen
	s_cbranch_scc1 .LBB2110_360
; %bb.361:
	s_mov_b32 s5, 0
	.p2align	6
.LBB2110_362:                           ; =>This Inner Loop Header: Depth=1
	v_add_nc_u32_e64 v6, 0x88, s5
	v_add_nc_u32_e64 v7, 0xd0, s5
	v_mov_b32_e32 v8, s5
	s_add_i32 s5, s5, 4
	s_clause 0x1
	buffer_load_dword v6, v6, s[0:3], 0 offen
	buffer_load_dword v7, v7, s[0:3], 0 offen offset:60
	s_cmp_lg_u32 s5, 16
	s_waitcnt vmcnt(0)
	v_add_nc_u32_e32 v6, v7, v6
	buffer_store_dword v6, v8, s[0:3], 0 offen
	s_cbranch_scc1 .LBB2110_362
; %bb.363:
	s_clause 0x3
	buffer_load_dword v6, off, s[0:3], 0
	buffer_load_dword v8, off, s[0:3], 0 offset:4
	buffer_load_dword v10, off, s[0:3], 0 offset:8
	;; [unrolled: 1-line block ×3, first 2 shown]
.LBB2110_364:
	s_or_b32 exec_lo, exec_lo, s4
	buffer_load_ubyte v13, off, s[0:3], 0 offset:304
	s_mov_b32 s4, exec_lo
	s_waitcnt vmcnt(4)
	buffer_store_dword v6, off, s[0:3], 0 offset:136
	s_waitcnt vmcnt(3)
	buffer_store_dword v8, off, s[0:3], 0 offset:140
	;; [unrolled: 2-line block ×4, first 2 shown]
                                        ; implicit-def: $vgpr10
                                        ; implicit-def: $vgpr6
                                        ; implicit-def: $vgpr7
                                        ; implicit-def: $vgpr8
	s_waitcnt vmcnt(0)
	v_cmpx_ne_u16_e32 0, v13
	s_xor_b32 s4, exec_lo, s4
	s_cbranch_execz .LBB2110_366
; %bb.365:
	s_clause 0x3
	buffer_load_dword v6, off, s[0:3], 0 offset:288
	buffer_load_dword v7, off, s[0:3], 0 offset:292
	buffer_load_dword v8, off, s[0:3], 0 offset:296
	buffer_load_dword v10, off, s[0:3], 0 offset:300
.LBB2110_366:
	s_andn2_saveexec_b32 s4, s4
	s_cbranch_execz .LBB2110_372
; %bb.367:
	s_waitcnt vmcnt(3)
	v_mov_b32_e32 v6, 0
	s_mov_b32 s5, 0
.LBB2110_368:                           ; =>This Inner Loop Header: Depth=1
	s_waitcnt vmcnt(2)
	v_mov_b32_e32 v7, s5
	s_add_i32 s5, s5, 4
	s_cmp_lg_u32 s5, 16
	buffer_store_dword v6, v7, s[0:3], 0 offen
	s_cbranch_scc1 .LBB2110_368
; %bb.369:
	s_mov_b32 s5, 0
	.p2align	6
.LBB2110_370:                           ; =>This Inner Loop Header: Depth=1
	v_add_nc_u32_e64 v6, 0x88, s5
	v_add_nc_u32_e64 v7, 0xd0, s5
	s_waitcnt vmcnt(1)
	v_mov_b32_e32 v8, s5
	s_add_i32 s5, s5, 4
	s_clause 0x1
	buffer_load_dword v6, v6, s[0:3], 0 offen
	buffer_load_dword v7, v7, s[0:3], 0 offen offset:80
	s_cmp_lg_u32 s5, 16
	s_waitcnt vmcnt(0)
	v_add_nc_u32_e32 v6, v7, v6
	buffer_store_dword v6, v8, s[0:3], 0 offen
	s_cbranch_scc1 .LBB2110_370
; %bb.371:
	s_clause 0x3
	buffer_load_dword v6, off, s[0:3], 0
	buffer_load_dword v7, off, s[0:3], 0 offset:4
	buffer_load_dword v8, off, s[0:3], 0 offset:8
	;; [unrolled: 1-line block ×3, first 2 shown]
.LBB2110_372:
	s_or_b32 exec_lo, exec_lo, s4
	v_or_b32_e32 v9, v11, v9
	v_and_b32_e32 v11, 1, v12
	v_and_b32_e32 v12, 1, v13
	;; [unrolled: 1-line block ×3, first 2 shown]
	v_mov_b32_e32 v13, 0
	v_cmp_ne_u16_e32 vcc_lo, 0, v9
	v_cmp_eq_u32_e64 s4, 1, v11
	v_cmp_eq_u32_e64 s5, 1, v12
	;; [unrolled: 1-line block ×3, first 2 shown]
	v_mbcnt_lo_u32_b32 v9, -1, 0
	s_waitcnt vmcnt(3)
	v_mov_b32_dpp v14, v6 row_shr:1 row_mask:0xf bank_mask:0xf
	s_or_b32 s4, vcc_lo, s4
	s_waitcnt vmcnt(2)
	v_mov_b32_dpp v15, v7 row_shr:1 row_mask:0xf bank_mask:0xf
	s_or_b32 s4, s5, s4
	v_and_b32_e32 v11, 15, v9
	s_or_b32 s4, s4, s8
	s_waitcnt vmcnt(1)
	v_mov_b32_dpp v16, v8 row_shr:1 row_mask:0xf bank_mask:0xf
	v_cndmask_b32_e64 v5, 0, 1, s4
	s_waitcnt vmcnt(0)
	v_mov_b32_dpp v17, v10 row_shr:1 row_mask:0xf bank_mask:0xf
	s_mov_b32 s4, exec_lo
	buffer_store_byte v5, off, s[0:3], 0 offset:152
	buffer_load_dword v5, off, s[0:3], 0 offset:152
	buffer_store_dword v1, off, s[0:3], 0 offset:116
	buffer_store_dword v2, off, s[0:3], 0 offset:120
	;; [unrolled: 1-line block ×8, first 2 shown]
	buffer_store_byte v13, off, s[0:3], 0 offset:132
	s_waitcnt vmcnt(0)
	v_mov_b32_dpp v12, v5 row_shr:1 row_mask:0xf bank_mask:0xf
	buffer_store_dword v14, off, s[0:3], 0
	buffer_store_dword v15, off, s[0:3], 0 offset:4
	buffer_store_dword v16, off, s[0:3], 0 offset:8
	;; [unrolled: 1-line block ×4, first 2 shown]
	v_cmpx_ne_u32_e32 0, v11
	s_xor_b32 s4, exec_lo, s4
	s_cbranch_execz .LBB2110_380
; %bb.373:
	v_cmp_eq_u16_sdwa s8, v5, v13 src0_sel:BYTE_0 src1_sel:DWORD
	s_and_saveexec_b32 s5, s8
	s_cbranch_execz .LBB2110_379
; %bb.374:
	v_mov_b32_e32 v6, 0
	s_mov_b32 s8, 0
.LBB2110_375:                           ; =>This Inner Loop Header: Depth=1
	v_add_nc_u32_e64 v7, 0x60, s8
	s_add_i32 s8, s8, 4
	s_cmp_lg_u32 s8, 16
	buffer_store_dword v6, v7, s[0:3], 0 offen
	s_cbranch_scc1 .LBB2110_375
; %bb.376:
	s_mov_b32 s8, 0
	.p2align	6
.LBB2110_377:                           ; =>This Inner Loop Header: Depth=1
	v_mov_b32_e32 v6, s8
	v_add_nc_u32_e64 v7, 0x88, s8
	v_add_nc_u32_e64 v8, 0x60, s8
	s_add_i32 s8, s8, 4
	s_clause 0x1
	buffer_load_dword v6, v6, s[0:3], 0 offen
	buffer_load_dword v7, v7, s[0:3], 0 offen
	s_cmp_lg_u32 s8, 16
	s_waitcnt vmcnt(0)
	v_add_nc_u32_e32 v6, v7, v6
	buffer_store_dword v6, v8, s[0:3], 0 offen
	s_cbranch_scc1 .LBB2110_377
; %bb.378:
	s_clause 0x3
	buffer_load_dword v6, off, s[0:3], 0 offset:96
	buffer_load_dword v7, off, s[0:3], 0 offset:100
	;; [unrolled: 1-line block ×4, first 2 shown]
.LBB2110_379:
	s_or_b32 exec_lo, exec_lo, s5
	v_or_b32_e32 v5, v12, v5
	v_and_b32_e32 v5, 1, v5
	buffer_store_byte v5, off, s[0:3], 0 offset:152
	buffer_load_dword v5, off, s[0:3], 0 offset:152
	s_waitcnt vmcnt(4)
	buffer_store_dword v6, off, s[0:3], 0 offset:136
	s_waitcnt vmcnt(3)
	buffer_store_dword v7, off, s[0:3], 0 offset:140
	;; [unrolled: 2-line block ×4, first 2 shown]
.LBB2110_380:
	s_or_b32 exec_lo, exec_lo, s4
	v_mov_b32_dpp v13, v6 row_shr:2 row_mask:0xf bank_mask:0xf
	s_waitcnt vmcnt(0)
	v_mov_b32_dpp v12, v5 row_shr:2 row_mask:0xf bank_mask:0xf
	v_mov_b32_dpp v14, v7 row_shr:2 row_mask:0xf bank_mask:0xf
	;; [unrolled: 1-line block ×4, first 2 shown]
	s_mov_b32 s5, exec_lo
	buffer_store_dword v13, off, s[0:3], 0
	buffer_store_dword v14, off, s[0:3], 0 offset:4
	buffer_store_dword v15, off, s[0:3], 0 offset:8
	;; [unrolled: 1-line block ×4, first 2 shown]
	v_cmpx_lt_u32_e32 1, v11
	s_cbranch_execz .LBB2110_387
; %bb.381:
	v_mov_b32_e32 v13, 0
	s_mov_b32 s8, 0
	v_cmp_eq_u16_sdwa s9, v5, v13 src0_sel:BYTE_0 src1_sel:DWORD
	s_and_saveexec_b32 s4, s9
	s_cbranch_execz .LBB2110_386
.LBB2110_382:                           ; =>This Inner Loop Header: Depth=1
	v_add_nc_u32_e64 v6, 0x60, s8
	s_add_i32 s8, s8, 4
	s_cmp_lg_u32 s8, 16
	buffer_store_dword v13, v6, s[0:3], 0 offen
	s_cbranch_scc1 .LBB2110_382
; %bb.383:
	s_mov_b32 s8, 0
	.p2align	6
.LBB2110_384:                           ; =>This Inner Loop Header: Depth=1
	v_mov_b32_e32 v6, s8
	v_add_nc_u32_e64 v7, 0x88, s8
	v_add_nc_u32_e64 v8, 0x60, s8
	s_add_i32 s8, s8, 4
	s_clause 0x1
	buffer_load_dword v6, v6, s[0:3], 0 offen
	buffer_load_dword v7, v7, s[0:3], 0 offen
	s_cmp_lg_u32 s8, 16
	s_waitcnt vmcnt(0)
	v_add_nc_u32_e32 v6, v7, v6
	buffer_store_dword v6, v8, s[0:3], 0 offen
	s_cbranch_scc1 .LBB2110_384
; %bb.385:
	s_clause 0x3
	buffer_load_dword v6, off, s[0:3], 0 offset:96
	buffer_load_dword v7, off, s[0:3], 0 offset:100
	;; [unrolled: 1-line block ×4, first 2 shown]
.LBB2110_386:
	s_or_b32 exec_lo, exec_lo, s4
	v_and_b32_e32 v5, 1, v5
	v_and_b32_e32 v12, 1, v12
	v_cmp_eq_u32_e32 vcc_lo, 1, v5
	v_cmp_eq_u32_e64 s4, 1, v12
	s_or_b32 s4, vcc_lo, s4
	v_cndmask_b32_e64 v5, 0, 1, s4
	buffer_store_byte v5, off, s[0:3], 0 offset:152
	buffer_load_dword v5, off, s[0:3], 0 offset:152
	s_waitcnt vmcnt(4)
	buffer_store_dword v6, off, s[0:3], 0 offset:136
	s_waitcnt vmcnt(3)
	buffer_store_dword v7, off, s[0:3], 0 offset:140
	;; [unrolled: 2-line block ×4, first 2 shown]
.LBB2110_387:
	s_or_b32 exec_lo, exec_lo, s5
	v_mov_b32_dpp v13, v6 row_shr:4 row_mask:0xf bank_mask:0xf
	s_waitcnt vmcnt(0)
	v_mov_b32_dpp v12, v5 row_shr:4 row_mask:0xf bank_mask:0xf
	v_mov_b32_dpp v14, v7 row_shr:4 row_mask:0xf bank_mask:0xf
	;; [unrolled: 1-line block ×4, first 2 shown]
	s_mov_b32 s5, exec_lo
	buffer_store_dword v13, off, s[0:3], 0
	buffer_store_dword v14, off, s[0:3], 0 offset:4
	buffer_store_dword v15, off, s[0:3], 0 offset:8
	;; [unrolled: 1-line block ×4, first 2 shown]
	v_cmpx_lt_u32_e32 3, v11
	s_cbranch_execz .LBB2110_394
; %bb.388:
	v_mov_b32_e32 v13, 0
	s_mov_b32 s8, 0
	v_cmp_eq_u16_sdwa s9, v5, v13 src0_sel:BYTE_0 src1_sel:DWORD
	s_and_saveexec_b32 s4, s9
	s_cbranch_execz .LBB2110_393
.LBB2110_389:                           ; =>This Inner Loop Header: Depth=1
	v_add_nc_u32_e64 v6, 0x60, s8
	s_add_i32 s8, s8, 4
	s_cmp_lg_u32 s8, 16
	buffer_store_dword v13, v6, s[0:3], 0 offen
	s_cbranch_scc1 .LBB2110_389
; %bb.390:
	s_mov_b32 s8, 0
	.p2align	6
.LBB2110_391:                           ; =>This Inner Loop Header: Depth=1
	v_mov_b32_e32 v6, s8
	v_add_nc_u32_e64 v7, 0x88, s8
	v_add_nc_u32_e64 v8, 0x60, s8
	s_add_i32 s8, s8, 4
	s_clause 0x1
	buffer_load_dword v6, v6, s[0:3], 0 offen
	buffer_load_dword v7, v7, s[0:3], 0 offen
	s_cmp_lg_u32 s8, 16
	s_waitcnt vmcnt(0)
	v_add_nc_u32_e32 v6, v7, v6
	buffer_store_dword v6, v8, s[0:3], 0 offen
	s_cbranch_scc1 .LBB2110_391
; %bb.392:
	s_clause 0x3
	buffer_load_dword v6, off, s[0:3], 0 offset:96
	buffer_load_dword v7, off, s[0:3], 0 offset:100
	;; [unrolled: 1-line block ×4, first 2 shown]
.LBB2110_393:
	s_or_b32 exec_lo, exec_lo, s4
	v_and_b32_e32 v5, 1, v5
	v_and_b32_e32 v12, 1, v12
	v_cmp_eq_u32_e32 vcc_lo, 1, v5
	v_cmp_eq_u32_e64 s4, 1, v12
	s_or_b32 s4, vcc_lo, s4
	v_cndmask_b32_e64 v5, 0, 1, s4
	buffer_store_byte v5, off, s[0:3], 0 offset:152
	buffer_load_dword v5, off, s[0:3], 0 offset:152
	s_waitcnt vmcnt(4)
	buffer_store_dword v6, off, s[0:3], 0 offset:136
	s_waitcnt vmcnt(3)
	buffer_store_dword v7, off, s[0:3], 0 offset:140
	;; [unrolled: 2-line block ×4, first 2 shown]
.LBB2110_394:
	s_or_b32 exec_lo, exec_lo, s5
	v_mov_b32_dpp v13, v6 row_shr:8 row_mask:0xf bank_mask:0xf
	s_waitcnt vmcnt(0)
	v_mov_b32_dpp v12, v5 row_shr:8 row_mask:0xf bank_mask:0xf
	v_mov_b32_dpp v14, v7 row_shr:8 row_mask:0xf bank_mask:0xf
	;; [unrolled: 1-line block ×4, first 2 shown]
	s_mov_b32 s5, exec_lo
	buffer_store_dword v13, off, s[0:3], 0
	buffer_store_dword v14, off, s[0:3], 0 offset:4
	buffer_store_dword v15, off, s[0:3], 0 offset:8
	;; [unrolled: 1-line block ×4, first 2 shown]
	v_cmpx_lt_u32_e32 7, v11
	s_cbranch_execz .LBB2110_401
; %bb.395:
	v_mov_b32_e32 v11, 0
	s_mov_b32 s8, 0
	v_cmp_eq_u16_sdwa s9, v5, v11 src0_sel:BYTE_0 src1_sel:DWORD
	s_and_saveexec_b32 s4, s9
	s_cbranch_execz .LBB2110_400
.LBB2110_396:                           ; =>This Inner Loop Header: Depth=1
	v_add_nc_u32_e64 v6, 0x60, s8
	s_add_i32 s8, s8, 4
	s_cmp_lg_u32 s8, 16
	buffer_store_dword v11, v6, s[0:3], 0 offen
	s_cbranch_scc1 .LBB2110_396
; %bb.397:
	s_mov_b32 s8, 0
	.p2align	6
.LBB2110_398:                           ; =>This Inner Loop Header: Depth=1
	v_mov_b32_e32 v6, s8
	v_add_nc_u32_e64 v7, 0x88, s8
	v_add_nc_u32_e64 v8, 0x60, s8
	s_add_i32 s8, s8, 4
	s_clause 0x1
	buffer_load_dword v6, v6, s[0:3], 0 offen
	buffer_load_dword v7, v7, s[0:3], 0 offen
	s_cmp_lg_u32 s8, 16
	s_waitcnt vmcnt(0)
	v_add_nc_u32_e32 v6, v7, v6
	buffer_store_dword v6, v8, s[0:3], 0 offen
	s_cbranch_scc1 .LBB2110_398
; %bb.399:
	s_clause 0x3
	buffer_load_dword v6, off, s[0:3], 0 offset:96
	buffer_load_dword v7, off, s[0:3], 0 offset:100
	;; [unrolled: 1-line block ×4, first 2 shown]
.LBB2110_400:
	s_or_b32 exec_lo, exec_lo, s4
	v_and_b32_e32 v5, 1, v5
	v_and_b32_e32 v11, 1, v12
	v_cmp_eq_u32_e32 vcc_lo, 1, v5
	v_cmp_eq_u32_e64 s4, 1, v11
	s_or_b32 s4, vcc_lo, s4
	v_cndmask_b32_e64 v5, 0, 1, s4
	buffer_store_byte v5, off, s[0:3], 0 offset:152
	buffer_load_dword v5, off, s[0:3], 0 offset:152
	s_waitcnt vmcnt(4)
	buffer_store_dword v6, off, s[0:3], 0 offset:136
	s_waitcnt vmcnt(3)
	buffer_store_dword v7, off, s[0:3], 0 offset:140
	;; [unrolled: 2-line block ×4, first 2 shown]
.LBB2110_401:
	s_or_b32 exec_lo, exec_lo, s5
	ds_swizzle_b32 v12, v6 offset:swizzle(BROADCAST,32,15)
	s_waitcnt vmcnt(0)
	ds_swizzle_b32 v11, v5 offset:swizzle(BROADCAST,32,15)
	ds_swizzle_b32 v13, v7 offset:swizzle(BROADCAST,32,15)
	;; [unrolled: 1-line block ×4, first 2 shown]
	v_and_b32_e32 v16, 16, v9
	s_mov_b32 s5, exec_lo
	s_waitcnt lgkmcnt(4)
	buffer_store_dword v12, off, s[0:3], 0
	s_waitcnt lgkmcnt(2)
	buffer_store_dword v13, off, s[0:3], 0 offset:4
	s_waitcnt lgkmcnt(1)
	buffer_store_dword v14, off, s[0:3], 0 offset:8
	;; [unrolled: 2-line block ×3, first 2 shown]
	buffer_store_dword v11, off, s[0:3], 0 offset:16
	v_cmpx_ne_u32_e32 0, v16
	s_cbranch_execz .LBB2110_408
; %bb.402:
	v_mov_b32_e32 v12, 0
	s_mov_b32 s8, 0
	v_cmp_eq_u16_sdwa s9, v5, v12 src0_sel:BYTE_0 src1_sel:DWORD
	s_and_saveexec_b32 s4, s9
	s_cbranch_execz .LBB2110_407
.LBB2110_403:                           ; =>This Inner Loop Header: Depth=1
	v_add_nc_u32_e64 v6, 0x60, s8
	s_add_i32 s8, s8, 4
	s_cmp_lg_u32 s8, 16
	buffer_store_dword v12, v6, s[0:3], 0 offen
	s_cbranch_scc1 .LBB2110_403
; %bb.404:
	s_mov_b32 s8, 0
	.p2align	6
.LBB2110_405:                           ; =>This Inner Loop Header: Depth=1
	v_mov_b32_e32 v6, s8
	v_add_nc_u32_e64 v7, 0x88, s8
	v_add_nc_u32_e64 v8, 0x60, s8
	s_add_i32 s8, s8, 4
	s_clause 0x1
	buffer_load_dword v6, v6, s[0:3], 0 offen
	buffer_load_dword v7, v7, s[0:3], 0 offen
	s_cmp_lg_u32 s8, 16
	s_waitcnt vmcnt(0)
	v_add_nc_u32_e32 v6, v7, v6
	buffer_store_dword v6, v8, s[0:3], 0 offen
	s_cbranch_scc1 .LBB2110_405
; %bb.406:
	s_clause 0x3
	buffer_load_dword v6, off, s[0:3], 0 offset:96
	buffer_load_dword v7, off, s[0:3], 0 offset:100
	;; [unrolled: 1-line block ×4, first 2 shown]
.LBB2110_407:
	s_or_b32 exec_lo, exec_lo, s4
	v_and_b32_e32 v5, 1, v5
	v_and_b32_e32 v11, 1, v11
	v_cmp_eq_u32_e32 vcc_lo, 1, v5
	v_cmp_eq_u32_e64 s4, 1, v11
	s_or_b32 s4, vcc_lo, s4
	v_cndmask_b32_e64 v5, 0, 1, s4
	s_waitcnt vmcnt(3)
	buffer_store_dword v6, off, s[0:3], 0 offset:136
	s_waitcnt vmcnt(2)
	buffer_store_dword v7, off, s[0:3], 0 offset:140
	s_waitcnt vmcnt(1)
	buffer_store_dword v8, off, s[0:3], 0 offset:144
	s_waitcnt vmcnt(0)
	buffer_store_dword v10, off, s[0:3], 0 offset:148
	buffer_store_byte v5, off, s[0:3], 0 offset:152
.LBB2110_408:
	s_or_b32 exec_lo, exec_lo, s5
	v_or_b32_e32 v12, 31, v0
	v_lshrrev_b32_e32 v11, 5, v0
	s_mov_b32 s4, exec_lo
	v_cmpx_eq_u32_e64 v0, v12
	s_cbranch_execz .LBB2110_410
; %bb.409:
	v_mul_u32_u24_e32 v12, 20, v11
	ds_write2_b32 v12, v6, v7 offset1:1
	ds_write2_b32 v12, v8, v10 offset0:2 offset1:3
	ds_write_b8 v12, v5 offset:16
.LBB2110_410:
	s_or_b32 exec_lo, exec_lo, s4
	s_mov_b32 s5, exec_lo
	s_waitcnt lgkmcnt(0)
	s_waitcnt_vscnt null, 0x0
	s_barrier
	buffer_gl0_inv
	v_cmpx_gt_u32_e32 8, v0
	s_cbranch_execz .LBB2110_434
; %bb.411:
	v_mul_u32_u24_e32 v10, 20, v0
	v_and_b32_e32 v13, 7, v9
	s_mov_b32 s4, exec_lo
	ds_read_b32 v12, v10 offset:16
	ds_read2_b32 v[5:6], v10 offset0:2 offset1:3
	ds_read2_b32 v[7:8], v10 offset1:1
	s_waitcnt lgkmcnt(2)
	buffer_store_dword v12, off, s[0:3], 0 offset:112
	s_waitcnt lgkmcnt(1)
	buffer_store_dword v6, off, s[0:3], 0 offset:108
	buffer_store_dword v5, off, s[0:3], 0 offset:104
	s_waitcnt lgkmcnt(0)
	buffer_store_dword v8, off, s[0:3], 0 offset:100
	buffer_store_dword v7, off, s[0:3], 0 offset:96
	v_mov_b32_dpp v15, v7 row_shr:1 row_mask:0xf bank_mask:0xf
	v_mov_b32_dpp v14, v12 row_shr:1 row_mask:0xf bank_mask:0xf
	;; [unrolled: 1-line block ×5, first 2 shown]
	buffer_store_dword v15, off, s[0:3], 0
	buffer_store_dword v16, off, s[0:3], 0 offset:4
	buffer_store_dword v17, off, s[0:3], 0 offset:8
	;; [unrolled: 1-line block ×4, first 2 shown]
	v_cmpx_ne_u32_e32 0, v13
	s_cbranch_execz .LBB2110_419
; %bb.412:
	v_mov_b32_e32 v15, 0
	v_cmp_eq_u16_sdwa s9, v12, v15 src0_sel:BYTE_0 src1_sel:DWORD
	s_and_saveexec_b32 s8, s9
	s_cbranch_execz .LBB2110_418
; %bb.413:
	s_mov_b32 s9, 0
.LBB2110_414:                           ; =>This Inner Loop Header: Depth=1
	v_add_nc_u32_e64 v5, 0x50, s9
	s_add_i32 s9, s9, 4
	s_cmp_lg_u32 s9, 16
	buffer_store_dword v15, v5, s[0:3], 0 offen
	s_cbranch_scc1 .LBB2110_414
; %bb.415:
	s_mov_b32 s9, 0
	.p2align	6
.LBB2110_416:                           ; =>This Inner Loop Header: Depth=1
	v_mov_b32_e32 v5, s9
	v_add_nc_u32_e64 v6, 0x60, s9
	v_add_nc_u32_e64 v7, 0x50, s9
	s_add_i32 s9, s9, 4
	s_clause 0x1
	buffer_load_dword v5, v5, s[0:3], 0 offen
	buffer_load_dword v6, v6, s[0:3], 0 offen
	s_cmp_lg_u32 s9, 16
	s_waitcnt vmcnt(0)
	v_add_nc_u32_e32 v5, v6, v5
	buffer_store_dword v5, v7, s[0:3], 0 offen
	s_cbranch_scc1 .LBB2110_416
; %bb.417:
	s_clause 0x3
	buffer_load_dword v7, off, s[0:3], 0 offset:80
	buffer_load_dword v8, off, s[0:3], 0 offset:84
	;; [unrolled: 1-line block ×4, first 2 shown]
.LBB2110_418:
	s_or_b32 exec_lo, exec_lo, s8
	v_or_b32_e32 v12, v14, v12
	v_and_b32_e32 v12, 1, v12
	buffer_store_byte v12, off, s[0:3], 0 offset:112
	buffer_load_dword v12, off, s[0:3], 0 offset:112
	s_waitcnt vmcnt(4)
	buffer_store_dword v7, off, s[0:3], 0 offset:96
	s_waitcnt vmcnt(3)
	buffer_store_dword v8, off, s[0:3], 0 offset:100
	;; [unrolled: 2-line block ×4, first 2 shown]
.LBB2110_419:
	s_or_b32 exec_lo, exec_lo, s4
	v_mov_b32_dpp v15, v7 row_shr:2 row_mask:0xf bank_mask:0xf
	s_waitcnt vmcnt(0)
	v_mov_b32_dpp v14, v12 row_shr:2 row_mask:0xf bank_mask:0xf
	v_mov_b32_dpp v16, v8 row_shr:2 row_mask:0xf bank_mask:0xf
	v_mov_b32_dpp v17, v5 row_shr:2 row_mask:0xf bank_mask:0xf
	v_mov_b32_dpp v18, v6 row_shr:2 row_mask:0xf bank_mask:0xf
	s_mov_b32 s8, exec_lo
	buffer_store_dword v15, off, s[0:3], 0
	buffer_store_dword v16, off, s[0:3], 0 offset:4
	buffer_store_dword v17, off, s[0:3], 0 offset:8
	;; [unrolled: 1-line block ×4, first 2 shown]
	v_cmpx_lt_u32_e32 1, v13
	s_cbranch_execz .LBB2110_426
; %bb.420:
	v_mov_b32_e32 v15, 0
	s_mov_b32 s9, 0
	v_cmp_eq_u16_sdwa s10, v12, v15 src0_sel:BYTE_0 src1_sel:DWORD
	s_and_saveexec_b32 s4, s10
	s_cbranch_execz .LBB2110_425
.LBB2110_421:                           ; =>This Inner Loop Header: Depth=1
	v_add_nc_u32_e64 v5, 0x50, s9
	s_add_i32 s9, s9, 4
	s_cmp_lg_u32 s9, 16
	buffer_store_dword v15, v5, s[0:3], 0 offen
	s_cbranch_scc1 .LBB2110_421
; %bb.422:
	s_mov_b32 s9, 0
	.p2align	6
.LBB2110_423:                           ; =>This Inner Loop Header: Depth=1
	v_mov_b32_e32 v5, s9
	v_add_nc_u32_e64 v6, 0x60, s9
	v_add_nc_u32_e64 v7, 0x50, s9
	s_add_i32 s9, s9, 4
	s_clause 0x1
	buffer_load_dword v5, v5, s[0:3], 0 offen
	buffer_load_dword v6, v6, s[0:3], 0 offen
	s_cmp_lg_u32 s9, 16
	s_waitcnt vmcnt(0)
	v_add_nc_u32_e32 v5, v6, v5
	buffer_store_dword v5, v7, s[0:3], 0 offen
	s_cbranch_scc1 .LBB2110_423
; %bb.424:
	s_clause 0x3
	buffer_load_dword v7, off, s[0:3], 0 offset:80
	buffer_load_dword v8, off, s[0:3], 0 offset:84
	;; [unrolled: 1-line block ×4, first 2 shown]
.LBB2110_425:
	s_or_b32 exec_lo, exec_lo, s4
	v_and_b32_e32 v12, 1, v12
	v_and_b32_e32 v14, 1, v14
	v_cmp_eq_u32_e32 vcc_lo, 1, v12
	v_cmp_eq_u32_e64 s4, 1, v14
	s_or_b32 s4, vcc_lo, s4
	v_cndmask_b32_e64 v12, 0, 1, s4
	buffer_store_byte v12, off, s[0:3], 0 offset:112
	buffer_load_dword v12, off, s[0:3], 0 offset:112
	s_waitcnt vmcnt(4)
	buffer_store_dword v7, off, s[0:3], 0 offset:96
	s_waitcnt vmcnt(3)
	buffer_store_dword v8, off, s[0:3], 0 offset:100
	;; [unrolled: 2-line block ×4, first 2 shown]
.LBB2110_426:
	s_or_b32 exec_lo, exec_lo, s8
	v_mov_b32_dpp v15, v7 row_shr:4 row_mask:0xf bank_mask:0xf
	s_waitcnt vmcnt(0)
	v_mov_b32_dpp v14, v12 row_shr:4 row_mask:0xf bank_mask:0xf
	v_mov_b32_dpp v16, v8 row_shr:4 row_mask:0xf bank_mask:0xf
	;; [unrolled: 1-line block ×4, first 2 shown]
	s_mov_b32 s8, exec_lo
	buffer_store_dword v15, off, s[0:3], 0
	buffer_store_dword v16, off, s[0:3], 0 offset:4
	buffer_store_dword v17, off, s[0:3], 0 offset:8
	;; [unrolled: 1-line block ×4, first 2 shown]
	v_cmpx_lt_u32_e32 3, v13
	s_cbranch_execz .LBB2110_433
; %bb.427:
	v_mov_b32_e32 v13, 0
	s_mov_b32 s9, 0
	v_cmp_eq_u16_sdwa s10, v12, v13 src0_sel:BYTE_0 src1_sel:DWORD
	s_and_saveexec_b32 s4, s10
	s_cbranch_execz .LBB2110_432
.LBB2110_428:                           ; =>This Inner Loop Header: Depth=1
	v_add_nc_u32_e64 v5, 0x50, s9
	s_add_i32 s9, s9, 4
	s_cmp_lg_u32 s9, 16
	buffer_store_dword v13, v5, s[0:3], 0 offen
	s_cbranch_scc1 .LBB2110_428
; %bb.429:
	s_mov_b32 s9, 0
	.p2align	6
.LBB2110_430:                           ; =>This Inner Loop Header: Depth=1
	v_mov_b32_e32 v5, s9
	v_add_nc_u32_e64 v6, 0x60, s9
	v_add_nc_u32_e64 v7, 0x50, s9
	s_add_i32 s9, s9, 4
	s_clause 0x1
	buffer_load_dword v5, v5, s[0:3], 0 offen
	buffer_load_dword v6, v6, s[0:3], 0 offen
	s_cmp_lg_u32 s9, 16
	s_waitcnt vmcnt(0)
	v_add_nc_u32_e32 v5, v6, v5
	buffer_store_dword v5, v7, s[0:3], 0 offen
	s_cbranch_scc1 .LBB2110_430
; %bb.431:
	s_clause 0x3
	buffer_load_dword v7, off, s[0:3], 0 offset:80
	buffer_load_dword v8, off, s[0:3], 0 offset:84
	;; [unrolled: 1-line block ×4, first 2 shown]
.LBB2110_432:
	s_or_b32 exec_lo, exec_lo, s4
	v_and_b32_e32 v12, 1, v12
	v_and_b32_e32 v13, 1, v14
	s_waitcnt vmcnt(3)
	buffer_store_dword v7, off, s[0:3], 0 offset:96
	s_waitcnt vmcnt(2)
	buffer_store_dword v8, off, s[0:3], 0 offset:100
	;; [unrolled: 2-line block ×4, first 2 shown]
	v_cmp_eq_u32_e32 vcc_lo, 1, v12
	v_cmp_eq_u32_e64 s4, 1, v13
	s_or_b32 s4, vcc_lo, s4
	v_cndmask_b32_e64 v12, 0, 1, s4
.LBB2110_433:
	s_or_b32 exec_lo, exec_lo, s8
	s_clause 0x3
	buffer_load_dword v5, off, s[0:3], 0 offset:96
	buffer_load_dword v6, off, s[0:3], 0 offset:104
	;; [unrolled: 1-line block ×4, first 2 shown]
	s_waitcnt vmcnt(1)
	ds_write2_b32 v10, v6, v7 offset0:2 offset1:3
	s_waitcnt vmcnt(0)
	ds_write2_b32 v10, v5, v8 offset1:1
	ds_write_b8 v10, v12 offset:16
.LBB2110_434:
	s_or_b32 exec_lo, exec_lo, s5
	s_waitcnt lgkmcnt(0)
	s_waitcnt_vscnt null, 0x0
	s_barrier
	buffer_gl0_inv
	s_clause 0x4
	buffer_load_dword v5, off, s[0:3], 0 offset:128
	buffer_load_dword v6, off, s[0:3], 0 offset:124
	buffer_load_dword v7, off, s[0:3], 0 offset:120
	buffer_load_dword v8, off, s[0:3], 0 offset:116
	buffer_load_dword v10, off, s[0:3], 0 offset:132
	s_mov_b32 s4, exec_lo
	s_waitcnt vmcnt(4)
	buffer_store_dword v5, off, s[0:3], 0 offset:12
	s_waitcnt vmcnt(3)
	buffer_store_dword v6, off, s[0:3], 0 offset:8
	;; [unrolled: 2-line block ×3, first 2 shown]
	s_waitcnt vmcnt(1)
	buffer_store_dword v8, off, s[0:3], 0
	s_waitcnt vmcnt(0)
	buffer_store_dword v10, off, s[0:3], 0 offset:16
	v_cmpx_lt_u32_e32 31, v0
	s_cbranch_execz .LBB2110_444
; %bb.435:
	v_mad_u32_u24 v5, v11, 20, -4
	v_mad_u32_u24 v12, v11, 20, 0xffffffec
	s_mov_b32 s5, exec_lo
                                        ; implicit-def: $vgpr8
	ds_read_u8 v10, v5
                                        ; implicit-def: $vgpr5
	s_waitcnt lgkmcnt(0)
	v_cmpx_ne_u16_e32 0, v10
	s_xor_b32 s5, exec_lo, s5
	s_cbranch_execz .LBB2110_437
; %bb.436:
	v_mul_u32_u24_e32 v5, 20, v11
	v_add_nc_u32_e32 v7, -12, v5
	ds_read2_b32 v[5:6], v12 offset1:1
	ds_read2_b32 v[7:8], v7 offset1:1
                                        ; implicit-def: $vgpr12
.LBB2110_437:
	s_andn2_saveexec_b32 s5, s5
	s_cbranch_execz .LBB2110_443
; %bb.438:
	s_waitcnt lgkmcnt(1)
	v_mov_b32_e32 v5, 0
	s_mov_b32 s8, 0
.LBB2110_439:                           ; =>This Inner Loop Header: Depth=1
	v_add_nc_u32_e64 v6, 0x60, s8
	s_add_i32 s8, s8, 4
	s_cmp_lg_u32 s8, 16
	buffer_store_dword v5, v6, s[0:3], 0 offen
	s_cbranch_scc1 .LBB2110_439
; %bb.440:
	s_mov_b32 s8, 0
	.p2align	6
.LBB2110_441:                           ; =>This Inner Loop Header: Depth=1
	v_add_nc_u32_e64 v5, 0x74, s8
	v_add_nc_u32_e32 v6, s8, v12
	s_waitcnt lgkmcnt(0)
	v_add_nc_u32_e64 v7, 0x60, s8
	s_add_i32 s8, s8, 4
	s_cmp_lg_u32 s8, 16
	buffer_load_dword v5, v5, s[0:3], 0 offen
	ds_read_b32 v6, v6
	s_waitcnt vmcnt(0) lgkmcnt(0)
	v_add_nc_u32_e32 v5, v6, v5
	buffer_store_dword v5, v7, s[0:3], 0 offen
	s_cbranch_scc1 .LBB2110_441
; %bb.442:
	s_clause 0x3
	buffer_load_dword v5, off, s[0:3], 0 offset:96
	buffer_load_dword v6, off, s[0:3], 0 offset:100
	;; [unrolled: 1-line block ×4, first 2 shown]
.LBB2110_443:
	s_or_b32 exec_lo, exec_lo, s5
	buffer_load_ubyte v11, off, s[0:3], 0 offset:132
	s_waitcnt vmcnt(0)
	v_or_b32_e32 v10, v10, v11
	v_and_b32_e32 v10, 1, v10
	s_waitcnt lgkmcnt(1)
	buffer_store_dword v5, off, s[0:3], 0
	buffer_store_dword v6, off, s[0:3], 0 offset:4
	s_waitcnt lgkmcnt(0)
	buffer_store_dword v7, off, s[0:3], 0 offset:8
	buffer_store_dword v8, off, s[0:3], 0 offset:12
	buffer_store_byte v10, off, s[0:3], 0 offset:16
.LBB2110_444:
	s_or_b32 exec_lo, exec_lo, s4
	buffer_load_ubyte v5, off, s[0:3], 0 offset:152
	s_mov_b32 s4, exec_lo
                                        ; implicit-def: $vgpr7
                                        ; implicit-def: $vgpr6
                                        ; implicit-def: $vgpr8
                                        ; implicit-def: $vgpr10
	s_waitcnt vmcnt(0)
	v_cmpx_ne_u16_e32 0, v5
	s_xor_b32 s4, exec_lo, s4
	s_cbranch_execz .LBB2110_446
; %bb.445:
	s_clause 0x3
	buffer_load_dword v6, off, s[0:3], 0 offset:136
	buffer_load_dword v8, off, s[0:3], 0 offset:140
	;; [unrolled: 1-line block ×4, first 2 shown]
.LBB2110_446:
	s_andn2_saveexec_b32 s4, s4
	s_cbranch_execz .LBB2110_452
; %bb.447:
	s_waitcnt vmcnt(3)
	v_mov_b32_e32 v6, 0
	s_mov_b32 s5, 0
.LBB2110_448:                           ; =>This Inner Loop Header: Depth=1
	s_waitcnt vmcnt(0)
	v_add_nc_u32_e64 v7, 0x60, s5
	s_add_i32 s5, s5, 4
	s_cmp_lg_u32 s5, 16
	buffer_store_dword v6, v7, s[0:3], 0 offen
	s_cbranch_scc1 .LBB2110_448
; %bb.449:
	s_mov_b32 s5, 0
	.p2align	6
.LBB2110_450:                           ; =>This Inner Loop Header: Depth=1
	v_mov_b32_e32 v6, s5
	v_add_nc_u32_e64 v7, 0x88, s5
	v_add_nc_u32_e64 v8, 0x60, s5
	s_add_i32 s5, s5, 4
	s_clause 0x1
	buffer_load_dword v6, v6, s[0:3], 0 offen
	buffer_load_dword v7, v7, s[0:3], 0 offen
	s_cmp_lg_u32 s5, 16
	s_waitcnt vmcnt(0)
	v_add_nc_u32_e32 v6, v7, v6
	buffer_store_dword v6, v8, s[0:3], 0 offen
	s_cbranch_scc1 .LBB2110_450
; %bb.451:
	s_clause 0x3
	buffer_load_dword v6, off, s[0:3], 0 offset:96
	buffer_load_dword v8, off, s[0:3], 0 offset:100
	buffer_load_dword v10, off, s[0:3], 0 offset:104
	buffer_load_dword v7, off, s[0:3], 0 offset:108
.LBB2110_452:
	s_or_b32 exec_lo, exec_lo, s4
	buffer_load_ubyte v11, off, s[0:3], 0 offset:16
	v_sub_co_u32 v12, s5, v9, 1
	v_cmp_gt_i32_e32 vcc_lo, 0, v12
	v_cndmask_b32_e32 v9, v12, v9, vcc_lo
	v_lshlrev_b32_e32 v9, 2, v9
	s_waitcnt vmcnt(4)
	ds_bpermute_b32 v6, v9, v6
	s_waitcnt vmcnt(3)
	ds_bpermute_b32 v8, v9, v8
	;; [unrolled: 2-line block ×4, first 2 shown]
	s_waitcnt vmcnt(0)
	v_or_b32_e32 v5, v5, v11
	v_and_b32_e32 v5, 1, v5
	buffer_store_byte v5, off, s[0:3], 0 offset:152
	buffer_load_dword v5, off, s[0:3], 0 offset:152
	s_waitcnt lgkmcnt(3)
	buffer_store_dword v6, off, s[0:3], 0 offset:136
	s_waitcnt lgkmcnt(2)
	buffer_store_dword v8, off, s[0:3], 0 offset:140
	;; [unrolled: 2-line block ×4, first 2 shown]
	s_waitcnt vmcnt(0)
	ds_bpermute_b32 v5, v9, v5
	s_and_saveexec_b32 s4, s5
	s_cbranch_execz .LBB2110_454
; %bb.453:
	s_clause 0x3
	buffer_load_dword v6, off, s[0:3], 0 offset:12
	buffer_load_dword v7, off, s[0:3], 0 offset:8
	;; [unrolled: 1-line block ×3, first 2 shown]
	buffer_load_dword v9, off, s[0:3], 0
	s_waitcnt lgkmcnt(0)
	v_mov_b32_e32 v5, v11
	s_waitcnt vmcnt(3)
	buffer_store_dword v6, off, s[0:3], 0 offset:148
	s_waitcnt vmcnt(2)
	buffer_store_dword v7, off, s[0:3], 0 offset:144
	;; [unrolled: 2-line block ×4, first 2 shown]
.LBB2110_454:
	s_or_b32 exec_lo, exec_lo, s4
	s_clause 0x4
	buffer_load_dword v6, off, s[0:3], 0 offset:220
	buffer_load_dword v7, off, s[0:3], 0 offset:216
	;; [unrolled: 1-line block ×5, first 2 shown]
	buffer_store_dword v1, off, s[0:3], 0 offset:96
	buffer_store_dword v2, off, s[0:3], 0 offset:100
	;; [unrolled: 1-line block ×4, first 2 shown]
	v_mov_b32_e32 v1, 0
	s_waitcnt vmcnt(4)
	buffer_store_dword v6, off, s[0:3], 0 offset:12
	s_waitcnt vmcnt(3)
	buffer_store_dword v7, off, s[0:3], 0 offset:8
	;; [unrolled: 2-line block ×3, first 2 shown]
	s_waitcnt vmcnt(1)
	buffer_store_dword v9, off, s[0:3], 0
	s_waitcnt vmcnt(0)
	buffer_store_dword v10, off, s[0:3], 0 offset:16
	buffer_store_byte v1, off, s[0:3], 0 offset:112
	s_and_saveexec_b32 s4, s7
	s_cbranch_execz .LBB2110_456
; %bb.455:
	s_clause 0x3
	buffer_load_dword v2, off, s[0:3], 0 offset:148
	buffer_load_dword v3, off, s[0:3], 0 offset:144
	;; [unrolled: 1-line block ×4, first 2 shown]
	s_waitcnt lgkmcnt(0)
	v_mov_b32_e32 v1, v5
	s_waitcnt vmcnt(3)
	buffer_store_dword v2, off, s[0:3], 0 offset:108
	s_waitcnt vmcnt(2)
	buffer_store_dword v3, off, s[0:3], 0 offset:104
	;; [unrolled: 2-line block ×4, first 2 shown]
.LBB2110_456:
	s_or_b32 exec_lo, exec_lo, s4
	s_clause 0x2
	buffer_load_dword v2, off, s[0:3], 0 offset:108
	buffer_load_ubyte v3, off, s[0:3], 0 offset:16
	buffer_load_dword v4, off, s[0:3], 0 offset:104
	s_waitcnt lgkmcnt(0)
	s_clause 0x1
	buffer_load_dword v5, off, s[0:3], 0 offset:100
	buffer_load_dword v6, off, s[0:3], 0 offset:96
	s_mov_b32 s4, exec_lo
                                        ; implicit-def: $vgpr7
	s_waitcnt vmcnt(4)
	buffer_store_dword v2, off, s[0:3], 0 offset:220
	s_waitcnt vmcnt(2)
	buffer_store_dword v4, off, s[0:3], 0 offset:216
	;; [unrolled: 2-line block ×4, first 2 shown]
	buffer_store_byte v1, off, s[0:3], 0 offset:224
                                        ; implicit-def: $vgpr4
                                        ; implicit-def: $vgpr5
                                        ; implicit-def: $vgpr6
	v_cmpx_ne_u16_e32 0, v3
	s_xor_b32 s4, exec_lo, s4
	s_cbranch_execz .LBB2110_458
; %bb.457:
	s_clause 0x3
	buffer_load_dword v7, off, s[0:3], 0
	buffer_load_dword v5, off, s[0:3], 0 offset:4
	buffer_load_dword v6, off, s[0:3], 0 offset:8
	;; [unrolled: 1-line block ×3, first 2 shown]
.LBB2110_458:
	s_andn2_saveexec_b32 s4, s4
	s_cbranch_execz .LBB2110_464
; %bb.459:
	v_mov_b32_e32 v2, 0
	s_mov_b32 s5, 0
.LBB2110_460:                           ; =>This Inner Loop Header: Depth=1
	s_waitcnt vmcnt(0)
	v_add_nc_u32_e64 v4, 0x74, s5
	s_add_i32 s5, s5, 4
	s_cmp_lg_u32 s5, 16
	buffer_store_dword v2, v4, s[0:3], 0 offen
	s_cbranch_scc1 .LBB2110_460
; %bb.461:
	s_mov_b32 s5, 0
	.p2align	6
.LBB2110_462:                           ; =>This Inner Loop Header: Depth=1
	v_add_nc_u32_e64 v2, 0x60, s5
	v_mov_b32_e32 v4, s5
	v_add_nc_u32_e64 v5, 0x74, s5
	s_add_i32 s5, s5, 4
	s_clause 0x1
	buffer_load_dword v2, v2, s[0:3], 0 offen
	buffer_load_dword v4, v4, s[0:3], 0 offen
	s_cmp_lg_u32 s5, 16
	s_waitcnt vmcnt(0)
	v_add_nc_u32_e32 v2, v4, v2
	buffer_store_dword v2, v5, s[0:3], 0 offen
	s_cbranch_scc1 .LBB2110_462
; %bb.463:
	s_clause 0x3
	buffer_load_dword v7, off, s[0:3], 0 offset:116
	buffer_load_dword v5, off, s[0:3], 0 offset:120
	;; [unrolled: 1-line block ×4, first 2 shown]
.LBB2110_464:
	s_or_b32 exec_lo, exec_lo, s4
	v_mov_b32_e32 v8, s11
	v_or_b32_e32 v1, v3, v1
                                        ; implicit-def: $vgpr3
	s_clause 0x4
	buffer_load_dword v9, v8, s[0:3], 0 offen offset:12
	buffer_load_dword v10, v8, s[0:3], 0 offen offset:8
	buffer_load_dword v11, v8, s[0:3], 0 offen offset:4
	buffer_load_dword v12, v8, s[0:3], 0 offen
	buffer_load_ubyte v2, off, s[0:3], 0 offset:244
	v_and_b32_e32 v1, 1, v1
	s_waitcnt vmcnt(8)
	buffer_store_dword v7, off, s[0:3], 0 offset:96
	s_waitcnt vmcnt(7)
	buffer_store_dword v5, off, s[0:3], 0 offset:100
	;; [unrolled: 2-line block ×4, first 2 shown]
	buffer_store_dword v7, v8, s[0:3], 0 offen
	s_waitcnt vmcnt(4)
	buffer_store_dword v9, off, s[0:3], 0 offset:12
	s_waitcnt vmcnt(3)
	buffer_store_dword v10, off, s[0:3], 0 offset:8
	;; [unrolled: 2-line block ×3, first 2 shown]
	s_waitcnt vmcnt(1)
	buffer_store_dword v12, off, s[0:3], 0
	s_waitcnt vmcnt(0)
	v_cmp_ne_u16_e64 s4, 0, v2
	v_cmp_eq_u32_e32 vcc_lo, 1, v1
	buffer_store_dword v5, v8, s[0:3], 0 offen offset:4
	buffer_store_dword v6, v8, s[0:3], 0 offen offset:8
	buffer_store_dword v4, v8, s[0:3], 0 offen offset:12
	buffer_store_byte v1, off, s[0:3], 0 offset:244
                                        ; implicit-def: $vgpr6
                                        ; implicit-def: $vgpr4
                                        ; implicit-def: $vgpr5
	s_and_saveexec_b32 s5, s4
	s_xor_b32 s4, exec_lo, s5
	s_cbranch_execz .LBB2110_466
; %bb.465:
	s_clause 0x3
	buffer_load_dword v6, off, s[0:3], 0
	buffer_load_dword v4, off, s[0:3], 0 offset:4
	buffer_load_dword v5, off, s[0:3], 0 offset:8
	;; [unrolled: 1-line block ×3, first 2 shown]
.LBB2110_466:
	s_andn2_saveexec_b32 s4, s4
	s_cbranch_execz .LBB2110_472
; %bb.467:
	v_mov_b32_e32 v1, 0
	s_mov_b32 s5, 0
.LBB2110_468:                           ; =>This Inner Loop Header: Depth=1
	s_waitcnt vmcnt(0)
	v_add_nc_u32_e64 v3, 0x74, s5
	s_add_i32 s5, s5, 4
	s_cmp_lg_u32 s5, 16
	buffer_store_dword v1, v3, s[0:3], 0 offen
	s_cbranch_scc1 .LBB2110_468
; %bb.469:
	s_mov_b32 s5, 0
	.p2align	6
.LBB2110_470:                           ; =>This Inner Loop Header: Depth=1
	v_add_nc_u32_e64 v1, 0x60, s5
	v_mov_b32_e32 v3, s5
	v_add_nc_u32_e64 v4, 0x74, s5
	s_add_i32 s5, s5, 4
	s_clause 0x1
	buffer_load_dword v1, v1, s[0:3], 0 offen
	buffer_load_dword v3, v3, s[0:3], 0 offen
	s_cmp_lg_u32 s5, 16
	s_waitcnt vmcnt(0)
	v_add_nc_u32_e32 v1, v3, v1
	buffer_store_dword v1, v4, s[0:3], 0 offen
	s_cbranch_scc1 .LBB2110_470
; %bb.471:
	s_clause 0x3
	buffer_load_dword v6, off, s[0:3], 0 offset:116
	buffer_load_dword v4, off, s[0:3], 0 offset:120
	;; [unrolled: 1-line block ×4, first 2 shown]
.LBB2110_472:
	s_or_b32 exec_lo, exec_lo, s4
	v_mov_b32_e32 v7, s19
	v_and_b32_e32 v2, 1, v2
	s_mov_b32 s5, exec_lo
	s_clause 0x4
	buffer_load_dword v8, v7, s[0:3], 0 offen offset:12
	buffer_load_dword v9, v7, s[0:3], 0 offen offset:8
	;; [unrolled: 1-line block ×3, first 2 shown]
	buffer_load_dword v11, v7, s[0:3], 0 offen
	buffer_load_ubyte v1, off, s[0:3], 0 offset:264
	v_cmp_eq_u32_e64 s4, 1, v2
	s_waitcnt vmcnt(8)
	buffer_store_dword v6, off, s[0:3], 0 offset:96
	s_waitcnt vmcnt(7)
	buffer_store_dword v4, off, s[0:3], 0 offset:100
	;; [unrolled: 2-line block ×4, first 2 shown]
	buffer_store_dword v6, v7, s[0:3], 0 offen
                                        ; implicit-def: $vgpr6
	s_or_b32 s4, s4, vcc_lo
	v_cndmask_b32_e64 v2, 0, 1, s4
	s_waitcnt vmcnt(4)
	buffer_store_dword v8, off, s[0:3], 0 offset:12
	s_waitcnt vmcnt(3)
	buffer_store_dword v9, off, s[0:3], 0 offset:8
	s_waitcnt vmcnt(2)
	buffer_store_dword v10, off, s[0:3], 0 offset:4
	s_waitcnt vmcnt(1)
	buffer_store_dword v11, off, s[0:3], 0
	buffer_store_dword v4, v7, s[0:3], 0 offen offset:4
	buffer_store_dword v5, v7, s[0:3], 0 offen offset:8
	;; [unrolled: 1-line block ×3, first 2 shown]
	buffer_store_byte v2, off, s[0:3], 0 offset:264
                                        ; implicit-def: $vgpr3
                                        ; implicit-def: $vgpr4
                                        ; implicit-def: $vgpr5
	s_waitcnt vmcnt(0)
	v_cmpx_ne_u16_e32 0, v1
	s_xor_b32 s5, exec_lo, s5
	s_cbranch_execz .LBB2110_474
; %bb.473:
	s_clause 0x3
	buffer_load_dword v6, off, s[0:3], 0
	buffer_load_dword v4, off, s[0:3], 0 offset:4
	buffer_load_dword v5, off, s[0:3], 0 offset:8
	;; [unrolled: 1-line block ×3, first 2 shown]
.LBB2110_474:
	s_andn2_saveexec_b32 s5, s5
	s_cbranch_execz .LBB2110_480
; %bb.475:
	v_mov_b32_e32 v2, 0
	s_mov_b32 s7, 0
.LBB2110_476:                           ; =>This Inner Loop Header: Depth=1
	s_waitcnt vmcnt(0)
	v_add_nc_u32_e64 v3, 0x74, s7
	s_add_i32 s7, s7, 4
	s_cmp_lg_u32 s7, 16
	buffer_store_dword v2, v3, s[0:3], 0 offen
	s_cbranch_scc1 .LBB2110_476
; %bb.477:
	s_mov_b32 s7, 0
	.p2align	6
.LBB2110_478:                           ; =>This Inner Loop Header: Depth=1
	v_add_nc_u32_e64 v2, 0x60, s7
	v_mov_b32_e32 v3, s7
	v_add_nc_u32_e64 v4, 0x74, s7
	s_add_i32 s7, s7, 4
	s_clause 0x1
	buffer_load_dword v2, v2, s[0:3], 0 offen
	buffer_load_dword v3, v3, s[0:3], 0 offen
	s_cmp_lg_u32 s7, 16
	s_waitcnt vmcnt(0)
	v_add_nc_u32_e32 v2, v3, v2
	buffer_store_dword v2, v4, s[0:3], 0 offen
	s_cbranch_scc1 .LBB2110_478
; %bb.479:
	s_clause 0x3
	buffer_load_dword v6, off, s[0:3], 0 offset:116
	buffer_load_dword v4, off, s[0:3], 0 offset:120
	;; [unrolled: 1-line block ×4, first 2 shown]
.LBB2110_480:
	s_or_b32 exec_lo, exec_lo, s5
	v_mov_b32_e32 v7, s33
	v_and_b32_e32 v1, 1, v1
	s_mov_b32 s5, exec_lo
	s_clause 0x4
	buffer_load_dword v8, v7, s[0:3], 0 offen offset:12
	buffer_load_dword v9, v7, s[0:3], 0 offen offset:8
	;; [unrolled: 1-line block ×3, first 2 shown]
	buffer_load_dword v11, v7, s[0:3], 0 offen
	buffer_load_ubyte v2, off, s[0:3], 0 offset:284
	v_cmp_eq_u32_e32 vcc_lo, 1, v1
	s_waitcnt vmcnt(8)
	buffer_store_dword v6, off, s[0:3], 0 offset:96
	s_waitcnt vmcnt(7)
	buffer_store_dword v4, off, s[0:3], 0 offset:100
	s_waitcnt vmcnt(6)
	buffer_store_dword v5, off, s[0:3], 0 offset:104
	s_waitcnt vmcnt(5)
	buffer_store_dword v3, off, s[0:3], 0 offset:108
	buffer_store_dword v6, v7, s[0:3], 0 offen
                                        ; implicit-def: $vgpr6
	s_or_b32 s4, vcc_lo, s4
	v_cndmask_b32_e64 v1, 0, 1, s4
	s_waitcnt vmcnt(4)
	buffer_store_dword v8, off, s[0:3], 0 offset:12
	s_waitcnt vmcnt(3)
	buffer_store_dword v9, off, s[0:3], 0 offset:8
	;; [unrolled: 2-line block ×3, first 2 shown]
	s_waitcnt vmcnt(1)
	buffer_store_dword v11, off, s[0:3], 0
	buffer_store_dword v4, v7, s[0:3], 0 offen offset:4
	buffer_store_dword v5, v7, s[0:3], 0 offen offset:8
	;; [unrolled: 1-line block ×3, first 2 shown]
	buffer_store_byte v1, off, s[0:3], 0 offset:284
                                        ; implicit-def: $vgpr4
                                        ; implicit-def: $vgpr1
                                        ; implicit-def: $vgpr3
	s_waitcnt vmcnt(0)
	v_cmpx_ne_u16_e32 0, v2
	s_xor_b32 s5, exec_lo, s5
	s_cbranch_execz .LBB2110_482
; %bb.481:
	s_clause 0x3
	buffer_load_dword v1, off, s[0:3], 0
	buffer_load_dword v3, off, s[0:3], 0 offset:4
	buffer_load_dword v6, off, s[0:3], 0 offset:8
	;; [unrolled: 1-line block ×3, first 2 shown]
.LBB2110_482:
	s_andn2_saveexec_b32 s5, s5
	s_cbranch_execz .LBB2110_488
; %bb.483:
	s_waitcnt vmcnt(3)
	v_mov_b32_e32 v1, 0
	s_mov_b32 s7, 0
.LBB2110_484:                           ; =>This Inner Loop Header: Depth=1
	s_waitcnt vmcnt(2)
	v_add_nc_u32_e64 v3, 0x74, s7
	s_add_i32 s7, s7, 4
	s_cmp_lg_u32 s7, 16
	buffer_store_dword v1, v3, s[0:3], 0 offen
	s_cbranch_scc1 .LBB2110_484
; %bb.485:
	s_mov_b32 s7, 0
	.p2align	6
.LBB2110_486:                           ; =>This Inner Loop Header: Depth=1
	v_add_nc_u32_e64 v1, 0x60, s7
	v_mov_b32_e32 v3, s7
	s_waitcnt vmcnt(0)
	v_add_nc_u32_e64 v4, 0x74, s7
	s_add_i32 s7, s7, 4
	s_clause 0x1
	buffer_load_dword v1, v1, s[0:3], 0 offen
	buffer_load_dword v3, v3, s[0:3], 0 offen
	s_cmp_lg_u32 s7, 16
	s_waitcnt vmcnt(0)
	v_add_nc_u32_e32 v1, v3, v1
	buffer_store_dword v1, v4, s[0:3], 0 offen
	s_cbranch_scc1 .LBB2110_486
; %bb.487:
	s_clause 0x3
	buffer_load_dword v1, off, s[0:3], 0 offset:116
	buffer_load_dword v3, off, s[0:3], 0 offset:120
	;; [unrolled: 1-line block ×4, first 2 shown]
.LBB2110_488:
	s_or_b32 exec_lo, exec_lo, s5
	v_mov_b32_e32 v11, 0
	v_and_b32_e32 v2, 1, v2
	ds_read_u8 v5, v11 offset:156
	ds_read2_b32 v[7:8], v11 offset0:37 offset1:38
	ds_read2_b32 v[9:10], v11 offset0:35 offset1:36
	v_cmp_eq_u32_e32 vcc_lo, 1, v2
	v_mov_b32_e32 v2, s40
	s_waitcnt vmcnt(0)
	buffer_store_dword v4, v2, s[0:3], 0 offen offset:12
	buffer_store_dword v6, v2, s[0:3], 0 offen offset:8
	;; [unrolled: 1-line block ×3, first 2 shown]
	buffer_store_dword v1, v2, s[0:3], 0 offen
	s_or_b32 s4, vcc_lo, s4
	v_cndmask_b32_e64 v12, 0, 1, s4
	buffer_store_byte v12, off, s[0:3], 0 offset:304
	s_waitcnt lgkmcnt(1)
	buffer_store_dword v8, off, s[0:3], 0 offset:188
	buffer_store_dword v7, off, s[0:3], 0 offset:184
	s_waitcnt lgkmcnt(0)
	buffer_store_dword v10, off, s[0:3], 0 offset:180
	v_cmp_ne_u32_sdwa s4, v5, v11 src0_sel:WORD_0 src1_sel:DWORD
	buffer_store_dword v9, off, s[0:3], 0 offset:176
	s_and_b32 vcc_lo, exec_lo, s4
	s_mov_b32 s4, 0
	s_cbranch_vccz .LBB2110_494
; %bb.489:
	s_clause 0x3
	buffer_load_dword v1, off, s[0:3], 0 offset:176
	buffer_load_dword v2, off, s[0:3], 0 offset:180
	;; [unrolled: 1-line block ×4, first 2 shown]
	s_andn2_b32 vcc_lo, exec_lo, s4
	s_cbranch_vccz .LBB2110_495
	s_branch .LBB2110_500
.LBB2110_490:
	v_lshlrev_b32_e32 v12, 4, v0
	v_add_co_u32 v12, s49, s46, v12
	v_add_co_ci_u32_e64 v13, null, s47, 0, s49
	flat_load_dwordx4 v[12:15], v[12:13]
	s_waitcnt vmcnt(0) lgkmcnt(0)
	buffer_store_dword v12, off, s[0:3], 0
	buffer_store_dword v13, off, s[0:3], 0 offset:4
	buffer_store_dword v14, off, s[0:3], 0 offset:8
	;; [unrolled: 1-line block ×3, first 2 shown]
	s_or_b32 exec_lo, exec_lo, s10
	s_and_saveexec_b32 s10, s4
	s_cbranch_execz .LBB2110_39
.LBB2110_491:
	v_lshlrev_b32_e32 v6, 4, v6
	v_add_co_u32 v12, s4, s46, v6
	v_add_co_ci_u32_e64 v13, null, s47, 0, s4
	flat_load_dwordx4 v[12:15], v[12:13]
	s_waitcnt vmcnt(0) lgkmcnt(0)
	buffer_store_dword v12, off, s[0:3], 0 offset:16
	buffer_store_dword v13, off, s[0:3], 0 offset:20
	;; [unrolled: 1-line block ×4, first 2 shown]
	s_or_b32 exec_lo, exec_lo, s10
	s_and_saveexec_b32 s4, s5
	s_cbranch_execz .LBB2110_40
.LBB2110_492:
	v_lshlrev_b32_e32 v6, 4, v9
	v_add_co_u32 v12, s5, s46, v6
	v_add_co_ci_u32_e64 v13, null, s47, 0, s5
	flat_load_dwordx4 v[12:15], v[12:13]
	s_waitcnt vmcnt(0) lgkmcnt(0)
	buffer_store_dword v12, off, s[0:3], 0 offset:32
	buffer_store_dword v13, off, s[0:3], 0 offset:36
	;; [unrolled: 1-line block ×4, first 2 shown]
	s_or_b32 exec_lo, exec_lo, s4
	s_and_saveexec_b32 s4, s8
	s_cbranch_execz .LBB2110_41
.LBB2110_493:
	v_lshlrev_b32_e32 v6, 4, v10
	v_add_co_u32 v9, s5, s46, v6
	v_add_co_ci_u32_e64 v10, null, s47, 0, s5
	flat_load_dwordx4 v[12:15], v[9:10]
	s_waitcnt vmcnt(0) lgkmcnt(0)
	buffer_store_dword v12, off, s[0:3], 0 offset:48
	buffer_store_dword v13, off, s[0:3], 0 offset:52
	;; [unrolled: 1-line block ×4, first 2 shown]
	s_or_b32 exec_lo, exec_lo, s4
	v_mul_u32_u24_e32 v6, 5, v0
	s_and_saveexec_b32 s4, s9
	s_cbranch_execnz .LBB2110_42
	s_branch .LBB2110_43
.LBB2110_494:
                                        ; implicit-def: $vgpr4
.LBB2110_495:
	s_waitcnt vmcnt(3)
	v_mov_b32_e32 v1, 0
	s_mov_b32 s4, 0
.LBB2110_496:                           ; =>This Inner Loop Header: Depth=1
	s_waitcnt vmcnt(2)
	v_mov_b32_e32 v2, s4
	s_add_i32 s4, s4, 4
	s_cmp_lg_u32 s4, 16
	buffer_store_dword v1, v2, s[0:3], 0 offen
	s_cbranch_scc1 .LBB2110_496
; %bb.497:
	s_mov_b32 s4, 0
	.p2align	6
.LBB2110_498:                           ; =>This Inner Loop Header: Depth=1
	v_add_nc_u32_e64 v1, 0x9c, s4
	v_add_nc_u32_e64 v2, 0xb0, s4
	s_waitcnt vmcnt(1)
	v_mov_b32_e32 v3, s4
	s_add_i32 s4, s4, 4
	s_clause 0x1
	buffer_load_dword v1, v1, s[0:3], 0 offen
	buffer_load_dword v2, v2, s[0:3], 0 offen
	s_cmp_lg_u32 s4, 16
	s_waitcnt vmcnt(0)
	v_add_nc_u32_e32 v1, v2, v1
	buffer_store_dword v1, v3, s[0:3], 0 offen
	s_cbranch_scc1 .LBB2110_498
; %bb.499:
	s_clause 0x3
	buffer_load_dword v1, off, s[0:3], 0
	buffer_load_dword v2, off, s[0:3], 0 offset:4
	buffer_load_dword v3, off, s[0:3], 0 offset:8
	buffer_load_dword v4, off, s[0:3], 0 offset:12
.LBB2110_500:
	s_waitcnt vmcnt(3)
	buffer_store_dword v1, off, s[0:3], 0 offset:176
	s_waitcnt vmcnt(2)
	buffer_store_dword v2, off, s[0:3], 0 offset:180
	;; [unrolled: 2-line block ×4, first 2 shown]
	buffer_store_byte v5, off, s[0:3], 0 offset:192
	s_and_saveexec_b32 s4, s6
	s_cbranch_execz .LBB2110_502
; %bb.501:
	v_mov_b32_e32 v6, 0
	v_mov_b32_e32 v7, 2
	global_store_dwordx4 v6, v[1:4], s[14:15] offset:640
	global_store_byte v6, v5, s[14:15] offset:656
	s_waitcnt_vscnt null, 0x0
	buffer_gl1_inv
	buffer_gl0_inv
	global_store_byte v6, v7, s[16:17] offset:32
.LBB2110_502:
	s_or_b32 exec_lo, exec_lo, s4
.LBB2110_503:
	v_mov_b32_e32 v1, 0
	s_mov_b32 s4, 0
.LBB2110_504:                           ; =>This Inner Loop Header: Depth=1
	v_mov_b32_e32 v2, s4
	s_add_i32 s4, s4, 4
	s_cmp_lg_u32 s4, 16
	buffer_store_dword v1, v2, s[0:3], 0 offen
	s_cbranch_scc1 .LBB2110_504
; %bb.505:
	v_mov_b32_e32 v1, 0
	s_mov_b32 s4, 16
.LBB2110_506:                           ; =>This Inner Loop Header: Depth=1
	v_mov_b32_e32 v2, s4
	s_add_i32 s4, s4, 4
	s_cmp_lg_u32 s4, 32
	buffer_store_dword v1, v2, s[0:3], 0 offen
	s_cbranch_scc1 .LBB2110_506
; %bb.507:
	v_mov_b32_e32 v1, 0
	s_mov_b32 s4, 32
.LBB2110_508:                           ; =>This Inner Loop Header: Depth=1
	v_mov_b32_e32 v2, s4
	s_add_i32 s4, s4, 4
	s_cmp_lg_u32 s4, 48
	buffer_store_dword v1, v2, s[0:3], 0 offen
	s_cbranch_scc1 .LBB2110_508
; %bb.509:
	v_mov_b32_e32 v1, 0
	s_mov_b32 s4, 48
.LBB2110_510:                           ; =>This Inner Loop Header: Depth=1
	v_mov_b32_e32 v2, s4
	s_add_i32 s4, s4, 4
	s_cmp_lg_u32 s4, 64
	buffer_store_dword v1, v2, s[0:3], 0 offen
	s_cbranch_scc1 .LBB2110_510
; %bb.511:
	v_mov_b32_e32 v1, 0
	s_mov_b32 s4, 64
.LBB2110_512:                           ; =>This Inner Loop Header: Depth=1
	v_mov_b32_e32 v2, s4
	s_add_i32 s4, s4, 4
	s_cmpk_lg_i32 s4, 0x50
	buffer_store_dword v1, v2, s[0:3], 0 offen
	s_cbranch_scc1 .LBB2110_512
; %bb.513:
	s_add_u32 s5, s26, s20
	s_addc_u32 s6, s27, s21
	s_add_u32 s5, s5, s22
	s_mov_b32 s4, 64
	s_mov_b32 s7, 48
	;; [unrolled: 1-line block ×4, first 2 shown]
	s_addc_u32 s6, s6, s23
	s_and_b32 vcc_lo, exec_lo, s29
	s_cbranch_vccz .LBB2110_529
; %bb.514:
	v_mul_u32_u24_e32 v1, 5, v0
	s_add_i32 s28, s28, s18
	s_mov_b32 s10, exec_lo
	v_cmpx_gt_u32_e64 s28, v1
	s_cbranch_execz .LBB2110_520
; %bb.515:
	s_clause 0x3
	buffer_load_dword v2, off, s[0:3], 0 offset:220
	buffer_load_dword v3, off, s[0:3], 0 offset:216
	;; [unrolled: 1-line block ×4, first 2 shown]
	v_add_nc_u32_e32 v6, 1, v1
	s_waitcnt vmcnt(3)
	buffer_store_dword v2, off, s[0:3], 0 offset:12
	s_waitcnt vmcnt(2)
	buffer_store_dword v3, off, s[0:3], 0 offset:8
	;; [unrolled: 2-line block ×3, first 2 shown]
	s_waitcnt vmcnt(0)
	buffer_store_dword v5, off, s[0:3], 0
	v_cmp_gt_u32_e32 vcc_lo, s28, v6
	s_and_b32 exec_lo, exec_lo, vcc_lo
	s_cbranch_execz .LBB2110_520
; %bb.516:
	v_mov_b32_e32 v2, s11
	v_add_nc_u32_e32 v6, 2, v1
	v_mov_b32_e32 v7, s9
	s_clause 0x3
	buffer_load_dword v3, v2, s[0:3], 0 offen offset:12
	buffer_load_dword v4, v2, s[0:3], 0 offen offset:8
	buffer_load_dword v5, v2, s[0:3], 0 offen offset:4
	buffer_load_dword v2, v2, s[0:3], 0 offen
	v_cmp_gt_u32_e32 vcc_lo, s28, v6
	s_waitcnt vmcnt(3)
	buffer_store_dword v3, v7, s[0:3], 0 offen offset:12
	s_waitcnt vmcnt(2)
	buffer_store_dword v4, v7, s[0:3], 0 offen offset:8
	s_waitcnt vmcnt(1)
	buffer_store_dword v5, v7, s[0:3], 0 offen offset:4
	s_waitcnt vmcnt(0)
	buffer_store_dword v2, v7, s[0:3], 0 offen
	s_and_b32 exec_lo, exec_lo, vcc_lo
	s_cbranch_execz .LBB2110_520
; %bb.517:
	v_mov_b32_e32 v2, s19
	v_add_nc_u32_e32 v6, 3, v1
	v_mov_b32_e32 v7, s8
	s_clause 0x3
	buffer_load_dword v3, v2, s[0:3], 0 offen offset:12
	buffer_load_dword v4, v2, s[0:3], 0 offen offset:8
	buffer_load_dword v5, v2, s[0:3], 0 offen offset:4
	buffer_load_dword v2, v2, s[0:3], 0 offen
	v_cmp_gt_u32_e32 vcc_lo, s28, v6
	s_waitcnt vmcnt(3)
	buffer_store_dword v3, v7, s[0:3], 0 offen offset:12
	s_waitcnt vmcnt(2)
	buffer_store_dword v4, v7, s[0:3], 0 offen offset:8
	s_waitcnt vmcnt(1)
	buffer_store_dword v5, v7, s[0:3], 0 offen offset:4
	s_waitcnt vmcnt(0)
	buffer_store_dword v2, v7, s[0:3], 0 offen
	;; [unrolled: 20-line block ×3, first 2 shown]
	s_and_b32 exec_lo, exec_lo, vcc_lo
	s_cbranch_execz .LBB2110_520
; %bb.519:
	v_mov_b32_e32 v2, s40
	v_mov_b32_e32 v6, s4
	s_clause 0x3
	buffer_load_dword v3, v2, s[0:3], 0 offen offset:12
	buffer_load_dword v4, v2, s[0:3], 0 offen offset:8
	;; [unrolled: 1-line block ×3, first 2 shown]
	buffer_load_dword v2, v2, s[0:3], 0 offen
	s_waitcnt vmcnt(3)
	buffer_store_dword v3, v6, s[0:3], 0 offen offset:12
	s_waitcnt vmcnt(2)
	buffer_store_dword v4, v6, s[0:3], 0 offen offset:8
	;; [unrolled: 2-line block ×3, first 2 shown]
	s_waitcnt vmcnt(0)
	buffer_store_dword v2, v6, s[0:3], 0 offen
.LBB2110_520:
	s_or_b32 exec_lo, exec_lo, s10
	v_mov_b32_e32 v25, s8
	v_mov_b32_e32 v24, s9
	;; [unrolled: 1-line block ×3, first 2 shown]
	s_waitcnt_vscnt null, 0x0
	s_barrier
	buffer_gl0_inv
	s_clause 0x7
	buffer_load_dword v4, off, s[0:3], 0
	buffer_load_dword v5, off, s[0:3], 0 offset:4
	buffer_load_dword v6, off, s[0:3], 0 offset:8
	;; [unrolled: 1-line block ×3, first 2 shown]
	buffer_load_dword v8, v24, s[0:3], 0 offen
	buffer_load_dword v9, v24, s[0:3], 0 offen offset:4
	buffer_load_dword v10, v24, s[0:3], 0 offen offset:8
	buffer_load_dword v11, v24, s[0:3], 0 offen offset:12
	v_mov_b32_e32 v27, s4
	s_clause 0xb
	buffer_load_dword v12, v25, s[0:3], 0 offen
	buffer_load_dword v13, v25, s[0:3], 0 offen offset:4
	buffer_load_dword v14, v25, s[0:3], 0 offen offset:8
	buffer_load_dword v15, v25, s[0:3], 0 offen offset:12
	buffer_load_dword v16, v26, s[0:3], 0 offen
	buffer_load_dword v17, v26, s[0:3], 0 offen offset:4
	buffer_load_dword v18, v26, s[0:3], 0 offen offset:8
	buffer_load_dword v19, v26, s[0:3], 0 offen offset:12
	;; [unrolled: 4-line block ×3, first 2 shown]
	v_lshlrev_b32_e32 v1, 4, v1
	v_lshlrev_b32_e32 v2, 6, v0
	s_waitcnt vmcnt(16)
	ds_write_b128 v1, v[4:7]
	s_waitcnt vmcnt(12)
	ds_write_b128 v1, v[8:11] offset:16
	s_waitcnt vmcnt(8)
	ds_write_b128 v1, v[12:15] offset:32
	;; [unrolled: 2-line block ×4, first 2 shown]
	v_sub_nc_u32_e32 v3, v1, v2
	s_waitcnt lgkmcnt(0)
	s_barrier
	buffer_gl0_inv
	ds_read_b128 v[4:7], v3 offset:4096
	ds_read_b128 v[8:11], v3 offset:8192
	;; [unrolled: 1-line block ×3, first 2 shown]
	v_lshlrev_b32_e32 v1, 4, v0
	ds_read_b128 v[16:19], v3 offset:16384
	s_waitcnt lgkmcnt(3)
	buffer_store_dword v7, v24, s[0:3], 0 offen offset:12
	buffer_store_dword v6, v24, s[0:3], 0 offen offset:8
	buffer_store_dword v5, v24, s[0:3], 0 offen offset:4
	buffer_store_dword v4, v24, s[0:3], 0 offen
	s_waitcnt lgkmcnt(2)
	buffer_store_dword v11, v25, s[0:3], 0 offen offset:12
	buffer_store_dword v10, v25, s[0:3], 0 offen offset:8
	buffer_store_dword v9, v25, s[0:3], 0 offen offset:4
	buffer_store_dword v8, v25, s[0:3], 0 offen
	;; [unrolled: 5-line block ×4, first 2 shown]
	v_add_co_u32 v1, s10, s5, v1
	v_add_co_ci_u32_e64 v2, null, s6, 0, s10
	s_mov_b32 s10, exec_lo
	v_cmpx_gt_u32_e64 s28, v0
	s_cbranch_execz .LBB2110_522
; %bb.521:
	ds_read2_b32 v[5:6], v3 offset0:2 offset1:3
	ds_read2_b32 v[3:4], v3 offset1:1
	s_waitcnt lgkmcnt(0)
	flat_store_dwordx4 v[1:2], v[3:6]
.LBB2110_522:
	s_or_b32 exec_lo, exec_lo, s10
	v_or_b32_e32 v3, 0x100, v0
	s_mov_b32 s10, exec_lo
	v_cmpx_gt_u32_e64 s28, v3
	s_cbranch_execz .LBB2110_524
; %bb.523:
	v_mov_b32_e32 v6, s9
	v_add_co_u32 v7, vcc_lo, 0x1000, v1
	v_add_co_ci_u32_e64 v8, null, 0, v2, vcc_lo
	s_clause 0x3
	buffer_load_dword v3, v6, s[0:3], 0 offen
	buffer_load_dword v4, v6, s[0:3], 0 offen offset:4
	buffer_load_dword v5, v6, s[0:3], 0 offen offset:8
	buffer_load_dword v6, v6, s[0:3], 0 offen offset:12
	s_waitcnt vmcnt(0)
	flat_store_dwordx4 v[7:8], v[3:6]
.LBB2110_524:
	s_or_b32 exec_lo, exec_lo, s10
	v_or_b32_e32 v3, 0x200, v0
	s_mov_b32 s10, exec_lo
	v_cmpx_gt_u32_e64 s28, v3
	s_cbranch_execz .LBB2110_526
; %bb.525:
	v_mov_b32_e32 v6, s8
	v_add_co_u32 v7, vcc_lo, 0x2000, v1
	v_add_co_ci_u32_e64 v8, null, 0, v2, vcc_lo
	s_clause 0x3
	buffer_load_dword v3, v6, s[0:3], 0 offen
	buffer_load_dword v4, v6, s[0:3], 0 offen offset:4
	buffer_load_dword v5, v6, s[0:3], 0 offen offset:8
	buffer_load_dword v6, v6, s[0:3], 0 offen offset:12
	s_waitcnt vmcnt(0)
	flat_store_dwordx4 v[7:8], v[3:6]
.LBB2110_526:
	;; [unrolled: 17-line block ×3, first 2 shown]
	s_or_b32 exec_lo, exec_lo, s10
	v_or_b32_e32 v1, 0x400, v0
	v_cmp_gt_u32_e64 s10, s28, v1
	s_branch .LBB2110_531
.LBB2110_529:
	s_mov_b32 s10, 0
	s_cbranch_execz .LBB2110_531
; %bb.530:
	v_mov_b32_e32 v2, s19
	v_mov_b32_e32 v1, s11
	;; [unrolled: 1-line block ×4, first 2 shown]
	s_clause 0x13
	buffer_load_dword v3, off, s[0:3], 0 offset:208
	buffer_load_dword v4, off, s[0:3], 0 offset:212
	buffer_load_dword v5, off, s[0:3], 0 offset:220
	buffer_load_dword v6, off, s[0:3], 0 offset:216
	buffer_load_dword v7, v1, s[0:3], 0 offen
	buffer_load_dword v8, v1, s[0:3], 0 offen offset:4
	buffer_load_dword v9, v1, s[0:3], 0 offen offset:12
	;; [unrolled: 1-line block ×6, first 2 shown]
	buffer_load_dword v2, v2, s[0:3], 0 offen
	buffer_load_dword v15, v10, s[0:3], 0 offen offset:12
	buffer_load_dword v16, v10, s[0:3], 0 offen offset:8
	;; [unrolled: 1-line block ×3, first 2 shown]
	buffer_load_dword v10, v10, s[0:3], 0 offen
	buffer_load_dword v18, v11, s[0:3], 0 offen offset:12
	buffer_load_dword v19, v11, s[0:3], 0 offen offset:8
	;; [unrolled: 1-line block ×3, first 2 shown]
	buffer_load_dword v11, v11, s[0:3], 0 offen
	v_mov_b32_e32 v27, s9
	v_mov_b32_e32 v28, s8
	;; [unrolled: 1-line block ×4, first 2 shown]
	v_mul_u32_u24_e32 v21, 0x50, v0
	v_lshlrev_b32_e32 v22, 6, v0
	v_lshlrev_b32_e32 v23, 4, v0
	s_or_b32 s10, s10, exec_lo
	s_waitcnt vmcnt(17)
	buffer_store_dword v5, off, s[0:3], 0 offset:12
	s_waitcnt vmcnt(16)
	buffer_store_dword v6, off, s[0:3], 0 offset:8
	buffer_store_dword v4, off, s[0:3], 0 offset:4
	buffer_store_dword v3, off, s[0:3], 0
	s_waitcnt vmcnt(13)
	buffer_store_dword v9, v27, s[0:3], 0 offen offset:12
	s_waitcnt vmcnt(12)
	buffer_store_dword v1, v27, s[0:3], 0 offen offset:8
	buffer_store_dword v8, v27, s[0:3], 0 offen offset:4
	buffer_store_dword v7, v27, s[0:3], 0 offen
	s_waitcnt vmcnt(11)
	buffer_store_dword v12, v28, s[0:3], 0 offen offset:12
	s_waitcnt vmcnt(10)
	buffer_store_dword v13, v28, s[0:3], 0 offen offset:8
	s_waitcnt vmcnt(9)
	buffer_store_dword v14, v28, s[0:3], 0 offen offset:4
	s_waitcnt vmcnt(8)
	buffer_store_dword v2, v28, s[0:3], 0 offen
	s_waitcnt vmcnt(7)
	buffer_store_dword v15, v29, s[0:3], 0 offen offset:12
	s_waitcnt vmcnt(6)
	buffer_store_dword v16, v29, s[0:3], 0 offen offset:8
	s_waitcnt vmcnt(5)
	buffer_store_dword v17, v29, s[0:3], 0 offen offset:4
	s_waitcnt vmcnt(4)
	;; [unrolled: 8-line block ×3, first 2 shown]
	buffer_store_dword v11, v30, s[0:3], 0 offen
	s_waitcnt lgkmcnt(0)
	s_waitcnt_vscnt null, 0x0
	s_barrier
	buffer_gl0_inv
	s_clause 0x13
	buffer_load_dword v1, off, s[0:3], 0
	buffer_load_dword v2, off, s[0:3], 0 offset:4
	buffer_load_dword v3, off, s[0:3], 0 offset:8
	;; [unrolled: 1-line block ×3, first 2 shown]
	buffer_load_dword v5, v27, s[0:3], 0 offen
	buffer_load_dword v6, v27, s[0:3], 0 offen offset:4
	buffer_load_dword v7, v27, s[0:3], 0 offen offset:8
	buffer_load_dword v8, v27, s[0:3], 0 offen offset:12
	buffer_load_dword v9, v28, s[0:3], 0 offen
	buffer_load_dword v10, v28, s[0:3], 0 offen offset:4
	buffer_load_dword v11, v28, s[0:3], 0 offen offset:8
	buffer_load_dword v12, v28, s[0:3], 0 offen offset:12
	;; [unrolled: 4-line block ×4, first 2 shown]
	v_sub_nc_u32_e32 v25, v21, v22
	s_waitcnt vmcnt(16)
	ds_write_b128 v21, v[1:4]
	s_waitcnt vmcnt(12)
	ds_write_b128 v21, v[5:8] offset:16
	s_waitcnt vmcnt(8)
	ds_write_b128 v21, v[9:12] offset:32
	;; [unrolled: 2-line block ×4, first 2 shown]
	s_waitcnt lgkmcnt(0)
	s_barrier
	buffer_gl0_inv
	ds_read_b128 v[1:4], v25 offset:4096
	ds_read_b128 v[5:8], v25 offset:8192
	;; [unrolled: 1-line block ×4, first 2 shown]
	ds_read2_b32 v[19:20], v25 offset0:2 offset1:3
	ds_read2_b32 v[17:18], v25 offset1:1
	v_add_co_u32 v21, s7, s5, v23
	v_add_co_ci_u32_e64 v22, null, s6, 0, s7
	s_waitcnt lgkmcnt(5)
	buffer_store_dword v4, v27, s[0:3], 0 offen offset:12
	buffer_store_dword v3, v27, s[0:3], 0 offen offset:8
	buffer_store_dword v2, v27, s[0:3], 0 offen offset:4
	buffer_store_dword v1, v27, s[0:3], 0 offen
	s_waitcnt lgkmcnt(4)
	buffer_store_dword v8, v28, s[0:3], 0 offen offset:12
	buffer_store_dword v7, v28, s[0:3], 0 offen offset:8
	buffer_store_dword v6, v28, s[0:3], 0 offen offset:4
	buffer_store_dword v5, v28, s[0:3], 0 offen
	;; [unrolled: 5-line block ×4, first 2 shown]
	v_add_co_u32 v23, vcc_lo, 0x1000, v21
	v_add_co_ci_u32_e64 v24, null, 0, v22, vcc_lo
	v_add_co_u32 v25, vcc_lo, 0x2000, v21
	v_add_co_ci_u32_e64 v26, null, 0, v22, vcc_lo
	s_waitcnt lgkmcnt(0)
	flat_store_dwordx4 v[21:22], v[17:20]
	flat_store_dwordx4 v[23:24], v[1:4]
	;; [unrolled: 1-line block ×3, first 2 shown]
	s_clause 0x3
	buffer_load_dword v1, v29, s[0:3], 0 offen
	buffer_load_dword v2, v29, s[0:3], 0 offen offset:4
	buffer_load_dword v3, v29, s[0:3], 0 offen offset:8
	;; [unrolled: 1-line block ×3, first 2 shown]
	v_add_co_u32 v5, vcc_lo, 0x3000, v21
	v_add_co_ci_u32_e64 v6, null, 0, v22, vcc_lo
	s_waitcnt vmcnt(0)
	flat_store_dwordx4 v[5:6], v[1:4]
.LBB2110_531:
	s_and_saveexec_b32 s7, s10
	s_cbranch_execnz .LBB2110_533
; %bb.532:
	s_endpgm
.LBB2110_533:
	v_mov_b32_e32 v4, s4
	v_lshlrev_b32_e32 v0, 4, v0
	s_clause 0x3
	buffer_load_dword v1, v4, s[0:3], 0 offen
	buffer_load_dword v2, v4, s[0:3], 0 offen offset:4
	buffer_load_dword v3, v4, s[0:3], 0 offen offset:8
	;; [unrolled: 1-line block ×3, first 2 shown]
	v_add_co_u32 v0, s4, s5, v0
	v_add_co_ci_u32_e64 v6, null, s6, 0, s4
	v_add_co_u32 v5, vcc_lo, 0x4000, v0
	v_add_co_ci_u32_e64 v6, null, 0, v6, vcc_lo
	s_waitcnt vmcnt(0)
	flat_store_dwordx4 v[5:6], v[1:4]
	s_endpgm
	.section	.rodata,"a",@progbits
	.p2align	6, 0x0
	.amdhsa_kernel _ZN7rocprim17ROCPRIM_400000_NS6detail17trampoline_kernelINS0_14default_configENS1_27scan_by_key_config_selectorIj11FixedVectorIiLj4EEEEZZNS1_16scan_by_key_implILNS1_25lookback_scan_determinismE0ELb1ES3_N6thrust23THRUST_200600_302600_NS6detail15normal_iteratorINSB_10device_ptrIjEEEENSD_INSE_IS6_EEEESI_S6_NSB_4plusIvEENSB_8equal_toIvEES6_EE10hipError_tPvRmT2_T3_T4_T5_mT6_T7_P12ihipStream_tbENKUlT_T0_E_clISt17integral_constantIbLb0EES12_IbLb1EEEEDaSY_SZ_EUlSY_E_NS1_11comp_targetILNS1_3genE8ELNS1_11target_archE1030ELNS1_3gpuE2ELNS1_3repE0EEENS1_30default_config_static_selectorELNS0_4arch9wavefront6targetE0EEEvT1_
		.amdhsa_group_segment_fixed_size 20480
		.amdhsa_private_segment_fixed_size 320
		.amdhsa_kernarg_size 144
		.amdhsa_user_sgpr_count 6
		.amdhsa_user_sgpr_private_segment_buffer 1
		.amdhsa_user_sgpr_dispatch_ptr 0
		.amdhsa_user_sgpr_queue_ptr 0
		.amdhsa_user_sgpr_kernarg_segment_ptr 1
		.amdhsa_user_sgpr_dispatch_id 0
		.amdhsa_user_sgpr_flat_scratch_init 0
		.amdhsa_user_sgpr_private_segment_size 0
		.amdhsa_wavefront_size32 1
		.amdhsa_uses_dynamic_stack 0
		.amdhsa_system_sgpr_private_segment_wavefront_offset 1
		.amdhsa_system_sgpr_workgroup_id_x 1
		.amdhsa_system_sgpr_workgroup_id_y 0
		.amdhsa_system_sgpr_workgroup_id_z 0
		.amdhsa_system_sgpr_workgroup_info 0
		.amdhsa_system_vgpr_workitem_id 0
		.amdhsa_next_free_vgpr 65
		.amdhsa_next_free_sgpr 51
		.amdhsa_reserve_vcc 1
		.amdhsa_reserve_flat_scratch 1
		.amdhsa_float_round_mode_32 0
		.amdhsa_float_round_mode_16_64 0
		.amdhsa_float_denorm_mode_32 3
		.amdhsa_float_denorm_mode_16_64 3
		.amdhsa_dx10_clamp 1
		.amdhsa_ieee_mode 1
		.amdhsa_fp16_overflow 0
		.amdhsa_workgroup_processor_mode 1
		.amdhsa_memory_ordered 1
		.amdhsa_forward_progress 1
		.amdhsa_shared_vgpr_count 0
		.amdhsa_exception_fp_ieee_invalid_op 0
		.amdhsa_exception_fp_denorm_src 0
		.amdhsa_exception_fp_ieee_div_zero 0
		.amdhsa_exception_fp_ieee_overflow 0
		.amdhsa_exception_fp_ieee_underflow 0
		.amdhsa_exception_fp_ieee_inexact 0
		.amdhsa_exception_int_div_zero 0
	.end_amdhsa_kernel
	.section	.text._ZN7rocprim17ROCPRIM_400000_NS6detail17trampoline_kernelINS0_14default_configENS1_27scan_by_key_config_selectorIj11FixedVectorIiLj4EEEEZZNS1_16scan_by_key_implILNS1_25lookback_scan_determinismE0ELb1ES3_N6thrust23THRUST_200600_302600_NS6detail15normal_iteratorINSB_10device_ptrIjEEEENSD_INSE_IS6_EEEESI_S6_NSB_4plusIvEENSB_8equal_toIvEES6_EE10hipError_tPvRmT2_T3_T4_T5_mT6_T7_P12ihipStream_tbENKUlT_T0_E_clISt17integral_constantIbLb0EES12_IbLb1EEEEDaSY_SZ_EUlSY_E_NS1_11comp_targetILNS1_3genE8ELNS1_11target_archE1030ELNS1_3gpuE2ELNS1_3repE0EEENS1_30default_config_static_selectorELNS0_4arch9wavefront6targetE0EEEvT1_,"axG",@progbits,_ZN7rocprim17ROCPRIM_400000_NS6detail17trampoline_kernelINS0_14default_configENS1_27scan_by_key_config_selectorIj11FixedVectorIiLj4EEEEZZNS1_16scan_by_key_implILNS1_25lookback_scan_determinismE0ELb1ES3_N6thrust23THRUST_200600_302600_NS6detail15normal_iteratorINSB_10device_ptrIjEEEENSD_INSE_IS6_EEEESI_S6_NSB_4plusIvEENSB_8equal_toIvEES6_EE10hipError_tPvRmT2_T3_T4_T5_mT6_T7_P12ihipStream_tbENKUlT_T0_E_clISt17integral_constantIbLb0EES12_IbLb1EEEEDaSY_SZ_EUlSY_E_NS1_11comp_targetILNS1_3genE8ELNS1_11target_archE1030ELNS1_3gpuE2ELNS1_3repE0EEENS1_30default_config_static_selectorELNS0_4arch9wavefront6targetE0EEEvT1_,comdat
.Lfunc_end2110:
	.size	_ZN7rocprim17ROCPRIM_400000_NS6detail17trampoline_kernelINS0_14default_configENS1_27scan_by_key_config_selectorIj11FixedVectorIiLj4EEEEZZNS1_16scan_by_key_implILNS1_25lookback_scan_determinismE0ELb1ES3_N6thrust23THRUST_200600_302600_NS6detail15normal_iteratorINSB_10device_ptrIjEEEENSD_INSE_IS6_EEEESI_S6_NSB_4plusIvEENSB_8equal_toIvEES6_EE10hipError_tPvRmT2_T3_T4_T5_mT6_T7_P12ihipStream_tbENKUlT_T0_E_clISt17integral_constantIbLb0EES12_IbLb1EEEEDaSY_SZ_EUlSY_E_NS1_11comp_targetILNS1_3genE8ELNS1_11target_archE1030ELNS1_3gpuE2ELNS1_3repE0EEENS1_30default_config_static_selectorELNS0_4arch9wavefront6targetE0EEEvT1_, .Lfunc_end2110-_ZN7rocprim17ROCPRIM_400000_NS6detail17trampoline_kernelINS0_14default_configENS1_27scan_by_key_config_selectorIj11FixedVectorIiLj4EEEEZZNS1_16scan_by_key_implILNS1_25lookback_scan_determinismE0ELb1ES3_N6thrust23THRUST_200600_302600_NS6detail15normal_iteratorINSB_10device_ptrIjEEEENSD_INSE_IS6_EEEESI_S6_NSB_4plusIvEENSB_8equal_toIvEES6_EE10hipError_tPvRmT2_T3_T4_T5_mT6_T7_P12ihipStream_tbENKUlT_T0_E_clISt17integral_constantIbLb0EES12_IbLb1EEEEDaSY_SZ_EUlSY_E_NS1_11comp_targetILNS1_3genE8ELNS1_11target_archE1030ELNS1_3gpuE2ELNS1_3repE0EEENS1_30default_config_static_selectorELNS0_4arch9wavefront6targetE0EEEvT1_
                                        ; -- End function
	.set _ZN7rocprim17ROCPRIM_400000_NS6detail17trampoline_kernelINS0_14default_configENS1_27scan_by_key_config_selectorIj11FixedVectorIiLj4EEEEZZNS1_16scan_by_key_implILNS1_25lookback_scan_determinismE0ELb1ES3_N6thrust23THRUST_200600_302600_NS6detail15normal_iteratorINSB_10device_ptrIjEEEENSD_INSE_IS6_EEEESI_S6_NSB_4plusIvEENSB_8equal_toIvEES6_EE10hipError_tPvRmT2_T3_T4_T5_mT6_T7_P12ihipStream_tbENKUlT_T0_E_clISt17integral_constantIbLb0EES12_IbLb1EEEEDaSY_SZ_EUlSY_E_NS1_11comp_targetILNS1_3genE8ELNS1_11target_archE1030ELNS1_3gpuE2ELNS1_3repE0EEENS1_30default_config_static_selectorELNS0_4arch9wavefront6targetE0EEEvT1_.num_vgpr, 34
	.set _ZN7rocprim17ROCPRIM_400000_NS6detail17trampoline_kernelINS0_14default_configENS1_27scan_by_key_config_selectorIj11FixedVectorIiLj4EEEEZZNS1_16scan_by_key_implILNS1_25lookback_scan_determinismE0ELb1ES3_N6thrust23THRUST_200600_302600_NS6detail15normal_iteratorINSB_10device_ptrIjEEEENSD_INSE_IS6_EEEESI_S6_NSB_4plusIvEENSB_8equal_toIvEES6_EE10hipError_tPvRmT2_T3_T4_T5_mT6_T7_P12ihipStream_tbENKUlT_T0_E_clISt17integral_constantIbLb0EES12_IbLb1EEEEDaSY_SZ_EUlSY_E_NS1_11comp_targetILNS1_3genE8ELNS1_11target_archE1030ELNS1_3gpuE2ELNS1_3repE0EEENS1_30default_config_static_selectorELNS0_4arch9wavefront6targetE0EEEvT1_.num_agpr, 0
	.set _ZN7rocprim17ROCPRIM_400000_NS6detail17trampoline_kernelINS0_14default_configENS1_27scan_by_key_config_selectorIj11FixedVectorIiLj4EEEEZZNS1_16scan_by_key_implILNS1_25lookback_scan_determinismE0ELb1ES3_N6thrust23THRUST_200600_302600_NS6detail15normal_iteratorINSB_10device_ptrIjEEEENSD_INSE_IS6_EEEESI_S6_NSB_4plusIvEENSB_8equal_toIvEES6_EE10hipError_tPvRmT2_T3_T4_T5_mT6_T7_P12ihipStream_tbENKUlT_T0_E_clISt17integral_constantIbLb0EES12_IbLb1EEEEDaSY_SZ_EUlSY_E_NS1_11comp_targetILNS1_3genE8ELNS1_11target_archE1030ELNS1_3gpuE2ELNS1_3repE0EEENS1_30default_config_static_selectorELNS0_4arch9wavefront6targetE0EEEvT1_.numbered_sgpr, 51
	.set _ZN7rocprim17ROCPRIM_400000_NS6detail17trampoline_kernelINS0_14default_configENS1_27scan_by_key_config_selectorIj11FixedVectorIiLj4EEEEZZNS1_16scan_by_key_implILNS1_25lookback_scan_determinismE0ELb1ES3_N6thrust23THRUST_200600_302600_NS6detail15normal_iteratorINSB_10device_ptrIjEEEENSD_INSE_IS6_EEEESI_S6_NSB_4plusIvEENSB_8equal_toIvEES6_EE10hipError_tPvRmT2_T3_T4_T5_mT6_T7_P12ihipStream_tbENKUlT_T0_E_clISt17integral_constantIbLb0EES12_IbLb1EEEEDaSY_SZ_EUlSY_E_NS1_11comp_targetILNS1_3genE8ELNS1_11target_archE1030ELNS1_3gpuE2ELNS1_3repE0EEENS1_30default_config_static_selectorELNS0_4arch9wavefront6targetE0EEEvT1_.num_named_barrier, 0
	.set _ZN7rocprim17ROCPRIM_400000_NS6detail17trampoline_kernelINS0_14default_configENS1_27scan_by_key_config_selectorIj11FixedVectorIiLj4EEEEZZNS1_16scan_by_key_implILNS1_25lookback_scan_determinismE0ELb1ES3_N6thrust23THRUST_200600_302600_NS6detail15normal_iteratorINSB_10device_ptrIjEEEENSD_INSE_IS6_EEEESI_S6_NSB_4plusIvEENSB_8equal_toIvEES6_EE10hipError_tPvRmT2_T3_T4_T5_mT6_T7_P12ihipStream_tbENKUlT_T0_E_clISt17integral_constantIbLb0EES12_IbLb1EEEEDaSY_SZ_EUlSY_E_NS1_11comp_targetILNS1_3genE8ELNS1_11target_archE1030ELNS1_3gpuE2ELNS1_3repE0EEENS1_30default_config_static_selectorELNS0_4arch9wavefront6targetE0EEEvT1_.private_seg_size, 320
	.set _ZN7rocprim17ROCPRIM_400000_NS6detail17trampoline_kernelINS0_14default_configENS1_27scan_by_key_config_selectorIj11FixedVectorIiLj4EEEEZZNS1_16scan_by_key_implILNS1_25lookback_scan_determinismE0ELb1ES3_N6thrust23THRUST_200600_302600_NS6detail15normal_iteratorINSB_10device_ptrIjEEEENSD_INSE_IS6_EEEESI_S6_NSB_4plusIvEENSB_8equal_toIvEES6_EE10hipError_tPvRmT2_T3_T4_T5_mT6_T7_P12ihipStream_tbENKUlT_T0_E_clISt17integral_constantIbLb0EES12_IbLb1EEEEDaSY_SZ_EUlSY_E_NS1_11comp_targetILNS1_3genE8ELNS1_11target_archE1030ELNS1_3gpuE2ELNS1_3repE0EEENS1_30default_config_static_selectorELNS0_4arch9wavefront6targetE0EEEvT1_.uses_vcc, 1
	.set _ZN7rocprim17ROCPRIM_400000_NS6detail17trampoline_kernelINS0_14default_configENS1_27scan_by_key_config_selectorIj11FixedVectorIiLj4EEEEZZNS1_16scan_by_key_implILNS1_25lookback_scan_determinismE0ELb1ES3_N6thrust23THRUST_200600_302600_NS6detail15normal_iteratorINSB_10device_ptrIjEEEENSD_INSE_IS6_EEEESI_S6_NSB_4plusIvEENSB_8equal_toIvEES6_EE10hipError_tPvRmT2_T3_T4_T5_mT6_T7_P12ihipStream_tbENKUlT_T0_E_clISt17integral_constantIbLb0EES12_IbLb1EEEEDaSY_SZ_EUlSY_E_NS1_11comp_targetILNS1_3genE8ELNS1_11target_archE1030ELNS1_3gpuE2ELNS1_3repE0EEENS1_30default_config_static_selectorELNS0_4arch9wavefront6targetE0EEEvT1_.uses_flat_scratch, 1
	.set _ZN7rocprim17ROCPRIM_400000_NS6detail17trampoline_kernelINS0_14default_configENS1_27scan_by_key_config_selectorIj11FixedVectorIiLj4EEEEZZNS1_16scan_by_key_implILNS1_25lookback_scan_determinismE0ELb1ES3_N6thrust23THRUST_200600_302600_NS6detail15normal_iteratorINSB_10device_ptrIjEEEENSD_INSE_IS6_EEEESI_S6_NSB_4plusIvEENSB_8equal_toIvEES6_EE10hipError_tPvRmT2_T3_T4_T5_mT6_T7_P12ihipStream_tbENKUlT_T0_E_clISt17integral_constantIbLb0EES12_IbLb1EEEEDaSY_SZ_EUlSY_E_NS1_11comp_targetILNS1_3genE8ELNS1_11target_archE1030ELNS1_3gpuE2ELNS1_3repE0EEENS1_30default_config_static_selectorELNS0_4arch9wavefront6targetE0EEEvT1_.has_dyn_sized_stack, 0
	.set _ZN7rocprim17ROCPRIM_400000_NS6detail17trampoline_kernelINS0_14default_configENS1_27scan_by_key_config_selectorIj11FixedVectorIiLj4EEEEZZNS1_16scan_by_key_implILNS1_25lookback_scan_determinismE0ELb1ES3_N6thrust23THRUST_200600_302600_NS6detail15normal_iteratorINSB_10device_ptrIjEEEENSD_INSE_IS6_EEEESI_S6_NSB_4plusIvEENSB_8equal_toIvEES6_EE10hipError_tPvRmT2_T3_T4_T5_mT6_T7_P12ihipStream_tbENKUlT_T0_E_clISt17integral_constantIbLb0EES12_IbLb1EEEEDaSY_SZ_EUlSY_E_NS1_11comp_targetILNS1_3genE8ELNS1_11target_archE1030ELNS1_3gpuE2ELNS1_3repE0EEENS1_30default_config_static_selectorELNS0_4arch9wavefront6targetE0EEEvT1_.has_recursion, 0
	.set _ZN7rocprim17ROCPRIM_400000_NS6detail17trampoline_kernelINS0_14default_configENS1_27scan_by_key_config_selectorIj11FixedVectorIiLj4EEEEZZNS1_16scan_by_key_implILNS1_25lookback_scan_determinismE0ELb1ES3_N6thrust23THRUST_200600_302600_NS6detail15normal_iteratorINSB_10device_ptrIjEEEENSD_INSE_IS6_EEEESI_S6_NSB_4plusIvEENSB_8equal_toIvEES6_EE10hipError_tPvRmT2_T3_T4_T5_mT6_T7_P12ihipStream_tbENKUlT_T0_E_clISt17integral_constantIbLb0EES12_IbLb1EEEEDaSY_SZ_EUlSY_E_NS1_11comp_targetILNS1_3genE8ELNS1_11target_archE1030ELNS1_3gpuE2ELNS1_3repE0EEENS1_30default_config_static_selectorELNS0_4arch9wavefront6targetE0EEEvT1_.has_indirect_call, 0
	.section	.AMDGPU.csdata,"",@progbits
; Kernel info:
; codeLenInByte = 30452
; TotalNumSgprs: 53
; NumVgprs: 34
; ScratchSize: 320
; MemoryBound: 1
; FloatMode: 240
; IeeeMode: 1
; LDSByteSize: 20480 bytes/workgroup (compile time only)
; SGPRBlocks: 0
; VGPRBlocks: 8
; NumSGPRsForWavesPerEU: 53
; NumVGPRsForWavesPerEU: 65
; Occupancy: 12
; WaveLimiterHint : 1
; COMPUTE_PGM_RSRC2:SCRATCH_EN: 1
; COMPUTE_PGM_RSRC2:USER_SGPR: 6
; COMPUTE_PGM_RSRC2:TRAP_HANDLER: 0
; COMPUTE_PGM_RSRC2:TGID_X_EN: 1
; COMPUTE_PGM_RSRC2:TGID_Y_EN: 0
; COMPUTE_PGM_RSRC2:TGID_Z_EN: 0
; COMPUTE_PGM_RSRC2:TIDIG_COMP_CNT: 0
	.section	.text._ZN6thrust23THRUST_200600_302600_NS11hip_rocprim14__parallel_for6kernelILj256ENS1_10for_each_fINS0_10device_ptrI11FixedVectorIiLj8EEEENS0_6detail16wrapped_functionINS9_23allocator_traits_detail5gozerEvEEEElLj1EEEvT0_T1_SG_,"axG",@progbits,_ZN6thrust23THRUST_200600_302600_NS11hip_rocprim14__parallel_for6kernelILj256ENS1_10for_each_fINS0_10device_ptrI11FixedVectorIiLj8EEEENS0_6detail16wrapped_functionINS9_23allocator_traits_detail5gozerEvEEEElLj1EEEvT0_T1_SG_,comdat
	.protected	_ZN6thrust23THRUST_200600_302600_NS11hip_rocprim14__parallel_for6kernelILj256ENS1_10for_each_fINS0_10device_ptrI11FixedVectorIiLj8EEEENS0_6detail16wrapped_functionINS9_23allocator_traits_detail5gozerEvEEEElLj1EEEvT0_T1_SG_ ; -- Begin function _ZN6thrust23THRUST_200600_302600_NS11hip_rocprim14__parallel_for6kernelILj256ENS1_10for_each_fINS0_10device_ptrI11FixedVectorIiLj8EEEENS0_6detail16wrapped_functionINS9_23allocator_traits_detail5gozerEvEEEElLj1EEEvT0_T1_SG_
	.globl	_ZN6thrust23THRUST_200600_302600_NS11hip_rocprim14__parallel_for6kernelILj256ENS1_10for_each_fINS0_10device_ptrI11FixedVectorIiLj8EEEENS0_6detail16wrapped_functionINS9_23allocator_traits_detail5gozerEvEEEElLj1EEEvT0_T1_SG_
	.p2align	8
	.type	_ZN6thrust23THRUST_200600_302600_NS11hip_rocprim14__parallel_for6kernelILj256ENS1_10for_each_fINS0_10device_ptrI11FixedVectorIiLj8EEEENS0_6detail16wrapped_functionINS9_23allocator_traits_detail5gozerEvEEEElLj1EEEvT0_T1_SG_,@function
_ZN6thrust23THRUST_200600_302600_NS11hip_rocprim14__parallel_for6kernelILj256ENS1_10for_each_fINS0_10device_ptrI11FixedVectorIiLj8EEEENS0_6detail16wrapped_functionINS9_23allocator_traits_detail5gozerEvEEEElLj1EEEvT0_T1_SG_: ; @_ZN6thrust23THRUST_200600_302600_NS11hip_rocprim14__parallel_for6kernelILj256ENS1_10for_each_fINS0_10device_ptrI11FixedVectorIiLj8EEEENS0_6detail16wrapped_functionINS9_23allocator_traits_detail5gozerEvEEEElLj1EEEvT0_T1_SG_
; %bb.0:
	s_endpgm
	.section	.rodata,"a",@progbits
	.p2align	6, 0x0
	.amdhsa_kernel _ZN6thrust23THRUST_200600_302600_NS11hip_rocprim14__parallel_for6kernelILj256ENS1_10for_each_fINS0_10device_ptrI11FixedVectorIiLj8EEEENS0_6detail16wrapped_functionINS9_23allocator_traits_detail5gozerEvEEEElLj1EEEvT0_T1_SG_
		.amdhsa_group_segment_fixed_size 0
		.amdhsa_private_segment_fixed_size 0
		.amdhsa_kernarg_size 32
		.amdhsa_user_sgpr_count 6
		.amdhsa_user_sgpr_private_segment_buffer 1
		.amdhsa_user_sgpr_dispatch_ptr 0
		.amdhsa_user_sgpr_queue_ptr 0
		.amdhsa_user_sgpr_kernarg_segment_ptr 1
		.amdhsa_user_sgpr_dispatch_id 0
		.amdhsa_user_sgpr_flat_scratch_init 0
		.amdhsa_user_sgpr_private_segment_size 0
		.amdhsa_wavefront_size32 1
		.amdhsa_uses_dynamic_stack 0
		.amdhsa_system_sgpr_private_segment_wavefront_offset 0
		.amdhsa_system_sgpr_workgroup_id_x 1
		.amdhsa_system_sgpr_workgroup_id_y 0
		.amdhsa_system_sgpr_workgroup_id_z 0
		.amdhsa_system_sgpr_workgroup_info 0
		.amdhsa_system_vgpr_workitem_id 0
		.amdhsa_next_free_vgpr 1
		.amdhsa_next_free_sgpr 1
		.amdhsa_reserve_vcc 0
		.amdhsa_reserve_flat_scratch 0
		.amdhsa_float_round_mode_32 0
		.amdhsa_float_round_mode_16_64 0
		.amdhsa_float_denorm_mode_32 3
		.amdhsa_float_denorm_mode_16_64 3
		.amdhsa_dx10_clamp 1
		.amdhsa_ieee_mode 1
		.amdhsa_fp16_overflow 0
		.amdhsa_workgroup_processor_mode 1
		.amdhsa_memory_ordered 1
		.amdhsa_forward_progress 1
		.amdhsa_shared_vgpr_count 0
		.amdhsa_exception_fp_ieee_invalid_op 0
		.amdhsa_exception_fp_denorm_src 0
		.amdhsa_exception_fp_ieee_div_zero 0
		.amdhsa_exception_fp_ieee_overflow 0
		.amdhsa_exception_fp_ieee_underflow 0
		.amdhsa_exception_fp_ieee_inexact 0
		.amdhsa_exception_int_div_zero 0
	.end_amdhsa_kernel
	.section	.text._ZN6thrust23THRUST_200600_302600_NS11hip_rocprim14__parallel_for6kernelILj256ENS1_10for_each_fINS0_10device_ptrI11FixedVectorIiLj8EEEENS0_6detail16wrapped_functionINS9_23allocator_traits_detail5gozerEvEEEElLj1EEEvT0_T1_SG_,"axG",@progbits,_ZN6thrust23THRUST_200600_302600_NS11hip_rocprim14__parallel_for6kernelILj256ENS1_10for_each_fINS0_10device_ptrI11FixedVectorIiLj8EEEENS0_6detail16wrapped_functionINS9_23allocator_traits_detail5gozerEvEEEElLj1EEEvT0_T1_SG_,comdat
.Lfunc_end2111:
	.size	_ZN6thrust23THRUST_200600_302600_NS11hip_rocprim14__parallel_for6kernelILj256ENS1_10for_each_fINS0_10device_ptrI11FixedVectorIiLj8EEEENS0_6detail16wrapped_functionINS9_23allocator_traits_detail5gozerEvEEEElLj1EEEvT0_T1_SG_, .Lfunc_end2111-_ZN6thrust23THRUST_200600_302600_NS11hip_rocprim14__parallel_for6kernelILj256ENS1_10for_each_fINS0_10device_ptrI11FixedVectorIiLj8EEEENS0_6detail16wrapped_functionINS9_23allocator_traits_detail5gozerEvEEEElLj1EEEvT0_T1_SG_
                                        ; -- End function
	.set _ZN6thrust23THRUST_200600_302600_NS11hip_rocprim14__parallel_for6kernelILj256ENS1_10for_each_fINS0_10device_ptrI11FixedVectorIiLj8EEEENS0_6detail16wrapped_functionINS9_23allocator_traits_detail5gozerEvEEEElLj1EEEvT0_T1_SG_.num_vgpr, 0
	.set _ZN6thrust23THRUST_200600_302600_NS11hip_rocprim14__parallel_for6kernelILj256ENS1_10for_each_fINS0_10device_ptrI11FixedVectorIiLj8EEEENS0_6detail16wrapped_functionINS9_23allocator_traits_detail5gozerEvEEEElLj1EEEvT0_T1_SG_.num_agpr, 0
	.set _ZN6thrust23THRUST_200600_302600_NS11hip_rocprim14__parallel_for6kernelILj256ENS1_10for_each_fINS0_10device_ptrI11FixedVectorIiLj8EEEENS0_6detail16wrapped_functionINS9_23allocator_traits_detail5gozerEvEEEElLj1EEEvT0_T1_SG_.numbered_sgpr, 0
	.set _ZN6thrust23THRUST_200600_302600_NS11hip_rocprim14__parallel_for6kernelILj256ENS1_10for_each_fINS0_10device_ptrI11FixedVectorIiLj8EEEENS0_6detail16wrapped_functionINS9_23allocator_traits_detail5gozerEvEEEElLj1EEEvT0_T1_SG_.num_named_barrier, 0
	.set _ZN6thrust23THRUST_200600_302600_NS11hip_rocprim14__parallel_for6kernelILj256ENS1_10for_each_fINS0_10device_ptrI11FixedVectorIiLj8EEEENS0_6detail16wrapped_functionINS9_23allocator_traits_detail5gozerEvEEEElLj1EEEvT0_T1_SG_.private_seg_size, 0
	.set _ZN6thrust23THRUST_200600_302600_NS11hip_rocprim14__parallel_for6kernelILj256ENS1_10for_each_fINS0_10device_ptrI11FixedVectorIiLj8EEEENS0_6detail16wrapped_functionINS9_23allocator_traits_detail5gozerEvEEEElLj1EEEvT0_T1_SG_.uses_vcc, 0
	.set _ZN6thrust23THRUST_200600_302600_NS11hip_rocprim14__parallel_for6kernelILj256ENS1_10for_each_fINS0_10device_ptrI11FixedVectorIiLj8EEEENS0_6detail16wrapped_functionINS9_23allocator_traits_detail5gozerEvEEEElLj1EEEvT0_T1_SG_.uses_flat_scratch, 0
	.set _ZN6thrust23THRUST_200600_302600_NS11hip_rocprim14__parallel_for6kernelILj256ENS1_10for_each_fINS0_10device_ptrI11FixedVectorIiLj8EEEENS0_6detail16wrapped_functionINS9_23allocator_traits_detail5gozerEvEEEElLj1EEEvT0_T1_SG_.has_dyn_sized_stack, 0
	.set _ZN6thrust23THRUST_200600_302600_NS11hip_rocprim14__parallel_for6kernelILj256ENS1_10for_each_fINS0_10device_ptrI11FixedVectorIiLj8EEEENS0_6detail16wrapped_functionINS9_23allocator_traits_detail5gozerEvEEEElLj1EEEvT0_T1_SG_.has_recursion, 0
	.set _ZN6thrust23THRUST_200600_302600_NS11hip_rocprim14__parallel_for6kernelILj256ENS1_10for_each_fINS0_10device_ptrI11FixedVectorIiLj8EEEENS0_6detail16wrapped_functionINS9_23allocator_traits_detail5gozerEvEEEElLj1EEEvT0_T1_SG_.has_indirect_call, 0
	.section	.AMDGPU.csdata,"",@progbits
; Kernel info:
; codeLenInByte = 4
; TotalNumSgprs: 0
; NumVgprs: 0
; ScratchSize: 0
; MemoryBound: 0
; FloatMode: 240
; IeeeMode: 1
; LDSByteSize: 0 bytes/workgroup (compile time only)
; SGPRBlocks: 0
; VGPRBlocks: 0
; NumSGPRsForWavesPerEU: 1
; NumVGPRsForWavesPerEU: 1
; Occupancy: 16
; WaveLimiterHint : 0
; COMPUTE_PGM_RSRC2:SCRATCH_EN: 0
; COMPUTE_PGM_RSRC2:USER_SGPR: 6
; COMPUTE_PGM_RSRC2:TRAP_HANDLER: 0
; COMPUTE_PGM_RSRC2:TGID_X_EN: 1
; COMPUTE_PGM_RSRC2:TGID_Y_EN: 0
; COMPUTE_PGM_RSRC2:TGID_Z_EN: 0
; COMPUTE_PGM_RSRC2:TIDIG_COMP_CNT: 0
	.section	.text._ZN6thrust23THRUST_200600_302600_NS11hip_rocprim14__parallel_for6kernelILj256ENS1_10for_each_fINS0_10device_ptrI11FixedVectorIiLj8EEEENS0_6detail16wrapped_functionINS9_23allocator_traits_detail24construct1_via_allocatorINS0_16device_allocatorIS7_EEEEvEEEEmLj1EEEvT0_T1_SJ_,"axG",@progbits,_ZN6thrust23THRUST_200600_302600_NS11hip_rocprim14__parallel_for6kernelILj256ENS1_10for_each_fINS0_10device_ptrI11FixedVectorIiLj8EEEENS0_6detail16wrapped_functionINS9_23allocator_traits_detail24construct1_via_allocatorINS0_16device_allocatorIS7_EEEEvEEEEmLj1EEEvT0_T1_SJ_,comdat
	.protected	_ZN6thrust23THRUST_200600_302600_NS11hip_rocprim14__parallel_for6kernelILj256ENS1_10for_each_fINS0_10device_ptrI11FixedVectorIiLj8EEEENS0_6detail16wrapped_functionINS9_23allocator_traits_detail24construct1_via_allocatorINS0_16device_allocatorIS7_EEEEvEEEEmLj1EEEvT0_T1_SJ_ ; -- Begin function _ZN6thrust23THRUST_200600_302600_NS11hip_rocprim14__parallel_for6kernelILj256ENS1_10for_each_fINS0_10device_ptrI11FixedVectorIiLj8EEEENS0_6detail16wrapped_functionINS9_23allocator_traits_detail24construct1_via_allocatorINS0_16device_allocatorIS7_EEEEvEEEEmLj1EEEvT0_T1_SJ_
	.globl	_ZN6thrust23THRUST_200600_302600_NS11hip_rocprim14__parallel_for6kernelILj256ENS1_10for_each_fINS0_10device_ptrI11FixedVectorIiLj8EEEENS0_6detail16wrapped_functionINS9_23allocator_traits_detail24construct1_via_allocatorINS0_16device_allocatorIS7_EEEEvEEEEmLj1EEEvT0_T1_SJ_
	.p2align	8
	.type	_ZN6thrust23THRUST_200600_302600_NS11hip_rocprim14__parallel_for6kernelILj256ENS1_10for_each_fINS0_10device_ptrI11FixedVectorIiLj8EEEENS0_6detail16wrapped_functionINS9_23allocator_traits_detail24construct1_via_allocatorINS0_16device_allocatorIS7_EEEEvEEEEmLj1EEEvT0_T1_SJ_,@function
_ZN6thrust23THRUST_200600_302600_NS11hip_rocprim14__parallel_for6kernelILj256ENS1_10for_each_fINS0_10device_ptrI11FixedVectorIiLj8EEEENS0_6detail16wrapped_functionINS9_23allocator_traits_detail24construct1_via_allocatorINS0_16device_allocatorIS7_EEEEvEEEEmLj1EEEvT0_T1_SJ_: ; @_ZN6thrust23THRUST_200600_302600_NS11hip_rocprim14__parallel_for6kernelILj256ENS1_10for_each_fINS0_10device_ptrI11FixedVectorIiLj8EEEENS0_6detail16wrapped_functionINS9_23allocator_traits_detail24construct1_via_allocatorINS0_16device_allocatorIS7_EEEEvEEEEmLj1EEEvT0_T1_SJ_
; %bb.0:
	s_clause 0x1
	s_load_dwordx4 s[8:11], s[4:5], 0x10
	s_load_dwordx2 s[0:1], s[4:5], 0x0
	s_lshl_b32 s2, s6, 8
	s_waitcnt lgkmcnt(0)
	s_add_u32 s2, s10, s2
	s_addc_u32 s3, s11, 0
	s_sub_u32 s4, s8, s2
	s_subb_u32 s5, s9, s3
	v_cmp_lt_u64_e64 s5, 0xff, s[4:5]
	s_and_b32 vcc_lo, exec_lo, s5
	s_mov_b32 s5, -1
	s_cbranch_vccnz .LBB2112_5
; %bb.1:
	s_mov_b32 s6, exec_lo
	v_cmpx_gt_u32_e64 s4, v0
	s_cbranch_execz .LBB2112_4
; %bb.2:
	v_lshlrev_b32_e32 v2, 5, v0
	s_lshl_b64 s[4:5], s[2:3], 5
	v_mov_b32_e32 v1, 0
	s_add_u32 s4, s0, s4
	s_addc_u32 s5, s1, s5
	v_add_co_u32 v2, s4, s4, v2
	v_add_co_ci_u32_e64 v3, null, s5, 0, s4
	s_mov_b64 s[4:5], 0
.LBB2112_3:                             ; =>This Inner Loop Header: Depth=1
	v_add_co_u32 v4, vcc_lo, v2, s4
	v_add_co_ci_u32_e64 v5, null, s5, v3, vcc_lo
	s_add_u32 s4, s4, 4
	s_addc_u32 s5, s5, 0
	s_cmp_lg_u32 s4, 32
	flat_store_dword v[4:5], v1
	s_cbranch_scc1 .LBB2112_3
.LBB2112_4:
	s_or_b32 exec_lo, exec_lo, s6
	s_mov_b32 s5, 0
.LBB2112_5:
	s_andn2_b32 vcc_lo, exec_lo, s5
	s_cbranch_vccnz .LBB2112_8
; %bb.6:
	v_lshlrev_b32_e32 v1, 5, v0
	s_lshl_b64 s[2:3], s[2:3], 5
	v_mov_b32_e32 v0, 0
	s_add_u32 s0, s0, s2
	s_addc_u32 s1, s1, s3
	v_add_co_u32 v1, s0, s0, v1
	v_add_co_ci_u32_e64 v2, null, s1, 0, s0
	s_mov_b64 s[0:1], 0
.LBB2112_7:                             ; =>This Inner Loop Header: Depth=1
	v_add_co_u32 v3, vcc_lo, v1, s0
	v_add_co_ci_u32_e64 v4, null, s1, v2, vcc_lo
	s_add_u32 s0, s0, 4
	s_addc_u32 s1, s1, 0
	s_cmp_eq_u32 s0, 32
	flat_store_dword v[3:4], v0
	s_cbranch_scc0 .LBB2112_7
.LBB2112_8:
	s_endpgm
	.section	.rodata,"a",@progbits
	.p2align	6, 0x0
	.amdhsa_kernel _ZN6thrust23THRUST_200600_302600_NS11hip_rocprim14__parallel_for6kernelILj256ENS1_10for_each_fINS0_10device_ptrI11FixedVectorIiLj8EEEENS0_6detail16wrapped_functionINS9_23allocator_traits_detail24construct1_via_allocatorINS0_16device_allocatorIS7_EEEEvEEEEmLj1EEEvT0_T1_SJ_
		.amdhsa_group_segment_fixed_size 0
		.amdhsa_private_segment_fixed_size 0
		.amdhsa_kernarg_size 32
		.amdhsa_user_sgpr_count 6
		.amdhsa_user_sgpr_private_segment_buffer 1
		.amdhsa_user_sgpr_dispatch_ptr 0
		.amdhsa_user_sgpr_queue_ptr 0
		.amdhsa_user_sgpr_kernarg_segment_ptr 1
		.amdhsa_user_sgpr_dispatch_id 0
		.amdhsa_user_sgpr_flat_scratch_init 0
		.amdhsa_user_sgpr_private_segment_size 0
		.amdhsa_wavefront_size32 1
		.amdhsa_uses_dynamic_stack 0
		.amdhsa_system_sgpr_private_segment_wavefront_offset 0
		.amdhsa_system_sgpr_workgroup_id_x 1
		.amdhsa_system_sgpr_workgroup_id_y 0
		.amdhsa_system_sgpr_workgroup_id_z 0
		.amdhsa_system_sgpr_workgroup_info 0
		.amdhsa_system_vgpr_workitem_id 0
		.amdhsa_next_free_vgpr 6
		.amdhsa_next_free_sgpr 12
		.amdhsa_reserve_vcc 1
		.amdhsa_reserve_flat_scratch 0
		.amdhsa_float_round_mode_32 0
		.amdhsa_float_round_mode_16_64 0
		.amdhsa_float_denorm_mode_32 3
		.amdhsa_float_denorm_mode_16_64 3
		.amdhsa_dx10_clamp 1
		.amdhsa_ieee_mode 1
		.amdhsa_fp16_overflow 0
		.amdhsa_workgroup_processor_mode 1
		.amdhsa_memory_ordered 1
		.amdhsa_forward_progress 1
		.amdhsa_shared_vgpr_count 0
		.amdhsa_exception_fp_ieee_invalid_op 0
		.amdhsa_exception_fp_denorm_src 0
		.amdhsa_exception_fp_ieee_div_zero 0
		.amdhsa_exception_fp_ieee_overflow 0
		.amdhsa_exception_fp_ieee_underflow 0
		.amdhsa_exception_fp_ieee_inexact 0
		.amdhsa_exception_int_div_zero 0
	.end_amdhsa_kernel
	.section	.text._ZN6thrust23THRUST_200600_302600_NS11hip_rocprim14__parallel_for6kernelILj256ENS1_10for_each_fINS0_10device_ptrI11FixedVectorIiLj8EEEENS0_6detail16wrapped_functionINS9_23allocator_traits_detail24construct1_via_allocatorINS0_16device_allocatorIS7_EEEEvEEEEmLj1EEEvT0_T1_SJ_,"axG",@progbits,_ZN6thrust23THRUST_200600_302600_NS11hip_rocprim14__parallel_for6kernelILj256ENS1_10for_each_fINS0_10device_ptrI11FixedVectorIiLj8EEEENS0_6detail16wrapped_functionINS9_23allocator_traits_detail24construct1_via_allocatorINS0_16device_allocatorIS7_EEEEvEEEEmLj1EEEvT0_T1_SJ_,comdat
.Lfunc_end2112:
	.size	_ZN6thrust23THRUST_200600_302600_NS11hip_rocprim14__parallel_for6kernelILj256ENS1_10for_each_fINS0_10device_ptrI11FixedVectorIiLj8EEEENS0_6detail16wrapped_functionINS9_23allocator_traits_detail24construct1_via_allocatorINS0_16device_allocatorIS7_EEEEvEEEEmLj1EEEvT0_T1_SJ_, .Lfunc_end2112-_ZN6thrust23THRUST_200600_302600_NS11hip_rocprim14__parallel_for6kernelILj256ENS1_10for_each_fINS0_10device_ptrI11FixedVectorIiLj8EEEENS0_6detail16wrapped_functionINS9_23allocator_traits_detail24construct1_via_allocatorINS0_16device_allocatorIS7_EEEEvEEEEmLj1EEEvT0_T1_SJ_
                                        ; -- End function
	.set _ZN6thrust23THRUST_200600_302600_NS11hip_rocprim14__parallel_for6kernelILj256ENS1_10for_each_fINS0_10device_ptrI11FixedVectorIiLj8EEEENS0_6detail16wrapped_functionINS9_23allocator_traits_detail24construct1_via_allocatorINS0_16device_allocatorIS7_EEEEvEEEEmLj1EEEvT0_T1_SJ_.num_vgpr, 6
	.set _ZN6thrust23THRUST_200600_302600_NS11hip_rocprim14__parallel_for6kernelILj256ENS1_10for_each_fINS0_10device_ptrI11FixedVectorIiLj8EEEENS0_6detail16wrapped_functionINS9_23allocator_traits_detail24construct1_via_allocatorINS0_16device_allocatorIS7_EEEEvEEEEmLj1EEEvT0_T1_SJ_.num_agpr, 0
	.set _ZN6thrust23THRUST_200600_302600_NS11hip_rocprim14__parallel_for6kernelILj256ENS1_10for_each_fINS0_10device_ptrI11FixedVectorIiLj8EEEENS0_6detail16wrapped_functionINS9_23allocator_traits_detail24construct1_via_allocatorINS0_16device_allocatorIS7_EEEEvEEEEmLj1EEEvT0_T1_SJ_.numbered_sgpr, 12
	.set _ZN6thrust23THRUST_200600_302600_NS11hip_rocprim14__parallel_for6kernelILj256ENS1_10for_each_fINS0_10device_ptrI11FixedVectorIiLj8EEEENS0_6detail16wrapped_functionINS9_23allocator_traits_detail24construct1_via_allocatorINS0_16device_allocatorIS7_EEEEvEEEEmLj1EEEvT0_T1_SJ_.num_named_barrier, 0
	.set _ZN6thrust23THRUST_200600_302600_NS11hip_rocprim14__parallel_for6kernelILj256ENS1_10for_each_fINS0_10device_ptrI11FixedVectorIiLj8EEEENS0_6detail16wrapped_functionINS9_23allocator_traits_detail24construct1_via_allocatorINS0_16device_allocatorIS7_EEEEvEEEEmLj1EEEvT0_T1_SJ_.private_seg_size, 0
	.set _ZN6thrust23THRUST_200600_302600_NS11hip_rocprim14__parallel_for6kernelILj256ENS1_10for_each_fINS0_10device_ptrI11FixedVectorIiLj8EEEENS0_6detail16wrapped_functionINS9_23allocator_traits_detail24construct1_via_allocatorINS0_16device_allocatorIS7_EEEEvEEEEmLj1EEEvT0_T1_SJ_.uses_vcc, 1
	.set _ZN6thrust23THRUST_200600_302600_NS11hip_rocprim14__parallel_for6kernelILj256ENS1_10for_each_fINS0_10device_ptrI11FixedVectorIiLj8EEEENS0_6detail16wrapped_functionINS9_23allocator_traits_detail24construct1_via_allocatorINS0_16device_allocatorIS7_EEEEvEEEEmLj1EEEvT0_T1_SJ_.uses_flat_scratch, 0
	.set _ZN6thrust23THRUST_200600_302600_NS11hip_rocprim14__parallel_for6kernelILj256ENS1_10for_each_fINS0_10device_ptrI11FixedVectorIiLj8EEEENS0_6detail16wrapped_functionINS9_23allocator_traits_detail24construct1_via_allocatorINS0_16device_allocatorIS7_EEEEvEEEEmLj1EEEvT0_T1_SJ_.has_dyn_sized_stack, 0
	.set _ZN6thrust23THRUST_200600_302600_NS11hip_rocprim14__parallel_for6kernelILj256ENS1_10for_each_fINS0_10device_ptrI11FixedVectorIiLj8EEEENS0_6detail16wrapped_functionINS9_23allocator_traits_detail24construct1_via_allocatorINS0_16device_allocatorIS7_EEEEvEEEEmLj1EEEvT0_T1_SJ_.has_recursion, 0
	.set _ZN6thrust23THRUST_200600_302600_NS11hip_rocprim14__parallel_for6kernelILj256ENS1_10for_each_fINS0_10device_ptrI11FixedVectorIiLj8EEEENS0_6detail16wrapped_functionINS9_23allocator_traits_detail24construct1_via_allocatorINS0_16device_allocatorIS7_EEEEvEEEEmLj1EEEvT0_T1_SJ_.has_indirect_call, 0
	.section	.AMDGPU.csdata,"",@progbits
; Kernel info:
; codeLenInByte = 264
; TotalNumSgprs: 14
; NumVgprs: 6
; ScratchSize: 0
; MemoryBound: 0
; FloatMode: 240
; IeeeMode: 1
; LDSByteSize: 0 bytes/workgroup (compile time only)
; SGPRBlocks: 0
; VGPRBlocks: 0
; NumSGPRsForWavesPerEU: 14
; NumVGPRsForWavesPerEU: 6
; Occupancy: 16
; WaveLimiterHint : 0
; COMPUTE_PGM_RSRC2:SCRATCH_EN: 0
; COMPUTE_PGM_RSRC2:USER_SGPR: 6
; COMPUTE_PGM_RSRC2:TRAP_HANDLER: 0
; COMPUTE_PGM_RSRC2:TGID_X_EN: 1
; COMPUTE_PGM_RSRC2:TGID_Y_EN: 0
; COMPUTE_PGM_RSRC2:TGID_Z_EN: 0
; COMPUTE_PGM_RSRC2:TIDIG_COMP_CNT: 0
	.section	.text._ZN7rocprim17ROCPRIM_400000_NS6detail30init_device_scan_by_key_kernelINS1_19lookback_scan_stateINS0_5tupleIJ11FixedVectorIiLj8EEbEEELb0ELb0EEEN6thrust23THRUST_200600_302600_NS6detail15normal_iteratorINSA_10device_ptrIjEEEEjNS1_16block_id_wrapperIjLb0EEEEEvT_jjPNSI_10value_typeET0_PNSt15iterator_traitsISL_E10value_typeEmT1_T2_,"axG",@progbits,_ZN7rocprim17ROCPRIM_400000_NS6detail30init_device_scan_by_key_kernelINS1_19lookback_scan_stateINS0_5tupleIJ11FixedVectorIiLj8EEbEEELb0ELb0EEEN6thrust23THRUST_200600_302600_NS6detail15normal_iteratorINSA_10device_ptrIjEEEEjNS1_16block_id_wrapperIjLb0EEEEEvT_jjPNSI_10value_typeET0_PNSt15iterator_traitsISL_E10value_typeEmT1_T2_,comdat
	.protected	_ZN7rocprim17ROCPRIM_400000_NS6detail30init_device_scan_by_key_kernelINS1_19lookback_scan_stateINS0_5tupleIJ11FixedVectorIiLj8EEbEEELb0ELb0EEEN6thrust23THRUST_200600_302600_NS6detail15normal_iteratorINSA_10device_ptrIjEEEEjNS1_16block_id_wrapperIjLb0EEEEEvT_jjPNSI_10value_typeET0_PNSt15iterator_traitsISL_E10value_typeEmT1_T2_ ; -- Begin function _ZN7rocprim17ROCPRIM_400000_NS6detail30init_device_scan_by_key_kernelINS1_19lookback_scan_stateINS0_5tupleIJ11FixedVectorIiLj8EEbEEELb0ELb0EEEN6thrust23THRUST_200600_302600_NS6detail15normal_iteratorINSA_10device_ptrIjEEEEjNS1_16block_id_wrapperIjLb0EEEEEvT_jjPNSI_10value_typeET0_PNSt15iterator_traitsISL_E10value_typeEmT1_T2_
	.globl	_ZN7rocprim17ROCPRIM_400000_NS6detail30init_device_scan_by_key_kernelINS1_19lookback_scan_stateINS0_5tupleIJ11FixedVectorIiLj8EEbEEELb0ELb0EEEN6thrust23THRUST_200600_302600_NS6detail15normal_iteratorINSA_10device_ptrIjEEEEjNS1_16block_id_wrapperIjLb0EEEEEvT_jjPNSI_10value_typeET0_PNSt15iterator_traitsISL_E10value_typeEmT1_T2_
	.p2align	8
	.type	_ZN7rocprim17ROCPRIM_400000_NS6detail30init_device_scan_by_key_kernelINS1_19lookback_scan_stateINS0_5tupleIJ11FixedVectorIiLj8EEbEEELb0ELb0EEEN6thrust23THRUST_200600_302600_NS6detail15normal_iteratorINSA_10device_ptrIjEEEEjNS1_16block_id_wrapperIjLb0EEEEEvT_jjPNSI_10value_typeET0_PNSt15iterator_traitsISL_E10value_typeEmT1_T2_,@function
_ZN7rocprim17ROCPRIM_400000_NS6detail30init_device_scan_by_key_kernelINS1_19lookback_scan_stateINS0_5tupleIJ11FixedVectorIiLj8EEbEEELb0ELb0EEEN6thrust23THRUST_200600_302600_NS6detail15normal_iteratorINSA_10device_ptrIjEEEEjNS1_16block_id_wrapperIjLb0EEEEEvT_jjPNSI_10value_typeET0_PNSt15iterator_traitsISL_E10value_typeEmT1_T2_: ; @_ZN7rocprim17ROCPRIM_400000_NS6detail30init_device_scan_by_key_kernelINS1_19lookback_scan_stateINS0_5tupleIJ11FixedVectorIiLj8EEbEEELb0ELb0EEEN6thrust23THRUST_200600_302600_NS6detail15normal_iteratorINSA_10device_ptrIjEEEEjNS1_16block_id_wrapperIjLb0EEEEEvT_jjPNSI_10value_typeET0_PNSt15iterator_traitsISL_E10value_typeEmT1_T2_
; %bb.0:
	s_clause 0x2
	s_load_dword s0, s[6:7], 0x54
	s_load_dwordx8 s[12:19], s[6:7], 0x10
	s_load_dword s9, s[6:7], 0x48
	s_waitcnt lgkmcnt(0)
	s_and_b32 s10, s0, 0xffff
	s_cmp_eq_u64 s[16:17], 0
	v_mad_u64_u32 v[3:4], null, s8, s10, v[0:1]
	s_cbranch_scc1 .LBB2113_8
; %bb.1:
	s_cmp_lt_u32 s15, s14
	s_mov_b32 s11, 0
	s_cselect_b32 s0, s15, 0
	s_mov_b32 s8, exec_lo
	v_cmpx_eq_u32_e64 s0, v3
	s_cbranch_execz .LBB2113_7
; %bb.2:
	s_load_dwordx2 s[0:1], s[4:5], 0x4
	s_waitcnt lgkmcnt(0)
	s_lshr_b32 s0, s0, 16
	v_mul_u32_u24_e32 v1, s1, v1
	s_mul_i32 s0, s0, s1
	v_mul_lo_u32 v0, s0, v0
	s_load_dwordx4 s[0:3], s[6:7], 0x0
	v_add3_u32 v0, v0, v1, v2
	v_mov_b32_e32 v1, 0
	v_mul_lo_u32 v0, v0, 36
	ds_write2_b32 v0, v1, v1 offset0:6 offset1:7
	ds_write2_b32 v0, v1, v1 offset0:4 offset1:5
	;; [unrolled: 1-line block ×3, first 2 shown]
	ds_write2_b32 v0, v1, v1 offset1:1
	ds_write_b32 v0, v1 offset:32
.LBB2113_3:                             ; =>This Inner Loop Header: Depth=1
	v_add_nc_u32_e32 v2, s11, v0
	s_add_i32 s11, s11, 4
	s_cmp_lg_u32 s11, 32
	ds_write_b32 v2, v1
	s_cbranch_scc1 .LBB2113_3
; %bb.4:
	s_add_i32 s11, s15, 32
	v_mov_b32_e32 v1, 0
	v_mov_b32_e32 v2, s11
	s_add_u32 s4, s12, s11
	s_addc_u32 s5, s13, 0
	ds_write_b8 v0, v1 offset:32
	global_load_ubyte v2, v2, s[12:13] glc dlc
	s_waitcnt vmcnt(0)
	v_cmp_ne_u32_sdwa s20, v2, v1 src0_sel:WORD_0 src1_sel:DWORD
	v_readfirstlane_b32 s15, v2
	s_and_b32 vcc_lo, exec_lo, s20
	s_cbranch_vccnz .LBB2113_6
.LBB2113_5:                             ; =>This Inner Loop Header: Depth=1
	global_load_ubyte v2, v1, s[4:5] glc dlc
	s_waitcnt vmcnt(0)
	v_cmp_eq_u32_sdwa s20, v2, v1 src0_sel:WORD_0 src1_sel:DWORD
	v_readfirstlane_b32 s15, v2
	s_and_b32 vcc_lo, exec_lo, s20
	s_cbranch_vccnz .LBB2113_5
.LBB2113_6:
	s_and_b32 s4, 0xffff, s15
	v_mov_b32_e32 v1, 0
	s_cmp_eq_u32 s4, 1
	s_mul_i32 s4, s11, 36
	s_waitcnt lgkmcnt(0)
	s_cselect_b32 s0, s0, s2
	s_cselect_b32 s1, s1, s3
	s_mul_hi_u32 s2, s11, 36
	s_add_u32 s0, s0, s4
	s_addc_u32 s1, s1, s2
	buffer_gl1_inv
	buffer_gl0_inv
	s_clause 0x2
	global_load_dwordx4 v[4:7], v1, s[0:1]
	global_load_dwordx4 v[8:11], v1, s[0:1] offset:16
	global_load_ubyte v2, v1, s[0:1] offset:32
	s_waitcnt vmcnt(2)
	ds_write2_b32 v0, v4, v5 offset1:1
	ds_write2_b32 v0, v6, v7 offset0:2 offset1:3
	s_waitcnt vmcnt(1)
	ds_write2_b32 v0, v8, v9 offset0:4 offset1:5
	ds_write2_b32 v0, v10, v11 offset0:6 offset1:7
	global_store_dwordx4 v1, v[4:7], s[16:17]
	global_store_dwordx4 v1, v[8:11], s[16:17] offset:16
	s_waitcnt vmcnt(0)
	global_store_byte v1, v2, s[16:17] offset:32
.LBB2113_7:
	s_or_b32 exec_lo, exec_lo, s8
.LBB2113_8:
	s_mov_b32 s0, exec_lo
	v_cmpx_gt_u32_e64 s14, v3
	s_cbranch_execz .LBB2113_10
; %bb.9:
	v_add_nc_u32_e32 v0, 32, v3
	v_mov_b32_e32 v1, 0
	global_store_byte v0, v1, s[12:13]
.LBB2113_10:
	s_or_b32 exec_lo, exec_lo, s0
	v_mov_b32_e32 v4, 0
	s_mov_b32 s0, exec_lo
	v_cmpx_gt_u32_e32 32, v3
	s_cbranch_execz .LBB2113_12
; %bb.11:
	v_add_co_u32 v0, s1, s12, v3
	v_add_co_ci_u32_e64 v1, null, s13, 0, s1
	v_mov_b32_e32 v2, 0xff
	global_store_byte v[0:1], v2, off
.LBB2113_12:
	s_or_b32 exec_lo, exec_lo, s0
	s_load_dwordx2 s[2:3], s[6:7], 0x38
	s_mov_b32 s0, exec_lo
	s_waitcnt lgkmcnt(0)
	v_cmpx_gt_u64_e64 s[2:3], v[3:4]
	s_cbranch_execz .LBB2113_15
; %bb.13:
	s_clause 0x1
	s_load_dword s5, s[6:7], 0x40
	s_load_dwordx2 s[6:7], s[6:7], 0x30
	s_mov_b32 s1, 0
	s_mul_i32 s4, s9, s10
	v_lshlrev_b64 v[5:6], 2, v[3:4]
	s_waitcnt lgkmcnt(0)
	v_mad_u64_u32 v[0:1], null, s5, v3, 0
	s_add_i32 s0, s5, -1
	s_mul_hi_u32 s9, s5, s4
	s_lshl_b64 s[10:11], s[0:1], 2
	s_mul_i32 s8, s5, s4
	s_add_u32 s0, s18, s10
	s_addc_u32 s5, s19, s11
	v_lshlrev_b64 v[0:1], 2, v[0:1]
	v_add_co_u32 v0, vcc_lo, s0, v0
	v_add_co_ci_u32_e64 v1, null, s5, v1, vcc_lo
	v_add_co_u32 v5, vcc_lo, s6, v5
	v_add_co_ci_u32_e64 v6, null, s7, v6, vcc_lo
	s_mov_b32 s5, s1
	s_lshl_b64 s[6:7], s[8:9], 2
	s_lshl_b64 s[8:9], s[4:5], 2
	.p2align	6
.LBB2113_14:                            ; =>This Inner Loop Header: Depth=1
	global_load_dword v2, v[0:1], off
	v_add_co_u32 v3, vcc_lo, v3, s4
	v_add_co_ci_u32_e64 v4, null, 0, v4, vcc_lo
	v_add_co_u32 v0, vcc_lo, v0, s6
	v_add_co_ci_u32_e64 v1, null, s7, v1, vcc_lo
	v_cmp_le_u64_e32 vcc_lo, s[2:3], v[3:4]
	s_or_b32 s1, vcc_lo, s1
	s_waitcnt vmcnt(0)
	global_store_dword v[5:6], v2, off
	v_add_co_u32 v5, s0, v5, s8
	v_add_co_ci_u32_e64 v6, null, s9, v6, s0
	s_andn2_b32 exec_lo, exec_lo, s1
	s_cbranch_execnz .LBB2113_14
.LBB2113_15:
	s_endpgm
	.section	.rodata,"a",@progbits
	.p2align	6, 0x0
	.amdhsa_kernel _ZN7rocprim17ROCPRIM_400000_NS6detail30init_device_scan_by_key_kernelINS1_19lookback_scan_stateINS0_5tupleIJ11FixedVectorIiLj8EEbEEELb0ELb0EEEN6thrust23THRUST_200600_302600_NS6detail15normal_iteratorINSA_10device_ptrIjEEEEjNS1_16block_id_wrapperIjLb0EEEEEvT_jjPNSI_10value_typeET0_PNSt15iterator_traitsISL_E10value_typeEmT1_T2_
		.amdhsa_group_segment_fixed_size 9216
		.amdhsa_private_segment_fixed_size 0
		.amdhsa_kernarg_size 328
		.amdhsa_user_sgpr_count 8
		.amdhsa_user_sgpr_private_segment_buffer 1
		.amdhsa_user_sgpr_dispatch_ptr 1
		.amdhsa_user_sgpr_queue_ptr 0
		.amdhsa_user_sgpr_kernarg_segment_ptr 1
		.amdhsa_user_sgpr_dispatch_id 0
		.amdhsa_user_sgpr_flat_scratch_init 0
		.amdhsa_user_sgpr_private_segment_size 0
		.amdhsa_wavefront_size32 1
		.amdhsa_uses_dynamic_stack 0
		.amdhsa_system_sgpr_private_segment_wavefront_offset 0
		.amdhsa_system_sgpr_workgroup_id_x 1
		.amdhsa_system_sgpr_workgroup_id_y 0
		.amdhsa_system_sgpr_workgroup_id_z 0
		.amdhsa_system_sgpr_workgroup_info 0
		.amdhsa_system_vgpr_workitem_id 2
		.amdhsa_next_free_vgpr 12
		.amdhsa_next_free_sgpr 21
		.amdhsa_reserve_vcc 1
		.amdhsa_reserve_flat_scratch 0
		.amdhsa_float_round_mode_32 0
		.amdhsa_float_round_mode_16_64 0
		.amdhsa_float_denorm_mode_32 3
		.amdhsa_float_denorm_mode_16_64 3
		.amdhsa_dx10_clamp 1
		.amdhsa_ieee_mode 1
		.amdhsa_fp16_overflow 0
		.amdhsa_workgroup_processor_mode 1
		.amdhsa_memory_ordered 1
		.amdhsa_forward_progress 1
		.amdhsa_shared_vgpr_count 0
		.amdhsa_exception_fp_ieee_invalid_op 0
		.amdhsa_exception_fp_denorm_src 0
		.amdhsa_exception_fp_ieee_div_zero 0
		.amdhsa_exception_fp_ieee_overflow 0
		.amdhsa_exception_fp_ieee_underflow 0
		.amdhsa_exception_fp_ieee_inexact 0
		.amdhsa_exception_int_div_zero 0
	.end_amdhsa_kernel
	.section	.text._ZN7rocprim17ROCPRIM_400000_NS6detail30init_device_scan_by_key_kernelINS1_19lookback_scan_stateINS0_5tupleIJ11FixedVectorIiLj8EEbEEELb0ELb0EEEN6thrust23THRUST_200600_302600_NS6detail15normal_iteratorINSA_10device_ptrIjEEEEjNS1_16block_id_wrapperIjLb0EEEEEvT_jjPNSI_10value_typeET0_PNSt15iterator_traitsISL_E10value_typeEmT1_T2_,"axG",@progbits,_ZN7rocprim17ROCPRIM_400000_NS6detail30init_device_scan_by_key_kernelINS1_19lookback_scan_stateINS0_5tupleIJ11FixedVectorIiLj8EEbEEELb0ELb0EEEN6thrust23THRUST_200600_302600_NS6detail15normal_iteratorINSA_10device_ptrIjEEEEjNS1_16block_id_wrapperIjLb0EEEEEvT_jjPNSI_10value_typeET0_PNSt15iterator_traitsISL_E10value_typeEmT1_T2_,comdat
.Lfunc_end2113:
	.size	_ZN7rocprim17ROCPRIM_400000_NS6detail30init_device_scan_by_key_kernelINS1_19lookback_scan_stateINS0_5tupleIJ11FixedVectorIiLj8EEbEEELb0ELb0EEEN6thrust23THRUST_200600_302600_NS6detail15normal_iteratorINSA_10device_ptrIjEEEEjNS1_16block_id_wrapperIjLb0EEEEEvT_jjPNSI_10value_typeET0_PNSt15iterator_traitsISL_E10value_typeEmT1_T2_, .Lfunc_end2113-_ZN7rocprim17ROCPRIM_400000_NS6detail30init_device_scan_by_key_kernelINS1_19lookback_scan_stateINS0_5tupleIJ11FixedVectorIiLj8EEbEEELb0ELb0EEEN6thrust23THRUST_200600_302600_NS6detail15normal_iteratorINSA_10device_ptrIjEEEEjNS1_16block_id_wrapperIjLb0EEEEEvT_jjPNSI_10value_typeET0_PNSt15iterator_traitsISL_E10value_typeEmT1_T2_
                                        ; -- End function
	.set _ZN7rocprim17ROCPRIM_400000_NS6detail30init_device_scan_by_key_kernelINS1_19lookback_scan_stateINS0_5tupleIJ11FixedVectorIiLj8EEbEEELb0ELb0EEEN6thrust23THRUST_200600_302600_NS6detail15normal_iteratorINSA_10device_ptrIjEEEEjNS1_16block_id_wrapperIjLb0EEEEEvT_jjPNSI_10value_typeET0_PNSt15iterator_traitsISL_E10value_typeEmT1_T2_.num_vgpr, 12
	.set _ZN7rocprim17ROCPRIM_400000_NS6detail30init_device_scan_by_key_kernelINS1_19lookback_scan_stateINS0_5tupleIJ11FixedVectorIiLj8EEbEEELb0ELb0EEEN6thrust23THRUST_200600_302600_NS6detail15normal_iteratorINSA_10device_ptrIjEEEEjNS1_16block_id_wrapperIjLb0EEEEEvT_jjPNSI_10value_typeET0_PNSt15iterator_traitsISL_E10value_typeEmT1_T2_.num_agpr, 0
	.set _ZN7rocprim17ROCPRIM_400000_NS6detail30init_device_scan_by_key_kernelINS1_19lookback_scan_stateINS0_5tupleIJ11FixedVectorIiLj8EEbEEELb0ELb0EEEN6thrust23THRUST_200600_302600_NS6detail15normal_iteratorINSA_10device_ptrIjEEEEjNS1_16block_id_wrapperIjLb0EEEEEvT_jjPNSI_10value_typeET0_PNSt15iterator_traitsISL_E10value_typeEmT1_T2_.numbered_sgpr, 21
	.set _ZN7rocprim17ROCPRIM_400000_NS6detail30init_device_scan_by_key_kernelINS1_19lookback_scan_stateINS0_5tupleIJ11FixedVectorIiLj8EEbEEELb0ELb0EEEN6thrust23THRUST_200600_302600_NS6detail15normal_iteratorINSA_10device_ptrIjEEEEjNS1_16block_id_wrapperIjLb0EEEEEvT_jjPNSI_10value_typeET0_PNSt15iterator_traitsISL_E10value_typeEmT1_T2_.num_named_barrier, 0
	.set _ZN7rocprim17ROCPRIM_400000_NS6detail30init_device_scan_by_key_kernelINS1_19lookback_scan_stateINS0_5tupleIJ11FixedVectorIiLj8EEbEEELb0ELb0EEEN6thrust23THRUST_200600_302600_NS6detail15normal_iteratorINSA_10device_ptrIjEEEEjNS1_16block_id_wrapperIjLb0EEEEEvT_jjPNSI_10value_typeET0_PNSt15iterator_traitsISL_E10value_typeEmT1_T2_.private_seg_size, 0
	.set _ZN7rocprim17ROCPRIM_400000_NS6detail30init_device_scan_by_key_kernelINS1_19lookback_scan_stateINS0_5tupleIJ11FixedVectorIiLj8EEbEEELb0ELb0EEEN6thrust23THRUST_200600_302600_NS6detail15normal_iteratorINSA_10device_ptrIjEEEEjNS1_16block_id_wrapperIjLb0EEEEEvT_jjPNSI_10value_typeET0_PNSt15iterator_traitsISL_E10value_typeEmT1_T2_.uses_vcc, 1
	.set _ZN7rocprim17ROCPRIM_400000_NS6detail30init_device_scan_by_key_kernelINS1_19lookback_scan_stateINS0_5tupleIJ11FixedVectorIiLj8EEbEEELb0ELb0EEEN6thrust23THRUST_200600_302600_NS6detail15normal_iteratorINSA_10device_ptrIjEEEEjNS1_16block_id_wrapperIjLb0EEEEEvT_jjPNSI_10value_typeET0_PNSt15iterator_traitsISL_E10value_typeEmT1_T2_.uses_flat_scratch, 0
	.set _ZN7rocprim17ROCPRIM_400000_NS6detail30init_device_scan_by_key_kernelINS1_19lookback_scan_stateINS0_5tupleIJ11FixedVectorIiLj8EEbEEELb0ELb0EEEN6thrust23THRUST_200600_302600_NS6detail15normal_iteratorINSA_10device_ptrIjEEEEjNS1_16block_id_wrapperIjLb0EEEEEvT_jjPNSI_10value_typeET0_PNSt15iterator_traitsISL_E10value_typeEmT1_T2_.has_dyn_sized_stack, 0
	.set _ZN7rocprim17ROCPRIM_400000_NS6detail30init_device_scan_by_key_kernelINS1_19lookback_scan_stateINS0_5tupleIJ11FixedVectorIiLj8EEbEEELb0ELb0EEEN6thrust23THRUST_200600_302600_NS6detail15normal_iteratorINSA_10device_ptrIjEEEEjNS1_16block_id_wrapperIjLb0EEEEEvT_jjPNSI_10value_typeET0_PNSt15iterator_traitsISL_E10value_typeEmT1_T2_.has_recursion, 0
	.set _ZN7rocprim17ROCPRIM_400000_NS6detail30init_device_scan_by_key_kernelINS1_19lookback_scan_stateINS0_5tupleIJ11FixedVectorIiLj8EEbEEELb0ELb0EEEN6thrust23THRUST_200600_302600_NS6detail15normal_iteratorINSA_10device_ptrIjEEEEjNS1_16block_id_wrapperIjLb0EEEEEvT_jjPNSI_10value_typeET0_PNSt15iterator_traitsISL_E10value_typeEmT1_T2_.has_indirect_call, 0
	.section	.AMDGPU.csdata,"",@progbits
; Kernel info:
; codeLenInByte = 792
; TotalNumSgprs: 23
; NumVgprs: 12
; ScratchSize: 0
; MemoryBound: 0
; FloatMode: 240
; IeeeMode: 1
; LDSByteSize: 9216 bytes/workgroup (compile time only)
; SGPRBlocks: 0
; VGPRBlocks: 1
; NumSGPRsForWavesPerEU: 23
; NumVGPRsForWavesPerEU: 12
; Occupancy: 16
; WaveLimiterHint : 0
; COMPUTE_PGM_RSRC2:SCRATCH_EN: 0
; COMPUTE_PGM_RSRC2:USER_SGPR: 8
; COMPUTE_PGM_RSRC2:TRAP_HANDLER: 0
; COMPUTE_PGM_RSRC2:TGID_X_EN: 1
; COMPUTE_PGM_RSRC2:TGID_Y_EN: 0
; COMPUTE_PGM_RSRC2:TGID_Z_EN: 0
; COMPUTE_PGM_RSRC2:TIDIG_COMP_CNT: 2
	.section	.text._ZN7rocprim17ROCPRIM_400000_NS6detail30init_device_scan_by_key_kernelINS1_19lookback_scan_stateINS0_5tupleIJ11FixedVectorIiLj8EEbEEELb0ELb0EEENS1_16block_id_wrapperIjLb0EEEEEvT_jjPNSB_10value_typeET0_,"axG",@progbits,_ZN7rocprim17ROCPRIM_400000_NS6detail30init_device_scan_by_key_kernelINS1_19lookback_scan_stateINS0_5tupleIJ11FixedVectorIiLj8EEbEEELb0ELb0EEENS1_16block_id_wrapperIjLb0EEEEEvT_jjPNSB_10value_typeET0_,comdat
	.protected	_ZN7rocprim17ROCPRIM_400000_NS6detail30init_device_scan_by_key_kernelINS1_19lookback_scan_stateINS0_5tupleIJ11FixedVectorIiLj8EEbEEELb0ELb0EEENS1_16block_id_wrapperIjLb0EEEEEvT_jjPNSB_10value_typeET0_ ; -- Begin function _ZN7rocprim17ROCPRIM_400000_NS6detail30init_device_scan_by_key_kernelINS1_19lookback_scan_stateINS0_5tupleIJ11FixedVectorIiLj8EEbEEELb0ELb0EEENS1_16block_id_wrapperIjLb0EEEEEvT_jjPNSB_10value_typeET0_
	.globl	_ZN7rocprim17ROCPRIM_400000_NS6detail30init_device_scan_by_key_kernelINS1_19lookback_scan_stateINS0_5tupleIJ11FixedVectorIiLj8EEbEEELb0ELb0EEENS1_16block_id_wrapperIjLb0EEEEEvT_jjPNSB_10value_typeET0_
	.p2align	8
	.type	_ZN7rocprim17ROCPRIM_400000_NS6detail30init_device_scan_by_key_kernelINS1_19lookback_scan_stateINS0_5tupleIJ11FixedVectorIiLj8EEbEEELb0ELb0EEENS1_16block_id_wrapperIjLb0EEEEEvT_jjPNSB_10value_typeET0_,@function
_ZN7rocprim17ROCPRIM_400000_NS6detail30init_device_scan_by_key_kernelINS1_19lookback_scan_stateINS0_5tupleIJ11FixedVectorIiLj8EEbEEELb0ELb0EEENS1_16block_id_wrapperIjLb0EEEEEvT_jjPNSB_10value_typeET0_: ; @_ZN7rocprim17ROCPRIM_400000_NS6detail30init_device_scan_by_key_kernelINS1_19lookback_scan_stateINS0_5tupleIJ11FixedVectorIiLj8EEbEEELb0ELb0EEENS1_16block_id_wrapperIjLb0EEEEEvT_jjPNSB_10value_typeET0_
; %bb.0:
	s_clause 0x2
	s_load_dword s9, s[6:7], 0x3c
	s_load_dwordx2 s[10:11], s[6:7], 0x20
	s_load_dwordx4 s[0:3], s[6:7], 0x10
	s_waitcnt lgkmcnt(0)
	s_and_b32 s9, s9, 0xffff
	s_cmp_eq_u64 s[10:11], 0
	v_mad_u64_u32 v[3:4], null, s8, s9, v[0:1]
	s_cbranch_scc1 .LBB2114_8
; %bb.1:
	s_cmp_lt_u32 s3, s2
	s_cselect_b32 s8, s3, 0
	v_cmp_eq_u32_e32 vcc_lo, s8, v3
	s_mov_b32 s8, 0
	s_and_saveexec_b32 s12, vcc_lo
	s_cbranch_execz .LBB2114_7
; %bb.2:
	s_load_dwordx2 s[4:5], s[4:5], 0x4
	s_waitcnt lgkmcnt(0)
	s_lshr_b32 s4, s4, 16
	v_mul_u32_u24_e32 v1, s5, v1
	s_mul_i32 s4, s4, s5
	v_mul_lo_u32 v0, s4, v0
	s_load_dwordx4 s[4:7], s[6:7], 0x0
	v_add3_u32 v0, v0, v1, v2
	v_mov_b32_e32 v1, 0
	v_mul_lo_u32 v0, v0, 36
	ds_write2_b32 v0, v1, v1 offset0:6 offset1:7
	ds_write2_b32 v0, v1, v1 offset0:4 offset1:5
	;; [unrolled: 1-line block ×3, first 2 shown]
	ds_write2_b32 v0, v1, v1 offset1:1
	ds_write_b32 v0, v1 offset:32
.LBB2114_3:                             ; =>This Inner Loop Header: Depth=1
	v_add_nc_u32_e32 v2, s8, v0
	s_add_i32 s8, s8, 4
	s_cmp_lg_u32 s8, 32
	ds_write_b32 v2, v1
	s_cbranch_scc1 .LBB2114_3
; %bb.4:
	s_add_i32 s3, s3, 32
	v_mov_b32_e32 v1, 0
	v_mov_b32_e32 v2, s3
	s_add_u32 s8, s0, s3
	s_addc_u32 s9, s1, 0
	ds_write_b8 v0, v1 offset:32
	global_load_ubyte v2, v2, s[0:1] glc dlc
	s_waitcnt vmcnt(0)
	v_cmp_ne_u32_sdwa s14, v2, v1 src0_sel:WORD_0 src1_sel:DWORD
	v_readfirstlane_b32 s13, v2
	s_and_b32 vcc_lo, exec_lo, s14
	s_cbranch_vccnz .LBB2114_6
.LBB2114_5:                             ; =>This Inner Loop Header: Depth=1
	global_load_ubyte v2, v1, s[8:9] glc dlc
	s_waitcnt vmcnt(0)
	v_cmp_eq_u32_sdwa s14, v2, v1 src0_sel:WORD_0 src1_sel:DWORD
	v_readfirstlane_b32 s13, v2
	s_and_b32 vcc_lo, exec_lo, s14
	s_cbranch_vccnz .LBB2114_5
.LBB2114_6:
	s_and_b32 s8, 0xffff, s13
	v_mov_b32_e32 v1, 0
	s_cmp_eq_u32 s8, 1
	s_mul_i32 s8, s3, 36
	s_waitcnt lgkmcnt(0)
	s_cselect_b32 s4, s4, s6
	s_cselect_b32 s5, s5, s7
	s_mul_hi_u32 s3, s3, 36
	s_add_u32 s4, s4, s8
	s_addc_u32 s5, s5, s3
	buffer_gl1_inv
	buffer_gl0_inv
	s_clause 0x2
	global_load_dwordx4 v[4:7], v1, s[4:5]
	global_load_dwordx4 v[8:11], v1, s[4:5] offset:16
	global_load_ubyte v2, v1, s[4:5] offset:32
	s_waitcnt vmcnt(2)
	ds_write2_b32 v0, v4, v5 offset1:1
	ds_write2_b32 v0, v6, v7 offset0:2 offset1:3
	s_waitcnt vmcnt(1)
	ds_write2_b32 v0, v8, v9 offset0:4 offset1:5
	ds_write2_b32 v0, v10, v11 offset0:6 offset1:7
	global_store_dwordx4 v1, v[4:7], s[10:11]
	global_store_dwordx4 v1, v[8:11], s[10:11] offset:16
	s_waitcnt vmcnt(0)
	global_store_byte v1, v2, s[10:11] offset:32
.LBB2114_7:
	s_or_b32 exec_lo, exec_lo, s12
.LBB2114_8:
	v_cmp_gt_u32_e32 vcc_lo, s2, v3
	s_and_saveexec_b32 s2, vcc_lo
	s_cbranch_execz .LBB2114_10
; %bb.9:
	v_add_nc_u32_e32 v0, 32, v3
	v_mov_b32_e32 v1, 0
	global_store_byte v0, v1, s[0:1]
.LBB2114_10:
	s_or_b32 exec_lo, exec_lo, s2
	s_mov_b32 s2, exec_lo
	v_cmpx_gt_u32_e32 32, v3
	s_cbranch_execz .LBB2114_12
; %bb.11:
	v_mov_b32_e32 v0, 0xff
	global_store_byte v3, v0, s[0:1]
.LBB2114_12:
	s_endpgm
	.section	.rodata,"a",@progbits
	.p2align	6, 0x0
	.amdhsa_kernel _ZN7rocprim17ROCPRIM_400000_NS6detail30init_device_scan_by_key_kernelINS1_19lookback_scan_stateINS0_5tupleIJ11FixedVectorIiLj8EEbEEELb0ELb0EEENS1_16block_id_wrapperIjLb0EEEEEvT_jjPNSB_10value_typeET0_
		.amdhsa_group_segment_fixed_size 9216
		.amdhsa_private_segment_fixed_size 0
		.amdhsa_kernarg_size 304
		.amdhsa_user_sgpr_count 8
		.amdhsa_user_sgpr_private_segment_buffer 1
		.amdhsa_user_sgpr_dispatch_ptr 1
		.amdhsa_user_sgpr_queue_ptr 0
		.amdhsa_user_sgpr_kernarg_segment_ptr 1
		.amdhsa_user_sgpr_dispatch_id 0
		.amdhsa_user_sgpr_flat_scratch_init 0
		.amdhsa_user_sgpr_private_segment_size 0
		.amdhsa_wavefront_size32 1
		.amdhsa_uses_dynamic_stack 0
		.amdhsa_system_sgpr_private_segment_wavefront_offset 0
		.amdhsa_system_sgpr_workgroup_id_x 1
		.amdhsa_system_sgpr_workgroup_id_y 0
		.amdhsa_system_sgpr_workgroup_id_z 0
		.amdhsa_system_sgpr_workgroup_info 0
		.amdhsa_system_vgpr_workitem_id 2
		.amdhsa_next_free_vgpr 12
		.amdhsa_next_free_sgpr 15
		.amdhsa_reserve_vcc 1
		.amdhsa_reserve_flat_scratch 0
		.amdhsa_float_round_mode_32 0
		.amdhsa_float_round_mode_16_64 0
		.amdhsa_float_denorm_mode_32 3
		.amdhsa_float_denorm_mode_16_64 3
		.amdhsa_dx10_clamp 1
		.amdhsa_ieee_mode 1
		.amdhsa_fp16_overflow 0
		.amdhsa_workgroup_processor_mode 1
		.amdhsa_memory_ordered 1
		.amdhsa_forward_progress 1
		.amdhsa_shared_vgpr_count 0
		.amdhsa_exception_fp_ieee_invalid_op 0
		.amdhsa_exception_fp_denorm_src 0
		.amdhsa_exception_fp_ieee_div_zero 0
		.amdhsa_exception_fp_ieee_overflow 0
		.amdhsa_exception_fp_ieee_underflow 0
		.amdhsa_exception_fp_ieee_inexact 0
		.amdhsa_exception_int_div_zero 0
	.end_amdhsa_kernel
	.section	.text._ZN7rocprim17ROCPRIM_400000_NS6detail30init_device_scan_by_key_kernelINS1_19lookback_scan_stateINS0_5tupleIJ11FixedVectorIiLj8EEbEEELb0ELb0EEENS1_16block_id_wrapperIjLb0EEEEEvT_jjPNSB_10value_typeET0_,"axG",@progbits,_ZN7rocprim17ROCPRIM_400000_NS6detail30init_device_scan_by_key_kernelINS1_19lookback_scan_stateINS0_5tupleIJ11FixedVectorIiLj8EEbEEELb0ELb0EEENS1_16block_id_wrapperIjLb0EEEEEvT_jjPNSB_10value_typeET0_,comdat
.Lfunc_end2114:
	.size	_ZN7rocprim17ROCPRIM_400000_NS6detail30init_device_scan_by_key_kernelINS1_19lookback_scan_stateINS0_5tupleIJ11FixedVectorIiLj8EEbEEELb0ELb0EEENS1_16block_id_wrapperIjLb0EEEEEvT_jjPNSB_10value_typeET0_, .Lfunc_end2114-_ZN7rocprim17ROCPRIM_400000_NS6detail30init_device_scan_by_key_kernelINS1_19lookback_scan_stateINS0_5tupleIJ11FixedVectorIiLj8EEbEEELb0ELb0EEENS1_16block_id_wrapperIjLb0EEEEEvT_jjPNSB_10value_typeET0_
                                        ; -- End function
	.set _ZN7rocprim17ROCPRIM_400000_NS6detail30init_device_scan_by_key_kernelINS1_19lookback_scan_stateINS0_5tupleIJ11FixedVectorIiLj8EEbEEELb0ELb0EEENS1_16block_id_wrapperIjLb0EEEEEvT_jjPNSB_10value_typeET0_.num_vgpr, 12
	.set _ZN7rocprim17ROCPRIM_400000_NS6detail30init_device_scan_by_key_kernelINS1_19lookback_scan_stateINS0_5tupleIJ11FixedVectorIiLj8EEbEEELb0ELb0EEENS1_16block_id_wrapperIjLb0EEEEEvT_jjPNSB_10value_typeET0_.num_agpr, 0
	.set _ZN7rocprim17ROCPRIM_400000_NS6detail30init_device_scan_by_key_kernelINS1_19lookback_scan_stateINS0_5tupleIJ11FixedVectorIiLj8EEbEEELb0ELb0EEENS1_16block_id_wrapperIjLb0EEEEEvT_jjPNSB_10value_typeET0_.numbered_sgpr, 15
	.set _ZN7rocprim17ROCPRIM_400000_NS6detail30init_device_scan_by_key_kernelINS1_19lookback_scan_stateINS0_5tupleIJ11FixedVectorIiLj8EEbEEELb0ELb0EEENS1_16block_id_wrapperIjLb0EEEEEvT_jjPNSB_10value_typeET0_.num_named_barrier, 0
	.set _ZN7rocprim17ROCPRIM_400000_NS6detail30init_device_scan_by_key_kernelINS1_19lookback_scan_stateINS0_5tupleIJ11FixedVectorIiLj8EEbEEELb0ELb0EEENS1_16block_id_wrapperIjLb0EEEEEvT_jjPNSB_10value_typeET0_.private_seg_size, 0
	.set _ZN7rocprim17ROCPRIM_400000_NS6detail30init_device_scan_by_key_kernelINS1_19lookback_scan_stateINS0_5tupleIJ11FixedVectorIiLj8EEbEEELb0ELb0EEENS1_16block_id_wrapperIjLb0EEEEEvT_jjPNSB_10value_typeET0_.uses_vcc, 1
	.set _ZN7rocprim17ROCPRIM_400000_NS6detail30init_device_scan_by_key_kernelINS1_19lookback_scan_stateINS0_5tupleIJ11FixedVectorIiLj8EEbEEELb0ELb0EEENS1_16block_id_wrapperIjLb0EEEEEvT_jjPNSB_10value_typeET0_.uses_flat_scratch, 0
	.set _ZN7rocprim17ROCPRIM_400000_NS6detail30init_device_scan_by_key_kernelINS1_19lookback_scan_stateINS0_5tupleIJ11FixedVectorIiLj8EEbEEELb0ELb0EEENS1_16block_id_wrapperIjLb0EEEEEvT_jjPNSB_10value_typeET0_.has_dyn_sized_stack, 0
	.set _ZN7rocprim17ROCPRIM_400000_NS6detail30init_device_scan_by_key_kernelINS1_19lookback_scan_stateINS0_5tupleIJ11FixedVectorIiLj8EEbEEELb0ELb0EEENS1_16block_id_wrapperIjLb0EEEEEvT_jjPNSB_10value_typeET0_.has_recursion, 0
	.set _ZN7rocprim17ROCPRIM_400000_NS6detail30init_device_scan_by_key_kernelINS1_19lookback_scan_stateINS0_5tupleIJ11FixedVectorIiLj8EEbEEELb0ELb0EEENS1_16block_id_wrapperIjLb0EEEEEvT_jjPNSB_10value_typeET0_.has_indirect_call, 0
	.section	.AMDGPU.csdata,"",@progbits
; Kernel info:
; codeLenInByte = 520
; TotalNumSgprs: 17
; NumVgprs: 12
; ScratchSize: 0
; MemoryBound: 0
; FloatMode: 240
; IeeeMode: 1
; LDSByteSize: 9216 bytes/workgroup (compile time only)
; SGPRBlocks: 0
; VGPRBlocks: 1
; NumSGPRsForWavesPerEU: 17
; NumVGPRsForWavesPerEU: 12
; Occupancy: 16
; WaveLimiterHint : 0
; COMPUTE_PGM_RSRC2:SCRATCH_EN: 0
; COMPUTE_PGM_RSRC2:USER_SGPR: 8
; COMPUTE_PGM_RSRC2:TRAP_HANDLER: 0
; COMPUTE_PGM_RSRC2:TGID_X_EN: 1
; COMPUTE_PGM_RSRC2:TGID_Y_EN: 0
; COMPUTE_PGM_RSRC2:TGID_Z_EN: 0
; COMPUTE_PGM_RSRC2:TIDIG_COMP_CNT: 2
	.section	.text._ZN7rocprim17ROCPRIM_400000_NS6detail17trampoline_kernelINS0_14default_configENS1_27scan_by_key_config_selectorIj11FixedVectorIiLj8EEEEZZNS1_16scan_by_key_implILNS1_25lookback_scan_determinismE0ELb0ES3_N6thrust23THRUST_200600_302600_NS6detail15normal_iteratorINSB_10device_ptrIjEEEENSD_INSE_IS6_EEEESI_S6_NSB_4plusIvEENSB_8equal_toIvEES6_EE10hipError_tPvRmT2_T3_T4_T5_mT6_T7_P12ihipStream_tbENKUlT_T0_E_clISt17integral_constantIbLb0EES13_EEDaSY_SZ_EUlSY_E_NS1_11comp_targetILNS1_3genE0ELNS1_11target_archE4294967295ELNS1_3gpuE0ELNS1_3repE0EEENS1_30default_config_static_selectorELNS0_4arch9wavefront6targetE0EEEvT1_,"axG",@progbits,_ZN7rocprim17ROCPRIM_400000_NS6detail17trampoline_kernelINS0_14default_configENS1_27scan_by_key_config_selectorIj11FixedVectorIiLj8EEEEZZNS1_16scan_by_key_implILNS1_25lookback_scan_determinismE0ELb0ES3_N6thrust23THRUST_200600_302600_NS6detail15normal_iteratorINSB_10device_ptrIjEEEENSD_INSE_IS6_EEEESI_S6_NSB_4plusIvEENSB_8equal_toIvEES6_EE10hipError_tPvRmT2_T3_T4_T5_mT6_T7_P12ihipStream_tbENKUlT_T0_E_clISt17integral_constantIbLb0EES13_EEDaSY_SZ_EUlSY_E_NS1_11comp_targetILNS1_3genE0ELNS1_11target_archE4294967295ELNS1_3gpuE0ELNS1_3repE0EEENS1_30default_config_static_selectorELNS0_4arch9wavefront6targetE0EEEvT1_,comdat
	.protected	_ZN7rocprim17ROCPRIM_400000_NS6detail17trampoline_kernelINS0_14default_configENS1_27scan_by_key_config_selectorIj11FixedVectorIiLj8EEEEZZNS1_16scan_by_key_implILNS1_25lookback_scan_determinismE0ELb0ES3_N6thrust23THRUST_200600_302600_NS6detail15normal_iteratorINSB_10device_ptrIjEEEENSD_INSE_IS6_EEEESI_S6_NSB_4plusIvEENSB_8equal_toIvEES6_EE10hipError_tPvRmT2_T3_T4_T5_mT6_T7_P12ihipStream_tbENKUlT_T0_E_clISt17integral_constantIbLb0EES13_EEDaSY_SZ_EUlSY_E_NS1_11comp_targetILNS1_3genE0ELNS1_11target_archE4294967295ELNS1_3gpuE0ELNS1_3repE0EEENS1_30default_config_static_selectorELNS0_4arch9wavefront6targetE0EEEvT1_ ; -- Begin function _ZN7rocprim17ROCPRIM_400000_NS6detail17trampoline_kernelINS0_14default_configENS1_27scan_by_key_config_selectorIj11FixedVectorIiLj8EEEEZZNS1_16scan_by_key_implILNS1_25lookback_scan_determinismE0ELb0ES3_N6thrust23THRUST_200600_302600_NS6detail15normal_iteratorINSB_10device_ptrIjEEEENSD_INSE_IS6_EEEESI_S6_NSB_4plusIvEENSB_8equal_toIvEES6_EE10hipError_tPvRmT2_T3_T4_T5_mT6_T7_P12ihipStream_tbENKUlT_T0_E_clISt17integral_constantIbLb0EES13_EEDaSY_SZ_EUlSY_E_NS1_11comp_targetILNS1_3genE0ELNS1_11target_archE4294967295ELNS1_3gpuE0ELNS1_3repE0EEENS1_30default_config_static_selectorELNS0_4arch9wavefront6targetE0EEEvT1_
	.globl	_ZN7rocprim17ROCPRIM_400000_NS6detail17trampoline_kernelINS0_14default_configENS1_27scan_by_key_config_selectorIj11FixedVectorIiLj8EEEEZZNS1_16scan_by_key_implILNS1_25lookback_scan_determinismE0ELb0ES3_N6thrust23THRUST_200600_302600_NS6detail15normal_iteratorINSB_10device_ptrIjEEEENSD_INSE_IS6_EEEESI_S6_NSB_4plusIvEENSB_8equal_toIvEES6_EE10hipError_tPvRmT2_T3_T4_T5_mT6_T7_P12ihipStream_tbENKUlT_T0_E_clISt17integral_constantIbLb0EES13_EEDaSY_SZ_EUlSY_E_NS1_11comp_targetILNS1_3genE0ELNS1_11target_archE4294967295ELNS1_3gpuE0ELNS1_3repE0EEENS1_30default_config_static_selectorELNS0_4arch9wavefront6targetE0EEEvT1_
	.p2align	8
	.type	_ZN7rocprim17ROCPRIM_400000_NS6detail17trampoline_kernelINS0_14default_configENS1_27scan_by_key_config_selectorIj11FixedVectorIiLj8EEEEZZNS1_16scan_by_key_implILNS1_25lookback_scan_determinismE0ELb0ES3_N6thrust23THRUST_200600_302600_NS6detail15normal_iteratorINSB_10device_ptrIjEEEENSD_INSE_IS6_EEEESI_S6_NSB_4plusIvEENSB_8equal_toIvEES6_EE10hipError_tPvRmT2_T3_T4_T5_mT6_T7_P12ihipStream_tbENKUlT_T0_E_clISt17integral_constantIbLb0EES13_EEDaSY_SZ_EUlSY_E_NS1_11comp_targetILNS1_3genE0ELNS1_11target_archE4294967295ELNS1_3gpuE0ELNS1_3repE0EEENS1_30default_config_static_selectorELNS0_4arch9wavefront6targetE0EEEvT1_,@function
_ZN7rocprim17ROCPRIM_400000_NS6detail17trampoline_kernelINS0_14default_configENS1_27scan_by_key_config_selectorIj11FixedVectorIiLj8EEEEZZNS1_16scan_by_key_implILNS1_25lookback_scan_determinismE0ELb0ES3_N6thrust23THRUST_200600_302600_NS6detail15normal_iteratorINSB_10device_ptrIjEEEENSD_INSE_IS6_EEEESI_S6_NSB_4plusIvEENSB_8equal_toIvEES6_EE10hipError_tPvRmT2_T3_T4_T5_mT6_T7_P12ihipStream_tbENKUlT_T0_E_clISt17integral_constantIbLb0EES13_EEDaSY_SZ_EUlSY_E_NS1_11comp_targetILNS1_3genE0ELNS1_11target_archE4294967295ELNS1_3gpuE0ELNS1_3repE0EEENS1_30default_config_static_selectorELNS0_4arch9wavefront6targetE0EEEvT1_: ; @_ZN7rocprim17ROCPRIM_400000_NS6detail17trampoline_kernelINS0_14default_configENS1_27scan_by_key_config_selectorIj11FixedVectorIiLj8EEEEZZNS1_16scan_by_key_implILNS1_25lookback_scan_determinismE0ELb0ES3_N6thrust23THRUST_200600_302600_NS6detail15normal_iteratorINSB_10device_ptrIjEEEENSD_INSE_IS6_EEEESI_S6_NSB_4plusIvEENSB_8equal_toIvEES6_EE10hipError_tPvRmT2_T3_T4_T5_mT6_T7_P12ihipStream_tbENKUlT_T0_E_clISt17integral_constantIbLb0EES13_EEDaSY_SZ_EUlSY_E_NS1_11comp_targetILNS1_3genE0ELNS1_11target_archE4294967295ELNS1_3gpuE0ELNS1_3repE0EEENS1_30default_config_static_selectorELNS0_4arch9wavefront6targetE0EEEvT1_
; %bb.0:
	.section	.rodata,"a",@progbits
	.p2align	6, 0x0
	.amdhsa_kernel _ZN7rocprim17ROCPRIM_400000_NS6detail17trampoline_kernelINS0_14default_configENS1_27scan_by_key_config_selectorIj11FixedVectorIiLj8EEEEZZNS1_16scan_by_key_implILNS1_25lookback_scan_determinismE0ELb0ES3_N6thrust23THRUST_200600_302600_NS6detail15normal_iteratorINSB_10device_ptrIjEEEENSD_INSE_IS6_EEEESI_S6_NSB_4plusIvEENSB_8equal_toIvEES6_EE10hipError_tPvRmT2_T3_T4_T5_mT6_T7_P12ihipStream_tbENKUlT_T0_E_clISt17integral_constantIbLb0EES13_EEDaSY_SZ_EUlSY_E_NS1_11comp_targetILNS1_3genE0ELNS1_11target_archE4294967295ELNS1_3gpuE0ELNS1_3repE0EEENS1_30default_config_static_selectorELNS0_4arch9wavefront6targetE0EEEvT1_
		.amdhsa_group_segment_fixed_size 0
		.amdhsa_private_segment_fixed_size 0
		.amdhsa_kernarg_size 160
		.amdhsa_user_sgpr_count 6
		.amdhsa_user_sgpr_private_segment_buffer 1
		.amdhsa_user_sgpr_dispatch_ptr 0
		.amdhsa_user_sgpr_queue_ptr 0
		.amdhsa_user_sgpr_kernarg_segment_ptr 1
		.amdhsa_user_sgpr_dispatch_id 0
		.amdhsa_user_sgpr_flat_scratch_init 0
		.amdhsa_user_sgpr_private_segment_size 0
		.amdhsa_wavefront_size32 1
		.amdhsa_uses_dynamic_stack 0
		.amdhsa_system_sgpr_private_segment_wavefront_offset 0
		.amdhsa_system_sgpr_workgroup_id_x 1
		.amdhsa_system_sgpr_workgroup_id_y 0
		.amdhsa_system_sgpr_workgroup_id_z 0
		.amdhsa_system_sgpr_workgroup_info 0
		.amdhsa_system_vgpr_workitem_id 0
		.amdhsa_next_free_vgpr 1
		.amdhsa_next_free_sgpr 1
		.amdhsa_reserve_vcc 0
		.amdhsa_reserve_flat_scratch 0
		.amdhsa_float_round_mode_32 0
		.amdhsa_float_round_mode_16_64 0
		.amdhsa_float_denorm_mode_32 3
		.amdhsa_float_denorm_mode_16_64 3
		.amdhsa_dx10_clamp 1
		.amdhsa_ieee_mode 1
		.amdhsa_fp16_overflow 0
		.amdhsa_workgroup_processor_mode 1
		.amdhsa_memory_ordered 1
		.amdhsa_forward_progress 1
		.amdhsa_shared_vgpr_count 0
		.amdhsa_exception_fp_ieee_invalid_op 0
		.amdhsa_exception_fp_denorm_src 0
		.amdhsa_exception_fp_ieee_div_zero 0
		.amdhsa_exception_fp_ieee_overflow 0
		.amdhsa_exception_fp_ieee_underflow 0
		.amdhsa_exception_fp_ieee_inexact 0
		.amdhsa_exception_int_div_zero 0
	.end_amdhsa_kernel
	.section	.text._ZN7rocprim17ROCPRIM_400000_NS6detail17trampoline_kernelINS0_14default_configENS1_27scan_by_key_config_selectorIj11FixedVectorIiLj8EEEEZZNS1_16scan_by_key_implILNS1_25lookback_scan_determinismE0ELb0ES3_N6thrust23THRUST_200600_302600_NS6detail15normal_iteratorINSB_10device_ptrIjEEEENSD_INSE_IS6_EEEESI_S6_NSB_4plusIvEENSB_8equal_toIvEES6_EE10hipError_tPvRmT2_T3_T4_T5_mT6_T7_P12ihipStream_tbENKUlT_T0_E_clISt17integral_constantIbLb0EES13_EEDaSY_SZ_EUlSY_E_NS1_11comp_targetILNS1_3genE0ELNS1_11target_archE4294967295ELNS1_3gpuE0ELNS1_3repE0EEENS1_30default_config_static_selectorELNS0_4arch9wavefront6targetE0EEEvT1_,"axG",@progbits,_ZN7rocprim17ROCPRIM_400000_NS6detail17trampoline_kernelINS0_14default_configENS1_27scan_by_key_config_selectorIj11FixedVectorIiLj8EEEEZZNS1_16scan_by_key_implILNS1_25lookback_scan_determinismE0ELb0ES3_N6thrust23THRUST_200600_302600_NS6detail15normal_iteratorINSB_10device_ptrIjEEEENSD_INSE_IS6_EEEESI_S6_NSB_4plusIvEENSB_8equal_toIvEES6_EE10hipError_tPvRmT2_T3_T4_T5_mT6_T7_P12ihipStream_tbENKUlT_T0_E_clISt17integral_constantIbLb0EES13_EEDaSY_SZ_EUlSY_E_NS1_11comp_targetILNS1_3genE0ELNS1_11target_archE4294967295ELNS1_3gpuE0ELNS1_3repE0EEENS1_30default_config_static_selectorELNS0_4arch9wavefront6targetE0EEEvT1_,comdat
.Lfunc_end2115:
	.size	_ZN7rocprim17ROCPRIM_400000_NS6detail17trampoline_kernelINS0_14default_configENS1_27scan_by_key_config_selectorIj11FixedVectorIiLj8EEEEZZNS1_16scan_by_key_implILNS1_25lookback_scan_determinismE0ELb0ES3_N6thrust23THRUST_200600_302600_NS6detail15normal_iteratorINSB_10device_ptrIjEEEENSD_INSE_IS6_EEEESI_S6_NSB_4plusIvEENSB_8equal_toIvEES6_EE10hipError_tPvRmT2_T3_T4_T5_mT6_T7_P12ihipStream_tbENKUlT_T0_E_clISt17integral_constantIbLb0EES13_EEDaSY_SZ_EUlSY_E_NS1_11comp_targetILNS1_3genE0ELNS1_11target_archE4294967295ELNS1_3gpuE0ELNS1_3repE0EEENS1_30default_config_static_selectorELNS0_4arch9wavefront6targetE0EEEvT1_, .Lfunc_end2115-_ZN7rocprim17ROCPRIM_400000_NS6detail17trampoline_kernelINS0_14default_configENS1_27scan_by_key_config_selectorIj11FixedVectorIiLj8EEEEZZNS1_16scan_by_key_implILNS1_25lookback_scan_determinismE0ELb0ES3_N6thrust23THRUST_200600_302600_NS6detail15normal_iteratorINSB_10device_ptrIjEEEENSD_INSE_IS6_EEEESI_S6_NSB_4plusIvEENSB_8equal_toIvEES6_EE10hipError_tPvRmT2_T3_T4_T5_mT6_T7_P12ihipStream_tbENKUlT_T0_E_clISt17integral_constantIbLb0EES13_EEDaSY_SZ_EUlSY_E_NS1_11comp_targetILNS1_3genE0ELNS1_11target_archE4294967295ELNS1_3gpuE0ELNS1_3repE0EEENS1_30default_config_static_selectorELNS0_4arch9wavefront6targetE0EEEvT1_
                                        ; -- End function
	.set _ZN7rocprim17ROCPRIM_400000_NS6detail17trampoline_kernelINS0_14default_configENS1_27scan_by_key_config_selectorIj11FixedVectorIiLj8EEEEZZNS1_16scan_by_key_implILNS1_25lookback_scan_determinismE0ELb0ES3_N6thrust23THRUST_200600_302600_NS6detail15normal_iteratorINSB_10device_ptrIjEEEENSD_INSE_IS6_EEEESI_S6_NSB_4plusIvEENSB_8equal_toIvEES6_EE10hipError_tPvRmT2_T3_T4_T5_mT6_T7_P12ihipStream_tbENKUlT_T0_E_clISt17integral_constantIbLb0EES13_EEDaSY_SZ_EUlSY_E_NS1_11comp_targetILNS1_3genE0ELNS1_11target_archE4294967295ELNS1_3gpuE0ELNS1_3repE0EEENS1_30default_config_static_selectorELNS0_4arch9wavefront6targetE0EEEvT1_.num_vgpr, 0
	.set _ZN7rocprim17ROCPRIM_400000_NS6detail17trampoline_kernelINS0_14default_configENS1_27scan_by_key_config_selectorIj11FixedVectorIiLj8EEEEZZNS1_16scan_by_key_implILNS1_25lookback_scan_determinismE0ELb0ES3_N6thrust23THRUST_200600_302600_NS6detail15normal_iteratorINSB_10device_ptrIjEEEENSD_INSE_IS6_EEEESI_S6_NSB_4plusIvEENSB_8equal_toIvEES6_EE10hipError_tPvRmT2_T3_T4_T5_mT6_T7_P12ihipStream_tbENKUlT_T0_E_clISt17integral_constantIbLb0EES13_EEDaSY_SZ_EUlSY_E_NS1_11comp_targetILNS1_3genE0ELNS1_11target_archE4294967295ELNS1_3gpuE0ELNS1_3repE0EEENS1_30default_config_static_selectorELNS0_4arch9wavefront6targetE0EEEvT1_.num_agpr, 0
	.set _ZN7rocprim17ROCPRIM_400000_NS6detail17trampoline_kernelINS0_14default_configENS1_27scan_by_key_config_selectorIj11FixedVectorIiLj8EEEEZZNS1_16scan_by_key_implILNS1_25lookback_scan_determinismE0ELb0ES3_N6thrust23THRUST_200600_302600_NS6detail15normal_iteratorINSB_10device_ptrIjEEEENSD_INSE_IS6_EEEESI_S6_NSB_4plusIvEENSB_8equal_toIvEES6_EE10hipError_tPvRmT2_T3_T4_T5_mT6_T7_P12ihipStream_tbENKUlT_T0_E_clISt17integral_constantIbLb0EES13_EEDaSY_SZ_EUlSY_E_NS1_11comp_targetILNS1_3genE0ELNS1_11target_archE4294967295ELNS1_3gpuE0ELNS1_3repE0EEENS1_30default_config_static_selectorELNS0_4arch9wavefront6targetE0EEEvT1_.numbered_sgpr, 0
	.set _ZN7rocprim17ROCPRIM_400000_NS6detail17trampoline_kernelINS0_14default_configENS1_27scan_by_key_config_selectorIj11FixedVectorIiLj8EEEEZZNS1_16scan_by_key_implILNS1_25lookback_scan_determinismE0ELb0ES3_N6thrust23THRUST_200600_302600_NS6detail15normal_iteratorINSB_10device_ptrIjEEEENSD_INSE_IS6_EEEESI_S6_NSB_4plusIvEENSB_8equal_toIvEES6_EE10hipError_tPvRmT2_T3_T4_T5_mT6_T7_P12ihipStream_tbENKUlT_T0_E_clISt17integral_constantIbLb0EES13_EEDaSY_SZ_EUlSY_E_NS1_11comp_targetILNS1_3genE0ELNS1_11target_archE4294967295ELNS1_3gpuE0ELNS1_3repE0EEENS1_30default_config_static_selectorELNS0_4arch9wavefront6targetE0EEEvT1_.num_named_barrier, 0
	.set _ZN7rocprim17ROCPRIM_400000_NS6detail17trampoline_kernelINS0_14default_configENS1_27scan_by_key_config_selectorIj11FixedVectorIiLj8EEEEZZNS1_16scan_by_key_implILNS1_25lookback_scan_determinismE0ELb0ES3_N6thrust23THRUST_200600_302600_NS6detail15normal_iteratorINSB_10device_ptrIjEEEENSD_INSE_IS6_EEEESI_S6_NSB_4plusIvEENSB_8equal_toIvEES6_EE10hipError_tPvRmT2_T3_T4_T5_mT6_T7_P12ihipStream_tbENKUlT_T0_E_clISt17integral_constantIbLb0EES13_EEDaSY_SZ_EUlSY_E_NS1_11comp_targetILNS1_3genE0ELNS1_11target_archE4294967295ELNS1_3gpuE0ELNS1_3repE0EEENS1_30default_config_static_selectorELNS0_4arch9wavefront6targetE0EEEvT1_.private_seg_size, 0
	.set _ZN7rocprim17ROCPRIM_400000_NS6detail17trampoline_kernelINS0_14default_configENS1_27scan_by_key_config_selectorIj11FixedVectorIiLj8EEEEZZNS1_16scan_by_key_implILNS1_25lookback_scan_determinismE0ELb0ES3_N6thrust23THRUST_200600_302600_NS6detail15normal_iteratorINSB_10device_ptrIjEEEENSD_INSE_IS6_EEEESI_S6_NSB_4plusIvEENSB_8equal_toIvEES6_EE10hipError_tPvRmT2_T3_T4_T5_mT6_T7_P12ihipStream_tbENKUlT_T0_E_clISt17integral_constantIbLb0EES13_EEDaSY_SZ_EUlSY_E_NS1_11comp_targetILNS1_3genE0ELNS1_11target_archE4294967295ELNS1_3gpuE0ELNS1_3repE0EEENS1_30default_config_static_selectorELNS0_4arch9wavefront6targetE0EEEvT1_.uses_vcc, 0
	.set _ZN7rocprim17ROCPRIM_400000_NS6detail17trampoline_kernelINS0_14default_configENS1_27scan_by_key_config_selectorIj11FixedVectorIiLj8EEEEZZNS1_16scan_by_key_implILNS1_25lookback_scan_determinismE0ELb0ES3_N6thrust23THRUST_200600_302600_NS6detail15normal_iteratorINSB_10device_ptrIjEEEENSD_INSE_IS6_EEEESI_S6_NSB_4plusIvEENSB_8equal_toIvEES6_EE10hipError_tPvRmT2_T3_T4_T5_mT6_T7_P12ihipStream_tbENKUlT_T0_E_clISt17integral_constantIbLb0EES13_EEDaSY_SZ_EUlSY_E_NS1_11comp_targetILNS1_3genE0ELNS1_11target_archE4294967295ELNS1_3gpuE0ELNS1_3repE0EEENS1_30default_config_static_selectorELNS0_4arch9wavefront6targetE0EEEvT1_.uses_flat_scratch, 0
	.set _ZN7rocprim17ROCPRIM_400000_NS6detail17trampoline_kernelINS0_14default_configENS1_27scan_by_key_config_selectorIj11FixedVectorIiLj8EEEEZZNS1_16scan_by_key_implILNS1_25lookback_scan_determinismE0ELb0ES3_N6thrust23THRUST_200600_302600_NS6detail15normal_iteratorINSB_10device_ptrIjEEEENSD_INSE_IS6_EEEESI_S6_NSB_4plusIvEENSB_8equal_toIvEES6_EE10hipError_tPvRmT2_T3_T4_T5_mT6_T7_P12ihipStream_tbENKUlT_T0_E_clISt17integral_constantIbLb0EES13_EEDaSY_SZ_EUlSY_E_NS1_11comp_targetILNS1_3genE0ELNS1_11target_archE4294967295ELNS1_3gpuE0ELNS1_3repE0EEENS1_30default_config_static_selectorELNS0_4arch9wavefront6targetE0EEEvT1_.has_dyn_sized_stack, 0
	.set _ZN7rocprim17ROCPRIM_400000_NS6detail17trampoline_kernelINS0_14default_configENS1_27scan_by_key_config_selectorIj11FixedVectorIiLj8EEEEZZNS1_16scan_by_key_implILNS1_25lookback_scan_determinismE0ELb0ES3_N6thrust23THRUST_200600_302600_NS6detail15normal_iteratorINSB_10device_ptrIjEEEENSD_INSE_IS6_EEEESI_S6_NSB_4plusIvEENSB_8equal_toIvEES6_EE10hipError_tPvRmT2_T3_T4_T5_mT6_T7_P12ihipStream_tbENKUlT_T0_E_clISt17integral_constantIbLb0EES13_EEDaSY_SZ_EUlSY_E_NS1_11comp_targetILNS1_3genE0ELNS1_11target_archE4294967295ELNS1_3gpuE0ELNS1_3repE0EEENS1_30default_config_static_selectorELNS0_4arch9wavefront6targetE0EEEvT1_.has_recursion, 0
	.set _ZN7rocprim17ROCPRIM_400000_NS6detail17trampoline_kernelINS0_14default_configENS1_27scan_by_key_config_selectorIj11FixedVectorIiLj8EEEEZZNS1_16scan_by_key_implILNS1_25lookback_scan_determinismE0ELb0ES3_N6thrust23THRUST_200600_302600_NS6detail15normal_iteratorINSB_10device_ptrIjEEEENSD_INSE_IS6_EEEESI_S6_NSB_4plusIvEENSB_8equal_toIvEES6_EE10hipError_tPvRmT2_T3_T4_T5_mT6_T7_P12ihipStream_tbENKUlT_T0_E_clISt17integral_constantIbLb0EES13_EEDaSY_SZ_EUlSY_E_NS1_11comp_targetILNS1_3genE0ELNS1_11target_archE4294967295ELNS1_3gpuE0ELNS1_3repE0EEENS1_30default_config_static_selectorELNS0_4arch9wavefront6targetE0EEEvT1_.has_indirect_call, 0
	.section	.AMDGPU.csdata,"",@progbits
; Kernel info:
; codeLenInByte = 0
; TotalNumSgprs: 0
; NumVgprs: 0
; ScratchSize: 0
; MemoryBound: 0
; FloatMode: 240
; IeeeMode: 1
; LDSByteSize: 0 bytes/workgroup (compile time only)
; SGPRBlocks: 0
; VGPRBlocks: 0
; NumSGPRsForWavesPerEU: 1
; NumVGPRsForWavesPerEU: 1
; Occupancy: 16
; WaveLimiterHint : 0
; COMPUTE_PGM_RSRC2:SCRATCH_EN: 0
; COMPUTE_PGM_RSRC2:USER_SGPR: 6
; COMPUTE_PGM_RSRC2:TRAP_HANDLER: 0
; COMPUTE_PGM_RSRC2:TGID_X_EN: 1
; COMPUTE_PGM_RSRC2:TGID_Y_EN: 0
; COMPUTE_PGM_RSRC2:TGID_Z_EN: 0
; COMPUTE_PGM_RSRC2:TIDIG_COMP_CNT: 0
	.section	.text._ZN7rocprim17ROCPRIM_400000_NS6detail17trampoline_kernelINS0_14default_configENS1_27scan_by_key_config_selectorIj11FixedVectorIiLj8EEEEZZNS1_16scan_by_key_implILNS1_25lookback_scan_determinismE0ELb0ES3_N6thrust23THRUST_200600_302600_NS6detail15normal_iteratorINSB_10device_ptrIjEEEENSD_INSE_IS6_EEEESI_S6_NSB_4plusIvEENSB_8equal_toIvEES6_EE10hipError_tPvRmT2_T3_T4_T5_mT6_T7_P12ihipStream_tbENKUlT_T0_E_clISt17integral_constantIbLb0EES13_EEDaSY_SZ_EUlSY_E_NS1_11comp_targetILNS1_3genE10ELNS1_11target_archE1201ELNS1_3gpuE5ELNS1_3repE0EEENS1_30default_config_static_selectorELNS0_4arch9wavefront6targetE0EEEvT1_,"axG",@progbits,_ZN7rocprim17ROCPRIM_400000_NS6detail17trampoline_kernelINS0_14default_configENS1_27scan_by_key_config_selectorIj11FixedVectorIiLj8EEEEZZNS1_16scan_by_key_implILNS1_25lookback_scan_determinismE0ELb0ES3_N6thrust23THRUST_200600_302600_NS6detail15normal_iteratorINSB_10device_ptrIjEEEENSD_INSE_IS6_EEEESI_S6_NSB_4plusIvEENSB_8equal_toIvEES6_EE10hipError_tPvRmT2_T3_T4_T5_mT6_T7_P12ihipStream_tbENKUlT_T0_E_clISt17integral_constantIbLb0EES13_EEDaSY_SZ_EUlSY_E_NS1_11comp_targetILNS1_3genE10ELNS1_11target_archE1201ELNS1_3gpuE5ELNS1_3repE0EEENS1_30default_config_static_selectorELNS0_4arch9wavefront6targetE0EEEvT1_,comdat
	.protected	_ZN7rocprim17ROCPRIM_400000_NS6detail17trampoline_kernelINS0_14default_configENS1_27scan_by_key_config_selectorIj11FixedVectorIiLj8EEEEZZNS1_16scan_by_key_implILNS1_25lookback_scan_determinismE0ELb0ES3_N6thrust23THRUST_200600_302600_NS6detail15normal_iteratorINSB_10device_ptrIjEEEENSD_INSE_IS6_EEEESI_S6_NSB_4plusIvEENSB_8equal_toIvEES6_EE10hipError_tPvRmT2_T3_T4_T5_mT6_T7_P12ihipStream_tbENKUlT_T0_E_clISt17integral_constantIbLb0EES13_EEDaSY_SZ_EUlSY_E_NS1_11comp_targetILNS1_3genE10ELNS1_11target_archE1201ELNS1_3gpuE5ELNS1_3repE0EEENS1_30default_config_static_selectorELNS0_4arch9wavefront6targetE0EEEvT1_ ; -- Begin function _ZN7rocprim17ROCPRIM_400000_NS6detail17trampoline_kernelINS0_14default_configENS1_27scan_by_key_config_selectorIj11FixedVectorIiLj8EEEEZZNS1_16scan_by_key_implILNS1_25lookback_scan_determinismE0ELb0ES3_N6thrust23THRUST_200600_302600_NS6detail15normal_iteratorINSB_10device_ptrIjEEEENSD_INSE_IS6_EEEESI_S6_NSB_4plusIvEENSB_8equal_toIvEES6_EE10hipError_tPvRmT2_T3_T4_T5_mT6_T7_P12ihipStream_tbENKUlT_T0_E_clISt17integral_constantIbLb0EES13_EEDaSY_SZ_EUlSY_E_NS1_11comp_targetILNS1_3genE10ELNS1_11target_archE1201ELNS1_3gpuE5ELNS1_3repE0EEENS1_30default_config_static_selectorELNS0_4arch9wavefront6targetE0EEEvT1_
	.globl	_ZN7rocprim17ROCPRIM_400000_NS6detail17trampoline_kernelINS0_14default_configENS1_27scan_by_key_config_selectorIj11FixedVectorIiLj8EEEEZZNS1_16scan_by_key_implILNS1_25lookback_scan_determinismE0ELb0ES3_N6thrust23THRUST_200600_302600_NS6detail15normal_iteratorINSB_10device_ptrIjEEEENSD_INSE_IS6_EEEESI_S6_NSB_4plusIvEENSB_8equal_toIvEES6_EE10hipError_tPvRmT2_T3_T4_T5_mT6_T7_P12ihipStream_tbENKUlT_T0_E_clISt17integral_constantIbLb0EES13_EEDaSY_SZ_EUlSY_E_NS1_11comp_targetILNS1_3genE10ELNS1_11target_archE1201ELNS1_3gpuE5ELNS1_3repE0EEENS1_30default_config_static_selectorELNS0_4arch9wavefront6targetE0EEEvT1_
	.p2align	8
	.type	_ZN7rocprim17ROCPRIM_400000_NS6detail17trampoline_kernelINS0_14default_configENS1_27scan_by_key_config_selectorIj11FixedVectorIiLj8EEEEZZNS1_16scan_by_key_implILNS1_25lookback_scan_determinismE0ELb0ES3_N6thrust23THRUST_200600_302600_NS6detail15normal_iteratorINSB_10device_ptrIjEEEENSD_INSE_IS6_EEEESI_S6_NSB_4plusIvEENSB_8equal_toIvEES6_EE10hipError_tPvRmT2_T3_T4_T5_mT6_T7_P12ihipStream_tbENKUlT_T0_E_clISt17integral_constantIbLb0EES13_EEDaSY_SZ_EUlSY_E_NS1_11comp_targetILNS1_3genE10ELNS1_11target_archE1201ELNS1_3gpuE5ELNS1_3repE0EEENS1_30default_config_static_selectorELNS0_4arch9wavefront6targetE0EEEvT1_,@function
_ZN7rocprim17ROCPRIM_400000_NS6detail17trampoline_kernelINS0_14default_configENS1_27scan_by_key_config_selectorIj11FixedVectorIiLj8EEEEZZNS1_16scan_by_key_implILNS1_25lookback_scan_determinismE0ELb0ES3_N6thrust23THRUST_200600_302600_NS6detail15normal_iteratorINSB_10device_ptrIjEEEENSD_INSE_IS6_EEEESI_S6_NSB_4plusIvEENSB_8equal_toIvEES6_EE10hipError_tPvRmT2_T3_T4_T5_mT6_T7_P12ihipStream_tbENKUlT_T0_E_clISt17integral_constantIbLb0EES13_EEDaSY_SZ_EUlSY_E_NS1_11comp_targetILNS1_3genE10ELNS1_11target_archE1201ELNS1_3gpuE5ELNS1_3repE0EEENS1_30default_config_static_selectorELNS0_4arch9wavefront6targetE0EEEvT1_: ; @_ZN7rocprim17ROCPRIM_400000_NS6detail17trampoline_kernelINS0_14default_configENS1_27scan_by_key_config_selectorIj11FixedVectorIiLj8EEEEZZNS1_16scan_by_key_implILNS1_25lookback_scan_determinismE0ELb0ES3_N6thrust23THRUST_200600_302600_NS6detail15normal_iteratorINSB_10device_ptrIjEEEENSD_INSE_IS6_EEEESI_S6_NSB_4plusIvEENSB_8equal_toIvEES6_EE10hipError_tPvRmT2_T3_T4_T5_mT6_T7_P12ihipStream_tbENKUlT_T0_E_clISt17integral_constantIbLb0EES13_EEDaSY_SZ_EUlSY_E_NS1_11comp_targetILNS1_3genE10ELNS1_11target_archE1201ELNS1_3gpuE5ELNS1_3repE0EEENS1_30default_config_static_selectorELNS0_4arch9wavefront6targetE0EEEvT1_
; %bb.0:
	.section	.rodata,"a",@progbits
	.p2align	6, 0x0
	.amdhsa_kernel _ZN7rocprim17ROCPRIM_400000_NS6detail17trampoline_kernelINS0_14default_configENS1_27scan_by_key_config_selectorIj11FixedVectorIiLj8EEEEZZNS1_16scan_by_key_implILNS1_25lookback_scan_determinismE0ELb0ES3_N6thrust23THRUST_200600_302600_NS6detail15normal_iteratorINSB_10device_ptrIjEEEENSD_INSE_IS6_EEEESI_S6_NSB_4plusIvEENSB_8equal_toIvEES6_EE10hipError_tPvRmT2_T3_T4_T5_mT6_T7_P12ihipStream_tbENKUlT_T0_E_clISt17integral_constantIbLb0EES13_EEDaSY_SZ_EUlSY_E_NS1_11comp_targetILNS1_3genE10ELNS1_11target_archE1201ELNS1_3gpuE5ELNS1_3repE0EEENS1_30default_config_static_selectorELNS0_4arch9wavefront6targetE0EEEvT1_
		.amdhsa_group_segment_fixed_size 0
		.amdhsa_private_segment_fixed_size 0
		.amdhsa_kernarg_size 160
		.amdhsa_user_sgpr_count 6
		.amdhsa_user_sgpr_private_segment_buffer 1
		.amdhsa_user_sgpr_dispatch_ptr 0
		.amdhsa_user_sgpr_queue_ptr 0
		.amdhsa_user_sgpr_kernarg_segment_ptr 1
		.amdhsa_user_sgpr_dispatch_id 0
		.amdhsa_user_sgpr_flat_scratch_init 0
		.amdhsa_user_sgpr_private_segment_size 0
		.amdhsa_wavefront_size32 1
		.amdhsa_uses_dynamic_stack 0
		.amdhsa_system_sgpr_private_segment_wavefront_offset 0
		.amdhsa_system_sgpr_workgroup_id_x 1
		.amdhsa_system_sgpr_workgroup_id_y 0
		.amdhsa_system_sgpr_workgroup_id_z 0
		.amdhsa_system_sgpr_workgroup_info 0
		.amdhsa_system_vgpr_workitem_id 0
		.amdhsa_next_free_vgpr 1
		.amdhsa_next_free_sgpr 1
		.amdhsa_reserve_vcc 0
		.amdhsa_reserve_flat_scratch 0
		.amdhsa_float_round_mode_32 0
		.amdhsa_float_round_mode_16_64 0
		.amdhsa_float_denorm_mode_32 3
		.amdhsa_float_denorm_mode_16_64 3
		.amdhsa_dx10_clamp 1
		.amdhsa_ieee_mode 1
		.amdhsa_fp16_overflow 0
		.amdhsa_workgroup_processor_mode 1
		.amdhsa_memory_ordered 1
		.amdhsa_forward_progress 1
		.amdhsa_shared_vgpr_count 0
		.amdhsa_exception_fp_ieee_invalid_op 0
		.amdhsa_exception_fp_denorm_src 0
		.amdhsa_exception_fp_ieee_div_zero 0
		.amdhsa_exception_fp_ieee_overflow 0
		.amdhsa_exception_fp_ieee_underflow 0
		.amdhsa_exception_fp_ieee_inexact 0
		.amdhsa_exception_int_div_zero 0
	.end_amdhsa_kernel
	.section	.text._ZN7rocprim17ROCPRIM_400000_NS6detail17trampoline_kernelINS0_14default_configENS1_27scan_by_key_config_selectorIj11FixedVectorIiLj8EEEEZZNS1_16scan_by_key_implILNS1_25lookback_scan_determinismE0ELb0ES3_N6thrust23THRUST_200600_302600_NS6detail15normal_iteratorINSB_10device_ptrIjEEEENSD_INSE_IS6_EEEESI_S6_NSB_4plusIvEENSB_8equal_toIvEES6_EE10hipError_tPvRmT2_T3_T4_T5_mT6_T7_P12ihipStream_tbENKUlT_T0_E_clISt17integral_constantIbLb0EES13_EEDaSY_SZ_EUlSY_E_NS1_11comp_targetILNS1_3genE10ELNS1_11target_archE1201ELNS1_3gpuE5ELNS1_3repE0EEENS1_30default_config_static_selectorELNS0_4arch9wavefront6targetE0EEEvT1_,"axG",@progbits,_ZN7rocprim17ROCPRIM_400000_NS6detail17trampoline_kernelINS0_14default_configENS1_27scan_by_key_config_selectorIj11FixedVectorIiLj8EEEEZZNS1_16scan_by_key_implILNS1_25lookback_scan_determinismE0ELb0ES3_N6thrust23THRUST_200600_302600_NS6detail15normal_iteratorINSB_10device_ptrIjEEEENSD_INSE_IS6_EEEESI_S6_NSB_4plusIvEENSB_8equal_toIvEES6_EE10hipError_tPvRmT2_T3_T4_T5_mT6_T7_P12ihipStream_tbENKUlT_T0_E_clISt17integral_constantIbLb0EES13_EEDaSY_SZ_EUlSY_E_NS1_11comp_targetILNS1_3genE10ELNS1_11target_archE1201ELNS1_3gpuE5ELNS1_3repE0EEENS1_30default_config_static_selectorELNS0_4arch9wavefront6targetE0EEEvT1_,comdat
.Lfunc_end2116:
	.size	_ZN7rocprim17ROCPRIM_400000_NS6detail17trampoline_kernelINS0_14default_configENS1_27scan_by_key_config_selectorIj11FixedVectorIiLj8EEEEZZNS1_16scan_by_key_implILNS1_25lookback_scan_determinismE0ELb0ES3_N6thrust23THRUST_200600_302600_NS6detail15normal_iteratorINSB_10device_ptrIjEEEENSD_INSE_IS6_EEEESI_S6_NSB_4plusIvEENSB_8equal_toIvEES6_EE10hipError_tPvRmT2_T3_T4_T5_mT6_T7_P12ihipStream_tbENKUlT_T0_E_clISt17integral_constantIbLb0EES13_EEDaSY_SZ_EUlSY_E_NS1_11comp_targetILNS1_3genE10ELNS1_11target_archE1201ELNS1_3gpuE5ELNS1_3repE0EEENS1_30default_config_static_selectorELNS0_4arch9wavefront6targetE0EEEvT1_, .Lfunc_end2116-_ZN7rocprim17ROCPRIM_400000_NS6detail17trampoline_kernelINS0_14default_configENS1_27scan_by_key_config_selectorIj11FixedVectorIiLj8EEEEZZNS1_16scan_by_key_implILNS1_25lookback_scan_determinismE0ELb0ES3_N6thrust23THRUST_200600_302600_NS6detail15normal_iteratorINSB_10device_ptrIjEEEENSD_INSE_IS6_EEEESI_S6_NSB_4plusIvEENSB_8equal_toIvEES6_EE10hipError_tPvRmT2_T3_T4_T5_mT6_T7_P12ihipStream_tbENKUlT_T0_E_clISt17integral_constantIbLb0EES13_EEDaSY_SZ_EUlSY_E_NS1_11comp_targetILNS1_3genE10ELNS1_11target_archE1201ELNS1_3gpuE5ELNS1_3repE0EEENS1_30default_config_static_selectorELNS0_4arch9wavefront6targetE0EEEvT1_
                                        ; -- End function
	.set _ZN7rocprim17ROCPRIM_400000_NS6detail17trampoline_kernelINS0_14default_configENS1_27scan_by_key_config_selectorIj11FixedVectorIiLj8EEEEZZNS1_16scan_by_key_implILNS1_25lookback_scan_determinismE0ELb0ES3_N6thrust23THRUST_200600_302600_NS6detail15normal_iteratorINSB_10device_ptrIjEEEENSD_INSE_IS6_EEEESI_S6_NSB_4plusIvEENSB_8equal_toIvEES6_EE10hipError_tPvRmT2_T3_T4_T5_mT6_T7_P12ihipStream_tbENKUlT_T0_E_clISt17integral_constantIbLb0EES13_EEDaSY_SZ_EUlSY_E_NS1_11comp_targetILNS1_3genE10ELNS1_11target_archE1201ELNS1_3gpuE5ELNS1_3repE0EEENS1_30default_config_static_selectorELNS0_4arch9wavefront6targetE0EEEvT1_.num_vgpr, 0
	.set _ZN7rocprim17ROCPRIM_400000_NS6detail17trampoline_kernelINS0_14default_configENS1_27scan_by_key_config_selectorIj11FixedVectorIiLj8EEEEZZNS1_16scan_by_key_implILNS1_25lookback_scan_determinismE0ELb0ES3_N6thrust23THRUST_200600_302600_NS6detail15normal_iteratorINSB_10device_ptrIjEEEENSD_INSE_IS6_EEEESI_S6_NSB_4plusIvEENSB_8equal_toIvEES6_EE10hipError_tPvRmT2_T3_T4_T5_mT6_T7_P12ihipStream_tbENKUlT_T0_E_clISt17integral_constantIbLb0EES13_EEDaSY_SZ_EUlSY_E_NS1_11comp_targetILNS1_3genE10ELNS1_11target_archE1201ELNS1_3gpuE5ELNS1_3repE0EEENS1_30default_config_static_selectorELNS0_4arch9wavefront6targetE0EEEvT1_.num_agpr, 0
	.set _ZN7rocprim17ROCPRIM_400000_NS6detail17trampoline_kernelINS0_14default_configENS1_27scan_by_key_config_selectorIj11FixedVectorIiLj8EEEEZZNS1_16scan_by_key_implILNS1_25lookback_scan_determinismE0ELb0ES3_N6thrust23THRUST_200600_302600_NS6detail15normal_iteratorINSB_10device_ptrIjEEEENSD_INSE_IS6_EEEESI_S6_NSB_4plusIvEENSB_8equal_toIvEES6_EE10hipError_tPvRmT2_T3_T4_T5_mT6_T7_P12ihipStream_tbENKUlT_T0_E_clISt17integral_constantIbLb0EES13_EEDaSY_SZ_EUlSY_E_NS1_11comp_targetILNS1_3genE10ELNS1_11target_archE1201ELNS1_3gpuE5ELNS1_3repE0EEENS1_30default_config_static_selectorELNS0_4arch9wavefront6targetE0EEEvT1_.numbered_sgpr, 0
	.set _ZN7rocprim17ROCPRIM_400000_NS6detail17trampoline_kernelINS0_14default_configENS1_27scan_by_key_config_selectorIj11FixedVectorIiLj8EEEEZZNS1_16scan_by_key_implILNS1_25lookback_scan_determinismE0ELb0ES3_N6thrust23THRUST_200600_302600_NS6detail15normal_iteratorINSB_10device_ptrIjEEEENSD_INSE_IS6_EEEESI_S6_NSB_4plusIvEENSB_8equal_toIvEES6_EE10hipError_tPvRmT2_T3_T4_T5_mT6_T7_P12ihipStream_tbENKUlT_T0_E_clISt17integral_constantIbLb0EES13_EEDaSY_SZ_EUlSY_E_NS1_11comp_targetILNS1_3genE10ELNS1_11target_archE1201ELNS1_3gpuE5ELNS1_3repE0EEENS1_30default_config_static_selectorELNS0_4arch9wavefront6targetE0EEEvT1_.num_named_barrier, 0
	.set _ZN7rocprim17ROCPRIM_400000_NS6detail17trampoline_kernelINS0_14default_configENS1_27scan_by_key_config_selectorIj11FixedVectorIiLj8EEEEZZNS1_16scan_by_key_implILNS1_25lookback_scan_determinismE0ELb0ES3_N6thrust23THRUST_200600_302600_NS6detail15normal_iteratorINSB_10device_ptrIjEEEENSD_INSE_IS6_EEEESI_S6_NSB_4plusIvEENSB_8equal_toIvEES6_EE10hipError_tPvRmT2_T3_T4_T5_mT6_T7_P12ihipStream_tbENKUlT_T0_E_clISt17integral_constantIbLb0EES13_EEDaSY_SZ_EUlSY_E_NS1_11comp_targetILNS1_3genE10ELNS1_11target_archE1201ELNS1_3gpuE5ELNS1_3repE0EEENS1_30default_config_static_selectorELNS0_4arch9wavefront6targetE0EEEvT1_.private_seg_size, 0
	.set _ZN7rocprim17ROCPRIM_400000_NS6detail17trampoline_kernelINS0_14default_configENS1_27scan_by_key_config_selectorIj11FixedVectorIiLj8EEEEZZNS1_16scan_by_key_implILNS1_25lookback_scan_determinismE0ELb0ES3_N6thrust23THRUST_200600_302600_NS6detail15normal_iteratorINSB_10device_ptrIjEEEENSD_INSE_IS6_EEEESI_S6_NSB_4plusIvEENSB_8equal_toIvEES6_EE10hipError_tPvRmT2_T3_T4_T5_mT6_T7_P12ihipStream_tbENKUlT_T0_E_clISt17integral_constantIbLb0EES13_EEDaSY_SZ_EUlSY_E_NS1_11comp_targetILNS1_3genE10ELNS1_11target_archE1201ELNS1_3gpuE5ELNS1_3repE0EEENS1_30default_config_static_selectorELNS0_4arch9wavefront6targetE0EEEvT1_.uses_vcc, 0
	.set _ZN7rocprim17ROCPRIM_400000_NS6detail17trampoline_kernelINS0_14default_configENS1_27scan_by_key_config_selectorIj11FixedVectorIiLj8EEEEZZNS1_16scan_by_key_implILNS1_25lookback_scan_determinismE0ELb0ES3_N6thrust23THRUST_200600_302600_NS6detail15normal_iteratorINSB_10device_ptrIjEEEENSD_INSE_IS6_EEEESI_S6_NSB_4plusIvEENSB_8equal_toIvEES6_EE10hipError_tPvRmT2_T3_T4_T5_mT6_T7_P12ihipStream_tbENKUlT_T0_E_clISt17integral_constantIbLb0EES13_EEDaSY_SZ_EUlSY_E_NS1_11comp_targetILNS1_3genE10ELNS1_11target_archE1201ELNS1_3gpuE5ELNS1_3repE0EEENS1_30default_config_static_selectorELNS0_4arch9wavefront6targetE0EEEvT1_.uses_flat_scratch, 0
	.set _ZN7rocprim17ROCPRIM_400000_NS6detail17trampoline_kernelINS0_14default_configENS1_27scan_by_key_config_selectorIj11FixedVectorIiLj8EEEEZZNS1_16scan_by_key_implILNS1_25lookback_scan_determinismE0ELb0ES3_N6thrust23THRUST_200600_302600_NS6detail15normal_iteratorINSB_10device_ptrIjEEEENSD_INSE_IS6_EEEESI_S6_NSB_4plusIvEENSB_8equal_toIvEES6_EE10hipError_tPvRmT2_T3_T4_T5_mT6_T7_P12ihipStream_tbENKUlT_T0_E_clISt17integral_constantIbLb0EES13_EEDaSY_SZ_EUlSY_E_NS1_11comp_targetILNS1_3genE10ELNS1_11target_archE1201ELNS1_3gpuE5ELNS1_3repE0EEENS1_30default_config_static_selectorELNS0_4arch9wavefront6targetE0EEEvT1_.has_dyn_sized_stack, 0
	.set _ZN7rocprim17ROCPRIM_400000_NS6detail17trampoline_kernelINS0_14default_configENS1_27scan_by_key_config_selectorIj11FixedVectorIiLj8EEEEZZNS1_16scan_by_key_implILNS1_25lookback_scan_determinismE0ELb0ES3_N6thrust23THRUST_200600_302600_NS6detail15normal_iteratorINSB_10device_ptrIjEEEENSD_INSE_IS6_EEEESI_S6_NSB_4plusIvEENSB_8equal_toIvEES6_EE10hipError_tPvRmT2_T3_T4_T5_mT6_T7_P12ihipStream_tbENKUlT_T0_E_clISt17integral_constantIbLb0EES13_EEDaSY_SZ_EUlSY_E_NS1_11comp_targetILNS1_3genE10ELNS1_11target_archE1201ELNS1_3gpuE5ELNS1_3repE0EEENS1_30default_config_static_selectorELNS0_4arch9wavefront6targetE0EEEvT1_.has_recursion, 0
	.set _ZN7rocprim17ROCPRIM_400000_NS6detail17trampoline_kernelINS0_14default_configENS1_27scan_by_key_config_selectorIj11FixedVectorIiLj8EEEEZZNS1_16scan_by_key_implILNS1_25lookback_scan_determinismE0ELb0ES3_N6thrust23THRUST_200600_302600_NS6detail15normal_iteratorINSB_10device_ptrIjEEEENSD_INSE_IS6_EEEESI_S6_NSB_4plusIvEENSB_8equal_toIvEES6_EE10hipError_tPvRmT2_T3_T4_T5_mT6_T7_P12ihipStream_tbENKUlT_T0_E_clISt17integral_constantIbLb0EES13_EEDaSY_SZ_EUlSY_E_NS1_11comp_targetILNS1_3genE10ELNS1_11target_archE1201ELNS1_3gpuE5ELNS1_3repE0EEENS1_30default_config_static_selectorELNS0_4arch9wavefront6targetE0EEEvT1_.has_indirect_call, 0
	.section	.AMDGPU.csdata,"",@progbits
; Kernel info:
; codeLenInByte = 0
; TotalNumSgprs: 0
; NumVgprs: 0
; ScratchSize: 0
; MemoryBound: 0
; FloatMode: 240
; IeeeMode: 1
; LDSByteSize: 0 bytes/workgroup (compile time only)
; SGPRBlocks: 0
; VGPRBlocks: 0
; NumSGPRsForWavesPerEU: 1
; NumVGPRsForWavesPerEU: 1
; Occupancy: 16
; WaveLimiterHint : 0
; COMPUTE_PGM_RSRC2:SCRATCH_EN: 0
; COMPUTE_PGM_RSRC2:USER_SGPR: 6
; COMPUTE_PGM_RSRC2:TRAP_HANDLER: 0
; COMPUTE_PGM_RSRC2:TGID_X_EN: 1
; COMPUTE_PGM_RSRC2:TGID_Y_EN: 0
; COMPUTE_PGM_RSRC2:TGID_Z_EN: 0
; COMPUTE_PGM_RSRC2:TIDIG_COMP_CNT: 0
	.section	.text._ZN7rocprim17ROCPRIM_400000_NS6detail17trampoline_kernelINS0_14default_configENS1_27scan_by_key_config_selectorIj11FixedVectorIiLj8EEEEZZNS1_16scan_by_key_implILNS1_25lookback_scan_determinismE0ELb0ES3_N6thrust23THRUST_200600_302600_NS6detail15normal_iteratorINSB_10device_ptrIjEEEENSD_INSE_IS6_EEEESI_S6_NSB_4plusIvEENSB_8equal_toIvEES6_EE10hipError_tPvRmT2_T3_T4_T5_mT6_T7_P12ihipStream_tbENKUlT_T0_E_clISt17integral_constantIbLb0EES13_EEDaSY_SZ_EUlSY_E_NS1_11comp_targetILNS1_3genE5ELNS1_11target_archE942ELNS1_3gpuE9ELNS1_3repE0EEENS1_30default_config_static_selectorELNS0_4arch9wavefront6targetE0EEEvT1_,"axG",@progbits,_ZN7rocprim17ROCPRIM_400000_NS6detail17trampoline_kernelINS0_14default_configENS1_27scan_by_key_config_selectorIj11FixedVectorIiLj8EEEEZZNS1_16scan_by_key_implILNS1_25lookback_scan_determinismE0ELb0ES3_N6thrust23THRUST_200600_302600_NS6detail15normal_iteratorINSB_10device_ptrIjEEEENSD_INSE_IS6_EEEESI_S6_NSB_4plusIvEENSB_8equal_toIvEES6_EE10hipError_tPvRmT2_T3_T4_T5_mT6_T7_P12ihipStream_tbENKUlT_T0_E_clISt17integral_constantIbLb0EES13_EEDaSY_SZ_EUlSY_E_NS1_11comp_targetILNS1_3genE5ELNS1_11target_archE942ELNS1_3gpuE9ELNS1_3repE0EEENS1_30default_config_static_selectorELNS0_4arch9wavefront6targetE0EEEvT1_,comdat
	.protected	_ZN7rocprim17ROCPRIM_400000_NS6detail17trampoline_kernelINS0_14default_configENS1_27scan_by_key_config_selectorIj11FixedVectorIiLj8EEEEZZNS1_16scan_by_key_implILNS1_25lookback_scan_determinismE0ELb0ES3_N6thrust23THRUST_200600_302600_NS6detail15normal_iteratorINSB_10device_ptrIjEEEENSD_INSE_IS6_EEEESI_S6_NSB_4plusIvEENSB_8equal_toIvEES6_EE10hipError_tPvRmT2_T3_T4_T5_mT6_T7_P12ihipStream_tbENKUlT_T0_E_clISt17integral_constantIbLb0EES13_EEDaSY_SZ_EUlSY_E_NS1_11comp_targetILNS1_3genE5ELNS1_11target_archE942ELNS1_3gpuE9ELNS1_3repE0EEENS1_30default_config_static_selectorELNS0_4arch9wavefront6targetE0EEEvT1_ ; -- Begin function _ZN7rocprim17ROCPRIM_400000_NS6detail17trampoline_kernelINS0_14default_configENS1_27scan_by_key_config_selectorIj11FixedVectorIiLj8EEEEZZNS1_16scan_by_key_implILNS1_25lookback_scan_determinismE0ELb0ES3_N6thrust23THRUST_200600_302600_NS6detail15normal_iteratorINSB_10device_ptrIjEEEENSD_INSE_IS6_EEEESI_S6_NSB_4plusIvEENSB_8equal_toIvEES6_EE10hipError_tPvRmT2_T3_T4_T5_mT6_T7_P12ihipStream_tbENKUlT_T0_E_clISt17integral_constantIbLb0EES13_EEDaSY_SZ_EUlSY_E_NS1_11comp_targetILNS1_3genE5ELNS1_11target_archE942ELNS1_3gpuE9ELNS1_3repE0EEENS1_30default_config_static_selectorELNS0_4arch9wavefront6targetE0EEEvT1_
	.globl	_ZN7rocprim17ROCPRIM_400000_NS6detail17trampoline_kernelINS0_14default_configENS1_27scan_by_key_config_selectorIj11FixedVectorIiLj8EEEEZZNS1_16scan_by_key_implILNS1_25lookback_scan_determinismE0ELb0ES3_N6thrust23THRUST_200600_302600_NS6detail15normal_iteratorINSB_10device_ptrIjEEEENSD_INSE_IS6_EEEESI_S6_NSB_4plusIvEENSB_8equal_toIvEES6_EE10hipError_tPvRmT2_T3_T4_T5_mT6_T7_P12ihipStream_tbENKUlT_T0_E_clISt17integral_constantIbLb0EES13_EEDaSY_SZ_EUlSY_E_NS1_11comp_targetILNS1_3genE5ELNS1_11target_archE942ELNS1_3gpuE9ELNS1_3repE0EEENS1_30default_config_static_selectorELNS0_4arch9wavefront6targetE0EEEvT1_
	.p2align	8
	.type	_ZN7rocprim17ROCPRIM_400000_NS6detail17trampoline_kernelINS0_14default_configENS1_27scan_by_key_config_selectorIj11FixedVectorIiLj8EEEEZZNS1_16scan_by_key_implILNS1_25lookback_scan_determinismE0ELb0ES3_N6thrust23THRUST_200600_302600_NS6detail15normal_iteratorINSB_10device_ptrIjEEEENSD_INSE_IS6_EEEESI_S6_NSB_4plusIvEENSB_8equal_toIvEES6_EE10hipError_tPvRmT2_T3_T4_T5_mT6_T7_P12ihipStream_tbENKUlT_T0_E_clISt17integral_constantIbLb0EES13_EEDaSY_SZ_EUlSY_E_NS1_11comp_targetILNS1_3genE5ELNS1_11target_archE942ELNS1_3gpuE9ELNS1_3repE0EEENS1_30default_config_static_selectorELNS0_4arch9wavefront6targetE0EEEvT1_,@function
_ZN7rocprim17ROCPRIM_400000_NS6detail17trampoline_kernelINS0_14default_configENS1_27scan_by_key_config_selectorIj11FixedVectorIiLj8EEEEZZNS1_16scan_by_key_implILNS1_25lookback_scan_determinismE0ELb0ES3_N6thrust23THRUST_200600_302600_NS6detail15normal_iteratorINSB_10device_ptrIjEEEENSD_INSE_IS6_EEEESI_S6_NSB_4plusIvEENSB_8equal_toIvEES6_EE10hipError_tPvRmT2_T3_T4_T5_mT6_T7_P12ihipStream_tbENKUlT_T0_E_clISt17integral_constantIbLb0EES13_EEDaSY_SZ_EUlSY_E_NS1_11comp_targetILNS1_3genE5ELNS1_11target_archE942ELNS1_3gpuE9ELNS1_3repE0EEENS1_30default_config_static_selectorELNS0_4arch9wavefront6targetE0EEEvT1_: ; @_ZN7rocprim17ROCPRIM_400000_NS6detail17trampoline_kernelINS0_14default_configENS1_27scan_by_key_config_selectorIj11FixedVectorIiLj8EEEEZZNS1_16scan_by_key_implILNS1_25lookback_scan_determinismE0ELb0ES3_N6thrust23THRUST_200600_302600_NS6detail15normal_iteratorINSB_10device_ptrIjEEEENSD_INSE_IS6_EEEESI_S6_NSB_4plusIvEENSB_8equal_toIvEES6_EE10hipError_tPvRmT2_T3_T4_T5_mT6_T7_P12ihipStream_tbENKUlT_T0_E_clISt17integral_constantIbLb0EES13_EEDaSY_SZ_EUlSY_E_NS1_11comp_targetILNS1_3genE5ELNS1_11target_archE942ELNS1_3gpuE9ELNS1_3repE0EEENS1_30default_config_static_selectorELNS0_4arch9wavefront6targetE0EEEvT1_
; %bb.0:
	.section	.rodata,"a",@progbits
	.p2align	6, 0x0
	.amdhsa_kernel _ZN7rocprim17ROCPRIM_400000_NS6detail17trampoline_kernelINS0_14default_configENS1_27scan_by_key_config_selectorIj11FixedVectorIiLj8EEEEZZNS1_16scan_by_key_implILNS1_25lookback_scan_determinismE0ELb0ES3_N6thrust23THRUST_200600_302600_NS6detail15normal_iteratorINSB_10device_ptrIjEEEENSD_INSE_IS6_EEEESI_S6_NSB_4plusIvEENSB_8equal_toIvEES6_EE10hipError_tPvRmT2_T3_T4_T5_mT6_T7_P12ihipStream_tbENKUlT_T0_E_clISt17integral_constantIbLb0EES13_EEDaSY_SZ_EUlSY_E_NS1_11comp_targetILNS1_3genE5ELNS1_11target_archE942ELNS1_3gpuE9ELNS1_3repE0EEENS1_30default_config_static_selectorELNS0_4arch9wavefront6targetE0EEEvT1_
		.amdhsa_group_segment_fixed_size 0
		.amdhsa_private_segment_fixed_size 0
		.amdhsa_kernarg_size 160
		.amdhsa_user_sgpr_count 6
		.amdhsa_user_sgpr_private_segment_buffer 1
		.amdhsa_user_sgpr_dispatch_ptr 0
		.amdhsa_user_sgpr_queue_ptr 0
		.amdhsa_user_sgpr_kernarg_segment_ptr 1
		.amdhsa_user_sgpr_dispatch_id 0
		.amdhsa_user_sgpr_flat_scratch_init 0
		.amdhsa_user_sgpr_private_segment_size 0
		.amdhsa_wavefront_size32 1
		.amdhsa_uses_dynamic_stack 0
		.amdhsa_system_sgpr_private_segment_wavefront_offset 0
		.amdhsa_system_sgpr_workgroup_id_x 1
		.amdhsa_system_sgpr_workgroup_id_y 0
		.amdhsa_system_sgpr_workgroup_id_z 0
		.amdhsa_system_sgpr_workgroup_info 0
		.amdhsa_system_vgpr_workitem_id 0
		.amdhsa_next_free_vgpr 1
		.amdhsa_next_free_sgpr 1
		.amdhsa_reserve_vcc 0
		.amdhsa_reserve_flat_scratch 0
		.amdhsa_float_round_mode_32 0
		.amdhsa_float_round_mode_16_64 0
		.amdhsa_float_denorm_mode_32 3
		.amdhsa_float_denorm_mode_16_64 3
		.amdhsa_dx10_clamp 1
		.amdhsa_ieee_mode 1
		.amdhsa_fp16_overflow 0
		.amdhsa_workgroup_processor_mode 1
		.amdhsa_memory_ordered 1
		.amdhsa_forward_progress 1
		.amdhsa_shared_vgpr_count 0
		.amdhsa_exception_fp_ieee_invalid_op 0
		.amdhsa_exception_fp_denorm_src 0
		.amdhsa_exception_fp_ieee_div_zero 0
		.amdhsa_exception_fp_ieee_overflow 0
		.amdhsa_exception_fp_ieee_underflow 0
		.amdhsa_exception_fp_ieee_inexact 0
		.amdhsa_exception_int_div_zero 0
	.end_amdhsa_kernel
	.section	.text._ZN7rocprim17ROCPRIM_400000_NS6detail17trampoline_kernelINS0_14default_configENS1_27scan_by_key_config_selectorIj11FixedVectorIiLj8EEEEZZNS1_16scan_by_key_implILNS1_25lookback_scan_determinismE0ELb0ES3_N6thrust23THRUST_200600_302600_NS6detail15normal_iteratorINSB_10device_ptrIjEEEENSD_INSE_IS6_EEEESI_S6_NSB_4plusIvEENSB_8equal_toIvEES6_EE10hipError_tPvRmT2_T3_T4_T5_mT6_T7_P12ihipStream_tbENKUlT_T0_E_clISt17integral_constantIbLb0EES13_EEDaSY_SZ_EUlSY_E_NS1_11comp_targetILNS1_3genE5ELNS1_11target_archE942ELNS1_3gpuE9ELNS1_3repE0EEENS1_30default_config_static_selectorELNS0_4arch9wavefront6targetE0EEEvT1_,"axG",@progbits,_ZN7rocprim17ROCPRIM_400000_NS6detail17trampoline_kernelINS0_14default_configENS1_27scan_by_key_config_selectorIj11FixedVectorIiLj8EEEEZZNS1_16scan_by_key_implILNS1_25lookback_scan_determinismE0ELb0ES3_N6thrust23THRUST_200600_302600_NS6detail15normal_iteratorINSB_10device_ptrIjEEEENSD_INSE_IS6_EEEESI_S6_NSB_4plusIvEENSB_8equal_toIvEES6_EE10hipError_tPvRmT2_T3_T4_T5_mT6_T7_P12ihipStream_tbENKUlT_T0_E_clISt17integral_constantIbLb0EES13_EEDaSY_SZ_EUlSY_E_NS1_11comp_targetILNS1_3genE5ELNS1_11target_archE942ELNS1_3gpuE9ELNS1_3repE0EEENS1_30default_config_static_selectorELNS0_4arch9wavefront6targetE0EEEvT1_,comdat
.Lfunc_end2117:
	.size	_ZN7rocprim17ROCPRIM_400000_NS6detail17trampoline_kernelINS0_14default_configENS1_27scan_by_key_config_selectorIj11FixedVectorIiLj8EEEEZZNS1_16scan_by_key_implILNS1_25lookback_scan_determinismE0ELb0ES3_N6thrust23THRUST_200600_302600_NS6detail15normal_iteratorINSB_10device_ptrIjEEEENSD_INSE_IS6_EEEESI_S6_NSB_4plusIvEENSB_8equal_toIvEES6_EE10hipError_tPvRmT2_T3_T4_T5_mT6_T7_P12ihipStream_tbENKUlT_T0_E_clISt17integral_constantIbLb0EES13_EEDaSY_SZ_EUlSY_E_NS1_11comp_targetILNS1_3genE5ELNS1_11target_archE942ELNS1_3gpuE9ELNS1_3repE0EEENS1_30default_config_static_selectorELNS0_4arch9wavefront6targetE0EEEvT1_, .Lfunc_end2117-_ZN7rocprim17ROCPRIM_400000_NS6detail17trampoline_kernelINS0_14default_configENS1_27scan_by_key_config_selectorIj11FixedVectorIiLj8EEEEZZNS1_16scan_by_key_implILNS1_25lookback_scan_determinismE0ELb0ES3_N6thrust23THRUST_200600_302600_NS6detail15normal_iteratorINSB_10device_ptrIjEEEENSD_INSE_IS6_EEEESI_S6_NSB_4plusIvEENSB_8equal_toIvEES6_EE10hipError_tPvRmT2_T3_T4_T5_mT6_T7_P12ihipStream_tbENKUlT_T0_E_clISt17integral_constantIbLb0EES13_EEDaSY_SZ_EUlSY_E_NS1_11comp_targetILNS1_3genE5ELNS1_11target_archE942ELNS1_3gpuE9ELNS1_3repE0EEENS1_30default_config_static_selectorELNS0_4arch9wavefront6targetE0EEEvT1_
                                        ; -- End function
	.set _ZN7rocprim17ROCPRIM_400000_NS6detail17trampoline_kernelINS0_14default_configENS1_27scan_by_key_config_selectorIj11FixedVectorIiLj8EEEEZZNS1_16scan_by_key_implILNS1_25lookback_scan_determinismE0ELb0ES3_N6thrust23THRUST_200600_302600_NS6detail15normal_iteratorINSB_10device_ptrIjEEEENSD_INSE_IS6_EEEESI_S6_NSB_4plusIvEENSB_8equal_toIvEES6_EE10hipError_tPvRmT2_T3_T4_T5_mT6_T7_P12ihipStream_tbENKUlT_T0_E_clISt17integral_constantIbLb0EES13_EEDaSY_SZ_EUlSY_E_NS1_11comp_targetILNS1_3genE5ELNS1_11target_archE942ELNS1_3gpuE9ELNS1_3repE0EEENS1_30default_config_static_selectorELNS0_4arch9wavefront6targetE0EEEvT1_.num_vgpr, 0
	.set _ZN7rocprim17ROCPRIM_400000_NS6detail17trampoline_kernelINS0_14default_configENS1_27scan_by_key_config_selectorIj11FixedVectorIiLj8EEEEZZNS1_16scan_by_key_implILNS1_25lookback_scan_determinismE0ELb0ES3_N6thrust23THRUST_200600_302600_NS6detail15normal_iteratorINSB_10device_ptrIjEEEENSD_INSE_IS6_EEEESI_S6_NSB_4plusIvEENSB_8equal_toIvEES6_EE10hipError_tPvRmT2_T3_T4_T5_mT6_T7_P12ihipStream_tbENKUlT_T0_E_clISt17integral_constantIbLb0EES13_EEDaSY_SZ_EUlSY_E_NS1_11comp_targetILNS1_3genE5ELNS1_11target_archE942ELNS1_3gpuE9ELNS1_3repE0EEENS1_30default_config_static_selectorELNS0_4arch9wavefront6targetE0EEEvT1_.num_agpr, 0
	.set _ZN7rocprim17ROCPRIM_400000_NS6detail17trampoline_kernelINS0_14default_configENS1_27scan_by_key_config_selectorIj11FixedVectorIiLj8EEEEZZNS1_16scan_by_key_implILNS1_25lookback_scan_determinismE0ELb0ES3_N6thrust23THRUST_200600_302600_NS6detail15normal_iteratorINSB_10device_ptrIjEEEENSD_INSE_IS6_EEEESI_S6_NSB_4plusIvEENSB_8equal_toIvEES6_EE10hipError_tPvRmT2_T3_T4_T5_mT6_T7_P12ihipStream_tbENKUlT_T0_E_clISt17integral_constantIbLb0EES13_EEDaSY_SZ_EUlSY_E_NS1_11comp_targetILNS1_3genE5ELNS1_11target_archE942ELNS1_3gpuE9ELNS1_3repE0EEENS1_30default_config_static_selectorELNS0_4arch9wavefront6targetE0EEEvT1_.numbered_sgpr, 0
	.set _ZN7rocprim17ROCPRIM_400000_NS6detail17trampoline_kernelINS0_14default_configENS1_27scan_by_key_config_selectorIj11FixedVectorIiLj8EEEEZZNS1_16scan_by_key_implILNS1_25lookback_scan_determinismE0ELb0ES3_N6thrust23THRUST_200600_302600_NS6detail15normal_iteratorINSB_10device_ptrIjEEEENSD_INSE_IS6_EEEESI_S6_NSB_4plusIvEENSB_8equal_toIvEES6_EE10hipError_tPvRmT2_T3_T4_T5_mT6_T7_P12ihipStream_tbENKUlT_T0_E_clISt17integral_constantIbLb0EES13_EEDaSY_SZ_EUlSY_E_NS1_11comp_targetILNS1_3genE5ELNS1_11target_archE942ELNS1_3gpuE9ELNS1_3repE0EEENS1_30default_config_static_selectorELNS0_4arch9wavefront6targetE0EEEvT1_.num_named_barrier, 0
	.set _ZN7rocprim17ROCPRIM_400000_NS6detail17trampoline_kernelINS0_14default_configENS1_27scan_by_key_config_selectorIj11FixedVectorIiLj8EEEEZZNS1_16scan_by_key_implILNS1_25lookback_scan_determinismE0ELb0ES3_N6thrust23THRUST_200600_302600_NS6detail15normal_iteratorINSB_10device_ptrIjEEEENSD_INSE_IS6_EEEESI_S6_NSB_4plusIvEENSB_8equal_toIvEES6_EE10hipError_tPvRmT2_T3_T4_T5_mT6_T7_P12ihipStream_tbENKUlT_T0_E_clISt17integral_constantIbLb0EES13_EEDaSY_SZ_EUlSY_E_NS1_11comp_targetILNS1_3genE5ELNS1_11target_archE942ELNS1_3gpuE9ELNS1_3repE0EEENS1_30default_config_static_selectorELNS0_4arch9wavefront6targetE0EEEvT1_.private_seg_size, 0
	.set _ZN7rocprim17ROCPRIM_400000_NS6detail17trampoline_kernelINS0_14default_configENS1_27scan_by_key_config_selectorIj11FixedVectorIiLj8EEEEZZNS1_16scan_by_key_implILNS1_25lookback_scan_determinismE0ELb0ES3_N6thrust23THRUST_200600_302600_NS6detail15normal_iteratorINSB_10device_ptrIjEEEENSD_INSE_IS6_EEEESI_S6_NSB_4plusIvEENSB_8equal_toIvEES6_EE10hipError_tPvRmT2_T3_T4_T5_mT6_T7_P12ihipStream_tbENKUlT_T0_E_clISt17integral_constantIbLb0EES13_EEDaSY_SZ_EUlSY_E_NS1_11comp_targetILNS1_3genE5ELNS1_11target_archE942ELNS1_3gpuE9ELNS1_3repE0EEENS1_30default_config_static_selectorELNS0_4arch9wavefront6targetE0EEEvT1_.uses_vcc, 0
	.set _ZN7rocprim17ROCPRIM_400000_NS6detail17trampoline_kernelINS0_14default_configENS1_27scan_by_key_config_selectorIj11FixedVectorIiLj8EEEEZZNS1_16scan_by_key_implILNS1_25lookback_scan_determinismE0ELb0ES3_N6thrust23THRUST_200600_302600_NS6detail15normal_iteratorINSB_10device_ptrIjEEEENSD_INSE_IS6_EEEESI_S6_NSB_4plusIvEENSB_8equal_toIvEES6_EE10hipError_tPvRmT2_T3_T4_T5_mT6_T7_P12ihipStream_tbENKUlT_T0_E_clISt17integral_constantIbLb0EES13_EEDaSY_SZ_EUlSY_E_NS1_11comp_targetILNS1_3genE5ELNS1_11target_archE942ELNS1_3gpuE9ELNS1_3repE0EEENS1_30default_config_static_selectorELNS0_4arch9wavefront6targetE0EEEvT1_.uses_flat_scratch, 0
	.set _ZN7rocprim17ROCPRIM_400000_NS6detail17trampoline_kernelINS0_14default_configENS1_27scan_by_key_config_selectorIj11FixedVectorIiLj8EEEEZZNS1_16scan_by_key_implILNS1_25lookback_scan_determinismE0ELb0ES3_N6thrust23THRUST_200600_302600_NS6detail15normal_iteratorINSB_10device_ptrIjEEEENSD_INSE_IS6_EEEESI_S6_NSB_4plusIvEENSB_8equal_toIvEES6_EE10hipError_tPvRmT2_T3_T4_T5_mT6_T7_P12ihipStream_tbENKUlT_T0_E_clISt17integral_constantIbLb0EES13_EEDaSY_SZ_EUlSY_E_NS1_11comp_targetILNS1_3genE5ELNS1_11target_archE942ELNS1_3gpuE9ELNS1_3repE0EEENS1_30default_config_static_selectorELNS0_4arch9wavefront6targetE0EEEvT1_.has_dyn_sized_stack, 0
	.set _ZN7rocprim17ROCPRIM_400000_NS6detail17trampoline_kernelINS0_14default_configENS1_27scan_by_key_config_selectorIj11FixedVectorIiLj8EEEEZZNS1_16scan_by_key_implILNS1_25lookback_scan_determinismE0ELb0ES3_N6thrust23THRUST_200600_302600_NS6detail15normal_iteratorINSB_10device_ptrIjEEEENSD_INSE_IS6_EEEESI_S6_NSB_4plusIvEENSB_8equal_toIvEES6_EE10hipError_tPvRmT2_T3_T4_T5_mT6_T7_P12ihipStream_tbENKUlT_T0_E_clISt17integral_constantIbLb0EES13_EEDaSY_SZ_EUlSY_E_NS1_11comp_targetILNS1_3genE5ELNS1_11target_archE942ELNS1_3gpuE9ELNS1_3repE0EEENS1_30default_config_static_selectorELNS0_4arch9wavefront6targetE0EEEvT1_.has_recursion, 0
	.set _ZN7rocprim17ROCPRIM_400000_NS6detail17trampoline_kernelINS0_14default_configENS1_27scan_by_key_config_selectorIj11FixedVectorIiLj8EEEEZZNS1_16scan_by_key_implILNS1_25lookback_scan_determinismE0ELb0ES3_N6thrust23THRUST_200600_302600_NS6detail15normal_iteratorINSB_10device_ptrIjEEEENSD_INSE_IS6_EEEESI_S6_NSB_4plusIvEENSB_8equal_toIvEES6_EE10hipError_tPvRmT2_T3_T4_T5_mT6_T7_P12ihipStream_tbENKUlT_T0_E_clISt17integral_constantIbLb0EES13_EEDaSY_SZ_EUlSY_E_NS1_11comp_targetILNS1_3genE5ELNS1_11target_archE942ELNS1_3gpuE9ELNS1_3repE0EEENS1_30default_config_static_selectorELNS0_4arch9wavefront6targetE0EEEvT1_.has_indirect_call, 0
	.section	.AMDGPU.csdata,"",@progbits
; Kernel info:
; codeLenInByte = 0
; TotalNumSgprs: 0
; NumVgprs: 0
; ScratchSize: 0
; MemoryBound: 0
; FloatMode: 240
; IeeeMode: 1
; LDSByteSize: 0 bytes/workgroup (compile time only)
; SGPRBlocks: 0
; VGPRBlocks: 0
; NumSGPRsForWavesPerEU: 1
; NumVGPRsForWavesPerEU: 1
; Occupancy: 16
; WaveLimiterHint : 0
; COMPUTE_PGM_RSRC2:SCRATCH_EN: 0
; COMPUTE_PGM_RSRC2:USER_SGPR: 6
; COMPUTE_PGM_RSRC2:TRAP_HANDLER: 0
; COMPUTE_PGM_RSRC2:TGID_X_EN: 1
; COMPUTE_PGM_RSRC2:TGID_Y_EN: 0
; COMPUTE_PGM_RSRC2:TGID_Z_EN: 0
; COMPUTE_PGM_RSRC2:TIDIG_COMP_CNT: 0
	.section	.text._ZN7rocprim17ROCPRIM_400000_NS6detail17trampoline_kernelINS0_14default_configENS1_27scan_by_key_config_selectorIj11FixedVectorIiLj8EEEEZZNS1_16scan_by_key_implILNS1_25lookback_scan_determinismE0ELb0ES3_N6thrust23THRUST_200600_302600_NS6detail15normal_iteratorINSB_10device_ptrIjEEEENSD_INSE_IS6_EEEESI_S6_NSB_4plusIvEENSB_8equal_toIvEES6_EE10hipError_tPvRmT2_T3_T4_T5_mT6_T7_P12ihipStream_tbENKUlT_T0_E_clISt17integral_constantIbLb0EES13_EEDaSY_SZ_EUlSY_E_NS1_11comp_targetILNS1_3genE4ELNS1_11target_archE910ELNS1_3gpuE8ELNS1_3repE0EEENS1_30default_config_static_selectorELNS0_4arch9wavefront6targetE0EEEvT1_,"axG",@progbits,_ZN7rocprim17ROCPRIM_400000_NS6detail17trampoline_kernelINS0_14default_configENS1_27scan_by_key_config_selectorIj11FixedVectorIiLj8EEEEZZNS1_16scan_by_key_implILNS1_25lookback_scan_determinismE0ELb0ES3_N6thrust23THRUST_200600_302600_NS6detail15normal_iteratorINSB_10device_ptrIjEEEENSD_INSE_IS6_EEEESI_S6_NSB_4plusIvEENSB_8equal_toIvEES6_EE10hipError_tPvRmT2_T3_T4_T5_mT6_T7_P12ihipStream_tbENKUlT_T0_E_clISt17integral_constantIbLb0EES13_EEDaSY_SZ_EUlSY_E_NS1_11comp_targetILNS1_3genE4ELNS1_11target_archE910ELNS1_3gpuE8ELNS1_3repE0EEENS1_30default_config_static_selectorELNS0_4arch9wavefront6targetE0EEEvT1_,comdat
	.protected	_ZN7rocprim17ROCPRIM_400000_NS6detail17trampoline_kernelINS0_14default_configENS1_27scan_by_key_config_selectorIj11FixedVectorIiLj8EEEEZZNS1_16scan_by_key_implILNS1_25lookback_scan_determinismE0ELb0ES3_N6thrust23THRUST_200600_302600_NS6detail15normal_iteratorINSB_10device_ptrIjEEEENSD_INSE_IS6_EEEESI_S6_NSB_4plusIvEENSB_8equal_toIvEES6_EE10hipError_tPvRmT2_T3_T4_T5_mT6_T7_P12ihipStream_tbENKUlT_T0_E_clISt17integral_constantIbLb0EES13_EEDaSY_SZ_EUlSY_E_NS1_11comp_targetILNS1_3genE4ELNS1_11target_archE910ELNS1_3gpuE8ELNS1_3repE0EEENS1_30default_config_static_selectorELNS0_4arch9wavefront6targetE0EEEvT1_ ; -- Begin function _ZN7rocprim17ROCPRIM_400000_NS6detail17trampoline_kernelINS0_14default_configENS1_27scan_by_key_config_selectorIj11FixedVectorIiLj8EEEEZZNS1_16scan_by_key_implILNS1_25lookback_scan_determinismE0ELb0ES3_N6thrust23THRUST_200600_302600_NS6detail15normal_iteratorINSB_10device_ptrIjEEEENSD_INSE_IS6_EEEESI_S6_NSB_4plusIvEENSB_8equal_toIvEES6_EE10hipError_tPvRmT2_T3_T4_T5_mT6_T7_P12ihipStream_tbENKUlT_T0_E_clISt17integral_constantIbLb0EES13_EEDaSY_SZ_EUlSY_E_NS1_11comp_targetILNS1_3genE4ELNS1_11target_archE910ELNS1_3gpuE8ELNS1_3repE0EEENS1_30default_config_static_selectorELNS0_4arch9wavefront6targetE0EEEvT1_
	.globl	_ZN7rocprim17ROCPRIM_400000_NS6detail17trampoline_kernelINS0_14default_configENS1_27scan_by_key_config_selectorIj11FixedVectorIiLj8EEEEZZNS1_16scan_by_key_implILNS1_25lookback_scan_determinismE0ELb0ES3_N6thrust23THRUST_200600_302600_NS6detail15normal_iteratorINSB_10device_ptrIjEEEENSD_INSE_IS6_EEEESI_S6_NSB_4plusIvEENSB_8equal_toIvEES6_EE10hipError_tPvRmT2_T3_T4_T5_mT6_T7_P12ihipStream_tbENKUlT_T0_E_clISt17integral_constantIbLb0EES13_EEDaSY_SZ_EUlSY_E_NS1_11comp_targetILNS1_3genE4ELNS1_11target_archE910ELNS1_3gpuE8ELNS1_3repE0EEENS1_30default_config_static_selectorELNS0_4arch9wavefront6targetE0EEEvT1_
	.p2align	8
	.type	_ZN7rocprim17ROCPRIM_400000_NS6detail17trampoline_kernelINS0_14default_configENS1_27scan_by_key_config_selectorIj11FixedVectorIiLj8EEEEZZNS1_16scan_by_key_implILNS1_25lookback_scan_determinismE0ELb0ES3_N6thrust23THRUST_200600_302600_NS6detail15normal_iteratorINSB_10device_ptrIjEEEENSD_INSE_IS6_EEEESI_S6_NSB_4plusIvEENSB_8equal_toIvEES6_EE10hipError_tPvRmT2_T3_T4_T5_mT6_T7_P12ihipStream_tbENKUlT_T0_E_clISt17integral_constantIbLb0EES13_EEDaSY_SZ_EUlSY_E_NS1_11comp_targetILNS1_3genE4ELNS1_11target_archE910ELNS1_3gpuE8ELNS1_3repE0EEENS1_30default_config_static_selectorELNS0_4arch9wavefront6targetE0EEEvT1_,@function
_ZN7rocprim17ROCPRIM_400000_NS6detail17trampoline_kernelINS0_14default_configENS1_27scan_by_key_config_selectorIj11FixedVectorIiLj8EEEEZZNS1_16scan_by_key_implILNS1_25lookback_scan_determinismE0ELb0ES3_N6thrust23THRUST_200600_302600_NS6detail15normal_iteratorINSB_10device_ptrIjEEEENSD_INSE_IS6_EEEESI_S6_NSB_4plusIvEENSB_8equal_toIvEES6_EE10hipError_tPvRmT2_T3_T4_T5_mT6_T7_P12ihipStream_tbENKUlT_T0_E_clISt17integral_constantIbLb0EES13_EEDaSY_SZ_EUlSY_E_NS1_11comp_targetILNS1_3genE4ELNS1_11target_archE910ELNS1_3gpuE8ELNS1_3repE0EEENS1_30default_config_static_selectorELNS0_4arch9wavefront6targetE0EEEvT1_: ; @_ZN7rocprim17ROCPRIM_400000_NS6detail17trampoline_kernelINS0_14default_configENS1_27scan_by_key_config_selectorIj11FixedVectorIiLj8EEEEZZNS1_16scan_by_key_implILNS1_25lookback_scan_determinismE0ELb0ES3_N6thrust23THRUST_200600_302600_NS6detail15normal_iteratorINSB_10device_ptrIjEEEENSD_INSE_IS6_EEEESI_S6_NSB_4plusIvEENSB_8equal_toIvEES6_EE10hipError_tPvRmT2_T3_T4_T5_mT6_T7_P12ihipStream_tbENKUlT_T0_E_clISt17integral_constantIbLb0EES13_EEDaSY_SZ_EUlSY_E_NS1_11comp_targetILNS1_3genE4ELNS1_11target_archE910ELNS1_3gpuE8ELNS1_3repE0EEENS1_30default_config_static_selectorELNS0_4arch9wavefront6targetE0EEEvT1_
; %bb.0:
	.section	.rodata,"a",@progbits
	.p2align	6, 0x0
	.amdhsa_kernel _ZN7rocprim17ROCPRIM_400000_NS6detail17trampoline_kernelINS0_14default_configENS1_27scan_by_key_config_selectorIj11FixedVectorIiLj8EEEEZZNS1_16scan_by_key_implILNS1_25lookback_scan_determinismE0ELb0ES3_N6thrust23THRUST_200600_302600_NS6detail15normal_iteratorINSB_10device_ptrIjEEEENSD_INSE_IS6_EEEESI_S6_NSB_4plusIvEENSB_8equal_toIvEES6_EE10hipError_tPvRmT2_T3_T4_T5_mT6_T7_P12ihipStream_tbENKUlT_T0_E_clISt17integral_constantIbLb0EES13_EEDaSY_SZ_EUlSY_E_NS1_11comp_targetILNS1_3genE4ELNS1_11target_archE910ELNS1_3gpuE8ELNS1_3repE0EEENS1_30default_config_static_selectorELNS0_4arch9wavefront6targetE0EEEvT1_
		.amdhsa_group_segment_fixed_size 0
		.amdhsa_private_segment_fixed_size 0
		.amdhsa_kernarg_size 160
		.amdhsa_user_sgpr_count 6
		.amdhsa_user_sgpr_private_segment_buffer 1
		.amdhsa_user_sgpr_dispatch_ptr 0
		.amdhsa_user_sgpr_queue_ptr 0
		.amdhsa_user_sgpr_kernarg_segment_ptr 1
		.amdhsa_user_sgpr_dispatch_id 0
		.amdhsa_user_sgpr_flat_scratch_init 0
		.amdhsa_user_sgpr_private_segment_size 0
		.amdhsa_wavefront_size32 1
		.amdhsa_uses_dynamic_stack 0
		.amdhsa_system_sgpr_private_segment_wavefront_offset 0
		.amdhsa_system_sgpr_workgroup_id_x 1
		.amdhsa_system_sgpr_workgroup_id_y 0
		.amdhsa_system_sgpr_workgroup_id_z 0
		.amdhsa_system_sgpr_workgroup_info 0
		.amdhsa_system_vgpr_workitem_id 0
		.amdhsa_next_free_vgpr 1
		.amdhsa_next_free_sgpr 1
		.amdhsa_reserve_vcc 0
		.amdhsa_reserve_flat_scratch 0
		.amdhsa_float_round_mode_32 0
		.amdhsa_float_round_mode_16_64 0
		.amdhsa_float_denorm_mode_32 3
		.amdhsa_float_denorm_mode_16_64 3
		.amdhsa_dx10_clamp 1
		.amdhsa_ieee_mode 1
		.amdhsa_fp16_overflow 0
		.amdhsa_workgroup_processor_mode 1
		.amdhsa_memory_ordered 1
		.amdhsa_forward_progress 1
		.amdhsa_shared_vgpr_count 0
		.amdhsa_exception_fp_ieee_invalid_op 0
		.amdhsa_exception_fp_denorm_src 0
		.amdhsa_exception_fp_ieee_div_zero 0
		.amdhsa_exception_fp_ieee_overflow 0
		.amdhsa_exception_fp_ieee_underflow 0
		.amdhsa_exception_fp_ieee_inexact 0
		.amdhsa_exception_int_div_zero 0
	.end_amdhsa_kernel
	.section	.text._ZN7rocprim17ROCPRIM_400000_NS6detail17trampoline_kernelINS0_14default_configENS1_27scan_by_key_config_selectorIj11FixedVectorIiLj8EEEEZZNS1_16scan_by_key_implILNS1_25lookback_scan_determinismE0ELb0ES3_N6thrust23THRUST_200600_302600_NS6detail15normal_iteratorINSB_10device_ptrIjEEEENSD_INSE_IS6_EEEESI_S6_NSB_4plusIvEENSB_8equal_toIvEES6_EE10hipError_tPvRmT2_T3_T4_T5_mT6_T7_P12ihipStream_tbENKUlT_T0_E_clISt17integral_constantIbLb0EES13_EEDaSY_SZ_EUlSY_E_NS1_11comp_targetILNS1_3genE4ELNS1_11target_archE910ELNS1_3gpuE8ELNS1_3repE0EEENS1_30default_config_static_selectorELNS0_4arch9wavefront6targetE0EEEvT1_,"axG",@progbits,_ZN7rocprim17ROCPRIM_400000_NS6detail17trampoline_kernelINS0_14default_configENS1_27scan_by_key_config_selectorIj11FixedVectorIiLj8EEEEZZNS1_16scan_by_key_implILNS1_25lookback_scan_determinismE0ELb0ES3_N6thrust23THRUST_200600_302600_NS6detail15normal_iteratorINSB_10device_ptrIjEEEENSD_INSE_IS6_EEEESI_S6_NSB_4plusIvEENSB_8equal_toIvEES6_EE10hipError_tPvRmT2_T3_T4_T5_mT6_T7_P12ihipStream_tbENKUlT_T0_E_clISt17integral_constantIbLb0EES13_EEDaSY_SZ_EUlSY_E_NS1_11comp_targetILNS1_3genE4ELNS1_11target_archE910ELNS1_3gpuE8ELNS1_3repE0EEENS1_30default_config_static_selectorELNS0_4arch9wavefront6targetE0EEEvT1_,comdat
.Lfunc_end2118:
	.size	_ZN7rocprim17ROCPRIM_400000_NS6detail17trampoline_kernelINS0_14default_configENS1_27scan_by_key_config_selectorIj11FixedVectorIiLj8EEEEZZNS1_16scan_by_key_implILNS1_25lookback_scan_determinismE0ELb0ES3_N6thrust23THRUST_200600_302600_NS6detail15normal_iteratorINSB_10device_ptrIjEEEENSD_INSE_IS6_EEEESI_S6_NSB_4plusIvEENSB_8equal_toIvEES6_EE10hipError_tPvRmT2_T3_T4_T5_mT6_T7_P12ihipStream_tbENKUlT_T0_E_clISt17integral_constantIbLb0EES13_EEDaSY_SZ_EUlSY_E_NS1_11comp_targetILNS1_3genE4ELNS1_11target_archE910ELNS1_3gpuE8ELNS1_3repE0EEENS1_30default_config_static_selectorELNS0_4arch9wavefront6targetE0EEEvT1_, .Lfunc_end2118-_ZN7rocprim17ROCPRIM_400000_NS6detail17trampoline_kernelINS0_14default_configENS1_27scan_by_key_config_selectorIj11FixedVectorIiLj8EEEEZZNS1_16scan_by_key_implILNS1_25lookback_scan_determinismE0ELb0ES3_N6thrust23THRUST_200600_302600_NS6detail15normal_iteratorINSB_10device_ptrIjEEEENSD_INSE_IS6_EEEESI_S6_NSB_4plusIvEENSB_8equal_toIvEES6_EE10hipError_tPvRmT2_T3_T4_T5_mT6_T7_P12ihipStream_tbENKUlT_T0_E_clISt17integral_constantIbLb0EES13_EEDaSY_SZ_EUlSY_E_NS1_11comp_targetILNS1_3genE4ELNS1_11target_archE910ELNS1_3gpuE8ELNS1_3repE0EEENS1_30default_config_static_selectorELNS0_4arch9wavefront6targetE0EEEvT1_
                                        ; -- End function
	.set _ZN7rocprim17ROCPRIM_400000_NS6detail17trampoline_kernelINS0_14default_configENS1_27scan_by_key_config_selectorIj11FixedVectorIiLj8EEEEZZNS1_16scan_by_key_implILNS1_25lookback_scan_determinismE0ELb0ES3_N6thrust23THRUST_200600_302600_NS6detail15normal_iteratorINSB_10device_ptrIjEEEENSD_INSE_IS6_EEEESI_S6_NSB_4plusIvEENSB_8equal_toIvEES6_EE10hipError_tPvRmT2_T3_T4_T5_mT6_T7_P12ihipStream_tbENKUlT_T0_E_clISt17integral_constantIbLb0EES13_EEDaSY_SZ_EUlSY_E_NS1_11comp_targetILNS1_3genE4ELNS1_11target_archE910ELNS1_3gpuE8ELNS1_3repE0EEENS1_30default_config_static_selectorELNS0_4arch9wavefront6targetE0EEEvT1_.num_vgpr, 0
	.set _ZN7rocprim17ROCPRIM_400000_NS6detail17trampoline_kernelINS0_14default_configENS1_27scan_by_key_config_selectorIj11FixedVectorIiLj8EEEEZZNS1_16scan_by_key_implILNS1_25lookback_scan_determinismE0ELb0ES3_N6thrust23THRUST_200600_302600_NS6detail15normal_iteratorINSB_10device_ptrIjEEEENSD_INSE_IS6_EEEESI_S6_NSB_4plusIvEENSB_8equal_toIvEES6_EE10hipError_tPvRmT2_T3_T4_T5_mT6_T7_P12ihipStream_tbENKUlT_T0_E_clISt17integral_constantIbLb0EES13_EEDaSY_SZ_EUlSY_E_NS1_11comp_targetILNS1_3genE4ELNS1_11target_archE910ELNS1_3gpuE8ELNS1_3repE0EEENS1_30default_config_static_selectorELNS0_4arch9wavefront6targetE0EEEvT1_.num_agpr, 0
	.set _ZN7rocprim17ROCPRIM_400000_NS6detail17trampoline_kernelINS0_14default_configENS1_27scan_by_key_config_selectorIj11FixedVectorIiLj8EEEEZZNS1_16scan_by_key_implILNS1_25lookback_scan_determinismE0ELb0ES3_N6thrust23THRUST_200600_302600_NS6detail15normal_iteratorINSB_10device_ptrIjEEEENSD_INSE_IS6_EEEESI_S6_NSB_4plusIvEENSB_8equal_toIvEES6_EE10hipError_tPvRmT2_T3_T4_T5_mT6_T7_P12ihipStream_tbENKUlT_T0_E_clISt17integral_constantIbLb0EES13_EEDaSY_SZ_EUlSY_E_NS1_11comp_targetILNS1_3genE4ELNS1_11target_archE910ELNS1_3gpuE8ELNS1_3repE0EEENS1_30default_config_static_selectorELNS0_4arch9wavefront6targetE0EEEvT1_.numbered_sgpr, 0
	.set _ZN7rocprim17ROCPRIM_400000_NS6detail17trampoline_kernelINS0_14default_configENS1_27scan_by_key_config_selectorIj11FixedVectorIiLj8EEEEZZNS1_16scan_by_key_implILNS1_25lookback_scan_determinismE0ELb0ES3_N6thrust23THRUST_200600_302600_NS6detail15normal_iteratorINSB_10device_ptrIjEEEENSD_INSE_IS6_EEEESI_S6_NSB_4plusIvEENSB_8equal_toIvEES6_EE10hipError_tPvRmT2_T3_T4_T5_mT6_T7_P12ihipStream_tbENKUlT_T0_E_clISt17integral_constantIbLb0EES13_EEDaSY_SZ_EUlSY_E_NS1_11comp_targetILNS1_3genE4ELNS1_11target_archE910ELNS1_3gpuE8ELNS1_3repE0EEENS1_30default_config_static_selectorELNS0_4arch9wavefront6targetE0EEEvT1_.num_named_barrier, 0
	.set _ZN7rocprim17ROCPRIM_400000_NS6detail17trampoline_kernelINS0_14default_configENS1_27scan_by_key_config_selectorIj11FixedVectorIiLj8EEEEZZNS1_16scan_by_key_implILNS1_25lookback_scan_determinismE0ELb0ES3_N6thrust23THRUST_200600_302600_NS6detail15normal_iteratorINSB_10device_ptrIjEEEENSD_INSE_IS6_EEEESI_S6_NSB_4plusIvEENSB_8equal_toIvEES6_EE10hipError_tPvRmT2_T3_T4_T5_mT6_T7_P12ihipStream_tbENKUlT_T0_E_clISt17integral_constantIbLb0EES13_EEDaSY_SZ_EUlSY_E_NS1_11comp_targetILNS1_3genE4ELNS1_11target_archE910ELNS1_3gpuE8ELNS1_3repE0EEENS1_30default_config_static_selectorELNS0_4arch9wavefront6targetE0EEEvT1_.private_seg_size, 0
	.set _ZN7rocprim17ROCPRIM_400000_NS6detail17trampoline_kernelINS0_14default_configENS1_27scan_by_key_config_selectorIj11FixedVectorIiLj8EEEEZZNS1_16scan_by_key_implILNS1_25lookback_scan_determinismE0ELb0ES3_N6thrust23THRUST_200600_302600_NS6detail15normal_iteratorINSB_10device_ptrIjEEEENSD_INSE_IS6_EEEESI_S6_NSB_4plusIvEENSB_8equal_toIvEES6_EE10hipError_tPvRmT2_T3_T4_T5_mT6_T7_P12ihipStream_tbENKUlT_T0_E_clISt17integral_constantIbLb0EES13_EEDaSY_SZ_EUlSY_E_NS1_11comp_targetILNS1_3genE4ELNS1_11target_archE910ELNS1_3gpuE8ELNS1_3repE0EEENS1_30default_config_static_selectorELNS0_4arch9wavefront6targetE0EEEvT1_.uses_vcc, 0
	.set _ZN7rocprim17ROCPRIM_400000_NS6detail17trampoline_kernelINS0_14default_configENS1_27scan_by_key_config_selectorIj11FixedVectorIiLj8EEEEZZNS1_16scan_by_key_implILNS1_25lookback_scan_determinismE0ELb0ES3_N6thrust23THRUST_200600_302600_NS6detail15normal_iteratorINSB_10device_ptrIjEEEENSD_INSE_IS6_EEEESI_S6_NSB_4plusIvEENSB_8equal_toIvEES6_EE10hipError_tPvRmT2_T3_T4_T5_mT6_T7_P12ihipStream_tbENKUlT_T0_E_clISt17integral_constantIbLb0EES13_EEDaSY_SZ_EUlSY_E_NS1_11comp_targetILNS1_3genE4ELNS1_11target_archE910ELNS1_3gpuE8ELNS1_3repE0EEENS1_30default_config_static_selectorELNS0_4arch9wavefront6targetE0EEEvT1_.uses_flat_scratch, 0
	.set _ZN7rocprim17ROCPRIM_400000_NS6detail17trampoline_kernelINS0_14default_configENS1_27scan_by_key_config_selectorIj11FixedVectorIiLj8EEEEZZNS1_16scan_by_key_implILNS1_25lookback_scan_determinismE0ELb0ES3_N6thrust23THRUST_200600_302600_NS6detail15normal_iteratorINSB_10device_ptrIjEEEENSD_INSE_IS6_EEEESI_S6_NSB_4plusIvEENSB_8equal_toIvEES6_EE10hipError_tPvRmT2_T3_T4_T5_mT6_T7_P12ihipStream_tbENKUlT_T0_E_clISt17integral_constantIbLb0EES13_EEDaSY_SZ_EUlSY_E_NS1_11comp_targetILNS1_3genE4ELNS1_11target_archE910ELNS1_3gpuE8ELNS1_3repE0EEENS1_30default_config_static_selectorELNS0_4arch9wavefront6targetE0EEEvT1_.has_dyn_sized_stack, 0
	.set _ZN7rocprim17ROCPRIM_400000_NS6detail17trampoline_kernelINS0_14default_configENS1_27scan_by_key_config_selectorIj11FixedVectorIiLj8EEEEZZNS1_16scan_by_key_implILNS1_25lookback_scan_determinismE0ELb0ES3_N6thrust23THRUST_200600_302600_NS6detail15normal_iteratorINSB_10device_ptrIjEEEENSD_INSE_IS6_EEEESI_S6_NSB_4plusIvEENSB_8equal_toIvEES6_EE10hipError_tPvRmT2_T3_T4_T5_mT6_T7_P12ihipStream_tbENKUlT_T0_E_clISt17integral_constantIbLb0EES13_EEDaSY_SZ_EUlSY_E_NS1_11comp_targetILNS1_3genE4ELNS1_11target_archE910ELNS1_3gpuE8ELNS1_3repE0EEENS1_30default_config_static_selectorELNS0_4arch9wavefront6targetE0EEEvT1_.has_recursion, 0
	.set _ZN7rocprim17ROCPRIM_400000_NS6detail17trampoline_kernelINS0_14default_configENS1_27scan_by_key_config_selectorIj11FixedVectorIiLj8EEEEZZNS1_16scan_by_key_implILNS1_25lookback_scan_determinismE0ELb0ES3_N6thrust23THRUST_200600_302600_NS6detail15normal_iteratorINSB_10device_ptrIjEEEENSD_INSE_IS6_EEEESI_S6_NSB_4plusIvEENSB_8equal_toIvEES6_EE10hipError_tPvRmT2_T3_T4_T5_mT6_T7_P12ihipStream_tbENKUlT_T0_E_clISt17integral_constantIbLb0EES13_EEDaSY_SZ_EUlSY_E_NS1_11comp_targetILNS1_3genE4ELNS1_11target_archE910ELNS1_3gpuE8ELNS1_3repE0EEENS1_30default_config_static_selectorELNS0_4arch9wavefront6targetE0EEEvT1_.has_indirect_call, 0
	.section	.AMDGPU.csdata,"",@progbits
; Kernel info:
; codeLenInByte = 0
; TotalNumSgprs: 0
; NumVgprs: 0
; ScratchSize: 0
; MemoryBound: 0
; FloatMode: 240
; IeeeMode: 1
; LDSByteSize: 0 bytes/workgroup (compile time only)
; SGPRBlocks: 0
; VGPRBlocks: 0
; NumSGPRsForWavesPerEU: 1
; NumVGPRsForWavesPerEU: 1
; Occupancy: 16
; WaveLimiterHint : 0
; COMPUTE_PGM_RSRC2:SCRATCH_EN: 0
; COMPUTE_PGM_RSRC2:USER_SGPR: 6
; COMPUTE_PGM_RSRC2:TRAP_HANDLER: 0
; COMPUTE_PGM_RSRC2:TGID_X_EN: 1
; COMPUTE_PGM_RSRC2:TGID_Y_EN: 0
; COMPUTE_PGM_RSRC2:TGID_Z_EN: 0
; COMPUTE_PGM_RSRC2:TIDIG_COMP_CNT: 0
	.section	.text._ZN7rocprim17ROCPRIM_400000_NS6detail17trampoline_kernelINS0_14default_configENS1_27scan_by_key_config_selectorIj11FixedVectorIiLj8EEEEZZNS1_16scan_by_key_implILNS1_25lookback_scan_determinismE0ELb0ES3_N6thrust23THRUST_200600_302600_NS6detail15normal_iteratorINSB_10device_ptrIjEEEENSD_INSE_IS6_EEEESI_S6_NSB_4plusIvEENSB_8equal_toIvEES6_EE10hipError_tPvRmT2_T3_T4_T5_mT6_T7_P12ihipStream_tbENKUlT_T0_E_clISt17integral_constantIbLb0EES13_EEDaSY_SZ_EUlSY_E_NS1_11comp_targetILNS1_3genE3ELNS1_11target_archE908ELNS1_3gpuE7ELNS1_3repE0EEENS1_30default_config_static_selectorELNS0_4arch9wavefront6targetE0EEEvT1_,"axG",@progbits,_ZN7rocprim17ROCPRIM_400000_NS6detail17trampoline_kernelINS0_14default_configENS1_27scan_by_key_config_selectorIj11FixedVectorIiLj8EEEEZZNS1_16scan_by_key_implILNS1_25lookback_scan_determinismE0ELb0ES3_N6thrust23THRUST_200600_302600_NS6detail15normal_iteratorINSB_10device_ptrIjEEEENSD_INSE_IS6_EEEESI_S6_NSB_4plusIvEENSB_8equal_toIvEES6_EE10hipError_tPvRmT2_T3_T4_T5_mT6_T7_P12ihipStream_tbENKUlT_T0_E_clISt17integral_constantIbLb0EES13_EEDaSY_SZ_EUlSY_E_NS1_11comp_targetILNS1_3genE3ELNS1_11target_archE908ELNS1_3gpuE7ELNS1_3repE0EEENS1_30default_config_static_selectorELNS0_4arch9wavefront6targetE0EEEvT1_,comdat
	.protected	_ZN7rocprim17ROCPRIM_400000_NS6detail17trampoline_kernelINS0_14default_configENS1_27scan_by_key_config_selectorIj11FixedVectorIiLj8EEEEZZNS1_16scan_by_key_implILNS1_25lookback_scan_determinismE0ELb0ES3_N6thrust23THRUST_200600_302600_NS6detail15normal_iteratorINSB_10device_ptrIjEEEENSD_INSE_IS6_EEEESI_S6_NSB_4plusIvEENSB_8equal_toIvEES6_EE10hipError_tPvRmT2_T3_T4_T5_mT6_T7_P12ihipStream_tbENKUlT_T0_E_clISt17integral_constantIbLb0EES13_EEDaSY_SZ_EUlSY_E_NS1_11comp_targetILNS1_3genE3ELNS1_11target_archE908ELNS1_3gpuE7ELNS1_3repE0EEENS1_30default_config_static_selectorELNS0_4arch9wavefront6targetE0EEEvT1_ ; -- Begin function _ZN7rocprim17ROCPRIM_400000_NS6detail17trampoline_kernelINS0_14default_configENS1_27scan_by_key_config_selectorIj11FixedVectorIiLj8EEEEZZNS1_16scan_by_key_implILNS1_25lookback_scan_determinismE0ELb0ES3_N6thrust23THRUST_200600_302600_NS6detail15normal_iteratorINSB_10device_ptrIjEEEENSD_INSE_IS6_EEEESI_S6_NSB_4plusIvEENSB_8equal_toIvEES6_EE10hipError_tPvRmT2_T3_T4_T5_mT6_T7_P12ihipStream_tbENKUlT_T0_E_clISt17integral_constantIbLb0EES13_EEDaSY_SZ_EUlSY_E_NS1_11comp_targetILNS1_3genE3ELNS1_11target_archE908ELNS1_3gpuE7ELNS1_3repE0EEENS1_30default_config_static_selectorELNS0_4arch9wavefront6targetE0EEEvT1_
	.globl	_ZN7rocprim17ROCPRIM_400000_NS6detail17trampoline_kernelINS0_14default_configENS1_27scan_by_key_config_selectorIj11FixedVectorIiLj8EEEEZZNS1_16scan_by_key_implILNS1_25lookback_scan_determinismE0ELb0ES3_N6thrust23THRUST_200600_302600_NS6detail15normal_iteratorINSB_10device_ptrIjEEEENSD_INSE_IS6_EEEESI_S6_NSB_4plusIvEENSB_8equal_toIvEES6_EE10hipError_tPvRmT2_T3_T4_T5_mT6_T7_P12ihipStream_tbENKUlT_T0_E_clISt17integral_constantIbLb0EES13_EEDaSY_SZ_EUlSY_E_NS1_11comp_targetILNS1_3genE3ELNS1_11target_archE908ELNS1_3gpuE7ELNS1_3repE0EEENS1_30default_config_static_selectorELNS0_4arch9wavefront6targetE0EEEvT1_
	.p2align	8
	.type	_ZN7rocprim17ROCPRIM_400000_NS6detail17trampoline_kernelINS0_14default_configENS1_27scan_by_key_config_selectorIj11FixedVectorIiLj8EEEEZZNS1_16scan_by_key_implILNS1_25lookback_scan_determinismE0ELb0ES3_N6thrust23THRUST_200600_302600_NS6detail15normal_iteratorINSB_10device_ptrIjEEEENSD_INSE_IS6_EEEESI_S6_NSB_4plusIvEENSB_8equal_toIvEES6_EE10hipError_tPvRmT2_T3_T4_T5_mT6_T7_P12ihipStream_tbENKUlT_T0_E_clISt17integral_constantIbLb0EES13_EEDaSY_SZ_EUlSY_E_NS1_11comp_targetILNS1_3genE3ELNS1_11target_archE908ELNS1_3gpuE7ELNS1_3repE0EEENS1_30default_config_static_selectorELNS0_4arch9wavefront6targetE0EEEvT1_,@function
_ZN7rocprim17ROCPRIM_400000_NS6detail17trampoline_kernelINS0_14default_configENS1_27scan_by_key_config_selectorIj11FixedVectorIiLj8EEEEZZNS1_16scan_by_key_implILNS1_25lookback_scan_determinismE0ELb0ES3_N6thrust23THRUST_200600_302600_NS6detail15normal_iteratorINSB_10device_ptrIjEEEENSD_INSE_IS6_EEEESI_S6_NSB_4plusIvEENSB_8equal_toIvEES6_EE10hipError_tPvRmT2_T3_T4_T5_mT6_T7_P12ihipStream_tbENKUlT_T0_E_clISt17integral_constantIbLb0EES13_EEDaSY_SZ_EUlSY_E_NS1_11comp_targetILNS1_3genE3ELNS1_11target_archE908ELNS1_3gpuE7ELNS1_3repE0EEENS1_30default_config_static_selectorELNS0_4arch9wavefront6targetE0EEEvT1_: ; @_ZN7rocprim17ROCPRIM_400000_NS6detail17trampoline_kernelINS0_14default_configENS1_27scan_by_key_config_selectorIj11FixedVectorIiLj8EEEEZZNS1_16scan_by_key_implILNS1_25lookback_scan_determinismE0ELb0ES3_N6thrust23THRUST_200600_302600_NS6detail15normal_iteratorINSB_10device_ptrIjEEEENSD_INSE_IS6_EEEESI_S6_NSB_4plusIvEENSB_8equal_toIvEES6_EE10hipError_tPvRmT2_T3_T4_T5_mT6_T7_P12ihipStream_tbENKUlT_T0_E_clISt17integral_constantIbLb0EES13_EEDaSY_SZ_EUlSY_E_NS1_11comp_targetILNS1_3genE3ELNS1_11target_archE908ELNS1_3gpuE7ELNS1_3repE0EEENS1_30default_config_static_selectorELNS0_4arch9wavefront6targetE0EEEvT1_
; %bb.0:
	.section	.rodata,"a",@progbits
	.p2align	6, 0x0
	.amdhsa_kernel _ZN7rocprim17ROCPRIM_400000_NS6detail17trampoline_kernelINS0_14default_configENS1_27scan_by_key_config_selectorIj11FixedVectorIiLj8EEEEZZNS1_16scan_by_key_implILNS1_25lookback_scan_determinismE0ELb0ES3_N6thrust23THRUST_200600_302600_NS6detail15normal_iteratorINSB_10device_ptrIjEEEENSD_INSE_IS6_EEEESI_S6_NSB_4plusIvEENSB_8equal_toIvEES6_EE10hipError_tPvRmT2_T3_T4_T5_mT6_T7_P12ihipStream_tbENKUlT_T0_E_clISt17integral_constantIbLb0EES13_EEDaSY_SZ_EUlSY_E_NS1_11comp_targetILNS1_3genE3ELNS1_11target_archE908ELNS1_3gpuE7ELNS1_3repE0EEENS1_30default_config_static_selectorELNS0_4arch9wavefront6targetE0EEEvT1_
		.amdhsa_group_segment_fixed_size 0
		.amdhsa_private_segment_fixed_size 0
		.amdhsa_kernarg_size 160
		.amdhsa_user_sgpr_count 6
		.amdhsa_user_sgpr_private_segment_buffer 1
		.amdhsa_user_sgpr_dispatch_ptr 0
		.amdhsa_user_sgpr_queue_ptr 0
		.amdhsa_user_sgpr_kernarg_segment_ptr 1
		.amdhsa_user_sgpr_dispatch_id 0
		.amdhsa_user_sgpr_flat_scratch_init 0
		.amdhsa_user_sgpr_private_segment_size 0
		.amdhsa_wavefront_size32 1
		.amdhsa_uses_dynamic_stack 0
		.amdhsa_system_sgpr_private_segment_wavefront_offset 0
		.amdhsa_system_sgpr_workgroup_id_x 1
		.amdhsa_system_sgpr_workgroup_id_y 0
		.amdhsa_system_sgpr_workgroup_id_z 0
		.amdhsa_system_sgpr_workgroup_info 0
		.amdhsa_system_vgpr_workitem_id 0
		.amdhsa_next_free_vgpr 1
		.amdhsa_next_free_sgpr 1
		.amdhsa_reserve_vcc 0
		.amdhsa_reserve_flat_scratch 0
		.amdhsa_float_round_mode_32 0
		.amdhsa_float_round_mode_16_64 0
		.amdhsa_float_denorm_mode_32 3
		.amdhsa_float_denorm_mode_16_64 3
		.amdhsa_dx10_clamp 1
		.amdhsa_ieee_mode 1
		.amdhsa_fp16_overflow 0
		.amdhsa_workgroup_processor_mode 1
		.amdhsa_memory_ordered 1
		.amdhsa_forward_progress 1
		.amdhsa_shared_vgpr_count 0
		.amdhsa_exception_fp_ieee_invalid_op 0
		.amdhsa_exception_fp_denorm_src 0
		.amdhsa_exception_fp_ieee_div_zero 0
		.amdhsa_exception_fp_ieee_overflow 0
		.amdhsa_exception_fp_ieee_underflow 0
		.amdhsa_exception_fp_ieee_inexact 0
		.amdhsa_exception_int_div_zero 0
	.end_amdhsa_kernel
	.section	.text._ZN7rocprim17ROCPRIM_400000_NS6detail17trampoline_kernelINS0_14default_configENS1_27scan_by_key_config_selectorIj11FixedVectorIiLj8EEEEZZNS1_16scan_by_key_implILNS1_25lookback_scan_determinismE0ELb0ES3_N6thrust23THRUST_200600_302600_NS6detail15normal_iteratorINSB_10device_ptrIjEEEENSD_INSE_IS6_EEEESI_S6_NSB_4plusIvEENSB_8equal_toIvEES6_EE10hipError_tPvRmT2_T3_T4_T5_mT6_T7_P12ihipStream_tbENKUlT_T0_E_clISt17integral_constantIbLb0EES13_EEDaSY_SZ_EUlSY_E_NS1_11comp_targetILNS1_3genE3ELNS1_11target_archE908ELNS1_3gpuE7ELNS1_3repE0EEENS1_30default_config_static_selectorELNS0_4arch9wavefront6targetE0EEEvT1_,"axG",@progbits,_ZN7rocprim17ROCPRIM_400000_NS6detail17trampoline_kernelINS0_14default_configENS1_27scan_by_key_config_selectorIj11FixedVectorIiLj8EEEEZZNS1_16scan_by_key_implILNS1_25lookback_scan_determinismE0ELb0ES3_N6thrust23THRUST_200600_302600_NS6detail15normal_iteratorINSB_10device_ptrIjEEEENSD_INSE_IS6_EEEESI_S6_NSB_4plusIvEENSB_8equal_toIvEES6_EE10hipError_tPvRmT2_T3_T4_T5_mT6_T7_P12ihipStream_tbENKUlT_T0_E_clISt17integral_constantIbLb0EES13_EEDaSY_SZ_EUlSY_E_NS1_11comp_targetILNS1_3genE3ELNS1_11target_archE908ELNS1_3gpuE7ELNS1_3repE0EEENS1_30default_config_static_selectorELNS0_4arch9wavefront6targetE0EEEvT1_,comdat
.Lfunc_end2119:
	.size	_ZN7rocprim17ROCPRIM_400000_NS6detail17trampoline_kernelINS0_14default_configENS1_27scan_by_key_config_selectorIj11FixedVectorIiLj8EEEEZZNS1_16scan_by_key_implILNS1_25lookback_scan_determinismE0ELb0ES3_N6thrust23THRUST_200600_302600_NS6detail15normal_iteratorINSB_10device_ptrIjEEEENSD_INSE_IS6_EEEESI_S6_NSB_4plusIvEENSB_8equal_toIvEES6_EE10hipError_tPvRmT2_T3_T4_T5_mT6_T7_P12ihipStream_tbENKUlT_T0_E_clISt17integral_constantIbLb0EES13_EEDaSY_SZ_EUlSY_E_NS1_11comp_targetILNS1_3genE3ELNS1_11target_archE908ELNS1_3gpuE7ELNS1_3repE0EEENS1_30default_config_static_selectorELNS0_4arch9wavefront6targetE0EEEvT1_, .Lfunc_end2119-_ZN7rocprim17ROCPRIM_400000_NS6detail17trampoline_kernelINS0_14default_configENS1_27scan_by_key_config_selectorIj11FixedVectorIiLj8EEEEZZNS1_16scan_by_key_implILNS1_25lookback_scan_determinismE0ELb0ES3_N6thrust23THRUST_200600_302600_NS6detail15normal_iteratorINSB_10device_ptrIjEEEENSD_INSE_IS6_EEEESI_S6_NSB_4plusIvEENSB_8equal_toIvEES6_EE10hipError_tPvRmT2_T3_T4_T5_mT6_T7_P12ihipStream_tbENKUlT_T0_E_clISt17integral_constantIbLb0EES13_EEDaSY_SZ_EUlSY_E_NS1_11comp_targetILNS1_3genE3ELNS1_11target_archE908ELNS1_3gpuE7ELNS1_3repE0EEENS1_30default_config_static_selectorELNS0_4arch9wavefront6targetE0EEEvT1_
                                        ; -- End function
	.set _ZN7rocprim17ROCPRIM_400000_NS6detail17trampoline_kernelINS0_14default_configENS1_27scan_by_key_config_selectorIj11FixedVectorIiLj8EEEEZZNS1_16scan_by_key_implILNS1_25lookback_scan_determinismE0ELb0ES3_N6thrust23THRUST_200600_302600_NS6detail15normal_iteratorINSB_10device_ptrIjEEEENSD_INSE_IS6_EEEESI_S6_NSB_4plusIvEENSB_8equal_toIvEES6_EE10hipError_tPvRmT2_T3_T4_T5_mT6_T7_P12ihipStream_tbENKUlT_T0_E_clISt17integral_constantIbLb0EES13_EEDaSY_SZ_EUlSY_E_NS1_11comp_targetILNS1_3genE3ELNS1_11target_archE908ELNS1_3gpuE7ELNS1_3repE0EEENS1_30default_config_static_selectorELNS0_4arch9wavefront6targetE0EEEvT1_.num_vgpr, 0
	.set _ZN7rocprim17ROCPRIM_400000_NS6detail17trampoline_kernelINS0_14default_configENS1_27scan_by_key_config_selectorIj11FixedVectorIiLj8EEEEZZNS1_16scan_by_key_implILNS1_25lookback_scan_determinismE0ELb0ES3_N6thrust23THRUST_200600_302600_NS6detail15normal_iteratorINSB_10device_ptrIjEEEENSD_INSE_IS6_EEEESI_S6_NSB_4plusIvEENSB_8equal_toIvEES6_EE10hipError_tPvRmT2_T3_T4_T5_mT6_T7_P12ihipStream_tbENKUlT_T0_E_clISt17integral_constantIbLb0EES13_EEDaSY_SZ_EUlSY_E_NS1_11comp_targetILNS1_3genE3ELNS1_11target_archE908ELNS1_3gpuE7ELNS1_3repE0EEENS1_30default_config_static_selectorELNS0_4arch9wavefront6targetE0EEEvT1_.num_agpr, 0
	.set _ZN7rocprim17ROCPRIM_400000_NS6detail17trampoline_kernelINS0_14default_configENS1_27scan_by_key_config_selectorIj11FixedVectorIiLj8EEEEZZNS1_16scan_by_key_implILNS1_25lookback_scan_determinismE0ELb0ES3_N6thrust23THRUST_200600_302600_NS6detail15normal_iteratorINSB_10device_ptrIjEEEENSD_INSE_IS6_EEEESI_S6_NSB_4plusIvEENSB_8equal_toIvEES6_EE10hipError_tPvRmT2_T3_T4_T5_mT6_T7_P12ihipStream_tbENKUlT_T0_E_clISt17integral_constantIbLb0EES13_EEDaSY_SZ_EUlSY_E_NS1_11comp_targetILNS1_3genE3ELNS1_11target_archE908ELNS1_3gpuE7ELNS1_3repE0EEENS1_30default_config_static_selectorELNS0_4arch9wavefront6targetE0EEEvT1_.numbered_sgpr, 0
	.set _ZN7rocprim17ROCPRIM_400000_NS6detail17trampoline_kernelINS0_14default_configENS1_27scan_by_key_config_selectorIj11FixedVectorIiLj8EEEEZZNS1_16scan_by_key_implILNS1_25lookback_scan_determinismE0ELb0ES3_N6thrust23THRUST_200600_302600_NS6detail15normal_iteratorINSB_10device_ptrIjEEEENSD_INSE_IS6_EEEESI_S6_NSB_4plusIvEENSB_8equal_toIvEES6_EE10hipError_tPvRmT2_T3_T4_T5_mT6_T7_P12ihipStream_tbENKUlT_T0_E_clISt17integral_constantIbLb0EES13_EEDaSY_SZ_EUlSY_E_NS1_11comp_targetILNS1_3genE3ELNS1_11target_archE908ELNS1_3gpuE7ELNS1_3repE0EEENS1_30default_config_static_selectorELNS0_4arch9wavefront6targetE0EEEvT1_.num_named_barrier, 0
	.set _ZN7rocprim17ROCPRIM_400000_NS6detail17trampoline_kernelINS0_14default_configENS1_27scan_by_key_config_selectorIj11FixedVectorIiLj8EEEEZZNS1_16scan_by_key_implILNS1_25lookback_scan_determinismE0ELb0ES3_N6thrust23THRUST_200600_302600_NS6detail15normal_iteratorINSB_10device_ptrIjEEEENSD_INSE_IS6_EEEESI_S6_NSB_4plusIvEENSB_8equal_toIvEES6_EE10hipError_tPvRmT2_T3_T4_T5_mT6_T7_P12ihipStream_tbENKUlT_T0_E_clISt17integral_constantIbLb0EES13_EEDaSY_SZ_EUlSY_E_NS1_11comp_targetILNS1_3genE3ELNS1_11target_archE908ELNS1_3gpuE7ELNS1_3repE0EEENS1_30default_config_static_selectorELNS0_4arch9wavefront6targetE0EEEvT1_.private_seg_size, 0
	.set _ZN7rocprim17ROCPRIM_400000_NS6detail17trampoline_kernelINS0_14default_configENS1_27scan_by_key_config_selectorIj11FixedVectorIiLj8EEEEZZNS1_16scan_by_key_implILNS1_25lookback_scan_determinismE0ELb0ES3_N6thrust23THRUST_200600_302600_NS6detail15normal_iteratorINSB_10device_ptrIjEEEENSD_INSE_IS6_EEEESI_S6_NSB_4plusIvEENSB_8equal_toIvEES6_EE10hipError_tPvRmT2_T3_T4_T5_mT6_T7_P12ihipStream_tbENKUlT_T0_E_clISt17integral_constantIbLb0EES13_EEDaSY_SZ_EUlSY_E_NS1_11comp_targetILNS1_3genE3ELNS1_11target_archE908ELNS1_3gpuE7ELNS1_3repE0EEENS1_30default_config_static_selectorELNS0_4arch9wavefront6targetE0EEEvT1_.uses_vcc, 0
	.set _ZN7rocprim17ROCPRIM_400000_NS6detail17trampoline_kernelINS0_14default_configENS1_27scan_by_key_config_selectorIj11FixedVectorIiLj8EEEEZZNS1_16scan_by_key_implILNS1_25lookback_scan_determinismE0ELb0ES3_N6thrust23THRUST_200600_302600_NS6detail15normal_iteratorINSB_10device_ptrIjEEEENSD_INSE_IS6_EEEESI_S6_NSB_4plusIvEENSB_8equal_toIvEES6_EE10hipError_tPvRmT2_T3_T4_T5_mT6_T7_P12ihipStream_tbENKUlT_T0_E_clISt17integral_constantIbLb0EES13_EEDaSY_SZ_EUlSY_E_NS1_11comp_targetILNS1_3genE3ELNS1_11target_archE908ELNS1_3gpuE7ELNS1_3repE0EEENS1_30default_config_static_selectorELNS0_4arch9wavefront6targetE0EEEvT1_.uses_flat_scratch, 0
	.set _ZN7rocprim17ROCPRIM_400000_NS6detail17trampoline_kernelINS0_14default_configENS1_27scan_by_key_config_selectorIj11FixedVectorIiLj8EEEEZZNS1_16scan_by_key_implILNS1_25lookback_scan_determinismE0ELb0ES3_N6thrust23THRUST_200600_302600_NS6detail15normal_iteratorINSB_10device_ptrIjEEEENSD_INSE_IS6_EEEESI_S6_NSB_4plusIvEENSB_8equal_toIvEES6_EE10hipError_tPvRmT2_T3_T4_T5_mT6_T7_P12ihipStream_tbENKUlT_T0_E_clISt17integral_constantIbLb0EES13_EEDaSY_SZ_EUlSY_E_NS1_11comp_targetILNS1_3genE3ELNS1_11target_archE908ELNS1_3gpuE7ELNS1_3repE0EEENS1_30default_config_static_selectorELNS0_4arch9wavefront6targetE0EEEvT1_.has_dyn_sized_stack, 0
	.set _ZN7rocprim17ROCPRIM_400000_NS6detail17trampoline_kernelINS0_14default_configENS1_27scan_by_key_config_selectorIj11FixedVectorIiLj8EEEEZZNS1_16scan_by_key_implILNS1_25lookback_scan_determinismE0ELb0ES3_N6thrust23THRUST_200600_302600_NS6detail15normal_iteratorINSB_10device_ptrIjEEEENSD_INSE_IS6_EEEESI_S6_NSB_4plusIvEENSB_8equal_toIvEES6_EE10hipError_tPvRmT2_T3_T4_T5_mT6_T7_P12ihipStream_tbENKUlT_T0_E_clISt17integral_constantIbLb0EES13_EEDaSY_SZ_EUlSY_E_NS1_11comp_targetILNS1_3genE3ELNS1_11target_archE908ELNS1_3gpuE7ELNS1_3repE0EEENS1_30default_config_static_selectorELNS0_4arch9wavefront6targetE0EEEvT1_.has_recursion, 0
	.set _ZN7rocprim17ROCPRIM_400000_NS6detail17trampoline_kernelINS0_14default_configENS1_27scan_by_key_config_selectorIj11FixedVectorIiLj8EEEEZZNS1_16scan_by_key_implILNS1_25lookback_scan_determinismE0ELb0ES3_N6thrust23THRUST_200600_302600_NS6detail15normal_iteratorINSB_10device_ptrIjEEEENSD_INSE_IS6_EEEESI_S6_NSB_4plusIvEENSB_8equal_toIvEES6_EE10hipError_tPvRmT2_T3_T4_T5_mT6_T7_P12ihipStream_tbENKUlT_T0_E_clISt17integral_constantIbLb0EES13_EEDaSY_SZ_EUlSY_E_NS1_11comp_targetILNS1_3genE3ELNS1_11target_archE908ELNS1_3gpuE7ELNS1_3repE0EEENS1_30default_config_static_selectorELNS0_4arch9wavefront6targetE0EEEvT1_.has_indirect_call, 0
	.section	.AMDGPU.csdata,"",@progbits
; Kernel info:
; codeLenInByte = 0
; TotalNumSgprs: 0
; NumVgprs: 0
; ScratchSize: 0
; MemoryBound: 0
; FloatMode: 240
; IeeeMode: 1
; LDSByteSize: 0 bytes/workgroup (compile time only)
; SGPRBlocks: 0
; VGPRBlocks: 0
; NumSGPRsForWavesPerEU: 1
; NumVGPRsForWavesPerEU: 1
; Occupancy: 16
; WaveLimiterHint : 0
; COMPUTE_PGM_RSRC2:SCRATCH_EN: 0
; COMPUTE_PGM_RSRC2:USER_SGPR: 6
; COMPUTE_PGM_RSRC2:TRAP_HANDLER: 0
; COMPUTE_PGM_RSRC2:TGID_X_EN: 1
; COMPUTE_PGM_RSRC2:TGID_Y_EN: 0
; COMPUTE_PGM_RSRC2:TGID_Z_EN: 0
; COMPUTE_PGM_RSRC2:TIDIG_COMP_CNT: 0
	.section	.text._ZN7rocprim17ROCPRIM_400000_NS6detail17trampoline_kernelINS0_14default_configENS1_27scan_by_key_config_selectorIj11FixedVectorIiLj8EEEEZZNS1_16scan_by_key_implILNS1_25lookback_scan_determinismE0ELb0ES3_N6thrust23THRUST_200600_302600_NS6detail15normal_iteratorINSB_10device_ptrIjEEEENSD_INSE_IS6_EEEESI_S6_NSB_4plusIvEENSB_8equal_toIvEES6_EE10hipError_tPvRmT2_T3_T4_T5_mT6_T7_P12ihipStream_tbENKUlT_T0_E_clISt17integral_constantIbLb0EES13_EEDaSY_SZ_EUlSY_E_NS1_11comp_targetILNS1_3genE2ELNS1_11target_archE906ELNS1_3gpuE6ELNS1_3repE0EEENS1_30default_config_static_selectorELNS0_4arch9wavefront6targetE0EEEvT1_,"axG",@progbits,_ZN7rocprim17ROCPRIM_400000_NS6detail17trampoline_kernelINS0_14default_configENS1_27scan_by_key_config_selectorIj11FixedVectorIiLj8EEEEZZNS1_16scan_by_key_implILNS1_25lookback_scan_determinismE0ELb0ES3_N6thrust23THRUST_200600_302600_NS6detail15normal_iteratorINSB_10device_ptrIjEEEENSD_INSE_IS6_EEEESI_S6_NSB_4plusIvEENSB_8equal_toIvEES6_EE10hipError_tPvRmT2_T3_T4_T5_mT6_T7_P12ihipStream_tbENKUlT_T0_E_clISt17integral_constantIbLb0EES13_EEDaSY_SZ_EUlSY_E_NS1_11comp_targetILNS1_3genE2ELNS1_11target_archE906ELNS1_3gpuE6ELNS1_3repE0EEENS1_30default_config_static_selectorELNS0_4arch9wavefront6targetE0EEEvT1_,comdat
	.protected	_ZN7rocprim17ROCPRIM_400000_NS6detail17trampoline_kernelINS0_14default_configENS1_27scan_by_key_config_selectorIj11FixedVectorIiLj8EEEEZZNS1_16scan_by_key_implILNS1_25lookback_scan_determinismE0ELb0ES3_N6thrust23THRUST_200600_302600_NS6detail15normal_iteratorINSB_10device_ptrIjEEEENSD_INSE_IS6_EEEESI_S6_NSB_4plusIvEENSB_8equal_toIvEES6_EE10hipError_tPvRmT2_T3_T4_T5_mT6_T7_P12ihipStream_tbENKUlT_T0_E_clISt17integral_constantIbLb0EES13_EEDaSY_SZ_EUlSY_E_NS1_11comp_targetILNS1_3genE2ELNS1_11target_archE906ELNS1_3gpuE6ELNS1_3repE0EEENS1_30default_config_static_selectorELNS0_4arch9wavefront6targetE0EEEvT1_ ; -- Begin function _ZN7rocprim17ROCPRIM_400000_NS6detail17trampoline_kernelINS0_14default_configENS1_27scan_by_key_config_selectorIj11FixedVectorIiLj8EEEEZZNS1_16scan_by_key_implILNS1_25lookback_scan_determinismE0ELb0ES3_N6thrust23THRUST_200600_302600_NS6detail15normal_iteratorINSB_10device_ptrIjEEEENSD_INSE_IS6_EEEESI_S6_NSB_4plusIvEENSB_8equal_toIvEES6_EE10hipError_tPvRmT2_T3_T4_T5_mT6_T7_P12ihipStream_tbENKUlT_T0_E_clISt17integral_constantIbLb0EES13_EEDaSY_SZ_EUlSY_E_NS1_11comp_targetILNS1_3genE2ELNS1_11target_archE906ELNS1_3gpuE6ELNS1_3repE0EEENS1_30default_config_static_selectorELNS0_4arch9wavefront6targetE0EEEvT1_
	.globl	_ZN7rocprim17ROCPRIM_400000_NS6detail17trampoline_kernelINS0_14default_configENS1_27scan_by_key_config_selectorIj11FixedVectorIiLj8EEEEZZNS1_16scan_by_key_implILNS1_25lookback_scan_determinismE0ELb0ES3_N6thrust23THRUST_200600_302600_NS6detail15normal_iteratorINSB_10device_ptrIjEEEENSD_INSE_IS6_EEEESI_S6_NSB_4plusIvEENSB_8equal_toIvEES6_EE10hipError_tPvRmT2_T3_T4_T5_mT6_T7_P12ihipStream_tbENKUlT_T0_E_clISt17integral_constantIbLb0EES13_EEDaSY_SZ_EUlSY_E_NS1_11comp_targetILNS1_3genE2ELNS1_11target_archE906ELNS1_3gpuE6ELNS1_3repE0EEENS1_30default_config_static_selectorELNS0_4arch9wavefront6targetE0EEEvT1_
	.p2align	8
	.type	_ZN7rocprim17ROCPRIM_400000_NS6detail17trampoline_kernelINS0_14default_configENS1_27scan_by_key_config_selectorIj11FixedVectorIiLj8EEEEZZNS1_16scan_by_key_implILNS1_25lookback_scan_determinismE0ELb0ES3_N6thrust23THRUST_200600_302600_NS6detail15normal_iteratorINSB_10device_ptrIjEEEENSD_INSE_IS6_EEEESI_S6_NSB_4plusIvEENSB_8equal_toIvEES6_EE10hipError_tPvRmT2_T3_T4_T5_mT6_T7_P12ihipStream_tbENKUlT_T0_E_clISt17integral_constantIbLb0EES13_EEDaSY_SZ_EUlSY_E_NS1_11comp_targetILNS1_3genE2ELNS1_11target_archE906ELNS1_3gpuE6ELNS1_3repE0EEENS1_30default_config_static_selectorELNS0_4arch9wavefront6targetE0EEEvT1_,@function
_ZN7rocprim17ROCPRIM_400000_NS6detail17trampoline_kernelINS0_14default_configENS1_27scan_by_key_config_selectorIj11FixedVectorIiLj8EEEEZZNS1_16scan_by_key_implILNS1_25lookback_scan_determinismE0ELb0ES3_N6thrust23THRUST_200600_302600_NS6detail15normal_iteratorINSB_10device_ptrIjEEEENSD_INSE_IS6_EEEESI_S6_NSB_4plusIvEENSB_8equal_toIvEES6_EE10hipError_tPvRmT2_T3_T4_T5_mT6_T7_P12ihipStream_tbENKUlT_T0_E_clISt17integral_constantIbLb0EES13_EEDaSY_SZ_EUlSY_E_NS1_11comp_targetILNS1_3genE2ELNS1_11target_archE906ELNS1_3gpuE6ELNS1_3repE0EEENS1_30default_config_static_selectorELNS0_4arch9wavefront6targetE0EEEvT1_: ; @_ZN7rocprim17ROCPRIM_400000_NS6detail17trampoline_kernelINS0_14default_configENS1_27scan_by_key_config_selectorIj11FixedVectorIiLj8EEEEZZNS1_16scan_by_key_implILNS1_25lookback_scan_determinismE0ELb0ES3_N6thrust23THRUST_200600_302600_NS6detail15normal_iteratorINSB_10device_ptrIjEEEENSD_INSE_IS6_EEEESI_S6_NSB_4plusIvEENSB_8equal_toIvEES6_EE10hipError_tPvRmT2_T3_T4_T5_mT6_T7_P12ihipStream_tbENKUlT_T0_E_clISt17integral_constantIbLb0EES13_EEDaSY_SZ_EUlSY_E_NS1_11comp_targetILNS1_3genE2ELNS1_11target_archE906ELNS1_3gpuE6ELNS1_3repE0EEENS1_30default_config_static_selectorELNS0_4arch9wavefront6targetE0EEEvT1_
; %bb.0:
	.section	.rodata,"a",@progbits
	.p2align	6, 0x0
	.amdhsa_kernel _ZN7rocprim17ROCPRIM_400000_NS6detail17trampoline_kernelINS0_14default_configENS1_27scan_by_key_config_selectorIj11FixedVectorIiLj8EEEEZZNS1_16scan_by_key_implILNS1_25lookback_scan_determinismE0ELb0ES3_N6thrust23THRUST_200600_302600_NS6detail15normal_iteratorINSB_10device_ptrIjEEEENSD_INSE_IS6_EEEESI_S6_NSB_4plusIvEENSB_8equal_toIvEES6_EE10hipError_tPvRmT2_T3_T4_T5_mT6_T7_P12ihipStream_tbENKUlT_T0_E_clISt17integral_constantIbLb0EES13_EEDaSY_SZ_EUlSY_E_NS1_11comp_targetILNS1_3genE2ELNS1_11target_archE906ELNS1_3gpuE6ELNS1_3repE0EEENS1_30default_config_static_selectorELNS0_4arch9wavefront6targetE0EEEvT1_
		.amdhsa_group_segment_fixed_size 0
		.amdhsa_private_segment_fixed_size 0
		.amdhsa_kernarg_size 160
		.amdhsa_user_sgpr_count 6
		.amdhsa_user_sgpr_private_segment_buffer 1
		.amdhsa_user_sgpr_dispatch_ptr 0
		.amdhsa_user_sgpr_queue_ptr 0
		.amdhsa_user_sgpr_kernarg_segment_ptr 1
		.amdhsa_user_sgpr_dispatch_id 0
		.amdhsa_user_sgpr_flat_scratch_init 0
		.amdhsa_user_sgpr_private_segment_size 0
		.amdhsa_wavefront_size32 1
		.amdhsa_uses_dynamic_stack 0
		.amdhsa_system_sgpr_private_segment_wavefront_offset 0
		.amdhsa_system_sgpr_workgroup_id_x 1
		.amdhsa_system_sgpr_workgroup_id_y 0
		.amdhsa_system_sgpr_workgroup_id_z 0
		.amdhsa_system_sgpr_workgroup_info 0
		.amdhsa_system_vgpr_workitem_id 0
		.amdhsa_next_free_vgpr 1
		.amdhsa_next_free_sgpr 1
		.amdhsa_reserve_vcc 0
		.amdhsa_reserve_flat_scratch 0
		.amdhsa_float_round_mode_32 0
		.amdhsa_float_round_mode_16_64 0
		.amdhsa_float_denorm_mode_32 3
		.amdhsa_float_denorm_mode_16_64 3
		.amdhsa_dx10_clamp 1
		.amdhsa_ieee_mode 1
		.amdhsa_fp16_overflow 0
		.amdhsa_workgroup_processor_mode 1
		.amdhsa_memory_ordered 1
		.amdhsa_forward_progress 1
		.amdhsa_shared_vgpr_count 0
		.amdhsa_exception_fp_ieee_invalid_op 0
		.amdhsa_exception_fp_denorm_src 0
		.amdhsa_exception_fp_ieee_div_zero 0
		.amdhsa_exception_fp_ieee_overflow 0
		.amdhsa_exception_fp_ieee_underflow 0
		.amdhsa_exception_fp_ieee_inexact 0
		.amdhsa_exception_int_div_zero 0
	.end_amdhsa_kernel
	.section	.text._ZN7rocprim17ROCPRIM_400000_NS6detail17trampoline_kernelINS0_14default_configENS1_27scan_by_key_config_selectorIj11FixedVectorIiLj8EEEEZZNS1_16scan_by_key_implILNS1_25lookback_scan_determinismE0ELb0ES3_N6thrust23THRUST_200600_302600_NS6detail15normal_iteratorINSB_10device_ptrIjEEEENSD_INSE_IS6_EEEESI_S6_NSB_4plusIvEENSB_8equal_toIvEES6_EE10hipError_tPvRmT2_T3_T4_T5_mT6_T7_P12ihipStream_tbENKUlT_T0_E_clISt17integral_constantIbLb0EES13_EEDaSY_SZ_EUlSY_E_NS1_11comp_targetILNS1_3genE2ELNS1_11target_archE906ELNS1_3gpuE6ELNS1_3repE0EEENS1_30default_config_static_selectorELNS0_4arch9wavefront6targetE0EEEvT1_,"axG",@progbits,_ZN7rocprim17ROCPRIM_400000_NS6detail17trampoline_kernelINS0_14default_configENS1_27scan_by_key_config_selectorIj11FixedVectorIiLj8EEEEZZNS1_16scan_by_key_implILNS1_25lookback_scan_determinismE0ELb0ES3_N6thrust23THRUST_200600_302600_NS6detail15normal_iteratorINSB_10device_ptrIjEEEENSD_INSE_IS6_EEEESI_S6_NSB_4plusIvEENSB_8equal_toIvEES6_EE10hipError_tPvRmT2_T3_T4_T5_mT6_T7_P12ihipStream_tbENKUlT_T0_E_clISt17integral_constantIbLb0EES13_EEDaSY_SZ_EUlSY_E_NS1_11comp_targetILNS1_3genE2ELNS1_11target_archE906ELNS1_3gpuE6ELNS1_3repE0EEENS1_30default_config_static_selectorELNS0_4arch9wavefront6targetE0EEEvT1_,comdat
.Lfunc_end2120:
	.size	_ZN7rocprim17ROCPRIM_400000_NS6detail17trampoline_kernelINS0_14default_configENS1_27scan_by_key_config_selectorIj11FixedVectorIiLj8EEEEZZNS1_16scan_by_key_implILNS1_25lookback_scan_determinismE0ELb0ES3_N6thrust23THRUST_200600_302600_NS6detail15normal_iteratorINSB_10device_ptrIjEEEENSD_INSE_IS6_EEEESI_S6_NSB_4plusIvEENSB_8equal_toIvEES6_EE10hipError_tPvRmT2_T3_T4_T5_mT6_T7_P12ihipStream_tbENKUlT_T0_E_clISt17integral_constantIbLb0EES13_EEDaSY_SZ_EUlSY_E_NS1_11comp_targetILNS1_3genE2ELNS1_11target_archE906ELNS1_3gpuE6ELNS1_3repE0EEENS1_30default_config_static_selectorELNS0_4arch9wavefront6targetE0EEEvT1_, .Lfunc_end2120-_ZN7rocprim17ROCPRIM_400000_NS6detail17trampoline_kernelINS0_14default_configENS1_27scan_by_key_config_selectorIj11FixedVectorIiLj8EEEEZZNS1_16scan_by_key_implILNS1_25lookback_scan_determinismE0ELb0ES3_N6thrust23THRUST_200600_302600_NS6detail15normal_iteratorINSB_10device_ptrIjEEEENSD_INSE_IS6_EEEESI_S6_NSB_4plusIvEENSB_8equal_toIvEES6_EE10hipError_tPvRmT2_T3_T4_T5_mT6_T7_P12ihipStream_tbENKUlT_T0_E_clISt17integral_constantIbLb0EES13_EEDaSY_SZ_EUlSY_E_NS1_11comp_targetILNS1_3genE2ELNS1_11target_archE906ELNS1_3gpuE6ELNS1_3repE0EEENS1_30default_config_static_selectorELNS0_4arch9wavefront6targetE0EEEvT1_
                                        ; -- End function
	.set _ZN7rocprim17ROCPRIM_400000_NS6detail17trampoline_kernelINS0_14default_configENS1_27scan_by_key_config_selectorIj11FixedVectorIiLj8EEEEZZNS1_16scan_by_key_implILNS1_25lookback_scan_determinismE0ELb0ES3_N6thrust23THRUST_200600_302600_NS6detail15normal_iteratorINSB_10device_ptrIjEEEENSD_INSE_IS6_EEEESI_S6_NSB_4plusIvEENSB_8equal_toIvEES6_EE10hipError_tPvRmT2_T3_T4_T5_mT6_T7_P12ihipStream_tbENKUlT_T0_E_clISt17integral_constantIbLb0EES13_EEDaSY_SZ_EUlSY_E_NS1_11comp_targetILNS1_3genE2ELNS1_11target_archE906ELNS1_3gpuE6ELNS1_3repE0EEENS1_30default_config_static_selectorELNS0_4arch9wavefront6targetE0EEEvT1_.num_vgpr, 0
	.set _ZN7rocprim17ROCPRIM_400000_NS6detail17trampoline_kernelINS0_14default_configENS1_27scan_by_key_config_selectorIj11FixedVectorIiLj8EEEEZZNS1_16scan_by_key_implILNS1_25lookback_scan_determinismE0ELb0ES3_N6thrust23THRUST_200600_302600_NS6detail15normal_iteratorINSB_10device_ptrIjEEEENSD_INSE_IS6_EEEESI_S6_NSB_4plusIvEENSB_8equal_toIvEES6_EE10hipError_tPvRmT2_T3_T4_T5_mT6_T7_P12ihipStream_tbENKUlT_T0_E_clISt17integral_constantIbLb0EES13_EEDaSY_SZ_EUlSY_E_NS1_11comp_targetILNS1_3genE2ELNS1_11target_archE906ELNS1_3gpuE6ELNS1_3repE0EEENS1_30default_config_static_selectorELNS0_4arch9wavefront6targetE0EEEvT1_.num_agpr, 0
	.set _ZN7rocprim17ROCPRIM_400000_NS6detail17trampoline_kernelINS0_14default_configENS1_27scan_by_key_config_selectorIj11FixedVectorIiLj8EEEEZZNS1_16scan_by_key_implILNS1_25lookback_scan_determinismE0ELb0ES3_N6thrust23THRUST_200600_302600_NS6detail15normal_iteratorINSB_10device_ptrIjEEEENSD_INSE_IS6_EEEESI_S6_NSB_4plusIvEENSB_8equal_toIvEES6_EE10hipError_tPvRmT2_T3_T4_T5_mT6_T7_P12ihipStream_tbENKUlT_T0_E_clISt17integral_constantIbLb0EES13_EEDaSY_SZ_EUlSY_E_NS1_11comp_targetILNS1_3genE2ELNS1_11target_archE906ELNS1_3gpuE6ELNS1_3repE0EEENS1_30default_config_static_selectorELNS0_4arch9wavefront6targetE0EEEvT1_.numbered_sgpr, 0
	.set _ZN7rocprim17ROCPRIM_400000_NS6detail17trampoline_kernelINS0_14default_configENS1_27scan_by_key_config_selectorIj11FixedVectorIiLj8EEEEZZNS1_16scan_by_key_implILNS1_25lookback_scan_determinismE0ELb0ES3_N6thrust23THRUST_200600_302600_NS6detail15normal_iteratorINSB_10device_ptrIjEEEENSD_INSE_IS6_EEEESI_S6_NSB_4plusIvEENSB_8equal_toIvEES6_EE10hipError_tPvRmT2_T3_T4_T5_mT6_T7_P12ihipStream_tbENKUlT_T0_E_clISt17integral_constantIbLb0EES13_EEDaSY_SZ_EUlSY_E_NS1_11comp_targetILNS1_3genE2ELNS1_11target_archE906ELNS1_3gpuE6ELNS1_3repE0EEENS1_30default_config_static_selectorELNS0_4arch9wavefront6targetE0EEEvT1_.num_named_barrier, 0
	.set _ZN7rocprim17ROCPRIM_400000_NS6detail17trampoline_kernelINS0_14default_configENS1_27scan_by_key_config_selectorIj11FixedVectorIiLj8EEEEZZNS1_16scan_by_key_implILNS1_25lookback_scan_determinismE0ELb0ES3_N6thrust23THRUST_200600_302600_NS6detail15normal_iteratorINSB_10device_ptrIjEEEENSD_INSE_IS6_EEEESI_S6_NSB_4plusIvEENSB_8equal_toIvEES6_EE10hipError_tPvRmT2_T3_T4_T5_mT6_T7_P12ihipStream_tbENKUlT_T0_E_clISt17integral_constantIbLb0EES13_EEDaSY_SZ_EUlSY_E_NS1_11comp_targetILNS1_3genE2ELNS1_11target_archE906ELNS1_3gpuE6ELNS1_3repE0EEENS1_30default_config_static_selectorELNS0_4arch9wavefront6targetE0EEEvT1_.private_seg_size, 0
	.set _ZN7rocprim17ROCPRIM_400000_NS6detail17trampoline_kernelINS0_14default_configENS1_27scan_by_key_config_selectorIj11FixedVectorIiLj8EEEEZZNS1_16scan_by_key_implILNS1_25lookback_scan_determinismE0ELb0ES3_N6thrust23THRUST_200600_302600_NS6detail15normal_iteratorINSB_10device_ptrIjEEEENSD_INSE_IS6_EEEESI_S6_NSB_4plusIvEENSB_8equal_toIvEES6_EE10hipError_tPvRmT2_T3_T4_T5_mT6_T7_P12ihipStream_tbENKUlT_T0_E_clISt17integral_constantIbLb0EES13_EEDaSY_SZ_EUlSY_E_NS1_11comp_targetILNS1_3genE2ELNS1_11target_archE906ELNS1_3gpuE6ELNS1_3repE0EEENS1_30default_config_static_selectorELNS0_4arch9wavefront6targetE0EEEvT1_.uses_vcc, 0
	.set _ZN7rocprim17ROCPRIM_400000_NS6detail17trampoline_kernelINS0_14default_configENS1_27scan_by_key_config_selectorIj11FixedVectorIiLj8EEEEZZNS1_16scan_by_key_implILNS1_25lookback_scan_determinismE0ELb0ES3_N6thrust23THRUST_200600_302600_NS6detail15normal_iteratorINSB_10device_ptrIjEEEENSD_INSE_IS6_EEEESI_S6_NSB_4plusIvEENSB_8equal_toIvEES6_EE10hipError_tPvRmT2_T3_T4_T5_mT6_T7_P12ihipStream_tbENKUlT_T0_E_clISt17integral_constantIbLb0EES13_EEDaSY_SZ_EUlSY_E_NS1_11comp_targetILNS1_3genE2ELNS1_11target_archE906ELNS1_3gpuE6ELNS1_3repE0EEENS1_30default_config_static_selectorELNS0_4arch9wavefront6targetE0EEEvT1_.uses_flat_scratch, 0
	.set _ZN7rocprim17ROCPRIM_400000_NS6detail17trampoline_kernelINS0_14default_configENS1_27scan_by_key_config_selectorIj11FixedVectorIiLj8EEEEZZNS1_16scan_by_key_implILNS1_25lookback_scan_determinismE0ELb0ES3_N6thrust23THRUST_200600_302600_NS6detail15normal_iteratorINSB_10device_ptrIjEEEENSD_INSE_IS6_EEEESI_S6_NSB_4plusIvEENSB_8equal_toIvEES6_EE10hipError_tPvRmT2_T3_T4_T5_mT6_T7_P12ihipStream_tbENKUlT_T0_E_clISt17integral_constantIbLb0EES13_EEDaSY_SZ_EUlSY_E_NS1_11comp_targetILNS1_3genE2ELNS1_11target_archE906ELNS1_3gpuE6ELNS1_3repE0EEENS1_30default_config_static_selectorELNS0_4arch9wavefront6targetE0EEEvT1_.has_dyn_sized_stack, 0
	.set _ZN7rocprim17ROCPRIM_400000_NS6detail17trampoline_kernelINS0_14default_configENS1_27scan_by_key_config_selectorIj11FixedVectorIiLj8EEEEZZNS1_16scan_by_key_implILNS1_25lookback_scan_determinismE0ELb0ES3_N6thrust23THRUST_200600_302600_NS6detail15normal_iteratorINSB_10device_ptrIjEEEENSD_INSE_IS6_EEEESI_S6_NSB_4plusIvEENSB_8equal_toIvEES6_EE10hipError_tPvRmT2_T3_T4_T5_mT6_T7_P12ihipStream_tbENKUlT_T0_E_clISt17integral_constantIbLb0EES13_EEDaSY_SZ_EUlSY_E_NS1_11comp_targetILNS1_3genE2ELNS1_11target_archE906ELNS1_3gpuE6ELNS1_3repE0EEENS1_30default_config_static_selectorELNS0_4arch9wavefront6targetE0EEEvT1_.has_recursion, 0
	.set _ZN7rocprim17ROCPRIM_400000_NS6detail17trampoline_kernelINS0_14default_configENS1_27scan_by_key_config_selectorIj11FixedVectorIiLj8EEEEZZNS1_16scan_by_key_implILNS1_25lookback_scan_determinismE0ELb0ES3_N6thrust23THRUST_200600_302600_NS6detail15normal_iteratorINSB_10device_ptrIjEEEENSD_INSE_IS6_EEEESI_S6_NSB_4plusIvEENSB_8equal_toIvEES6_EE10hipError_tPvRmT2_T3_T4_T5_mT6_T7_P12ihipStream_tbENKUlT_T0_E_clISt17integral_constantIbLb0EES13_EEDaSY_SZ_EUlSY_E_NS1_11comp_targetILNS1_3genE2ELNS1_11target_archE906ELNS1_3gpuE6ELNS1_3repE0EEENS1_30default_config_static_selectorELNS0_4arch9wavefront6targetE0EEEvT1_.has_indirect_call, 0
	.section	.AMDGPU.csdata,"",@progbits
; Kernel info:
; codeLenInByte = 0
; TotalNumSgprs: 0
; NumVgprs: 0
; ScratchSize: 0
; MemoryBound: 0
; FloatMode: 240
; IeeeMode: 1
; LDSByteSize: 0 bytes/workgroup (compile time only)
; SGPRBlocks: 0
; VGPRBlocks: 0
; NumSGPRsForWavesPerEU: 1
; NumVGPRsForWavesPerEU: 1
; Occupancy: 16
; WaveLimiterHint : 0
; COMPUTE_PGM_RSRC2:SCRATCH_EN: 0
; COMPUTE_PGM_RSRC2:USER_SGPR: 6
; COMPUTE_PGM_RSRC2:TRAP_HANDLER: 0
; COMPUTE_PGM_RSRC2:TGID_X_EN: 1
; COMPUTE_PGM_RSRC2:TGID_Y_EN: 0
; COMPUTE_PGM_RSRC2:TGID_Z_EN: 0
; COMPUTE_PGM_RSRC2:TIDIG_COMP_CNT: 0
	.section	.text._ZN7rocprim17ROCPRIM_400000_NS6detail17trampoline_kernelINS0_14default_configENS1_27scan_by_key_config_selectorIj11FixedVectorIiLj8EEEEZZNS1_16scan_by_key_implILNS1_25lookback_scan_determinismE0ELb0ES3_N6thrust23THRUST_200600_302600_NS6detail15normal_iteratorINSB_10device_ptrIjEEEENSD_INSE_IS6_EEEESI_S6_NSB_4plusIvEENSB_8equal_toIvEES6_EE10hipError_tPvRmT2_T3_T4_T5_mT6_T7_P12ihipStream_tbENKUlT_T0_E_clISt17integral_constantIbLb0EES13_EEDaSY_SZ_EUlSY_E_NS1_11comp_targetILNS1_3genE10ELNS1_11target_archE1200ELNS1_3gpuE4ELNS1_3repE0EEENS1_30default_config_static_selectorELNS0_4arch9wavefront6targetE0EEEvT1_,"axG",@progbits,_ZN7rocprim17ROCPRIM_400000_NS6detail17trampoline_kernelINS0_14default_configENS1_27scan_by_key_config_selectorIj11FixedVectorIiLj8EEEEZZNS1_16scan_by_key_implILNS1_25lookback_scan_determinismE0ELb0ES3_N6thrust23THRUST_200600_302600_NS6detail15normal_iteratorINSB_10device_ptrIjEEEENSD_INSE_IS6_EEEESI_S6_NSB_4plusIvEENSB_8equal_toIvEES6_EE10hipError_tPvRmT2_T3_T4_T5_mT6_T7_P12ihipStream_tbENKUlT_T0_E_clISt17integral_constantIbLb0EES13_EEDaSY_SZ_EUlSY_E_NS1_11comp_targetILNS1_3genE10ELNS1_11target_archE1200ELNS1_3gpuE4ELNS1_3repE0EEENS1_30default_config_static_selectorELNS0_4arch9wavefront6targetE0EEEvT1_,comdat
	.protected	_ZN7rocprim17ROCPRIM_400000_NS6detail17trampoline_kernelINS0_14default_configENS1_27scan_by_key_config_selectorIj11FixedVectorIiLj8EEEEZZNS1_16scan_by_key_implILNS1_25lookback_scan_determinismE0ELb0ES3_N6thrust23THRUST_200600_302600_NS6detail15normal_iteratorINSB_10device_ptrIjEEEENSD_INSE_IS6_EEEESI_S6_NSB_4plusIvEENSB_8equal_toIvEES6_EE10hipError_tPvRmT2_T3_T4_T5_mT6_T7_P12ihipStream_tbENKUlT_T0_E_clISt17integral_constantIbLb0EES13_EEDaSY_SZ_EUlSY_E_NS1_11comp_targetILNS1_3genE10ELNS1_11target_archE1200ELNS1_3gpuE4ELNS1_3repE0EEENS1_30default_config_static_selectorELNS0_4arch9wavefront6targetE0EEEvT1_ ; -- Begin function _ZN7rocprim17ROCPRIM_400000_NS6detail17trampoline_kernelINS0_14default_configENS1_27scan_by_key_config_selectorIj11FixedVectorIiLj8EEEEZZNS1_16scan_by_key_implILNS1_25lookback_scan_determinismE0ELb0ES3_N6thrust23THRUST_200600_302600_NS6detail15normal_iteratorINSB_10device_ptrIjEEEENSD_INSE_IS6_EEEESI_S6_NSB_4plusIvEENSB_8equal_toIvEES6_EE10hipError_tPvRmT2_T3_T4_T5_mT6_T7_P12ihipStream_tbENKUlT_T0_E_clISt17integral_constantIbLb0EES13_EEDaSY_SZ_EUlSY_E_NS1_11comp_targetILNS1_3genE10ELNS1_11target_archE1200ELNS1_3gpuE4ELNS1_3repE0EEENS1_30default_config_static_selectorELNS0_4arch9wavefront6targetE0EEEvT1_
	.globl	_ZN7rocprim17ROCPRIM_400000_NS6detail17trampoline_kernelINS0_14default_configENS1_27scan_by_key_config_selectorIj11FixedVectorIiLj8EEEEZZNS1_16scan_by_key_implILNS1_25lookback_scan_determinismE0ELb0ES3_N6thrust23THRUST_200600_302600_NS6detail15normal_iteratorINSB_10device_ptrIjEEEENSD_INSE_IS6_EEEESI_S6_NSB_4plusIvEENSB_8equal_toIvEES6_EE10hipError_tPvRmT2_T3_T4_T5_mT6_T7_P12ihipStream_tbENKUlT_T0_E_clISt17integral_constantIbLb0EES13_EEDaSY_SZ_EUlSY_E_NS1_11comp_targetILNS1_3genE10ELNS1_11target_archE1200ELNS1_3gpuE4ELNS1_3repE0EEENS1_30default_config_static_selectorELNS0_4arch9wavefront6targetE0EEEvT1_
	.p2align	8
	.type	_ZN7rocprim17ROCPRIM_400000_NS6detail17trampoline_kernelINS0_14default_configENS1_27scan_by_key_config_selectorIj11FixedVectorIiLj8EEEEZZNS1_16scan_by_key_implILNS1_25lookback_scan_determinismE0ELb0ES3_N6thrust23THRUST_200600_302600_NS6detail15normal_iteratorINSB_10device_ptrIjEEEENSD_INSE_IS6_EEEESI_S6_NSB_4plusIvEENSB_8equal_toIvEES6_EE10hipError_tPvRmT2_T3_T4_T5_mT6_T7_P12ihipStream_tbENKUlT_T0_E_clISt17integral_constantIbLb0EES13_EEDaSY_SZ_EUlSY_E_NS1_11comp_targetILNS1_3genE10ELNS1_11target_archE1200ELNS1_3gpuE4ELNS1_3repE0EEENS1_30default_config_static_selectorELNS0_4arch9wavefront6targetE0EEEvT1_,@function
_ZN7rocprim17ROCPRIM_400000_NS6detail17trampoline_kernelINS0_14default_configENS1_27scan_by_key_config_selectorIj11FixedVectorIiLj8EEEEZZNS1_16scan_by_key_implILNS1_25lookback_scan_determinismE0ELb0ES3_N6thrust23THRUST_200600_302600_NS6detail15normal_iteratorINSB_10device_ptrIjEEEENSD_INSE_IS6_EEEESI_S6_NSB_4plusIvEENSB_8equal_toIvEES6_EE10hipError_tPvRmT2_T3_T4_T5_mT6_T7_P12ihipStream_tbENKUlT_T0_E_clISt17integral_constantIbLb0EES13_EEDaSY_SZ_EUlSY_E_NS1_11comp_targetILNS1_3genE10ELNS1_11target_archE1200ELNS1_3gpuE4ELNS1_3repE0EEENS1_30default_config_static_selectorELNS0_4arch9wavefront6targetE0EEEvT1_: ; @_ZN7rocprim17ROCPRIM_400000_NS6detail17trampoline_kernelINS0_14default_configENS1_27scan_by_key_config_selectorIj11FixedVectorIiLj8EEEEZZNS1_16scan_by_key_implILNS1_25lookback_scan_determinismE0ELb0ES3_N6thrust23THRUST_200600_302600_NS6detail15normal_iteratorINSB_10device_ptrIjEEEENSD_INSE_IS6_EEEESI_S6_NSB_4plusIvEENSB_8equal_toIvEES6_EE10hipError_tPvRmT2_T3_T4_T5_mT6_T7_P12ihipStream_tbENKUlT_T0_E_clISt17integral_constantIbLb0EES13_EEDaSY_SZ_EUlSY_E_NS1_11comp_targetILNS1_3genE10ELNS1_11target_archE1200ELNS1_3gpuE4ELNS1_3repE0EEENS1_30default_config_static_selectorELNS0_4arch9wavefront6targetE0EEEvT1_
; %bb.0:
	.section	.rodata,"a",@progbits
	.p2align	6, 0x0
	.amdhsa_kernel _ZN7rocprim17ROCPRIM_400000_NS6detail17trampoline_kernelINS0_14default_configENS1_27scan_by_key_config_selectorIj11FixedVectorIiLj8EEEEZZNS1_16scan_by_key_implILNS1_25lookback_scan_determinismE0ELb0ES3_N6thrust23THRUST_200600_302600_NS6detail15normal_iteratorINSB_10device_ptrIjEEEENSD_INSE_IS6_EEEESI_S6_NSB_4plusIvEENSB_8equal_toIvEES6_EE10hipError_tPvRmT2_T3_T4_T5_mT6_T7_P12ihipStream_tbENKUlT_T0_E_clISt17integral_constantIbLb0EES13_EEDaSY_SZ_EUlSY_E_NS1_11comp_targetILNS1_3genE10ELNS1_11target_archE1200ELNS1_3gpuE4ELNS1_3repE0EEENS1_30default_config_static_selectorELNS0_4arch9wavefront6targetE0EEEvT1_
		.amdhsa_group_segment_fixed_size 0
		.amdhsa_private_segment_fixed_size 0
		.amdhsa_kernarg_size 160
		.amdhsa_user_sgpr_count 6
		.amdhsa_user_sgpr_private_segment_buffer 1
		.amdhsa_user_sgpr_dispatch_ptr 0
		.amdhsa_user_sgpr_queue_ptr 0
		.amdhsa_user_sgpr_kernarg_segment_ptr 1
		.amdhsa_user_sgpr_dispatch_id 0
		.amdhsa_user_sgpr_flat_scratch_init 0
		.amdhsa_user_sgpr_private_segment_size 0
		.amdhsa_wavefront_size32 1
		.amdhsa_uses_dynamic_stack 0
		.amdhsa_system_sgpr_private_segment_wavefront_offset 0
		.amdhsa_system_sgpr_workgroup_id_x 1
		.amdhsa_system_sgpr_workgroup_id_y 0
		.amdhsa_system_sgpr_workgroup_id_z 0
		.amdhsa_system_sgpr_workgroup_info 0
		.amdhsa_system_vgpr_workitem_id 0
		.amdhsa_next_free_vgpr 1
		.amdhsa_next_free_sgpr 1
		.amdhsa_reserve_vcc 0
		.amdhsa_reserve_flat_scratch 0
		.amdhsa_float_round_mode_32 0
		.amdhsa_float_round_mode_16_64 0
		.amdhsa_float_denorm_mode_32 3
		.amdhsa_float_denorm_mode_16_64 3
		.amdhsa_dx10_clamp 1
		.amdhsa_ieee_mode 1
		.amdhsa_fp16_overflow 0
		.amdhsa_workgroup_processor_mode 1
		.amdhsa_memory_ordered 1
		.amdhsa_forward_progress 1
		.amdhsa_shared_vgpr_count 0
		.amdhsa_exception_fp_ieee_invalid_op 0
		.amdhsa_exception_fp_denorm_src 0
		.amdhsa_exception_fp_ieee_div_zero 0
		.amdhsa_exception_fp_ieee_overflow 0
		.amdhsa_exception_fp_ieee_underflow 0
		.amdhsa_exception_fp_ieee_inexact 0
		.amdhsa_exception_int_div_zero 0
	.end_amdhsa_kernel
	.section	.text._ZN7rocprim17ROCPRIM_400000_NS6detail17trampoline_kernelINS0_14default_configENS1_27scan_by_key_config_selectorIj11FixedVectorIiLj8EEEEZZNS1_16scan_by_key_implILNS1_25lookback_scan_determinismE0ELb0ES3_N6thrust23THRUST_200600_302600_NS6detail15normal_iteratorINSB_10device_ptrIjEEEENSD_INSE_IS6_EEEESI_S6_NSB_4plusIvEENSB_8equal_toIvEES6_EE10hipError_tPvRmT2_T3_T4_T5_mT6_T7_P12ihipStream_tbENKUlT_T0_E_clISt17integral_constantIbLb0EES13_EEDaSY_SZ_EUlSY_E_NS1_11comp_targetILNS1_3genE10ELNS1_11target_archE1200ELNS1_3gpuE4ELNS1_3repE0EEENS1_30default_config_static_selectorELNS0_4arch9wavefront6targetE0EEEvT1_,"axG",@progbits,_ZN7rocprim17ROCPRIM_400000_NS6detail17trampoline_kernelINS0_14default_configENS1_27scan_by_key_config_selectorIj11FixedVectorIiLj8EEEEZZNS1_16scan_by_key_implILNS1_25lookback_scan_determinismE0ELb0ES3_N6thrust23THRUST_200600_302600_NS6detail15normal_iteratorINSB_10device_ptrIjEEEENSD_INSE_IS6_EEEESI_S6_NSB_4plusIvEENSB_8equal_toIvEES6_EE10hipError_tPvRmT2_T3_T4_T5_mT6_T7_P12ihipStream_tbENKUlT_T0_E_clISt17integral_constantIbLb0EES13_EEDaSY_SZ_EUlSY_E_NS1_11comp_targetILNS1_3genE10ELNS1_11target_archE1200ELNS1_3gpuE4ELNS1_3repE0EEENS1_30default_config_static_selectorELNS0_4arch9wavefront6targetE0EEEvT1_,comdat
.Lfunc_end2121:
	.size	_ZN7rocprim17ROCPRIM_400000_NS6detail17trampoline_kernelINS0_14default_configENS1_27scan_by_key_config_selectorIj11FixedVectorIiLj8EEEEZZNS1_16scan_by_key_implILNS1_25lookback_scan_determinismE0ELb0ES3_N6thrust23THRUST_200600_302600_NS6detail15normal_iteratorINSB_10device_ptrIjEEEENSD_INSE_IS6_EEEESI_S6_NSB_4plusIvEENSB_8equal_toIvEES6_EE10hipError_tPvRmT2_T3_T4_T5_mT6_T7_P12ihipStream_tbENKUlT_T0_E_clISt17integral_constantIbLb0EES13_EEDaSY_SZ_EUlSY_E_NS1_11comp_targetILNS1_3genE10ELNS1_11target_archE1200ELNS1_3gpuE4ELNS1_3repE0EEENS1_30default_config_static_selectorELNS0_4arch9wavefront6targetE0EEEvT1_, .Lfunc_end2121-_ZN7rocprim17ROCPRIM_400000_NS6detail17trampoline_kernelINS0_14default_configENS1_27scan_by_key_config_selectorIj11FixedVectorIiLj8EEEEZZNS1_16scan_by_key_implILNS1_25lookback_scan_determinismE0ELb0ES3_N6thrust23THRUST_200600_302600_NS6detail15normal_iteratorINSB_10device_ptrIjEEEENSD_INSE_IS6_EEEESI_S6_NSB_4plusIvEENSB_8equal_toIvEES6_EE10hipError_tPvRmT2_T3_T4_T5_mT6_T7_P12ihipStream_tbENKUlT_T0_E_clISt17integral_constantIbLb0EES13_EEDaSY_SZ_EUlSY_E_NS1_11comp_targetILNS1_3genE10ELNS1_11target_archE1200ELNS1_3gpuE4ELNS1_3repE0EEENS1_30default_config_static_selectorELNS0_4arch9wavefront6targetE0EEEvT1_
                                        ; -- End function
	.set _ZN7rocprim17ROCPRIM_400000_NS6detail17trampoline_kernelINS0_14default_configENS1_27scan_by_key_config_selectorIj11FixedVectorIiLj8EEEEZZNS1_16scan_by_key_implILNS1_25lookback_scan_determinismE0ELb0ES3_N6thrust23THRUST_200600_302600_NS6detail15normal_iteratorINSB_10device_ptrIjEEEENSD_INSE_IS6_EEEESI_S6_NSB_4plusIvEENSB_8equal_toIvEES6_EE10hipError_tPvRmT2_T3_T4_T5_mT6_T7_P12ihipStream_tbENKUlT_T0_E_clISt17integral_constantIbLb0EES13_EEDaSY_SZ_EUlSY_E_NS1_11comp_targetILNS1_3genE10ELNS1_11target_archE1200ELNS1_3gpuE4ELNS1_3repE0EEENS1_30default_config_static_selectorELNS0_4arch9wavefront6targetE0EEEvT1_.num_vgpr, 0
	.set _ZN7rocprim17ROCPRIM_400000_NS6detail17trampoline_kernelINS0_14default_configENS1_27scan_by_key_config_selectorIj11FixedVectorIiLj8EEEEZZNS1_16scan_by_key_implILNS1_25lookback_scan_determinismE0ELb0ES3_N6thrust23THRUST_200600_302600_NS6detail15normal_iteratorINSB_10device_ptrIjEEEENSD_INSE_IS6_EEEESI_S6_NSB_4plusIvEENSB_8equal_toIvEES6_EE10hipError_tPvRmT2_T3_T4_T5_mT6_T7_P12ihipStream_tbENKUlT_T0_E_clISt17integral_constantIbLb0EES13_EEDaSY_SZ_EUlSY_E_NS1_11comp_targetILNS1_3genE10ELNS1_11target_archE1200ELNS1_3gpuE4ELNS1_3repE0EEENS1_30default_config_static_selectorELNS0_4arch9wavefront6targetE0EEEvT1_.num_agpr, 0
	.set _ZN7rocprim17ROCPRIM_400000_NS6detail17trampoline_kernelINS0_14default_configENS1_27scan_by_key_config_selectorIj11FixedVectorIiLj8EEEEZZNS1_16scan_by_key_implILNS1_25lookback_scan_determinismE0ELb0ES3_N6thrust23THRUST_200600_302600_NS6detail15normal_iteratorINSB_10device_ptrIjEEEENSD_INSE_IS6_EEEESI_S6_NSB_4plusIvEENSB_8equal_toIvEES6_EE10hipError_tPvRmT2_T3_T4_T5_mT6_T7_P12ihipStream_tbENKUlT_T0_E_clISt17integral_constantIbLb0EES13_EEDaSY_SZ_EUlSY_E_NS1_11comp_targetILNS1_3genE10ELNS1_11target_archE1200ELNS1_3gpuE4ELNS1_3repE0EEENS1_30default_config_static_selectorELNS0_4arch9wavefront6targetE0EEEvT1_.numbered_sgpr, 0
	.set _ZN7rocprim17ROCPRIM_400000_NS6detail17trampoline_kernelINS0_14default_configENS1_27scan_by_key_config_selectorIj11FixedVectorIiLj8EEEEZZNS1_16scan_by_key_implILNS1_25lookback_scan_determinismE0ELb0ES3_N6thrust23THRUST_200600_302600_NS6detail15normal_iteratorINSB_10device_ptrIjEEEENSD_INSE_IS6_EEEESI_S6_NSB_4plusIvEENSB_8equal_toIvEES6_EE10hipError_tPvRmT2_T3_T4_T5_mT6_T7_P12ihipStream_tbENKUlT_T0_E_clISt17integral_constantIbLb0EES13_EEDaSY_SZ_EUlSY_E_NS1_11comp_targetILNS1_3genE10ELNS1_11target_archE1200ELNS1_3gpuE4ELNS1_3repE0EEENS1_30default_config_static_selectorELNS0_4arch9wavefront6targetE0EEEvT1_.num_named_barrier, 0
	.set _ZN7rocprim17ROCPRIM_400000_NS6detail17trampoline_kernelINS0_14default_configENS1_27scan_by_key_config_selectorIj11FixedVectorIiLj8EEEEZZNS1_16scan_by_key_implILNS1_25lookback_scan_determinismE0ELb0ES3_N6thrust23THRUST_200600_302600_NS6detail15normal_iteratorINSB_10device_ptrIjEEEENSD_INSE_IS6_EEEESI_S6_NSB_4plusIvEENSB_8equal_toIvEES6_EE10hipError_tPvRmT2_T3_T4_T5_mT6_T7_P12ihipStream_tbENKUlT_T0_E_clISt17integral_constantIbLb0EES13_EEDaSY_SZ_EUlSY_E_NS1_11comp_targetILNS1_3genE10ELNS1_11target_archE1200ELNS1_3gpuE4ELNS1_3repE0EEENS1_30default_config_static_selectorELNS0_4arch9wavefront6targetE0EEEvT1_.private_seg_size, 0
	.set _ZN7rocprim17ROCPRIM_400000_NS6detail17trampoline_kernelINS0_14default_configENS1_27scan_by_key_config_selectorIj11FixedVectorIiLj8EEEEZZNS1_16scan_by_key_implILNS1_25lookback_scan_determinismE0ELb0ES3_N6thrust23THRUST_200600_302600_NS6detail15normal_iteratorINSB_10device_ptrIjEEEENSD_INSE_IS6_EEEESI_S6_NSB_4plusIvEENSB_8equal_toIvEES6_EE10hipError_tPvRmT2_T3_T4_T5_mT6_T7_P12ihipStream_tbENKUlT_T0_E_clISt17integral_constantIbLb0EES13_EEDaSY_SZ_EUlSY_E_NS1_11comp_targetILNS1_3genE10ELNS1_11target_archE1200ELNS1_3gpuE4ELNS1_3repE0EEENS1_30default_config_static_selectorELNS0_4arch9wavefront6targetE0EEEvT1_.uses_vcc, 0
	.set _ZN7rocprim17ROCPRIM_400000_NS6detail17trampoline_kernelINS0_14default_configENS1_27scan_by_key_config_selectorIj11FixedVectorIiLj8EEEEZZNS1_16scan_by_key_implILNS1_25lookback_scan_determinismE0ELb0ES3_N6thrust23THRUST_200600_302600_NS6detail15normal_iteratorINSB_10device_ptrIjEEEENSD_INSE_IS6_EEEESI_S6_NSB_4plusIvEENSB_8equal_toIvEES6_EE10hipError_tPvRmT2_T3_T4_T5_mT6_T7_P12ihipStream_tbENKUlT_T0_E_clISt17integral_constantIbLb0EES13_EEDaSY_SZ_EUlSY_E_NS1_11comp_targetILNS1_3genE10ELNS1_11target_archE1200ELNS1_3gpuE4ELNS1_3repE0EEENS1_30default_config_static_selectorELNS0_4arch9wavefront6targetE0EEEvT1_.uses_flat_scratch, 0
	.set _ZN7rocprim17ROCPRIM_400000_NS6detail17trampoline_kernelINS0_14default_configENS1_27scan_by_key_config_selectorIj11FixedVectorIiLj8EEEEZZNS1_16scan_by_key_implILNS1_25lookback_scan_determinismE0ELb0ES3_N6thrust23THRUST_200600_302600_NS6detail15normal_iteratorINSB_10device_ptrIjEEEENSD_INSE_IS6_EEEESI_S6_NSB_4plusIvEENSB_8equal_toIvEES6_EE10hipError_tPvRmT2_T3_T4_T5_mT6_T7_P12ihipStream_tbENKUlT_T0_E_clISt17integral_constantIbLb0EES13_EEDaSY_SZ_EUlSY_E_NS1_11comp_targetILNS1_3genE10ELNS1_11target_archE1200ELNS1_3gpuE4ELNS1_3repE0EEENS1_30default_config_static_selectorELNS0_4arch9wavefront6targetE0EEEvT1_.has_dyn_sized_stack, 0
	.set _ZN7rocprim17ROCPRIM_400000_NS6detail17trampoline_kernelINS0_14default_configENS1_27scan_by_key_config_selectorIj11FixedVectorIiLj8EEEEZZNS1_16scan_by_key_implILNS1_25lookback_scan_determinismE0ELb0ES3_N6thrust23THRUST_200600_302600_NS6detail15normal_iteratorINSB_10device_ptrIjEEEENSD_INSE_IS6_EEEESI_S6_NSB_4plusIvEENSB_8equal_toIvEES6_EE10hipError_tPvRmT2_T3_T4_T5_mT6_T7_P12ihipStream_tbENKUlT_T0_E_clISt17integral_constantIbLb0EES13_EEDaSY_SZ_EUlSY_E_NS1_11comp_targetILNS1_3genE10ELNS1_11target_archE1200ELNS1_3gpuE4ELNS1_3repE0EEENS1_30default_config_static_selectorELNS0_4arch9wavefront6targetE0EEEvT1_.has_recursion, 0
	.set _ZN7rocprim17ROCPRIM_400000_NS6detail17trampoline_kernelINS0_14default_configENS1_27scan_by_key_config_selectorIj11FixedVectorIiLj8EEEEZZNS1_16scan_by_key_implILNS1_25lookback_scan_determinismE0ELb0ES3_N6thrust23THRUST_200600_302600_NS6detail15normal_iteratorINSB_10device_ptrIjEEEENSD_INSE_IS6_EEEESI_S6_NSB_4plusIvEENSB_8equal_toIvEES6_EE10hipError_tPvRmT2_T3_T4_T5_mT6_T7_P12ihipStream_tbENKUlT_T0_E_clISt17integral_constantIbLb0EES13_EEDaSY_SZ_EUlSY_E_NS1_11comp_targetILNS1_3genE10ELNS1_11target_archE1200ELNS1_3gpuE4ELNS1_3repE0EEENS1_30default_config_static_selectorELNS0_4arch9wavefront6targetE0EEEvT1_.has_indirect_call, 0
	.section	.AMDGPU.csdata,"",@progbits
; Kernel info:
; codeLenInByte = 0
; TotalNumSgprs: 0
; NumVgprs: 0
; ScratchSize: 0
; MemoryBound: 0
; FloatMode: 240
; IeeeMode: 1
; LDSByteSize: 0 bytes/workgroup (compile time only)
; SGPRBlocks: 0
; VGPRBlocks: 0
; NumSGPRsForWavesPerEU: 1
; NumVGPRsForWavesPerEU: 1
; Occupancy: 16
; WaveLimiterHint : 0
; COMPUTE_PGM_RSRC2:SCRATCH_EN: 0
; COMPUTE_PGM_RSRC2:USER_SGPR: 6
; COMPUTE_PGM_RSRC2:TRAP_HANDLER: 0
; COMPUTE_PGM_RSRC2:TGID_X_EN: 1
; COMPUTE_PGM_RSRC2:TGID_Y_EN: 0
; COMPUTE_PGM_RSRC2:TGID_Z_EN: 0
; COMPUTE_PGM_RSRC2:TIDIG_COMP_CNT: 0
	.section	.text._ZN7rocprim17ROCPRIM_400000_NS6detail17trampoline_kernelINS0_14default_configENS1_27scan_by_key_config_selectorIj11FixedVectorIiLj8EEEEZZNS1_16scan_by_key_implILNS1_25lookback_scan_determinismE0ELb0ES3_N6thrust23THRUST_200600_302600_NS6detail15normal_iteratorINSB_10device_ptrIjEEEENSD_INSE_IS6_EEEESI_S6_NSB_4plusIvEENSB_8equal_toIvEES6_EE10hipError_tPvRmT2_T3_T4_T5_mT6_T7_P12ihipStream_tbENKUlT_T0_E_clISt17integral_constantIbLb0EES13_EEDaSY_SZ_EUlSY_E_NS1_11comp_targetILNS1_3genE9ELNS1_11target_archE1100ELNS1_3gpuE3ELNS1_3repE0EEENS1_30default_config_static_selectorELNS0_4arch9wavefront6targetE0EEEvT1_,"axG",@progbits,_ZN7rocprim17ROCPRIM_400000_NS6detail17trampoline_kernelINS0_14default_configENS1_27scan_by_key_config_selectorIj11FixedVectorIiLj8EEEEZZNS1_16scan_by_key_implILNS1_25lookback_scan_determinismE0ELb0ES3_N6thrust23THRUST_200600_302600_NS6detail15normal_iteratorINSB_10device_ptrIjEEEENSD_INSE_IS6_EEEESI_S6_NSB_4plusIvEENSB_8equal_toIvEES6_EE10hipError_tPvRmT2_T3_T4_T5_mT6_T7_P12ihipStream_tbENKUlT_T0_E_clISt17integral_constantIbLb0EES13_EEDaSY_SZ_EUlSY_E_NS1_11comp_targetILNS1_3genE9ELNS1_11target_archE1100ELNS1_3gpuE3ELNS1_3repE0EEENS1_30default_config_static_selectorELNS0_4arch9wavefront6targetE0EEEvT1_,comdat
	.protected	_ZN7rocprim17ROCPRIM_400000_NS6detail17trampoline_kernelINS0_14default_configENS1_27scan_by_key_config_selectorIj11FixedVectorIiLj8EEEEZZNS1_16scan_by_key_implILNS1_25lookback_scan_determinismE0ELb0ES3_N6thrust23THRUST_200600_302600_NS6detail15normal_iteratorINSB_10device_ptrIjEEEENSD_INSE_IS6_EEEESI_S6_NSB_4plusIvEENSB_8equal_toIvEES6_EE10hipError_tPvRmT2_T3_T4_T5_mT6_T7_P12ihipStream_tbENKUlT_T0_E_clISt17integral_constantIbLb0EES13_EEDaSY_SZ_EUlSY_E_NS1_11comp_targetILNS1_3genE9ELNS1_11target_archE1100ELNS1_3gpuE3ELNS1_3repE0EEENS1_30default_config_static_selectorELNS0_4arch9wavefront6targetE0EEEvT1_ ; -- Begin function _ZN7rocprim17ROCPRIM_400000_NS6detail17trampoline_kernelINS0_14default_configENS1_27scan_by_key_config_selectorIj11FixedVectorIiLj8EEEEZZNS1_16scan_by_key_implILNS1_25lookback_scan_determinismE0ELb0ES3_N6thrust23THRUST_200600_302600_NS6detail15normal_iteratorINSB_10device_ptrIjEEEENSD_INSE_IS6_EEEESI_S6_NSB_4plusIvEENSB_8equal_toIvEES6_EE10hipError_tPvRmT2_T3_T4_T5_mT6_T7_P12ihipStream_tbENKUlT_T0_E_clISt17integral_constantIbLb0EES13_EEDaSY_SZ_EUlSY_E_NS1_11comp_targetILNS1_3genE9ELNS1_11target_archE1100ELNS1_3gpuE3ELNS1_3repE0EEENS1_30default_config_static_selectorELNS0_4arch9wavefront6targetE0EEEvT1_
	.globl	_ZN7rocprim17ROCPRIM_400000_NS6detail17trampoline_kernelINS0_14default_configENS1_27scan_by_key_config_selectorIj11FixedVectorIiLj8EEEEZZNS1_16scan_by_key_implILNS1_25lookback_scan_determinismE0ELb0ES3_N6thrust23THRUST_200600_302600_NS6detail15normal_iteratorINSB_10device_ptrIjEEEENSD_INSE_IS6_EEEESI_S6_NSB_4plusIvEENSB_8equal_toIvEES6_EE10hipError_tPvRmT2_T3_T4_T5_mT6_T7_P12ihipStream_tbENKUlT_T0_E_clISt17integral_constantIbLb0EES13_EEDaSY_SZ_EUlSY_E_NS1_11comp_targetILNS1_3genE9ELNS1_11target_archE1100ELNS1_3gpuE3ELNS1_3repE0EEENS1_30default_config_static_selectorELNS0_4arch9wavefront6targetE0EEEvT1_
	.p2align	8
	.type	_ZN7rocprim17ROCPRIM_400000_NS6detail17trampoline_kernelINS0_14default_configENS1_27scan_by_key_config_selectorIj11FixedVectorIiLj8EEEEZZNS1_16scan_by_key_implILNS1_25lookback_scan_determinismE0ELb0ES3_N6thrust23THRUST_200600_302600_NS6detail15normal_iteratorINSB_10device_ptrIjEEEENSD_INSE_IS6_EEEESI_S6_NSB_4plusIvEENSB_8equal_toIvEES6_EE10hipError_tPvRmT2_T3_T4_T5_mT6_T7_P12ihipStream_tbENKUlT_T0_E_clISt17integral_constantIbLb0EES13_EEDaSY_SZ_EUlSY_E_NS1_11comp_targetILNS1_3genE9ELNS1_11target_archE1100ELNS1_3gpuE3ELNS1_3repE0EEENS1_30default_config_static_selectorELNS0_4arch9wavefront6targetE0EEEvT1_,@function
_ZN7rocprim17ROCPRIM_400000_NS6detail17trampoline_kernelINS0_14default_configENS1_27scan_by_key_config_selectorIj11FixedVectorIiLj8EEEEZZNS1_16scan_by_key_implILNS1_25lookback_scan_determinismE0ELb0ES3_N6thrust23THRUST_200600_302600_NS6detail15normal_iteratorINSB_10device_ptrIjEEEENSD_INSE_IS6_EEEESI_S6_NSB_4plusIvEENSB_8equal_toIvEES6_EE10hipError_tPvRmT2_T3_T4_T5_mT6_T7_P12ihipStream_tbENKUlT_T0_E_clISt17integral_constantIbLb0EES13_EEDaSY_SZ_EUlSY_E_NS1_11comp_targetILNS1_3genE9ELNS1_11target_archE1100ELNS1_3gpuE3ELNS1_3repE0EEENS1_30default_config_static_selectorELNS0_4arch9wavefront6targetE0EEEvT1_: ; @_ZN7rocprim17ROCPRIM_400000_NS6detail17trampoline_kernelINS0_14default_configENS1_27scan_by_key_config_selectorIj11FixedVectorIiLj8EEEEZZNS1_16scan_by_key_implILNS1_25lookback_scan_determinismE0ELb0ES3_N6thrust23THRUST_200600_302600_NS6detail15normal_iteratorINSB_10device_ptrIjEEEENSD_INSE_IS6_EEEESI_S6_NSB_4plusIvEENSB_8equal_toIvEES6_EE10hipError_tPvRmT2_T3_T4_T5_mT6_T7_P12ihipStream_tbENKUlT_T0_E_clISt17integral_constantIbLb0EES13_EEDaSY_SZ_EUlSY_E_NS1_11comp_targetILNS1_3genE9ELNS1_11target_archE1100ELNS1_3gpuE3ELNS1_3repE0EEENS1_30default_config_static_selectorELNS0_4arch9wavefront6targetE0EEEvT1_
; %bb.0:
	.section	.rodata,"a",@progbits
	.p2align	6, 0x0
	.amdhsa_kernel _ZN7rocprim17ROCPRIM_400000_NS6detail17trampoline_kernelINS0_14default_configENS1_27scan_by_key_config_selectorIj11FixedVectorIiLj8EEEEZZNS1_16scan_by_key_implILNS1_25lookback_scan_determinismE0ELb0ES3_N6thrust23THRUST_200600_302600_NS6detail15normal_iteratorINSB_10device_ptrIjEEEENSD_INSE_IS6_EEEESI_S6_NSB_4plusIvEENSB_8equal_toIvEES6_EE10hipError_tPvRmT2_T3_T4_T5_mT6_T7_P12ihipStream_tbENKUlT_T0_E_clISt17integral_constantIbLb0EES13_EEDaSY_SZ_EUlSY_E_NS1_11comp_targetILNS1_3genE9ELNS1_11target_archE1100ELNS1_3gpuE3ELNS1_3repE0EEENS1_30default_config_static_selectorELNS0_4arch9wavefront6targetE0EEEvT1_
		.amdhsa_group_segment_fixed_size 0
		.amdhsa_private_segment_fixed_size 0
		.amdhsa_kernarg_size 160
		.amdhsa_user_sgpr_count 6
		.amdhsa_user_sgpr_private_segment_buffer 1
		.amdhsa_user_sgpr_dispatch_ptr 0
		.amdhsa_user_sgpr_queue_ptr 0
		.amdhsa_user_sgpr_kernarg_segment_ptr 1
		.amdhsa_user_sgpr_dispatch_id 0
		.amdhsa_user_sgpr_flat_scratch_init 0
		.amdhsa_user_sgpr_private_segment_size 0
		.amdhsa_wavefront_size32 1
		.amdhsa_uses_dynamic_stack 0
		.amdhsa_system_sgpr_private_segment_wavefront_offset 0
		.amdhsa_system_sgpr_workgroup_id_x 1
		.amdhsa_system_sgpr_workgroup_id_y 0
		.amdhsa_system_sgpr_workgroup_id_z 0
		.amdhsa_system_sgpr_workgroup_info 0
		.amdhsa_system_vgpr_workitem_id 0
		.amdhsa_next_free_vgpr 1
		.amdhsa_next_free_sgpr 1
		.amdhsa_reserve_vcc 0
		.amdhsa_reserve_flat_scratch 0
		.amdhsa_float_round_mode_32 0
		.amdhsa_float_round_mode_16_64 0
		.amdhsa_float_denorm_mode_32 3
		.amdhsa_float_denorm_mode_16_64 3
		.amdhsa_dx10_clamp 1
		.amdhsa_ieee_mode 1
		.amdhsa_fp16_overflow 0
		.amdhsa_workgroup_processor_mode 1
		.amdhsa_memory_ordered 1
		.amdhsa_forward_progress 1
		.amdhsa_shared_vgpr_count 0
		.amdhsa_exception_fp_ieee_invalid_op 0
		.amdhsa_exception_fp_denorm_src 0
		.amdhsa_exception_fp_ieee_div_zero 0
		.amdhsa_exception_fp_ieee_overflow 0
		.amdhsa_exception_fp_ieee_underflow 0
		.amdhsa_exception_fp_ieee_inexact 0
		.amdhsa_exception_int_div_zero 0
	.end_amdhsa_kernel
	.section	.text._ZN7rocprim17ROCPRIM_400000_NS6detail17trampoline_kernelINS0_14default_configENS1_27scan_by_key_config_selectorIj11FixedVectorIiLj8EEEEZZNS1_16scan_by_key_implILNS1_25lookback_scan_determinismE0ELb0ES3_N6thrust23THRUST_200600_302600_NS6detail15normal_iteratorINSB_10device_ptrIjEEEENSD_INSE_IS6_EEEESI_S6_NSB_4plusIvEENSB_8equal_toIvEES6_EE10hipError_tPvRmT2_T3_T4_T5_mT6_T7_P12ihipStream_tbENKUlT_T0_E_clISt17integral_constantIbLb0EES13_EEDaSY_SZ_EUlSY_E_NS1_11comp_targetILNS1_3genE9ELNS1_11target_archE1100ELNS1_3gpuE3ELNS1_3repE0EEENS1_30default_config_static_selectorELNS0_4arch9wavefront6targetE0EEEvT1_,"axG",@progbits,_ZN7rocprim17ROCPRIM_400000_NS6detail17trampoline_kernelINS0_14default_configENS1_27scan_by_key_config_selectorIj11FixedVectorIiLj8EEEEZZNS1_16scan_by_key_implILNS1_25lookback_scan_determinismE0ELb0ES3_N6thrust23THRUST_200600_302600_NS6detail15normal_iteratorINSB_10device_ptrIjEEEENSD_INSE_IS6_EEEESI_S6_NSB_4plusIvEENSB_8equal_toIvEES6_EE10hipError_tPvRmT2_T3_T4_T5_mT6_T7_P12ihipStream_tbENKUlT_T0_E_clISt17integral_constantIbLb0EES13_EEDaSY_SZ_EUlSY_E_NS1_11comp_targetILNS1_3genE9ELNS1_11target_archE1100ELNS1_3gpuE3ELNS1_3repE0EEENS1_30default_config_static_selectorELNS0_4arch9wavefront6targetE0EEEvT1_,comdat
.Lfunc_end2122:
	.size	_ZN7rocprim17ROCPRIM_400000_NS6detail17trampoline_kernelINS0_14default_configENS1_27scan_by_key_config_selectorIj11FixedVectorIiLj8EEEEZZNS1_16scan_by_key_implILNS1_25lookback_scan_determinismE0ELb0ES3_N6thrust23THRUST_200600_302600_NS6detail15normal_iteratorINSB_10device_ptrIjEEEENSD_INSE_IS6_EEEESI_S6_NSB_4plusIvEENSB_8equal_toIvEES6_EE10hipError_tPvRmT2_T3_T4_T5_mT6_T7_P12ihipStream_tbENKUlT_T0_E_clISt17integral_constantIbLb0EES13_EEDaSY_SZ_EUlSY_E_NS1_11comp_targetILNS1_3genE9ELNS1_11target_archE1100ELNS1_3gpuE3ELNS1_3repE0EEENS1_30default_config_static_selectorELNS0_4arch9wavefront6targetE0EEEvT1_, .Lfunc_end2122-_ZN7rocprim17ROCPRIM_400000_NS6detail17trampoline_kernelINS0_14default_configENS1_27scan_by_key_config_selectorIj11FixedVectorIiLj8EEEEZZNS1_16scan_by_key_implILNS1_25lookback_scan_determinismE0ELb0ES3_N6thrust23THRUST_200600_302600_NS6detail15normal_iteratorINSB_10device_ptrIjEEEENSD_INSE_IS6_EEEESI_S6_NSB_4plusIvEENSB_8equal_toIvEES6_EE10hipError_tPvRmT2_T3_T4_T5_mT6_T7_P12ihipStream_tbENKUlT_T0_E_clISt17integral_constantIbLb0EES13_EEDaSY_SZ_EUlSY_E_NS1_11comp_targetILNS1_3genE9ELNS1_11target_archE1100ELNS1_3gpuE3ELNS1_3repE0EEENS1_30default_config_static_selectorELNS0_4arch9wavefront6targetE0EEEvT1_
                                        ; -- End function
	.set _ZN7rocprim17ROCPRIM_400000_NS6detail17trampoline_kernelINS0_14default_configENS1_27scan_by_key_config_selectorIj11FixedVectorIiLj8EEEEZZNS1_16scan_by_key_implILNS1_25lookback_scan_determinismE0ELb0ES3_N6thrust23THRUST_200600_302600_NS6detail15normal_iteratorINSB_10device_ptrIjEEEENSD_INSE_IS6_EEEESI_S6_NSB_4plusIvEENSB_8equal_toIvEES6_EE10hipError_tPvRmT2_T3_T4_T5_mT6_T7_P12ihipStream_tbENKUlT_T0_E_clISt17integral_constantIbLb0EES13_EEDaSY_SZ_EUlSY_E_NS1_11comp_targetILNS1_3genE9ELNS1_11target_archE1100ELNS1_3gpuE3ELNS1_3repE0EEENS1_30default_config_static_selectorELNS0_4arch9wavefront6targetE0EEEvT1_.num_vgpr, 0
	.set _ZN7rocprim17ROCPRIM_400000_NS6detail17trampoline_kernelINS0_14default_configENS1_27scan_by_key_config_selectorIj11FixedVectorIiLj8EEEEZZNS1_16scan_by_key_implILNS1_25lookback_scan_determinismE0ELb0ES3_N6thrust23THRUST_200600_302600_NS6detail15normal_iteratorINSB_10device_ptrIjEEEENSD_INSE_IS6_EEEESI_S6_NSB_4plusIvEENSB_8equal_toIvEES6_EE10hipError_tPvRmT2_T3_T4_T5_mT6_T7_P12ihipStream_tbENKUlT_T0_E_clISt17integral_constantIbLb0EES13_EEDaSY_SZ_EUlSY_E_NS1_11comp_targetILNS1_3genE9ELNS1_11target_archE1100ELNS1_3gpuE3ELNS1_3repE0EEENS1_30default_config_static_selectorELNS0_4arch9wavefront6targetE0EEEvT1_.num_agpr, 0
	.set _ZN7rocprim17ROCPRIM_400000_NS6detail17trampoline_kernelINS0_14default_configENS1_27scan_by_key_config_selectorIj11FixedVectorIiLj8EEEEZZNS1_16scan_by_key_implILNS1_25lookback_scan_determinismE0ELb0ES3_N6thrust23THRUST_200600_302600_NS6detail15normal_iteratorINSB_10device_ptrIjEEEENSD_INSE_IS6_EEEESI_S6_NSB_4plusIvEENSB_8equal_toIvEES6_EE10hipError_tPvRmT2_T3_T4_T5_mT6_T7_P12ihipStream_tbENKUlT_T0_E_clISt17integral_constantIbLb0EES13_EEDaSY_SZ_EUlSY_E_NS1_11comp_targetILNS1_3genE9ELNS1_11target_archE1100ELNS1_3gpuE3ELNS1_3repE0EEENS1_30default_config_static_selectorELNS0_4arch9wavefront6targetE0EEEvT1_.numbered_sgpr, 0
	.set _ZN7rocprim17ROCPRIM_400000_NS6detail17trampoline_kernelINS0_14default_configENS1_27scan_by_key_config_selectorIj11FixedVectorIiLj8EEEEZZNS1_16scan_by_key_implILNS1_25lookback_scan_determinismE0ELb0ES3_N6thrust23THRUST_200600_302600_NS6detail15normal_iteratorINSB_10device_ptrIjEEEENSD_INSE_IS6_EEEESI_S6_NSB_4plusIvEENSB_8equal_toIvEES6_EE10hipError_tPvRmT2_T3_T4_T5_mT6_T7_P12ihipStream_tbENKUlT_T0_E_clISt17integral_constantIbLb0EES13_EEDaSY_SZ_EUlSY_E_NS1_11comp_targetILNS1_3genE9ELNS1_11target_archE1100ELNS1_3gpuE3ELNS1_3repE0EEENS1_30default_config_static_selectorELNS0_4arch9wavefront6targetE0EEEvT1_.num_named_barrier, 0
	.set _ZN7rocprim17ROCPRIM_400000_NS6detail17trampoline_kernelINS0_14default_configENS1_27scan_by_key_config_selectorIj11FixedVectorIiLj8EEEEZZNS1_16scan_by_key_implILNS1_25lookback_scan_determinismE0ELb0ES3_N6thrust23THRUST_200600_302600_NS6detail15normal_iteratorINSB_10device_ptrIjEEEENSD_INSE_IS6_EEEESI_S6_NSB_4plusIvEENSB_8equal_toIvEES6_EE10hipError_tPvRmT2_T3_T4_T5_mT6_T7_P12ihipStream_tbENKUlT_T0_E_clISt17integral_constantIbLb0EES13_EEDaSY_SZ_EUlSY_E_NS1_11comp_targetILNS1_3genE9ELNS1_11target_archE1100ELNS1_3gpuE3ELNS1_3repE0EEENS1_30default_config_static_selectorELNS0_4arch9wavefront6targetE0EEEvT1_.private_seg_size, 0
	.set _ZN7rocprim17ROCPRIM_400000_NS6detail17trampoline_kernelINS0_14default_configENS1_27scan_by_key_config_selectorIj11FixedVectorIiLj8EEEEZZNS1_16scan_by_key_implILNS1_25lookback_scan_determinismE0ELb0ES3_N6thrust23THRUST_200600_302600_NS6detail15normal_iteratorINSB_10device_ptrIjEEEENSD_INSE_IS6_EEEESI_S6_NSB_4plusIvEENSB_8equal_toIvEES6_EE10hipError_tPvRmT2_T3_T4_T5_mT6_T7_P12ihipStream_tbENKUlT_T0_E_clISt17integral_constantIbLb0EES13_EEDaSY_SZ_EUlSY_E_NS1_11comp_targetILNS1_3genE9ELNS1_11target_archE1100ELNS1_3gpuE3ELNS1_3repE0EEENS1_30default_config_static_selectorELNS0_4arch9wavefront6targetE0EEEvT1_.uses_vcc, 0
	.set _ZN7rocprim17ROCPRIM_400000_NS6detail17trampoline_kernelINS0_14default_configENS1_27scan_by_key_config_selectorIj11FixedVectorIiLj8EEEEZZNS1_16scan_by_key_implILNS1_25lookback_scan_determinismE0ELb0ES3_N6thrust23THRUST_200600_302600_NS6detail15normal_iteratorINSB_10device_ptrIjEEEENSD_INSE_IS6_EEEESI_S6_NSB_4plusIvEENSB_8equal_toIvEES6_EE10hipError_tPvRmT2_T3_T4_T5_mT6_T7_P12ihipStream_tbENKUlT_T0_E_clISt17integral_constantIbLb0EES13_EEDaSY_SZ_EUlSY_E_NS1_11comp_targetILNS1_3genE9ELNS1_11target_archE1100ELNS1_3gpuE3ELNS1_3repE0EEENS1_30default_config_static_selectorELNS0_4arch9wavefront6targetE0EEEvT1_.uses_flat_scratch, 0
	.set _ZN7rocprim17ROCPRIM_400000_NS6detail17trampoline_kernelINS0_14default_configENS1_27scan_by_key_config_selectorIj11FixedVectorIiLj8EEEEZZNS1_16scan_by_key_implILNS1_25lookback_scan_determinismE0ELb0ES3_N6thrust23THRUST_200600_302600_NS6detail15normal_iteratorINSB_10device_ptrIjEEEENSD_INSE_IS6_EEEESI_S6_NSB_4plusIvEENSB_8equal_toIvEES6_EE10hipError_tPvRmT2_T3_T4_T5_mT6_T7_P12ihipStream_tbENKUlT_T0_E_clISt17integral_constantIbLb0EES13_EEDaSY_SZ_EUlSY_E_NS1_11comp_targetILNS1_3genE9ELNS1_11target_archE1100ELNS1_3gpuE3ELNS1_3repE0EEENS1_30default_config_static_selectorELNS0_4arch9wavefront6targetE0EEEvT1_.has_dyn_sized_stack, 0
	.set _ZN7rocprim17ROCPRIM_400000_NS6detail17trampoline_kernelINS0_14default_configENS1_27scan_by_key_config_selectorIj11FixedVectorIiLj8EEEEZZNS1_16scan_by_key_implILNS1_25lookback_scan_determinismE0ELb0ES3_N6thrust23THRUST_200600_302600_NS6detail15normal_iteratorINSB_10device_ptrIjEEEENSD_INSE_IS6_EEEESI_S6_NSB_4plusIvEENSB_8equal_toIvEES6_EE10hipError_tPvRmT2_T3_T4_T5_mT6_T7_P12ihipStream_tbENKUlT_T0_E_clISt17integral_constantIbLb0EES13_EEDaSY_SZ_EUlSY_E_NS1_11comp_targetILNS1_3genE9ELNS1_11target_archE1100ELNS1_3gpuE3ELNS1_3repE0EEENS1_30default_config_static_selectorELNS0_4arch9wavefront6targetE0EEEvT1_.has_recursion, 0
	.set _ZN7rocprim17ROCPRIM_400000_NS6detail17trampoline_kernelINS0_14default_configENS1_27scan_by_key_config_selectorIj11FixedVectorIiLj8EEEEZZNS1_16scan_by_key_implILNS1_25lookback_scan_determinismE0ELb0ES3_N6thrust23THRUST_200600_302600_NS6detail15normal_iteratorINSB_10device_ptrIjEEEENSD_INSE_IS6_EEEESI_S6_NSB_4plusIvEENSB_8equal_toIvEES6_EE10hipError_tPvRmT2_T3_T4_T5_mT6_T7_P12ihipStream_tbENKUlT_T0_E_clISt17integral_constantIbLb0EES13_EEDaSY_SZ_EUlSY_E_NS1_11comp_targetILNS1_3genE9ELNS1_11target_archE1100ELNS1_3gpuE3ELNS1_3repE0EEENS1_30default_config_static_selectorELNS0_4arch9wavefront6targetE0EEEvT1_.has_indirect_call, 0
	.section	.AMDGPU.csdata,"",@progbits
; Kernel info:
; codeLenInByte = 0
; TotalNumSgprs: 0
; NumVgprs: 0
; ScratchSize: 0
; MemoryBound: 0
; FloatMode: 240
; IeeeMode: 1
; LDSByteSize: 0 bytes/workgroup (compile time only)
; SGPRBlocks: 0
; VGPRBlocks: 0
; NumSGPRsForWavesPerEU: 1
; NumVGPRsForWavesPerEU: 1
; Occupancy: 16
; WaveLimiterHint : 0
; COMPUTE_PGM_RSRC2:SCRATCH_EN: 0
; COMPUTE_PGM_RSRC2:USER_SGPR: 6
; COMPUTE_PGM_RSRC2:TRAP_HANDLER: 0
; COMPUTE_PGM_RSRC2:TGID_X_EN: 1
; COMPUTE_PGM_RSRC2:TGID_Y_EN: 0
; COMPUTE_PGM_RSRC2:TGID_Z_EN: 0
; COMPUTE_PGM_RSRC2:TIDIG_COMP_CNT: 0
	.section	.text._ZN7rocprim17ROCPRIM_400000_NS6detail17trampoline_kernelINS0_14default_configENS1_27scan_by_key_config_selectorIj11FixedVectorIiLj8EEEEZZNS1_16scan_by_key_implILNS1_25lookback_scan_determinismE0ELb0ES3_N6thrust23THRUST_200600_302600_NS6detail15normal_iteratorINSB_10device_ptrIjEEEENSD_INSE_IS6_EEEESI_S6_NSB_4plusIvEENSB_8equal_toIvEES6_EE10hipError_tPvRmT2_T3_T4_T5_mT6_T7_P12ihipStream_tbENKUlT_T0_E_clISt17integral_constantIbLb0EES13_EEDaSY_SZ_EUlSY_E_NS1_11comp_targetILNS1_3genE8ELNS1_11target_archE1030ELNS1_3gpuE2ELNS1_3repE0EEENS1_30default_config_static_selectorELNS0_4arch9wavefront6targetE0EEEvT1_,"axG",@progbits,_ZN7rocprim17ROCPRIM_400000_NS6detail17trampoline_kernelINS0_14default_configENS1_27scan_by_key_config_selectorIj11FixedVectorIiLj8EEEEZZNS1_16scan_by_key_implILNS1_25lookback_scan_determinismE0ELb0ES3_N6thrust23THRUST_200600_302600_NS6detail15normal_iteratorINSB_10device_ptrIjEEEENSD_INSE_IS6_EEEESI_S6_NSB_4plusIvEENSB_8equal_toIvEES6_EE10hipError_tPvRmT2_T3_T4_T5_mT6_T7_P12ihipStream_tbENKUlT_T0_E_clISt17integral_constantIbLb0EES13_EEDaSY_SZ_EUlSY_E_NS1_11comp_targetILNS1_3genE8ELNS1_11target_archE1030ELNS1_3gpuE2ELNS1_3repE0EEENS1_30default_config_static_selectorELNS0_4arch9wavefront6targetE0EEEvT1_,comdat
	.protected	_ZN7rocprim17ROCPRIM_400000_NS6detail17trampoline_kernelINS0_14default_configENS1_27scan_by_key_config_selectorIj11FixedVectorIiLj8EEEEZZNS1_16scan_by_key_implILNS1_25lookback_scan_determinismE0ELb0ES3_N6thrust23THRUST_200600_302600_NS6detail15normal_iteratorINSB_10device_ptrIjEEEENSD_INSE_IS6_EEEESI_S6_NSB_4plusIvEENSB_8equal_toIvEES6_EE10hipError_tPvRmT2_T3_T4_T5_mT6_T7_P12ihipStream_tbENKUlT_T0_E_clISt17integral_constantIbLb0EES13_EEDaSY_SZ_EUlSY_E_NS1_11comp_targetILNS1_3genE8ELNS1_11target_archE1030ELNS1_3gpuE2ELNS1_3repE0EEENS1_30default_config_static_selectorELNS0_4arch9wavefront6targetE0EEEvT1_ ; -- Begin function _ZN7rocprim17ROCPRIM_400000_NS6detail17trampoline_kernelINS0_14default_configENS1_27scan_by_key_config_selectorIj11FixedVectorIiLj8EEEEZZNS1_16scan_by_key_implILNS1_25lookback_scan_determinismE0ELb0ES3_N6thrust23THRUST_200600_302600_NS6detail15normal_iteratorINSB_10device_ptrIjEEEENSD_INSE_IS6_EEEESI_S6_NSB_4plusIvEENSB_8equal_toIvEES6_EE10hipError_tPvRmT2_T3_T4_T5_mT6_T7_P12ihipStream_tbENKUlT_T0_E_clISt17integral_constantIbLb0EES13_EEDaSY_SZ_EUlSY_E_NS1_11comp_targetILNS1_3genE8ELNS1_11target_archE1030ELNS1_3gpuE2ELNS1_3repE0EEENS1_30default_config_static_selectorELNS0_4arch9wavefront6targetE0EEEvT1_
	.globl	_ZN7rocprim17ROCPRIM_400000_NS6detail17trampoline_kernelINS0_14default_configENS1_27scan_by_key_config_selectorIj11FixedVectorIiLj8EEEEZZNS1_16scan_by_key_implILNS1_25lookback_scan_determinismE0ELb0ES3_N6thrust23THRUST_200600_302600_NS6detail15normal_iteratorINSB_10device_ptrIjEEEENSD_INSE_IS6_EEEESI_S6_NSB_4plusIvEENSB_8equal_toIvEES6_EE10hipError_tPvRmT2_T3_T4_T5_mT6_T7_P12ihipStream_tbENKUlT_T0_E_clISt17integral_constantIbLb0EES13_EEDaSY_SZ_EUlSY_E_NS1_11comp_targetILNS1_3genE8ELNS1_11target_archE1030ELNS1_3gpuE2ELNS1_3repE0EEENS1_30default_config_static_selectorELNS0_4arch9wavefront6targetE0EEEvT1_
	.p2align	8
	.type	_ZN7rocprim17ROCPRIM_400000_NS6detail17trampoline_kernelINS0_14default_configENS1_27scan_by_key_config_selectorIj11FixedVectorIiLj8EEEEZZNS1_16scan_by_key_implILNS1_25lookback_scan_determinismE0ELb0ES3_N6thrust23THRUST_200600_302600_NS6detail15normal_iteratorINSB_10device_ptrIjEEEENSD_INSE_IS6_EEEESI_S6_NSB_4plusIvEENSB_8equal_toIvEES6_EE10hipError_tPvRmT2_T3_T4_T5_mT6_T7_P12ihipStream_tbENKUlT_T0_E_clISt17integral_constantIbLb0EES13_EEDaSY_SZ_EUlSY_E_NS1_11comp_targetILNS1_3genE8ELNS1_11target_archE1030ELNS1_3gpuE2ELNS1_3repE0EEENS1_30default_config_static_selectorELNS0_4arch9wavefront6targetE0EEEvT1_,@function
_ZN7rocprim17ROCPRIM_400000_NS6detail17trampoline_kernelINS0_14default_configENS1_27scan_by_key_config_selectorIj11FixedVectorIiLj8EEEEZZNS1_16scan_by_key_implILNS1_25lookback_scan_determinismE0ELb0ES3_N6thrust23THRUST_200600_302600_NS6detail15normal_iteratorINSB_10device_ptrIjEEEENSD_INSE_IS6_EEEESI_S6_NSB_4plusIvEENSB_8equal_toIvEES6_EE10hipError_tPvRmT2_T3_T4_T5_mT6_T7_P12ihipStream_tbENKUlT_T0_E_clISt17integral_constantIbLb0EES13_EEDaSY_SZ_EUlSY_E_NS1_11comp_targetILNS1_3genE8ELNS1_11target_archE1030ELNS1_3gpuE2ELNS1_3repE0EEENS1_30default_config_static_selectorELNS0_4arch9wavefront6targetE0EEEvT1_: ; @_ZN7rocprim17ROCPRIM_400000_NS6detail17trampoline_kernelINS0_14default_configENS1_27scan_by_key_config_selectorIj11FixedVectorIiLj8EEEEZZNS1_16scan_by_key_implILNS1_25lookback_scan_determinismE0ELb0ES3_N6thrust23THRUST_200600_302600_NS6detail15normal_iteratorINSB_10device_ptrIjEEEENSD_INSE_IS6_EEEESI_S6_NSB_4plusIvEENSB_8equal_toIvEES6_EE10hipError_tPvRmT2_T3_T4_T5_mT6_T7_P12ihipStream_tbENKUlT_T0_E_clISt17integral_constantIbLb0EES13_EEDaSY_SZ_EUlSY_E_NS1_11comp_targetILNS1_3genE8ELNS1_11target_archE1030ELNS1_3gpuE2ELNS1_3repE0EEENS1_30default_config_static_selectorELNS0_4arch9wavefront6targetE0EEEvT1_
; %bb.0:
	s_add_u32 s0, s0, s7
	s_clause 0x4
	s_load_dwordx8 s[16:23], s[4:5], 0x0
	s_load_dwordx8 s[8:15], s[4:5], 0x48
	s_load_dwordx2 s[34:35], s[4:5], 0x68
	s_load_dword s7, s[4:5], 0x70
	s_load_dwordx8 s[24:31], s[4:5], 0x78
	v_mov_b32_e32 v1, 0
	s_addc_u32 s1, s1, 0
	s_mov_b32 s4, 0
	s_waitcnt lgkmcnt(0)
	s_barrier
	buffer_gl0_inv
	buffer_store_dword v1, off, s[0:3], 0 offset:348
	buffer_store_dword v1, off, s[0:3], 0 offset:344
	;; [unrolled: 1-line block ×9, first 2 shown]
.LBB2123_1:                             ; =>This Inner Loop Header: Depth=1
	v_add_nc_u32_e64 v2, 0x140, s4
	s_add_i32 s4, s4, 4
	s_cmp_lg_u32 s4, 32
	buffer_store_dword v1, v2, s[0:3], 0 offen
	s_cbranch_scc1 .LBB2123_1
; %bb.2:
	v_mov_b32_e32 v1, 0
	s_mov_b32 s4, 36
	s_movk_i32 s15, 0x164
	buffer_store_byte v1, off, s[0:3], 0 offset:352
	buffer_store_dword v1, off, s[0:3], 0 offset:368
	buffer_store_dword v1, off, s[0:3], 0 offset:364
	;; [unrolled: 1-line block ×9, first 2 shown]
.LBB2123_3:                             ; =>This Inner Loop Header: Depth=1
	v_add_nc_u32_e64 v2, 0x140, s4
	s_add_i32 s4, s4, 4
	s_cmpk_lg_i32 s4, 0x44
	buffer_store_dword v1, v2, s[0:3], 0 offen
	s_cbranch_scc1 .LBB2123_3
; %bb.4:
	v_mov_b32_e32 v1, 0
	s_movk_i32 s4, 0x48
	s_movk_i32 s33, 0x188
	buffer_store_byte v1, off, s[0:3], 0 offset:388
	buffer_store_dword v1, off, s[0:3], 0 offset:404
	buffer_store_dword v1, off, s[0:3], 0 offset:400
	;; [unrolled: 1-line block ×9, first 2 shown]
.LBB2123_5:                             ; =>This Inner Loop Header: Depth=1
	v_add_nc_u32_e64 v2, 0x140, s4
	s_add_i32 s4, s4, 4
	s_cmpk_lg_i32 s4, 0x68
	buffer_store_dword v1, v2, s[0:3], 0 offen
	s_cbranch_scc1 .LBB2123_5
; %bb.6:
	v_mov_b32_e32 v1, 0
	s_mov_b32 s4, 0
	buffer_store_byte v1, off, s[0:3], 0 offset:424
.LBB2123_7:                             ; =>This Inner Loop Header: Depth=1
	v_add_nc_u32_e64 v2, 0xb0, s4
	s_add_i32 s4, s4, 4
	s_cmp_lg_u32 s4, 32
	buffer_store_dword v1, v2, s[0:3], 0 offen
	s_cbranch_scc1 .LBB2123_7
; %bb.8:
	v_mov_b32_e32 v1, 0
	s_mov_b32 s4, 32
.LBB2123_9:                             ; =>This Inner Loop Header: Depth=1
	v_add_nc_u32_e64 v2, 0xb0, s4
	s_add_i32 s4, s4, 4
	s_cmp_lg_u32 s4, 64
	buffer_store_dword v1, v2, s[0:3], 0 offen
	s_cbranch_scc1 .LBB2123_9
; %bb.10:
	v_mov_b32_e32 v1, 0
	s_mov_b32 s4, 64
.LBB2123_11:                            ; =>This Inner Loop Header: Depth=1
	v_add_nc_u32_e64 v2, 0xb0, s4
	s_add_i32 s4, s4, 4
	s_cmpk_lg_i32 s4, 0x60
	buffer_store_dword v1, v2, s[0:3], 0 offen
	s_cbranch_scc1 .LBB2123_11
; %bb.12:
	s_cmp_lg_u64 s[28:29], 0
	s_mul_i32 s4, s35, s7
	s_mul_hi_u32 s5, s34, s7
	s_cselect_b32 s42, -1, 0
	s_lshl_b64 s[28:29], s[18:19], 5
	s_add_i32 s36, s5, s4
	s_add_u32 s20, s20, s28
	s_addc_u32 s21, s21, s29
	s_lshl_b64 s[18:19], s[18:19], 2
	s_mul_i32 s4, s6, 0x300
	s_mov_b32 s5, 0
	s_add_u32 s18, s16, s18
	s_addc_u32 s19, s17, s19
	s_lshl_b64 s[16:17], s[4:5], 2
	s_movk_i32 s38, 0xf0
	s_add_u32 s18, s18, s16
	s_addc_u32 s19, s19, s17
	s_lshl_b64 s[16:17], s[4:5], 5
	s_mul_i32 s4, s34, s7
	s_add_u32 s40, s20, s16
	s_addc_u32 s41, s21, s17
	s_add_u32 s20, s4, s6
	s_addc_u32 s21, s36, 0
	s_add_u32 s24, s24, -1
	s_addc_u32 s25, s25, -1
	s_movk_i32 s39, 0xd0
	v_cmp_ge_u64_e64 s37, s[20:21], s[24:25]
	s_mul_i32 s36, s24, 0xfffffd00
	s_and_b32 vcc_lo, exec_lo, s37
	s_cbranch_vccz .LBB2123_34
; %bb.13:
	v_mov_b32_e32 v1, s18
	v_mov_b32_e32 v2, s19
	s_add_i32 s43, s36, s14
	v_cmp_gt_u32_e64 s7, s43, v0
	flat_load_dword v1, v[1:2]
	s_waitcnt vmcnt(0) lgkmcnt(0)
	v_mov_b32_e32 v2, v1
	s_and_saveexec_b32 s4, s7
	s_cbranch_execz .LBB2123_15
; %bb.14:
	v_lshlrev_b32_e32 v2, 2, v0
	v_add_co_u32 v2, s5, s18, v2
	v_add_co_ci_u32_e64 v3, null, s19, 0, s5
	flat_load_dword v2, v[2:3]
.LBB2123_15:
	s_or_b32 exec_lo, exec_lo, s4
	v_or_b32_e32 v7, 0x100, v0
	v_mov_b32_e32 v3, v1
	v_cmp_gt_u32_e64 s5, s43, v7
	s_and_saveexec_b32 s4, s5
	s_cbranch_execz .LBB2123_17
; %bb.16:
	v_lshlrev_b32_e32 v3, 2, v0
	v_add_co_u32 v3, s24, s18, v3
	v_add_co_ci_u32_e64 v4, null, s19, 0, s24
	flat_load_dword v3, v[3:4] offset:1024
.LBB2123_17:
	s_or_b32 exec_lo, exec_lo, s4
	v_or_b32_e32 v5, 0x200, v0
	v_cmp_gt_u32_e64 s4, s43, v5
	s_and_saveexec_b32 s24, s4
	s_cbranch_execz .LBB2123_19
; %bb.18:
	v_lshlrev_b32_e32 v1, 2, v5
	v_add_co_u32 v8, s25, s18, v1
	v_add_co_ci_u32_e64 v9, null, s19, 0, s25
	flat_load_dword v1, v[8:9]
.LBB2123_19:
	s_or_b32 exec_lo, exec_lo, s24
	v_lshlrev_b32_e32 v4, 2, v0
	v_lshlrev_b32_e32 v6, 3, v0
	s_cmp_eq_u64 s[20:21], 0
	s_mov_b64 s[24:25], s[18:19]
	s_waitcnt vmcnt(0) lgkmcnt(0)
	ds_write2st64_b32 v4, v2, v3 offset1:4
	v_add_nc_u32_e32 v8, v4, v6
	ds_write_b32 v4, v1 offset:2048
	s_waitcnt lgkmcnt(0)
	s_waitcnt_vscnt null, 0x0
	s_barrier
	buffer_gl0_inv
	ds_read2_b32 v[1:2], v8 offset1:1
	ds_read_b32 v3, v8 offset:8
	s_cbranch_scc1 .LBB2123_23
; %bb.20:
	s_andn2_b32 vcc_lo, exec_lo, s42
	s_cbranch_vccnz .LBB2123_461
; %bb.21:
	s_lshl_b64 s[24:25], s[20:21], 2
	s_add_u32 s24, s30, s24
	s_addc_u32 s25, s31, s25
	s_add_u32 s24, s24, -4
	s_addc_u32 s25, s25, -1
	s_cbranch_execnz .LBB2123_23
.LBB2123_22:
	s_add_u32 s24, s18, -4
	s_addc_u32 s25, s19, -1
.LBB2123_23:
	v_mov_b32_e32 v9, s24
	v_mov_b32_e32 v10, s25
	v_sub_nc_u32_e32 v6, v8, v6
	s_mov_b32 s24, exec_lo
	flat_load_dword v4, v[9:10]
	s_waitcnt lgkmcnt(1)
	ds_write_b32 v6, v3 offset:3072
	s_waitcnt vmcnt(0) lgkmcnt(0)
	s_barrier
	buffer_gl0_inv
	v_cmpx_ne_u32_e32 0, v0
; %bb.24:
	ds_read_b32 v4, v6 offset:3068
; %bb.25:
	s_or_b32 exec_lo, exec_lo, s24
	s_waitcnt lgkmcnt(0)
	s_barrier
	buffer_gl0_inv
	s_and_saveexec_b32 s24, s7
	s_cbranch_execnz .LBB2123_459
; %bb.26:
	s_or_b32 exec_lo, exec_lo, s24
	s_and_saveexec_b32 s7, s5
	s_cbranch_execnz .LBB2123_460
.LBB2123_27:
	s_or_b32 exec_lo, exec_lo, s7
	s_and_saveexec_b32 s5, s4
	s_cbranch_execz .LBB2123_29
.LBB2123_28:
	v_lshlrev_b32_e32 v5, 5, v5
	v_add_co_u32 v11, s4, s40, v5
	v_add_co_ci_u32_e64 v12, null, s41, 0, s4
	s_clause 0x1
	flat_load_dwordx4 v[7:10], v[11:12]
	flat_load_dwordx4 v[11:14], v[11:12] offset:16
	s_waitcnt vmcnt(1) lgkmcnt(1)
	buffer_store_dword v7, off, s[0:3], 0 offset:240
	buffer_store_dword v8, off, s[0:3], 0 offset:244
	;; [unrolled: 1-line block ×4, first 2 shown]
	s_waitcnt vmcnt(0) lgkmcnt(0)
	buffer_store_dword v11, off, s[0:3], 0 offset:256
	buffer_store_dword v12, off, s[0:3], 0 offset:260
	;; [unrolled: 1-line block ×4, first 2 shown]
.LBB2123_29:
	s_or_b32 exec_lo, exec_lo, s5
	v_mov_b32_e32 v31, s39
	s_clause 0x7
	buffer_load_dword v7, off, s[0:3], 0 offset:176
	buffer_load_dword v8, off, s[0:3], 0 offset:180
	;; [unrolled: 1-line block ×8, first 2 shown]
	v_mov_b32_e32 v32, s38
	v_mad_u32_u24 v5, v0, 28, v6
	s_mov_b32 s24, 0
	s_clause 0xf
	buffer_load_dword v15, v31, s[0:3], 0 offen
	buffer_load_dword v16, v31, s[0:3], 0 offen offset:4
	buffer_load_dword v17, v31, s[0:3], 0 offen offset:8
	;; [unrolled: 1-line block ×7, first 2 shown]
	buffer_load_dword v23, v32, s[0:3], 0 offen
	buffer_load_dword v24, v32, s[0:3], 0 offen offset:4
	buffer_load_dword v25, v32, s[0:3], 0 offen offset:8
	;; [unrolled: 1-line block ×7, first 2 shown]
	s_mov_b32 s5, 0
	s_mov_b32 s25, exec_lo
	v_lshl_add_u32 v6, v0, 6, v5
                                        ; implicit-def: $sgpr7
	s_waitcnt vmcnt(20)
	ds_write_b128 v5, v[7:10]
	s_waitcnt vmcnt(16)
	ds_write_b128 v5, v[11:14] offset:16
	s_waitcnt vmcnt(12)
	ds_write_b128 v5, v[15:18] offset:8192
	;; [unrolled: 2-line block ×5, first 2 shown]
	s_waitcnt lgkmcnt(0)
	s_waitcnt_vscnt null, 0x0
	s_barrier
	buffer_gl0_inv
	ds_read_b128 v[7:10], v6 offset:32
	ds_read_b128 v[11:14], v6 offset:48
	;; [unrolled: 1-line block ×4, first 2 shown]
	v_mul_u32_u24_e32 v5, 3, v0
	s_waitcnt lgkmcnt(3)
	buffer_store_dword v10, v31, s[0:3], 0 offen offset:12
	buffer_store_dword v9, v31, s[0:3], 0 offen offset:8
	;; [unrolled: 1-line block ×3, first 2 shown]
	buffer_store_dword v7, v31, s[0:3], 0 offen
	s_waitcnt lgkmcnt(2)
	buffer_store_dword v14, v31, s[0:3], 0 offen offset:28
	buffer_store_dword v13, v31, s[0:3], 0 offen offset:24
	;; [unrolled: 1-line block ×4, first 2 shown]
	s_waitcnt lgkmcnt(1)
	buffer_store_dword v18, v32, s[0:3], 0 offen offset:12
	buffer_store_dword v17, v32, s[0:3], 0 offen offset:8
	;; [unrolled: 1-line block ×3, first 2 shown]
	buffer_store_dword v15, v32, s[0:3], 0 offen
	s_waitcnt lgkmcnt(0)
	buffer_store_dword v22, v32, s[0:3], 0 offen offset:28
	buffer_store_dword v21, v32, s[0:3], 0 offen offset:24
	;; [unrolled: 1-line block ×4, first 2 shown]
	v_cmpx_gt_u32_e64 s43, v5
	s_cbranch_execz .LBB2123_33
; %bb.30:
	ds_read_b128 v[7:10], v6
	ds_read_b128 v[11:14], v6 offset:16
	v_add_nc_u32_e32 v15, 1, v5
	v_cmp_ne_u32_e32 vcc_lo, v4, v1
	s_mov_b32 s4, 0
	s_mov_b32 s5, exec_lo
                                        ; implicit-def: $sgpr7
	v_cndmask_b32_e64 v4, 0, 1, vcc_lo
	s_waitcnt lgkmcnt(1)
	buffer_store_dword v10, off, s[0:3], 0 offset:332
	buffer_store_dword v9, off, s[0:3], 0 offset:328
	buffer_store_dword v8, off, s[0:3], 0 offset:324
	buffer_store_dword v7, off, s[0:3], 0 offset:320
	s_waitcnt lgkmcnt(0)
	buffer_store_dword v14, off, s[0:3], 0 offset:348
	buffer_store_dword v13, off, s[0:3], 0 offset:344
	;; [unrolled: 1-line block ×4, first 2 shown]
	buffer_store_byte v4, off, s[0:3], 0 offset:352
	v_cmpx_gt_u32_e64 s43, v15
	s_xor_b32 s5, exec_lo, s5
	s_cbranch_execz .LBB2123_32
; %bb.31:
	v_add_nc_u32_e32 v4, 32, v6
	v_cmp_ne_u32_e64 s4, v1, v2
	v_cmp_ne_u32_e64 s7, v2, v3
	ds_read2_b32 v[6:7], v4 offset0:2 offset1:3
	ds_read2_b32 v[8:9], v4 offset0:4 offset1:5
	ds_read2_b32 v[10:11], v4 offset1:1
	ds_read2_b32 v[12:13], v4 offset0:6 offset1:7
	v_add_nc_u32_e32 v4, 2, v5
	v_cndmask_b32_e64 v1, 0, 1, s4
	v_cmp_gt_u32_e32 vcc_lo, s43, v4
	v_mov_b32_e32 v4, s15
	s_waitcnt lgkmcnt(3)
	buffer_store_dword v7, v4, s[0:3], 0 offen offset:12
	buffer_store_dword v6, v4, s[0:3], 0 offen offset:8
	s_waitcnt lgkmcnt(1)
	buffer_store_dword v11, v4, s[0:3], 0 offen offset:4
	buffer_store_dword v10, v4, s[0:3], 0 offen
	s_waitcnt lgkmcnt(0)
	buffer_store_dword v13, v4, s[0:3], 0 offen offset:28
	buffer_store_dword v12, v4, s[0:3], 0 offen offset:24
	;; [unrolled: 1-line block ×4, first 2 shown]
	buffer_store_byte v1, off, s[0:3], 0 offset:388
	s_and_b32 s4, vcc_lo, exec_lo
.LBB2123_32:
	s_or_b32 exec_lo, exec_lo, s5
	s_and_b32 s5, s4, exec_lo
.LBB2123_33:
	s_or_b32 exec_lo, exec_lo, s25
	s_and_b32 vcc_lo, exec_lo, s24
	s_cbranch_vccnz .LBB2123_35
	s_branch .LBB2123_43
.LBB2123_34:
                                        ; implicit-def: $sgpr7
	s_cbranch_execz .LBB2123_43
.LBB2123_35:
	v_lshlrev_b32_e32 v7, 2, v0
	v_lshlrev_b32_e32 v5, 3, v0
	s_cmp_eq_u64 s[20:21], 0
	v_add_co_u32 v1, s4, s18, v7
	v_add_co_ci_u32_e64 v2, null, s19, 0, s4
	v_add_nc_u32_e32 v6, v7, v5
	v_add_co_u32 v3, vcc_lo, 0x800, v1
	v_add_co_ci_u32_e64 v4, null, 0, v2, vcc_lo
	s_clause 0x2
	flat_load_dword v8, v[1:2]
	flat_load_dword v1, v[1:2] offset:1024
	flat_load_dword v2, v[3:4]
	s_waitcnt vmcnt(1) lgkmcnt(1)
	ds_write2st64_b32 v7, v8, v1 offset1:4
	s_waitcnt vmcnt(0) lgkmcnt(1)
	ds_write_b32 v7, v2 offset:2048
	s_waitcnt lgkmcnt(0)
	s_waitcnt_vscnt null, 0x0
	s_barrier
	buffer_gl0_inv
	ds_read2_b32 v[1:2], v6 offset1:1
	ds_read_b32 v3, v6 offset:8
	s_cbranch_scc1 .LBB2123_40
; %bb.36:
	s_andn2_b32 vcc_lo, exec_lo, s42
	s_cbranch_vccnz .LBB2123_462
; %bb.37:
	s_lshl_b64 s[4:5], s[20:21], 2
	s_add_u32 s4, s30, s4
	s_addc_u32 s5, s31, s5
	s_add_u32 s4, s4, -4
	s_addc_u32 s5, s5, -1
	s_cbranch_execnz .LBB2123_39
.LBB2123_38:
	s_add_u32 s4, s18, -4
	s_addc_u32 s5, s19, -1
.LBB2123_39:
	s_mov_b64 s[18:19], s[4:5]
.LBB2123_40:
	v_mov_b32_e32 v7, s18
	v_mov_b32_e32 v8, s19
	v_sub_nc_u32_e32 v5, v6, v5
	s_mov_b32 s4, exec_lo
	flat_load_dword v4, v[7:8]
	s_waitcnt lgkmcnt(1)
	ds_write_b32 v5, v3 offset:3072
	s_waitcnt vmcnt(0) lgkmcnt(0)
	s_barrier
	buffer_gl0_inv
	v_cmpx_ne_u32_e32 0, v0
; %bb.41:
	ds_read_b32 v4, v5 offset:3068
; %bb.42:
	s_or_b32 exec_lo, exec_lo, s4
	v_lshlrev_b32_e32 v6, 5, v0
	s_waitcnt lgkmcnt(0)
	s_barrier
	buffer_gl0_inv
	v_mov_b32_e32 v31, s38
	v_add_co_u32 v14, s4, s40, v6
	v_add_co_ci_u32_e64 v15, null, s41, 0, s4
	v_mov_b32_e32 v30, s39
	v_add_co_u32 v16, vcc_lo, 0x2000, v14
	s_clause 0x1
	flat_load_dwordx4 v[6:9], v[14:15]
	flat_load_dwordx4 v[10:13], v[14:15] offset:16
	v_add_co_ci_u32_e64 v17, null, 0, v15, vcc_lo
	v_add_co_u32 v14, vcc_lo, 0x4000, v14
	v_add_co_ci_u32_e64 v15, null, 0, v15, vcc_lo
	v_mad_u32_u24 v5, v0, 28, v5
	v_cmp_ne_u32_e32 vcc_lo, v1, v2
	v_cmp_ne_u32_e64 s7, v2, v3
	s_mov_b32 s5, -1
	s_waitcnt vmcnt(1) lgkmcnt(1)
	buffer_store_dword v6, off, s[0:3], 0 offset:176
	buffer_store_dword v7, off, s[0:3], 0 offset:180
	;; [unrolled: 1-line block ×4, first 2 shown]
	s_waitcnt vmcnt(0) lgkmcnt(0)
	buffer_store_dword v10, off, s[0:3], 0 offset:192
	buffer_store_dword v11, off, s[0:3], 0 offset:196
	;; [unrolled: 1-line block ×4, first 2 shown]
	s_clause 0x1
	flat_load_dwordx4 v[6:9], v[16:17]
	flat_load_dwordx4 v[10:13], v[16:17] offset:16
	v_lshl_add_u32 v32, v0, 6, v5
	s_waitcnt vmcnt(1) lgkmcnt(1)
	buffer_store_dword v6, off, s[0:3], 0 offset:208
	buffer_store_dword v7, off, s[0:3], 0 offset:212
	;; [unrolled: 1-line block ×4, first 2 shown]
	s_waitcnt vmcnt(0) lgkmcnt(0)
	buffer_store_dword v10, off, s[0:3], 0 offset:224
	buffer_store_dword v11, off, s[0:3], 0 offset:228
	;; [unrolled: 1-line block ×4, first 2 shown]
	s_clause 0x1
	flat_load_dwordx4 v[6:9], v[14:15]
	flat_load_dwordx4 v[10:13], v[14:15] offset:16
	s_clause 0xf
	buffer_load_dword v14, off, s[0:3], 0 offset:176
	buffer_load_dword v15, off, s[0:3], 0 offset:180
	;; [unrolled: 1-line block ×8, first 2 shown]
	buffer_load_dword v22, v30, s[0:3], 0 offen
	buffer_load_dword v23, v30, s[0:3], 0 offen offset:4
	buffer_load_dword v24, v30, s[0:3], 0 offen offset:8
	;; [unrolled: 1-line block ×7, first 2 shown]
	s_waitcnt vmcnt(17) lgkmcnt(1)
	buffer_store_dword v6, off, s[0:3], 0 offset:240
	buffer_store_dword v7, off, s[0:3], 0 offset:244
	;; [unrolled: 1-line block ×4, first 2 shown]
	s_waitcnt vmcnt(16) lgkmcnt(0)
	buffer_store_dword v10, off, s[0:3], 0 offset:256
	buffer_store_dword v11, off, s[0:3], 0 offset:260
	;; [unrolled: 1-line block ×4, first 2 shown]
	s_clause 0x7
	buffer_load_dword v6, v31, s[0:3], 0 offen
	buffer_load_dword v7, v31, s[0:3], 0 offen offset:4
	buffer_load_dword v8, v31, s[0:3], 0 offen offset:8
	;; [unrolled: 1-line block ×7, first 2 shown]
	s_waitcnt vmcnt(20)
	ds_write_b128 v5, v[14:17]
	s_waitcnt vmcnt(16)
	ds_write_b128 v5, v[18:21] offset:16
	s_waitcnt vmcnt(8)
	ds_write_b128 v5, v[26:29] offset:8208
	ds_write_b128 v5, v[22:25] offset:8192
	s_waitcnt vmcnt(1)
	ds_write_b128 v5, v[10:13] offset:16400
	s_waitcnt vmcnt(0)
	ds_write_b128 v5, v[6:9] offset:16384
	s_waitcnt lgkmcnt(0)
	s_waitcnt_vscnt null, 0x0
	s_barrier
	buffer_gl0_inv
	ds_read_b128 v[5:8], v32 offset:32
	ds_read_b128 v[9:12], v32 offset:48
	;; [unrolled: 1-line block ×3, first 2 shown]
	v_cndmask_b32_e64 v25, 0, 1, vcc_lo
	v_cmp_ne_u32_e32 vcc_lo, v4, v1
	ds_read_b128 v[17:20], v32 offset:80
	ds_read_b128 v[1:4], v32
	ds_read_b128 v[21:24], v32 offset:16
	v_mov_b32_e32 v27, s15
	v_cndmask_b32_e64 v26, 0, 1, vcc_lo
	buffer_store_byte v26, off, s[0:3], 0 offset:352
	s_waitcnt lgkmcnt(5)
	buffer_store_dword v8, v30, s[0:3], 0 offen offset:12
	buffer_store_dword v7, v30, s[0:3], 0 offen offset:8
	;; [unrolled: 1-line block ×3, first 2 shown]
	buffer_store_dword v5, v30, s[0:3], 0 offen
	s_waitcnt lgkmcnt(4)
	buffer_store_dword v12, v30, s[0:3], 0 offen offset:28
	buffer_store_dword v11, v30, s[0:3], 0 offen offset:24
	;; [unrolled: 1-line block ×4, first 2 shown]
	s_waitcnt lgkmcnt(3)
	buffer_store_dword v16, v31, s[0:3], 0 offen offset:12
	buffer_store_dword v15, v31, s[0:3], 0 offen offset:8
	;; [unrolled: 1-line block ×3, first 2 shown]
	buffer_store_dword v13, v31, s[0:3], 0 offen
	s_waitcnt lgkmcnt(2)
	buffer_store_dword v20, v31, s[0:3], 0 offen offset:28
	buffer_store_dword v19, v31, s[0:3], 0 offen offset:24
	;; [unrolled: 1-line block ×4, first 2 shown]
	s_waitcnt lgkmcnt(1)
	buffer_store_dword v4, off, s[0:3], 0 offset:332
	buffer_store_dword v3, off, s[0:3], 0 offset:328
	;; [unrolled: 1-line block ×4, first 2 shown]
	s_waitcnt lgkmcnt(0)
	buffer_store_dword v24, off, s[0:3], 0 offset:348
	buffer_store_dword v23, off, s[0:3], 0 offset:344
	;; [unrolled: 1-line block ×4, first 2 shown]
	buffer_store_dword v12, v27, s[0:3], 0 offen offset:28
	buffer_store_dword v11, v27, s[0:3], 0 offen offset:24
	;; [unrolled: 1-line block ×7, first 2 shown]
	buffer_store_dword v5, v27, s[0:3], 0 offen
	buffer_store_byte v25, off, s[0:3], 0 offset:388
.LBB2123_43:
	s_and_saveexec_b32 s4, s5
	s_cbranch_execz .LBB2123_45
; %bb.44:
	v_mov_b32_e32 v1, s38
	v_mov_b32_e32 v9, s33
	v_cndmask_b32_e64 v10, 0, 1, s7
	s_clause 0x7
	buffer_load_dword v2, v1, s[0:3], 0 offen offset:12
	buffer_load_dword v3, v1, s[0:3], 0 offen offset:8
	;; [unrolled: 1-line block ×3, first 2 shown]
	buffer_load_dword v5, v1, s[0:3], 0 offen
	buffer_load_dword v6, v1, s[0:3], 0 offen offset:28
	buffer_load_dword v7, v1, s[0:3], 0 offen offset:24
	;; [unrolled: 1-line block ×4, first 2 shown]
	s_waitcnt vmcnt(7)
	buffer_store_dword v2, v9, s[0:3], 0 offen offset:12
	s_waitcnt vmcnt(6)
	buffer_store_dword v3, v9, s[0:3], 0 offen offset:8
	s_waitcnt vmcnt(5)
	buffer_store_dword v4, v9, s[0:3], 0 offen offset:4
	s_waitcnt vmcnt(4)
	buffer_store_dword v5, v9, s[0:3], 0 offen
	s_waitcnt vmcnt(3)
	buffer_store_dword v6, v9, s[0:3], 0 offen offset:28
	s_waitcnt vmcnt(2)
	buffer_store_dword v7, v9, s[0:3], 0 offen offset:24
	;; [unrolled: 2-line block ×4, first 2 shown]
	buffer_store_byte v10, off, s[0:3], 0 offset:424
.LBB2123_45:
	s_or_b32 exec_lo, exec_lo, s4
	s_cmp_lg_u32 s6, 0
	s_mov_b32 s4, 0
	s_waitcnt_vscnt null, 0x0
	s_barrier
	buffer_gl0_inv
	s_cbranch_scc0 .LBB2123_254
; %bb.46:
	v_mov_b32_e32 v1, 0
	buffer_store_dword v1, off, s[0:3], 0 offset:208
.LBB2123_47:                            ; =>This Inner Loop Header: Depth=1
	v_add_nc_u32_e64 v2, 0xb0, s4
	s_add_i32 s4, s4, 4
	s_cmp_lg_u32 s4, 32
	buffer_store_dword v1, v2, s[0:3], 0 offen
	s_cbranch_scc1 .LBB2123_47
; %bb.48:
	s_clause 0x9
	buffer_load_dword v1, off, s[0:3], 0 offset:332
	buffer_load_dword v2, off, s[0:3], 0 offset:328
	;; [unrolled: 1-line block ×4, first 2 shown]
	buffer_load_ubyte v9, off, s[0:3], 0 offset:388
	buffer_load_dword v5, off, s[0:3], 0 offset:348
	buffer_load_dword v6, off, s[0:3], 0 offset:344
	;; [unrolled: 1-line block ×4, first 2 shown]
	buffer_load_ubyte v10, off, s[0:3], 0 offset:352
	s_mov_b32 s4, exec_lo
	s_waitcnt vmcnt(9)
	buffer_store_dword v1, off, s[0:3], 0 offset:188
	s_waitcnt vmcnt(8)
	buffer_store_dword v2, off, s[0:3], 0 offset:184
	;; [unrolled: 2-line block ×8, first 2 shown]
                                        ; implicit-def: $vgpr4
                                        ; implicit-def: $vgpr1
                                        ; implicit-def: $vgpr2
                                        ; implicit-def: $vgpr3
                                        ; implicit-def: $vgpr5
                                        ; implicit-def: $vgpr6
                                        ; implicit-def: $vgpr7
                                        ; implicit-def: $vgpr8
	v_cmpx_ne_u16_e32 0, v9
	s_xor_b32 s4, exec_lo, s4
	s_cbranch_execz .LBB2123_50
; %bb.49:
	s_clause 0x7
	buffer_load_dword v1, off, s[0:3], 0 offset:356
	buffer_load_dword v2, off, s[0:3], 0 offset:360
	;; [unrolled: 1-line block ×8, first 2 shown]
.LBB2123_50:
	s_andn2_saveexec_b32 s4, s4
	s_cbranch_execz .LBB2123_56
; %bb.51:
	s_waitcnt vmcnt(7)
	v_mov_b32_e32 v1, 0
	s_mov_b32 s5, 0
.LBB2123_52:                            ; =>This Inner Loop Header: Depth=1
	s_waitcnt vmcnt(6)
	v_add_nc_u32_e64 v2, s5, 32
	s_add_i32 s5, s5, 4
	s_cmp_lg_u32 s5, 32
	buffer_store_dword v1, v2, s[0:3], 0 offen
	s_cbranch_scc1 .LBB2123_52
; %bb.53:
	s_mov_b32 s5, 0
	.p2align	6
.LBB2123_54:                            ; =>This Inner Loop Header: Depth=1
	v_add_nc_u32_e64 v1, 0xb0, s5
	v_add_nc_u32_e64 v2, 0x140, s5
	s_waitcnt vmcnt(5)
	v_add_nc_u32_e64 v3, s5, 32
	s_add_i32 s5, s5, 4
	s_clause 0x1
	buffer_load_dword v1, v1, s[0:3], 0 offen
	buffer_load_dword v2, v2, s[0:3], 0 offen offset:36
	s_cmp_lg_u32 s5, 32
	s_waitcnt vmcnt(0)
	v_add_nc_u32_e32 v1, v2, v1
	buffer_store_dword v1, v3, s[0:3], 0 offen
	s_cbranch_scc1 .LBB2123_54
; %bb.55:
	s_clause 0x7
	buffer_load_dword v1, off, s[0:3], 0 offset:32
	buffer_load_dword v2, off, s[0:3], 0 offset:36
	;; [unrolled: 1-line block ×8, first 2 shown]
.LBB2123_56:
	s_or_b32 exec_lo, exec_lo, s4
	buffer_load_ubyte v11, off, s[0:3], 0 offset:424
	s_mov_b32 s4, exec_lo
	s_waitcnt vmcnt(8)
	buffer_store_dword v1, off, s[0:3], 0 offset:176
	s_waitcnt vmcnt(7)
	buffer_store_dword v2, off, s[0:3], 0 offset:180
	;; [unrolled: 2-line block ×8, first 2 shown]
                                        ; implicit-def: $vgpr7
                                        ; implicit-def: $vgpr1
                                        ; implicit-def: $vgpr2
                                        ; implicit-def: $vgpr3
                                        ; implicit-def: $vgpr4
                                        ; implicit-def: $vgpr5
                                        ; implicit-def: $vgpr6
                                        ; implicit-def: $vgpr8
	s_waitcnt vmcnt(0)
	v_cmpx_ne_u16_e32 0, v11
	s_xor_b32 s4, exec_lo, s4
	s_cbranch_execz .LBB2123_58
; %bb.57:
	s_clause 0x7
	buffer_load_dword v1, off, s[0:3], 0 offset:392
	buffer_load_dword v2, off, s[0:3], 0 offset:396
	;; [unrolled: 1-line block ×8, first 2 shown]
.LBB2123_58:
	s_andn2_saveexec_b32 s4, s4
	s_cbranch_execz .LBB2123_64
; %bb.59:
	s_waitcnt vmcnt(7)
	v_mov_b32_e32 v1, 0
	s_mov_b32 s5, 0
.LBB2123_60:                            ; =>This Inner Loop Header: Depth=1
	s_waitcnt vmcnt(6)
	v_add_nc_u32_e64 v2, s5, 32
	s_add_i32 s5, s5, 4
	s_cmp_lg_u32 s5, 32
	buffer_store_dword v1, v2, s[0:3], 0 offen
	s_cbranch_scc1 .LBB2123_60
; %bb.61:
	s_mov_b32 s5, 0
	.p2align	6
.LBB2123_62:                            ; =>This Inner Loop Header: Depth=1
	v_add_nc_u32_e64 v1, 0xb0, s5
	v_add_nc_u32_e64 v2, 0x140, s5
	s_waitcnt vmcnt(5)
	v_add_nc_u32_e64 v3, s5, 32
	s_add_i32 s5, s5, 4
	s_clause 0x1
	buffer_load_dword v1, v1, s[0:3], 0 offen
	buffer_load_dword v2, v2, s[0:3], 0 offen offset:72
	s_cmp_lg_u32 s5, 32
	s_waitcnt vmcnt(0)
	v_add_nc_u32_e32 v1, v2, v1
	buffer_store_dword v1, v3, s[0:3], 0 offen
	s_cbranch_scc1 .LBB2123_62
; %bb.63:
	s_clause 0x7
	buffer_load_dword v1, off, s[0:3], 0 offset:32
	buffer_load_dword v2, off, s[0:3], 0 offset:36
	;; [unrolled: 1-line block ×8, first 2 shown]
.LBB2123_64:
	s_or_b32 exec_lo, exec_lo, s4
	s_clause 0x1
	buffer_load_ushort v12, off, s[0:3], 0 offset:209
	buffer_load_sbyte v14, off, s[0:3], 0 offset:211
	v_or_b32_e32 v9, v9, v10
	v_mov_b32_e32 v13, 0
	v_and_b32_e32 v10, 1, v11
	v_mbcnt_lo_u32_b32 v17, -1, 0
	s_waitcnt vmcnt(9)
	v_mov_b32_dpp v15, v1 row_shr:1 row_mask:0xf bank_mask:0xf
	s_waitcnt vmcnt(5)
	v_mov_b32_dpp v20, v5 row_shr:1 row_mask:0xf bank_mask:0xf
	v_cmp_ne_u16_sdwa s4, v9, v13 src0_sel:BYTE_0 src1_sel:DWORD
	v_cmp_eq_u32_e32 vcc_lo, 1, v10
	v_mov_b32_dpp v16, v2 row_shr:1 row_mask:0xf bank_mask:0xf
	v_mov_b32_dpp v18, v3 row_shr:1 row_mask:0xf bank_mask:0xf
	s_waitcnt vmcnt(3)
	v_mov_b32_dpp v21, v8 row_shr:1 row_mask:0xf bank_mask:0xf
	v_mov_b32_dpp v19, v4 row_shr:1 row_mask:0xf bank_mask:0xf
	s_or_b32 s4, s4, vcc_lo
	s_waitcnt vmcnt(2)
	v_mov_b32_dpp v22, v7 row_shr:1 row_mask:0xf bank_mask:0xf
	v_cndmask_b32_e64 v9, 0, 1, s4
	s_mov_b32 s4, exec_lo
	buffer_store_dword v1, off, s[0:3], 0 offset:272
	buffer_store_dword v2, off, s[0:3], 0 offset:276
	;; [unrolled: 1-line block ×8, first 2 shown]
	s_waitcnt vmcnt(1)
	v_lshlrev_b16 v10, 8, v12
	s_waitcnt vmcnt(0)
	v_perm_b32 v11, v12, v14, 0xc0c0005
	v_mov_b32_dpp v14, v6 row_shr:1 row_mask:0xf bank_mask:0xf
	v_or_b32_e32 v9, v9, v10
	v_and_b32_e32 v10, 15, v17
	v_and_b32_e32 v12, 0xffff, v9
	v_lshl_or_b32 v11, v11, 16, v12
	buffer_store_dword v15, off, s[0:3], 0 offset:176
	buffer_store_dword v16, off, s[0:3], 0 offset:180
	;; [unrolled: 1-line block ×5, first 2 shown]
	v_mov_b32_dpp v12, v11 row_shr:1 row_mask:0xf bank_mask:0xf
	buffer_store_dword v20, off, s[0:3], 0 offset:192
	buffer_store_dword v14, off, s[0:3], 0 offset:196
	;; [unrolled: 1-line block ×5, first 2 shown]
	v_cmpx_ne_u32_e32 0, v10
	s_cbranch_execz .LBB2123_72
; %bb.65:
	v_cmp_eq_u16_sdwa s7, v9, v13 src0_sel:BYTE_0 src1_sel:DWORD
	s_and_saveexec_b32 s5, s7
	s_cbranch_execz .LBB2123_71
; %bb.66:
	v_mov_b32_e32 v1, 0
	s_mov_b32 s7, 0
.LBB2123_67:                            ; =>This Inner Loop Header: Depth=1
	v_add_nc_u32_e64 v2, s7, 32
	s_add_i32 s7, s7, 4
	s_cmp_lg_u32 s7, 32
	buffer_store_dword v1, v2, s[0:3], 0 offen
	s_cbranch_scc1 .LBB2123_67
; %bb.68:
	s_mov_b32 s7, 0
	.p2align	6
.LBB2123_69:                            ; =>This Inner Loop Header: Depth=1
	v_add_nc_u32_e64 v1, 0xb0, s7
	v_add_nc_u32_e64 v2, 0x110, s7
	;; [unrolled: 1-line block ×3, first 2 shown]
	s_add_i32 s7, s7, 4
	s_clause 0x1
	buffer_load_dword v1, v1, s[0:3], 0 offen
	buffer_load_dword v2, v2, s[0:3], 0 offen
	s_cmp_lg_u32 s7, 32
	s_waitcnt vmcnt(0)
	v_add_nc_u32_e32 v1, v2, v1
	buffer_store_dword v1, v3, s[0:3], 0 offen
	s_cbranch_scc1 .LBB2123_69
; %bb.70:
	s_clause 0x7
	buffer_load_dword v1, off, s[0:3], 0 offset:32
	buffer_load_dword v2, off, s[0:3], 0 offset:36
	;; [unrolled: 1-line block ×8, first 2 shown]
.LBB2123_71:
	s_or_b32 exec_lo, exec_lo, s5
	v_or_b32_e32 v9, v12, v11
	v_and_b32_e32 v9, 1, v9
	buffer_store_byte v9, off, s[0:3], 0 offset:304
	buffer_load_dword v11, off, s[0:3], 0 offset:304
	s_waitcnt vmcnt(8)
	buffer_store_dword v1, off, s[0:3], 0 offset:272
	s_waitcnt vmcnt(7)
	buffer_store_dword v2, off, s[0:3], 0 offset:276
	;; [unrolled: 2-line block ×8, first 2 shown]
	s_waitcnt vmcnt(0)
	v_mov_b32_e32 v9, v11
.LBB2123_72:
	s_or_b32 exec_lo, exec_lo, s4
	v_mov_b32_dpp v13, v1 row_shr:2 row_mask:0xf bank_mask:0xf
	v_mov_b32_dpp v12, v11 row_shr:2 row_mask:0xf bank_mask:0xf
	;; [unrolled: 1-line block ×5, first 2 shown]
	s_mov_b32 s5, exec_lo
	v_mov_b32_dpp v18, v5 row_shr:2 row_mask:0xf bank_mask:0xf
	v_mov_b32_dpp v19, v6 row_shr:2 row_mask:0xf bank_mask:0xf
	;; [unrolled: 1-line block ×4, first 2 shown]
	buffer_store_dword v13, off, s[0:3], 0 offset:176
	buffer_store_dword v14, off, s[0:3], 0 offset:180
	;; [unrolled: 1-line block ×9, first 2 shown]
	v_cmpx_lt_u32_e32 1, v10
	s_cbranch_execz .LBB2123_79
; %bb.73:
	v_mov_b32_e32 v11, 0
	s_mov_b32 s7, 0
	v_cmp_eq_u16_sdwa s18, v9, v11 src0_sel:BYTE_0 src1_sel:DWORD
	s_and_saveexec_b32 s4, s18
	s_cbranch_execz .LBB2123_78
.LBB2123_74:                            ; =>This Inner Loop Header: Depth=1
	v_add_nc_u32_e64 v1, s7, 32
	s_add_i32 s7, s7, 4
	s_cmp_lg_u32 s7, 32
	buffer_store_dword v11, v1, s[0:3], 0 offen
	s_cbranch_scc1 .LBB2123_74
; %bb.75:
	s_mov_b32 s7, 0
	.p2align	6
.LBB2123_76:                            ; =>This Inner Loop Header: Depth=1
	v_add_nc_u32_e64 v1, 0xb0, s7
	v_add_nc_u32_e64 v2, 0x110, s7
	;; [unrolled: 1-line block ×3, first 2 shown]
	s_add_i32 s7, s7, 4
	s_clause 0x1
	buffer_load_dword v1, v1, s[0:3], 0 offen
	buffer_load_dword v2, v2, s[0:3], 0 offen
	s_cmp_lg_u32 s7, 32
	s_waitcnt vmcnt(0)
	v_add_nc_u32_e32 v1, v2, v1
	buffer_store_dword v1, v3, s[0:3], 0 offen
	s_cbranch_scc1 .LBB2123_76
; %bb.77:
	s_clause 0x7
	buffer_load_dword v1, off, s[0:3], 0 offset:32
	buffer_load_dword v2, off, s[0:3], 0 offset:36
	;; [unrolled: 1-line block ×8, first 2 shown]
.LBB2123_78:
	s_or_b32 exec_lo, exec_lo, s4
	v_and_b32_e32 v9, 1, v9
	v_and_b32_e32 v11, 1, v12
	v_cmp_eq_u32_e32 vcc_lo, 1, v9
	v_cmp_eq_u32_e64 s4, 1, v11
	s_or_b32 s4, vcc_lo, s4
	v_cndmask_b32_e64 v9, 0, 1, s4
	buffer_store_byte v9, off, s[0:3], 0 offset:304
	buffer_load_dword v11, off, s[0:3], 0 offset:304
	s_waitcnt vmcnt(8)
	buffer_store_dword v1, off, s[0:3], 0 offset:272
	s_waitcnt vmcnt(7)
	buffer_store_dword v2, off, s[0:3], 0 offset:276
	;; [unrolled: 2-line block ×8, first 2 shown]
	s_waitcnt vmcnt(0)
	v_mov_b32_e32 v9, v11
.LBB2123_79:
	s_or_b32 exec_lo, exec_lo, s5
	v_mov_b32_dpp v13, v1 row_shr:4 row_mask:0xf bank_mask:0xf
	v_mov_b32_dpp v12, v11 row_shr:4 row_mask:0xf bank_mask:0xf
	;; [unrolled: 1-line block ×5, first 2 shown]
	s_mov_b32 s5, exec_lo
	v_mov_b32_dpp v18, v5 row_shr:4 row_mask:0xf bank_mask:0xf
	v_mov_b32_dpp v19, v6 row_shr:4 row_mask:0xf bank_mask:0xf
	;; [unrolled: 1-line block ×4, first 2 shown]
	buffer_store_dword v13, off, s[0:3], 0 offset:176
	buffer_store_dword v14, off, s[0:3], 0 offset:180
	;; [unrolled: 1-line block ×9, first 2 shown]
	v_cmpx_lt_u32_e32 3, v10
	s_cbranch_execz .LBB2123_86
; %bb.80:
	v_mov_b32_e32 v11, 0
	s_mov_b32 s7, 0
	v_cmp_eq_u16_sdwa s18, v9, v11 src0_sel:BYTE_0 src1_sel:DWORD
	s_and_saveexec_b32 s4, s18
	s_cbranch_execz .LBB2123_85
.LBB2123_81:                            ; =>This Inner Loop Header: Depth=1
	v_add_nc_u32_e64 v1, s7, 32
	s_add_i32 s7, s7, 4
	s_cmp_lg_u32 s7, 32
	buffer_store_dword v11, v1, s[0:3], 0 offen
	s_cbranch_scc1 .LBB2123_81
; %bb.82:
	s_mov_b32 s7, 0
	.p2align	6
.LBB2123_83:                            ; =>This Inner Loop Header: Depth=1
	v_add_nc_u32_e64 v1, 0xb0, s7
	v_add_nc_u32_e64 v2, 0x110, s7
	v_add_nc_u32_e64 v3, s7, 32
	s_add_i32 s7, s7, 4
	s_clause 0x1
	buffer_load_dword v1, v1, s[0:3], 0 offen
	buffer_load_dword v2, v2, s[0:3], 0 offen
	s_cmp_lg_u32 s7, 32
	s_waitcnt vmcnt(0)
	v_add_nc_u32_e32 v1, v2, v1
	buffer_store_dword v1, v3, s[0:3], 0 offen
	s_cbranch_scc1 .LBB2123_83
; %bb.84:
	s_clause 0x7
	buffer_load_dword v1, off, s[0:3], 0 offset:32
	buffer_load_dword v2, off, s[0:3], 0 offset:36
	;; [unrolled: 1-line block ×8, first 2 shown]
.LBB2123_85:
	s_or_b32 exec_lo, exec_lo, s4
	v_and_b32_e32 v9, 1, v9
	v_and_b32_e32 v11, 1, v12
	v_cmp_eq_u32_e32 vcc_lo, 1, v9
	v_cmp_eq_u32_e64 s4, 1, v11
	s_or_b32 s4, vcc_lo, s4
	v_cndmask_b32_e64 v9, 0, 1, s4
	buffer_store_byte v9, off, s[0:3], 0 offset:304
	buffer_load_dword v11, off, s[0:3], 0 offset:304
	s_waitcnt vmcnt(8)
	buffer_store_dword v1, off, s[0:3], 0 offset:272
	s_waitcnt vmcnt(7)
	buffer_store_dword v2, off, s[0:3], 0 offset:276
	;; [unrolled: 2-line block ×8, first 2 shown]
	s_waitcnt vmcnt(0)
	v_mov_b32_e32 v9, v11
.LBB2123_86:
	s_or_b32 exec_lo, exec_lo, s5
	v_mov_b32_dpp v13, v1 row_shr:8 row_mask:0xf bank_mask:0xf
	v_mov_b32_dpp v12, v11 row_shr:8 row_mask:0xf bank_mask:0xf
	;; [unrolled: 1-line block ×5, first 2 shown]
	s_mov_b32 s5, exec_lo
	v_mov_b32_dpp v18, v5 row_shr:8 row_mask:0xf bank_mask:0xf
	v_mov_b32_dpp v19, v6 row_shr:8 row_mask:0xf bank_mask:0xf
	;; [unrolled: 1-line block ×4, first 2 shown]
	buffer_store_dword v13, off, s[0:3], 0 offset:176
	buffer_store_dword v14, off, s[0:3], 0 offset:180
	;; [unrolled: 1-line block ×9, first 2 shown]
	v_cmpx_lt_u32_e32 7, v10
	s_cbranch_execz .LBB2123_93
; %bb.87:
	v_mov_b32_e32 v10, 0
	s_mov_b32 s7, 0
	v_cmp_eq_u16_sdwa s18, v9, v10 src0_sel:BYTE_0 src1_sel:DWORD
	s_and_saveexec_b32 s4, s18
	s_cbranch_execz .LBB2123_92
.LBB2123_88:                            ; =>This Inner Loop Header: Depth=1
	v_add_nc_u32_e64 v1, s7, 32
	s_add_i32 s7, s7, 4
	s_cmp_lg_u32 s7, 32
	buffer_store_dword v10, v1, s[0:3], 0 offen
	s_cbranch_scc1 .LBB2123_88
; %bb.89:
	s_mov_b32 s7, 0
	.p2align	6
.LBB2123_90:                            ; =>This Inner Loop Header: Depth=1
	v_add_nc_u32_e64 v1, 0xb0, s7
	v_add_nc_u32_e64 v2, 0x110, s7
	;; [unrolled: 1-line block ×3, first 2 shown]
	s_add_i32 s7, s7, 4
	s_clause 0x1
	buffer_load_dword v1, v1, s[0:3], 0 offen
	buffer_load_dword v2, v2, s[0:3], 0 offen
	s_cmp_lg_u32 s7, 32
	s_waitcnt vmcnt(0)
	v_add_nc_u32_e32 v1, v2, v1
	buffer_store_dword v1, v3, s[0:3], 0 offen
	s_cbranch_scc1 .LBB2123_90
; %bb.91:
	s_clause 0x7
	buffer_load_dword v1, off, s[0:3], 0 offset:32
	buffer_load_dword v2, off, s[0:3], 0 offset:36
	;; [unrolled: 1-line block ×8, first 2 shown]
.LBB2123_92:
	s_or_b32 exec_lo, exec_lo, s4
	v_and_b32_e32 v9, 1, v9
	v_and_b32_e32 v10, 1, v12
	v_cmp_eq_u32_e32 vcc_lo, 1, v9
	v_cmp_eq_u32_e64 s4, 1, v10
	s_or_b32 s4, vcc_lo, s4
	v_cndmask_b32_e64 v9, 0, 1, s4
	buffer_store_byte v9, off, s[0:3], 0 offset:304
	buffer_load_dword v11, off, s[0:3], 0 offset:304
	s_waitcnt vmcnt(8)
	buffer_store_dword v1, off, s[0:3], 0 offset:272
	s_waitcnt vmcnt(7)
	buffer_store_dword v2, off, s[0:3], 0 offset:276
	;; [unrolled: 2-line block ×8, first 2 shown]
	s_waitcnt vmcnt(0)
	v_mov_b32_e32 v9, v11
.LBB2123_93:
	s_or_b32 exec_lo, exec_lo, s5
	ds_swizzle_b32 v12, v1 offset:swizzle(BROADCAST,32,15)
	ds_swizzle_b32 v10, v11 offset:swizzle(BROADCAST,32,15)
	;; [unrolled: 1-line block ×9, first 2 shown]
	v_and_b32_e32 v11, 16, v17
	s_mov_b32 s5, exec_lo
	s_waitcnt lgkmcnt(8)
	buffer_store_dword v12, off, s[0:3], 0 offset:176
	s_waitcnt lgkmcnt(6)
	buffer_store_dword v13, off, s[0:3], 0 offset:180
	;; [unrolled: 2-line block ×8, first 2 shown]
	buffer_store_dword v10, off, s[0:3], 0 offset:208
	v_cmpx_ne_u32_e32 0, v11
	s_cbranch_execz .LBB2123_100
; %bb.94:
	v_mov_b32_e32 v11, 0
	s_mov_b32 s7, 0
	v_cmp_eq_u16_sdwa s18, v9, v11 src0_sel:BYTE_0 src1_sel:DWORD
	s_and_saveexec_b32 s4, s18
	s_cbranch_execz .LBB2123_99
.LBB2123_95:                            ; =>This Inner Loop Header: Depth=1
	v_add_nc_u32_e64 v1, s7, 32
	s_add_i32 s7, s7, 4
	s_cmp_lg_u32 s7, 32
	buffer_store_dword v11, v1, s[0:3], 0 offen
	s_cbranch_scc1 .LBB2123_95
; %bb.96:
	s_mov_b32 s7, 0
	.p2align	6
.LBB2123_97:                            ; =>This Inner Loop Header: Depth=1
	v_add_nc_u32_e64 v1, 0xb0, s7
	v_add_nc_u32_e64 v2, 0x110, s7
	v_add_nc_u32_e64 v3, s7, 32
	s_add_i32 s7, s7, 4
	s_clause 0x1
	buffer_load_dword v1, v1, s[0:3], 0 offen
	buffer_load_dword v2, v2, s[0:3], 0 offen
	s_cmp_lg_u32 s7, 32
	s_waitcnt vmcnt(0)
	v_add_nc_u32_e32 v1, v2, v1
	buffer_store_dword v1, v3, s[0:3], 0 offen
	s_cbranch_scc1 .LBB2123_97
; %bb.98:
	s_clause 0x7
	buffer_load_dword v1, off, s[0:3], 0 offset:32
	buffer_load_dword v2, off, s[0:3], 0 offset:36
	;; [unrolled: 1-line block ×8, first 2 shown]
.LBB2123_99:
	s_or_b32 exec_lo, exec_lo, s4
	v_and_b32_e32 v9, 1, v9
	v_and_b32_e32 v10, 1, v10
	s_waitcnt vmcnt(7)
	buffer_store_dword v1, off, s[0:3], 0 offset:272
	s_waitcnt vmcnt(6)
	buffer_store_dword v2, off, s[0:3], 0 offset:276
	;; [unrolled: 2-line block ×3, first 2 shown]
	v_cmp_eq_u32_e32 vcc_lo, 1, v9
	v_cmp_eq_u32_e64 s4, 1, v10
	s_or_b32 s4, vcc_lo, s4
	v_cndmask_b32_e64 v9, 0, 1, s4
	s_waitcnt vmcnt(4)
	buffer_store_dword v4, off, s[0:3], 0 offset:284
	s_waitcnt vmcnt(3)
	buffer_store_dword v5, off, s[0:3], 0 offset:288
	;; [unrolled: 2-line block ×5, first 2 shown]
	buffer_store_byte v9, off, s[0:3], 0 offset:304
.LBB2123_100:
	s_or_b32 exec_lo, exec_lo, s5
	v_or_b32_e32 v11, 31, v0
	v_lshrrev_b32_e32 v10, 5, v0
	s_mov_b32 s4, exec_lo
	v_cmpx_eq_u32_e64 v0, v11
	s_cbranch_execz .LBB2123_102
; %bb.101:
	v_mul_u32_u24_e32 v11, 36, v10
	ds_write2_b32 v11, v1, v2 offset1:1
	ds_write2_b32 v11, v3, v4 offset0:2 offset1:3
	ds_write2_b32 v11, v5, v6 offset0:4 offset1:5
	;; [unrolled: 1-line block ×3, first 2 shown]
	ds_write_b8 v11, v9 offset:32
.LBB2123_102:
	s_or_b32 exec_lo, exec_lo, s4
	s_mov_b32 s5, exec_lo
	s_waitcnt lgkmcnt(0)
	s_waitcnt_vscnt null, 0x0
	s_barrier
	buffer_gl0_inv
	v_cmpx_gt_u32_e32 8, v0
	s_cbranch_execz .LBB2123_126
; %bb.103:
	v_mul_u32_u24_e32 v9, 36, v0
	v_and_b32_e32 v12, 7, v17
	ds_read_b32 v11, v9 offset:32
	ds_read2_b32 v[1:2], v9 offset0:2 offset1:3
	ds_read2_b32 v[5:6], v9 offset0:4 offset1:5
	ds_read2_b32 v[3:4], v9 offset1:1
	ds_read2_b32 v[7:8], v9 offset0:6 offset1:7
	v_cmp_ne_u32_e32 vcc_lo, 0, v12
	s_waitcnt lgkmcnt(4)
	buffer_store_dword v11, off, s[0:3], 0 offset:64
	s_waitcnt lgkmcnt(3)
	buffer_store_dword v1, off, s[0:3], 0 offset:40
	;; [unrolled: 2-line block ×3, first 2 shown]
	buffer_store_dword v3, off, s[0:3], 0 offset:32
	buffer_store_dword v2, off, s[0:3], 0 offset:44
	s_waitcnt lgkmcnt(0)
	buffer_store_dword v7, off, s[0:3], 0 offset:56
	buffer_store_dword v6, off, s[0:3], 0 offset:52
	;; [unrolled: 1-line block ×4, first 2 shown]
	v_mov_b32_dpp v14, v3 row_shr:1 row_mask:0xf bank_mask:0xf
	v_mov_b32_dpp v13, v11 row_shr:1 row_mask:0xf bank_mask:0xf
	;; [unrolled: 1-line block ×9, first 2 shown]
	buffer_store_dword v14, off, s[0:3], 0 offset:176
	buffer_store_dword v15, off, s[0:3], 0 offset:180
	;; [unrolled: 1-line block ×9, first 2 shown]
	s_and_saveexec_b32 s4, vcc_lo
	s_cbranch_execz .LBB2123_111
; %bb.104:
	v_mov_b32_e32 v14, 0
	v_cmp_eq_u16_sdwa s18, v11, v14 src0_sel:BYTE_0 src1_sel:DWORD
	s_and_saveexec_b32 s7, s18
	s_cbranch_execz .LBB2123_110
; %bb.105:
	s_mov_b32 s18, 0
.LBB2123_106:                           ; =>This Inner Loop Header: Depth=1
	v_add_nc_u32_e64 v1, 0x44, s18
	s_add_i32 s18, s18, 4
	s_cmp_lg_u32 s18, 32
	buffer_store_dword v14, v1, s[0:3], 0 offen
	s_cbranch_scc1 .LBB2123_106
; %bb.107:
	s_mov_b32 s18, 0
	.p2align	6
.LBB2123_108:                           ; =>This Inner Loop Header: Depth=1
	v_add_nc_u32_e64 v1, 0xb0, s18
	v_add_nc_u32_e64 v2, s18, 32
	;; [unrolled: 1-line block ×3, first 2 shown]
	s_add_i32 s18, s18, 4
	s_clause 0x1
	buffer_load_dword v1, v1, s[0:3], 0 offen
	buffer_load_dword v2, v2, s[0:3], 0 offen
	s_cmp_lg_u32 s18, 32
	s_waitcnt vmcnt(0)
	v_add_nc_u32_e32 v1, v2, v1
	buffer_store_dword v1, v3, s[0:3], 0 offen
	s_cbranch_scc1 .LBB2123_108
; %bb.109:
	s_clause 0x7
	buffer_load_dword v3, off, s[0:3], 0 offset:68
	buffer_load_dword v4, off, s[0:3], 0 offset:72
	;; [unrolled: 1-line block ×8, first 2 shown]
.LBB2123_110:
	s_or_b32 exec_lo, exec_lo, s7
	v_or_b32_e32 v11, v13, v11
	v_and_b32_e32 v11, 1, v11
	buffer_store_byte v11, off, s[0:3], 0 offset:64
	buffer_load_dword v11, off, s[0:3], 0 offset:64
	s_waitcnt vmcnt(8)
	buffer_store_dword v3, off, s[0:3], 0 offset:32
	s_waitcnt vmcnt(7)
	buffer_store_dword v4, off, s[0:3], 0 offset:36
	;; [unrolled: 2-line block ×8, first 2 shown]
.LBB2123_111:
	s_or_b32 exec_lo, exec_lo, s4
	v_mov_b32_dpp v14, v3 row_shr:2 row_mask:0xf bank_mask:0xf
	s_waitcnt vmcnt(0)
	v_mov_b32_dpp v13, v11 row_shr:2 row_mask:0xf bank_mask:0xf
	v_mov_b32_dpp v15, v4 row_shr:2 row_mask:0xf bank_mask:0xf
	;; [unrolled: 1-line block ×4, first 2 shown]
	s_mov_b32 s7, exec_lo
	v_mov_b32_dpp v19, v5 row_shr:2 row_mask:0xf bank_mask:0xf
	v_mov_b32_dpp v20, v6 row_shr:2 row_mask:0xf bank_mask:0xf
	;; [unrolled: 1-line block ×4, first 2 shown]
	buffer_store_dword v14, off, s[0:3], 0 offset:176
	buffer_store_dword v15, off, s[0:3], 0 offset:180
	;; [unrolled: 1-line block ×9, first 2 shown]
	v_cmpx_lt_u32_e32 1, v12
	s_cbranch_execz .LBB2123_118
; %bb.112:
	v_mov_b32_e32 v14, 0
	s_mov_b32 s18, 0
	v_cmp_eq_u16_sdwa s19, v11, v14 src0_sel:BYTE_0 src1_sel:DWORD
	s_and_saveexec_b32 s4, s19
	s_cbranch_execz .LBB2123_117
.LBB2123_113:                           ; =>This Inner Loop Header: Depth=1
	v_add_nc_u32_e64 v1, 0x44, s18
	s_add_i32 s18, s18, 4
	s_cmp_lg_u32 s18, 32
	buffer_store_dword v14, v1, s[0:3], 0 offen
	s_cbranch_scc1 .LBB2123_113
; %bb.114:
	s_mov_b32 s18, 0
	.p2align	6
.LBB2123_115:                           ; =>This Inner Loop Header: Depth=1
	v_add_nc_u32_e64 v1, 0xb0, s18
	v_add_nc_u32_e64 v2, s18, 32
	;; [unrolled: 1-line block ×3, first 2 shown]
	s_add_i32 s18, s18, 4
	s_clause 0x1
	buffer_load_dword v1, v1, s[0:3], 0 offen
	buffer_load_dword v2, v2, s[0:3], 0 offen
	s_cmp_lg_u32 s18, 32
	s_waitcnt vmcnt(0)
	v_add_nc_u32_e32 v1, v2, v1
	buffer_store_dword v1, v3, s[0:3], 0 offen
	s_cbranch_scc1 .LBB2123_115
; %bb.116:
	s_clause 0x7
	buffer_load_dword v3, off, s[0:3], 0 offset:68
	buffer_load_dword v4, off, s[0:3], 0 offset:72
	buffer_load_dword v1, off, s[0:3], 0 offset:76
	buffer_load_dword v2, off, s[0:3], 0 offset:80
	buffer_load_dword v5, off, s[0:3], 0 offset:84
	buffer_load_dword v6, off, s[0:3], 0 offset:88
	buffer_load_dword v7, off, s[0:3], 0 offset:92
	buffer_load_dword v8, off, s[0:3], 0 offset:96
.LBB2123_117:
	s_or_b32 exec_lo, exec_lo, s4
	v_and_b32_e32 v11, 1, v11
	v_and_b32_e32 v13, 1, v13
	v_cmp_eq_u32_e32 vcc_lo, 1, v11
	v_cmp_eq_u32_e64 s4, 1, v13
	s_or_b32 s4, vcc_lo, s4
	v_cndmask_b32_e64 v11, 0, 1, s4
	buffer_store_byte v11, off, s[0:3], 0 offset:64
	buffer_load_dword v11, off, s[0:3], 0 offset:64
	s_waitcnt vmcnt(8)
	buffer_store_dword v3, off, s[0:3], 0 offset:32
	s_waitcnt vmcnt(7)
	buffer_store_dword v4, off, s[0:3], 0 offset:36
	;; [unrolled: 2-line block ×8, first 2 shown]
.LBB2123_118:
	s_or_b32 exec_lo, exec_lo, s7
	v_mov_b32_dpp v14, v3 row_shr:4 row_mask:0xf bank_mask:0xf
	s_waitcnt vmcnt(0)
	v_mov_b32_dpp v13, v11 row_shr:4 row_mask:0xf bank_mask:0xf
	v_mov_b32_dpp v15, v4 row_shr:4 row_mask:0xf bank_mask:0xf
	v_mov_b32_dpp v16, v1 row_shr:4 row_mask:0xf bank_mask:0xf
	v_mov_b32_dpp v18, v2 row_shr:4 row_mask:0xf bank_mask:0xf
	s_mov_b32 s7, exec_lo
	v_mov_b32_dpp v19, v5 row_shr:4 row_mask:0xf bank_mask:0xf
	v_mov_b32_dpp v20, v6 row_shr:4 row_mask:0xf bank_mask:0xf
	;; [unrolled: 1-line block ×4, first 2 shown]
	buffer_store_dword v14, off, s[0:3], 0 offset:176
	buffer_store_dword v15, off, s[0:3], 0 offset:180
	;; [unrolled: 1-line block ×9, first 2 shown]
	v_cmpx_lt_u32_e32 3, v12
	s_cbranch_execz .LBB2123_125
; %bb.119:
	v_mov_b32_e32 v12, 0
	s_mov_b32 s18, 0
	v_cmp_eq_u16_sdwa s19, v11, v12 src0_sel:BYTE_0 src1_sel:DWORD
	s_and_saveexec_b32 s4, s19
	s_cbranch_execz .LBB2123_124
.LBB2123_120:                           ; =>This Inner Loop Header: Depth=1
	v_add_nc_u32_e64 v1, 0x44, s18
	s_add_i32 s18, s18, 4
	s_cmp_lg_u32 s18, 32
	buffer_store_dword v12, v1, s[0:3], 0 offen
	s_cbranch_scc1 .LBB2123_120
; %bb.121:
	s_mov_b32 s18, 0
	.p2align	6
.LBB2123_122:                           ; =>This Inner Loop Header: Depth=1
	v_add_nc_u32_e64 v1, 0xb0, s18
	v_add_nc_u32_e64 v2, s18, 32
	;; [unrolled: 1-line block ×3, first 2 shown]
	s_add_i32 s18, s18, 4
	s_clause 0x1
	buffer_load_dword v1, v1, s[0:3], 0 offen
	buffer_load_dword v2, v2, s[0:3], 0 offen
	s_cmp_lg_u32 s18, 32
	s_waitcnt vmcnt(0)
	v_add_nc_u32_e32 v1, v2, v1
	buffer_store_dword v1, v3, s[0:3], 0 offen
	s_cbranch_scc1 .LBB2123_122
; %bb.123:
	s_clause 0x7
	buffer_load_dword v3, off, s[0:3], 0 offset:68
	buffer_load_dword v4, off, s[0:3], 0 offset:72
	;; [unrolled: 1-line block ×8, first 2 shown]
.LBB2123_124:
	s_or_b32 exec_lo, exec_lo, s4
	v_and_b32_e32 v11, 1, v11
	v_and_b32_e32 v12, 1, v13
	s_waitcnt vmcnt(7)
	buffer_store_dword v3, off, s[0:3], 0 offset:32
	s_waitcnt vmcnt(6)
	buffer_store_dword v4, off, s[0:3], 0 offset:36
	;; [unrolled: 2-line block ×8, first 2 shown]
	v_cmp_eq_u32_e32 vcc_lo, 1, v11
	v_cmp_eq_u32_e64 s4, 1, v12
	s_or_b32 s4, vcc_lo, s4
	v_cndmask_b32_e64 v11, 0, 1, s4
.LBB2123_125:
	s_or_b32 exec_lo, exec_lo, s7
	s_clause 0x7
	buffer_load_dword v1, off, s[0:3], 0 offset:32
	buffer_load_dword v2, off, s[0:3], 0 offset:36
	;; [unrolled: 1-line block ×8, first 2 shown]
	s_waitcnt vmcnt(4)
	ds_write2_b32 v9, v3, v4 offset0:2 offset1:3
	ds_write2_b32 v9, v1, v2 offset1:1
	s_waitcnt vmcnt(1)
	ds_write2_b32 v9, v6, v7 offset0:6 offset1:7
	s_waitcnt vmcnt(0)
	ds_write2_b32 v9, v5, v8 offset0:4 offset1:5
	ds_write_b8 v9, v11 offset:32
.LBB2123_126:
	s_or_b32 exec_lo, exec_lo, s5
	v_mov_b32_e32 v1, 0
	s_mov_b32 s4, 0
	s_waitcnt lgkmcnt(0)
	s_waitcnt_vscnt null, 0x0
	s_barrier
	buffer_gl0_inv
	buffer_store_dword v1, off, s[0:3], 0 offset:204
	buffer_store_dword v1, off, s[0:3], 0 offset:200
	;; [unrolled: 1-line block ×9, first 2 shown]
.LBB2123_127:                           ; =>This Inner Loop Header: Depth=1
	v_add_nc_u32_e64 v2, 0xb0, s4
	s_add_i32 s4, s4, 4
	s_cmp_lg_u32 s4, 32
	buffer_store_dword v1, v2, s[0:3], 0 offen
	s_cbranch_scc1 .LBB2123_127
; %bb.128:
	s_mov_b32 s5, exec_lo
	v_cmp_gt_u32_e32 vcc_lo, 32, v0
                                        ; implicit-def: $vgpr2
                                        ; implicit-def: $vgpr3
                                        ; implicit-def: $vgpr4
                                        ; implicit-def: $vgpr5
                                        ; implicit-def: $vgpr6
                                        ; implicit-def: $vgpr8
                                        ; implicit-def: $vgpr9
                                        ; implicit-def: $vgpr7
                                        ; implicit-def: $vgpr1
	v_cmpx_lt_u32_e32 31, v0
	s_xor_b32 s5, exec_lo, s5
	s_cbranch_execz .LBB2123_138
; %bb.129:
	buffer_load_ubyte v11, off, s[0:3], 0 offset:304
	v_mad_u32_u24 v1, v10, 36, 0xffffffdc
	v_mad_u32_u24 v10, v10, 36, -4
	ds_read2_b32 v[2:3], v1 offset0:2 offset1:3
	ds_read2_b32 v[4:5], v1 offset0:4 offset1:5
	ds_read2_b32 v[6:7], v1 offset1:1
	ds_read2_b32 v[8:9], v1 offset0:6 offset1:7
	ds_read_u8 v1, v10
	s_waitcnt lgkmcnt(4)
	buffer_store_dword v3, off, s[0:3], 0 offset:188
	buffer_store_dword v2, off, s[0:3], 0 offset:184
	s_waitcnt lgkmcnt(2)
	buffer_store_dword v7, off, s[0:3], 0 offset:180
	buffer_store_dword v6, off, s[0:3], 0 offset:176
	;; [unrolled: 3-line block ×3, first 2 shown]
	buffer_store_dword v5, off, s[0:3], 0 offset:196
	buffer_store_dword v4, off, s[0:3], 0 offset:192
                                        ; implicit-def: $vgpr7
                                        ; implicit-def: $vgpr2
                                        ; implicit-def: $vgpr3
                                        ; implicit-def: $vgpr4
                                        ; implicit-def: $vgpr5
                                        ; implicit-def: $vgpr6
                                        ; implicit-def: $vgpr8
                                        ; implicit-def: $vgpr9
	s_waitcnt vmcnt(0)
	v_cmp_ne_u16_e64 s4, 0, v11
	s_and_saveexec_b32 s7, s4
	s_xor_b32 s4, exec_lo, s7
	s_cbranch_execz .LBB2123_131
; %bb.130:
	s_clause 0x7
	buffer_load_dword v2, off, s[0:3], 0 offset:272
	buffer_load_dword v3, off, s[0:3], 0 offset:276
	;; [unrolled: 1-line block ×8, first 2 shown]
.LBB2123_131:
	s_andn2_saveexec_b32 s4, s4
	s_cbranch_execz .LBB2123_137
; %bb.132:
	s_waitcnt vmcnt(7)
	v_mov_b32_e32 v2, 0
	s_mov_b32 s7, 0
.LBB2123_133:                           ; =>This Inner Loop Header: Depth=1
	s_waitcnt vmcnt(6)
	v_add_nc_u32_e64 v3, s7, 32
	s_add_i32 s7, s7, 4
	s_cmp_lg_u32 s7, 32
	buffer_store_dword v2, v3, s[0:3], 0 offen
	s_cbranch_scc1 .LBB2123_133
; %bb.134:
	s_mov_b32 s7, 0
	.p2align	6
.LBB2123_135:                           ; =>This Inner Loop Header: Depth=1
	v_add_nc_u32_e64 v2, 0xb0, s7
	v_add_nc_u32_e64 v3, 0x110, s7
	s_waitcnt vmcnt(5)
	v_add_nc_u32_e64 v4, s7, 32
	s_add_i32 s7, s7, 4
	s_clause 0x1
	buffer_load_dword v2, v2, s[0:3], 0 offen
	buffer_load_dword v3, v3, s[0:3], 0 offen
	s_cmp_lg_u32 s7, 32
	s_waitcnt vmcnt(0)
	v_add_nc_u32_e32 v2, v3, v2
	buffer_store_dword v2, v4, s[0:3], 0 offen
	s_cbranch_scc1 .LBB2123_135
; %bb.136:
	s_clause 0x7
	buffer_load_dword v2, off, s[0:3], 0 offset:32
	buffer_load_dword v3, off, s[0:3], 0 offset:36
	;; [unrolled: 1-line block ×8, first 2 shown]
.LBB2123_137:
	s_or_b32 exec_lo, exec_lo, s4
	s_waitcnt lgkmcnt(0)
	v_or_b32_e32 v10, v11, v1
	buffer_store_byte v10, off, s[0:3], 0 offset:304
.LBB2123_138:
	s_andn2_saveexec_b32 s4, s5
	s_cbranch_execz .LBB2123_140
; %bb.139:
	s_clause 0x7
	buffer_load_dword v2, off, s[0:3], 0 offset:272
	buffer_load_dword v3, off, s[0:3], 0 offset:276
	;; [unrolled: 1-line block ×8, first 2 shown]
	v_mov_b32_e32 v1, 0
.LBB2123_140:
	s_or_b32 exec_lo, exec_lo, s4
	buffer_load_dword v10, off, s[0:3], 0 offset:304
	v_sub_co_u32 v11, s18, v17, 1
	v_cmp_gt_i32_e64 s4, 0, v11
	v_cndmask_b32_e64 v11, v11, v17, s4
	v_lshlrev_b32_e32 v11, 2, v11
	s_waitcnt vmcnt(8)
	ds_bpermute_b32 v2, v11, v2
	s_waitcnt vmcnt(7)
	ds_bpermute_b32 v3, v11, v3
	;; [unrolled: 2-line block ×3, first 2 shown]
	ds_bpermute_b32 v4, v11, v4
	s_waitcnt vmcnt(2)
	ds_bpermute_b32 v9, v11, v9
	ds_bpermute_b32 v5, v11, v5
	s_waitcnt vmcnt(1)
	ds_bpermute_b32 v7, v11, v7
	ds_bpermute_b32 v6, v11, v6
	s_waitcnt lgkmcnt(7)
	buffer_store_dword v2, off, s[0:3], 0 offset:272
	s_waitcnt lgkmcnt(6)
	buffer_store_dword v3, off, s[0:3], 0 offset:276
	;; [unrolled: 2-line block ×5, first 2 shown]
	s_waitcnt vmcnt(0)
	ds_bpermute_b32 v10, v11, v10
	buffer_store_dword v8, off, s[0:3], 0 offset:292
	buffer_store_dword v9, off, s[0:3], 0 offset:296
	;; [unrolled: 1-line block ×3, first 2 shown]
	s_waitcnt lgkmcnt(0)
	buffer_store_byte v10, off, s[0:3], 0 offset:304
	v_and_b32_e32 v2, 1, v10
	v_cmp_eq_u32_e64 s5, 1, v2
	s_and_saveexec_b32 s7, s18
	s_cbranch_execz .LBB2123_142
; %bb.141:
	s_clause 0x7
	buffer_load_dword v2, off, s[0:3], 0 offset:188
	buffer_load_dword v3, off, s[0:3], 0 offset:184
	buffer_load_dword v4, off, s[0:3], 0 offset:180
	buffer_load_dword v5, off, s[0:3], 0 offset:176
	buffer_load_dword v6, off, s[0:3], 0 offset:204
	buffer_load_dword v7, off, s[0:3], 0 offset:200
	buffer_load_dword v8, off, s[0:3], 0 offset:196
	buffer_load_dword v9, off, s[0:3], 0 offset:192
	v_and_b32_e32 v10, 1, v1
	s_andn2_b32 s5, s5, exec_lo
	s_waitcnt vmcnt(7)
	buffer_store_dword v2, off, s[0:3], 0 offset:284
	s_waitcnt vmcnt(6)
	buffer_store_dword v3, off, s[0:3], 0 offset:280
	;; [unrolled: 2-line block ×8, first 2 shown]
	buffer_store_byte v1, off, s[0:3], 0 offset:304
	v_cmp_eq_u32_e64 s4, 1, v10
	s_and_b32 s4, s4, exec_lo
	s_or_b32 s5, s5, s4
.LBB2123_142:
	s_or_b32 exec_lo, exec_lo, s7
	s_and_saveexec_b32 s7, vcc_lo
	s_cbranch_execz .LBB2123_264
; %bb.143:
	v_mov_b32_e32 v9, 0
	ds_read2_b32 v[1:2], v9 offset0:63 offset1:64
	ds_read2_b32 v[3:4], v9 offset0:65 offset1:66
	ds_read2_b32 v[5:6], v9 offset0:67 offset1:68
	ds_read2_b32 v[7:8], v9 offset0:69 offset1:70
	ds_read_b32 v18, v9 offset:284
	s_waitcnt lgkmcnt(4)
	buffer_store_dword v1, off, s[0:3], 0 offset:140
	buffer_store_dword v2, off, s[0:3], 0 offset:144
	s_waitcnt lgkmcnt(3)
	buffer_store_dword v3, off, s[0:3], 0 offset:148
	buffer_store_dword v4, off, s[0:3], 0 offset:152
	;; [unrolled: 3-line block ×4, first 2 shown]
	s_waitcnt lgkmcnt(0)
	buffer_store_dword v18, off, s[0:3], 0 offset:172
	s_and_saveexec_b32 s4, s18
	s_cbranch_execz .LBB2123_145
; %bb.144:
	s_add_i32 s19, s6, 32
	v_mov_b32_e32 v10, 1
	s_mul_i32 s20, s19, 36
	v_mov_b32_e32 v11, s19
	s_mul_hi_u32 s21, s19, 36
	s_add_u32 s20, s8, s20
	s_addc_u32 s21, s9, s21
	global_store_dwordx4 v9, v[1:4], s[20:21]
	global_store_dwordx4 v9, v[5:8], s[20:21] offset:16
	global_store_byte v9, v18, s[20:21] offset:32
	s_waitcnt_vscnt null, 0x0
	buffer_gl1_inv
	buffer_gl0_inv
	global_store_byte v11, v10, s[12:13]
.LBB2123_145:
	s_or_b32 exec_lo, exec_lo, s4
	s_mov_b32 s4, 0
	buffer_store_dword v9, off, s[0:3], 0 offset:132
	buffer_store_dword v9, off, s[0:3], 0 offset:128
	;; [unrolled: 1-line block ×9, first 2 shown]
.LBB2123_146:                           ; =>This Inner Loop Header: Depth=1
	v_add_nc_u32_e64 v10, 0x68, s4
	s_add_i32 s4, s4, 4
	s_cmp_lg_u32 s4, 32
	buffer_store_dword v9, v10, s[0:3], 0 offen
	s_cbranch_scc1 .LBB2123_146
; %bb.147:
	v_mov_b32_e32 v9, 0
	s_mov_b32 s4, 0
	buffer_store_byte v9, off, s[0:3], 0 offset:136
	buffer_store_dword v9, off, s[0:3], 0 offset:60
	buffer_store_dword v9, off, s[0:3], 0 offset:56
	;; [unrolled: 1-line block ×9, first 2 shown]
.LBB2123_148:                           ; =>This Inner Loop Header: Depth=1
	v_add_nc_u32_e64 v10, s4, 32
	s_add_i32 s4, s4, 4
	s_cmp_lg_u32 s4, 32
	buffer_store_dword v9, v10, s[0:3], 0 offen
	s_cbranch_scc1 .LBB2123_148
; %bb.149:
	v_xad_u32 v19, v17, -1, s6
	v_mov_b32_e32 v9, 0
	s_mov_b32 s4, exec_lo
	v_add_nc_u32_e32 v11, 32, v19
	buffer_store_byte v9, off, s[0:3], 0 offset:64
	global_load_ubyte v20, v11, s[12:13] glc dlc
	s_waitcnt vmcnt(0)
	v_cmpx_eq_u16_e32 0, v20
	s_cbranch_execz .LBB2123_153
; %bb.150:
	v_add_co_u32 v9, s19, s12, v11
	v_add_co_ci_u32_e64 v10, null, s13, 0, s19
	s_mov_b32 s19, 0
.LBB2123_151:                           ; =>This Inner Loop Header: Depth=1
	global_load_ubyte v20, v[9:10], off glc dlc
	s_waitcnt vmcnt(0)
	v_cmp_ne_u16_e32 vcc_lo, 0, v20
	s_or_b32 s19, vcc_lo, s19
	s_andn2_b32 exec_lo, exec_lo, s19
	s_cbranch_execnz .LBB2123_151
; %bb.152:
	s_or_b32 exec_lo, exec_lo, s19
.LBB2123_153:
	s_or_b32 exec_lo, exec_lo, s4
	v_mov_b32_e32 v9, s9
	v_mov_b32_e32 v12, s8
	v_cmp_eq_u16_e32 vcc_lo, 1, v20
	s_waitcnt_vscnt null, 0x0
	buffer_gl1_inv
	buffer_gl0_inv
	s_mov_b32 s4, 0
	v_cndmask_b32_e32 v10, s11, v9, vcc_lo
	v_cndmask_b32_e32 v9, s10, v12, vcc_lo
	v_mad_u64_u32 v[21:22], null, v11, 36, v[9:10]
	s_clause 0x2
	global_load_dwordx4 v[9:12], v[21:22], off
	global_load_dwordx4 v[13:16], v[21:22], off offset:16
	global_load_ubyte v22, v[21:22], off offset:32
	v_mov_b32_e32 v21, 0
	s_waitcnt vmcnt(2)
	buffer_store_dword v10, off, s[0:3], 0 offset:36
	buffer_store_dword v9, off, s[0:3], 0 offset:32
	;; [unrolled: 1-line block ×4, first 2 shown]
	s_waitcnt vmcnt(1)
	buffer_store_dword v15, off, s[0:3], 0 offset:56
	buffer_store_dword v14, off, s[0:3], 0 offset:52
	buffer_store_dword v13, off, s[0:3], 0 offset:48
	buffer_store_dword v16, off, s[0:3], 0 offset:60
	s_waitcnt vmcnt(0)
	buffer_store_byte v22, off, s[0:3], 0 offset:64
	buffer_store_dword v9, off, s[0:3], 0 offset:104
	buffer_store_dword v10, off, s[0:3], 0 offset:108
	;; [unrolled: 1-line block ×8, first 2 shown]
	buffer_store_byte v22, off, s[0:3], 0 offset:136
	buffer_store_dword v21, off, s[0:3], 0 offset:208
.LBB2123_154:                           ; =>This Inner Loop Header: Depth=1
	v_add_nc_u32_e64 v22, 0xb0, s4
	s_add_i32 s4, s4, 4
	s_cmp_lg_u32 s4, 32
	buffer_store_dword v21, v22, s[0:3], 0 offen
	s_cbranch_scc1 .LBB2123_154
; %bb.155:
	buffer_load_dword v31, off, s[0:3], 0 offset:136
	v_cmp_ne_u32_e32 vcc_lo, 31, v17
	v_lshlrev_b32_e64 v22, v17, -1
	s_mov_b32 s4, exec_lo
	v_add_co_ci_u32_e64 v21, null, 0, v17, vcc_lo
	v_cmp_eq_u16_e32 vcc_lo, 2, v20
	v_lshlrev_b32_e32 v21, 2, v21
	v_and_or_b32 v32, vcc_lo, v22, 0x80000000
	ds_bpermute_b32 v24, v21, v9
	ds_bpermute_b32 v25, v21, v10
	;; [unrolled: 1-line block ×8, first 2 shown]
	v_ffbl_b32_e32 v32, v32
	s_waitcnt lgkmcnt(7)
	buffer_store_dword v24, off, s[0:3], 0 offset:176
	s_waitcnt lgkmcnt(6)
	buffer_store_dword v25, off, s[0:3], 0 offset:180
	;; [unrolled: 2-line block ×8, first 2 shown]
	s_waitcnt vmcnt(0)
	ds_bpermute_b32 v23, v21, v31
	v_cmpx_lt_u32_e64 v17, v32
	s_cbranch_execz .LBB2123_163
; %bb.156:
	v_mov_b32_e32 v24, 0
	v_cmp_eq_u16_sdwa s20, v31, v24 src0_sel:BYTE_0 src1_sel:DWORD
	s_and_saveexec_b32 s19, s20
	s_cbranch_execz .LBB2123_162
; %bb.157:
	s_mov_b32 s20, 0
.LBB2123_158:                           ; =>This Inner Loop Header: Depth=1
	v_add_nc_u32_e64 v9, 0x44, s20
	s_add_i32 s20, s20, 4
	s_cmp_lg_u32 s20, 32
	buffer_store_dword v24, v9, s[0:3], 0 offen
	s_cbranch_scc1 .LBB2123_158
; %bb.159:
	s_mov_b32 s20, 0
	.p2align	6
.LBB2123_160:                           ; =>This Inner Loop Header: Depth=1
	v_add_nc_u32_e64 v9, 0xb0, s20
	v_add_nc_u32_e64 v10, 0x68, s20
	;; [unrolled: 1-line block ×3, first 2 shown]
	s_add_i32 s20, s20, 4
	s_clause 0x1
	buffer_load_dword v9, v9, s[0:3], 0 offen
	buffer_load_dword v10, v10, s[0:3], 0 offen
	s_cmp_lg_u32 s20, 32
	s_waitcnt vmcnt(0)
	v_add_nc_u32_e32 v9, v10, v9
	buffer_store_dword v9, v11, s[0:3], 0 offen
	s_cbranch_scc1 .LBB2123_160
; %bb.161:
	s_clause 0x7
	buffer_load_dword v9, off, s[0:3], 0 offset:68
	buffer_load_dword v10, off, s[0:3], 0 offset:72
	;; [unrolled: 1-line block ×8, first 2 shown]
.LBB2123_162:
	s_or_b32 exec_lo, exec_lo, s19
	s_waitcnt lgkmcnt(0)
	v_or_b32_e32 v23, v23, v31
	v_and_b32_e32 v23, 1, v23
	buffer_store_byte v23, off, s[0:3], 0 offset:136
	buffer_load_dword v31, off, s[0:3], 0 offset:136
	s_waitcnt vmcnt(8)
	buffer_store_dword v9, off, s[0:3], 0 offset:104
	s_waitcnt vmcnt(7)
	buffer_store_dword v10, off, s[0:3], 0 offset:108
	;; [unrolled: 2-line block ×8, first 2 shown]
.LBB2123_163:
	s_or_b32 exec_lo, exec_lo, s4
	v_cmp_gt_u32_e32 vcc_lo, 30, v17
	v_add_nc_u32_e32 v24, 2, v17
	s_mov_b32 s19, exec_lo
	s_waitcnt lgkmcnt(0)
	v_cndmask_b32_e64 v23, 0, 2, vcc_lo
	v_add_lshl_u32 v23, v23, v17, 2
	ds_bpermute_b32 v26, v23, v9
	s_waitcnt vmcnt(0)
	ds_bpermute_b32 v25, v23, v31
	ds_bpermute_b32 v27, v23, v10
	;; [unrolled: 1-line block ×8, first 2 shown]
	s_waitcnt lgkmcnt(8)
	buffer_store_dword v26, off, s[0:3], 0 offset:176
	s_waitcnt lgkmcnt(6)
	buffer_store_dword v27, off, s[0:3], 0 offset:180
	;; [unrolled: 2-line block ×8, first 2 shown]
	v_cmpx_le_u32_e64 v24, v32
	s_cbranch_execz .LBB2123_171
; %bb.164:
	v_mov_b32_e32 v26, 0
	v_cmp_eq_u16_sdwa s20, v31, v26 src0_sel:BYTE_0 src1_sel:DWORD
	s_and_saveexec_b32 s4, s20
	s_cbranch_execz .LBB2123_170
; %bb.165:
	s_mov_b32 s20, 0
.LBB2123_166:                           ; =>This Inner Loop Header: Depth=1
	v_add_nc_u32_e64 v9, 0x44, s20
	s_add_i32 s20, s20, 4
	s_cmp_lg_u32 s20, 32
	buffer_store_dword v26, v9, s[0:3], 0 offen
	s_cbranch_scc1 .LBB2123_166
; %bb.167:
	s_mov_b32 s20, 0
	.p2align	6
.LBB2123_168:                           ; =>This Inner Loop Header: Depth=1
	v_add_nc_u32_e64 v9, 0xb0, s20
	v_add_nc_u32_e64 v10, 0x68, s20
	;; [unrolled: 1-line block ×3, first 2 shown]
	s_add_i32 s20, s20, 4
	s_clause 0x1
	buffer_load_dword v9, v9, s[0:3], 0 offen
	buffer_load_dword v10, v10, s[0:3], 0 offen
	s_cmp_lg_u32 s20, 32
	s_waitcnt vmcnt(0)
	v_add_nc_u32_e32 v9, v10, v9
	buffer_store_dword v9, v11, s[0:3], 0 offen
	s_cbranch_scc1 .LBB2123_168
; %bb.169:
	s_clause 0x7
	buffer_load_dword v9, off, s[0:3], 0 offset:68
	buffer_load_dword v10, off, s[0:3], 0 offset:72
	;; [unrolled: 1-line block ×8, first 2 shown]
.LBB2123_170:
	s_or_b32 exec_lo, exec_lo, s4
	v_and_b32_e32 v26, 1, v31
	v_and_b32_e32 v25, 1, v25
	v_cmp_eq_u32_e32 vcc_lo, 1, v26
	v_cmp_eq_u32_e64 s4, 1, v25
	s_or_b32 s4, vcc_lo, s4
	v_cndmask_b32_e64 v25, 0, 1, s4
	buffer_store_byte v25, off, s[0:3], 0 offset:136
	buffer_load_dword v31, off, s[0:3], 0 offset:136
	s_waitcnt vmcnt(8)
	buffer_store_dword v9, off, s[0:3], 0 offset:104
	s_waitcnt vmcnt(7)
	buffer_store_dword v10, off, s[0:3], 0 offset:108
	;; [unrolled: 2-line block ×8, first 2 shown]
.LBB2123_171:
	s_or_b32 exec_lo, exec_lo, s19
	v_cmp_gt_u32_e32 vcc_lo, 28, v17
	v_add_nc_u32_e32 v26, 4, v17
	s_mov_b32 s19, exec_lo
	v_cndmask_b32_e64 v25, 0, 4, vcc_lo
	v_add_lshl_u32 v25, v25, v17, 2
	ds_bpermute_b32 v28, v25, v9
	s_waitcnt vmcnt(0)
	ds_bpermute_b32 v27, v25, v31
	ds_bpermute_b32 v29, v25, v10
	;; [unrolled: 1-line block ×8, first 2 shown]
	s_waitcnt lgkmcnt(8)
	buffer_store_dword v28, off, s[0:3], 0 offset:176
	s_waitcnt lgkmcnt(6)
	buffer_store_dword v29, off, s[0:3], 0 offset:180
	;; [unrolled: 2-line block ×8, first 2 shown]
	v_cmpx_le_u32_e64 v26, v32
	s_cbranch_execz .LBB2123_179
; %bb.172:
	v_mov_b32_e32 v28, 0
	v_cmp_eq_u16_sdwa s20, v31, v28 src0_sel:BYTE_0 src1_sel:DWORD
	s_and_saveexec_b32 s4, s20
	s_cbranch_execz .LBB2123_178
; %bb.173:
	s_mov_b32 s20, 0
.LBB2123_174:                           ; =>This Inner Loop Header: Depth=1
	v_add_nc_u32_e64 v9, 0x44, s20
	s_add_i32 s20, s20, 4
	s_cmp_lg_u32 s20, 32
	buffer_store_dword v28, v9, s[0:3], 0 offen
	s_cbranch_scc1 .LBB2123_174
; %bb.175:
	s_mov_b32 s20, 0
	.p2align	6
.LBB2123_176:                           ; =>This Inner Loop Header: Depth=1
	v_add_nc_u32_e64 v9, 0xb0, s20
	v_add_nc_u32_e64 v10, 0x68, s20
	;; [unrolled: 1-line block ×3, first 2 shown]
	s_add_i32 s20, s20, 4
	s_clause 0x1
	buffer_load_dword v9, v9, s[0:3], 0 offen
	buffer_load_dword v10, v10, s[0:3], 0 offen
	s_cmp_lg_u32 s20, 32
	s_waitcnt vmcnt(0)
	v_add_nc_u32_e32 v9, v10, v9
	buffer_store_dword v9, v11, s[0:3], 0 offen
	s_cbranch_scc1 .LBB2123_176
; %bb.177:
	s_clause 0x7
	buffer_load_dword v9, off, s[0:3], 0 offset:68
	buffer_load_dword v10, off, s[0:3], 0 offset:72
	;; [unrolled: 1-line block ×8, first 2 shown]
.LBB2123_178:
	s_or_b32 exec_lo, exec_lo, s4
	v_and_b32_e32 v28, 1, v31
	v_and_b32_e32 v27, 1, v27
	v_cmp_eq_u32_e32 vcc_lo, 1, v28
	v_cmp_eq_u32_e64 s4, 1, v27
	s_or_b32 s4, vcc_lo, s4
	v_cndmask_b32_e64 v27, 0, 1, s4
	buffer_store_byte v27, off, s[0:3], 0 offset:136
	buffer_load_dword v31, off, s[0:3], 0 offset:136
	s_waitcnt vmcnt(8)
	buffer_store_dword v9, off, s[0:3], 0 offset:104
	s_waitcnt vmcnt(7)
	buffer_store_dword v10, off, s[0:3], 0 offset:108
	s_waitcnt vmcnt(6)
	buffer_store_dword v11, off, s[0:3], 0 offset:112
	s_waitcnt vmcnt(5)
	buffer_store_dword v12, off, s[0:3], 0 offset:116
	s_waitcnt vmcnt(4)
	buffer_store_dword v13, off, s[0:3], 0 offset:120
	s_waitcnt vmcnt(3)
	buffer_store_dword v14, off, s[0:3], 0 offset:124
	s_waitcnt vmcnt(2)
	buffer_store_dword v15, off, s[0:3], 0 offset:128
	s_waitcnt vmcnt(1)
	buffer_store_dword v16, off, s[0:3], 0 offset:132
.LBB2123_179:
	s_or_b32 exec_lo, exec_lo, s19
	v_cmp_gt_u32_e32 vcc_lo, 24, v17
	v_add_nc_u32_e32 v28, 8, v17
	s_mov_b32 s19, exec_lo
	v_cndmask_b32_e64 v27, 0, 8, vcc_lo
	v_add_lshl_u32 v27, v27, v17, 2
	ds_bpermute_b32 v30, v27, v9
	s_waitcnt vmcnt(0)
	ds_bpermute_b32 v29, v27, v31
	ds_bpermute_b32 v33, v27, v10
	;; [unrolled: 1-line block ×8, first 2 shown]
	s_waitcnt lgkmcnt(8)
	buffer_store_dword v30, off, s[0:3], 0 offset:176
	s_waitcnt lgkmcnt(6)
	buffer_store_dword v33, off, s[0:3], 0 offset:180
	;; [unrolled: 2-line block ×8, first 2 shown]
	v_cmpx_le_u32_e64 v28, v32
	s_cbranch_execz .LBB2123_187
; %bb.180:
	v_mov_b32_e32 v30, 0
	v_cmp_eq_u16_sdwa s20, v31, v30 src0_sel:BYTE_0 src1_sel:DWORD
	s_and_saveexec_b32 s4, s20
	s_cbranch_execz .LBB2123_186
; %bb.181:
	s_mov_b32 s20, 0
.LBB2123_182:                           ; =>This Inner Loop Header: Depth=1
	v_add_nc_u32_e64 v9, 0x44, s20
	s_add_i32 s20, s20, 4
	s_cmp_lg_u32 s20, 32
	buffer_store_dword v30, v9, s[0:3], 0 offen
	s_cbranch_scc1 .LBB2123_182
; %bb.183:
	s_mov_b32 s20, 0
	.p2align	6
.LBB2123_184:                           ; =>This Inner Loop Header: Depth=1
	v_add_nc_u32_e64 v9, 0xb0, s20
	v_add_nc_u32_e64 v10, 0x68, s20
	;; [unrolled: 1-line block ×3, first 2 shown]
	s_add_i32 s20, s20, 4
	s_clause 0x1
	buffer_load_dword v9, v9, s[0:3], 0 offen
	buffer_load_dword v10, v10, s[0:3], 0 offen
	s_cmp_lg_u32 s20, 32
	s_waitcnt vmcnt(0)
	v_add_nc_u32_e32 v9, v10, v9
	buffer_store_dword v9, v11, s[0:3], 0 offen
	s_cbranch_scc1 .LBB2123_184
; %bb.185:
	s_clause 0x7
	buffer_load_dword v9, off, s[0:3], 0 offset:68
	buffer_load_dword v10, off, s[0:3], 0 offset:72
	buffer_load_dword v11, off, s[0:3], 0 offset:76
	buffer_load_dword v12, off, s[0:3], 0 offset:80
	buffer_load_dword v13, off, s[0:3], 0 offset:84
	buffer_load_dword v14, off, s[0:3], 0 offset:88
	buffer_load_dword v15, off, s[0:3], 0 offset:92
	buffer_load_dword v16, off, s[0:3], 0 offset:96
.LBB2123_186:
	s_or_b32 exec_lo, exec_lo, s4
	v_and_b32_e32 v30, 1, v31
	v_and_b32_e32 v29, 1, v29
	v_cmp_eq_u32_e32 vcc_lo, 1, v30
	v_cmp_eq_u32_e64 s4, 1, v29
	s_or_b32 s4, vcc_lo, s4
	v_cndmask_b32_e64 v29, 0, 1, s4
	buffer_store_byte v29, off, s[0:3], 0 offset:136
	buffer_load_dword v31, off, s[0:3], 0 offset:136
	s_waitcnt vmcnt(8)
	buffer_store_dword v9, off, s[0:3], 0 offset:104
	s_waitcnt vmcnt(7)
	buffer_store_dword v10, off, s[0:3], 0 offset:108
	;; [unrolled: 2-line block ×8, first 2 shown]
.LBB2123_187:
	s_or_b32 exec_lo, exec_lo, s19
	v_lshl_or_b32 v29, v17, 2, 64
	v_add_nc_u32_e32 v30, 16, v17
	s_mov_b32 s19, exec_lo
	ds_bpermute_b32 v34, v29, v9
	s_waitcnt vmcnt(0)
	ds_bpermute_b32 v33, v29, v31
	ds_bpermute_b32 v35, v29, v10
	;; [unrolled: 1-line block ×8, first 2 shown]
	s_waitcnt lgkmcnt(8)
	buffer_store_dword v34, off, s[0:3], 0 offset:176
	s_waitcnt lgkmcnt(6)
	buffer_store_dword v35, off, s[0:3], 0 offset:180
	;; [unrolled: 2-line block ×8, first 2 shown]
	v_cmpx_le_u32_e64 v30, v32
	s_cbranch_execz .LBB2123_194
; %bb.188:
	v_mov_b32_e32 v32, 0
	s_mov_b32 s20, 0
	v_cmp_eq_u16_sdwa s21, v31, v32 src0_sel:BYTE_0 src1_sel:DWORD
	s_and_saveexec_b32 s4, s21
	s_cbranch_execz .LBB2123_193
.LBB2123_189:                           ; =>This Inner Loop Header: Depth=1
	v_add_nc_u32_e64 v9, 0x44, s20
	s_add_i32 s20, s20, 4
	s_cmp_lg_u32 s20, 32
	buffer_store_dword v32, v9, s[0:3], 0 offen
	s_cbranch_scc1 .LBB2123_189
; %bb.190:
	s_mov_b32 s20, 0
	.p2align	6
.LBB2123_191:                           ; =>This Inner Loop Header: Depth=1
	v_add_nc_u32_e64 v9, 0xb0, s20
	v_add_nc_u32_e64 v10, 0x68, s20
	;; [unrolled: 1-line block ×3, first 2 shown]
	s_add_i32 s20, s20, 4
	s_clause 0x1
	buffer_load_dword v9, v9, s[0:3], 0 offen
	buffer_load_dword v10, v10, s[0:3], 0 offen
	s_cmp_lg_u32 s20, 32
	s_waitcnt vmcnt(0)
	v_add_nc_u32_e32 v9, v10, v9
	buffer_store_dword v9, v11, s[0:3], 0 offen
	s_cbranch_scc1 .LBB2123_191
; %bb.192:
	s_clause 0x7
	buffer_load_dword v9, off, s[0:3], 0 offset:68
	buffer_load_dword v10, off, s[0:3], 0 offset:72
	;; [unrolled: 1-line block ×8, first 2 shown]
.LBB2123_193:
	s_or_b32 exec_lo, exec_lo, s4
	v_and_b32_e32 v31, 1, v31
	v_and_b32_e32 v32, 1, v33
	s_waitcnt vmcnt(7)
	buffer_store_dword v9, off, s[0:3], 0 offset:104
	s_waitcnt vmcnt(6)
	buffer_store_dword v10, off, s[0:3], 0 offset:108
	;; [unrolled: 2-line block ×3, first 2 shown]
	v_cmp_eq_u32_e32 vcc_lo, 1, v31
	v_cmp_eq_u32_e64 s4, 1, v32
	s_or_b32 s4, vcc_lo, s4
	v_cndmask_b32_e64 v9, 0, 1, s4
	s_waitcnt vmcnt(4)
	buffer_store_dword v12, off, s[0:3], 0 offset:116
	s_waitcnt vmcnt(3)
	buffer_store_dword v13, off, s[0:3], 0 offset:120
	s_waitcnt vmcnt(2)
	buffer_store_dword v14, off, s[0:3], 0 offset:124
	s_waitcnt vmcnt(1)
	buffer_store_dword v15, off, s[0:3], 0 offset:128
	s_waitcnt vmcnt(0)
	buffer_store_dword v16, off, s[0:3], 0 offset:132
	buffer_store_byte v9, off, s[0:3], 0 offset:136
.LBB2123_194:
	s_or_b32 exec_lo, exec_lo, s19
	s_clause 0x8
	buffer_load_dword v9, off, s[0:3], 0 offset:116
	buffer_load_dword v10, off, s[0:3], 0 offset:112
	;; [unrolled: 1-line block ×9, first 2 shown]
	v_mov_b32_e32 v31, 0
	v_mov_b32_e32 v32, 2
	s_waitcnt vmcnt(8)
	buffer_store_dword v9, off, s[0:3], 0 offset:80
	s_waitcnt vmcnt(7)
	buffer_store_dword v10, off, s[0:3], 0 offset:76
	;; [unrolled: 2-line block ×9, first 2 shown]
	s_branch .LBB2123_198
.LBB2123_195:                           ;   in Loop: Header=BB2123_198 Depth=1
	s_clause 0x7
	buffer_load_dword v10, off, s[0:3], 0 offset:176
	buffer_load_dword v11, off, s[0:3], 0 offset:180
	;; [unrolled: 1-line block ×8, first 2 shown]
.LBB2123_196:                           ;   in Loop: Header=BB2123_198 Depth=1
	s_or_b32 exec_lo, exec_lo, s19
	v_and_b32_e32 v9, 1, v9
	v_subrev_nc_u32_e32 v19, 32, v19
	s_waitcnt vmcnt(7)
	buffer_store_dword v10, off, s[0:3], 0 offset:68
	s_waitcnt vmcnt(6)
	buffer_store_dword v11, off, s[0:3], 0 offset:72
	;; [unrolled: 2-line block ×8, first 2 shown]
	v_cmp_eq_u32_e32 vcc_lo, 1, v9
	s_or_b32 s4, vcc_lo, s4
	v_cndmask_b32_e64 v9, 0, 1, s4
	s_mov_b32 s4, 0
	buffer_store_byte v9, off, s[0:3], 0 offset:100
.LBB2123_197:                           ;   in Loop: Header=BB2123_198 Depth=1
	s_and_b32 vcc_lo, exec_lo, s4
	s_cbranch_vccnz .LBB2123_255
.LBB2123_198:                           ; =>This Loop Header: Depth=1
                                        ;     Child Loop BB2123_200 Depth 2
                                        ;     Child Loop BB2123_203 Depth 2
	;; [unrolled: 1-line block ×15, first 2 shown]
	v_cmp_ne_u16_sdwa s4, v20, v32 src0_sel:BYTE_0 src1_sel:DWORD
                                        ; implicit-def: $vgpr20
	s_cmp_lg_u32 s4, exec_lo
	s_mov_b32 s4, -1
	s_cbranch_scc1 .LBB2123_197
; %bb.199:                              ;   in Loop: Header=BB2123_198 Depth=1
	s_mov_b32 s4, 0
	buffer_store_dword v31, off, s[0:3], 0 offset:60
	buffer_store_dword v31, off, s[0:3], 0 offset:56
	;; [unrolled: 1-line block ×9, first 2 shown]
.LBB2123_200:                           ;   Parent Loop BB2123_198 Depth=1
                                        ; =>  This Inner Loop Header: Depth=2
	v_add_nc_u32_e64 v9, s4, 32
	s_add_i32 s4, s4, 4
	s_cmp_lg_u32 s4, 32
	buffer_store_dword v31, v9, s[0:3], 0 offen
	s_cbranch_scc1 .LBB2123_200
; %bb.201:                              ;   in Loop: Header=BB2123_198 Depth=1
	buffer_store_byte v31, off, s[0:3], 0 offset:64
	global_load_ubyte v20, v19, s[12:13] glc dlc
	s_mov_b32 s4, exec_lo
	s_waitcnt vmcnt(0)
	v_cmpx_eq_u16_e32 0, v20
	s_cbranch_execz .LBB2123_205
; %bb.202:                              ;   in Loop: Header=BB2123_198 Depth=1
	v_add_co_u32 v9, s19, s12, v19
	v_add_co_ci_u32_e64 v10, null, s13, 0, s19
	s_mov_b32 s19, 0
.LBB2123_203:                           ;   Parent Loop BB2123_198 Depth=1
                                        ; =>  This Inner Loop Header: Depth=2
	global_load_ubyte v20, v[9:10], off glc dlc
	s_waitcnt vmcnt(0)
	v_cmp_ne_u16_e32 vcc_lo, 0, v20
	s_or_b32 s19, vcc_lo, s19
	s_andn2_b32 exec_lo, exec_lo, s19
	s_cbranch_execnz .LBB2123_203
; %bb.204:                              ;   in Loop: Header=BB2123_198 Depth=1
	s_or_b32 exec_lo, exec_lo, s19
.LBB2123_205:                           ;   in Loop: Header=BB2123_198 Depth=1
	s_or_b32 exec_lo, exec_lo, s4
	v_mov_b32_e32 v9, s9
	v_mov_b32_e32 v11, s8
	v_cmp_eq_u16_e32 vcc_lo, 1, v20
	s_waitcnt_vscnt null, 0x0
	buffer_gl1_inv
	buffer_gl0_inv
	s_mov_b32 s4, 0
	v_cndmask_b32_e32 v10, s11, v9, vcc_lo
	v_cndmask_b32_e32 v9, s10, v11, vcc_lo
	v_mad_u64_u32 v[33:34], null, v19, 36, v[9:10]
	s_clause 0x2
	global_load_dwordx4 v[9:12], v[33:34], off
	global_load_dwordx4 v[13:16], v[33:34], off offset:16
	global_load_ubyte v33, v[33:34], off offset:32
	s_waitcnt vmcnt(2)
	buffer_store_dword v10, off, s[0:3], 0 offset:36
	buffer_store_dword v9, off, s[0:3], 0 offset:32
	;; [unrolled: 1-line block ×4, first 2 shown]
	s_waitcnt vmcnt(1)
	buffer_store_dword v15, off, s[0:3], 0 offset:56
	buffer_store_dword v14, off, s[0:3], 0 offset:52
	;; [unrolled: 1-line block ×4, first 2 shown]
	s_waitcnt vmcnt(0)
	buffer_store_byte v33, off, s[0:3], 0 offset:64
	buffer_store_dword v9, off, s[0:3], 0 offset:104
	buffer_store_dword v10, off, s[0:3], 0 offset:108
	buffer_store_dword v11, off, s[0:3], 0 offset:112
	buffer_store_dword v12, off, s[0:3], 0 offset:116
	buffer_store_dword v13, off, s[0:3], 0 offset:120
	buffer_store_dword v14, off, s[0:3], 0 offset:124
	buffer_store_dword v15, off, s[0:3], 0 offset:128
	buffer_store_dword v16, off, s[0:3], 0 offset:132
	buffer_store_byte v33, off, s[0:3], 0 offset:136
	buffer_store_dword v31, off, s[0:3], 0 offset:208
.LBB2123_206:                           ;   Parent Loop BB2123_198 Depth=1
                                        ; =>  This Inner Loop Header: Depth=2
	v_add_nc_u32_e64 v33, 0xb0, s4
	s_add_i32 s4, s4, 4
	s_cmp_lg_u32 s4, 32
	buffer_store_dword v31, v33, s[0:3], 0 offen
	s_cbranch_scc1 .LBB2123_206
; %bb.207:                              ;   in Loop: Header=BB2123_198 Depth=1
	buffer_load_dword v34, off, s[0:3], 0 offset:136
	ds_bpermute_b32 v36, v21, v9
	ds_bpermute_b32 v37, v21, v10
	;; [unrolled: 1-line block ×5, first 2 shown]
	v_cmp_eq_u16_e32 vcc_lo, 2, v20
	ds_bpermute_b32 v41, v21, v14
	ds_bpermute_b32 v42, v21, v15
	;; [unrolled: 1-line block ×3, first 2 shown]
	s_mov_b32 s4, exec_lo
	v_and_or_b32 v33, vcc_lo, v22, 0x80000000
	s_waitcnt lgkmcnt(7)
	buffer_store_dword v36, off, s[0:3], 0 offset:176
	s_waitcnt lgkmcnt(6)
	buffer_store_dword v37, off, s[0:3], 0 offset:180
	;; [unrolled: 2-line block ×8, first 2 shown]
	v_ffbl_b32_e32 v33, v33
	s_waitcnt vmcnt(0)
	ds_bpermute_b32 v35, v21, v34
	v_cmpx_lt_u32_e64 v17, v33
	s_cbranch_execz .LBB2123_215
; %bb.208:                              ;   in Loop: Header=BB2123_198 Depth=1
	v_cmp_eq_u16_sdwa s20, v34, v31 src0_sel:BYTE_0 src1_sel:DWORD
	s_and_saveexec_b32 s19, s20
	s_cbranch_execz .LBB2123_214
; %bb.209:                              ;   in Loop: Header=BB2123_198 Depth=1
	s_mov_b32 s20, 0
.LBB2123_210:                           ;   Parent Loop BB2123_198 Depth=1
                                        ; =>  This Inner Loop Header: Depth=2
	v_mov_b32_e32 v9, s20
	s_add_i32 s20, s20, 4
	s_cmp_lg_u32 s20, 32
	buffer_store_dword v31, v9, s[0:3], 0 offen
	s_cbranch_scc1 .LBB2123_210
; %bb.211:                              ;   in Loop: Header=BB2123_198 Depth=1
	s_mov_b32 s20, 0
	.p2align	6
.LBB2123_212:                           ;   Parent Loop BB2123_198 Depth=1
                                        ; =>  This Inner Loop Header: Depth=2
	v_add_nc_u32_e64 v9, 0xb0, s20
	v_add_nc_u32_e64 v10, 0x68, s20
	v_mov_b32_e32 v11, s20
	s_add_i32 s20, s20, 4
	s_clause 0x1
	buffer_load_dword v9, v9, s[0:3], 0 offen
	buffer_load_dword v10, v10, s[0:3], 0 offen
	s_cmp_lg_u32 s20, 32
	s_waitcnt vmcnt(0)
	v_add_nc_u32_e32 v9, v10, v9
	buffer_store_dword v9, v11, s[0:3], 0 offen
	s_cbranch_scc1 .LBB2123_212
; %bb.213:                              ;   in Loop: Header=BB2123_198 Depth=1
	s_clause 0x7
	buffer_load_dword v9, off, s[0:3], 0
	buffer_load_dword v10, off, s[0:3], 0 offset:4
	buffer_load_dword v11, off, s[0:3], 0 offset:8
	;; [unrolled: 1-line block ×7, first 2 shown]
.LBB2123_214:                           ;   in Loop: Header=BB2123_198 Depth=1
	s_or_b32 exec_lo, exec_lo, s19
	s_waitcnt lgkmcnt(0)
	v_or_b32_e32 v34, v35, v34
	v_and_b32_e32 v34, 1, v34
	buffer_store_byte v34, off, s[0:3], 0 offset:136
	buffer_load_dword v34, off, s[0:3], 0 offset:136
	s_waitcnt vmcnt(8)
	buffer_store_dword v9, off, s[0:3], 0 offset:104
	s_waitcnt vmcnt(7)
	buffer_store_dword v10, off, s[0:3], 0 offset:108
	;; [unrolled: 2-line block ×8, first 2 shown]
.LBB2123_215:                           ;   in Loop: Header=BB2123_198 Depth=1
	s_or_b32 exec_lo, exec_lo, s4
	ds_bpermute_b32 v36, v23, v9
	s_waitcnt vmcnt(0) lgkmcnt(1)
	ds_bpermute_b32 v35, v23, v34
	ds_bpermute_b32 v37, v23, v10
	;; [unrolled: 1-line block ×8, first 2 shown]
	s_mov_b32 s19, exec_lo
	s_waitcnt lgkmcnt(8)
	buffer_store_dword v36, off, s[0:3], 0 offset:176
	s_waitcnt lgkmcnt(6)
	buffer_store_dword v37, off, s[0:3], 0 offset:180
	;; [unrolled: 2-line block ×8, first 2 shown]
	v_cmpx_le_u32_e64 v24, v33
	s_cbranch_execz .LBB2123_223
; %bb.216:                              ;   in Loop: Header=BB2123_198 Depth=1
	v_cmp_eq_u16_sdwa s20, v34, v31 src0_sel:BYTE_0 src1_sel:DWORD
	s_and_saveexec_b32 s4, s20
	s_cbranch_execz .LBB2123_222
; %bb.217:                              ;   in Loop: Header=BB2123_198 Depth=1
	s_mov_b32 s20, 0
.LBB2123_218:                           ;   Parent Loop BB2123_198 Depth=1
                                        ; =>  This Inner Loop Header: Depth=2
	v_mov_b32_e32 v9, s20
	s_add_i32 s20, s20, 4
	s_cmp_lg_u32 s20, 32
	buffer_store_dword v31, v9, s[0:3], 0 offen
	s_cbranch_scc1 .LBB2123_218
; %bb.219:                              ;   in Loop: Header=BB2123_198 Depth=1
	s_mov_b32 s20, 0
	.p2align	6
.LBB2123_220:                           ;   Parent Loop BB2123_198 Depth=1
                                        ; =>  This Inner Loop Header: Depth=2
	v_add_nc_u32_e64 v9, 0xb0, s20
	v_add_nc_u32_e64 v10, 0x68, s20
	v_mov_b32_e32 v11, s20
	s_add_i32 s20, s20, 4
	s_clause 0x1
	buffer_load_dword v9, v9, s[0:3], 0 offen
	buffer_load_dword v10, v10, s[0:3], 0 offen
	s_cmp_lg_u32 s20, 32
	s_waitcnt vmcnt(0)
	v_add_nc_u32_e32 v9, v10, v9
	buffer_store_dword v9, v11, s[0:3], 0 offen
	s_cbranch_scc1 .LBB2123_220
; %bb.221:                              ;   in Loop: Header=BB2123_198 Depth=1
	s_clause 0x7
	buffer_load_dword v9, off, s[0:3], 0
	buffer_load_dword v10, off, s[0:3], 0 offset:4
	buffer_load_dword v11, off, s[0:3], 0 offset:8
	;; [unrolled: 1-line block ×7, first 2 shown]
.LBB2123_222:                           ;   in Loop: Header=BB2123_198 Depth=1
	s_or_b32 exec_lo, exec_lo, s4
	v_and_b32_e32 v34, 1, v34
	v_and_b32_e32 v35, 1, v35
	v_cmp_eq_u32_e32 vcc_lo, 1, v34
	v_cmp_eq_u32_e64 s4, 1, v35
	s_or_b32 s4, vcc_lo, s4
	v_cndmask_b32_e64 v34, 0, 1, s4
	buffer_store_byte v34, off, s[0:3], 0 offset:136
	buffer_load_dword v34, off, s[0:3], 0 offset:136
	s_waitcnt vmcnt(8)
	buffer_store_dword v9, off, s[0:3], 0 offset:104
	s_waitcnt vmcnt(7)
	buffer_store_dword v10, off, s[0:3], 0 offset:108
	s_waitcnt vmcnt(6)
	buffer_store_dword v11, off, s[0:3], 0 offset:112
	s_waitcnt vmcnt(5)
	buffer_store_dword v12, off, s[0:3], 0 offset:116
	s_waitcnt vmcnt(4)
	buffer_store_dword v13, off, s[0:3], 0 offset:120
	s_waitcnt vmcnt(3)
	buffer_store_dword v14, off, s[0:3], 0 offset:124
	s_waitcnt vmcnt(2)
	buffer_store_dword v15, off, s[0:3], 0 offset:128
	s_waitcnt vmcnt(1)
	buffer_store_dword v16, off, s[0:3], 0 offset:132
.LBB2123_223:                           ;   in Loop: Header=BB2123_198 Depth=1
	s_or_b32 exec_lo, exec_lo, s19
	ds_bpermute_b32 v36, v25, v9
	s_waitcnt vmcnt(0)
	ds_bpermute_b32 v35, v25, v34
	ds_bpermute_b32 v37, v25, v10
	;; [unrolled: 1-line block ×8, first 2 shown]
	s_mov_b32 s19, exec_lo
	s_waitcnt lgkmcnt(8)
	buffer_store_dword v36, off, s[0:3], 0 offset:176
	s_waitcnt lgkmcnt(6)
	buffer_store_dword v37, off, s[0:3], 0 offset:180
	;; [unrolled: 2-line block ×8, first 2 shown]
	v_cmpx_le_u32_e64 v26, v33
	s_cbranch_execz .LBB2123_231
; %bb.224:                              ;   in Loop: Header=BB2123_198 Depth=1
	v_cmp_eq_u16_sdwa s20, v34, v31 src0_sel:BYTE_0 src1_sel:DWORD
	s_and_saveexec_b32 s4, s20
	s_cbranch_execz .LBB2123_230
; %bb.225:                              ;   in Loop: Header=BB2123_198 Depth=1
	s_mov_b32 s20, 0
.LBB2123_226:                           ;   Parent Loop BB2123_198 Depth=1
                                        ; =>  This Inner Loop Header: Depth=2
	v_mov_b32_e32 v9, s20
	s_add_i32 s20, s20, 4
	s_cmp_lg_u32 s20, 32
	buffer_store_dword v31, v9, s[0:3], 0 offen
	s_cbranch_scc1 .LBB2123_226
; %bb.227:                              ;   in Loop: Header=BB2123_198 Depth=1
	s_mov_b32 s20, 0
	.p2align	6
.LBB2123_228:                           ;   Parent Loop BB2123_198 Depth=1
                                        ; =>  This Inner Loop Header: Depth=2
	v_add_nc_u32_e64 v9, 0xb0, s20
	v_add_nc_u32_e64 v10, 0x68, s20
	v_mov_b32_e32 v11, s20
	s_add_i32 s20, s20, 4
	s_clause 0x1
	buffer_load_dword v9, v9, s[0:3], 0 offen
	buffer_load_dword v10, v10, s[0:3], 0 offen
	s_cmp_lg_u32 s20, 32
	s_waitcnt vmcnt(0)
	v_add_nc_u32_e32 v9, v10, v9
	buffer_store_dword v9, v11, s[0:3], 0 offen
	s_cbranch_scc1 .LBB2123_228
; %bb.229:                              ;   in Loop: Header=BB2123_198 Depth=1
	s_clause 0x7
	buffer_load_dword v9, off, s[0:3], 0
	buffer_load_dword v10, off, s[0:3], 0 offset:4
	buffer_load_dword v11, off, s[0:3], 0 offset:8
	;; [unrolled: 1-line block ×7, first 2 shown]
.LBB2123_230:                           ;   in Loop: Header=BB2123_198 Depth=1
	s_or_b32 exec_lo, exec_lo, s4
	v_and_b32_e32 v34, 1, v34
	v_and_b32_e32 v35, 1, v35
	v_cmp_eq_u32_e32 vcc_lo, 1, v34
	v_cmp_eq_u32_e64 s4, 1, v35
	s_or_b32 s4, vcc_lo, s4
	v_cndmask_b32_e64 v34, 0, 1, s4
	buffer_store_byte v34, off, s[0:3], 0 offset:136
	buffer_load_dword v34, off, s[0:3], 0 offset:136
	s_waitcnt vmcnt(8)
	buffer_store_dword v9, off, s[0:3], 0 offset:104
	s_waitcnt vmcnt(7)
	buffer_store_dword v10, off, s[0:3], 0 offset:108
	;; [unrolled: 2-line block ×8, first 2 shown]
.LBB2123_231:                           ;   in Loop: Header=BB2123_198 Depth=1
	s_or_b32 exec_lo, exec_lo, s19
	ds_bpermute_b32 v36, v27, v9
	s_waitcnt vmcnt(0)
	ds_bpermute_b32 v35, v27, v34
	ds_bpermute_b32 v37, v27, v10
	;; [unrolled: 1-line block ×8, first 2 shown]
	s_mov_b32 s19, exec_lo
	s_waitcnt lgkmcnt(8)
	buffer_store_dword v36, off, s[0:3], 0 offset:176
	s_waitcnt lgkmcnt(6)
	buffer_store_dword v37, off, s[0:3], 0 offset:180
	;; [unrolled: 2-line block ×8, first 2 shown]
	v_cmpx_le_u32_e64 v28, v33
	s_cbranch_execz .LBB2123_239
; %bb.232:                              ;   in Loop: Header=BB2123_198 Depth=1
	v_cmp_eq_u16_sdwa s20, v34, v31 src0_sel:BYTE_0 src1_sel:DWORD
	s_and_saveexec_b32 s4, s20
	s_cbranch_execz .LBB2123_238
; %bb.233:                              ;   in Loop: Header=BB2123_198 Depth=1
	s_mov_b32 s20, 0
.LBB2123_234:                           ;   Parent Loop BB2123_198 Depth=1
                                        ; =>  This Inner Loop Header: Depth=2
	v_mov_b32_e32 v9, s20
	s_add_i32 s20, s20, 4
	s_cmp_lg_u32 s20, 32
	buffer_store_dword v31, v9, s[0:3], 0 offen
	s_cbranch_scc1 .LBB2123_234
; %bb.235:                              ;   in Loop: Header=BB2123_198 Depth=1
	s_mov_b32 s20, 0
	.p2align	6
.LBB2123_236:                           ;   Parent Loop BB2123_198 Depth=1
                                        ; =>  This Inner Loop Header: Depth=2
	v_add_nc_u32_e64 v9, 0xb0, s20
	v_add_nc_u32_e64 v10, 0x68, s20
	v_mov_b32_e32 v11, s20
	s_add_i32 s20, s20, 4
	s_clause 0x1
	buffer_load_dword v9, v9, s[0:3], 0 offen
	buffer_load_dword v10, v10, s[0:3], 0 offen
	s_cmp_lg_u32 s20, 32
	s_waitcnt vmcnt(0)
	v_add_nc_u32_e32 v9, v10, v9
	buffer_store_dword v9, v11, s[0:3], 0 offen
	s_cbranch_scc1 .LBB2123_236
; %bb.237:                              ;   in Loop: Header=BB2123_198 Depth=1
	s_clause 0x7
	buffer_load_dword v9, off, s[0:3], 0
	buffer_load_dword v10, off, s[0:3], 0 offset:4
	buffer_load_dword v11, off, s[0:3], 0 offset:8
	;; [unrolled: 1-line block ×7, first 2 shown]
.LBB2123_238:                           ;   in Loop: Header=BB2123_198 Depth=1
	s_or_b32 exec_lo, exec_lo, s4
	v_and_b32_e32 v34, 1, v34
	v_and_b32_e32 v35, 1, v35
	v_cmp_eq_u32_e32 vcc_lo, 1, v34
	v_cmp_eq_u32_e64 s4, 1, v35
	s_or_b32 s4, vcc_lo, s4
	v_cndmask_b32_e64 v34, 0, 1, s4
	buffer_store_byte v34, off, s[0:3], 0 offset:136
	buffer_load_dword v34, off, s[0:3], 0 offset:136
	s_waitcnt vmcnt(8)
	buffer_store_dword v9, off, s[0:3], 0 offset:104
	s_waitcnt vmcnt(7)
	buffer_store_dword v10, off, s[0:3], 0 offset:108
	;; [unrolled: 2-line block ×8, first 2 shown]
.LBB2123_239:                           ;   in Loop: Header=BB2123_198 Depth=1
	s_or_b32 exec_lo, exec_lo, s19
	ds_bpermute_b32 v36, v29, v9
	s_waitcnt vmcnt(0)
	ds_bpermute_b32 v35, v29, v34
	ds_bpermute_b32 v37, v29, v10
	;; [unrolled: 1-line block ×8, first 2 shown]
	v_and_b32_e32 v44, 1, v34
	s_mov_b32 s19, exec_lo
	s_waitcnt lgkmcnt(8)
	buffer_store_dword v36, off, s[0:3], 0 offset:176
	s_waitcnt lgkmcnt(6)
	buffer_store_dword v37, off, s[0:3], 0 offset:180
	s_waitcnt lgkmcnt(5)
	buffer_store_dword v38, off, s[0:3], 0 offset:184
	s_waitcnt lgkmcnt(4)
	buffer_store_dword v39, off, s[0:3], 0 offset:188
	s_waitcnt lgkmcnt(3)
	buffer_store_dword v40, off, s[0:3], 0 offset:192
	s_waitcnt lgkmcnt(2)
	buffer_store_dword v41, off, s[0:3], 0 offset:196
	s_waitcnt lgkmcnt(1)
	buffer_store_dword v42, off, s[0:3], 0 offset:200
	s_waitcnt lgkmcnt(0)
	buffer_store_dword v43, off, s[0:3], 0 offset:204
	v_cmp_eq_u32_e64 s4, 1, v44
	v_cmpx_le_u32_e64 v30, v33
	s_cbranch_execz .LBB2123_247
; %bb.240:                              ;   in Loop: Header=BB2123_198 Depth=1
	v_cmp_eq_u16_sdwa s21, v34, v31 src0_sel:BYTE_0 src1_sel:DWORD
	s_and_saveexec_b32 s20, s21
	s_cbranch_execz .LBB2123_246
; %bb.241:                              ;   in Loop: Header=BB2123_198 Depth=1
	s_mov_b32 s21, 0
.LBB2123_242:                           ;   Parent Loop BB2123_198 Depth=1
                                        ; =>  This Inner Loop Header: Depth=2
	v_mov_b32_e32 v9, s21
	s_add_i32 s21, s21, 4
	s_cmp_lg_u32 s21, 32
	buffer_store_dword v31, v9, s[0:3], 0 offen
	s_cbranch_scc1 .LBB2123_242
; %bb.243:                              ;   in Loop: Header=BB2123_198 Depth=1
	s_mov_b32 s21, 0
	.p2align	6
.LBB2123_244:                           ;   Parent Loop BB2123_198 Depth=1
                                        ; =>  This Inner Loop Header: Depth=2
	v_add_nc_u32_e64 v9, 0xb0, s21
	v_add_nc_u32_e64 v10, 0x68, s21
	v_mov_b32_e32 v11, s21
	s_add_i32 s21, s21, 4
	s_clause 0x1
	buffer_load_dword v9, v9, s[0:3], 0 offen
	buffer_load_dword v10, v10, s[0:3], 0 offen
	s_cmp_lg_u32 s21, 32
	s_waitcnt vmcnt(0)
	v_add_nc_u32_e32 v9, v10, v9
	buffer_store_dword v9, v11, s[0:3], 0 offen
	s_cbranch_scc1 .LBB2123_244
; %bb.245:                              ;   in Loop: Header=BB2123_198 Depth=1
	s_clause 0x7
	buffer_load_dword v9, off, s[0:3], 0
	buffer_load_dword v10, off, s[0:3], 0 offset:4
	buffer_load_dword v11, off, s[0:3], 0 offset:8
	;; [unrolled: 1-line block ×7, first 2 shown]
.LBB2123_246:                           ;   in Loop: Header=BB2123_198 Depth=1
	s_or_b32 exec_lo, exec_lo, s20
	v_and_b32_e32 v33, 1, v35
	s_waitcnt vmcnt(7)
	buffer_store_dword v9, off, s[0:3], 0 offset:104
	s_waitcnt vmcnt(6)
	buffer_store_dword v10, off, s[0:3], 0 offset:108
	;; [unrolled: 2-line block ×8, first 2 shown]
	v_cmp_eq_u32_e32 vcc_lo, 1, v33
	s_or_b32 s20, s4, vcc_lo
	s_andn2_b32 s4, s4, exec_lo
	v_cndmask_b32_e64 v9, 0, 1, s20
	s_and_b32 s20, s20, exec_lo
	s_or_b32 s4, s4, s20
	buffer_store_byte v9, off, s[0:3], 0 offset:136
.LBB2123_247:                           ;   in Loop: Header=BB2123_198 Depth=1
	s_or_b32 exec_lo, exec_lo, s19
	buffer_load_ubyte v9, off, s[0:3], 0 offset:100
	s_mov_b32 s19, exec_lo
                                        ; implicit-def: $vgpr12
                                        ; implicit-def: $vgpr10
                                        ; implicit-def: $vgpr11
                                        ; implicit-def: $vgpr13
                                        ; implicit-def: $vgpr14
                                        ; implicit-def: $vgpr15
                                        ; implicit-def: $vgpr16
                                        ; implicit-def: $vgpr33
	s_waitcnt vmcnt(0)
	v_cmpx_ne_u16_e32 0, v9
	s_xor_b32 s19, exec_lo, s19
	s_cbranch_execz .LBB2123_249
; %bb.248:                              ;   in Loop: Header=BB2123_198 Depth=1
	s_clause 0x7
	buffer_load_dword v10, off, s[0:3], 0 offset:68
	buffer_load_dword v11, off, s[0:3], 0 offset:72
	;; [unrolled: 1-line block ×8, first 2 shown]
.LBB2123_249:                           ;   in Loop: Header=BB2123_198 Depth=1
	s_andn2_saveexec_b32 s19, s19
	s_cbranch_execz .LBB2123_196
; %bb.250:                              ;   in Loop: Header=BB2123_198 Depth=1
	s_mov_b32 s20, 0
.LBB2123_251:                           ;   Parent Loop BB2123_198 Depth=1
                                        ; =>  This Inner Loop Header: Depth=2
	s_waitcnt vmcnt(7)
	v_add_nc_u32_e64 v10, 0xb0, s20
	s_add_i32 s20, s20, 4
	s_cmp_lg_u32 s20, 32
	buffer_store_dword v31, v10, s[0:3], 0 offen
	s_cbranch_scc1 .LBB2123_251
; %bb.252:                              ;   in Loop: Header=BB2123_198 Depth=1
	s_mov_b32 s20, 0
	.p2align	6
.LBB2123_253:                           ;   Parent Loop BB2123_198 Depth=1
                                        ; =>  This Inner Loop Header: Depth=2
	v_add_nc_u32_e64 v10, 0x68, s20
	s_waitcnt vmcnt(6)
	v_add_nc_u32_e64 v11, 0x44, s20
	s_waitcnt vmcnt(0)
	v_add_nc_u32_e64 v12, 0xb0, s20
	s_add_i32 s20, s20, 4
	s_clause 0x1
	buffer_load_dword v10, v10, s[0:3], 0 offen
	buffer_load_dword v11, v11, s[0:3], 0 offen
	s_cmp_lg_u32 s20, 32
	s_waitcnt vmcnt(0)
	v_add_nc_u32_e32 v10, v11, v10
	buffer_store_dword v10, v12, s[0:3], 0 offen
	s_cbranch_scc1 .LBB2123_253
	s_branch .LBB2123_195
.LBB2123_254:
	s_cbranch_execnz .LBB2123_299
	s_branch .LBB2123_438
.LBB2123_255:
	s_clause 0x8
	buffer_load_dword v9, off, s[0:3], 0 offset:68
	buffer_load_dword v10, off, s[0:3], 0 offset:72
	;; [unrolled: 1-line block ×9, first 2 shown]
	s_waitcnt vmcnt(8)
	buffer_store_dword v9, off, s[0:3], 0 offset:176
	s_waitcnt vmcnt(7)
	buffer_store_dword v10, off, s[0:3], 0 offset:180
	;; [unrolled: 2-line block ×9, first 2 shown]
	s_and_saveexec_b32 s4, s18
	s_cbranch_execz .LBB2123_262
; %bb.256:
	v_mov_b32_e32 v19, 0
	v_cmp_ne_u32_sdwa s8, v18, v19 src0_sel:BYTE_0 src1_sel:DWORD
	s_and_b32 vcc_lo, exec_lo, s8
	s_mov_b32 s8, 0
	s_cbranch_vccnz .LBB2123_261
.LBB2123_257:                           ; =>This Inner Loop Header: Depth=1
	v_add_nc_u32_e64 v1, s8, 32
	s_add_i32 s8, s8, 4
	s_cmp_lg_u32 s8, 32
	buffer_store_dword v19, v1, s[0:3], 0 offen
	s_cbranch_scc1 .LBB2123_257
; %bb.258:
	s_mov_b32 s8, 0
	.p2align	6
.LBB2123_259:                           ; =>This Inner Loop Header: Depth=1
	v_add_nc_u32_e64 v1, 0xb0, s8
	v_add_nc_u32_e64 v2, 0x8c, s8
	;; [unrolled: 1-line block ×3, first 2 shown]
	s_add_i32 s8, s8, 4
	s_clause 0x1
	buffer_load_dword v1, v1, s[0:3], 0 offen
	buffer_load_dword v2, v2, s[0:3], 0 offen
	s_cmp_lg_u32 s8, 32
	s_waitcnt vmcnt(0)
	v_add_nc_u32_e32 v1, v2, v1
	buffer_store_dword v1, v3, s[0:3], 0 offen
	s_cbranch_scc1 .LBB2123_259
; %bb.260:
	s_clause 0x7
	buffer_load_dword v1, off, s[0:3], 0 offset:32
	buffer_load_dword v2, off, s[0:3], 0 offset:36
	;; [unrolled: 1-line block ×8, first 2 shown]
.LBB2123_261:
	v_or_b32_e32 v18, v18, v17
	s_add_i32 s6, s6, 32
	v_mov_b32_e32 v19, 0
	s_mul_i32 s8, s6, 36
	v_mov_b32_e32 v20, 2
	v_mov_b32_e32 v21, s6
	s_mul_hi_u32 s9, s6, 36
	v_and_b32_e32 v18, 1, v18
	s_add_u32 s8, s10, s8
	s_addc_u32 s9, s11, s9
	s_waitcnt vmcnt(4)
	global_store_dwordx4 v19, v[1:4], s[8:9]
	s_waitcnt vmcnt(0)
	global_store_dwordx4 v19, v[5:8], s[8:9] offset:16
	global_store_byte v19, v18, s[8:9] offset:32
	s_waitcnt_vscnt null, 0x0
	buffer_gl1_inv
	buffer_gl0_inv
	global_store_byte v21, v20, s[12:13]
.LBB2123_262:
	s_or_b32 exec_lo, exec_lo, s4
	v_cmp_eq_u32_e32 vcc_lo, 0, v0
	s_and_b32 exec_lo, exec_lo, vcc_lo
	s_cbranch_execz .LBB2123_264
; %bb.263:
	v_mov_b32_e32 v1, 0
	ds_write2_b32 v1, v9, v10 offset0:63 offset1:64
	ds_write2_b32 v1, v11, v12 offset0:65 offset1:66
	;; [unrolled: 1-line block ×4, first 2 shown]
	ds_write_b8 v1, v17 offset:284
.LBB2123_264:
	s_or_b32 exec_lo, exec_lo, s7
	s_waitcnt lgkmcnt(0)
	s_waitcnt_vscnt null, 0x0
	s_barrier
	buffer_gl0_inv
	buffer_load_ubyte v2, off, s[0:3], 0 offset:352
	v_mov_b32_e32 v3, 0
	ds_read2_b32 v[4:5], v3 offset0:63 offset1:64
	ds_read2_b32 v[6:7], v3 offset0:65 offset1:66
	;; [unrolled: 1-line block ×4, first 2 shown]
	ds_read_b32 v1, v3 offset:284
	s_mov_b32 s4, exec_lo
	s_waitcnt lgkmcnt(4)
	buffer_store_dword v4, off, s[0:3], 0 offset:176
	buffer_store_dword v5, off, s[0:3], 0 offset:180
	s_waitcnt lgkmcnt(3)
	buffer_store_dword v6, off, s[0:3], 0 offset:184
	buffer_store_dword v7, off, s[0:3], 0 offset:188
	;; [unrolled: 3-line block ×4, first 2 shown]
	s_waitcnt lgkmcnt(0)
	buffer_store_dword v1, off, s[0:3], 0 offset:208
	v_cmpx_ne_u32_e32 0, v0
	s_cbranch_execz .LBB2123_274
; %bb.265:
	s_waitcnt vmcnt(0)
	v_cmp_ne_u16_sdwa s6, v2, v3 src0_sel:BYTE_0 src1_sel:DWORD
                                        ; implicit-def: $vgpr5
                                        ; implicit-def: $vgpr3
                                        ; implicit-def: $vgpr4
                                        ; implicit-def: $vgpr6
                                        ; implicit-def: $vgpr7
                                        ; implicit-def: $vgpr8
                                        ; implicit-def: $vgpr9
                                        ; implicit-def: $vgpr10
	s_and_saveexec_b32 s7, s6
	s_xor_b32 s6, exec_lo, s7
	s_cbranch_execz .LBB2123_267
; %bb.266:
	s_clause 0x7
	buffer_load_dword v3, off, s[0:3], 0 offset:320
	buffer_load_dword v4, off, s[0:3], 0 offset:324
	;; [unrolled: 1-line block ×8, first 2 shown]
.LBB2123_267:
	s_andn2_saveexec_b32 s6, s6
	s_cbranch_execz .LBB2123_273
; %bb.268:
	s_waitcnt vmcnt(7)
	v_mov_b32_e32 v3, 0
	s_mov_b32 s7, 0
.LBB2123_269:                           ; =>This Inner Loop Header: Depth=1
	s_waitcnt vmcnt(6)
	v_add_nc_u32_e64 v4, s7, 32
	s_add_i32 s7, s7, 4
	s_cmp_lg_u32 s7, 32
	buffer_store_dword v3, v4, s[0:3], 0 offen
	s_cbranch_scc1 .LBB2123_269
; %bb.270:
	s_mov_b32 s7, 0
	.p2align	6
.LBB2123_271:                           ; =>This Inner Loop Header: Depth=1
	v_add_nc_u32_e64 v3, 0x110, s7
	v_add_nc_u32_e64 v4, 0x140, s7
	s_waitcnt vmcnt(0)
	v_add_nc_u32_e64 v5, s7, 32
	s_add_i32 s7, s7, 4
	s_clause 0x1
	buffer_load_dword v3, v3, s[0:3], 0 offen
	buffer_load_dword v4, v4, s[0:3], 0 offen
	s_cmp_lg_u32 s7, 32
	s_waitcnt vmcnt(0)
	v_add_nc_u32_e32 v3, v4, v3
	buffer_store_dword v3, v5, s[0:3], 0 offen
	s_cbranch_scc1 .LBB2123_271
; %bb.272:
	s_clause 0x7
	buffer_load_dword v3, off, s[0:3], 0 offset:32
	buffer_load_dword v4, off, s[0:3], 0 offset:36
	;; [unrolled: 1-line block ×8, first 2 shown]
.LBB2123_273:
	s_or_b32 exec_lo, exec_lo, s6
	v_and_b32_e32 v2, 1, v2
	s_waitcnt vmcnt(7)
	buffer_store_dword v3, off, s[0:3], 0 offset:320
	s_waitcnt vmcnt(6)
	buffer_store_dword v4, off, s[0:3], 0 offset:324
	;; [unrolled: 2-line block ×8, first 2 shown]
	v_cmp_eq_u32_e32 vcc_lo, 1, v2
	s_or_b32 s5, vcc_lo, s5
	v_cndmask_b32_e64 v2, 0, 1, s5
.LBB2123_274:
	s_or_b32 exec_lo, exec_lo, s4
	v_mov_b32_e32 v3, 0
                                        ; implicit-def: $vgpr7
                                        ; implicit-def: $vgpr4
                                        ; implicit-def: $vgpr5
                                        ; implicit-def: $vgpr6
                                        ; implicit-def: $vgpr8
                                        ; implicit-def: $vgpr9
                                        ; implicit-def: $vgpr10
                                        ; implicit-def: $vgpr11
	s_waitcnt vmcnt(0)
	v_cmp_ne_u16_sdwa s4, v2, v3 src0_sel:BYTE_0 src1_sel:DWORD
	s_and_saveexec_b32 s5, s4
	s_xor_b32 s4, exec_lo, s5
	s_cbranch_execz .LBB2123_276
; %bb.275:
	s_clause 0x7
	buffer_load_dword v4, off, s[0:3], 0 offset:320
	buffer_load_dword v5, off, s[0:3], 0 offset:324
	;; [unrolled: 1-line block ×8, first 2 shown]
.LBB2123_276:
	s_andn2_saveexec_b32 s4, s4
	s_cbranch_execz .LBB2123_282
; %bb.277:
	v_mov_b32_e32 v3, 0
	s_mov_b32 s5, 0
.LBB2123_278:                           ; =>This Inner Loop Header: Depth=1
	s_waitcnt vmcnt(7)
	v_add_nc_u32_e64 v4, s5, 32
	s_add_i32 s5, s5, 4
	s_cmp_lg_u32 s5, 32
	buffer_store_dword v3, v4, s[0:3], 0 offen
	s_cbranch_scc1 .LBB2123_278
; %bb.279:
	s_mov_b32 s5, 0
	.p2align	6
.LBB2123_280:                           ; =>This Inner Loop Header: Depth=1
	v_add_nc_u32_e64 v3, 0xb0, s5
	v_add_nc_u32_e64 v4, 0x140, s5
	s_waitcnt vmcnt(6)
	v_add_nc_u32_e64 v5, s5, 32
	s_add_i32 s5, s5, 4
	s_clause 0x1
	buffer_load_dword v3, v3, s[0:3], 0 offen
	buffer_load_dword v4, v4, s[0:3], 0 offen
	s_cmp_lg_u32 s5, 32
	s_waitcnt vmcnt(0)
	v_add_nc_u32_e32 v3, v4, v3
	buffer_store_dword v3, v5, s[0:3], 0 offen
	s_cbranch_scc1 .LBB2123_280
; %bb.281:
	s_clause 0x7
	buffer_load_dword v4, off, s[0:3], 0 offset:32
	buffer_load_dword v5, off, s[0:3], 0 offset:36
	;; [unrolled: 1-line block ×8, first 2 shown]
.LBB2123_282:
	s_or_b32 exec_lo, exec_lo, s4
	buffer_load_ubyte v3, off, s[0:3], 0 offset:388
	v_or_b32_e32 v1, v2, v1
	s_waitcnt vmcnt(8)
	buffer_store_dword v4, off, s[0:3], 0 offset:320
	s_waitcnt vmcnt(7)
	buffer_store_dword v5, off, s[0:3], 0 offset:324
	;; [unrolled: 2-line block ×5, first 2 shown]
                                        ; implicit-def: $vgpr6
                                        ; implicit-def: $vgpr2
                                        ; implicit-def: $vgpr4
                                        ; implicit-def: $vgpr5
                                        ; implicit-def: $vgpr8
                                        ; implicit-def: $vgpr9
	v_and_b32_e32 v1, 1, v1
	s_waitcnt vmcnt(3)
	buffer_store_dword v10, off, s[0:3], 0 offset:340
	s_waitcnt vmcnt(2)
	buffer_store_dword v11, off, s[0:3], 0 offset:344
	s_waitcnt vmcnt(1)
	buffer_store_dword v7, off, s[0:3], 0 offset:348
	buffer_store_byte v1, off, s[0:3], 0 offset:352
                                        ; implicit-def: $vgpr7
                                        ; implicit-def: $vgpr10
	v_cmp_eq_u32_e32 vcc_lo, 1, v1
	s_waitcnt vmcnt(0)
	v_cmp_ne_u16_e64 s4, 0, v3
	s_and_saveexec_b32 s5, s4
	s_xor_b32 s4, exec_lo, s5
	s_cbranch_execz .LBB2123_284
; %bb.283:
	s_clause 0x7
	buffer_load_dword v2, off, s[0:3], 0 offset:356
	buffer_load_dword v4, off, s[0:3], 0 offset:360
	;; [unrolled: 1-line block ×8, first 2 shown]
.LBB2123_284:
	s_andn2_saveexec_b32 s4, s4
	s_cbranch_execz .LBB2123_290
; %bb.285:
	v_mov_b32_e32 v1, 0
	s_mov_b32 s5, 0
.LBB2123_286:                           ; =>This Inner Loop Header: Depth=1
	s_waitcnt vmcnt(7)
	v_add_nc_u32_e64 v2, s5, 32
	s_add_i32 s5, s5, 4
	s_cmp_lg_u32 s5, 32
	buffer_store_dword v1, v2, s[0:3], 0 offen
	s_cbranch_scc1 .LBB2123_286
; %bb.287:
	s_mov_b32 s5, 0
.LBB2123_288:                           ; =>This Inner Loop Header: Depth=1
	v_add_nc_u32_e64 v1, 0x140, s5
	s_waitcnt vmcnt(6)
	v_add_nc_u32_e64 v4, s5, 32
	s_add_i32 s5, s5, 4
	s_clause 0x1
	buffer_load_dword v2, v1, s[0:3], 0 offen
	buffer_load_dword v1, v1, s[0:3], 0 offen offset:36
	s_cmp_lg_u32 s5, 32
	s_waitcnt vmcnt(0)
	v_add_nc_u32_e32 v1, v1, v2
	buffer_store_dword v1, v4, s[0:3], 0 offen
	s_cbranch_scc1 .LBB2123_288
; %bb.289:
	s_clause 0x7
	buffer_load_dword v2, off, s[0:3], 0 offset:32
	buffer_load_dword v4, off, s[0:3], 0 offset:36
	;; [unrolled: 1-line block ×8, first 2 shown]
.LBB2123_290:
	s_or_b32 exec_lo, exec_lo, s4
	buffer_load_ubyte v1, off, s[0:3], 0 offset:424
	v_and_b32_e32 v3, 1, v3
	s_mov_b32 s5, exec_lo
	v_cmp_eq_u32_e64 s4, 1, v3
	s_or_b32 s4, s4, vcc_lo
	v_cndmask_b32_e64 v3, 0, 1, s4
	s_waitcnt vmcnt(8)
	buffer_store_dword v2, off, s[0:3], 0 offset:356
	s_waitcnt vmcnt(7)
	buffer_store_dword v4, off, s[0:3], 0 offset:360
	s_waitcnt vmcnt(6)
	buffer_store_dword v5, off, s[0:3], 0 offset:364
	s_waitcnt vmcnt(5)
	buffer_store_dword v7, off, s[0:3], 0 offset:368
	s_waitcnt vmcnt(4)
	buffer_store_dword v8, off, s[0:3], 0 offset:372
	s_waitcnt vmcnt(3)
	buffer_store_dword v9, off, s[0:3], 0 offset:376
	s_waitcnt vmcnt(2)
	buffer_store_dword v10, off, s[0:3], 0 offset:380
	s_waitcnt vmcnt(1)
	buffer_store_dword v6, off, s[0:3], 0 offset:384
	buffer_store_byte v3, off, s[0:3], 0 offset:388
                                        ; implicit-def: $vgpr4
                                        ; implicit-def: $vgpr2
                                        ; implicit-def: $vgpr3
                                        ; implicit-def: $vgpr5
                                        ; implicit-def: $vgpr6
                                        ; implicit-def: $vgpr7
                                        ; implicit-def: $vgpr8
                                        ; implicit-def: $vgpr9
	s_waitcnt vmcnt(0)
	v_cmpx_ne_u16_e32 0, v1
	s_xor_b32 s5, exec_lo, s5
	s_cbranch_execz .LBB2123_292
; %bb.291:
	s_clause 0x7
	buffer_load_dword v2, off, s[0:3], 0 offset:392
	buffer_load_dword v3, off, s[0:3], 0 offset:396
	;; [unrolled: 1-line block ×8, first 2 shown]
.LBB2123_292:
	s_andn2_saveexec_b32 s5, s5
	s_cbranch_execz .LBB2123_298
; %bb.293:
	s_waitcnt vmcnt(7)
	v_mov_b32_e32 v2, 0
	s_mov_b32 s6, 0
.LBB2123_294:                           ; =>This Inner Loop Header: Depth=1
	s_waitcnt vmcnt(6)
	v_add_nc_u32_e64 v3, s6, 32
	s_add_i32 s6, s6, 4
	s_cmp_lg_u32 s6, 32
	buffer_store_dword v2, v3, s[0:3], 0 offen
	s_cbranch_scc1 .LBB2123_294
; %bb.295:
	s_mov_b32 s6, 0
.LBB2123_296:                           ; =>This Inner Loop Header: Depth=1
	v_add_nc_u32_e64 v2, 0x140, s6
	s_waitcnt vmcnt(0)
	v_add_nc_u32_e64 v4, s6, 32
	s_add_i32 s6, s6, 4
	s_clause 0x1
	buffer_load_dword v3, v2, s[0:3], 0 offen offset:36
	buffer_load_dword v2, v2, s[0:3], 0 offen offset:72
	s_cmp_lg_u32 s6, 32
	s_waitcnt vmcnt(0)
	v_add_nc_u32_e32 v2, v2, v3
	buffer_store_dword v2, v4, s[0:3], 0 offen
	s_cbranch_scc1 .LBB2123_296
; %bb.297:
	s_clause 0x7
	buffer_load_dword v2, off, s[0:3], 0 offset:32
	buffer_load_dword v3, off, s[0:3], 0 offset:36
	;; [unrolled: 1-line block ×8, first 2 shown]
.LBB2123_298:
	s_or_b32 exec_lo, exec_lo, s5
	v_and_b32_e32 v1, 1, v1
	s_waitcnt vmcnt(7)
	buffer_store_dword v2, off, s[0:3], 0 offset:392
	s_waitcnt vmcnt(6)
	buffer_store_dword v3, off, s[0:3], 0 offset:396
	;; [unrolled: 2-line block ×8, first 2 shown]
	v_cmp_eq_u32_e32 vcc_lo, 1, v1
	s_or_b32 s4, vcc_lo, s4
	v_cndmask_b32_e64 v1, 0, 1, s4
	buffer_store_byte v1, off, s[0:3], 0 offset:424
	s_branch .LBB2123_438
.LBB2123_299:
	s_cmp_lg_u64 s[34:35], 0
	v_cmp_eq_u32_e32 vcc_lo, 0, v0
	s_cselect_b32 s5, -1, 0
	s_cmp_lg_u64 s[26:27], 0
	v_cmp_ne_u32_e64 s4, 0, v0
	s_cselect_b32 s6, -1, 0
	s_and_b32 s5, s5, s6
	s_and_b32 s5, vcc_lo, s5
	s_and_saveexec_b32 s8, s5
	s_cbranch_execz .LBB2123_309
; %bb.300:
	buffer_load_ubyte v1, off, s[0:3], 0 offset:352
                                        ; implicit-def: $vgpr5
                                        ; implicit-def: $vgpr2
                                        ; implicit-def: $vgpr3
                                        ; implicit-def: $vgpr4
                                        ; implicit-def: $vgpr6
                                        ; implicit-def: $vgpr7
                                        ; implicit-def: $vgpr8
                                        ; implicit-def: $vgpr9
	s_waitcnt vmcnt(0)
	v_cmp_ne_u16_e64 s5, 0, v1
	s_and_saveexec_b32 s6, s5
	s_xor_b32 s5, exec_lo, s6
	s_cbranch_execz .LBB2123_302
; %bb.301:
	s_clause 0x7
	buffer_load_dword v2, off, s[0:3], 0 offset:320
	buffer_load_dword v3, off, s[0:3], 0 offset:324
	;; [unrolled: 1-line block ×8, first 2 shown]
.LBB2123_302:
	s_andn2_saveexec_b32 s5, s5
	s_cbranch_execz .LBB2123_308
; %bb.303:
	s_waitcnt vmcnt(7)
	v_mov_b32_e32 v2, 0
	s_mov_b32 s6, 0
.LBB2123_304:                           ; =>This Inner Loop Header: Depth=1
	s_waitcnt vmcnt(6)
	v_add_nc_u32_e64 v3, 0xb0, s6
	s_add_i32 s6, s6, 4
	s_cmp_lg_u32 s6, 32
	buffer_store_dword v2, v3, s[0:3], 0 offen
	s_cbranch_scc1 .LBB2123_304
; %bb.305:
	v_mov_b32_e32 v2, 0
	s_mov_b32 s9, 0
	s_mov_b64 s[6:7], s[26:27]
	.p2align	6
.LBB2123_306:                           ; =>This Inner Loop Header: Depth=1
	v_add_nc_u32_e64 v3, 0x140, s9
	global_load_dword v4, v2, s[6:7]
	s_waitcnt vmcnt(1)
	v_add_nc_u32_e64 v5, 0xb0, s9
	s_add_i32 s9, s9, 4
	s_add_u32 s6, s6, 4
	buffer_load_dword v3, v3, s[0:3], 0 offen
	s_addc_u32 s7, s7, 0
	s_cmp_lg_u32 s9, 32
	s_waitcnt vmcnt(0)
	v_add_nc_u32_e32 v3, v3, v4
	buffer_store_dword v3, v5, s[0:3], 0 offen
	s_cbranch_scc1 .LBB2123_306
; %bb.307:
	s_clause 0x7
	buffer_load_dword v2, off, s[0:3], 0 offset:176
	buffer_load_dword v3, off, s[0:3], 0 offset:180
	;; [unrolled: 1-line block ×8, first 2 shown]
.LBB2123_308:
	s_or_b32 exec_lo, exec_lo, s5
	v_mov_b32_e32 v10, 0
	global_load_ubyte v10, v10, s[26:27] offset:32
	s_waitcnt vmcnt(8)
	buffer_store_dword v2, off, s[0:3], 0 offset:320
	s_waitcnt vmcnt(7)
	buffer_store_dword v3, off, s[0:3], 0 offset:324
	;; [unrolled: 2-line block ×3, first 2 shown]
	s_waitcnt vmcnt(0)
	v_or_b32_e32 v1, v1, v10
	v_and_b32_e32 v1, 1, v1
	buffer_store_dword v6, off, s[0:3], 0 offset:332
	buffer_store_dword v7, off, s[0:3], 0 offset:336
	;; [unrolled: 1-line block ×5, first 2 shown]
	buffer_store_byte v1, off, s[0:3], 0 offset:352
.LBB2123_309:
	s_or_b32 exec_lo, exec_lo, s8
	v_mov_b32_e32 v1, 0
	s_mov_b32 s5, 0
	buffer_store_dword v1, off, s[0:3], 0 offset:168
	buffer_store_dword v1, off, s[0:3], 0 offset:164
	;; [unrolled: 1-line block ×9, first 2 shown]
.LBB2123_310:                           ; =>This Inner Loop Header: Depth=1
	v_add_nc_u32_e64 v2, 0x8c, s5
	s_add_i32 s5, s5, 4
	s_cmp_lg_u32 s5, 32
	buffer_store_dword v1, v2, s[0:3], 0 offen
	s_cbranch_scc1 .LBB2123_310
; %bb.311:
	v_mov_b32_e32 v1, 0
	s_mov_b32 s5, 0
	buffer_store_byte v1, off, s[0:3], 0 offset:172
	buffer_store_dword v1, off, s[0:3], 0 offset:208
.LBB2123_312:                           ; =>This Inner Loop Header: Depth=1
	v_add_nc_u32_e64 v2, 0xb0, s5
	s_add_i32 s5, s5, 4
	s_cmp_lg_u32 s5, 32
	buffer_store_dword v1, v2, s[0:3], 0 offen
	s_cbranch_scc1 .LBB2123_312
; %bb.313:
	s_clause 0x9
	buffer_load_dword v1, off, s[0:3], 0 offset:332
	buffer_load_dword v2, off, s[0:3], 0 offset:328
	;; [unrolled: 1-line block ×4, first 2 shown]
	buffer_load_ubyte v9, off, s[0:3], 0 offset:388
	buffer_load_dword v5, off, s[0:3], 0 offset:348
	buffer_load_dword v6, off, s[0:3], 0 offset:344
	;; [unrolled: 1-line block ×4, first 2 shown]
	buffer_load_ubyte v10, off, s[0:3], 0 offset:352
	s_waitcnt vmcnt(9)
	buffer_store_dword v1, off, s[0:3], 0 offset:188
	s_waitcnt vmcnt(8)
	buffer_store_dword v2, off, s[0:3], 0 offset:184
	;; [unrolled: 2-line block ×4, first 2 shown]
	s_waitcnt vmcnt(5)
	v_cmp_ne_u16_e64 s5, 0, v9
                                        ; implicit-def: $vgpr4
                                        ; implicit-def: $vgpr1
                                        ; implicit-def: $vgpr2
                                        ; implicit-def: $vgpr3
	s_waitcnt vmcnt(4)
	buffer_store_dword v5, off, s[0:3], 0 offset:204
	s_waitcnt vmcnt(3)
	buffer_store_dword v6, off, s[0:3], 0 offset:200
	;; [unrolled: 2-line block ×4, first 2 shown]
                                        ; implicit-def: $vgpr5
                                        ; implicit-def: $vgpr6
                                        ; implicit-def: $vgpr7
                                        ; implicit-def: $vgpr8
	s_and_saveexec_b32 s6, s5
	s_xor_b32 s5, exec_lo, s6
	s_cbranch_execz .LBB2123_315
; %bb.314:
	s_clause 0x7
	buffer_load_dword v1, off, s[0:3], 0 offset:356
	buffer_load_dword v2, off, s[0:3], 0 offset:360
	;; [unrolled: 1-line block ×8, first 2 shown]
.LBB2123_315:
	s_andn2_saveexec_b32 s5, s5
	s_cbranch_execz .LBB2123_321
; %bb.316:
	s_waitcnt vmcnt(7)
	v_mov_b32_e32 v1, 0
	s_mov_b32 s6, 0
.LBB2123_317:                           ; =>This Inner Loop Header: Depth=1
	s_waitcnt vmcnt(6)
	v_add_nc_u32_e64 v2, s6, 32
	s_add_i32 s6, s6, 4
	s_cmp_lg_u32 s6, 32
	buffer_store_dword v1, v2, s[0:3], 0 offen
	s_cbranch_scc1 .LBB2123_317
; %bb.318:
	s_mov_b32 s6, 0
	.p2align	6
.LBB2123_319:                           ; =>This Inner Loop Header: Depth=1
	v_add_nc_u32_e64 v1, 0xb0, s6
	v_add_nc_u32_e64 v2, 0x140, s6
	s_waitcnt vmcnt(5)
	v_add_nc_u32_e64 v3, s6, 32
	s_add_i32 s6, s6, 4
	s_clause 0x1
	buffer_load_dword v1, v1, s[0:3], 0 offen
	buffer_load_dword v2, v2, s[0:3], 0 offen offset:36
	s_cmp_lg_u32 s6, 32
	s_waitcnt vmcnt(0)
	v_add_nc_u32_e32 v1, v2, v1
	buffer_store_dword v1, v3, s[0:3], 0 offen
	s_cbranch_scc1 .LBB2123_319
; %bb.320:
	s_clause 0x7
	buffer_load_dword v1, off, s[0:3], 0 offset:32
	buffer_load_dword v2, off, s[0:3], 0 offset:36
	buffer_load_dword v3, off, s[0:3], 0 offset:40
	buffer_load_dword v5, off, s[0:3], 0 offset:44
	buffer_load_dword v6, off, s[0:3], 0 offset:48
	buffer_load_dword v7, off, s[0:3], 0 offset:52
	buffer_load_dword v8, off, s[0:3], 0 offset:56
	buffer_load_dword v4, off, s[0:3], 0 offset:60
.LBB2123_321:
	s_or_b32 exec_lo, exec_lo, s5
	buffer_load_ubyte v11, off, s[0:3], 0 offset:424
	s_waitcnt vmcnt(8)
	buffer_store_dword v1, off, s[0:3], 0 offset:176
	s_waitcnt vmcnt(7)
	buffer_store_dword v2, off, s[0:3], 0 offset:180
	;; [unrolled: 2-line block ×8, first 2 shown]
                                        ; implicit-def: $vgpr7
                                        ; implicit-def: $vgpr1
                                        ; implicit-def: $vgpr2
                                        ; implicit-def: $vgpr3
                                        ; implicit-def: $vgpr4
                                        ; implicit-def: $vgpr5
                                        ; implicit-def: $vgpr6
                                        ; implicit-def: $vgpr8
	s_waitcnt vmcnt(0)
	v_cmp_ne_u16_e64 s5, 0, v11
	s_and_saveexec_b32 s6, s5
	s_xor_b32 s5, exec_lo, s6
	s_cbranch_execz .LBB2123_323
; %bb.322:
	s_clause 0x7
	buffer_load_dword v1, off, s[0:3], 0 offset:392
	buffer_load_dword v2, off, s[0:3], 0 offset:396
	;; [unrolled: 1-line block ×8, first 2 shown]
.LBB2123_323:
	s_andn2_saveexec_b32 s5, s5
	s_cbranch_execz .LBB2123_329
; %bb.324:
	s_waitcnt vmcnt(7)
	v_mov_b32_e32 v1, 0
	s_mov_b32 s6, 0
.LBB2123_325:                           ; =>This Inner Loop Header: Depth=1
	s_waitcnt vmcnt(6)
	v_add_nc_u32_e64 v2, s6, 32
	s_add_i32 s6, s6, 4
	s_cmp_lg_u32 s6, 32
	buffer_store_dword v1, v2, s[0:3], 0 offen
	s_cbranch_scc1 .LBB2123_325
; %bb.326:
	s_mov_b32 s6, 0
	.p2align	6
.LBB2123_327:                           ; =>This Inner Loop Header: Depth=1
	v_add_nc_u32_e64 v1, 0xb0, s6
	v_add_nc_u32_e64 v2, 0x140, s6
	s_waitcnt vmcnt(5)
	v_add_nc_u32_e64 v3, s6, 32
	s_add_i32 s6, s6, 4
	s_clause 0x1
	buffer_load_dword v1, v1, s[0:3], 0 offen
	buffer_load_dword v2, v2, s[0:3], 0 offen offset:72
	s_cmp_lg_u32 s6, 32
	s_waitcnt vmcnt(0)
	v_add_nc_u32_e32 v1, v2, v1
	buffer_store_dword v1, v3, s[0:3], 0 offen
	s_cbranch_scc1 .LBB2123_327
; %bb.328:
	s_clause 0x7
	buffer_load_dword v1, off, s[0:3], 0 offset:32
	buffer_load_dword v2, off, s[0:3], 0 offset:36
	;; [unrolled: 1-line block ×8, first 2 shown]
.LBB2123_329:
	s_or_b32 exec_lo, exec_lo, s5
	s_clause 0x1
	buffer_load_ushort v12, off, s[0:3], 0 offset:209
	buffer_load_sbyte v13, off, s[0:3], 0 offset:211
	v_or_b32_e32 v10, v9, v10
	v_mov_b32_e32 v14, 0
	v_and_b32_e32 v11, 1, v11
	v_mbcnt_lo_u32_b32 v9, -1, 0
	s_waitcnt vmcnt(9)
	v_mov_b32_dpp v15, v1 row_shr:1 row_mask:0xf bank_mask:0xf
	s_waitcnt vmcnt(5)
	v_mov_b32_dpp v19, v5 row_shr:1 row_mask:0xf bank_mask:0xf
	v_cmp_ne_u16_sdwa s6, v10, v14 src0_sel:BYTE_0 src1_sel:DWORD
	v_cmp_eq_u32_e64 s5, 1, v11
	v_mov_b32_dpp v16, v2 row_shr:1 row_mask:0xf bank_mask:0xf
	s_waitcnt vmcnt(4)
	v_mov_b32_dpp v20, v6 row_shr:1 row_mask:0xf bank_mask:0xf
	v_mov_b32_dpp v17, v3 row_shr:1 row_mask:0xf bank_mask:0xf
	s_waitcnt vmcnt(3)
	v_mov_b32_dpp v21, v8 row_shr:1 row_mask:0xf bank_mask:0xf
	s_or_b32 s5, s6, s5
	v_mov_b32_dpp v18, v4 row_shr:1 row_mask:0xf bank_mask:0xf
	v_cndmask_b32_e64 v10, 0, 1, s5
	s_waitcnt vmcnt(2)
	v_mov_b32_dpp v22, v7 row_shr:1 row_mask:0xf bank_mask:0xf
	s_mov_b32 s6, exec_lo
	buffer_store_dword v1, off, s[0:3], 0 offset:104
	buffer_store_dword v2, off, s[0:3], 0 offset:108
	buffer_store_dword v3, off, s[0:3], 0 offset:112
	buffer_store_dword v4, off, s[0:3], 0 offset:116
	buffer_store_dword v5, off, s[0:3], 0 offset:120
	buffer_store_dword v6, off, s[0:3], 0 offset:124
	buffer_store_dword v8, off, s[0:3], 0 offset:128
	buffer_store_dword v7, off, s[0:3], 0 offset:132
	s_waitcnt vmcnt(1)
	v_lshlrev_b16 v11, 8, v12
	s_waitcnt vmcnt(0)
	v_perm_b32 v12, v12, v13, 0xc0c0005
	v_or_b32_e32 v10, v10, v11
	v_and_b32_e32 v11, 15, v9
	v_and_b32_e32 v13, 0xffff, v10
	v_lshl_or_b32 v12, v12, 16, v13
	buffer_store_dword v15, off, s[0:3], 0 offset:176
	buffer_store_dword v16, off, s[0:3], 0 offset:180
	;; [unrolled: 1-line block ×5, first 2 shown]
	v_mov_b32_dpp v13, v12 row_shr:1 row_mask:0xf bank_mask:0xf
	buffer_store_dword v19, off, s[0:3], 0 offset:192
	buffer_store_dword v20, off, s[0:3], 0 offset:196
	;; [unrolled: 1-line block ×5, first 2 shown]
	v_cmpx_ne_u32_e32 0, v11
	s_cbranch_execz .LBB2123_337
; %bb.330:
	v_cmp_eq_u16_sdwa s7, v10, v14 src0_sel:BYTE_0 src1_sel:DWORD
	s_and_saveexec_b32 s5, s7
	s_cbranch_execz .LBB2123_336
; %bb.331:
	v_mov_b32_e32 v1, 0
	s_mov_b32 s7, 0
.LBB2123_332:                           ; =>This Inner Loop Header: Depth=1
	v_add_nc_u32_e64 v2, s7, 32
	s_add_i32 s7, s7, 4
	s_cmp_lg_u32 s7, 32
	buffer_store_dword v1, v2, s[0:3], 0 offen
	s_cbranch_scc1 .LBB2123_332
; %bb.333:
	s_mov_b32 s7, 0
	.p2align	6
.LBB2123_334:                           ; =>This Inner Loop Header: Depth=1
	v_add_nc_u32_e64 v1, 0xb0, s7
	v_add_nc_u32_e64 v2, 0x68, s7
	;; [unrolled: 1-line block ×3, first 2 shown]
	s_add_i32 s7, s7, 4
	s_clause 0x1
	buffer_load_dword v1, v1, s[0:3], 0 offen
	buffer_load_dword v2, v2, s[0:3], 0 offen
	s_cmp_lg_u32 s7, 32
	s_waitcnt vmcnt(0)
	v_add_nc_u32_e32 v1, v2, v1
	buffer_store_dword v1, v3, s[0:3], 0 offen
	s_cbranch_scc1 .LBB2123_334
; %bb.335:
	s_clause 0x7
	buffer_load_dword v1, off, s[0:3], 0 offset:32
	buffer_load_dword v2, off, s[0:3], 0 offset:36
	;; [unrolled: 1-line block ×8, first 2 shown]
.LBB2123_336:
	s_or_b32 exec_lo, exec_lo, s5
	v_or_b32_e32 v10, v13, v12
	v_and_b32_e32 v10, 1, v10
	buffer_store_byte v10, off, s[0:3], 0 offset:136
	buffer_load_dword v12, off, s[0:3], 0 offset:136
	s_waitcnt vmcnt(8)
	buffer_store_dword v1, off, s[0:3], 0 offset:104
	s_waitcnt vmcnt(7)
	buffer_store_dword v2, off, s[0:3], 0 offset:108
	;; [unrolled: 2-line block ×8, first 2 shown]
	s_waitcnt vmcnt(0)
	v_mov_b32_e32 v10, v12
.LBB2123_337:
	s_or_b32 exec_lo, exec_lo, s6
	v_mov_b32_dpp v14, v1 row_shr:2 row_mask:0xf bank_mask:0xf
	v_mov_b32_dpp v13, v12 row_shr:2 row_mask:0xf bank_mask:0xf
	;; [unrolled: 1-line block ×5, first 2 shown]
	s_mov_b32 s7, exec_lo
	v_mov_b32_dpp v18, v5 row_shr:2 row_mask:0xf bank_mask:0xf
	v_mov_b32_dpp v19, v6 row_shr:2 row_mask:0xf bank_mask:0xf
	;; [unrolled: 1-line block ×4, first 2 shown]
	buffer_store_dword v14, off, s[0:3], 0 offset:176
	buffer_store_dword v15, off, s[0:3], 0 offset:180
	;; [unrolled: 1-line block ×9, first 2 shown]
	v_cmpx_lt_u32_e32 1, v11
	s_cbranch_execz .LBB2123_344
; %bb.338:
	v_mov_b32_e32 v12, 0
	s_mov_b32 s6, 0
	v_cmp_eq_u16_sdwa s8, v10, v12 src0_sel:BYTE_0 src1_sel:DWORD
	s_and_saveexec_b32 s5, s8
	s_cbranch_execz .LBB2123_343
.LBB2123_339:                           ; =>This Inner Loop Header: Depth=1
	v_add_nc_u32_e64 v1, s6, 32
	s_add_i32 s6, s6, 4
	s_cmp_lg_u32 s6, 32
	buffer_store_dword v12, v1, s[0:3], 0 offen
	s_cbranch_scc1 .LBB2123_339
; %bb.340:
	s_mov_b32 s6, 0
	.p2align	6
.LBB2123_341:                           ; =>This Inner Loop Header: Depth=1
	v_add_nc_u32_e64 v1, 0xb0, s6
	v_add_nc_u32_e64 v2, 0x68, s6
	v_add_nc_u32_e64 v3, s6, 32
	s_add_i32 s6, s6, 4
	s_clause 0x1
	buffer_load_dword v1, v1, s[0:3], 0 offen
	buffer_load_dword v2, v2, s[0:3], 0 offen
	s_cmp_lg_u32 s6, 32
	s_waitcnt vmcnt(0)
	v_add_nc_u32_e32 v1, v2, v1
	buffer_store_dword v1, v3, s[0:3], 0 offen
	s_cbranch_scc1 .LBB2123_341
; %bb.342:
	s_clause 0x7
	buffer_load_dword v1, off, s[0:3], 0 offset:32
	buffer_load_dword v2, off, s[0:3], 0 offset:36
	;; [unrolled: 1-line block ×8, first 2 shown]
.LBB2123_343:
	s_or_b32 exec_lo, exec_lo, s5
	v_and_b32_e32 v10, 1, v10
	v_and_b32_e32 v12, 1, v13
	v_cmp_eq_u32_e64 s5, 1, v10
	v_cmp_eq_u32_e64 s6, 1, v12
	s_or_b32 s5, s5, s6
	v_cndmask_b32_e64 v10, 0, 1, s5
	buffer_store_byte v10, off, s[0:3], 0 offset:136
	buffer_load_dword v12, off, s[0:3], 0 offset:136
	s_waitcnt vmcnt(8)
	buffer_store_dword v1, off, s[0:3], 0 offset:104
	s_waitcnt vmcnt(7)
	buffer_store_dword v2, off, s[0:3], 0 offset:108
	;; [unrolled: 2-line block ×8, first 2 shown]
	s_waitcnt vmcnt(0)
	v_mov_b32_e32 v10, v12
.LBB2123_344:
	s_or_b32 exec_lo, exec_lo, s7
	v_mov_b32_dpp v14, v1 row_shr:4 row_mask:0xf bank_mask:0xf
	v_mov_b32_dpp v13, v12 row_shr:4 row_mask:0xf bank_mask:0xf
	;; [unrolled: 1-line block ×5, first 2 shown]
	s_mov_b32 s7, exec_lo
	v_mov_b32_dpp v18, v5 row_shr:4 row_mask:0xf bank_mask:0xf
	v_mov_b32_dpp v19, v6 row_shr:4 row_mask:0xf bank_mask:0xf
	;; [unrolled: 1-line block ×4, first 2 shown]
	buffer_store_dword v14, off, s[0:3], 0 offset:176
	buffer_store_dword v15, off, s[0:3], 0 offset:180
	;; [unrolled: 1-line block ×9, first 2 shown]
	v_cmpx_lt_u32_e32 3, v11
	s_cbranch_execz .LBB2123_351
; %bb.345:
	v_mov_b32_e32 v12, 0
	s_mov_b32 s6, 0
	v_cmp_eq_u16_sdwa s8, v10, v12 src0_sel:BYTE_0 src1_sel:DWORD
	s_and_saveexec_b32 s5, s8
	s_cbranch_execz .LBB2123_350
.LBB2123_346:                           ; =>This Inner Loop Header: Depth=1
	v_add_nc_u32_e64 v1, s6, 32
	s_add_i32 s6, s6, 4
	s_cmp_lg_u32 s6, 32
	buffer_store_dword v12, v1, s[0:3], 0 offen
	s_cbranch_scc1 .LBB2123_346
; %bb.347:
	s_mov_b32 s6, 0
	.p2align	6
.LBB2123_348:                           ; =>This Inner Loop Header: Depth=1
	v_add_nc_u32_e64 v1, 0xb0, s6
	v_add_nc_u32_e64 v2, 0x68, s6
	;; [unrolled: 1-line block ×3, first 2 shown]
	s_add_i32 s6, s6, 4
	s_clause 0x1
	buffer_load_dword v1, v1, s[0:3], 0 offen
	buffer_load_dword v2, v2, s[0:3], 0 offen
	s_cmp_lg_u32 s6, 32
	s_waitcnt vmcnt(0)
	v_add_nc_u32_e32 v1, v2, v1
	buffer_store_dword v1, v3, s[0:3], 0 offen
	s_cbranch_scc1 .LBB2123_348
; %bb.349:
	s_clause 0x7
	buffer_load_dword v1, off, s[0:3], 0 offset:32
	buffer_load_dword v2, off, s[0:3], 0 offset:36
	;; [unrolled: 1-line block ×8, first 2 shown]
.LBB2123_350:
	s_or_b32 exec_lo, exec_lo, s5
	v_and_b32_e32 v10, 1, v10
	v_and_b32_e32 v12, 1, v13
	v_cmp_eq_u32_e64 s5, 1, v10
	v_cmp_eq_u32_e64 s6, 1, v12
	s_or_b32 s5, s5, s6
	v_cndmask_b32_e64 v10, 0, 1, s5
	buffer_store_byte v10, off, s[0:3], 0 offset:136
	buffer_load_dword v12, off, s[0:3], 0 offset:136
	s_waitcnt vmcnt(8)
	buffer_store_dword v1, off, s[0:3], 0 offset:104
	s_waitcnt vmcnt(7)
	buffer_store_dword v2, off, s[0:3], 0 offset:108
	;; [unrolled: 2-line block ×8, first 2 shown]
	s_waitcnt vmcnt(0)
	v_mov_b32_e32 v10, v12
.LBB2123_351:
	s_or_b32 exec_lo, exec_lo, s7
	v_mov_b32_dpp v14, v1 row_shr:8 row_mask:0xf bank_mask:0xf
	v_mov_b32_dpp v13, v12 row_shr:8 row_mask:0xf bank_mask:0xf
	;; [unrolled: 1-line block ×5, first 2 shown]
	s_mov_b32 s7, exec_lo
	v_mov_b32_dpp v18, v5 row_shr:8 row_mask:0xf bank_mask:0xf
	v_mov_b32_dpp v19, v6 row_shr:8 row_mask:0xf bank_mask:0xf
	;; [unrolled: 1-line block ×4, first 2 shown]
	buffer_store_dword v14, off, s[0:3], 0 offset:176
	buffer_store_dword v15, off, s[0:3], 0 offset:180
	;; [unrolled: 1-line block ×9, first 2 shown]
	v_cmpx_lt_u32_e32 7, v11
	s_cbranch_execz .LBB2123_358
; %bb.352:
	v_mov_b32_e32 v11, 0
	s_mov_b32 s6, 0
	v_cmp_eq_u16_sdwa s8, v10, v11 src0_sel:BYTE_0 src1_sel:DWORD
	s_and_saveexec_b32 s5, s8
	s_cbranch_execz .LBB2123_357
.LBB2123_353:                           ; =>This Inner Loop Header: Depth=1
	v_add_nc_u32_e64 v1, s6, 32
	s_add_i32 s6, s6, 4
	s_cmp_lg_u32 s6, 32
	buffer_store_dword v11, v1, s[0:3], 0 offen
	s_cbranch_scc1 .LBB2123_353
; %bb.354:
	s_mov_b32 s6, 0
	.p2align	6
.LBB2123_355:                           ; =>This Inner Loop Header: Depth=1
	v_add_nc_u32_e64 v1, 0xb0, s6
	v_add_nc_u32_e64 v2, 0x68, s6
	;; [unrolled: 1-line block ×3, first 2 shown]
	s_add_i32 s6, s6, 4
	s_clause 0x1
	buffer_load_dword v1, v1, s[0:3], 0 offen
	buffer_load_dword v2, v2, s[0:3], 0 offen
	s_cmp_lg_u32 s6, 32
	s_waitcnt vmcnt(0)
	v_add_nc_u32_e32 v1, v2, v1
	buffer_store_dword v1, v3, s[0:3], 0 offen
	s_cbranch_scc1 .LBB2123_355
; %bb.356:
	s_clause 0x7
	buffer_load_dword v1, off, s[0:3], 0 offset:32
	buffer_load_dword v2, off, s[0:3], 0 offset:36
	buffer_load_dword v3, off, s[0:3], 0 offset:40
	buffer_load_dword v4, off, s[0:3], 0 offset:44
	buffer_load_dword v5, off, s[0:3], 0 offset:48
	buffer_load_dword v6, off, s[0:3], 0 offset:52
	buffer_load_dword v8, off, s[0:3], 0 offset:56
	buffer_load_dword v7, off, s[0:3], 0 offset:60
.LBB2123_357:
	s_or_b32 exec_lo, exec_lo, s5
	v_and_b32_e32 v10, 1, v10
	v_and_b32_e32 v11, 1, v13
	v_cmp_eq_u32_e64 s5, 1, v10
	v_cmp_eq_u32_e64 s6, 1, v11
	s_or_b32 s5, s5, s6
	v_cndmask_b32_e64 v10, 0, 1, s5
	buffer_store_byte v10, off, s[0:3], 0 offset:136
	buffer_load_dword v12, off, s[0:3], 0 offset:136
	s_waitcnt vmcnt(8)
	buffer_store_dword v1, off, s[0:3], 0 offset:104
	s_waitcnt vmcnt(7)
	buffer_store_dword v2, off, s[0:3], 0 offset:108
	;; [unrolled: 2-line block ×8, first 2 shown]
	s_waitcnt vmcnt(0)
	v_mov_b32_e32 v10, v12
.LBB2123_358:
	s_or_b32 exec_lo, exec_lo, s7
	ds_swizzle_b32 v13, v1 offset:swizzle(BROADCAST,32,15)
	ds_swizzle_b32 v11, v12 offset:swizzle(BROADCAST,32,15)
	ds_swizzle_b32 v14, v2 offset:swizzle(BROADCAST,32,15)
	ds_swizzle_b32 v15, v3 offset:swizzle(BROADCAST,32,15)
	ds_swizzle_b32 v16, v4 offset:swizzle(BROADCAST,32,15)
	ds_swizzle_b32 v17, v5 offset:swizzle(BROADCAST,32,15)
	ds_swizzle_b32 v18, v6 offset:swizzle(BROADCAST,32,15)
	ds_swizzle_b32 v19, v8 offset:swizzle(BROADCAST,32,15)
	ds_swizzle_b32 v20, v7 offset:swizzle(BROADCAST,32,15)
	v_and_b32_e32 v12, 16, v9
	s_mov_b32 s7, exec_lo
	s_waitcnt lgkmcnt(8)
	buffer_store_dword v13, off, s[0:3], 0 offset:176
	s_waitcnt lgkmcnt(6)
	buffer_store_dword v14, off, s[0:3], 0 offset:180
	;; [unrolled: 2-line block ×8, first 2 shown]
	buffer_store_dword v11, off, s[0:3], 0 offset:208
	v_cmpx_ne_u32_e32 0, v12
	s_cbranch_execz .LBB2123_365
; %bb.359:
	v_mov_b32_e32 v12, 0
	s_mov_b32 s6, 0
	v_cmp_eq_u16_sdwa s8, v10, v12 src0_sel:BYTE_0 src1_sel:DWORD
	s_and_saveexec_b32 s5, s8
	s_cbranch_execz .LBB2123_364
.LBB2123_360:                           ; =>This Inner Loop Header: Depth=1
	v_add_nc_u32_e64 v1, s6, 32
	s_add_i32 s6, s6, 4
	s_cmp_lg_u32 s6, 32
	buffer_store_dword v12, v1, s[0:3], 0 offen
	s_cbranch_scc1 .LBB2123_360
; %bb.361:
	s_mov_b32 s6, 0
	.p2align	6
.LBB2123_362:                           ; =>This Inner Loop Header: Depth=1
	v_add_nc_u32_e64 v1, 0xb0, s6
	v_add_nc_u32_e64 v2, 0x68, s6
	;; [unrolled: 1-line block ×3, first 2 shown]
	s_add_i32 s6, s6, 4
	s_clause 0x1
	buffer_load_dword v1, v1, s[0:3], 0 offen
	buffer_load_dword v2, v2, s[0:3], 0 offen
	s_cmp_lg_u32 s6, 32
	s_waitcnt vmcnt(0)
	v_add_nc_u32_e32 v1, v2, v1
	buffer_store_dword v1, v3, s[0:3], 0 offen
	s_cbranch_scc1 .LBB2123_362
; %bb.363:
	s_clause 0x7
	buffer_load_dword v1, off, s[0:3], 0 offset:32
	buffer_load_dword v2, off, s[0:3], 0 offset:36
	;; [unrolled: 1-line block ×8, first 2 shown]
.LBB2123_364:
	s_or_b32 exec_lo, exec_lo, s5
	v_and_b32_e32 v10, 1, v10
	v_and_b32_e32 v11, 1, v11
	s_waitcnt vmcnt(7)
	buffer_store_dword v1, off, s[0:3], 0 offset:104
	s_waitcnt vmcnt(6)
	buffer_store_dword v2, off, s[0:3], 0 offset:108
	;; [unrolled: 2-line block ×3, first 2 shown]
	v_cmp_eq_u32_e64 s5, 1, v10
	v_cmp_eq_u32_e64 s6, 1, v11
	s_or_b32 s5, s5, s6
	v_cndmask_b32_e64 v10, 0, 1, s5
	s_waitcnt vmcnt(4)
	buffer_store_dword v4, off, s[0:3], 0 offset:116
	s_waitcnt vmcnt(3)
	buffer_store_dword v5, off, s[0:3], 0 offset:120
	;; [unrolled: 2-line block ×5, first 2 shown]
	buffer_store_byte v10, off, s[0:3], 0 offset:136
.LBB2123_365:
	s_or_b32 exec_lo, exec_lo, s7
	v_or_b32_e32 v12, 31, v0
	v_lshrrev_b32_e32 v11, 5, v0
	s_mov_b32 s6, exec_lo
	v_cmpx_eq_u32_e64 v0, v12
	s_cbranch_execz .LBB2123_367
; %bb.366:
	v_mul_u32_u24_e32 v12, 36, v11
	ds_write2_b32 v12, v1, v2 offset1:1
	ds_write2_b32 v12, v3, v4 offset0:2 offset1:3
	ds_write2_b32 v12, v5, v6 offset0:4 offset1:5
	;; [unrolled: 1-line block ×3, first 2 shown]
	ds_write_b8 v12, v10 offset:32
.LBB2123_367:
	s_or_b32 exec_lo, exec_lo, s6
	s_mov_b32 s7, exec_lo
	s_waitcnt lgkmcnt(0)
	s_waitcnt_vscnt null, 0x0
	s_barrier
	buffer_gl0_inv
	v_cmpx_gt_u32_e32 8, v0
	s_cbranch_execz .LBB2123_391
; %bb.368:
	v_mul_u32_u24_e32 v10, 36, v0
	v_and_b32_e32 v13, 7, v9
	ds_read_b32 v12, v10 offset:32
	ds_read2_b32 v[1:2], v10 offset0:2 offset1:3
	ds_read2_b32 v[5:6], v10 offset0:4 offset1:5
	ds_read2_b32 v[3:4], v10 offset1:1
	ds_read2_b32 v[7:8], v10 offset0:6 offset1:7
	v_cmp_ne_u32_e64 s5, 0, v13
	s_waitcnt lgkmcnt(4)
	buffer_store_dword v12, off, s[0:3], 0 offset:64
	s_waitcnt lgkmcnt(3)
	buffer_store_dword v1, off, s[0:3], 0 offset:40
	;; [unrolled: 2-line block ×3, first 2 shown]
	buffer_store_dword v3, off, s[0:3], 0 offset:32
	buffer_store_dword v2, off, s[0:3], 0 offset:44
	s_waitcnt lgkmcnt(0)
	buffer_store_dword v7, off, s[0:3], 0 offset:56
	buffer_store_dword v6, off, s[0:3], 0 offset:52
	;; [unrolled: 1-line block ×4, first 2 shown]
	v_mov_b32_dpp v15, v3 row_shr:1 row_mask:0xf bank_mask:0xf
	v_mov_b32_dpp v14, v12 row_shr:1 row_mask:0xf bank_mask:0xf
	;; [unrolled: 1-line block ×9, first 2 shown]
	buffer_store_dword v15, off, s[0:3], 0 offset:176
	buffer_store_dword v16, off, s[0:3], 0 offset:180
	;; [unrolled: 1-line block ×9, first 2 shown]
	s_and_saveexec_b32 s6, s5
	s_cbranch_execz .LBB2123_376
; %bb.369:
	v_mov_b32_e32 v15, 0
	v_cmp_eq_u16_sdwa s8, v12, v15 src0_sel:BYTE_0 src1_sel:DWORD
	s_and_saveexec_b32 s5, s8
	s_cbranch_execz .LBB2123_375
; %bb.370:
	s_mov_b32 s8, 0
.LBB2123_371:                           ; =>This Inner Loop Header: Depth=1
	v_add_nc_u32_e64 v1, 0x44, s8
	s_add_i32 s8, s8, 4
	s_cmp_lg_u32 s8, 32
	buffer_store_dword v15, v1, s[0:3], 0 offen
	s_cbranch_scc1 .LBB2123_371
; %bb.372:
	s_mov_b32 s8, 0
	.p2align	6
.LBB2123_373:                           ; =>This Inner Loop Header: Depth=1
	v_add_nc_u32_e64 v1, 0xb0, s8
	v_add_nc_u32_e64 v2, s8, 32
	;; [unrolled: 1-line block ×3, first 2 shown]
	s_add_i32 s8, s8, 4
	s_clause 0x1
	buffer_load_dword v1, v1, s[0:3], 0 offen
	buffer_load_dword v2, v2, s[0:3], 0 offen
	s_cmp_lg_u32 s8, 32
	s_waitcnt vmcnt(0)
	v_add_nc_u32_e32 v1, v2, v1
	buffer_store_dword v1, v3, s[0:3], 0 offen
	s_cbranch_scc1 .LBB2123_373
; %bb.374:
	s_clause 0x7
	buffer_load_dword v3, off, s[0:3], 0 offset:68
	buffer_load_dword v4, off, s[0:3], 0 offset:72
	;; [unrolled: 1-line block ×8, first 2 shown]
.LBB2123_375:
	s_or_b32 exec_lo, exec_lo, s5
	v_or_b32_e32 v12, v14, v12
	v_and_b32_e32 v12, 1, v12
	buffer_store_byte v12, off, s[0:3], 0 offset:64
	buffer_load_dword v12, off, s[0:3], 0 offset:64
	s_waitcnt vmcnt(8)
	buffer_store_dword v3, off, s[0:3], 0 offset:32
	s_waitcnt vmcnt(7)
	buffer_store_dword v4, off, s[0:3], 0 offset:36
	;; [unrolled: 2-line block ×8, first 2 shown]
.LBB2123_376:
	s_or_b32 exec_lo, exec_lo, s6
	v_mov_b32_dpp v15, v3 row_shr:2 row_mask:0xf bank_mask:0xf
	s_waitcnt vmcnt(0)
	v_mov_b32_dpp v14, v12 row_shr:2 row_mask:0xf bank_mask:0xf
	v_mov_b32_dpp v16, v4 row_shr:2 row_mask:0xf bank_mask:0xf
	;; [unrolled: 1-line block ×4, first 2 shown]
	s_mov_b32 s8, exec_lo
	v_mov_b32_dpp v19, v5 row_shr:2 row_mask:0xf bank_mask:0xf
	v_mov_b32_dpp v20, v6 row_shr:2 row_mask:0xf bank_mask:0xf
	;; [unrolled: 1-line block ×4, first 2 shown]
	buffer_store_dword v15, off, s[0:3], 0 offset:176
	buffer_store_dword v16, off, s[0:3], 0 offset:180
	;; [unrolled: 1-line block ×9, first 2 shown]
	v_cmpx_lt_u32_e32 1, v13
	s_cbranch_execz .LBB2123_383
; %bb.377:
	v_mov_b32_e32 v15, 0
	s_mov_b32 s6, 0
	v_cmp_eq_u16_sdwa s9, v12, v15 src0_sel:BYTE_0 src1_sel:DWORD
	s_and_saveexec_b32 s5, s9
	s_cbranch_execz .LBB2123_382
.LBB2123_378:                           ; =>This Inner Loop Header: Depth=1
	v_add_nc_u32_e64 v1, 0x44, s6
	s_add_i32 s6, s6, 4
	s_cmp_lg_u32 s6, 32
	buffer_store_dword v15, v1, s[0:3], 0 offen
	s_cbranch_scc1 .LBB2123_378
; %bb.379:
	s_mov_b32 s6, 0
	.p2align	6
.LBB2123_380:                           ; =>This Inner Loop Header: Depth=1
	v_add_nc_u32_e64 v1, 0xb0, s6
	v_add_nc_u32_e64 v2, s6, 32
	;; [unrolled: 1-line block ×3, first 2 shown]
	s_add_i32 s6, s6, 4
	s_clause 0x1
	buffer_load_dword v1, v1, s[0:3], 0 offen
	buffer_load_dword v2, v2, s[0:3], 0 offen
	s_cmp_lg_u32 s6, 32
	s_waitcnt vmcnt(0)
	v_add_nc_u32_e32 v1, v2, v1
	buffer_store_dword v1, v3, s[0:3], 0 offen
	s_cbranch_scc1 .LBB2123_380
; %bb.381:
	s_clause 0x7
	buffer_load_dword v3, off, s[0:3], 0 offset:68
	buffer_load_dword v4, off, s[0:3], 0 offset:72
	;; [unrolled: 1-line block ×8, first 2 shown]
.LBB2123_382:
	s_or_b32 exec_lo, exec_lo, s5
	v_and_b32_e32 v12, 1, v12
	v_and_b32_e32 v14, 1, v14
	v_cmp_eq_u32_e64 s5, 1, v12
	v_cmp_eq_u32_e64 s6, 1, v14
	s_or_b32 s5, s5, s6
	v_cndmask_b32_e64 v12, 0, 1, s5
	buffer_store_byte v12, off, s[0:3], 0 offset:64
	buffer_load_dword v12, off, s[0:3], 0 offset:64
	s_waitcnt vmcnt(8)
	buffer_store_dword v3, off, s[0:3], 0 offset:32
	s_waitcnt vmcnt(7)
	buffer_store_dword v4, off, s[0:3], 0 offset:36
	;; [unrolled: 2-line block ×8, first 2 shown]
.LBB2123_383:
	s_or_b32 exec_lo, exec_lo, s8
	v_mov_b32_dpp v15, v3 row_shr:4 row_mask:0xf bank_mask:0xf
	s_waitcnt vmcnt(0)
	v_mov_b32_dpp v14, v12 row_shr:4 row_mask:0xf bank_mask:0xf
	v_mov_b32_dpp v16, v4 row_shr:4 row_mask:0xf bank_mask:0xf
	;; [unrolled: 1-line block ×4, first 2 shown]
	s_mov_b32 s8, exec_lo
	v_mov_b32_dpp v19, v5 row_shr:4 row_mask:0xf bank_mask:0xf
	v_mov_b32_dpp v20, v6 row_shr:4 row_mask:0xf bank_mask:0xf
	;; [unrolled: 1-line block ×4, first 2 shown]
	buffer_store_dword v15, off, s[0:3], 0 offset:176
	buffer_store_dword v16, off, s[0:3], 0 offset:180
	;; [unrolled: 1-line block ×9, first 2 shown]
	v_cmpx_lt_u32_e32 3, v13
	s_cbranch_execz .LBB2123_390
; %bb.384:
	v_mov_b32_e32 v13, 0
	s_mov_b32 s6, 0
	v_cmp_eq_u16_sdwa s9, v12, v13 src0_sel:BYTE_0 src1_sel:DWORD
	s_and_saveexec_b32 s5, s9
	s_cbranch_execz .LBB2123_389
.LBB2123_385:                           ; =>This Inner Loop Header: Depth=1
	v_add_nc_u32_e64 v1, 0x44, s6
	s_add_i32 s6, s6, 4
	s_cmp_lg_u32 s6, 32
	buffer_store_dword v13, v1, s[0:3], 0 offen
	s_cbranch_scc1 .LBB2123_385
; %bb.386:
	s_mov_b32 s6, 0
	.p2align	6
.LBB2123_387:                           ; =>This Inner Loop Header: Depth=1
	v_add_nc_u32_e64 v1, 0xb0, s6
	v_add_nc_u32_e64 v2, s6, 32
	;; [unrolled: 1-line block ×3, first 2 shown]
	s_add_i32 s6, s6, 4
	s_clause 0x1
	buffer_load_dword v1, v1, s[0:3], 0 offen
	buffer_load_dword v2, v2, s[0:3], 0 offen
	s_cmp_lg_u32 s6, 32
	s_waitcnt vmcnt(0)
	v_add_nc_u32_e32 v1, v2, v1
	buffer_store_dword v1, v3, s[0:3], 0 offen
	s_cbranch_scc1 .LBB2123_387
; %bb.388:
	s_clause 0x7
	buffer_load_dword v3, off, s[0:3], 0 offset:68
	buffer_load_dword v4, off, s[0:3], 0 offset:72
	;; [unrolled: 1-line block ×8, first 2 shown]
.LBB2123_389:
	s_or_b32 exec_lo, exec_lo, s5
	v_and_b32_e32 v12, 1, v12
	v_and_b32_e32 v13, 1, v14
	s_waitcnt vmcnt(7)
	buffer_store_dword v3, off, s[0:3], 0 offset:32
	s_waitcnt vmcnt(6)
	buffer_store_dword v4, off, s[0:3], 0 offset:36
	s_waitcnt vmcnt(5)
	buffer_store_dword v1, off, s[0:3], 0 offset:40
	s_waitcnt vmcnt(4)
	buffer_store_dword v2, off, s[0:3], 0 offset:44
	s_waitcnt vmcnt(3)
	buffer_store_dword v5, off, s[0:3], 0 offset:48
	s_waitcnt vmcnt(2)
	buffer_store_dword v6, off, s[0:3], 0 offset:52
	s_waitcnt vmcnt(1)
	buffer_store_dword v7, off, s[0:3], 0 offset:56
	s_waitcnt vmcnt(0)
	buffer_store_dword v8, off, s[0:3], 0 offset:60
	v_cmp_eq_u32_e64 s5, 1, v12
	v_cmp_eq_u32_e64 s6, 1, v13
	s_or_b32 s5, s5, s6
	v_cndmask_b32_e64 v12, 0, 1, s5
.LBB2123_390:
	s_or_b32 exec_lo, exec_lo, s8
	s_clause 0x7
	buffer_load_dword v1, off, s[0:3], 0 offset:32
	buffer_load_dword v2, off, s[0:3], 0 offset:36
	;; [unrolled: 1-line block ×8, first 2 shown]
	s_waitcnt vmcnt(4)
	ds_write2_b32 v10, v3, v4 offset0:2 offset1:3
	ds_write2_b32 v10, v1, v2 offset1:1
	s_waitcnt vmcnt(1)
	ds_write2_b32 v10, v6, v7 offset0:6 offset1:7
	s_waitcnt vmcnt(0)
	ds_write2_b32 v10, v5, v8 offset0:4 offset1:5
	ds_write_b8 v10, v12 offset:32
.LBB2123_391:
	s_or_b32 exec_lo, exec_lo, s7
	v_mov_b32_e32 v1, 0
	s_mov_b32 s5, 0
	s_waitcnt lgkmcnt(0)
	s_waitcnt_vscnt null, 0x0
	s_barrier
	buffer_gl0_inv
	buffer_store_dword v1, off, s[0:3], 0 offset:204
	buffer_store_dword v1, off, s[0:3], 0 offset:200
	;; [unrolled: 1-line block ×9, first 2 shown]
.LBB2123_392:                           ; =>This Inner Loop Header: Depth=1
	v_add_nc_u32_e64 v2, 0xb0, s5
	s_add_i32 s5, s5, 4
	s_cmp_lg_u32 s5, 32
	buffer_store_dword v1, v2, s[0:3], 0 offen
	s_cbranch_scc1 .LBB2123_392
; %bb.393:
	s_mov_b32 s6, exec_lo
                                        ; implicit-def: $vgpr2
                                        ; implicit-def: $vgpr3
                                        ; implicit-def: $vgpr4
                                        ; implicit-def: $vgpr5
                                        ; implicit-def: $vgpr6
                                        ; implicit-def: $vgpr8
                                        ; implicit-def: $vgpr10
                                        ; implicit-def: $vgpr7
                                        ; implicit-def: $vgpr1
	v_cmpx_lt_u32_e32 31, v0
	s_xor_b32 s6, exec_lo, s6
	s_cbranch_execz .LBB2123_403
; %bb.394:
	buffer_load_ubyte v12, off, s[0:3], 0 offset:136
	v_mad_u32_u24 v1, v11, 36, 0xffffffdc
	v_mad_u32_u24 v8, v11, 36, -4
	ds_read2_b32 v[2:3], v1 offset0:2 offset1:3
	ds_read2_b32 v[4:5], v1 offset0:4 offset1:5
	ds_read2_b32 v[6:7], v1 offset1:1
	ds_read2_b32 v[10:11], v1 offset0:6 offset1:7
	ds_read_u8 v1, v8
                                        ; implicit-def: $vgpr8
	s_waitcnt lgkmcnt(4)
	buffer_store_dword v3, off, s[0:3], 0 offset:188
	buffer_store_dword v2, off, s[0:3], 0 offset:184
	s_waitcnt lgkmcnt(2)
	buffer_store_dword v7, off, s[0:3], 0 offset:180
	buffer_store_dword v6, off, s[0:3], 0 offset:176
	;; [unrolled: 3-line block ×3, first 2 shown]
	buffer_store_dword v5, off, s[0:3], 0 offset:196
	buffer_store_dword v4, off, s[0:3], 0 offset:192
                                        ; implicit-def: $vgpr7
                                        ; implicit-def: $vgpr2
                                        ; implicit-def: $vgpr3
                                        ; implicit-def: $vgpr4
                                        ; implicit-def: $vgpr5
                                        ; implicit-def: $vgpr6
                                        ; implicit-def: $vgpr10
	s_waitcnt vmcnt(0)
	v_cmp_ne_u16_e64 s5, 0, v12
	s_and_saveexec_b32 s7, s5
	s_xor_b32 s5, exec_lo, s7
	s_cbranch_execz .LBB2123_396
; %bb.395:
	s_clause 0x7
	buffer_load_dword v2, off, s[0:3], 0 offset:104
	buffer_load_dword v3, off, s[0:3], 0 offset:108
	buffer_load_dword v4, off, s[0:3], 0 offset:112
	buffer_load_dword v5, off, s[0:3], 0 offset:116
	buffer_load_dword v6, off, s[0:3], 0 offset:120
	buffer_load_dword v8, off, s[0:3], 0 offset:124
	buffer_load_dword v10, off, s[0:3], 0 offset:128
	buffer_load_dword v7, off, s[0:3], 0 offset:132
.LBB2123_396:
	s_andn2_saveexec_b32 s5, s5
	s_cbranch_execz .LBB2123_402
; %bb.397:
	s_waitcnt vmcnt(7)
	v_mov_b32_e32 v2, 0
	s_mov_b32 s7, 0
.LBB2123_398:                           ; =>This Inner Loop Header: Depth=1
	s_waitcnt vmcnt(6)
	v_add_nc_u32_e64 v3, s7, 32
	s_add_i32 s7, s7, 4
	s_cmp_lg_u32 s7, 32
	buffer_store_dword v2, v3, s[0:3], 0 offen
	s_cbranch_scc1 .LBB2123_398
; %bb.399:
	s_mov_b32 s7, 0
	.p2align	6
.LBB2123_400:                           ; =>This Inner Loop Header: Depth=1
	v_add_nc_u32_e64 v2, 0xb0, s7
	v_add_nc_u32_e64 v3, 0x68, s7
	s_waitcnt vmcnt(5)
	v_add_nc_u32_e64 v4, s7, 32
	s_add_i32 s7, s7, 4
	s_clause 0x1
	buffer_load_dword v2, v2, s[0:3], 0 offen
	buffer_load_dword v3, v3, s[0:3], 0 offen
	s_cmp_lg_u32 s7, 32
	s_waitcnt vmcnt(0)
	v_add_nc_u32_e32 v2, v3, v2
	buffer_store_dword v2, v4, s[0:3], 0 offen
	s_cbranch_scc1 .LBB2123_400
; %bb.401:
	s_clause 0x7
	buffer_load_dword v2, off, s[0:3], 0 offset:32
	buffer_load_dword v3, off, s[0:3], 0 offset:36
	;; [unrolled: 1-line block ×8, first 2 shown]
.LBB2123_402:
	s_or_b32 exec_lo, exec_lo, s5
	s_waitcnt lgkmcnt(0)
	v_or_b32_e32 v11, v12, v1
	buffer_store_byte v11, off, s[0:3], 0 offset:136
.LBB2123_403:
	s_andn2_saveexec_b32 s5, s6
	s_cbranch_execz .LBB2123_405
; %bb.404:
	s_clause 0x7
	buffer_load_dword v2, off, s[0:3], 0 offset:104
	buffer_load_dword v3, off, s[0:3], 0 offset:108
	;; [unrolled: 1-line block ×8, first 2 shown]
	v_mov_b32_e32 v1, 0
.LBB2123_405:
	s_or_b32 exec_lo, exec_lo, s5
	buffer_load_dword v11, off, s[0:3], 0 offset:136
	v_sub_co_u32 v12, s6, v9, 1
	v_cmp_gt_i32_e64 s5, 0, v12
	v_cndmask_b32_e64 v9, v12, v9, s5
	v_lshlrev_b32_e32 v14, 2, v9
	s_waitcnt vmcnt(8)
	ds_bpermute_b32 v12, v14, v2
	s_waitcnt vmcnt(7)
	ds_bpermute_b32 v9, v14, v3
	;; [unrolled: 2-line block ×9, first 2 shown]
	s_waitcnt lgkmcnt(8)
	buffer_store_dword v12, off, s[0:3], 0 offset:104
	s_waitcnt lgkmcnt(7)
	buffer_store_dword v9, off, s[0:3], 0 offset:108
	;; [unrolled: 2-line block ×8, first 2 shown]
	s_waitcnt lgkmcnt(0)
	buffer_store_byte v2, off, s[0:3], 0 offset:136
	s_and_saveexec_b32 s5, s6
	s_cbranch_execz .LBB2123_407
; %bb.406:
	s_clause 0x7
	buffer_load_dword v3, off, s[0:3], 0 offset:188
	buffer_load_dword v4, off, s[0:3], 0 offset:184
	;; [unrolled: 1-line block ×8, first 2 shown]
	v_mov_b32_e32 v2, v1
	s_waitcnt vmcnt(7)
	buffer_store_dword v3, off, s[0:3], 0 offset:116
	s_waitcnt vmcnt(6)
	buffer_store_dword v4, off, s[0:3], 0 offset:112
	;; [unrolled: 2-line block ×8, first 2 shown]
	buffer_store_byte v1, off, s[0:3], 0 offset:136
.LBB2123_407:
	s_or_b32 exec_lo, exec_lo, s5
	s_clause 0x8
	buffer_load_dword v7, off, s[0:3], 0 offset:332
	buffer_load_dword v10, off, s[0:3], 0 offset:328
	;; [unrolled: 1-line block ×9, first 2 shown]
	buffer_store_dword v12, off, s[0:3], 0 offset:32
	buffer_store_dword v9, off, s[0:3], 0 offset:36
	;; [unrolled: 1-line block ×4, first 2 shown]
	v_perm_b32 v3, v2, v11, 0x3020104
                                        ; implicit-def: $vgpr4
                                        ; implicit-def: $vgpr9
	buffer_store_dword v13, off, s[0:3], 0 offset:48
	buffer_store_dword v8, off, s[0:3], 0 offset:52
	;; [unrolled: 1-line block ×5, first 2 shown]
	s_waitcnt vmcnt(8)
	buffer_store_dword v7, off, s[0:3], 0 offset:80
	s_waitcnt vmcnt(7)
	buffer_store_dword v10, off, s[0:3], 0 offset:76
	;; [unrolled: 2-line block ×9, first 2 shown]
                                        ; implicit-def: $vgpr5
                                        ; implicit-def: $vgpr3
                                        ; implicit-def: $vgpr6
                                        ; implicit-def: $vgpr7
                                        ; implicit-def: $vgpr10
                                        ; implicit-def: $vgpr8
	s_and_saveexec_b32 s5, s4
	s_xor_b32 s4, exec_lo, s5
	s_cbranch_execz .LBB2123_417
; %bb.408:
	v_mov_b32_e32 v3, 0
                                        ; implicit-def: $vgpr8
                                        ; implicit-def: $vgpr5
                                        ; implicit-def: $vgpr4
                                        ; implicit-def: $vgpr6
                                        ; implicit-def: $vgpr7
                                        ; implicit-def: $vgpr9
                                        ; implicit-def: $vgpr10
	v_cmp_ne_u16_sdwa s5, v1, v3 src0_sel:BYTE_0 src1_sel:DWORD
                                        ; implicit-def: $vgpr3
	s_and_saveexec_b32 s6, s5
	s_xor_b32 s5, exec_lo, s6
	s_cbranch_execz .LBB2123_410
; %bb.409:
	s_clause 0x7
	buffer_load_dword v5, off, s[0:3], 0 offset:68
	buffer_load_dword v3, off, s[0:3], 0 offset:72
	;; [unrolled: 1-line block ×8, first 2 shown]
.LBB2123_410:
	s_andn2_saveexec_b32 s5, s5
	s_cbranch_execz .LBB2123_416
; %bb.411:
	s_waitcnt vmcnt(6)
	v_mov_b32_e32 v3, 0
	s_mov_b32 s6, 0
.LBB2123_412:                           ; =>This Inner Loop Header: Depth=1
	s_waitcnt vmcnt(5)
	v_add_nc_u32_e64 v4, 0xb0, s6
	s_add_i32 s6, s6, 4
	s_cmp_lg_u32 s6, 32
	buffer_store_dword v3, v4, s[0:3], 0 offen
	s_cbranch_scc1 .LBB2123_412
; %bb.413:
	s_mov_b32 s6, 0
	.p2align	6
.LBB2123_414:                           ; =>This Inner Loop Header: Depth=1
	v_add_nc_u32_e64 v3, s6, 32
	v_add_nc_u32_e64 v4, 0x44, s6
	;; [unrolled: 1-line block ×3, first 2 shown]
	s_add_i32 s6, s6, 4
	s_clause 0x1
	buffer_load_dword v3, v3, s[0:3], 0 offen
	buffer_load_dword v4, v4, s[0:3], 0 offen
	s_cmp_lg_u32 s6, 32
	s_waitcnt vmcnt(0)
	v_add_nc_u32_e32 v3, v4, v3
	buffer_store_dword v3, v5, s[0:3], 0 offen
	s_cbranch_scc1 .LBB2123_414
; %bb.415:
	s_clause 0x7
	buffer_load_dword v5, off, s[0:3], 0 offset:176
	buffer_load_dword v3, off, s[0:3], 0 offset:180
	;; [unrolled: 1-line block ×8, first 2 shown]
.LBB2123_416:
	s_or_b32 exec_lo, exec_lo, s5
	v_and_b32_e32 v2, 1, v2
	s_waitcnt vmcnt(7)
	buffer_store_dword v5, off, s[0:3], 0 offset:68
	s_waitcnt vmcnt(6)
	buffer_store_dword v3, off, s[0:3], 0 offset:72
	;; [unrolled: 2-line block ×8, first 2 shown]
	;;#ASMSTART
	;;#ASMEND
	v_or_b32_e32 v1, v1, v2
.LBB2123_417:
	s_andn2_saveexec_b32 s4, s4
	s_cbranch_execz .LBB2123_419
; %bb.418:
	s_clause 0x7
	buffer_load_dword v5, off, s[0:3], 0 offset:68
	buffer_load_dword v3, off, s[0:3], 0 offset:72
	buffer_load_dword v4, off, s[0:3], 0 offset:76
	buffer_load_dword v6, off, s[0:3], 0 offset:80
	buffer_load_dword v7, off, s[0:3], 0 offset:84
	buffer_load_dword v9, off, s[0:3], 0 offset:88
	buffer_load_dword v10, off, s[0:3], 0 offset:92
	buffer_load_dword v8, off, s[0:3], 0 offset:96
.LBB2123_419:
	s_or_b32 exec_lo, exec_lo, s4
	s_clause 0xa
	buffer_load_dword v11, off, s[0:3], 0 offset:80
	buffer_load_dword v12, off, s[0:3], 0 offset:76
	;; [unrolled: 1-line block ×8, first 2 shown]
	buffer_load_ushort v19, off, s[0:3], 0 offset:101
	buffer_load_ubyte v20, off, s[0:3], 0 offset:103
	buffer_load_ubyte v2, off, s[0:3], 0 offset:388
	buffer_store_byte v1, off, s[0:3], 0 offset:352
	s_waitcnt vmcnt(18)
	buffer_store_dword v5, off, s[0:3], 0 offset:176
	s_waitcnt vmcnt(10)
	buffer_store_dword v11, off, s[0:3], 0 offset:332
	;; [unrolled: 2-line block ×9, first 2 shown]
	s_waitcnt vmcnt(2)
	v_perm_b32 v5, v1, v19, 0xc0c0004
	s_waitcnt vmcnt(1)
	v_perm_b32 v11, v19, v20, 0xc0c0005
	s_waitcnt vmcnt(0)
	v_cmp_ne_u16_e64 s4, 0, v2
	buffer_store_dword v3, off, s[0:3], 0 offset:180
	buffer_store_dword v4, off, s[0:3], 0 offset:184
	buffer_store_dword v6, off, s[0:3], 0 offset:188
	buffer_store_dword v7, off, s[0:3], 0 offset:192
                                        ; implicit-def: $vgpr4
                                        ; implicit-def: $vgpr7
                                        ; implicit-def: $vgpr6
	v_lshl_or_b32 v3, v11, 16, v5
                                        ; implicit-def: $vgpr5
                                        ; implicit-def: $vgpr11
	buffer_store_dword v9, off, s[0:3], 0 offset:196
	buffer_store_dword v10, off, s[0:3], 0 offset:200
	;; [unrolled: 1-line block ×4, first 2 shown]
                                        ; implicit-def: $vgpr9
                                        ; implicit-def: $vgpr10
                                        ; implicit-def: $vgpr8
	s_and_saveexec_b32 s5, s4
	s_xor_b32 s4, exec_lo, s5
	s_cbranch_execz .LBB2123_421
; %bb.420:
	s_clause 0x7
	buffer_load_dword v4, off, s[0:3], 0 offset:356
	buffer_load_dword v5, off, s[0:3], 0 offset:360
	;; [unrolled: 1-line block ×8, first 2 shown]
.LBB2123_421:
	s_andn2_saveexec_b32 s4, s4
	s_cbranch_execz .LBB2123_427
; %bb.422:
	v_mov_b32_e32 v3, 0
	s_mov_b32 s5, 0
.LBB2123_423:                           ; =>This Inner Loop Header: Depth=1
	s_waitcnt vmcnt(7)
	v_add_nc_u32_e64 v4, 0x110, s5
	s_add_i32 s5, s5, 4
	s_cmp_lg_u32 s5, 32
	buffer_store_dword v3, v4, s[0:3], 0 offen
	s_cbranch_scc1 .LBB2123_423
; %bb.424:
	s_mov_b32 s5, 0
	.p2align	6
.LBB2123_425:                           ; =>This Inner Loop Header: Depth=1
	v_add_nc_u32_e64 v3, 0xb0, s5
	v_add_nc_u32_e64 v4, 0x140, s5
	s_waitcnt vmcnt(6)
	v_add_nc_u32_e64 v5, 0x110, s5
	s_add_i32 s5, s5, 4
	s_clause 0x1
	buffer_load_dword v3, v3, s[0:3], 0 offen
	buffer_load_dword v4, v4, s[0:3], 0 offen offset:36
	s_cmp_lg_u32 s5, 32
	s_waitcnt vmcnt(0)
	v_add_nc_u32_e32 v3, v4, v3
	buffer_store_dword v3, v5, s[0:3], 0 offen
	s_cbranch_scc1 .LBB2123_425
; %bb.426:
	s_clause 0x7
	buffer_load_dword v4, off, s[0:3], 0 offset:272
	buffer_load_dword v5, off, s[0:3], 0 offset:276
	;; [unrolled: 1-line block ×8, first 2 shown]
.LBB2123_427:
	s_or_b32 exec_lo, exec_lo, s4
	buffer_load_ubyte v3, off, s[0:3], 0 offset:424
	v_or_b32_e32 v1, v2, v1
	v_mov_b32_e32 v2, s15
	s_waitcnt vmcnt(8)
	buffer_store_dword v4, off, s[0:3], 0 offset:176
	s_waitcnt vmcnt(7)
	buffer_store_dword v5, off, s[0:3], 0 offset:180
	;; [unrolled: 2-line block ×8, first 2 shown]
	buffer_store_dword v10, v2, s[0:3], 0 offen offset:12
	buffer_store_dword v7, v2, s[0:3], 0 offen offset:8
	;; [unrolled: 1-line block ×3, first 2 shown]
	buffer_store_dword v4, v2, s[0:3], 0 offen
	buffer_store_dword v9, v2, s[0:3], 0 offen offset:28
	buffer_store_dword v11, v2, s[0:3], 0 offen offset:24
	;; [unrolled: 1-line block ×4, first 2 shown]
	buffer_store_byte v1, off, s[0:3], 0 offset:388
                                        ; implicit-def: $vgpr7
                                        ; implicit-def: $vgpr2
                                        ; implicit-def: $vgpr4
                                        ; implicit-def: $vgpr6
                                        ; implicit-def: $vgpr9
                                        ; implicit-def: $vgpr5
                                        ; implicit-def: $vgpr8
                                        ; implicit-def: $vgpr10
	s_waitcnt vmcnt(0)
	v_cmp_ne_u16_e64 s4, 0, v3
	s_and_saveexec_b32 s5, s4
	s_xor_b32 s4, exec_lo, s5
	s_cbranch_execz .LBB2123_429
; %bb.428:
	s_clause 0x7
	buffer_load_dword v2, off, s[0:3], 0 offset:392
	buffer_load_dword v4, off, s[0:3], 0 offset:396
	;; [unrolled: 1-line block ×8, first 2 shown]
.LBB2123_429:
	s_andn2_saveexec_b32 s4, s4
	s_cbranch_execz .LBB2123_435
; %bb.430:
	s_waitcnt vmcnt(7)
	v_mov_b32_e32 v2, 0
	s_mov_b32 s5, 0
.LBB2123_431:                           ; =>This Inner Loop Header: Depth=1
	s_waitcnt vmcnt(6)
	v_add_nc_u32_e64 v4, 0x110, s5
	s_add_i32 s5, s5, 4
	s_cmp_lg_u32 s5, 32
	buffer_store_dword v2, v4, s[0:3], 0 offen
	s_cbranch_scc1 .LBB2123_431
; %bb.432:
	s_mov_b32 s5, 0
	.p2align	6
.LBB2123_433:                           ; =>This Inner Loop Header: Depth=1
	v_add_nc_u32_e64 v2, 0xb0, s5
	v_add_nc_u32_e64 v4, 0x140, s5
	s_waitcnt vmcnt(3)
	v_add_nc_u32_e64 v5, 0x110, s5
	s_add_i32 s5, s5, 4
	s_clause 0x1
	buffer_load_dword v2, v2, s[0:3], 0 offen
	buffer_load_dword v4, v4, s[0:3], 0 offen offset:72
	s_cmp_lg_u32 s5, 32
	s_waitcnt vmcnt(0)
	v_add_nc_u32_e32 v2, v4, v2
	buffer_store_dword v2, v5, s[0:3], 0 offen
	s_cbranch_scc1 .LBB2123_433
; %bb.434:
	s_clause 0x7
	buffer_load_dword v2, off, s[0:3], 0 offset:272
	buffer_load_dword v4, off, s[0:3], 0 offset:276
	;; [unrolled: 1-line block ×8, first 2 shown]
.LBB2123_435:
	s_or_b32 exec_lo, exec_lo, s4
	v_mov_b32_e32 v11, 0
	v_and_b32_e32 v3, 1, v3
	v_mov_b32_e32 v20, s33
	ds_read2_b32 v[12:13], v11 offset0:69 offset1:70
	ds_read2_b32 v[14:15], v11 offset0:67 offset1:68
	;; [unrolled: 1-line block ×4, first 2 shown]
	v_cmp_ne_u16_sdwa s5, v1, v11 src0_sel:BYTE_0 src1_sel:DWORD
	ds_read_u8 v1, v11 offset:284
	v_cmp_eq_u32_e64 s4, 1, v3
	s_waitcnt vmcnt(4)
	buffer_store_dword v9, v20, s[0:3], 0 offen offset:12
	buffer_store_dword v6, v20, s[0:3], 0 offen offset:8
	;; [unrolled: 1-line block ×3, first 2 shown]
	buffer_store_dword v2, v20, s[0:3], 0 offen
	s_or_b32 s4, s5, s4
	v_cndmask_b32_e64 v2, 0, 1, s4
	s_waitcnt vmcnt(0)
	buffer_store_dword v7, v20, s[0:3], 0 offen offset:28
	buffer_store_dword v10, v20, s[0:3], 0 offen offset:24
	;; [unrolled: 1-line block ×4, first 2 shown]
	buffer_store_byte v2, off, s[0:3], 0 offset:424
	s_waitcnt lgkmcnt(4)
	buffer_store_dword v13, off, s[0:3], 0 offset:168
	buffer_store_dword v12, off, s[0:3], 0 offset:164
	s_waitcnt lgkmcnt(3)
	buffer_store_dword v15, off, s[0:3], 0 offset:160
	buffer_store_dword v14, off, s[0:3], 0 offset:156
	;; [unrolled: 3-line block ×4, first 2 shown]
	s_waitcnt lgkmcnt(0)
	buffer_store_byte v1, off, s[0:3], 0 offset:172
	s_and_saveexec_b32 s4, vcc_lo
	s_cbranch_execz .LBB2123_437
; %bb.436:
	s_clause 0x7
	buffer_load_dword v2, off, s[0:3], 0 offset:140
	buffer_load_dword v3, off, s[0:3], 0 offset:144
	;; [unrolled: 1-line block ×8, first 2 shown]
	v_mov_b32_e32 v10, 2
	global_store_byte v11, v1, s[10:11] offset:1184
	s_waitcnt vmcnt(4)
	global_store_dwordx4 v11, v[2:5], s[10:11] offset:1152
	s_waitcnt vmcnt(0)
	global_store_dwordx4 v11, v[6:9], s[10:11] offset:1168
	s_waitcnt_vscnt null, 0x0
	buffer_gl1_inv
	buffer_gl0_inv
	global_store_byte v11, v10, s[12:13] offset:32
.LBB2123_437:
	s_or_b32 exec_lo, exec_lo, s4
.LBB2123_438:
	v_mov_b32_e32 v1, 0
	s_mov_b32 s4, 0
.LBB2123_439:                           ; =>This Inner Loop Header: Depth=1
	v_add_nc_u32_e64 v2, 0xb0, s4
	s_add_i32 s4, s4, 4
	s_cmp_lg_u32 s4, 32
	buffer_store_dword v1, v2, s[0:3], 0 offen
	s_cbranch_scc1 .LBB2123_439
; %bb.440:
	v_mov_b32_e32 v1, 0
	s_mov_b32 s4, 32
.LBB2123_441:                           ; =>This Inner Loop Header: Depth=1
	v_add_nc_u32_e64 v2, 0xb0, s4
	s_add_i32 s4, s4, 4
	s_cmp_lg_u32 s4, 64
	buffer_store_dword v1, v2, s[0:3], 0 offen
	s_cbranch_scc1 .LBB2123_441
; %bb.442:
	v_mov_b32_e32 v1, 0
	s_mov_b32 s4, 64
.LBB2123_443:                           ; =>This Inner Loop Header: Depth=1
	v_add_nc_u32_e64 v2, 0xb0, s4
	s_add_i32 s4, s4, 4
	s_cmpk_lg_i32 s4, 0x60
	buffer_store_dword v1, v2, s[0:3], 0 offen
	s_cbranch_scc1 .LBB2123_443
; %bb.444:
	s_add_u32 s4, s22, s28
	s_addc_u32 s5, s23, s29
	s_add_u32 s4, s4, s16
	s_movk_i32 s6, 0xf0
	s_movk_i32 s7, 0xd0
	s_addc_u32 s5, s5, s17
	s_and_b32 vcc_lo, exec_lo, s37
	s_cbranch_vccz .LBB2123_454
; %bb.445:
	v_mul_u32_u24_e32 v1, 3, v0
	s_add_i32 s36, s36, s14
	s_mov_b32 s8, exec_lo
	v_cmpx_gt_u32_e64 s36, v1
	s_cbranch_execz .LBB2123_449
; %bb.446:
	s_clause 0x7
	buffer_load_dword v2, off, s[0:3], 0 offset:332
	buffer_load_dword v3, off, s[0:3], 0 offset:328
	;; [unrolled: 1-line block ×8, first 2 shown]
	v_add_nc_u32_e32 v10, 1, v1
	s_waitcnt vmcnt(7)
	buffer_store_dword v2, off, s[0:3], 0 offset:188
	s_waitcnt vmcnt(6)
	buffer_store_dword v3, off, s[0:3], 0 offset:184
	;; [unrolled: 2-line block ×8, first 2 shown]
	v_cmp_gt_u32_e32 vcc_lo, s36, v10
	s_and_b32 exec_lo, exec_lo, vcc_lo
	s_cbranch_execz .LBB2123_449
; %bb.447:
	v_mov_b32_e32 v2, s15
	v_add_nc_u32_e32 v10, 2, v1
	v_mov_b32_e32 v11, s7
	s_clause 0x7
	buffer_load_dword v3, v2, s[0:3], 0 offen offset:12
	buffer_load_dword v4, v2, s[0:3], 0 offen offset:8
	;; [unrolled: 1-line block ×3, first 2 shown]
	buffer_load_dword v6, v2, s[0:3], 0 offen
	buffer_load_dword v7, v2, s[0:3], 0 offen offset:28
	buffer_load_dword v8, v2, s[0:3], 0 offen offset:24
	;; [unrolled: 1-line block ×4, first 2 shown]
	v_cmp_gt_u32_e32 vcc_lo, s36, v10
	s_waitcnt vmcnt(7)
	buffer_store_dword v3, v11, s[0:3], 0 offen offset:12
	s_waitcnt vmcnt(6)
	buffer_store_dword v4, v11, s[0:3], 0 offen offset:8
	;; [unrolled: 2-line block ×3, first 2 shown]
	s_waitcnt vmcnt(4)
	buffer_store_dword v6, v11, s[0:3], 0 offen
	s_waitcnt vmcnt(3)
	buffer_store_dword v7, v11, s[0:3], 0 offen offset:28
	s_waitcnt vmcnt(2)
	buffer_store_dword v8, v11, s[0:3], 0 offen offset:24
	;; [unrolled: 2-line block ×4, first 2 shown]
	s_and_b32 exec_lo, exec_lo, vcc_lo
	s_cbranch_execz .LBB2123_449
; %bb.448:
	v_mov_b32_e32 v2, s33
	v_mov_b32_e32 v10, s6
	s_clause 0x7
	buffer_load_dword v3, v2, s[0:3], 0 offen offset:12
	buffer_load_dword v4, v2, s[0:3], 0 offen offset:8
	;; [unrolled: 1-line block ×3, first 2 shown]
	buffer_load_dword v6, v2, s[0:3], 0 offen
	buffer_load_dword v7, v2, s[0:3], 0 offen offset:28
	buffer_load_dword v8, v2, s[0:3], 0 offen offset:24
	buffer_load_dword v9, v2, s[0:3], 0 offen offset:20
	buffer_load_dword v2, v2, s[0:3], 0 offen offset:16
	s_waitcnt vmcnt(7)
	buffer_store_dword v3, v10, s[0:3], 0 offen offset:12
	s_waitcnt vmcnt(6)
	buffer_store_dword v4, v10, s[0:3], 0 offen offset:8
	;; [unrolled: 2-line block ×3, first 2 shown]
	s_waitcnt vmcnt(4)
	buffer_store_dword v6, v10, s[0:3], 0 offen
	s_waitcnt vmcnt(3)
	buffer_store_dword v7, v10, s[0:3], 0 offen offset:28
	s_waitcnt vmcnt(2)
	buffer_store_dword v8, v10, s[0:3], 0 offen offset:24
	;; [unrolled: 2-line block ×4, first 2 shown]
.LBB2123_449:
	s_or_b32 exec_lo, exec_lo, s8
	v_mov_b32_e32 v28, s7
	s_waitcnt_vscnt null, 0x0
	s_barrier
	buffer_gl0_inv
	s_clause 0x7
	buffer_load_dword v4, off, s[0:3], 0 offset:176
	buffer_load_dword v5, off, s[0:3], 0 offset:180
	;; [unrolled: 1-line block ×8, first 2 shown]
	v_mov_b32_e32 v29, s6
	s_clause 0xf
	buffer_load_dword v12, v28, s[0:3], 0 offen
	buffer_load_dword v13, v28, s[0:3], 0 offen offset:4
	buffer_load_dword v14, v28, s[0:3], 0 offen offset:8
	;; [unrolled: 1-line block ×7, first 2 shown]
	buffer_load_dword v20, v29, s[0:3], 0 offen
	buffer_load_dword v21, v29, s[0:3], 0 offen offset:4
	buffer_load_dword v22, v29, s[0:3], 0 offen offset:8
	;; [unrolled: 1-line block ×7, first 2 shown]
	v_lshlrev_b32_e32 v1, 5, v1
	v_lshlrev_b32_e32 v2, 6, v0
	s_waitcnt vmcnt(20)
	ds_write_b128 v1, v[4:7]
	s_waitcnt vmcnt(16)
	ds_write_b128 v1, v[8:11] offset:16
	s_waitcnt vmcnt(12)
	ds_write_b128 v1, v[12:15] offset:32
	;; [unrolled: 2-line block ×5, first 2 shown]
	v_sub_nc_u32_e32 v3, v1, v2
	s_waitcnt lgkmcnt(0)
	s_barrier
	buffer_gl0_inv
	ds_read_b128 v[4:7], v3 offset:8192
	ds_read_b128 v[8:11], v3 offset:8208
	;; [unrolled: 1-line block ×3, first 2 shown]
	v_lshlrev_b32_e32 v1, 5, v0
	ds_read_b128 v[16:19], v3 offset:16400
	s_waitcnt lgkmcnt(3)
	buffer_store_dword v7, v28, s[0:3], 0 offen offset:12
	buffer_store_dword v6, v28, s[0:3], 0 offen offset:8
	;; [unrolled: 1-line block ×3, first 2 shown]
	buffer_store_dword v4, v28, s[0:3], 0 offen
	s_waitcnt lgkmcnt(2)
	buffer_store_dword v11, v28, s[0:3], 0 offen offset:28
	buffer_store_dword v10, v28, s[0:3], 0 offen offset:24
	;; [unrolled: 1-line block ×4, first 2 shown]
	s_waitcnt lgkmcnt(1)
	buffer_store_dword v15, v29, s[0:3], 0 offen offset:12
	buffer_store_dword v14, v29, s[0:3], 0 offen offset:8
	buffer_store_dword v13, v29, s[0:3], 0 offen offset:4
	buffer_store_dword v12, v29, s[0:3], 0 offen
	s_waitcnt lgkmcnt(0)
	buffer_store_dword v19, v29, s[0:3], 0 offen offset:28
	buffer_store_dword v18, v29, s[0:3], 0 offen offset:24
	;; [unrolled: 1-line block ×4, first 2 shown]
	v_add_co_u32 v1, s8, s4, v1
	v_add_co_ci_u32_e64 v2, null, s5, 0, s8
	s_mov_b32 s8, exec_lo
	v_cmpx_gt_u32_e64 s36, v0
	s_cbranch_execz .LBB2123_451
; %bb.450:
	ds_read2_b32 v[5:6], v3 offset0:2 offset1:3
	ds_read2_b32 v[7:8], v3 offset0:4 offset1:5
	;; [unrolled: 1-line block ×3, first 2 shown]
	ds_read2_b32 v[3:4], v3 offset1:1
	s_waitcnt lgkmcnt(0)
	flat_store_dwordx4 v[1:2], v[3:6]
	flat_store_dwordx4 v[1:2], v[7:10] offset:16
.LBB2123_451:
	s_or_b32 exec_lo, exec_lo, s8
	v_or_b32_e32 v3, 0x100, v0
	s_mov_b32 s8, exec_lo
	v_cmpx_gt_u32_e64 s36, v3
	s_cbranch_execz .LBB2123_453
; %bb.452:
	v_mov_b32_e32 v6, s7
	v_add_co_u32 v1, vcc_lo, 0x2000, v1
	v_add_co_ci_u32_e64 v2, null, 0, v2, vcc_lo
	s_clause 0x7
	buffer_load_dword v3, v6, s[0:3], 0 offen
	buffer_load_dword v4, v6, s[0:3], 0 offen offset:4
	buffer_load_dword v5, v6, s[0:3], 0 offen offset:8
	buffer_load_dword v7, v6, s[0:3], 0 offen offset:16
	buffer_load_dword v8, v6, s[0:3], 0 offen offset:20
	buffer_load_dword v9, v6, s[0:3], 0 offen offset:24
	buffer_load_dword v10, v6, s[0:3], 0 offen offset:28
	buffer_load_dword v6, v6, s[0:3], 0 offen offset:12
	s_waitcnt vmcnt(1)
	flat_store_dwordx4 v[1:2], v[7:10] offset:16
	s_waitcnt vmcnt(0)
	flat_store_dwordx4 v[1:2], v[3:6]
.LBB2123_453:
	s_or_b32 exec_lo, exec_lo, s8
	v_or_b32_e32 v1, 0x200, v0
	v_cmp_gt_u32_e64 s8, s36, v1
	s_branch .LBB2123_456
.LBB2123_454:
	s_mov_b32 s8, 0
	s_cbranch_execz .LBB2123_456
; %bb.455:
	v_mov_b32_e32 v1, s15
	v_mov_b32_e32 v10, s33
	s_clause 0x7
	buffer_load_dword v2, off, s[0:3], 0 offset:328
	buffer_load_dword v3, off, s[0:3], 0 offset:332
	;; [unrolled: 1-line block ×8, first 2 shown]
	v_mov_b32_e32 v29, s7
	v_mov_b32_e32 v30, s6
	s_clause 0xf
	buffer_load_dword v11, v1, s[0:3], 0 offen offset:12
	buffer_load_dword v12, v1, s[0:3], 0 offen offset:8
	;; [unrolled: 1-line block ×3, first 2 shown]
	buffer_load_dword v14, v1, s[0:3], 0 offen
	buffer_load_dword v15, v1, s[0:3], 0 offen offset:28
	buffer_load_dword v16, v1, s[0:3], 0 offen offset:24
	;; [unrolled: 1-line block ×7, first 2 shown]
	buffer_load_dword v21, v10, s[0:3], 0 offen
	buffer_load_dword v22, v10, s[0:3], 0 offen offset:28
	buffer_load_dword v23, v10, s[0:3], 0 offen offset:24
	;; [unrolled: 1-line block ×4, first 2 shown]
	v_mul_u32_u24_e32 v25, 0x60, v0
	v_lshlrev_b32_e32 v26, 6, v0
	s_or_b32 s8, s8, exec_lo
	s_waitcnt vmcnt(22)
	buffer_store_dword v3, off, s[0:3], 0 offset:188
	buffer_store_dword v2, off, s[0:3], 0 offset:184
	s_waitcnt vmcnt(20)
	buffer_store_dword v5, off, s[0:3], 0 offset:180
	buffer_store_dword v4, off, s[0:3], 0 offset:176
	;; [unrolled: 3-line block ×4, first 2 shown]
	s_waitcnt vmcnt(15)
	buffer_store_dword v11, v29, s[0:3], 0 offen offset:12
	s_waitcnt vmcnt(14)
	buffer_store_dword v12, v29, s[0:3], 0 offen offset:8
	;; [unrolled: 2-line block ×3, first 2 shown]
	s_waitcnt vmcnt(12)
	buffer_store_dword v14, v29, s[0:3], 0 offen
	s_waitcnt vmcnt(11)
	buffer_store_dword v15, v29, s[0:3], 0 offen offset:28
	s_waitcnt vmcnt(10)
	buffer_store_dword v16, v29, s[0:3], 0 offen offset:24
	;; [unrolled: 2-line block ×7, first 2 shown]
	s_waitcnt vmcnt(4)
	buffer_store_dword v21, v30, s[0:3], 0 offen
	s_waitcnt vmcnt(3)
	buffer_store_dword v22, v30, s[0:3], 0 offen offset:28
	s_waitcnt vmcnt(2)
	buffer_store_dword v23, v30, s[0:3], 0 offen offset:24
	;; [unrolled: 2-line block ×4, first 2 shown]
	s_waitcnt lgkmcnt(0)
	s_waitcnt_vscnt null, 0x0
	s_barrier
	buffer_gl0_inv
	s_clause 0x17
	buffer_load_dword v1, off, s[0:3], 0 offset:176
	buffer_load_dword v2, off, s[0:3], 0 offset:180
	buffer_load_dword v3, off, s[0:3], 0 offset:184
	buffer_load_dword v4, off, s[0:3], 0 offset:188
	buffer_load_dword v5, off, s[0:3], 0 offset:192
	buffer_load_dword v6, off, s[0:3], 0 offset:196
	buffer_load_dword v7, off, s[0:3], 0 offset:200
	buffer_load_dword v8, off, s[0:3], 0 offset:204
	buffer_load_dword v9, v29, s[0:3], 0 offen
	buffer_load_dword v10, v29, s[0:3], 0 offen offset:4
	buffer_load_dword v11, v29, s[0:3], 0 offen offset:8
	;; [unrolled: 1-line block ×7, first 2 shown]
	buffer_load_dword v17, v30, s[0:3], 0 offen
	buffer_load_dword v18, v30, s[0:3], 0 offen offset:4
	buffer_load_dword v19, v30, s[0:3], 0 offen offset:8
	;; [unrolled: 1-line block ×7, first 2 shown]
	v_sub_nc_u32_e32 v27, v25, v26
	s_waitcnt vmcnt(20)
	ds_write_b128 v25, v[1:4]
	s_waitcnt vmcnt(16)
	ds_write_b128 v25, v[5:8] offset:16
	s_waitcnt vmcnt(12)
	ds_write_b128 v25, v[9:12] offset:32
	;; [unrolled: 2-line block ×5, first 2 shown]
	v_lshlrev_b32_e32 v13, 5, v0
	s_waitcnt lgkmcnt(0)
	s_barrier
	buffer_gl0_inv
	ds_read_b128 v[1:4], v27 offset:8192
	ds_read_b128 v[5:8], v27 offset:8208
	;; [unrolled: 1-line block ×3, first 2 shown]
	v_add_co_u32 v25, s7, s4, v13
	ds_read_b128 v[13:16], v27 offset:16400
	ds_read2_b32 v[19:20], v27 offset0:6 offset1:7
	ds_read2_b32 v[17:18], v27 offset0:4 offset1:5
	ds_read2_b32 v[21:22], v27 offset1:1
	ds_read2_b32 v[23:24], v27 offset0:2 offset1:3
	v_add_co_ci_u32_e64 v26, null, s5, 0, s7
	v_add_co_u32 v27, vcc_lo, 0x2000, v25
	s_waitcnt lgkmcnt(7)
	buffer_store_dword v4, v29, s[0:3], 0 offen offset:12
	buffer_store_dword v3, v29, s[0:3], 0 offen offset:8
	;; [unrolled: 1-line block ×3, first 2 shown]
	buffer_store_dword v1, v29, s[0:3], 0 offen
	s_waitcnt lgkmcnt(6)
	buffer_store_dword v8, v29, s[0:3], 0 offen offset:28
	buffer_store_dword v7, v29, s[0:3], 0 offen offset:24
	;; [unrolled: 1-line block ×4, first 2 shown]
	s_waitcnt lgkmcnt(5)
	buffer_store_dword v12, v30, s[0:3], 0 offen offset:12
	buffer_store_dword v11, v30, s[0:3], 0 offen offset:8
	;; [unrolled: 1-line block ×3, first 2 shown]
	buffer_store_dword v9, v30, s[0:3], 0 offen
	s_waitcnt lgkmcnt(4)
	buffer_store_dword v16, v30, s[0:3], 0 offen offset:28
	buffer_store_dword v15, v30, s[0:3], 0 offen offset:24
	;; [unrolled: 1-line block ×4, first 2 shown]
	v_add_co_ci_u32_e64 v28, null, 0, v26, vcc_lo
	s_waitcnt lgkmcnt(2)
	flat_store_dwordx4 v[25:26], v[17:20] offset:16
	s_waitcnt lgkmcnt(1)
	flat_store_dwordx4 v[25:26], v[21:24]
	flat_store_dwordx4 v[27:28], v[1:4]
	flat_store_dwordx4 v[27:28], v[5:8] offset:16
.LBB2123_456:
	s_and_saveexec_b32 s7, s8
	s_cbranch_execnz .LBB2123_458
; %bb.457:
	s_endpgm
.LBB2123_458:
	v_mov_b32_e32 v4, s6
	v_lshlrev_b32_e32 v0, 5, v0
	s_clause 0x7
	buffer_load_dword v1, v4, s[0:3], 0 offen
	buffer_load_dword v2, v4, s[0:3], 0 offen offset:4
	buffer_load_dword v3, v4, s[0:3], 0 offen offset:8
	;; [unrolled: 1-line block ×7, first 2 shown]
	v_add_co_u32 v0, s4, s4, v0
	v_add_co_ci_u32_e64 v10, null, s5, 0, s4
	v_add_co_u32 v9, vcc_lo, 0x4000, v0
	v_add_co_ci_u32_e64 v10, null, 0, v10, vcc_lo
	s_waitcnt vmcnt(1)
	flat_store_dwordx4 v[9:10], v[5:8] offset:16
	s_waitcnt vmcnt(0)
	flat_store_dwordx4 v[9:10], v[1:4]
	s_endpgm
.LBB2123_459:
	v_lshlrev_b32_e32 v8, 5, v0
	v_add_co_u32 v12, s7, s40, v8
	v_add_co_ci_u32_e64 v13, null, s41, 0, s7
	s_clause 0x1
	flat_load_dwordx4 v[8:11], v[12:13]
	flat_load_dwordx4 v[12:15], v[12:13] offset:16
	s_waitcnt vmcnt(1) lgkmcnt(1)
	buffer_store_dword v8, off, s[0:3], 0 offset:176
	buffer_store_dword v9, off, s[0:3], 0 offset:180
	;; [unrolled: 1-line block ×4, first 2 shown]
	s_waitcnt vmcnt(0) lgkmcnt(0)
	buffer_store_dword v12, off, s[0:3], 0 offset:192
	buffer_store_dword v13, off, s[0:3], 0 offset:196
	;; [unrolled: 1-line block ×4, first 2 shown]
	s_or_b32 exec_lo, exec_lo, s24
	s_and_saveexec_b32 s7, s5
	s_cbranch_execz .LBB2123_27
.LBB2123_460:
	v_lshlrev_b32_e32 v7, 5, v7
	v_add_co_u32 v11, s5, s40, v7
	v_add_co_ci_u32_e64 v12, null, s41, 0, s5
	s_clause 0x1
	flat_load_dwordx4 v[7:10], v[11:12]
	flat_load_dwordx4 v[11:14], v[11:12] offset:16
	s_waitcnt vmcnt(1) lgkmcnt(1)
	buffer_store_dword v7, off, s[0:3], 0 offset:208
	buffer_store_dword v8, off, s[0:3], 0 offset:212
	;; [unrolled: 1-line block ×4, first 2 shown]
	s_waitcnt vmcnt(0) lgkmcnt(0)
	buffer_store_dword v11, off, s[0:3], 0 offset:224
	buffer_store_dword v12, off, s[0:3], 0 offset:228
	;; [unrolled: 1-line block ×4, first 2 shown]
	s_or_b32 exec_lo, exec_lo, s7
	s_and_saveexec_b32 s5, s4
	s_cbranch_execnz .LBB2123_28
	s_branch .LBB2123_29
.LBB2123_461:
                                        ; implicit-def: $sgpr24_sgpr25
	s_branch .LBB2123_22
.LBB2123_462:
                                        ; implicit-def: $sgpr4_sgpr5
	s_branch .LBB2123_38
	.section	.rodata,"a",@progbits
	.p2align	6, 0x0
	.amdhsa_kernel _ZN7rocprim17ROCPRIM_400000_NS6detail17trampoline_kernelINS0_14default_configENS1_27scan_by_key_config_selectorIj11FixedVectorIiLj8EEEEZZNS1_16scan_by_key_implILNS1_25lookback_scan_determinismE0ELb0ES3_N6thrust23THRUST_200600_302600_NS6detail15normal_iteratorINSB_10device_ptrIjEEEENSD_INSE_IS6_EEEESI_S6_NSB_4plusIvEENSB_8equal_toIvEES6_EE10hipError_tPvRmT2_T3_T4_T5_mT6_T7_P12ihipStream_tbENKUlT_T0_E_clISt17integral_constantIbLb0EES13_EEDaSY_SZ_EUlSY_E_NS1_11comp_targetILNS1_3genE8ELNS1_11target_archE1030ELNS1_3gpuE2ELNS1_3repE0EEENS1_30default_config_static_selectorELNS0_4arch9wavefront6targetE0EEEvT1_
		.amdhsa_group_segment_fixed_size 24576
		.amdhsa_private_segment_fixed_size 432
		.amdhsa_kernarg_size 160
		.amdhsa_user_sgpr_count 6
		.amdhsa_user_sgpr_private_segment_buffer 1
		.amdhsa_user_sgpr_dispatch_ptr 0
		.amdhsa_user_sgpr_queue_ptr 0
		.amdhsa_user_sgpr_kernarg_segment_ptr 1
		.amdhsa_user_sgpr_dispatch_id 0
		.amdhsa_user_sgpr_flat_scratch_init 0
		.amdhsa_user_sgpr_private_segment_size 0
		.amdhsa_wavefront_size32 1
		.amdhsa_uses_dynamic_stack 0
		.amdhsa_system_sgpr_private_segment_wavefront_offset 1
		.amdhsa_system_sgpr_workgroup_id_x 1
		.amdhsa_system_sgpr_workgroup_id_y 0
		.amdhsa_system_sgpr_workgroup_id_z 0
		.amdhsa_system_sgpr_workgroup_info 0
		.amdhsa_system_vgpr_workitem_id 0
		.amdhsa_next_free_vgpr 81
		.amdhsa_next_free_sgpr 44
		.amdhsa_reserve_vcc 1
		.amdhsa_reserve_flat_scratch 1
		.amdhsa_float_round_mode_32 0
		.amdhsa_float_round_mode_16_64 0
		.amdhsa_float_denorm_mode_32 3
		.amdhsa_float_denorm_mode_16_64 3
		.amdhsa_dx10_clamp 1
		.amdhsa_ieee_mode 1
		.amdhsa_fp16_overflow 0
		.amdhsa_workgroup_processor_mode 1
		.amdhsa_memory_ordered 1
		.amdhsa_forward_progress 1
		.amdhsa_shared_vgpr_count 0
		.amdhsa_exception_fp_ieee_invalid_op 0
		.amdhsa_exception_fp_denorm_src 0
		.amdhsa_exception_fp_ieee_div_zero 0
		.amdhsa_exception_fp_ieee_overflow 0
		.amdhsa_exception_fp_ieee_underflow 0
		.amdhsa_exception_fp_ieee_inexact 0
		.amdhsa_exception_int_div_zero 0
	.end_amdhsa_kernel
	.section	.text._ZN7rocprim17ROCPRIM_400000_NS6detail17trampoline_kernelINS0_14default_configENS1_27scan_by_key_config_selectorIj11FixedVectorIiLj8EEEEZZNS1_16scan_by_key_implILNS1_25lookback_scan_determinismE0ELb0ES3_N6thrust23THRUST_200600_302600_NS6detail15normal_iteratorINSB_10device_ptrIjEEEENSD_INSE_IS6_EEEESI_S6_NSB_4plusIvEENSB_8equal_toIvEES6_EE10hipError_tPvRmT2_T3_T4_T5_mT6_T7_P12ihipStream_tbENKUlT_T0_E_clISt17integral_constantIbLb0EES13_EEDaSY_SZ_EUlSY_E_NS1_11comp_targetILNS1_3genE8ELNS1_11target_archE1030ELNS1_3gpuE2ELNS1_3repE0EEENS1_30default_config_static_selectorELNS0_4arch9wavefront6targetE0EEEvT1_,"axG",@progbits,_ZN7rocprim17ROCPRIM_400000_NS6detail17trampoline_kernelINS0_14default_configENS1_27scan_by_key_config_selectorIj11FixedVectorIiLj8EEEEZZNS1_16scan_by_key_implILNS1_25lookback_scan_determinismE0ELb0ES3_N6thrust23THRUST_200600_302600_NS6detail15normal_iteratorINSB_10device_ptrIjEEEENSD_INSE_IS6_EEEESI_S6_NSB_4plusIvEENSB_8equal_toIvEES6_EE10hipError_tPvRmT2_T3_T4_T5_mT6_T7_P12ihipStream_tbENKUlT_T0_E_clISt17integral_constantIbLb0EES13_EEDaSY_SZ_EUlSY_E_NS1_11comp_targetILNS1_3genE8ELNS1_11target_archE1030ELNS1_3gpuE2ELNS1_3repE0EEENS1_30default_config_static_selectorELNS0_4arch9wavefront6targetE0EEEvT1_,comdat
.Lfunc_end2123:
	.size	_ZN7rocprim17ROCPRIM_400000_NS6detail17trampoline_kernelINS0_14default_configENS1_27scan_by_key_config_selectorIj11FixedVectorIiLj8EEEEZZNS1_16scan_by_key_implILNS1_25lookback_scan_determinismE0ELb0ES3_N6thrust23THRUST_200600_302600_NS6detail15normal_iteratorINSB_10device_ptrIjEEEENSD_INSE_IS6_EEEESI_S6_NSB_4plusIvEENSB_8equal_toIvEES6_EE10hipError_tPvRmT2_T3_T4_T5_mT6_T7_P12ihipStream_tbENKUlT_T0_E_clISt17integral_constantIbLb0EES13_EEDaSY_SZ_EUlSY_E_NS1_11comp_targetILNS1_3genE8ELNS1_11target_archE1030ELNS1_3gpuE2ELNS1_3repE0EEENS1_30default_config_static_selectorELNS0_4arch9wavefront6targetE0EEEvT1_, .Lfunc_end2123-_ZN7rocprim17ROCPRIM_400000_NS6detail17trampoline_kernelINS0_14default_configENS1_27scan_by_key_config_selectorIj11FixedVectorIiLj8EEEEZZNS1_16scan_by_key_implILNS1_25lookback_scan_determinismE0ELb0ES3_N6thrust23THRUST_200600_302600_NS6detail15normal_iteratorINSB_10device_ptrIjEEEENSD_INSE_IS6_EEEESI_S6_NSB_4plusIvEENSB_8equal_toIvEES6_EE10hipError_tPvRmT2_T3_T4_T5_mT6_T7_P12ihipStream_tbENKUlT_T0_E_clISt17integral_constantIbLb0EES13_EEDaSY_SZ_EUlSY_E_NS1_11comp_targetILNS1_3genE8ELNS1_11target_archE1030ELNS1_3gpuE2ELNS1_3repE0EEENS1_30default_config_static_selectorELNS0_4arch9wavefront6targetE0EEEvT1_
                                        ; -- End function
	.set _ZN7rocprim17ROCPRIM_400000_NS6detail17trampoline_kernelINS0_14default_configENS1_27scan_by_key_config_selectorIj11FixedVectorIiLj8EEEEZZNS1_16scan_by_key_implILNS1_25lookback_scan_determinismE0ELb0ES3_N6thrust23THRUST_200600_302600_NS6detail15normal_iteratorINSB_10device_ptrIjEEEENSD_INSE_IS6_EEEESI_S6_NSB_4plusIvEENSB_8equal_toIvEES6_EE10hipError_tPvRmT2_T3_T4_T5_mT6_T7_P12ihipStream_tbENKUlT_T0_E_clISt17integral_constantIbLb0EES13_EEDaSY_SZ_EUlSY_E_NS1_11comp_targetILNS1_3genE8ELNS1_11target_archE1030ELNS1_3gpuE2ELNS1_3repE0EEENS1_30default_config_static_selectorELNS0_4arch9wavefront6targetE0EEEvT1_.num_vgpr, 45
	.set _ZN7rocprim17ROCPRIM_400000_NS6detail17trampoline_kernelINS0_14default_configENS1_27scan_by_key_config_selectorIj11FixedVectorIiLj8EEEEZZNS1_16scan_by_key_implILNS1_25lookback_scan_determinismE0ELb0ES3_N6thrust23THRUST_200600_302600_NS6detail15normal_iteratorINSB_10device_ptrIjEEEENSD_INSE_IS6_EEEESI_S6_NSB_4plusIvEENSB_8equal_toIvEES6_EE10hipError_tPvRmT2_T3_T4_T5_mT6_T7_P12ihipStream_tbENKUlT_T0_E_clISt17integral_constantIbLb0EES13_EEDaSY_SZ_EUlSY_E_NS1_11comp_targetILNS1_3genE8ELNS1_11target_archE1030ELNS1_3gpuE2ELNS1_3repE0EEENS1_30default_config_static_selectorELNS0_4arch9wavefront6targetE0EEEvT1_.num_agpr, 0
	.set _ZN7rocprim17ROCPRIM_400000_NS6detail17trampoline_kernelINS0_14default_configENS1_27scan_by_key_config_selectorIj11FixedVectorIiLj8EEEEZZNS1_16scan_by_key_implILNS1_25lookback_scan_determinismE0ELb0ES3_N6thrust23THRUST_200600_302600_NS6detail15normal_iteratorINSB_10device_ptrIjEEEENSD_INSE_IS6_EEEESI_S6_NSB_4plusIvEENSB_8equal_toIvEES6_EE10hipError_tPvRmT2_T3_T4_T5_mT6_T7_P12ihipStream_tbENKUlT_T0_E_clISt17integral_constantIbLb0EES13_EEDaSY_SZ_EUlSY_E_NS1_11comp_targetILNS1_3genE8ELNS1_11target_archE1030ELNS1_3gpuE2ELNS1_3repE0EEENS1_30default_config_static_selectorELNS0_4arch9wavefront6targetE0EEEvT1_.numbered_sgpr, 44
	.set _ZN7rocprim17ROCPRIM_400000_NS6detail17trampoline_kernelINS0_14default_configENS1_27scan_by_key_config_selectorIj11FixedVectorIiLj8EEEEZZNS1_16scan_by_key_implILNS1_25lookback_scan_determinismE0ELb0ES3_N6thrust23THRUST_200600_302600_NS6detail15normal_iteratorINSB_10device_ptrIjEEEENSD_INSE_IS6_EEEESI_S6_NSB_4plusIvEENSB_8equal_toIvEES6_EE10hipError_tPvRmT2_T3_T4_T5_mT6_T7_P12ihipStream_tbENKUlT_T0_E_clISt17integral_constantIbLb0EES13_EEDaSY_SZ_EUlSY_E_NS1_11comp_targetILNS1_3genE8ELNS1_11target_archE1030ELNS1_3gpuE2ELNS1_3repE0EEENS1_30default_config_static_selectorELNS0_4arch9wavefront6targetE0EEEvT1_.num_named_barrier, 0
	.set _ZN7rocprim17ROCPRIM_400000_NS6detail17trampoline_kernelINS0_14default_configENS1_27scan_by_key_config_selectorIj11FixedVectorIiLj8EEEEZZNS1_16scan_by_key_implILNS1_25lookback_scan_determinismE0ELb0ES3_N6thrust23THRUST_200600_302600_NS6detail15normal_iteratorINSB_10device_ptrIjEEEENSD_INSE_IS6_EEEESI_S6_NSB_4plusIvEENSB_8equal_toIvEES6_EE10hipError_tPvRmT2_T3_T4_T5_mT6_T7_P12ihipStream_tbENKUlT_T0_E_clISt17integral_constantIbLb0EES13_EEDaSY_SZ_EUlSY_E_NS1_11comp_targetILNS1_3genE8ELNS1_11target_archE1030ELNS1_3gpuE2ELNS1_3repE0EEENS1_30default_config_static_selectorELNS0_4arch9wavefront6targetE0EEEvT1_.private_seg_size, 432
	.set _ZN7rocprim17ROCPRIM_400000_NS6detail17trampoline_kernelINS0_14default_configENS1_27scan_by_key_config_selectorIj11FixedVectorIiLj8EEEEZZNS1_16scan_by_key_implILNS1_25lookback_scan_determinismE0ELb0ES3_N6thrust23THRUST_200600_302600_NS6detail15normal_iteratorINSB_10device_ptrIjEEEENSD_INSE_IS6_EEEESI_S6_NSB_4plusIvEENSB_8equal_toIvEES6_EE10hipError_tPvRmT2_T3_T4_T5_mT6_T7_P12ihipStream_tbENKUlT_T0_E_clISt17integral_constantIbLb0EES13_EEDaSY_SZ_EUlSY_E_NS1_11comp_targetILNS1_3genE8ELNS1_11target_archE1030ELNS1_3gpuE2ELNS1_3repE0EEENS1_30default_config_static_selectorELNS0_4arch9wavefront6targetE0EEEvT1_.uses_vcc, 1
	.set _ZN7rocprim17ROCPRIM_400000_NS6detail17trampoline_kernelINS0_14default_configENS1_27scan_by_key_config_selectorIj11FixedVectorIiLj8EEEEZZNS1_16scan_by_key_implILNS1_25lookback_scan_determinismE0ELb0ES3_N6thrust23THRUST_200600_302600_NS6detail15normal_iteratorINSB_10device_ptrIjEEEENSD_INSE_IS6_EEEESI_S6_NSB_4plusIvEENSB_8equal_toIvEES6_EE10hipError_tPvRmT2_T3_T4_T5_mT6_T7_P12ihipStream_tbENKUlT_T0_E_clISt17integral_constantIbLb0EES13_EEDaSY_SZ_EUlSY_E_NS1_11comp_targetILNS1_3genE8ELNS1_11target_archE1030ELNS1_3gpuE2ELNS1_3repE0EEENS1_30default_config_static_selectorELNS0_4arch9wavefront6targetE0EEEvT1_.uses_flat_scratch, 1
	.set _ZN7rocprim17ROCPRIM_400000_NS6detail17trampoline_kernelINS0_14default_configENS1_27scan_by_key_config_selectorIj11FixedVectorIiLj8EEEEZZNS1_16scan_by_key_implILNS1_25lookback_scan_determinismE0ELb0ES3_N6thrust23THRUST_200600_302600_NS6detail15normal_iteratorINSB_10device_ptrIjEEEENSD_INSE_IS6_EEEESI_S6_NSB_4plusIvEENSB_8equal_toIvEES6_EE10hipError_tPvRmT2_T3_T4_T5_mT6_T7_P12ihipStream_tbENKUlT_T0_E_clISt17integral_constantIbLb0EES13_EEDaSY_SZ_EUlSY_E_NS1_11comp_targetILNS1_3genE8ELNS1_11target_archE1030ELNS1_3gpuE2ELNS1_3repE0EEENS1_30default_config_static_selectorELNS0_4arch9wavefront6targetE0EEEvT1_.has_dyn_sized_stack, 0
	.set _ZN7rocprim17ROCPRIM_400000_NS6detail17trampoline_kernelINS0_14default_configENS1_27scan_by_key_config_selectorIj11FixedVectorIiLj8EEEEZZNS1_16scan_by_key_implILNS1_25lookback_scan_determinismE0ELb0ES3_N6thrust23THRUST_200600_302600_NS6detail15normal_iteratorINSB_10device_ptrIjEEEENSD_INSE_IS6_EEEESI_S6_NSB_4plusIvEENSB_8equal_toIvEES6_EE10hipError_tPvRmT2_T3_T4_T5_mT6_T7_P12ihipStream_tbENKUlT_T0_E_clISt17integral_constantIbLb0EES13_EEDaSY_SZ_EUlSY_E_NS1_11comp_targetILNS1_3genE8ELNS1_11target_archE1030ELNS1_3gpuE2ELNS1_3repE0EEENS1_30default_config_static_selectorELNS0_4arch9wavefront6targetE0EEEvT1_.has_recursion, 0
	.set _ZN7rocprim17ROCPRIM_400000_NS6detail17trampoline_kernelINS0_14default_configENS1_27scan_by_key_config_selectorIj11FixedVectorIiLj8EEEEZZNS1_16scan_by_key_implILNS1_25lookback_scan_determinismE0ELb0ES3_N6thrust23THRUST_200600_302600_NS6detail15normal_iteratorINSB_10device_ptrIjEEEENSD_INSE_IS6_EEEESI_S6_NSB_4plusIvEENSB_8equal_toIvEES6_EE10hipError_tPvRmT2_T3_T4_T5_mT6_T7_P12ihipStream_tbENKUlT_T0_E_clISt17integral_constantIbLb0EES13_EEDaSY_SZ_EUlSY_E_NS1_11comp_targetILNS1_3genE8ELNS1_11target_archE1030ELNS1_3gpuE2ELNS1_3repE0EEENS1_30default_config_static_selectorELNS0_4arch9wavefront6targetE0EEEvT1_.has_indirect_call, 0
	.section	.AMDGPU.csdata,"",@progbits
; Kernel info:
; codeLenInByte = 34080
; TotalNumSgprs: 46
; NumVgprs: 45
; ScratchSize: 432
; MemoryBound: 0
; FloatMode: 240
; IeeeMode: 1
; LDSByteSize: 24576 bytes/workgroup (compile time only)
; SGPRBlocks: 0
; VGPRBlocks: 10
; NumSGPRsForWavesPerEU: 46
; NumVGPRsForWavesPerEU: 81
; Occupancy: 10
; WaveLimiterHint : 1
; COMPUTE_PGM_RSRC2:SCRATCH_EN: 1
; COMPUTE_PGM_RSRC2:USER_SGPR: 6
; COMPUTE_PGM_RSRC2:TRAP_HANDLER: 0
; COMPUTE_PGM_RSRC2:TGID_X_EN: 1
; COMPUTE_PGM_RSRC2:TGID_Y_EN: 0
; COMPUTE_PGM_RSRC2:TGID_Z_EN: 0
; COMPUTE_PGM_RSRC2:TIDIG_COMP_CNT: 0
	.section	.text._ZN7rocprim17ROCPRIM_400000_NS6detail30init_device_scan_by_key_kernelINS1_19lookback_scan_stateINS0_5tupleIJ11FixedVectorIiLj8EEbEEELb1ELb0EEEN6thrust23THRUST_200600_302600_NS6detail15normal_iteratorINSA_10device_ptrIjEEEEjNS1_16block_id_wrapperIjLb1EEEEEvT_jjPNSI_10value_typeET0_PNSt15iterator_traitsISL_E10value_typeEmT1_T2_,"axG",@progbits,_ZN7rocprim17ROCPRIM_400000_NS6detail30init_device_scan_by_key_kernelINS1_19lookback_scan_stateINS0_5tupleIJ11FixedVectorIiLj8EEbEEELb1ELb0EEEN6thrust23THRUST_200600_302600_NS6detail15normal_iteratorINSA_10device_ptrIjEEEEjNS1_16block_id_wrapperIjLb1EEEEEvT_jjPNSI_10value_typeET0_PNSt15iterator_traitsISL_E10value_typeEmT1_T2_,comdat
	.protected	_ZN7rocprim17ROCPRIM_400000_NS6detail30init_device_scan_by_key_kernelINS1_19lookback_scan_stateINS0_5tupleIJ11FixedVectorIiLj8EEbEEELb1ELb0EEEN6thrust23THRUST_200600_302600_NS6detail15normal_iteratorINSA_10device_ptrIjEEEEjNS1_16block_id_wrapperIjLb1EEEEEvT_jjPNSI_10value_typeET0_PNSt15iterator_traitsISL_E10value_typeEmT1_T2_ ; -- Begin function _ZN7rocprim17ROCPRIM_400000_NS6detail30init_device_scan_by_key_kernelINS1_19lookback_scan_stateINS0_5tupleIJ11FixedVectorIiLj8EEbEEELb1ELb0EEEN6thrust23THRUST_200600_302600_NS6detail15normal_iteratorINSA_10device_ptrIjEEEEjNS1_16block_id_wrapperIjLb1EEEEEvT_jjPNSI_10value_typeET0_PNSt15iterator_traitsISL_E10value_typeEmT1_T2_
	.globl	_ZN7rocprim17ROCPRIM_400000_NS6detail30init_device_scan_by_key_kernelINS1_19lookback_scan_stateINS0_5tupleIJ11FixedVectorIiLj8EEbEEELb1ELb0EEEN6thrust23THRUST_200600_302600_NS6detail15normal_iteratorINSA_10device_ptrIjEEEEjNS1_16block_id_wrapperIjLb1EEEEEvT_jjPNSI_10value_typeET0_PNSt15iterator_traitsISL_E10value_typeEmT1_T2_
	.p2align	8
	.type	_ZN7rocprim17ROCPRIM_400000_NS6detail30init_device_scan_by_key_kernelINS1_19lookback_scan_stateINS0_5tupleIJ11FixedVectorIiLj8EEbEEELb1ELb0EEEN6thrust23THRUST_200600_302600_NS6detail15normal_iteratorINSA_10device_ptrIjEEEEjNS1_16block_id_wrapperIjLb1EEEEEvT_jjPNSI_10value_typeET0_PNSt15iterator_traitsISL_E10value_typeEmT1_T2_,@function
_ZN7rocprim17ROCPRIM_400000_NS6detail30init_device_scan_by_key_kernelINS1_19lookback_scan_stateINS0_5tupleIJ11FixedVectorIiLj8EEbEEELb1ELb0EEEN6thrust23THRUST_200600_302600_NS6detail15normal_iteratorINSA_10device_ptrIjEEEEjNS1_16block_id_wrapperIjLb1EEEEEvT_jjPNSI_10value_typeET0_PNSt15iterator_traitsISL_E10value_typeEmT1_T2_: ; @_ZN7rocprim17ROCPRIM_400000_NS6detail30init_device_scan_by_key_kernelINS1_19lookback_scan_stateINS0_5tupleIJ11FixedVectorIiLj8EEbEEELb1ELb0EEEN6thrust23THRUST_200600_302600_NS6detail15normal_iteratorINSA_10device_ptrIjEEEEjNS1_16block_id_wrapperIjLb1EEEEEvT_jjPNSI_10value_typeET0_PNSt15iterator_traitsISL_E10value_typeEmT1_T2_
; %bb.0:
	s_clause 0x2
	s_load_dword s0, s[6:7], 0x5c
	s_load_dwordx8 s[12:19], s[6:7], 0x10
	s_load_dword s9, s[6:7], 0x50
	s_waitcnt lgkmcnt(0)
	s_and_b32 s10, s0, 0xffff
	s_cmp_eq_u64 s[16:17], 0
	v_mad_u64_u32 v[3:4], null, s8, s10, v[0:1]
	s_cbranch_scc1 .LBB2124_11
; %bb.1:
	s_cmp_lt_u32 s15, s14
	s_mov_b32 s11, 0
	s_cselect_b32 s0, s15, 0
	s_mov_b32 s8, exec_lo
	v_cmpx_eq_u32_e64 s0, v3
	s_cbranch_execz .LBB2124_10
; %bb.2:
	s_load_dwordx2 s[0:1], s[4:5], 0x4
	s_waitcnt lgkmcnt(0)
	s_lshr_b32 s0, s0, 16
	v_mul_u32_u24_e32 v1, s1, v1
	s_mul_i32 s0, s0, s1
	v_mul_lo_u32 v0, s0, v0
	s_load_dwordx4 s[0:3], s[6:7], 0x0
	v_add3_u32 v0, v0, v1, v2
	v_mov_b32_e32 v1, 0
	v_mul_lo_u32 v0, v0, 36
	ds_write2_b32 v0, v1, v1 offset0:6 offset1:7
	ds_write2_b32 v0, v1, v1 offset0:4 offset1:5
	;; [unrolled: 1-line block ×3, first 2 shown]
	ds_write2_b32 v0, v1, v1 offset1:1
	ds_write_b32 v0, v1 offset:32
.LBB2124_3:                             ; =>This Inner Loop Header: Depth=1
	v_add_nc_u32_e32 v2, s11, v0
	s_add_i32 s11, s11, 4
	s_cmp_lg_u32 s11, 32
	ds_write_b32 v2, v1
	s_cbranch_scc1 .LBB2124_3
; %bb.4:
	s_add_i32 s11, s15, 32
	v_mov_b32_e32 v1, 0
	v_mov_b32_e32 v2, s11
	s_add_u32 s4, s12, s11
	s_addc_u32 s5, s13, 0
	ds_write_b8 v0, v1 offset:32
	global_load_ubyte v2, v2, s[12:13] glc dlc
	s_waitcnt vmcnt(0)
	v_cmp_ne_u32_sdwa s15, v2, v1 src0_sel:WORD_0 src1_sel:DWORD
	v_readfirstlane_b32 s20, v2
	s_and_b32 vcc_lo, exec_lo, s15
	s_cbranch_vccnz .LBB2124_9
; %bb.5:
	s_mov_b32 s15, 1
.LBB2124_6:                             ; =>This Loop Header: Depth=1
                                        ;     Child Loop BB2124_7 Depth 2
	s_mov_b32 s20, s15
.LBB2124_7:                             ;   Parent Loop BB2124_6 Depth=1
                                        ; =>  This Inner Loop Header: Depth=2
	s_add_i32 s20, s20, -1
	s_sleep 1
	s_cmp_eq_u32 s20, 0
	s_cbranch_scc0 .LBB2124_7
; %bb.8:                                ;   in Loop: Header=BB2124_6 Depth=1
	global_load_ubyte v2, v1, s[4:5] glc dlc
	s_cmp_lt_u32 s15, 32
	s_cselect_b32 s20, -1, 0
	s_cmp_lg_u32 s20, 0
	s_addc_u32 s15, s15, 0
	s_waitcnt vmcnt(0)
	v_cmp_ne_u32_sdwa s21, v2, v1 src0_sel:WORD_0 src1_sel:DWORD
	v_readfirstlane_b32 s20, v2
	s_and_b32 vcc_lo, exec_lo, s21
	s_cbranch_vccz .LBB2124_6
.LBB2124_9:
	s_and_b32 s4, 0xffff, s20
	v_mov_b32_e32 v1, 0
	s_cmp_eq_u32 s4, 1
	s_mul_i32 s4, s11, 36
	s_waitcnt lgkmcnt(0)
	s_cselect_b32 s0, s0, s2
	s_cselect_b32 s1, s1, s3
	s_mul_hi_u32 s2, s11, 36
	s_add_u32 s0, s0, s4
	s_addc_u32 s1, s1, s2
	buffer_gl1_inv
	buffer_gl0_inv
	s_clause 0x2
	global_load_dwordx4 v[4:7], v1, s[0:1]
	global_load_dwordx4 v[8:11], v1, s[0:1] offset:16
	global_load_ubyte v2, v1, s[0:1] offset:32
	s_waitcnt vmcnt(2)
	ds_write2_b32 v0, v4, v5 offset1:1
	ds_write2_b32 v0, v6, v7 offset0:2 offset1:3
	s_waitcnt vmcnt(1)
	ds_write2_b32 v0, v8, v9 offset0:4 offset1:5
	ds_write2_b32 v0, v10, v11 offset0:6 offset1:7
	global_store_dwordx4 v1, v[4:7], s[16:17]
	global_store_dwordx4 v1, v[8:11], s[16:17] offset:16
	s_waitcnt vmcnt(0)
	global_store_byte v1, v2, s[16:17] offset:32
.LBB2124_10:
	s_or_b32 exec_lo, exec_lo, s8
.LBB2124_11:
	s_mov_b32 s0, exec_lo
	v_cmpx_eq_u32_e32 0, v3
	s_cbranch_execz .LBB2124_13
; %bb.12:
	s_load_dwordx2 s[2:3], s[6:7], 0x48
	v_mov_b32_e32 v0, 0
	s_waitcnt lgkmcnt(0)
	global_store_dword v0, v0, s[2:3]
.LBB2124_13:
	s_or_b32 exec_lo, exec_lo, s0
	s_mov_b32 s0, exec_lo
	v_cmpx_gt_u32_e64 s14, v3
	s_cbranch_execz .LBB2124_15
; %bb.14:
	v_add_nc_u32_e32 v0, 32, v3
	v_mov_b32_e32 v1, 0
	global_store_byte v0, v1, s[12:13]
.LBB2124_15:
	s_or_b32 exec_lo, exec_lo, s0
	v_mov_b32_e32 v4, 0
	s_mov_b32 s0, exec_lo
	v_cmpx_gt_u32_e32 32, v3
	s_cbranch_execz .LBB2124_17
; %bb.16:
	v_add_co_u32 v0, s1, s12, v3
	v_add_co_ci_u32_e64 v1, null, s13, 0, s1
	v_mov_b32_e32 v2, 0xff
	global_store_byte v[0:1], v2, off
.LBB2124_17:
	s_or_b32 exec_lo, exec_lo, s0
	s_load_dwordx2 s[2:3], s[6:7], 0x38
	s_mov_b32 s0, exec_lo
	s_waitcnt lgkmcnt(0)
	v_cmpx_gt_u64_e64 s[2:3], v[3:4]
	s_cbranch_execz .LBB2124_20
; %bb.18:
	s_clause 0x1
	s_load_dword s5, s[6:7], 0x40
	s_load_dwordx2 s[6:7], s[6:7], 0x30
	s_mov_b32 s1, 0
	s_mul_i32 s4, s9, s10
	v_lshlrev_b64 v[5:6], 2, v[3:4]
	s_waitcnt lgkmcnt(0)
	v_mad_u64_u32 v[0:1], null, s5, v3, 0
	s_add_i32 s0, s5, -1
	s_mul_hi_u32 s9, s5, s4
	s_lshl_b64 s[10:11], s[0:1], 2
	s_mul_i32 s8, s5, s4
	s_add_u32 s0, s18, s10
	s_addc_u32 s5, s19, s11
	v_lshlrev_b64 v[0:1], 2, v[0:1]
	v_add_co_u32 v0, vcc_lo, s0, v0
	v_add_co_ci_u32_e64 v1, null, s5, v1, vcc_lo
	v_add_co_u32 v5, vcc_lo, s6, v5
	v_add_co_ci_u32_e64 v6, null, s7, v6, vcc_lo
	s_mov_b32 s5, s1
	s_lshl_b64 s[6:7], s[8:9], 2
	s_lshl_b64 s[8:9], s[4:5], 2
	.p2align	6
.LBB2124_19:                            ; =>This Inner Loop Header: Depth=1
	global_load_dword v2, v[0:1], off
	v_add_co_u32 v3, vcc_lo, v3, s4
	v_add_co_ci_u32_e64 v4, null, 0, v4, vcc_lo
	v_add_co_u32 v0, vcc_lo, v0, s6
	v_add_co_ci_u32_e64 v1, null, s7, v1, vcc_lo
	v_cmp_le_u64_e32 vcc_lo, s[2:3], v[3:4]
	s_or_b32 s1, vcc_lo, s1
	s_waitcnt vmcnt(0)
	global_store_dword v[5:6], v2, off
	v_add_co_u32 v5, s0, v5, s8
	v_add_co_ci_u32_e64 v6, null, s9, v6, s0
	s_andn2_b32 exec_lo, exec_lo, s1
	s_cbranch_execnz .LBB2124_19
.LBB2124_20:
	s_endpgm
	.section	.rodata,"a",@progbits
	.p2align	6, 0x0
	.amdhsa_kernel _ZN7rocprim17ROCPRIM_400000_NS6detail30init_device_scan_by_key_kernelINS1_19lookback_scan_stateINS0_5tupleIJ11FixedVectorIiLj8EEbEEELb1ELb0EEEN6thrust23THRUST_200600_302600_NS6detail15normal_iteratorINSA_10device_ptrIjEEEEjNS1_16block_id_wrapperIjLb1EEEEEvT_jjPNSI_10value_typeET0_PNSt15iterator_traitsISL_E10value_typeEmT1_T2_
		.amdhsa_group_segment_fixed_size 9216
		.amdhsa_private_segment_fixed_size 0
		.amdhsa_kernarg_size 336
		.amdhsa_user_sgpr_count 8
		.amdhsa_user_sgpr_private_segment_buffer 1
		.amdhsa_user_sgpr_dispatch_ptr 1
		.amdhsa_user_sgpr_queue_ptr 0
		.amdhsa_user_sgpr_kernarg_segment_ptr 1
		.amdhsa_user_sgpr_dispatch_id 0
		.amdhsa_user_sgpr_flat_scratch_init 0
		.amdhsa_user_sgpr_private_segment_size 0
		.amdhsa_wavefront_size32 1
		.amdhsa_uses_dynamic_stack 0
		.amdhsa_system_sgpr_private_segment_wavefront_offset 0
		.amdhsa_system_sgpr_workgroup_id_x 1
		.amdhsa_system_sgpr_workgroup_id_y 0
		.amdhsa_system_sgpr_workgroup_id_z 0
		.amdhsa_system_sgpr_workgroup_info 0
		.amdhsa_system_vgpr_workitem_id 2
		.amdhsa_next_free_vgpr 12
		.amdhsa_next_free_sgpr 22
		.amdhsa_reserve_vcc 1
		.amdhsa_reserve_flat_scratch 0
		.amdhsa_float_round_mode_32 0
		.amdhsa_float_round_mode_16_64 0
		.amdhsa_float_denorm_mode_32 3
		.amdhsa_float_denorm_mode_16_64 3
		.amdhsa_dx10_clamp 1
		.amdhsa_ieee_mode 1
		.amdhsa_fp16_overflow 0
		.amdhsa_workgroup_processor_mode 1
		.amdhsa_memory_ordered 1
		.amdhsa_forward_progress 1
		.amdhsa_shared_vgpr_count 0
		.amdhsa_exception_fp_ieee_invalid_op 0
		.amdhsa_exception_fp_denorm_src 0
		.amdhsa_exception_fp_ieee_div_zero 0
		.amdhsa_exception_fp_ieee_overflow 0
		.amdhsa_exception_fp_ieee_underflow 0
		.amdhsa_exception_fp_ieee_inexact 0
		.amdhsa_exception_int_div_zero 0
	.end_amdhsa_kernel
	.section	.text._ZN7rocprim17ROCPRIM_400000_NS6detail30init_device_scan_by_key_kernelINS1_19lookback_scan_stateINS0_5tupleIJ11FixedVectorIiLj8EEbEEELb1ELb0EEEN6thrust23THRUST_200600_302600_NS6detail15normal_iteratorINSA_10device_ptrIjEEEEjNS1_16block_id_wrapperIjLb1EEEEEvT_jjPNSI_10value_typeET0_PNSt15iterator_traitsISL_E10value_typeEmT1_T2_,"axG",@progbits,_ZN7rocprim17ROCPRIM_400000_NS6detail30init_device_scan_by_key_kernelINS1_19lookback_scan_stateINS0_5tupleIJ11FixedVectorIiLj8EEbEEELb1ELb0EEEN6thrust23THRUST_200600_302600_NS6detail15normal_iteratorINSA_10device_ptrIjEEEEjNS1_16block_id_wrapperIjLb1EEEEEvT_jjPNSI_10value_typeET0_PNSt15iterator_traitsISL_E10value_typeEmT1_T2_,comdat
.Lfunc_end2124:
	.size	_ZN7rocprim17ROCPRIM_400000_NS6detail30init_device_scan_by_key_kernelINS1_19lookback_scan_stateINS0_5tupleIJ11FixedVectorIiLj8EEbEEELb1ELb0EEEN6thrust23THRUST_200600_302600_NS6detail15normal_iteratorINSA_10device_ptrIjEEEEjNS1_16block_id_wrapperIjLb1EEEEEvT_jjPNSI_10value_typeET0_PNSt15iterator_traitsISL_E10value_typeEmT1_T2_, .Lfunc_end2124-_ZN7rocprim17ROCPRIM_400000_NS6detail30init_device_scan_by_key_kernelINS1_19lookback_scan_stateINS0_5tupleIJ11FixedVectorIiLj8EEbEEELb1ELb0EEEN6thrust23THRUST_200600_302600_NS6detail15normal_iteratorINSA_10device_ptrIjEEEEjNS1_16block_id_wrapperIjLb1EEEEEvT_jjPNSI_10value_typeET0_PNSt15iterator_traitsISL_E10value_typeEmT1_T2_
                                        ; -- End function
	.set _ZN7rocprim17ROCPRIM_400000_NS6detail30init_device_scan_by_key_kernelINS1_19lookback_scan_stateINS0_5tupleIJ11FixedVectorIiLj8EEbEEELb1ELb0EEEN6thrust23THRUST_200600_302600_NS6detail15normal_iteratorINSA_10device_ptrIjEEEEjNS1_16block_id_wrapperIjLb1EEEEEvT_jjPNSI_10value_typeET0_PNSt15iterator_traitsISL_E10value_typeEmT1_T2_.num_vgpr, 12
	.set _ZN7rocprim17ROCPRIM_400000_NS6detail30init_device_scan_by_key_kernelINS1_19lookback_scan_stateINS0_5tupleIJ11FixedVectorIiLj8EEbEEELb1ELb0EEEN6thrust23THRUST_200600_302600_NS6detail15normal_iteratorINSA_10device_ptrIjEEEEjNS1_16block_id_wrapperIjLb1EEEEEvT_jjPNSI_10value_typeET0_PNSt15iterator_traitsISL_E10value_typeEmT1_T2_.num_agpr, 0
	.set _ZN7rocprim17ROCPRIM_400000_NS6detail30init_device_scan_by_key_kernelINS1_19lookback_scan_stateINS0_5tupleIJ11FixedVectorIiLj8EEbEEELb1ELb0EEEN6thrust23THRUST_200600_302600_NS6detail15normal_iteratorINSA_10device_ptrIjEEEEjNS1_16block_id_wrapperIjLb1EEEEEvT_jjPNSI_10value_typeET0_PNSt15iterator_traitsISL_E10value_typeEmT1_T2_.numbered_sgpr, 22
	.set _ZN7rocprim17ROCPRIM_400000_NS6detail30init_device_scan_by_key_kernelINS1_19lookback_scan_stateINS0_5tupleIJ11FixedVectorIiLj8EEbEEELb1ELb0EEEN6thrust23THRUST_200600_302600_NS6detail15normal_iteratorINSA_10device_ptrIjEEEEjNS1_16block_id_wrapperIjLb1EEEEEvT_jjPNSI_10value_typeET0_PNSt15iterator_traitsISL_E10value_typeEmT1_T2_.num_named_barrier, 0
	.set _ZN7rocprim17ROCPRIM_400000_NS6detail30init_device_scan_by_key_kernelINS1_19lookback_scan_stateINS0_5tupleIJ11FixedVectorIiLj8EEbEEELb1ELb0EEEN6thrust23THRUST_200600_302600_NS6detail15normal_iteratorINSA_10device_ptrIjEEEEjNS1_16block_id_wrapperIjLb1EEEEEvT_jjPNSI_10value_typeET0_PNSt15iterator_traitsISL_E10value_typeEmT1_T2_.private_seg_size, 0
	.set _ZN7rocprim17ROCPRIM_400000_NS6detail30init_device_scan_by_key_kernelINS1_19lookback_scan_stateINS0_5tupleIJ11FixedVectorIiLj8EEbEEELb1ELb0EEEN6thrust23THRUST_200600_302600_NS6detail15normal_iteratorINSA_10device_ptrIjEEEEjNS1_16block_id_wrapperIjLb1EEEEEvT_jjPNSI_10value_typeET0_PNSt15iterator_traitsISL_E10value_typeEmT1_T2_.uses_vcc, 1
	.set _ZN7rocprim17ROCPRIM_400000_NS6detail30init_device_scan_by_key_kernelINS1_19lookback_scan_stateINS0_5tupleIJ11FixedVectorIiLj8EEbEEELb1ELb0EEEN6thrust23THRUST_200600_302600_NS6detail15normal_iteratorINSA_10device_ptrIjEEEEjNS1_16block_id_wrapperIjLb1EEEEEvT_jjPNSI_10value_typeET0_PNSt15iterator_traitsISL_E10value_typeEmT1_T2_.uses_flat_scratch, 0
	.set _ZN7rocprim17ROCPRIM_400000_NS6detail30init_device_scan_by_key_kernelINS1_19lookback_scan_stateINS0_5tupleIJ11FixedVectorIiLj8EEbEEELb1ELb0EEEN6thrust23THRUST_200600_302600_NS6detail15normal_iteratorINSA_10device_ptrIjEEEEjNS1_16block_id_wrapperIjLb1EEEEEvT_jjPNSI_10value_typeET0_PNSt15iterator_traitsISL_E10value_typeEmT1_T2_.has_dyn_sized_stack, 0
	.set _ZN7rocprim17ROCPRIM_400000_NS6detail30init_device_scan_by_key_kernelINS1_19lookback_scan_stateINS0_5tupleIJ11FixedVectorIiLj8EEbEEELb1ELb0EEEN6thrust23THRUST_200600_302600_NS6detail15normal_iteratorINSA_10device_ptrIjEEEEjNS1_16block_id_wrapperIjLb1EEEEEvT_jjPNSI_10value_typeET0_PNSt15iterator_traitsISL_E10value_typeEmT1_T2_.has_recursion, 0
	.set _ZN7rocprim17ROCPRIM_400000_NS6detail30init_device_scan_by_key_kernelINS1_19lookback_scan_stateINS0_5tupleIJ11FixedVectorIiLj8EEbEEELb1ELb0EEEN6thrust23THRUST_200600_302600_NS6detail15normal_iteratorINSA_10device_ptrIjEEEEjNS1_16block_id_wrapperIjLb1EEEEEvT_jjPNSI_10value_typeET0_PNSt15iterator_traitsISL_E10value_typeEmT1_T2_.has_indirect_call, 0
	.section	.AMDGPU.csdata,"",@progbits
; Kernel info:
; codeLenInByte = 920
; TotalNumSgprs: 24
; NumVgprs: 12
; ScratchSize: 0
; MemoryBound: 0
; FloatMode: 240
; IeeeMode: 1
; LDSByteSize: 9216 bytes/workgroup (compile time only)
; SGPRBlocks: 0
; VGPRBlocks: 1
; NumSGPRsForWavesPerEU: 24
; NumVGPRsForWavesPerEU: 12
; Occupancy: 16
; WaveLimiterHint : 0
; COMPUTE_PGM_RSRC2:SCRATCH_EN: 0
; COMPUTE_PGM_RSRC2:USER_SGPR: 8
; COMPUTE_PGM_RSRC2:TRAP_HANDLER: 0
; COMPUTE_PGM_RSRC2:TGID_X_EN: 1
; COMPUTE_PGM_RSRC2:TGID_Y_EN: 0
; COMPUTE_PGM_RSRC2:TGID_Z_EN: 0
; COMPUTE_PGM_RSRC2:TIDIG_COMP_CNT: 2
	.section	.text._ZN7rocprim17ROCPRIM_400000_NS6detail30init_device_scan_by_key_kernelINS1_19lookback_scan_stateINS0_5tupleIJ11FixedVectorIiLj8EEbEEELb1ELb0EEENS1_16block_id_wrapperIjLb1EEEEEvT_jjPNSB_10value_typeET0_,"axG",@progbits,_ZN7rocprim17ROCPRIM_400000_NS6detail30init_device_scan_by_key_kernelINS1_19lookback_scan_stateINS0_5tupleIJ11FixedVectorIiLj8EEbEEELb1ELb0EEENS1_16block_id_wrapperIjLb1EEEEEvT_jjPNSB_10value_typeET0_,comdat
	.protected	_ZN7rocprim17ROCPRIM_400000_NS6detail30init_device_scan_by_key_kernelINS1_19lookback_scan_stateINS0_5tupleIJ11FixedVectorIiLj8EEbEEELb1ELb0EEENS1_16block_id_wrapperIjLb1EEEEEvT_jjPNSB_10value_typeET0_ ; -- Begin function _ZN7rocprim17ROCPRIM_400000_NS6detail30init_device_scan_by_key_kernelINS1_19lookback_scan_stateINS0_5tupleIJ11FixedVectorIiLj8EEbEEELb1ELb0EEENS1_16block_id_wrapperIjLb1EEEEEvT_jjPNSB_10value_typeET0_
	.globl	_ZN7rocprim17ROCPRIM_400000_NS6detail30init_device_scan_by_key_kernelINS1_19lookback_scan_stateINS0_5tupleIJ11FixedVectorIiLj8EEbEEELb1ELb0EEENS1_16block_id_wrapperIjLb1EEEEEvT_jjPNSB_10value_typeET0_
	.p2align	8
	.type	_ZN7rocprim17ROCPRIM_400000_NS6detail30init_device_scan_by_key_kernelINS1_19lookback_scan_stateINS0_5tupleIJ11FixedVectorIiLj8EEbEEELb1ELb0EEENS1_16block_id_wrapperIjLb1EEEEEvT_jjPNSB_10value_typeET0_,@function
_ZN7rocprim17ROCPRIM_400000_NS6detail30init_device_scan_by_key_kernelINS1_19lookback_scan_stateINS0_5tupleIJ11FixedVectorIiLj8EEbEEELb1ELb0EEENS1_16block_id_wrapperIjLb1EEEEEvT_jjPNSB_10value_typeET0_: ; @_ZN7rocprim17ROCPRIM_400000_NS6detail30init_device_scan_by_key_kernelINS1_19lookback_scan_stateINS0_5tupleIJ11FixedVectorIiLj8EEbEEELb1ELb0EEENS1_16block_id_wrapperIjLb1EEEEEvT_jjPNSB_10value_typeET0_
; %bb.0:
	s_clause 0x1
	s_load_dword s0, s[6:7], 0x3c
	s_load_dwordx8 s[12:19], s[6:7], 0x10
	s_waitcnt lgkmcnt(0)
	s_and_b32 s0, s0, 0xffff
	s_cmp_eq_u64 s[16:17], 0
	v_mad_u64_u32 v[3:4], null, s8, s0, v[0:1]
	s_cbranch_scc1 .LBB2125_11
; %bb.1:
	s_cmp_lt_u32 s15, s14
	s_mov_b32 s9, 0
	s_cselect_b32 s0, s15, 0
	s_mov_b32 s8, exec_lo
	v_cmpx_eq_u32_e64 s0, v3
	s_cbranch_execz .LBB2125_10
; %bb.2:
	s_load_dwordx2 s[0:1], s[4:5], 0x4
	s_waitcnt lgkmcnt(0)
	s_lshr_b32 s0, s0, 16
	v_mul_u32_u24_e32 v1, s1, v1
	s_mul_i32 s0, s0, s1
	v_mul_lo_u32 v0, s0, v0
	s_load_dwordx4 s[0:3], s[6:7], 0x0
	v_add3_u32 v0, v0, v1, v2
	v_mov_b32_e32 v1, 0
	v_mul_lo_u32 v0, v0, 36
	ds_write2_b32 v0, v1, v1 offset0:6 offset1:7
	ds_write2_b32 v0, v1, v1 offset0:4 offset1:5
	ds_write2_b32 v0, v1, v1 offset0:2 offset1:3
	ds_write2_b32 v0, v1, v1 offset1:1
	ds_write_b32 v0, v1 offset:32
.LBB2125_3:                             ; =>This Inner Loop Header: Depth=1
	v_add_nc_u32_e32 v2, s9, v0
	s_add_i32 s9, s9, 4
	s_cmp_lg_u32 s9, 32
	ds_write_b32 v2, v1
	s_cbranch_scc1 .LBB2125_3
; %bb.4:
	s_add_i32 s6, s15, 32
	v_mov_b32_e32 v1, 0
	v_mov_b32_e32 v2, s6
	s_add_u32 s4, s12, s6
	s_addc_u32 s5, s13, 0
	ds_write_b8 v0, v1 offset:32
	global_load_ubyte v2, v2, s[12:13] glc dlc
	s_waitcnt vmcnt(0)
	v_cmp_ne_u32_sdwa s7, v2, v1 src0_sel:WORD_0 src1_sel:DWORD
	v_readfirstlane_b32 s9, v2
	s_and_b32 vcc_lo, exec_lo, s7
	s_cbranch_vccnz .LBB2125_9
; %bb.5:
	s_mov_b32 s7, 1
.LBB2125_6:                             ; =>This Loop Header: Depth=1
                                        ;     Child Loop BB2125_7 Depth 2
	s_mov_b32 s9, s7
.LBB2125_7:                             ;   Parent Loop BB2125_6 Depth=1
                                        ; =>  This Inner Loop Header: Depth=2
	s_add_i32 s9, s9, -1
	s_sleep 1
	s_cmp_eq_u32 s9, 0
	s_cbranch_scc0 .LBB2125_7
; %bb.8:                                ;   in Loop: Header=BB2125_6 Depth=1
	global_load_ubyte v2, v1, s[4:5] glc dlc
	s_cmp_lt_u32 s7, 32
	s_cselect_b32 s9, -1, 0
	s_cmp_lg_u32 s9, 0
	s_addc_u32 s7, s7, 0
	s_waitcnt vmcnt(0)
	v_cmp_ne_u32_sdwa s10, v2, v1 src0_sel:WORD_0 src1_sel:DWORD
	v_readfirstlane_b32 s9, v2
	s_and_b32 vcc_lo, exec_lo, s10
	s_cbranch_vccz .LBB2125_6
.LBB2125_9:
	s_and_b32 s4, 0xffff, s9
	v_mov_b32_e32 v1, 0
	s_cmp_eq_u32 s4, 1
	s_mul_i32 s4, s6, 36
	s_waitcnt lgkmcnt(0)
	s_cselect_b32 s0, s0, s2
	s_cselect_b32 s1, s1, s3
	s_mul_hi_u32 s2, s6, 36
	s_add_u32 s0, s0, s4
	s_addc_u32 s1, s1, s2
	buffer_gl1_inv
	buffer_gl0_inv
	s_clause 0x2
	global_load_dwordx4 v[4:7], v1, s[0:1]
	global_load_dwordx4 v[8:11], v1, s[0:1] offset:16
	global_load_ubyte v2, v1, s[0:1] offset:32
	s_waitcnt vmcnt(2)
	ds_write2_b32 v0, v4, v5 offset1:1
	ds_write2_b32 v0, v6, v7 offset0:2 offset1:3
	s_waitcnt vmcnt(1)
	ds_write2_b32 v0, v8, v9 offset0:4 offset1:5
	ds_write2_b32 v0, v10, v11 offset0:6 offset1:7
	global_store_dwordx4 v1, v[4:7], s[16:17]
	global_store_dwordx4 v1, v[8:11], s[16:17] offset:16
	s_waitcnt vmcnt(0)
	global_store_byte v1, v2, s[16:17] offset:32
.LBB2125_10:
	s_or_b32 exec_lo, exec_lo, s8
.LBB2125_11:
	s_mov_b32 s0, exec_lo
	v_cmpx_eq_u32_e32 0, v3
	s_cbranch_execz .LBB2125_13
; %bb.12:
	v_mov_b32_e32 v0, 0
	global_store_dword v0, v0, s[18:19]
.LBB2125_13:
	s_or_b32 exec_lo, exec_lo, s0
	s_mov_b32 s0, exec_lo
	v_cmpx_gt_u32_e64 s14, v3
	s_cbranch_execz .LBB2125_15
; %bb.14:
	v_add_nc_u32_e32 v0, 32, v3
	v_mov_b32_e32 v1, 0
	global_store_byte v0, v1, s[12:13]
.LBB2125_15:
	s_or_b32 exec_lo, exec_lo, s0
	s_mov_b32 s0, exec_lo
	v_cmpx_gt_u32_e32 32, v3
	s_cbranch_execz .LBB2125_17
; %bb.16:
	v_mov_b32_e32 v0, 0xff
	global_store_byte v3, v0, s[12:13]
.LBB2125_17:
	s_endpgm
	.section	.rodata,"a",@progbits
	.p2align	6, 0x0
	.amdhsa_kernel _ZN7rocprim17ROCPRIM_400000_NS6detail30init_device_scan_by_key_kernelINS1_19lookback_scan_stateINS0_5tupleIJ11FixedVectorIiLj8EEbEEELb1ELb0EEENS1_16block_id_wrapperIjLb1EEEEEvT_jjPNSB_10value_typeET0_
		.amdhsa_group_segment_fixed_size 9216
		.amdhsa_private_segment_fixed_size 0
		.amdhsa_kernarg_size 304
		.amdhsa_user_sgpr_count 8
		.amdhsa_user_sgpr_private_segment_buffer 1
		.amdhsa_user_sgpr_dispatch_ptr 1
		.amdhsa_user_sgpr_queue_ptr 0
		.amdhsa_user_sgpr_kernarg_segment_ptr 1
		.amdhsa_user_sgpr_dispatch_id 0
		.amdhsa_user_sgpr_flat_scratch_init 0
		.amdhsa_user_sgpr_private_segment_size 0
		.amdhsa_wavefront_size32 1
		.amdhsa_uses_dynamic_stack 0
		.amdhsa_system_sgpr_private_segment_wavefront_offset 0
		.amdhsa_system_sgpr_workgroup_id_x 1
		.amdhsa_system_sgpr_workgroup_id_y 0
		.amdhsa_system_sgpr_workgroup_id_z 0
		.amdhsa_system_sgpr_workgroup_info 0
		.amdhsa_system_vgpr_workitem_id 2
		.amdhsa_next_free_vgpr 12
		.amdhsa_next_free_sgpr 20
		.amdhsa_reserve_vcc 1
		.amdhsa_reserve_flat_scratch 0
		.amdhsa_float_round_mode_32 0
		.amdhsa_float_round_mode_16_64 0
		.amdhsa_float_denorm_mode_32 3
		.amdhsa_float_denorm_mode_16_64 3
		.amdhsa_dx10_clamp 1
		.amdhsa_ieee_mode 1
		.amdhsa_fp16_overflow 0
		.amdhsa_workgroup_processor_mode 1
		.amdhsa_memory_ordered 1
		.amdhsa_forward_progress 1
		.amdhsa_shared_vgpr_count 0
		.amdhsa_exception_fp_ieee_invalid_op 0
		.amdhsa_exception_fp_denorm_src 0
		.amdhsa_exception_fp_ieee_div_zero 0
		.amdhsa_exception_fp_ieee_overflow 0
		.amdhsa_exception_fp_ieee_underflow 0
		.amdhsa_exception_fp_ieee_inexact 0
		.amdhsa_exception_int_div_zero 0
	.end_amdhsa_kernel
	.section	.text._ZN7rocprim17ROCPRIM_400000_NS6detail30init_device_scan_by_key_kernelINS1_19lookback_scan_stateINS0_5tupleIJ11FixedVectorIiLj8EEbEEELb1ELb0EEENS1_16block_id_wrapperIjLb1EEEEEvT_jjPNSB_10value_typeET0_,"axG",@progbits,_ZN7rocprim17ROCPRIM_400000_NS6detail30init_device_scan_by_key_kernelINS1_19lookback_scan_stateINS0_5tupleIJ11FixedVectorIiLj8EEbEEELb1ELb0EEENS1_16block_id_wrapperIjLb1EEEEEvT_jjPNSB_10value_typeET0_,comdat
.Lfunc_end2125:
	.size	_ZN7rocprim17ROCPRIM_400000_NS6detail30init_device_scan_by_key_kernelINS1_19lookback_scan_stateINS0_5tupleIJ11FixedVectorIiLj8EEbEEELb1ELb0EEENS1_16block_id_wrapperIjLb1EEEEEvT_jjPNSB_10value_typeET0_, .Lfunc_end2125-_ZN7rocprim17ROCPRIM_400000_NS6detail30init_device_scan_by_key_kernelINS1_19lookback_scan_stateINS0_5tupleIJ11FixedVectorIiLj8EEbEEELb1ELb0EEENS1_16block_id_wrapperIjLb1EEEEEvT_jjPNSB_10value_typeET0_
                                        ; -- End function
	.set _ZN7rocprim17ROCPRIM_400000_NS6detail30init_device_scan_by_key_kernelINS1_19lookback_scan_stateINS0_5tupleIJ11FixedVectorIiLj8EEbEEELb1ELb0EEENS1_16block_id_wrapperIjLb1EEEEEvT_jjPNSB_10value_typeET0_.num_vgpr, 12
	.set _ZN7rocprim17ROCPRIM_400000_NS6detail30init_device_scan_by_key_kernelINS1_19lookback_scan_stateINS0_5tupleIJ11FixedVectorIiLj8EEbEEELb1ELb0EEENS1_16block_id_wrapperIjLb1EEEEEvT_jjPNSB_10value_typeET0_.num_agpr, 0
	.set _ZN7rocprim17ROCPRIM_400000_NS6detail30init_device_scan_by_key_kernelINS1_19lookback_scan_stateINS0_5tupleIJ11FixedVectorIiLj8EEbEEELb1ELb0EEENS1_16block_id_wrapperIjLb1EEEEEvT_jjPNSB_10value_typeET0_.numbered_sgpr, 20
	.set _ZN7rocprim17ROCPRIM_400000_NS6detail30init_device_scan_by_key_kernelINS1_19lookback_scan_stateINS0_5tupleIJ11FixedVectorIiLj8EEbEEELb1ELb0EEENS1_16block_id_wrapperIjLb1EEEEEvT_jjPNSB_10value_typeET0_.num_named_barrier, 0
	.set _ZN7rocprim17ROCPRIM_400000_NS6detail30init_device_scan_by_key_kernelINS1_19lookback_scan_stateINS0_5tupleIJ11FixedVectorIiLj8EEbEEELb1ELb0EEENS1_16block_id_wrapperIjLb1EEEEEvT_jjPNSB_10value_typeET0_.private_seg_size, 0
	.set _ZN7rocprim17ROCPRIM_400000_NS6detail30init_device_scan_by_key_kernelINS1_19lookback_scan_stateINS0_5tupleIJ11FixedVectorIiLj8EEbEEELb1ELb0EEENS1_16block_id_wrapperIjLb1EEEEEvT_jjPNSB_10value_typeET0_.uses_vcc, 1
	.set _ZN7rocprim17ROCPRIM_400000_NS6detail30init_device_scan_by_key_kernelINS1_19lookback_scan_stateINS0_5tupleIJ11FixedVectorIiLj8EEbEEELb1ELb0EEENS1_16block_id_wrapperIjLb1EEEEEvT_jjPNSB_10value_typeET0_.uses_flat_scratch, 0
	.set _ZN7rocprim17ROCPRIM_400000_NS6detail30init_device_scan_by_key_kernelINS1_19lookback_scan_stateINS0_5tupleIJ11FixedVectorIiLj8EEbEEELb1ELb0EEENS1_16block_id_wrapperIjLb1EEEEEvT_jjPNSB_10value_typeET0_.has_dyn_sized_stack, 0
	.set _ZN7rocprim17ROCPRIM_400000_NS6detail30init_device_scan_by_key_kernelINS1_19lookback_scan_stateINS0_5tupleIJ11FixedVectorIiLj8EEbEEELb1ELb0EEENS1_16block_id_wrapperIjLb1EEEEEvT_jjPNSB_10value_typeET0_.has_recursion, 0
	.set _ZN7rocprim17ROCPRIM_400000_NS6detail30init_device_scan_by_key_kernelINS1_19lookback_scan_stateINS0_5tupleIJ11FixedVectorIiLj8EEbEEELb1ELb0EEENS1_16block_id_wrapperIjLb1EEEEEvT_jjPNSB_10value_typeET0_.has_indirect_call, 0
	.section	.AMDGPU.csdata,"",@progbits
; Kernel info:
; codeLenInByte = 588
; TotalNumSgprs: 22
; NumVgprs: 12
; ScratchSize: 0
; MemoryBound: 0
; FloatMode: 240
; IeeeMode: 1
; LDSByteSize: 9216 bytes/workgroup (compile time only)
; SGPRBlocks: 0
; VGPRBlocks: 1
; NumSGPRsForWavesPerEU: 22
; NumVGPRsForWavesPerEU: 12
; Occupancy: 16
; WaveLimiterHint : 0
; COMPUTE_PGM_RSRC2:SCRATCH_EN: 0
; COMPUTE_PGM_RSRC2:USER_SGPR: 8
; COMPUTE_PGM_RSRC2:TRAP_HANDLER: 0
; COMPUTE_PGM_RSRC2:TGID_X_EN: 1
; COMPUTE_PGM_RSRC2:TGID_Y_EN: 0
; COMPUTE_PGM_RSRC2:TGID_Z_EN: 0
; COMPUTE_PGM_RSRC2:TIDIG_COMP_CNT: 2
	.section	.text._ZN7rocprim17ROCPRIM_400000_NS6detail17trampoline_kernelINS0_14default_configENS1_27scan_by_key_config_selectorIj11FixedVectorIiLj8EEEEZZNS1_16scan_by_key_implILNS1_25lookback_scan_determinismE0ELb0ES3_N6thrust23THRUST_200600_302600_NS6detail15normal_iteratorINSB_10device_ptrIjEEEENSD_INSE_IS6_EEEESI_S6_NSB_4plusIvEENSB_8equal_toIvEES6_EE10hipError_tPvRmT2_T3_T4_T5_mT6_T7_P12ihipStream_tbENKUlT_T0_E_clISt17integral_constantIbLb1EES13_EEDaSY_SZ_EUlSY_E_NS1_11comp_targetILNS1_3genE0ELNS1_11target_archE4294967295ELNS1_3gpuE0ELNS1_3repE0EEENS1_30default_config_static_selectorELNS0_4arch9wavefront6targetE0EEEvT1_,"axG",@progbits,_ZN7rocprim17ROCPRIM_400000_NS6detail17trampoline_kernelINS0_14default_configENS1_27scan_by_key_config_selectorIj11FixedVectorIiLj8EEEEZZNS1_16scan_by_key_implILNS1_25lookback_scan_determinismE0ELb0ES3_N6thrust23THRUST_200600_302600_NS6detail15normal_iteratorINSB_10device_ptrIjEEEENSD_INSE_IS6_EEEESI_S6_NSB_4plusIvEENSB_8equal_toIvEES6_EE10hipError_tPvRmT2_T3_T4_T5_mT6_T7_P12ihipStream_tbENKUlT_T0_E_clISt17integral_constantIbLb1EES13_EEDaSY_SZ_EUlSY_E_NS1_11comp_targetILNS1_3genE0ELNS1_11target_archE4294967295ELNS1_3gpuE0ELNS1_3repE0EEENS1_30default_config_static_selectorELNS0_4arch9wavefront6targetE0EEEvT1_,comdat
	.protected	_ZN7rocprim17ROCPRIM_400000_NS6detail17trampoline_kernelINS0_14default_configENS1_27scan_by_key_config_selectorIj11FixedVectorIiLj8EEEEZZNS1_16scan_by_key_implILNS1_25lookback_scan_determinismE0ELb0ES3_N6thrust23THRUST_200600_302600_NS6detail15normal_iteratorINSB_10device_ptrIjEEEENSD_INSE_IS6_EEEESI_S6_NSB_4plusIvEENSB_8equal_toIvEES6_EE10hipError_tPvRmT2_T3_T4_T5_mT6_T7_P12ihipStream_tbENKUlT_T0_E_clISt17integral_constantIbLb1EES13_EEDaSY_SZ_EUlSY_E_NS1_11comp_targetILNS1_3genE0ELNS1_11target_archE4294967295ELNS1_3gpuE0ELNS1_3repE0EEENS1_30default_config_static_selectorELNS0_4arch9wavefront6targetE0EEEvT1_ ; -- Begin function _ZN7rocprim17ROCPRIM_400000_NS6detail17trampoline_kernelINS0_14default_configENS1_27scan_by_key_config_selectorIj11FixedVectorIiLj8EEEEZZNS1_16scan_by_key_implILNS1_25lookback_scan_determinismE0ELb0ES3_N6thrust23THRUST_200600_302600_NS6detail15normal_iteratorINSB_10device_ptrIjEEEENSD_INSE_IS6_EEEESI_S6_NSB_4plusIvEENSB_8equal_toIvEES6_EE10hipError_tPvRmT2_T3_T4_T5_mT6_T7_P12ihipStream_tbENKUlT_T0_E_clISt17integral_constantIbLb1EES13_EEDaSY_SZ_EUlSY_E_NS1_11comp_targetILNS1_3genE0ELNS1_11target_archE4294967295ELNS1_3gpuE0ELNS1_3repE0EEENS1_30default_config_static_selectorELNS0_4arch9wavefront6targetE0EEEvT1_
	.globl	_ZN7rocprim17ROCPRIM_400000_NS6detail17trampoline_kernelINS0_14default_configENS1_27scan_by_key_config_selectorIj11FixedVectorIiLj8EEEEZZNS1_16scan_by_key_implILNS1_25lookback_scan_determinismE0ELb0ES3_N6thrust23THRUST_200600_302600_NS6detail15normal_iteratorINSB_10device_ptrIjEEEENSD_INSE_IS6_EEEESI_S6_NSB_4plusIvEENSB_8equal_toIvEES6_EE10hipError_tPvRmT2_T3_T4_T5_mT6_T7_P12ihipStream_tbENKUlT_T0_E_clISt17integral_constantIbLb1EES13_EEDaSY_SZ_EUlSY_E_NS1_11comp_targetILNS1_3genE0ELNS1_11target_archE4294967295ELNS1_3gpuE0ELNS1_3repE0EEENS1_30default_config_static_selectorELNS0_4arch9wavefront6targetE0EEEvT1_
	.p2align	8
	.type	_ZN7rocprim17ROCPRIM_400000_NS6detail17trampoline_kernelINS0_14default_configENS1_27scan_by_key_config_selectorIj11FixedVectorIiLj8EEEEZZNS1_16scan_by_key_implILNS1_25lookback_scan_determinismE0ELb0ES3_N6thrust23THRUST_200600_302600_NS6detail15normal_iteratorINSB_10device_ptrIjEEEENSD_INSE_IS6_EEEESI_S6_NSB_4plusIvEENSB_8equal_toIvEES6_EE10hipError_tPvRmT2_T3_T4_T5_mT6_T7_P12ihipStream_tbENKUlT_T0_E_clISt17integral_constantIbLb1EES13_EEDaSY_SZ_EUlSY_E_NS1_11comp_targetILNS1_3genE0ELNS1_11target_archE4294967295ELNS1_3gpuE0ELNS1_3repE0EEENS1_30default_config_static_selectorELNS0_4arch9wavefront6targetE0EEEvT1_,@function
_ZN7rocprim17ROCPRIM_400000_NS6detail17trampoline_kernelINS0_14default_configENS1_27scan_by_key_config_selectorIj11FixedVectorIiLj8EEEEZZNS1_16scan_by_key_implILNS1_25lookback_scan_determinismE0ELb0ES3_N6thrust23THRUST_200600_302600_NS6detail15normal_iteratorINSB_10device_ptrIjEEEENSD_INSE_IS6_EEEESI_S6_NSB_4plusIvEENSB_8equal_toIvEES6_EE10hipError_tPvRmT2_T3_T4_T5_mT6_T7_P12ihipStream_tbENKUlT_T0_E_clISt17integral_constantIbLb1EES13_EEDaSY_SZ_EUlSY_E_NS1_11comp_targetILNS1_3genE0ELNS1_11target_archE4294967295ELNS1_3gpuE0ELNS1_3repE0EEENS1_30default_config_static_selectorELNS0_4arch9wavefront6targetE0EEEvT1_: ; @_ZN7rocprim17ROCPRIM_400000_NS6detail17trampoline_kernelINS0_14default_configENS1_27scan_by_key_config_selectorIj11FixedVectorIiLj8EEEEZZNS1_16scan_by_key_implILNS1_25lookback_scan_determinismE0ELb0ES3_N6thrust23THRUST_200600_302600_NS6detail15normal_iteratorINSB_10device_ptrIjEEEENSD_INSE_IS6_EEEESI_S6_NSB_4plusIvEENSB_8equal_toIvEES6_EE10hipError_tPvRmT2_T3_T4_T5_mT6_T7_P12ihipStream_tbENKUlT_T0_E_clISt17integral_constantIbLb1EES13_EEDaSY_SZ_EUlSY_E_NS1_11comp_targetILNS1_3genE0ELNS1_11target_archE4294967295ELNS1_3gpuE0ELNS1_3repE0EEENS1_30default_config_static_selectorELNS0_4arch9wavefront6targetE0EEEvT1_
; %bb.0:
	.section	.rodata,"a",@progbits
	.p2align	6, 0x0
	.amdhsa_kernel _ZN7rocprim17ROCPRIM_400000_NS6detail17trampoline_kernelINS0_14default_configENS1_27scan_by_key_config_selectorIj11FixedVectorIiLj8EEEEZZNS1_16scan_by_key_implILNS1_25lookback_scan_determinismE0ELb0ES3_N6thrust23THRUST_200600_302600_NS6detail15normal_iteratorINSB_10device_ptrIjEEEENSD_INSE_IS6_EEEESI_S6_NSB_4plusIvEENSB_8equal_toIvEES6_EE10hipError_tPvRmT2_T3_T4_T5_mT6_T7_P12ihipStream_tbENKUlT_T0_E_clISt17integral_constantIbLb1EES13_EEDaSY_SZ_EUlSY_E_NS1_11comp_targetILNS1_3genE0ELNS1_11target_archE4294967295ELNS1_3gpuE0ELNS1_3repE0EEENS1_30default_config_static_selectorELNS0_4arch9wavefront6targetE0EEEvT1_
		.amdhsa_group_segment_fixed_size 0
		.amdhsa_private_segment_fixed_size 0
		.amdhsa_kernarg_size 160
		.amdhsa_user_sgpr_count 6
		.amdhsa_user_sgpr_private_segment_buffer 1
		.amdhsa_user_sgpr_dispatch_ptr 0
		.amdhsa_user_sgpr_queue_ptr 0
		.amdhsa_user_sgpr_kernarg_segment_ptr 1
		.amdhsa_user_sgpr_dispatch_id 0
		.amdhsa_user_sgpr_flat_scratch_init 0
		.amdhsa_user_sgpr_private_segment_size 0
		.amdhsa_wavefront_size32 1
		.amdhsa_uses_dynamic_stack 0
		.amdhsa_system_sgpr_private_segment_wavefront_offset 0
		.amdhsa_system_sgpr_workgroup_id_x 1
		.amdhsa_system_sgpr_workgroup_id_y 0
		.amdhsa_system_sgpr_workgroup_id_z 0
		.amdhsa_system_sgpr_workgroup_info 0
		.amdhsa_system_vgpr_workitem_id 0
		.amdhsa_next_free_vgpr 1
		.amdhsa_next_free_sgpr 1
		.amdhsa_reserve_vcc 0
		.amdhsa_reserve_flat_scratch 0
		.amdhsa_float_round_mode_32 0
		.amdhsa_float_round_mode_16_64 0
		.amdhsa_float_denorm_mode_32 3
		.amdhsa_float_denorm_mode_16_64 3
		.amdhsa_dx10_clamp 1
		.amdhsa_ieee_mode 1
		.amdhsa_fp16_overflow 0
		.amdhsa_workgroup_processor_mode 1
		.amdhsa_memory_ordered 1
		.amdhsa_forward_progress 1
		.amdhsa_shared_vgpr_count 0
		.amdhsa_exception_fp_ieee_invalid_op 0
		.amdhsa_exception_fp_denorm_src 0
		.amdhsa_exception_fp_ieee_div_zero 0
		.amdhsa_exception_fp_ieee_overflow 0
		.amdhsa_exception_fp_ieee_underflow 0
		.amdhsa_exception_fp_ieee_inexact 0
		.amdhsa_exception_int_div_zero 0
	.end_amdhsa_kernel
	.section	.text._ZN7rocprim17ROCPRIM_400000_NS6detail17trampoline_kernelINS0_14default_configENS1_27scan_by_key_config_selectorIj11FixedVectorIiLj8EEEEZZNS1_16scan_by_key_implILNS1_25lookback_scan_determinismE0ELb0ES3_N6thrust23THRUST_200600_302600_NS6detail15normal_iteratorINSB_10device_ptrIjEEEENSD_INSE_IS6_EEEESI_S6_NSB_4plusIvEENSB_8equal_toIvEES6_EE10hipError_tPvRmT2_T3_T4_T5_mT6_T7_P12ihipStream_tbENKUlT_T0_E_clISt17integral_constantIbLb1EES13_EEDaSY_SZ_EUlSY_E_NS1_11comp_targetILNS1_3genE0ELNS1_11target_archE4294967295ELNS1_3gpuE0ELNS1_3repE0EEENS1_30default_config_static_selectorELNS0_4arch9wavefront6targetE0EEEvT1_,"axG",@progbits,_ZN7rocprim17ROCPRIM_400000_NS6detail17trampoline_kernelINS0_14default_configENS1_27scan_by_key_config_selectorIj11FixedVectorIiLj8EEEEZZNS1_16scan_by_key_implILNS1_25lookback_scan_determinismE0ELb0ES3_N6thrust23THRUST_200600_302600_NS6detail15normal_iteratorINSB_10device_ptrIjEEEENSD_INSE_IS6_EEEESI_S6_NSB_4plusIvEENSB_8equal_toIvEES6_EE10hipError_tPvRmT2_T3_T4_T5_mT6_T7_P12ihipStream_tbENKUlT_T0_E_clISt17integral_constantIbLb1EES13_EEDaSY_SZ_EUlSY_E_NS1_11comp_targetILNS1_3genE0ELNS1_11target_archE4294967295ELNS1_3gpuE0ELNS1_3repE0EEENS1_30default_config_static_selectorELNS0_4arch9wavefront6targetE0EEEvT1_,comdat
.Lfunc_end2126:
	.size	_ZN7rocprim17ROCPRIM_400000_NS6detail17trampoline_kernelINS0_14default_configENS1_27scan_by_key_config_selectorIj11FixedVectorIiLj8EEEEZZNS1_16scan_by_key_implILNS1_25lookback_scan_determinismE0ELb0ES3_N6thrust23THRUST_200600_302600_NS6detail15normal_iteratorINSB_10device_ptrIjEEEENSD_INSE_IS6_EEEESI_S6_NSB_4plusIvEENSB_8equal_toIvEES6_EE10hipError_tPvRmT2_T3_T4_T5_mT6_T7_P12ihipStream_tbENKUlT_T0_E_clISt17integral_constantIbLb1EES13_EEDaSY_SZ_EUlSY_E_NS1_11comp_targetILNS1_3genE0ELNS1_11target_archE4294967295ELNS1_3gpuE0ELNS1_3repE0EEENS1_30default_config_static_selectorELNS0_4arch9wavefront6targetE0EEEvT1_, .Lfunc_end2126-_ZN7rocprim17ROCPRIM_400000_NS6detail17trampoline_kernelINS0_14default_configENS1_27scan_by_key_config_selectorIj11FixedVectorIiLj8EEEEZZNS1_16scan_by_key_implILNS1_25lookback_scan_determinismE0ELb0ES3_N6thrust23THRUST_200600_302600_NS6detail15normal_iteratorINSB_10device_ptrIjEEEENSD_INSE_IS6_EEEESI_S6_NSB_4plusIvEENSB_8equal_toIvEES6_EE10hipError_tPvRmT2_T3_T4_T5_mT6_T7_P12ihipStream_tbENKUlT_T0_E_clISt17integral_constantIbLb1EES13_EEDaSY_SZ_EUlSY_E_NS1_11comp_targetILNS1_3genE0ELNS1_11target_archE4294967295ELNS1_3gpuE0ELNS1_3repE0EEENS1_30default_config_static_selectorELNS0_4arch9wavefront6targetE0EEEvT1_
                                        ; -- End function
	.set _ZN7rocprim17ROCPRIM_400000_NS6detail17trampoline_kernelINS0_14default_configENS1_27scan_by_key_config_selectorIj11FixedVectorIiLj8EEEEZZNS1_16scan_by_key_implILNS1_25lookback_scan_determinismE0ELb0ES3_N6thrust23THRUST_200600_302600_NS6detail15normal_iteratorINSB_10device_ptrIjEEEENSD_INSE_IS6_EEEESI_S6_NSB_4plusIvEENSB_8equal_toIvEES6_EE10hipError_tPvRmT2_T3_T4_T5_mT6_T7_P12ihipStream_tbENKUlT_T0_E_clISt17integral_constantIbLb1EES13_EEDaSY_SZ_EUlSY_E_NS1_11comp_targetILNS1_3genE0ELNS1_11target_archE4294967295ELNS1_3gpuE0ELNS1_3repE0EEENS1_30default_config_static_selectorELNS0_4arch9wavefront6targetE0EEEvT1_.num_vgpr, 0
	.set _ZN7rocprim17ROCPRIM_400000_NS6detail17trampoline_kernelINS0_14default_configENS1_27scan_by_key_config_selectorIj11FixedVectorIiLj8EEEEZZNS1_16scan_by_key_implILNS1_25lookback_scan_determinismE0ELb0ES3_N6thrust23THRUST_200600_302600_NS6detail15normal_iteratorINSB_10device_ptrIjEEEENSD_INSE_IS6_EEEESI_S6_NSB_4plusIvEENSB_8equal_toIvEES6_EE10hipError_tPvRmT2_T3_T4_T5_mT6_T7_P12ihipStream_tbENKUlT_T0_E_clISt17integral_constantIbLb1EES13_EEDaSY_SZ_EUlSY_E_NS1_11comp_targetILNS1_3genE0ELNS1_11target_archE4294967295ELNS1_3gpuE0ELNS1_3repE0EEENS1_30default_config_static_selectorELNS0_4arch9wavefront6targetE0EEEvT1_.num_agpr, 0
	.set _ZN7rocprim17ROCPRIM_400000_NS6detail17trampoline_kernelINS0_14default_configENS1_27scan_by_key_config_selectorIj11FixedVectorIiLj8EEEEZZNS1_16scan_by_key_implILNS1_25lookback_scan_determinismE0ELb0ES3_N6thrust23THRUST_200600_302600_NS6detail15normal_iteratorINSB_10device_ptrIjEEEENSD_INSE_IS6_EEEESI_S6_NSB_4plusIvEENSB_8equal_toIvEES6_EE10hipError_tPvRmT2_T3_T4_T5_mT6_T7_P12ihipStream_tbENKUlT_T0_E_clISt17integral_constantIbLb1EES13_EEDaSY_SZ_EUlSY_E_NS1_11comp_targetILNS1_3genE0ELNS1_11target_archE4294967295ELNS1_3gpuE0ELNS1_3repE0EEENS1_30default_config_static_selectorELNS0_4arch9wavefront6targetE0EEEvT1_.numbered_sgpr, 0
	.set _ZN7rocprim17ROCPRIM_400000_NS6detail17trampoline_kernelINS0_14default_configENS1_27scan_by_key_config_selectorIj11FixedVectorIiLj8EEEEZZNS1_16scan_by_key_implILNS1_25lookback_scan_determinismE0ELb0ES3_N6thrust23THRUST_200600_302600_NS6detail15normal_iteratorINSB_10device_ptrIjEEEENSD_INSE_IS6_EEEESI_S6_NSB_4plusIvEENSB_8equal_toIvEES6_EE10hipError_tPvRmT2_T3_T4_T5_mT6_T7_P12ihipStream_tbENKUlT_T0_E_clISt17integral_constantIbLb1EES13_EEDaSY_SZ_EUlSY_E_NS1_11comp_targetILNS1_3genE0ELNS1_11target_archE4294967295ELNS1_3gpuE0ELNS1_3repE0EEENS1_30default_config_static_selectorELNS0_4arch9wavefront6targetE0EEEvT1_.num_named_barrier, 0
	.set _ZN7rocprim17ROCPRIM_400000_NS6detail17trampoline_kernelINS0_14default_configENS1_27scan_by_key_config_selectorIj11FixedVectorIiLj8EEEEZZNS1_16scan_by_key_implILNS1_25lookback_scan_determinismE0ELb0ES3_N6thrust23THRUST_200600_302600_NS6detail15normal_iteratorINSB_10device_ptrIjEEEENSD_INSE_IS6_EEEESI_S6_NSB_4plusIvEENSB_8equal_toIvEES6_EE10hipError_tPvRmT2_T3_T4_T5_mT6_T7_P12ihipStream_tbENKUlT_T0_E_clISt17integral_constantIbLb1EES13_EEDaSY_SZ_EUlSY_E_NS1_11comp_targetILNS1_3genE0ELNS1_11target_archE4294967295ELNS1_3gpuE0ELNS1_3repE0EEENS1_30default_config_static_selectorELNS0_4arch9wavefront6targetE0EEEvT1_.private_seg_size, 0
	.set _ZN7rocprim17ROCPRIM_400000_NS6detail17trampoline_kernelINS0_14default_configENS1_27scan_by_key_config_selectorIj11FixedVectorIiLj8EEEEZZNS1_16scan_by_key_implILNS1_25lookback_scan_determinismE0ELb0ES3_N6thrust23THRUST_200600_302600_NS6detail15normal_iteratorINSB_10device_ptrIjEEEENSD_INSE_IS6_EEEESI_S6_NSB_4plusIvEENSB_8equal_toIvEES6_EE10hipError_tPvRmT2_T3_T4_T5_mT6_T7_P12ihipStream_tbENKUlT_T0_E_clISt17integral_constantIbLb1EES13_EEDaSY_SZ_EUlSY_E_NS1_11comp_targetILNS1_3genE0ELNS1_11target_archE4294967295ELNS1_3gpuE0ELNS1_3repE0EEENS1_30default_config_static_selectorELNS0_4arch9wavefront6targetE0EEEvT1_.uses_vcc, 0
	.set _ZN7rocprim17ROCPRIM_400000_NS6detail17trampoline_kernelINS0_14default_configENS1_27scan_by_key_config_selectorIj11FixedVectorIiLj8EEEEZZNS1_16scan_by_key_implILNS1_25lookback_scan_determinismE0ELb0ES3_N6thrust23THRUST_200600_302600_NS6detail15normal_iteratorINSB_10device_ptrIjEEEENSD_INSE_IS6_EEEESI_S6_NSB_4plusIvEENSB_8equal_toIvEES6_EE10hipError_tPvRmT2_T3_T4_T5_mT6_T7_P12ihipStream_tbENKUlT_T0_E_clISt17integral_constantIbLb1EES13_EEDaSY_SZ_EUlSY_E_NS1_11comp_targetILNS1_3genE0ELNS1_11target_archE4294967295ELNS1_3gpuE0ELNS1_3repE0EEENS1_30default_config_static_selectorELNS0_4arch9wavefront6targetE0EEEvT1_.uses_flat_scratch, 0
	.set _ZN7rocprim17ROCPRIM_400000_NS6detail17trampoline_kernelINS0_14default_configENS1_27scan_by_key_config_selectorIj11FixedVectorIiLj8EEEEZZNS1_16scan_by_key_implILNS1_25lookback_scan_determinismE0ELb0ES3_N6thrust23THRUST_200600_302600_NS6detail15normal_iteratorINSB_10device_ptrIjEEEENSD_INSE_IS6_EEEESI_S6_NSB_4plusIvEENSB_8equal_toIvEES6_EE10hipError_tPvRmT2_T3_T4_T5_mT6_T7_P12ihipStream_tbENKUlT_T0_E_clISt17integral_constantIbLb1EES13_EEDaSY_SZ_EUlSY_E_NS1_11comp_targetILNS1_3genE0ELNS1_11target_archE4294967295ELNS1_3gpuE0ELNS1_3repE0EEENS1_30default_config_static_selectorELNS0_4arch9wavefront6targetE0EEEvT1_.has_dyn_sized_stack, 0
	.set _ZN7rocprim17ROCPRIM_400000_NS6detail17trampoline_kernelINS0_14default_configENS1_27scan_by_key_config_selectorIj11FixedVectorIiLj8EEEEZZNS1_16scan_by_key_implILNS1_25lookback_scan_determinismE0ELb0ES3_N6thrust23THRUST_200600_302600_NS6detail15normal_iteratorINSB_10device_ptrIjEEEENSD_INSE_IS6_EEEESI_S6_NSB_4plusIvEENSB_8equal_toIvEES6_EE10hipError_tPvRmT2_T3_T4_T5_mT6_T7_P12ihipStream_tbENKUlT_T0_E_clISt17integral_constantIbLb1EES13_EEDaSY_SZ_EUlSY_E_NS1_11comp_targetILNS1_3genE0ELNS1_11target_archE4294967295ELNS1_3gpuE0ELNS1_3repE0EEENS1_30default_config_static_selectorELNS0_4arch9wavefront6targetE0EEEvT1_.has_recursion, 0
	.set _ZN7rocprim17ROCPRIM_400000_NS6detail17trampoline_kernelINS0_14default_configENS1_27scan_by_key_config_selectorIj11FixedVectorIiLj8EEEEZZNS1_16scan_by_key_implILNS1_25lookback_scan_determinismE0ELb0ES3_N6thrust23THRUST_200600_302600_NS6detail15normal_iteratorINSB_10device_ptrIjEEEENSD_INSE_IS6_EEEESI_S6_NSB_4plusIvEENSB_8equal_toIvEES6_EE10hipError_tPvRmT2_T3_T4_T5_mT6_T7_P12ihipStream_tbENKUlT_T0_E_clISt17integral_constantIbLb1EES13_EEDaSY_SZ_EUlSY_E_NS1_11comp_targetILNS1_3genE0ELNS1_11target_archE4294967295ELNS1_3gpuE0ELNS1_3repE0EEENS1_30default_config_static_selectorELNS0_4arch9wavefront6targetE0EEEvT1_.has_indirect_call, 0
	.section	.AMDGPU.csdata,"",@progbits
; Kernel info:
; codeLenInByte = 0
; TotalNumSgprs: 0
; NumVgprs: 0
; ScratchSize: 0
; MemoryBound: 0
; FloatMode: 240
; IeeeMode: 1
; LDSByteSize: 0 bytes/workgroup (compile time only)
; SGPRBlocks: 0
; VGPRBlocks: 0
; NumSGPRsForWavesPerEU: 1
; NumVGPRsForWavesPerEU: 1
; Occupancy: 16
; WaveLimiterHint : 0
; COMPUTE_PGM_RSRC2:SCRATCH_EN: 0
; COMPUTE_PGM_RSRC2:USER_SGPR: 6
; COMPUTE_PGM_RSRC2:TRAP_HANDLER: 0
; COMPUTE_PGM_RSRC2:TGID_X_EN: 1
; COMPUTE_PGM_RSRC2:TGID_Y_EN: 0
; COMPUTE_PGM_RSRC2:TGID_Z_EN: 0
; COMPUTE_PGM_RSRC2:TIDIG_COMP_CNT: 0
	.section	.text._ZN7rocprim17ROCPRIM_400000_NS6detail17trampoline_kernelINS0_14default_configENS1_27scan_by_key_config_selectorIj11FixedVectorIiLj8EEEEZZNS1_16scan_by_key_implILNS1_25lookback_scan_determinismE0ELb0ES3_N6thrust23THRUST_200600_302600_NS6detail15normal_iteratorINSB_10device_ptrIjEEEENSD_INSE_IS6_EEEESI_S6_NSB_4plusIvEENSB_8equal_toIvEES6_EE10hipError_tPvRmT2_T3_T4_T5_mT6_T7_P12ihipStream_tbENKUlT_T0_E_clISt17integral_constantIbLb1EES13_EEDaSY_SZ_EUlSY_E_NS1_11comp_targetILNS1_3genE10ELNS1_11target_archE1201ELNS1_3gpuE5ELNS1_3repE0EEENS1_30default_config_static_selectorELNS0_4arch9wavefront6targetE0EEEvT1_,"axG",@progbits,_ZN7rocprim17ROCPRIM_400000_NS6detail17trampoline_kernelINS0_14default_configENS1_27scan_by_key_config_selectorIj11FixedVectorIiLj8EEEEZZNS1_16scan_by_key_implILNS1_25lookback_scan_determinismE0ELb0ES3_N6thrust23THRUST_200600_302600_NS6detail15normal_iteratorINSB_10device_ptrIjEEEENSD_INSE_IS6_EEEESI_S6_NSB_4plusIvEENSB_8equal_toIvEES6_EE10hipError_tPvRmT2_T3_T4_T5_mT6_T7_P12ihipStream_tbENKUlT_T0_E_clISt17integral_constantIbLb1EES13_EEDaSY_SZ_EUlSY_E_NS1_11comp_targetILNS1_3genE10ELNS1_11target_archE1201ELNS1_3gpuE5ELNS1_3repE0EEENS1_30default_config_static_selectorELNS0_4arch9wavefront6targetE0EEEvT1_,comdat
	.protected	_ZN7rocprim17ROCPRIM_400000_NS6detail17trampoline_kernelINS0_14default_configENS1_27scan_by_key_config_selectorIj11FixedVectorIiLj8EEEEZZNS1_16scan_by_key_implILNS1_25lookback_scan_determinismE0ELb0ES3_N6thrust23THRUST_200600_302600_NS6detail15normal_iteratorINSB_10device_ptrIjEEEENSD_INSE_IS6_EEEESI_S6_NSB_4plusIvEENSB_8equal_toIvEES6_EE10hipError_tPvRmT2_T3_T4_T5_mT6_T7_P12ihipStream_tbENKUlT_T0_E_clISt17integral_constantIbLb1EES13_EEDaSY_SZ_EUlSY_E_NS1_11comp_targetILNS1_3genE10ELNS1_11target_archE1201ELNS1_3gpuE5ELNS1_3repE0EEENS1_30default_config_static_selectorELNS0_4arch9wavefront6targetE0EEEvT1_ ; -- Begin function _ZN7rocprim17ROCPRIM_400000_NS6detail17trampoline_kernelINS0_14default_configENS1_27scan_by_key_config_selectorIj11FixedVectorIiLj8EEEEZZNS1_16scan_by_key_implILNS1_25lookback_scan_determinismE0ELb0ES3_N6thrust23THRUST_200600_302600_NS6detail15normal_iteratorINSB_10device_ptrIjEEEENSD_INSE_IS6_EEEESI_S6_NSB_4plusIvEENSB_8equal_toIvEES6_EE10hipError_tPvRmT2_T3_T4_T5_mT6_T7_P12ihipStream_tbENKUlT_T0_E_clISt17integral_constantIbLb1EES13_EEDaSY_SZ_EUlSY_E_NS1_11comp_targetILNS1_3genE10ELNS1_11target_archE1201ELNS1_3gpuE5ELNS1_3repE0EEENS1_30default_config_static_selectorELNS0_4arch9wavefront6targetE0EEEvT1_
	.globl	_ZN7rocprim17ROCPRIM_400000_NS6detail17trampoline_kernelINS0_14default_configENS1_27scan_by_key_config_selectorIj11FixedVectorIiLj8EEEEZZNS1_16scan_by_key_implILNS1_25lookback_scan_determinismE0ELb0ES3_N6thrust23THRUST_200600_302600_NS6detail15normal_iteratorINSB_10device_ptrIjEEEENSD_INSE_IS6_EEEESI_S6_NSB_4plusIvEENSB_8equal_toIvEES6_EE10hipError_tPvRmT2_T3_T4_T5_mT6_T7_P12ihipStream_tbENKUlT_T0_E_clISt17integral_constantIbLb1EES13_EEDaSY_SZ_EUlSY_E_NS1_11comp_targetILNS1_3genE10ELNS1_11target_archE1201ELNS1_3gpuE5ELNS1_3repE0EEENS1_30default_config_static_selectorELNS0_4arch9wavefront6targetE0EEEvT1_
	.p2align	8
	.type	_ZN7rocprim17ROCPRIM_400000_NS6detail17trampoline_kernelINS0_14default_configENS1_27scan_by_key_config_selectorIj11FixedVectorIiLj8EEEEZZNS1_16scan_by_key_implILNS1_25lookback_scan_determinismE0ELb0ES3_N6thrust23THRUST_200600_302600_NS6detail15normal_iteratorINSB_10device_ptrIjEEEENSD_INSE_IS6_EEEESI_S6_NSB_4plusIvEENSB_8equal_toIvEES6_EE10hipError_tPvRmT2_T3_T4_T5_mT6_T7_P12ihipStream_tbENKUlT_T0_E_clISt17integral_constantIbLb1EES13_EEDaSY_SZ_EUlSY_E_NS1_11comp_targetILNS1_3genE10ELNS1_11target_archE1201ELNS1_3gpuE5ELNS1_3repE0EEENS1_30default_config_static_selectorELNS0_4arch9wavefront6targetE0EEEvT1_,@function
_ZN7rocprim17ROCPRIM_400000_NS6detail17trampoline_kernelINS0_14default_configENS1_27scan_by_key_config_selectorIj11FixedVectorIiLj8EEEEZZNS1_16scan_by_key_implILNS1_25lookback_scan_determinismE0ELb0ES3_N6thrust23THRUST_200600_302600_NS6detail15normal_iteratorINSB_10device_ptrIjEEEENSD_INSE_IS6_EEEESI_S6_NSB_4plusIvEENSB_8equal_toIvEES6_EE10hipError_tPvRmT2_T3_T4_T5_mT6_T7_P12ihipStream_tbENKUlT_T0_E_clISt17integral_constantIbLb1EES13_EEDaSY_SZ_EUlSY_E_NS1_11comp_targetILNS1_3genE10ELNS1_11target_archE1201ELNS1_3gpuE5ELNS1_3repE0EEENS1_30default_config_static_selectorELNS0_4arch9wavefront6targetE0EEEvT1_: ; @_ZN7rocprim17ROCPRIM_400000_NS6detail17trampoline_kernelINS0_14default_configENS1_27scan_by_key_config_selectorIj11FixedVectorIiLj8EEEEZZNS1_16scan_by_key_implILNS1_25lookback_scan_determinismE0ELb0ES3_N6thrust23THRUST_200600_302600_NS6detail15normal_iteratorINSB_10device_ptrIjEEEENSD_INSE_IS6_EEEESI_S6_NSB_4plusIvEENSB_8equal_toIvEES6_EE10hipError_tPvRmT2_T3_T4_T5_mT6_T7_P12ihipStream_tbENKUlT_T0_E_clISt17integral_constantIbLb1EES13_EEDaSY_SZ_EUlSY_E_NS1_11comp_targetILNS1_3genE10ELNS1_11target_archE1201ELNS1_3gpuE5ELNS1_3repE0EEENS1_30default_config_static_selectorELNS0_4arch9wavefront6targetE0EEEvT1_
; %bb.0:
	.section	.rodata,"a",@progbits
	.p2align	6, 0x0
	.amdhsa_kernel _ZN7rocprim17ROCPRIM_400000_NS6detail17trampoline_kernelINS0_14default_configENS1_27scan_by_key_config_selectorIj11FixedVectorIiLj8EEEEZZNS1_16scan_by_key_implILNS1_25lookback_scan_determinismE0ELb0ES3_N6thrust23THRUST_200600_302600_NS6detail15normal_iteratorINSB_10device_ptrIjEEEENSD_INSE_IS6_EEEESI_S6_NSB_4plusIvEENSB_8equal_toIvEES6_EE10hipError_tPvRmT2_T3_T4_T5_mT6_T7_P12ihipStream_tbENKUlT_T0_E_clISt17integral_constantIbLb1EES13_EEDaSY_SZ_EUlSY_E_NS1_11comp_targetILNS1_3genE10ELNS1_11target_archE1201ELNS1_3gpuE5ELNS1_3repE0EEENS1_30default_config_static_selectorELNS0_4arch9wavefront6targetE0EEEvT1_
		.amdhsa_group_segment_fixed_size 0
		.amdhsa_private_segment_fixed_size 0
		.amdhsa_kernarg_size 160
		.amdhsa_user_sgpr_count 6
		.amdhsa_user_sgpr_private_segment_buffer 1
		.amdhsa_user_sgpr_dispatch_ptr 0
		.amdhsa_user_sgpr_queue_ptr 0
		.amdhsa_user_sgpr_kernarg_segment_ptr 1
		.amdhsa_user_sgpr_dispatch_id 0
		.amdhsa_user_sgpr_flat_scratch_init 0
		.amdhsa_user_sgpr_private_segment_size 0
		.amdhsa_wavefront_size32 1
		.amdhsa_uses_dynamic_stack 0
		.amdhsa_system_sgpr_private_segment_wavefront_offset 0
		.amdhsa_system_sgpr_workgroup_id_x 1
		.amdhsa_system_sgpr_workgroup_id_y 0
		.amdhsa_system_sgpr_workgroup_id_z 0
		.amdhsa_system_sgpr_workgroup_info 0
		.amdhsa_system_vgpr_workitem_id 0
		.amdhsa_next_free_vgpr 1
		.amdhsa_next_free_sgpr 1
		.amdhsa_reserve_vcc 0
		.amdhsa_reserve_flat_scratch 0
		.amdhsa_float_round_mode_32 0
		.amdhsa_float_round_mode_16_64 0
		.amdhsa_float_denorm_mode_32 3
		.amdhsa_float_denorm_mode_16_64 3
		.amdhsa_dx10_clamp 1
		.amdhsa_ieee_mode 1
		.amdhsa_fp16_overflow 0
		.amdhsa_workgroup_processor_mode 1
		.amdhsa_memory_ordered 1
		.amdhsa_forward_progress 1
		.amdhsa_shared_vgpr_count 0
		.amdhsa_exception_fp_ieee_invalid_op 0
		.amdhsa_exception_fp_denorm_src 0
		.amdhsa_exception_fp_ieee_div_zero 0
		.amdhsa_exception_fp_ieee_overflow 0
		.amdhsa_exception_fp_ieee_underflow 0
		.amdhsa_exception_fp_ieee_inexact 0
		.amdhsa_exception_int_div_zero 0
	.end_amdhsa_kernel
	.section	.text._ZN7rocprim17ROCPRIM_400000_NS6detail17trampoline_kernelINS0_14default_configENS1_27scan_by_key_config_selectorIj11FixedVectorIiLj8EEEEZZNS1_16scan_by_key_implILNS1_25lookback_scan_determinismE0ELb0ES3_N6thrust23THRUST_200600_302600_NS6detail15normal_iteratorINSB_10device_ptrIjEEEENSD_INSE_IS6_EEEESI_S6_NSB_4plusIvEENSB_8equal_toIvEES6_EE10hipError_tPvRmT2_T3_T4_T5_mT6_T7_P12ihipStream_tbENKUlT_T0_E_clISt17integral_constantIbLb1EES13_EEDaSY_SZ_EUlSY_E_NS1_11comp_targetILNS1_3genE10ELNS1_11target_archE1201ELNS1_3gpuE5ELNS1_3repE0EEENS1_30default_config_static_selectorELNS0_4arch9wavefront6targetE0EEEvT1_,"axG",@progbits,_ZN7rocprim17ROCPRIM_400000_NS6detail17trampoline_kernelINS0_14default_configENS1_27scan_by_key_config_selectorIj11FixedVectorIiLj8EEEEZZNS1_16scan_by_key_implILNS1_25lookback_scan_determinismE0ELb0ES3_N6thrust23THRUST_200600_302600_NS6detail15normal_iteratorINSB_10device_ptrIjEEEENSD_INSE_IS6_EEEESI_S6_NSB_4plusIvEENSB_8equal_toIvEES6_EE10hipError_tPvRmT2_T3_T4_T5_mT6_T7_P12ihipStream_tbENKUlT_T0_E_clISt17integral_constantIbLb1EES13_EEDaSY_SZ_EUlSY_E_NS1_11comp_targetILNS1_3genE10ELNS1_11target_archE1201ELNS1_3gpuE5ELNS1_3repE0EEENS1_30default_config_static_selectorELNS0_4arch9wavefront6targetE0EEEvT1_,comdat
.Lfunc_end2127:
	.size	_ZN7rocprim17ROCPRIM_400000_NS6detail17trampoline_kernelINS0_14default_configENS1_27scan_by_key_config_selectorIj11FixedVectorIiLj8EEEEZZNS1_16scan_by_key_implILNS1_25lookback_scan_determinismE0ELb0ES3_N6thrust23THRUST_200600_302600_NS6detail15normal_iteratorINSB_10device_ptrIjEEEENSD_INSE_IS6_EEEESI_S6_NSB_4plusIvEENSB_8equal_toIvEES6_EE10hipError_tPvRmT2_T3_T4_T5_mT6_T7_P12ihipStream_tbENKUlT_T0_E_clISt17integral_constantIbLb1EES13_EEDaSY_SZ_EUlSY_E_NS1_11comp_targetILNS1_3genE10ELNS1_11target_archE1201ELNS1_3gpuE5ELNS1_3repE0EEENS1_30default_config_static_selectorELNS0_4arch9wavefront6targetE0EEEvT1_, .Lfunc_end2127-_ZN7rocprim17ROCPRIM_400000_NS6detail17trampoline_kernelINS0_14default_configENS1_27scan_by_key_config_selectorIj11FixedVectorIiLj8EEEEZZNS1_16scan_by_key_implILNS1_25lookback_scan_determinismE0ELb0ES3_N6thrust23THRUST_200600_302600_NS6detail15normal_iteratorINSB_10device_ptrIjEEEENSD_INSE_IS6_EEEESI_S6_NSB_4plusIvEENSB_8equal_toIvEES6_EE10hipError_tPvRmT2_T3_T4_T5_mT6_T7_P12ihipStream_tbENKUlT_T0_E_clISt17integral_constantIbLb1EES13_EEDaSY_SZ_EUlSY_E_NS1_11comp_targetILNS1_3genE10ELNS1_11target_archE1201ELNS1_3gpuE5ELNS1_3repE0EEENS1_30default_config_static_selectorELNS0_4arch9wavefront6targetE0EEEvT1_
                                        ; -- End function
	.set _ZN7rocprim17ROCPRIM_400000_NS6detail17trampoline_kernelINS0_14default_configENS1_27scan_by_key_config_selectorIj11FixedVectorIiLj8EEEEZZNS1_16scan_by_key_implILNS1_25lookback_scan_determinismE0ELb0ES3_N6thrust23THRUST_200600_302600_NS6detail15normal_iteratorINSB_10device_ptrIjEEEENSD_INSE_IS6_EEEESI_S6_NSB_4plusIvEENSB_8equal_toIvEES6_EE10hipError_tPvRmT2_T3_T4_T5_mT6_T7_P12ihipStream_tbENKUlT_T0_E_clISt17integral_constantIbLb1EES13_EEDaSY_SZ_EUlSY_E_NS1_11comp_targetILNS1_3genE10ELNS1_11target_archE1201ELNS1_3gpuE5ELNS1_3repE0EEENS1_30default_config_static_selectorELNS0_4arch9wavefront6targetE0EEEvT1_.num_vgpr, 0
	.set _ZN7rocprim17ROCPRIM_400000_NS6detail17trampoline_kernelINS0_14default_configENS1_27scan_by_key_config_selectorIj11FixedVectorIiLj8EEEEZZNS1_16scan_by_key_implILNS1_25lookback_scan_determinismE0ELb0ES3_N6thrust23THRUST_200600_302600_NS6detail15normal_iteratorINSB_10device_ptrIjEEEENSD_INSE_IS6_EEEESI_S6_NSB_4plusIvEENSB_8equal_toIvEES6_EE10hipError_tPvRmT2_T3_T4_T5_mT6_T7_P12ihipStream_tbENKUlT_T0_E_clISt17integral_constantIbLb1EES13_EEDaSY_SZ_EUlSY_E_NS1_11comp_targetILNS1_3genE10ELNS1_11target_archE1201ELNS1_3gpuE5ELNS1_3repE0EEENS1_30default_config_static_selectorELNS0_4arch9wavefront6targetE0EEEvT1_.num_agpr, 0
	.set _ZN7rocprim17ROCPRIM_400000_NS6detail17trampoline_kernelINS0_14default_configENS1_27scan_by_key_config_selectorIj11FixedVectorIiLj8EEEEZZNS1_16scan_by_key_implILNS1_25lookback_scan_determinismE0ELb0ES3_N6thrust23THRUST_200600_302600_NS6detail15normal_iteratorINSB_10device_ptrIjEEEENSD_INSE_IS6_EEEESI_S6_NSB_4plusIvEENSB_8equal_toIvEES6_EE10hipError_tPvRmT2_T3_T4_T5_mT6_T7_P12ihipStream_tbENKUlT_T0_E_clISt17integral_constantIbLb1EES13_EEDaSY_SZ_EUlSY_E_NS1_11comp_targetILNS1_3genE10ELNS1_11target_archE1201ELNS1_3gpuE5ELNS1_3repE0EEENS1_30default_config_static_selectorELNS0_4arch9wavefront6targetE0EEEvT1_.numbered_sgpr, 0
	.set _ZN7rocprim17ROCPRIM_400000_NS6detail17trampoline_kernelINS0_14default_configENS1_27scan_by_key_config_selectorIj11FixedVectorIiLj8EEEEZZNS1_16scan_by_key_implILNS1_25lookback_scan_determinismE0ELb0ES3_N6thrust23THRUST_200600_302600_NS6detail15normal_iteratorINSB_10device_ptrIjEEEENSD_INSE_IS6_EEEESI_S6_NSB_4plusIvEENSB_8equal_toIvEES6_EE10hipError_tPvRmT2_T3_T4_T5_mT6_T7_P12ihipStream_tbENKUlT_T0_E_clISt17integral_constantIbLb1EES13_EEDaSY_SZ_EUlSY_E_NS1_11comp_targetILNS1_3genE10ELNS1_11target_archE1201ELNS1_3gpuE5ELNS1_3repE0EEENS1_30default_config_static_selectorELNS0_4arch9wavefront6targetE0EEEvT1_.num_named_barrier, 0
	.set _ZN7rocprim17ROCPRIM_400000_NS6detail17trampoline_kernelINS0_14default_configENS1_27scan_by_key_config_selectorIj11FixedVectorIiLj8EEEEZZNS1_16scan_by_key_implILNS1_25lookback_scan_determinismE0ELb0ES3_N6thrust23THRUST_200600_302600_NS6detail15normal_iteratorINSB_10device_ptrIjEEEENSD_INSE_IS6_EEEESI_S6_NSB_4plusIvEENSB_8equal_toIvEES6_EE10hipError_tPvRmT2_T3_T4_T5_mT6_T7_P12ihipStream_tbENKUlT_T0_E_clISt17integral_constantIbLb1EES13_EEDaSY_SZ_EUlSY_E_NS1_11comp_targetILNS1_3genE10ELNS1_11target_archE1201ELNS1_3gpuE5ELNS1_3repE0EEENS1_30default_config_static_selectorELNS0_4arch9wavefront6targetE0EEEvT1_.private_seg_size, 0
	.set _ZN7rocprim17ROCPRIM_400000_NS6detail17trampoline_kernelINS0_14default_configENS1_27scan_by_key_config_selectorIj11FixedVectorIiLj8EEEEZZNS1_16scan_by_key_implILNS1_25lookback_scan_determinismE0ELb0ES3_N6thrust23THRUST_200600_302600_NS6detail15normal_iteratorINSB_10device_ptrIjEEEENSD_INSE_IS6_EEEESI_S6_NSB_4plusIvEENSB_8equal_toIvEES6_EE10hipError_tPvRmT2_T3_T4_T5_mT6_T7_P12ihipStream_tbENKUlT_T0_E_clISt17integral_constantIbLb1EES13_EEDaSY_SZ_EUlSY_E_NS1_11comp_targetILNS1_3genE10ELNS1_11target_archE1201ELNS1_3gpuE5ELNS1_3repE0EEENS1_30default_config_static_selectorELNS0_4arch9wavefront6targetE0EEEvT1_.uses_vcc, 0
	.set _ZN7rocprim17ROCPRIM_400000_NS6detail17trampoline_kernelINS0_14default_configENS1_27scan_by_key_config_selectorIj11FixedVectorIiLj8EEEEZZNS1_16scan_by_key_implILNS1_25lookback_scan_determinismE0ELb0ES3_N6thrust23THRUST_200600_302600_NS6detail15normal_iteratorINSB_10device_ptrIjEEEENSD_INSE_IS6_EEEESI_S6_NSB_4plusIvEENSB_8equal_toIvEES6_EE10hipError_tPvRmT2_T3_T4_T5_mT6_T7_P12ihipStream_tbENKUlT_T0_E_clISt17integral_constantIbLb1EES13_EEDaSY_SZ_EUlSY_E_NS1_11comp_targetILNS1_3genE10ELNS1_11target_archE1201ELNS1_3gpuE5ELNS1_3repE0EEENS1_30default_config_static_selectorELNS0_4arch9wavefront6targetE0EEEvT1_.uses_flat_scratch, 0
	.set _ZN7rocprim17ROCPRIM_400000_NS6detail17trampoline_kernelINS0_14default_configENS1_27scan_by_key_config_selectorIj11FixedVectorIiLj8EEEEZZNS1_16scan_by_key_implILNS1_25lookback_scan_determinismE0ELb0ES3_N6thrust23THRUST_200600_302600_NS6detail15normal_iteratorINSB_10device_ptrIjEEEENSD_INSE_IS6_EEEESI_S6_NSB_4plusIvEENSB_8equal_toIvEES6_EE10hipError_tPvRmT2_T3_T4_T5_mT6_T7_P12ihipStream_tbENKUlT_T0_E_clISt17integral_constantIbLb1EES13_EEDaSY_SZ_EUlSY_E_NS1_11comp_targetILNS1_3genE10ELNS1_11target_archE1201ELNS1_3gpuE5ELNS1_3repE0EEENS1_30default_config_static_selectorELNS0_4arch9wavefront6targetE0EEEvT1_.has_dyn_sized_stack, 0
	.set _ZN7rocprim17ROCPRIM_400000_NS6detail17trampoline_kernelINS0_14default_configENS1_27scan_by_key_config_selectorIj11FixedVectorIiLj8EEEEZZNS1_16scan_by_key_implILNS1_25lookback_scan_determinismE0ELb0ES3_N6thrust23THRUST_200600_302600_NS6detail15normal_iteratorINSB_10device_ptrIjEEEENSD_INSE_IS6_EEEESI_S6_NSB_4plusIvEENSB_8equal_toIvEES6_EE10hipError_tPvRmT2_T3_T4_T5_mT6_T7_P12ihipStream_tbENKUlT_T0_E_clISt17integral_constantIbLb1EES13_EEDaSY_SZ_EUlSY_E_NS1_11comp_targetILNS1_3genE10ELNS1_11target_archE1201ELNS1_3gpuE5ELNS1_3repE0EEENS1_30default_config_static_selectorELNS0_4arch9wavefront6targetE0EEEvT1_.has_recursion, 0
	.set _ZN7rocprim17ROCPRIM_400000_NS6detail17trampoline_kernelINS0_14default_configENS1_27scan_by_key_config_selectorIj11FixedVectorIiLj8EEEEZZNS1_16scan_by_key_implILNS1_25lookback_scan_determinismE0ELb0ES3_N6thrust23THRUST_200600_302600_NS6detail15normal_iteratorINSB_10device_ptrIjEEEENSD_INSE_IS6_EEEESI_S6_NSB_4plusIvEENSB_8equal_toIvEES6_EE10hipError_tPvRmT2_T3_T4_T5_mT6_T7_P12ihipStream_tbENKUlT_T0_E_clISt17integral_constantIbLb1EES13_EEDaSY_SZ_EUlSY_E_NS1_11comp_targetILNS1_3genE10ELNS1_11target_archE1201ELNS1_3gpuE5ELNS1_3repE0EEENS1_30default_config_static_selectorELNS0_4arch9wavefront6targetE0EEEvT1_.has_indirect_call, 0
	.section	.AMDGPU.csdata,"",@progbits
; Kernel info:
; codeLenInByte = 0
; TotalNumSgprs: 0
; NumVgprs: 0
; ScratchSize: 0
; MemoryBound: 0
; FloatMode: 240
; IeeeMode: 1
; LDSByteSize: 0 bytes/workgroup (compile time only)
; SGPRBlocks: 0
; VGPRBlocks: 0
; NumSGPRsForWavesPerEU: 1
; NumVGPRsForWavesPerEU: 1
; Occupancy: 16
; WaveLimiterHint : 0
; COMPUTE_PGM_RSRC2:SCRATCH_EN: 0
; COMPUTE_PGM_RSRC2:USER_SGPR: 6
; COMPUTE_PGM_RSRC2:TRAP_HANDLER: 0
; COMPUTE_PGM_RSRC2:TGID_X_EN: 1
; COMPUTE_PGM_RSRC2:TGID_Y_EN: 0
; COMPUTE_PGM_RSRC2:TGID_Z_EN: 0
; COMPUTE_PGM_RSRC2:TIDIG_COMP_CNT: 0
	.section	.text._ZN7rocprim17ROCPRIM_400000_NS6detail17trampoline_kernelINS0_14default_configENS1_27scan_by_key_config_selectorIj11FixedVectorIiLj8EEEEZZNS1_16scan_by_key_implILNS1_25lookback_scan_determinismE0ELb0ES3_N6thrust23THRUST_200600_302600_NS6detail15normal_iteratorINSB_10device_ptrIjEEEENSD_INSE_IS6_EEEESI_S6_NSB_4plusIvEENSB_8equal_toIvEES6_EE10hipError_tPvRmT2_T3_T4_T5_mT6_T7_P12ihipStream_tbENKUlT_T0_E_clISt17integral_constantIbLb1EES13_EEDaSY_SZ_EUlSY_E_NS1_11comp_targetILNS1_3genE5ELNS1_11target_archE942ELNS1_3gpuE9ELNS1_3repE0EEENS1_30default_config_static_selectorELNS0_4arch9wavefront6targetE0EEEvT1_,"axG",@progbits,_ZN7rocprim17ROCPRIM_400000_NS6detail17trampoline_kernelINS0_14default_configENS1_27scan_by_key_config_selectorIj11FixedVectorIiLj8EEEEZZNS1_16scan_by_key_implILNS1_25lookback_scan_determinismE0ELb0ES3_N6thrust23THRUST_200600_302600_NS6detail15normal_iteratorINSB_10device_ptrIjEEEENSD_INSE_IS6_EEEESI_S6_NSB_4plusIvEENSB_8equal_toIvEES6_EE10hipError_tPvRmT2_T3_T4_T5_mT6_T7_P12ihipStream_tbENKUlT_T0_E_clISt17integral_constantIbLb1EES13_EEDaSY_SZ_EUlSY_E_NS1_11comp_targetILNS1_3genE5ELNS1_11target_archE942ELNS1_3gpuE9ELNS1_3repE0EEENS1_30default_config_static_selectorELNS0_4arch9wavefront6targetE0EEEvT1_,comdat
	.protected	_ZN7rocprim17ROCPRIM_400000_NS6detail17trampoline_kernelINS0_14default_configENS1_27scan_by_key_config_selectorIj11FixedVectorIiLj8EEEEZZNS1_16scan_by_key_implILNS1_25lookback_scan_determinismE0ELb0ES3_N6thrust23THRUST_200600_302600_NS6detail15normal_iteratorINSB_10device_ptrIjEEEENSD_INSE_IS6_EEEESI_S6_NSB_4plusIvEENSB_8equal_toIvEES6_EE10hipError_tPvRmT2_T3_T4_T5_mT6_T7_P12ihipStream_tbENKUlT_T0_E_clISt17integral_constantIbLb1EES13_EEDaSY_SZ_EUlSY_E_NS1_11comp_targetILNS1_3genE5ELNS1_11target_archE942ELNS1_3gpuE9ELNS1_3repE0EEENS1_30default_config_static_selectorELNS0_4arch9wavefront6targetE0EEEvT1_ ; -- Begin function _ZN7rocprim17ROCPRIM_400000_NS6detail17trampoline_kernelINS0_14default_configENS1_27scan_by_key_config_selectorIj11FixedVectorIiLj8EEEEZZNS1_16scan_by_key_implILNS1_25lookback_scan_determinismE0ELb0ES3_N6thrust23THRUST_200600_302600_NS6detail15normal_iteratorINSB_10device_ptrIjEEEENSD_INSE_IS6_EEEESI_S6_NSB_4plusIvEENSB_8equal_toIvEES6_EE10hipError_tPvRmT2_T3_T4_T5_mT6_T7_P12ihipStream_tbENKUlT_T0_E_clISt17integral_constantIbLb1EES13_EEDaSY_SZ_EUlSY_E_NS1_11comp_targetILNS1_3genE5ELNS1_11target_archE942ELNS1_3gpuE9ELNS1_3repE0EEENS1_30default_config_static_selectorELNS0_4arch9wavefront6targetE0EEEvT1_
	.globl	_ZN7rocprim17ROCPRIM_400000_NS6detail17trampoline_kernelINS0_14default_configENS1_27scan_by_key_config_selectorIj11FixedVectorIiLj8EEEEZZNS1_16scan_by_key_implILNS1_25lookback_scan_determinismE0ELb0ES3_N6thrust23THRUST_200600_302600_NS6detail15normal_iteratorINSB_10device_ptrIjEEEENSD_INSE_IS6_EEEESI_S6_NSB_4plusIvEENSB_8equal_toIvEES6_EE10hipError_tPvRmT2_T3_T4_T5_mT6_T7_P12ihipStream_tbENKUlT_T0_E_clISt17integral_constantIbLb1EES13_EEDaSY_SZ_EUlSY_E_NS1_11comp_targetILNS1_3genE5ELNS1_11target_archE942ELNS1_3gpuE9ELNS1_3repE0EEENS1_30default_config_static_selectorELNS0_4arch9wavefront6targetE0EEEvT1_
	.p2align	8
	.type	_ZN7rocprim17ROCPRIM_400000_NS6detail17trampoline_kernelINS0_14default_configENS1_27scan_by_key_config_selectorIj11FixedVectorIiLj8EEEEZZNS1_16scan_by_key_implILNS1_25lookback_scan_determinismE0ELb0ES3_N6thrust23THRUST_200600_302600_NS6detail15normal_iteratorINSB_10device_ptrIjEEEENSD_INSE_IS6_EEEESI_S6_NSB_4plusIvEENSB_8equal_toIvEES6_EE10hipError_tPvRmT2_T3_T4_T5_mT6_T7_P12ihipStream_tbENKUlT_T0_E_clISt17integral_constantIbLb1EES13_EEDaSY_SZ_EUlSY_E_NS1_11comp_targetILNS1_3genE5ELNS1_11target_archE942ELNS1_3gpuE9ELNS1_3repE0EEENS1_30default_config_static_selectorELNS0_4arch9wavefront6targetE0EEEvT1_,@function
_ZN7rocprim17ROCPRIM_400000_NS6detail17trampoline_kernelINS0_14default_configENS1_27scan_by_key_config_selectorIj11FixedVectorIiLj8EEEEZZNS1_16scan_by_key_implILNS1_25lookback_scan_determinismE0ELb0ES3_N6thrust23THRUST_200600_302600_NS6detail15normal_iteratorINSB_10device_ptrIjEEEENSD_INSE_IS6_EEEESI_S6_NSB_4plusIvEENSB_8equal_toIvEES6_EE10hipError_tPvRmT2_T3_T4_T5_mT6_T7_P12ihipStream_tbENKUlT_T0_E_clISt17integral_constantIbLb1EES13_EEDaSY_SZ_EUlSY_E_NS1_11comp_targetILNS1_3genE5ELNS1_11target_archE942ELNS1_3gpuE9ELNS1_3repE0EEENS1_30default_config_static_selectorELNS0_4arch9wavefront6targetE0EEEvT1_: ; @_ZN7rocprim17ROCPRIM_400000_NS6detail17trampoline_kernelINS0_14default_configENS1_27scan_by_key_config_selectorIj11FixedVectorIiLj8EEEEZZNS1_16scan_by_key_implILNS1_25lookback_scan_determinismE0ELb0ES3_N6thrust23THRUST_200600_302600_NS6detail15normal_iteratorINSB_10device_ptrIjEEEENSD_INSE_IS6_EEEESI_S6_NSB_4plusIvEENSB_8equal_toIvEES6_EE10hipError_tPvRmT2_T3_T4_T5_mT6_T7_P12ihipStream_tbENKUlT_T0_E_clISt17integral_constantIbLb1EES13_EEDaSY_SZ_EUlSY_E_NS1_11comp_targetILNS1_3genE5ELNS1_11target_archE942ELNS1_3gpuE9ELNS1_3repE0EEENS1_30default_config_static_selectorELNS0_4arch9wavefront6targetE0EEEvT1_
; %bb.0:
	.section	.rodata,"a",@progbits
	.p2align	6, 0x0
	.amdhsa_kernel _ZN7rocprim17ROCPRIM_400000_NS6detail17trampoline_kernelINS0_14default_configENS1_27scan_by_key_config_selectorIj11FixedVectorIiLj8EEEEZZNS1_16scan_by_key_implILNS1_25lookback_scan_determinismE0ELb0ES3_N6thrust23THRUST_200600_302600_NS6detail15normal_iteratorINSB_10device_ptrIjEEEENSD_INSE_IS6_EEEESI_S6_NSB_4plusIvEENSB_8equal_toIvEES6_EE10hipError_tPvRmT2_T3_T4_T5_mT6_T7_P12ihipStream_tbENKUlT_T0_E_clISt17integral_constantIbLb1EES13_EEDaSY_SZ_EUlSY_E_NS1_11comp_targetILNS1_3genE5ELNS1_11target_archE942ELNS1_3gpuE9ELNS1_3repE0EEENS1_30default_config_static_selectorELNS0_4arch9wavefront6targetE0EEEvT1_
		.amdhsa_group_segment_fixed_size 0
		.amdhsa_private_segment_fixed_size 0
		.amdhsa_kernarg_size 160
		.amdhsa_user_sgpr_count 6
		.amdhsa_user_sgpr_private_segment_buffer 1
		.amdhsa_user_sgpr_dispatch_ptr 0
		.amdhsa_user_sgpr_queue_ptr 0
		.amdhsa_user_sgpr_kernarg_segment_ptr 1
		.amdhsa_user_sgpr_dispatch_id 0
		.amdhsa_user_sgpr_flat_scratch_init 0
		.amdhsa_user_sgpr_private_segment_size 0
		.amdhsa_wavefront_size32 1
		.amdhsa_uses_dynamic_stack 0
		.amdhsa_system_sgpr_private_segment_wavefront_offset 0
		.amdhsa_system_sgpr_workgroup_id_x 1
		.amdhsa_system_sgpr_workgroup_id_y 0
		.amdhsa_system_sgpr_workgroup_id_z 0
		.amdhsa_system_sgpr_workgroup_info 0
		.amdhsa_system_vgpr_workitem_id 0
		.amdhsa_next_free_vgpr 1
		.amdhsa_next_free_sgpr 1
		.amdhsa_reserve_vcc 0
		.amdhsa_reserve_flat_scratch 0
		.amdhsa_float_round_mode_32 0
		.amdhsa_float_round_mode_16_64 0
		.amdhsa_float_denorm_mode_32 3
		.amdhsa_float_denorm_mode_16_64 3
		.amdhsa_dx10_clamp 1
		.amdhsa_ieee_mode 1
		.amdhsa_fp16_overflow 0
		.amdhsa_workgroup_processor_mode 1
		.amdhsa_memory_ordered 1
		.amdhsa_forward_progress 1
		.amdhsa_shared_vgpr_count 0
		.amdhsa_exception_fp_ieee_invalid_op 0
		.amdhsa_exception_fp_denorm_src 0
		.amdhsa_exception_fp_ieee_div_zero 0
		.amdhsa_exception_fp_ieee_overflow 0
		.amdhsa_exception_fp_ieee_underflow 0
		.amdhsa_exception_fp_ieee_inexact 0
		.amdhsa_exception_int_div_zero 0
	.end_amdhsa_kernel
	.section	.text._ZN7rocprim17ROCPRIM_400000_NS6detail17trampoline_kernelINS0_14default_configENS1_27scan_by_key_config_selectorIj11FixedVectorIiLj8EEEEZZNS1_16scan_by_key_implILNS1_25lookback_scan_determinismE0ELb0ES3_N6thrust23THRUST_200600_302600_NS6detail15normal_iteratorINSB_10device_ptrIjEEEENSD_INSE_IS6_EEEESI_S6_NSB_4plusIvEENSB_8equal_toIvEES6_EE10hipError_tPvRmT2_T3_T4_T5_mT6_T7_P12ihipStream_tbENKUlT_T0_E_clISt17integral_constantIbLb1EES13_EEDaSY_SZ_EUlSY_E_NS1_11comp_targetILNS1_3genE5ELNS1_11target_archE942ELNS1_3gpuE9ELNS1_3repE0EEENS1_30default_config_static_selectorELNS0_4arch9wavefront6targetE0EEEvT1_,"axG",@progbits,_ZN7rocprim17ROCPRIM_400000_NS6detail17trampoline_kernelINS0_14default_configENS1_27scan_by_key_config_selectorIj11FixedVectorIiLj8EEEEZZNS1_16scan_by_key_implILNS1_25lookback_scan_determinismE0ELb0ES3_N6thrust23THRUST_200600_302600_NS6detail15normal_iteratorINSB_10device_ptrIjEEEENSD_INSE_IS6_EEEESI_S6_NSB_4plusIvEENSB_8equal_toIvEES6_EE10hipError_tPvRmT2_T3_T4_T5_mT6_T7_P12ihipStream_tbENKUlT_T0_E_clISt17integral_constantIbLb1EES13_EEDaSY_SZ_EUlSY_E_NS1_11comp_targetILNS1_3genE5ELNS1_11target_archE942ELNS1_3gpuE9ELNS1_3repE0EEENS1_30default_config_static_selectorELNS0_4arch9wavefront6targetE0EEEvT1_,comdat
.Lfunc_end2128:
	.size	_ZN7rocprim17ROCPRIM_400000_NS6detail17trampoline_kernelINS0_14default_configENS1_27scan_by_key_config_selectorIj11FixedVectorIiLj8EEEEZZNS1_16scan_by_key_implILNS1_25lookback_scan_determinismE0ELb0ES3_N6thrust23THRUST_200600_302600_NS6detail15normal_iteratorINSB_10device_ptrIjEEEENSD_INSE_IS6_EEEESI_S6_NSB_4plusIvEENSB_8equal_toIvEES6_EE10hipError_tPvRmT2_T3_T4_T5_mT6_T7_P12ihipStream_tbENKUlT_T0_E_clISt17integral_constantIbLb1EES13_EEDaSY_SZ_EUlSY_E_NS1_11comp_targetILNS1_3genE5ELNS1_11target_archE942ELNS1_3gpuE9ELNS1_3repE0EEENS1_30default_config_static_selectorELNS0_4arch9wavefront6targetE0EEEvT1_, .Lfunc_end2128-_ZN7rocprim17ROCPRIM_400000_NS6detail17trampoline_kernelINS0_14default_configENS1_27scan_by_key_config_selectorIj11FixedVectorIiLj8EEEEZZNS1_16scan_by_key_implILNS1_25lookback_scan_determinismE0ELb0ES3_N6thrust23THRUST_200600_302600_NS6detail15normal_iteratorINSB_10device_ptrIjEEEENSD_INSE_IS6_EEEESI_S6_NSB_4plusIvEENSB_8equal_toIvEES6_EE10hipError_tPvRmT2_T3_T4_T5_mT6_T7_P12ihipStream_tbENKUlT_T0_E_clISt17integral_constantIbLb1EES13_EEDaSY_SZ_EUlSY_E_NS1_11comp_targetILNS1_3genE5ELNS1_11target_archE942ELNS1_3gpuE9ELNS1_3repE0EEENS1_30default_config_static_selectorELNS0_4arch9wavefront6targetE0EEEvT1_
                                        ; -- End function
	.set _ZN7rocprim17ROCPRIM_400000_NS6detail17trampoline_kernelINS0_14default_configENS1_27scan_by_key_config_selectorIj11FixedVectorIiLj8EEEEZZNS1_16scan_by_key_implILNS1_25lookback_scan_determinismE0ELb0ES3_N6thrust23THRUST_200600_302600_NS6detail15normal_iteratorINSB_10device_ptrIjEEEENSD_INSE_IS6_EEEESI_S6_NSB_4plusIvEENSB_8equal_toIvEES6_EE10hipError_tPvRmT2_T3_T4_T5_mT6_T7_P12ihipStream_tbENKUlT_T0_E_clISt17integral_constantIbLb1EES13_EEDaSY_SZ_EUlSY_E_NS1_11comp_targetILNS1_3genE5ELNS1_11target_archE942ELNS1_3gpuE9ELNS1_3repE0EEENS1_30default_config_static_selectorELNS0_4arch9wavefront6targetE0EEEvT1_.num_vgpr, 0
	.set _ZN7rocprim17ROCPRIM_400000_NS6detail17trampoline_kernelINS0_14default_configENS1_27scan_by_key_config_selectorIj11FixedVectorIiLj8EEEEZZNS1_16scan_by_key_implILNS1_25lookback_scan_determinismE0ELb0ES3_N6thrust23THRUST_200600_302600_NS6detail15normal_iteratorINSB_10device_ptrIjEEEENSD_INSE_IS6_EEEESI_S6_NSB_4plusIvEENSB_8equal_toIvEES6_EE10hipError_tPvRmT2_T3_T4_T5_mT6_T7_P12ihipStream_tbENKUlT_T0_E_clISt17integral_constantIbLb1EES13_EEDaSY_SZ_EUlSY_E_NS1_11comp_targetILNS1_3genE5ELNS1_11target_archE942ELNS1_3gpuE9ELNS1_3repE0EEENS1_30default_config_static_selectorELNS0_4arch9wavefront6targetE0EEEvT1_.num_agpr, 0
	.set _ZN7rocprim17ROCPRIM_400000_NS6detail17trampoline_kernelINS0_14default_configENS1_27scan_by_key_config_selectorIj11FixedVectorIiLj8EEEEZZNS1_16scan_by_key_implILNS1_25lookback_scan_determinismE0ELb0ES3_N6thrust23THRUST_200600_302600_NS6detail15normal_iteratorINSB_10device_ptrIjEEEENSD_INSE_IS6_EEEESI_S6_NSB_4plusIvEENSB_8equal_toIvEES6_EE10hipError_tPvRmT2_T3_T4_T5_mT6_T7_P12ihipStream_tbENKUlT_T0_E_clISt17integral_constantIbLb1EES13_EEDaSY_SZ_EUlSY_E_NS1_11comp_targetILNS1_3genE5ELNS1_11target_archE942ELNS1_3gpuE9ELNS1_3repE0EEENS1_30default_config_static_selectorELNS0_4arch9wavefront6targetE0EEEvT1_.numbered_sgpr, 0
	.set _ZN7rocprim17ROCPRIM_400000_NS6detail17trampoline_kernelINS0_14default_configENS1_27scan_by_key_config_selectorIj11FixedVectorIiLj8EEEEZZNS1_16scan_by_key_implILNS1_25lookback_scan_determinismE0ELb0ES3_N6thrust23THRUST_200600_302600_NS6detail15normal_iteratorINSB_10device_ptrIjEEEENSD_INSE_IS6_EEEESI_S6_NSB_4plusIvEENSB_8equal_toIvEES6_EE10hipError_tPvRmT2_T3_T4_T5_mT6_T7_P12ihipStream_tbENKUlT_T0_E_clISt17integral_constantIbLb1EES13_EEDaSY_SZ_EUlSY_E_NS1_11comp_targetILNS1_3genE5ELNS1_11target_archE942ELNS1_3gpuE9ELNS1_3repE0EEENS1_30default_config_static_selectorELNS0_4arch9wavefront6targetE0EEEvT1_.num_named_barrier, 0
	.set _ZN7rocprim17ROCPRIM_400000_NS6detail17trampoline_kernelINS0_14default_configENS1_27scan_by_key_config_selectorIj11FixedVectorIiLj8EEEEZZNS1_16scan_by_key_implILNS1_25lookback_scan_determinismE0ELb0ES3_N6thrust23THRUST_200600_302600_NS6detail15normal_iteratorINSB_10device_ptrIjEEEENSD_INSE_IS6_EEEESI_S6_NSB_4plusIvEENSB_8equal_toIvEES6_EE10hipError_tPvRmT2_T3_T4_T5_mT6_T7_P12ihipStream_tbENKUlT_T0_E_clISt17integral_constantIbLb1EES13_EEDaSY_SZ_EUlSY_E_NS1_11comp_targetILNS1_3genE5ELNS1_11target_archE942ELNS1_3gpuE9ELNS1_3repE0EEENS1_30default_config_static_selectorELNS0_4arch9wavefront6targetE0EEEvT1_.private_seg_size, 0
	.set _ZN7rocprim17ROCPRIM_400000_NS6detail17trampoline_kernelINS0_14default_configENS1_27scan_by_key_config_selectorIj11FixedVectorIiLj8EEEEZZNS1_16scan_by_key_implILNS1_25lookback_scan_determinismE0ELb0ES3_N6thrust23THRUST_200600_302600_NS6detail15normal_iteratorINSB_10device_ptrIjEEEENSD_INSE_IS6_EEEESI_S6_NSB_4plusIvEENSB_8equal_toIvEES6_EE10hipError_tPvRmT2_T3_T4_T5_mT6_T7_P12ihipStream_tbENKUlT_T0_E_clISt17integral_constantIbLb1EES13_EEDaSY_SZ_EUlSY_E_NS1_11comp_targetILNS1_3genE5ELNS1_11target_archE942ELNS1_3gpuE9ELNS1_3repE0EEENS1_30default_config_static_selectorELNS0_4arch9wavefront6targetE0EEEvT1_.uses_vcc, 0
	.set _ZN7rocprim17ROCPRIM_400000_NS6detail17trampoline_kernelINS0_14default_configENS1_27scan_by_key_config_selectorIj11FixedVectorIiLj8EEEEZZNS1_16scan_by_key_implILNS1_25lookback_scan_determinismE0ELb0ES3_N6thrust23THRUST_200600_302600_NS6detail15normal_iteratorINSB_10device_ptrIjEEEENSD_INSE_IS6_EEEESI_S6_NSB_4plusIvEENSB_8equal_toIvEES6_EE10hipError_tPvRmT2_T3_T4_T5_mT6_T7_P12ihipStream_tbENKUlT_T0_E_clISt17integral_constantIbLb1EES13_EEDaSY_SZ_EUlSY_E_NS1_11comp_targetILNS1_3genE5ELNS1_11target_archE942ELNS1_3gpuE9ELNS1_3repE0EEENS1_30default_config_static_selectorELNS0_4arch9wavefront6targetE0EEEvT1_.uses_flat_scratch, 0
	.set _ZN7rocprim17ROCPRIM_400000_NS6detail17trampoline_kernelINS0_14default_configENS1_27scan_by_key_config_selectorIj11FixedVectorIiLj8EEEEZZNS1_16scan_by_key_implILNS1_25lookback_scan_determinismE0ELb0ES3_N6thrust23THRUST_200600_302600_NS6detail15normal_iteratorINSB_10device_ptrIjEEEENSD_INSE_IS6_EEEESI_S6_NSB_4plusIvEENSB_8equal_toIvEES6_EE10hipError_tPvRmT2_T3_T4_T5_mT6_T7_P12ihipStream_tbENKUlT_T0_E_clISt17integral_constantIbLb1EES13_EEDaSY_SZ_EUlSY_E_NS1_11comp_targetILNS1_3genE5ELNS1_11target_archE942ELNS1_3gpuE9ELNS1_3repE0EEENS1_30default_config_static_selectorELNS0_4arch9wavefront6targetE0EEEvT1_.has_dyn_sized_stack, 0
	.set _ZN7rocprim17ROCPRIM_400000_NS6detail17trampoline_kernelINS0_14default_configENS1_27scan_by_key_config_selectorIj11FixedVectorIiLj8EEEEZZNS1_16scan_by_key_implILNS1_25lookback_scan_determinismE0ELb0ES3_N6thrust23THRUST_200600_302600_NS6detail15normal_iteratorINSB_10device_ptrIjEEEENSD_INSE_IS6_EEEESI_S6_NSB_4plusIvEENSB_8equal_toIvEES6_EE10hipError_tPvRmT2_T3_T4_T5_mT6_T7_P12ihipStream_tbENKUlT_T0_E_clISt17integral_constantIbLb1EES13_EEDaSY_SZ_EUlSY_E_NS1_11comp_targetILNS1_3genE5ELNS1_11target_archE942ELNS1_3gpuE9ELNS1_3repE0EEENS1_30default_config_static_selectorELNS0_4arch9wavefront6targetE0EEEvT1_.has_recursion, 0
	.set _ZN7rocprim17ROCPRIM_400000_NS6detail17trampoline_kernelINS0_14default_configENS1_27scan_by_key_config_selectorIj11FixedVectorIiLj8EEEEZZNS1_16scan_by_key_implILNS1_25lookback_scan_determinismE0ELb0ES3_N6thrust23THRUST_200600_302600_NS6detail15normal_iteratorINSB_10device_ptrIjEEEENSD_INSE_IS6_EEEESI_S6_NSB_4plusIvEENSB_8equal_toIvEES6_EE10hipError_tPvRmT2_T3_T4_T5_mT6_T7_P12ihipStream_tbENKUlT_T0_E_clISt17integral_constantIbLb1EES13_EEDaSY_SZ_EUlSY_E_NS1_11comp_targetILNS1_3genE5ELNS1_11target_archE942ELNS1_3gpuE9ELNS1_3repE0EEENS1_30default_config_static_selectorELNS0_4arch9wavefront6targetE0EEEvT1_.has_indirect_call, 0
	.section	.AMDGPU.csdata,"",@progbits
; Kernel info:
; codeLenInByte = 0
; TotalNumSgprs: 0
; NumVgprs: 0
; ScratchSize: 0
; MemoryBound: 0
; FloatMode: 240
; IeeeMode: 1
; LDSByteSize: 0 bytes/workgroup (compile time only)
; SGPRBlocks: 0
; VGPRBlocks: 0
; NumSGPRsForWavesPerEU: 1
; NumVGPRsForWavesPerEU: 1
; Occupancy: 16
; WaveLimiterHint : 0
; COMPUTE_PGM_RSRC2:SCRATCH_EN: 0
; COMPUTE_PGM_RSRC2:USER_SGPR: 6
; COMPUTE_PGM_RSRC2:TRAP_HANDLER: 0
; COMPUTE_PGM_RSRC2:TGID_X_EN: 1
; COMPUTE_PGM_RSRC2:TGID_Y_EN: 0
; COMPUTE_PGM_RSRC2:TGID_Z_EN: 0
; COMPUTE_PGM_RSRC2:TIDIG_COMP_CNT: 0
	.section	.text._ZN7rocprim17ROCPRIM_400000_NS6detail17trampoline_kernelINS0_14default_configENS1_27scan_by_key_config_selectorIj11FixedVectorIiLj8EEEEZZNS1_16scan_by_key_implILNS1_25lookback_scan_determinismE0ELb0ES3_N6thrust23THRUST_200600_302600_NS6detail15normal_iteratorINSB_10device_ptrIjEEEENSD_INSE_IS6_EEEESI_S6_NSB_4plusIvEENSB_8equal_toIvEES6_EE10hipError_tPvRmT2_T3_T4_T5_mT6_T7_P12ihipStream_tbENKUlT_T0_E_clISt17integral_constantIbLb1EES13_EEDaSY_SZ_EUlSY_E_NS1_11comp_targetILNS1_3genE4ELNS1_11target_archE910ELNS1_3gpuE8ELNS1_3repE0EEENS1_30default_config_static_selectorELNS0_4arch9wavefront6targetE0EEEvT1_,"axG",@progbits,_ZN7rocprim17ROCPRIM_400000_NS6detail17trampoline_kernelINS0_14default_configENS1_27scan_by_key_config_selectorIj11FixedVectorIiLj8EEEEZZNS1_16scan_by_key_implILNS1_25lookback_scan_determinismE0ELb0ES3_N6thrust23THRUST_200600_302600_NS6detail15normal_iteratorINSB_10device_ptrIjEEEENSD_INSE_IS6_EEEESI_S6_NSB_4plusIvEENSB_8equal_toIvEES6_EE10hipError_tPvRmT2_T3_T4_T5_mT6_T7_P12ihipStream_tbENKUlT_T0_E_clISt17integral_constantIbLb1EES13_EEDaSY_SZ_EUlSY_E_NS1_11comp_targetILNS1_3genE4ELNS1_11target_archE910ELNS1_3gpuE8ELNS1_3repE0EEENS1_30default_config_static_selectorELNS0_4arch9wavefront6targetE0EEEvT1_,comdat
	.protected	_ZN7rocprim17ROCPRIM_400000_NS6detail17trampoline_kernelINS0_14default_configENS1_27scan_by_key_config_selectorIj11FixedVectorIiLj8EEEEZZNS1_16scan_by_key_implILNS1_25lookback_scan_determinismE0ELb0ES3_N6thrust23THRUST_200600_302600_NS6detail15normal_iteratorINSB_10device_ptrIjEEEENSD_INSE_IS6_EEEESI_S6_NSB_4plusIvEENSB_8equal_toIvEES6_EE10hipError_tPvRmT2_T3_T4_T5_mT6_T7_P12ihipStream_tbENKUlT_T0_E_clISt17integral_constantIbLb1EES13_EEDaSY_SZ_EUlSY_E_NS1_11comp_targetILNS1_3genE4ELNS1_11target_archE910ELNS1_3gpuE8ELNS1_3repE0EEENS1_30default_config_static_selectorELNS0_4arch9wavefront6targetE0EEEvT1_ ; -- Begin function _ZN7rocprim17ROCPRIM_400000_NS6detail17trampoline_kernelINS0_14default_configENS1_27scan_by_key_config_selectorIj11FixedVectorIiLj8EEEEZZNS1_16scan_by_key_implILNS1_25lookback_scan_determinismE0ELb0ES3_N6thrust23THRUST_200600_302600_NS6detail15normal_iteratorINSB_10device_ptrIjEEEENSD_INSE_IS6_EEEESI_S6_NSB_4plusIvEENSB_8equal_toIvEES6_EE10hipError_tPvRmT2_T3_T4_T5_mT6_T7_P12ihipStream_tbENKUlT_T0_E_clISt17integral_constantIbLb1EES13_EEDaSY_SZ_EUlSY_E_NS1_11comp_targetILNS1_3genE4ELNS1_11target_archE910ELNS1_3gpuE8ELNS1_3repE0EEENS1_30default_config_static_selectorELNS0_4arch9wavefront6targetE0EEEvT1_
	.globl	_ZN7rocprim17ROCPRIM_400000_NS6detail17trampoline_kernelINS0_14default_configENS1_27scan_by_key_config_selectorIj11FixedVectorIiLj8EEEEZZNS1_16scan_by_key_implILNS1_25lookback_scan_determinismE0ELb0ES3_N6thrust23THRUST_200600_302600_NS6detail15normal_iteratorINSB_10device_ptrIjEEEENSD_INSE_IS6_EEEESI_S6_NSB_4plusIvEENSB_8equal_toIvEES6_EE10hipError_tPvRmT2_T3_T4_T5_mT6_T7_P12ihipStream_tbENKUlT_T0_E_clISt17integral_constantIbLb1EES13_EEDaSY_SZ_EUlSY_E_NS1_11comp_targetILNS1_3genE4ELNS1_11target_archE910ELNS1_3gpuE8ELNS1_3repE0EEENS1_30default_config_static_selectorELNS0_4arch9wavefront6targetE0EEEvT1_
	.p2align	8
	.type	_ZN7rocprim17ROCPRIM_400000_NS6detail17trampoline_kernelINS0_14default_configENS1_27scan_by_key_config_selectorIj11FixedVectorIiLj8EEEEZZNS1_16scan_by_key_implILNS1_25lookback_scan_determinismE0ELb0ES3_N6thrust23THRUST_200600_302600_NS6detail15normal_iteratorINSB_10device_ptrIjEEEENSD_INSE_IS6_EEEESI_S6_NSB_4plusIvEENSB_8equal_toIvEES6_EE10hipError_tPvRmT2_T3_T4_T5_mT6_T7_P12ihipStream_tbENKUlT_T0_E_clISt17integral_constantIbLb1EES13_EEDaSY_SZ_EUlSY_E_NS1_11comp_targetILNS1_3genE4ELNS1_11target_archE910ELNS1_3gpuE8ELNS1_3repE0EEENS1_30default_config_static_selectorELNS0_4arch9wavefront6targetE0EEEvT1_,@function
_ZN7rocprim17ROCPRIM_400000_NS6detail17trampoline_kernelINS0_14default_configENS1_27scan_by_key_config_selectorIj11FixedVectorIiLj8EEEEZZNS1_16scan_by_key_implILNS1_25lookback_scan_determinismE0ELb0ES3_N6thrust23THRUST_200600_302600_NS6detail15normal_iteratorINSB_10device_ptrIjEEEENSD_INSE_IS6_EEEESI_S6_NSB_4plusIvEENSB_8equal_toIvEES6_EE10hipError_tPvRmT2_T3_T4_T5_mT6_T7_P12ihipStream_tbENKUlT_T0_E_clISt17integral_constantIbLb1EES13_EEDaSY_SZ_EUlSY_E_NS1_11comp_targetILNS1_3genE4ELNS1_11target_archE910ELNS1_3gpuE8ELNS1_3repE0EEENS1_30default_config_static_selectorELNS0_4arch9wavefront6targetE0EEEvT1_: ; @_ZN7rocprim17ROCPRIM_400000_NS6detail17trampoline_kernelINS0_14default_configENS1_27scan_by_key_config_selectorIj11FixedVectorIiLj8EEEEZZNS1_16scan_by_key_implILNS1_25lookback_scan_determinismE0ELb0ES3_N6thrust23THRUST_200600_302600_NS6detail15normal_iteratorINSB_10device_ptrIjEEEENSD_INSE_IS6_EEEESI_S6_NSB_4plusIvEENSB_8equal_toIvEES6_EE10hipError_tPvRmT2_T3_T4_T5_mT6_T7_P12ihipStream_tbENKUlT_T0_E_clISt17integral_constantIbLb1EES13_EEDaSY_SZ_EUlSY_E_NS1_11comp_targetILNS1_3genE4ELNS1_11target_archE910ELNS1_3gpuE8ELNS1_3repE0EEENS1_30default_config_static_selectorELNS0_4arch9wavefront6targetE0EEEvT1_
; %bb.0:
	.section	.rodata,"a",@progbits
	.p2align	6, 0x0
	.amdhsa_kernel _ZN7rocprim17ROCPRIM_400000_NS6detail17trampoline_kernelINS0_14default_configENS1_27scan_by_key_config_selectorIj11FixedVectorIiLj8EEEEZZNS1_16scan_by_key_implILNS1_25lookback_scan_determinismE0ELb0ES3_N6thrust23THRUST_200600_302600_NS6detail15normal_iteratorINSB_10device_ptrIjEEEENSD_INSE_IS6_EEEESI_S6_NSB_4plusIvEENSB_8equal_toIvEES6_EE10hipError_tPvRmT2_T3_T4_T5_mT6_T7_P12ihipStream_tbENKUlT_T0_E_clISt17integral_constantIbLb1EES13_EEDaSY_SZ_EUlSY_E_NS1_11comp_targetILNS1_3genE4ELNS1_11target_archE910ELNS1_3gpuE8ELNS1_3repE0EEENS1_30default_config_static_selectorELNS0_4arch9wavefront6targetE0EEEvT1_
		.amdhsa_group_segment_fixed_size 0
		.amdhsa_private_segment_fixed_size 0
		.amdhsa_kernarg_size 160
		.amdhsa_user_sgpr_count 6
		.amdhsa_user_sgpr_private_segment_buffer 1
		.amdhsa_user_sgpr_dispatch_ptr 0
		.amdhsa_user_sgpr_queue_ptr 0
		.amdhsa_user_sgpr_kernarg_segment_ptr 1
		.amdhsa_user_sgpr_dispatch_id 0
		.amdhsa_user_sgpr_flat_scratch_init 0
		.amdhsa_user_sgpr_private_segment_size 0
		.amdhsa_wavefront_size32 1
		.amdhsa_uses_dynamic_stack 0
		.amdhsa_system_sgpr_private_segment_wavefront_offset 0
		.amdhsa_system_sgpr_workgroup_id_x 1
		.amdhsa_system_sgpr_workgroup_id_y 0
		.amdhsa_system_sgpr_workgroup_id_z 0
		.amdhsa_system_sgpr_workgroup_info 0
		.amdhsa_system_vgpr_workitem_id 0
		.amdhsa_next_free_vgpr 1
		.amdhsa_next_free_sgpr 1
		.amdhsa_reserve_vcc 0
		.amdhsa_reserve_flat_scratch 0
		.amdhsa_float_round_mode_32 0
		.amdhsa_float_round_mode_16_64 0
		.amdhsa_float_denorm_mode_32 3
		.amdhsa_float_denorm_mode_16_64 3
		.amdhsa_dx10_clamp 1
		.amdhsa_ieee_mode 1
		.amdhsa_fp16_overflow 0
		.amdhsa_workgroup_processor_mode 1
		.amdhsa_memory_ordered 1
		.amdhsa_forward_progress 1
		.amdhsa_shared_vgpr_count 0
		.amdhsa_exception_fp_ieee_invalid_op 0
		.amdhsa_exception_fp_denorm_src 0
		.amdhsa_exception_fp_ieee_div_zero 0
		.amdhsa_exception_fp_ieee_overflow 0
		.amdhsa_exception_fp_ieee_underflow 0
		.amdhsa_exception_fp_ieee_inexact 0
		.amdhsa_exception_int_div_zero 0
	.end_amdhsa_kernel
	.section	.text._ZN7rocprim17ROCPRIM_400000_NS6detail17trampoline_kernelINS0_14default_configENS1_27scan_by_key_config_selectorIj11FixedVectorIiLj8EEEEZZNS1_16scan_by_key_implILNS1_25lookback_scan_determinismE0ELb0ES3_N6thrust23THRUST_200600_302600_NS6detail15normal_iteratorINSB_10device_ptrIjEEEENSD_INSE_IS6_EEEESI_S6_NSB_4plusIvEENSB_8equal_toIvEES6_EE10hipError_tPvRmT2_T3_T4_T5_mT6_T7_P12ihipStream_tbENKUlT_T0_E_clISt17integral_constantIbLb1EES13_EEDaSY_SZ_EUlSY_E_NS1_11comp_targetILNS1_3genE4ELNS1_11target_archE910ELNS1_3gpuE8ELNS1_3repE0EEENS1_30default_config_static_selectorELNS0_4arch9wavefront6targetE0EEEvT1_,"axG",@progbits,_ZN7rocprim17ROCPRIM_400000_NS6detail17trampoline_kernelINS0_14default_configENS1_27scan_by_key_config_selectorIj11FixedVectorIiLj8EEEEZZNS1_16scan_by_key_implILNS1_25lookback_scan_determinismE0ELb0ES3_N6thrust23THRUST_200600_302600_NS6detail15normal_iteratorINSB_10device_ptrIjEEEENSD_INSE_IS6_EEEESI_S6_NSB_4plusIvEENSB_8equal_toIvEES6_EE10hipError_tPvRmT2_T3_T4_T5_mT6_T7_P12ihipStream_tbENKUlT_T0_E_clISt17integral_constantIbLb1EES13_EEDaSY_SZ_EUlSY_E_NS1_11comp_targetILNS1_3genE4ELNS1_11target_archE910ELNS1_3gpuE8ELNS1_3repE0EEENS1_30default_config_static_selectorELNS0_4arch9wavefront6targetE0EEEvT1_,comdat
.Lfunc_end2129:
	.size	_ZN7rocprim17ROCPRIM_400000_NS6detail17trampoline_kernelINS0_14default_configENS1_27scan_by_key_config_selectorIj11FixedVectorIiLj8EEEEZZNS1_16scan_by_key_implILNS1_25lookback_scan_determinismE0ELb0ES3_N6thrust23THRUST_200600_302600_NS6detail15normal_iteratorINSB_10device_ptrIjEEEENSD_INSE_IS6_EEEESI_S6_NSB_4plusIvEENSB_8equal_toIvEES6_EE10hipError_tPvRmT2_T3_T4_T5_mT6_T7_P12ihipStream_tbENKUlT_T0_E_clISt17integral_constantIbLb1EES13_EEDaSY_SZ_EUlSY_E_NS1_11comp_targetILNS1_3genE4ELNS1_11target_archE910ELNS1_3gpuE8ELNS1_3repE0EEENS1_30default_config_static_selectorELNS0_4arch9wavefront6targetE0EEEvT1_, .Lfunc_end2129-_ZN7rocprim17ROCPRIM_400000_NS6detail17trampoline_kernelINS0_14default_configENS1_27scan_by_key_config_selectorIj11FixedVectorIiLj8EEEEZZNS1_16scan_by_key_implILNS1_25lookback_scan_determinismE0ELb0ES3_N6thrust23THRUST_200600_302600_NS6detail15normal_iteratorINSB_10device_ptrIjEEEENSD_INSE_IS6_EEEESI_S6_NSB_4plusIvEENSB_8equal_toIvEES6_EE10hipError_tPvRmT2_T3_T4_T5_mT6_T7_P12ihipStream_tbENKUlT_T0_E_clISt17integral_constantIbLb1EES13_EEDaSY_SZ_EUlSY_E_NS1_11comp_targetILNS1_3genE4ELNS1_11target_archE910ELNS1_3gpuE8ELNS1_3repE0EEENS1_30default_config_static_selectorELNS0_4arch9wavefront6targetE0EEEvT1_
                                        ; -- End function
	.set _ZN7rocprim17ROCPRIM_400000_NS6detail17trampoline_kernelINS0_14default_configENS1_27scan_by_key_config_selectorIj11FixedVectorIiLj8EEEEZZNS1_16scan_by_key_implILNS1_25lookback_scan_determinismE0ELb0ES3_N6thrust23THRUST_200600_302600_NS6detail15normal_iteratorINSB_10device_ptrIjEEEENSD_INSE_IS6_EEEESI_S6_NSB_4plusIvEENSB_8equal_toIvEES6_EE10hipError_tPvRmT2_T3_T4_T5_mT6_T7_P12ihipStream_tbENKUlT_T0_E_clISt17integral_constantIbLb1EES13_EEDaSY_SZ_EUlSY_E_NS1_11comp_targetILNS1_3genE4ELNS1_11target_archE910ELNS1_3gpuE8ELNS1_3repE0EEENS1_30default_config_static_selectorELNS0_4arch9wavefront6targetE0EEEvT1_.num_vgpr, 0
	.set _ZN7rocprim17ROCPRIM_400000_NS6detail17trampoline_kernelINS0_14default_configENS1_27scan_by_key_config_selectorIj11FixedVectorIiLj8EEEEZZNS1_16scan_by_key_implILNS1_25lookback_scan_determinismE0ELb0ES3_N6thrust23THRUST_200600_302600_NS6detail15normal_iteratorINSB_10device_ptrIjEEEENSD_INSE_IS6_EEEESI_S6_NSB_4plusIvEENSB_8equal_toIvEES6_EE10hipError_tPvRmT2_T3_T4_T5_mT6_T7_P12ihipStream_tbENKUlT_T0_E_clISt17integral_constantIbLb1EES13_EEDaSY_SZ_EUlSY_E_NS1_11comp_targetILNS1_3genE4ELNS1_11target_archE910ELNS1_3gpuE8ELNS1_3repE0EEENS1_30default_config_static_selectorELNS0_4arch9wavefront6targetE0EEEvT1_.num_agpr, 0
	.set _ZN7rocprim17ROCPRIM_400000_NS6detail17trampoline_kernelINS0_14default_configENS1_27scan_by_key_config_selectorIj11FixedVectorIiLj8EEEEZZNS1_16scan_by_key_implILNS1_25lookback_scan_determinismE0ELb0ES3_N6thrust23THRUST_200600_302600_NS6detail15normal_iteratorINSB_10device_ptrIjEEEENSD_INSE_IS6_EEEESI_S6_NSB_4plusIvEENSB_8equal_toIvEES6_EE10hipError_tPvRmT2_T3_T4_T5_mT6_T7_P12ihipStream_tbENKUlT_T0_E_clISt17integral_constantIbLb1EES13_EEDaSY_SZ_EUlSY_E_NS1_11comp_targetILNS1_3genE4ELNS1_11target_archE910ELNS1_3gpuE8ELNS1_3repE0EEENS1_30default_config_static_selectorELNS0_4arch9wavefront6targetE0EEEvT1_.numbered_sgpr, 0
	.set _ZN7rocprim17ROCPRIM_400000_NS6detail17trampoline_kernelINS0_14default_configENS1_27scan_by_key_config_selectorIj11FixedVectorIiLj8EEEEZZNS1_16scan_by_key_implILNS1_25lookback_scan_determinismE0ELb0ES3_N6thrust23THRUST_200600_302600_NS6detail15normal_iteratorINSB_10device_ptrIjEEEENSD_INSE_IS6_EEEESI_S6_NSB_4plusIvEENSB_8equal_toIvEES6_EE10hipError_tPvRmT2_T3_T4_T5_mT6_T7_P12ihipStream_tbENKUlT_T0_E_clISt17integral_constantIbLb1EES13_EEDaSY_SZ_EUlSY_E_NS1_11comp_targetILNS1_3genE4ELNS1_11target_archE910ELNS1_3gpuE8ELNS1_3repE0EEENS1_30default_config_static_selectorELNS0_4arch9wavefront6targetE0EEEvT1_.num_named_barrier, 0
	.set _ZN7rocprim17ROCPRIM_400000_NS6detail17trampoline_kernelINS0_14default_configENS1_27scan_by_key_config_selectorIj11FixedVectorIiLj8EEEEZZNS1_16scan_by_key_implILNS1_25lookback_scan_determinismE0ELb0ES3_N6thrust23THRUST_200600_302600_NS6detail15normal_iteratorINSB_10device_ptrIjEEEENSD_INSE_IS6_EEEESI_S6_NSB_4plusIvEENSB_8equal_toIvEES6_EE10hipError_tPvRmT2_T3_T4_T5_mT6_T7_P12ihipStream_tbENKUlT_T0_E_clISt17integral_constantIbLb1EES13_EEDaSY_SZ_EUlSY_E_NS1_11comp_targetILNS1_3genE4ELNS1_11target_archE910ELNS1_3gpuE8ELNS1_3repE0EEENS1_30default_config_static_selectorELNS0_4arch9wavefront6targetE0EEEvT1_.private_seg_size, 0
	.set _ZN7rocprim17ROCPRIM_400000_NS6detail17trampoline_kernelINS0_14default_configENS1_27scan_by_key_config_selectorIj11FixedVectorIiLj8EEEEZZNS1_16scan_by_key_implILNS1_25lookback_scan_determinismE0ELb0ES3_N6thrust23THRUST_200600_302600_NS6detail15normal_iteratorINSB_10device_ptrIjEEEENSD_INSE_IS6_EEEESI_S6_NSB_4plusIvEENSB_8equal_toIvEES6_EE10hipError_tPvRmT2_T3_T4_T5_mT6_T7_P12ihipStream_tbENKUlT_T0_E_clISt17integral_constantIbLb1EES13_EEDaSY_SZ_EUlSY_E_NS1_11comp_targetILNS1_3genE4ELNS1_11target_archE910ELNS1_3gpuE8ELNS1_3repE0EEENS1_30default_config_static_selectorELNS0_4arch9wavefront6targetE0EEEvT1_.uses_vcc, 0
	.set _ZN7rocprim17ROCPRIM_400000_NS6detail17trampoline_kernelINS0_14default_configENS1_27scan_by_key_config_selectorIj11FixedVectorIiLj8EEEEZZNS1_16scan_by_key_implILNS1_25lookback_scan_determinismE0ELb0ES3_N6thrust23THRUST_200600_302600_NS6detail15normal_iteratorINSB_10device_ptrIjEEEENSD_INSE_IS6_EEEESI_S6_NSB_4plusIvEENSB_8equal_toIvEES6_EE10hipError_tPvRmT2_T3_T4_T5_mT6_T7_P12ihipStream_tbENKUlT_T0_E_clISt17integral_constantIbLb1EES13_EEDaSY_SZ_EUlSY_E_NS1_11comp_targetILNS1_3genE4ELNS1_11target_archE910ELNS1_3gpuE8ELNS1_3repE0EEENS1_30default_config_static_selectorELNS0_4arch9wavefront6targetE0EEEvT1_.uses_flat_scratch, 0
	.set _ZN7rocprim17ROCPRIM_400000_NS6detail17trampoline_kernelINS0_14default_configENS1_27scan_by_key_config_selectorIj11FixedVectorIiLj8EEEEZZNS1_16scan_by_key_implILNS1_25lookback_scan_determinismE0ELb0ES3_N6thrust23THRUST_200600_302600_NS6detail15normal_iteratorINSB_10device_ptrIjEEEENSD_INSE_IS6_EEEESI_S6_NSB_4plusIvEENSB_8equal_toIvEES6_EE10hipError_tPvRmT2_T3_T4_T5_mT6_T7_P12ihipStream_tbENKUlT_T0_E_clISt17integral_constantIbLb1EES13_EEDaSY_SZ_EUlSY_E_NS1_11comp_targetILNS1_3genE4ELNS1_11target_archE910ELNS1_3gpuE8ELNS1_3repE0EEENS1_30default_config_static_selectorELNS0_4arch9wavefront6targetE0EEEvT1_.has_dyn_sized_stack, 0
	.set _ZN7rocprim17ROCPRIM_400000_NS6detail17trampoline_kernelINS0_14default_configENS1_27scan_by_key_config_selectorIj11FixedVectorIiLj8EEEEZZNS1_16scan_by_key_implILNS1_25lookback_scan_determinismE0ELb0ES3_N6thrust23THRUST_200600_302600_NS6detail15normal_iteratorINSB_10device_ptrIjEEEENSD_INSE_IS6_EEEESI_S6_NSB_4plusIvEENSB_8equal_toIvEES6_EE10hipError_tPvRmT2_T3_T4_T5_mT6_T7_P12ihipStream_tbENKUlT_T0_E_clISt17integral_constantIbLb1EES13_EEDaSY_SZ_EUlSY_E_NS1_11comp_targetILNS1_3genE4ELNS1_11target_archE910ELNS1_3gpuE8ELNS1_3repE0EEENS1_30default_config_static_selectorELNS0_4arch9wavefront6targetE0EEEvT1_.has_recursion, 0
	.set _ZN7rocprim17ROCPRIM_400000_NS6detail17trampoline_kernelINS0_14default_configENS1_27scan_by_key_config_selectorIj11FixedVectorIiLj8EEEEZZNS1_16scan_by_key_implILNS1_25lookback_scan_determinismE0ELb0ES3_N6thrust23THRUST_200600_302600_NS6detail15normal_iteratorINSB_10device_ptrIjEEEENSD_INSE_IS6_EEEESI_S6_NSB_4plusIvEENSB_8equal_toIvEES6_EE10hipError_tPvRmT2_T3_T4_T5_mT6_T7_P12ihipStream_tbENKUlT_T0_E_clISt17integral_constantIbLb1EES13_EEDaSY_SZ_EUlSY_E_NS1_11comp_targetILNS1_3genE4ELNS1_11target_archE910ELNS1_3gpuE8ELNS1_3repE0EEENS1_30default_config_static_selectorELNS0_4arch9wavefront6targetE0EEEvT1_.has_indirect_call, 0
	.section	.AMDGPU.csdata,"",@progbits
; Kernel info:
; codeLenInByte = 0
; TotalNumSgprs: 0
; NumVgprs: 0
; ScratchSize: 0
; MemoryBound: 0
; FloatMode: 240
; IeeeMode: 1
; LDSByteSize: 0 bytes/workgroup (compile time only)
; SGPRBlocks: 0
; VGPRBlocks: 0
; NumSGPRsForWavesPerEU: 1
; NumVGPRsForWavesPerEU: 1
; Occupancy: 16
; WaveLimiterHint : 0
; COMPUTE_PGM_RSRC2:SCRATCH_EN: 0
; COMPUTE_PGM_RSRC2:USER_SGPR: 6
; COMPUTE_PGM_RSRC2:TRAP_HANDLER: 0
; COMPUTE_PGM_RSRC2:TGID_X_EN: 1
; COMPUTE_PGM_RSRC2:TGID_Y_EN: 0
; COMPUTE_PGM_RSRC2:TGID_Z_EN: 0
; COMPUTE_PGM_RSRC2:TIDIG_COMP_CNT: 0
	.section	.text._ZN7rocprim17ROCPRIM_400000_NS6detail17trampoline_kernelINS0_14default_configENS1_27scan_by_key_config_selectorIj11FixedVectorIiLj8EEEEZZNS1_16scan_by_key_implILNS1_25lookback_scan_determinismE0ELb0ES3_N6thrust23THRUST_200600_302600_NS6detail15normal_iteratorINSB_10device_ptrIjEEEENSD_INSE_IS6_EEEESI_S6_NSB_4plusIvEENSB_8equal_toIvEES6_EE10hipError_tPvRmT2_T3_T4_T5_mT6_T7_P12ihipStream_tbENKUlT_T0_E_clISt17integral_constantIbLb1EES13_EEDaSY_SZ_EUlSY_E_NS1_11comp_targetILNS1_3genE3ELNS1_11target_archE908ELNS1_3gpuE7ELNS1_3repE0EEENS1_30default_config_static_selectorELNS0_4arch9wavefront6targetE0EEEvT1_,"axG",@progbits,_ZN7rocprim17ROCPRIM_400000_NS6detail17trampoline_kernelINS0_14default_configENS1_27scan_by_key_config_selectorIj11FixedVectorIiLj8EEEEZZNS1_16scan_by_key_implILNS1_25lookback_scan_determinismE0ELb0ES3_N6thrust23THRUST_200600_302600_NS6detail15normal_iteratorINSB_10device_ptrIjEEEENSD_INSE_IS6_EEEESI_S6_NSB_4plusIvEENSB_8equal_toIvEES6_EE10hipError_tPvRmT2_T3_T4_T5_mT6_T7_P12ihipStream_tbENKUlT_T0_E_clISt17integral_constantIbLb1EES13_EEDaSY_SZ_EUlSY_E_NS1_11comp_targetILNS1_3genE3ELNS1_11target_archE908ELNS1_3gpuE7ELNS1_3repE0EEENS1_30default_config_static_selectorELNS0_4arch9wavefront6targetE0EEEvT1_,comdat
	.protected	_ZN7rocprim17ROCPRIM_400000_NS6detail17trampoline_kernelINS0_14default_configENS1_27scan_by_key_config_selectorIj11FixedVectorIiLj8EEEEZZNS1_16scan_by_key_implILNS1_25lookback_scan_determinismE0ELb0ES3_N6thrust23THRUST_200600_302600_NS6detail15normal_iteratorINSB_10device_ptrIjEEEENSD_INSE_IS6_EEEESI_S6_NSB_4plusIvEENSB_8equal_toIvEES6_EE10hipError_tPvRmT2_T3_T4_T5_mT6_T7_P12ihipStream_tbENKUlT_T0_E_clISt17integral_constantIbLb1EES13_EEDaSY_SZ_EUlSY_E_NS1_11comp_targetILNS1_3genE3ELNS1_11target_archE908ELNS1_3gpuE7ELNS1_3repE0EEENS1_30default_config_static_selectorELNS0_4arch9wavefront6targetE0EEEvT1_ ; -- Begin function _ZN7rocprim17ROCPRIM_400000_NS6detail17trampoline_kernelINS0_14default_configENS1_27scan_by_key_config_selectorIj11FixedVectorIiLj8EEEEZZNS1_16scan_by_key_implILNS1_25lookback_scan_determinismE0ELb0ES3_N6thrust23THRUST_200600_302600_NS6detail15normal_iteratorINSB_10device_ptrIjEEEENSD_INSE_IS6_EEEESI_S6_NSB_4plusIvEENSB_8equal_toIvEES6_EE10hipError_tPvRmT2_T3_T4_T5_mT6_T7_P12ihipStream_tbENKUlT_T0_E_clISt17integral_constantIbLb1EES13_EEDaSY_SZ_EUlSY_E_NS1_11comp_targetILNS1_3genE3ELNS1_11target_archE908ELNS1_3gpuE7ELNS1_3repE0EEENS1_30default_config_static_selectorELNS0_4arch9wavefront6targetE0EEEvT1_
	.globl	_ZN7rocprim17ROCPRIM_400000_NS6detail17trampoline_kernelINS0_14default_configENS1_27scan_by_key_config_selectorIj11FixedVectorIiLj8EEEEZZNS1_16scan_by_key_implILNS1_25lookback_scan_determinismE0ELb0ES3_N6thrust23THRUST_200600_302600_NS6detail15normal_iteratorINSB_10device_ptrIjEEEENSD_INSE_IS6_EEEESI_S6_NSB_4plusIvEENSB_8equal_toIvEES6_EE10hipError_tPvRmT2_T3_T4_T5_mT6_T7_P12ihipStream_tbENKUlT_T0_E_clISt17integral_constantIbLb1EES13_EEDaSY_SZ_EUlSY_E_NS1_11comp_targetILNS1_3genE3ELNS1_11target_archE908ELNS1_3gpuE7ELNS1_3repE0EEENS1_30default_config_static_selectorELNS0_4arch9wavefront6targetE0EEEvT1_
	.p2align	8
	.type	_ZN7rocprim17ROCPRIM_400000_NS6detail17trampoline_kernelINS0_14default_configENS1_27scan_by_key_config_selectorIj11FixedVectorIiLj8EEEEZZNS1_16scan_by_key_implILNS1_25lookback_scan_determinismE0ELb0ES3_N6thrust23THRUST_200600_302600_NS6detail15normal_iteratorINSB_10device_ptrIjEEEENSD_INSE_IS6_EEEESI_S6_NSB_4plusIvEENSB_8equal_toIvEES6_EE10hipError_tPvRmT2_T3_T4_T5_mT6_T7_P12ihipStream_tbENKUlT_T0_E_clISt17integral_constantIbLb1EES13_EEDaSY_SZ_EUlSY_E_NS1_11comp_targetILNS1_3genE3ELNS1_11target_archE908ELNS1_3gpuE7ELNS1_3repE0EEENS1_30default_config_static_selectorELNS0_4arch9wavefront6targetE0EEEvT1_,@function
_ZN7rocprim17ROCPRIM_400000_NS6detail17trampoline_kernelINS0_14default_configENS1_27scan_by_key_config_selectorIj11FixedVectorIiLj8EEEEZZNS1_16scan_by_key_implILNS1_25lookback_scan_determinismE0ELb0ES3_N6thrust23THRUST_200600_302600_NS6detail15normal_iteratorINSB_10device_ptrIjEEEENSD_INSE_IS6_EEEESI_S6_NSB_4plusIvEENSB_8equal_toIvEES6_EE10hipError_tPvRmT2_T3_T4_T5_mT6_T7_P12ihipStream_tbENKUlT_T0_E_clISt17integral_constantIbLb1EES13_EEDaSY_SZ_EUlSY_E_NS1_11comp_targetILNS1_3genE3ELNS1_11target_archE908ELNS1_3gpuE7ELNS1_3repE0EEENS1_30default_config_static_selectorELNS0_4arch9wavefront6targetE0EEEvT1_: ; @_ZN7rocprim17ROCPRIM_400000_NS6detail17trampoline_kernelINS0_14default_configENS1_27scan_by_key_config_selectorIj11FixedVectorIiLj8EEEEZZNS1_16scan_by_key_implILNS1_25lookback_scan_determinismE0ELb0ES3_N6thrust23THRUST_200600_302600_NS6detail15normal_iteratorINSB_10device_ptrIjEEEENSD_INSE_IS6_EEEESI_S6_NSB_4plusIvEENSB_8equal_toIvEES6_EE10hipError_tPvRmT2_T3_T4_T5_mT6_T7_P12ihipStream_tbENKUlT_T0_E_clISt17integral_constantIbLb1EES13_EEDaSY_SZ_EUlSY_E_NS1_11comp_targetILNS1_3genE3ELNS1_11target_archE908ELNS1_3gpuE7ELNS1_3repE0EEENS1_30default_config_static_selectorELNS0_4arch9wavefront6targetE0EEEvT1_
; %bb.0:
	.section	.rodata,"a",@progbits
	.p2align	6, 0x0
	.amdhsa_kernel _ZN7rocprim17ROCPRIM_400000_NS6detail17trampoline_kernelINS0_14default_configENS1_27scan_by_key_config_selectorIj11FixedVectorIiLj8EEEEZZNS1_16scan_by_key_implILNS1_25lookback_scan_determinismE0ELb0ES3_N6thrust23THRUST_200600_302600_NS6detail15normal_iteratorINSB_10device_ptrIjEEEENSD_INSE_IS6_EEEESI_S6_NSB_4plusIvEENSB_8equal_toIvEES6_EE10hipError_tPvRmT2_T3_T4_T5_mT6_T7_P12ihipStream_tbENKUlT_T0_E_clISt17integral_constantIbLb1EES13_EEDaSY_SZ_EUlSY_E_NS1_11comp_targetILNS1_3genE3ELNS1_11target_archE908ELNS1_3gpuE7ELNS1_3repE0EEENS1_30default_config_static_selectorELNS0_4arch9wavefront6targetE0EEEvT1_
		.amdhsa_group_segment_fixed_size 0
		.amdhsa_private_segment_fixed_size 0
		.amdhsa_kernarg_size 160
		.amdhsa_user_sgpr_count 6
		.amdhsa_user_sgpr_private_segment_buffer 1
		.amdhsa_user_sgpr_dispatch_ptr 0
		.amdhsa_user_sgpr_queue_ptr 0
		.amdhsa_user_sgpr_kernarg_segment_ptr 1
		.amdhsa_user_sgpr_dispatch_id 0
		.amdhsa_user_sgpr_flat_scratch_init 0
		.amdhsa_user_sgpr_private_segment_size 0
		.amdhsa_wavefront_size32 1
		.amdhsa_uses_dynamic_stack 0
		.amdhsa_system_sgpr_private_segment_wavefront_offset 0
		.amdhsa_system_sgpr_workgroup_id_x 1
		.amdhsa_system_sgpr_workgroup_id_y 0
		.amdhsa_system_sgpr_workgroup_id_z 0
		.amdhsa_system_sgpr_workgroup_info 0
		.amdhsa_system_vgpr_workitem_id 0
		.amdhsa_next_free_vgpr 1
		.amdhsa_next_free_sgpr 1
		.amdhsa_reserve_vcc 0
		.amdhsa_reserve_flat_scratch 0
		.amdhsa_float_round_mode_32 0
		.amdhsa_float_round_mode_16_64 0
		.amdhsa_float_denorm_mode_32 3
		.amdhsa_float_denorm_mode_16_64 3
		.amdhsa_dx10_clamp 1
		.amdhsa_ieee_mode 1
		.amdhsa_fp16_overflow 0
		.amdhsa_workgroup_processor_mode 1
		.amdhsa_memory_ordered 1
		.amdhsa_forward_progress 1
		.amdhsa_shared_vgpr_count 0
		.amdhsa_exception_fp_ieee_invalid_op 0
		.amdhsa_exception_fp_denorm_src 0
		.amdhsa_exception_fp_ieee_div_zero 0
		.amdhsa_exception_fp_ieee_overflow 0
		.amdhsa_exception_fp_ieee_underflow 0
		.amdhsa_exception_fp_ieee_inexact 0
		.amdhsa_exception_int_div_zero 0
	.end_amdhsa_kernel
	.section	.text._ZN7rocprim17ROCPRIM_400000_NS6detail17trampoline_kernelINS0_14default_configENS1_27scan_by_key_config_selectorIj11FixedVectorIiLj8EEEEZZNS1_16scan_by_key_implILNS1_25lookback_scan_determinismE0ELb0ES3_N6thrust23THRUST_200600_302600_NS6detail15normal_iteratorINSB_10device_ptrIjEEEENSD_INSE_IS6_EEEESI_S6_NSB_4plusIvEENSB_8equal_toIvEES6_EE10hipError_tPvRmT2_T3_T4_T5_mT6_T7_P12ihipStream_tbENKUlT_T0_E_clISt17integral_constantIbLb1EES13_EEDaSY_SZ_EUlSY_E_NS1_11comp_targetILNS1_3genE3ELNS1_11target_archE908ELNS1_3gpuE7ELNS1_3repE0EEENS1_30default_config_static_selectorELNS0_4arch9wavefront6targetE0EEEvT1_,"axG",@progbits,_ZN7rocprim17ROCPRIM_400000_NS6detail17trampoline_kernelINS0_14default_configENS1_27scan_by_key_config_selectorIj11FixedVectorIiLj8EEEEZZNS1_16scan_by_key_implILNS1_25lookback_scan_determinismE0ELb0ES3_N6thrust23THRUST_200600_302600_NS6detail15normal_iteratorINSB_10device_ptrIjEEEENSD_INSE_IS6_EEEESI_S6_NSB_4plusIvEENSB_8equal_toIvEES6_EE10hipError_tPvRmT2_T3_T4_T5_mT6_T7_P12ihipStream_tbENKUlT_T0_E_clISt17integral_constantIbLb1EES13_EEDaSY_SZ_EUlSY_E_NS1_11comp_targetILNS1_3genE3ELNS1_11target_archE908ELNS1_3gpuE7ELNS1_3repE0EEENS1_30default_config_static_selectorELNS0_4arch9wavefront6targetE0EEEvT1_,comdat
.Lfunc_end2130:
	.size	_ZN7rocprim17ROCPRIM_400000_NS6detail17trampoline_kernelINS0_14default_configENS1_27scan_by_key_config_selectorIj11FixedVectorIiLj8EEEEZZNS1_16scan_by_key_implILNS1_25lookback_scan_determinismE0ELb0ES3_N6thrust23THRUST_200600_302600_NS6detail15normal_iteratorINSB_10device_ptrIjEEEENSD_INSE_IS6_EEEESI_S6_NSB_4plusIvEENSB_8equal_toIvEES6_EE10hipError_tPvRmT2_T3_T4_T5_mT6_T7_P12ihipStream_tbENKUlT_T0_E_clISt17integral_constantIbLb1EES13_EEDaSY_SZ_EUlSY_E_NS1_11comp_targetILNS1_3genE3ELNS1_11target_archE908ELNS1_3gpuE7ELNS1_3repE0EEENS1_30default_config_static_selectorELNS0_4arch9wavefront6targetE0EEEvT1_, .Lfunc_end2130-_ZN7rocprim17ROCPRIM_400000_NS6detail17trampoline_kernelINS0_14default_configENS1_27scan_by_key_config_selectorIj11FixedVectorIiLj8EEEEZZNS1_16scan_by_key_implILNS1_25lookback_scan_determinismE0ELb0ES3_N6thrust23THRUST_200600_302600_NS6detail15normal_iteratorINSB_10device_ptrIjEEEENSD_INSE_IS6_EEEESI_S6_NSB_4plusIvEENSB_8equal_toIvEES6_EE10hipError_tPvRmT2_T3_T4_T5_mT6_T7_P12ihipStream_tbENKUlT_T0_E_clISt17integral_constantIbLb1EES13_EEDaSY_SZ_EUlSY_E_NS1_11comp_targetILNS1_3genE3ELNS1_11target_archE908ELNS1_3gpuE7ELNS1_3repE0EEENS1_30default_config_static_selectorELNS0_4arch9wavefront6targetE0EEEvT1_
                                        ; -- End function
	.set _ZN7rocprim17ROCPRIM_400000_NS6detail17trampoline_kernelINS0_14default_configENS1_27scan_by_key_config_selectorIj11FixedVectorIiLj8EEEEZZNS1_16scan_by_key_implILNS1_25lookback_scan_determinismE0ELb0ES3_N6thrust23THRUST_200600_302600_NS6detail15normal_iteratorINSB_10device_ptrIjEEEENSD_INSE_IS6_EEEESI_S6_NSB_4plusIvEENSB_8equal_toIvEES6_EE10hipError_tPvRmT2_T3_T4_T5_mT6_T7_P12ihipStream_tbENKUlT_T0_E_clISt17integral_constantIbLb1EES13_EEDaSY_SZ_EUlSY_E_NS1_11comp_targetILNS1_3genE3ELNS1_11target_archE908ELNS1_3gpuE7ELNS1_3repE0EEENS1_30default_config_static_selectorELNS0_4arch9wavefront6targetE0EEEvT1_.num_vgpr, 0
	.set _ZN7rocprim17ROCPRIM_400000_NS6detail17trampoline_kernelINS0_14default_configENS1_27scan_by_key_config_selectorIj11FixedVectorIiLj8EEEEZZNS1_16scan_by_key_implILNS1_25lookback_scan_determinismE0ELb0ES3_N6thrust23THRUST_200600_302600_NS6detail15normal_iteratorINSB_10device_ptrIjEEEENSD_INSE_IS6_EEEESI_S6_NSB_4plusIvEENSB_8equal_toIvEES6_EE10hipError_tPvRmT2_T3_T4_T5_mT6_T7_P12ihipStream_tbENKUlT_T0_E_clISt17integral_constantIbLb1EES13_EEDaSY_SZ_EUlSY_E_NS1_11comp_targetILNS1_3genE3ELNS1_11target_archE908ELNS1_3gpuE7ELNS1_3repE0EEENS1_30default_config_static_selectorELNS0_4arch9wavefront6targetE0EEEvT1_.num_agpr, 0
	.set _ZN7rocprim17ROCPRIM_400000_NS6detail17trampoline_kernelINS0_14default_configENS1_27scan_by_key_config_selectorIj11FixedVectorIiLj8EEEEZZNS1_16scan_by_key_implILNS1_25lookback_scan_determinismE0ELb0ES3_N6thrust23THRUST_200600_302600_NS6detail15normal_iteratorINSB_10device_ptrIjEEEENSD_INSE_IS6_EEEESI_S6_NSB_4plusIvEENSB_8equal_toIvEES6_EE10hipError_tPvRmT2_T3_T4_T5_mT6_T7_P12ihipStream_tbENKUlT_T0_E_clISt17integral_constantIbLb1EES13_EEDaSY_SZ_EUlSY_E_NS1_11comp_targetILNS1_3genE3ELNS1_11target_archE908ELNS1_3gpuE7ELNS1_3repE0EEENS1_30default_config_static_selectorELNS0_4arch9wavefront6targetE0EEEvT1_.numbered_sgpr, 0
	.set _ZN7rocprim17ROCPRIM_400000_NS6detail17trampoline_kernelINS0_14default_configENS1_27scan_by_key_config_selectorIj11FixedVectorIiLj8EEEEZZNS1_16scan_by_key_implILNS1_25lookback_scan_determinismE0ELb0ES3_N6thrust23THRUST_200600_302600_NS6detail15normal_iteratorINSB_10device_ptrIjEEEENSD_INSE_IS6_EEEESI_S6_NSB_4plusIvEENSB_8equal_toIvEES6_EE10hipError_tPvRmT2_T3_T4_T5_mT6_T7_P12ihipStream_tbENKUlT_T0_E_clISt17integral_constantIbLb1EES13_EEDaSY_SZ_EUlSY_E_NS1_11comp_targetILNS1_3genE3ELNS1_11target_archE908ELNS1_3gpuE7ELNS1_3repE0EEENS1_30default_config_static_selectorELNS0_4arch9wavefront6targetE0EEEvT1_.num_named_barrier, 0
	.set _ZN7rocprim17ROCPRIM_400000_NS6detail17trampoline_kernelINS0_14default_configENS1_27scan_by_key_config_selectorIj11FixedVectorIiLj8EEEEZZNS1_16scan_by_key_implILNS1_25lookback_scan_determinismE0ELb0ES3_N6thrust23THRUST_200600_302600_NS6detail15normal_iteratorINSB_10device_ptrIjEEEENSD_INSE_IS6_EEEESI_S6_NSB_4plusIvEENSB_8equal_toIvEES6_EE10hipError_tPvRmT2_T3_T4_T5_mT6_T7_P12ihipStream_tbENKUlT_T0_E_clISt17integral_constantIbLb1EES13_EEDaSY_SZ_EUlSY_E_NS1_11comp_targetILNS1_3genE3ELNS1_11target_archE908ELNS1_3gpuE7ELNS1_3repE0EEENS1_30default_config_static_selectorELNS0_4arch9wavefront6targetE0EEEvT1_.private_seg_size, 0
	.set _ZN7rocprim17ROCPRIM_400000_NS6detail17trampoline_kernelINS0_14default_configENS1_27scan_by_key_config_selectorIj11FixedVectorIiLj8EEEEZZNS1_16scan_by_key_implILNS1_25lookback_scan_determinismE0ELb0ES3_N6thrust23THRUST_200600_302600_NS6detail15normal_iteratorINSB_10device_ptrIjEEEENSD_INSE_IS6_EEEESI_S6_NSB_4plusIvEENSB_8equal_toIvEES6_EE10hipError_tPvRmT2_T3_T4_T5_mT6_T7_P12ihipStream_tbENKUlT_T0_E_clISt17integral_constantIbLb1EES13_EEDaSY_SZ_EUlSY_E_NS1_11comp_targetILNS1_3genE3ELNS1_11target_archE908ELNS1_3gpuE7ELNS1_3repE0EEENS1_30default_config_static_selectorELNS0_4arch9wavefront6targetE0EEEvT1_.uses_vcc, 0
	.set _ZN7rocprim17ROCPRIM_400000_NS6detail17trampoline_kernelINS0_14default_configENS1_27scan_by_key_config_selectorIj11FixedVectorIiLj8EEEEZZNS1_16scan_by_key_implILNS1_25lookback_scan_determinismE0ELb0ES3_N6thrust23THRUST_200600_302600_NS6detail15normal_iteratorINSB_10device_ptrIjEEEENSD_INSE_IS6_EEEESI_S6_NSB_4plusIvEENSB_8equal_toIvEES6_EE10hipError_tPvRmT2_T3_T4_T5_mT6_T7_P12ihipStream_tbENKUlT_T0_E_clISt17integral_constantIbLb1EES13_EEDaSY_SZ_EUlSY_E_NS1_11comp_targetILNS1_3genE3ELNS1_11target_archE908ELNS1_3gpuE7ELNS1_3repE0EEENS1_30default_config_static_selectorELNS0_4arch9wavefront6targetE0EEEvT1_.uses_flat_scratch, 0
	.set _ZN7rocprim17ROCPRIM_400000_NS6detail17trampoline_kernelINS0_14default_configENS1_27scan_by_key_config_selectorIj11FixedVectorIiLj8EEEEZZNS1_16scan_by_key_implILNS1_25lookback_scan_determinismE0ELb0ES3_N6thrust23THRUST_200600_302600_NS6detail15normal_iteratorINSB_10device_ptrIjEEEENSD_INSE_IS6_EEEESI_S6_NSB_4plusIvEENSB_8equal_toIvEES6_EE10hipError_tPvRmT2_T3_T4_T5_mT6_T7_P12ihipStream_tbENKUlT_T0_E_clISt17integral_constantIbLb1EES13_EEDaSY_SZ_EUlSY_E_NS1_11comp_targetILNS1_3genE3ELNS1_11target_archE908ELNS1_3gpuE7ELNS1_3repE0EEENS1_30default_config_static_selectorELNS0_4arch9wavefront6targetE0EEEvT1_.has_dyn_sized_stack, 0
	.set _ZN7rocprim17ROCPRIM_400000_NS6detail17trampoline_kernelINS0_14default_configENS1_27scan_by_key_config_selectorIj11FixedVectorIiLj8EEEEZZNS1_16scan_by_key_implILNS1_25lookback_scan_determinismE0ELb0ES3_N6thrust23THRUST_200600_302600_NS6detail15normal_iteratorINSB_10device_ptrIjEEEENSD_INSE_IS6_EEEESI_S6_NSB_4plusIvEENSB_8equal_toIvEES6_EE10hipError_tPvRmT2_T3_T4_T5_mT6_T7_P12ihipStream_tbENKUlT_T0_E_clISt17integral_constantIbLb1EES13_EEDaSY_SZ_EUlSY_E_NS1_11comp_targetILNS1_3genE3ELNS1_11target_archE908ELNS1_3gpuE7ELNS1_3repE0EEENS1_30default_config_static_selectorELNS0_4arch9wavefront6targetE0EEEvT1_.has_recursion, 0
	.set _ZN7rocprim17ROCPRIM_400000_NS6detail17trampoline_kernelINS0_14default_configENS1_27scan_by_key_config_selectorIj11FixedVectorIiLj8EEEEZZNS1_16scan_by_key_implILNS1_25lookback_scan_determinismE0ELb0ES3_N6thrust23THRUST_200600_302600_NS6detail15normal_iteratorINSB_10device_ptrIjEEEENSD_INSE_IS6_EEEESI_S6_NSB_4plusIvEENSB_8equal_toIvEES6_EE10hipError_tPvRmT2_T3_T4_T5_mT6_T7_P12ihipStream_tbENKUlT_T0_E_clISt17integral_constantIbLb1EES13_EEDaSY_SZ_EUlSY_E_NS1_11comp_targetILNS1_3genE3ELNS1_11target_archE908ELNS1_3gpuE7ELNS1_3repE0EEENS1_30default_config_static_selectorELNS0_4arch9wavefront6targetE0EEEvT1_.has_indirect_call, 0
	.section	.AMDGPU.csdata,"",@progbits
; Kernel info:
; codeLenInByte = 0
; TotalNumSgprs: 0
; NumVgprs: 0
; ScratchSize: 0
; MemoryBound: 0
; FloatMode: 240
; IeeeMode: 1
; LDSByteSize: 0 bytes/workgroup (compile time only)
; SGPRBlocks: 0
; VGPRBlocks: 0
; NumSGPRsForWavesPerEU: 1
; NumVGPRsForWavesPerEU: 1
; Occupancy: 16
; WaveLimiterHint : 0
; COMPUTE_PGM_RSRC2:SCRATCH_EN: 0
; COMPUTE_PGM_RSRC2:USER_SGPR: 6
; COMPUTE_PGM_RSRC2:TRAP_HANDLER: 0
; COMPUTE_PGM_RSRC2:TGID_X_EN: 1
; COMPUTE_PGM_RSRC2:TGID_Y_EN: 0
; COMPUTE_PGM_RSRC2:TGID_Z_EN: 0
; COMPUTE_PGM_RSRC2:TIDIG_COMP_CNT: 0
	.section	.text._ZN7rocprim17ROCPRIM_400000_NS6detail17trampoline_kernelINS0_14default_configENS1_27scan_by_key_config_selectorIj11FixedVectorIiLj8EEEEZZNS1_16scan_by_key_implILNS1_25lookback_scan_determinismE0ELb0ES3_N6thrust23THRUST_200600_302600_NS6detail15normal_iteratorINSB_10device_ptrIjEEEENSD_INSE_IS6_EEEESI_S6_NSB_4plusIvEENSB_8equal_toIvEES6_EE10hipError_tPvRmT2_T3_T4_T5_mT6_T7_P12ihipStream_tbENKUlT_T0_E_clISt17integral_constantIbLb1EES13_EEDaSY_SZ_EUlSY_E_NS1_11comp_targetILNS1_3genE2ELNS1_11target_archE906ELNS1_3gpuE6ELNS1_3repE0EEENS1_30default_config_static_selectorELNS0_4arch9wavefront6targetE0EEEvT1_,"axG",@progbits,_ZN7rocprim17ROCPRIM_400000_NS6detail17trampoline_kernelINS0_14default_configENS1_27scan_by_key_config_selectorIj11FixedVectorIiLj8EEEEZZNS1_16scan_by_key_implILNS1_25lookback_scan_determinismE0ELb0ES3_N6thrust23THRUST_200600_302600_NS6detail15normal_iteratorINSB_10device_ptrIjEEEENSD_INSE_IS6_EEEESI_S6_NSB_4plusIvEENSB_8equal_toIvEES6_EE10hipError_tPvRmT2_T3_T4_T5_mT6_T7_P12ihipStream_tbENKUlT_T0_E_clISt17integral_constantIbLb1EES13_EEDaSY_SZ_EUlSY_E_NS1_11comp_targetILNS1_3genE2ELNS1_11target_archE906ELNS1_3gpuE6ELNS1_3repE0EEENS1_30default_config_static_selectorELNS0_4arch9wavefront6targetE0EEEvT1_,comdat
	.protected	_ZN7rocprim17ROCPRIM_400000_NS6detail17trampoline_kernelINS0_14default_configENS1_27scan_by_key_config_selectorIj11FixedVectorIiLj8EEEEZZNS1_16scan_by_key_implILNS1_25lookback_scan_determinismE0ELb0ES3_N6thrust23THRUST_200600_302600_NS6detail15normal_iteratorINSB_10device_ptrIjEEEENSD_INSE_IS6_EEEESI_S6_NSB_4plusIvEENSB_8equal_toIvEES6_EE10hipError_tPvRmT2_T3_T4_T5_mT6_T7_P12ihipStream_tbENKUlT_T0_E_clISt17integral_constantIbLb1EES13_EEDaSY_SZ_EUlSY_E_NS1_11comp_targetILNS1_3genE2ELNS1_11target_archE906ELNS1_3gpuE6ELNS1_3repE0EEENS1_30default_config_static_selectorELNS0_4arch9wavefront6targetE0EEEvT1_ ; -- Begin function _ZN7rocprim17ROCPRIM_400000_NS6detail17trampoline_kernelINS0_14default_configENS1_27scan_by_key_config_selectorIj11FixedVectorIiLj8EEEEZZNS1_16scan_by_key_implILNS1_25lookback_scan_determinismE0ELb0ES3_N6thrust23THRUST_200600_302600_NS6detail15normal_iteratorINSB_10device_ptrIjEEEENSD_INSE_IS6_EEEESI_S6_NSB_4plusIvEENSB_8equal_toIvEES6_EE10hipError_tPvRmT2_T3_T4_T5_mT6_T7_P12ihipStream_tbENKUlT_T0_E_clISt17integral_constantIbLb1EES13_EEDaSY_SZ_EUlSY_E_NS1_11comp_targetILNS1_3genE2ELNS1_11target_archE906ELNS1_3gpuE6ELNS1_3repE0EEENS1_30default_config_static_selectorELNS0_4arch9wavefront6targetE0EEEvT1_
	.globl	_ZN7rocprim17ROCPRIM_400000_NS6detail17trampoline_kernelINS0_14default_configENS1_27scan_by_key_config_selectorIj11FixedVectorIiLj8EEEEZZNS1_16scan_by_key_implILNS1_25lookback_scan_determinismE0ELb0ES3_N6thrust23THRUST_200600_302600_NS6detail15normal_iteratorINSB_10device_ptrIjEEEENSD_INSE_IS6_EEEESI_S6_NSB_4plusIvEENSB_8equal_toIvEES6_EE10hipError_tPvRmT2_T3_T4_T5_mT6_T7_P12ihipStream_tbENKUlT_T0_E_clISt17integral_constantIbLb1EES13_EEDaSY_SZ_EUlSY_E_NS1_11comp_targetILNS1_3genE2ELNS1_11target_archE906ELNS1_3gpuE6ELNS1_3repE0EEENS1_30default_config_static_selectorELNS0_4arch9wavefront6targetE0EEEvT1_
	.p2align	8
	.type	_ZN7rocprim17ROCPRIM_400000_NS6detail17trampoline_kernelINS0_14default_configENS1_27scan_by_key_config_selectorIj11FixedVectorIiLj8EEEEZZNS1_16scan_by_key_implILNS1_25lookback_scan_determinismE0ELb0ES3_N6thrust23THRUST_200600_302600_NS6detail15normal_iteratorINSB_10device_ptrIjEEEENSD_INSE_IS6_EEEESI_S6_NSB_4plusIvEENSB_8equal_toIvEES6_EE10hipError_tPvRmT2_T3_T4_T5_mT6_T7_P12ihipStream_tbENKUlT_T0_E_clISt17integral_constantIbLb1EES13_EEDaSY_SZ_EUlSY_E_NS1_11comp_targetILNS1_3genE2ELNS1_11target_archE906ELNS1_3gpuE6ELNS1_3repE0EEENS1_30default_config_static_selectorELNS0_4arch9wavefront6targetE0EEEvT1_,@function
_ZN7rocprim17ROCPRIM_400000_NS6detail17trampoline_kernelINS0_14default_configENS1_27scan_by_key_config_selectorIj11FixedVectorIiLj8EEEEZZNS1_16scan_by_key_implILNS1_25lookback_scan_determinismE0ELb0ES3_N6thrust23THRUST_200600_302600_NS6detail15normal_iteratorINSB_10device_ptrIjEEEENSD_INSE_IS6_EEEESI_S6_NSB_4plusIvEENSB_8equal_toIvEES6_EE10hipError_tPvRmT2_T3_T4_T5_mT6_T7_P12ihipStream_tbENKUlT_T0_E_clISt17integral_constantIbLb1EES13_EEDaSY_SZ_EUlSY_E_NS1_11comp_targetILNS1_3genE2ELNS1_11target_archE906ELNS1_3gpuE6ELNS1_3repE0EEENS1_30default_config_static_selectorELNS0_4arch9wavefront6targetE0EEEvT1_: ; @_ZN7rocprim17ROCPRIM_400000_NS6detail17trampoline_kernelINS0_14default_configENS1_27scan_by_key_config_selectorIj11FixedVectorIiLj8EEEEZZNS1_16scan_by_key_implILNS1_25lookback_scan_determinismE0ELb0ES3_N6thrust23THRUST_200600_302600_NS6detail15normal_iteratorINSB_10device_ptrIjEEEENSD_INSE_IS6_EEEESI_S6_NSB_4plusIvEENSB_8equal_toIvEES6_EE10hipError_tPvRmT2_T3_T4_T5_mT6_T7_P12ihipStream_tbENKUlT_T0_E_clISt17integral_constantIbLb1EES13_EEDaSY_SZ_EUlSY_E_NS1_11comp_targetILNS1_3genE2ELNS1_11target_archE906ELNS1_3gpuE6ELNS1_3repE0EEENS1_30default_config_static_selectorELNS0_4arch9wavefront6targetE0EEEvT1_
; %bb.0:
	.section	.rodata,"a",@progbits
	.p2align	6, 0x0
	.amdhsa_kernel _ZN7rocprim17ROCPRIM_400000_NS6detail17trampoline_kernelINS0_14default_configENS1_27scan_by_key_config_selectorIj11FixedVectorIiLj8EEEEZZNS1_16scan_by_key_implILNS1_25lookback_scan_determinismE0ELb0ES3_N6thrust23THRUST_200600_302600_NS6detail15normal_iteratorINSB_10device_ptrIjEEEENSD_INSE_IS6_EEEESI_S6_NSB_4plusIvEENSB_8equal_toIvEES6_EE10hipError_tPvRmT2_T3_T4_T5_mT6_T7_P12ihipStream_tbENKUlT_T0_E_clISt17integral_constantIbLb1EES13_EEDaSY_SZ_EUlSY_E_NS1_11comp_targetILNS1_3genE2ELNS1_11target_archE906ELNS1_3gpuE6ELNS1_3repE0EEENS1_30default_config_static_selectorELNS0_4arch9wavefront6targetE0EEEvT1_
		.amdhsa_group_segment_fixed_size 0
		.amdhsa_private_segment_fixed_size 0
		.amdhsa_kernarg_size 160
		.amdhsa_user_sgpr_count 6
		.amdhsa_user_sgpr_private_segment_buffer 1
		.amdhsa_user_sgpr_dispatch_ptr 0
		.amdhsa_user_sgpr_queue_ptr 0
		.amdhsa_user_sgpr_kernarg_segment_ptr 1
		.amdhsa_user_sgpr_dispatch_id 0
		.amdhsa_user_sgpr_flat_scratch_init 0
		.amdhsa_user_sgpr_private_segment_size 0
		.amdhsa_wavefront_size32 1
		.amdhsa_uses_dynamic_stack 0
		.amdhsa_system_sgpr_private_segment_wavefront_offset 0
		.amdhsa_system_sgpr_workgroup_id_x 1
		.amdhsa_system_sgpr_workgroup_id_y 0
		.amdhsa_system_sgpr_workgroup_id_z 0
		.amdhsa_system_sgpr_workgroup_info 0
		.amdhsa_system_vgpr_workitem_id 0
		.amdhsa_next_free_vgpr 1
		.amdhsa_next_free_sgpr 1
		.amdhsa_reserve_vcc 0
		.amdhsa_reserve_flat_scratch 0
		.amdhsa_float_round_mode_32 0
		.amdhsa_float_round_mode_16_64 0
		.amdhsa_float_denorm_mode_32 3
		.amdhsa_float_denorm_mode_16_64 3
		.amdhsa_dx10_clamp 1
		.amdhsa_ieee_mode 1
		.amdhsa_fp16_overflow 0
		.amdhsa_workgroup_processor_mode 1
		.amdhsa_memory_ordered 1
		.amdhsa_forward_progress 1
		.amdhsa_shared_vgpr_count 0
		.amdhsa_exception_fp_ieee_invalid_op 0
		.amdhsa_exception_fp_denorm_src 0
		.amdhsa_exception_fp_ieee_div_zero 0
		.amdhsa_exception_fp_ieee_overflow 0
		.amdhsa_exception_fp_ieee_underflow 0
		.amdhsa_exception_fp_ieee_inexact 0
		.amdhsa_exception_int_div_zero 0
	.end_amdhsa_kernel
	.section	.text._ZN7rocprim17ROCPRIM_400000_NS6detail17trampoline_kernelINS0_14default_configENS1_27scan_by_key_config_selectorIj11FixedVectorIiLj8EEEEZZNS1_16scan_by_key_implILNS1_25lookback_scan_determinismE0ELb0ES3_N6thrust23THRUST_200600_302600_NS6detail15normal_iteratorINSB_10device_ptrIjEEEENSD_INSE_IS6_EEEESI_S6_NSB_4plusIvEENSB_8equal_toIvEES6_EE10hipError_tPvRmT2_T3_T4_T5_mT6_T7_P12ihipStream_tbENKUlT_T0_E_clISt17integral_constantIbLb1EES13_EEDaSY_SZ_EUlSY_E_NS1_11comp_targetILNS1_3genE2ELNS1_11target_archE906ELNS1_3gpuE6ELNS1_3repE0EEENS1_30default_config_static_selectorELNS0_4arch9wavefront6targetE0EEEvT1_,"axG",@progbits,_ZN7rocprim17ROCPRIM_400000_NS6detail17trampoline_kernelINS0_14default_configENS1_27scan_by_key_config_selectorIj11FixedVectorIiLj8EEEEZZNS1_16scan_by_key_implILNS1_25lookback_scan_determinismE0ELb0ES3_N6thrust23THRUST_200600_302600_NS6detail15normal_iteratorINSB_10device_ptrIjEEEENSD_INSE_IS6_EEEESI_S6_NSB_4plusIvEENSB_8equal_toIvEES6_EE10hipError_tPvRmT2_T3_T4_T5_mT6_T7_P12ihipStream_tbENKUlT_T0_E_clISt17integral_constantIbLb1EES13_EEDaSY_SZ_EUlSY_E_NS1_11comp_targetILNS1_3genE2ELNS1_11target_archE906ELNS1_3gpuE6ELNS1_3repE0EEENS1_30default_config_static_selectorELNS0_4arch9wavefront6targetE0EEEvT1_,comdat
.Lfunc_end2131:
	.size	_ZN7rocprim17ROCPRIM_400000_NS6detail17trampoline_kernelINS0_14default_configENS1_27scan_by_key_config_selectorIj11FixedVectorIiLj8EEEEZZNS1_16scan_by_key_implILNS1_25lookback_scan_determinismE0ELb0ES3_N6thrust23THRUST_200600_302600_NS6detail15normal_iteratorINSB_10device_ptrIjEEEENSD_INSE_IS6_EEEESI_S6_NSB_4plusIvEENSB_8equal_toIvEES6_EE10hipError_tPvRmT2_T3_T4_T5_mT6_T7_P12ihipStream_tbENKUlT_T0_E_clISt17integral_constantIbLb1EES13_EEDaSY_SZ_EUlSY_E_NS1_11comp_targetILNS1_3genE2ELNS1_11target_archE906ELNS1_3gpuE6ELNS1_3repE0EEENS1_30default_config_static_selectorELNS0_4arch9wavefront6targetE0EEEvT1_, .Lfunc_end2131-_ZN7rocprim17ROCPRIM_400000_NS6detail17trampoline_kernelINS0_14default_configENS1_27scan_by_key_config_selectorIj11FixedVectorIiLj8EEEEZZNS1_16scan_by_key_implILNS1_25lookback_scan_determinismE0ELb0ES3_N6thrust23THRUST_200600_302600_NS6detail15normal_iteratorINSB_10device_ptrIjEEEENSD_INSE_IS6_EEEESI_S6_NSB_4plusIvEENSB_8equal_toIvEES6_EE10hipError_tPvRmT2_T3_T4_T5_mT6_T7_P12ihipStream_tbENKUlT_T0_E_clISt17integral_constantIbLb1EES13_EEDaSY_SZ_EUlSY_E_NS1_11comp_targetILNS1_3genE2ELNS1_11target_archE906ELNS1_3gpuE6ELNS1_3repE0EEENS1_30default_config_static_selectorELNS0_4arch9wavefront6targetE0EEEvT1_
                                        ; -- End function
	.set _ZN7rocprim17ROCPRIM_400000_NS6detail17trampoline_kernelINS0_14default_configENS1_27scan_by_key_config_selectorIj11FixedVectorIiLj8EEEEZZNS1_16scan_by_key_implILNS1_25lookback_scan_determinismE0ELb0ES3_N6thrust23THRUST_200600_302600_NS6detail15normal_iteratorINSB_10device_ptrIjEEEENSD_INSE_IS6_EEEESI_S6_NSB_4plusIvEENSB_8equal_toIvEES6_EE10hipError_tPvRmT2_T3_T4_T5_mT6_T7_P12ihipStream_tbENKUlT_T0_E_clISt17integral_constantIbLb1EES13_EEDaSY_SZ_EUlSY_E_NS1_11comp_targetILNS1_3genE2ELNS1_11target_archE906ELNS1_3gpuE6ELNS1_3repE0EEENS1_30default_config_static_selectorELNS0_4arch9wavefront6targetE0EEEvT1_.num_vgpr, 0
	.set _ZN7rocprim17ROCPRIM_400000_NS6detail17trampoline_kernelINS0_14default_configENS1_27scan_by_key_config_selectorIj11FixedVectorIiLj8EEEEZZNS1_16scan_by_key_implILNS1_25lookback_scan_determinismE0ELb0ES3_N6thrust23THRUST_200600_302600_NS6detail15normal_iteratorINSB_10device_ptrIjEEEENSD_INSE_IS6_EEEESI_S6_NSB_4plusIvEENSB_8equal_toIvEES6_EE10hipError_tPvRmT2_T3_T4_T5_mT6_T7_P12ihipStream_tbENKUlT_T0_E_clISt17integral_constantIbLb1EES13_EEDaSY_SZ_EUlSY_E_NS1_11comp_targetILNS1_3genE2ELNS1_11target_archE906ELNS1_3gpuE6ELNS1_3repE0EEENS1_30default_config_static_selectorELNS0_4arch9wavefront6targetE0EEEvT1_.num_agpr, 0
	.set _ZN7rocprim17ROCPRIM_400000_NS6detail17trampoline_kernelINS0_14default_configENS1_27scan_by_key_config_selectorIj11FixedVectorIiLj8EEEEZZNS1_16scan_by_key_implILNS1_25lookback_scan_determinismE0ELb0ES3_N6thrust23THRUST_200600_302600_NS6detail15normal_iteratorINSB_10device_ptrIjEEEENSD_INSE_IS6_EEEESI_S6_NSB_4plusIvEENSB_8equal_toIvEES6_EE10hipError_tPvRmT2_T3_T4_T5_mT6_T7_P12ihipStream_tbENKUlT_T0_E_clISt17integral_constantIbLb1EES13_EEDaSY_SZ_EUlSY_E_NS1_11comp_targetILNS1_3genE2ELNS1_11target_archE906ELNS1_3gpuE6ELNS1_3repE0EEENS1_30default_config_static_selectorELNS0_4arch9wavefront6targetE0EEEvT1_.numbered_sgpr, 0
	.set _ZN7rocprim17ROCPRIM_400000_NS6detail17trampoline_kernelINS0_14default_configENS1_27scan_by_key_config_selectorIj11FixedVectorIiLj8EEEEZZNS1_16scan_by_key_implILNS1_25lookback_scan_determinismE0ELb0ES3_N6thrust23THRUST_200600_302600_NS6detail15normal_iteratorINSB_10device_ptrIjEEEENSD_INSE_IS6_EEEESI_S6_NSB_4plusIvEENSB_8equal_toIvEES6_EE10hipError_tPvRmT2_T3_T4_T5_mT6_T7_P12ihipStream_tbENKUlT_T0_E_clISt17integral_constantIbLb1EES13_EEDaSY_SZ_EUlSY_E_NS1_11comp_targetILNS1_3genE2ELNS1_11target_archE906ELNS1_3gpuE6ELNS1_3repE0EEENS1_30default_config_static_selectorELNS0_4arch9wavefront6targetE0EEEvT1_.num_named_barrier, 0
	.set _ZN7rocprim17ROCPRIM_400000_NS6detail17trampoline_kernelINS0_14default_configENS1_27scan_by_key_config_selectorIj11FixedVectorIiLj8EEEEZZNS1_16scan_by_key_implILNS1_25lookback_scan_determinismE0ELb0ES3_N6thrust23THRUST_200600_302600_NS6detail15normal_iteratorINSB_10device_ptrIjEEEENSD_INSE_IS6_EEEESI_S6_NSB_4plusIvEENSB_8equal_toIvEES6_EE10hipError_tPvRmT2_T3_T4_T5_mT6_T7_P12ihipStream_tbENKUlT_T0_E_clISt17integral_constantIbLb1EES13_EEDaSY_SZ_EUlSY_E_NS1_11comp_targetILNS1_3genE2ELNS1_11target_archE906ELNS1_3gpuE6ELNS1_3repE0EEENS1_30default_config_static_selectorELNS0_4arch9wavefront6targetE0EEEvT1_.private_seg_size, 0
	.set _ZN7rocprim17ROCPRIM_400000_NS6detail17trampoline_kernelINS0_14default_configENS1_27scan_by_key_config_selectorIj11FixedVectorIiLj8EEEEZZNS1_16scan_by_key_implILNS1_25lookback_scan_determinismE0ELb0ES3_N6thrust23THRUST_200600_302600_NS6detail15normal_iteratorINSB_10device_ptrIjEEEENSD_INSE_IS6_EEEESI_S6_NSB_4plusIvEENSB_8equal_toIvEES6_EE10hipError_tPvRmT2_T3_T4_T5_mT6_T7_P12ihipStream_tbENKUlT_T0_E_clISt17integral_constantIbLb1EES13_EEDaSY_SZ_EUlSY_E_NS1_11comp_targetILNS1_3genE2ELNS1_11target_archE906ELNS1_3gpuE6ELNS1_3repE0EEENS1_30default_config_static_selectorELNS0_4arch9wavefront6targetE0EEEvT1_.uses_vcc, 0
	.set _ZN7rocprim17ROCPRIM_400000_NS6detail17trampoline_kernelINS0_14default_configENS1_27scan_by_key_config_selectorIj11FixedVectorIiLj8EEEEZZNS1_16scan_by_key_implILNS1_25lookback_scan_determinismE0ELb0ES3_N6thrust23THRUST_200600_302600_NS6detail15normal_iteratorINSB_10device_ptrIjEEEENSD_INSE_IS6_EEEESI_S6_NSB_4plusIvEENSB_8equal_toIvEES6_EE10hipError_tPvRmT2_T3_T4_T5_mT6_T7_P12ihipStream_tbENKUlT_T0_E_clISt17integral_constantIbLb1EES13_EEDaSY_SZ_EUlSY_E_NS1_11comp_targetILNS1_3genE2ELNS1_11target_archE906ELNS1_3gpuE6ELNS1_3repE0EEENS1_30default_config_static_selectorELNS0_4arch9wavefront6targetE0EEEvT1_.uses_flat_scratch, 0
	.set _ZN7rocprim17ROCPRIM_400000_NS6detail17trampoline_kernelINS0_14default_configENS1_27scan_by_key_config_selectorIj11FixedVectorIiLj8EEEEZZNS1_16scan_by_key_implILNS1_25lookback_scan_determinismE0ELb0ES3_N6thrust23THRUST_200600_302600_NS6detail15normal_iteratorINSB_10device_ptrIjEEEENSD_INSE_IS6_EEEESI_S6_NSB_4plusIvEENSB_8equal_toIvEES6_EE10hipError_tPvRmT2_T3_T4_T5_mT6_T7_P12ihipStream_tbENKUlT_T0_E_clISt17integral_constantIbLb1EES13_EEDaSY_SZ_EUlSY_E_NS1_11comp_targetILNS1_3genE2ELNS1_11target_archE906ELNS1_3gpuE6ELNS1_3repE0EEENS1_30default_config_static_selectorELNS0_4arch9wavefront6targetE0EEEvT1_.has_dyn_sized_stack, 0
	.set _ZN7rocprim17ROCPRIM_400000_NS6detail17trampoline_kernelINS0_14default_configENS1_27scan_by_key_config_selectorIj11FixedVectorIiLj8EEEEZZNS1_16scan_by_key_implILNS1_25lookback_scan_determinismE0ELb0ES3_N6thrust23THRUST_200600_302600_NS6detail15normal_iteratorINSB_10device_ptrIjEEEENSD_INSE_IS6_EEEESI_S6_NSB_4plusIvEENSB_8equal_toIvEES6_EE10hipError_tPvRmT2_T3_T4_T5_mT6_T7_P12ihipStream_tbENKUlT_T0_E_clISt17integral_constantIbLb1EES13_EEDaSY_SZ_EUlSY_E_NS1_11comp_targetILNS1_3genE2ELNS1_11target_archE906ELNS1_3gpuE6ELNS1_3repE0EEENS1_30default_config_static_selectorELNS0_4arch9wavefront6targetE0EEEvT1_.has_recursion, 0
	.set _ZN7rocprim17ROCPRIM_400000_NS6detail17trampoline_kernelINS0_14default_configENS1_27scan_by_key_config_selectorIj11FixedVectorIiLj8EEEEZZNS1_16scan_by_key_implILNS1_25lookback_scan_determinismE0ELb0ES3_N6thrust23THRUST_200600_302600_NS6detail15normal_iteratorINSB_10device_ptrIjEEEENSD_INSE_IS6_EEEESI_S6_NSB_4plusIvEENSB_8equal_toIvEES6_EE10hipError_tPvRmT2_T3_T4_T5_mT6_T7_P12ihipStream_tbENKUlT_T0_E_clISt17integral_constantIbLb1EES13_EEDaSY_SZ_EUlSY_E_NS1_11comp_targetILNS1_3genE2ELNS1_11target_archE906ELNS1_3gpuE6ELNS1_3repE0EEENS1_30default_config_static_selectorELNS0_4arch9wavefront6targetE0EEEvT1_.has_indirect_call, 0
	.section	.AMDGPU.csdata,"",@progbits
; Kernel info:
; codeLenInByte = 0
; TotalNumSgprs: 0
; NumVgprs: 0
; ScratchSize: 0
; MemoryBound: 0
; FloatMode: 240
; IeeeMode: 1
; LDSByteSize: 0 bytes/workgroup (compile time only)
; SGPRBlocks: 0
; VGPRBlocks: 0
; NumSGPRsForWavesPerEU: 1
; NumVGPRsForWavesPerEU: 1
; Occupancy: 16
; WaveLimiterHint : 0
; COMPUTE_PGM_RSRC2:SCRATCH_EN: 0
; COMPUTE_PGM_RSRC2:USER_SGPR: 6
; COMPUTE_PGM_RSRC2:TRAP_HANDLER: 0
; COMPUTE_PGM_RSRC2:TGID_X_EN: 1
; COMPUTE_PGM_RSRC2:TGID_Y_EN: 0
; COMPUTE_PGM_RSRC2:TGID_Z_EN: 0
; COMPUTE_PGM_RSRC2:TIDIG_COMP_CNT: 0
	.section	.text._ZN7rocprim17ROCPRIM_400000_NS6detail17trampoline_kernelINS0_14default_configENS1_27scan_by_key_config_selectorIj11FixedVectorIiLj8EEEEZZNS1_16scan_by_key_implILNS1_25lookback_scan_determinismE0ELb0ES3_N6thrust23THRUST_200600_302600_NS6detail15normal_iteratorINSB_10device_ptrIjEEEENSD_INSE_IS6_EEEESI_S6_NSB_4plusIvEENSB_8equal_toIvEES6_EE10hipError_tPvRmT2_T3_T4_T5_mT6_T7_P12ihipStream_tbENKUlT_T0_E_clISt17integral_constantIbLb1EES13_EEDaSY_SZ_EUlSY_E_NS1_11comp_targetILNS1_3genE10ELNS1_11target_archE1200ELNS1_3gpuE4ELNS1_3repE0EEENS1_30default_config_static_selectorELNS0_4arch9wavefront6targetE0EEEvT1_,"axG",@progbits,_ZN7rocprim17ROCPRIM_400000_NS6detail17trampoline_kernelINS0_14default_configENS1_27scan_by_key_config_selectorIj11FixedVectorIiLj8EEEEZZNS1_16scan_by_key_implILNS1_25lookback_scan_determinismE0ELb0ES3_N6thrust23THRUST_200600_302600_NS6detail15normal_iteratorINSB_10device_ptrIjEEEENSD_INSE_IS6_EEEESI_S6_NSB_4plusIvEENSB_8equal_toIvEES6_EE10hipError_tPvRmT2_T3_T4_T5_mT6_T7_P12ihipStream_tbENKUlT_T0_E_clISt17integral_constantIbLb1EES13_EEDaSY_SZ_EUlSY_E_NS1_11comp_targetILNS1_3genE10ELNS1_11target_archE1200ELNS1_3gpuE4ELNS1_3repE0EEENS1_30default_config_static_selectorELNS0_4arch9wavefront6targetE0EEEvT1_,comdat
	.protected	_ZN7rocprim17ROCPRIM_400000_NS6detail17trampoline_kernelINS0_14default_configENS1_27scan_by_key_config_selectorIj11FixedVectorIiLj8EEEEZZNS1_16scan_by_key_implILNS1_25lookback_scan_determinismE0ELb0ES3_N6thrust23THRUST_200600_302600_NS6detail15normal_iteratorINSB_10device_ptrIjEEEENSD_INSE_IS6_EEEESI_S6_NSB_4plusIvEENSB_8equal_toIvEES6_EE10hipError_tPvRmT2_T3_T4_T5_mT6_T7_P12ihipStream_tbENKUlT_T0_E_clISt17integral_constantIbLb1EES13_EEDaSY_SZ_EUlSY_E_NS1_11comp_targetILNS1_3genE10ELNS1_11target_archE1200ELNS1_3gpuE4ELNS1_3repE0EEENS1_30default_config_static_selectorELNS0_4arch9wavefront6targetE0EEEvT1_ ; -- Begin function _ZN7rocprim17ROCPRIM_400000_NS6detail17trampoline_kernelINS0_14default_configENS1_27scan_by_key_config_selectorIj11FixedVectorIiLj8EEEEZZNS1_16scan_by_key_implILNS1_25lookback_scan_determinismE0ELb0ES3_N6thrust23THRUST_200600_302600_NS6detail15normal_iteratorINSB_10device_ptrIjEEEENSD_INSE_IS6_EEEESI_S6_NSB_4plusIvEENSB_8equal_toIvEES6_EE10hipError_tPvRmT2_T3_T4_T5_mT6_T7_P12ihipStream_tbENKUlT_T0_E_clISt17integral_constantIbLb1EES13_EEDaSY_SZ_EUlSY_E_NS1_11comp_targetILNS1_3genE10ELNS1_11target_archE1200ELNS1_3gpuE4ELNS1_3repE0EEENS1_30default_config_static_selectorELNS0_4arch9wavefront6targetE0EEEvT1_
	.globl	_ZN7rocprim17ROCPRIM_400000_NS6detail17trampoline_kernelINS0_14default_configENS1_27scan_by_key_config_selectorIj11FixedVectorIiLj8EEEEZZNS1_16scan_by_key_implILNS1_25lookback_scan_determinismE0ELb0ES3_N6thrust23THRUST_200600_302600_NS6detail15normal_iteratorINSB_10device_ptrIjEEEENSD_INSE_IS6_EEEESI_S6_NSB_4plusIvEENSB_8equal_toIvEES6_EE10hipError_tPvRmT2_T3_T4_T5_mT6_T7_P12ihipStream_tbENKUlT_T0_E_clISt17integral_constantIbLb1EES13_EEDaSY_SZ_EUlSY_E_NS1_11comp_targetILNS1_3genE10ELNS1_11target_archE1200ELNS1_3gpuE4ELNS1_3repE0EEENS1_30default_config_static_selectorELNS0_4arch9wavefront6targetE0EEEvT1_
	.p2align	8
	.type	_ZN7rocprim17ROCPRIM_400000_NS6detail17trampoline_kernelINS0_14default_configENS1_27scan_by_key_config_selectorIj11FixedVectorIiLj8EEEEZZNS1_16scan_by_key_implILNS1_25lookback_scan_determinismE0ELb0ES3_N6thrust23THRUST_200600_302600_NS6detail15normal_iteratorINSB_10device_ptrIjEEEENSD_INSE_IS6_EEEESI_S6_NSB_4plusIvEENSB_8equal_toIvEES6_EE10hipError_tPvRmT2_T3_T4_T5_mT6_T7_P12ihipStream_tbENKUlT_T0_E_clISt17integral_constantIbLb1EES13_EEDaSY_SZ_EUlSY_E_NS1_11comp_targetILNS1_3genE10ELNS1_11target_archE1200ELNS1_3gpuE4ELNS1_3repE0EEENS1_30default_config_static_selectorELNS0_4arch9wavefront6targetE0EEEvT1_,@function
_ZN7rocprim17ROCPRIM_400000_NS6detail17trampoline_kernelINS0_14default_configENS1_27scan_by_key_config_selectorIj11FixedVectorIiLj8EEEEZZNS1_16scan_by_key_implILNS1_25lookback_scan_determinismE0ELb0ES3_N6thrust23THRUST_200600_302600_NS6detail15normal_iteratorINSB_10device_ptrIjEEEENSD_INSE_IS6_EEEESI_S6_NSB_4plusIvEENSB_8equal_toIvEES6_EE10hipError_tPvRmT2_T3_T4_T5_mT6_T7_P12ihipStream_tbENKUlT_T0_E_clISt17integral_constantIbLb1EES13_EEDaSY_SZ_EUlSY_E_NS1_11comp_targetILNS1_3genE10ELNS1_11target_archE1200ELNS1_3gpuE4ELNS1_3repE0EEENS1_30default_config_static_selectorELNS0_4arch9wavefront6targetE0EEEvT1_: ; @_ZN7rocprim17ROCPRIM_400000_NS6detail17trampoline_kernelINS0_14default_configENS1_27scan_by_key_config_selectorIj11FixedVectorIiLj8EEEEZZNS1_16scan_by_key_implILNS1_25lookback_scan_determinismE0ELb0ES3_N6thrust23THRUST_200600_302600_NS6detail15normal_iteratorINSB_10device_ptrIjEEEENSD_INSE_IS6_EEEESI_S6_NSB_4plusIvEENSB_8equal_toIvEES6_EE10hipError_tPvRmT2_T3_T4_T5_mT6_T7_P12ihipStream_tbENKUlT_T0_E_clISt17integral_constantIbLb1EES13_EEDaSY_SZ_EUlSY_E_NS1_11comp_targetILNS1_3genE10ELNS1_11target_archE1200ELNS1_3gpuE4ELNS1_3repE0EEENS1_30default_config_static_selectorELNS0_4arch9wavefront6targetE0EEEvT1_
; %bb.0:
	.section	.rodata,"a",@progbits
	.p2align	6, 0x0
	.amdhsa_kernel _ZN7rocprim17ROCPRIM_400000_NS6detail17trampoline_kernelINS0_14default_configENS1_27scan_by_key_config_selectorIj11FixedVectorIiLj8EEEEZZNS1_16scan_by_key_implILNS1_25lookback_scan_determinismE0ELb0ES3_N6thrust23THRUST_200600_302600_NS6detail15normal_iteratorINSB_10device_ptrIjEEEENSD_INSE_IS6_EEEESI_S6_NSB_4plusIvEENSB_8equal_toIvEES6_EE10hipError_tPvRmT2_T3_T4_T5_mT6_T7_P12ihipStream_tbENKUlT_T0_E_clISt17integral_constantIbLb1EES13_EEDaSY_SZ_EUlSY_E_NS1_11comp_targetILNS1_3genE10ELNS1_11target_archE1200ELNS1_3gpuE4ELNS1_3repE0EEENS1_30default_config_static_selectorELNS0_4arch9wavefront6targetE0EEEvT1_
		.amdhsa_group_segment_fixed_size 0
		.amdhsa_private_segment_fixed_size 0
		.amdhsa_kernarg_size 160
		.amdhsa_user_sgpr_count 6
		.amdhsa_user_sgpr_private_segment_buffer 1
		.amdhsa_user_sgpr_dispatch_ptr 0
		.amdhsa_user_sgpr_queue_ptr 0
		.amdhsa_user_sgpr_kernarg_segment_ptr 1
		.amdhsa_user_sgpr_dispatch_id 0
		.amdhsa_user_sgpr_flat_scratch_init 0
		.amdhsa_user_sgpr_private_segment_size 0
		.amdhsa_wavefront_size32 1
		.amdhsa_uses_dynamic_stack 0
		.amdhsa_system_sgpr_private_segment_wavefront_offset 0
		.amdhsa_system_sgpr_workgroup_id_x 1
		.amdhsa_system_sgpr_workgroup_id_y 0
		.amdhsa_system_sgpr_workgroup_id_z 0
		.amdhsa_system_sgpr_workgroup_info 0
		.amdhsa_system_vgpr_workitem_id 0
		.amdhsa_next_free_vgpr 1
		.amdhsa_next_free_sgpr 1
		.amdhsa_reserve_vcc 0
		.amdhsa_reserve_flat_scratch 0
		.amdhsa_float_round_mode_32 0
		.amdhsa_float_round_mode_16_64 0
		.amdhsa_float_denorm_mode_32 3
		.amdhsa_float_denorm_mode_16_64 3
		.amdhsa_dx10_clamp 1
		.amdhsa_ieee_mode 1
		.amdhsa_fp16_overflow 0
		.amdhsa_workgroup_processor_mode 1
		.amdhsa_memory_ordered 1
		.amdhsa_forward_progress 1
		.amdhsa_shared_vgpr_count 0
		.amdhsa_exception_fp_ieee_invalid_op 0
		.amdhsa_exception_fp_denorm_src 0
		.amdhsa_exception_fp_ieee_div_zero 0
		.amdhsa_exception_fp_ieee_overflow 0
		.amdhsa_exception_fp_ieee_underflow 0
		.amdhsa_exception_fp_ieee_inexact 0
		.amdhsa_exception_int_div_zero 0
	.end_amdhsa_kernel
	.section	.text._ZN7rocprim17ROCPRIM_400000_NS6detail17trampoline_kernelINS0_14default_configENS1_27scan_by_key_config_selectorIj11FixedVectorIiLj8EEEEZZNS1_16scan_by_key_implILNS1_25lookback_scan_determinismE0ELb0ES3_N6thrust23THRUST_200600_302600_NS6detail15normal_iteratorINSB_10device_ptrIjEEEENSD_INSE_IS6_EEEESI_S6_NSB_4plusIvEENSB_8equal_toIvEES6_EE10hipError_tPvRmT2_T3_T4_T5_mT6_T7_P12ihipStream_tbENKUlT_T0_E_clISt17integral_constantIbLb1EES13_EEDaSY_SZ_EUlSY_E_NS1_11comp_targetILNS1_3genE10ELNS1_11target_archE1200ELNS1_3gpuE4ELNS1_3repE0EEENS1_30default_config_static_selectorELNS0_4arch9wavefront6targetE0EEEvT1_,"axG",@progbits,_ZN7rocprim17ROCPRIM_400000_NS6detail17trampoline_kernelINS0_14default_configENS1_27scan_by_key_config_selectorIj11FixedVectorIiLj8EEEEZZNS1_16scan_by_key_implILNS1_25lookback_scan_determinismE0ELb0ES3_N6thrust23THRUST_200600_302600_NS6detail15normal_iteratorINSB_10device_ptrIjEEEENSD_INSE_IS6_EEEESI_S6_NSB_4plusIvEENSB_8equal_toIvEES6_EE10hipError_tPvRmT2_T3_T4_T5_mT6_T7_P12ihipStream_tbENKUlT_T0_E_clISt17integral_constantIbLb1EES13_EEDaSY_SZ_EUlSY_E_NS1_11comp_targetILNS1_3genE10ELNS1_11target_archE1200ELNS1_3gpuE4ELNS1_3repE0EEENS1_30default_config_static_selectorELNS0_4arch9wavefront6targetE0EEEvT1_,comdat
.Lfunc_end2132:
	.size	_ZN7rocprim17ROCPRIM_400000_NS6detail17trampoline_kernelINS0_14default_configENS1_27scan_by_key_config_selectorIj11FixedVectorIiLj8EEEEZZNS1_16scan_by_key_implILNS1_25lookback_scan_determinismE0ELb0ES3_N6thrust23THRUST_200600_302600_NS6detail15normal_iteratorINSB_10device_ptrIjEEEENSD_INSE_IS6_EEEESI_S6_NSB_4plusIvEENSB_8equal_toIvEES6_EE10hipError_tPvRmT2_T3_T4_T5_mT6_T7_P12ihipStream_tbENKUlT_T0_E_clISt17integral_constantIbLb1EES13_EEDaSY_SZ_EUlSY_E_NS1_11comp_targetILNS1_3genE10ELNS1_11target_archE1200ELNS1_3gpuE4ELNS1_3repE0EEENS1_30default_config_static_selectorELNS0_4arch9wavefront6targetE0EEEvT1_, .Lfunc_end2132-_ZN7rocprim17ROCPRIM_400000_NS6detail17trampoline_kernelINS0_14default_configENS1_27scan_by_key_config_selectorIj11FixedVectorIiLj8EEEEZZNS1_16scan_by_key_implILNS1_25lookback_scan_determinismE0ELb0ES3_N6thrust23THRUST_200600_302600_NS6detail15normal_iteratorINSB_10device_ptrIjEEEENSD_INSE_IS6_EEEESI_S6_NSB_4plusIvEENSB_8equal_toIvEES6_EE10hipError_tPvRmT2_T3_T4_T5_mT6_T7_P12ihipStream_tbENKUlT_T0_E_clISt17integral_constantIbLb1EES13_EEDaSY_SZ_EUlSY_E_NS1_11comp_targetILNS1_3genE10ELNS1_11target_archE1200ELNS1_3gpuE4ELNS1_3repE0EEENS1_30default_config_static_selectorELNS0_4arch9wavefront6targetE0EEEvT1_
                                        ; -- End function
	.set _ZN7rocprim17ROCPRIM_400000_NS6detail17trampoline_kernelINS0_14default_configENS1_27scan_by_key_config_selectorIj11FixedVectorIiLj8EEEEZZNS1_16scan_by_key_implILNS1_25lookback_scan_determinismE0ELb0ES3_N6thrust23THRUST_200600_302600_NS6detail15normal_iteratorINSB_10device_ptrIjEEEENSD_INSE_IS6_EEEESI_S6_NSB_4plusIvEENSB_8equal_toIvEES6_EE10hipError_tPvRmT2_T3_T4_T5_mT6_T7_P12ihipStream_tbENKUlT_T0_E_clISt17integral_constantIbLb1EES13_EEDaSY_SZ_EUlSY_E_NS1_11comp_targetILNS1_3genE10ELNS1_11target_archE1200ELNS1_3gpuE4ELNS1_3repE0EEENS1_30default_config_static_selectorELNS0_4arch9wavefront6targetE0EEEvT1_.num_vgpr, 0
	.set _ZN7rocprim17ROCPRIM_400000_NS6detail17trampoline_kernelINS0_14default_configENS1_27scan_by_key_config_selectorIj11FixedVectorIiLj8EEEEZZNS1_16scan_by_key_implILNS1_25lookback_scan_determinismE0ELb0ES3_N6thrust23THRUST_200600_302600_NS6detail15normal_iteratorINSB_10device_ptrIjEEEENSD_INSE_IS6_EEEESI_S6_NSB_4plusIvEENSB_8equal_toIvEES6_EE10hipError_tPvRmT2_T3_T4_T5_mT6_T7_P12ihipStream_tbENKUlT_T0_E_clISt17integral_constantIbLb1EES13_EEDaSY_SZ_EUlSY_E_NS1_11comp_targetILNS1_3genE10ELNS1_11target_archE1200ELNS1_3gpuE4ELNS1_3repE0EEENS1_30default_config_static_selectorELNS0_4arch9wavefront6targetE0EEEvT1_.num_agpr, 0
	.set _ZN7rocprim17ROCPRIM_400000_NS6detail17trampoline_kernelINS0_14default_configENS1_27scan_by_key_config_selectorIj11FixedVectorIiLj8EEEEZZNS1_16scan_by_key_implILNS1_25lookback_scan_determinismE0ELb0ES3_N6thrust23THRUST_200600_302600_NS6detail15normal_iteratorINSB_10device_ptrIjEEEENSD_INSE_IS6_EEEESI_S6_NSB_4plusIvEENSB_8equal_toIvEES6_EE10hipError_tPvRmT2_T3_T4_T5_mT6_T7_P12ihipStream_tbENKUlT_T0_E_clISt17integral_constantIbLb1EES13_EEDaSY_SZ_EUlSY_E_NS1_11comp_targetILNS1_3genE10ELNS1_11target_archE1200ELNS1_3gpuE4ELNS1_3repE0EEENS1_30default_config_static_selectorELNS0_4arch9wavefront6targetE0EEEvT1_.numbered_sgpr, 0
	.set _ZN7rocprim17ROCPRIM_400000_NS6detail17trampoline_kernelINS0_14default_configENS1_27scan_by_key_config_selectorIj11FixedVectorIiLj8EEEEZZNS1_16scan_by_key_implILNS1_25lookback_scan_determinismE0ELb0ES3_N6thrust23THRUST_200600_302600_NS6detail15normal_iteratorINSB_10device_ptrIjEEEENSD_INSE_IS6_EEEESI_S6_NSB_4plusIvEENSB_8equal_toIvEES6_EE10hipError_tPvRmT2_T3_T4_T5_mT6_T7_P12ihipStream_tbENKUlT_T0_E_clISt17integral_constantIbLb1EES13_EEDaSY_SZ_EUlSY_E_NS1_11comp_targetILNS1_3genE10ELNS1_11target_archE1200ELNS1_3gpuE4ELNS1_3repE0EEENS1_30default_config_static_selectorELNS0_4arch9wavefront6targetE0EEEvT1_.num_named_barrier, 0
	.set _ZN7rocprim17ROCPRIM_400000_NS6detail17trampoline_kernelINS0_14default_configENS1_27scan_by_key_config_selectorIj11FixedVectorIiLj8EEEEZZNS1_16scan_by_key_implILNS1_25lookback_scan_determinismE0ELb0ES3_N6thrust23THRUST_200600_302600_NS6detail15normal_iteratorINSB_10device_ptrIjEEEENSD_INSE_IS6_EEEESI_S6_NSB_4plusIvEENSB_8equal_toIvEES6_EE10hipError_tPvRmT2_T3_T4_T5_mT6_T7_P12ihipStream_tbENKUlT_T0_E_clISt17integral_constantIbLb1EES13_EEDaSY_SZ_EUlSY_E_NS1_11comp_targetILNS1_3genE10ELNS1_11target_archE1200ELNS1_3gpuE4ELNS1_3repE0EEENS1_30default_config_static_selectorELNS0_4arch9wavefront6targetE0EEEvT1_.private_seg_size, 0
	.set _ZN7rocprim17ROCPRIM_400000_NS6detail17trampoline_kernelINS0_14default_configENS1_27scan_by_key_config_selectorIj11FixedVectorIiLj8EEEEZZNS1_16scan_by_key_implILNS1_25lookback_scan_determinismE0ELb0ES3_N6thrust23THRUST_200600_302600_NS6detail15normal_iteratorINSB_10device_ptrIjEEEENSD_INSE_IS6_EEEESI_S6_NSB_4plusIvEENSB_8equal_toIvEES6_EE10hipError_tPvRmT2_T3_T4_T5_mT6_T7_P12ihipStream_tbENKUlT_T0_E_clISt17integral_constantIbLb1EES13_EEDaSY_SZ_EUlSY_E_NS1_11comp_targetILNS1_3genE10ELNS1_11target_archE1200ELNS1_3gpuE4ELNS1_3repE0EEENS1_30default_config_static_selectorELNS0_4arch9wavefront6targetE0EEEvT1_.uses_vcc, 0
	.set _ZN7rocprim17ROCPRIM_400000_NS6detail17trampoline_kernelINS0_14default_configENS1_27scan_by_key_config_selectorIj11FixedVectorIiLj8EEEEZZNS1_16scan_by_key_implILNS1_25lookback_scan_determinismE0ELb0ES3_N6thrust23THRUST_200600_302600_NS6detail15normal_iteratorINSB_10device_ptrIjEEEENSD_INSE_IS6_EEEESI_S6_NSB_4plusIvEENSB_8equal_toIvEES6_EE10hipError_tPvRmT2_T3_T4_T5_mT6_T7_P12ihipStream_tbENKUlT_T0_E_clISt17integral_constantIbLb1EES13_EEDaSY_SZ_EUlSY_E_NS1_11comp_targetILNS1_3genE10ELNS1_11target_archE1200ELNS1_3gpuE4ELNS1_3repE0EEENS1_30default_config_static_selectorELNS0_4arch9wavefront6targetE0EEEvT1_.uses_flat_scratch, 0
	.set _ZN7rocprim17ROCPRIM_400000_NS6detail17trampoline_kernelINS0_14default_configENS1_27scan_by_key_config_selectorIj11FixedVectorIiLj8EEEEZZNS1_16scan_by_key_implILNS1_25lookback_scan_determinismE0ELb0ES3_N6thrust23THRUST_200600_302600_NS6detail15normal_iteratorINSB_10device_ptrIjEEEENSD_INSE_IS6_EEEESI_S6_NSB_4plusIvEENSB_8equal_toIvEES6_EE10hipError_tPvRmT2_T3_T4_T5_mT6_T7_P12ihipStream_tbENKUlT_T0_E_clISt17integral_constantIbLb1EES13_EEDaSY_SZ_EUlSY_E_NS1_11comp_targetILNS1_3genE10ELNS1_11target_archE1200ELNS1_3gpuE4ELNS1_3repE0EEENS1_30default_config_static_selectorELNS0_4arch9wavefront6targetE0EEEvT1_.has_dyn_sized_stack, 0
	.set _ZN7rocprim17ROCPRIM_400000_NS6detail17trampoline_kernelINS0_14default_configENS1_27scan_by_key_config_selectorIj11FixedVectorIiLj8EEEEZZNS1_16scan_by_key_implILNS1_25lookback_scan_determinismE0ELb0ES3_N6thrust23THRUST_200600_302600_NS6detail15normal_iteratorINSB_10device_ptrIjEEEENSD_INSE_IS6_EEEESI_S6_NSB_4plusIvEENSB_8equal_toIvEES6_EE10hipError_tPvRmT2_T3_T4_T5_mT6_T7_P12ihipStream_tbENKUlT_T0_E_clISt17integral_constantIbLb1EES13_EEDaSY_SZ_EUlSY_E_NS1_11comp_targetILNS1_3genE10ELNS1_11target_archE1200ELNS1_3gpuE4ELNS1_3repE0EEENS1_30default_config_static_selectorELNS0_4arch9wavefront6targetE0EEEvT1_.has_recursion, 0
	.set _ZN7rocprim17ROCPRIM_400000_NS6detail17trampoline_kernelINS0_14default_configENS1_27scan_by_key_config_selectorIj11FixedVectorIiLj8EEEEZZNS1_16scan_by_key_implILNS1_25lookback_scan_determinismE0ELb0ES3_N6thrust23THRUST_200600_302600_NS6detail15normal_iteratorINSB_10device_ptrIjEEEENSD_INSE_IS6_EEEESI_S6_NSB_4plusIvEENSB_8equal_toIvEES6_EE10hipError_tPvRmT2_T3_T4_T5_mT6_T7_P12ihipStream_tbENKUlT_T0_E_clISt17integral_constantIbLb1EES13_EEDaSY_SZ_EUlSY_E_NS1_11comp_targetILNS1_3genE10ELNS1_11target_archE1200ELNS1_3gpuE4ELNS1_3repE0EEENS1_30default_config_static_selectorELNS0_4arch9wavefront6targetE0EEEvT1_.has_indirect_call, 0
	.section	.AMDGPU.csdata,"",@progbits
; Kernel info:
; codeLenInByte = 0
; TotalNumSgprs: 0
; NumVgprs: 0
; ScratchSize: 0
; MemoryBound: 0
; FloatMode: 240
; IeeeMode: 1
; LDSByteSize: 0 bytes/workgroup (compile time only)
; SGPRBlocks: 0
; VGPRBlocks: 0
; NumSGPRsForWavesPerEU: 1
; NumVGPRsForWavesPerEU: 1
; Occupancy: 16
; WaveLimiterHint : 0
; COMPUTE_PGM_RSRC2:SCRATCH_EN: 0
; COMPUTE_PGM_RSRC2:USER_SGPR: 6
; COMPUTE_PGM_RSRC2:TRAP_HANDLER: 0
; COMPUTE_PGM_RSRC2:TGID_X_EN: 1
; COMPUTE_PGM_RSRC2:TGID_Y_EN: 0
; COMPUTE_PGM_RSRC2:TGID_Z_EN: 0
; COMPUTE_PGM_RSRC2:TIDIG_COMP_CNT: 0
	.section	.text._ZN7rocprim17ROCPRIM_400000_NS6detail17trampoline_kernelINS0_14default_configENS1_27scan_by_key_config_selectorIj11FixedVectorIiLj8EEEEZZNS1_16scan_by_key_implILNS1_25lookback_scan_determinismE0ELb0ES3_N6thrust23THRUST_200600_302600_NS6detail15normal_iteratorINSB_10device_ptrIjEEEENSD_INSE_IS6_EEEESI_S6_NSB_4plusIvEENSB_8equal_toIvEES6_EE10hipError_tPvRmT2_T3_T4_T5_mT6_T7_P12ihipStream_tbENKUlT_T0_E_clISt17integral_constantIbLb1EES13_EEDaSY_SZ_EUlSY_E_NS1_11comp_targetILNS1_3genE9ELNS1_11target_archE1100ELNS1_3gpuE3ELNS1_3repE0EEENS1_30default_config_static_selectorELNS0_4arch9wavefront6targetE0EEEvT1_,"axG",@progbits,_ZN7rocprim17ROCPRIM_400000_NS6detail17trampoline_kernelINS0_14default_configENS1_27scan_by_key_config_selectorIj11FixedVectorIiLj8EEEEZZNS1_16scan_by_key_implILNS1_25lookback_scan_determinismE0ELb0ES3_N6thrust23THRUST_200600_302600_NS6detail15normal_iteratorINSB_10device_ptrIjEEEENSD_INSE_IS6_EEEESI_S6_NSB_4plusIvEENSB_8equal_toIvEES6_EE10hipError_tPvRmT2_T3_T4_T5_mT6_T7_P12ihipStream_tbENKUlT_T0_E_clISt17integral_constantIbLb1EES13_EEDaSY_SZ_EUlSY_E_NS1_11comp_targetILNS1_3genE9ELNS1_11target_archE1100ELNS1_3gpuE3ELNS1_3repE0EEENS1_30default_config_static_selectorELNS0_4arch9wavefront6targetE0EEEvT1_,comdat
	.protected	_ZN7rocprim17ROCPRIM_400000_NS6detail17trampoline_kernelINS0_14default_configENS1_27scan_by_key_config_selectorIj11FixedVectorIiLj8EEEEZZNS1_16scan_by_key_implILNS1_25lookback_scan_determinismE0ELb0ES3_N6thrust23THRUST_200600_302600_NS6detail15normal_iteratorINSB_10device_ptrIjEEEENSD_INSE_IS6_EEEESI_S6_NSB_4plusIvEENSB_8equal_toIvEES6_EE10hipError_tPvRmT2_T3_T4_T5_mT6_T7_P12ihipStream_tbENKUlT_T0_E_clISt17integral_constantIbLb1EES13_EEDaSY_SZ_EUlSY_E_NS1_11comp_targetILNS1_3genE9ELNS1_11target_archE1100ELNS1_3gpuE3ELNS1_3repE0EEENS1_30default_config_static_selectorELNS0_4arch9wavefront6targetE0EEEvT1_ ; -- Begin function _ZN7rocprim17ROCPRIM_400000_NS6detail17trampoline_kernelINS0_14default_configENS1_27scan_by_key_config_selectorIj11FixedVectorIiLj8EEEEZZNS1_16scan_by_key_implILNS1_25lookback_scan_determinismE0ELb0ES3_N6thrust23THRUST_200600_302600_NS6detail15normal_iteratorINSB_10device_ptrIjEEEENSD_INSE_IS6_EEEESI_S6_NSB_4plusIvEENSB_8equal_toIvEES6_EE10hipError_tPvRmT2_T3_T4_T5_mT6_T7_P12ihipStream_tbENKUlT_T0_E_clISt17integral_constantIbLb1EES13_EEDaSY_SZ_EUlSY_E_NS1_11comp_targetILNS1_3genE9ELNS1_11target_archE1100ELNS1_3gpuE3ELNS1_3repE0EEENS1_30default_config_static_selectorELNS0_4arch9wavefront6targetE0EEEvT1_
	.globl	_ZN7rocprim17ROCPRIM_400000_NS6detail17trampoline_kernelINS0_14default_configENS1_27scan_by_key_config_selectorIj11FixedVectorIiLj8EEEEZZNS1_16scan_by_key_implILNS1_25lookback_scan_determinismE0ELb0ES3_N6thrust23THRUST_200600_302600_NS6detail15normal_iteratorINSB_10device_ptrIjEEEENSD_INSE_IS6_EEEESI_S6_NSB_4plusIvEENSB_8equal_toIvEES6_EE10hipError_tPvRmT2_T3_T4_T5_mT6_T7_P12ihipStream_tbENKUlT_T0_E_clISt17integral_constantIbLb1EES13_EEDaSY_SZ_EUlSY_E_NS1_11comp_targetILNS1_3genE9ELNS1_11target_archE1100ELNS1_3gpuE3ELNS1_3repE0EEENS1_30default_config_static_selectorELNS0_4arch9wavefront6targetE0EEEvT1_
	.p2align	8
	.type	_ZN7rocprim17ROCPRIM_400000_NS6detail17trampoline_kernelINS0_14default_configENS1_27scan_by_key_config_selectorIj11FixedVectorIiLj8EEEEZZNS1_16scan_by_key_implILNS1_25lookback_scan_determinismE0ELb0ES3_N6thrust23THRUST_200600_302600_NS6detail15normal_iteratorINSB_10device_ptrIjEEEENSD_INSE_IS6_EEEESI_S6_NSB_4plusIvEENSB_8equal_toIvEES6_EE10hipError_tPvRmT2_T3_T4_T5_mT6_T7_P12ihipStream_tbENKUlT_T0_E_clISt17integral_constantIbLb1EES13_EEDaSY_SZ_EUlSY_E_NS1_11comp_targetILNS1_3genE9ELNS1_11target_archE1100ELNS1_3gpuE3ELNS1_3repE0EEENS1_30default_config_static_selectorELNS0_4arch9wavefront6targetE0EEEvT1_,@function
_ZN7rocprim17ROCPRIM_400000_NS6detail17trampoline_kernelINS0_14default_configENS1_27scan_by_key_config_selectorIj11FixedVectorIiLj8EEEEZZNS1_16scan_by_key_implILNS1_25lookback_scan_determinismE0ELb0ES3_N6thrust23THRUST_200600_302600_NS6detail15normal_iteratorINSB_10device_ptrIjEEEENSD_INSE_IS6_EEEESI_S6_NSB_4plusIvEENSB_8equal_toIvEES6_EE10hipError_tPvRmT2_T3_T4_T5_mT6_T7_P12ihipStream_tbENKUlT_T0_E_clISt17integral_constantIbLb1EES13_EEDaSY_SZ_EUlSY_E_NS1_11comp_targetILNS1_3genE9ELNS1_11target_archE1100ELNS1_3gpuE3ELNS1_3repE0EEENS1_30default_config_static_selectorELNS0_4arch9wavefront6targetE0EEEvT1_: ; @_ZN7rocprim17ROCPRIM_400000_NS6detail17trampoline_kernelINS0_14default_configENS1_27scan_by_key_config_selectorIj11FixedVectorIiLj8EEEEZZNS1_16scan_by_key_implILNS1_25lookback_scan_determinismE0ELb0ES3_N6thrust23THRUST_200600_302600_NS6detail15normal_iteratorINSB_10device_ptrIjEEEENSD_INSE_IS6_EEEESI_S6_NSB_4plusIvEENSB_8equal_toIvEES6_EE10hipError_tPvRmT2_T3_T4_T5_mT6_T7_P12ihipStream_tbENKUlT_T0_E_clISt17integral_constantIbLb1EES13_EEDaSY_SZ_EUlSY_E_NS1_11comp_targetILNS1_3genE9ELNS1_11target_archE1100ELNS1_3gpuE3ELNS1_3repE0EEENS1_30default_config_static_selectorELNS0_4arch9wavefront6targetE0EEEvT1_
; %bb.0:
	.section	.rodata,"a",@progbits
	.p2align	6, 0x0
	.amdhsa_kernel _ZN7rocprim17ROCPRIM_400000_NS6detail17trampoline_kernelINS0_14default_configENS1_27scan_by_key_config_selectorIj11FixedVectorIiLj8EEEEZZNS1_16scan_by_key_implILNS1_25lookback_scan_determinismE0ELb0ES3_N6thrust23THRUST_200600_302600_NS6detail15normal_iteratorINSB_10device_ptrIjEEEENSD_INSE_IS6_EEEESI_S6_NSB_4plusIvEENSB_8equal_toIvEES6_EE10hipError_tPvRmT2_T3_T4_T5_mT6_T7_P12ihipStream_tbENKUlT_T0_E_clISt17integral_constantIbLb1EES13_EEDaSY_SZ_EUlSY_E_NS1_11comp_targetILNS1_3genE9ELNS1_11target_archE1100ELNS1_3gpuE3ELNS1_3repE0EEENS1_30default_config_static_selectorELNS0_4arch9wavefront6targetE0EEEvT1_
		.amdhsa_group_segment_fixed_size 0
		.amdhsa_private_segment_fixed_size 0
		.amdhsa_kernarg_size 160
		.amdhsa_user_sgpr_count 6
		.amdhsa_user_sgpr_private_segment_buffer 1
		.amdhsa_user_sgpr_dispatch_ptr 0
		.amdhsa_user_sgpr_queue_ptr 0
		.amdhsa_user_sgpr_kernarg_segment_ptr 1
		.amdhsa_user_sgpr_dispatch_id 0
		.amdhsa_user_sgpr_flat_scratch_init 0
		.amdhsa_user_sgpr_private_segment_size 0
		.amdhsa_wavefront_size32 1
		.amdhsa_uses_dynamic_stack 0
		.amdhsa_system_sgpr_private_segment_wavefront_offset 0
		.amdhsa_system_sgpr_workgroup_id_x 1
		.amdhsa_system_sgpr_workgroup_id_y 0
		.amdhsa_system_sgpr_workgroup_id_z 0
		.amdhsa_system_sgpr_workgroup_info 0
		.amdhsa_system_vgpr_workitem_id 0
		.amdhsa_next_free_vgpr 1
		.amdhsa_next_free_sgpr 1
		.amdhsa_reserve_vcc 0
		.amdhsa_reserve_flat_scratch 0
		.amdhsa_float_round_mode_32 0
		.amdhsa_float_round_mode_16_64 0
		.amdhsa_float_denorm_mode_32 3
		.amdhsa_float_denorm_mode_16_64 3
		.amdhsa_dx10_clamp 1
		.amdhsa_ieee_mode 1
		.amdhsa_fp16_overflow 0
		.amdhsa_workgroup_processor_mode 1
		.amdhsa_memory_ordered 1
		.amdhsa_forward_progress 1
		.amdhsa_shared_vgpr_count 0
		.amdhsa_exception_fp_ieee_invalid_op 0
		.amdhsa_exception_fp_denorm_src 0
		.amdhsa_exception_fp_ieee_div_zero 0
		.amdhsa_exception_fp_ieee_overflow 0
		.amdhsa_exception_fp_ieee_underflow 0
		.amdhsa_exception_fp_ieee_inexact 0
		.amdhsa_exception_int_div_zero 0
	.end_amdhsa_kernel
	.section	.text._ZN7rocprim17ROCPRIM_400000_NS6detail17trampoline_kernelINS0_14default_configENS1_27scan_by_key_config_selectorIj11FixedVectorIiLj8EEEEZZNS1_16scan_by_key_implILNS1_25lookback_scan_determinismE0ELb0ES3_N6thrust23THRUST_200600_302600_NS6detail15normal_iteratorINSB_10device_ptrIjEEEENSD_INSE_IS6_EEEESI_S6_NSB_4plusIvEENSB_8equal_toIvEES6_EE10hipError_tPvRmT2_T3_T4_T5_mT6_T7_P12ihipStream_tbENKUlT_T0_E_clISt17integral_constantIbLb1EES13_EEDaSY_SZ_EUlSY_E_NS1_11comp_targetILNS1_3genE9ELNS1_11target_archE1100ELNS1_3gpuE3ELNS1_3repE0EEENS1_30default_config_static_selectorELNS0_4arch9wavefront6targetE0EEEvT1_,"axG",@progbits,_ZN7rocprim17ROCPRIM_400000_NS6detail17trampoline_kernelINS0_14default_configENS1_27scan_by_key_config_selectorIj11FixedVectorIiLj8EEEEZZNS1_16scan_by_key_implILNS1_25lookback_scan_determinismE0ELb0ES3_N6thrust23THRUST_200600_302600_NS6detail15normal_iteratorINSB_10device_ptrIjEEEENSD_INSE_IS6_EEEESI_S6_NSB_4plusIvEENSB_8equal_toIvEES6_EE10hipError_tPvRmT2_T3_T4_T5_mT6_T7_P12ihipStream_tbENKUlT_T0_E_clISt17integral_constantIbLb1EES13_EEDaSY_SZ_EUlSY_E_NS1_11comp_targetILNS1_3genE9ELNS1_11target_archE1100ELNS1_3gpuE3ELNS1_3repE0EEENS1_30default_config_static_selectorELNS0_4arch9wavefront6targetE0EEEvT1_,comdat
.Lfunc_end2133:
	.size	_ZN7rocprim17ROCPRIM_400000_NS6detail17trampoline_kernelINS0_14default_configENS1_27scan_by_key_config_selectorIj11FixedVectorIiLj8EEEEZZNS1_16scan_by_key_implILNS1_25lookback_scan_determinismE0ELb0ES3_N6thrust23THRUST_200600_302600_NS6detail15normal_iteratorINSB_10device_ptrIjEEEENSD_INSE_IS6_EEEESI_S6_NSB_4plusIvEENSB_8equal_toIvEES6_EE10hipError_tPvRmT2_T3_T4_T5_mT6_T7_P12ihipStream_tbENKUlT_T0_E_clISt17integral_constantIbLb1EES13_EEDaSY_SZ_EUlSY_E_NS1_11comp_targetILNS1_3genE9ELNS1_11target_archE1100ELNS1_3gpuE3ELNS1_3repE0EEENS1_30default_config_static_selectorELNS0_4arch9wavefront6targetE0EEEvT1_, .Lfunc_end2133-_ZN7rocprim17ROCPRIM_400000_NS6detail17trampoline_kernelINS0_14default_configENS1_27scan_by_key_config_selectorIj11FixedVectorIiLj8EEEEZZNS1_16scan_by_key_implILNS1_25lookback_scan_determinismE0ELb0ES3_N6thrust23THRUST_200600_302600_NS6detail15normal_iteratorINSB_10device_ptrIjEEEENSD_INSE_IS6_EEEESI_S6_NSB_4plusIvEENSB_8equal_toIvEES6_EE10hipError_tPvRmT2_T3_T4_T5_mT6_T7_P12ihipStream_tbENKUlT_T0_E_clISt17integral_constantIbLb1EES13_EEDaSY_SZ_EUlSY_E_NS1_11comp_targetILNS1_3genE9ELNS1_11target_archE1100ELNS1_3gpuE3ELNS1_3repE0EEENS1_30default_config_static_selectorELNS0_4arch9wavefront6targetE0EEEvT1_
                                        ; -- End function
	.set _ZN7rocprim17ROCPRIM_400000_NS6detail17trampoline_kernelINS0_14default_configENS1_27scan_by_key_config_selectorIj11FixedVectorIiLj8EEEEZZNS1_16scan_by_key_implILNS1_25lookback_scan_determinismE0ELb0ES3_N6thrust23THRUST_200600_302600_NS6detail15normal_iteratorINSB_10device_ptrIjEEEENSD_INSE_IS6_EEEESI_S6_NSB_4plusIvEENSB_8equal_toIvEES6_EE10hipError_tPvRmT2_T3_T4_T5_mT6_T7_P12ihipStream_tbENKUlT_T0_E_clISt17integral_constantIbLb1EES13_EEDaSY_SZ_EUlSY_E_NS1_11comp_targetILNS1_3genE9ELNS1_11target_archE1100ELNS1_3gpuE3ELNS1_3repE0EEENS1_30default_config_static_selectorELNS0_4arch9wavefront6targetE0EEEvT1_.num_vgpr, 0
	.set _ZN7rocprim17ROCPRIM_400000_NS6detail17trampoline_kernelINS0_14default_configENS1_27scan_by_key_config_selectorIj11FixedVectorIiLj8EEEEZZNS1_16scan_by_key_implILNS1_25lookback_scan_determinismE0ELb0ES3_N6thrust23THRUST_200600_302600_NS6detail15normal_iteratorINSB_10device_ptrIjEEEENSD_INSE_IS6_EEEESI_S6_NSB_4plusIvEENSB_8equal_toIvEES6_EE10hipError_tPvRmT2_T3_T4_T5_mT6_T7_P12ihipStream_tbENKUlT_T0_E_clISt17integral_constantIbLb1EES13_EEDaSY_SZ_EUlSY_E_NS1_11comp_targetILNS1_3genE9ELNS1_11target_archE1100ELNS1_3gpuE3ELNS1_3repE0EEENS1_30default_config_static_selectorELNS0_4arch9wavefront6targetE0EEEvT1_.num_agpr, 0
	.set _ZN7rocprim17ROCPRIM_400000_NS6detail17trampoline_kernelINS0_14default_configENS1_27scan_by_key_config_selectorIj11FixedVectorIiLj8EEEEZZNS1_16scan_by_key_implILNS1_25lookback_scan_determinismE0ELb0ES3_N6thrust23THRUST_200600_302600_NS6detail15normal_iteratorINSB_10device_ptrIjEEEENSD_INSE_IS6_EEEESI_S6_NSB_4plusIvEENSB_8equal_toIvEES6_EE10hipError_tPvRmT2_T3_T4_T5_mT6_T7_P12ihipStream_tbENKUlT_T0_E_clISt17integral_constantIbLb1EES13_EEDaSY_SZ_EUlSY_E_NS1_11comp_targetILNS1_3genE9ELNS1_11target_archE1100ELNS1_3gpuE3ELNS1_3repE0EEENS1_30default_config_static_selectorELNS0_4arch9wavefront6targetE0EEEvT1_.numbered_sgpr, 0
	.set _ZN7rocprim17ROCPRIM_400000_NS6detail17trampoline_kernelINS0_14default_configENS1_27scan_by_key_config_selectorIj11FixedVectorIiLj8EEEEZZNS1_16scan_by_key_implILNS1_25lookback_scan_determinismE0ELb0ES3_N6thrust23THRUST_200600_302600_NS6detail15normal_iteratorINSB_10device_ptrIjEEEENSD_INSE_IS6_EEEESI_S6_NSB_4plusIvEENSB_8equal_toIvEES6_EE10hipError_tPvRmT2_T3_T4_T5_mT6_T7_P12ihipStream_tbENKUlT_T0_E_clISt17integral_constantIbLb1EES13_EEDaSY_SZ_EUlSY_E_NS1_11comp_targetILNS1_3genE9ELNS1_11target_archE1100ELNS1_3gpuE3ELNS1_3repE0EEENS1_30default_config_static_selectorELNS0_4arch9wavefront6targetE0EEEvT1_.num_named_barrier, 0
	.set _ZN7rocprim17ROCPRIM_400000_NS6detail17trampoline_kernelINS0_14default_configENS1_27scan_by_key_config_selectorIj11FixedVectorIiLj8EEEEZZNS1_16scan_by_key_implILNS1_25lookback_scan_determinismE0ELb0ES3_N6thrust23THRUST_200600_302600_NS6detail15normal_iteratorINSB_10device_ptrIjEEEENSD_INSE_IS6_EEEESI_S6_NSB_4plusIvEENSB_8equal_toIvEES6_EE10hipError_tPvRmT2_T3_T4_T5_mT6_T7_P12ihipStream_tbENKUlT_T0_E_clISt17integral_constantIbLb1EES13_EEDaSY_SZ_EUlSY_E_NS1_11comp_targetILNS1_3genE9ELNS1_11target_archE1100ELNS1_3gpuE3ELNS1_3repE0EEENS1_30default_config_static_selectorELNS0_4arch9wavefront6targetE0EEEvT1_.private_seg_size, 0
	.set _ZN7rocprim17ROCPRIM_400000_NS6detail17trampoline_kernelINS0_14default_configENS1_27scan_by_key_config_selectorIj11FixedVectorIiLj8EEEEZZNS1_16scan_by_key_implILNS1_25lookback_scan_determinismE0ELb0ES3_N6thrust23THRUST_200600_302600_NS6detail15normal_iteratorINSB_10device_ptrIjEEEENSD_INSE_IS6_EEEESI_S6_NSB_4plusIvEENSB_8equal_toIvEES6_EE10hipError_tPvRmT2_T3_T4_T5_mT6_T7_P12ihipStream_tbENKUlT_T0_E_clISt17integral_constantIbLb1EES13_EEDaSY_SZ_EUlSY_E_NS1_11comp_targetILNS1_3genE9ELNS1_11target_archE1100ELNS1_3gpuE3ELNS1_3repE0EEENS1_30default_config_static_selectorELNS0_4arch9wavefront6targetE0EEEvT1_.uses_vcc, 0
	.set _ZN7rocprim17ROCPRIM_400000_NS6detail17trampoline_kernelINS0_14default_configENS1_27scan_by_key_config_selectorIj11FixedVectorIiLj8EEEEZZNS1_16scan_by_key_implILNS1_25lookback_scan_determinismE0ELb0ES3_N6thrust23THRUST_200600_302600_NS6detail15normal_iteratorINSB_10device_ptrIjEEEENSD_INSE_IS6_EEEESI_S6_NSB_4plusIvEENSB_8equal_toIvEES6_EE10hipError_tPvRmT2_T3_T4_T5_mT6_T7_P12ihipStream_tbENKUlT_T0_E_clISt17integral_constantIbLb1EES13_EEDaSY_SZ_EUlSY_E_NS1_11comp_targetILNS1_3genE9ELNS1_11target_archE1100ELNS1_3gpuE3ELNS1_3repE0EEENS1_30default_config_static_selectorELNS0_4arch9wavefront6targetE0EEEvT1_.uses_flat_scratch, 0
	.set _ZN7rocprim17ROCPRIM_400000_NS6detail17trampoline_kernelINS0_14default_configENS1_27scan_by_key_config_selectorIj11FixedVectorIiLj8EEEEZZNS1_16scan_by_key_implILNS1_25lookback_scan_determinismE0ELb0ES3_N6thrust23THRUST_200600_302600_NS6detail15normal_iteratorINSB_10device_ptrIjEEEENSD_INSE_IS6_EEEESI_S6_NSB_4plusIvEENSB_8equal_toIvEES6_EE10hipError_tPvRmT2_T3_T4_T5_mT6_T7_P12ihipStream_tbENKUlT_T0_E_clISt17integral_constantIbLb1EES13_EEDaSY_SZ_EUlSY_E_NS1_11comp_targetILNS1_3genE9ELNS1_11target_archE1100ELNS1_3gpuE3ELNS1_3repE0EEENS1_30default_config_static_selectorELNS0_4arch9wavefront6targetE0EEEvT1_.has_dyn_sized_stack, 0
	.set _ZN7rocprim17ROCPRIM_400000_NS6detail17trampoline_kernelINS0_14default_configENS1_27scan_by_key_config_selectorIj11FixedVectorIiLj8EEEEZZNS1_16scan_by_key_implILNS1_25lookback_scan_determinismE0ELb0ES3_N6thrust23THRUST_200600_302600_NS6detail15normal_iteratorINSB_10device_ptrIjEEEENSD_INSE_IS6_EEEESI_S6_NSB_4plusIvEENSB_8equal_toIvEES6_EE10hipError_tPvRmT2_T3_T4_T5_mT6_T7_P12ihipStream_tbENKUlT_T0_E_clISt17integral_constantIbLb1EES13_EEDaSY_SZ_EUlSY_E_NS1_11comp_targetILNS1_3genE9ELNS1_11target_archE1100ELNS1_3gpuE3ELNS1_3repE0EEENS1_30default_config_static_selectorELNS0_4arch9wavefront6targetE0EEEvT1_.has_recursion, 0
	.set _ZN7rocprim17ROCPRIM_400000_NS6detail17trampoline_kernelINS0_14default_configENS1_27scan_by_key_config_selectorIj11FixedVectorIiLj8EEEEZZNS1_16scan_by_key_implILNS1_25lookback_scan_determinismE0ELb0ES3_N6thrust23THRUST_200600_302600_NS6detail15normal_iteratorINSB_10device_ptrIjEEEENSD_INSE_IS6_EEEESI_S6_NSB_4plusIvEENSB_8equal_toIvEES6_EE10hipError_tPvRmT2_T3_T4_T5_mT6_T7_P12ihipStream_tbENKUlT_T0_E_clISt17integral_constantIbLb1EES13_EEDaSY_SZ_EUlSY_E_NS1_11comp_targetILNS1_3genE9ELNS1_11target_archE1100ELNS1_3gpuE3ELNS1_3repE0EEENS1_30default_config_static_selectorELNS0_4arch9wavefront6targetE0EEEvT1_.has_indirect_call, 0
	.section	.AMDGPU.csdata,"",@progbits
; Kernel info:
; codeLenInByte = 0
; TotalNumSgprs: 0
; NumVgprs: 0
; ScratchSize: 0
; MemoryBound: 0
; FloatMode: 240
; IeeeMode: 1
; LDSByteSize: 0 bytes/workgroup (compile time only)
; SGPRBlocks: 0
; VGPRBlocks: 0
; NumSGPRsForWavesPerEU: 1
; NumVGPRsForWavesPerEU: 1
; Occupancy: 16
; WaveLimiterHint : 0
; COMPUTE_PGM_RSRC2:SCRATCH_EN: 0
; COMPUTE_PGM_RSRC2:USER_SGPR: 6
; COMPUTE_PGM_RSRC2:TRAP_HANDLER: 0
; COMPUTE_PGM_RSRC2:TGID_X_EN: 1
; COMPUTE_PGM_RSRC2:TGID_Y_EN: 0
; COMPUTE_PGM_RSRC2:TGID_Z_EN: 0
; COMPUTE_PGM_RSRC2:TIDIG_COMP_CNT: 0
	.section	.text._ZN7rocprim17ROCPRIM_400000_NS6detail17trampoline_kernelINS0_14default_configENS1_27scan_by_key_config_selectorIj11FixedVectorIiLj8EEEEZZNS1_16scan_by_key_implILNS1_25lookback_scan_determinismE0ELb0ES3_N6thrust23THRUST_200600_302600_NS6detail15normal_iteratorINSB_10device_ptrIjEEEENSD_INSE_IS6_EEEESI_S6_NSB_4plusIvEENSB_8equal_toIvEES6_EE10hipError_tPvRmT2_T3_T4_T5_mT6_T7_P12ihipStream_tbENKUlT_T0_E_clISt17integral_constantIbLb1EES13_EEDaSY_SZ_EUlSY_E_NS1_11comp_targetILNS1_3genE8ELNS1_11target_archE1030ELNS1_3gpuE2ELNS1_3repE0EEENS1_30default_config_static_selectorELNS0_4arch9wavefront6targetE0EEEvT1_,"axG",@progbits,_ZN7rocprim17ROCPRIM_400000_NS6detail17trampoline_kernelINS0_14default_configENS1_27scan_by_key_config_selectorIj11FixedVectorIiLj8EEEEZZNS1_16scan_by_key_implILNS1_25lookback_scan_determinismE0ELb0ES3_N6thrust23THRUST_200600_302600_NS6detail15normal_iteratorINSB_10device_ptrIjEEEENSD_INSE_IS6_EEEESI_S6_NSB_4plusIvEENSB_8equal_toIvEES6_EE10hipError_tPvRmT2_T3_T4_T5_mT6_T7_P12ihipStream_tbENKUlT_T0_E_clISt17integral_constantIbLb1EES13_EEDaSY_SZ_EUlSY_E_NS1_11comp_targetILNS1_3genE8ELNS1_11target_archE1030ELNS1_3gpuE2ELNS1_3repE0EEENS1_30default_config_static_selectorELNS0_4arch9wavefront6targetE0EEEvT1_,comdat
	.protected	_ZN7rocprim17ROCPRIM_400000_NS6detail17trampoline_kernelINS0_14default_configENS1_27scan_by_key_config_selectorIj11FixedVectorIiLj8EEEEZZNS1_16scan_by_key_implILNS1_25lookback_scan_determinismE0ELb0ES3_N6thrust23THRUST_200600_302600_NS6detail15normal_iteratorINSB_10device_ptrIjEEEENSD_INSE_IS6_EEEESI_S6_NSB_4plusIvEENSB_8equal_toIvEES6_EE10hipError_tPvRmT2_T3_T4_T5_mT6_T7_P12ihipStream_tbENKUlT_T0_E_clISt17integral_constantIbLb1EES13_EEDaSY_SZ_EUlSY_E_NS1_11comp_targetILNS1_3genE8ELNS1_11target_archE1030ELNS1_3gpuE2ELNS1_3repE0EEENS1_30default_config_static_selectorELNS0_4arch9wavefront6targetE0EEEvT1_ ; -- Begin function _ZN7rocprim17ROCPRIM_400000_NS6detail17trampoline_kernelINS0_14default_configENS1_27scan_by_key_config_selectorIj11FixedVectorIiLj8EEEEZZNS1_16scan_by_key_implILNS1_25lookback_scan_determinismE0ELb0ES3_N6thrust23THRUST_200600_302600_NS6detail15normal_iteratorINSB_10device_ptrIjEEEENSD_INSE_IS6_EEEESI_S6_NSB_4plusIvEENSB_8equal_toIvEES6_EE10hipError_tPvRmT2_T3_T4_T5_mT6_T7_P12ihipStream_tbENKUlT_T0_E_clISt17integral_constantIbLb1EES13_EEDaSY_SZ_EUlSY_E_NS1_11comp_targetILNS1_3genE8ELNS1_11target_archE1030ELNS1_3gpuE2ELNS1_3repE0EEENS1_30default_config_static_selectorELNS0_4arch9wavefront6targetE0EEEvT1_
	.globl	_ZN7rocprim17ROCPRIM_400000_NS6detail17trampoline_kernelINS0_14default_configENS1_27scan_by_key_config_selectorIj11FixedVectorIiLj8EEEEZZNS1_16scan_by_key_implILNS1_25lookback_scan_determinismE0ELb0ES3_N6thrust23THRUST_200600_302600_NS6detail15normal_iteratorINSB_10device_ptrIjEEEENSD_INSE_IS6_EEEESI_S6_NSB_4plusIvEENSB_8equal_toIvEES6_EE10hipError_tPvRmT2_T3_T4_T5_mT6_T7_P12ihipStream_tbENKUlT_T0_E_clISt17integral_constantIbLb1EES13_EEDaSY_SZ_EUlSY_E_NS1_11comp_targetILNS1_3genE8ELNS1_11target_archE1030ELNS1_3gpuE2ELNS1_3repE0EEENS1_30default_config_static_selectorELNS0_4arch9wavefront6targetE0EEEvT1_
	.p2align	8
	.type	_ZN7rocprim17ROCPRIM_400000_NS6detail17trampoline_kernelINS0_14default_configENS1_27scan_by_key_config_selectorIj11FixedVectorIiLj8EEEEZZNS1_16scan_by_key_implILNS1_25lookback_scan_determinismE0ELb0ES3_N6thrust23THRUST_200600_302600_NS6detail15normal_iteratorINSB_10device_ptrIjEEEENSD_INSE_IS6_EEEESI_S6_NSB_4plusIvEENSB_8equal_toIvEES6_EE10hipError_tPvRmT2_T3_T4_T5_mT6_T7_P12ihipStream_tbENKUlT_T0_E_clISt17integral_constantIbLb1EES13_EEDaSY_SZ_EUlSY_E_NS1_11comp_targetILNS1_3genE8ELNS1_11target_archE1030ELNS1_3gpuE2ELNS1_3repE0EEENS1_30default_config_static_selectorELNS0_4arch9wavefront6targetE0EEEvT1_,@function
_ZN7rocprim17ROCPRIM_400000_NS6detail17trampoline_kernelINS0_14default_configENS1_27scan_by_key_config_selectorIj11FixedVectorIiLj8EEEEZZNS1_16scan_by_key_implILNS1_25lookback_scan_determinismE0ELb0ES3_N6thrust23THRUST_200600_302600_NS6detail15normal_iteratorINSB_10device_ptrIjEEEENSD_INSE_IS6_EEEESI_S6_NSB_4plusIvEENSB_8equal_toIvEES6_EE10hipError_tPvRmT2_T3_T4_T5_mT6_T7_P12ihipStream_tbENKUlT_T0_E_clISt17integral_constantIbLb1EES13_EEDaSY_SZ_EUlSY_E_NS1_11comp_targetILNS1_3genE8ELNS1_11target_archE1030ELNS1_3gpuE2ELNS1_3repE0EEENS1_30default_config_static_selectorELNS0_4arch9wavefront6targetE0EEEvT1_: ; @_ZN7rocprim17ROCPRIM_400000_NS6detail17trampoline_kernelINS0_14default_configENS1_27scan_by_key_config_selectorIj11FixedVectorIiLj8EEEEZZNS1_16scan_by_key_implILNS1_25lookback_scan_determinismE0ELb0ES3_N6thrust23THRUST_200600_302600_NS6detail15normal_iteratorINSB_10device_ptrIjEEEENSD_INSE_IS6_EEEESI_S6_NSB_4plusIvEENSB_8equal_toIvEES6_EE10hipError_tPvRmT2_T3_T4_T5_mT6_T7_P12ihipStream_tbENKUlT_T0_E_clISt17integral_constantIbLb1EES13_EEDaSY_SZ_EUlSY_E_NS1_11comp_targetILNS1_3genE8ELNS1_11target_archE1030ELNS1_3gpuE2ELNS1_3repE0EEENS1_30default_config_static_selectorELNS0_4arch9wavefront6targetE0EEEvT1_
; %bb.0:
	s_endpgm
	.section	.rodata,"a",@progbits
	.p2align	6, 0x0
	.amdhsa_kernel _ZN7rocprim17ROCPRIM_400000_NS6detail17trampoline_kernelINS0_14default_configENS1_27scan_by_key_config_selectorIj11FixedVectorIiLj8EEEEZZNS1_16scan_by_key_implILNS1_25lookback_scan_determinismE0ELb0ES3_N6thrust23THRUST_200600_302600_NS6detail15normal_iteratorINSB_10device_ptrIjEEEENSD_INSE_IS6_EEEESI_S6_NSB_4plusIvEENSB_8equal_toIvEES6_EE10hipError_tPvRmT2_T3_T4_T5_mT6_T7_P12ihipStream_tbENKUlT_T0_E_clISt17integral_constantIbLb1EES13_EEDaSY_SZ_EUlSY_E_NS1_11comp_targetILNS1_3genE8ELNS1_11target_archE1030ELNS1_3gpuE2ELNS1_3repE0EEENS1_30default_config_static_selectorELNS0_4arch9wavefront6targetE0EEEvT1_
		.amdhsa_group_segment_fixed_size 0
		.amdhsa_private_segment_fixed_size 0
		.amdhsa_kernarg_size 160
		.amdhsa_user_sgpr_count 6
		.amdhsa_user_sgpr_private_segment_buffer 1
		.amdhsa_user_sgpr_dispatch_ptr 0
		.amdhsa_user_sgpr_queue_ptr 0
		.amdhsa_user_sgpr_kernarg_segment_ptr 1
		.amdhsa_user_sgpr_dispatch_id 0
		.amdhsa_user_sgpr_flat_scratch_init 0
		.amdhsa_user_sgpr_private_segment_size 0
		.amdhsa_wavefront_size32 1
		.amdhsa_uses_dynamic_stack 0
		.amdhsa_system_sgpr_private_segment_wavefront_offset 0
		.amdhsa_system_sgpr_workgroup_id_x 1
		.amdhsa_system_sgpr_workgroup_id_y 0
		.amdhsa_system_sgpr_workgroup_id_z 0
		.amdhsa_system_sgpr_workgroup_info 0
		.amdhsa_system_vgpr_workitem_id 0
		.amdhsa_next_free_vgpr 1
		.amdhsa_next_free_sgpr 1
		.amdhsa_reserve_vcc 0
		.amdhsa_reserve_flat_scratch 0
		.amdhsa_float_round_mode_32 0
		.amdhsa_float_round_mode_16_64 0
		.amdhsa_float_denorm_mode_32 3
		.amdhsa_float_denorm_mode_16_64 3
		.amdhsa_dx10_clamp 1
		.amdhsa_ieee_mode 1
		.amdhsa_fp16_overflow 0
		.amdhsa_workgroup_processor_mode 1
		.amdhsa_memory_ordered 1
		.amdhsa_forward_progress 1
		.amdhsa_shared_vgpr_count 0
		.amdhsa_exception_fp_ieee_invalid_op 0
		.amdhsa_exception_fp_denorm_src 0
		.amdhsa_exception_fp_ieee_div_zero 0
		.amdhsa_exception_fp_ieee_overflow 0
		.amdhsa_exception_fp_ieee_underflow 0
		.amdhsa_exception_fp_ieee_inexact 0
		.amdhsa_exception_int_div_zero 0
	.end_amdhsa_kernel
	.section	.text._ZN7rocprim17ROCPRIM_400000_NS6detail17trampoline_kernelINS0_14default_configENS1_27scan_by_key_config_selectorIj11FixedVectorIiLj8EEEEZZNS1_16scan_by_key_implILNS1_25lookback_scan_determinismE0ELb0ES3_N6thrust23THRUST_200600_302600_NS6detail15normal_iteratorINSB_10device_ptrIjEEEENSD_INSE_IS6_EEEESI_S6_NSB_4plusIvEENSB_8equal_toIvEES6_EE10hipError_tPvRmT2_T3_T4_T5_mT6_T7_P12ihipStream_tbENKUlT_T0_E_clISt17integral_constantIbLb1EES13_EEDaSY_SZ_EUlSY_E_NS1_11comp_targetILNS1_3genE8ELNS1_11target_archE1030ELNS1_3gpuE2ELNS1_3repE0EEENS1_30default_config_static_selectorELNS0_4arch9wavefront6targetE0EEEvT1_,"axG",@progbits,_ZN7rocprim17ROCPRIM_400000_NS6detail17trampoline_kernelINS0_14default_configENS1_27scan_by_key_config_selectorIj11FixedVectorIiLj8EEEEZZNS1_16scan_by_key_implILNS1_25lookback_scan_determinismE0ELb0ES3_N6thrust23THRUST_200600_302600_NS6detail15normal_iteratorINSB_10device_ptrIjEEEENSD_INSE_IS6_EEEESI_S6_NSB_4plusIvEENSB_8equal_toIvEES6_EE10hipError_tPvRmT2_T3_T4_T5_mT6_T7_P12ihipStream_tbENKUlT_T0_E_clISt17integral_constantIbLb1EES13_EEDaSY_SZ_EUlSY_E_NS1_11comp_targetILNS1_3genE8ELNS1_11target_archE1030ELNS1_3gpuE2ELNS1_3repE0EEENS1_30default_config_static_selectorELNS0_4arch9wavefront6targetE0EEEvT1_,comdat
.Lfunc_end2134:
	.size	_ZN7rocprim17ROCPRIM_400000_NS6detail17trampoline_kernelINS0_14default_configENS1_27scan_by_key_config_selectorIj11FixedVectorIiLj8EEEEZZNS1_16scan_by_key_implILNS1_25lookback_scan_determinismE0ELb0ES3_N6thrust23THRUST_200600_302600_NS6detail15normal_iteratorINSB_10device_ptrIjEEEENSD_INSE_IS6_EEEESI_S6_NSB_4plusIvEENSB_8equal_toIvEES6_EE10hipError_tPvRmT2_T3_T4_T5_mT6_T7_P12ihipStream_tbENKUlT_T0_E_clISt17integral_constantIbLb1EES13_EEDaSY_SZ_EUlSY_E_NS1_11comp_targetILNS1_3genE8ELNS1_11target_archE1030ELNS1_3gpuE2ELNS1_3repE0EEENS1_30default_config_static_selectorELNS0_4arch9wavefront6targetE0EEEvT1_, .Lfunc_end2134-_ZN7rocprim17ROCPRIM_400000_NS6detail17trampoline_kernelINS0_14default_configENS1_27scan_by_key_config_selectorIj11FixedVectorIiLj8EEEEZZNS1_16scan_by_key_implILNS1_25lookback_scan_determinismE0ELb0ES3_N6thrust23THRUST_200600_302600_NS6detail15normal_iteratorINSB_10device_ptrIjEEEENSD_INSE_IS6_EEEESI_S6_NSB_4plusIvEENSB_8equal_toIvEES6_EE10hipError_tPvRmT2_T3_T4_T5_mT6_T7_P12ihipStream_tbENKUlT_T0_E_clISt17integral_constantIbLb1EES13_EEDaSY_SZ_EUlSY_E_NS1_11comp_targetILNS1_3genE8ELNS1_11target_archE1030ELNS1_3gpuE2ELNS1_3repE0EEENS1_30default_config_static_selectorELNS0_4arch9wavefront6targetE0EEEvT1_
                                        ; -- End function
	.set _ZN7rocprim17ROCPRIM_400000_NS6detail17trampoline_kernelINS0_14default_configENS1_27scan_by_key_config_selectorIj11FixedVectorIiLj8EEEEZZNS1_16scan_by_key_implILNS1_25lookback_scan_determinismE0ELb0ES3_N6thrust23THRUST_200600_302600_NS6detail15normal_iteratorINSB_10device_ptrIjEEEENSD_INSE_IS6_EEEESI_S6_NSB_4plusIvEENSB_8equal_toIvEES6_EE10hipError_tPvRmT2_T3_T4_T5_mT6_T7_P12ihipStream_tbENKUlT_T0_E_clISt17integral_constantIbLb1EES13_EEDaSY_SZ_EUlSY_E_NS1_11comp_targetILNS1_3genE8ELNS1_11target_archE1030ELNS1_3gpuE2ELNS1_3repE0EEENS1_30default_config_static_selectorELNS0_4arch9wavefront6targetE0EEEvT1_.num_vgpr, 0
	.set _ZN7rocprim17ROCPRIM_400000_NS6detail17trampoline_kernelINS0_14default_configENS1_27scan_by_key_config_selectorIj11FixedVectorIiLj8EEEEZZNS1_16scan_by_key_implILNS1_25lookback_scan_determinismE0ELb0ES3_N6thrust23THRUST_200600_302600_NS6detail15normal_iteratorINSB_10device_ptrIjEEEENSD_INSE_IS6_EEEESI_S6_NSB_4plusIvEENSB_8equal_toIvEES6_EE10hipError_tPvRmT2_T3_T4_T5_mT6_T7_P12ihipStream_tbENKUlT_T0_E_clISt17integral_constantIbLb1EES13_EEDaSY_SZ_EUlSY_E_NS1_11comp_targetILNS1_3genE8ELNS1_11target_archE1030ELNS1_3gpuE2ELNS1_3repE0EEENS1_30default_config_static_selectorELNS0_4arch9wavefront6targetE0EEEvT1_.num_agpr, 0
	.set _ZN7rocprim17ROCPRIM_400000_NS6detail17trampoline_kernelINS0_14default_configENS1_27scan_by_key_config_selectorIj11FixedVectorIiLj8EEEEZZNS1_16scan_by_key_implILNS1_25lookback_scan_determinismE0ELb0ES3_N6thrust23THRUST_200600_302600_NS6detail15normal_iteratorINSB_10device_ptrIjEEEENSD_INSE_IS6_EEEESI_S6_NSB_4plusIvEENSB_8equal_toIvEES6_EE10hipError_tPvRmT2_T3_T4_T5_mT6_T7_P12ihipStream_tbENKUlT_T0_E_clISt17integral_constantIbLb1EES13_EEDaSY_SZ_EUlSY_E_NS1_11comp_targetILNS1_3genE8ELNS1_11target_archE1030ELNS1_3gpuE2ELNS1_3repE0EEENS1_30default_config_static_selectorELNS0_4arch9wavefront6targetE0EEEvT1_.numbered_sgpr, 0
	.set _ZN7rocprim17ROCPRIM_400000_NS6detail17trampoline_kernelINS0_14default_configENS1_27scan_by_key_config_selectorIj11FixedVectorIiLj8EEEEZZNS1_16scan_by_key_implILNS1_25lookback_scan_determinismE0ELb0ES3_N6thrust23THRUST_200600_302600_NS6detail15normal_iteratorINSB_10device_ptrIjEEEENSD_INSE_IS6_EEEESI_S6_NSB_4plusIvEENSB_8equal_toIvEES6_EE10hipError_tPvRmT2_T3_T4_T5_mT6_T7_P12ihipStream_tbENKUlT_T0_E_clISt17integral_constantIbLb1EES13_EEDaSY_SZ_EUlSY_E_NS1_11comp_targetILNS1_3genE8ELNS1_11target_archE1030ELNS1_3gpuE2ELNS1_3repE0EEENS1_30default_config_static_selectorELNS0_4arch9wavefront6targetE0EEEvT1_.num_named_barrier, 0
	.set _ZN7rocprim17ROCPRIM_400000_NS6detail17trampoline_kernelINS0_14default_configENS1_27scan_by_key_config_selectorIj11FixedVectorIiLj8EEEEZZNS1_16scan_by_key_implILNS1_25lookback_scan_determinismE0ELb0ES3_N6thrust23THRUST_200600_302600_NS6detail15normal_iteratorINSB_10device_ptrIjEEEENSD_INSE_IS6_EEEESI_S6_NSB_4plusIvEENSB_8equal_toIvEES6_EE10hipError_tPvRmT2_T3_T4_T5_mT6_T7_P12ihipStream_tbENKUlT_T0_E_clISt17integral_constantIbLb1EES13_EEDaSY_SZ_EUlSY_E_NS1_11comp_targetILNS1_3genE8ELNS1_11target_archE1030ELNS1_3gpuE2ELNS1_3repE0EEENS1_30default_config_static_selectorELNS0_4arch9wavefront6targetE0EEEvT1_.private_seg_size, 0
	.set _ZN7rocprim17ROCPRIM_400000_NS6detail17trampoline_kernelINS0_14default_configENS1_27scan_by_key_config_selectorIj11FixedVectorIiLj8EEEEZZNS1_16scan_by_key_implILNS1_25lookback_scan_determinismE0ELb0ES3_N6thrust23THRUST_200600_302600_NS6detail15normal_iteratorINSB_10device_ptrIjEEEENSD_INSE_IS6_EEEESI_S6_NSB_4plusIvEENSB_8equal_toIvEES6_EE10hipError_tPvRmT2_T3_T4_T5_mT6_T7_P12ihipStream_tbENKUlT_T0_E_clISt17integral_constantIbLb1EES13_EEDaSY_SZ_EUlSY_E_NS1_11comp_targetILNS1_3genE8ELNS1_11target_archE1030ELNS1_3gpuE2ELNS1_3repE0EEENS1_30default_config_static_selectorELNS0_4arch9wavefront6targetE0EEEvT1_.uses_vcc, 0
	.set _ZN7rocprim17ROCPRIM_400000_NS6detail17trampoline_kernelINS0_14default_configENS1_27scan_by_key_config_selectorIj11FixedVectorIiLj8EEEEZZNS1_16scan_by_key_implILNS1_25lookback_scan_determinismE0ELb0ES3_N6thrust23THRUST_200600_302600_NS6detail15normal_iteratorINSB_10device_ptrIjEEEENSD_INSE_IS6_EEEESI_S6_NSB_4plusIvEENSB_8equal_toIvEES6_EE10hipError_tPvRmT2_T3_T4_T5_mT6_T7_P12ihipStream_tbENKUlT_T0_E_clISt17integral_constantIbLb1EES13_EEDaSY_SZ_EUlSY_E_NS1_11comp_targetILNS1_3genE8ELNS1_11target_archE1030ELNS1_3gpuE2ELNS1_3repE0EEENS1_30default_config_static_selectorELNS0_4arch9wavefront6targetE0EEEvT1_.uses_flat_scratch, 0
	.set _ZN7rocprim17ROCPRIM_400000_NS6detail17trampoline_kernelINS0_14default_configENS1_27scan_by_key_config_selectorIj11FixedVectorIiLj8EEEEZZNS1_16scan_by_key_implILNS1_25lookback_scan_determinismE0ELb0ES3_N6thrust23THRUST_200600_302600_NS6detail15normal_iteratorINSB_10device_ptrIjEEEENSD_INSE_IS6_EEEESI_S6_NSB_4plusIvEENSB_8equal_toIvEES6_EE10hipError_tPvRmT2_T3_T4_T5_mT6_T7_P12ihipStream_tbENKUlT_T0_E_clISt17integral_constantIbLb1EES13_EEDaSY_SZ_EUlSY_E_NS1_11comp_targetILNS1_3genE8ELNS1_11target_archE1030ELNS1_3gpuE2ELNS1_3repE0EEENS1_30default_config_static_selectorELNS0_4arch9wavefront6targetE0EEEvT1_.has_dyn_sized_stack, 0
	.set _ZN7rocprim17ROCPRIM_400000_NS6detail17trampoline_kernelINS0_14default_configENS1_27scan_by_key_config_selectorIj11FixedVectorIiLj8EEEEZZNS1_16scan_by_key_implILNS1_25lookback_scan_determinismE0ELb0ES3_N6thrust23THRUST_200600_302600_NS6detail15normal_iteratorINSB_10device_ptrIjEEEENSD_INSE_IS6_EEEESI_S6_NSB_4plusIvEENSB_8equal_toIvEES6_EE10hipError_tPvRmT2_T3_T4_T5_mT6_T7_P12ihipStream_tbENKUlT_T0_E_clISt17integral_constantIbLb1EES13_EEDaSY_SZ_EUlSY_E_NS1_11comp_targetILNS1_3genE8ELNS1_11target_archE1030ELNS1_3gpuE2ELNS1_3repE0EEENS1_30default_config_static_selectorELNS0_4arch9wavefront6targetE0EEEvT1_.has_recursion, 0
	.set _ZN7rocprim17ROCPRIM_400000_NS6detail17trampoline_kernelINS0_14default_configENS1_27scan_by_key_config_selectorIj11FixedVectorIiLj8EEEEZZNS1_16scan_by_key_implILNS1_25lookback_scan_determinismE0ELb0ES3_N6thrust23THRUST_200600_302600_NS6detail15normal_iteratorINSB_10device_ptrIjEEEENSD_INSE_IS6_EEEESI_S6_NSB_4plusIvEENSB_8equal_toIvEES6_EE10hipError_tPvRmT2_T3_T4_T5_mT6_T7_P12ihipStream_tbENKUlT_T0_E_clISt17integral_constantIbLb1EES13_EEDaSY_SZ_EUlSY_E_NS1_11comp_targetILNS1_3genE8ELNS1_11target_archE1030ELNS1_3gpuE2ELNS1_3repE0EEENS1_30default_config_static_selectorELNS0_4arch9wavefront6targetE0EEEvT1_.has_indirect_call, 0
	.section	.AMDGPU.csdata,"",@progbits
; Kernel info:
; codeLenInByte = 4
; TotalNumSgprs: 0
; NumVgprs: 0
; ScratchSize: 0
; MemoryBound: 0
; FloatMode: 240
; IeeeMode: 1
; LDSByteSize: 0 bytes/workgroup (compile time only)
; SGPRBlocks: 0
; VGPRBlocks: 0
; NumSGPRsForWavesPerEU: 1
; NumVGPRsForWavesPerEU: 1
; Occupancy: 16
; WaveLimiterHint : 0
; COMPUTE_PGM_RSRC2:SCRATCH_EN: 0
; COMPUTE_PGM_RSRC2:USER_SGPR: 6
; COMPUTE_PGM_RSRC2:TRAP_HANDLER: 0
; COMPUTE_PGM_RSRC2:TGID_X_EN: 1
; COMPUTE_PGM_RSRC2:TGID_Y_EN: 0
; COMPUTE_PGM_RSRC2:TGID_Z_EN: 0
; COMPUTE_PGM_RSRC2:TIDIG_COMP_CNT: 0
	.section	.text._ZN7rocprim17ROCPRIM_400000_NS6detail30init_device_scan_by_key_kernelINS1_19lookback_scan_stateINS0_5tupleIJ11FixedVectorIiLj8EEbEEELb1ELb0EEEN6thrust23THRUST_200600_302600_NS6detail15normal_iteratorINSA_10device_ptrIjEEEEjNS1_16block_id_wrapperIjLb0EEEEEvT_jjPNSI_10value_typeET0_PNSt15iterator_traitsISL_E10value_typeEmT1_T2_,"axG",@progbits,_ZN7rocprim17ROCPRIM_400000_NS6detail30init_device_scan_by_key_kernelINS1_19lookback_scan_stateINS0_5tupleIJ11FixedVectorIiLj8EEbEEELb1ELb0EEEN6thrust23THRUST_200600_302600_NS6detail15normal_iteratorINSA_10device_ptrIjEEEEjNS1_16block_id_wrapperIjLb0EEEEEvT_jjPNSI_10value_typeET0_PNSt15iterator_traitsISL_E10value_typeEmT1_T2_,comdat
	.protected	_ZN7rocprim17ROCPRIM_400000_NS6detail30init_device_scan_by_key_kernelINS1_19lookback_scan_stateINS0_5tupleIJ11FixedVectorIiLj8EEbEEELb1ELb0EEEN6thrust23THRUST_200600_302600_NS6detail15normal_iteratorINSA_10device_ptrIjEEEEjNS1_16block_id_wrapperIjLb0EEEEEvT_jjPNSI_10value_typeET0_PNSt15iterator_traitsISL_E10value_typeEmT1_T2_ ; -- Begin function _ZN7rocprim17ROCPRIM_400000_NS6detail30init_device_scan_by_key_kernelINS1_19lookback_scan_stateINS0_5tupleIJ11FixedVectorIiLj8EEbEEELb1ELb0EEEN6thrust23THRUST_200600_302600_NS6detail15normal_iteratorINSA_10device_ptrIjEEEEjNS1_16block_id_wrapperIjLb0EEEEEvT_jjPNSI_10value_typeET0_PNSt15iterator_traitsISL_E10value_typeEmT1_T2_
	.globl	_ZN7rocprim17ROCPRIM_400000_NS6detail30init_device_scan_by_key_kernelINS1_19lookback_scan_stateINS0_5tupleIJ11FixedVectorIiLj8EEbEEELb1ELb0EEEN6thrust23THRUST_200600_302600_NS6detail15normal_iteratorINSA_10device_ptrIjEEEEjNS1_16block_id_wrapperIjLb0EEEEEvT_jjPNSI_10value_typeET0_PNSt15iterator_traitsISL_E10value_typeEmT1_T2_
	.p2align	8
	.type	_ZN7rocprim17ROCPRIM_400000_NS6detail30init_device_scan_by_key_kernelINS1_19lookback_scan_stateINS0_5tupleIJ11FixedVectorIiLj8EEbEEELb1ELb0EEEN6thrust23THRUST_200600_302600_NS6detail15normal_iteratorINSA_10device_ptrIjEEEEjNS1_16block_id_wrapperIjLb0EEEEEvT_jjPNSI_10value_typeET0_PNSt15iterator_traitsISL_E10value_typeEmT1_T2_,@function
_ZN7rocprim17ROCPRIM_400000_NS6detail30init_device_scan_by_key_kernelINS1_19lookback_scan_stateINS0_5tupleIJ11FixedVectorIiLj8EEbEEELb1ELb0EEEN6thrust23THRUST_200600_302600_NS6detail15normal_iteratorINSA_10device_ptrIjEEEEjNS1_16block_id_wrapperIjLb0EEEEEvT_jjPNSI_10value_typeET0_PNSt15iterator_traitsISL_E10value_typeEmT1_T2_: ; @_ZN7rocprim17ROCPRIM_400000_NS6detail30init_device_scan_by_key_kernelINS1_19lookback_scan_stateINS0_5tupleIJ11FixedVectorIiLj8EEbEEELb1ELb0EEEN6thrust23THRUST_200600_302600_NS6detail15normal_iteratorINSA_10device_ptrIjEEEEjNS1_16block_id_wrapperIjLb0EEEEEvT_jjPNSI_10value_typeET0_PNSt15iterator_traitsISL_E10value_typeEmT1_T2_
; %bb.0:
	s_clause 0x2
	s_load_dword s0, s[6:7], 0x54
	s_load_dwordx8 s[12:19], s[6:7], 0x10
	s_load_dword s9, s[6:7], 0x48
	s_waitcnt lgkmcnt(0)
	s_and_b32 s10, s0, 0xffff
	s_cmp_eq_u64 s[16:17], 0
	v_mad_u64_u32 v[3:4], null, s8, s10, v[0:1]
	s_cbranch_scc1 .LBB2135_11
; %bb.1:
	s_cmp_lt_u32 s15, s14
	s_mov_b32 s11, 0
	s_cselect_b32 s0, s15, 0
	s_mov_b32 s8, exec_lo
	v_cmpx_eq_u32_e64 s0, v3
	s_cbranch_execz .LBB2135_10
; %bb.2:
	s_load_dwordx2 s[0:1], s[4:5], 0x4
	s_waitcnt lgkmcnt(0)
	s_lshr_b32 s0, s0, 16
	v_mul_u32_u24_e32 v1, s1, v1
	s_mul_i32 s0, s0, s1
	v_mul_lo_u32 v0, s0, v0
	s_load_dwordx4 s[0:3], s[6:7], 0x0
	v_add3_u32 v0, v0, v1, v2
	v_mov_b32_e32 v1, 0
	v_mul_lo_u32 v0, v0, 36
	ds_write2_b32 v0, v1, v1 offset0:6 offset1:7
	ds_write2_b32 v0, v1, v1 offset0:4 offset1:5
	;; [unrolled: 1-line block ×3, first 2 shown]
	ds_write2_b32 v0, v1, v1 offset1:1
	ds_write_b32 v0, v1 offset:32
.LBB2135_3:                             ; =>This Inner Loop Header: Depth=1
	v_add_nc_u32_e32 v2, s11, v0
	s_add_i32 s11, s11, 4
	s_cmp_lg_u32 s11, 32
	ds_write_b32 v2, v1
	s_cbranch_scc1 .LBB2135_3
; %bb.4:
	s_add_i32 s11, s15, 32
	v_mov_b32_e32 v1, 0
	v_mov_b32_e32 v2, s11
	s_add_u32 s4, s12, s11
	s_addc_u32 s5, s13, 0
	ds_write_b8 v0, v1 offset:32
	global_load_ubyte v2, v2, s[12:13] glc dlc
	s_waitcnt vmcnt(0)
	v_cmp_ne_u32_sdwa s15, v2, v1 src0_sel:WORD_0 src1_sel:DWORD
	v_readfirstlane_b32 s20, v2
	s_and_b32 vcc_lo, exec_lo, s15
	s_cbranch_vccnz .LBB2135_9
; %bb.5:
	s_mov_b32 s15, 1
.LBB2135_6:                             ; =>This Loop Header: Depth=1
                                        ;     Child Loop BB2135_7 Depth 2
	s_mov_b32 s20, s15
.LBB2135_7:                             ;   Parent Loop BB2135_6 Depth=1
                                        ; =>  This Inner Loop Header: Depth=2
	s_add_i32 s20, s20, -1
	s_sleep 1
	s_cmp_eq_u32 s20, 0
	s_cbranch_scc0 .LBB2135_7
; %bb.8:                                ;   in Loop: Header=BB2135_6 Depth=1
	global_load_ubyte v2, v1, s[4:5] glc dlc
	s_cmp_lt_u32 s15, 32
	s_cselect_b32 s20, -1, 0
	s_cmp_lg_u32 s20, 0
	s_addc_u32 s15, s15, 0
	s_waitcnt vmcnt(0)
	v_cmp_ne_u32_sdwa s21, v2, v1 src0_sel:WORD_0 src1_sel:DWORD
	v_readfirstlane_b32 s20, v2
	s_and_b32 vcc_lo, exec_lo, s21
	s_cbranch_vccz .LBB2135_6
.LBB2135_9:
	s_and_b32 s4, 0xffff, s20
	v_mov_b32_e32 v1, 0
	s_cmp_eq_u32 s4, 1
	s_mul_i32 s4, s11, 36
	s_waitcnt lgkmcnt(0)
	s_cselect_b32 s0, s0, s2
	s_cselect_b32 s1, s1, s3
	s_mul_hi_u32 s2, s11, 36
	s_add_u32 s0, s0, s4
	s_addc_u32 s1, s1, s2
	buffer_gl1_inv
	buffer_gl0_inv
	s_clause 0x2
	global_load_dwordx4 v[4:7], v1, s[0:1]
	global_load_dwordx4 v[8:11], v1, s[0:1] offset:16
	global_load_ubyte v2, v1, s[0:1] offset:32
	s_waitcnt vmcnt(2)
	ds_write2_b32 v0, v4, v5 offset1:1
	ds_write2_b32 v0, v6, v7 offset0:2 offset1:3
	s_waitcnt vmcnt(1)
	ds_write2_b32 v0, v8, v9 offset0:4 offset1:5
	ds_write2_b32 v0, v10, v11 offset0:6 offset1:7
	global_store_dwordx4 v1, v[4:7], s[16:17]
	global_store_dwordx4 v1, v[8:11], s[16:17] offset:16
	s_waitcnt vmcnt(0)
	global_store_byte v1, v2, s[16:17] offset:32
.LBB2135_10:
	s_or_b32 exec_lo, exec_lo, s8
.LBB2135_11:
	s_mov_b32 s0, exec_lo
	v_cmpx_gt_u32_e64 s14, v3
	s_cbranch_execz .LBB2135_13
; %bb.12:
	v_add_nc_u32_e32 v0, 32, v3
	v_mov_b32_e32 v1, 0
	global_store_byte v0, v1, s[12:13]
.LBB2135_13:
	s_or_b32 exec_lo, exec_lo, s0
	v_mov_b32_e32 v4, 0
	s_mov_b32 s0, exec_lo
	v_cmpx_gt_u32_e32 32, v3
	s_cbranch_execz .LBB2135_15
; %bb.14:
	v_add_co_u32 v0, s1, s12, v3
	v_add_co_ci_u32_e64 v1, null, s13, 0, s1
	v_mov_b32_e32 v2, 0xff
	global_store_byte v[0:1], v2, off
.LBB2135_15:
	s_or_b32 exec_lo, exec_lo, s0
	s_load_dwordx2 s[2:3], s[6:7], 0x38
	s_mov_b32 s0, exec_lo
	s_waitcnt lgkmcnt(0)
	v_cmpx_gt_u64_e64 s[2:3], v[3:4]
	s_cbranch_execz .LBB2135_18
; %bb.16:
	s_clause 0x1
	s_load_dword s5, s[6:7], 0x40
	s_load_dwordx2 s[6:7], s[6:7], 0x30
	s_mov_b32 s1, 0
	s_mul_i32 s4, s9, s10
	v_lshlrev_b64 v[5:6], 2, v[3:4]
	s_waitcnt lgkmcnt(0)
	v_mad_u64_u32 v[0:1], null, s5, v3, 0
	s_add_i32 s0, s5, -1
	s_mul_hi_u32 s9, s5, s4
	s_lshl_b64 s[10:11], s[0:1], 2
	s_mul_i32 s8, s5, s4
	s_add_u32 s0, s18, s10
	s_addc_u32 s5, s19, s11
	v_lshlrev_b64 v[0:1], 2, v[0:1]
	v_add_co_u32 v0, vcc_lo, s0, v0
	v_add_co_ci_u32_e64 v1, null, s5, v1, vcc_lo
	v_add_co_u32 v5, vcc_lo, s6, v5
	v_add_co_ci_u32_e64 v6, null, s7, v6, vcc_lo
	s_mov_b32 s5, s1
	s_lshl_b64 s[6:7], s[8:9], 2
	s_lshl_b64 s[8:9], s[4:5], 2
	.p2align	6
.LBB2135_17:                            ; =>This Inner Loop Header: Depth=1
	global_load_dword v2, v[0:1], off
	v_add_co_u32 v3, vcc_lo, v3, s4
	v_add_co_ci_u32_e64 v4, null, 0, v4, vcc_lo
	v_add_co_u32 v0, vcc_lo, v0, s6
	v_add_co_ci_u32_e64 v1, null, s7, v1, vcc_lo
	v_cmp_le_u64_e32 vcc_lo, s[2:3], v[3:4]
	s_or_b32 s1, vcc_lo, s1
	s_waitcnt vmcnt(0)
	global_store_dword v[5:6], v2, off
	v_add_co_u32 v5, s0, v5, s8
	v_add_co_ci_u32_e64 v6, null, s9, v6, s0
	s_andn2_b32 exec_lo, exec_lo, s1
	s_cbranch_execnz .LBB2135_17
.LBB2135_18:
	s_endpgm
	.section	.rodata,"a",@progbits
	.p2align	6, 0x0
	.amdhsa_kernel _ZN7rocprim17ROCPRIM_400000_NS6detail30init_device_scan_by_key_kernelINS1_19lookback_scan_stateINS0_5tupleIJ11FixedVectorIiLj8EEbEEELb1ELb0EEEN6thrust23THRUST_200600_302600_NS6detail15normal_iteratorINSA_10device_ptrIjEEEEjNS1_16block_id_wrapperIjLb0EEEEEvT_jjPNSI_10value_typeET0_PNSt15iterator_traitsISL_E10value_typeEmT1_T2_
		.amdhsa_group_segment_fixed_size 9216
		.amdhsa_private_segment_fixed_size 0
		.amdhsa_kernarg_size 328
		.amdhsa_user_sgpr_count 8
		.amdhsa_user_sgpr_private_segment_buffer 1
		.amdhsa_user_sgpr_dispatch_ptr 1
		.amdhsa_user_sgpr_queue_ptr 0
		.amdhsa_user_sgpr_kernarg_segment_ptr 1
		.amdhsa_user_sgpr_dispatch_id 0
		.amdhsa_user_sgpr_flat_scratch_init 0
		.amdhsa_user_sgpr_private_segment_size 0
		.amdhsa_wavefront_size32 1
		.amdhsa_uses_dynamic_stack 0
		.amdhsa_system_sgpr_private_segment_wavefront_offset 0
		.amdhsa_system_sgpr_workgroup_id_x 1
		.amdhsa_system_sgpr_workgroup_id_y 0
		.amdhsa_system_sgpr_workgroup_id_z 0
		.amdhsa_system_sgpr_workgroup_info 0
		.amdhsa_system_vgpr_workitem_id 2
		.amdhsa_next_free_vgpr 12
		.amdhsa_next_free_sgpr 22
		.amdhsa_reserve_vcc 1
		.amdhsa_reserve_flat_scratch 0
		.amdhsa_float_round_mode_32 0
		.amdhsa_float_round_mode_16_64 0
		.amdhsa_float_denorm_mode_32 3
		.amdhsa_float_denorm_mode_16_64 3
		.amdhsa_dx10_clamp 1
		.amdhsa_ieee_mode 1
		.amdhsa_fp16_overflow 0
		.amdhsa_workgroup_processor_mode 1
		.amdhsa_memory_ordered 1
		.amdhsa_forward_progress 1
		.amdhsa_shared_vgpr_count 0
		.amdhsa_exception_fp_ieee_invalid_op 0
		.amdhsa_exception_fp_denorm_src 0
		.amdhsa_exception_fp_ieee_div_zero 0
		.amdhsa_exception_fp_ieee_overflow 0
		.amdhsa_exception_fp_ieee_underflow 0
		.amdhsa_exception_fp_ieee_inexact 0
		.amdhsa_exception_int_div_zero 0
	.end_amdhsa_kernel
	.section	.text._ZN7rocprim17ROCPRIM_400000_NS6detail30init_device_scan_by_key_kernelINS1_19lookback_scan_stateINS0_5tupleIJ11FixedVectorIiLj8EEbEEELb1ELb0EEEN6thrust23THRUST_200600_302600_NS6detail15normal_iteratorINSA_10device_ptrIjEEEEjNS1_16block_id_wrapperIjLb0EEEEEvT_jjPNSI_10value_typeET0_PNSt15iterator_traitsISL_E10value_typeEmT1_T2_,"axG",@progbits,_ZN7rocprim17ROCPRIM_400000_NS6detail30init_device_scan_by_key_kernelINS1_19lookback_scan_stateINS0_5tupleIJ11FixedVectorIiLj8EEbEEELb1ELb0EEEN6thrust23THRUST_200600_302600_NS6detail15normal_iteratorINSA_10device_ptrIjEEEEjNS1_16block_id_wrapperIjLb0EEEEEvT_jjPNSI_10value_typeET0_PNSt15iterator_traitsISL_E10value_typeEmT1_T2_,comdat
.Lfunc_end2135:
	.size	_ZN7rocprim17ROCPRIM_400000_NS6detail30init_device_scan_by_key_kernelINS1_19lookback_scan_stateINS0_5tupleIJ11FixedVectorIiLj8EEbEEELb1ELb0EEEN6thrust23THRUST_200600_302600_NS6detail15normal_iteratorINSA_10device_ptrIjEEEEjNS1_16block_id_wrapperIjLb0EEEEEvT_jjPNSI_10value_typeET0_PNSt15iterator_traitsISL_E10value_typeEmT1_T2_, .Lfunc_end2135-_ZN7rocprim17ROCPRIM_400000_NS6detail30init_device_scan_by_key_kernelINS1_19lookback_scan_stateINS0_5tupleIJ11FixedVectorIiLj8EEbEEELb1ELb0EEEN6thrust23THRUST_200600_302600_NS6detail15normal_iteratorINSA_10device_ptrIjEEEEjNS1_16block_id_wrapperIjLb0EEEEEvT_jjPNSI_10value_typeET0_PNSt15iterator_traitsISL_E10value_typeEmT1_T2_
                                        ; -- End function
	.set _ZN7rocprim17ROCPRIM_400000_NS6detail30init_device_scan_by_key_kernelINS1_19lookback_scan_stateINS0_5tupleIJ11FixedVectorIiLj8EEbEEELb1ELb0EEEN6thrust23THRUST_200600_302600_NS6detail15normal_iteratorINSA_10device_ptrIjEEEEjNS1_16block_id_wrapperIjLb0EEEEEvT_jjPNSI_10value_typeET0_PNSt15iterator_traitsISL_E10value_typeEmT1_T2_.num_vgpr, 12
	.set _ZN7rocprim17ROCPRIM_400000_NS6detail30init_device_scan_by_key_kernelINS1_19lookback_scan_stateINS0_5tupleIJ11FixedVectorIiLj8EEbEEELb1ELb0EEEN6thrust23THRUST_200600_302600_NS6detail15normal_iteratorINSA_10device_ptrIjEEEEjNS1_16block_id_wrapperIjLb0EEEEEvT_jjPNSI_10value_typeET0_PNSt15iterator_traitsISL_E10value_typeEmT1_T2_.num_agpr, 0
	.set _ZN7rocprim17ROCPRIM_400000_NS6detail30init_device_scan_by_key_kernelINS1_19lookback_scan_stateINS0_5tupleIJ11FixedVectorIiLj8EEbEEELb1ELb0EEEN6thrust23THRUST_200600_302600_NS6detail15normal_iteratorINSA_10device_ptrIjEEEEjNS1_16block_id_wrapperIjLb0EEEEEvT_jjPNSI_10value_typeET0_PNSt15iterator_traitsISL_E10value_typeEmT1_T2_.numbered_sgpr, 22
	.set _ZN7rocprim17ROCPRIM_400000_NS6detail30init_device_scan_by_key_kernelINS1_19lookback_scan_stateINS0_5tupleIJ11FixedVectorIiLj8EEbEEELb1ELb0EEEN6thrust23THRUST_200600_302600_NS6detail15normal_iteratorINSA_10device_ptrIjEEEEjNS1_16block_id_wrapperIjLb0EEEEEvT_jjPNSI_10value_typeET0_PNSt15iterator_traitsISL_E10value_typeEmT1_T2_.num_named_barrier, 0
	.set _ZN7rocprim17ROCPRIM_400000_NS6detail30init_device_scan_by_key_kernelINS1_19lookback_scan_stateINS0_5tupleIJ11FixedVectorIiLj8EEbEEELb1ELb0EEEN6thrust23THRUST_200600_302600_NS6detail15normal_iteratorINSA_10device_ptrIjEEEEjNS1_16block_id_wrapperIjLb0EEEEEvT_jjPNSI_10value_typeET0_PNSt15iterator_traitsISL_E10value_typeEmT1_T2_.private_seg_size, 0
	.set _ZN7rocprim17ROCPRIM_400000_NS6detail30init_device_scan_by_key_kernelINS1_19lookback_scan_stateINS0_5tupleIJ11FixedVectorIiLj8EEbEEELb1ELb0EEEN6thrust23THRUST_200600_302600_NS6detail15normal_iteratorINSA_10device_ptrIjEEEEjNS1_16block_id_wrapperIjLb0EEEEEvT_jjPNSI_10value_typeET0_PNSt15iterator_traitsISL_E10value_typeEmT1_T2_.uses_vcc, 1
	.set _ZN7rocprim17ROCPRIM_400000_NS6detail30init_device_scan_by_key_kernelINS1_19lookback_scan_stateINS0_5tupleIJ11FixedVectorIiLj8EEbEEELb1ELb0EEEN6thrust23THRUST_200600_302600_NS6detail15normal_iteratorINSA_10device_ptrIjEEEEjNS1_16block_id_wrapperIjLb0EEEEEvT_jjPNSI_10value_typeET0_PNSt15iterator_traitsISL_E10value_typeEmT1_T2_.uses_flat_scratch, 0
	.set _ZN7rocprim17ROCPRIM_400000_NS6detail30init_device_scan_by_key_kernelINS1_19lookback_scan_stateINS0_5tupleIJ11FixedVectorIiLj8EEbEEELb1ELb0EEEN6thrust23THRUST_200600_302600_NS6detail15normal_iteratorINSA_10device_ptrIjEEEEjNS1_16block_id_wrapperIjLb0EEEEEvT_jjPNSI_10value_typeET0_PNSt15iterator_traitsISL_E10value_typeEmT1_T2_.has_dyn_sized_stack, 0
	.set _ZN7rocprim17ROCPRIM_400000_NS6detail30init_device_scan_by_key_kernelINS1_19lookback_scan_stateINS0_5tupleIJ11FixedVectorIiLj8EEbEEELb1ELb0EEEN6thrust23THRUST_200600_302600_NS6detail15normal_iteratorINSA_10device_ptrIjEEEEjNS1_16block_id_wrapperIjLb0EEEEEvT_jjPNSI_10value_typeET0_PNSt15iterator_traitsISL_E10value_typeEmT1_T2_.has_recursion, 0
	.set _ZN7rocprim17ROCPRIM_400000_NS6detail30init_device_scan_by_key_kernelINS1_19lookback_scan_stateINS0_5tupleIJ11FixedVectorIiLj8EEbEEELb1ELb0EEEN6thrust23THRUST_200600_302600_NS6detail15normal_iteratorINSA_10device_ptrIjEEEEjNS1_16block_id_wrapperIjLb0EEEEEvT_jjPNSI_10value_typeET0_PNSt15iterator_traitsISL_E10value_typeEmT1_T2_.has_indirect_call, 0
	.section	.AMDGPU.csdata,"",@progbits
; Kernel info:
; codeLenInByte = 856
; TotalNumSgprs: 24
; NumVgprs: 12
; ScratchSize: 0
; MemoryBound: 0
; FloatMode: 240
; IeeeMode: 1
; LDSByteSize: 9216 bytes/workgroup (compile time only)
; SGPRBlocks: 0
; VGPRBlocks: 1
; NumSGPRsForWavesPerEU: 24
; NumVGPRsForWavesPerEU: 12
; Occupancy: 16
; WaveLimiterHint : 0
; COMPUTE_PGM_RSRC2:SCRATCH_EN: 0
; COMPUTE_PGM_RSRC2:USER_SGPR: 8
; COMPUTE_PGM_RSRC2:TRAP_HANDLER: 0
; COMPUTE_PGM_RSRC2:TGID_X_EN: 1
; COMPUTE_PGM_RSRC2:TGID_Y_EN: 0
; COMPUTE_PGM_RSRC2:TGID_Z_EN: 0
; COMPUTE_PGM_RSRC2:TIDIG_COMP_CNT: 2
	.section	.text._ZN7rocprim17ROCPRIM_400000_NS6detail30init_device_scan_by_key_kernelINS1_19lookback_scan_stateINS0_5tupleIJ11FixedVectorIiLj8EEbEEELb1ELb0EEENS1_16block_id_wrapperIjLb0EEEEEvT_jjPNSB_10value_typeET0_,"axG",@progbits,_ZN7rocprim17ROCPRIM_400000_NS6detail30init_device_scan_by_key_kernelINS1_19lookback_scan_stateINS0_5tupleIJ11FixedVectorIiLj8EEbEEELb1ELb0EEENS1_16block_id_wrapperIjLb0EEEEEvT_jjPNSB_10value_typeET0_,comdat
	.protected	_ZN7rocprim17ROCPRIM_400000_NS6detail30init_device_scan_by_key_kernelINS1_19lookback_scan_stateINS0_5tupleIJ11FixedVectorIiLj8EEbEEELb1ELb0EEENS1_16block_id_wrapperIjLb0EEEEEvT_jjPNSB_10value_typeET0_ ; -- Begin function _ZN7rocprim17ROCPRIM_400000_NS6detail30init_device_scan_by_key_kernelINS1_19lookback_scan_stateINS0_5tupleIJ11FixedVectorIiLj8EEbEEELb1ELb0EEENS1_16block_id_wrapperIjLb0EEEEEvT_jjPNSB_10value_typeET0_
	.globl	_ZN7rocprim17ROCPRIM_400000_NS6detail30init_device_scan_by_key_kernelINS1_19lookback_scan_stateINS0_5tupleIJ11FixedVectorIiLj8EEbEEELb1ELb0EEENS1_16block_id_wrapperIjLb0EEEEEvT_jjPNSB_10value_typeET0_
	.p2align	8
	.type	_ZN7rocprim17ROCPRIM_400000_NS6detail30init_device_scan_by_key_kernelINS1_19lookback_scan_stateINS0_5tupleIJ11FixedVectorIiLj8EEbEEELb1ELb0EEENS1_16block_id_wrapperIjLb0EEEEEvT_jjPNSB_10value_typeET0_,@function
_ZN7rocprim17ROCPRIM_400000_NS6detail30init_device_scan_by_key_kernelINS1_19lookback_scan_stateINS0_5tupleIJ11FixedVectorIiLj8EEbEEELb1ELb0EEENS1_16block_id_wrapperIjLb0EEEEEvT_jjPNSB_10value_typeET0_: ; @_ZN7rocprim17ROCPRIM_400000_NS6detail30init_device_scan_by_key_kernelINS1_19lookback_scan_stateINS0_5tupleIJ11FixedVectorIiLj8EEbEEELb1ELb0EEENS1_16block_id_wrapperIjLb0EEEEEvT_jjPNSB_10value_typeET0_
; %bb.0:
	s_clause 0x2
	s_load_dword s9, s[6:7], 0x3c
	s_load_dwordx2 s[10:11], s[6:7], 0x20
	s_load_dwordx4 s[0:3], s[6:7], 0x10
	s_waitcnt lgkmcnt(0)
	s_and_b32 s9, s9, 0xffff
	s_cmp_eq_u64 s[10:11], 0
	v_mad_u64_u32 v[3:4], null, s8, s9, v[0:1]
	s_cbranch_scc1 .LBB2136_11
; %bb.1:
	s_cmp_lt_u32 s3, s2
	s_cselect_b32 s8, s3, 0
	v_cmp_eq_u32_e32 vcc_lo, s8, v3
	s_mov_b32 s8, 0
	s_and_saveexec_b32 s12, vcc_lo
	s_cbranch_execz .LBB2136_10
; %bb.2:
	s_load_dwordx2 s[4:5], s[4:5], 0x4
	s_waitcnt lgkmcnt(0)
	s_lshr_b32 s4, s4, 16
	v_mul_u32_u24_e32 v1, s5, v1
	s_mul_i32 s4, s4, s5
	v_mul_lo_u32 v0, s4, v0
	s_load_dwordx4 s[4:7], s[6:7], 0x0
	v_add3_u32 v0, v0, v1, v2
	v_mov_b32_e32 v1, 0
	v_mul_lo_u32 v0, v0, 36
	ds_write2_b32 v0, v1, v1 offset0:6 offset1:7
	ds_write2_b32 v0, v1, v1 offset0:4 offset1:5
	;; [unrolled: 1-line block ×3, first 2 shown]
	ds_write2_b32 v0, v1, v1 offset1:1
	ds_write_b32 v0, v1 offset:32
.LBB2136_3:                             ; =>This Inner Loop Header: Depth=1
	v_add_nc_u32_e32 v2, s8, v0
	s_add_i32 s8, s8, 4
	s_cmp_lg_u32 s8, 32
	ds_write_b32 v2, v1
	s_cbranch_scc1 .LBB2136_3
; %bb.4:
	s_add_i32 s3, s3, 32
	v_mov_b32_e32 v1, 0
	v_mov_b32_e32 v2, s3
	s_add_u32 s8, s0, s3
	s_addc_u32 s9, s1, 0
	ds_write_b8 v0, v1 offset:32
	global_load_ubyte v2, v2, s[0:1] glc dlc
	s_waitcnt vmcnt(0)
	v_cmp_ne_u32_sdwa s13, v2, v1 src0_sel:WORD_0 src1_sel:DWORD
	v_readfirstlane_b32 s14, v2
	s_and_b32 vcc_lo, exec_lo, s13
	s_cbranch_vccnz .LBB2136_9
; %bb.5:
	s_mov_b32 s13, 1
.LBB2136_6:                             ; =>This Loop Header: Depth=1
                                        ;     Child Loop BB2136_7 Depth 2
	s_mov_b32 s14, s13
.LBB2136_7:                             ;   Parent Loop BB2136_6 Depth=1
                                        ; =>  This Inner Loop Header: Depth=2
	s_add_i32 s14, s14, -1
	s_sleep 1
	s_cmp_eq_u32 s14, 0
	s_cbranch_scc0 .LBB2136_7
; %bb.8:                                ;   in Loop: Header=BB2136_6 Depth=1
	global_load_ubyte v2, v1, s[8:9] glc dlc
	s_cmp_lt_u32 s13, 32
	s_cselect_b32 s14, -1, 0
	s_cmp_lg_u32 s14, 0
	s_addc_u32 s13, s13, 0
	s_waitcnt vmcnt(0)
	v_cmp_ne_u32_sdwa s15, v2, v1 src0_sel:WORD_0 src1_sel:DWORD
	v_readfirstlane_b32 s14, v2
	s_and_b32 vcc_lo, exec_lo, s15
	s_cbranch_vccz .LBB2136_6
.LBB2136_9:
	s_and_b32 s8, 0xffff, s14
	v_mov_b32_e32 v1, 0
	s_cmp_eq_u32 s8, 1
	s_mul_i32 s8, s3, 36
	s_waitcnt lgkmcnt(0)
	s_cselect_b32 s4, s4, s6
	s_cselect_b32 s5, s5, s7
	s_mul_hi_u32 s3, s3, 36
	s_add_u32 s4, s4, s8
	s_addc_u32 s5, s5, s3
	buffer_gl1_inv
	buffer_gl0_inv
	s_clause 0x2
	global_load_dwordx4 v[4:7], v1, s[4:5]
	global_load_dwordx4 v[8:11], v1, s[4:5] offset:16
	global_load_ubyte v2, v1, s[4:5] offset:32
	s_waitcnt vmcnt(2)
	ds_write2_b32 v0, v4, v5 offset1:1
	ds_write2_b32 v0, v6, v7 offset0:2 offset1:3
	s_waitcnt vmcnt(1)
	ds_write2_b32 v0, v8, v9 offset0:4 offset1:5
	ds_write2_b32 v0, v10, v11 offset0:6 offset1:7
	global_store_dwordx4 v1, v[4:7], s[10:11]
	global_store_dwordx4 v1, v[8:11], s[10:11] offset:16
	s_waitcnt vmcnt(0)
	global_store_byte v1, v2, s[10:11] offset:32
.LBB2136_10:
	s_or_b32 exec_lo, exec_lo, s12
.LBB2136_11:
	v_cmp_gt_u32_e32 vcc_lo, s2, v3
	s_and_saveexec_b32 s2, vcc_lo
	s_cbranch_execz .LBB2136_13
; %bb.12:
	v_add_nc_u32_e32 v0, 32, v3
	v_mov_b32_e32 v1, 0
	global_store_byte v0, v1, s[0:1]
.LBB2136_13:
	s_or_b32 exec_lo, exec_lo, s2
	s_mov_b32 s2, exec_lo
	v_cmpx_gt_u32_e32 32, v3
	s_cbranch_execz .LBB2136_15
; %bb.14:
	v_mov_b32_e32 v0, 0xff
	global_store_byte v3, v0, s[0:1]
.LBB2136_15:
	s_endpgm
	.section	.rodata,"a",@progbits
	.p2align	6, 0x0
	.amdhsa_kernel _ZN7rocprim17ROCPRIM_400000_NS6detail30init_device_scan_by_key_kernelINS1_19lookback_scan_stateINS0_5tupleIJ11FixedVectorIiLj8EEbEEELb1ELb0EEENS1_16block_id_wrapperIjLb0EEEEEvT_jjPNSB_10value_typeET0_
		.amdhsa_group_segment_fixed_size 9216
		.amdhsa_private_segment_fixed_size 0
		.amdhsa_kernarg_size 304
		.amdhsa_user_sgpr_count 8
		.amdhsa_user_sgpr_private_segment_buffer 1
		.amdhsa_user_sgpr_dispatch_ptr 1
		.amdhsa_user_sgpr_queue_ptr 0
		.amdhsa_user_sgpr_kernarg_segment_ptr 1
		.amdhsa_user_sgpr_dispatch_id 0
		.amdhsa_user_sgpr_flat_scratch_init 0
		.amdhsa_user_sgpr_private_segment_size 0
		.amdhsa_wavefront_size32 1
		.amdhsa_uses_dynamic_stack 0
		.amdhsa_system_sgpr_private_segment_wavefront_offset 0
		.amdhsa_system_sgpr_workgroup_id_x 1
		.amdhsa_system_sgpr_workgroup_id_y 0
		.amdhsa_system_sgpr_workgroup_id_z 0
		.amdhsa_system_sgpr_workgroup_info 0
		.amdhsa_system_vgpr_workitem_id 2
		.amdhsa_next_free_vgpr 12
		.amdhsa_next_free_sgpr 16
		.amdhsa_reserve_vcc 1
		.amdhsa_reserve_flat_scratch 0
		.amdhsa_float_round_mode_32 0
		.amdhsa_float_round_mode_16_64 0
		.amdhsa_float_denorm_mode_32 3
		.amdhsa_float_denorm_mode_16_64 3
		.amdhsa_dx10_clamp 1
		.amdhsa_ieee_mode 1
		.amdhsa_fp16_overflow 0
		.amdhsa_workgroup_processor_mode 1
		.amdhsa_memory_ordered 1
		.amdhsa_forward_progress 1
		.amdhsa_shared_vgpr_count 0
		.amdhsa_exception_fp_ieee_invalid_op 0
		.amdhsa_exception_fp_denorm_src 0
		.amdhsa_exception_fp_ieee_div_zero 0
		.amdhsa_exception_fp_ieee_overflow 0
		.amdhsa_exception_fp_ieee_underflow 0
		.amdhsa_exception_fp_ieee_inexact 0
		.amdhsa_exception_int_div_zero 0
	.end_amdhsa_kernel
	.section	.text._ZN7rocprim17ROCPRIM_400000_NS6detail30init_device_scan_by_key_kernelINS1_19lookback_scan_stateINS0_5tupleIJ11FixedVectorIiLj8EEbEEELb1ELb0EEENS1_16block_id_wrapperIjLb0EEEEEvT_jjPNSB_10value_typeET0_,"axG",@progbits,_ZN7rocprim17ROCPRIM_400000_NS6detail30init_device_scan_by_key_kernelINS1_19lookback_scan_stateINS0_5tupleIJ11FixedVectorIiLj8EEbEEELb1ELb0EEENS1_16block_id_wrapperIjLb0EEEEEvT_jjPNSB_10value_typeET0_,comdat
.Lfunc_end2136:
	.size	_ZN7rocprim17ROCPRIM_400000_NS6detail30init_device_scan_by_key_kernelINS1_19lookback_scan_stateINS0_5tupleIJ11FixedVectorIiLj8EEbEEELb1ELb0EEENS1_16block_id_wrapperIjLb0EEEEEvT_jjPNSB_10value_typeET0_, .Lfunc_end2136-_ZN7rocprim17ROCPRIM_400000_NS6detail30init_device_scan_by_key_kernelINS1_19lookback_scan_stateINS0_5tupleIJ11FixedVectorIiLj8EEbEEELb1ELb0EEENS1_16block_id_wrapperIjLb0EEEEEvT_jjPNSB_10value_typeET0_
                                        ; -- End function
	.set _ZN7rocprim17ROCPRIM_400000_NS6detail30init_device_scan_by_key_kernelINS1_19lookback_scan_stateINS0_5tupleIJ11FixedVectorIiLj8EEbEEELb1ELb0EEENS1_16block_id_wrapperIjLb0EEEEEvT_jjPNSB_10value_typeET0_.num_vgpr, 12
	.set _ZN7rocprim17ROCPRIM_400000_NS6detail30init_device_scan_by_key_kernelINS1_19lookback_scan_stateINS0_5tupleIJ11FixedVectorIiLj8EEbEEELb1ELb0EEENS1_16block_id_wrapperIjLb0EEEEEvT_jjPNSB_10value_typeET0_.num_agpr, 0
	.set _ZN7rocprim17ROCPRIM_400000_NS6detail30init_device_scan_by_key_kernelINS1_19lookback_scan_stateINS0_5tupleIJ11FixedVectorIiLj8EEbEEELb1ELb0EEENS1_16block_id_wrapperIjLb0EEEEEvT_jjPNSB_10value_typeET0_.numbered_sgpr, 16
	.set _ZN7rocprim17ROCPRIM_400000_NS6detail30init_device_scan_by_key_kernelINS1_19lookback_scan_stateINS0_5tupleIJ11FixedVectorIiLj8EEbEEELb1ELb0EEENS1_16block_id_wrapperIjLb0EEEEEvT_jjPNSB_10value_typeET0_.num_named_barrier, 0
	.set _ZN7rocprim17ROCPRIM_400000_NS6detail30init_device_scan_by_key_kernelINS1_19lookback_scan_stateINS0_5tupleIJ11FixedVectorIiLj8EEbEEELb1ELb0EEENS1_16block_id_wrapperIjLb0EEEEEvT_jjPNSB_10value_typeET0_.private_seg_size, 0
	.set _ZN7rocprim17ROCPRIM_400000_NS6detail30init_device_scan_by_key_kernelINS1_19lookback_scan_stateINS0_5tupleIJ11FixedVectorIiLj8EEbEEELb1ELb0EEENS1_16block_id_wrapperIjLb0EEEEEvT_jjPNSB_10value_typeET0_.uses_vcc, 1
	.set _ZN7rocprim17ROCPRIM_400000_NS6detail30init_device_scan_by_key_kernelINS1_19lookback_scan_stateINS0_5tupleIJ11FixedVectorIiLj8EEbEEELb1ELb0EEENS1_16block_id_wrapperIjLb0EEEEEvT_jjPNSB_10value_typeET0_.uses_flat_scratch, 0
	.set _ZN7rocprim17ROCPRIM_400000_NS6detail30init_device_scan_by_key_kernelINS1_19lookback_scan_stateINS0_5tupleIJ11FixedVectorIiLj8EEbEEELb1ELb0EEENS1_16block_id_wrapperIjLb0EEEEEvT_jjPNSB_10value_typeET0_.has_dyn_sized_stack, 0
	.set _ZN7rocprim17ROCPRIM_400000_NS6detail30init_device_scan_by_key_kernelINS1_19lookback_scan_stateINS0_5tupleIJ11FixedVectorIiLj8EEbEEELb1ELb0EEENS1_16block_id_wrapperIjLb0EEEEEvT_jjPNSB_10value_typeET0_.has_recursion, 0
	.set _ZN7rocprim17ROCPRIM_400000_NS6detail30init_device_scan_by_key_kernelINS1_19lookback_scan_stateINS0_5tupleIJ11FixedVectorIiLj8EEbEEELb1ELb0EEENS1_16block_id_wrapperIjLb0EEEEEvT_jjPNSB_10value_typeET0_.has_indirect_call, 0
	.section	.AMDGPU.csdata,"",@progbits
; Kernel info:
; codeLenInByte = 560
; TotalNumSgprs: 18
; NumVgprs: 12
; ScratchSize: 0
; MemoryBound: 0
; FloatMode: 240
; IeeeMode: 1
; LDSByteSize: 9216 bytes/workgroup (compile time only)
; SGPRBlocks: 0
; VGPRBlocks: 1
; NumSGPRsForWavesPerEU: 18
; NumVGPRsForWavesPerEU: 12
; Occupancy: 16
; WaveLimiterHint : 0
; COMPUTE_PGM_RSRC2:SCRATCH_EN: 0
; COMPUTE_PGM_RSRC2:USER_SGPR: 8
; COMPUTE_PGM_RSRC2:TRAP_HANDLER: 0
; COMPUTE_PGM_RSRC2:TGID_X_EN: 1
; COMPUTE_PGM_RSRC2:TGID_Y_EN: 0
; COMPUTE_PGM_RSRC2:TGID_Z_EN: 0
; COMPUTE_PGM_RSRC2:TIDIG_COMP_CNT: 2
	.section	.text._ZN7rocprim17ROCPRIM_400000_NS6detail17trampoline_kernelINS0_14default_configENS1_27scan_by_key_config_selectorIj11FixedVectorIiLj8EEEEZZNS1_16scan_by_key_implILNS1_25lookback_scan_determinismE0ELb0ES3_N6thrust23THRUST_200600_302600_NS6detail15normal_iteratorINSB_10device_ptrIjEEEENSD_INSE_IS6_EEEESI_S6_NSB_4plusIvEENSB_8equal_toIvEES6_EE10hipError_tPvRmT2_T3_T4_T5_mT6_T7_P12ihipStream_tbENKUlT_T0_E_clISt17integral_constantIbLb1EES12_IbLb0EEEEDaSY_SZ_EUlSY_E_NS1_11comp_targetILNS1_3genE0ELNS1_11target_archE4294967295ELNS1_3gpuE0ELNS1_3repE0EEENS1_30default_config_static_selectorELNS0_4arch9wavefront6targetE0EEEvT1_,"axG",@progbits,_ZN7rocprim17ROCPRIM_400000_NS6detail17trampoline_kernelINS0_14default_configENS1_27scan_by_key_config_selectorIj11FixedVectorIiLj8EEEEZZNS1_16scan_by_key_implILNS1_25lookback_scan_determinismE0ELb0ES3_N6thrust23THRUST_200600_302600_NS6detail15normal_iteratorINSB_10device_ptrIjEEEENSD_INSE_IS6_EEEESI_S6_NSB_4plusIvEENSB_8equal_toIvEES6_EE10hipError_tPvRmT2_T3_T4_T5_mT6_T7_P12ihipStream_tbENKUlT_T0_E_clISt17integral_constantIbLb1EES12_IbLb0EEEEDaSY_SZ_EUlSY_E_NS1_11comp_targetILNS1_3genE0ELNS1_11target_archE4294967295ELNS1_3gpuE0ELNS1_3repE0EEENS1_30default_config_static_selectorELNS0_4arch9wavefront6targetE0EEEvT1_,comdat
	.protected	_ZN7rocprim17ROCPRIM_400000_NS6detail17trampoline_kernelINS0_14default_configENS1_27scan_by_key_config_selectorIj11FixedVectorIiLj8EEEEZZNS1_16scan_by_key_implILNS1_25lookback_scan_determinismE0ELb0ES3_N6thrust23THRUST_200600_302600_NS6detail15normal_iteratorINSB_10device_ptrIjEEEENSD_INSE_IS6_EEEESI_S6_NSB_4plusIvEENSB_8equal_toIvEES6_EE10hipError_tPvRmT2_T3_T4_T5_mT6_T7_P12ihipStream_tbENKUlT_T0_E_clISt17integral_constantIbLb1EES12_IbLb0EEEEDaSY_SZ_EUlSY_E_NS1_11comp_targetILNS1_3genE0ELNS1_11target_archE4294967295ELNS1_3gpuE0ELNS1_3repE0EEENS1_30default_config_static_selectorELNS0_4arch9wavefront6targetE0EEEvT1_ ; -- Begin function _ZN7rocprim17ROCPRIM_400000_NS6detail17trampoline_kernelINS0_14default_configENS1_27scan_by_key_config_selectorIj11FixedVectorIiLj8EEEEZZNS1_16scan_by_key_implILNS1_25lookback_scan_determinismE0ELb0ES3_N6thrust23THRUST_200600_302600_NS6detail15normal_iteratorINSB_10device_ptrIjEEEENSD_INSE_IS6_EEEESI_S6_NSB_4plusIvEENSB_8equal_toIvEES6_EE10hipError_tPvRmT2_T3_T4_T5_mT6_T7_P12ihipStream_tbENKUlT_T0_E_clISt17integral_constantIbLb1EES12_IbLb0EEEEDaSY_SZ_EUlSY_E_NS1_11comp_targetILNS1_3genE0ELNS1_11target_archE4294967295ELNS1_3gpuE0ELNS1_3repE0EEENS1_30default_config_static_selectorELNS0_4arch9wavefront6targetE0EEEvT1_
	.globl	_ZN7rocprim17ROCPRIM_400000_NS6detail17trampoline_kernelINS0_14default_configENS1_27scan_by_key_config_selectorIj11FixedVectorIiLj8EEEEZZNS1_16scan_by_key_implILNS1_25lookback_scan_determinismE0ELb0ES3_N6thrust23THRUST_200600_302600_NS6detail15normal_iteratorINSB_10device_ptrIjEEEENSD_INSE_IS6_EEEESI_S6_NSB_4plusIvEENSB_8equal_toIvEES6_EE10hipError_tPvRmT2_T3_T4_T5_mT6_T7_P12ihipStream_tbENKUlT_T0_E_clISt17integral_constantIbLb1EES12_IbLb0EEEEDaSY_SZ_EUlSY_E_NS1_11comp_targetILNS1_3genE0ELNS1_11target_archE4294967295ELNS1_3gpuE0ELNS1_3repE0EEENS1_30default_config_static_selectorELNS0_4arch9wavefront6targetE0EEEvT1_
	.p2align	8
	.type	_ZN7rocprim17ROCPRIM_400000_NS6detail17trampoline_kernelINS0_14default_configENS1_27scan_by_key_config_selectorIj11FixedVectorIiLj8EEEEZZNS1_16scan_by_key_implILNS1_25lookback_scan_determinismE0ELb0ES3_N6thrust23THRUST_200600_302600_NS6detail15normal_iteratorINSB_10device_ptrIjEEEENSD_INSE_IS6_EEEESI_S6_NSB_4plusIvEENSB_8equal_toIvEES6_EE10hipError_tPvRmT2_T3_T4_T5_mT6_T7_P12ihipStream_tbENKUlT_T0_E_clISt17integral_constantIbLb1EES12_IbLb0EEEEDaSY_SZ_EUlSY_E_NS1_11comp_targetILNS1_3genE0ELNS1_11target_archE4294967295ELNS1_3gpuE0ELNS1_3repE0EEENS1_30default_config_static_selectorELNS0_4arch9wavefront6targetE0EEEvT1_,@function
_ZN7rocprim17ROCPRIM_400000_NS6detail17trampoline_kernelINS0_14default_configENS1_27scan_by_key_config_selectorIj11FixedVectorIiLj8EEEEZZNS1_16scan_by_key_implILNS1_25lookback_scan_determinismE0ELb0ES3_N6thrust23THRUST_200600_302600_NS6detail15normal_iteratorINSB_10device_ptrIjEEEENSD_INSE_IS6_EEEESI_S6_NSB_4plusIvEENSB_8equal_toIvEES6_EE10hipError_tPvRmT2_T3_T4_T5_mT6_T7_P12ihipStream_tbENKUlT_T0_E_clISt17integral_constantIbLb1EES12_IbLb0EEEEDaSY_SZ_EUlSY_E_NS1_11comp_targetILNS1_3genE0ELNS1_11target_archE4294967295ELNS1_3gpuE0ELNS1_3repE0EEENS1_30default_config_static_selectorELNS0_4arch9wavefront6targetE0EEEvT1_: ; @_ZN7rocprim17ROCPRIM_400000_NS6detail17trampoline_kernelINS0_14default_configENS1_27scan_by_key_config_selectorIj11FixedVectorIiLj8EEEEZZNS1_16scan_by_key_implILNS1_25lookback_scan_determinismE0ELb0ES3_N6thrust23THRUST_200600_302600_NS6detail15normal_iteratorINSB_10device_ptrIjEEEENSD_INSE_IS6_EEEESI_S6_NSB_4plusIvEENSB_8equal_toIvEES6_EE10hipError_tPvRmT2_T3_T4_T5_mT6_T7_P12ihipStream_tbENKUlT_T0_E_clISt17integral_constantIbLb1EES12_IbLb0EEEEDaSY_SZ_EUlSY_E_NS1_11comp_targetILNS1_3genE0ELNS1_11target_archE4294967295ELNS1_3gpuE0ELNS1_3repE0EEENS1_30default_config_static_selectorELNS0_4arch9wavefront6targetE0EEEvT1_
; %bb.0:
	.section	.rodata,"a",@progbits
	.p2align	6, 0x0
	.amdhsa_kernel _ZN7rocprim17ROCPRIM_400000_NS6detail17trampoline_kernelINS0_14default_configENS1_27scan_by_key_config_selectorIj11FixedVectorIiLj8EEEEZZNS1_16scan_by_key_implILNS1_25lookback_scan_determinismE0ELb0ES3_N6thrust23THRUST_200600_302600_NS6detail15normal_iteratorINSB_10device_ptrIjEEEENSD_INSE_IS6_EEEESI_S6_NSB_4plusIvEENSB_8equal_toIvEES6_EE10hipError_tPvRmT2_T3_T4_T5_mT6_T7_P12ihipStream_tbENKUlT_T0_E_clISt17integral_constantIbLb1EES12_IbLb0EEEEDaSY_SZ_EUlSY_E_NS1_11comp_targetILNS1_3genE0ELNS1_11target_archE4294967295ELNS1_3gpuE0ELNS1_3repE0EEENS1_30default_config_static_selectorELNS0_4arch9wavefront6targetE0EEEvT1_
		.amdhsa_group_segment_fixed_size 0
		.amdhsa_private_segment_fixed_size 0
		.amdhsa_kernarg_size 160
		.amdhsa_user_sgpr_count 6
		.amdhsa_user_sgpr_private_segment_buffer 1
		.amdhsa_user_sgpr_dispatch_ptr 0
		.amdhsa_user_sgpr_queue_ptr 0
		.amdhsa_user_sgpr_kernarg_segment_ptr 1
		.amdhsa_user_sgpr_dispatch_id 0
		.amdhsa_user_sgpr_flat_scratch_init 0
		.amdhsa_user_sgpr_private_segment_size 0
		.amdhsa_wavefront_size32 1
		.amdhsa_uses_dynamic_stack 0
		.amdhsa_system_sgpr_private_segment_wavefront_offset 0
		.amdhsa_system_sgpr_workgroup_id_x 1
		.amdhsa_system_sgpr_workgroup_id_y 0
		.amdhsa_system_sgpr_workgroup_id_z 0
		.amdhsa_system_sgpr_workgroup_info 0
		.amdhsa_system_vgpr_workitem_id 0
		.amdhsa_next_free_vgpr 1
		.amdhsa_next_free_sgpr 1
		.amdhsa_reserve_vcc 0
		.amdhsa_reserve_flat_scratch 0
		.amdhsa_float_round_mode_32 0
		.amdhsa_float_round_mode_16_64 0
		.amdhsa_float_denorm_mode_32 3
		.amdhsa_float_denorm_mode_16_64 3
		.amdhsa_dx10_clamp 1
		.amdhsa_ieee_mode 1
		.amdhsa_fp16_overflow 0
		.amdhsa_workgroup_processor_mode 1
		.amdhsa_memory_ordered 1
		.amdhsa_forward_progress 1
		.amdhsa_shared_vgpr_count 0
		.amdhsa_exception_fp_ieee_invalid_op 0
		.amdhsa_exception_fp_denorm_src 0
		.amdhsa_exception_fp_ieee_div_zero 0
		.amdhsa_exception_fp_ieee_overflow 0
		.amdhsa_exception_fp_ieee_underflow 0
		.amdhsa_exception_fp_ieee_inexact 0
		.amdhsa_exception_int_div_zero 0
	.end_amdhsa_kernel
	.section	.text._ZN7rocprim17ROCPRIM_400000_NS6detail17trampoline_kernelINS0_14default_configENS1_27scan_by_key_config_selectorIj11FixedVectorIiLj8EEEEZZNS1_16scan_by_key_implILNS1_25lookback_scan_determinismE0ELb0ES3_N6thrust23THRUST_200600_302600_NS6detail15normal_iteratorINSB_10device_ptrIjEEEENSD_INSE_IS6_EEEESI_S6_NSB_4plusIvEENSB_8equal_toIvEES6_EE10hipError_tPvRmT2_T3_T4_T5_mT6_T7_P12ihipStream_tbENKUlT_T0_E_clISt17integral_constantIbLb1EES12_IbLb0EEEEDaSY_SZ_EUlSY_E_NS1_11comp_targetILNS1_3genE0ELNS1_11target_archE4294967295ELNS1_3gpuE0ELNS1_3repE0EEENS1_30default_config_static_selectorELNS0_4arch9wavefront6targetE0EEEvT1_,"axG",@progbits,_ZN7rocprim17ROCPRIM_400000_NS6detail17trampoline_kernelINS0_14default_configENS1_27scan_by_key_config_selectorIj11FixedVectorIiLj8EEEEZZNS1_16scan_by_key_implILNS1_25lookback_scan_determinismE0ELb0ES3_N6thrust23THRUST_200600_302600_NS6detail15normal_iteratorINSB_10device_ptrIjEEEENSD_INSE_IS6_EEEESI_S6_NSB_4plusIvEENSB_8equal_toIvEES6_EE10hipError_tPvRmT2_T3_T4_T5_mT6_T7_P12ihipStream_tbENKUlT_T0_E_clISt17integral_constantIbLb1EES12_IbLb0EEEEDaSY_SZ_EUlSY_E_NS1_11comp_targetILNS1_3genE0ELNS1_11target_archE4294967295ELNS1_3gpuE0ELNS1_3repE0EEENS1_30default_config_static_selectorELNS0_4arch9wavefront6targetE0EEEvT1_,comdat
.Lfunc_end2137:
	.size	_ZN7rocprim17ROCPRIM_400000_NS6detail17trampoline_kernelINS0_14default_configENS1_27scan_by_key_config_selectorIj11FixedVectorIiLj8EEEEZZNS1_16scan_by_key_implILNS1_25lookback_scan_determinismE0ELb0ES3_N6thrust23THRUST_200600_302600_NS6detail15normal_iteratorINSB_10device_ptrIjEEEENSD_INSE_IS6_EEEESI_S6_NSB_4plusIvEENSB_8equal_toIvEES6_EE10hipError_tPvRmT2_T3_T4_T5_mT6_T7_P12ihipStream_tbENKUlT_T0_E_clISt17integral_constantIbLb1EES12_IbLb0EEEEDaSY_SZ_EUlSY_E_NS1_11comp_targetILNS1_3genE0ELNS1_11target_archE4294967295ELNS1_3gpuE0ELNS1_3repE0EEENS1_30default_config_static_selectorELNS0_4arch9wavefront6targetE0EEEvT1_, .Lfunc_end2137-_ZN7rocprim17ROCPRIM_400000_NS6detail17trampoline_kernelINS0_14default_configENS1_27scan_by_key_config_selectorIj11FixedVectorIiLj8EEEEZZNS1_16scan_by_key_implILNS1_25lookback_scan_determinismE0ELb0ES3_N6thrust23THRUST_200600_302600_NS6detail15normal_iteratorINSB_10device_ptrIjEEEENSD_INSE_IS6_EEEESI_S6_NSB_4plusIvEENSB_8equal_toIvEES6_EE10hipError_tPvRmT2_T3_T4_T5_mT6_T7_P12ihipStream_tbENKUlT_T0_E_clISt17integral_constantIbLb1EES12_IbLb0EEEEDaSY_SZ_EUlSY_E_NS1_11comp_targetILNS1_3genE0ELNS1_11target_archE4294967295ELNS1_3gpuE0ELNS1_3repE0EEENS1_30default_config_static_selectorELNS0_4arch9wavefront6targetE0EEEvT1_
                                        ; -- End function
	.set _ZN7rocprim17ROCPRIM_400000_NS6detail17trampoline_kernelINS0_14default_configENS1_27scan_by_key_config_selectorIj11FixedVectorIiLj8EEEEZZNS1_16scan_by_key_implILNS1_25lookback_scan_determinismE0ELb0ES3_N6thrust23THRUST_200600_302600_NS6detail15normal_iteratorINSB_10device_ptrIjEEEENSD_INSE_IS6_EEEESI_S6_NSB_4plusIvEENSB_8equal_toIvEES6_EE10hipError_tPvRmT2_T3_T4_T5_mT6_T7_P12ihipStream_tbENKUlT_T0_E_clISt17integral_constantIbLb1EES12_IbLb0EEEEDaSY_SZ_EUlSY_E_NS1_11comp_targetILNS1_3genE0ELNS1_11target_archE4294967295ELNS1_3gpuE0ELNS1_3repE0EEENS1_30default_config_static_selectorELNS0_4arch9wavefront6targetE0EEEvT1_.num_vgpr, 0
	.set _ZN7rocprim17ROCPRIM_400000_NS6detail17trampoline_kernelINS0_14default_configENS1_27scan_by_key_config_selectorIj11FixedVectorIiLj8EEEEZZNS1_16scan_by_key_implILNS1_25lookback_scan_determinismE0ELb0ES3_N6thrust23THRUST_200600_302600_NS6detail15normal_iteratorINSB_10device_ptrIjEEEENSD_INSE_IS6_EEEESI_S6_NSB_4plusIvEENSB_8equal_toIvEES6_EE10hipError_tPvRmT2_T3_T4_T5_mT6_T7_P12ihipStream_tbENKUlT_T0_E_clISt17integral_constantIbLb1EES12_IbLb0EEEEDaSY_SZ_EUlSY_E_NS1_11comp_targetILNS1_3genE0ELNS1_11target_archE4294967295ELNS1_3gpuE0ELNS1_3repE0EEENS1_30default_config_static_selectorELNS0_4arch9wavefront6targetE0EEEvT1_.num_agpr, 0
	.set _ZN7rocprim17ROCPRIM_400000_NS6detail17trampoline_kernelINS0_14default_configENS1_27scan_by_key_config_selectorIj11FixedVectorIiLj8EEEEZZNS1_16scan_by_key_implILNS1_25lookback_scan_determinismE0ELb0ES3_N6thrust23THRUST_200600_302600_NS6detail15normal_iteratorINSB_10device_ptrIjEEEENSD_INSE_IS6_EEEESI_S6_NSB_4plusIvEENSB_8equal_toIvEES6_EE10hipError_tPvRmT2_T3_T4_T5_mT6_T7_P12ihipStream_tbENKUlT_T0_E_clISt17integral_constantIbLb1EES12_IbLb0EEEEDaSY_SZ_EUlSY_E_NS1_11comp_targetILNS1_3genE0ELNS1_11target_archE4294967295ELNS1_3gpuE0ELNS1_3repE0EEENS1_30default_config_static_selectorELNS0_4arch9wavefront6targetE0EEEvT1_.numbered_sgpr, 0
	.set _ZN7rocprim17ROCPRIM_400000_NS6detail17trampoline_kernelINS0_14default_configENS1_27scan_by_key_config_selectorIj11FixedVectorIiLj8EEEEZZNS1_16scan_by_key_implILNS1_25lookback_scan_determinismE0ELb0ES3_N6thrust23THRUST_200600_302600_NS6detail15normal_iteratorINSB_10device_ptrIjEEEENSD_INSE_IS6_EEEESI_S6_NSB_4plusIvEENSB_8equal_toIvEES6_EE10hipError_tPvRmT2_T3_T4_T5_mT6_T7_P12ihipStream_tbENKUlT_T0_E_clISt17integral_constantIbLb1EES12_IbLb0EEEEDaSY_SZ_EUlSY_E_NS1_11comp_targetILNS1_3genE0ELNS1_11target_archE4294967295ELNS1_3gpuE0ELNS1_3repE0EEENS1_30default_config_static_selectorELNS0_4arch9wavefront6targetE0EEEvT1_.num_named_barrier, 0
	.set _ZN7rocprim17ROCPRIM_400000_NS6detail17trampoline_kernelINS0_14default_configENS1_27scan_by_key_config_selectorIj11FixedVectorIiLj8EEEEZZNS1_16scan_by_key_implILNS1_25lookback_scan_determinismE0ELb0ES3_N6thrust23THRUST_200600_302600_NS6detail15normal_iteratorINSB_10device_ptrIjEEEENSD_INSE_IS6_EEEESI_S6_NSB_4plusIvEENSB_8equal_toIvEES6_EE10hipError_tPvRmT2_T3_T4_T5_mT6_T7_P12ihipStream_tbENKUlT_T0_E_clISt17integral_constantIbLb1EES12_IbLb0EEEEDaSY_SZ_EUlSY_E_NS1_11comp_targetILNS1_3genE0ELNS1_11target_archE4294967295ELNS1_3gpuE0ELNS1_3repE0EEENS1_30default_config_static_selectorELNS0_4arch9wavefront6targetE0EEEvT1_.private_seg_size, 0
	.set _ZN7rocprim17ROCPRIM_400000_NS6detail17trampoline_kernelINS0_14default_configENS1_27scan_by_key_config_selectorIj11FixedVectorIiLj8EEEEZZNS1_16scan_by_key_implILNS1_25lookback_scan_determinismE0ELb0ES3_N6thrust23THRUST_200600_302600_NS6detail15normal_iteratorINSB_10device_ptrIjEEEENSD_INSE_IS6_EEEESI_S6_NSB_4plusIvEENSB_8equal_toIvEES6_EE10hipError_tPvRmT2_T3_T4_T5_mT6_T7_P12ihipStream_tbENKUlT_T0_E_clISt17integral_constantIbLb1EES12_IbLb0EEEEDaSY_SZ_EUlSY_E_NS1_11comp_targetILNS1_3genE0ELNS1_11target_archE4294967295ELNS1_3gpuE0ELNS1_3repE0EEENS1_30default_config_static_selectorELNS0_4arch9wavefront6targetE0EEEvT1_.uses_vcc, 0
	.set _ZN7rocprim17ROCPRIM_400000_NS6detail17trampoline_kernelINS0_14default_configENS1_27scan_by_key_config_selectorIj11FixedVectorIiLj8EEEEZZNS1_16scan_by_key_implILNS1_25lookback_scan_determinismE0ELb0ES3_N6thrust23THRUST_200600_302600_NS6detail15normal_iteratorINSB_10device_ptrIjEEEENSD_INSE_IS6_EEEESI_S6_NSB_4plusIvEENSB_8equal_toIvEES6_EE10hipError_tPvRmT2_T3_T4_T5_mT6_T7_P12ihipStream_tbENKUlT_T0_E_clISt17integral_constantIbLb1EES12_IbLb0EEEEDaSY_SZ_EUlSY_E_NS1_11comp_targetILNS1_3genE0ELNS1_11target_archE4294967295ELNS1_3gpuE0ELNS1_3repE0EEENS1_30default_config_static_selectorELNS0_4arch9wavefront6targetE0EEEvT1_.uses_flat_scratch, 0
	.set _ZN7rocprim17ROCPRIM_400000_NS6detail17trampoline_kernelINS0_14default_configENS1_27scan_by_key_config_selectorIj11FixedVectorIiLj8EEEEZZNS1_16scan_by_key_implILNS1_25lookback_scan_determinismE0ELb0ES3_N6thrust23THRUST_200600_302600_NS6detail15normal_iteratorINSB_10device_ptrIjEEEENSD_INSE_IS6_EEEESI_S6_NSB_4plusIvEENSB_8equal_toIvEES6_EE10hipError_tPvRmT2_T3_T4_T5_mT6_T7_P12ihipStream_tbENKUlT_T0_E_clISt17integral_constantIbLb1EES12_IbLb0EEEEDaSY_SZ_EUlSY_E_NS1_11comp_targetILNS1_3genE0ELNS1_11target_archE4294967295ELNS1_3gpuE0ELNS1_3repE0EEENS1_30default_config_static_selectorELNS0_4arch9wavefront6targetE0EEEvT1_.has_dyn_sized_stack, 0
	.set _ZN7rocprim17ROCPRIM_400000_NS6detail17trampoline_kernelINS0_14default_configENS1_27scan_by_key_config_selectorIj11FixedVectorIiLj8EEEEZZNS1_16scan_by_key_implILNS1_25lookback_scan_determinismE0ELb0ES3_N6thrust23THRUST_200600_302600_NS6detail15normal_iteratorINSB_10device_ptrIjEEEENSD_INSE_IS6_EEEESI_S6_NSB_4plusIvEENSB_8equal_toIvEES6_EE10hipError_tPvRmT2_T3_T4_T5_mT6_T7_P12ihipStream_tbENKUlT_T0_E_clISt17integral_constantIbLb1EES12_IbLb0EEEEDaSY_SZ_EUlSY_E_NS1_11comp_targetILNS1_3genE0ELNS1_11target_archE4294967295ELNS1_3gpuE0ELNS1_3repE0EEENS1_30default_config_static_selectorELNS0_4arch9wavefront6targetE0EEEvT1_.has_recursion, 0
	.set _ZN7rocprim17ROCPRIM_400000_NS6detail17trampoline_kernelINS0_14default_configENS1_27scan_by_key_config_selectorIj11FixedVectorIiLj8EEEEZZNS1_16scan_by_key_implILNS1_25lookback_scan_determinismE0ELb0ES3_N6thrust23THRUST_200600_302600_NS6detail15normal_iteratorINSB_10device_ptrIjEEEENSD_INSE_IS6_EEEESI_S6_NSB_4plusIvEENSB_8equal_toIvEES6_EE10hipError_tPvRmT2_T3_T4_T5_mT6_T7_P12ihipStream_tbENKUlT_T0_E_clISt17integral_constantIbLb1EES12_IbLb0EEEEDaSY_SZ_EUlSY_E_NS1_11comp_targetILNS1_3genE0ELNS1_11target_archE4294967295ELNS1_3gpuE0ELNS1_3repE0EEENS1_30default_config_static_selectorELNS0_4arch9wavefront6targetE0EEEvT1_.has_indirect_call, 0
	.section	.AMDGPU.csdata,"",@progbits
; Kernel info:
; codeLenInByte = 0
; TotalNumSgprs: 0
; NumVgprs: 0
; ScratchSize: 0
; MemoryBound: 0
; FloatMode: 240
; IeeeMode: 1
; LDSByteSize: 0 bytes/workgroup (compile time only)
; SGPRBlocks: 0
; VGPRBlocks: 0
; NumSGPRsForWavesPerEU: 1
; NumVGPRsForWavesPerEU: 1
; Occupancy: 16
; WaveLimiterHint : 0
; COMPUTE_PGM_RSRC2:SCRATCH_EN: 0
; COMPUTE_PGM_RSRC2:USER_SGPR: 6
; COMPUTE_PGM_RSRC2:TRAP_HANDLER: 0
; COMPUTE_PGM_RSRC2:TGID_X_EN: 1
; COMPUTE_PGM_RSRC2:TGID_Y_EN: 0
; COMPUTE_PGM_RSRC2:TGID_Z_EN: 0
; COMPUTE_PGM_RSRC2:TIDIG_COMP_CNT: 0
	.section	.text._ZN7rocprim17ROCPRIM_400000_NS6detail17trampoline_kernelINS0_14default_configENS1_27scan_by_key_config_selectorIj11FixedVectorIiLj8EEEEZZNS1_16scan_by_key_implILNS1_25lookback_scan_determinismE0ELb0ES3_N6thrust23THRUST_200600_302600_NS6detail15normal_iteratorINSB_10device_ptrIjEEEENSD_INSE_IS6_EEEESI_S6_NSB_4plusIvEENSB_8equal_toIvEES6_EE10hipError_tPvRmT2_T3_T4_T5_mT6_T7_P12ihipStream_tbENKUlT_T0_E_clISt17integral_constantIbLb1EES12_IbLb0EEEEDaSY_SZ_EUlSY_E_NS1_11comp_targetILNS1_3genE10ELNS1_11target_archE1201ELNS1_3gpuE5ELNS1_3repE0EEENS1_30default_config_static_selectorELNS0_4arch9wavefront6targetE0EEEvT1_,"axG",@progbits,_ZN7rocprim17ROCPRIM_400000_NS6detail17trampoline_kernelINS0_14default_configENS1_27scan_by_key_config_selectorIj11FixedVectorIiLj8EEEEZZNS1_16scan_by_key_implILNS1_25lookback_scan_determinismE0ELb0ES3_N6thrust23THRUST_200600_302600_NS6detail15normal_iteratorINSB_10device_ptrIjEEEENSD_INSE_IS6_EEEESI_S6_NSB_4plusIvEENSB_8equal_toIvEES6_EE10hipError_tPvRmT2_T3_T4_T5_mT6_T7_P12ihipStream_tbENKUlT_T0_E_clISt17integral_constantIbLb1EES12_IbLb0EEEEDaSY_SZ_EUlSY_E_NS1_11comp_targetILNS1_3genE10ELNS1_11target_archE1201ELNS1_3gpuE5ELNS1_3repE0EEENS1_30default_config_static_selectorELNS0_4arch9wavefront6targetE0EEEvT1_,comdat
	.protected	_ZN7rocprim17ROCPRIM_400000_NS6detail17trampoline_kernelINS0_14default_configENS1_27scan_by_key_config_selectorIj11FixedVectorIiLj8EEEEZZNS1_16scan_by_key_implILNS1_25lookback_scan_determinismE0ELb0ES3_N6thrust23THRUST_200600_302600_NS6detail15normal_iteratorINSB_10device_ptrIjEEEENSD_INSE_IS6_EEEESI_S6_NSB_4plusIvEENSB_8equal_toIvEES6_EE10hipError_tPvRmT2_T3_T4_T5_mT6_T7_P12ihipStream_tbENKUlT_T0_E_clISt17integral_constantIbLb1EES12_IbLb0EEEEDaSY_SZ_EUlSY_E_NS1_11comp_targetILNS1_3genE10ELNS1_11target_archE1201ELNS1_3gpuE5ELNS1_3repE0EEENS1_30default_config_static_selectorELNS0_4arch9wavefront6targetE0EEEvT1_ ; -- Begin function _ZN7rocprim17ROCPRIM_400000_NS6detail17trampoline_kernelINS0_14default_configENS1_27scan_by_key_config_selectorIj11FixedVectorIiLj8EEEEZZNS1_16scan_by_key_implILNS1_25lookback_scan_determinismE0ELb0ES3_N6thrust23THRUST_200600_302600_NS6detail15normal_iteratorINSB_10device_ptrIjEEEENSD_INSE_IS6_EEEESI_S6_NSB_4plusIvEENSB_8equal_toIvEES6_EE10hipError_tPvRmT2_T3_T4_T5_mT6_T7_P12ihipStream_tbENKUlT_T0_E_clISt17integral_constantIbLb1EES12_IbLb0EEEEDaSY_SZ_EUlSY_E_NS1_11comp_targetILNS1_3genE10ELNS1_11target_archE1201ELNS1_3gpuE5ELNS1_3repE0EEENS1_30default_config_static_selectorELNS0_4arch9wavefront6targetE0EEEvT1_
	.globl	_ZN7rocprim17ROCPRIM_400000_NS6detail17trampoline_kernelINS0_14default_configENS1_27scan_by_key_config_selectorIj11FixedVectorIiLj8EEEEZZNS1_16scan_by_key_implILNS1_25lookback_scan_determinismE0ELb0ES3_N6thrust23THRUST_200600_302600_NS6detail15normal_iteratorINSB_10device_ptrIjEEEENSD_INSE_IS6_EEEESI_S6_NSB_4plusIvEENSB_8equal_toIvEES6_EE10hipError_tPvRmT2_T3_T4_T5_mT6_T7_P12ihipStream_tbENKUlT_T0_E_clISt17integral_constantIbLb1EES12_IbLb0EEEEDaSY_SZ_EUlSY_E_NS1_11comp_targetILNS1_3genE10ELNS1_11target_archE1201ELNS1_3gpuE5ELNS1_3repE0EEENS1_30default_config_static_selectorELNS0_4arch9wavefront6targetE0EEEvT1_
	.p2align	8
	.type	_ZN7rocprim17ROCPRIM_400000_NS6detail17trampoline_kernelINS0_14default_configENS1_27scan_by_key_config_selectorIj11FixedVectorIiLj8EEEEZZNS1_16scan_by_key_implILNS1_25lookback_scan_determinismE0ELb0ES3_N6thrust23THRUST_200600_302600_NS6detail15normal_iteratorINSB_10device_ptrIjEEEENSD_INSE_IS6_EEEESI_S6_NSB_4plusIvEENSB_8equal_toIvEES6_EE10hipError_tPvRmT2_T3_T4_T5_mT6_T7_P12ihipStream_tbENKUlT_T0_E_clISt17integral_constantIbLb1EES12_IbLb0EEEEDaSY_SZ_EUlSY_E_NS1_11comp_targetILNS1_3genE10ELNS1_11target_archE1201ELNS1_3gpuE5ELNS1_3repE0EEENS1_30default_config_static_selectorELNS0_4arch9wavefront6targetE0EEEvT1_,@function
_ZN7rocprim17ROCPRIM_400000_NS6detail17trampoline_kernelINS0_14default_configENS1_27scan_by_key_config_selectorIj11FixedVectorIiLj8EEEEZZNS1_16scan_by_key_implILNS1_25lookback_scan_determinismE0ELb0ES3_N6thrust23THRUST_200600_302600_NS6detail15normal_iteratorINSB_10device_ptrIjEEEENSD_INSE_IS6_EEEESI_S6_NSB_4plusIvEENSB_8equal_toIvEES6_EE10hipError_tPvRmT2_T3_T4_T5_mT6_T7_P12ihipStream_tbENKUlT_T0_E_clISt17integral_constantIbLb1EES12_IbLb0EEEEDaSY_SZ_EUlSY_E_NS1_11comp_targetILNS1_3genE10ELNS1_11target_archE1201ELNS1_3gpuE5ELNS1_3repE0EEENS1_30default_config_static_selectorELNS0_4arch9wavefront6targetE0EEEvT1_: ; @_ZN7rocprim17ROCPRIM_400000_NS6detail17trampoline_kernelINS0_14default_configENS1_27scan_by_key_config_selectorIj11FixedVectorIiLj8EEEEZZNS1_16scan_by_key_implILNS1_25lookback_scan_determinismE0ELb0ES3_N6thrust23THRUST_200600_302600_NS6detail15normal_iteratorINSB_10device_ptrIjEEEENSD_INSE_IS6_EEEESI_S6_NSB_4plusIvEENSB_8equal_toIvEES6_EE10hipError_tPvRmT2_T3_T4_T5_mT6_T7_P12ihipStream_tbENKUlT_T0_E_clISt17integral_constantIbLb1EES12_IbLb0EEEEDaSY_SZ_EUlSY_E_NS1_11comp_targetILNS1_3genE10ELNS1_11target_archE1201ELNS1_3gpuE5ELNS1_3repE0EEENS1_30default_config_static_selectorELNS0_4arch9wavefront6targetE0EEEvT1_
; %bb.0:
	.section	.rodata,"a",@progbits
	.p2align	6, 0x0
	.amdhsa_kernel _ZN7rocprim17ROCPRIM_400000_NS6detail17trampoline_kernelINS0_14default_configENS1_27scan_by_key_config_selectorIj11FixedVectorIiLj8EEEEZZNS1_16scan_by_key_implILNS1_25lookback_scan_determinismE0ELb0ES3_N6thrust23THRUST_200600_302600_NS6detail15normal_iteratorINSB_10device_ptrIjEEEENSD_INSE_IS6_EEEESI_S6_NSB_4plusIvEENSB_8equal_toIvEES6_EE10hipError_tPvRmT2_T3_T4_T5_mT6_T7_P12ihipStream_tbENKUlT_T0_E_clISt17integral_constantIbLb1EES12_IbLb0EEEEDaSY_SZ_EUlSY_E_NS1_11comp_targetILNS1_3genE10ELNS1_11target_archE1201ELNS1_3gpuE5ELNS1_3repE0EEENS1_30default_config_static_selectorELNS0_4arch9wavefront6targetE0EEEvT1_
		.amdhsa_group_segment_fixed_size 0
		.amdhsa_private_segment_fixed_size 0
		.amdhsa_kernarg_size 160
		.amdhsa_user_sgpr_count 6
		.amdhsa_user_sgpr_private_segment_buffer 1
		.amdhsa_user_sgpr_dispatch_ptr 0
		.amdhsa_user_sgpr_queue_ptr 0
		.amdhsa_user_sgpr_kernarg_segment_ptr 1
		.amdhsa_user_sgpr_dispatch_id 0
		.amdhsa_user_sgpr_flat_scratch_init 0
		.amdhsa_user_sgpr_private_segment_size 0
		.amdhsa_wavefront_size32 1
		.amdhsa_uses_dynamic_stack 0
		.amdhsa_system_sgpr_private_segment_wavefront_offset 0
		.amdhsa_system_sgpr_workgroup_id_x 1
		.amdhsa_system_sgpr_workgroup_id_y 0
		.amdhsa_system_sgpr_workgroup_id_z 0
		.amdhsa_system_sgpr_workgroup_info 0
		.amdhsa_system_vgpr_workitem_id 0
		.amdhsa_next_free_vgpr 1
		.amdhsa_next_free_sgpr 1
		.amdhsa_reserve_vcc 0
		.amdhsa_reserve_flat_scratch 0
		.amdhsa_float_round_mode_32 0
		.amdhsa_float_round_mode_16_64 0
		.amdhsa_float_denorm_mode_32 3
		.amdhsa_float_denorm_mode_16_64 3
		.amdhsa_dx10_clamp 1
		.amdhsa_ieee_mode 1
		.amdhsa_fp16_overflow 0
		.amdhsa_workgroup_processor_mode 1
		.amdhsa_memory_ordered 1
		.amdhsa_forward_progress 1
		.amdhsa_shared_vgpr_count 0
		.amdhsa_exception_fp_ieee_invalid_op 0
		.amdhsa_exception_fp_denorm_src 0
		.amdhsa_exception_fp_ieee_div_zero 0
		.amdhsa_exception_fp_ieee_overflow 0
		.amdhsa_exception_fp_ieee_underflow 0
		.amdhsa_exception_fp_ieee_inexact 0
		.amdhsa_exception_int_div_zero 0
	.end_amdhsa_kernel
	.section	.text._ZN7rocprim17ROCPRIM_400000_NS6detail17trampoline_kernelINS0_14default_configENS1_27scan_by_key_config_selectorIj11FixedVectorIiLj8EEEEZZNS1_16scan_by_key_implILNS1_25lookback_scan_determinismE0ELb0ES3_N6thrust23THRUST_200600_302600_NS6detail15normal_iteratorINSB_10device_ptrIjEEEENSD_INSE_IS6_EEEESI_S6_NSB_4plusIvEENSB_8equal_toIvEES6_EE10hipError_tPvRmT2_T3_T4_T5_mT6_T7_P12ihipStream_tbENKUlT_T0_E_clISt17integral_constantIbLb1EES12_IbLb0EEEEDaSY_SZ_EUlSY_E_NS1_11comp_targetILNS1_3genE10ELNS1_11target_archE1201ELNS1_3gpuE5ELNS1_3repE0EEENS1_30default_config_static_selectorELNS0_4arch9wavefront6targetE0EEEvT1_,"axG",@progbits,_ZN7rocprim17ROCPRIM_400000_NS6detail17trampoline_kernelINS0_14default_configENS1_27scan_by_key_config_selectorIj11FixedVectorIiLj8EEEEZZNS1_16scan_by_key_implILNS1_25lookback_scan_determinismE0ELb0ES3_N6thrust23THRUST_200600_302600_NS6detail15normal_iteratorINSB_10device_ptrIjEEEENSD_INSE_IS6_EEEESI_S6_NSB_4plusIvEENSB_8equal_toIvEES6_EE10hipError_tPvRmT2_T3_T4_T5_mT6_T7_P12ihipStream_tbENKUlT_T0_E_clISt17integral_constantIbLb1EES12_IbLb0EEEEDaSY_SZ_EUlSY_E_NS1_11comp_targetILNS1_3genE10ELNS1_11target_archE1201ELNS1_3gpuE5ELNS1_3repE0EEENS1_30default_config_static_selectorELNS0_4arch9wavefront6targetE0EEEvT1_,comdat
.Lfunc_end2138:
	.size	_ZN7rocprim17ROCPRIM_400000_NS6detail17trampoline_kernelINS0_14default_configENS1_27scan_by_key_config_selectorIj11FixedVectorIiLj8EEEEZZNS1_16scan_by_key_implILNS1_25lookback_scan_determinismE0ELb0ES3_N6thrust23THRUST_200600_302600_NS6detail15normal_iteratorINSB_10device_ptrIjEEEENSD_INSE_IS6_EEEESI_S6_NSB_4plusIvEENSB_8equal_toIvEES6_EE10hipError_tPvRmT2_T3_T4_T5_mT6_T7_P12ihipStream_tbENKUlT_T0_E_clISt17integral_constantIbLb1EES12_IbLb0EEEEDaSY_SZ_EUlSY_E_NS1_11comp_targetILNS1_3genE10ELNS1_11target_archE1201ELNS1_3gpuE5ELNS1_3repE0EEENS1_30default_config_static_selectorELNS0_4arch9wavefront6targetE0EEEvT1_, .Lfunc_end2138-_ZN7rocprim17ROCPRIM_400000_NS6detail17trampoline_kernelINS0_14default_configENS1_27scan_by_key_config_selectorIj11FixedVectorIiLj8EEEEZZNS1_16scan_by_key_implILNS1_25lookback_scan_determinismE0ELb0ES3_N6thrust23THRUST_200600_302600_NS6detail15normal_iteratorINSB_10device_ptrIjEEEENSD_INSE_IS6_EEEESI_S6_NSB_4plusIvEENSB_8equal_toIvEES6_EE10hipError_tPvRmT2_T3_T4_T5_mT6_T7_P12ihipStream_tbENKUlT_T0_E_clISt17integral_constantIbLb1EES12_IbLb0EEEEDaSY_SZ_EUlSY_E_NS1_11comp_targetILNS1_3genE10ELNS1_11target_archE1201ELNS1_3gpuE5ELNS1_3repE0EEENS1_30default_config_static_selectorELNS0_4arch9wavefront6targetE0EEEvT1_
                                        ; -- End function
	.set _ZN7rocprim17ROCPRIM_400000_NS6detail17trampoline_kernelINS0_14default_configENS1_27scan_by_key_config_selectorIj11FixedVectorIiLj8EEEEZZNS1_16scan_by_key_implILNS1_25lookback_scan_determinismE0ELb0ES3_N6thrust23THRUST_200600_302600_NS6detail15normal_iteratorINSB_10device_ptrIjEEEENSD_INSE_IS6_EEEESI_S6_NSB_4plusIvEENSB_8equal_toIvEES6_EE10hipError_tPvRmT2_T3_T4_T5_mT6_T7_P12ihipStream_tbENKUlT_T0_E_clISt17integral_constantIbLb1EES12_IbLb0EEEEDaSY_SZ_EUlSY_E_NS1_11comp_targetILNS1_3genE10ELNS1_11target_archE1201ELNS1_3gpuE5ELNS1_3repE0EEENS1_30default_config_static_selectorELNS0_4arch9wavefront6targetE0EEEvT1_.num_vgpr, 0
	.set _ZN7rocprim17ROCPRIM_400000_NS6detail17trampoline_kernelINS0_14default_configENS1_27scan_by_key_config_selectorIj11FixedVectorIiLj8EEEEZZNS1_16scan_by_key_implILNS1_25lookback_scan_determinismE0ELb0ES3_N6thrust23THRUST_200600_302600_NS6detail15normal_iteratorINSB_10device_ptrIjEEEENSD_INSE_IS6_EEEESI_S6_NSB_4plusIvEENSB_8equal_toIvEES6_EE10hipError_tPvRmT2_T3_T4_T5_mT6_T7_P12ihipStream_tbENKUlT_T0_E_clISt17integral_constantIbLb1EES12_IbLb0EEEEDaSY_SZ_EUlSY_E_NS1_11comp_targetILNS1_3genE10ELNS1_11target_archE1201ELNS1_3gpuE5ELNS1_3repE0EEENS1_30default_config_static_selectorELNS0_4arch9wavefront6targetE0EEEvT1_.num_agpr, 0
	.set _ZN7rocprim17ROCPRIM_400000_NS6detail17trampoline_kernelINS0_14default_configENS1_27scan_by_key_config_selectorIj11FixedVectorIiLj8EEEEZZNS1_16scan_by_key_implILNS1_25lookback_scan_determinismE0ELb0ES3_N6thrust23THRUST_200600_302600_NS6detail15normal_iteratorINSB_10device_ptrIjEEEENSD_INSE_IS6_EEEESI_S6_NSB_4plusIvEENSB_8equal_toIvEES6_EE10hipError_tPvRmT2_T3_T4_T5_mT6_T7_P12ihipStream_tbENKUlT_T0_E_clISt17integral_constantIbLb1EES12_IbLb0EEEEDaSY_SZ_EUlSY_E_NS1_11comp_targetILNS1_3genE10ELNS1_11target_archE1201ELNS1_3gpuE5ELNS1_3repE0EEENS1_30default_config_static_selectorELNS0_4arch9wavefront6targetE0EEEvT1_.numbered_sgpr, 0
	.set _ZN7rocprim17ROCPRIM_400000_NS6detail17trampoline_kernelINS0_14default_configENS1_27scan_by_key_config_selectorIj11FixedVectorIiLj8EEEEZZNS1_16scan_by_key_implILNS1_25lookback_scan_determinismE0ELb0ES3_N6thrust23THRUST_200600_302600_NS6detail15normal_iteratorINSB_10device_ptrIjEEEENSD_INSE_IS6_EEEESI_S6_NSB_4plusIvEENSB_8equal_toIvEES6_EE10hipError_tPvRmT2_T3_T4_T5_mT6_T7_P12ihipStream_tbENKUlT_T0_E_clISt17integral_constantIbLb1EES12_IbLb0EEEEDaSY_SZ_EUlSY_E_NS1_11comp_targetILNS1_3genE10ELNS1_11target_archE1201ELNS1_3gpuE5ELNS1_3repE0EEENS1_30default_config_static_selectorELNS0_4arch9wavefront6targetE0EEEvT1_.num_named_barrier, 0
	.set _ZN7rocprim17ROCPRIM_400000_NS6detail17trampoline_kernelINS0_14default_configENS1_27scan_by_key_config_selectorIj11FixedVectorIiLj8EEEEZZNS1_16scan_by_key_implILNS1_25lookback_scan_determinismE0ELb0ES3_N6thrust23THRUST_200600_302600_NS6detail15normal_iteratorINSB_10device_ptrIjEEEENSD_INSE_IS6_EEEESI_S6_NSB_4plusIvEENSB_8equal_toIvEES6_EE10hipError_tPvRmT2_T3_T4_T5_mT6_T7_P12ihipStream_tbENKUlT_T0_E_clISt17integral_constantIbLb1EES12_IbLb0EEEEDaSY_SZ_EUlSY_E_NS1_11comp_targetILNS1_3genE10ELNS1_11target_archE1201ELNS1_3gpuE5ELNS1_3repE0EEENS1_30default_config_static_selectorELNS0_4arch9wavefront6targetE0EEEvT1_.private_seg_size, 0
	.set _ZN7rocprim17ROCPRIM_400000_NS6detail17trampoline_kernelINS0_14default_configENS1_27scan_by_key_config_selectorIj11FixedVectorIiLj8EEEEZZNS1_16scan_by_key_implILNS1_25lookback_scan_determinismE0ELb0ES3_N6thrust23THRUST_200600_302600_NS6detail15normal_iteratorINSB_10device_ptrIjEEEENSD_INSE_IS6_EEEESI_S6_NSB_4plusIvEENSB_8equal_toIvEES6_EE10hipError_tPvRmT2_T3_T4_T5_mT6_T7_P12ihipStream_tbENKUlT_T0_E_clISt17integral_constantIbLb1EES12_IbLb0EEEEDaSY_SZ_EUlSY_E_NS1_11comp_targetILNS1_3genE10ELNS1_11target_archE1201ELNS1_3gpuE5ELNS1_3repE0EEENS1_30default_config_static_selectorELNS0_4arch9wavefront6targetE0EEEvT1_.uses_vcc, 0
	.set _ZN7rocprim17ROCPRIM_400000_NS6detail17trampoline_kernelINS0_14default_configENS1_27scan_by_key_config_selectorIj11FixedVectorIiLj8EEEEZZNS1_16scan_by_key_implILNS1_25lookback_scan_determinismE0ELb0ES3_N6thrust23THRUST_200600_302600_NS6detail15normal_iteratorINSB_10device_ptrIjEEEENSD_INSE_IS6_EEEESI_S6_NSB_4plusIvEENSB_8equal_toIvEES6_EE10hipError_tPvRmT2_T3_T4_T5_mT6_T7_P12ihipStream_tbENKUlT_T0_E_clISt17integral_constantIbLb1EES12_IbLb0EEEEDaSY_SZ_EUlSY_E_NS1_11comp_targetILNS1_3genE10ELNS1_11target_archE1201ELNS1_3gpuE5ELNS1_3repE0EEENS1_30default_config_static_selectorELNS0_4arch9wavefront6targetE0EEEvT1_.uses_flat_scratch, 0
	.set _ZN7rocprim17ROCPRIM_400000_NS6detail17trampoline_kernelINS0_14default_configENS1_27scan_by_key_config_selectorIj11FixedVectorIiLj8EEEEZZNS1_16scan_by_key_implILNS1_25lookback_scan_determinismE0ELb0ES3_N6thrust23THRUST_200600_302600_NS6detail15normal_iteratorINSB_10device_ptrIjEEEENSD_INSE_IS6_EEEESI_S6_NSB_4plusIvEENSB_8equal_toIvEES6_EE10hipError_tPvRmT2_T3_T4_T5_mT6_T7_P12ihipStream_tbENKUlT_T0_E_clISt17integral_constantIbLb1EES12_IbLb0EEEEDaSY_SZ_EUlSY_E_NS1_11comp_targetILNS1_3genE10ELNS1_11target_archE1201ELNS1_3gpuE5ELNS1_3repE0EEENS1_30default_config_static_selectorELNS0_4arch9wavefront6targetE0EEEvT1_.has_dyn_sized_stack, 0
	.set _ZN7rocprim17ROCPRIM_400000_NS6detail17trampoline_kernelINS0_14default_configENS1_27scan_by_key_config_selectorIj11FixedVectorIiLj8EEEEZZNS1_16scan_by_key_implILNS1_25lookback_scan_determinismE0ELb0ES3_N6thrust23THRUST_200600_302600_NS6detail15normal_iteratorINSB_10device_ptrIjEEEENSD_INSE_IS6_EEEESI_S6_NSB_4plusIvEENSB_8equal_toIvEES6_EE10hipError_tPvRmT2_T3_T4_T5_mT6_T7_P12ihipStream_tbENKUlT_T0_E_clISt17integral_constantIbLb1EES12_IbLb0EEEEDaSY_SZ_EUlSY_E_NS1_11comp_targetILNS1_3genE10ELNS1_11target_archE1201ELNS1_3gpuE5ELNS1_3repE0EEENS1_30default_config_static_selectorELNS0_4arch9wavefront6targetE0EEEvT1_.has_recursion, 0
	.set _ZN7rocprim17ROCPRIM_400000_NS6detail17trampoline_kernelINS0_14default_configENS1_27scan_by_key_config_selectorIj11FixedVectorIiLj8EEEEZZNS1_16scan_by_key_implILNS1_25lookback_scan_determinismE0ELb0ES3_N6thrust23THRUST_200600_302600_NS6detail15normal_iteratorINSB_10device_ptrIjEEEENSD_INSE_IS6_EEEESI_S6_NSB_4plusIvEENSB_8equal_toIvEES6_EE10hipError_tPvRmT2_T3_T4_T5_mT6_T7_P12ihipStream_tbENKUlT_T0_E_clISt17integral_constantIbLb1EES12_IbLb0EEEEDaSY_SZ_EUlSY_E_NS1_11comp_targetILNS1_3genE10ELNS1_11target_archE1201ELNS1_3gpuE5ELNS1_3repE0EEENS1_30default_config_static_selectorELNS0_4arch9wavefront6targetE0EEEvT1_.has_indirect_call, 0
	.section	.AMDGPU.csdata,"",@progbits
; Kernel info:
; codeLenInByte = 0
; TotalNumSgprs: 0
; NumVgprs: 0
; ScratchSize: 0
; MemoryBound: 0
; FloatMode: 240
; IeeeMode: 1
; LDSByteSize: 0 bytes/workgroup (compile time only)
; SGPRBlocks: 0
; VGPRBlocks: 0
; NumSGPRsForWavesPerEU: 1
; NumVGPRsForWavesPerEU: 1
; Occupancy: 16
; WaveLimiterHint : 0
; COMPUTE_PGM_RSRC2:SCRATCH_EN: 0
; COMPUTE_PGM_RSRC2:USER_SGPR: 6
; COMPUTE_PGM_RSRC2:TRAP_HANDLER: 0
; COMPUTE_PGM_RSRC2:TGID_X_EN: 1
; COMPUTE_PGM_RSRC2:TGID_Y_EN: 0
; COMPUTE_PGM_RSRC2:TGID_Z_EN: 0
; COMPUTE_PGM_RSRC2:TIDIG_COMP_CNT: 0
	.section	.text._ZN7rocprim17ROCPRIM_400000_NS6detail17trampoline_kernelINS0_14default_configENS1_27scan_by_key_config_selectorIj11FixedVectorIiLj8EEEEZZNS1_16scan_by_key_implILNS1_25lookback_scan_determinismE0ELb0ES3_N6thrust23THRUST_200600_302600_NS6detail15normal_iteratorINSB_10device_ptrIjEEEENSD_INSE_IS6_EEEESI_S6_NSB_4plusIvEENSB_8equal_toIvEES6_EE10hipError_tPvRmT2_T3_T4_T5_mT6_T7_P12ihipStream_tbENKUlT_T0_E_clISt17integral_constantIbLb1EES12_IbLb0EEEEDaSY_SZ_EUlSY_E_NS1_11comp_targetILNS1_3genE5ELNS1_11target_archE942ELNS1_3gpuE9ELNS1_3repE0EEENS1_30default_config_static_selectorELNS0_4arch9wavefront6targetE0EEEvT1_,"axG",@progbits,_ZN7rocprim17ROCPRIM_400000_NS6detail17trampoline_kernelINS0_14default_configENS1_27scan_by_key_config_selectorIj11FixedVectorIiLj8EEEEZZNS1_16scan_by_key_implILNS1_25lookback_scan_determinismE0ELb0ES3_N6thrust23THRUST_200600_302600_NS6detail15normal_iteratorINSB_10device_ptrIjEEEENSD_INSE_IS6_EEEESI_S6_NSB_4plusIvEENSB_8equal_toIvEES6_EE10hipError_tPvRmT2_T3_T4_T5_mT6_T7_P12ihipStream_tbENKUlT_T0_E_clISt17integral_constantIbLb1EES12_IbLb0EEEEDaSY_SZ_EUlSY_E_NS1_11comp_targetILNS1_3genE5ELNS1_11target_archE942ELNS1_3gpuE9ELNS1_3repE0EEENS1_30default_config_static_selectorELNS0_4arch9wavefront6targetE0EEEvT1_,comdat
	.protected	_ZN7rocprim17ROCPRIM_400000_NS6detail17trampoline_kernelINS0_14default_configENS1_27scan_by_key_config_selectorIj11FixedVectorIiLj8EEEEZZNS1_16scan_by_key_implILNS1_25lookback_scan_determinismE0ELb0ES3_N6thrust23THRUST_200600_302600_NS6detail15normal_iteratorINSB_10device_ptrIjEEEENSD_INSE_IS6_EEEESI_S6_NSB_4plusIvEENSB_8equal_toIvEES6_EE10hipError_tPvRmT2_T3_T4_T5_mT6_T7_P12ihipStream_tbENKUlT_T0_E_clISt17integral_constantIbLb1EES12_IbLb0EEEEDaSY_SZ_EUlSY_E_NS1_11comp_targetILNS1_3genE5ELNS1_11target_archE942ELNS1_3gpuE9ELNS1_3repE0EEENS1_30default_config_static_selectorELNS0_4arch9wavefront6targetE0EEEvT1_ ; -- Begin function _ZN7rocprim17ROCPRIM_400000_NS6detail17trampoline_kernelINS0_14default_configENS1_27scan_by_key_config_selectorIj11FixedVectorIiLj8EEEEZZNS1_16scan_by_key_implILNS1_25lookback_scan_determinismE0ELb0ES3_N6thrust23THRUST_200600_302600_NS6detail15normal_iteratorINSB_10device_ptrIjEEEENSD_INSE_IS6_EEEESI_S6_NSB_4plusIvEENSB_8equal_toIvEES6_EE10hipError_tPvRmT2_T3_T4_T5_mT6_T7_P12ihipStream_tbENKUlT_T0_E_clISt17integral_constantIbLb1EES12_IbLb0EEEEDaSY_SZ_EUlSY_E_NS1_11comp_targetILNS1_3genE5ELNS1_11target_archE942ELNS1_3gpuE9ELNS1_3repE0EEENS1_30default_config_static_selectorELNS0_4arch9wavefront6targetE0EEEvT1_
	.globl	_ZN7rocprim17ROCPRIM_400000_NS6detail17trampoline_kernelINS0_14default_configENS1_27scan_by_key_config_selectorIj11FixedVectorIiLj8EEEEZZNS1_16scan_by_key_implILNS1_25lookback_scan_determinismE0ELb0ES3_N6thrust23THRUST_200600_302600_NS6detail15normal_iteratorINSB_10device_ptrIjEEEENSD_INSE_IS6_EEEESI_S6_NSB_4plusIvEENSB_8equal_toIvEES6_EE10hipError_tPvRmT2_T3_T4_T5_mT6_T7_P12ihipStream_tbENKUlT_T0_E_clISt17integral_constantIbLb1EES12_IbLb0EEEEDaSY_SZ_EUlSY_E_NS1_11comp_targetILNS1_3genE5ELNS1_11target_archE942ELNS1_3gpuE9ELNS1_3repE0EEENS1_30default_config_static_selectorELNS0_4arch9wavefront6targetE0EEEvT1_
	.p2align	8
	.type	_ZN7rocprim17ROCPRIM_400000_NS6detail17trampoline_kernelINS0_14default_configENS1_27scan_by_key_config_selectorIj11FixedVectorIiLj8EEEEZZNS1_16scan_by_key_implILNS1_25lookback_scan_determinismE0ELb0ES3_N6thrust23THRUST_200600_302600_NS6detail15normal_iteratorINSB_10device_ptrIjEEEENSD_INSE_IS6_EEEESI_S6_NSB_4plusIvEENSB_8equal_toIvEES6_EE10hipError_tPvRmT2_T3_T4_T5_mT6_T7_P12ihipStream_tbENKUlT_T0_E_clISt17integral_constantIbLb1EES12_IbLb0EEEEDaSY_SZ_EUlSY_E_NS1_11comp_targetILNS1_3genE5ELNS1_11target_archE942ELNS1_3gpuE9ELNS1_3repE0EEENS1_30default_config_static_selectorELNS0_4arch9wavefront6targetE0EEEvT1_,@function
_ZN7rocprim17ROCPRIM_400000_NS6detail17trampoline_kernelINS0_14default_configENS1_27scan_by_key_config_selectorIj11FixedVectorIiLj8EEEEZZNS1_16scan_by_key_implILNS1_25lookback_scan_determinismE0ELb0ES3_N6thrust23THRUST_200600_302600_NS6detail15normal_iteratorINSB_10device_ptrIjEEEENSD_INSE_IS6_EEEESI_S6_NSB_4plusIvEENSB_8equal_toIvEES6_EE10hipError_tPvRmT2_T3_T4_T5_mT6_T7_P12ihipStream_tbENKUlT_T0_E_clISt17integral_constantIbLb1EES12_IbLb0EEEEDaSY_SZ_EUlSY_E_NS1_11comp_targetILNS1_3genE5ELNS1_11target_archE942ELNS1_3gpuE9ELNS1_3repE0EEENS1_30default_config_static_selectorELNS0_4arch9wavefront6targetE0EEEvT1_: ; @_ZN7rocprim17ROCPRIM_400000_NS6detail17trampoline_kernelINS0_14default_configENS1_27scan_by_key_config_selectorIj11FixedVectorIiLj8EEEEZZNS1_16scan_by_key_implILNS1_25lookback_scan_determinismE0ELb0ES3_N6thrust23THRUST_200600_302600_NS6detail15normal_iteratorINSB_10device_ptrIjEEEENSD_INSE_IS6_EEEESI_S6_NSB_4plusIvEENSB_8equal_toIvEES6_EE10hipError_tPvRmT2_T3_T4_T5_mT6_T7_P12ihipStream_tbENKUlT_T0_E_clISt17integral_constantIbLb1EES12_IbLb0EEEEDaSY_SZ_EUlSY_E_NS1_11comp_targetILNS1_3genE5ELNS1_11target_archE942ELNS1_3gpuE9ELNS1_3repE0EEENS1_30default_config_static_selectorELNS0_4arch9wavefront6targetE0EEEvT1_
; %bb.0:
	.section	.rodata,"a",@progbits
	.p2align	6, 0x0
	.amdhsa_kernel _ZN7rocprim17ROCPRIM_400000_NS6detail17trampoline_kernelINS0_14default_configENS1_27scan_by_key_config_selectorIj11FixedVectorIiLj8EEEEZZNS1_16scan_by_key_implILNS1_25lookback_scan_determinismE0ELb0ES3_N6thrust23THRUST_200600_302600_NS6detail15normal_iteratorINSB_10device_ptrIjEEEENSD_INSE_IS6_EEEESI_S6_NSB_4plusIvEENSB_8equal_toIvEES6_EE10hipError_tPvRmT2_T3_T4_T5_mT6_T7_P12ihipStream_tbENKUlT_T0_E_clISt17integral_constantIbLb1EES12_IbLb0EEEEDaSY_SZ_EUlSY_E_NS1_11comp_targetILNS1_3genE5ELNS1_11target_archE942ELNS1_3gpuE9ELNS1_3repE0EEENS1_30default_config_static_selectorELNS0_4arch9wavefront6targetE0EEEvT1_
		.amdhsa_group_segment_fixed_size 0
		.amdhsa_private_segment_fixed_size 0
		.amdhsa_kernarg_size 160
		.amdhsa_user_sgpr_count 6
		.amdhsa_user_sgpr_private_segment_buffer 1
		.amdhsa_user_sgpr_dispatch_ptr 0
		.amdhsa_user_sgpr_queue_ptr 0
		.amdhsa_user_sgpr_kernarg_segment_ptr 1
		.amdhsa_user_sgpr_dispatch_id 0
		.amdhsa_user_sgpr_flat_scratch_init 0
		.amdhsa_user_sgpr_private_segment_size 0
		.amdhsa_wavefront_size32 1
		.amdhsa_uses_dynamic_stack 0
		.amdhsa_system_sgpr_private_segment_wavefront_offset 0
		.amdhsa_system_sgpr_workgroup_id_x 1
		.amdhsa_system_sgpr_workgroup_id_y 0
		.amdhsa_system_sgpr_workgroup_id_z 0
		.amdhsa_system_sgpr_workgroup_info 0
		.amdhsa_system_vgpr_workitem_id 0
		.amdhsa_next_free_vgpr 1
		.amdhsa_next_free_sgpr 1
		.amdhsa_reserve_vcc 0
		.amdhsa_reserve_flat_scratch 0
		.amdhsa_float_round_mode_32 0
		.amdhsa_float_round_mode_16_64 0
		.amdhsa_float_denorm_mode_32 3
		.amdhsa_float_denorm_mode_16_64 3
		.amdhsa_dx10_clamp 1
		.amdhsa_ieee_mode 1
		.amdhsa_fp16_overflow 0
		.amdhsa_workgroup_processor_mode 1
		.amdhsa_memory_ordered 1
		.amdhsa_forward_progress 1
		.amdhsa_shared_vgpr_count 0
		.amdhsa_exception_fp_ieee_invalid_op 0
		.amdhsa_exception_fp_denorm_src 0
		.amdhsa_exception_fp_ieee_div_zero 0
		.amdhsa_exception_fp_ieee_overflow 0
		.amdhsa_exception_fp_ieee_underflow 0
		.amdhsa_exception_fp_ieee_inexact 0
		.amdhsa_exception_int_div_zero 0
	.end_amdhsa_kernel
	.section	.text._ZN7rocprim17ROCPRIM_400000_NS6detail17trampoline_kernelINS0_14default_configENS1_27scan_by_key_config_selectorIj11FixedVectorIiLj8EEEEZZNS1_16scan_by_key_implILNS1_25lookback_scan_determinismE0ELb0ES3_N6thrust23THRUST_200600_302600_NS6detail15normal_iteratorINSB_10device_ptrIjEEEENSD_INSE_IS6_EEEESI_S6_NSB_4plusIvEENSB_8equal_toIvEES6_EE10hipError_tPvRmT2_T3_T4_T5_mT6_T7_P12ihipStream_tbENKUlT_T0_E_clISt17integral_constantIbLb1EES12_IbLb0EEEEDaSY_SZ_EUlSY_E_NS1_11comp_targetILNS1_3genE5ELNS1_11target_archE942ELNS1_3gpuE9ELNS1_3repE0EEENS1_30default_config_static_selectorELNS0_4arch9wavefront6targetE0EEEvT1_,"axG",@progbits,_ZN7rocprim17ROCPRIM_400000_NS6detail17trampoline_kernelINS0_14default_configENS1_27scan_by_key_config_selectorIj11FixedVectorIiLj8EEEEZZNS1_16scan_by_key_implILNS1_25lookback_scan_determinismE0ELb0ES3_N6thrust23THRUST_200600_302600_NS6detail15normal_iteratorINSB_10device_ptrIjEEEENSD_INSE_IS6_EEEESI_S6_NSB_4plusIvEENSB_8equal_toIvEES6_EE10hipError_tPvRmT2_T3_T4_T5_mT6_T7_P12ihipStream_tbENKUlT_T0_E_clISt17integral_constantIbLb1EES12_IbLb0EEEEDaSY_SZ_EUlSY_E_NS1_11comp_targetILNS1_3genE5ELNS1_11target_archE942ELNS1_3gpuE9ELNS1_3repE0EEENS1_30default_config_static_selectorELNS0_4arch9wavefront6targetE0EEEvT1_,comdat
.Lfunc_end2139:
	.size	_ZN7rocprim17ROCPRIM_400000_NS6detail17trampoline_kernelINS0_14default_configENS1_27scan_by_key_config_selectorIj11FixedVectorIiLj8EEEEZZNS1_16scan_by_key_implILNS1_25lookback_scan_determinismE0ELb0ES3_N6thrust23THRUST_200600_302600_NS6detail15normal_iteratorINSB_10device_ptrIjEEEENSD_INSE_IS6_EEEESI_S6_NSB_4plusIvEENSB_8equal_toIvEES6_EE10hipError_tPvRmT2_T3_T4_T5_mT6_T7_P12ihipStream_tbENKUlT_T0_E_clISt17integral_constantIbLb1EES12_IbLb0EEEEDaSY_SZ_EUlSY_E_NS1_11comp_targetILNS1_3genE5ELNS1_11target_archE942ELNS1_3gpuE9ELNS1_3repE0EEENS1_30default_config_static_selectorELNS0_4arch9wavefront6targetE0EEEvT1_, .Lfunc_end2139-_ZN7rocprim17ROCPRIM_400000_NS6detail17trampoline_kernelINS0_14default_configENS1_27scan_by_key_config_selectorIj11FixedVectorIiLj8EEEEZZNS1_16scan_by_key_implILNS1_25lookback_scan_determinismE0ELb0ES3_N6thrust23THRUST_200600_302600_NS6detail15normal_iteratorINSB_10device_ptrIjEEEENSD_INSE_IS6_EEEESI_S6_NSB_4plusIvEENSB_8equal_toIvEES6_EE10hipError_tPvRmT2_T3_T4_T5_mT6_T7_P12ihipStream_tbENKUlT_T0_E_clISt17integral_constantIbLb1EES12_IbLb0EEEEDaSY_SZ_EUlSY_E_NS1_11comp_targetILNS1_3genE5ELNS1_11target_archE942ELNS1_3gpuE9ELNS1_3repE0EEENS1_30default_config_static_selectorELNS0_4arch9wavefront6targetE0EEEvT1_
                                        ; -- End function
	.set _ZN7rocprim17ROCPRIM_400000_NS6detail17trampoline_kernelINS0_14default_configENS1_27scan_by_key_config_selectorIj11FixedVectorIiLj8EEEEZZNS1_16scan_by_key_implILNS1_25lookback_scan_determinismE0ELb0ES3_N6thrust23THRUST_200600_302600_NS6detail15normal_iteratorINSB_10device_ptrIjEEEENSD_INSE_IS6_EEEESI_S6_NSB_4plusIvEENSB_8equal_toIvEES6_EE10hipError_tPvRmT2_T3_T4_T5_mT6_T7_P12ihipStream_tbENKUlT_T0_E_clISt17integral_constantIbLb1EES12_IbLb0EEEEDaSY_SZ_EUlSY_E_NS1_11comp_targetILNS1_3genE5ELNS1_11target_archE942ELNS1_3gpuE9ELNS1_3repE0EEENS1_30default_config_static_selectorELNS0_4arch9wavefront6targetE0EEEvT1_.num_vgpr, 0
	.set _ZN7rocprim17ROCPRIM_400000_NS6detail17trampoline_kernelINS0_14default_configENS1_27scan_by_key_config_selectorIj11FixedVectorIiLj8EEEEZZNS1_16scan_by_key_implILNS1_25lookback_scan_determinismE0ELb0ES3_N6thrust23THRUST_200600_302600_NS6detail15normal_iteratorINSB_10device_ptrIjEEEENSD_INSE_IS6_EEEESI_S6_NSB_4plusIvEENSB_8equal_toIvEES6_EE10hipError_tPvRmT2_T3_T4_T5_mT6_T7_P12ihipStream_tbENKUlT_T0_E_clISt17integral_constantIbLb1EES12_IbLb0EEEEDaSY_SZ_EUlSY_E_NS1_11comp_targetILNS1_3genE5ELNS1_11target_archE942ELNS1_3gpuE9ELNS1_3repE0EEENS1_30default_config_static_selectorELNS0_4arch9wavefront6targetE0EEEvT1_.num_agpr, 0
	.set _ZN7rocprim17ROCPRIM_400000_NS6detail17trampoline_kernelINS0_14default_configENS1_27scan_by_key_config_selectorIj11FixedVectorIiLj8EEEEZZNS1_16scan_by_key_implILNS1_25lookback_scan_determinismE0ELb0ES3_N6thrust23THRUST_200600_302600_NS6detail15normal_iteratorINSB_10device_ptrIjEEEENSD_INSE_IS6_EEEESI_S6_NSB_4plusIvEENSB_8equal_toIvEES6_EE10hipError_tPvRmT2_T3_T4_T5_mT6_T7_P12ihipStream_tbENKUlT_T0_E_clISt17integral_constantIbLb1EES12_IbLb0EEEEDaSY_SZ_EUlSY_E_NS1_11comp_targetILNS1_3genE5ELNS1_11target_archE942ELNS1_3gpuE9ELNS1_3repE0EEENS1_30default_config_static_selectorELNS0_4arch9wavefront6targetE0EEEvT1_.numbered_sgpr, 0
	.set _ZN7rocprim17ROCPRIM_400000_NS6detail17trampoline_kernelINS0_14default_configENS1_27scan_by_key_config_selectorIj11FixedVectorIiLj8EEEEZZNS1_16scan_by_key_implILNS1_25lookback_scan_determinismE0ELb0ES3_N6thrust23THRUST_200600_302600_NS6detail15normal_iteratorINSB_10device_ptrIjEEEENSD_INSE_IS6_EEEESI_S6_NSB_4plusIvEENSB_8equal_toIvEES6_EE10hipError_tPvRmT2_T3_T4_T5_mT6_T7_P12ihipStream_tbENKUlT_T0_E_clISt17integral_constantIbLb1EES12_IbLb0EEEEDaSY_SZ_EUlSY_E_NS1_11comp_targetILNS1_3genE5ELNS1_11target_archE942ELNS1_3gpuE9ELNS1_3repE0EEENS1_30default_config_static_selectorELNS0_4arch9wavefront6targetE0EEEvT1_.num_named_barrier, 0
	.set _ZN7rocprim17ROCPRIM_400000_NS6detail17trampoline_kernelINS0_14default_configENS1_27scan_by_key_config_selectorIj11FixedVectorIiLj8EEEEZZNS1_16scan_by_key_implILNS1_25lookback_scan_determinismE0ELb0ES3_N6thrust23THRUST_200600_302600_NS6detail15normal_iteratorINSB_10device_ptrIjEEEENSD_INSE_IS6_EEEESI_S6_NSB_4plusIvEENSB_8equal_toIvEES6_EE10hipError_tPvRmT2_T3_T4_T5_mT6_T7_P12ihipStream_tbENKUlT_T0_E_clISt17integral_constantIbLb1EES12_IbLb0EEEEDaSY_SZ_EUlSY_E_NS1_11comp_targetILNS1_3genE5ELNS1_11target_archE942ELNS1_3gpuE9ELNS1_3repE0EEENS1_30default_config_static_selectorELNS0_4arch9wavefront6targetE0EEEvT1_.private_seg_size, 0
	.set _ZN7rocprim17ROCPRIM_400000_NS6detail17trampoline_kernelINS0_14default_configENS1_27scan_by_key_config_selectorIj11FixedVectorIiLj8EEEEZZNS1_16scan_by_key_implILNS1_25lookback_scan_determinismE0ELb0ES3_N6thrust23THRUST_200600_302600_NS6detail15normal_iteratorINSB_10device_ptrIjEEEENSD_INSE_IS6_EEEESI_S6_NSB_4plusIvEENSB_8equal_toIvEES6_EE10hipError_tPvRmT2_T3_T4_T5_mT6_T7_P12ihipStream_tbENKUlT_T0_E_clISt17integral_constantIbLb1EES12_IbLb0EEEEDaSY_SZ_EUlSY_E_NS1_11comp_targetILNS1_3genE5ELNS1_11target_archE942ELNS1_3gpuE9ELNS1_3repE0EEENS1_30default_config_static_selectorELNS0_4arch9wavefront6targetE0EEEvT1_.uses_vcc, 0
	.set _ZN7rocprim17ROCPRIM_400000_NS6detail17trampoline_kernelINS0_14default_configENS1_27scan_by_key_config_selectorIj11FixedVectorIiLj8EEEEZZNS1_16scan_by_key_implILNS1_25lookback_scan_determinismE0ELb0ES3_N6thrust23THRUST_200600_302600_NS6detail15normal_iteratorINSB_10device_ptrIjEEEENSD_INSE_IS6_EEEESI_S6_NSB_4plusIvEENSB_8equal_toIvEES6_EE10hipError_tPvRmT2_T3_T4_T5_mT6_T7_P12ihipStream_tbENKUlT_T0_E_clISt17integral_constantIbLb1EES12_IbLb0EEEEDaSY_SZ_EUlSY_E_NS1_11comp_targetILNS1_3genE5ELNS1_11target_archE942ELNS1_3gpuE9ELNS1_3repE0EEENS1_30default_config_static_selectorELNS0_4arch9wavefront6targetE0EEEvT1_.uses_flat_scratch, 0
	.set _ZN7rocprim17ROCPRIM_400000_NS6detail17trampoline_kernelINS0_14default_configENS1_27scan_by_key_config_selectorIj11FixedVectorIiLj8EEEEZZNS1_16scan_by_key_implILNS1_25lookback_scan_determinismE0ELb0ES3_N6thrust23THRUST_200600_302600_NS6detail15normal_iteratorINSB_10device_ptrIjEEEENSD_INSE_IS6_EEEESI_S6_NSB_4plusIvEENSB_8equal_toIvEES6_EE10hipError_tPvRmT2_T3_T4_T5_mT6_T7_P12ihipStream_tbENKUlT_T0_E_clISt17integral_constantIbLb1EES12_IbLb0EEEEDaSY_SZ_EUlSY_E_NS1_11comp_targetILNS1_3genE5ELNS1_11target_archE942ELNS1_3gpuE9ELNS1_3repE0EEENS1_30default_config_static_selectorELNS0_4arch9wavefront6targetE0EEEvT1_.has_dyn_sized_stack, 0
	.set _ZN7rocprim17ROCPRIM_400000_NS6detail17trampoline_kernelINS0_14default_configENS1_27scan_by_key_config_selectorIj11FixedVectorIiLj8EEEEZZNS1_16scan_by_key_implILNS1_25lookback_scan_determinismE0ELb0ES3_N6thrust23THRUST_200600_302600_NS6detail15normal_iteratorINSB_10device_ptrIjEEEENSD_INSE_IS6_EEEESI_S6_NSB_4plusIvEENSB_8equal_toIvEES6_EE10hipError_tPvRmT2_T3_T4_T5_mT6_T7_P12ihipStream_tbENKUlT_T0_E_clISt17integral_constantIbLb1EES12_IbLb0EEEEDaSY_SZ_EUlSY_E_NS1_11comp_targetILNS1_3genE5ELNS1_11target_archE942ELNS1_3gpuE9ELNS1_3repE0EEENS1_30default_config_static_selectorELNS0_4arch9wavefront6targetE0EEEvT1_.has_recursion, 0
	.set _ZN7rocprim17ROCPRIM_400000_NS6detail17trampoline_kernelINS0_14default_configENS1_27scan_by_key_config_selectorIj11FixedVectorIiLj8EEEEZZNS1_16scan_by_key_implILNS1_25lookback_scan_determinismE0ELb0ES3_N6thrust23THRUST_200600_302600_NS6detail15normal_iteratorINSB_10device_ptrIjEEEENSD_INSE_IS6_EEEESI_S6_NSB_4plusIvEENSB_8equal_toIvEES6_EE10hipError_tPvRmT2_T3_T4_T5_mT6_T7_P12ihipStream_tbENKUlT_T0_E_clISt17integral_constantIbLb1EES12_IbLb0EEEEDaSY_SZ_EUlSY_E_NS1_11comp_targetILNS1_3genE5ELNS1_11target_archE942ELNS1_3gpuE9ELNS1_3repE0EEENS1_30default_config_static_selectorELNS0_4arch9wavefront6targetE0EEEvT1_.has_indirect_call, 0
	.section	.AMDGPU.csdata,"",@progbits
; Kernel info:
; codeLenInByte = 0
; TotalNumSgprs: 0
; NumVgprs: 0
; ScratchSize: 0
; MemoryBound: 0
; FloatMode: 240
; IeeeMode: 1
; LDSByteSize: 0 bytes/workgroup (compile time only)
; SGPRBlocks: 0
; VGPRBlocks: 0
; NumSGPRsForWavesPerEU: 1
; NumVGPRsForWavesPerEU: 1
; Occupancy: 16
; WaveLimiterHint : 0
; COMPUTE_PGM_RSRC2:SCRATCH_EN: 0
; COMPUTE_PGM_RSRC2:USER_SGPR: 6
; COMPUTE_PGM_RSRC2:TRAP_HANDLER: 0
; COMPUTE_PGM_RSRC2:TGID_X_EN: 1
; COMPUTE_PGM_RSRC2:TGID_Y_EN: 0
; COMPUTE_PGM_RSRC2:TGID_Z_EN: 0
; COMPUTE_PGM_RSRC2:TIDIG_COMP_CNT: 0
	.section	.text._ZN7rocprim17ROCPRIM_400000_NS6detail17trampoline_kernelINS0_14default_configENS1_27scan_by_key_config_selectorIj11FixedVectorIiLj8EEEEZZNS1_16scan_by_key_implILNS1_25lookback_scan_determinismE0ELb0ES3_N6thrust23THRUST_200600_302600_NS6detail15normal_iteratorINSB_10device_ptrIjEEEENSD_INSE_IS6_EEEESI_S6_NSB_4plusIvEENSB_8equal_toIvEES6_EE10hipError_tPvRmT2_T3_T4_T5_mT6_T7_P12ihipStream_tbENKUlT_T0_E_clISt17integral_constantIbLb1EES12_IbLb0EEEEDaSY_SZ_EUlSY_E_NS1_11comp_targetILNS1_3genE4ELNS1_11target_archE910ELNS1_3gpuE8ELNS1_3repE0EEENS1_30default_config_static_selectorELNS0_4arch9wavefront6targetE0EEEvT1_,"axG",@progbits,_ZN7rocprim17ROCPRIM_400000_NS6detail17trampoline_kernelINS0_14default_configENS1_27scan_by_key_config_selectorIj11FixedVectorIiLj8EEEEZZNS1_16scan_by_key_implILNS1_25lookback_scan_determinismE0ELb0ES3_N6thrust23THRUST_200600_302600_NS6detail15normal_iteratorINSB_10device_ptrIjEEEENSD_INSE_IS6_EEEESI_S6_NSB_4plusIvEENSB_8equal_toIvEES6_EE10hipError_tPvRmT2_T3_T4_T5_mT6_T7_P12ihipStream_tbENKUlT_T0_E_clISt17integral_constantIbLb1EES12_IbLb0EEEEDaSY_SZ_EUlSY_E_NS1_11comp_targetILNS1_3genE4ELNS1_11target_archE910ELNS1_3gpuE8ELNS1_3repE0EEENS1_30default_config_static_selectorELNS0_4arch9wavefront6targetE0EEEvT1_,comdat
	.protected	_ZN7rocprim17ROCPRIM_400000_NS6detail17trampoline_kernelINS0_14default_configENS1_27scan_by_key_config_selectorIj11FixedVectorIiLj8EEEEZZNS1_16scan_by_key_implILNS1_25lookback_scan_determinismE0ELb0ES3_N6thrust23THRUST_200600_302600_NS6detail15normal_iteratorINSB_10device_ptrIjEEEENSD_INSE_IS6_EEEESI_S6_NSB_4plusIvEENSB_8equal_toIvEES6_EE10hipError_tPvRmT2_T3_T4_T5_mT6_T7_P12ihipStream_tbENKUlT_T0_E_clISt17integral_constantIbLb1EES12_IbLb0EEEEDaSY_SZ_EUlSY_E_NS1_11comp_targetILNS1_3genE4ELNS1_11target_archE910ELNS1_3gpuE8ELNS1_3repE0EEENS1_30default_config_static_selectorELNS0_4arch9wavefront6targetE0EEEvT1_ ; -- Begin function _ZN7rocprim17ROCPRIM_400000_NS6detail17trampoline_kernelINS0_14default_configENS1_27scan_by_key_config_selectorIj11FixedVectorIiLj8EEEEZZNS1_16scan_by_key_implILNS1_25lookback_scan_determinismE0ELb0ES3_N6thrust23THRUST_200600_302600_NS6detail15normal_iteratorINSB_10device_ptrIjEEEENSD_INSE_IS6_EEEESI_S6_NSB_4plusIvEENSB_8equal_toIvEES6_EE10hipError_tPvRmT2_T3_T4_T5_mT6_T7_P12ihipStream_tbENKUlT_T0_E_clISt17integral_constantIbLb1EES12_IbLb0EEEEDaSY_SZ_EUlSY_E_NS1_11comp_targetILNS1_3genE4ELNS1_11target_archE910ELNS1_3gpuE8ELNS1_3repE0EEENS1_30default_config_static_selectorELNS0_4arch9wavefront6targetE0EEEvT1_
	.globl	_ZN7rocprim17ROCPRIM_400000_NS6detail17trampoline_kernelINS0_14default_configENS1_27scan_by_key_config_selectorIj11FixedVectorIiLj8EEEEZZNS1_16scan_by_key_implILNS1_25lookback_scan_determinismE0ELb0ES3_N6thrust23THRUST_200600_302600_NS6detail15normal_iteratorINSB_10device_ptrIjEEEENSD_INSE_IS6_EEEESI_S6_NSB_4plusIvEENSB_8equal_toIvEES6_EE10hipError_tPvRmT2_T3_T4_T5_mT6_T7_P12ihipStream_tbENKUlT_T0_E_clISt17integral_constantIbLb1EES12_IbLb0EEEEDaSY_SZ_EUlSY_E_NS1_11comp_targetILNS1_3genE4ELNS1_11target_archE910ELNS1_3gpuE8ELNS1_3repE0EEENS1_30default_config_static_selectorELNS0_4arch9wavefront6targetE0EEEvT1_
	.p2align	8
	.type	_ZN7rocprim17ROCPRIM_400000_NS6detail17trampoline_kernelINS0_14default_configENS1_27scan_by_key_config_selectorIj11FixedVectorIiLj8EEEEZZNS1_16scan_by_key_implILNS1_25lookback_scan_determinismE0ELb0ES3_N6thrust23THRUST_200600_302600_NS6detail15normal_iteratorINSB_10device_ptrIjEEEENSD_INSE_IS6_EEEESI_S6_NSB_4plusIvEENSB_8equal_toIvEES6_EE10hipError_tPvRmT2_T3_T4_T5_mT6_T7_P12ihipStream_tbENKUlT_T0_E_clISt17integral_constantIbLb1EES12_IbLb0EEEEDaSY_SZ_EUlSY_E_NS1_11comp_targetILNS1_3genE4ELNS1_11target_archE910ELNS1_3gpuE8ELNS1_3repE0EEENS1_30default_config_static_selectorELNS0_4arch9wavefront6targetE0EEEvT1_,@function
_ZN7rocprim17ROCPRIM_400000_NS6detail17trampoline_kernelINS0_14default_configENS1_27scan_by_key_config_selectorIj11FixedVectorIiLj8EEEEZZNS1_16scan_by_key_implILNS1_25lookback_scan_determinismE0ELb0ES3_N6thrust23THRUST_200600_302600_NS6detail15normal_iteratorINSB_10device_ptrIjEEEENSD_INSE_IS6_EEEESI_S6_NSB_4plusIvEENSB_8equal_toIvEES6_EE10hipError_tPvRmT2_T3_T4_T5_mT6_T7_P12ihipStream_tbENKUlT_T0_E_clISt17integral_constantIbLb1EES12_IbLb0EEEEDaSY_SZ_EUlSY_E_NS1_11comp_targetILNS1_3genE4ELNS1_11target_archE910ELNS1_3gpuE8ELNS1_3repE0EEENS1_30default_config_static_selectorELNS0_4arch9wavefront6targetE0EEEvT1_: ; @_ZN7rocprim17ROCPRIM_400000_NS6detail17trampoline_kernelINS0_14default_configENS1_27scan_by_key_config_selectorIj11FixedVectorIiLj8EEEEZZNS1_16scan_by_key_implILNS1_25lookback_scan_determinismE0ELb0ES3_N6thrust23THRUST_200600_302600_NS6detail15normal_iteratorINSB_10device_ptrIjEEEENSD_INSE_IS6_EEEESI_S6_NSB_4plusIvEENSB_8equal_toIvEES6_EE10hipError_tPvRmT2_T3_T4_T5_mT6_T7_P12ihipStream_tbENKUlT_T0_E_clISt17integral_constantIbLb1EES12_IbLb0EEEEDaSY_SZ_EUlSY_E_NS1_11comp_targetILNS1_3genE4ELNS1_11target_archE910ELNS1_3gpuE8ELNS1_3repE0EEENS1_30default_config_static_selectorELNS0_4arch9wavefront6targetE0EEEvT1_
; %bb.0:
	.section	.rodata,"a",@progbits
	.p2align	6, 0x0
	.amdhsa_kernel _ZN7rocprim17ROCPRIM_400000_NS6detail17trampoline_kernelINS0_14default_configENS1_27scan_by_key_config_selectorIj11FixedVectorIiLj8EEEEZZNS1_16scan_by_key_implILNS1_25lookback_scan_determinismE0ELb0ES3_N6thrust23THRUST_200600_302600_NS6detail15normal_iteratorINSB_10device_ptrIjEEEENSD_INSE_IS6_EEEESI_S6_NSB_4plusIvEENSB_8equal_toIvEES6_EE10hipError_tPvRmT2_T3_T4_T5_mT6_T7_P12ihipStream_tbENKUlT_T0_E_clISt17integral_constantIbLb1EES12_IbLb0EEEEDaSY_SZ_EUlSY_E_NS1_11comp_targetILNS1_3genE4ELNS1_11target_archE910ELNS1_3gpuE8ELNS1_3repE0EEENS1_30default_config_static_selectorELNS0_4arch9wavefront6targetE0EEEvT1_
		.amdhsa_group_segment_fixed_size 0
		.amdhsa_private_segment_fixed_size 0
		.amdhsa_kernarg_size 160
		.amdhsa_user_sgpr_count 6
		.amdhsa_user_sgpr_private_segment_buffer 1
		.amdhsa_user_sgpr_dispatch_ptr 0
		.amdhsa_user_sgpr_queue_ptr 0
		.amdhsa_user_sgpr_kernarg_segment_ptr 1
		.amdhsa_user_sgpr_dispatch_id 0
		.amdhsa_user_sgpr_flat_scratch_init 0
		.amdhsa_user_sgpr_private_segment_size 0
		.amdhsa_wavefront_size32 1
		.amdhsa_uses_dynamic_stack 0
		.amdhsa_system_sgpr_private_segment_wavefront_offset 0
		.amdhsa_system_sgpr_workgroup_id_x 1
		.amdhsa_system_sgpr_workgroup_id_y 0
		.amdhsa_system_sgpr_workgroup_id_z 0
		.amdhsa_system_sgpr_workgroup_info 0
		.amdhsa_system_vgpr_workitem_id 0
		.amdhsa_next_free_vgpr 1
		.amdhsa_next_free_sgpr 1
		.amdhsa_reserve_vcc 0
		.amdhsa_reserve_flat_scratch 0
		.amdhsa_float_round_mode_32 0
		.amdhsa_float_round_mode_16_64 0
		.amdhsa_float_denorm_mode_32 3
		.amdhsa_float_denorm_mode_16_64 3
		.amdhsa_dx10_clamp 1
		.amdhsa_ieee_mode 1
		.amdhsa_fp16_overflow 0
		.amdhsa_workgroup_processor_mode 1
		.amdhsa_memory_ordered 1
		.amdhsa_forward_progress 1
		.amdhsa_shared_vgpr_count 0
		.amdhsa_exception_fp_ieee_invalid_op 0
		.amdhsa_exception_fp_denorm_src 0
		.amdhsa_exception_fp_ieee_div_zero 0
		.amdhsa_exception_fp_ieee_overflow 0
		.amdhsa_exception_fp_ieee_underflow 0
		.amdhsa_exception_fp_ieee_inexact 0
		.amdhsa_exception_int_div_zero 0
	.end_amdhsa_kernel
	.section	.text._ZN7rocprim17ROCPRIM_400000_NS6detail17trampoline_kernelINS0_14default_configENS1_27scan_by_key_config_selectorIj11FixedVectorIiLj8EEEEZZNS1_16scan_by_key_implILNS1_25lookback_scan_determinismE0ELb0ES3_N6thrust23THRUST_200600_302600_NS6detail15normal_iteratorINSB_10device_ptrIjEEEENSD_INSE_IS6_EEEESI_S6_NSB_4plusIvEENSB_8equal_toIvEES6_EE10hipError_tPvRmT2_T3_T4_T5_mT6_T7_P12ihipStream_tbENKUlT_T0_E_clISt17integral_constantIbLb1EES12_IbLb0EEEEDaSY_SZ_EUlSY_E_NS1_11comp_targetILNS1_3genE4ELNS1_11target_archE910ELNS1_3gpuE8ELNS1_3repE0EEENS1_30default_config_static_selectorELNS0_4arch9wavefront6targetE0EEEvT1_,"axG",@progbits,_ZN7rocprim17ROCPRIM_400000_NS6detail17trampoline_kernelINS0_14default_configENS1_27scan_by_key_config_selectorIj11FixedVectorIiLj8EEEEZZNS1_16scan_by_key_implILNS1_25lookback_scan_determinismE0ELb0ES3_N6thrust23THRUST_200600_302600_NS6detail15normal_iteratorINSB_10device_ptrIjEEEENSD_INSE_IS6_EEEESI_S6_NSB_4plusIvEENSB_8equal_toIvEES6_EE10hipError_tPvRmT2_T3_T4_T5_mT6_T7_P12ihipStream_tbENKUlT_T0_E_clISt17integral_constantIbLb1EES12_IbLb0EEEEDaSY_SZ_EUlSY_E_NS1_11comp_targetILNS1_3genE4ELNS1_11target_archE910ELNS1_3gpuE8ELNS1_3repE0EEENS1_30default_config_static_selectorELNS0_4arch9wavefront6targetE0EEEvT1_,comdat
.Lfunc_end2140:
	.size	_ZN7rocprim17ROCPRIM_400000_NS6detail17trampoline_kernelINS0_14default_configENS1_27scan_by_key_config_selectorIj11FixedVectorIiLj8EEEEZZNS1_16scan_by_key_implILNS1_25lookback_scan_determinismE0ELb0ES3_N6thrust23THRUST_200600_302600_NS6detail15normal_iteratorINSB_10device_ptrIjEEEENSD_INSE_IS6_EEEESI_S6_NSB_4plusIvEENSB_8equal_toIvEES6_EE10hipError_tPvRmT2_T3_T4_T5_mT6_T7_P12ihipStream_tbENKUlT_T0_E_clISt17integral_constantIbLb1EES12_IbLb0EEEEDaSY_SZ_EUlSY_E_NS1_11comp_targetILNS1_3genE4ELNS1_11target_archE910ELNS1_3gpuE8ELNS1_3repE0EEENS1_30default_config_static_selectorELNS0_4arch9wavefront6targetE0EEEvT1_, .Lfunc_end2140-_ZN7rocprim17ROCPRIM_400000_NS6detail17trampoline_kernelINS0_14default_configENS1_27scan_by_key_config_selectorIj11FixedVectorIiLj8EEEEZZNS1_16scan_by_key_implILNS1_25lookback_scan_determinismE0ELb0ES3_N6thrust23THRUST_200600_302600_NS6detail15normal_iteratorINSB_10device_ptrIjEEEENSD_INSE_IS6_EEEESI_S6_NSB_4plusIvEENSB_8equal_toIvEES6_EE10hipError_tPvRmT2_T3_T4_T5_mT6_T7_P12ihipStream_tbENKUlT_T0_E_clISt17integral_constantIbLb1EES12_IbLb0EEEEDaSY_SZ_EUlSY_E_NS1_11comp_targetILNS1_3genE4ELNS1_11target_archE910ELNS1_3gpuE8ELNS1_3repE0EEENS1_30default_config_static_selectorELNS0_4arch9wavefront6targetE0EEEvT1_
                                        ; -- End function
	.set _ZN7rocprim17ROCPRIM_400000_NS6detail17trampoline_kernelINS0_14default_configENS1_27scan_by_key_config_selectorIj11FixedVectorIiLj8EEEEZZNS1_16scan_by_key_implILNS1_25lookback_scan_determinismE0ELb0ES3_N6thrust23THRUST_200600_302600_NS6detail15normal_iteratorINSB_10device_ptrIjEEEENSD_INSE_IS6_EEEESI_S6_NSB_4plusIvEENSB_8equal_toIvEES6_EE10hipError_tPvRmT2_T3_T4_T5_mT6_T7_P12ihipStream_tbENKUlT_T0_E_clISt17integral_constantIbLb1EES12_IbLb0EEEEDaSY_SZ_EUlSY_E_NS1_11comp_targetILNS1_3genE4ELNS1_11target_archE910ELNS1_3gpuE8ELNS1_3repE0EEENS1_30default_config_static_selectorELNS0_4arch9wavefront6targetE0EEEvT1_.num_vgpr, 0
	.set _ZN7rocprim17ROCPRIM_400000_NS6detail17trampoline_kernelINS0_14default_configENS1_27scan_by_key_config_selectorIj11FixedVectorIiLj8EEEEZZNS1_16scan_by_key_implILNS1_25lookback_scan_determinismE0ELb0ES3_N6thrust23THRUST_200600_302600_NS6detail15normal_iteratorINSB_10device_ptrIjEEEENSD_INSE_IS6_EEEESI_S6_NSB_4plusIvEENSB_8equal_toIvEES6_EE10hipError_tPvRmT2_T3_T4_T5_mT6_T7_P12ihipStream_tbENKUlT_T0_E_clISt17integral_constantIbLb1EES12_IbLb0EEEEDaSY_SZ_EUlSY_E_NS1_11comp_targetILNS1_3genE4ELNS1_11target_archE910ELNS1_3gpuE8ELNS1_3repE0EEENS1_30default_config_static_selectorELNS0_4arch9wavefront6targetE0EEEvT1_.num_agpr, 0
	.set _ZN7rocprim17ROCPRIM_400000_NS6detail17trampoline_kernelINS0_14default_configENS1_27scan_by_key_config_selectorIj11FixedVectorIiLj8EEEEZZNS1_16scan_by_key_implILNS1_25lookback_scan_determinismE0ELb0ES3_N6thrust23THRUST_200600_302600_NS6detail15normal_iteratorINSB_10device_ptrIjEEEENSD_INSE_IS6_EEEESI_S6_NSB_4plusIvEENSB_8equal_toIvEES6_EE10hipError_tPvRmT2_T3_T4_T5_mT6_T7_P12ihipStream_tbENKUlT_T0_E_clISt17integral_constantIbLb1EES12_IbLb0EEEEDaSY_SZ_EUlSY_E_NS1_11comp_targetILNS1_3genE4ELNS1_11target_archE910ELNS1_3gpuE8ELNS1_3repE0EEENS1_30default_config_static_selectorELNS0_4arch9wavefront6targetE0EEEvT1_.numbered_sgpr, 0
	.set _ZN7rocprim17ROCPRIM_400000_NS6detail17trampoline_kernelINS0_14default_configENS1_27scan_by_key_config_selectorIj11FixedVectorIiLj8EEEEZZNS1_16scan_by_key_implILNS1_25lookback_scan_determinismE0ELb0ES3_N6thrust23THRUST_200600_302600_NS6detail15normal_iteratorINSB_10device_ptrIjEEEENSD_INSE_IS6_EEEESI_S6_NSB_4plusIvEENSB_8equal_toIvEES6_EE10hipError_tPvRmT2_T3_T4_T5_mT6_T7_P12ihipStream_tbENKUlT_T0_E_clISt17integral_constantIbLb1EES12_IbLb0EEEEDaSY_SZ_EUlSY_E_NS1_11comp_targetILNS1_3genE4ELNS1_11target_archE910ELNS1_3gpuE8ELNS1_3repE0EEENS1_30default_config_static_selectorELNS0_4arch9wavefront6targetE0EEEvT1_.num_named_barrier, 0
	.set _ZN7rocprim17ROCPRIM_400000_NS6detail17trampoline_kernelINS0_14default_configENS1_27scan_by_key_config_selectorIj11FixedVectorIiLj8EEEEZZNS1_16scan_by_key_implILNS1_25lookback_scan_determinismE0ELb0ES3_N6thrust23THRUST_200600_302600_NS6detail15normal_iteratorINSB_10device_ptrIjEEEENSD_INSE_IS6_EEEESI_S6_NSB_4plusIvEENSB_8equal_toIvEES6_EE10hipError_tPvRmT2_T3_T4_T5_mT6_T7_P12ihipStream_tbENKUlT_T0_E_clISt17integral_constantIbLb1EES12_IbLb0EEEEDaSY_SZ_EUlSY_E_NS1_11comp_targetILNS1_3genE4ELNS1_11target_archE910ELNS1_3gpuE8ELNS1_3repE0EEENS1_30default_config_static_selectorELNS0_4arch9wavefront6targetE0EEEvT1_.private_seg_size, 0
	.set _ZN7rocprim17ROCPRIM_400000_NS6detail17trampoline_kernelINS0_14default_configENS1_27scan_by_key_config_selectorIj11FixedVectorIiLj8EEEEZZNS1_16scan_by_key_implILNS1_25lookback_scan_determinismE0ELb0ES3_N6thrust23THRUST_200600_302600_NS6detail15normal_iteratorINSB_10device_ptrIjEEEENSD_INSE_IS6_EEEESI_S6_NSB_4plusIvEENSB_8equal_toIvEES6_EE10hipError_tPvRmT2_T3_T4_T5_mT6_T7_P12ihipStream_tbENKUlT_T0_E_clISt17integral_constantIbLb1EES12_IbLb0EEEEDaSY_SZ_EUlSY_E_NS1_11comp_targetILNS1_3genE4ELNS1_11target_archE910ELNS1_3gpuE8ELNS1_3repE0EEENS1_30default_config_static_selectorELNS0_4arch9wavefront6targetE0EEEvT1_.uses_vcc, 0
	.set _ZN7rocprim17ROCPRIM_400000_NS6detail17trampoline_kernelINS0_14default_configENS1_27scan_by_key_config_selectorIj11FixedVectorIiLj8EEEEZZNS1_16scan_by_key_implILNS1_25lookback_scan_determinismE0ELb0ES3_N6thrust23THRUST_200600_302600_NS6detail15normal_iteratorINSB_10device_ptrIjEEEENSD_INSE_IS6_EEEESI_S6_NSB_4plusIvEENSB_8equal_toIvEES6_EE10hipError_tPvRmT2_T3_T4_T5_mT6_T7_P12ihipStream_tbENKUlT_T0_E_clISt17integral_constantIbLb1EES12_IbLb0EEEEDaSY_SZ_EUlSY_E_NS1_11comp_targetILNS1_3genE4ELNS1_11target_archE910ELNS1_3gpuE8ELNS1_3repE0EEENS1_30default_config_static_selectorELNS0_4arch9wavefront6targetE0EEEvT1_.uses_flat_scratch, 0
	.set _ZN7rocprim17ROCPRIM_400000_NS6detail17trampoline_kernelINS0_14default_configENS1_27scan_by_key_config_selectorIj11FixedVectorIiLj8EEEEZZNS1_16scan_by_key_implILNS1_25lookback_scan_determinismE0ELb0ES3_N6thrust23THRUST_200600_302600_NS6detail15normal_iteratorINSB_10device_ptrIjEEEENSD_INSE_IS6_EEEESI_S6_NSB_4plusIvEENSB_8equal_toIvEES6_EE10hipError_tPvRmT2_T3_T4_T5_mT6_T7_P12ihipStream_tbENKUlT_T0_E_clISt17integral_constantIbLb1EES12_IbLb0EEEEDaSY_SZ_EUlSY_E_NS1_11comp_targetILNS1_3genE4ELNS1_11target_archE910ELNS1_3gpuE8ELNS1_3repE0EEENS1_30default_config_static_selectorELNS0_4arch9wavefront6targetE0EEEvT1_.has_dyn_sized_stack, 0
	.set _ZN7rocprim17ROCPRIM_400000_NS6detail17trampoline_kernelINS0_14default_configENS1_27scan_by_key_config_selectorIj11FixedVectorIiLj8EEEEZZNS1_16scan_by_key_implILNS1_25lookback_scan_determinismE0ELb0ES3_N6thrust23THRUST_200600_302600_NS6detail15normal_iteratorINSB_10device_ptrIjEEEENSD_INSE_IS6_EEEESI_S6_NSB_4plusIvEENSB_8equal_toIvEES6_EE10hipError_tPvRmT2_T3_T4_T5_mT6_T7_P12ihipStream_tbENKUlT_T0_E_clISt17integral_constantIbLb1EES12_IbLb0EEEEDaSY_SZ_EUlSY_E_NS1_11comp_targetILNS1_3genE4ELNS1_11target_archE910ELNS1_3gpuE8ELNS1_3repE0EEENS1_30default_config_static_selectorELNS0_4arch9wavefront6targetE0EEEvT1_.has_recursion, 0
	.set _ZN7rocprim17ROCPRIM_400000_NS6detail17trampoline_kernelINS0_14default_configENS1_27scan_by_key_config_selectorIj11FixedVectorIiLj8EEEEZZNS1_16scan_by_key_implILNS1_25lookback_scan_determinismE0ELb0ES3_N6thrust23THRUST_200600_302600_NS6detail15normal_iteratorINSB_10device_ptrIjEEEENSD_INSE_IS6_EEEESI_S6_NSB_4plusIvEENSB_8equal_toIvEES6_EE10hipError_tPvRmT2_T3_T4_T5_mT6_T7_P12ihipStream_tbENKUlT_T0_E_clISt17integral_constantIbLb1EES12_IbLb0EEEEDaSY_SZ_EUlSY_E_NS1_11comp_targetILNS1_3genE4ELNS1_11target_archE910ELNS1_3gpuE8ELNS1_3repE0EEENS1_30default_config_static_selectorELNS0_4arch9wavefront6targetE0EEEvT1_.has_indirect_call, 0
	.section	.AMDGPU.csdata,"",@progbits
; Kernel info:
; codeLenInByte = 0
; TotalNumSgprs: 0
; NumVgprs: 0
; ScratchSize: 0
; MemoryBound: 0
; FloatMode: 240
; IeeeMode: 1
; LDSByteSize: 0 bytes/workgroup (compile time only)
; SGPRBlocks: 0
; VGPRBlocks: 0
; NumSGPRsForWavesPerEU: 1
; NumVGPRsForWavesPerEU: 1
; Occupancy: 16
; WaveLimiterHint : 0
; COMPUTE_PGM_RSRC2:SCRATCH_EN: 0
; COMPUTE_PGM_RSRC2:USER_SGPR: 6
; COMPUTE_PGM_RSRC2:TRAP_HANDLER: 0
; COMPUTE_PGM_RSRC2:TGID_X_EN: 1
; COMPUTE_PGM_RSRC2:TGID_Y_EN: 0
; COMPUTE_PGM_RSRC2:TGID_Z_EN: 0
; COMPUTE_PGM_RSRC2:TIDIG_COMP_CNT: 0
	.section	.text._ZN7rocprim17ROCPRIM_400000_NS6detail17trampoline_kernelINS0_14default_configENS1_27scan_by_key_config_selectorIj11FixedVectorIiLj8EEEEZZNS1_16scan_by_key_implILNS1_25lookback_scan_determinismE0ELb0ES3_N6thrust23THRUST_200600_302600_NS6detail15normal_iteratorINSB_10device_ptrIjEEEENSD_INSE_IS6_EEEESI_S6_NSB_4plusIvEENSB_8equal_toIvEES6_EE10hipError_tPvRmT2_T3_T4_T5_mT6_T7_P12ihipStream_tbENKUlT_T0_E_clISt17integral_constantIbLb1EES12_IbLb0EEEEDaSY_SZ_EUlSY_E_NS1_11comp_targetILNS1_3genE3ELNS1_11target_archE908ELNS1_3gpuE7ELNS1_3repE0EEENS1_30default_config_static_selectorELNS0_4arch9wavefront6targetE0EEEvT1_,"axG",@progbits,_ZN7rocprim17ROCPRIM_400000_NS6detail17trampoline_kernelINS0_14default_configENS1_27scan_by_key_config_selectorIj11FixedVectorIiLj8EEEEZZNS1_16scan_by_key_implILNS1_25lookback_scan_determinismE0ELb0ES3_N6thrust23THRUST_200600_302600_NS6detail15normal_iteratorINSB_10device_ptrIjEEEENSD_INSE_IS6_EEEESI_S6_NSB_4plusIvEENSB_8equal_toIvEES6_EE10hipError_tPvRmT2_T3_T4_T5_mT6_T7_P12ihipStream_tbENKUlT_T0_E_clISt17integral_constantIbLb1EES12_IbLb0EEEEDaSY_SZ_EUlSY_E_NS1_11comp_targetILNS1_3genE3ELNS1_11target_archE908ELNS1_3gpuE7ELNS1_3repE0EEENS1_30default_config_static_selectorELNS0_4arch9wavefront6targetE0EEEvT1_,comdat
	.protected	_ZN7rocprim17ROCPRIM_400000_NS6detail17trampoline_kernelINS0_14default_configENS1_27scan_by_key_config_selectorIj11FixedVectorIiLj8EEEEZZNS1_16scan_by_key_implILNS1_25lookback_scan_determinismE0ELb0ES3_N6thrust23THRUST_200600_302600_NS6detail15normal_iteratorINSB_10device_ptrIjEEEENSD_INSE_IS6_EEEESI_S6_NSB_4plusIvEENSB_8equal_toIvEES6_EE10hipError_tPvRmT2_T3_T4_T5_mT6_T7_P12ihipStream_tbENKUlT_T0_E_clISt17integral_constantIbLb1EES12_IbLb0EEEEDaSY_SZ_EUlSY_E_NS1_11comp_targetILNS1_3genE3ELNS1_11target_archE908ELNS1_3gpuE7ELNS1_3repE0EEENS1_30default_config_static_selectorELNS0_4arch9wavefront6targetE0EEEvT1_ ; -- Begin function _ZN7rocprim17ROCPRIM_400000_NS6detail17trampoline_kernelINS0_14default_configENS1_27scan_by_key_config_selectorIj11FixedVectorIiLj8EEEEZZNS1_16scan_by_key_implILNS1_25lookback_scan_determinismE0ELb0ES3_N6thrust23THRUST_200600_302600_NS6detail15normal_iteratorINSB_10device_ptrIjEEEENSD_INSE_IS6_EEEESI_S6_NSB_4plusIvEENSB_8equal_toIvEES6_EE10hipError_tPvRmT2_T3_T4_T5_mT6_T7_P12ihipStream_tbENKUlT_T0_E_clISt17integral_constantIbLb1EES12_IbLb0EEEEDaSY_SZ_EUlSY_E_NS1_11comp_targetILNS1_3genE3ELNS1_11target_archE908ELNS1_3gpuE7ELNS1_3repE0EEENS1_30default_config_static_selectorELNS0_4arch9wavefront6targetE0EEEvT1_
	.globl	_ZN7rocprim17ROCPRIM_400000_NS6detail17trampoline_kernelINS0_14default_configENS1_27scan_by_key_config_selectorIj11FixedVectorIiLj8EEEEZZNS1_16scan_by_key_implILNS1_25lookback_scan_determinismE0ELb0ES3_N6thrust23THRUST_200600_302600_NS6detail15normal_iteratorINSB_10device_ptrIjEEEENSD_INSE_IS6_EEEESI_S6_NSB_4plusIvEENSB_8equal_toIvEES6_EE10hipError_tPvRmT2_T3_T4_T5_mT6_T7_P12ihipStream_tbENKUlT_T0_E_clISt17integral_constantIbLb1EES12_IbLb0EEEEDaSY_SZ_EUlSY_E_NS1_11comp_targetILNS1_3genE3ELNS1_11target_archE908ELNS1_3gpuE7ELNS1_3repE0EEENS1_30default_config_static_selectorELNS0_4arch9wavefront6targetE0EEEvT1_
	.p2align	8
	.type	_ZN7rocprim17ROCPRIM_400000_NS6detail17trampoline_kernelINS0_14default_configENS1_27scan_by_key_config_selectorIj11FixedVectorIiLj8EEEEZZNS1_16scan_by_key_implILNS1_25lookback_scan_determinismE0ELb0ES3_N6thrust23THRUST_200600_302600_NS6detail15normal_iteratorINSB_10device_ptrIjEEEENSD_INSE_IS6_EEEESI_S6_NSB_4plusIvEENSB_8equal_toIvEES6_EE10hipError_tPvRmT2_T3_T4_T5_mT6_T7_P12ihipStream_tbENKUlT_T0_E_clISt17integral_constantIbLb1EES12_IbLb0EEEEDaSY_SZ_EUlSY_E_NS1_11comp_targetILNS1_3genE3ELNS1_11target_archE908ELNS1_3gpuE7ELNS1_3repE0EEENS1_30default_config_static_selectorELNS0_4arch9wavefront6targetE0EEEvT1_,@function
_ZN7rocprim17ROCPRIM_400000_NS6detail17trampoline_kernelINS0_14default_configENS1_27scan_by_key_config_selectorIj11FixedVectorIiLj8EEEEZZNS1_16scan_by_key_implILNS1_25lookback_scan_determinismE0ELb0ES3_N6thrust23THRUST_200600_302600_NS6detail15normal_iteratorINSB_10device_ptrIjEEEENSD_INSE_IS6_EEEESI_S6_NSB_4plusIvEENSB_8equal_toIvEES6_EE10hipError_tPvRmT2_T3_T4_T5_mT6_T7_P12ihipStream_tbENKUlT_T0_E_clISt17integral_constantIbLb1EES12_IbLb0EEEEDaSY_SZ_EUlSY_E_NS1_11comp_targetILNS1_3genE3ELNS1_11target_archE908ELNS1_3gpuE7ELNS1_3repE0EEENS1_30default_config_static_selectorELNS0_4arch9wavefront6targetE0EEEvT1_: ; @_ZN7rocprim17ROCPRIM_400000_NS6detail17trampoline_kernelINS0_14default_configENS1_27scan_by_key_config_selectorIj11FixedVectorIiLj8EEEEZZNS1_16scan_by_key_implILNS1_25lookback_scan_determinismE0ELb0ES3_N6thrust23THRUST_200600_302600_NS6detail15normal_iteratorINSB_10device_ptrIjEEEENSD_INSE_IS6_EEEESI_S6_NSB_4plusIvEENSB_8equal_toIvEES6_EE10hipError_tPvRmT2_T3_T4_T5_mT6_T7_P12ihipStream_tbENKUlT_T0_E_clISt17integral_constantIbLb1EES12_IbLb0EEEEDaSY_SZ_EUlSY_E_NS1_11comp_targetILNS1_3genE3ELNS1_11target_archE908ELNS1_3gpuE7ELNS1_3repE0EEENS1_30default_config_static_selectorELNS0_4arch9wavefront6targetE0EEEvT1_
; %bb.0:
	.section	.rodata,"a",@progbits
	.p2align	6, 0x0
	.amdhsa_kernel _ZN7rocprim17ROCPRIM_400000_NS6detail17trampoline_kernelINS0_14default_configENS1_27scan_by_key_config_selectorIj11FixedVectorIiLj8EEEEZZNS1_16scan_by_key_implILNS1_25lookback_scan_determinismE0ELb0ES3_N6thrust23THRUST_200600_302600_NS6detail15normal_iteratorINSB_10device_ptrIjEEEENSD_INSE_IS6_EEEESI_S6_NSB_4plusIvEENSB_8equal_toIvEES6_EE10hipError_tPvRmT2_T3_T4_T5_mT6_T7_P12ihipStream_tbENKUlT_T0_E_clISt17integral_constantIbLb1EES12_IbLb0EEEEDaSY_SZ_EUlSY_E_NS1_11comp_targetILNS1_3genE3ELNS1_11target_archE908ELNS1_3gpuE7ELNS1_3repE0EEENS1_30default_config_static_selectorELNS0_4arch9wavefront6targetE0EEEvT1_
		.amdhsa_group_segment_fixed_size 0
		.amdhsa_private_segment_fixed_size 0
		.amdhsa_kernarg_size 160
		.amdhsa_user_sgpr_count 6
		.amdhsa_user_sgpr_private_segment_buffer 1
		.amdhsa_user_sgpr_dispatch_ptr 0
		.amdhsa_user_sgpr_queue_ptr 0
		.amdhsa_user_sgpr_kernarg_segment_ptr 1
		.amdhsa_user_sgpr_dispatch_id 0
		.amdhsa_user_sgpr_flat_scratch_init 0
		.amdhsa_user_sgpr_private_segment_size 0
		.amdhsa_wavefront_size32 1
		.amdhsa_uses_dynamic_stack 0
		.amdhsa_system_sgpr_private_segment_wavefront_offset 0
		.amdhsa_system_sgpr_workgroup_id_x 1
		.amdhsa_system_sgpr_workgroup_id_y 0
		.amdhsa_system_sgpr_workgroup_id_z 0
		.amdhsa_system_sgpr_workgroup_info 0
		.amdhsa_system_vgpr_workitem_id 0
		.amdhsa_next_free_vgpr 1
		.amdhsa_next_free_sgpr 1
		.amdhsa_reserve_vcc 0
		.amdhsa_reserve_flat_scratch 0
		.amdhsa_float_round_mode_32 0
		.amdhsa_float_round_mode_16_64 0
		.amdhsa_float_denorm_mode_32 3
		.amdhsa_float_denorm_mode_16_64 3
		.amdhsa_dx10_clamp 1
		.amdhsa_ieee_mode 1
		.amdhsa_fp16_overflow 0
		.amdhsa_workgroup_processor_mode 1
		.amdhsa_memory_ordered 1
		.amdhsa_forward_progress 1
		.amdhsa_shared_vgpr_count 0
		.amdhsa_exception_fp_ieee_invalid_op 0
		.amdhsa_exception_fp_denorm_src 0
		.amdhsa_exception_fp_ieee_div_zero 0
		.amdhsa_exception_fp_ieee_overflow 0
		.amdhsa_exception_fp_ieee_underflow 0
		.amdhsa_exception_fp_ieee_inexact 0
		.amdhsa_exception_int_div_zero 0
	.end_amdhsa_kernel
	.section	.text._ZN7rocprim17ROCPRIM_400000_NS6detail17trampoline_kernelINS0_14default_configENS1_27scan_by_key_config_selectorIj11FixedVectorIiLj8EEEEZZNS1_16scan_by_key_implILNS1_25lookback_scan_determinismE0ELb0ES3_N6thrust23THRUST_200600_302600_NS6detail15normal_iteratorINSB_10device_ptrIjEEEENSD_INSE_IS6_EEEESI_S6_NSB_4plusIvEENSB_8equal_toIvEES6_EE10hipError_tPvRmT2_T3_T4_T5_mT6_T7_P12ihipStream_tbENKUlT_T0_E_clISt17integral_constantIbLb1EES12_IbLb0EEEEDaSY_SZ_EUlSY_E_NS1_11comp_targetILNS1_3genE3ELNS1_11target_archE908ELNS1_3gpuE7ELNS1_3repE0EEENS1_30default_config_static_selectorELNS0_4arch9wavefront6targetE0EEEvT1_,"axG",@progbits,_ZN7rocprim17ROCPRIM_400000_NS6detail17trampoline_kernelINS0_14default_configENS1_27scan_by_key_config_selectorIj11FixedVectorIiLj8EEEEZZNS1_16scan_by_key_implILNS1_25lookback_scan_determinismE0ELb0ES3_N6thrust23THRUST_200600_302600_NS6detail15normal_iteratorINSB_10device_ptrIjEEEENSD_INSE_IS6_EEEESI_S6_NSB_4plusIvEENSB_8equal_toIvEES6_EE10hipError_tPvRmT2_T3_T4_T5_mT6_T7_P12ihipStream_tbENKUlT_T0_E_clISt17integral_constantIbLb1EES12_IbLb0EEEEDaSY_SZ_EUlSY_E_NS1_11comp_targetILNS1_3genE3ELNS1_11target_archE908ELNS1_3gpuE7ELNS1_3repE0EEENS1_30default_config_static_selectorELNS0_4arch9wavefront6targetE0EEEvT1_,comdat
.Lfunc_end2141:
	.size	_ZN7rocprim17ROCPRIM_400000_NS6detail17trampoline_kernelINS0_14default_configENS1_27scan_by_key_config_selectorIj11FixedVectorIiLj8EEEEZZNS1_16scan_by_key_implILNS1_25lookback_scan_determinismE0ELb0ES3_N6thrust23THRUST_200600_302600_NS6detail15normal_iteratorINSB_10device_ptrIjEEEENSD_INSE_IS6_EEEESI_S6_NSB_4plusIvEENSB_8equal_toIvEES6_EE10hipError_tPvRmT2_T3_T4_T5_mT6_T7_P12ihipStream_tbENKUlT_T0_E_clISt17integral_constantIbLb1EES12_IbLb0EEEEDaSY_SZ_EUlSY_E_NS1_11comp_targetILNS1_3genE3ELNS1_11target_archE908ELNS1_3gpuE7ELNS1_3repE0EEENS1_30default_config_static_selectorELNS0_4arch9wavefront6targetE0EEEvT1_, .Lfunc_end2141-_ZN7rocprim17ROCPRIM_400000_NS6detail17trampoline_kernelINS0_14default_configENS1_27scan_by_key_config_selectorIj11FixedVectorIiLj8EEEEZZNS1_16scan_by_key_implILNS1_25lookback_scan_determinismE0ELb0ES3_N6thrust23THRUST_200600_302600_NS6detail15normal_iteratorINSB_10device_ptrIjEEEENSD_INSE_IS6_EEEESI_S6_NSB_4plusIvEENSB_8equal_toIvEES6_EE10hipError_tPvRmT2_T3_T4_T5_mT6_T7_P12ihipStream_tbENKUlT_T0_E_clISt17integral_constantIbLb1EES12_IbLb0EEEEDaSY_SZ_EUlSY_E_NS1_11comp_targetILNS1_3genE3ELNS1_11target_archE908ELNS1_3gpuE7ELNS1_3repE0EEENS1_30default_config_static_selectorELNS0_4arch9wavefront6targetE0EEEvT1_
                                        ; -- End function
	.set _ZN7rocprim17ROCPRIM_400000_NS6detail17trampoline_kernelINS0_14default_configENS1_27scan_by_key_config_selectorIj11FixedVectorIiLj8EEEEZZNS1_16scan_by_key_implILNS1_25lookback_scan_determinismE0ELb0ES3_N6thrust23THRUST_200600_302600_NS6detail15normal_iteratorINSB_10device_ptrIjEEEENSD_INSE_IS6_EEEESI_S6_NSB_4plusIvEENSB_8equal_toIvEES6_EE10hipError_tPvRmT2_T3_T4_T5_mT6_T7_P12ihipStream_tbENKUlT_T0_E_clISt17integral_constantIbLb1EES12_IbLb0EEEEDaSY_SZ_EUlSY_E_NS1_11comp_targetILNS1_3genE3ELNS1_11target_archE908ELNS1_3gpuE7ELNS1_3repE0EEENS1_30default_config_static_selectorELNS0_4arch9wavefront6targetE0EEEvT1_.num_vgpr, 0
	.set _ZN7rocprim17ROCPRIM_400000_NS6detail17trampoline_kernelINS0_14default_configENS1_27scan_by_key_config_selectorIj11FixedVectorIiLj8EEEEZZNS1_16scan_by_key_implILNS1_25lookback_scan_determinismE0ELb0ES3_N6thrust23THRUST_200600_302600_NS6detail15normal_iteratorINSB_10device_ptrIjEEEENSD_INSE_IS6_EEEESI_S6_NSB_4plusIvEENSB_8equal_toIvEES6_EE10hipError_tPvRmT2_T3_T4_T5_mT6_T7_P12ihipStream_tbENKUlT_T0_E_clISt17integral_constantIbLb1EES12_IbLb0EEEEDaSY_SZ_EUlSY_E_NS1_11comp_targetILNS1_3genE3ELNS1_11target_archE908ELNS1_3gpuE7ELNS1_3repE0EEENS1_30default_config_static_selectorELNS0_4arch9wavefront6targetE0EEEvT1_.num_agpr, 0
	.set _ZN7rocprim17ROCPRIM_400000_NS6detail17trampoline_kernelINS0_14default_configENS1_27scan_by_key_config_selectorIj11FixedVectorIiLj8EEEEZZNS1_16scan_by_key_implILNS1_25lookback_scan_determinismE0ELb0ES3_N6thrust23THRUST_200600_302600_NS6detail15normal_iteratorINSB_10device_ptrIjEEEENSD_INSE_IS6_EEEESI_S6_NSB_4plusIvEENSB_8equal_toIvEES6_EE10hipError_tPvRmT2_T3_T4_T5_mT6_T7_P12ihipStream_tbENKUlT_T0_E_clISt17integral_constantIbLb1EES12_IbLb0EEEEDaSY_SZ_EUlSY_E_NS1_11comp_targetILNS1_3genE3ELNS1_11target_archE908ELNS1_3gpuE7ELNS1_3repE0EEENS1_30default_config_static_selectorELNS0_4arch9wavefront6targetE0EEEvT1_.numbered_sgpr, 0
	.set _ZN7rocprim17ROCPRIM_400000_NS6detail17trampoline_kernelINS0_14default_configENS1_27scan_by_key_config_selectorIj11FixedVectorIiLj8EEEEZZNS1_16scan_by_key_implILNS1_25lookback_scan_determinismE0ELb0ES3_N6thrust23THRUST_200600_302600_NS6detail15normal_iteratorINSB_10device_ptrIjEEEENSD_INSE_IS6_EEEESI_S6_NSB_4plusIvEENSB_8equal_toIvEES6_EE10hipError_tPvRmT2_T3_T4_T5_mT6_T7_P12ihipStream_tbENKUlT_T0_E_clISt17integral_constantIbLb1EES12_IbLb0EEEEDaSY_SZ_EUlSY_E_NS1_11comp_targetILNS1_3genE3ELNS1_11target_archE908ELNS1_3gpuE7ELNS1_3repE0EEENS1_30default_config_static_selectorELNS0_4arch9wavefront6targetE0EEEvT1_.num_named_barrier, 0
	.set _ZN7rocprim17ROCPRIM_400000_NS6detail17trampoline_kernelINS0_14default_configENS1_27scan_by_key_config_selectorIj11FixedVectorIiLj8EEEEZZNS1_16scan_by_key_implILNS1_25lookback_scan_determinismE0ELb0ES3_N6thrust23THRUST_200600_302600_NS6detail15normal_iteratorINSB_10device_ptrIjEEEENSD_INSE_IS6_EEEESI_S6_NSB_4plusIvEENSB_8equal_toIvEES6_EE10hipError_tPvRmT2_T3_T4_T5_mT6_T7_P12ihipStream_tbENKUlT_T0_E_clISt17integral_constantIbLb1EES12_IbLb0EEEEDaSY_SZ_EUlSY_E_NS1_11comp_targetILNS1_3genE3ELNS1_11target_archE908ELNS1_3gpuE7ELNS1_3repE0EEENS1_30default_config_static_selectorELNS0_4arch9wavefront6targetE0EEEvT1_.private_seg_size, 0
	.set _ZN7rocprim17ROCPRIM_400000_NS6detail17trampoline_kernelINS0_14default_configENS1_27scan_by_key_config_selectorIj11FixedVectorIiLj8EEEEZZNS1_16scan_by_key_implILNS1_25lookback_scan_determinismE0ELb0ES3_N6thrust23THRUST_200600_302600_NS6detail15normal_iteratorINSB_10device_ptrIjEEEENSD_INSE_IS6_EEEESI_S6_NSB_4plusIvEENSB_8equal_toIvEES6_EE10hipError_tPvRmT2_T3_T4_T5_mT6_T7_P12ihipStream_tbENKUlT_T0_E_clISt17integral_constantIbLb1EES12_IbLb0EEEEDaSY_SZ_EUlSY_E_NS1_11comp_targetILNS1_3genE3ELNS1_11target_archE908ELNS1_3gpuE7ELNS1_3repE0EEENS1_30default_config_static_selectorELNS0_4arch9wavefront6targetE0EEEvT1_.uses_vcc, 0
	.set _ZN7rocprim17ROCPRIM_400000_NS6detail17trampoline_kernelINS0_14default_configENS1_27scan_by_key_config_selectorIj11FixedVectorIiLj8EEEEZZNS1_16scan_by_key_implILNS1_25lookback_scan_determinismE0ELb0ES3_N6thrust23THRUST_200600_302600_NS6detail15normal_iteratorINSB_10device_ptrIjEEEENSD_INSE_IS6_EEEESI_S6_NSB_4plusIvEENSB_8equal_toIvEES6_EE10hipError_tPvRmT2_T3_T4_T5_mT6_T7_P12ihipStream_tbENKUlT_T0_E_clISt17integral_constantIbLb1EES12_IbLb0EEEEDaSY_SZ_EUlSY_E_NS1_11comp_targetILNS1_3genE3ELNS1_11target_archE908ELNS1_3gpuE7ELNS1_3repE0EEENS1_30default_config_static_selectorELNS0_4arch9wavefront6targetE0EEEvT1_.uses_flat_scratch, 0
	.set _ZN7rocprim17ROCPRIM_400000_NS6detail17trampoline_kernelINS0_14default_configENS1_27scan_by_key_config_selectorIj11FixedVectorIiLj8EEEEZZNS1_16scan_by_key_implILNS1_25lookback_scan_determinismE0ELb0ES3_N6thrust23THRUST_200600_302600_NS6detail15normal_iteratorINSB_10device_ptrIjEEEENSD_INSE_IS6_EEEESI_S6_NSB_4plusIvEENSB_8equal_toIvEES6_EE10hipError_tPvRmT2_T3_T4_T5_mT6_T7_P12ihipStream_tbENKUlT_T0_E_clISt17integral_constantIbLb1EES12_IbLb0EEEEDaSY_SZ_EUlSY_E_NS1_11comp_targetILNS1_3genE3ELNS1_11target_archE908ELNS1_3gpuE7ELNS1_3repE0EEENS1_30default_config_static_selectorELNS0_4arch9wavefront6targetE0EEEvT1_.has_dyn_sized_stack, 0
	.set _ZN7rocprim17ROCPRIM_400000_NS6detail17trampoline_kernelINS0_14default_configENS1_27scan_by_key_config_selectorIj11FixedVectorIiLj8EEEEZZNS1_16scan_by_key_implILNS1_25lookback_scan_determinismE0ELb0ES3_N6thrust23THRUST_200600_302600_NS6detail15normal_iteratorINSB_10device_ptrIjEEEENSD_INSE_IS6_EEEESI_S6_NSB_4plusIvEENSB_8equal_toIvEES6_EE10hipError_tPvRmT2_T3_T4_T5_mT6_T7_P12ihipStream_tbENKUlT_T0_E_clISt17integral_constantIbLb1EES12_IbLb0EEEEDaSY_SZ_EUlSY_E_NS1_11comp_targetILNS1_3genE3ELNS1_11target_archE908ELNS1_3gpuE7ELNS1_3repE0EEENS1_30default_config_static_selectorELNS0_4arch9wavefront6targetE0EEEvT1_.has_recursion, 0
	.set _ZN7rocprim17ROCPRIM_400000_NS6detail17trampoline_kernelINS0_14default_configENS1_27scan_by_key_config_selectorIj11FixedVectorIiLj8EEEEZZNS1_16scan_by_key_implILNS1_25lookback_scan_determinismE0ELb0ES3_N6thrust23THRUST_200600_302600_NS6detail15normal_iteratorINSB_10device_ptrIjEEEENSD_INSE_IS6_EEEESI_S6_NSB_4plusIvEENSB_8equal_toIvEES6_EE10hipError_tPvRmT2_T3_T4_T5_mT6_T7_P12ihipStream_tbENKUlT_T0_E_clISt17integral_constantIbLb1EES12_IbLb0EEEEDaSY_SZ_EUlSY_E_NS1_11comp_targetILNS1_3genE3ELNS1_11target_archE908ELNS1_3gpuE7ELNS1_3repE0EEENS1_30default_config_static_selectorELNS0_4arch9wavefront6targetE0EEEvT1_.has_indirect_call, 0
	.section	.AMDGPU.csdata,"",@progbits
; Kernel info:
; codeLenInByte = 0
; TotalNumSgprs: 0
; NumVgprs: 0
; ScratchSize: 0
; MemoryBound: 0
; FloatMode: 240
; IeeeMode: 1
; LDSByteSize: 0 bytes/workgroup (compile time only)
; SGPRBlocks: 0
; VGPRBlocks: 0
; NumSGPRsForWavesPerEU: 1
; NumVGPRsForWavesPerEU: 1
; Occupancy: 16
; WaveLimiterHint : 0
; COMPUTE_PGM_RSRC2:SCRATCH_EN: 0
; COMPUTE_PGM_RSRC2:USER_SGPR: 6
; COMPUTE_PGM_RSRC2:TRAP_HANDLER: 0
; COMPUTE_PGM_RSRC2:TGID_X_EN: 1
; COMPUTE_PGM_RSRC2:TGID_Y_EN: 0
; COMPUTE_PGM_RSRC2:TGID_Z_EN: 0
; COMPUTE_PGM_RSRC2:TIDIG_COMP_CNT: 0
	.section	.text._ZN7rocprim17ROCPRIM_400000_NS6detail17trampoline_kernelINS0_14default_configENS1_27scan_by_key_config_selectorIj11FixedVectorIiLj8EEEEZZNS1_16scan_by_key_implILNS1_25lookback_scan_determinismE0ELb0ES3_N6thrust23THRUST_200600_302600_NS6detail15normal_iteratorINSB_10device_ptrIjEEEENSD_INSE_IS6_EEEESI_S6_NSB_4plusIvEENSB_8equal_toIvEES6_EE10hipError_tPvRmT2_T3_T4_T5_mT6_T7_P12ihipStream_tbENKUlT_T0_E_clISt17integral_constantIbLb1EES12_IbLb0EEEEDaSY_SZ_EUlSY_E_NS1_11comp_targetILNS1_3genE2ELNS1_11target_archE906ELNS1_3gpuE6ELNS1_3repE0EEENS1_30default_config_static_selectorELNS0_4arch9wavefront6targetE0EEEvT1_,"axG",@progbits,_ZN7rocprim17ROCPRIM_400000_NS6detail17trampoline_kernelINS0_14default_configENS1_27scan_by_key_config_selectorIj11FixedVectorIiLj8EEEEZZNS1_16scan_by_key_implILNS1_25lookback_scan_determinismE0ELb0ES3_N6thrust23THRUST_200600_302600_NS6detail15normal_iteratorINSB_10device_ptrIjEEEENSD_INSE_IS6_EEEESI_S6_NSB_4plusIvEENSB_8equal_toIvEES6_EE10hipError_tPvRmT2_T3_T4_T5_mT6_T7_P12ihipStream_tbENKUlT_T0_E_clISt17integral_constantIbLb1EES12_IbLb0EEEEDaSY_SZ_EUlSY_E_NS1_11comp_targetILNS1_3genE2ELNS1_11target_archE906ELNS1_3gpuE6ELNS1_3repE0EEENS1_30default_config_static_selectorELNS0_4arch9wavefront6targetE0EEEvT1_,comdat
	.protected	_ZN7rocprim17ROCPRIM_400000_NS6detail17trampoline_kernelINS0_14default_configENS1_27scan_by_key_config_selectorIj11FixedVectorIiLj8EEEEZZNS1_16scan_by_key_implILNS1_25lookback_scan_determinismE0ELb0ES3_N6thrust23THRUST_200600_302600_NS6detail15normal_iteratorINSB_10device_ptrIjEEEENSD_INSE_IS6_EEEESI_S6_NSB_4plusIvEENSB_8equal_toIvEES6_EE10hipError_tPvRmT2_T3_T4_T5_mT6_T7_P12ihipStream_tbENKUlT_T0_E_clISt17integral_constantIbLb1EES12_IbLb0EEEEDaSY_SZ_EUlSY_E_NS1_11comp_targetILNS1_3genE2ELNS1_11target_archE906ELNS1_3gpuE6ELNS1_3repE0EEENS1_30default_config_static_selectorELNS0_4arch9wavefront6targetE0EEEvT1_ ; -- Begin function _ZN7rocprim17ROCPRIM_400000_NS6detail17trampoline_kernelINS0_14default_configENS1_27scan_by_key_config_selectorIj11FixedVectorIiLj8EEEEZZNS1_16scan_by_key_implILNS1_25lookback_scan_determinismE0ELb0ES3_N6thrust23THRUST_200600_302600_NS6detail15normal_iteratorINSB_10device_ptrIjEEEENSD_INSE_IS6_EEEESI_S6_NSB_4plusIvEENSB_8equal_toIvEES6_EE10hipError_tPvRmT2_T3_T4_T5_mT6_T7_P12ihipStream_tbENKUlT_T0_E_clISt17integral_constantIbLb1EES12_IbLb0EEEEDaSY_SZ_EUlSY_E_NS1_11comp_targetILNS1_3genE2ELNS1_11target_archE906ELNS1_3gpuE6ELNS1_3repE0EEENS1_30default_config_static_selectorELNS0_4arch9wavefront6targetE0EEEvT1_
	.globl	_ZN7rocprim17ROCPRIM_400000_NS6detail17trampoline_kernelINS0_14default_configENS1_27scan_by_key_config_selectorIj11FixedVectorIiLj8EEEEZZNS1_16scan_by_key_implILNS1_25lookback_scan_determinismE0ELb0ES3_N6thrust23THRUST_200600_302600_NS6detail15normal_iteratorINSB_10device_ptrIjEEEENSD_INSE_IS6_EEEESI_S6_NSB_4plusIvEENSB_8equal_toIvEES6_EE10hipError_tPvRmT2_T3_T4_T5_mT6_T7_P12ihipStream_tbENKUlT_T0_E_clISt17integral_constantIbLb1EES12_IbLb0EEEEDaSY_SZ_EUlSY_E_NS1_11comp_targetILNS1_3genE2ELNS1_11target_archE906ELNS1_3gpuE6ELNS1_3repE0EEENS1_30default_config_static_selectorELNS0_4arch9wavefront6targetE0EEEvT1_
	.p2align	8
	.type	_ZN7rocprim17ROCPRIM_400000_NS6detail17trampoline_kernelINS0_14default_configENS1_27scan_by_key_config_selectorIj11FixedVectorIiLj8EEEEZZNS1_16scan_by_key_implILNS1_25lookback_scan_determinismE0ELb0ES3_N6thrust23THRUST_200600_302600_NS6detail15normal_iteratorINSB_10device_ptrIjEEEENSD_INSE_IS6_EEEESI_S6_NSB_4plusIvEENSB_8equal_toIvEES6_EE10hipError_tPvRmT2_T3_T4_T5_mT6_T7_P12ihipStream_tbENKUlT_T0_E_clISt17integral_constantIbLb1EES12_IbLb0EEEEDaSY_SZ_EUlSY_E_NS1_11comp_targetILNS1_3genE2ELNS1_11target_archE906ELNS1_3gpuE6ELNS1_3repE0EEENS1_30default_config_static_selectorELNS0_4arch9wavefront6targetE0EEEvT1_,@function
_ZN7rocprim17ROCPRIM_400000_NS6detail17trampoline_kernelINS0_14default_configENS1_27scan_by_key_config_selectorIj11FixedVectorIiLj8EEEEZZNS1_16scan_by_key_implILNS1_25lookback_scan_determinismE0ELb0ES3_N6thrust23THRUST_200600_302600_NS6detail15normal_iteratorINSB_10device_ptrIjEEEENSD_INSE_IS6_EEEESI_S6_NSB_4plusIvEENSB_8equal_toIvEES6_EE10hipError_tPvRmT2_T3_T4_T5_mT6_T7_P12ihipStream_tbENKUlT_T0_E_clISt17integral_constantIbLb1EES12_IbLb0EEEEDaSY_SZ_EUlSY_E_NS1_11comp_targetILNS1_3genE2ELNS1_11target_archE906ELNS1_3gpuE6ELNS1_3repE0EEENS1_30default_config_static_selectorELNS0_4arch9wavefront6targetE0EEEvT1_: ; @_ZN7rocprim17ROCPRIM_400000_NS6detail17trampoline_kernelINS0_14default_configENS1_27scan_by_key_config_selectorIj11FixedVectorIiLj8EEEEZZNS1_16scan_by_key_implILNS1_25lookback_scan_determinismE0ELb0ES3_N6thrust23THRUST_200600_302600_NS6detail15normal_iteratorINSB_10device_ptrIjEEEENSD_INSE_IS6_EEEESI_S6_NSB_4plusIvEENSB_8equal_toIvEES6_EE10hipError_tPvRmT2_T3_T4_T5_mT6_T7_P12ihipStream_tbENKUlT_T0_E_clISt17integral_constantIbLb1EES12_IbLb0EEEEDaSY_SZ_EUlSY_E_NS1_11comp_targetILNS1_3genE2ELNS1_11target_archE906ELNS1_3gpuE6ELNS1_3repE0EEENS1_30default_config_static_selectorELNS0_4arch9wavefront6targetE0EEEvT1_
; %bb.0:
	.section	.rodata,"a",@progbits
	.p2align	6, 0x0
	.amdhsa_kernel _ZN7rocprim17ROCPRIM_400000_NS6detail17trampoline_kernelINS0_14default_configENS1_27scan_by_key_config_selectorIj11FixedVectorIiLj8EEEEZZNS1_16scan_by_key_implILNS1_25lookback_scan_determinismE0ELb0ES3_N6thrust23THRUST_200600_302600_NS6detail15normal_iteratorINSB_10device_ptrIjEEEENSD_INSE_IS6_EEEESI_S6_NSB_4plusIvEENSB_8equal_toIvEES6_EE10hipError_tPvRmT2_T3_T4_T5_mT6_T7_P12ihipStream_tbENKUlT_T0_E_clISt17integral_constantIbLb1EES12_IbLb0EEEEDaSY_SZ_EUlSY_E_NS1_11comp_targetILNS1_3genE2ELNS1_11target_archE906ELNS1_3gpuE6ELNS1_3repE0EEENS1_30default_config_static_selectorELNS0_4arch9wavefront6targetE0EEEvT1_
		.amdhsa_group_segment_fixed_size 0
		.amdhsa_private_segment_fixed_size 0
		.amdhsa_kernarg_size 160
		.amdhsa_user_sgpr_count 6
		.amdhsa_user_sgpr_private_segment_buffer 1
		.amdhsa_user_sgpr_dispatch_ptr 0
		.amdhsa_user_sgpr_queue_ptr 0
		.amdhsa_user_sgpr_kernarg_segment_ptr 1
		.amdhsa_user_sgpr_dispatch_id 0
		.amdhsa_user_sgpr_flat_scratch_init 0
		.amdhsa_user_sgpr_private_segment_size 0
		.amdhsa_wavefront_size32 1
		.amdhsa_uses_dynamic_stack 0
		.amdhsa_system_sgpr_private_segment_wavefront_offset 0
		.amdhsa_system_sgpr_workgroup_id_x 1
		.amdhsa_system_sgpr_workgroup_id_y 0
		.amdhsa_system_sgpr_workgroup_id_z 0
		.amdhsa_system_sgpr_workgroup_info 0
		.amdhsa_system_vgpr_workitem_id 0
		.amdhsa_next_free_vgpr 1
		.amdhsa_next_free_sgpr 1
		.amdhsa_reserve_vcc 0
		.amdhsa_reserve_flat_scratch 0
		.amdhsa_float_round_mode_32 0
		.amdhsa_float_round_mode_16_64 0
		.amdhsa_float_denorm_mode_32 3
		.amdhsa_float_denorm_mode_16_64 3
		.amdhsa_dx10_clamp 1
		.amdhsa_ieee_mode 1
		.amdhsa_fp16_overflow 0
		.amdhsa_workgroup_processor_mode 1
		.amdhsa_memory_ordered 1
		.amdhsa_forward_progress 1
		.amdhsa_shared_vgpr_count 0
		.amdhsa_exception_fp_ieee_invalid_op 0
		.amdhsa_exception_fp_denorm_src 0
		.amdhsa_exception_fp_ieee_div_zero 0
		.amdhsa_exception_fp_ieee_overflow 0
		.amdhsa_exception_fp_ieee_underflow 0
		.amdhsa_exception_fp_ieee_inexact 0
		.amdhsa_exception_int_div_zero 0
	.end_amdhsa_kernel
	.section	.text._ZN7rocprim17ROCPRIM_400000_NS6detail17trampoline_kernelINS0_14default_configENS1_27scan_by_key_config_selectorIj11FixedVectorIiLj8EEEEZZNS1_16scan_by_key_implILNS1_25lookback_scan_determinismE0ELb0ES3_N6thrust23THRUST_200600_302600_NS6detail15normal_iteratorINSB_10device_ptrIjEEEENSD_INSE_IS6_EEEESI_S6_NSB_4plusIvEENSB_8equal_toIvEES6_EE10hipError_tPvRmT2_T3_T4_T5_mT6_T7_P12ihipStream_tbENKUlT_T0_E_clISt17integral_constantIbLb1EES12_IbLb0EEEEDaSY_SZ_EUlSY_E_NS1_11comp_targetILNS1_3genE2ELNS1_11target_archE906ELNS1_3gpuE6ELNS1_3repE0EEENS1_30default_config_static_selectorELNS0_4arch9wavefront6targetE0EEEvT1_,"axG",@progbits,_ZN7rocprim17ROCPRIM_400000_NS6detail17trampoline_kernelINS0_14default_configENS1_27scan_by_key_config_selectorIj11FixedVectorIiLj8EEEEZZNS1_16scan_by_key_implILNS1_25lookback_scan_determinismE0ELb0ES3_N6thrust23THRUST_200600_302600_NS6detail15normal_iteratorINSB_10device_ptrIjEEEENSD_INSE_IS6_EEEESI_S6_NSB_4plusIvEENSB_8equal_toIvEES6_EE10hipError_tPvRmT2_T3_T4_T5_mT6_T7_P12ihipStream_tbENKUlT_T0_E_clISt17integral_constantIbLb1EES12_IbLb0EEEEDaSY_SZ_EUlSY_E_NS1_11comp_targetILNS1_3genE2ELNS1_11target_archE906ELNS1_3gpuE6ELNS1_3repE0EEENS1_30default_config_static_selectorELNS0_4arch9wavefront6targetE0EEEvT1_,comdat
.Lfunc_end2142:
	.size	_ZN7rocprim17ROCPRIM_400000_NS6detail17trampoline_kernelINS0_14default_configENS1_27scan_by_key_config_selectorIj11FixedVectorIiLj8EEEEZZNS1_16scan_by_key_implILNS1_25lookback_scan_determinismE0ELb0ES3_N6thrust23THRUST_200600_302600_NS6detail15normal_iteratorINSB_10device_ptrIjEEEENSD_INSE_IS6_EEEESI_S6_NSB_4plusIvEENSB_8equal_toIvEES6_EE10hipError_tPvRmT2_T3_T4_T5_mT6_T7_P12ihipStream_tbENKUlT_T0_E_clISt17integral_constantIbLb1EES12_IbLb0EEEEDaSY_SZ_EUlSY_E_NS1_11comp_targetILNS1_3genE2ELNS1_11target_archE906ELNS1_3gpuE6ELNS1_3repE0EEENS1_30default_config_static_selectorELNS0_4arch9wavefront6targetE0EEEvT1_, .Lfunc_end2142-_ZN7rocprim17ROCPRIM_400000_NS6detail17trampoline_kernelINS0_14default_configENS1_27scan_by_key_config_selectorIj11FixedVectorIiLj8EEEEZZNS1_16scan_by_key_implILNS1_25lookback_scan_determinismE0ELb0ES3_N6thrust23THRUST_200600_302600_NS6detail15normal_iteratorINSB_10device_ptrIjEEEENSD_INSE_IS6_EEEESI_S6_NSB_4plusIvEENSB_8equal_toIvEES6_EE10hipError_tPvRmT2_T3_T4_T5_mT6_T7_P12ihipStream_tbENKUlT_T0_E_clISt17integral_constantIbLb1EES12_IbLb0EEEEDaSY_SZ_EUlSY_E_NS1_11comp_targetILNS1_3genE2ELNS1_11target_archE906ELNS1_3gpuE6ELNS1_3repE0EEENS1_30default_config_static_selectorELNS0_4arch9wavefront6targetE0EEEvT1_
                                        ; -- End function
	.set _ZN7rocprim17ROCPRIM_400000_NS6detail17trampoline_kernelINS0_14default_configENS1_27scan_by_key_config_selectorIj11FixedVectorIiLj8EEEEZZNS1_16scan_by_key_implILNS1_25lookback_scan_determinismE0ELb0ES3_N6thrust23THRUST_200600_302600_NS6detail15normal_iteratorINSB_10device_ptrIjEEEENSD_INSE_IS6_EEEESI_S6_NSB_4plusIvEENSB_8equal_toIvEES6_EE10hipError_tPvRmT2_T3_T4_T5_mT6_T7_P12ihipStream_tbENKUlT_T0_E_clISt17integral_constantIbLb1EES12_IbLb0EEEEDaSY_SZ_EUlSY_E_NS1_11comp_targetILNS1_3genE2ELNS1_11target_archE906ELNS1_3gpuE6ELNS1_3repE0EEENS1_30default_config_static_selectorELNS0_4arch9wavefront6targetE0EEEvT1_.num_vgpr, 0
	.set _ZN7rocprim17ROCPRIM_400000_NS6detail17trampoline_kernelINS0_14default_configENS1_27scan_by_key_config_selectorIj11FixedVectorIiLj8EEEEZZNS1_16scan_by_key_implILNS1_25lookback_scan_determinismE0ELb0ES3_N6thrust23THRUST_200600_302600_NS6detail15normal_iteratorINSB_10device_ptrIjEEEENSD_INSE_IS6_EEEESI_S6_NSB_4plusIvEENSB_8equal_toIvEES6_EE10hipError_tPvRmT2_T3_T4_T5_mT6_T7_P12ihipStream_tbENKUlT_T0_E_clISt17integral_constantIbLb1EES12_IbLb0EEEEDaSY_SZ_EUlSY_E_NS1_11comp_targetILNS1_3genE2ELNS1_11target_archE906ELNS1_3gpuE6ELNS1_3repE0EEENS1_30default_config_static_selectorELNS0_4arch9wavefront6targetE0EEEvT1_.num_agpr, 0
	.set _ZN7rocprim17ROCPRIM_400000_NS6detail17trampoline_kernelINS0_14default_configENS1_27scan_by_key_config_selectorIj11FixedVectorIiLj8EEEEZZNS1_16scan_by_key_implILNS1_25lookback_scan_determinismE0ELb0ES3_N6thrust23THRUST_200600_302600_NS6detail15normal_iteratorINSB_10device_ptrIjEEEENSD_INSE_IS6_EEEESI_S6_NSB_4plusIvEENSB_8equal_toIvEES6_EE10hipError_tPvRmT2_T3_T4_T5_mT6_T7_P12ihipStream_tbENKUlT_T0_E_clISt17integral_constantIbLb1EES12_IbLb0EEEEDaSY_SZ_EUlSY_E_NS1_11comp_targetILNS1_3genE2ELNS1_11target_archE906ELNS1_3gpuE6ELNS1_3repE0EEENS1_30default_config_static_selectorELNS0_4arch9wavefront6targetE0EEEvT1_.numbered_sgpr, 0
	.set _ZN7rocprim17ROCPRIM_400000_NS6detail17trampoline_kernelINS0_14default_configENS1_27scan_by_key_config_selectorIj11FixedVectorIiLj8EEEEZZNS1_16scan_by_key_implILNS1_25lookback_scan_determinismE0ELb0ES3_N6thrust23THRUST_200600_302600_NS6detail15normal_iteratorINSB_10device_ptrIjEEEENSD_INSE_IS6_EEEESI_S6_NSB_4plusIvEENSB_8equal_toIvEES6_EE10hipError_tPvRmT2_T3_T4_T5_mT6_T7_P12ihipStream_tbENKUlT_T0_E_clISt17integral_constantIbLb1EES12_IbLb0EEEEDaSY_SZ_EUlSY_E_NS1_11comp_targetILNS1_3genE2ELNS1_11target_archE906ELNS1_3gpuE6ELNS1_3repE0EEENS1_30default_config_static_selectorELNS0_4arch9wavefront6targetE0EEEvT1_.num_named_barrier, 0
	.set _ZN7rocprim17ROCPRIM_400000_NS6detail17trampoline_kernelINS0_14default_configENS1_27scan_by_key_config_selectorIj11FixedVectorIiLj8EEEEZZNS1_16scan_by_key_implILNS1_25lookback_scan_determinismE0ELb0ES3_N6thrust23THRUST_200600_302600_NS6detail15normal_iteratorINSB_10device_ptrIjEEEENSD_INSE_IS6_EEEESI_S6_NSB_4plusIvEENSB_8equal_toIvEES6_EE10hipError_tPvRmT2_T3_T4_T5_mT6_T7_P12ihipStream_tbENKUlT_T0_E_clISt17integral_constantIbLb1EES12_IbLb0EEEEDaSY_SZ_EUlSY_E_NS1_11comp_targetILNS1_3genE2ELNS1_11target_archE906ELNS1_3gpuE6ELNS1_3repE0EEENS1_30default_config_static_selectorELNS0_4arch9wavefront6targetE0EEEvT1_.private_seg_size, 0
	.set _ZN7rocprim17ROCPRIM_400000_NS6detail17trampoline_kernelINS0_14default_configENS1_27scan_by_key_config_selectorIj11FixedVectorIiLj8EEEEZZNS1_16scan_by_key_implILNS1_25lookback_scan_determinismE0ELb0ES3_N6thrust23THRUST_200600_302600_NS6detail15normal_iteratorINSB_10device_ptrIjEEEENSD_INSE_IS6_EEEESI_S6_NSB_4plusIvEENSB_8equal_toIvEES6_EE10hipError_tPvRmT2_T3_T4_T5_mT6_T7_P12ihipStream_tbENKUlT_T0_E_clISt17integral_constantIbLb1EES12_IbLb0EEEEDaSY_SZ_EUlSY_E_NS1_11comp_targetILNS1_3genE2ELNS1_11target_archE906ELNS1_3gpuE6ELNS1_3repE0EEENS1_30default_config_static_selectorELNS0_4arch9wavefront6targetE0EEEvT1_.uses_vcc, 0
	.set _ZN7rocprim17ROCPRIM_400000_NS6detail17trampoline_kernelINS0_14default_configENS1_27scan_by_key_config_selectorIj11FixedVectorIiLj8EEEEZZNS1_16scan_by_key_implILNS1_25lookback_scan_determinismE0ELb0ES3_N6thrust23THRUST_200600_302600_NS6detail15normal_iteratorINSB_10device_ptrIjEEEENSD_INSE_IS6_EEEESI_S6_NSB_4plusIvEENSB_8equal_toIvEES6_EE10hipError_tPvRmT2_T3_T4_T5_mT6_T7_P12ihipStream_tbENKUlT_T0_E_clISt17integral_constantIbLb1EES12_IbLb0EEEEDaSY_SZ_EUlSY_E_NS1_11comp_targetILNS1_3genE2ELNS1_11target_archE906ELNS1_3gpuE6ELNS1_3repE0EEENS1_30default_config_static_selectorELNS0_4arch9wavefront6targetE0EEEvT1_.uses_flat_scratch, 0
	.set _ZN7rocprim17ROCPRIM_400000_NS6detail17trampoline_kernelINS0_14default_configENS1_27scan_by_key_config_selectorIj11FixedVectorIiLj8EEEEZZNS1_16scan_by_key_implILNS1_25lookback_scan_determinismE0ELb0ES3_N6thrust23THRUST_200600_302600_NS6detail15normal_iteratorINSB_10device_ptrIjEEEENSD_INSE_IS6_EEEESI_S6_NSB_4plusIvEENSB_8equal_toIvEES6_EE10hipError_tPvRmT2_T3_T4_T5_mT6_T7_P12ihipStream_tbENKUlT_T0_E_clISt17integral_constantIbLb1EES12_IbLb0EEEEDaSY_SZ_EUlSY_E_NS1_11comp_targetILNS1_3genE2ELNS1_11target_archE906ELNS1_3gpuE6ELNS1_3repE0EEENS1_30default_config_static_selectorELNS0_4arch9wavefront6targetE0EEEvT1_.has_dyn_sized_stack, 0
	.set _ZN7rocprim17ROCPRIM_400000_NS6detail17trampoline_kernelINS0_14default_configENS1_27scan_by_key_config_selectorIj11FixedVectorIiLj8EEEEZZNS1_16scan_by_key_implILNS1_25lookback_scan_determinismE0ELb0ES3_N6thrust23THRUST_200600_302600_NS6detail15normal_iteratorINSB_10device_ptrIjEEEENSD_INSE_IS6_EEEESI_S6_NSB_4plusIvEENSB_8equal_toIvEES6_EE10hipError_tPvRmT2_T3_T4_T5_mT6_T7_P12ihipStream_tbENKUlT_T0_E_clISt17integral_constantIbLb1EES12_IbLb0EEEEDaSY_SZ_EUlSY_E_NS1_11comp_targetILNS1_3genE2ELNS1_11target_archE906ELNS1_3gpuE6ELNS1_3repE0EEENS1_30default_config_static_selectorELNS0_4arch9wavefront6targetE0EEEvT1_.has_recursion, 0
	.set _ZN7rocprim17ROCPRIM_400000_NS6detail17trampoline_kernelINS0_14default_configENS1_27scan_by_key_config_selectorIj11FixedVectorIiLj8EEEEZZNS1_16scan_by_key_implILNS1_25lookback_scan_determinismE0ELb0ES3_N6thrust23THRUST_200600_302600_NS6detail15normal_iteratorINSB_10device_ptrIjEEEENSD_INSE_IS6_EEEESI_S6_NSB_4plusIvEENSB_8equal_toIvEES6_EE10hipError_tPvRmT2_T3_T4_T5_mT6_T7_P12ihipStream_tbENKUlT_T0_E_clISt17integral_constantIbLb1EES12_IbLb0EEEEDaSY_SZ_EUlSY_E_NS1_11comp_targetILNS1_3genE2ELNS1_11target_archE906ELNS1_3gpuE6ELNS1_3repE0EEENS1_30default_config_static_selectorELNS0_4arch9wavefront6targetE0EEEvT1_.has_indirect_call, 0
	.section	.AMDGPU.csdata,"",@progbits
; Kernel info:
; codeLenInByte = 0
; TotalNumSgprs: 0
; NumVgprs: 0
; ScratchSize: 0
; MemoryBound: 0
; FloatMode: 240
; IeeeMode: 1
; LDSByteSize: 0 bytes/workgroup (compile time only)
; SGPRBlocks: 0
; VGPRBlocks: 0
; NumSGPRsForWavesPerEU: 1
; NumVGPRsForWavesPerEU: 1
; Occupancy: 16
; WaveLimiterHint : 0
; COMPUTE_PGM_RSRC2:SCRATCH_EN: 0
; COMPUTE_PGM_RSRC2:USER_SGPR: 6
; COMPUTE_PGM_RSRC2:TRAP_HANDLER: 0
; COMPUTE_PGM_RSRC2:TGID_X_EN: 1
; COMPUTE_PGM_RSRC2:TGID_Y_EN: 0
; COMPUTE_PGM_RSRC2:TGID_Z_EN: 0
; COMPUTE_PGM_RSRC2:TIDIG_COMP_CNT: 0
	.section	.text._ZN7rocprim17ROCPRIM_400000_NS6detail17trampoline_kernelINS0_14default_configENS1_27scan_by_key_config_selectorIj11FixedVectorIiLj8EEEEZZNS1_16scan_by_key_implILNS1_25lookback_scan_determinismE0ELb0ES3_N6thrust23THRUST_200600_302600_NS6detail15normal_iteratorINSB_10device_ptrIjEEEENSD_INSE_IS6_EEEESI_S6_NSB_4plusIvEENSB_8equal_toIvEES6_EE10hipError_tPvRmT2_T3_T4_T5_mT6_T7_P12ihipStream_tbENKUlT_T0_E_clISt17integral_constantIbLb1EES12_IbLb0EEEEDaSY_SZ_EUlSY_E_NS1_11comp_targetILNS1_3genE10ELNS1_11target_archE1200ELNS1_3gpuE4ELNS1_3repE0EEENS1_30default_config_static_selectorELNS0_4arch9wavefront6targetE0EEEvT1_,"axG",@progbits,_ZN7rocprim17ROCPRIM_400000_NS6detail17trampoline_kernelINS0_14default_configENS1_27scan_by_key_config_selectorIj11FixedVectorIiLj8EEEEZZNS1_16scan_by_key_implILNS1_25lookback_scan_determinismE0ELb0ES3_N6thrust23THRUST_200600_302600_NS6detail15normal_iteratorINSB_10device_ptrIjEEEENSD_INSE_IS6_EEEESI_S6_NSB_4plusIvEENSB_8equal_toIvEES6_EE10hipError_tPvRmT2_T3_T4_T5_mT6_T7_P12ihipStream_tbENKUlT_T0_E_clISt17integral_constantIbLb1EES12_IbLb0EEEEDaSY_SZ_EUlSY_E_NS1_11comp_targetILNS1_3genE10ELNS1_11target_archE1200ELNS1_3gpuE4ELNS1_3repE0EEENS1_30default_config_static_selectorELNS0_4arch9wavefront6targetE0EEEvT1_,comdat
	.protected	_ZN7rocprim17ROCPRIM_400000_NS6detail17trampoline_kernelINS0_14default_configENS1_27scan_by_key_config_selectorIj11FixedVectorIiLj8EEEEZZNS1_16scan_by_key_implILNS1_25lookback_scan_determinismE0ELb0ES3_N6thrust23THRUST_200600_302600_NS6detail15normal_iteratorINSB_10device_ptrIjEEEENSD_INSE_IS6_EEEESI_S6_NSB_4plusIvEENSB_8equal_toIvEES6_EE10hipError_tPvRmT2_T3_T4_T5_mT6_T7_P12ihipStream_tbENKUlT_T0_E_clISt17integral_constantIbLb1EES12_IbLb0EEEEDaSY_SZ_EUlSY_E_NS1_11comp_targetILNS1_3genE10ELNS1_11target_archE1200ELNS1_3gpuE4ELNS1_3repE0EEENS1_30default_config_static_selectorELNS0_4arch9wavefront6targetE0EEEvT1_ ; -- Begin function _ZN7rocprim17ROCPRIM_400000_NS6detail17trampoline_kernelINS0_14default_configENS1_27scan_by_key_config_selectorIj11FixedVectorIiLj8EEEEZZNS1_16scan_by_key_implILNS1_25lookback_scan_determinismE0ELb0ES3_N6thrust23THRUST_200600_302600_NS6detail15normal_iteratorINSB_10device_ptrIjEEEENSD_INSE_IS6_EEEESI_S6_NSB_4plusIvEENSB_8equal_toIvEES6_EE10hipError_tPvRmT2_T3_T4_T5_mT6_T7_P12ihipStream_tbENKUlT_T0_E_clISt17integral_constantIbLb1EES12_IbLb0EEEEDaSY_SZ_EUlSY_E_NS1_11comp_targetILNS1_3genE10ELNS1_11target_archE1200ELNS1_3gpuE4ELNS1_3repE0EEENS1_30default_config_static_selectorELNS0_4arch9wavefront6targetE0EEEvT1_
	.globl	_ZN7rocprim17ROCPRIM_400000_NS6detail17trampoline_kernelINS0_14default_configENS1_27scan_by_key_config_selectorIj11FixedVectorIiLj8EEEEZZNS1_16scan_by_key_implILNS1_25lookback_scan_determinismE0ELb0ES3_N6thrust23THRUST_200600_302600_NS6detail15normal_iteratorINSB_10device_ptrIjEEEENSD_INSE_IS6_EEEESI_S6_NSB_4plusIvEENSB_8equal_toIvEES6_EE10hipError_tPvRmT2_T3_T4_T5_mT6_T7_P12ihipStream_tbENKUlT_T0_E_clISt17integral_constantIbLb1EES12_IbLb0EEEEDaSY_SZ_EUlSY_E_NS1_11comp_targetILNS1_3genE10ELNS1_11target_archE1200ELNS1_3gpuE4ELNS1_3repE0EEENS1_30default_config_static_selectorELNS0_4arch9wavefront6targetE0EEEvT1_
	.p2align	8
	.type	_ZN7rocprim17ROCPRIM_400000_NS6detail17trampoline_kernelINS0_14default_configENS1_27scan_by_key_config_selectorIj11FixedVectorIiLj8EEEEZZNS1_16scan_by_key_implILNS1_25lookback_scan_determinismE0ELb0ES3_N6thrust23THRUST_200600_302600_NS6detail15normal_iteratorINSB_10device_ptrIjEEEENSD_INSE_IS6_EEEESI_S6_NSB_4plusIvEENSB_8equal_toIvEES6_EE10hipError_tPvRmT2_T3_T4_T5_mT6_T7_P12ihipStream_tbENKUlT_T0_E_clISt17integral_constantIbLb1EES12_IbLb0EEEEDaSY_SZ_EUlSY_E_NS1_11comp_targetILNS1_3genE10ELNS1_11target_archE1200ELNS1_3gpuE4ELNS1_3repE0EEENS1_30default_config_static_selectorELNS0_4arch9wavefront6targetE0EEEvT1_,@function
_ZN7rocprim17ROCPRIM_400000_NS6detail17trampoline_kernelINS0_14default_configENS1_27scan_by_key_config_selectorIj11FixedVectorIiLj8EEEEZZNS1_16scan_by_key_implILNS1_25lookback_scan_determinismE0ELb0ES3_N6thrust23THRUST_200600_302600_NS6detail15normal_iteratorINSB_10device_ptrIjEEEENSD_INSE_IS6_EEEESI_S6_NSB_4plusIvEENSB_8equal_toIvEES6_EE10hipError_tPvRmT2_T3_T4_T5_mT6_T7_P12ihipStream_tbENKUlT_T0_E_clISt17integral_constantIbLb1EES12_IbLb0EEEEDaSY_SZ_EUlSY_E_NS1_11comp_targetILNS1_3genE10ELNS1_11target_archE1200ELNS1_3gpuE4ELNS1_3repE0EEENS1_30default_config_static_selectorELNS0_4arch9wavefront6targetE0EEEvT1_: ; @_ZN7rocprim17ROCPRIM_400000_NS6detail17trampoline_kernelINS0_14default_configENS1_27scan_by_key_config_selectorIj11FixedVectorIiLj8EEEEZZNS1_16scan_by_key_implILNS1_25lookback_scan_determinismE0ELb0ES3_N6thrust23THRUST_200600_302600_NS6detail15normal_iteratorINSB_10device_ptrIjEEEENSD_INSE_IS6_EEEESI_S6_NSB_4plusIvEENSB_8equal_toIvEES6_EE10hipError_tPvRmT2_T3_T4_T5_mT6_T7_P12ihipStream_tbENKUlT_T0_E_clISt17integral_constantIbLb1EES12_IbLb0EEEEDaSY_SZ_EUlSY_E_NS1_11comp_targetILNS1_3genE10ELNS1_11target_archE1200ELNS1_3gpuE4ELNS1_3repE0EEENS1_30default_config_static_selectorELNS0_4arch9wavefront6targetE0EEEvT1_
; %bb.0:
	.section	.rodata,"a",@progbits
	.p2align	6, 0x0
	.amdhsa_kernel _ZN7rocprim17ROCPRIM_400000_NS6detail17trampoline_kernelINS0_14default_configENS1_27scan_by_key_config_selectorIj11FixedVectorIiLj8EEEEZZNS1_16scan_by_key_implILNS1_25lookback_scan_determinismE0ELb0ES3_N6thrust23THRUST_200600_302600_NS6detail15normal_iteratorINSB_10device_ptrIjEEEENSD_INSE_IS6_EEEESI_S6_NSB_4plusIvEENSB_8equal_toIvEES6_EE10hipError_tPvRmT2_T3_T4_T5_mT6_T7_P12ihipStream_tbENKUlT_T0_E_clISt17integral_constantIbLb1EES12_IbLb0EEEEDaSY_SZ_EUlSY_E_NS1_11comp_targetILNS1_3genE10ELNS1_11target_archE1200ELNS1_3gpuE4ELNS1_3repE0EEENS1_30default_config_static_selectorELNS0_4arch9wavefront6targetE0EEEvT1_
		.amdhsa_group_segment_fixed_size 0
		.amdhsa_private_segment_fixed_size 0
		.amdhsa_kernarg_size 160
		.amdhsa_user_sgpr_count 6
		.amdhsa_user_sgpr_private_segment_buffer 1
		.amdhsa_user_sgpr_dispatch_ptr 0
		.amdhsa_user_sgpr_queue_ptr 0
		.amdhsa_user_sgpr_kernarg_segment_ptr 1
		.amdhsa_user_sgpr_dispatch_id 0
		.amdhsa_user_sgpr_flat_scratch_init 0
		.amdhsa_user_sgpr_private_segment_size 0
		.amdhsa_wavefront_size32 1
		.amdhsa_uses_dynamic_stack 0
		.amdhsa_system_sgpr_private_segment_wavefront_offset 0
		.amdhsa_system_sgpr_workgroup_id_x 1
		.amdhsa_system_sgpr_workgroup_id_y 0
		.amdhsa_system_sgpr_workgroup_id_z 0
		.amdhsa_system_sgpr_workgroup_info 0
		.amdhsa_system_vgpr_workitem_id 0
		.amdhsa_next_free_vgpr 1
		.amdhsa_next_free_sgpr 1
		.amdhsa_reserve_vcc 0
		.amdhsa_reserve_flat_scratch 0
		.amdhsa_float_round_mode_32 0
		.amdhsa_float_round_mode_16_64 0
		.amdhsa_float_denorm_mode_32 3
		.amdhsa_float_denorm_mode_16_64 3
		.amdhsa_dx10_clamp 1
		.amdhsa_ieee_mode 1
		.amdhsa_fp16_overflow 0
		.amdhsa_workgroup_processor_mode 1
		.amdhsa_memory_ordered 1
		.amdhsa_forward_progress 1
		.amdhsa_shared_vgpr_count 0
		.amdhsa_exception_fp_ieee_invalid_op 0
		.amdhsa_exception_fp_denorm_src 0
		.amdhsa_exception_fp_ieee_div_zero 0
		.amdhsa_exception_fp_ieee_overflow 0
		.amdhsa_exception_fp_ieee_underflow 0
		.amdhsa_exception_fp_ieee_inexact 0
		.amdhsa_exception_int_div_zero 0
	.end_amdhsa_kernel
	.section	.text._ZN7rocprim17ROCPRIM_400000_NS6detail17trampoline_kernelINS0_14default_configENS1_27scan_by_key_config_selectorIj11FixedVectorIiLj8EEEEZZNS1_16scan_by_key_implILNS1_25lookback_scan_determinismE0ELb0ES3_N6thrust23THRUST_200600_302600_NS6detail15normal_iteratorINSB_10device_ptrIjEEEENSD_INSE_IS6_EEEESI_S6_NSB_4plusIvEENSB_8equal_toIvEES6_EE10hipError_tPvRmT2_T3_T4_T5_mT6_T7_P12ihipStream_tbENKUlT_T0_E_clISt17integral_constantIbLb1EES12_IbLb0EEEEDaSY_SZ_EUlSY_E_NS1_11comp_targetILNS1_3genE10ELNS1_11target_archE1200ELNS1_3gpuE4ELNS1_3repE0EEENS1_30default_config_static_selectorELNS0_4arch9wavefront6targetE0EEEvT1_,"axG",@progbits,_ZN7rocprim17ROCPRIM_400000_NS6detail17trampoline_kernelINS0_14default_configENS1_27scan_by_key_config_selectorIj11FixedVectorIiLj8EEEEZZNS1_16scan_by_key_implILNS1_25lookback_scan_determinismE0ELb0ES3_N6thrust23THRUST_200600_302600_NS6detail15normal_iteratorINSB_10device_ptrIjEEEENSD_INSE_IS6_EEEESI_S6_NSB_4plusIvEENSB_8equal_toIvEES6_EE10hipError_tPvRmT2_T3_T4_T5_mT6_T7_P12ihipStream_tbENKUlT_T0_E_clISt17integral_constantIbLb1EES12_IbLb0EEEEDaSY_SZ_EUlSY_E_NS1_11comp_targetILNS1_3genE10ELNS1_11target_archE1200ELNS1_3gpuE4ELNS1_3repE0EEENS1_30default_config_static_selectorELNS0_4arch9wavefront6targetE0EEEvT1_,comdat
.Lfunc_end2143:
	.size	_ZN7rocprim17ROCPRIM_400000_NS6detail17trampoline_kernelINS0_14default_configENS1_27scan_by_key_config_selectorIj11FixedVectorIiLj8EEEEZZNS1_16scan_by_key_implILNS1_25lookback_scan_determinismE0ELb0ES3_N6thrust23THRUST_200600_302600_NS6detail15normal_iteratorINSB_10device_ptrIjEEEENSD_INSE_IS6_EEEESI_S6_NSB_4plusIvEENSB_8equal_toIvEES6_EE10hipError_tPvRmT2_T3_T4_T5_mT6_T7_P12ihipStream_tbENKUlT_T0_E_clISt17integral_constantIbLb1EES12_IbLb0EEEEDaSY_SZ_EUlSY_E_NS1_11comp_targetILNS1_3genE10ELNS1_11target_archE1200ELNS1_3gpuE4ELNS1_3repE0EEENS1_30default_config_static_selectorELNS0_4arch9wavefront6targetE0EEEvT1_, .Lfunc_end2143-_ZN7rocprim17ROCPRIM_400000_NS6detail17trampoline_kernelINS0_14default_configENS1_27scan_by_key_config_selectorIj11FixedVectorIiLj8EEEEZZNS1_16scan_by_key_implILNS1_25lookback_scan_determinismE0ELb0ES3_N6thrust23THRUST_200600_302600_NS6detail15normal_iteratorINSB_10device_ptrIjEEEENSD_INSE_IS6_EEEESI_S6_NSB_4plusIvEENSB_8equal_toIvEES6_EE10hipError_tPvRmT2_T3_T4_T5_mT6_T7_P12ihipStream_tbENKUlT_T0_E_clISt17integral_constantIbLb1EES12_IbLb0EEEEDaSY_SZ_EUlSY_E_NS1_11comp_targetILNS1_3genE10ELNS1_11target_archE1200ELNS1_3gpuE4ELNS1_3repE0EEENS1_30default_config_static_selectorELNS0_4arch9wavefront6targetE0EEEvT1_
                                        ; -- End function
	.set _ZN7rocprim17ROCPRIM_400000_NS6detail17trampoline_kernelINS0_14default_configENS1_27scan_by_key_config_selectorIj11FixedVectorIiLj8EEEEZZNS1_16scan_by_key_implILNS1_25lookback_scan_determinismE0ELb0ES3_N6thrust23THRUST_200600_302600_NS6detail15normal_iteratorINSB_10device_ptrIjEEEENSD_INSE_IS6_EEEESI_S6_NSB_4plusIvEENSB_8equal_toIvEES6_EE10hipError_tPvRmT2_T3_T4_T5_mT6_T7_P12ihipStream_tbENKUlT_T0_E_clISt17integral_constantIbLb1EES12_IbLb0EEEEDaSY_SZ_EUlSY_E_NS1_11comp_targetILNS1_3genE10ELNS1_11target_archE1200ELNS1_3gpuE4ELNS1_3repE0EEENS1_30default_config_static_selectorELNS0_4arch9wavefront6targetE0EEEvT1_.num_vgpr, 0
	.set _ZN7rocprim17ROCPRIM_400000_NS6detail17trampoline_kernelINS0_14default_configENS1_27scan_by_key_config_selectorIj11FixedVectorIiLj8EEEEZZNS1_16scan_by_key_implILNS1_25lookback_scan_determinismE0ELb0ES3_N6thrust23THRUST_200600_302600_NS6detail15normal_iteratorINSB_10device_ptrIjEEEENSD_INSE_IS6_EEEESI_S6_NSB_4plusIvEENSB_8equal_toIvEES6_EE10hipError_tPvRmT2_T3_T4_T5_mT6_T7_P12ihipStream_tbENKUlT_T0_E_clISt17integral_constantIbLb1EES12_IbLb0EEEEDaSY_SZ_EUlSY_E_NS1_11comp_targetILNS1_3genE10ELNS1_11target_archE1200ELNS1_3gpuE4ELNS1_3repE0EEENS1_30default_config_static_selectorELNS0_4arch9wavefront6targetE0EEEvT1_.num_agpr, 0
	.set _ZN7rocprim17ROCPRIM_400000_NS6detail17trampoline_kernelINS0_14default_configENS1_27scan_by_key_config_selectorIj11FixedVectorIiLj8EEEEZZNS1_16scan_by_key_implILNS1_25lookback_scan_determinismE0ELb0ES3_N6thrust23THRUST_200600_302600_NS6detail15normal_iteratorINSB_10device_ptrIjEEEENSD_INSE_IS6_EEEESI_S6_NSB_4plusIvEENSB_8equal_toIvEES6_EE10hipError_tPvRmT2_T3_T4_T5_mT6_T7_P12ihipStream_tbENKUlT_T0_E_clISt17integral_constantIbLb1EES12_IbLb0EEEEDaSY_SZ_EUlSY_E_NS1_11comp_targetILNS1_3genE10ELNS1_11target_archE1200ELNS1_3gpuE4ELNS1_3repE0EEENS1_30default_config_static_selectorELNS0_4arch9wavefront6targetE0EEEvT1_.numbered_sgpr, 0
	.set _ZN7rocprim17ROCPRIM_400000_NS6detail17trampoline_kernelINS0_14default_configENS1_27scan_by_key_config_selectorIj11FixedVectorIiLj8EEEEZZNS1_16scan_by_key_implILNS1_25lookback_scan_determinismE0ELb0ES3_N6thrust23THRUST_200600_302600_NS6detail15normal_iteratorINSB_10device_ptrIjEEEENSD_INSE_IS6_EEEESI_S6_NSB_4plusIvEENSB_8equal_toIvEES6_EE10hipError_tPvRmT2_T3_T4_T5_mT6_T7_P12ihipStream_tbENKUlT_T0_E_clISt17integral_constantIbLb1EES12_IbLb0EEEEDaSY_SZ_EUlSY_E_NS1_11comp_targetILNS1_3genE10ELNS1_11target_archE1200ELNS1_3gpuE4ELNS1_3repE0EEENS1_30default_config_static_selectorELNS0_4arch9wavefront6targetE0EEEvT1_.num_named_barrier, 0
	.set _ZN7rocprim17ROCPRIM_400000_NS6detail17trampoline_kernelINS0_14default_configENS1_27scan_by_key_config_selectorIj11FixedVectorIiLj8EEEEZZNS1_16scan_by_key_implILNS1_25lookback_scan_determinismE0ELb0ES3_N6thrust23THRUST_200600_302600_NS6detail15normal_iteratorINSB_10device_ptrIjEEEENSD_INSE_IS6_EEEESI_S6_NSB_4plusIvEENSB_8equal_toIvEES6_EE10hipError_tPvRmT2_T3_T4_T5_mT6_T7_P12ihipStream_tbENKUlT_T0_E_clISt17integral_constantIbLb1EES12_IbLb0EEEEDaSY_SZ_EUlSY_E_NS1_11comp_targetILNS1_3genE10ELNS1_11target_archE1200ELNS1_3gpuE4ELNS1_3repE0EEENS1_30default_config_static_selectorELNS0_4arch9wavefront6targetE0EEEvT1_.private_seg_size, 0
	.set _ZN7rocprim17ROCPRIM_400000_NS6detail17trampoline_kernelINS0_14default_configENS1_27scan_by_key_config_selectorIj11FixedVectorIiLj8EEEEZZNS1_16scan_by_key_implILNS1_25lookback_scan_determinismE0ELb0ES3_N6thrust23THRUST_200600_302600_NS6detail15normal_iteratorINSB_10device_ptrIjEEEENSD_INSE_IS6_EEEESI_S6_NSB_4plusIvEENSB_8equal_toIvEES6_EE10hipError_tPvRmT2_T3_T4_T5_mT6_T7_P12ihipStream_tbENKUlT_T0_E_clISt17integral_constantIbLb1EES12_IbLb0EEEEDaSY_SZ_EUlSY_E_NS1_11comp_targetILNS1_3genE10ELNS1_11target_archE1200ELNS1_3gpuE4ELNS1_3repE0EEENS1_30default_config_static_selectorELNS0_4arch9wavefront6targetE0EEEvT1_.uses_vcc, 0
	.set _ZN7rocprim17ROCPRIM_400000_NS6detail17trampoline_kernelINS0_14default_configENS1_27scan_by_key_config_selectorIj11FixedVectorIiLj8EEEEZZNS1_16scan_by_key_implILNS1_25lookback_scan_determinismE0ELb0ES3_N6thrust23THRUST_200600_302600_NS6detail15normal_iteratorINSB_10device_ptrIjEEEENSD_INSE_IS6_EEEESI_S6_NSB_4plusIvEENSB_8equal_toIvEES6_EE10hipError_tPvRmT2_T3_T4_T5_mT6_T7_P12ihipStream_tbENKUlT_T0_E_clISt17integral_constantIbLb1EES12_IbLb0EEEEDaSY_SZ_EUlSY_E_NS1_11comp_targetILNS1_3genE10ELNS1_11target_archE1200ELNS1_3gpuE4ELNS1_3repE0EEENS1_30default_config_static_selectorELNS0_4arch9wavefront6targetE0EEEvT1_.uses_flat_scratch, 0
	.set _ZN7rocprim17ROCPRIM_400000_NS6detail17trampoline_kernelINS0_14default_configENS1_27scan_by_key_config_selectorIj11FixedVectorIiLj8EEEEZZNS1_16scan_by_key_implILNS1_25lookback_scan_determinismE0ELb0ES3_N6thrust23THRUST_200600_302600_NS6detail15normal_iteratorINSB_10device_ptrIjEEEENSD_INSE_IS6_EEEESI_S6_NSB_4plusIvEENSB_8equal_toIvEES6_EE10hipError_tPvRmT2_T3_T4_T5_mT6_T7_P12ihipStream_tbENKUlT_T0_E_clISt17integral_constantIbLb1EES12_IbLb0EEEEDaSY_SZ_EUlSY_E_NS1_11comp_targetILNS1_3genE10ELNS1_11target_archE1200ELNS1_3gpuE4ELNS1_3repE0EEENS1_30default_config_static_selectorELNS0_4arch9wavefront6targetE0EEEvT1_.has_dyn_sized_stack, 0
	.set _ZN7rocprim17ROCPRIM_400000_NS6detail17trampoline_kernelINS0_14default_configENS1_27scan_by_key_config_selectorIj11FixedVectorIiLj8EEEEZZNS1_16scan_by_key_implILNS1_25lookback_scan_determinismE0ELb0ES3_N6thrust23THRUST_200600_302600_NS6detail15normal_iteratorINSB_10device_ptrIjEEEENSD_INSE_IS6_EEEESI_S6_NSB_4plusIvEENSB_8equal_toIvEES6_EE10hipError_tPvRmT2_T3_T4_T5_mT6_T7_P12ihipStream_tbENKUlT_T0_E_clISt17integral_constantIbLb1EES12_IbLb0EEEEDaSY_SZ_EUlSY_E_NS1_11comp_targetILNS1_3genE10ELNS1_11target_archE1200ELNS1_3gpuE4ELNS1_3repE0EEENS1_30default_config_static_selectorELNS0_4arch9wavefront6targetE0EEEvT1_.has_recursion, 0
	.set _ZN7rocprim17ROCPRIM_400000_NS6detail17trampoline_kernelINS0_14default_configENS1_27scan_by_key_config_selectorIj11FixedVectorIiLj8EEEEZZNS1_16scan_by_key_implILNS1_25lookback_scan_determinismE0ELb0ES3_N6thrust23THRUST_200600_302600_NS6detail15normal_iteratorINSB_10device_ptrIjEEEENSD_INSE_IS6_EEEESI_S6_NSB_4plusIvEENSB_8equal_toIvEES6_EE10hipError_tPvRmT2_T3_T4_T5_mT6_T7_P12ihipStream_tbENKUlT_T0_E_clISt17integral_constantIbLb1EES12_IbLb0EEEEDaSY_SZ_EUlSY_E_NS1_11comp_targetILNS1_3genE10ELNS1_11target_archE1200ELNS1_3gpuE4ELNS1_3repE0EEENS1_30default_config_static_selectorELNS0_4arch9wavefront6targetE0EEEvT1_.has_indirect_call, 0
	.section	.AMDGPU.csdata,"",@progbits
; Kernel info:
; codeLenInByte = 0
; TotalNumSgprs: 0
; NumVgprs: 0
; ScratchSize: 0
; MemoryBound: 0
; FloatMode: 240
; IeeeMode: 1
; LDSByteSize: 0 bytes/workgroup (compile time only)
; SGPRBlocks: 0
; VGPRBlocks: 0
; NumSGPRsForWavesPerEU: 1
; NumVGPRsForWavesPerEU: 1
; Occupancy: 16
; WaveLimiterHint : 0
; COMPUTE_PGM_RSRC2:SCRATCH_EN: 0
; COMPUTE_PGM_RSRC2:USER_SGPR: 6
; COMPUTE_PGM_RSRC2:TRAP_HANDLER: 0
; COMPUTE_PGM_RSRC2:TGID_X_EN: 1
; COMPUTE_PGM_RSRC2:TGID_Y_EN: 0
; COMPUTE_PGM_RSRC2:TGID_Z_EN: 0
; COMPUTE_PGM_RSRC2:TIDIG_COMP_CNT: 0
	.section	.text._ZN7rocprim17ROCPRIM_400000_NS6detail17trampoline_kernelINS0_14default_configENS1_27scan_by_key_config_selectorIj11FixedVectorIiLj8EEEEZZNS1_16scan_by_key_implILNS1_25lookback_scan_determinismE0ELb0ES3_N6thrust23THRUST_200600_302600_NS6detail15normal_iteratorINSB_10device_ptrIjEEEENSD_INSE_IS6_EEEESI_S6_NSB_4plusIvEENSB_8equal_toIvEES6_EE10hipError_tPvRmT2_T3_T4_T5_mT6_T7_P12ihipStream_tbENKUlT_T0_E_clISt17integral_constantIbLb1EES12_IbLb0EEEEDaSY_SZ_EUlSY_E_NS1_11comp_targetILNS1_3genE9ELNS1_11target_archE1100ELNS1_3gpuE3ELNS1_3repE0EEENS1_30default_config_static_selectorELNS0_4arch9wavefront6targetE0EEEvT1_,"axG",@progbits,_ZN7rocprim17ROCPRIM_400000_NS6detail17trampoline_kernelINS0_14default_configENS1_27scan_by_key_config_selectorIj11FixedVectorIiLj8EEEEZZNS1_16scan_by_key_implILNS1_25lookback_scan_determinismE0ELb0ES3_N6thrust23THRUST_200600_302600_NS6detail15normal_iteratorINSB_10device_ptrIjEEEENSD_INSE_IS6_EEEESI_S6_NSB_4plusIvEENSB_8equal_toIvEES6_EE10hipError_tPvRmT2_T3_T4_T5_mT6_T7_P12ihipStream_tbENKUlT_T0_E_clISt17integral_constantIbLb1EES12_IbLb0EEEEDaSY_SZ_EUlSY_E_NS1_11comp_targetILNS1_3genE9ELNS1_11target_archE1100ELNS1_3gpuE3ELNS1_3repE0EEENS1_30default_config_static_selectorELNS0_4arch9wavefront6targetE0EEEvT1_,comdat
	.protected	_ZN7rocprim17ROCPRIM_400000_NS6detail17trampoline_kernelINS0_14default_configENS1_27scan_by_key_config_selectorIj11FixedVectorIiLj8EEEEZZNS1_16scan_by_key_implILNS1_25lookback_scan_determinismE0ELb0ES3_N6thrust23THRUST_200600_302600_NS6detail15normal_iteratorINSB_10device_ptrIjEEEENSD_INSE_IS6_EEEESI_S6_NSB_4plusIvEENSB_8equal_toIvEES6_EE10hipError_tPvRmT2_T3_T4_T5_mT6_T7_P12ihipStream_tbENKUlT_T0_E_clISt17integral_constantIbLb1EES12_IbLb0EEEEDaSY_SZ_EUlSY_E_NS1_11comp_targetILNS1_3genE9ELNS1_11target_archE1100ELNS1_3gpuE3ELNS1_3repE0EEENS1_30default_config_static_selectorELNS0_4arch9wavefront6targetE0EEEvT1_ ; -- Begin function _ZN7rocprim17ROCPRIM_400000_NS6detail17trampoline_kernelINS0_14default_configENS1_27scan_by_key_config_selectorIj11FixedVectorIiLj8EEEEZZNS1_16scan_by_key_implILNS1_25lookback_scan_determinismE0ELb0ES3_N6thrust23THRUST_200600_302600_NS6detail15normal_iteratorINSB_10device_ptrIjEEEENSD_INSE_IS6_EEEESI_S6_NSB_4plusIvEENSB_8equal_toIvEES6_EE10hipError_tPvRmT2_T3_T4_T5_mT6_T7_P12ihipStream_tbENKUlT_T0_E_clISt17integral_constantIbLb1EES12_IbLb0EEEEDaSY_SZ_EUlSY_E_NS1_11comp_targetILNS1_3genE9ELNS1_11target_archE1100ELNS1_3gpuE3ELNS1_3repE0EEENS1_30default_config_static_selectorELNS0_4arch9wavefront6targetE0EEEvT1_
	.globl	_ZN7rocprim17ROCPRIM_400000_NS6detail17trampoline_kernelINS0_14default_configENS1_27scan_by_key_config_selectorIj11FixedVectorIiLj8EEEEZZNS1_16scan_by_key_implILNS1_25lookback_scan_determinismE0ELb0ES3_N6thrust23THRUST_200600_302600_NS6detail15normal_iteratorINSB_10device_ptrIjEEEENSD_INSE_IS6_EEEESI_S6_NSB_4plusIvEENSB_8equal_toIvEES6_EE10hipError_tPvRmT2_T3_T4_T5_mT6_T7_P12ihipStream_tbENKUlT_T0_E_clISt17integral_constantIbLb1EES12_IbLb0EEEEDaSY_SZ_EUlSY_E_NS1_11comp_targetILNS1_3genE9ELNS1_11target_archE1100ELNS1_3gpuE3ELNS1_3repE0EEENS1_30default_config_static_selectorELNS0_4arch9wavefront6targetE0EEEvT1_
	.p2align	8
	.type	_ZN7rocprim17ROCPRIM_400000_NS6detail17trampoline_kernelINS0_14default_configENS1_27scan_by_key_config_selectorIj11FixedVectorIiLj8EEEEZZNS1_16scan_by_key_implILNS1_25lookback_scan_determinismE0ELb0ES3_N6thrust23THRUST_200600_302600_NS6detail15normal_iteratorINSB_10device_ptrIjEEEENSD_INSE_IS6_EEEESI_S6_NSB_4plusIvEENSB_8equal_toIvEES6_EE10hipError_tPvRmT2_T3_T4_T5_mT6_T7_P12ihipStream_tbENKUlT_T0_E_clISt17integral_constantIbLb1EES12_IbLb0EEEEDaSY_SZ_EUlSY_E_NS1_11comp_targetILNS1_3genE9ELNS1_11target_archE1100ELNS1_3gpuE3ELNS1_3repE0EEENS1_30default_config_static_selectorELNS0_4arch9wavefront6targetE0EEEvT1_,@function
_ZN7rocprim17ROCPRIM_400000_NS6detail17trampoline_kernelINS0_14default_configENS1_27scan_by_key_config_selectorIj11FixedVectorIiLj8EEEEZZNS1_16scan_by_key_implILNS1_25lookback_scan_determinismE0ELb0ES3_N6thrust23THRUST_200600_302600_NS6detail15normal_iteratorINSB_10device_ptrIjEEEENSD_INSE_IS6_EEEESI_S6_NSB_4plusIvEENSB_8equal_toIvEES6_EE10hipError_tPvRmT2_T3_T4_T5_mT6_T7_P12ihipStream_tbENKUlT_T0_E_clISt17integral_constantIbLb1EES12_IbLb0EEEEDaSY_SZ_EUlSY_E_NS1_11comp_targetILNS1_3genE9ELNS1_11target_archE1100ELNS1_3gpuE3ELNS1_3repE0EEENS1_30default_config_static_selectorELNS0_4arch9wavefront6targetE0EEEvT1_: ; @_ZN7rocprim17ROCPRIM_400000_NS6detail17trampoline_kernelINS0_14default_configENS1_27scan_by_key_config_selectorIj11FixedVectorIiLj8EEEEZZNS1_16scan_by_key_implILNS1_25lookback_scan_determinismE0ELb0ES3_N6thrust23THRUST_200600_302600_NS6detail15normal_iteratorINSB_10device_ptrIjEEEENSD_INSE_IS6_EEEESI_S6_NSB_4plusIvEENSB_8equal_toIvEES6_EE10hipError_tPvRmT2_T3_T4_T5_mT6_T7_P12ihipStream_tbENKUlT_T0_E_clISt17integral_constantIbLb1EES12_IbLb0EEEEDaSY_SZ_EUlSY_E_NS1_11comp_targetILNS1_3genE9ELNS1_11target_archE1100ELNS1_3gpuE3ELNS1_3repE0EEENS1_30default_config_static_selectorELNS0_4arch9wavefront6targetE0EEEvT1_
; %bb.0:
	.section	.rodata,"a",@progbits
	.p2align	6, 0x0
	.amdhsa_kernel _ZN7rocprim17ROCPRIM_400000_NS6detail17trampoline_kernelINS0_14default_configENS1_27scan_by_key_config_selectorIj11FixedVectorIiLj8EEEEZZNS1_16scan_by_key_implILNS1_25lookback_scan_determinismE0ELb0ES3_N6thrust23THRUST_200600_302600_NS6detail15normal_iteratorINSB_10device_ptrIjEEEENSD_INSE_IS6_EEEESI_S6_NSB_4plusIvEENSB_8equal_toIvEES6_EE10hipError_tPvRmT2_T3_T4_T5_mT6_T7_P12ihipStream_tbENKUlT_T0_E_clISt17integral_constantIbLb1EES12_IbLb0EEEEDaSY_SZ_EUlSY_E_NS1_11comp_targetILNS1_3genE9ELNS1_11target_archE1100ELNS1_3gpuE3ELNS1_3repE0EEENS1_30default_config_static_selectorELNS0_4arch9wavefront6targetE0EEEvT1_
		.amdhsa_group_segment_fixed_size 0
		.amdhsa_private_segment_fixed_size 0
		.amdhsa_kernarg_size 160
		.amdhsa_user_sgpr_count 6
		.amdhsa_user_sgpr_private_segment_buffer 1
		.amdhsa_user_sgpr_dispatch_ptr 0
		.amdhsa_user_sgpr_queue_ptr 0
		.amdhsa_user_sgpr_kernarg_segment_ptr 1
		.amdhsa_user_sgpr_dispatch_id 0
		.amdhsa_user_sgpr_flat_scratch_init 0
		.amdhsa_user_sgpr_private_segment_size 0
		.amdhsa_wavefront_size32 1
		.amdhsa_uses_dynamic_stack 0
		.amdhsa_system_sgpr_private_segment_wavefront_offset 0
		.amdhsa_system_sgpr_workgroup_id_x 1
		.amdhsa_system_sgpr_workgroup_id_y 0
		.amdhsa_system_sgpr_workgroup_id_z 0
		.amdhsa_system_sgpr_workgroup_info 0
		.amdhsa_system_vgpr_workitem_id 0
		.amdhsa_next_free_vgpr 1
		.amdhsa_next_free_sgpr 1
		.amdhsa_reserve_vcc 0
		.amdhsa_reserve_flat_scratch 0
		.amdhsa_float_round_mode_32 0
		.amdhsa_float_round_mode_16_64 0
		.amdhsa_float_denorm_mode_32 3
		.amdhsa_float_denorm_mode_16_64 3
		.amdhsa_dx10_clamp 1
		.amdhsa_ieee_mode 1
		.amdhsa_fp16_overflow 0
		.amdhsa_workgroup_processor_mode 1
		.amdhsa_memory_ordered 1
		.amdhsa_forward_progress 1
		.amdhsa_shared_vgpr_count 0
		.amdhsa_exception_fp_ieee_invalid_op 0
		.amdhsa_exception_fp_denorm_src 0
		.amdhsa_exception_fp_ieee_div_zero 0
		.amdhsa_exception_fp_ieee_overflow 0
		.amdhsa_exception_fp_ieee_underflow 0
		.amdhsa_exception_fp_ieee_inexact 0
		.amdhsa_exception_int_div_zero 0
	.end_amdhsa_kernel
	.section	.text._ZN7rocprim17ROCPRIM_400000_NS6detail17trampoline_kernelINS0_14default_configENS1_27scan_by_key_config_selectorIj11FixedVectorIiLj8EEEEZZNS1_16scan_by_key_implILNS1_25lookback_scan_determinismE0ELb0ES3_N6thrust23THRUST_200600_302600_NS6detail15normal_iteratorINSB_10device_ptrIjEEEENSD_INSE_IS6_EEEESI_S6_NSB_4plusIvEENSB_8equal_toIvEES6_EE10hipError_tPvRmT2_T3_T4_T5_mT6_T7_P12ihipStream_tbENKUlT_T0_E_clISt17integral_constantIbLb1EES12_IbLb0EEEEDaSY_SZ_EUlSY_E_NS1_11comp_targetILNS1_3genE9ELNS1_11target_archE1100ELNS1_3gpuE3ELNS1_3repE0EEENS1_30default_config_static_selectorELNS0_4arch9wavefront6targetE0EEEvT1_,"axG",@progbits,_ZN7rocprim17ROCPRIM_400000_NS6detail17trampoline_kernelINS0_14default_configENS1_27scan_by_key_config_selectorIj11FixedVectorIiLj8EEEEZZNS1_16scan_by_key_implILNS1_25lookback_scan_determinismE0ELb0ES3_N6thrust23THRUST_200600_302600_NS6detail15normal_iteratorINSB_10device_ptrIjEEEENSD_INSE_IS6_EEEESI_S6_NSB_4plusIvEENSB_8equal_toIvEES6_EE10hipError_tPvRmT2_T3_T4_T5_mT6_T7_P12ihipStream_tbENKUlT_T0_E_clISt17integral_constantIbLb1EES12_IbLb0EEEEDaSY_SZ_EUlSY_E_NS1_11comp_targetILNS1_3genE9ELNS1_11target_archE1100ELNS1_3gpuE3ELNS1_3repE0EEENS1_30default_config_static_selectorELNS0_4arch9wavefront6targetE0EEEvT1_,comdat
.Lfunc_end2144:
	.size	_ZN7rocprim17ROCPRIM_400000_NS6detail17trampoline_kernelINS0_14default_configENS1_27scan_by_key_config_selectorIj11FixedVectorIiLj8EEEEZZNS1_16scan_by_key_implILNS1_25lookback_scan_determinismE0ELb0ES3_N6thrust23THRUST_200600_302600_NS6detail15normal_iteratorINSB_10device_ptrIjEEEENSD_INSE_IS6_EEEESI_S6_NSB_4plusIvEENSB_8equal_toIvEES6_EE10hipError_tPvRmT2_T3_T4_T5_mT6_T7_P12ihipStream_tbENKUlT_T0_E_clISt17integral_constantIbLb1EES12_IbLb0EEEEDaSY_SZ_EUlSY_E_NS1_11comp_targetILNS1_3genE9ELNS1_11target_archE1100ELNS1_3gpuE3ELNS1_3repE0EEENS1_30default_config_static_selectorELNS0_4arch9wavefront6targetE0EEEvT1_, .Lfunc_end2144-_ZN7rocprim17ROCPRIM_400000_NS6detail17trampoline_kernelINS0_14default_configENS1_27scan_by_key_config_selectorIj11FixedVectorIiLj8EEEEZZNS1_16scan_by_key_implILNS1_25lookback_scan_determinismE0ELb0ES3_N6thrust23THRUST_200600_302600_NS6detail15normal_iteratorINSB_10device_ptrIjEEEENSD_INSE_IS6_EEEESI_S6_NSB_4plusIvEENSB_8equal_toIvEES6_EE10hipError_tPvRmT2_T3_T4_T5_mT6_T7_P12ihipStream_tbENKUlT_T0_E_clISt17integral_constantIbLb1EES12_IbLb0EEEEDaSY_SZ_EUlSY_E_NS1_11comp_targetILNS1_3genE9ELNS1_11target_archE1100ELNS1_3gpuE3ELNS1_3repE0EEENS1_30default_config_static_selectorELNS0_4arch9wavefront6targetE0EEEvT1_
                                        ; -- End function
	.set _ZN7rocprim17ROCPRIM_400000_NS6detail17trampoline_kernelINS0_14default_configENS1_27scan_by_key_config_selectorIj11FixedVectorIiLj8EEEEZZNS1_16scan_by_key_implILNS1_25lookback_scan_determinismE0ELb0ES3_N6thrust23THRUST_200600_302600_NS6detail15normal_iteratorINSB_10device_ptrIjEEEENSD_INSE_IS6_EEEESI_S6_NSB_4plusIvEENSB_8equal_toIvEES6_EE10hipError_tPvRmT2_T3_T4_T5_mT6_T7_P12ihipStream_tbENKUlT_T0_E_clISt17integral_constantIbLb1EES12_IbLb0EEEEDaSY_SZ_EUlSY_E_NS1_11comp_targetILNS1_3genE9ELNS1_11target_archE1100ELNS1_3gpuE3ELNS1_3repE0EEENS1_30default_config_static_selectorELNS0_4arch9wavefront6targetE0EEEvT1_.num_vgpr, 0
	.set _ZN7rocprim17ROCPRIM_400000_NS6detail17trampoline_kernelINS0_14default_configENS1_27scan_by_key_config_selectorIj11FixedVectorIiLj8EEEEZZNS1_16scan_by_key_implILNS1_25lookback_scan_determinismE0ELb0ES3_N6thrust23THRUST_200600_302600_NS6detail15normal_iteratorINSB_10device_ptrIjEEEENSD_INSE_IS6_EEEESI_S6_NSB_4plusIvEENSB_8equal_toIvEES6_EE10hipError_tPvRmT2_T3_T4_T5_mT6_T7_P12ihipStream_tbENKUlT_T0_E_clISt17integral_constantIbLb1EES12_IbLb0EEEEDaSY_SZ_EUlSY_E_NS1_11comp_targetILNS1_3genE9ELNS1_11target_archE1100ELNS1_3gpuE3ELNS1_3repE0EEENS1_30default_config_static_selectorELNS0_4arch9wavefront6targetE0EEEvT1_.num_agpr, 0
	.set _ZN7rocprim17ROCPRIM_400000_NS6detail17trampoline_kernelINS0_14default_configENS1_27scan_by_key_config_selectorIj11FixedVectorIiLj8EEEEZZNS1_16scan_by_key_implILNS1_25lookback_scan_determinismE0ELb0ES3_N6thrust23THRUST_200600_302600_NS6detail15normal_iteratorINSB_10device_ptrIjEEEENSD_INSE_IS6_EEEESI_S6_NSB_4plusIvEENSB_8equal_toIvEES6_EE10hipError_tPvRmT2_T3_T4_T5_mT6_T7_P12ihipStream_tbENKUlT_T0_E_clISt17integral_constantIbLb1EES12_IbLb0EEEEDaSY_SZ_EUlSY_E_NS1_11comp_targetILNS1_3genE9ELNS1_11target_archE1100ELNS1_3gpuE3ELNS1_3repE0EEENS1_30default_config_static_selectorELNS0_4arch9wavefront6targetE0EEEvT1_.numbered_sgpr, 0
	.set _ZN7rocprim17ROCPRIM_400000_NS6detail17trampoline_kernelINS0_14default_configENS1_27scan_by_key_config_selectorIj11FixedVectorIiLj8EEEEZZNS1_16scan_by_key_implILNS1_25lookback_scan_determinismE0ELb0ES3_N6thrust23THRUST_200600_302600_NS6detail15normal_iteratorINSB_10device_ptrIjEEEENSD_INSE_IS6_EEEESI_S6_NSB_4plusIvEENSB_8equal_toIvEES6_EE10hipError_tPvRmT2_T3_T4_T5_mT6_T7_P12ihipStream_tbENKUlT_T0_E_clISt17integral_constantIbLb1EES12_IbLb0EEEEDaSY_SZ_EUlSY_E_NS1_11comp_targetILNS1_3genE9ELNS1_11target_archE1100ELNS1_3gpuE3ELNS1_3repE0EEENS1_30default_config_static_selectorELNS0_4arch9wavefront6targetE0EEEvT1_.num_named_barrier, 0
	.set _ZN7rocprim17ROCPRIM_400000_NS6detail17trampoline_kernelINS0_14default_configENS1_27scan_by_key_config_selectorIj11FixedVectorIiLj8EEEEZZNS1_16scan_by_key_implILNS1_25lookback_scan_determinismE0ELb0ES3_N6thrust23THRUST_200600_302600_NS6detail15normal_iteratorINSB_10device_ptrIjEEEENSD_INSE_IS6_EEEESI_S6_NSB_4plusIvEENSB_8equal_toIvEES6_EE10hipError_tPvRmT2_T3_T4_T5_mT6_T7_P12ihipStream_tbENKUlT_T0_E_clISt17integral_constantIbLb1EES12_IbLb0EEEEDaSY_SZ_EUlSY_E_NS1_11comp_targetILNS1_3genE9ELNS1_11target_archE1100ELNS1_3gpuE3ELNS1_3repE0EEENS1_30default_config_static_selectorELNS0_4arch9wavefront6targetE0EEEvT1_.private_seg_size, 0
	.set _ZN7rocprim17ROCPRIM_400000_NS6detail17trampoline_kernelINS0_14default_configENS1_27scan_by_key_config_selectorIj11FixedVectorIiLj8EEEEZZNS1_16scan_by_key_implILNS1_25lookback_scan_determinismE0ELb0ES3_N6thrust23THRUST_200600_302600_NS6detail15normal_iteratorINSB_10device_ptrIjEEEENSD_INSE_IS6_EEEESI_S6_NSB_4plusIvEENSB_8equal_toIvEES6_EE10hipError_tPvRmT2_T3_T4_T5_mT6_T7_P12ihipStream_tbENKUlT_T0_E_clISt17integral_constantIbLb1EES12_IbLb0EEEEDaSY_SZ_EUlSY_E_NS1_11comp_targetILNS1_3genE9ELNS1_11target_archE1100ELNS1_3gpuE3ELNS1_3repE0EEENS1_30default_config_static_selectorELNS0_4arch9wavefront6targetE0EEEvT1_.uses_vcc, 0
	.set _ZN7rocprim17ROCPRIM_400000_NS6detail17trampoline_kernelINS0_14default_configENS1_27scan_by_key_config_selectorIj11FixedVectorIiLj8EEEEZZNS1_16scan_by_key_implILNS1_25lookback_scan_determinismE0ELb0ES3_N6thrust23THRUST_200600_302600_NS6detail15normal_iteratorINSB_10device_ptrIjEEEENSD_INSE_IS6_EEEESI_S6_NSB_4plusIvEENSB_8equal_toIvEES6_EE10hipError_tPvRmT2_T3_T4_T5_mT6_T7_P12ihipStream_tbENKUlT_T0_E_clISt17integral_constantIbLb1EES12_IbLb0EEEEDaSY_SZ_EUlSY_E_NS1_11comp_targetILNS1_3genE9ELNS1_11target_archE1100ELNS1_3gpuE3ELNS1_3repE0EEENS1_30default_config_static_selectorELNS0_4arch9wavefront6targetE0EEEvT1_.uses_flat_scratch, 0
	.set _ZN7rocprim17ROCPRIM_400000_NS6detail17trampoline_kernelINS0_14default_configENS1_27scan_by_key_config_selectorIj11FixedVectorIiLj8EEEEZZNS1_16scan_by_key_implILNS1_25lookback_scan_determinismE0ELb0ES3_N6thrust23THRUST_200600_302600_NS6detail15normal_iteratorINSB_10device_ptrIjEEEENSD_INSE_IS6_EEEESI_S6_NSB_4plusIvEENSB_8equal_toIvEES6_EE10hipError_tPvRmT2_T3_T4_T5_mT6_T7_P12ihipStream_tbENKUlT_T0_E_clISt17integral_constantIbLb1EES12_IbLb0EEEEDaSY_SZ_EUlSY_E_NS1_11comp_targetILNS1_3genE9ELNS1_11target_archE1100ELNS1_3gpuE3ELNS1_3repE0EEENS1_30default_config_static_selectorELNS0_4arch9wavefront6targetE0EEEvT1_.has_dyn_sized_stack, 0
	.set _ZN7rocprim17ROCPRIM_400000_NS6detail17trampoline_kernelINS0_14default_configENS1_27scan_by_key_config_selectorIj11FixedVectorIiLj8EEEEZZNS1_16scan_by_key_implILNS1_25lookback_scan_determinismE0ELb0ES3_N6thrust23THRUST_200600_302600_NS6detail15normal_iteratorINSB_10device_ptrIjEEEENSD_INSE_IS6_EEEESI_S6_NSB_4plusIvEENSB_8equal_toIvEES6_EE10hipError_tPvRmT2_T3_T4_T5_mT6_T7_P12ihipStream_tbENKUlT_T0_E_clISt17integral_constantIbLb1EES12_IbLb0EEEEDaSY_SZ_EUlSY_E_NS1_11comp_targetILNS1_3genE9ELNS1_11target_archE1100ELNS1_3gpuE3ELNS1_3repE0EEENS1_30default_config_static_selectorELNS0_4arch9wavefront6targetE0EEEvT1_.has_recursion, 0
	.set _ZN7rocprim17ROCPRIM_400000_NS6detail17trampoline_kernelINS0_14default_configENS1_27scan_by_key_config_selectorIj11FixedVectorIiLj8EEEEZZNS1_16scan_by_key_implILNS1_25lookback_scan_determinismE0ELb0ES3_N6thrust23THRUST_200600_302600_NS6detail15normal_iteratorINSB_10device_ptrIjEEEENSD_INSE_IS6_EEEESI_S6_NSB_4plusIvEENSB_8equal_toIvEES6_EE10hipError_tPvRmT2_T3_T4_T5_mT6_T7_P12ihipStream_tbENKUlT_T0_E_clISt17integral_constantIbLb1EES12_IbLb0EEEEDaSY_SZ_EUlSY_E_NS1_11comp_targetILNS1_3genE9ELNS1_11target_archE1100ELNS1_3gpuE3ELNS1_3repE0EEENS1_30default_config_static_selectorELNS0_4arch9wavefront6targetE0EEEvT1_.has_indirect_call, 0
	.section	.AMDGPU.csdata,"",@progbits
; Kernel info:
; codeLenInByte = 0
; TotalNumSgprs: 0
; NumVgprs: 0
; ScratchSize: 0
; MemoryBound: 0
; FloatMode: 240
; IeeeMode: 1
; LDSByteSize: 0 bytes/workgroup (compile time only)
; SGPRBlocks: 0
; VGPRBlocks: 0
; NumSGPRsForWavesPerEU: 1
; NumVGPRsForWavesPerEU: 1
; Occupancy: 16
; WaveLimiterHint : 0
; COMPUTE_PGM_RSRC2:SCRATCH_EN: 0
; COMPUTE_PGM_RSRC2:USER_SGPR: 6
; COMPUTE_PGM_RSRC2:TRAP_HANDLER: 0
; COMPUTE_PGM_RSRC2:TGID_X_EN: 1
; COMPUTE_PGM_RSRC2:TGID_Y_EN: 0
; COMPUTE_PGM_RSRC2:TGID_Z_EN: 0
; COMPUTE_PGM_RSRC2:TIDIG_COMP_CNT: 0
	.section	.text._ZN7rocprim17ROCPRIM_400000_NS6detail17trampoline_kernelINS0_14default_configENS1_27scan_by_key_config_selectorIj11FixedVectorIiLj8EEEEZZNS1_16scan_by_key_implILNS1_25lookback_scan_determinismE0ELb0ES3_N6thrust23THRUST_200600_302600_NS6detail15normal_iteratorINSB_10device_ptrIjEEEENSD_INSE_IS6_EEEESI_S6_NSB_4plusIvEENSB_8equal_toIvEES6_EE10hipError_tPvRmT2_T3_T4_T5_mT6_T7_P12ihipStream_tbENKUlT_T0_E_clISt17integral_constantIbLb1EES12_IbLb0EEEEDaSY_SZ_EUlSY_E_NS1_11comp_targetILNS1_3genE8ELNS1_11target_archE1030ELNS1_3gpuE2ELNS1_3repE0EEENS1_30default_config_static_selectorELNS0_4arch9wavefront6targetE0EEEvT1_,"axG",@progbits,_ZN7rocprim17ROCPRIM_400000_NS6detail17trampoline_kernelINS0_14default_configENS1_27scan_by_key_config_selectorIj11FixedVectorIiLj8EEEEZZNS1_16scan_by_key_implILNS1_25lookback_scan_determinismE0ELb0ES3_N6thrust23THRUST_200600_302600_NS6detail15normal_iteratorINSB_10device_ptrIjEEEENSD_INSE_IS6_EEEESI_S6_NSB_4plusIvEENSB_8equal_toIvEES6_EE10hipError_tPvRmT2_T3_T4_T5_mT6_T7_P12ihipStream_tbENKUlT_T0_E_clISt17integral_constantIbLb1EES12_IbLb0EEEEDaSY_SZ_EUlSY_E_NS1_11comp_targetILNS1_3genE8ELNS1_11target_archE1030ELNS1_3gpuE2ELNS1_3repE0EEENS1_30default_config_static_selectorELNS0_4arch9wavefront6targetE0EEEvT1_,comdat
	.protected	_ZN7rocprim17ROCPRIM_400000_NS6detail17trampoline_kernelINS0_14default_configENS1_27scan_by_key_config_selectorIj11FixedVectorIiLj8EEEEZZNS1_16scan_by_key_implILNS1_25lookback_scan_determinismE0ELb0ES3_N6thrust23THRUST_200600_302600_NS6detail15normal_iteratorINSB_10device_ptrIjEEEENSD_INSE_IS6_EEEESI_S6_NSB_4plusIvEENSB_8equal_toIvEES6_EE10hipError_tPvRmT2_T3_T4_T5_mT6_T7_P12ihipStream_tbENKUlT_T0_E_clISt17integral_constantIbLb1EES12_IbLb0EEEEDaSY_SZ_EUlSY_E_NS1_11comp_targetILNS1_3genE8ELNS1_11target_archE1030ELNS1_3gpuE2ELNS1_3repE0EEENS1_30default_config_static_selectorELNS0_4arch9wavefront6targetE0EEEvT1_ ; -- Begin function _ZN7rocprim17ROCPRIM_400000_NS6detail17trampoline_kernelINS0_14default_configENS1_27scan_by_key_config_selectorIj11FixedVectorIiLj8EEEEZZNS1_16scan_by_key_implILNS1_25lookback_scan_determinismE0ELb0ES3_N6thrust23THRUST_200600_302600_NS6detail15normal_iteratorINSB_10device_ptrIjEEEENSD_INSE_IS6_EEEESI_S6_NSB_4plusIvEENSB_8equal_toIvEES6_EE10hipError_tPvRmT2_T3_T4_T5_mT6_T7_P12ihipStream_tbENKUlT_T0_E_clISt17integral_constantIbLb1EES12_IbLb0EEEEDaSY_SZ_EUlSY_E_NS1_11comp_targetILNS1_3genE8ELNS1_11target_archE1030ELNS1_3gpuE2ELNS1_3repE0EEENS1_30default_config_static_selectorELNS0_4arch9wavefront6targetE0EEEvT1_
	.globl	_ZN7rocprim17ROCPRIM_400000_NS6detail17trampoline_kernelINS0_14default_configENS1_27scan_by_key_config_selectorIj11FixedVectorIiLj8EEEEZZNS1_16scan_by_key_implILNS1_25lookback_scan_determinismE0ELb0ES3_N6thrust23THRUST_200600_302600_NS6detail15normal_iteratorINSB_10device_ptrIjEEEENSD_INSE_IS6_EEEESI_S6_NSB_4plusIvEENSB_8equal_toIvEES6_EE10hipError_tPvRmT2_T3_T4_T5_mT6_T7_P12ihipStream_tbENKUlT_T0_E_clISt17integral_constantIbLb1EES12_IbLb0EEEEDaSY_SZ_EUlSY_E_NS1_11comp_targetILNS1_3genE8ELNS1_11target_archE1030ELNS1_3gpuE2ELNS1_3repE0EEENS1_30default_config_static_selectorELNS0_4arch9wavefront6targetE0EEEvT1_
	.p2align	8
	.type	_ZN7rocprim17ROCPRIM_400000_NS6detail17trampoline_kernelINS0_14default_configENS1_27scan_by_key_config_selectorIj11FixedVectorIiLj8EEEEZZNS1_16scan_by_key_implILNS1_25lookback_scan_determinismE0ELb0ES3_N6thrust23THRUST_200600_302600_NS6detail15normal_iteratorINSB_10device_ptrIjEEEENSD_INSE_IS6_EEEESI_S6_NSB_4plusIvEENSB_8equal_toIvEES6_EE10hipError_tPvRmT2_T3_T4_T5_mT6_T7_P12ihipStream_tbENKUlT_T0_E_clISt17integral_constantIbLb1EES12_IbLb0EEEEDaSY_SZ_EUlSY_E_NS1_11comp_targetILNS1_3genE8ELNS1_11target_archE1030ELNS1_3gpuE2ELNS1_3repE0EEENS1_30default_config_static_selectorELNS0_4arch9wavefront6targetE0EEEvT1_,@function
_ZN7rocprim17ROCPRIM_400000_NS6detail17trampoline_kernelINS0_14default_configENS1_27scan_by_key_config_selectorIj11FixedVectorIiLj8EEEEZZNS1_16scan_by_key_implILNS1_25lookback_scan_determinismE0ELb0ES3_N6thrust23THRUST_200600_302600_NS6detail15normal_iteratorINSB_10device_ptrIjEEEENSD_INSE_IS6_EEEESI_S6_NSB_4plusIvEENSB_8equal_toIvEES6_EE10hipError_tPvRmT2_T3_T4_T5_mT6_T7_P12ihipStream_tbENKUlT_T0_E_clISt17integral_constantIbLb1EES12_IbLb0EEEEDaSY_SZ_EUlSY_E_NS1_11comp_targetILNS1_3genE8ELNS1_11target_archE1030ELNS1_3gpuE2ELNS1_3repE0EEENS1_30default_config_static_selectorELNS0_4arch9wavefront6targetE0EEEvT1_: ; @_ZN7rocprim17ROCPRIM_400000_NS6detail17trampoline_kernelINS0_14default_configENS1_27scan_by_key_config_selectorIj11FixedVectorIiLj8EEEEZZNS1_16scan_by_key_implILNS1_25lookback_scan_determinismE0ELb0ES3_N6thrust23THRUST_200600_302600_NS6detail15normal_iteratorINSB_10device_ptrIjEEEENSD_INSE_IS6_EEEESI_S6_NSB_4plusIvEENSB_8equal_toIvEES6_EE10hipError_tPvRmT2_T3_T4_T5_mT6_T7_P12ihipStream_tbENKUlT_T0_E_clISt17integral_constantIbLb1EES12_IbLb0EEEEDaSY_SZ_EUlSY_E_NS1_11comp_targetILNS1_3genE8ELNS1_11target_archE1030ELNS1_3gpuE2ELNS1_3repE0EEENS1_30default_config_static_selectorELNS0_4arch9wavefront6targetE0EEEvT1_
; %bb.0:
	s_endpgm
	.section	.rodata,"a",@progbits
	.p2align	6, 0x0
	.amdhsa_kernel _ZN7rocprim17ROCPRIM_400000_NS6detail17trampoline_kernelINS0_14default_configENS1_27scan_by_key_config_selectorIj11FixedVectorIiLj8EEEEZZNS1_16scan_by_key_implILNS1_25lookback_scan_determinismE0ELb0ES3_N6thrust23THRUST_200600_302600_NS6detail15normal_iteratorINSB_10device_ptrIjEEEENSD_INSE_IS6_EEEESI_S6_NSB_4plusIvEENSB_8equal_toIvEES6_EE10hipError_tPvRmT2_T3_T4_T5_mT6_T7_P12ihipStream_tbENKUlT_T0_E_clISt17integral_constantIbLb1EES12_IbLb0EEEEDaSY_SZ_EUlSY_E_NS1_11comp_targetILNS1_3genE8ELNS1_11target_archE1030ELNS1_3gpuE2ELNS1_3repE0EEENS1_30default_config_static_selectorELNS0_4arch9wavefront6targetE0EEEvT1_
		.amdhsa_group_segment_fixed_size 0
		.amdhsa_private_segment_fixed_size 0
		.amdhsa_kernarg_size 160
		.amdhsa_user_sgpr_count 6
		.amdhsa_user_sgpr_private_segment_buffer 1
		.amdhsa_user_sgpr_dispatch_ptr 0
		.amdhsa_user_sgpr_queue_ptr 0
		.amdhsa_user_sgpr_kernarg_segment_ptr 1
		.amdhsa_user_sgpr_dispatch_id 0
		.amdhsa_user_sgpr_flat_scratch_init 0
		.amdhsa_user_sgpr_private_segment_size 0
		.amdhsa_wavefront_size32 1
		.amdhsa_uses_dynamic_stack 0
		.amdhsa_system_sgpr_private_segment_wavefront_offset 0
		.amdhsa_system_sgpr_workgroup_id_x 1
		.amdhsa_system_sgpr_workgroup_id_y 0
		.amdhsa_system_sgpr_workgroup_id_z 0
		.amdhsa_system_sgpr_workgroup_info 0
		.amdhsa_system_vgpr_workitem_id 0
		.amdhsa_next_free_vgpr 1
		.amdhsa_next_free_sgpr 1
		.amdhsa_reserve_vcc 0
		.amdhsa_reserve_flat_scratch 0
		.amdhsa_float_round_mode_32 0
		.amdhsa_float_round_mode_16_64 0
		.amdhsa_float_denorm_mode_32 3
		.amdhsa_float_denorm_mode_16_64 3
		.amdhsa_dx10_clamp 1
		.amdhsa_ieee_mode 1
		.amdhsa_fp16_overflow 0
		.amdhsa_workgroup_processor_mode 1
		.amdhsa_memory_ordered 1
		.amdhsa_forward_progress 1
		.amdhsa_shared_vgpr_count 0
		.amdhsa_exception_fp_ieee_invalid_op 0
		.amdhsa_exception_fp_denorm_src 0
		.amdhsa_exception_fp_ieee_div_zero 0
		.amdhsa_exception_fp_ieee_overflow 0
		.amdhsa_exception_fp_ieee_underflow 0
		.amdhsa_exception_fp_ieee_inexact 0
		.amdhsa_exception_int_div_zero 0
	.end_amdhsa_kernel
	.section	.text._ZN7rocprim17ROCPRIM_400000_NS6detail17trampoline_kernelINS0_14default_configENS1_27scan_by_key_config_selectorIj11FixedVectorIiLj8EEEEZZNS1_16scan_by_key_implILNS1_25lookback_scan_determinismE0ELb0ES3_N6thrust23THRUST_200600_302600_NS6detail15normal_iteratorINSB_10device_ptrIjEEEENSD_INSE_IS6_EEEESI_S6_NSB_4plusIvEENSB_8equal_toIvEES6_EE10hipError_tPvRmT2_T3_T4_T5_mT6_T7_P12ihipStream_tbENKUlT_T0_E_clISt17integral_constantIbLb1EES12_IbLb0EEEEDaSY_SZ_EUlSY_E_NS1_11comp_targetILNS1_3genE8ELNS1_11target_archE1030ELNS1_3gpuE2ELNS1_3repE0EEENS1_30default_config_static_selectorELNS0_4arch9wavefront6targetE0EEEvT1_,"axG",@progbits,_ZN7rocprim17ROCPRIM_400000_NS6detail17trampoline_kernelINS0_14default_configENS1_27scan_by_key_config_selectorIj11FixedVectorIiLj8EEEEZZNS1_16scan_by_key_implILNS1_25lookback_scan_determinismE0ELb0ES3_N6thrust23THRUST_200600_302600_NS6detail15normal_iteratorINSB_10device_ptrIjEEEENSD_INSE_IS6_EEEESI_S6_NSB_4plusIvEENSB_8equal_toIvEES6_EE10hipError_tPvRmT2_T3_T4_T5_mT6_T7_P12ihipStream_tbENKUlT_T0_E_clISt17integral_constantIbLb1EES12_IbLb0EEEEDaSY_SZ_EUlSY_E_NS1_11comp_targetILNS1_3genE8ELNS1_11target_archE1030ELNS1_3gpuE2ELNS1_3repE0EEENS1_30default_config_static_selectorELNS0_4arch9wavefront6targetE0EEEvT1_,comdat
.Lfunc_end2145:
	.size	_ZN7rocprim17ROCPRIM_400000_NS6detail17trampoline_kernelINS0_14default_configENS1_27scan_by_key_config_selectorIj11FixedVectorIiLj8EEEEZZNS1_16scan_by_key_implILNS1_25lookback_scan_determinismE0ELb0ES3_N6thrust23THRUST_200600_302600_NS6detail15normal_iteratorINSB_10device_ptrIjEEEENSD_INSE_IS6_EEEESI_S6_NSB_4plusIvEENSB_8equal_toIvEES6_EE10hipError_tPvRmT2_T3_T4_T5_mT6_T7_P12ihipStream_tbENKUlT_T0_E_clISt17integral_constantIbLb1EES12_IbLb0EEEEDaSY_SZ_EUlSY_E_NS1_11comp_targetILNS1_3genE8ELNS1_11target_archE1030ELNS1_3gpuE2ELNS1_3repE0EEENS1_30default_config_static_selectorELNS0_4arch9wavefront6targetE0EEEvT1_, .Lfunc_end2145-_ZN7rocprim17ROCPRIM_400000_NS6detail17trampoline_kernelINS0_14default_configENS1_27scan_by_key_config_selectorIj11FixedVectorIiLj8EEEEZZNS1_16scan_by_key_implILNS1_25lookback_scan_determinismE0ELb0ES3_N6thrust23THRUST_200600_302600_NS6detail15normal_iteratorINSB_10device_ptrIjEEEENSD_INSE_IS6_EEEESI_S6_NSB_4plusIvEENSB_8equal_toIvEES6_EE10hipError_tPvRmT2_T3_T4_T5_mT6_T7_P12ihipStream_tbENKUlT_T0_E_clISt17integral_constantIbLb1EES12_IbLb0EEEEDaSY_SZ_EUlSY_E_NS1_11comp_targetILNS1_3genE8ELNS1_11target_archE1030ELNS1_3gpuE2ELNS1_3repE0EEENS1_30default_config_static_selectorELNS0_4arch9wavefront6targetE0EEEvT1_
                                        ; -- End function
	.set _ZN7rocprim17ROCPRIM_400000_NS6detail17trampoline_kernelINS0_14default_configENS1_27scan_by_key_config_selectorIj11FixedVectorIiLj8EEEEZZNS1_16scan_by_key_implILNS1_25lookback_scan_determinismE0ELb0ES3_N6thrust23THRUST_200600_302600_NS6detail15normal_iteratorINSB_10device_ptrIjEEEENSD_INSE_IS6_EEEESI_S6_NSB_4plusIvEENSB_8equal_toIvEES6_EE10hipError_tPvRmT2_T3_T4_T5_mT6_T7_P12ihipStream_tbENKUlT_T0_E_clISt17integral_constantIbLb1EES12_IbLb0EEEEDaSY_SZ_EUlSY_E_NS1_11comp_targetILNS1_3genE8ELNS1_11target_archE1030ELNS1_3gpuE2ELNS1_3repE0EEENS1_30default_config_static_selectorELNS0_4arch9wavefront6targetE0EEEvT1_.num_vgpr, 0
	.set _ZN7rocprim17ROCPRIM_400000_NS6detail17trampoline_kernelINS0_14default_configENS1_27scan_by_key_config_selectorIj11FixedVectorIiLj8EEEEZZNS1_16scan_by_key_implILNS1_25lookback_scan_determinismE0ELb0ES3_N6thrust23THRUST_200600_302600_NS6detail15normal_iteratorINSB_10device_ptrIjEEEENSD_INSE_IS6_EEEESI_S6_NSB_4plusIvEENSB_8equal_toIvEES6_EE10hipError_tPvRmT2_T3_T4_T5_mT6_T7_P12ihipStream_tbENKUlT_T0_E_clISt17integral_constantIbLb1EES12_IbLb0EEEEDaSY_SZ_EUlSY_E_NS1_11comp_targetILNS1_3genE8ELNS1_11target_archE1030ELNS1_3gpuE2ELNS1_3repE0EEENS1_30default_config_static_selectorELNS0_4arch9wavefront6targetE0EEEvT1_.num_agpr, 0
	.set _ZN7rocprim17ROCPRIM_400000_NS6detail17trampoline_kernelINS0_14default_configENS1_27scan_by_key_config_selectorIj11FixedVectorIiLj8EEEEZZNS1_16scan_by_key_implILNS1_25lookback_scan_determinismE0ELb0ES3_N6thrust23THRUST_200600_302600_NS6detail15normal_iteratorINSB_10device_ptrIjEEEENSD_INSE_IS6_EEEESI_S6_NSB_4plusIvEENSB_8equal_toIvEES6_EE10hipError_tPvRmT2_T3_T4_T5_mT6_T7_P12ihipStream_tbENKUlT_T0_E_clISt17integral_constantIbLb1EES12_IbLb0EEEEDaSY_SZ_EUlSY_E_NS1_11comp_targetILNS1_3genE8ELNS1_11target_archE1030ELNS1_3gpuE2ELNS1_3repE0EEENS1_30default_config_static_selectorELNS0_4arch9wavefront6targetE0EEEvT1_.numbered_sgpr, 0
	.set _ZN7rocprim17ROCPRIM_400000_NS6detail17trampoline_kernelINS0_14default_configENS1_27scan_by_key_config_selectorIj11FixedVectorIiLj8EEEEZZNS1_16scan_by_key_implILNS1_25lookback_scan_determinismE0ELb0ES3_N6thrust23THRUST_200600_302600_NS6detail15normal_iteratorINSB_10device_ptrIjEEEENSD_INSE_IS6_EEEESI_S6_NSB_4plusIvEENSB_8equal_toIvEES6_EE10hipError_tPvRmT2_T3_T4_T5_mT6_T7_P12ihipStream_tbENKUlT_T0_E_clISt17integral_constantIbLb1EES12_IbLb0EEEEDaSY_SZ_EUlSY_E_NS1_11comp_targetILNS1_3genE8ELNS1_11target_archE1030ELNS1_3gpuE2ELNS1_3repE0EEENS1_30default_config_static_selectorELNS0_4arch9wavefront6targetE0EEEvT1_.num_named_barrier, 0
	.set _ZN7rocprim17ROCPRIM_400000_NS6detail17trampoline_kernelINS0_14default_configENS1_27scan_by_key_config_selectorIj11FixedVectorIiLj8EEEEZZNS1_16scan_by_key_implILNS1_25lookback_scan_determinismE0ELb0ES3_N6thrust23THRUST_200600_302600_NS6detail15normal_iteratorINSB_10device_ptrIjEEEENSD_INSE_IS6_EEEESI_S6_NSB_4plusIvEENSB_8equal_toIvEES6_EE10hipError_tPvRmT2_T3_T4_T5_mT6_T7_P12ihipStream_tbENKUlT_T0_E_clISt17integral_constantIbLb1EES12_IbLb0EEEEDaSY_SZ_EUlSY_E_NS1_11comp_targetILNS1_3genE8ELNS1_11target_archE1030ELNS1_3gpuE2ELNS1_3repE0EEENS1_30default_config_static_selectorELNS0_4arch9wavefront6targetE0EEEvT1_.private_seg_size, 0
	.set _ZN7rocprim17ROCPRIM_400000_NS6detail17trampoline_kernelINS0_14default_configENS1_27scan_by_key_config_selectorIj11FixedVectorIiLj8EEEEZZNS1_16scan_by_key_implILNS1_25lookback_scan_determinismE0ELb0ES3_N6thrust23THRUST_200600_302600_NS6detail15normal_iteratorINSB_10device_ptrIjEEEENSD_INSE_IS6_EEEESI_S6_NSB_4plusIvEENSB_8equal_toIvEES6_EE10hipError_tPvRmT2_T3_T4_T5_mT6_T7_P12ihipStream_tbENKUlT_T0_E_clISt17integral_constantIbLb1EES12_IbLb0EEEEDaSY_SZ_EUlSY_E_NS1_11comp_targetILNS1_3genE8ELNS1_11target_archE1030ELNS1_3gpuE2ELNS1_3repE0EEENS1_30default_config_static_selectorELNS0_4arch9wavefront6targetE0EEEvT1_.uses_vcc, 0
	.set _ZN7rocprim17ROCPRIM_400000_NS6detail17trampoline_kernelINS0_14default_configENS1_27scan_by_key_config_selectorIj11FixedVectorIiLj8EEEEZZNS1_16scan_by_key_implILNS1_25lookback_scan_determinismE0ELb0ES3_N6thrust23THRUST_200600_302600_NS6detail15normal_iteratorINSB_10device_ptrIjEEEENSD_INSE_IS6_EEEESI_S6_NSB_4plusIvEENSB_8equal_toIvEES6_EE10hipError_tPvRmT2_T3_T4_T5_mT6_T7_P12ihipStream_tbENKUlT_T0_E_clISt17integral_constantIbLb1EES12_IbLb0EEEEDaSY_SZ_EUlSY_E_NS1_11comp_targetILNS1_3genE8ELNS1_11target_archE1030ELNS1_3gpuE2ELNS1_3repE0EEENS1_30default_config_static_selectorELNS0_4arch9wavefront6targetE0EEEvT1_.uses_flat_scratch, 0
	.set _ZN7rocprim17ROCPRIM_400000_NS6detail17trampoline_kernelINS0_14default_configENS1_27scan_by_key_config_selectorIj11FixedVectorIiLj8EEEEZZNS1_16scan_by_key_implILNS1_25lookback_scan_determinismE0ELb0ES3_N6thrust23THRUST_200600_302600_NS6detail15normal_iteratorINSB_10device_ptrIjEEEENSD_INSE_IS6_EEEESI_S6_NSB_4plusIvEENSB_8equal_toIvEES6_EE10hipError_tPvRmT2_T3_T4_T5_mT6_T7_P12ihipStream_tbENKUlT_T0_E_clISt17integral_constantIbLb1EES12_IbLb0EEEEDaSY_SZ_EUlSY_E_NS1_11comp_targetILNS1_3genE8ELNS1_11target_archE1030ELNS1_3gpuE2ELNS1_3repE0EEENS1_30default_config_static_selectorELNS0_4arch9wavefront6targetE0EEEvT1_.has_dyn_sized_stack, 0
	.set _ZN7rocprim17ROCPRIM_400000_NS6detail17trampoline_kernelINS0_14default_configENS1_27scan_by_key_config_selectorIj11FixedVectorIiLj8EEEEZZNS1_16scan_by_key_implILNS1_25lookback_scan_determinismE0ELb0ES3_N6thrust23THRUST_200600_302600_NS6detail15normal_iteratorINSB_10device_ptrIjEEEENSD_INSE_IS6_EEEESI_S6_NSB_4plusIvEENSB_8equal_toIvEES6_EE10hipError_tPvRmT2_T3_T4_T5_mT6_T7_P12ihipStream_tbENKUlT_T0_E_clISt17integral_constantIbLb1EES12_IbLb0EEEEDaSY_SZ_EUlSY_E_NS1_11comp_targetILNS1_3genE8ELNS1_11target_archE1030ELNS1_3gpuE2ELNS1_3repE0EEENS1_30default_config_static_selectorELNS0_4arch9wavefront6targetE0EEEvT1_.has_recursion, 0
	.set _ZN7rocprim17ROCPRIM_400000_NS6detail17trampoline_kernelINS0_14default_configENS1_27scan_by_key_config_selectorIj11FixedVectorIiLj8EEEEZZNS1_16scan_by_key_implILNS1_25lookback_scan_determinismE0ELb0ES3_N6thrust23THRUST_200600_302600_NS6detail15normal_iteratorINSB_10device_ptrIjEEEENSD_INSE_IS6_EEEESI_S6_NSB_4plusIvEENSB_8equal_toIvEES6_EE10hipError_tPvRmT2_T3_T4_T5_mT6_T7_P12ihipStream_tbENKUlT_T0_E_clISt17integral_constantIbLb1EES12_IbLb0EEEEDaSY_SZ_EUlSY_E_NS1_11comp_targetILNS1_3genE8ELNS1_11target_archE1030ELNS1_3gpuE2ELNS1_3repE0EEENS1_30default_config_static_selectorELNS0_4arch9wavefront6targetE0EEEvT1_.has_indirect_call, 0
	.section	.AMDGPU.csdata,"",@progbits
; Kernel info:
; codeLenInByte = 4
; TotalNumSgprs: 0
; NumVgprs: 0
; ScratchSize: 0
; MemoryBound: 0
; FloatMode: 240
; IeeeMode: 1
; LDSByteSize: 0 bytes/workgroup (compile time only)
; SGPRBlocks: 0
; VGPRBlocks: 0
; NumSGPRsForWavesPerEU: 1
; NumVGPRsForWavesPerEU: 1
; Occupancy: 16
; WaveLimiterHint : 0
; COMPUTE_PGM_RSRC2:SCRATCH_EN: 0
; COMPUTE_PGM_RSRC2:USER_SGPR: 6
; COMPUTE_PGM_RSRC2:TRAP_HANDLER: 0
; COMPUTE_PGM_RSRC2:TGID_X_EN: 1
; COMPUTE_PGM_RSRC2:TGID_Y_EN: 0
; COMPUTE_PGM_RSRC2:TGID_Z_EN: 0
; COMPUTE_PGM_RSRC2:TIDIG_COMP_CNT: 0
	.section	.text._ZN7rocprim17ROCPRIM_400000_NS6detail30init_device_scan_by_key_kernelINS1_19lookback_scan_stateINS0_5tupleIJ11FixedVectorIiLj8EEbEEELb0ELb0EEEN6thrust23THRUST_200600_302600_NS6detail15normal_iteratorINSA_10device_ptrIjEEEEjNS1_16block_id_wrapperIjLb1EEEEEvT_jjPNSI_10value_typeET0_PNSt15iterator_traitsISL_E10value_typeEmT1_T2_,"axG",@progbits,_ZN7rocprim17ROCPRIM_400000_NS6detail30init_device_scan_by_key_kernelINS1_19lookback_scan_stateINS0_5tupleIJ11FixedVectorIiLj8EEbEEELb0ELb0EEEN6thrust23THRUST_200600_302600_NS6detail15normal_iteratorINSA_10device_ptrIjEEEEjNS1_16block_id_wrapperIjLb1EEEEEvT_jjPNSI_10value_typeET0_PNSt15iterator_traitsISL_E10value_typeEmT1_T2_,comdat
	.protected	_ZN7rocprim17ROCPRIM_400000_NS6detail30init_device_scan_by_key_kernelINS1_19lookback_scan_stateINS0_5tupleIJ11FixedVectorIiLj8EEbEEELb0ELb0EEEN6thrust23THRUST_200600_302600_NS6detail15normal_iteratorINSA_10device_ptrIjEEEEjNS1_16block_id_wrapperIjLb1EEEEEvT_jjPNSI_10value_typeET0_PNSt15iterator_traitsISL_E10value_typeEmT1_T2_ ; -- Begin function _ZN7rocprim17ROCPRIM_400000_NS6detail30init_device_scan_by_key_kernelINS1_19lookback_scan_stateINS0_5tupleIJ11FixedVectorIiLj8EEbEEELb0ELb0EEEN6thrust23THRUST_200600_302600_NS6detail15normal_iteratorINSA_10device_ptrIjEEEEjNS1_16block_id_wrapperIjLb1EEEEEvT_jjPNSI_10value_typeET0_PNSt15iterator_traitsISL_E10value_typeEmT1_T2_
	.globl	_ZN7rocprim17ROCPRIM_400000_NS6detail30init_device_scan_by_key_kernelINS1_19lookback_scan_stateINS0_5tupleIJ11FixedVectorIiLj8EEbEEELb0ELb0EEEN6thrust23THRUST_200600_302600_NS6detail15normal_iteratorINSA_10device_ptrIjEEEEjNS1_16block_id_wrapperIjLb1EEEEEvT_jjPNSI_10value_typeET0_PNSt15iterator_traitsISL_E10value_typeEmT1_T2_
	.p2align	8
	.type	_ZN7rocprim17ROCPRIM_400000_NS6detail30init_device_scan_by_key_kernelINS1_19lookback_scan_stateINS0_5tupleIJ11FixedVectorIiLj8EEbEEELb0ELb0EEEN6thrust23THRUST_200600_302600_NS6detail15normal_iteratorINSA_10device_ptrIjEEEEjNS1_16block_id_wrapperIjLb1EEEEEvT_jjPNSI_10value_typeET0_PNSt15iterator_traitsISL_E10value_typeEmT1_T2_,@function
_ZN7rocprim17ROCPRIM_400000_NS6detail30init_device_scan_by_key_kernelINS1_19lookback_scan_stateINS0_5tupleIJ11FixedVectorIiLj8EEbEEELb0ELb0EEEN6thrust23THRUST_200600_302600_NS6detail15normal_iteratorINSA_10device_ptrIjEEEEjNS1_16block_id_wrapperIjLb1EEEEEvT_jjPNSI_10value_typeET0_PNSt15iterator_traitsISL_E10value_typeEmT1_T2_: ; @_ZN7rocprim17ROCPRIM_400000_NS6detail30init_device_scan_by_key_kernelINS1_19lookback_scan_stateINS0_5tupleIJ11FixedVectorIiLj8EEbEEELb0ELb0EEEN6thrust23THRUST_200600_302600_NS6detail15normal_iteratorINSA_10device_ptrIjEEEEjNS1_16block_id_wrapperIjLb1EEEEEvT_jjPNSI_10value_typeET0_PNSt15iterator_traitsISL_E10value_typeEmT1_T2_
; %bb.0:
	s_clause 0x2
	s_load_dword s0, s[6:7], 0x5c
	s_load_dwordx8 s[12:19], s[6:7], 0x10
	s_load_dword s9, s[6:7], 0x50
	s_waitcnt lgkmcnt(0)
	s_and_b32 s10, s0, 0xffff
	s_cmp_eq_u64 s[16:17], 0
	v_mad_u64_u32 v[3:4], null, s8, s10, v[0:1]
	s_cbranch_scc1 .LBB2146_8
; %bb.1:
	s_cmp_lt_u32 s15, s14
	s_mov_b32 s11, 0
	s_cselect_b32 s0, s15, 0
	s_mov_b32 s8, exec_lo
	v_cmpx_eq_u32_e64 s0, v3
	s_cbranch_execz .LBB2146_7
; %bb.2:
	s_load_dwordx2 s[0:1], s[4:5], 0x4
	s_waitcnt lgkmcnt(0)
	s_lshr_b32 s0, s0, 16
	v_mul_u32_u24_e32 v1, s1, v1
	s_mul_i32 s0, s0, s1
	v_mul_lo_u32 v0, s0, v0
	s_load_dwordx4 s[0:3], s[6:7], 0x0
	v_add3_u32 v0, v0, v1, v2
	v_mov_b32_e32 v1, 0
	v_mul_lo_u32 v0, v0, 36
	ds_write2_b32 v0, v1, v1 offset0:6 offset1:7
	ds_write2_b32 v0, v1, v1 offset0:4 offset1:5
	;; [unrolled: 1-line block ×3, first 2 shown]
	ds_write2_b32 v0, v1, v1 offset1:1
	ds_write_b32 v0, v1 offset:32
.LBB2146_3:                             ; =>This Inner Loop Header: Depth=1
	v_add_nc_u32_e32 v2, s11, v0
	s_add_i32 s11, s11, 4
	s_cmp_lg_u32 s11, 32
	ds_write_b32 v2, v1
	s_cbranch_scc1 .LBB2146_3
; %bb.4:
	s_add_i32 s11, s15, 32
	v_mov_b32_e32 v1, 0
	v_mov_b32_e32 v2, s11
	s_add_u32 s4, s12, s11
	s_addc_u32 s5, s13, 0
	ds_write_b8 v0, v1 offset:32
	global_load_ubyte v2, v2, s[12:13] glc dlc
	s_waitcnt vmcnt(0)
	v_cmp_ne_u32_sdwa s20, v2, v1 src0_sel:WORD_0 src1_sel:DWORD
	v_readfirstlane_b32 s15, v2
	s_and_b32 vcc_lo, exec_lo, s20
	s_cbranch_vccnz .LBB2146_6
.LBB2146_5:                             ; =>This Inner Loop Header: Depth=1
	global_load_ubyte v2, v1, s[4:5] glc dlc
	s_waitcnt vmcnt(0)
	v_cmp_eq_u32_sdwa s20, v2, v1 src0_sel:WORD_0 src1_sel:DWORD
	v_readfirstlane_b32 s15, v2
	s_and_b32 vcc_lo, exec_lo, s20
	s_cbranch_vccnz .LBB2146_5
.LBB2146_6:
	s_and_b32 s4, 0xffff, s15
	v_mov_b32_e32 v1, 0
	s_cmp_eq_u32 s4, 1
	s_mul_i32 s4, s11, 36
	s_waitcnt lgkmcnt(0)
	s_cselect_b32 s0, s0, s2
	s_cselect_b32 s1, s1, s3
	s_mul_hi_u32 s2, s11, 36
	s_add_u32 s0, s0, s4
	s_addc_u32 s1, s1, s2
	buffer_gl1_inv
	buffer_gl0_inv
	s_clause 0x2
	global_load_dwordx4 v[4:7], v1, s[0:1]
	global_load_dwordx4 v[8:11], v1, s[0:1] offset:16
	global_load_ubyte v2, v1, s[0:1] offset:32
	s_waitcnt vmcnt(2)
	ds_write2_b32 v0, v4, v5 offset1:1
	ds_write2_b32 v0, v6, v7 offset0:2 offset1:3
	s_waitcnt vmcnt(1)
	ds_write2_b32 v0, v8, v9 offset0:4 offset1:5
	ds_write2_b32 v0, v10, v11 offset0:6 offset1:7
	global_store_dwordx4 v1, v[4:7], s[16:17]
	global_store_dwordx4 v1, v[8:11], s[16:17] offset:16
	s_waitcnt vmcnt(0)
	global_store_byte v1, v2, s[16:17] offset:32
.LBB2146_7:
	s_or_b32 exec_lo, exec_lo, s8
.LBB2146_8:
	s_mov_b32 s0, exec_lo
	v_cmpx_eq_u32_e32 0, v3
	s_cbranch_execz .LBB2146_10
; %bb.9:
	s_load_dwordx2 s[2:3], s[6:7], 0x48
	v_mov_b32_e32 v0, 0
	s_waitcnt lgkmcnt(0)
	global_store_dword v0, v0, s[2:3]
.LBB2146_10:
	s_or_b32 exec_lo, exec_lo, s0
	s_mov_b32 s0, exec_lo
	v_cmpx_gt_u32_e64 s14, v3
	s_cbranch_execz .LBB2146_12
; %bb.11:
	v_add_nc_u32_e32 v0, 32, v3
	v_mov_b32_e32 v1, 0
	global_store_byte v0, v1, s[12:13]
.LBB2146_12:
	s_or_b32 exec_lo, exec_lo, s0
	v_mov_b32_e32 v4, 0
	s_mov_b32 s0, exec_lo
	v_cmpx_gt_u32_e32 32, v3
	s_cbranch_execz .LBB2146_14
; %bb.13:
	v_add_co_u32 v0, s1, s12, v3
	v_add_co_ci_u32_e64 v1, null, s13, 0, s1
	v_mov_b32_e32 v2, 0xff
	global_store_byte v[0:1], v2, off
.LBB2146_14:
	s_or_b32 exec_lo, exec_lo, s0
	s_load_dwordx2 s[2:3], s[6:7], 0x38
	s_mov_b32 s0, exec_lo
	s_waitcnt lgkmcnt(0)
	v_cmpx_gt_u64_e64 s[2:3], v[3:4]
	s_cbranch_execz .LBB2146_17
; %bb.15:
	s_clause 0x1
	s_load_dword s5, s[6:7], 0x40
	s_load_dwordx2 s[6:7], s[6:7], 0x30
	s_mov_b32 s1, 0
	s_mul_i32 s4, s9, s10
	v_lshlrev_b64 v[5:6], 2, v[3:4]
	s_waitcnt lgkmcnt(0)
	v_mad_u64_u32 v[0:1], null, s5, v3, 0
	s_add_i32 s0, s5, -1
	s_mul_hi_u32 s9, s5, s4
	s_lshl_b64 s[10:11], s[0:1], 2
	s_mul_i32 s8, s5, s4
	s_add_u32 s0, s18, s10
	s_addc_u32 s5, s19, s11
	v_lshlrev_b64 v[0:1], 2, v[0:1]
	v_add_co_u32 v0, vcc_lo, s0, v0
	v_add_co_ci_u32_e64 v1, null, s5, v1, vcc_lo
	v_add_co_u32 v5, vcc_lo, s6, v5
	v_add_co_ci_u32_e64 v6, null, s7, v6, vcc_lo
	s_mov_b32 s5, s1
	s_lshl_b64 s[6:7], s[8:9], 2
	s_lshl_b64 s[8:9], s[4:5], 2
	.p2align	6
.LBB2146_16:                            ; =>This Inner Loop Header: Depth=1
	global_load_dword v2, v[0:1], off
	v_add_co_u32 v3, vcc_lo, v3, s4
	v_add_co_ci_u32_e64 v4, null, 0, v4, vcc_lo
	v_add_co_u32 v0, vcc_lo, v0, s6
	v_add_co_ci_u32_e64 v1, null, s7, v1, vcc_lo
	v_cmp_le_u64_e32 vcc_lo, s[2:3], v[3:4]
	s_or_b32 s1, vcc_lo, s1
	s_waitcnt vmcnt(0)
	global_store_dword v[5:6], v2, off
	v_add_co_u32 v5, s0, v5, s8
	v_add_co_ci_u32_e64 v6, null, s9, v6, s0
	s_andn2_b32 exec_lo, exec_lo, s1
	s_cbranch_execnz .LBB2146_16
.LBB2146_17:
	s_endpgm
	.section	.rodata,"a",@progbits
	.p2align	6, 0x0
	.amdhsa_kernel _ZN7rocprim17ROCPRIM_400000_NS6detail30init_device_scan_by_key_kernelINS1_19lookback_scan_stateINS0_5tupleIJ11FixedVectorIiLj8EEbEEELb0ELb0EEEN6thrust23THRUST_200600_302600_NS6detail15normal_iteratorINSA_10device_ptrIjEEEEjNS1_16block_id_wrapperIjLb1EEEEEvT_jjPNSI_10value_typeET0_PNSt15iterator_traitsISL_E10value_typeEmT1_T2_
		.amdhsa_group_segment_fixed_size 9216
		.amdhsa_private_segment_fixed_size 0
		.amdhsa_kernarg_size 336
		.amdhsa_user_sgpr_count 8
		.amdhsa_user_sgpr_private_segment_buffer 1
		.amdhsa_user_sgpr_dispatch_ptr 1
		.amdhsa_user_sgpr_queue_ptr 0
		.amdhsa_user_sgpr_kernarg_segment_ptr 1
		.amdhsa_user_sgpr_dispatch_id 0
		.amdhsa_user_sgpr_flat_scratch_init 0
		.amdhsa_user_sgpr_private_segment_size 0
		.amdhsa_wavefront_size32 1
		.amdhsa_uses_dynamic_stack 0
		.amdhsa_system_sgpr_private_segment_wavefront_offset 0
		.amdhsa_system_sgpr_workgroup_id_x 1
		.amdhsa_system_sgpr_workgroup_id_y 0
		.amdhsa_system_sgpr_workgroup_id_z 0
		.amdhsa_system_sgpr_workgroup_info 0
		.amdhsa_system_vgpr_workitem_id 2
		.amdhsa_next_free_vgpr 12
		.amdhsa_next_free_sgpr 21
		.amdhsa_reserve_vcc 1
		.amdhsa_reserve_flat_scratch 0
		.amdhsa_float_round_mode_32 0
		.amdhsa_float_round_mode_16_64 0
		.amdhsa_float_denorm_mode_32 3
		.amdhsa_float_denorm_mode_16_64 3
		.amdhsa_dx10_clamp 1
		.amdhsa_ieee_mode 1
		.amdhsa_fp16_overflow 0
		.amdhsa_workgroup_processor_mode 1
		.amdhsa_memory_ordered 1
		.amdhsa_forward_progress 1
		.amdhsa_shared_vgpr_count 0
		.amdhsa_exception_fp_ieee_invalid_op 0
		.amdhsa_exception_fp_denorm_src 0
		.amdhsa_exception_fp_ieee_div_zero 0
		.amdhsa_exception_fp_ieee_overflow 0
		.amdhsa_exception_fp_ieee_underflow 0
		.amdhsa_exception_fp_ieee_inexact 0
		.amdhsa_exception_int_div_zero 0
	.end_amdhsa_kernel
	.section	.text._ZN7rocprim17ROCPRIM_400000_NS6detail30init_device_scan_by_key_kernelINS1_19lookback_scan_stateINS0_5tupleIJ11FixedVectorIiLj8EEbEEELb0ELb0EEEN6thrust23THRUST_200600_302600_NS6detail15normal_iteratorINSA_10device_ptrIjEEEEjNS1_16block_id_wrapperIjLb1EEEEEvT_jjPNSI_10value_typeET0_PNSt15iterator_traitsISL_E10value_typeEmT1_T2_,"axG",@progbits,_ZN7rocprim17ROCPRIM_400000_NS6detail30init_device_scan_by_key_kernelINS1_19lookback_scan_stateINS0_5tupleIJ11FixedVectorIiLj8EEbEEELb0ELb0EEEN6thrust23THRUST_200600_302600_NS6detail15normal_iteratorINSA_10device_ptrIjEEEEjNS1_16block_id_wrapperIjLb1EEEEEvT_jjPNSI_10value_typeET0_PNSt15iterator_traitsISL_E10value_typeEmT1_T2_,comdat
.Lfunc_end2146:
	.size	_ZN7rocprim17ROCPRIM_400000_NS6detail30init_device_scan_by_key_kernelINS1_19lookback_scan_stateINS0_5tupleIJ11FixedVectorIiLj8EEbEEELb0ELb0EEEN6thrust23THRUST_200600_302600_NS6detail15normal_iteratorINSA_10device_ptrIjEEEEjNS1_16block_id_wrapperIjLb1EEEEEvT_jjPNSI_10value_typeET0_PNSt15iterator_traitsISL_E10value_typeEmT1_T2_, .Lfunc_end2146-_ZN7rocprim17ROCPRIM_400000_NS6detail30init_device_scan_by_key_kernelINS1_19lookback_scan_stateINS0_5tupleIJ11FixedVectorIiLj8EEbEEELb0ELb0EEEN6thrust23THRUST_200600_302600_NS6detail15normal_iteratorINSA_10device_ptrIjEEEEjNS1_16block_id_wrapperIjLb1EEEEEvT_jjPNSI_10value_typeET0_PNSt15iterator_traitsISL_E10value_typeEmT1_T2_
                                        ; -- End function
	.set _ZN7rocprim17ROCPRIM_400000_NS6detail30init_device_scan_by_key_kernelINS1_19lookback_scan_stateINS0_5tupleIJ11FixedVectorIiLj8EEbEEELb0ELb0EEEN6thrust23THRUST_200600_302600_NS6detail15normal_iteratorINSA_10device_ptrIjEEEEjNS1_16block_id_wrapperIjLb1EEEEEvT_jjPNSI_10value_typeET0_PNSt15iterator_traitsISL_E10value_typeEmT1_T2_.num_vgpr, 12
	.set _ZN7rocprim17ROCPRIM_400000_NS6detail30init_device_scan_by_key_kernelINS1_19lookback_scan_stateINS0_5tupleIJ11FixedVectorIiLj8EEbEEELb0ELb0EEEN6thrust23THRUST_200600_302600_NS6detail15normal_iteratorINSA_10device_ptrIjEEEEjNS1_16block_id_wrapperIjLb1EEEEEvT_jjPNSI_10value_typeET0_PNSt15iterator_traitsISL_E10value_typeEmT1_T2_.num_agpr, 0
	.set _ZN7rocprim17ROCPRIM_400000_NS6detail30init_device_scan_by_key_kernelINS1_19lookback_scan_stateINS0_5tupleIJ11FixedVectorIiLj8EEbEEELb0ELb0EEEN6thrust23THRUST_200600_302600_NS6detail15normal_iteratorINSA_10device_ptrIjEEEEjNS1_16block_id_wrapperIjLb1EEEEEvT_jjPNSI_10value_typeET0_PNSt15iterator_traitsISL_E10value_typeEmT1_T2_.numbered_sgpr, 21
	.set _ZN7rocprim17ROCPRIM_400000_NS6detail30init_device_scan_by_key_kernelINS1_19lookback_scan_stateINS0_5tupleIJ11FixedVectorIiLj8EEbEEELb0ELb0EEEN6thrust23THRUST_200600_302600_NS6detail15normal_iteratorINSA_10device_ptrIjEEEEjNS1_16block_id_wrapperIjLb1EEEEEvT_jjPNSI_10value_typeET0_PNSt15iterator_traitsISL_E10value_typeEmT1_T2_.num_named_barrier, 0
	.set _ZN7rocprim17ROCPRIM_400000_NS6detail30init_device_scan_by_key_kernelINS1_19lookback_scan_stateINS0_5tupleIJ11FixedVectorIiLj8EEbEEELb0ELb0EEEN6thrust23THRUST_200600_302600_NS6detail15normal_iteratorINSA_10device_ptrIjEEEEjNS1_16block_id_wrapperIjLb1EEEEEvT_jjPNSI_10value_typeET0_PNSt15iterator_traitsISL_E10value_typeEmT1_T2_.private_seg_size, 0
	.set _ZN7rocprim17ROCPRIM_400000_NS6detail30init_device_scan_by_key_kernelINS1_19lookback_scan_stateINS0_5tupleIJ11FixedVectorIiLj8EEbEEELb0ELb0EEEN6thrust23THRUST_200600_302600_NS6detail15normal_iteratorINSA_10device_ptrIjEEEEjNS1_16block_id_wrapperIjLb1EEEEEvT_jjPNSI_10value_typeET0_PNSt15iterator_traitsISL_E10value_typeEmT1_T2_.uses_vcc, 1
	.set _ZN7rocprim17ROCPRIM_400000_NS6detail30init_device_scan_by_key_kernelINS1_19lookback_scan_stateINS0_5tupleIJ11FixedVectorIiLj8EEbEEELb0ELb0EEEN6thrust23THRUST_200600_302600_NS6detail15normal_iteratorINSA_10device_ptrIjEEEEjNS1_16block_id_wrapperIjLb1EEEEEvT_jjPNSI_10value_typeET0_PNSt15iterator_traitsISL_E10value_typeEmT1_T2_.uses_flat_scratch, 0
	.set _ZN7rocprim17ROCPRIM_400000_NS6detail30init_device_scan_by_key_kernelINS1_19lookback_scan_stateINS0_5tupleIJ11FixedVectorIiLj8EEbEEELb0ELb0EEEN6thrust23THRUST_200600_302600_NS6detail15normal_iteratorINSA_10device_ptrIjEEEEjNS1_16block_id_wrapperIjLb1EEEEEvT_jjPNSI_10value_typeET0_PNSt15iterator_traitsISL_E10value_typeEmT1_T2_.has_dyn_sized_stack, 0
	.set _ZN7rocprim17ROCPRIM_400000_NS6detail30init_device_scan_by_key_kernelINS1_19lookback_scan_stateINS0_5tupleIJ11FixedVectorIiLj8EEbEEELb0ELb0EEEN6thrust23THRUST_200600_302600_NS6detail15normal_iteratorINSA_10device_ptrIjEEEEjNS1_16block_id_wrapperIjLb1EEEEEvT_jjPNSI_10value_typeET0_PNSt15iterator_traitsISL_E10value_typeEmT1_T2_.has_recursion, 0
	.set _ZN7rocprim17ROCPRIM_400000_NS6detail30init_device_scan_by_key_kernelINS1_19lookback_scan_stateINS0_5tupleIJ11FixedVectorIiLj8EEbEEELb0ELb0EEEN6thrust23THRUST_200600_302600_NS6detail15normal_iteratorINSA_10device_ptrIjEEEEjNS1_16block_id_wrapperIjLb1EEEEEvT_jjPNSI_10value_typeET0_PNSt15iterator_traitsISL_E10value_typeEmT1_T2_.has_indirect_call, 0
	.section	.AMDGPU.csdata,"",@progbits
; Kernel info:
; codeLenInByte = 856
; TotalNumSgprs: 23
; NumVgprs: 12
; ScratchSize: 0
; MemoryBound: 0
; FloatMode: 240
; IeeeMode: 1
; LDSByteSize: 9216 bytes/workgroup (compile time only)
; SGPRBlocks: 0
; VGPRBlocks: 1
; NumSGPRsForWavesPerEU: 23
; NumVGPRsForWavesPerEU: 12
; Occupancy: 16
; WaveLimiterHint : 0
; COMPUTE_PGM_RSRC2:SCRATCH_EN: 0
; COMPUTE_PGM_RSRC2:USER_SGPR: 8
; COMPUTE_PGM_RSRC2:TRAP_HANDLER: 0
; COMPUTE_PGM_RSRC2:TGID_X_EN: 1
; COMPUTE_PGM_RSRC2:TGID_Y_EN: 0
; COMPUTE_PGM_RSRC2:TGID_Z_EN: 0
; COMPUTE_PGM_RSRC2:TIDIG_COMP_CNT: 2
	.section	.text._ZN7rocprim17ROCPRIM_400000_NS6detail30init_device_scan_by_key_kernelINS1_19lookback_scan_stateINS0_5tupleIJ11FixedVectorIiLj8EEbEEELb0ELb0EEENS1_16block_id_wrapperIjLb1EEEEEvT_jjPNSB_10value_typeET0_,"axG",@progbits,_ZN7rocprim17ROCPRIM_400000_NS6detail30init_device_scan_by_key_kernelINS1_19lookback_scan_stateINS0_5tupleIJ11FixedVectorIiLj8EEbEEELb0ELb0EEENS1_16block_id_wrapperIjLb1EEEEEvT_jjPNSB_10value_typeET0_,comdat
	.protected	_ZN7rocprim17ROCPRIM_400000_NS6detail30init_device_scan_by_key_kernelINS1_19lookback_scan_stateINS0_5tupleIJ11FixedVectorIiLj8EEbEEELb0ELb0EEENS1_16block_id_wrapperIjLb1EEEEEvT_jjPNSB_10value_typeET0_ ; -- Begin function _ZN7rocprim17ROCPRIM_400000_NS6detail30init_device_scan_by_key_kernelINS1_19lookback_scan_stateINS0_5tupleIJ11FixedVectorIiLj8EEbEEELb0ELb0EEENS1_16block_id_wrapperIjLb1EEEEEvT_jjPNSB_10value_typeET0_
	.globl	_ZN7rocprim17ROCPRIM_400000_NS6detail30init_device_scan_by_key_kernelINS1_19lookback_scan_stateINS0_5tupleIJ11FixedVectorIiLj8EEbEEELb0ELb0EEENS1_16block_id_wrapperIjLb1EEEEEvT_jjPNSB_10value_typeET0_
	.p2align	8
	.type	_ZN7rocprim17ROCPRIM_400000_NS6detail30init_device_scan_by_key_kernelINS1_19lookback_scan_stateINS0_5tupleIJ11FixedVectorIiLj8EEbEEELb0ELb0EEENS1_16block_id_wrapperIjLb1EEEEEvT_jjPNSB_10value_typeET0_,@function
_ZN7rocprim17ROCPRIM_400000_NS6detail30init_device_scan_by_key_kernelINS1_19lookback_scan_stateINS0_5tupleIJ11FixedVectorIiLj8EEbEEELb0ELb0EEENS1_16block_id_wrapperIjLb1EEEEEvT_jjPNSB_10value_typeET0_: ; @_ZN7rocprim17ROCPRIM_400000_NS6detail30init_device_scan_by_key_kernelINS1_19lookback_scan_stateINS0_5tupleIJ11FixedVectorIiLj8EEbEEELb0ELb0EEENS1_16block_id_wrapperIjLb1EEEEEvT_jjPNSB_10value_typeET0_
; %bb.0:
	s_clause 0x1
	s_load_dword s0, s[6:7], 0x3c
	s_load_dwordx8 s[12:19], s[6:7], 0x10
	s_waitcnt lgkmcnt(0)
	s_and_b32 s0, s0, 0xffff
	s_cmp_eq_u64 s[16:17], 0
	v_mad_u64_u32 v[3:4], null, s8, s0, v[0:1]
	s_cbranch_scc1 .LBB2147_8
; %bb.1:
	s_cmp_lt_u32 s15, s14
	s_mov_b32 s9, 0
	s_cselect_b32 s0, s15, 0
	s_mov_b32 s8, exec_lo
	v_cmpx_eq_u32_e64 s0, v3
	s_cbranch_execz .LBB2147_7
; %bb.2:
	s_load_dwordx2 s[0:1], s[4:5], 0x4
	s_waitcnt lgkmcnt(0)
	s_lshr_b32 s0, s0, 16
	v_mul_u32_u24_e32 v1, s1, v1
	s_mul_i32 s0, s0, s1
	v_mul_lo_u32 v0, s0, v0
	s_load_dwordx4 s[0:3], s[6:7], 0x0
	v_add3_u32 v0, v0, v1, v2
	v_mov_b32_e32 v1, 0
	v_mul_lo_u32 v0, v0, 36
	ds_write2_b32 v0, v1, v1 offset0:6 offset1:7
	ds_write2_b32 v0, v1, v1 offset0:4 offset1:5
	;; [unrolled: 1-line block ×3, first 2 shown]
	ds_write2_b32 v0, v1, v1 offset1:1
	ds_write_b32 v0, v1 offset:32
.LBB2147_3:                             ; =>This Inner Loop Header: Depth=1
	v_add_nc_u32_e32 v2, s9, v0
	s_add_i32 s9, s9, 4
	s_cmp_lg_u32 s9, 32
	ds_write_b32 v2, v1
	s_cbranch_scc1 .LBB2147_3
; %bb.4:
	s_add_i32 s6, s15, 32
	v_mov_b32_e32 v1, 0
	v_mov_b32_e32 v2, s6
	s_add_u32 s4, s12, s6
	s_addc_u32 s5, s13, 0
	ds_write_b8 v0, v1 offset:32
	global_load_ubyte v2, v2, s[12:13] glc dlc
	s_waitcnt vmcnt(0)
	v_cmp_ne_u32_sdwa s9, v2, v1 src0_sel:WORD_0 src1_sel:DWORD
	v_readfirstlane_b32 s7, v2
	s_and_b32 vcc_lo, exec_lo, s9
	s_cbranch_vccnz .LBB2147_6
.LBB2147_5:                             ; =>This Inner Loop Header: Depth=1
	global_load_ubyte v2, v1, s[4:5] glc dlc
	s_waitcnt vmcnt(0)
	v_cmp_eq_u32_sdwa s9, v2, v1 src0_sel:WORD_0 src1_sel:DWORD
	v_readfirstlane_b32 s7, v2
	s_and_b32 vcc_lo, exec_lo, s9
	s_cbranch_vccnz .LBB2147_5
.LBB2147_6:
	s_and_b32 s4, 0xffff, s7
	v_mov_b32_e32 v1, 0
	s_cmp_eq_u32 s4, 1
	s_mul_i32 s4, s6, 36
	s_waitcnt lgkmcnt(0)
	s_cselect_b32 s0, s0, s2
	s_cselect_b32 s1, s1, s3
	s_mul_hi_u32 s2, s6, 36
	s_add_u32 s0, s0, s4
	s_addc_u32 s1, s1, s2
	buffer_gl1_inv
	buffer_gl0_inv
	s_clause 0x2
	global_load_dwordx4 v[4:7], v1, s[0:1]
	global_load_dwordx4 v[8:11], v1, s[0:1] offset:16
	global_load_ubyte v2, v1, s[0:1] offset:32
	s_waitcnt vmcnt(2)
	ds_write2_b32 v0, v4, v5 offset1:1
	ds_write2_b32 v0, v6, v7 offset0:2 offset1:3
	s_waitcnt vmcnt(1)
	ds_write2_b32 v0, v8, v9 offset0:4 offset1:5
	ds_write2_b32 v0, v10, v11 offset0:6 offset1:7
	global_store_dwordx4 v1, v[4:7], s[16:17]
	global_store_dwordx4 v1, v[8:11], s[16:17] offset:16
	s_waitcnt vmcnt(0)
	global_store_byte v1, v2, s[16:17] offset:32
.LBB2147_7:
	s_or_b32 exec_lo, exec_lo, s8
.LBB2147_8:
	s_mov_b32 s0, exec_lo
	v_cmpx_eq_u32_e32 0, v3
	s_cbranch_execz .LBB2147_10
; %bb.9:
	v_mov_b32_e32 v0, 0
	global_store_dword v0, v0, s[18:19]
.LBB2147_10:
	s_or_b32 exec_lo, exec_lo, s0
	s_mov_b32 s0, exec_lo
	v_cmpx_gt_u32_e64 s14, v3
	s_cbranch_execz .LBB2147_12
; %bb.11:
	v_add_nc_u32_e32 v0, 32, v3
	v_mov_b32_e32 v1, 0
	global_store_byte v0, v1, s[12:13]
.LBB2147_12:
	s_or_b32 exec_lo, exec_lo, s0
	s_mov_b32 s0, exec_lo
	v_cmpx_gt_u32_e32 32, v3
	s_cbranch_execz .LBB2147_14
; %bb.13:
	v_mov_b32_e32 v0, 0xff
	global_store_byte v3, v0, s[12:13]
.LBB2147_14:
	s_endpgm
	.section	.rodata,"a",@progbits
	.p2align	6, 0x0
	.amdhsa_kernel _ZN7rocprim17ROCPRIM_400000_NS6detail30init_device_scan_by_key_kernelINS1_19lookback_scan_stateINS0_5tupleIJ11FixedVectorIiLj8EEbEEELb0ELb0EEENS1_16block_id_wrapperIjLb1EEEEEvT_jjPNSB_10value_typeET0_
		.amdhsa_group_segment_fixed_size 9216
		.amdhsa_private_segment_fixed_size 0
		.amdhsa_kernarg_size 304
		.amdhsa_user_sgpr_count 8
		.amdhsa_user_sgpr_private_segment_buffer 1
		.amdhsa_user_sgpr_dispatch_ptr 1
		.amdhsa_user_sgpr_queue_ptr 0
		.amdhsa_user_sgpr_kernarg_segment_ptr 1
		.amdhsa_user_sgpr_dispatch_id 0
		.amdhsa_user_sgpr_flat_scratch_init 0
		.amdhsa_user_sgpr_private_segment_size 0
		.amdhsa_wavefront_size32 1
		.amdhsa_uses_dynamic_stack 0
		.amdhsa_system_sgpr_private_segment_wavefront_offset 0
		.amdhsa_system_sgpr_workgroup_id_x 1
		.amdhsa_system_sgpr_workgroup_id_y 0
		.amdhsa_system_sgpr_workgroup_id_z 0
		.amdhsa_system_sgpr_workgroup_info 0
		.amdhsa_system_vgpr_workitem_id 2
		.amdhsa_next_free_vgpr 12
		.amdhsa_next_free_sgpr 20
		.amdhsa_reserve_vcc 1
		.amdhsa_reserve_flat_scratch 0
		.amdhsa_float_round_mode_32 0
		.amdhsa_float_round_mode_16_64 0
		.amdhsa_float_denorm_mode_32 3
		.amdhsa_float_denorm_mode_16_64 3
		.amdhsa_dx10_clamp 1
		.amdhsa_ieee_mode 1
		.amdhsa_fp16_overflow 0
		.amdhsa_workgroup_processor_mode 1
		.amdhsa_memory_ordered 1
		.amdhsa_forward_progress 1
		.amdhsa_shared_vgpr_count 0
		.amdhsa_exception_fp_ieee_invalid_op 0
		.amdhsa_exception_fp_denorm_src 0
		.amdhsa_exception_fp_ieee_div_zero 0
		.amdhsa_exception_fp_ieee_overflow 0
		.amdhsa_exception_fp_ieee_underflow 0
		.amdhsa_exception_fp_ieee_inexact 0
		.amdhsa_exception_int_div_zero 0
	.end_amdhsa_kernel
	.section	.text._ZN7rocprim17ROCPRIM_400000_NS6detail30init_device_scan_by_key_kernelINS1_19lookback_scan_stateINS0_5tupleIJ11FixedVectorIiLj8EEbEEELb0ELb0EEENS1_16block_id_wrapperIjLb1EEEEEvT_jjPNSB_10value_typeET0_,"axG",@progbits,_ZN7rocprim17ROCPRIM_400000_NS6detail30init_device_scan_by_key_kernelINS1_19lookback_scan_stateINS0_5tupleIJ11FixedVectorIiLj8EEbEEELb0ELb0EEENS1_16block_id_wrapperIjLb1EEEEEvT_jjPNSB_10value_typeET0_,comdat
.Lfunc_end2147:
	.size	_ZN7rocprim17ROCPRIM_400000_NS6detail30init_device_scan_by_key_kernelINS1_19lookback_scan_stateINS0_5tupleIJ11FixedVectorIiLj8EEbEEELb0ELb0EEENS1_16block_id_wrapperIjLb1EEEEEvT_jjPNSB_10value_typeET0_, .Lfunc_end2147-_ZN7rocprim17ROCPRIM_400000_NS6detail30init_device_scan_by_key_kernelINS1_19lookback_scan_stateINS0_5tupleIJ11FixedVectorIiLj8EEbEEELb0ELb0EEENS1_16block_id_wrapperIjLb1EEEEEvT_jjPNSB_10value_typeET0_
                                        ; -- End function
	.set _ZN7rocprim17ROCPRIM_400000_NS6detail30init_device_scan_by_key_kernelINS1_19lookback_scan_stateINS0_5tupleIJ11FixedVectorIiLj8EEbEEELb0ELb0EEENS1_16block_id_wrapperIjLb1EEEEEvT_jjPNSB_10value_typeET0_.num_vgpr, 12
	.set _ZN7rocprim17ROCPRIM_400000_NS6detail30init_device_scan_by_key_kernelINS1_19lookback_scan_stateINS0_5tupleIJ11FixedVectorIiLj8EEbEEELb0ELb0EEENS1_16block_id_wrapperIjLb1EEEEEvT_jjPNSB_10value_typeET0_.num_agpr, 0
	.set _ZN7rocprim17ROCPRIM_400000_NS6detail30init_device_scan_by_key_kernelINS1_19lookback_scan_stateINS0_5tupleIJ11FixedVectorIiLj8EEbEEELb0ELb0EEENS1_16block_id_wrapperIjLb1EEEEEvT_jjPNSB_10value_typeET0_.numbered_sgpr, 20
	.set _ZN7rocprim17ROCPRIM_400000_NS6detail30init_device_scan_by_key_kernelINS1_19lookback_scan_stateINS0_5tupleIJ11FixedVectorIiLj8EEbEEELb0ELb0EEENS1_16block_id_wrapperIjLb1EEEEEvT_jjPNSB_10value_typeET0_.num_named_barrier, 0
	.set _ZN7rocprim17ROCPRIM_400000_NS6detail30init_device_scan_by_key_kernelINS1_19lookback_scan_stateINS0_5tupleIJ11FixedVectorIiLj8EEbEEELb0ELb0EEENS1_16block_id_wrapperIjLb1EEEEEvT_jjPNSB_10value_typeET0_.private_seg_size, 0
	.set _ZN7rocprim17ROCPRIM_400000_NS6detail30init_device_scan_by_key_kernelINS1_19lookback_scan_stateINS0_5tupleIJ11FixedVectorIiLj8EEbEEELb0ELb0EEENS1_16block_id_wrapperIjLb1EEEEEvT_jjPNSB_10value_typeET0_.uses_vcc, 1
	.set _ZN7rocprim17ROCPRIM_400000_NS6detail30init_device_scan_by_key_kernelINS1_19lookback_scan_stateINS0_5tupleIJ11FixedVectorIiLj8EEbEEELb0ELb0EEENS1_16block_id_wrapperIjLb1EEEEEvT_jjPNSB_10value_typeET0_.uses_flat_scratch, 0
	.set _ZN7rocprim17ROCPRIM_400000_NS6detail30init_device_scan_by_key_kernelINS1_19lookback_scan_stateINS0_5tupleIJ11FixedVectorIiLj8EEbEEELb0ELb0EEENS1_16block_id_wrapperIjLb1EEEEEvT_jjPNSB_10value_typeET0_.has_dyn_sized_stack, 0
	.set _ZN7rocprim17ROCPRIM_400000_NS6detail30init_device_scan_by_key_kernelINS1_19lookback_scan_stateINS0_5tupleIJ11FixedVectorIiLj8EEbEEELb0ELb0EEENS1_16block_id_wrapperIjLb1EEEEEvT_jjPNSB_10value_typeET0_.has_recursion, 0
	.set _ZN7rocprim17ROCPRIM_400000_NS6detail30init_device_scan_by_key_kernelINS1_19lookback_scan_stateINS0_5tupleIJ11FixedVectorIiLj8EEbEEELb0ELb0EEENS1_16block_id_wrapperIjLb1EEEEEvT_jjPNSB_10value_typeET0_.has_indirect_call, 0
	.section	.AMDGPU.csdata,"",@progbits
; Kernel info:
; codeLenInByte = 548
; TotalNumSgprs: 22
; NumVgprs: 12
; ScratchSize: 0
; MemoryBound: 0
; FloatMode: 240
; IeeeMode: 1
; LDSByteSize: 9216 bytes/workgroup (compile time only)
; SGPRBlocks: 0
; VGPRBlocks: 1
; NumSGPRsForWavesPerEU: 22
; NumVGPRsForWavesPerEU: 12
; Occupancy: 16
; WaveLimiterHint : 0
; COMPUTE_PGM_RSRC2:SCRATCH_EN: 0
; COMPUTE_PGM_RSRC2:USER_SGPR: 8
; COMPUTE_PGM_RSRC2:TRAP_HANDLER: 0
; COMPUTE_PGM_RSRC2:TGID_X_EN: 1
; COMPUTE_PGM_RSRC2:TGID_Y_EN: 0
; COMPUTE_PGM_RSRC2:TGID_Z_EN: 0
; COMPUTE_PGM_RSRC2:TIDIG_COMP_CNT: 2
	.section	.text._ZN7rocprim17ROCPRIM_400000_NS6detail17trampoline_kernelINS0_14default_configENS1_27scan_by_key_config_selectorIj11FixedVectorIiLj8EEEEZZNS1_16scan_by_key_implILNS1_25lookback_scan_determinismE0ELb0ES3_N6thrust23THRUST_200600_302600_NS6detail15normal_iteratorINSB_10device_ptrIjEEEENSD_INSE_IS6_EEEESI_S6_NSB_4plusIvEENSB_8equal_toIvEES6_EE10hipError_tPvRmT2_T3_T4_T5_mT6_T7_P12ihipStream_tbENKUlT_T0_E_clISt17integral_constantIbLb0EES12_IbLb1EEEEDaSY_SZ_EUlSY_E_NS1_11comp_targetILNS1_3genE0ELNS1_11target_archE4294967295ELNS1_3gpuE0ELNS1_3repE0EEENS1_30default_config_static_selectorELNS0_4arch9wavefront6targetE0EEEvT1_,"axG",@progbits,_ZN7rocprim17ROCPRIM_400000_NS6detail17trampoline_kernelINS0_14default_configENS1_27scan_by_key_config_selectorIj11FixedVectorIiLj8EEEEZZNS1_16scan_by_key_implILNS1_25lookback_scan_determinismE0ELb0ES3_N6thrust23THRUST_200600_302600_NS6detail15normal_iteratorINSB_10device_ptrIjEEEENSD_INSE_IS6_EEEESI_S6_NSB_4plusIvEENSB_8equal_toIvEES6_EE10hipError_tPvRmT2_T3_T4_T5_mT6_T7_P12ihipStream_tbENKUlT_T0_E_clISt17integral_constantIbLb0EES12_IbLb1EEEEDaSY_SZ_EUlSY_E_NS1_11comp_targetILNS1_3genE0ELNS1_11target_archE4294967295ELNS1_3gpuE0ELNS1_3repE0EEENS1_30default_config_static_selectorELNS0_4arch9wavefront6targetE0EEEvT1_,comdat
	.protected	_ZN7rocprim17ROCPRIM_400000_NS6detail17trampoline_kernelINS0_14default_configENS1_27scan_by_key_config_selectorIj11FixedVectorIiLj8EEEEZZNS1_16scan_by_key_implILNS1_25lookback_scan_determinismE0ELb0ES3_N6thrust23THRUST_200600_302600_NS6detail15normal_iteratorINSB_10device_ptrIjEEEENSD_INSE_IS6_EEEESI_S6_NSB_4plusIvEENSB_8equal_toIvEES6_EE10hipError_tPvRmT2_T3_T4_T5_mT6_T7_P12ihipStream_tbENKUlT_T0_E_clISt17integral_constantIbLb0EES12_IbLb1EEEEDaSY_SZ_EUlSY_E_NS1_11comp_targetILNS1_3genE0ELNS1_11target_archE4294967295ELNS1_3gpuE0ELNS1_3repE0EEENS1_30default_config_static_selectorELNS0_4arch9wavefront6targetE0EEEvT1_ ; -- Begin function _ZN7rocprim17ROCPRIM_400000_NS6detail17trampoline_kernelINS0_14default_configENS1_27scan_by_key_config_selectorIj11FixedVectorIiLj8EEEEZZNS1_16scan_by_key_implILNS1_25lookback_scan_determinismE0ELb0ES3_N6thrust23THRUST_200600_302600_NS6detail15normal_iteratorINSB_10device_ptrIjEEEENSD_INSE_IS6_EEEESI_S6_NSB_4plusIvEENSB_8equal_toIvEES6_EE10hipError_tPvRmT2_T3_T4_T5_mT6_T7_P12ihipStream_tbENKUlT_T0_E_clISt17integral_constantIbLb0EES12_IbLb1EEEEDaSY_SZ_EUlSY_E_NS1_11comp_targetILNS1_3genE0ELNS1_11target_archE4294967295ELNS1_3gpuE0ELNS1_3repE0EEENS1_30default_config_static_selectorELNS0_4arch9wavefront6targetE0EEEvT1_
	.globl	_ZN7rocprim17ROCPRIM_400000_NS6detail17trampoline_kernelINS0_14default_configENS1_27scan_by_key_config_selectorIj11FixedVectorIiLj8EEEEZZNS1_16scan_by_key_implILNS1_25lookback_scan_determinismE0ELb0ES3_N6thrust23THRUST_200600_302600_NS6detail15normal_iteratorINSB_10device_ptrIjEEEENSD_INSE_IS6_EEEESI_S6_NSB_4plusIvEENSB_8equal_toIvEES6_EE10hipError_tPvRmT2_T3_T4_T5_mT6_T7_P12ihipStream_tbENKUlT_T0_E_clISt17integral_constantIbLb0EES12_IbLb1EEEEDaSY_SZ_EUlSY_E_NS1_11comp_targetILNS1_3genE0ELNS1_11target_archE4294967295ELNS1_3gpuE0ELNS1_3repE0EEENS1_30default_config_static_selectorELNS0_4arch9wavefront6targetE0EEEvT1_
	.p2align	8
	.type	_ZN7rocprim17ROCPRIM_400000_NS6detail17trampoline_kernelINS0_14default_configENS1_27scan_by_key_config_selectorIj11FixedVectorIiLj8EEEEZZNS1_16scan_by_key_implILNS1_25lookback_scan_determinismE0ELb0ES3_N6thrust23THRUST_200600_302600_NS6detail15normal_iteratorINSB_10device_ptrIjEEEENSD_INSE_IS6_EEEESI_S6_NSB_4plusIvEENSB_8equal_toIvEES6_EE10hipError_tPvRmT2_T3_T4_T5_mT6_T7_P12ihipStream_tbENKUlT_T0_E_clISt17integral_constantIbLb0EES12_IbLb1EEEEDaSY_SZ_EUlSY_E_NS1_11comp_targetILNS1_3genE0ELNS1_11target_archE4294967295ELNS1_3gpuE0ELNS1_3repE0EEENS1_30default_config_static_selectorELNS0_4arch9wavefront6targetE0EEEvT1_,@function
_ZN7rocprim17ROCPRIM_400000_NS6detail17trampoline_kernelINS0_14default_configENS1_27scan_by_key_config_selectorIj11FixedVectorIiLj8EEEEZZNS1_16scan_by_key_implILNS1_25lookback_scan_determinismE0ELb0ES3_N6thrust23THRUST_200600_302600_NS6detail15normal_iteratorINSB_10device_ptrIjEEEENSD_INSE_IS6_EEEESI_S6_NSB_4plusIvEENSB_8equal_toIvEES6_EE10hipError_tPvRmT2_T3_T4_T5_mT6_T7_P12ihipStream_tbENKUlT_T0_E_clISt17integral_constantIbLb0EES12_IbLb1EEEEDaSY_SZ_EUlSY_E_NS1_11comp_targetILNS1_3genE0ELNS1_11target_archE4294967295ELNS1_3gpuE0ELNS1_3repE0EEENS1_30default_config_static_selectorELNS0_4arch9wavefront6targetE0EEEvT1_: ; @_ZN7rocprim17ROCPRIM_400000_NS6detail17trampoline_kernelINS0_14default_configENS1_27scan_by_key_config_selectorIj11FixedVectorIiLj8EEEEZZNS1_16scan_by_key_implILNS1_25lookback_scan_determinismE0ELb0ES3_N6thrust23THRUST_200600_302600_NS6detail15normal_iteratorINSB_10device_ptrIjEEEENSD_INSE_IS6_EEEESI_S6_NSB_4plusIvEENSB_8equal_toIvEES6_EE10hipError_tPvRmT2_T3_T4_T5_mT6_T7_P12ihipStream_tbENKUlT_T0_E_clISt17integral_constantIbLb0EES12_IbLb1EEEEDaSY_SZ_EUlSY_E_NS1_11comp_targetILNS1_3genE0ELNS1_11target_archE4294967295ELNS1_3gpuE0ELNS1_3repE0EEENS1_30default_config_static_selectorELNS0_4arch9wavefront6targetE0EEEvT1_
; %bb.0:
	.section	.rodata,"a",@progbits
	.p2align	6, 0x0
	.amdhsa_kernel _ZN7rocprim17ROCPRIM_400000_NS6detail17trampoline_kernelINS0_14default_configENS1_27scan_by_key_config_selectorIj11FixedVectorIiLj8EEEEZZNS1_16scan_by_key_implILNS1_25lookback_scan_determinismE0ELb0ES3_N6thrust23THRUST_200600_302600_NS6detail15normal_iteratorINSB_10device_ptrIjEEEENSD_INSE_IS6_EEEESI_S6_NSB_4plusIvEENSB_8equal_toIvEES6_EE10hipError_tPvRmT2_T3_T4_T5_mT6_T7_P12ihipStream_tbENKUlT_T0_E_clISt17integral_constantIbLb0EES12_IbLb1EEEEDaSY_SZ_EUlSY_E_NS1_11comp_targetILNS1_3genE0ELNS1_11target_archE4294967295ELNS1_3gpuE0ELNS1_3repE0EEENS1_30default_config_static_selectorELNS0_4arch9wavefront6targetE0EEEvT1_
		.amdhsa_group_segment_fixed_size 0
		.amdhsa_private_segment_fixed_size 0
		.amdhsa_kernarg_size 160
		.amdhsa_user_sgpr_count 6
		.amdhsa_user_sgpr_private_segment_buffer 1
		.amdhsa_user_sgpr_dispatch_ptr 0
		.amdhsa_user_sgpr_queue_ptr 0
		.amdhsa_user_sgpr_kernarg_segment_ptr 1
		.amdhsa_user_sgpr_dispatch_id 0
		.amdhsa_user_sgpr_flat_scratch_init 0
		.amdhsa_user_sgpr_private_segment_size 0
		.amdhsa_wavefront_size32 1
		.amdhsa_uses_dynamic_stack 0
		.amdhsa_system_sgpr_private_segment_wavefront_offset 0
		.amdhsa_system_sgpr_workgroup_id_x 1
		.amdhsa_system_sgpr_workgroup_id_y 0
		.amdhsa_system_sgpr_workgroup_id_z 0
		.amdhsa_system_sgpr_workgroup_info 0
		.amdhsa_system_vgpr_workitem_id 0
		.amdhsa_next_free_vgpr 1
		.amdhsa_next_free_sgpr 1
		.amdhsa_reserve_vcc 0
		.amdhsa_reserve_flat_scratch 0
		.amdhsa_float_round_mode_32 0
		.amdhsa_float_round_mode_16_64 0
		.amdhsa_float_denorm_mode_32 3
		.amdhsa_float_denorm_mode_16_64 3
		.amdhsa_dx10_clamp 1
		.amdhsa_ieee_mode 1
		.amdhsa_fp16_overflow 0
		.amdhsa_workgroup_processor_mode 1
		.amdhsa_memory_ordered 1
		.amdhsa_forward_progress 1
		.amdhsa_shared_vgpr_count 0
		.amdhsa_exception_fp_ieee_invalid_op 0
		.amdhsa_exception_fp_denorm_src 0
		.amdhsa_exception_fp_ieee_div_zero 0
		.amdhsa_exception_fp_ieee_overflow 0
		.amdhsa_exception_fp_ieee_underflow 0
		.amdhsa_exception_fp_ieee_inexact 0
		.amdhsa_exception_int_div_zero 0
	.end_amdhsa_kernel
	.section	.text._ZN7rocprim17ROCPRIM_400000_NS6detail17trampoline_kernelINS0_14default_configENS1_27scan_by_key_config_selectorIj11FixedVectorIiLj8EEEEZZNS1_16scan_by_key_implILNS1_25lookback_scan_determinismE0ELb0ES3_N6thrust23THRUST_200600_302600_NS6detail15normal_iteratorINSB_10device_ptrIjEEEENSD_INSE_IS6_EEEESI_S6_NSB_4plusIvEENSB_8equal_toIvEES6_EE10hipError_tPvRmT2_T3_T4_T5_mT6_T7_P12ihipStream_tbENKUlT_T0_E_clISt17integral_constantIbLb0EES12_IbLb1EEEEDaSY_SZ_EUlSY_E_NS1_11comp_targetILNS1_3genE0ELNS1_11target_archE4294967295ELNS1_3gpuE0ELNS1_3repE0EEENS1_30default_config_static_selectorELNS0_4arch9wavefront6targetE0EEEvT1_,"axG",@progbits,_ZN7rocprim17ROCPRIM_400000_NS6detail17trampoline_kernelINS0_14default_configENS1_27scan_by_key_config_selectorIj11FixedVectorIiLj8EEEEZZNS1_16scan_by_key_implILNS1_25lookback_scan_determinismE0ELb0ES3_N6thrust23THRUST_200600_302600_NS6detail15normal_iteratorINSB_10device_ptrIjEEEENSD_INSE_IS6_EEEESI_S6_NSB_4plusIvEENSB_8equal_toIvEES6_EE10hipError_tPvRmT2_T3_T4_T5_mT6_T7_P12ihipStream_tbENKUlT_T0_E_clISt17integral_constantIbLb0EES12_IbLb1EEEEDaSY_SZ_EUlSY_E_NS1_11comp_targetILNS1_3genE0ELNS1_11target_archE4294967295ELNS1_3gpuE0ELNS1_3repE0EEENS1_30default_config_static_selectorELNS0_4arch9wavefront6targetE0EEEvT1_,comdat
.Lfunc_end2148:
	.size	_ZN7rocprim17ROCPRIM_400000_NS6detail17trampoline_kernelINS0_14default_configENS1_27scan_by_key_config_selectorIj11FixedVectorIiLj8EEEEZZNS1_16scan_by_key_implILNS1_25lookback_scan_determinismE0ELb0ES3_N6thrust23THRUST_200600_302600_NS6detail15normal_iteratorINSB_10device_ptrIjEEEENSD_INSE_IS6_EEEESI_S6_NSB_4plusIvEENSB_8equal_toIvEES6_EE10hipError_tPvRmT2_T3_T4_T5_mT6_T7_P12ihipStream_tbENKUlT_T0_E_clISt17integral_constantIbLb0EES12_IbLb1EEEEDaSY_SZ_EUlSY_E_NS1_11comp_targetILNS1_3genE0ELNS1_11target_archE4294967295ELNS1_3gpuE0ELNS1_3repE0EEENS1_30default_config_static_selectorELNS0_4arch9wavefront6targetE0EEEvT1_, .Lfunc_end2148-_ZN7rocprim17ROCPRIM_400000_NS6detail17trampoline_kernelINS0_14default_configENS1_27scan_by_key_config_selectorIj11FixedVectorIiLj8EEEEZZNS1_16scan_by_key_implILNS1_25lookback_scan_determinismE0ELb0ES3_N6thrust23THRUST_200600_302600_NS6detail15normal_iteratorINSB_10device_ptrIjEEEENSD_INSE_IS6_EEEESI_S6_NSB_4plusIvEENSB_8equal_toIvEES6_EE10hipError_tPvRmT2_T3_T4_T5_mT6_T7_P12ihipStream_tbENKUlT_T0_E_clISt17integral_constantIbLb0EES12_IbLb1EEEEDaSY_SZ_EUlSY_E_NS1_11comp_targetILNS1_3genE0ELNS1_11target_archE4294967295ELNS1_3gpuE0ELNS1_3repE0EEENS1_30default_config_static_selectorELNS0_4arch9wavefront6targetE0EEEvT1_
                                        ; -- End function
	.set _ZN7rocprim17ROCPRIM_400000_NS6detail17trampoline_kernelINS0_14default_configENS1_27scan_by_key_config_selectorIj11FixedVectorIiLj8EEEEZZNS1_16scan_by_key_implILNS1_25lookback_scan_determinismE0ELb0ES3_N6thrust23THRUST_200600_302600_NS6detail15normal_iteratorINSB_10device_ptrIjEEEENSD_INSE_IS6_EEEESI_S6_NSB_4plusIvEENSB_8equal_toIvEES6_EE10hipError_tPvRmT2_T3_T4_T5_mT6_T7_P12ihipStream_tbENKUlT_T0_E_clISt17integral_constantIbLb0EES12_IbLb1EEEEDaSY_SZ_EUlSY_E_NS1_11comp_targetILNS1_3genE0ELNS1_11target_archE4294967295ELNS1_3gpuE0ELNS1_3repE0EEENS1_30default_config_static_selectorELNS0_4arch9wavefront6targetE0EEEvT1_.num_vgpr, 0
	.set _ZN7rocprim17ROCPRIM_400000_NS6detail17trampoline_kernelINS0_14default_configENS1_27scan_by_key_config_selectorIj11FixedVectorIiLj8EEEEZZNS1_16scan_by_key_implILNS1_25lookback_scan_determinismE0ELb0ES3_N6thrust23THRUST_200600_302600_NS6detail15normal_iteratorINSB_10device_ptrIjEEEENSD_INSE_IS6_EEEESI_S6_NSB_4plusIvEENSB_8equal_toIvEES6_EE10hipError_tPvRmT2_T3_T4_T5_mT6_T7_P12ihipStream_tbENKUlT_T0_E_clISt17integral_constantIbLb0EES12_IbLb1EEEEDaSY_SZ_EUlSY_E_NS1_11comp_targetILNS1_3genE0ELNS1_11target_archE4294967295ELNS1_3gpuE0ELNS1_3repE0EEENS1_30default_config_static_selectorELNS0_4arch9wavefront6targetE0EEEvT1_.num_agpr, 0
	.set _ZN7rocprim17ROCPRIM_400000_NS6detail17trampoline_kernelINS0_14default_configENS1_27scan_by_key_config_selectorIj11FixedVectorIiLj8EEEEZZNS1_16scan_by_key_implILNS1_25lookback_scan_determinismE0ELb0ES3_N6thrust23THRUST_200600_302600_NS6detail15normal_iteratorINSB_10device_ptrIjEEEENSD_INSE_IS6_EEEESI_S6_NSB_4plusIvEENSB_8equal_toIvEES6_EE10hipError_tPvRmT2_T3_T4_T5_mT6_T7_P12ihipStream_tbENKUlT_T0_E_clISt17integral_constantIbLb0EES12_IbLb1EEEEDaSY_SZ_EUlSY_E_NS1_11comp_targetILNS1_3genE0ELNS1_11target_archE4294967295ELNS1_3gpuE0ELNS1_3repE0EEENS1_30default_config_static_selectorELNS0_4arch9wavefront6targetE0EEEvT1_.numbered_sgpr, 0
	.set _ZN7rocprim17ROCPRIM_400000_NS6detail17trampoline_kernelINS0_14default_configENS1_27scan_by_key_config_selectorIj11FixedVectorIiLj8EEEEZZNS1_16scan_by_key_implILNS1_25lookback_scan_determinismE0ELb0ES3_N6thrust23THRUST_200600_302600_NS6detail15normal_iteratorINSB_10device_ptrIjEEEENSD_INSE_IS6_EEEESI_S6_NSB_4plusIvEENSB_8equal_toIvEES6_EE10hipError_tPvRmT2_T3_T4_T5_mT6_T7_P12ihipStream_tbENKUlT_T0_E_clISt17integral_constantIbLb0EES12_IbLb1EEEEDaSY_SZ_EUlSY_E_NS1_11comp_targetILNS1_3genE0ELNS1_11target_archE4294967295ELNS1_3gpuE0ELNS1_3repE0EEENS1_30default_config_static_selectorELNS0_4arch9wavefront6targetE0EEEvT1_.num_named_barrier, 0
	.set _ZN7rocprim17ROCPRIM_400000_NS6detail17trampoline_kernelINS0_14default_configENS1_27scan_by_key_config_selectorIj11FixedVectorIiLj8EEEEZZNS1_16scan_by_key_implILNS1_25lookback_scan_determinismE0ELb0ES3_N6thrust23THRUST_200600_302600_NS6detail15normal_iteratorINSB_10device_ptrIjEEEENSD_INSE_IS6_EEEESI_S6_NSB_4plusIvEENSB_8equal_toIvEES6_EE10hipError_tPvRmT2_T3_T4_T5_mT6_T7_P12ihipStream_tbENKUlT_T0_E_clISt17integral_constantIbLb0EES12_IbLb1EEEEDaSY_SZ_EUlSY_E_NS1_11comp_targetILNS1_3genE0ELNS1_11target_archE4294967295ELNS1_3gpuE0ELNS1_3repE0EEENS1_30default_config_static_selectorELNS0_4arch9wavefront6targetE0EEEvT1_.private_seg_size, 0
	.set _ZN7rocprim17ROCPRIM_400000_NS6detail17trampoline_kernelINS0_14default_configENS1_27scan_by_key_config_selectorIj11FixedVectorIiLj8EEEEZZNS1_16scan_by_key_implILNS1_25lookback_scan_determinismE0ELb0ES3_N6thrust23THRUST_200600_302600_NS6detail15normal_iteratorINSB_10device_ptrIjEEEENSD_INSE_IS6_EEEESI_S6_NSB_4plusIvEENSB_8equal_toIvEES6_EE10hipError_tPvRmT2_T3_T4_T5_mT6_T7_P12ihipStream_tbENKUlT_T0_E_clISt17integral_constantIbLb0EES12_IbLb1EEEEDaSY_SZ_EUlSY_E_NS1_11comp_targetILNS1_3genE0ELNS1_11target_archE4294967295ELNS1_3gpuE0ELNS1_3repE0EEENS1_30default_config_static_selectorELNS0_4arch9wavefront6targetE0EEEvT1_.uses_vcc, 0
	.set _ZN7rocprim17ROCPRIM_400000_NS6detail17trampoline_kernelINS0_14default_configENS1_27scan_by_key_config_selectorIj11FixedVectorIiLj8EEEEZZNS1_16scan_by_key_implILNS1_25lookback_scan_determinismE0ELb0ES3_N6thrust23THRUST_200600_302600_NS6detail15normal_iteratorINSB_10device_ptrIjEEEENSD_INSE_IS6_EEEESI_S6_NSB_4plusIvEENSB_8equal_toIvEES6_EE10hipError_tPvRmT2_T3_T4_T5_mT6_T7_P12ihipStream_tbENKUlT_T0_E_clISt17integral_constantIbLb0EES12_IbLb1EEEEDaSY_SZ_EUlSY_E_NS1_11comp_targetILNS1_3genE0ELNS1_11target_archE4294967295ELNS1_3gpuE0ELNS1_3repE0EEENS1_30default_config_static_selectorELNS0_4arch9wavefront6targetE0EEEvT1_.uses_flat_scratch, 0
	.set _ZN7rocprim17ROCPRIM_400000_NS6detail17trampoline_kernelINS0_14default_configENS1_27scan_by_key_config_selectorIj11FixedVectorIiLj8EEEEZZNS1_16scan_by_key_implILNS1_25lookback_scan_determinismE0ELb0ES3_N6thrust23THRUST_200600_302600_NS6detail15normal_iteratorINSB_10device_ptrIjEEEENSD_INSE_IS6_EEEESI_S6_NSB_4plusIvEENSB_8equal_toIvEES6_EE10hipError_tPvRmT2_T3_T4_T5_mT6_T7_P12ihipStream_tbENKUlT_T0_E_clISt17integral_constantIbLb0EES12_IbLb1EEEEDaSY_SZ_EUlSY_E_NS1_11comp_targetILNS1_3genE0ELNS1_11target_archE4294967295ELNS1_3gpuE0ELNS1_3repE0EEENS1_30default_config_static_selectorELNS0_4arch9wavefront6targetE0EEEvT1_.has_dyn_sized_stack, 0
	.set _ZN7rocprim17ROCPRIM_400000_NS6detail17trampoline_kernelINS0_14default_configENS1_27scan_by_key_config_selectorIj11FixedVectorIiLj8EEEEZZNS1_16scan_by_key_implILNS1_25lookback_scan_determinismE0ELb0ES3_N6thrust23THRUST_200600_302600_NS6detail15normal_iteratorINSB_10device_ptrIjEEEENSD_INSE_IS6_EEEESI_S6_NSB_4plusIvEENSB_8equal_toIvEES6_EE10hipError_tPvRmT2_T3_T4_T5_mT6_T7_P12ihipStream_tbENKUlT_T0_E_clISt17integral_constantIbLb0EES12_IbLb1EEEEDaSY_SZ_EUlSY_E_NS1_11comp_targetILNS1_3genE0ELNS1_11target_archE4294967295ELNS1_3gpuE0ELNS1_3repE0EEENS1_30default_config_static_selectorELNS0_4arch9wavefront6targetE0EEEvT1_.has_recursion, 0
	.set _ZN7rocprim17ROCPRIM_400000_NS6detail17trampoline_kernelINS0_14default_configENS1_27scan_by_key_config_selectorIj11FixedVectorIiLj8EEEEZZNS1_16scan_by_key_implILNS1_25lookback_scan_determinismE0ELb0ES3_N6thrust23THRUST_200600_302600_NS6detail15normal_iteratorINSB_10device_ptrIjEEEENSD_INSE_IS6_EEEESI_S6_NSB_4plusIvEENSB_8equal_toIvEES6_EE10hipError_tPvRmT2_T3_T4_T5_mT6_T7_P12ihipStream_tbENKUlT_T0_E_clISt17integral_constantIbLb0EES12_IbLb1EEEEDaSY_SZ_EUlSY_E_NS1_11comp_targetILNS1_3genE0ELNS1_11target_archE4294967295ELNS1_3gpuE0ELNS1_3repE0EEENS1_30default_config_static_selectorELNS0_4arch9wavefront6targetE0EEEvT1_.has_indirect_call, 0
	.section	.AMDGPU.csdata,"",@progbits
; Kernel info:
; codeLenInByte = 0
; TotalNumSgprs: 0
; NumVgprs: 0
; ScratchSize: 0
; MemoryBound: 0
; FloatMode: 240
; IeeeMode: 1
; LDSByteSize: 0 bytes/workgroup (compile time only)
; SGPRBlocks: 0
; VGPRBlocks: 0
; NumSGPRsForWavesPerEU: 1
; NumVGPRsForWavesPerEU: 1
; Occupancy: 16
; WaveLimiterHint : 0
; COMPUTE_PGM_RSRC2:SCRATCH_EN: 0
; COMPUTE_PGM_RSRC2:USER_SGPR: 6
; COMPUTE_PGM_RSRC2:TRAP_HANDLER: 0
; COMPUTE_PGM_RSRC2:TGID_X_EN: 1
; COMPUTE_PGM_RSRC2:TGID_Y_EN: 0
; COMPUTE_PGM_RSRC2:TGID_Z_EN: 0
; COMPUTE_PGM_RSRC2:TIDIG_COMP_CNT: 0
	.section	.text._ZN7rocprim17ROCPRIM_400000_NS6detail17trampoline_kernelINS0_14default_configENS1_27scan_by_key_config_selectorIj11FixedVectorIiLj8EEEEZZNS1_16scan_by_key_implILNS1_25lookback_scan_determinismE0ELb0ES3_N6thrust23THRUST_200600_302600_NS6detail15normal_iteratorINSB_10device_ptrIjEEEENSD_INSE_IS6_EEEESI_S6_NSB_4plusIvEENSB_8equal_toIvEES6_EE10hipError_tPvRmT2_T3_T4_T5_mT6_T7_P12ihipStream_tbENKUlT_T0_E_clISt17integral_constantIbLb0EES12_IbLb1EEEEDaSY_SZ_EUlSY_E_NS1_11comp_targetILNS1_3genE10ELNS1_11target_archE1201ELNS1_3gpuE5ELNS1_3repE0EEENS1_30default_config_static_selectorELNS0_4arch9wavefront6targetE0EEEvT1_,"axG",@progbits,_ZN7rocprim17ROCPRIM_400000_NS6detail17trampoline_kernelINS0_14default_configENS1_27scan_by_key_config_selectorIj11FixedVectorIiLj8EEEEZZNS1_16scan_by_key_implILNS1_25lookback_scan_determinismE0ELb0ES3_N6thrust23THRUST_200600_302600_NS6detail15normal_iteratorINSB_10device_ptrIjEEEENSD_INSE_IS6_EEEESI_S6_NSB_4plusIvEENSB_8equal_toIvEES6_EE10hipError_tPvRmT2_T3_T4_T5_mT6_T7_P12ihipStream_tbENKUlT_T0_E_clISt17integral_constantIbLb0EES12_IbLb1EEEEDaSY_SZ_EUlSY_E_NS1_11comp_targetILNS1_3genE10ELNS1_11target_archE1201ELNS1_3gpuE5ELNS1_3repE0EEENS1_30default_config_static_selectorELNS0_4arch9wavefront6targetE0EEEvT1_,comdat
	.protected	_ZN7rocprim17ROCPRIM_400000_NS6detail17trampoline_kernelINS0_14default_configENS1_27scan_by_key_config_selectorIj11FixedVectorIiLj8EEEEZZNS1_16scan_by_key_implILNS1_25lookback_scan_determinismE0ELb0ES3_N6thrust23THRUST_200600_302600_NS6detail15normal_iteratorINSB_10device_ptrIjEEEENSD_INSE_IS6_EEEESI_S6_NSB_4plusIvEENSB_8equal_toIvEES6_EE10hipError_tPvRmT2_T3_T4_T5_mT6_T7_P12ihipStream_tbENKUlT_T0_E_clISt17integral_constantIbLb0EES12_IbLb1EEEEDaSY_SZ_EUlSY_E_NS1_11comp_targetILNS1_3genE10ELNS1_11target_archE1201ELNS1_3gpuE5ELNS1_3repE0EEENS1_30default_config_static_selectorELNS0_4arch9wavefront6targetE0EEEvT1_ ; -- Begin function _ZN7rocprim17ROCPRIM_400000_NS6detail17trampoline_kernelINS0_14default_configENS1_27scan_by_key_config_selectorIj11FixedVectorIiLj8EEEEZZNS1_16scan_by_key_implILNS1_25lookback_scan_determinismE0ELb0ES3_N6thrust23THRUST_200600_302600_NS6detail15normal_iteratorINSB_10device_ptrIjEEEENSD_INSE_IS6_EEEESI_S6_NSB_4plusIvEENSB_8equal_toIvEES6_EE10hipError_tPvRmT2_T3_T4_T5_mT6_T7_P12ihipStream_tbENKUlT_T0_E_clISt17integral_constantIbLb0EES12_IbLb1EEEEDaSY_SZ_EUlSY_E_NS1_11comp_targetILNS1_3genE10ELNS1_11target_archE1201ELNS1_3gpuE5ELNS1_3repE0EEENS1_30default_config_static_selectorELNS0_4arch9wavefront6targetE0EEEvT1_
	.globl	_ZN7rocprim17ROCPRIM_400000_NS6detail17trampoline_kernelINS0_14default_configENS1_27scan_by_key_config_selectorIj11FixedVectorIiLj8EEEEZZNS1_16scan_by_key_implILNS1_25lookback_scan_determinismE0ELb0ES3_N6thrust23THRUST_200600_302600_NS6detail15normal_iteratorINSB_10device_ptrIjEEEENSD_INSE_IS6_EEEESI_S6_NSB_4plusIvEENSB_8equal_toIvEES6_EE10hipError_tPvRmT2_T3_T4_T5_mT6_T7_P12ihipStream_tbENKUlT_T0_E_clISt17integral_constantIbLb0EES12_IbLb1EEEEDaSY_SZ_EUlSY_E_NS1_11comp_targetILNS1_3genE10ELNS1_11target_archE1201ELNS1_3gpuE5ELNS1_3repE0EEENS1_30default_config_static_selectorELNS0_4arch9wavefront6targetE0EEEvT1_
	.p2align	8
	.type	_ZN7rocprim17ROCPRIM_400000_NS6detail17trampoline_kernelINS0_14default_configENS1_27scan_by_key_config_selectorIj11FixedVectorIiLj8EEEEZZNS1_16scan_by_key_implILNS1_25lookback_scan_determinismE0ELb0ES3_N6thrust23THRUST_200600_302600_NS6detail15normal_iteratorINSB_10device_ptrIjEEEENSD_INSE_IS6_EEEESI_S6_NSB_4plusIvEENSB_8equal_toIvEES6_EE10hipError_tPvRmT2_T3_T4_T5_mT6_T7_P12ihipStream_tbENKUlT_T0_E_clISt17integral_constantIbLb0EES12_IbLb1EEEEDaSY_SZ_EUlSY_E_NS1_11comp_targetILNS1_3genE10ELNS1_11target_archE1201ELNS1_3gpuE5ELNS1_3repE0EEENS1_30default_config_static_selectorELNS0_4arch9wavefront6targetE0EEEvT1_,@function
_ZN7rocprim17ROCPRIM_400000_NS6detail17trampoline_kernelINS0_14default_configENS1_27scan_by_key_config_selectorIj11FixedVectorIiLj8EEEEZZNS1_16scan_by_key_implILNS1_25lookback_scan_determinismE0ELb0ES3_N6thrust23THRUST_200600_302600_NS6detail15normal_iteratorINSB_10device_ptrIjEEEENSD_INSE_IS6_EEEESI_S6_NSB_4plusIvEENSB_8equal_toIvEES6_EE10hipError_tPvRmT2_T3_T4_T5_mT6_T7_P12ihipStream_tbENKUlT_T0_E_clISt17integral_constantIbLb0EES12_IbLb1EEEEDaSY_SZ_EUlSY_E_NS1_11comp_targetILNS1_3genE10ELNS1_11target_archE1201ELNS1_3gpuE5ELNS1_3repE0EEENS1_30default_config_static_selectorELNS0_4arch9wavefront6targetE0EEEvT1_: ; @_ZN7rocprim17ROCPRIM_400000_NS6detail17trampoline_kernelINS0_14default_configENS1_27scan_by_key_config_selectorIj11FixedVectorIiLj8EEEEZZNS1_16scan_by_key_implILNS1_25lookback_scan_determinismE0ELb0ES3_N6thrust23THRUST_200600_302600_NS6detail15normal_iteratorINSB_10device_ptrIjEEEENSD_INSE_IS6_EEEESI_S6_NSB_4plusIvEENSB_8equal_toIvEES6_EE10hipError_tPvRmT2_T3_T4_T5_mT6_T7_P12ihipStream_tbENKUlT_T0_E_clISt17integral_constantIbLb0EES12_IbLb1EEEEDaSY_SZ_EUlSY_E_NS1_11comp_targetILNS1_3genE10ELNS1_11target_archE1201ELNS1_3gpuE5ELNS1_3repE0EEENS1_30default_config_static_selectorELNS0_4arch9wavefront6targetE0EEEvT1_
; %bb.0:
	.section	.rodata,"a",@progbits
	.p2align	6, 0x0
	.amdhsa_kernel _ZN7rocprim17ROCPRIM_400000_NS6detail17trampoline_kernelINS0_14default_configENS1_27scan_by_key_config_selectorIj11FixedVectorIiLj8EEEEZZNS1_16scan_by_key_implILNS1_25lookback_scan_determinismE0ELb0ES3_N6thrust23THRUST_200600_302600_NS6detail15normal_iteratorINSB_10device_ptrIjEEEENSD_INSE_IS6_EEEESI_S6_NSB_4plusIvEENSB_8equal_toIvEES6_EE10hipError_tPvRmT2_T3_T4_T5_mT6_T7_P12ihipStream_tbENKUlT_T0_E_clISt17integral_constantIbLb0EES12_IbLb1EEEEDaSY_SZ_EUlSY_E_NS1_11comp_targetILNS1_3genE10ELNS1_11target_archE1201ELNS1_3gpuE5ELNS1_3repE0EEENS1_30default_config_static_selectorELNS0_4arch9wavefront6targetE0EEEvT1_
		.amdhsa_group_segment_fixed_size 0
		.amdhsa_private_segment_fixed_size 0
		.amdhsa_kernarg_size 160
		.amdhsa_user_sgpr_count 6
		.amdhsa_user_sgpr_private_segment_buffer 1
		.amdhsa_user_sgpr_dispatch_ptr 0
		.amdhsa_user_sgpr_queue_ptr 0
		.amdhsa_user_sgpr_kernarg_segment_ptr 1
		.amdhsa_user_sgpr_dispatch_id 0
		.amdhsa_user_sgpr_flat_scratch_init 0
		.amdhsa_user_sgpr_private_segment_size 0
		.amdhsa_wavefront_size32 1
		.amdhsa_uses_dynamic_stack 0
		.amdhsa_system_sgpr_private_segment_wavefront_offset 0
		.amdhsa_system_sgpr_workgroup_id_x 1
		.amdhsa_system_sgpr_workgroup_id_y 0
		.amdhsa_system_sgpr_workgroup_id_z 0
		.amdhsa_system_sgpr_workgroup_info 0
		.amdhsa_system_vgpr_workitem_id 0
		.amdhsa_next_free_vgpr 1
		.amdhsa_next_free_sgpr 1
		.amdhsa_reserve_vcc 0
		.amdhsa_reserve_flat_scratch 0
		.amdhsa_float_round_mode_32 0
		.amdhsa_float_round_mode_16_64 0
		.amdhsa_float_denorm_mode_32 3
		.amdhsa_float_denorm_mode_16_64 3
		.amdhsa_dx10_clamp 1
		.amdhsa_ieee_mode 1
		.amdhsa_fp16_overflow 0
		.amdhsa_workgroup_processor_mode 1
		.amdhsa_memory_ordered 1
		.amdhsa_forward_progress 1
		.amdhsa_shared_vgpr_count 0
		.amdhsa_exception_fp_ieee_invalid_op 0
		.amdhsa_exception_fp_denorm_src 0
		.amdhsa_exception_fp_ieee_div_zero 0
		.amdhsa_exception_fp_ieee_overflow 0
		.amdhsa_exception_fp_ieee_underflow 0
		.amdhsa_exception_fp_ieee_inexact 0
		.amdhsa_exception_int_div_zero 0
	.end_amdhsa_kernel
	.section	.text._ZN7rocprim17ROCPRIM_400000_NS6detail17trampoline_kernelINS0_14default_configENS1_27scan_by_key_config_selectorIj11FixedVectorIiLj8EEEEZZNS1_16scan_by_key_implILNS1_25lookback_scan_determinismE0ELb0ES3_N6thrust23THRUST_200600_302600_NS6detail15normal_iteratorINSB_10device_ptrIjEEEENSD_INSE_IS6_EEEESI_S6_NSB_4plusIvEENSB_8equal_toIvEES6_EE10hipError_tPvRmT2_T3_T4_T5_mT6_T7_P12ihipStream_tbENKUlT_T0_E_clISt17integral_constantIbLb0EES12_IbLb1EEEEDaSY_SZ_EUlSY_E_NS1_11comp_targetILNS1_3genE10ELNS1_11target_archE1201ELNS1_3gpuE5ELNS1_3repE0EEENS1_30default_config_static_selectorELNS0_4arch9wavefront6targetE0EEEvT1_,"axG",@progbits,_ZN7rocprim17ROCPRIM_400000_NS6detail17trampoline_kernelINS0_14default_configENS1_27scan_by_key_config_selectorIj11FixedVectorIiLj8EEEEZZNS1_16scan_by_key_implILNS1_25lookback_scan_determinismE0ELb0ES3_N6thrust23THRUST_200600_302600_NS6detail15normal_iteratorINSB_10device_ptrIjEEEENSD_INSE_IS6_EEEESI_S6_NSB_4plusIvEENSB_8equal_toIvEES6_EE10hipError_tPvRmT2_T3_T4_T5_mT6_T7_P12ihipStream_tbENKUlT_T0_E_clISt17integral_constantIbLb0EES12_IbLb1EEEEDaSY_SZ_EUlSY_E_NS1_11comp_targetILNS1_3genE10ELNS1_11target_archE1201ELNS1_3gpuE5ELNS1_3repE0EEENS1_30default_config_static_selectorELNS0_4arch9wavefront6targetE0EEEvT1_,comdat
.Lfunc_end2149:
	.size	_ZN7rocprim17ROCPRIM_400000_NS6detail17trampoline_kernelINS0_14default_configENS1_27scan_by_key_config_selectorIj11FixedVectorIiLj8EEEEZZNS1_16scan_by_key_implILNS1_25lookback_scan_determinismE0ELb0ES3_N6thrust23THRUST_200600_302600_NS6detail15normal_iteratorINSB_10device_ptrIjEEEENSD_INSE_IS6_EEEESI_S6_NSB_4plusIvEENSB_8equal_toIvEES6_EE10hipError_tPvRmT2_T3_T4_T5_mT6_T7_P12ihipStream_tbENKUlT_T0_E_clISt17integral_constantIbLb0EES12_IbLb1EEEEDaSY_SZ_EUlSY_E_NS1_11comp_targetILNS1_3genE10ELNS1_11target_archE1201ELNS1_3gpuE5ELNS1_3repE0EEENS1_30default_config_static_selectorELNS0_4arch9wavefront6targetE0EEEvT1_, .Lfunc_end2149-_ZN7rocprim17ROCPRIM_400000_NS6detail17trampoline_kernelINS0_14default_configENS1_27scan_by_key_config_selectorIj11FixedVectorIiLj8EEEEZZNS1_16scan_by_key_implILNS1_25lookback_scan_determinismE0ELb0ES3_N6thrust23THRUST_200600_302600_NS6detail15normal_iteratorINSB_10device_ptrIjEEEENSD_INSE_IS6_EEEESI_S6_NSB_4plusIvEENSB_8equal_toIvEES6_EE10hipError_tPvRmT2_T3_T4_T5_mT6_T7_P12ihipStream_tbENKUlT_T0_E_clISt17integral_constantIbLb0EES12_IbLb1EEEEDaSY_SZ_EUlSY_E_NS1_11comp_targetILNS1_3genE10ELNS1_11target_archE1201ELNS1_3gpuE5ELNS1_3repE0EEENS1_30default_config_static_selectorELNS0_4arch9wavefront6targetE0EEEvT1_
                                        ; -- End function
	.set _ZN7rocprim17ROCPRIM_400000_NS6detail17trampoline_kernelINS0_14default_configENS1_27scan_by_key_config_selectorIj11FixedVectorIiLj8EEEEZZNS1_16scan_by_key_implILNS1_25lookback_scan_determinismE0ELb0ES3_N6thrust23THRUST_200600_302600_NS6detail15normal_iteratorINSB_10device_ptrIjEEEENSD_INSE_IS6_EEEESI_S6_NSB_4plusIvEENSB_8equal_toIvEES6_EE10hipError_tPvRmT2_T3_T4_T5_mT6_T7_P12ihipStream_tbENKUlT_T0_E_clISt17integral_constantIbLb0EES12_IbLb1EEEEDaSY_SZ_EUlSY_E_NS1_11comp_targetILNS1_3genE10ELNS1_11target_archE1201ELNS1_3gpuE5ELNS1_3repE0EEENS1_30default_config_static_selectorELNS0_4arch9wavefront6targetE0EEEvT1_.num_vgpr, 0
	.set _ZN7rocprim17ROCPRIM_400000_NS6detail17trampoline_kernelINS0_14default_configENS1_27scan_by_key_config_selectorIj11FixedVectorIiLj8EEEEZZNS1_16scan_by_key_implILNS1_25lookback_scan_determinismE0ELb0ES3_N6thrust23THRUST_200600_302600_NS6detail15normal_iteratorINSB_10device_ptrIjEEEENSD_INSE_IS6_EEEESI_S6_NSB_4plusIvEENSB_8equal_toIvEES6_EE10hipError_tPvRmT2_T3_T4_T5_mT6_T7_P12ihipStream_tbENKUlT_T0_E_clISt17integral_constantIbLb0EES12_IbLb1EEEEDaSY_SZ_EUlSY_E_NS1_11comp_targetILNS1_3genE10ELNS1_11target_archE1201ELNS1_3gpuE5ELNS1_3repE0EEENS1_30default_config_static_selectorELNS0_4arch9wavefront6targetE0EEEvT1_.num_agpr, 0
	.set _ZN7rocprim17ROCPRIM_400000_NS6detail17trampoline_kernelINS0_14default_configENS1_27scan_by_key_config_selectorIj11FixedVectorIiLj8EEEEZZNS1_16scan_by_key_implILNS1_25lookback_scan_determinismE0ELb0ES3_N6thrust23THRUST_200600_302600_NS6detail15normal_iteratorINSB_10device_ptrIjEEEENSD_INSE_IS6_EEEESI_S6_NSB_4plusIvEENSB_8equal_toIvEES6_EE10hipError_tPvRmT2_T3_T4_T5_mT6_T7_P12ihipStream_tbENKUlT_T0_E_clISt17integral_constantIbLb0EES12_IbLb1EEEEDaSY_SZ_EUlSY_E_NS1_11comp_targetILNS1_3genE10ELNS1_11target_archE1201ELNS1_3gpuE5ELNS1_3repE0EEENS1_30default_config_static_selectorELNS0_4arch9wavefront6targetE0EEEvT1_.numbered_sgpr, 0
	.set _ZN7rocprim17ROCPRIM_400000_NS6detail17trampoline_kernelINS0_14default_configENS1_27scan_by_key_config_selectorIj11FixedVectorIiLj8EEEEZZNS1_16scan_by_key_implILNS1_25lookback_scan_determinismE0ELb0ES3_N6thrust23THRUST_200600_302600_NS6detail15normal_iteratorINSB_10device_ptrIjEEEENSD_INSE_IS6_EEEESI_S6_NSB_4plusIvEENSB_8equal_toIvEES6_EE10hipError_tPvRmT2_T3_T4_T5_mT6_T7_P12ihipStream_tbENKUlT_T0_E_clISt17integral_constantIbLb0EES12_IbLb1EEEEDaSY_SZ_EUlSY_E_NS1_11comp_targetILNS1_3genE10ELNS1_11target_archE1201ELNS1_3gpuE5ELNS1_3repE0EEENS1_30default_config_static_selectorELNS0_4arch9wavefront6targetE0EEEvT1_.num_named_barrier, 0
	.set _ZN7rocprim17ROCPRIM_400000_NS6detail17trampoline_kernelINS0_14default_configENS1_27scan_by_key_config_selectorIj11FixedVectorIiLj8EEEEZZNS1_16scan_by_key_implILNS1_25lookback_scan_determinismE0ELb0ES3_N6thrust23THRUST_200600_302600_NS6detail15normal_iteratorINSB_10device_ptrIjEEEENSD_INSE_IS6_EEEESI_S6_NSB_4plusIvEENSB_8equal_toIvEES6_EE10hipError_tPvRmT2_T3_T4_T5_mT6_T7_P12ihipStream_tbENKUlT_T0_E_clISt17integral_constantIbLb0EES12_IbLb1EEEEDaSY_SZ_EUlSY_E_NS1_11comp_targetILNS1_3genE10ELNS1_11target_archE1201ELNS1_3gpuE5ELNS1_3repE0EEENS1_30default_config_static_selectorELNS0_4arch9wavefront6targetE0EEEvT1_.private_seg_size, 0
	.set _ZN7rocprim17ROCPRIM_400000_NS6detail17trampoline_kernelINS0_14default_configENS1_27scan_by_key_config_selectorIj11FixedVectorIiLj8EEEEZZNS1_16scan_by_key_implILNS1_25lookback_scan_determinismE0ELb0ES3_N6thrust23THRUST_200600_302600_NS6detail15normal_iteratorINSB_10device_ptrIjEEEENSD_INSE_IS6_EEEESI_S6_NSB_4plusIvEENSB_8equal_toIvEES6_EE10hipError_tPvRmT2_T3_T4_T5_mT6_T7_P12ihipStream_tbENKUlT_T0_E_clISt17integral_constantIbLb0EES12_IbLb1EEEEDaSY_SZ_EUlSY_E_NS1_11comp_targetILNS1_3genE10ELNS1_11target_archE1201ELNS1_3gpuE5ELNS1_3repE0EEENS1_30default_config_static_selectorELNS0_4arch9wavefront6targetE0EEEvT1_.uses_vcc, 0
	.set _ZN7rocprim17ROCPRIM_400000_NS6detail17trampoline_kernelINS0_14default_configENS1_27scan_by_key_config_selectorIj11FixedVectorIiLj8EEEEZZNS1_16scan_by_key_implILNS1_25lookback_scan_determinismE0ELb0ES3_N6thrust23THRUST_200600_302600_NS6detail15normal_iteratorINSB_10device_ptrIjEEEENSD_INSE_IS6_EEEESI_S6_NSB_4plusIvEENSB_8equal_toIvEES6_EE10hipError_tPvRmT2_T3_T4_T5_mT6_T7_P12ihipStream_tbENKUlT_T0_E_clISt17integral_constantIbLb0EES12_IbLb1EEEEDaSY_SZ_EUlSY_E_NS1_11comp_targetILNS1_3genE10ELNS1_11target_archE1201ELNS1_3gpuE5ELNS1_3repE0EEENS1_30default_config_static_selectorELNS0_4arch9wavefront6targetE0EEEvT1_.uses_flat_scratch, 0
	.set _ZN7rocprim17ROCPRIM_400000_NS6detail17trampoline_kernelINS0_14default_configENS1_27scan_by_key_config_selectorIj11FixedVectorIiLj8EEEEZZNS1_16scan_by_key_implILNS1_25lookback_scan_determinismE0ELb0ES3_N6thrust23THRUST_200600_302600_NS6detail15normal_iteratorINSB_10device_ptrIjEEEENSD_INSE_IS6_EEEESI_S6_NSB_4plusIvEENSB_8equal_toIvEES6_EE10hipError_tPvRmT2_T3_T4_T5_mT6_T7_P12ihipStream_tbENKUlT_T0_E_clISt17integral_constantIbLb0EES12_IbLb1EEEEDaSY_SZ_EUlSY_E_NS1_11comp_targetILNS1_3genE10ELNS1_11target_archE1201ELNS1_3gpuE5ELNS1_3repE0EEENS1_30default_config_static_selectorELNS0_4arch9wavefront6targetE0EEEvT1_.has_dyn_sized_stack, 0
	.set _ZN7rocprim17ROCPRIM_400000_NS6detail17trampoline_kernelINS0_14default_configENS1_27scan_by_key_config_selectorIj11FixedVectorIiLj8EEEEZZNS1_16scan_by_key_implILNS1_25lookback_scan_determinismE0ELb0ES3_N6thrust23THRUST_200600_302600_NS6detail15normal_iteratorINSB_10device_ptrIjEEEENSD_INSE_IS6_EEEESI_S6_NSB_4plusIvEENSB_8equal_toIvEES6_EE10hipError_tPvRmT2_T3_T4_T5_mT6_T7_P12ihipStream_tbENKUlT_T0_E_clISt17integral_constantIbLb0EES12_IbLb1EEEEDaSY_SZ_EUlSY_E_NS1_11comp_targetILNS1_3genE10ELNS1_11target_archE1201ELNS1_3gpuE5ELNS1_3repE0EEENS1_30default_config_static_selectorELNS0_4arch9wavefront6targetE0EEEvT1_.has_recursion, 0
	.set _ZN7rocprim17ROCPRIM_400000_NS6detail17trampoline_kernelINS0_14default_configENS1_27scan_by_key_config_selectorIj11FixedVectorIiLj8EEEEZZNS1_16scan_by_key_implILNS1_25lookback_scan_determinismE0ELb0ES3_N6thrust23THRUST_200600_302600_NS6detail15normal_iteratorINSB_10device_ptrIjEEEENSD_INSE_IS6_EEEESI_S6_NSB_4plusIvEENSB_8equal_toIvEES6_EE10hipError_tPvRmT2_T3_T4_T5_mT6_T7_P12ihipStream_tbENKUlT_T0_E_clISt17integral_constantIbLb0EES12_IbLb1EEEEDaSY_SZ_EUlSY_E_NS1_11comp_targetILNS1_3genE10ELNS1_11target_archE1201ELNS1_3gpuE5ELNS1_3repE0EEENS1_30default_config_static_selectorELNS0_4arch9wavefront6targetE0EEEvT1_.has_indirect_call, 0
	.section	.AMDGPU.csdata,"",@progbits
; Kernel info:
; codeLenInByte = 0
; TotalNumSgprs: 0
; NumVgprs: 0
; ScratchSize: 0
; MemoryBound: 0
; FloatMode: 240
; IeeeMode: 1
; LDSByteSize: 0 bytes/workgroup (compile time only)
; SGPRBlocks: 0
; VGPRBlocks: 0
; NumSGPRsForWavesPerEU: 1
; NumVGPRsForWavesPerEU: 1
; Occupancy: 16
; WaveLimiterHint : 0
; COMPUTE_PGM_RSRC2:SCRATCH_EN: 0
; COMPUTE_PGM_RSRC2:USER_SGPR: 6
; COMPUTE_PGM_RSRC2:TRAP_HANDLER: 0
; COMPUTE_PGM_RSRC2:TGID_X_EN: 1
; COMPUTE_PGM_RSRC2:TGID_Y_EN: 0
; COMPUTE_PGM_RSRC2:TGID_Z_EN: 0
; COMPUTE_PGM_RSRC2:TIDIG_COMP_CNT: 0
	.section	.text._ZN7rocprim17ROCPRIM_400000_NS6detail17trampoline_kernelINS0_14default_configENS1_27scan_by_key_config_selectorIj11FixedVectorIiLj8EEEEZZNS1_16scan_by_key_implILNS1_25lookback_scan_determinismE0ELb0ES3_N6thrust23THRUST_200600_302600_NS6detail15normal_iteratorINSB_10device_ptrIjEEEENSD_INSE_IS6_EEEESI_S6_NSB_4plusIvEENSB_8equal_toIvEES6_EE10hipError_tPvRmT2_T3_T4_T5_mT6_T7_P12ihipStream_tbENKUlT_T0_E_clISt17integral_constantIbLb0EES12_IbLb1EEEEDaSY_SZ_EUlSY_E_NS1_11comp_targetILNS1_3genE5ELNS1_11target_archE942ELNS1_3gpuE9ELNS1_3repE0EEENS1_30default_config_static_selectorELNS0_4arch9wavefront6targetE0EEEvT1_,"axG",@progbits,_ZN7rocprim17ROCPRIM_400000_NS6detail17trampoline_kernelINS0_14default_configENS1_27scan_by_key_config_selectorIj11FixedVectorIiLj8EEEEZZNS1_16scan_by_key_implILNS1_25lookback_scan_determinismE0ELb0ES3_N6thrust23THRUST_200600_302600_NS6detail15normal_iteratorINSB_10device_ptrIjEEEENSD_INSE_IS6_EEEESI_S6_NSB_4plusIvEENSB_8equal_toIvEES6_EE10hipError_tPvRmT2_T3_T4_T5_mT6_T7_P12ihipStream_tbENKUlT_T0_E_clISt17integral_constantIbLb0EES12_IbLb1EEEEDaSY_SZ_EUlSY_E_NS1_11comp_targetILNS1_3genE5ELNS1_11target_archE942ELNS1_3gpuE9ELNS1_3repE0EEENS1_30default_config_static_selectorELNS0_4arch9wavefront6targetE0EEEvT1_,comdat
	.protected	_ZN7rocprim17ROCPRIM_400000_NS6detail17trampoline_kernelINS0_14default_configENS1_27scan_by_key_config_selectorIj11FixedVectorIiLj8EEEEZZNS1_16scan_by_key_implILNS1_25lookback_scan_determinismE0ELb0ES3_N6thrust23THRUST_200600_302600_NS6detail15normal_iteratorINSB_10device_ptrIjEEEENSD_INSE_IS6_EEEESI_S6_NSB_4plusIvEENSB_8equal_toIvEES6_EE10hipError_tPvRmT2_T3_T4_T5_mT6_T7_P12ihipStream_tbENKUlT_T0_E_clISt17integral_constantIbLb0EES12_IbLb1EEEEDaSY_SZ_EUlSY_E_NS1_11comp_targetILNS1_3genE5ELNS1_11target_archE942ELNS1_3gpuE9ELNS1_3repE0EEENS1_30default_config_static_selectorELNS0_4arch9wavefront6targetE0EEEvT1_ ; -- Begin function _ZN7rocprim17ROCPRIM_400000_NS6detail17trampoline_kernelINS0_14default_configENS1_27scan_by_key_config_selectorIj11FixedVectorIiLj8EEEEZZNS1_16scan_by_key_implILNS1_25lookback_scan_determinismE0ELb0ES3_N6thrust23THRUST_200600_302600_NS6detail15normal_iteratorINSB_10device_ptrIjEEEENSD_INSE_IS6_EEEESI_S6_NSB_4plusIvEENSB_8equal_toIvEES6_EE10hipError_tPvRmT2_T3_T4_T5_mT6_T7_P12ihipStream_tbENKUlT_T0_E_clISt17integral_constantIbLb0EES12_IbLb1EEEEDaSY_SZ_EUlSY_E_NS1_11comp_targetILNS1_3genE5ELNS1_11target_archE942ELNS1_3gpuE9ELNS1_3repE0EEENS1_30default_config_static_selectorELNS0_4arch9wavefront6targetE0EEEvT1_
	.globl	_ZN7rocprim17ROCPRIM_400000_NS6detail17trampoline_kernelINS0_14default_configENS1_27scan_by_key_config_selectorIj11FixedVectorIiLj8EEEEZZNS1_16scan_by_key_implILNS1_25lookback_scan_determinismE0ELb0ES3_N6thrust23THRUST_200600_302600_NS6detail15normal_iteratorINSB_10device_ptrIjEEEENSD_INSE_IS6_EEEESI_S6_NSB_4plusIvEENSB_8equal_toIvEES6_EE10hipError_tPvRmT2_T3_T4_T5_mT6_T7_P12ihipStream_tbENKUlT_T0_E_clISt17integral_constantIbLb0EES12_IbLb1EEEEDaSY_SZ_EUlSY_E_NS1_11comp_targetILNS1_3genE5ELNS1_11target_archE942ELNS1_3gpuE9ELNS1_3repE0EEENS1_30default_config_static_selectorELNS0_4arch9wavefront6targetE0EEEvT1_
	.p2align	8
	.type	_ZN7rocprim17ROCPRIM_400000_NS6detail17trampoline_kernelINS0_14default_configENS1_27scan_by_key_config_selectorIj11FixedVectorIiLj8EEEEZZNS1_16scan_by_key_implILNS1_25lookback_scan_determinismE0ELb0ES3_N6thrust23THRUST_200600_302600_NS6detail15normal_iteratorINSB_10device_ptrIjEEEENSD_INSE_IS6_EEEESI_S6_NSB_4plusIvEENSB_8equal_toIvEES6_EE10hipError_tPvRmT2_T3_T4_T5_mT6_T7_P12ihipStream_tbENKUlT_T0_E_clISt17integral_constantIbLb0EES12_IbLb1EEEEDaSY_SZ_EUlSY_E_NS1_11comp_targetILNS1_3genE5ELNS1_11target_archE942ELNS1_3gpuE9ELNS1_3repE0EEENS1_30default_config_static_selectorELNS0_4arch9wavefront6targetE0EEEvT1_,@function
_ZN7rocprim17ROCPRIM_400000_NS6detail17trampoline_kernelINS0_14default_configENS1_27scan_by_key_config_selectorIj11FixedVectorIiLj8EEEEZZNS1_16scan_by_key_implILNS1_25lookback_scan_determinismE0ELb0ES3_N6thrust23THRUST_200600_302600_NS6detail15normal_iteratorINSB_10device_ptrIjEEEENSD_INSE_IS6_EEEESI_S6_NSB_4plusIvEENSB_8equal_toIvEES6_EE10hipError_tPvRmT2_T3_T4_T5_mT6_T7_P12ihipStream_tbENKUlT_T0_E_clISt17integral_constantIbLb0EES12_IbLb1EEEEDaSY_SZ_EUlSY_E_NS1_11comp_targetILNS1_3genE5ELNS1_11target_archE942ELNS1_3gpuE9ELNS1_3repE0EEENS1_30default_config_static_selectorELNS0_4arch9wavefront6targetE0EEEvT1_: ; @_ZN7rocprim17ROCPRIM_400000_NS6detail17trampoline_kernelINS0_14default_configENS1_27scan_by_key_config_selectorIj11FixedVectorIiLj8EEEEZZNS1_16scan_by_key_implILNS1_25lookback_scan_determinismE0ELb0ES3_N6thrust23THRUST_200600_302600_NS6detail15normal_iteratorINSB_10device_ptrIjEEEENSD_INSE_IS6_EEEESI_S6_NSB_4plusIvEENSB_8equal_toIvEES6_EE10hipError_tPvRmT2_T3_T4_T5_mT6_T7_P12ihipStream_tbENKUlT_T0_E_clISt17integral_constantIbLb0EES12_IbLb1EEEEDaSY_SZ_EUlSY_E_NS1_11comp_targetILNS1_3genE5ELNS1_11target_archE942ELNS1_3gpuE9ELNS1_3repE0EEENS1_30default_config_static_selectorELNS0_4arch9wavefront6targetE0EEEvT1_
; %bb.0:
	.section	.rodata,"a",@progbits
	.p2align	6, 0x0
	.amdhsa_kernel _ZN7rocprim17ROCPRIM_400000_NS6detail17trampoline_kernelINS0_14default_configENS1_27scan_by_key_config_selectorIj11FixedVectorIiLj8EEEEZZNS1_16scan_by_key_implILNS1_25lookback_scan_determinismE0ELb0ES3_N6thrust23THRUST_200600_302600_NS6detail15normal_iteratorINSB_10device_ptrIjEEEENSD_INSE_IS6_EEEESI_S6_NSB_4plusIvEENSB_8equal_toIvEES6_EE10hipError_tPvRmT2_T3_T4_T5_mT6_T7_P12ihipStream_tbENKUlT_T0_E_clISt17integral_constantIbLb0EES12_IbLb1EEEEDaSY_SZ_EUlSY_E_NS1_11comp_targetILNS1_3genE5ELNS1_11target_archE942ELNS1_3gpuE9ELNS1_3repE0EEENS1_30default_config_static_selectorELNS0_4arch9wavefront6targetE0EEEvT1_
		.amdhsa_group_segment_fixed_size 0
		.amdhsa_private_segment_fixed_size 0
		.amdhsa_kernarg_size 160
		.amdhsa_user_sgpr_count 6
		.amdhsa_user_sgpr_private_segment_buffer 1
		.amdhsa_user_sgpr_dispatch_ptr 0
		.amdhsa_user_sgpr_queue_ptr 0
		.amdhsa_user_sgpr_kernarg_segment_ptr 1
		.amdhsa_user_sgpr_dispatch_id 0
		.amdhsa_user_sgpr_flat_scratch_init 0
		.amdhsa_user_sgpr_private_segment_size 0
		.amdhsa_wavefront_size32 1
		.amdhsa_uses_dynamic_stack 0
		.amdhsa_system_sgpr_private_segment_wavefront_offset 0
		.amdhsa_system_sgpr_workgroup_id_x 1
		.amdhsa_system_sgpr_workgroup_id_y 0
		.amdhsa_system_sgpr_workgroup_id_z 0
		.amdhsa_system_sgpr_workgroup_info 0
		.amdhsa_system_vgpr_workitem_id 0
		.amdhsa_next_free_vgpr 1
		.amdhsa_next_free_sgpr 1
		.amdhsa_reserve_vcc 0
		.amdhsa_reserve_flat_scratch 0
		.amdhsa_float_round_mode_32 0
		.amdhsa_float_round_mode_16_64 0
		.amdhsa_float_denorm_mode_32 3
		.amdhsa_float_denorm_mode_16_64 3
		.amdhsa_dx10_clamp 1
		.amdhsa_ieee_mode 1
		.amdhsa_fp16_overflow 0
		.amdhsa_workgroup_processor_mode 1
		.amdhsa_memory_ordered 1
		.amdhsa_forward_progress 1
		.amdhsa_shared_vgpr_count 0
		.amdhsa_exception_fp_ieee_invalid_op 0
		.amdhsa_exception_fp_denorm_src 0
		.amdhsa_exception_fp_ieee_div_zero 0
		.amdhsa_exception_fp_ieee_overflow 0
		.amdhsa_exception_fp_ieee_underflow 0
		.amdhsa_exception_fp_ieee_inexact 0
		.amdhsa_exception_int_div_zero 0
	.end_amdhsa_kernel
	.section	.text._ZN7rocprim17ROCPRIM_400000_NS6detail17trampoline_kernelINS0_14default_configENS1_27scan_by_key_config_selectorIj11FixedVectorIiLj8EEEEZZNS1_16scan_by_key_implILNS1_25lookback_scan_determinismE0ELb0ES3_N6thrust23THRUST_200600_302600_NS6detail15normal_iteratorINSB_10device_ptrIjEEEENSD_INSE_IS6_EEEESI_S6_NSB_4plusIvEENSB_8equal_toIvEES6_EE10hipError_tPvRmT2_T3_T4_T5_mT6_T7_P12ihipStream_tbENKUlT_T0_E_clISt17integral_constantIbLb0EES12_IbLb1EEEEDaSY_SZ_EUlSY_E_NS1_11comp_targetILNS1_3genE5ELNS1_11target_archE942ELNS1_3gpuE9ELNS1_3repE0EEENS1_30default_config_static_selectorELNS0_4arch9wavefront6targetE0EEEvT1_,"axG",@progbits,_ZN7rocprim17ROCPRIM_400000_NS6detail17trampoline_kernelINS0_14default_configENS1_27scan_by_key_config_selectorIj11FixedVectorIiLj8EEEEZZNS1_16scan_by_key_implILNS1_25lookback_scan_determinismE0ELb0ES3_N6thrust23THRUST_200600_302600_NS6detail15normal_iteratorINSB_10device_ptrIjEEEENSD_INSE_IS6_EEEESI_S6_NSB_4plusIvEENSB_8equal_toIvEES6_EE10hipError_tPvRmT2_T3_T4_T5_mT6_T7_P12ihipStream_tbENKUlT_T0_E_clISt17integral_constantIbLb0EES12_IbLb1EEEEDaSY_SZ_EUlSY_E_NS1_11comp_targetILNS1_3genE5ELNS1_11target_archE942ELNS1_3gpuE9ELNS1_3repE0EEENS1_30default_config_static_selectorELNS0_4arch9wavefront6targetE0EEEvT1_,comdat
.Lfunc_end2150:
	.size	_ZN7rocprim17ROCPRIM_400000_NS6detail17trampoline_kernelINS0_14default_configENS1_27scan_by_key_config_selectorIj11FixedVectorIiLj8EEEEZZNS1_16scan_by_key_implILNS1_25lookback_scan_determinismE0ELb0ES3_N6thrust23THRUST_200600_302600_NS6detail15normal_iteratorINSB_10device_ptrIjEEEENSD_INSE_IS6_EEEESI_S6_NSB_4plusIvEENSB_8equal_toIvEES6_EE10hipError_tPvRmT2_T3_T4_T5_mT6_T7_P12ihipStream_tbENKUlT_T0_E_clISt17integral_constantIbLb0EES12_IbLb1EEEEDaSY_SZ_EUlSY_E_NS1_11comp_targetILNS1_3genE5ELNS1_11target_archE942ELNS1_3gpuE9ELNS1_3repE0EEENS1_30default_config_static_selectorELNS0_4arch9wavefront6targetE0EEEvT1_, .Lfunc_end2150-_ZN7rocprim17ROCPRIM_400000_NS6detail17trampoline_kernelINS0_14default_configENS1_27scan_by_key_config_selectorIj11FixedVectorIiLj8EEEEZZNS1_16scan_by_key_implILNS1_25lookback_scan_determinismE0ELb0ES3_N6thrust23THRUST_200600_302600_NS6detail15normal_iteratorINSB_10device_ptrIjEEEENSD_INSE_IS6_EEEESI_S6_NSB_4plusIvEENSB_8equal_toIvEES6_EE10hipError_tPvRmT2_T3_T4_T5_mT6_T7_P12ihipStream_tbENKUlT_T0_E_clISt17integral_constantIbLb0EES12_IbLb1EEEEDaSY_SZ_EUlSY_E_NS1_11comp_targetILNS1_3genE5ELNS1_11target_archE942ELNS1_3gpuE9ELNS1_3repE0EEENS1_30default_config_static_selectorELNS0_4arch9wavefront6targetE0EEEvT1_
                                        ; -- End function
	.set _ZN7rocprim17ROCPRIM_400000_NS6detail17trampoline_kernelINS0_14default_configENS1_27scan_by_key_config_selectorIj11FixedVectorIiLj8EEEEZZNS1_16scan_by_key_implILNS1_25lookback_scan_determinismE0ELb0ES3_N6thrust23THRUST_200600_302600_NS6detail15normal_iteratorINSB_10device_ptrIjEEEENSD_INSE_IS6_EEEESI_S6_NSB_4plusIvEENSB_8equal_toIvEES6_EE10hipError_tPvRmT2_T3_T4_T5_mT6_T7_P12ihipStream_tbENKUlT_T0_E_clISt17integral_constantIbLb0EES12_IbLb1EEEEDaSY_SZ_EUlSY_E_NS1_11comp_targetILNS1_3genE5ELNS1_11target_archE942ELNS1_3gpuE9ELNS1_3repE0EEENS1_30default_config_static_selectorELNS0_4arch9wavefront6targetE0EEEvT1_.num_vgpr, 0
	.set _ZN7rocprim17ROCPRIM_400000_NS6detail17trampoline_kernelINS0_14default_configENS1_27scan_by_key_config_selectorIj11FixedVectorIiLj8EEEEZZNS1_16scan_by_key_implILNS1_25lookback_scan_determinismE0ELb0ES3_N6thrust23THRUST_200600_302600_NS6detail15normal_iteratorINSB_10device_ptrIjEEEENSD_INSE_IS6_EEEESI_S6_NSB_4plusIvEENSB_8equal_toIvEES6_EE10hipError_tPvRmT2_T3_T4_T5_mT6_T7_P12ihipStream_tbENKUlT_T0_E_clISt17integral_constantIbLb0EES12_IbLb1EEEEDaSY_SZ_EUlSY_E_NS1_11comp_targetILNS1_3genE5ELNS1_11target_archE942ELNS1_3gpuE9ELNS1_3repE0EEENS1_30default_config_static_selectorELNS0_4arch9wavefront6targetE0EEEvT1_.num_agpr, 0
	.set _ZN7rocprim17ROCPRIM_400000_NS6detail17trampoline_kernelINS0_14default_configENS1_27scan_by_key_config_selectorIj11FixedVectorIiLj8EEEEZZNS1_16scan_by_key_implILNS1_25lookback_scan_determinismE0ELb0ES3_N6thrust23THRUST_200600_302600_NS6detail15normal_iteratorINSB_10device_ptrIjEEEENSD_INSE_IS6_EEEESI_S6_NSB_4plusIvEENSB_8equal_toIvEES6_EE10hipError_tPvRmT2_T3_T4_T5_mT6_T7_P12ihipStream_tbENKUlT_T0_E_clISt17integral_constantIbLb0EES12_IbLb1EEEEDaSY_SZ_EUlSY_E_NS1_11comp_targetILNS1_3genE5ELNS1_11target_archE942ELNS1_3gpuE9ELNS1_3repE0EEENS1_30default_config_static_selectorELNS0_4arch9wavefront6targetE0EEEvT1_.numbered_sgpr, 0
	.set _ZN7rocprim17ROCPRIM_400000_NS6detail17trampoline_kernelINS0_14default_configENS1_27scan_by_key_config_selectorIj11FixedVectorIiLj8EEEEZZNS1_16scan_by_key_implILNS1_25lookback_scan_determinismE0ELb0ES3_N6thrust23THRUST_200600_302600_NS6detail15normal_iteratorINSB_10device_ptrIjEEEENSD_INSE_IS6_EEEESI_S6_NSB_4plusIvEENSB_8equal_toIvEES6_EE10hipError_tPvRmT2_T3_T4_T5_mT6_T7_P12ihipStream_tbENKUlT_T0_E_clISt17integral_constantIbLb0EES12_IbLb1EEEEDaSY_SZ_EUlSY_E_NS1_11comp_targetILNS1_3genE5ELNS1_11target_archE942ELNS1_3gpuE9ELNS1_3repE0EEENS1_30default_config_static_selectorELNS0_4arch9wavefront6targetE0EEEvT1_.num_named_barrier, 0
	.set _ZN7rocprim17ROCPRIM_400000_NS6detail17trampoline_kernelINS0_14default_configENS1_27scan_by_key_config_selectorIj11FixedVectorIiLj8EEEEZZNS1_16scan_by_key_implILNS1_25lookback_scan_determinismE0ELb0ES3_N6thrust23THRUST_200600_302600_NS6detail15normal_iteratorINSB_10device_ptrIjEEEENSD_INSE_IS6_EEEESI_S6_NSB_4plusIvEENSB_8equal_toIvEES6_EE10hipError_tPvRmT2_T3_T4_T5_mT6_T7_P12ihipStream_tbENKUlT_T0_E_clISt17integral_constantIbLb0EES12_IbLb1EEEEDaSY_SZ_EUlSY_E_NS1_11comp_targetILNS1_3genE5ELNS1_11target_archE942ELNS1_3gpuE9ELNS1_3repE0EEENS1_30default_config_static_selectorELNS0_4arch9wavefront6targetE0EEEvT1_.private_seg_size, 0
	.set _ZN7rocprim17ROCPRIM_400000_NS6detail17trampoline_kernelINS0_14default_configENS1_27scan_by_key_config_selectorIj11FixedVectorIiLj8EEEEZZNS1_16scan_by_key_implILNS1_25lookback_scan_determinismE0ELb0ES3_N6thrust23THRUST_200600_302600_NS6detail15normal_iteratorINSB_10device_ptrIjEEEENSD_INSE_IS6_EEEESI_S6_NSB_4plusIvEENSB_8equal_toIvEES6_EE10hipError_tPvRmT2_T3_T4_T5_mT6_T7_P12ihipStream_tbENKUlT_T0_E_clISt17integral_constantIbLb0EES12_IbLb1EEEEDaSY_SZ_EUlSY_E_NS1_11comp_targetILNS1_3genE5ELNS1_11target_archE942ELNS1_3gpuE9ELNS1_3repE0EEENS1_30default_config_static_selectorELNS0_4arch9wavefront6targetE0EEEvT1_.uses_vcc, 0
	.set _ZN7rocprim17ROCPRIM_400000_NS6detail17trampoline_kernelINS0_14default_configENS1_27scan_by_key_config_selectorIj11FixedVectorIiLj8EEEEZZNS1_16scan_by_key_implILNS1_25lookback_scan_determinismE0ELb0ES3_N6thrust23THRUST_200600_302600_NS6detail15normal_iteratorINSB_10device_ptrIjEEEENSD_INSE_IS6_EEEESI_S6_NSB_4plusIvEENSB_8equal_toIvEES6_EE10hipError_tPvRmT2_T3_T4_T5_mT6_T7_P12ihipStream_tbENKUlT_T0_E_clISt17integral_constantIbLb0EES12_IbLb1EEEEDaSY_SZ_EUlSY_E_NS1_11comp_targetILNS1_3genE5ELNS1_11target_archE942ELNS1_3gpuE9ELNS1_3repE0EEENS1_30default_config_static_selectorELNS0_4arch9wavefront6targetE0EEEvT1_.uses_flat_scratch, 0
	.set _ZN7rocprim17ROCPRIM_400000_NS6detail17trampoline_kernelINS0_14default_configENS1_27scan_by_key_config_selectorIj11FixedVectorIiLj8EEEEZZNS1_16scan_by_key_implILNS1_25lookback_scan_determinismE0ELb0ES3_N6thrust23THRUST_200600_302600_NS6detail15normal_iteratorINSB_10device_ptrIjEEEENSD_INSE_IS6_EEEESI_S6_NSB_4plusIvEENSB_8equal_toIvEES6_EE10hipError_tPvRmT2_T3_T4_T5_mT6_T7_P12ihipStream_tbENKUlT_T0_E_clISt17integral_constantIbLb0EES12_IbLb1EEEEDaSY_SZ_EUlSY_E_NS1_11comp_targetILNS1_3genE5ELNS1_11target_archE942ELNS1_3gpuE9ELNS1_3repE0EEENS1_30default_config_static_selectorELNS0_4arch9wavefront6targetE0EEEvT1_.has_dyn_sized_stack, 0
	.set _ZN7rocprim17ROCPRIM_400000_NS6detail17trampoline_kernelINS0_14default_configENS1_27scan_by_key_config_selectorIj11FixedVectorIiLj8EEEEZZNS1_16scan_by_key_implILNS1_25lookback_scan_determinismE0ELb0ES3_N6thrust23THRUST_200600_302600_NS6detail15normal_iteratorINSB_10device_ptrIjEEEENSD_INSE_IS6_EEEESI_S6_NSB_4plusIvEENSB_8equal_toIvEES6_EE10hipError_tPvRmT2_T3_T4_T5_mT6_T7_P12ihipStream_tbENKUlT_T0_E_clISt17integral_constantIbLb0EES12_IbLb1EEEEDaSY_SZ_EUlSY_E_NS1_11comp_targetILNS1_3genE5ELNS1_11target_archE942ELNS1_3gpuE9ELNS1_3repE0EEENS1_30default_config_static_selectorELNS0_4arch9wavefront6targetE0EEEvT1_.has_recursion, 0
	.set _ZN7rocprim17ROCPRIM_400000_NS6detail17trampoline_kernelINS0_14default_configENS1_27scan_by_key_config_selectorIj11FixedVectorIiLj8EEEEZZNS1_16scan_by_key_implILNS1_25lookback_scan_determinismE0ELb0ES3_N6thrust23THRUST_200600_302600_NS6detail15normal_iteratorINSB_10device_ptrIjEEEENSD_INSE_IS6_EEEESI_S6_NSB_4plusIvEENSB_8equal_toIvEES6_EE10hipError_tPvRmT2_T3_T4_T5_mT6_T7_P12ihipStream_tbENKUlT_T0_E_clISt17integral_constantIbLb0EES12_IbLb1EEEEDaSY_SZ_EUlSY_E_NS1_11comp_targetILNS1_3genE5ELNS1_11target_archE942ELNS1_3gpuE9ELNS1_3repE0EEENS1_30default_config_static_selectorELNS0_4arch9wavefront6targetE0EEEvT1_.has_indirect_call, 0
	.section	.AMDGPU.csdata,"",@progbits
; Kernel info:
; codeLenInByte = 0
; TotalNumSgprs: 0
; NumVgprs: 0
; ScratchSize: 0
; MemoryBound: 0
; FloatMode: 240
; IeeeMode: 1
; LDSByteSize: 0 bytes/workgroup (compile time only)
; SGPRBlocks: 0
; VGPRBlocks: 0
; NumSGPRsForWavesPerEU: 1
; NumVGPRsForWavesPerEU: 1
; Occupancy: 16
; WaveLimiterHint : 0
; COMPUTE_PGM_RSRC2:SCRATCH_EN: 0
; COMPUTE_PGM_RSRC2:USER_SGPR: 6
; COMPUTE_PGM_RSRC2:TRAP_HANDLER: 0
; COMPUTE_PGM_RSRC2:TGID_X_EN: 1
; COMPUTE_PGM_RSRC2:TGID_Y_EN: 0
; COMPUTE_PGM_RSRC2:TGID_Z_EN: 0
; COMPUTE_PGM_RSRC2:TIDIG_COMP_CNT: 0
	.section	.text._ZN7rocprim17ROCPRIM_400000_NS6detail17trampoline_kernelINS0_14default_configENS1_27scan_by_key_config_selectorIj11FixedVectorIiLj8EEEEZZNS1_16scan_by_key_implILNS1_25lookback_scan_determinismE0ELb0ES3_N6thrust23THRUST_200600_302600_NS6detail15normal_iteratorINSB_10device_ptrIjEEEENSD_INSE_IS6_EEEESI_S6_NSB_4plusIvEENSB_8equal_toIvEES6_EE10hipError_tPvRmT2_T3_T4_T5_mT6_T7_P12ihipStream_tbENKUlT_T0_E_clISt17integral_constantIbLb0EES12_IbLb1EEEEDaSY_SZ_EUlSY_E_NS1_11comp_targetILNS1_3genE4ELNS1_11target_archE910ELNS1_3gpuE8ELNS1_3repE0EEENS1_30default_config_static_selectorELNS0_4arch9wavefront6targetE0EEEvT1_,"axG",@progbits,_ZN7rocprim17ROCPRIM_400000_NS6detail17trampoline_kernelINS0_14default_configENS1_27scan_by_key_config_selectorIj11FixedVectorIiLj8EEEEZZNS1_16scan_by_key_implILNS1_25lookback_scan_determinismE0ELb0ES3_N6thrust23THRUST_200600_302600_NS6detail15normal_iteratorINSB_10device_ptrIjEEEENSD_INSE_IS6_EEEESI_S6_NSB_4plusIvEENSB_8equal_toIvEES6_EE10hipError_tPvRmT2_T3_T4_T5_mT6_T7_P12ihipStream_tbENKUlT_T0_E_clISt17integral_constantIbLb0EES12_IbLb1EEEEDaSY_SZ_EUlSY_E_NS1_11comp_targetILNS1_3genE4ELNS1_11target_archE910ELNS1_3gpuE8ELNS1_3repE0EEENS1_30default_config_static_selectorELNS0_4arch9wavefront6targetE0EEEvT1_,comdat
	.protected	_ZN7rocprim17ROCPRIM_400000_NS6detail17trampoline_kernelINS0_14default_configENS1_27scan_by_key_config_selectorIj11FixedVectorIiLj8EEEEZZNS1_16scan_by_key_implILNS1_25lookback_scan_determinismE0ELb0ES3_N6thrust23THRUST_200600_302600_NS6detail15normal_iteratorINSB_10device_ptrIjEEEENSD_INSE_IS6_EEEESI_S6_NSB_4plusIvEENSB_8equal_toIvEES6_EE10hipError_tPvRmT2_T3_T4_T5_mT6_T7_P12ihipStream_tbENKUlT_T0_E_clISt17integral_constantIbLb0EES12_IbLb1EEEEDaSY_SZ_EUlSY_E_NS1_11comp_targetILNS1_3genE4ELNS1_11target_archE910ELNS1_3gpuE8ELNS1_3repE0EEENS1_30default_config_static_selectorELNS0_4arch9wavefront6targetE0EEEvT1_ ; -- Begin function _ZN7rocprim17ROCPRIM_400000_NS6detail17trampoline_kernelINS0_14default_configENS1_27scan_by_key_config_selectorIj11FixedVectorIiLj8EEEEZZNS1_16scan_by_key_implILNS1_25lookback_scan_determinismE0ELb0ES3_N6thrust23THRUST_200600_302600_NS6detail15normal_iteratorINSB_10device_ptrIjEEEENSD_INSE_IS6_EEEESI_S6_NSB_4plusIvEENSB_8equal_toIvEES6_EE10hipError_tPvRmT2_T3_T4_T5_mT6_T7_P12ihipStream_tbENKUlT_T0_E_clISt17integral_constantIbLb0EES12_IbLb1EEEEDaSY_SZ_EUlSY_E_NS1_11comp_targetILNS1_3genE4ELNS1_11target_archE910ELNS1_3gpuE8ELNS1_3repE0EEENS1_30default_config_static_selectorELNS0_4arch9wavefront6targetE0EEEvT1_
	.globl	_ZN7rocprim17ROCPRIM_400000_NS6detail17trampoline_kernelINS0_14default_configENS1_27scan_by_key_config_selectorIj11FixedVectorIiLj8EEEEZZNS1_16scan_by_key_implILNS1_25lookback_scan_determinismE0ELb0ES3_N6thrust23THRUST_200600_302600_NS6detail15normal_iteratorINSB_10device_ptrIjEEEENSD_INSE_IS6_EEEESI_S6_NSB_4plusIvEENSB_8equal_toIvEES6_EE10hipError_tPvRmT2_T3_T4_T5_mT6_T7_P12ihipStream_tbENKUlT_T0_E_clISt17integral_constantIbLb0EES12_IbLb1EEEEDaSY_SZ_EUlSY_E_NS1_11comp_targetILNS1_3genE4ELNS1_11target_archE910ELNS1_3gpuE8ELNS1_3repE0EEENS1_30default_config_static_selectorELNS0_4arch9wavefront6targetE0EEEvT1_
	.p2align	8
	.type	_ZN7rocprim17ROCPRIM_400000_NS6detail17trampoline_kernelINS0_14default_configENS1_27scan_by_key_config_selectorIj11FixedVectorIiLj8EEEEZZNS1_16scan_by_key_implILNS1_25lookback_scan_determinismE0ELb0ES3_N6thrust23THRUST_200600_302600_NS6detail15normal_iteratorINSB_10device_ptrIjEEEENSD_INSE_IS6_EEEESI_S6_NSB_4plusIvEENSB_8equal_toIvEES6_EE10hipError_tPvRmT2_T3_T4_T5_mT6_T7_P12ihipStream_tbENKUlT_T0_E_clISt17integral_constantIbLb0EES12_IbLb1EEEEDaSY_SZ_EUlSY_E_NS1_11comp_targetILNS1_3genE4ELNS1_11target_archE910ELNS1_3gpuE8ELNS1_3repE0EEENS1_30default_config_static_selectorELNS0_4arch9wavefront6targetE0EEEvT1_,@function
_ZN7rocprim17ROCPRIM_400000_NS6detail17trampoline_kernelINS0_14default_configENS1_27scan_by_key_config_selectorIj11FixedVectorIiLj8EEEEZZNS1_16scan_by_key_implILNS1_25lookback_scan_determinismE0ELb0ES3_N6thrust23THRUST_200600_302600_NS6detail15normal_iteratorINSB_10device_ptrIjEEEENSD_INSE_IS6_EEEESI_S6_NSB_4plusIvEENSB_8equal_toIvEES6_EE10hipError_tPvRmT2_T3_T4_T5_mT6_T7_P12ihipStream_tbENKUlT_T0_E_clISt17integral_constantIbLb0EES12_IbLb1EEEEDaSY_SZ_EUlSY_E_NS1_11comp_targetILNS1_3genE4ELNS1_11target_archE910ELNS1_3gpuE8ELNS1_3repE0EEENS1_30default_config_static_selectorELNS0_4arch9wavefront6targetE0EEEvT1_: ; @_ZN7rocprim17ROCPRIM_400000_NS6detail17trampoline_kernelINS0_14default_configENS1_27scan_by_key_config_selectorIj11FixedVectorIiLj8EEEEZZNS1_16scan_by_key_implILNS1_25lookback_scan_determinismE0ELb0ES3_N6thrust23THRUST_200600_302600_NS6detail15normal_iteratorINSB_10device_ptrIjEEEENSD_INSE_IS6_EEEESI_S6_NSB_4plusIvEENSB_8equal_toIvEES6_EE10hipError_tPvRmT2_T3_T4_T5_mT6_T7_P12ihipStream_tbENKUlT_T0_E_clISt17integral_constantIbLb0EES12_IbLb1EEEEDaSY_SZ_EUlSY_E_NS1_11comp_targetILNS1_3genE4ELNS1_11target_archE910ELNS1_3gpuE8ELNS1_3repE0EEENS1_30default_config_static_selectorELNS0_4arch9wavefront6targetE0EEEvT1_
; %bb.0:
	.section	.rodata,"a",@progbits
	.p2align	6, 0x0
	.amdhsa_kernel _ZN7rocprim17ROCPRIM_400000_NS6detail17trampoline_kernelINS0_14default_configENS1_27scan_by_key_config_selectorIj11FixedVectorIiLj8EEEEZZNS1_16scan_by_key_implILNS1_25lookback_scan_determinismE0ELb0ES3_N6thrust23THRUST_200600_302600_NS6detail15normal_iteratorINSB_10device_ptrIjEEEENSD_INSE_IS6_EEEESI_S6_NSB_4plusIvEENSB_8equal_toIvEES6_EE10hipError_tPvRmT2_T3_T4_T5_mT6_T7_P12ihipStream_tbENKUlT_T0_E_clISt17integral_constantIbLb0EES12_IbLb1EEEEDaSY_SZ_EUlSY_E_NS1_11comp_targetILNS1_3genE4ELNS1_11target_archE910ELNS1_3gpuE8ELNS1_3repE0EEENS1_30default_config_static_selectorELNS0_4arch9wavefront6targetE0EEEvT1_
		.amdhsa_group_segment_fixed_size 0
		.amdhsa_private_segment_fixed_size 0
		.amdhsa_kernarg_size 160
		.amdhsa_user_sgpr_count 6
		.amdhsa_user_sgpr_private_segment_buffer 1
		.amdhsa_user_sgpr_dispatch_ptr 0
		.amdhsa_user_sgpr_queue_ptr 0
		.amdhsa_user_sgpr_kernarg_segment_ptr 1
		.amdhsa_user_sgpr_dispatch_id 0
		.amdhsa_user_sgpr_flat_scratch_init 0
		.amdhsa_user_sgpr_private_segment_size 0
		.amdhsa_wavefront_size32 1
		.amdhsa_uses_dynamic_stack 0
		.amdhsa_system_sgpr_private_segment_wavefront_offset 0
		.amdhsa_system_sgpr_workgroup_id_x 1
		.amdhsa_system_sgpr_workgroup_id_y 0
		.amdhsa_system_sgpr_workgroup_id_z 0
		.amdhsa_system_sgpr_workgroup_info 0
		.amdhsa_system_vgpr_workitem_id 0
		.amdhsa_next_free_vgpr 1
		.amdhsa_next_free_sgpr 1
		.amdhsa_reserve_vcc 0
		.amdhsa_reserve_flat_scratch 0
		.amdhsa_float_round_mode_32 0
		.amdhsa_float_round_mode_16_64 0
		.amdhsa_float_denorm_mode_32 3
		.amdhsa_float_denorm_mode_16_64 3
		.amdhsa_dx10_clamp 1
		.amdhsa_ieee_mode 1
		.amdhsa_fp16_overflow 0
		.amdhsa_workgroup_processor_mode 1
		.amdhsa_memory_ordered 1
		.amdhsa_forward_progress 1
		.amdhsa_shared_vgpr_count 0
		.amdhsa_exception_fp_ieee_invalid_op 0
		.amdhsa_exception_fp_denorm_src 0
		.amdhsa_exception_fp_ieee_div_zero 0
		.amdhsa_exception_fp_ieee_overflow 0
		.amdhsa_exception_fp_ieee_underflow 0
		.amdhsa_exception_fp_ieee_inexact 0
		.amdhsa_exception_int_div_zero 0
	.end_amdhsa_kernel
	.section	.text._ZN7rocprim17ROCPRIM_400000_NS6detail17trampoline_kernelINS0_14default_configENS1_27scan_by_key_config_selectorIj11FixedVectorIiLj8EEEEZZNS1_16scan_by_key_implILNS1_25lookback_scan_determinismE0ELb0ES3_N6thrust23THRUST_200600_302600_NS6detail15normal_iteratorINSB_10device_ptrIjEEEENSD_INSE_IS6_EEEESI_S6_NSB_4plusIvEENSB_8equal_toIvEES6_EE10hipError_tPvRmT2_T3_T4_T5_mT6_T7_P12ihipStream_tbENKUlT_T0_E_clISt17integral_constantIbLb0EES12_IbLb1EEEEDaSY_SZ_EUlSY_E_NS1_11comp_targetILNS1_3genE4ELNS1_11target_archE910ELNS1_3gpuE8ELNS1_3repE0EEENS1_30default_config_static_selectorELNS0_4arch9wavefront6targetE0EEEvT1_,"axG",@progbits,_ZN7rocprim17ROCPRIM_400000_NS6detail17trampoline_kernelINS0_14default_configENS1_27scan_by_key_config_selectorIj11FixedVectorIiLj8EEEEZZNS1_16scan_by_key_implILNS1_25lookback_scan_determinismE0ELb0ES3_N6thrust23THRUST_200600_302600_NS6detail15normal_iteratorINSB_10device_ptrIjEEEENSD_INSE_IS6_EEEESI_S6_NSB_4plusIvEENSB_8equal_toIvEES6_EE10hipError_tPvRmT2_T3_T4_T5_mT6_T7_P12ihipStream_tbENKUlT_T0_E_clISt17integral_constantIbLb0EES12_IbLb1EEEEDaSY_SZ_EUlSY_E_NS1_11comp_targetILNS1_3genE4ELNS1_11target_archE910ELNS1_3gpuE8ELNS1_3repE0EEENS1_30default_config_static_selectorELNS0_4arch9wavefront6targetE0EEEvT1_,comdat
.Lfunc_end2151:
	.size	_ZN7rocprim17ROCPRIM_400000_NS6detail17trampoline_kernelINS0_14default_configENS1_27scan_by_key_config_selectorIj11FixedVectorIiLj8EEEEZZNS1_16scan_by_key_implILNS1_25lookback_scan_determinismE0ELb0ES3_N6thrust23THRUST_200600_302600_NS6detail15normal_iteratorINSB_10device_ptrIjEEEENSD_INSE_IS6_EEEESI_S6_NSB_4plusIvEENSB_8equal_toIvEES6_EE10hipError_tPvRmT2_T3_T4_T5_mT6_T7_P12ihipStream_tbENKUlT_T0_E_clISt17integral_constantIbLb0EES12_IbLb1EEEEDaSY_SZ_EUlSY_E_NS1_11comp_targetILNS1_3genE4ELNS1_11target_archE910ELNS1_3gpuE8ELNS1_3repE0EEENS1_30default_config_static_selectorELNS0_4arch9wavefront6targetE0EEEvT1_, .Lfunc_end2151-_ZN7rocprim17ROCPRIM_400000_NS6detail17trampoline_kernelINS0_14default_configENS1_27scan_by_key_config_selectorIj11FixedVectorIiLj8EEEEZZNS1_16scan_by_key_implILNS1_25lookback_scan_determinismE0ELb0ES3_N6thrust23THRUST_200600_302600_NS6detail15normal_iteratorINSB_10device_ptrIjEEEENSD_INSE_IS6_EEEESI_S6_NSB_4plusIvEENSB_8equal_toIvEES6_EE10hipError_tPvRmT2_T3_T4_T5_mT6_T7_P12ihipStream_tbENKUlT_T0_E_clISt17integral_constantIbLb0EES12_IbLb1EEEEDaSY_SZ_EUlSY_E_NS1_11comp_targetILNS1_3genE4ELNS1_11target_archE910ELNS1_3gpuE8ELNS1_3repE0EEENS1_30default_config_static_selectorELNS0_4arch9wavefront6targetE0EEEvT1_
                                        ; -- End function
	.set _ZN7rocprim17ROCPRIM_400000_NS6detail17trampoline_kernelINS0_14default_configENS1_27scan_by_key_config_selectorIj11FixedVectorIiLj8EEEEZZNS1_16scan_by_key_implILNS1_25lookback_scan_determinismE0ELb0ES3_N6thrust23THRUST_200600_302600_NS6detail15normal_iteratorINSB_10device_ptrIjEEEENSD_INSE_IS6_EEEESI_S6_NSB_4plusIvEENSB_8equal_toIvEES6_EE10hipError_tPvRmT2_T3_T4_T5_mT6_T7_P12ihipStream_tbENKUlT_T0_E_clISt17integral_constantIbLb0EES12_IbLb1EEEEDaSY_SZ_EUlSY_E_NS1_11comp_targetILNS1_3genE4ELNS1_11target_archE910ELNS1_3gpuE8ELNS1_3repE0EEENS1_30default_config_static_selectorELNS0_4arch9wavefront6targetE0EEEvT1_.num_vgpr, 0
	.set _ZN7rocprim17ROCPRIM_400000_NS6detail17trampoline_kernelINS0_14default_configENS1_27scan_by_key_config_selectorIj11FixedVectorIiLj8EEEEZZNS1_16scan_by_key_implILNS1_25lookback_scan_determinismE0ELb0ES3_N6thrust23THRUST_200600_302600_NS6detail15normal_iteratorINSB_10device_ptrIjEEEENSD_INSE_IS6_EEEESI_S6_NSB_4plusIvEENSB_8equal_toIvEES6_EE10hipError_tPvRmT2_T3_T4_T5_mT6_T7_P12ihipStream_tbENKUlT_T0_E_clISt17integral_constantIbLb0EES12_IbLb1EEEEDaSY_SZ_EUlSY_E_NS1_11comp_targetILNS1_3genE4ELNS1_11target_archE910ELNS1_3gpuE8ELNS1_3repE0EEENS1_30default_config_static_selectorELNS0_4arch9wavefront6targetE0EEEvT1_.num_agpr, 0
	.set _ZN7rocprim17ROCPRIM_400000_NS6detail17trampoline_kernelINS0_14default_configENS1_27scan_by_key_config_selectorIj11FixedVectorIiLj8EEEEZZNS1_16scan_by_key_implILNS1_25lookback_scan_determinismE0ELb0ES3_N6thrust23THRUST_200600_302600_NS6detail15normal_iteratorINSB_10device_ptrIjEEEENSD_INSE_IS6_EEEESI_S6_NSB_4plusIvEENSB_8equal_toIvEES6_EE10hipError_tPvRmT2_T3_T4_T5_mT6_T7_P12ihipStream_tbENKUlT_T0_E_clISt17integral_constantIbLb0EES12_IbLb1EEEEDaSY_SZ_EUlSY_E_NS1_11comp_targetILNS1_3genE4ELNS1_11target_archE910ELNS1_3gpuE8ELNS1_3repE0EEENS1_30default_config_static_selectorELNS0_4arch9wavefront6targetE0EEEvT1_.numbered_sgpr, 0
	.set _ZN7rocprim17ROCPRIM_400000_NS6detail17trampoline_kernelINS0_14default_configENS1_27scan_by_key_config_selectorIj11FixedVectorIiLj8EEEEZZNS1_16scan_by_key_implILNS1_25lookback_scan_determinismE0ELb0ES3_N6thrust23THRUST_200600_302600_NS6detail15normal_iteratorINSB_10device_ptrIjEEEENSD_INSE_IS6_EEEESI_S6_NSB_4plusIvEENSB_8equal_toIvEES6_EE10hipError_tPvRmT2_T3_T4_T5_mT6_T7_P12ihipStream_tbENKUlT_T0_E_clISt17integral_constantIbLb0EES12_IbLb1EEEEDaSY_SZ_EUlSY_E_NS1_11comp_targetILNS1_3genE4ELNS1_11target_archE910ELNS1_3gpuE8ELNS1_3repE0EEENS1_30default_config_static_selectorELNS0_4arch9wavefront6targetE0EEEvT1_.num_named_barrier, 0
	.set _ZN7rocprim17ROCPRIM_400000_NS6detail17trampoline_kernelINS0_14default_configENS1_27scan_by_key_config_selectorIj11FixedVectorIiLj8EEEEZZNS1_16scan_by_key_implILNS1_25lookback_scan_determinismE0ELb0ES3_N6thrust23THRUST_200600_302600_NS6detail15normal_iteratorINSB_10device_ptrIjEEEENSD_INSE_IS6_EEEESI_S6_NSB_4plusIvEENSB_8equal_toIvEES6_EE10hipError_tPvRmT2_T3_T4_T5_mT6_T7_P12ihipStream_tbENKUlT_T0_E_clISt17integral_constantIbLb0EES12_IbLb1EEEEDaSY_SZ_EUlSY_E_NS1_11comp_targetILNS1_3genE4ELNS1_11target_archE910ELNS1_3gpuE8ELNS1_3repE0EEENS1_30default_config_static_selectorELNS0_4arch9wavefront6targetE0EEEvT1_.private_seg_size, 0
	.set _ZN7rocprim17ROCPRIM_400000_NS6detail17trampoline_kernelINS0_14default_configENS1_27scan_by_key_config_selectorIj11FixedVectorIiLj8EEEEZZNS1_16scan_by_key_implILNS1_25lookback_scan_determinismE0ELb0ES3_N6thrust23THRUST_200600_302600_NS6detail15normal_iteratorINSB_10device_ptrIjEEEENSD_INSE_IS6_EEEESI_S6_NSB_4plusIvEENSB_8equal_toIvEES6_EE10hipError_tPvRmT2_T3_T4_T5_mT6_T7_P12ihipStream_tbENKUlT_T0_E_clISt17integral_constantIbLb0EES12_IbLb1EEEEDaSY_SZ_EUlSY_E_NS1_11comp_targetILNS1_3genE4ELNS1_11target_archE910ELNS1_3gpuE8ELNS1_3repE0EEENS1_30default_config_static_selectorELNS0_4arch9wavefront6targetE0EEEvT1_.uses_vcc, 0
	.set _ZN7rocprim17ROCPRIM_400000_NS6detail17trampoline_kernelINS0_14default_configENS1_27scan_by_key_config_selectorIj11FixedVectorIiLj8EEEEZZNS1_16scan_by_key_implILNS1_25lookback_scan_determinismE0ELb0ES3_N6thrust23THRUST_200600_302600_NS6detail15normal_iteratorINSB_10device_ptrIjEEEENSD_INSE_IS6_EEEESI_S6_NSB_4plusIvEENSB_8equal_toIvEES6_EE10hipError_tPvRmT2_T3_T4_T5_mT6_T7_P12ihipStream_tbENKUlT_T0_E_clISt17integral_constantIbLb0EES12_IbLb1EEEEDaSY_SZ_EUlSY_E_NS1_11comp_targetILNS1_3genE4ELNS1_11target_archE910ELNS1_3gpuE8ELNS1_3repE0EEENS1_30default_config_static_selectorELNS0_4arch9wavefront6targetE0EEEvT1_.uses_flat_scratch, 0
	.set _ZN7rocprim17ROCPRIM_400000_NS6detail17trampoline_kernelINS0_14default_configENS1_27scan_by_key_config_selectorIj11FixedVectorIiLj8EEEEZZNS1_16scan_by_key_implILNS1_25lookback_scan_determinismE0ELb0ES3_N6thrust23THRUST_200600_302600_NS6detail15normal_iteratorINSB_10device_ptrIjEEEENSD_INSE_IS6_EEEESI_S6_NSB_4plusIvEENSB_8equal_toIvEES6_EE10hipError_tPvRmT2_T3_T4_T5_mT6_T7_P12ihipStream_tbENKUlT_T0_E_clISt17integral_constantIbLb0EES12_IbLb1EEEEDaSY_SZ_EUlSY_E_NS1_11comp_targetILNS1_3genE4ELNS1_11target_archE910ELNS1_3gpuE8ELNS1_3repE0EEENS1_30default_config_static_selectorELNS0_4arch9wavefront6targetE0EEEvT1_.has_dyn_sized_stack, 0
	.set _ZN7rocprim17ROCPRIM_400000_NS6detail17trampoline_kernelINS0_14default_configENS1_27scan_by_key_config_selectorIj11FixedVectorIiLj8EEEEZZNS1_16scan_by_key_implILNS1_25lookback_scan_determinismE0ELb0ES3_N6thrust23THRUST_200600_302600_NS6detail15normal_iteratorINSB_10device_ptrIjEEEENSD_INSE_IS6_EEEESI_S6_NSB_4plusIvEENSB_8equal_toIvEES6_EE10hipError_tPvRmT2_T3_T4_T5_mT6_T7_P12ihipStream_tbENKUlT_T0_E_clISt17integral_constantIbLb0EES12_IbLb1EEEEDaSY_SZ_EUlSY_E_NS1_11comp_targetILNS1_3genE4ELNS1_11target_archE910ELNS1_3gpuE8ELNS1_3repE0EEENS1_30default_config_static_selectorELNS0_4arch9wavefront6targetE0EEEvT1_.has_recursion, 0
	.set _ZN7rocprim17ROCPRIM_400000_NS6detail17trampoline_kernelINS0_14default_configENS1_27scan_by_key_config_selectorIj11FixedVectorIiLj8EEEEZZNS1_16scan_by_key_implILNS1_25lookback_scan_determinismE0ELb0ES3_N6thrust23THRUST_200600_302600_NS6detail15normal_iteratorINSB_10device_ptrIjEEEENSD_INSE_IS6_EEEESI_S6_NSB_4plusIvEENSB_8equal_toIvEES6_EE10hipError_tPvRmT2_T3_T4_T5_mT6_T7_P12ihipStream_tbENKUlT_T0_E_clISt17integral_constantIbLb0EES12_IbLb1EEEEDaSY_SZ_EUlSY_E_NS1_11comp_targetILNS1_3genE4ELNS1_11target_archE910ELNS1_3gpuE8ELNS1_3repE0EEENS1_30default_config_static_selectorELNS0_4arch9wavefront6targetE0EEEvT1_.has_indirect_call, 0
	.section	.AMDGPU.csdata,"",@progbits
; Kernel info:
; codeLenInByte = 0
; TotalNumSgprs: 0
; NumVgprs: 0
; ScratchSize: 0
; MemoryBound: 0
; FloatMode: 240
; IeeeMode: 1
; LDSByteSize: 0 bytes/workgroup (compile time only)
; SGPRBlocks: 0
; VGPRBlocks: 0
; NumSGPRsForWavesPerEU: 1
; NumVGPRsForWavesPerEU: 1
; Occupancy: 16
; WaveLimiterHint : 0
; COMPUTE_PGM_RSRC2:SCRATCH_EN: 0
; COMPUTE_PGM_RSRC2:USER_SGPR: 6
; COMPUTE_PGM_RSRC2:TRAP_HANDLER: 0
; COMPUTE_PGM_RSRC2:TGID_X_EN: 1
; COMPUTE_PGM_RSRC2:TGID_Y_EN: 0
; COMPUTE_PGM_RSRC2:TGID_Z_EN: 0
; COMPUTE_PGM_RSRC2:TIDIG_COMP_CNT: 0
	.section	.text._ZN7rocprim17ROCPRIM_400000_NS6detail17trampoline_kernelINS0_14default_configENS1_27scan_by_key_config_selectorIj11FixedVectorIiLj8EEEEZZNS1_16scan_by_key_implILNS1_25lookback_scan_determinismE0ELb0ES3_N6thrust23THRUST_200600_302600_NS6detail15normal_iteratorINSB_10device_ptrIjEEEENSD_INSE_IS6_EEEESI_S6_NSB_4plusIvEENSB_8equal_toIvEES6_EE10hipError_tPvRmT2_T3_T4_T5_mT6_T7_P12ihipStream_tbENKUlT_T0_E_clISt17integral_constantIbLb0EES12_IbLb1EEEEDaSY_SZ_EUlSY_E_NS1_11comp_targetILNS1_3genE3ELNS1_11target_archE908ELNS1_3gpuE7ELNS1_3repE0EEENS1_30default_config_static_selectorELNS0_4arch9wavefront6targetE0EEEvT1_,"axG",@progbits,_ZN7rocprim17ROCPRIM_400000_NS6detail17trampoline_kernelINS0_14default_configENS1_27scan_by_key_config_selectorIj11FixedVectorIiLj8EEEEZZNS1_16scan_by_key_implILNS1_25lookback_scan_determinismE0ELb0ES3_N6thrust23THRUST_200600_302600_NS6detail15normal_iteratorINSB_10device_ptrIjEEEENSD_INSE_IS6_EEEESI_S6_NSB_4plusIvEENSB_8equal_toIvEES6_EE10hipError_tPvRmT2_T3_T4_T5_mT6_T7_P12ihipStream_tbENKUlT_T0_E_clISt17integral_constantIbLb0EES12_IbLb1EEEEDaSY_SZ_EUlSY_E_NS1_11comp_targetILNS1_3genE3ELNS1_11target_archE908ELNS1_3gpuE7ELNS1_3repE0EEENS1_30default_config_static_selectorELNS0_4arch9wavefront6targetE0EEEvT1_,comdat
	.protected	_ZN7rocprim17ROCPRIM_400000_NS6detail17trampoline_kernelINS0_14default_configENS1_27scan_by_key_config_selectorIj11FixedVectorIiLj8EEEEZZNS1_16scan_by_key_implILNS1_25lookback_scan_determinismE0ELb0ES3_N6thrust23THRUST_200600_302600_NS6detail15normal_iteratorINSB_10device_ptrIjEEEENSD_INSE_IS6_EEEESI_S6_NSB_4plusIvEENSB_8equal_toIvEES6_EE10hipError_tPvRmT2_T3_T4_T5_mT6_T7_P12ihipStream_tbENKUlT_T0_E_clISt17integral_constantIbLb0EES12_IbLb1EEEEDaSY_SZ_EUlSY_E_NS1_11comp_targetILNS1_3genE3ELNS1_11target_archE908ELNS1_3gpuE7ELNS1_3repE0EEENS1_30default_config_static_selectorELNS0_4arch9wavefront6targetE0EEEvT1_ ; -- Begin function _ZN7rocprim17ROCPRIM_400000_NS6detail17trampoline_kernelINS0_14default_configENS1_27scan_by_key_config_selectorIj11FixedVectorIiLj8EEEEZZNS1_16scan_by_key_implILNS1_25lookback_scan_determinismE0ELb0ES3_N6thrust23THRUST_200600_302600_NS6detail15normal_iteratorINSB_10device_ptrIjEEEENSD_INSE_IS6_EEEESI_S6_NSB_4plusIvEENSB_8equal_toIvEES6_EE10hipError_tPvRmT2_T3_T4_T5_mT6_T7_P12ihipStream_tbENKUlT_T0_E_clISt17integral_constantIbLb0EES12_IbLb1EEEEDaSY_SZ_EUlSY_E_NS1_11comp_targetILNS1_3genE3ELNS1_11target_archE908ELNS1_3gpuE7ELNS1_3repE0EEENS1_30default_config_static_selectorELNS0_4arch9wavefront6targetE0EEEvT1_
	.globl	_ZN7rocprim17ROCPRIM_400000_NS6detail17trampoline_kernelINS0_14default_configENS1_27scan_by_key_config_selectorIj11FixedVectorIiLj8EEEEZZNS1_16scan_by_key_implILNS1_25lookback_scan_determinismE0ELb0ES3_N6thrust23THRUST_200600_302600_NS6detail15normal_iteratorINSB_10device_ptrIjEEEENSD_INSE_IS6_EEEESI_S6_NSB_4plusIvEENSB_8equal_toIvEES6_EE10hipError_tPvRmT2_T3_T4_T5_mT6_T7_P12ihipStream_tbENKUlT_T0_E_clISt17integral_constantIbLb0EES12_IbLb1EEEEDaSY_SZ_EUlSY_E_NS1_11comp_targetILNS1_3genE3ELNS1_11target_archE908ELNS1_3gpuE7ELNS1_3repE0EEENS1_30default_config_static_selectorELNS0_4arch9wavefront6targetE0EEEvT1_
	.p2align	8
	.type	_ZN7rocprim17ROCPRIM_400000_NS6detail17trampoline_kernelINS0_14default_configENS1_27scan_by_key_config_selectorIj11FixedVectorIiLj8EEEEZZNS1_16scan_by_key_implILNS1_25lookback_scan_determinismE0ELb0ES3_N6thrust23THRUST_200600_302600_NS6detail15normal_iteratorINSB_10device_ptrIjEEEENSD_INSE_IS6_EEEESI_S6_NSB_4plusIvEENSB_8equal_toIvEES6_EE10hipError_tPvRmT2_T3_T4_T5_mT6_T7_P12ihipStream_tbENKUlT_T0_E_clISt17integral_constantIbLb0EES12_IbLb1EEEEDaSY_SZ_EUlSY_E_NS1_11comp_targetILNS1_3genE3ELNS1_11target_archE908ELNS1_3gpuE7ELNS1_3repE0EEENS1_30default_config_static_selectorELNS0_4arch9wavefront6targetE0EEEvT1_,@function
_ZN7rocprim17ROCPRIM_400000_NS6detail17trampoline_kernelINS0_14default_configENS1_27scan_by_key_config_selectorIj11FixedVectorIiLj8EEEEZZNS1_16scan_by_key_implILNS1_25lookback_scan_determinismE0ELb0ES3_N6thrust23THRUST_200600_302600_NS6detail15normal_iteratorINSB_10device_ptrIjEEEENSD_INSE_IS6_EEEESI_S6_NSB_4plusIvEENSB_8equal_toIvEES6_EE10hipError_tPvRmT2_T3_T4_T5_mT6_T7_P12ihipStream_tbENKUlT_T0_E_clISt17integral_constantIbLb0EES12_IbLb1EEEEDaSY_SZ_EUlSY_E_NS1_11comp_targetILNS1_3genE3ELNS1_11target_archE908ELNS1_3gpuE7ELNS1_3repE0EEENS1_30default_config_static_selectorELNS0_4arch9wavefront6targetE0EEEvT1_: ; @_ZN7rocprim17ROCPRIM_400000_NS6detail17trampoline_kernelINS0_14default_configENS1_27scan_by_key_config_selectorIj11FixedVectorIiLj8EEEEZZNS1_16scan_by_key_implILNS1_25lookback_scan_determinismE0ELb0ES3_N6thrust23THRUST_200600_302600_NS6detail15normal_iteratorINSB_10device_ptrIjEEEENSD_INSE_IS6_EEEESI_S6_NSB_4plusIvEENSB_8equal_toIvEES6_EE10hipError_tPvRmT2_T3_T4_T5_mT6_T7_P12ihipStream_tbENKUlT_T0_E_clISt17integral_constantIbLb0EES12_IbLb1EEEEDaSY_SZ_EUlSY_E_NS1_11comp_targetILNS1_3genE3ELNS1_11target_archE908ELNS1_3gpuE7ELNS1_3repE0EEENS1_30default_config_static_selectorELNS0_4arch9wavefront6targetE0EEEvT1_
; %bb.0:
	.section	.rodata,"a",@progbits
	.p2align	6, 0x0
	.amdhsa_kernel _ZN7rocprim17ROCPRIM_400000_NS6detail17trampoline_kernelINS0_14default_configENS1_27scan_by_key_config_selectorIj11FixedVectorIiLj8EEEEZZNS1_16scan_by_key_implILNS1_25lookback_scan_determinismE0ELb0ES3_N6thrust23THRUST_200600_302600_NS6detail15normal_iteratorINSB_10device_ptrIjEEEENSD_INSE_IS6_EEEESI_S6_NSB_4plusIvEENSB_8equal_toIvEES6_EE10hipError_tPvRmT2_T3_T4_T5_mT6_T7_P12ihipStream_tbENKUlT_T0_E_clISt17integral_constantIbLb0EES12_IbLb1EEEEDaSY_SZ_EUlSY_E_NS1_11comp_targetILNS1_3genE3ELNS1_11target_archE908ELNS1_3gpuE7ELNS1_3repE0EEENS1_30default_config_static_selectorELNS0_4arch9wavefront6targetE0EEEvT1_
		.amdhsa_group_segment_fixed_size 0
		.amdhsa_private_segment_fixed_size 0
		.amdhsa_kernarg_size 160
		.amdhsa_user_sgpr_count 6
		.amdhsa_user_sgpr_private_segment_buffer 1
		.amdhsa_user_sgpr_dispatch_ptr 0
		.amdhsa_user_sgpr_queue_ptr 0
		.amdhsa_user_sgpr_kernarg_segment_ptr 1
		.amdhsa_user_sgpr_dispatch_id 0
		.amdhsa_user_sgpr_flat_scratch_init 0
		.amdhsa_user_sgpr_private_segment_size 0
		.amdhsa_wavefront_size32 1
		.amdhsa_uses_dynamic_stack 0
		.amdhsa_system_sgpr_private_segment_wavefront_offset 0
		.amdhsa_system_sgpr_workgroup_id_x 1
		.amdhsa_system_sgpr_workgroup_id_y 0
		.amdhsa_system_sgpr_workgroup_id_z 0
		.amdhsa_system_sgpr_workgroup_info 0
		.amdhsa_system_vgpr_workitem_id 0
		.amdhsa_next_free_vgpr 1
		.amdhsa_next_free_sgpr 1
		.amdhsa_reserve_vcc 0
		.amdhsa_reserve_flat_scratch 0
		.amdhsa_float_round_mode_32 0
		.amdhsa_float_round_mode_16_64 0
		.amdhsa_float_denorm_mode_32 3
		.amdhsa_float_denorm_mode_16_64 3
		.amdhsa_dx10_clamp 1
		.amdhsa_ieee_mode 1
		.amdhsa_fp16_overflow 0
		.amdhsa_workgroup_processor_mode 1
		.amdhsa_memory_ordered 1
		.amdhsa_forward_progress 1
		.amdhsa_shared_vgpr_count 0
		.amdhsa_exception_fp_ieee_invalid_op 0
		.amdhsa_exception_fp_denorm_src 0
		.amdhsa_exception_fp_ieee_div_zero 0
		.amdhsa_exception_fp_ieee_overflow 0
		.amdhsa_exception_fp_ieee_underflow 0
		.amdhsa_exception_fp_ieee_inexact 0
		.amdhsa_exception_int_div_zero 0
	.end_amdhsa_kernel
	.section	.text._ZN7rocprim17ROCPRIM_400000_NS6detail17trampoline_kernelINS0_14default_configENS1_27scan_by_key_config_selectorIj11FixedVectorIiLj8EEEEZZNS1_16scan_by_key_implILNS1_25lookback_scan_determinismE0ELb0ES3_N6thrust23THRUST_200600_302600_NS6detail15normal_iteratorINSB_10device_ptrIjEEEENSD_INSE_IS6_EEEESI_S6_NSB_4plusIvEENSB_8equal_toIvEES6_EE10hipError_tPvRmT2_T3_T4_T5_mT6_T7_P12ihipStream_tbENKUlT_T0_E_clISt17integral_constantIbLb0EES12_IbLb1EEEEDaSY_SZ_EUlSY_E_NS1_11comp_targetILNS1_3genE3ELNS1_11target_archE908ELNS1_3gpuE7ELNS1_3repE0EEENS1_30default_config_static_selectorELNS0_4arch9wavefront6targetE0EEEvT1_,"axG",@progbits,_ZN7rocprim17ROCPRIM_400000_NS6detail17trampoline_kernelINS0_14default_configENS1_27scan_by_key_config_selectorIj11FixedVectorIiLj8EEEEZZNS1_16scan_by_key_implILNS1_25lookback_scan_determinismE0ELb0ES3_N6thrust23THRUST_200600_302600_NS6detail15normal_iteratorINSB_10device_ptrIjEEEENSD_INSE_IS6_EEEESI_S6_NSB_4plusIvEENSB_8equal_toIvEES6_EE10hipError_tPvRmT2_T3_T4_T5_mT6_T7_P12ihipStream_tbENKUlT_T0_E_clISt17integral_constantIbLb0EES12_IbLb1EEEEDaSY_SZ_EUlSY_E_NS1_11comp_targetILNS1_3genE3ELNS1_11target_archE908ELNS1_3gpuE7ELNS1_3repE0EEENS1_30default_config_static_selectorELNS0_4arch9wavefront6targetE0EEEvT1_,comdat
.Lfunc_end2152:
	.size	_ZN7rocprim17ROCPRIM_400000_NS6detail17trampoline_kernelINS0_14default_configENS1_27scan_by_key_config_selectorIj11FixedVectorIiLj8EEEEZZNS1_16scan_by_key_implILNS1_25lookback_scan_determinismE0ELb0ES3_N6thrust23THRUST_200600_302600_NS6detail15normal_iteratorINSB_10device_ptrIjEEEENSD_INSE_IS6_EEEESI_S6_NSB_4plusIvEENSB_8equal_toIvEES6_EE10hipError_tPvRmT2_T3_T4_T5_mT6_T7_P12ihipStream_tbENKUlT_T0_E_clISt17integral_constantIbLb0EES12_IbLb1EEEEDaSY_SZ_EUlSY_E_NS1_11comp_targetILNS1_3genE3ELNS1_11target_archE908ELNS1_3gpuE7ELNS1_3repE0EEENS1_30default_config_static_selectorELNS0_4arch9wavefront6targetE0EEEvT1_, .Lfunc_end2152-_ZN7rocprim17ROCPRIM_400000_NS6detail17trampoline_kernelINS0_14default_configENS1_27scan_by_key_config_selectorIj11FixedVectorIiLj8EEEEZZNS1_16scan_by_key_implILNS1_25lookback_scan_determinismE0ELb0ES3_N6thrust23THRUST_200600_302600_NS6detail15normal_iteratorINSB_10device_ptrIjEEEENSD_INSE_IS6_EEEESI_S6_NSB_4plusIvEENSB_8equal_toIvEES6_EE10hipError_tPvRmT2_T3_T4_T5_mT6_T7_P12ihipStream_tbENKUlT_T0_E_clISt17integral_constantIbLb0EES12_IbLb1EEEEDaSY_SZ_EUlSY_E_NS1_11comp_targetILNS1_3genE3ELNS1_11target_archE908ELNS1_3gpuE7ELNS1_3repE0EEENS1_30default_config_static_selectorELNS0_4arch9wavefront6targetE0EEEvT1_
                                        ; -- End function
	.set _ZN7rocprim17ROCPRIM_400000_NS6detail17trampoline_kernelINS0_14default_configENS1_27scan_by_key_config_selectorIj11FixedVectorIiLj8EEEEZZNS1_16scan_by_key_implILNS1_25lookback_scan_determinismE0ELb0ES3_N6thrust23THRUST_200600_302600_NS6detail15normal_iteratorINSB_10device_ptrIjEEEENSD_INSE_IS6_EEEESI_S6_NSB_4plusIvEENSB_8equal_toIvEES6_EE10hipError_tPvRmT2_T3_T4_T5_mT6_T7_P12ihipStream_tbENKUlT_T0_E_clISt17integral_constantIbLb0EES12_IbLb1EEEEDaSY_SZ_EUlSY_E_NS1_11comp_targetILNS1_3genE3ELNS1_11target_archE908ELNS1_3gpuE7ELNS1_3repE0EEENS1_30default_config_static_selectorELNS0_4arch9wavefront6targetE0EEEvT1_.num_vgpr, 0
	.set _ZN7rocprim17ROCPRIM_400000_NS6detail17trampoline_kernelINS0_14default_configENS1_27scan_by_key_config_selectorIj11FixedVectorIiLj8EEEEZZNS1_16scan_by_key_implILNS1_25lookback_scan_determinismE0ELb0ES3_N6thrust23THRUST_200600_302600_NS6detail15normal_iteratorINSB_10device_ptrIjEEEENSD_INSE_IS6_EEEESI_S6_NSB_4plusIvEENSB_8equal_toIvEES6_EE10hipError_tPvRmT2_T3_T4_T5_mT6_T7_P12ihipStream_tbENKUlT_T0_E_clISt17integral_constantIbLb0EES12_IbLb1EEEEDaSY_SZ_EUlSY_E_NS1_11comp_targetILNS1_3genE3ELNS1_11target_archE908ELNS1_3gpuE7ELNS1_3repE0EEENS1_30default_config_static_selectorELNS0_4arch9wavefront6targetE0EEEvT1_.num_agpr, 0
	.set _ZN7rocprim17ROCPRIM_400000_NS6detail17trampoline_kernelINS0_14default_configENS1_27scan_by_key_config_selectorIj11FixedVectorIiLj8EEEEZZNS1_16scan_by_key_implILNS1_25lookback_scan_determinismE0ELb0ES3_N6thrust23THRUST_200600_302600_NS6detail15normal_iteratorINSB_10device_ptrIjEEEENSD_INSE_IS6_EEEESI_S6_NSB_4plusIvEENSB_8equal_toIvEES6_EE10hipError_tPvRmT2_T3_T4_T5_mT6_T7_P12ihipStream_tbENKUlT_T0_E_clISt17integral_constantIbLb0EES12_IbLb1EEEEDaSY_SZ_EUlSY_E_NS1_11comp_targetILNS1_3genE3ELNS1_11target_archE908ELNS1_3gpuE7ELNS1_3repE0EEENS1_30default_config_static_selectorELNS0_4arch9wavefront6targetE0EEEvT1_.numbered_sgpr, 0
	.set _ZN7rocprim17ROCPRIM_400000_NS6detail17trampoline_kernelINS0_14default_configENS1_27scan_by_key_config_selectorIj11FixedVectorIiLj8EEEEZZNS1_16scan_by_key_implILNS1_25lookback_scan_determinismE0ELb0ES3_N6thrust23THRUST_200600_302600_NS6detail15normal_iteratorINSB_10device_ptrIjEEEENSD_INSE_IS6_EEEESI_S6_NSB_4plusIvEENSB_8equal_toIvEES6_EE10hipError_tPvRmT2_T3_T4_T5_mT6_T7_P12ihipStream_tbENKUlT_T0_E_clISt17integral_constantIbLb0EES12_IbLb1EEEEDaSY_SZ_EUlSY_E_NS1_11comp_targetILNS1_3genE3ELNS1_11target_archE908ELNS1_3gpuE7ELNS1_3repE0EEENS1_30default_config_static_selectorELNS0_4arch9wavefront6targetE0EEEvT1_.num_named_barrier, 0
	.set _ZN7rocprim17ROCPRIM_400000_NS6detail17trampoline_kernelINS0_14default_configENS1_27scan_by_key_config_selectorIj11FixedVectorIiLj8EEEEZZNS1_16scan_by_key_implILNS1_25lookback_scan_determinismE0ELb0ES3_N6thrust23THRUST_200600_302600_NS6detail15normal_iteratorINSB_10device_ptrIjEEEENSD_INSE_IS6_EEEESI_S6_NSB_4plusIvEENSB_8equal_toIvEES6_EE10hipError_tPvRmT2_T3_T4_T5_mT6_T7_P12ihipStream_tbENKUlT_T0_E_clISt17integral_constantIbLb0EES12_IbLb1EEEEDaSY_SZ_EUlSY_E_NS1_11comp_targetILNS1_3genE3ELNS1_11target_archE908ELNS1_3gpuE7ELNS1_3repE0EEENS1_30default_config_static_selectorELNS0_4arch9wavefront6targetE0EEEvT1_.private_seg_size, 0
	.set _ZN7rocprim17ROCPRIM_400000_NS6detail17trampoline_kernelINS0_14default_configENS1_27scan_by_key_config_selectorIj11FixedVectorIiLj8EEEEZZNS1_16scan_by_key_implILNS1_25lookback_scan_determinismE0ELb0ES3_N6thrust23THRUST_200600_302600_NS6detail15normal_iteratorINSB_10device_ptrIjEEEENSD_INSE_IS6_EEEESI_S6_NSB_4plusIvEENSB_8equal_toIvEES6_EE10hipError_tPvRmT2_T3_T4_T5_mT6_T7_P12ihipStream_tbENKUlT_T0_E_clISt17integral_constantIbLb0EES12_IbLb1EEEEDaSY_SZ_EUlSY_E_NS1_11comp_targetILNS1_3genE3ELNS1_11target_archE908ELNS1_3gpuE7ELNS1_3repE0EEENS1_30default_config_static_selectorELNS0_4arch9wavefront6targetE0EEEvT1_.uses_vcc, 0
	.set _ZN7rocprim17ROCPRIM_400000_NS6detail17trampoline_kernelINS0_14default_configENS1_27scan_by_key_config_selectorIj11FixedVectorIiLj8EEEEZZNS1_16scan_by_key_implILNS1_25lookback_scan_determinismE0ELb0ES3_N6thrust23THRUST_200600_302600_NS6detail15normal_iteratorINSB_10device_ptrIjEEEENSD_INSE_IS6_EEEESI_S6_NSB_4plusIvEENSB_8equal_toIvEES6_EE10hipError_tPvRmT2_T3_T4_T5_mT6_T7_P12ihipStream_tbENKUlT_T0_E_clISt17integral_constantIbLb0EES12_IbLb1EEEEDaSY_SZ_EUlSY_E_NS1_11comp_targetILNS1_3genE3ELNS1_11target_archE908ELNS1_3gpuE7ELNS1_3repE0EEENS1_30default_config_static_selectorELNS0_4arch9wavefront6targetE0EEEvT1_.uses_flat_scratch, 0
	.set _ZN7rocprim17ROCPRIM_400000_NS6detail17trampoline_kernelINS0_14default_configENS1_27scan_by_key_config_selectorIj11FixedVectorIiLj8EEEEZZNS1_16scan_by_key_implILNS1_25lookback_scan_determinismE0ELb0ES3_N6thrust23THRUST_200600_302600_NS6detail15normal_iteratorINSB_10device_ptrIjEEEENSD_INSE_IS6_EEEESI_S6_NSB_4plusIvEENSB_8equal_toIvEES6_EE10hipError_tPvRmT2_T3_T4_T5_mT6_T7_P12ihipStream_tbENKUlT_T0_E_clISt17integral_constantIbLb0EES12_IbLb1EEEEDaSY_SZ_EUlSY_E_NS1_11comp_targetILNS1_3genE3ELNS1_11target_archE908ELNS1_3gpuE7ELNS1_3repE0EEENS1_30default_config_static_selectorELNS0_4arch9wavefront6targetE0EEEvT1_.has_dyn_sized_stack, 0
	.set _ZN7rocprim17ROCPRIM_400000_NS6detail17trampoline_kernelINS0_14default_configENS1_27scan_by_key_config_selectorIj11FixedVectorIiLj8EEEEZZNS1_16scan_by_key_implILNS1_25lookback_scan_determinismE0ELb0ES3_N6thrust23THRUST_200600_302600_NS6detail15normal_iteratorINSB_10device_ptrIjEEEENSD_INSE_IS6_EEEESI_S6_NSB_4plusIvEENSB_8equal_toIvEES6_EE10hipError_tPvRmT2_T3_T4_T5_mT6_T7_P12ihipStream_tbENKUlT_T0_E_clISt17integral_constantIbLb0EES12_IbLb1EEEEDaSY_SZ_EUlSY_E_NS1_11comp_targetILNS1_3genE3ELNS1_11target_archE908ELNS1_3gpuE7ELNS1_3repE0EEENS1_30default_config_static_selectorELNS0_4arch9wavefront6targetE0EEEvT1_.has_recursion, 0
	.set _ZN7rocprim17ROCPRIM_400000_NS6detail17trampoline_kernelINS0_14default_configENS1_27scan_by_key_config_selectorIj11FixedVectorIiLj8EEEEZZNS1_16scan_by_key_implILNS1_25lookback_scan_determinismE0ELb0ES3_N6thrust23THRUST_200600_302600_NS6detail15normal_iteratorINSB_10device_ptrIjEEEENSD_INSE_IS6_EEEESI_S6_NSB_4plusIvEENSB_8equal_toIvEES6_EE10hipError_tPvRmT2_T3_T4_T5_mT6_T7_P12ihipStream_tbENKUlT_T0_E_clISt17integral_constantIbLb0EES12_IbLb1EEEEDaSY_SZ_EUlSY_E_NS1_11comp_targetILNS1_3genE3ELNS1_11target_archE908ELNS1_3gpuE7ELNS1_3repE0EEENS1_30default_config_static_selectorELNS0_4arch9wavefront6targetE0EEEvT1_.has_indirect_call, 0
	.section	.AMDGPU.csdata,"",@progbits
; Kernel info:
; codeLenInByte = 0
; TotalNumSgprs: 0
; NumVgprs: 0
; ScratchSize: 0
; MemoryBound: 0
; FloatMode: 240
; IeeeMode: 1
; LDSByteSize: 0 bytes/workgroup (compile time only)
; SGPRBlocks: 0
; VGPRBlocks: 0
; NumSGPRsForWavesPerEU: 1
; NumVGPRsForWavesPerEU: 1
; Occupancy: 16
; WaveLimiterHint : 0
; COMPUTE_PGM_RSRC2:SCRATCH_EN: 0
; COMPUTE_PGM_RSRC2:USER_SGPR: 6
; COMPUTE_PGM_RSRC2:TRAP_HANDLER: 0
; COMPUTE_PGM_RSRC2:TGID_X_EN: 1
; COMPUTE_PGM_RSRC2:TGID_Y_EN: 0
; COMPUTE_PGM_RSRC2:TGID_Z_EN: 0
; COMPUTE_PGM_RSRC2:TIDIG_COMP_CNT: 0
	.section	.text._ZN7rocprim17ROCPRIM_400000_NS6detail17trampoline_kernelINS0_14default_configENS1_27scan_by_key_config_selectorIj11FixedVectorIiLj8EEEEZZNS1_16scan_by_key_implILNS1_25lookback_scan_determinismE0ELb0ES3_N6thrust23THRUST_200600_302600_NS6detail15normal_iteratorINSB_10device_ptrIjEEEENSD_INSE_IS6_EEEESI_S6_NSB_4plusIvEENSB_8equal_toIvEES6_EE10hipError_tPvRmT2_T3_T4_T5_mT6_T7_P12ihipStream_tbENKUlT_T0_E_clISt17integral_constantIbLb0EES12_IbLb1EEEEDaSY_SZ_EUlSY_E_NS1_11comp_targetILNS1_3genE2ELNS1_11target_archE906ELNS1_3gpuE6ELNS1_3repE0EEENS1_30default_config_static_selectorELNS0_4arch9wavefront6targetE0EEEvT1_,"axG",@progbits,_ZN7rocprim17ROCPRIM_400000_NS6detail17trampoline_kernelINS0_14default_configENS1_27scan_by_key_config_selectorIj11FixedVectorIiLj8EEEEZZNS1_16scan_by_key_implILNS1_25lookback_scan_determinismE0ELb0ES3_N6thrust23THRUST_200600_302600_NS6detail15normal_iteratorINSB_10device_ptrIjEEEENSD_INSE_IS6_EEEESI_S6_NSB_4plusIvEENSB_8equal_toIvEES6_EE10hipError_tPvRmT2_T3_T4_T5_mT6_T7_P12ihipStream_tbENKUlT_T0_E_clISt17integral_constantIbLb0EES12_IbLb1EEEEDaSY_SZ_EUlSY_E_NS1_11comp_targetILNS1_3genE2ELNS1_11target_archE906ELNS1_3gpuE6ELNS1_3repE0EEENS1_30default_config_static_selectorELNS0_4arch9wavefront6targetE0EEEvT1_,comdat
	.protected	_ZN7rocprim17ROCPRIM_400000_NS6detail17trampoline_kernelINS0_14default_configENS1_27scan_by_key_config_selectorIj11FixedVectorIiLj8EEEEZZNS1_16scan_by_key_implILNS1_25lookback_scan_determinismE0ELb0ES3_N6thrust23THRUST_200600_302600_NS6detail15normal_iteratorINSB_10device_ptrIjEEEENSD_INSE_IS6_EEEESI_S6_NSB_4plusIvEENSB_8equal_toIvEES6_EE10hipError_tPvRmT2_T3_T4_T5_mT6_T7_P12ihipStream_tbENKUlT_T0_E_clISt17integral_constantIbLb0EES12_IbLb1EEEEDaSY_SZ_EUlSY_E_NS1_11comp_targetILNS1_3genE2ELNS1_11target_archE906ELNS1_3gpuE6ELNS1_3repE0EEENS1_30default_config_static_selectorELNS0_4arch9wavefront6targetE0EEEvT1_ ; -- Begin function _ZN7rocprim17ROCPRIM_400000_NS6detail17trampoline_kernelINS0_14default_configENS1_27scan_by_key_config_selectorIj11FixedVectorIiLj8EEEEZZNS1_16scan_by_key_implILNS1_25lookback_scan_determinismE0ELb0ES3_N6thrust23THRUST_200600_302600_NS6detail15normal_iteratorINSB_10device_ptrIjEEEENSD_INSE_IS6_EEEESI_S6_NSB_4plusIvEENSB_8equal_toIvEES6_EE10hipError_tPvRmT2_T3_T4_T5_mT6_T7_P12ihipStream_tbENKUlT_T0_E_clISt17integral_constantIbLb0EES12_IbLb1EEEEDaSY_SZ_EUlSY_E_NS1_11comp_targetILNS1_3genE2ELNS1_11target_archE906ELNS1_3gpuE6ELNS1_3repE0EEENS1_30default_config_static_selectorELNS0_4arch9wavefront6targetE0EEEvT1_
	.globl	_ZN7rocprim17ROCPRIM_400000_NS6detail17trampoline_kernelINS0_14default_configENS1_27scan_by_key_config_selectorIj11FixedVectorIiLj8EEEEZZNS1_16scan_by_key_implILNS1_25lookback_scan_determinismE0ELb0ES3_N6thrust23THRUST_200600_302600_NS6detail15normal_iteratorINSB_10device_ptrIjEEEENSD_INSE_IS6_EEEESI_S6_NSB_4plusIvEENSB_8equal_toIvEES6_EE10hipError_tPvRmT2_T3_T4_T5_mT6_T7_P12ihipStream_tbENKUlT_T0_E_clISt17integral_constantIbLb0EES12_IbLb1EEEEDaSY_SZ_EUlSY_E_NS1_11comp_targetILNS1_3genE2ELNS1_11target_archE906ELNS1_3gpuE6ELNS1_3repE0EEENS1_30default_config_static_selectorELNS0_4arch9wavefront6targetE0EEEvT1_
	.p2align	8
	.type	_ZN7rocprim17ROCPRIM_400000_NS6detail17trampoline_kernelINS0_14default_configENS1_27scan_by_key_config_selectorIj11FixedVectorIiLj8EEEEZZNS1_16scan_by_key_implILNS1_25lookback_scan_determinismE0ELb0ES3_N6thrust23THRUST_200600_302600_NS6detail15normal_iteratorINSB_10device_ptrIjEEEENSD_INSE_IS6_EEEESI_S6_NSB_4plusIvEENSB_8equal_toIvEES6_EE10hipError_tPvRmT2_T3_T4_T5_mT6_T7_P12ihipStream_tbENKUlT_T0_E_clISt17integral_constantIbLb0EES12_IbLb1EEEEDaSY_SZ_EUlSY_E_NS1_11comp_targetILNS1_3genE2ELNS1_11target_archE906ELNS1_3gpuE6ELNS1_3repE0EEENS1_30default_config_static_selectorELNS0_4arch9wavefront6targetE0EEEvT1_,@function
_ZN7rocprim17ROCPRIM_400000_NS6detail17trampoline_kernelINS0_14default_configENS1_27scan_by_key_config_selectorIj11FixedVectorIiLj8EEEEZZNS1_16scan_by_key_implILNS1_25lookback_scan_determinismE0ELb0ES3_N6thrust23THRUST_200600_302600_NS6detail15normal_iteratorINSB_10device_ptrIjEEEENSD_INSE_IS6_EEEESI_S6_NSB_4plusIvEENSB_8equal_toIvEES6_EE10hipError_tPvRmT2_T3_T4_T5_mT6_T7_P12ihipStream_tbENKUlT_T0_E_clISt17integral_constantIbLb0EES12_IbLb1EEEEDaSY_SZ_EUlSY_E_NS1_11comp_targetILNS1_3genE2ELNS1_11target_archE906ELNS1_3gpuE6ELNS1_3repE0EEENS1_30default_config_static_selectorELNS0_4arch9wavefront6targetE0EEEvT1_: ; @_ZN7rocprim17ROCPRIM_400000_NS6detail17trampoline_kernelINS0_14default_configENS1_27scan_by_key_config_selectorIj11FixedVectorIiLj8EEEEZZNS1_16scan_by_key_implILNS1_25lookback_scan_determinismE0ELb0ES3_N6thrust23THRUST_200600_302600_NS6detail15normal_iteratorINSB_10device_ptrIjEEEENSD_INSE_IS6_EEEESI_S6_NSB_4plusIvEENSB_8equal_toIvEES6_EE10hipError_tPvRmT2_T3_T4_T5_mT6_T7_P12ihipStream_tbENKUlT_T0_E_clISt17integral_constantIbLb0EES12_IbLb1EEEEDaSY_SZ_EUlSY_E_NS1_11comp_targetILNS1_3genE2ELNS1_11target_archE906ELNS1_3gpuE6ELNS1_3repE0EEENS1_30default_config_static_selectorELNS0_4arch9wavefront6targetE0EEEvT1_
; %bb.0:
	.section	.rodata,"a",@progbits
	.p2align	6, 0x0
	.amdhsa_kernel _ZN7rocprim17ROCPRIM_400000_NS6detail17trampoline_kernelINS0_14default_configENS1_27scan_by_key_config_selectorIj11FixedVectorIiLj8EEEEZZNS1_16scan_by_key_implILNS1_25lookback_scan_determinismE0ELb0ES3_N6thrust23THRUST_200600_302600_NS6detail15normal_iteratorINSB_10device_ptrIjEEEENSD_INSE_IS6_EEEESI_S6_NSB_4plusIvEENSB_8equal_toIvEES6_EE10hipError_tPvRmT2_T3_T4_T5_mT6_T7_P12ihipStream_tbENKUlT_T0_E_clISt17integral_constantIbLb0EES12_IbLb1EEEEDaSY_SZ_EUlSY_E_NS1_11comp_targetILNS1_3genE2ELNS1_11target_archE906ELNS1_3gpuE6ELNS1_3repE0EEENS1_30default_config_static_selectorELNS0_4arch9wavefront6targetE0EEEvT1_
		.amdhsa_group_segment_fixed_size 0
		.amdhsa_private_segment_fixed_size 0
		.amdhsa_kernarg_size 160
		.amdhsa_user_sgpr_count 6
		.amdhsa_user_sgpr_private_segment_buffer 1
		.amdhsa_user_sgpr_dispatch_ptr 0
		.amdhsa_user_sgpr_queue_ptr 0
		.amdhsa_user_sgpr_kernarg_segment_ptr 1
		.amdhsa_user_sgpr_dispatch_id 0
		.amdhsa_user_sgpr_flat_scratch_init 0
		.amdhsa_user_sgpr_private_segment_size 0
		.amdhsa_wavefront_size32 1
		.amdhsa_uses_dynamic_stack 0
		.amdhsa_system_sgpr_private_segment_wavefront_offset 0
		.amdhsa_system_sgpr_workgroup_id_x 1
		.amdhsa_system_sgpr_workgroup_id_y 0
		.amdhsa_system_sgpr_workgroup_id_z 0
		.amdhsa_system_sgpr_workgroup_info 0
		.amdhsa_system_vgpr_workitem_id 0
		.amdhsa_next_free_vgpr 1
		.amdhsa_next_free_sgpr 1
		.amdhsa_reserve_vcc 0
		.amdhsa_reserve_flat_scratch 0
		.amdhsa_float_round_mode_32 0
		.amdhsa_float_round_mode_16_64 0
		.amdhsa_float_denorm_mode_32 3
		.amdhsa_float_denorm_mode_16_64 3
		.amdhsa_dx10_clamp 1
		.amdhsa_ieee_mode 1
		.amdhsa_fp16_overflow 0
		.amdhsa_workgroup_processor_mode 1
		.amdhsa_memory_ordered 1
		.amdhsa_forward_progress 1
		.amdhsa_shared_vgpr_count 0
		.amdhsa_exception_fp_ieee_invalid_op 0
		.amdhsa_exception_fp_denorm_src 0
		.amdhsa_exception_fp_ieee_div_zero 0
		.amdhsa_exception_fp_ieee_overflow 0
		.amdhsa_exception_fp_ieee_underflow 0
		.amdhsa_exception_fp_ieee_inexact 0
		.amdhsa_exception_int_div_zero 0
	.end_amdhsa_kernel
	.section	.text._ZN7rocprim17ROCPRIM_400000_NS6detail17trampoline_kernelINS0_14default_configENS1_27scan_by_key_config_selectorIj11FixedVectorIiLj8EEEEZZNS1_16scan_by_key_implILNS1_25lookback_scan_determinismE0ELb0ES3_N6thrust23THRUST_200600_302600_NS6detail15normal_iteratorINSB_10device_ptrIjEEEENSD_INSE_IS6_EEEESI_S6_NSB_4plusIvEENSB_8equal_toIvEES6_EE10hipError_tPvRmT2_T3_T4_T5_mT6_T7_P12ihipStream_tbENKUlT_T0_E_clISt17integral_constantIbLb0EES12_IbLb1EEEEDaSY_SZ_EUlSY_E_NS1_11comp_targetILNS1_3genE2ELNS1_11target_archE906ELNS1_3gpuE6ELNS1_3repE0EEENS1_30default_config_static_selectorELNS0_4arch9wavefront6targetE0EEEvT1_,"axG",@progbits,_ZN7rocprim17ROCPRIM_400000_NS6detail17trampoline_kernelINS0_14default_configENS1_27scan_by_key_config_selectorIj11FixedVectorIiLj8EEEEZZNS1_16scan_by_key_implILNS1_25lookback_scan_determinismE0ELb0ES3_N6thrust23THRUST_200600_302600_NS6detail15normal_iteratorINSB_10device_ptrIjEEEENSD_INSE_IS6_EEEESI_S6_NSB_4plusIvEENSB_8equal_toIvEES6_EE10hipError_tPvRmT2_T3_T4_T5_mT6_T7_P12ihipStream_tbENKUlT_T0_E_clISt17integral_constantIbLb0EES12_IbLb1EEEEDaSY_SZ_EUlSY_E_NS1_11comp_targetILNS1_3genE2ELNS1_11target_archE906ELNS1_3gpuE6ELNS1_3repE0EEENS1_30default_config_static_selectorELNS0_4arch9wavefront6targetE0EEEvT1_,comdat
.Lfunc_end2153:
	.size	_ZN7rocprim17ROCPRIM_400000_NS6detail17trampoline_kernelINS0_14default_configENS1_27scan_by_key_config_selectorIj11FixedVectorIiLj8EEEEZZNS1_16scan_by_key_implILNS1_25lookback_scan_determinismE0ELb0ES3_N6thrust23THRUST_200600_302600_NS6detail15normal_iteratorINSB_10device_ptrIjEEEENSD_INSE_IS6_EEEESI_S6_NSB_4plusIvEENSB_8equal_toIvEES6_EE10hipError_tPvRmT2_T3_T4_T5_mT6_T7_P12ihipStream_tbENKUlT_T0_E_clISt17integral_constantIbLb0EES12_IbLb1EEEEDaSY_SZ_EUlSY_E_NS1_11comp_targetILNS1_3genE2ELNS1_11target_archE906ELNS1_3gpuE6ELNS1_3repE0EEENS1_30default_config_static_selectorELNS0_4arch9wavefront6targetE0EEEvT1_, .Lfunc_end2153-_ZN7rocprim17ROCPRIM_400000_NS6detail17trampoline_kernelINS0_14default_configENS1_27scan_by_key_config_selectorIj11FixedVectorIiLj8EEEEZZNS1_16scan_by_key_implILNS1_25lookback_scan_determinismE0ELb0ES3_N6thrust23THRUST_200600_302600_NS6detail15normal_iteratorINSB_10device_ptrIjEEEENSD_INSE_IS6_EEEESI_S6_NSB_4plusIvEENSB_8equal_toIvEES6_EE10hipError_tPvRmT2_T3_T4_T5_mT6_T7_P12ihipStream_tbENKUlT_T0_E_clISt17integral_constantIbLb0EES12_IbLb1EEEEDaSY_SZ_EUlSY_E_NS1_11comp_targetILNS1_3genE2ELNS1_11target_archE906ELNS1_3gpuE6ELNS1_3repE0EEENS1_30default_config_static_selectorELNS0_4arch9wavefront6targetE0EEEvT1_
                                        ; -- End function
	.set _ZN7rocprim17ROCPRIM_400000_NS6detail17trampoline_kernelINS0_14default_configENS1_27scan_by_key_config_selectorIj11FixedVectorIiLj8EEEEZZNS1_16scan_by_key_implILNS1_25lookback_scan_determinismE0ELb0ES3_N6thrust23THRUST_200600_302600_NS6detail15normal_iteratorINSB_10device_ptrIjEEEENSD_INSE_IS6_EEEESI_S6_NSB_4plusIvEENSB_8equal_toIvEES6_EE10hipError_tPvRmT2_T3_T4_T5_mT6_T7_P12ihipStream_tbENKUlT_T0_E_clISt17integral_constantIbLb0EES12_IbLb1EEEEDaSY_SZ_EUlSY_E_NS1_11comp_targetILNS1_3genE2ELNS1_11target_archE906ELNS1_3gpuE6ELNS1_3repE0EEENS1_30default_config_static_selectorELNS0_4arch9wavefront6targetE0EEEvT1_.num_vgpr, 0
	.set _ZN7rocprim17ROCPRIM_400000_NS6detail17trampoline_kernelINS0_14default_configENS1_27scan_by_key_config_selectorIj11FixedVectorIiLj8EEEEZZNS1_16scan_by_key_implILNS1_25lookback_scan_determinismE0ELb0ES3_N6thrust23THRUST_200600_302600_NS6detail15normal_iteratorINSB_10device_ptrIjEEEENSD_INSE_IS6_EEEESI_S6_NSB_4plusIvEENSB_8equal_toIvEES6_EE10hipError_tPvRmT2_T3_T4_T5_mT6_T7_P12ihipStream_tbENKUlT_T0_E_clISt17integral_constantIbLb0EES12_IbLb1EEEEDaSY_SZ_EUlSY_E_NS1_11comp_targetILNS1_3genE2ELNS1_11target_archE906ELNS1_3gpuE6ELNS1_3repE0EEENS1_30default_config_static_selectorELNS0_4arch9wavefront6targetE0EEEvT1_.num_agpr, 0
	.set _ZN7rocprim17ROCPRIM_400000_NS6detail17trampoline_kernelINS0_14default_configENS1_27scan_by_key_config_selectorIj11FixedVectorIiLj8EEEEZZNS1_16scan_by_key_implILNS1_25lookback_scan_determinismE0ELb0ES3_N6thrust23THRUST_200600_302600_NS6detail15normal_iteratorINSB_10device_ptrIjEEEENSD_INSE_IS6_EEEESI_S6_NSB_4plusIvEENSB_8equal_toIvEES6_EE10hipError_tPvRmT2_T3_T4_T5_mT6_T7_P12ihipStream_tbENKUlT_T0_E_clISt17integral_constantIbLb0EES12_IbLb1EEEEDaSY_SZ_EUlSY_E_NS1_11comp_targetILNS1_3genE2ELNS1_11target_archE906ELNS1_3gpuE6ELNS1_3repE0EEENS1_30default_config_static_selectorELNS0_4arch9wavefront6targetE0EEEvT1_.numbered_sgpr, 0
	.set _ZN7rocprim17ROCPRIM_400000_NS6detail17trampoline_kernelINS0_14default_configENS1_27scan_by_key_config_selectorIj11FixedVectorIiLj8EEEEZZNS1_16scan_by_key_implILNS1_25lookback_scan_determinismE0ELb0ES3_N6thrust23THRUST_200600_302600_NS6detail15normal_iteratorINSB_10device_ptrIjEEEENSD_INSE_IS6_EEEESI_S6_NSB_4plusIvEENSB_8equal_toIvEES6_EE10hipError_tPvRmT2_T3_T4_T5_mT6_T7_P12ihipStream_tbENKUlT_T0_E_clISt17integral_constantIbLb0EES12_IbLb1EEEEDaSY_SZ_EUlSY_E_NS1_11comp_targetILNS1_3genE2ELNS1_11target_archE906ELNS1_3gpuE6ELNS1_3repE0EEENS1_30default_config_static_selectorELNS0_4arch9wavefront6targetE0EEEvT1_.num_named_barrier, 0
	.set _ZN7rocprim17ROCPRIM_400000_NS6detail17trampoline_kernelINS0_14default_configENS1_27scan_by_key_config_selectorIj11FixedVectorIiLj8EEEEZZNS1_16scan_by_key_implILNS1_25lookback_scan_determinismE0ELb0ES3_N6thrust23THRUST_200600_302600_NS6detail15normal_iteratorINSB_10device_ptrIjEEEENSD_INSE_IS6_EEEESI_S6_NSB_4plusIvEENSB_8equal_toIvEES6_EE10hipError_tPvRmT2_T3_T4_T5_mT6_T7_P12ihipStream_tbENKUlT_T0_E_clISt17integral_constantIbLb0EES12_IbLb1EEEEDaSY_SZ_EUlSY_E_NS1_11comp_targetILNS1_3genE2ELNS1_11target_archE906ELNS1_3gpuE6ELNS1_3repE0EEENS1_30default_config_static_selectorELNS0_4arch9wavefront6targetE0EEEvT1_.private_seg_size, 0
	.set _ZN7rocprim17ROCPRIM_400000_NS6detail17trampoline_kernelINS0_14default_configENS1_27scan_by_key_config_selectorIj11FixedVectorIiLj8EEEEZZNS1_16scan_by_key_implILNS1_25lookback_scan_determinismE0ELb0ES3_N6thrust23THRUST_200600_302600_NS6detail15normal_iteratorINSB_10device_ptrIjEEEENSD_INSE_IS6_EEEESI_S6_NSB_4plusIvEENSB_8equal_toIvEES6_EE10hipError_tPvRmT2_T3_T4_T5_mT6_T7_P12ihipStream_tbENKUlT_T0_E_clISt17integral_constantIbLb0EES12_IbLb1EEEEDaSY_SZ_EUlSY_E_NS1_11comp_targetILNS1_3genE2ELNS1_11target_archE906ELNS1_3gpuE6ELNS1_3repE0EEENS1_30default_config_static_selectorELNS0_4arch9wavefront6targetE0EEEvT1_.uses_vcc, 0
	.set _ZN7rocprim17ROCPRIM_400000_NS6detail17trampoline_kernelINS0_14default_configENS1_27scan_by_key_config_selectorIj11FixedVectorIiLj8EEEEZZNS1_16scan_by_key_implILNS1_25lookback_scan_determinismE0ELb0ES3_N6thrust23THRUST_200600_302600_NS6detail15normal_iteratorINSB_10device_ptrIjEEEENSD_INSE_IS6_EEEESI_S6_NSB_4plusIvEENSB_8equal_toIvEES6_EE10hipError_tPvRmT2_T3_T4_T5_mT6_T7_P12ihipStream_tbENKUlT_T0_E_clISt17integral_constantIbLb0EES12_IbLb1EEEEDaSY_SZ_EUlSY_E_NS1_11comp_targetILNS1_3genE2ELNS1_11target_archE906ELNS1_3gpuE6ELNS1_3repE0EEENS1_30default_config_static_selectorELNS0_4arch9wavefront6targetE0EEEvT1_.uses_flat_scratch, 0
	.set _ZN7rocprim17ROCPRIM_400000_NS6detail17trampoline_kernelINS0_14default_configENS1_27scan_by_key_config_selectorIj11FixedVectorIiLj8EEEEZZNS1_16scan_by_key_implILNS1_25lookback_scan_determinismE0ELb0ES3_N6thrust23THRUST_200600_302600_NS6detail15normal_iteratorINSB_10device_ptrIjEEEENSD_INSE_IS6_EEEESI_S6_NSB_4plusIvEENSB_8equal_toIvEES6_EE10hipError_tPvRmT2_T3_T4_T5_mT6_T7_P12ihipStream_tbENKUlT_T0_E_clISt17integral_constantIbLb0EES12_IbLb1EEEEDaSY_SZ_EUlSY_E_NS1_11comp_targetILNS1_3genE2ELNS1_11target_archE906ELNS1_3gpuE6ELNS1_3repE0EEENS1_30default_config_static_selectorELNS0_4arch9wavefront6targetE0EEEvT1_.has_dyn_sized_stack, 0
	.set _ZN7rocprim17ROCPRIM_400000_NS6detail17trampoline_kernelINS0_14default_configENS1_27scan_by_key_config_selectorIj11FixedVectorIiLj8EEEEZZNS1_16scan_by_key_implILNS1_25lookback_scan_determinismE0ELb0ES3_N6thrust23THRUST_200600_302600_NS6detail15normal_iteratorINSB_10device_ptrIjEEEENSD_INSE_IS6_EEEESI_S6_NSB_4plusIvEENSB_8equal_toIvEES6_EE10hipError_tPvRmT2_T3_T4_T5_mT6_T7_P12ihipStream_tbENKUlT_T0_E_clISt17integral_constantIbLb0EES12_IbLb1EEEEDaSY_SZ_EUlSY_E_NS1_11comp_targetILNS1_3genE2ELNS1_11target_archE906ELNS1_3gpuE6ELNS1_3repE0EEENS1_30default_config_static_selectorELNS0_4arch9wavefront6targetE0EEEvT1_.has_recursion, 0
	.set _ZN7rocprim17ROCPRIM_400000_NS6detail17trampoline_kernelINS0_14default_configENS1_27scan_by_key_config_selectorIj11FixedVectorIiLj8EEEEZZNS1_16scan_by_key_implILNS1_25lookback_scan_determinismE0ELb0ES3_N6thrust23THRUST_200600_302600_NS6detail15normal_iteratorINSB_10device_ptrIjEEEENSD_INSE_IS6_EEEESI_S6_NSB_4plusIvEENSB_8equal_toIvEES6_EE10hipError_tPvRmT2_T3_T4_T5_mT6_T7_P12ihipStream_tbENKUlT_T0_E_clISt17integral_constantIbLb0EES12_IbLb1EEEEDaSY_SZ_EUlSY_E_NS1_11comp_targetILNS1_3genE2ELNS1_11target_archE906ELNS1_3gpuE6ELNS1_3repE0EEENS1_30default_config_static_selectorELNS0_4arch9wavefront6targetE0EEEvT1_.has_indirect_call, 0
	.section	.AMDGPU.csdata,"",@progbits
; Kernel info:
; codeLenInByte = 0
; TotalNumSgprs: 0
; NumVgprs: 0
; ScratchSize: 0
; MemoryBound: 0
; FloatMode: 240
; IeeeMode: 1
; LDSByteSize: 0 bytes/workgroup (compile time only)
; SGPRBlocks: 0
; VGPRBlocks: 0
; NumSGPRsForWavesPerEU: 1
; NumVGPRsForWavesPerEU: 1
; Occupancy: 16
; WaveLimiterHint : 0
; COMPUTE_PGM_RSRC2:SCRATCH_EN: 0
; COMPUTE_PGM_RSRC2:USER_SGPR: 6
; COMPUTE_PGM_RSRC2:TRAP_HANDLER: 0
; COMPUTE_PGM_RSRC2:TGID_X_EN: 1
; COMPUTE_PGM_RSRC2:TGID_Y_EN: 0
; COMPUTE_PGM_RSRC2:TGID_Z_EN: 0
; COMPUTE_PGM_RSRC2:TIDIG_COMP_CNT: 0
	.section	.text._ZN7rocprim17ROCPRIM_400000_NS6detail17trampoline_kernelINS0_14default_configENS1_27scan_by_key_config_selectorIj11FixedVectorIiLj8EEEEZZNS1_16scan_by_key_implILNS1_25lookback_scan_determinismE0ELb0ES3_N6thrust23THRUST_200600_302600_NS6detail15normal_iteratorINSB_10device_ptrIjEEEENSD_INSE_IS6_EEEESI_S6_NSB_4plusIvEENSB_8equal_toIvEES6_EE10hipError_tPvRmT2_T3_T4_T5_mT6_T7_P12ihipStream_tbENKUlT_T0_E_clISt17integral_constantIbLb0EES12_IbLb1EEEEDaSY_SZ_EUlSY_E_NS1_11comp_targetILNS1_3genE10ELNS1_11target_archE1200ELNS1_3gpuE4ELNS1_3repE0EEENS1_30default_config_static_selectorELNS0_4arch9wavefront6targetE0EEEvT1_,"axG",@progbits,_ZN7rocprim17ROCPRIM_400000_NS6detail17trampoline_kernelINS0_14default_configENS1_27scan_by_key_config_selectorIj11FixedVectorIiLj8EEEEZZNS1_16scan_by_key_implILNS1_25lookback_scan_determinismE0ELb0ES3_N6thrust23THRUST_200600_302600_NS6detail15normal_iteratorINSB_10device_ptrIjEEEENSD_INSE_IS6_EEEESI_S6_NSB_4plusIvEENSB_8equal_toIvEES6_EE10hipError_tPvRmT2_T3_T4_T5_mT6_T7_P12ihipStream_tbENKUlT_T0_E_clISt17integral_constantIbLb0EES12_IbLb1EEEEDaSY_SZ_EUlSY_E_NS1_11comp_targetILNS1_3genE10ELNS1_11target_archE1200ELNS1_3gpuE4ELNS1_3repE0EEENS1_30default_config_static_selectorELNS0_4arch9wavefront6targetE0EEEvT1_,comdat
	.protected	_ZN7rocprim17ROCPRIM_400000_NS6detail17trampoline_kernelINS0_14default_configENS1_27scan_by_key_config_selectorIj11FixedVectorIiLj8EEEEZZNS1_16scan_by_key_implILNS1_25lookback_scan_determinismE0ELb0ES3_N6thrust23THRUST_200600_302600_NS6detail15normal_iteratorINSB_10device_ptrIjEEEENSD_INSE_IS6_EEEESI_S6_NSB_4plusIvEENSB_8equal_toIvEES6_EE10hipError_tPvRmT2_T3_T4_T5_mT6_T7_P12ihipStream_tbENKUlT_T0_E_clISt17integral_constantIbLb0EES12_IbLb1EEEEDaSY_SZ_EUlSY_E_NS1_11comp_targetILNS1_3genE10ELNS1_11target_archE1200ELNS1_3gpuE4ELNS1_3repE0EEENS1_30default_config_static_selectorELNS0_4arch9wavefront6targetE0EEEvT1_ ; -- Begin function _ZN7rocprim17ROCPRIM_400000_NS6detail17trampoline_kernelINS0_14default_configENS1_27scan_by_key_config_selectorIj11FixedVectorIiLj8EEEEZZNS1_16scan_by_key_implILNS1_25lookback_scan_determinismE0ELb0ES3_N6thrust23THRUST_200600_302600_NS6detail15normal_iteratorINSB_10device_ptrIjEEEENSD_INSE_IS6_EEEESI_S6_NSB_4plusIvEENSB_8equal_toIvEES6_EE10hipError_tPvRmT2_T3_T4_T5_mT6_T7_P12ihipStream_tbENKUlT_T0_E_clISt17integral_constantIbLb0EES12_IbLb1EEEEDaSY_SZ_EUlSY_E_NS1_11comp_targetILNS1_3genE10ELNS1_11target_archE1200ELNS1_3gpuE4ELNS1_3repE0EEENS1_30default_config_static_selectorELNS0_4arch9wavefront6targetE0EEEvT1_
	.globl	_ZN7rocprim17ROCPRIM_400000_NS6detail17trampoline_kernelINS0_14default_configENS1_27scan_by_key_config_selectorIj11FixedVectorIiLj8EEEEZZNS1_16scan_by_key_implILNS1_25lookback_scan_determinismE0ELb0ES3_N6thrust23THRUST_200600_302600_NS6detail15normal_iteratorINSB_10device_ptrIjEEEENSD_INSE_IS6_EEEESI_S6_NSB_4plusIvEENSB_8equal_toIvEES6_EE10hipError_tPvRmT2_T3_T4_T5_mT6_T7_P12ihipStream_tbENKUlT_T0_E_clISt17integral_constantIbLb0EES12_IbLb1EEEEDaSY_SZ_EUlSY_E_NS1_11comp_targetILNS1_3genE10ELNS1_11target_archE1200ELNS1_3gpuE4ELNS1_3repE0EEENS1_30default_config_static_selectorELNS0_4arch9wavefront6targetE0EEEvT1_
	.p2align	8
	.type	_ZN7rocprim17ROCPRIM_400000_NS6detail17trampoline_kernelINS0_14default_configENS1_27scan_by_key_config_selectorIj11FixedVectorIiLj8EEEEZZNS1_16scan_by_key_implILNS1_25lookback_scan_determinismE0ELb0ES3_N6thrust23THRUST_200600_302600_NS6detail15normal_iteratorINSB_10device_ptrIjEEEENSD_INSE_IS6_EEEESI_S6_NSB_4plusIvEENSB_8equal_toIvEES6_EE10hipError_tPvRmT2_T3_T4_T5_mT6_T7_P12ihipStream_tbENKUlT_T0_E_clISt17integral_constantIbLb0EES12_IbLb1EEEEDaSY_SZ_EUlSY_E_NS1_11comp_targetILNS1_3genE10ELNS1_11target_archE1200ELNS1_3gpuE4ELNS1_3repE0EEENS1_30default_config_static_selectorELNS0_4arch9wavefront6targetE0EEEvT1_,@function
_ZN7rocprim17ROCPRIM_400000_NS6detail17trampoline_kernelINS0_14default_configENS1_27scan_by_key_config_selectorIj11FixedVectorIiLj8EEEEZZNS1_16scan_by_key_implILNS1_25lookback_scan_determinismE0ELb0ES3_N6thrust23THRUST_200600_302600_NS6detail15normal_iteratorINSB_10device_ptrIjEEEENSD_INSE_IS6_EEEESI_S6_NSB_4plusIvEENSB_8equal_toIvEES6_EE10hipError_tPvRmT2_T3_T4_T5_mT6_T7_P12ihipStream_tbENKUlT_T0_E_clISt17integral_constantIbLb0EES12_IbLb1EEEEDaSY_SZ_EUlSY_E_NS1_11comp_targetILNS1_3genE10ELNS1_11target_archE1200ELNS1_3gpuE4ELNS1_3repE0EEENS1_30default_config_static_selectorELNS0_4arch9wavefront6targetE0EEEvT1_: ; @_ZN7rocprim17ROCPRIM_400000_NS6detail17trampoline_kernelINS0_14default_configENS1_27scan_by_key_config_selectorIj11FixedVectorIiLj8EEEEZZNS1_16scan_by_key_implILNS1_25lookback_scan_determinismE0ELb0ES3_N6thrust23THRUST_200600_302600_NS6detail15normal_iteratorINSB_10device_ptrIjEEEENSD_INSE_IS6_EEEESI_S6_NSB_4plusIvEENSB_8equal_toIvEES6_EE10hipError_tPvRmT2_T3_T4_T5_mT6_T7_P12ihipStream_tbENKUlT_T0_E_clISt17integral_constantIbLb0EES12_IbLb1EEEEDaSY_SZ_EUlSY_E_NS1_11comp_targetILNS1_3genE10ELNS1_11target_archE1200ELNS1_3gpuE4ELNS1_3repE0EEENS1_30default_config_static_selectorELNS0_4arch9wavefront6targetE0EEEvT1_
; %bb.0:
	.section	.rodata,"a",@progbits
	.p2align	6, 0x0
	.amdhsa_kernel _ZN7rocprim17ROCPRIM_400000_NS6detail17trampoline_kernelINS0_14default_configENS1_27scan_by_key_config_selectorIj11FixedVectorIiLj8EEEEZZNS1_16scan_by_key_implILNS1_25lookback_scan_determinismE0ELb0ES3_N6thrust23THRUST_200600_302600_NS6detail15normal_iteratorINSB_10device_ptrIjEEEENSD_INSE_IS6_EEEESI_S6_NSB_4plusIvEENSB_8equal_toIvEES6_EE10hipError_tPvRmT2_T3_T4_T5_mT6_T7_P12ihipStream_tbENKUlT_T0_E_clISt17integral_constantIbLb0EES12_IbLb1EEEEDaSY_SZ_EUlSY_E_NS1_11comp_targetILNS1_3genE10ELNS1_11target_archE1200ELNS1_3gpuE4ELNS1_3repE0EEENS1_30default_config_static_selectorELNS0_4arch9wavefront6targetE0EEEvT1_
		.amdhsa_group_segment_fixed_size 0
		.amdhsa_private_segment_fixed_size 0
		.amdhsa_kernarg_size 160
		.amdhsa_user_sgpr_count 6
		.amdhsa_user_sgpr_private_segment_buffer 1
		.amdhsa_user_sgpr_dispatch_ptr 0
		.amdhsa_user_sgpr_queue_ptr 0
		.amdhsa_user_sgpr_kernarg_segment_ptr 1
		.amdhsa_user_sgpr_dispatch_id 0
		.amdhsa_user_sgpr_flat_scratch_init 0
		.amdhsa_user_sgpr_private_segment_size 0
		.amdhsa_wavefront_size32 1
		.amdhsa_uses_dynamic_stack 0
		.amdhsa_system_sgpr_private_segment_wavefront_offset 0
		.amdhsa_system_sgpr_workgroup_id_x 1
		.amdhsa_system_sgpr_workgroup_id_y 0
		.amdhsa_system_sgpr_workgroup_id_z 0
		.amdhsa_system_sgpr_workgroup_info 0
		.amdhsa_system_vgpr_workitem_id 0
		.amdhsa_next_free_vgpr 1
		.amdhsa_next_free_sgpr 1
		.amdhsa_reserve_vcc 0
		.amdhsa_reserve_flat_scratch 0
		.amdhsa_float_round_mode_32 0
		.amdhsa_float_round_mode_16_64 0
		.amdhsa_float_denorm_mode_32 3
		.amdhsa_float_denorm_mode_16_64 3
		.amdhsa_dx10_clamp 1
		.amdhsa_ieee_mode 1
		.amdhsa_fp16_overflow 0
		.amdhsa_workgroup_processor_mode 1
		.amdhsa_memory_ordered 1
		.amdhsa_forward_progress 1
		.amdhsa_shared_vgpr_count 0
		.amdhsa_exception_fp_ieee_invalid_op 0
		.amdhsa_exception_fp_denorm_src 0
		.amdhsa_exception_fp_ieee_div_zero 0
		.amdhsa_exception_fp_ieee_overflow 0
		.amdhsa_exception_fp_ieee_underflow 0
		.amdhsa_exception_fp_ieee_inexact 0
		.amdhsa_exception_int_div_zero 0
	.end_amdhsa_kernel
	.section	.text._ZN7rocprim17ROCPRIM_400000_NS6detail17trampoline_kernelINS0_14default_configENS1_27scan_by_key_config_selectorIj11FixedVectorIiLj8EEEEZZNS1_16scan_by_key_implILNS1_25lookback_scan_determinismE0ELb0ES3_N6thrust23THRUST_200600_302600_NS6detail15normal_iteratorINSB_10device_ptrIjEEEENSD_INSE_IS6_EEEESI_S6_NSB_4plusIvEENSB_8equal_toIvEES6_EE10hipError_tPvRmT2_T3_T4_T5_mT6_T7_P12ihipStream_tbENKUlT_T0_E_clISt17integral_constantIbLb0EES12_IbLb1EEEEDaSY_SZ_EUlSY_E_NS1_11comp_targetILNS1_3genE10ELNS1_11target_archE1200ELNS1_3gpuE4ELNS1_3repE0EEENS1_30default_config_static_selectorELNS0_4arch9wavefront6targetE0EEEvT1_,"axG",@progbits,_ZN7rocprim17ROCPRIM_400000_NS6detail17trampoline_kernelINS0_14default_configENS1_27scan_by_key_config_selectorIj11FixedVectorIiLj8EEEEZZNS1_16scan_by_key_implILNS1_25lookback_scan_determinismE0ELb0ES3_N6thrust23THRUST_200600_302600_NS6detail15normal_iteratorINSB_10device_ptrIjEEEENSD_INSE_IS6_EEEESI_S6_NSB_4plusIvEENSB_8equal_toIvEES6_EE10hipError_tPvRmT2_T3_T4_T5_mT6_T7_P12ihipStream_tbENKUlT_T0_E_clISt17integral_constantIbLb0EES12_IbLb1EEEEDaSY_SZ_EUlSY_E_NS1_11comp_targetILNS1_3genE10ELNS1_11target_archE1200ELNS1_3gpuE4ELNS1_3repE0EEENS1_30default_config_static_selectorELNS0_4arch9wavefront6targetE0EEEvT1_,comdat
.Lfunc_end2154:
	.size	_ZN7rocprim17ROCPRIM_400000_NS6detail17trampoline_kernelINS0_14default_configENS1_27scan_by_key_config_selectorIj11FixedVectorIiLj8EEEEZZNS1_16scan_by_key_implILNS1_25lookback_scan_determinismE0ELb0ES3_N6thrust23THRUST_200600_302600_NS6detail15normal_iteratorINSB_10device_ptrIjEEEENSD_INSE_IS6_EEEESI_S6_NSB_4plusIvEENSB_8equal_toIvEES6_EE10hipError_tPvRmT2_T3_T4_T5_mT6_T7_P12ihipStream_tbENKUlT_T0_E_clISt17integral_constantIbLb0EES12_IbLb1EEEEDaSY_SZ_EUlSY_E_NS1_11comp_targetILNS1_3genE10ELNS1_11target_archE1200ELNS1_3gpuE4ELNS1_3repE0EEENS1_30default_config_static_selectorELNS0_4arch9wavefront6targetE0EEEvT1_, .Lfunc_end2154-_ZN7rocprim17ROCPRIM_400000_NS6detail17trampoline_kernelINS0_14default_configENS1_27scan_by_key_config_selectorIj11FixedVectorIiLj8EEEEZZNS1_16scan_by_key_implILNS1_25lookback_scan_determinismE0ELb0ES3_N6thrust23THRUST_200600_302600_NS6detail15normal_iteratorINSB_10device_ptrIjEEEENSD_INSE_IS6_EEEESI_S6_NSB_4plusIvEENSB_8equal_toIvEES6_EE10hipError_tPvRmT2_T3_T4_T5_mT6_T7_P12ihipStream_tbENKUlT_T0_E_clISt17integral_constantIbLb0EES12_IbLb1EEEEDaSY_SZ_EUlSY_E_NS1_11comp_targetILNS1_3genE10ELNS1_11target_archE1200ELNS1_3gpuE4ELNS1_3repE0EEENS1_30default_config_static_selectorELNS0_4arch9wavefront6targetE0EEEvT1_
                                        ; -- End function
	.set _ZN7rocprim17ROCPRIM_400000_NS6detail17trampoline_kernelINS0_14default_configENS1_27scan_by_key_config_selectorIj11FixedVectorIiLj8EEEEZZNS1_16scan_by_key_implILNS1_25lookback_scan_determinismE0ELb0ES3_N6thrust23THRUST_200600_302600_NS6detail15normal_iteratorINSB_10device_ptrIjEEEENSD_INSE_IS6_EEEESI_S6_NSB_4plusIvEENSB_8equal_toIvEES6_EE10hipError_tPvRmT2_T3_T4_T5_mT6_T7_P12ihipStream_tbENKUlT_T0_E_clISt17integral_constantIbLb0EES12_IbLb1EEEEDaSY_SZ_EUlSY_E_NS1_11comp_targetILNS1_3genE10ELNS1_11target_archE1200ELNS1_3gpuE4ELNS1_3repE0EEENS1_30default_config_static_selectorELNS0_4arch9wavefront6targetE0EEEvT1_.num_vgpr, 0
	.set _ZN7rocprim17ROCPRIM_400000_NS6detail17trampoline_kernelINS0_14default_configENS1_27scan_by_key_config_selectorIj11FixedVectorIiLj8EEEEZZNS1_16scan_by_key_implILNS1_25lookback_scan_determinismE0ELb0ES3_N6thrust23THRUST_200600_302600_NS6detail15normal_iteratorINSB_10device_ptrIjEEEENSD_INSE_IS6_EEEESI_S6_NSB_4plusIvEENSB_8equal_toIvEES6_EE10hipError_tPvRmT2_T3_T4_T5_mT6_T7_P12ihipStream_tbENKUlT_T0_E_clISt17integral_constantIbLb0EES12_IbLb1EEEEDaSY_SZ_EUlSY_E_NS1_11comp_targetILNS1_3genE10ELNS1_11target_archE1200ELNS1_3gpuE4ELNS1_3repE0EEENS1_30default_config_static_selectorELNS0_4arch9wavefront6targetE0EEEvT1_.num_agpr, 0
	.set _ZN7rocprim17ROCPRIM_400000_NS6detail17trampoline_kernelINS0_14default_configENS1_27scan_by_key_config_selectorIj11FixedVectorIiLj8EEEEZZNS1_16scan_by_key_implILNS1_25lookback_scan_determinismE0ELb0ES3_N6thrust23THRUST_200600_302600_NS6detail15normal_iteratorINSB_10device_ptrIjEEEENSD_INSE_IS6_EEEESI_S6_NSB_4plusIvEENSB_8equal_toIvEES6_EE10hipError_tPvRmT2_T3_T4_T5_mT6_T7_P12ihipStream_tbENKUlT_T0_E_clISt17integral_constantIbLb0EES12_IbLb1EEEEDaSY_SZ_EUlSY_E_NS1_11comp_targetILNS1_3genE10ELNS1_11target_archE1200ELNS1_3gpuE4ELNS1_3repE0EEENS1_30default_config_static_selectorELNS0_4arch9wavefront6targetE0EEEvT1_.numbered_sgpr, 0
	.set _ZN7rocprim17ROCPRIM_400000_NS6detail17trampoline_kernelINS0_14default_configENS1_27scan_by_key_config_selectorIj11FixedVectorIiLj8EEEEZZNS1_16scan_by_key_implILNS1_25lookback_scan_determinismE0ELb0ES3_N6thrust23THRUST_200600_302600_NS6detail15normal_iteratorINSB_10device_ptrIjEEEENSD_INSE_IS6_EEEESI_S6_NSB_4plusIvEENSB_8equal_toIvEES6_EE10hipError_tPvRmT2_T3_T4_T5_mT6_T7_P12ihipStream_tbENKUlT_T0_E_clISt17integral_constantIbLb0EES12_IbLb1EEEEDaSY_SZ_EUlSY_E_NS1_11comp_targetILNS1_3genE10ELNS1_11target_archE1200ELNS1_3gpuE4ELNS1_3repE0EEENS1_30default_config_static_selectorELNS0_4arch9wavefront6targetE0EEEvT1_.num_named_barrier, 0
	.set _ZN7rocprim17ROCPRIM_400000_NS6detail17trampoline_kernelINS0_14default_configENS1_27scan_by_key_config_selectorIj11FixedVectorIiLj8EEEEZZNS1_16scan_by_key_implILNS1_25lookback_scan_determinismE0ELb0ES3_N6thrust23THRUST_200600_302600_NS6detail15normal_iteratorINSB_10device_ptrIjEEEENSD_INSE_IS6_EEEESI_S6_NSB_4plusIvEENSB_8equal_toIvEES6_EE10hipError_tPvRmT2_T3_T4_T5_mT6_T7_P12ihipStream_tbENKUlT_T0_E_clISt17integral_constantIbLb0EES12_IbLb1EEEEDaSY_SZ_EUlSY_E_NS1_11comp_targetILNS1_3genE10ELNS1_11target_archE1200ELNS1_3gpuE4ELNS1_3repE0EEENS1_30default_config_static_selectorELNS0_4arch9wavefront6targetE0EEEvT1_.private_seg_size, 0
	.set _ZN7rocprim17ROCPRIM_400000_NS6detail17trampoline_kernelINS0_14default_configENS1_27scan_by_key_config_selectorIj11FixedVectorIiLj8EEEEZZNS1_16scan_by_key_implILNS1_25lookback_scan_determinismE0ELb0ES3_N6thrust23THRUST_200600_302600_NS6detail15normal_iteratorINSB_10device_ptrIjEEEENSD_INSE_IS6_EEEESI_S6_NSB_4plusIvEENSB_8equal_toIvEES6_EE10hipError_tPvRmT2_T3_T4_T5_mT6_T7_P12ihipStream_tbENKUlT_T0_E_clISt17integral_constantIbLb0EES12_IbLb1EEEEDaSY_SZ_EUlSY_E_NS1_11comp_targetILNS1_3genE10ELNS1_11target_archE1200ELNS1_3gpuE4ELNS1_3repE0EEENS1_30default_config_static_selectorELNS0_4arch9wavefront6targetE0EEEvT1_.uses_vcc, 0
	.set _ZN7rocprim17ROCPRIM_400000_NS6detail17trampoline_kernelINS0_14default_configENS1_27scan_by_key_config_selectorIj11FixedVectorIiLj8EEEEZZNS1_16scan_by_key_implILNS1_25lookback_scan_determinismE0ELb0ES3_N6thrust23THRUST_200600_302600_NS6detail15normal_iteratorINSB_10device_ptrIjEEEENSD_INSE_IS6_EEEESI_S6_NSB_4plusIvEENSB_8equal_toIvEES6_EE10hipError_tPvRmT2_T3_T4_T5_mT6_T7_P12ihipStream_tbENKUlT_T0_E_clISt17integral_constantIbLb0EES12_IbLb1EEEEDaSY_SZ_EUlSY_E_NS1_11comp_targetILNS1_3genE10ELNS1_11target_archE1200ELNS1_3gpuE4ELNS1_3repE0EEENS1_30default_config_static_selectorELNS0_4arch9wavefront6targetE0EEEvT1_.uses_flat_scratch, 0
	.set _ZN7rocprim17ROCPRIM_400000_NS6detail17trampoline_kernelINS0_14default_configENS1_27scan_by_key_config_selectorIj11FixedVectorIiLj8EEEEZZNS1_16scan_by_key_implILNS1_25lookback_scan_determinismE0ELb0ES3_N6thrust23THRUST_200600_302600_NS6detail15normal_iteratorINSB_10device_ptrIjEEEENSD_INSE_IS6_EEEESI_S6_NSB_4plusIvEENSB_8equal_toIvEES6_EE10hipError_tPvRmT2_T3_T4_T5_mT6_T7_P12ihipStream_tbENKUlT_T0_E_clISt17integral_constantIbLb0EES12_IbLb1EEEEDaSY_SZ_EUlSY_E_NS1_11comp_targetILNS1_3genE10ELNS1_11target_archE1200ELNS1_3gpuE4ELNS1_3repE0EEENS1_30default_config_static_selectorELNS0_4arch9wavefront6targetE0EEEvT1_.has_dyn_sized_stack, 0
	.set _ZN7rocprim17ROCPRIM_400000_NS6detail17trampoline_kernelINS0_14default_configENS1_27scan_by_key_config_selectorIj11FixedVectorIiLj8EEEEZZNS1_16scan_by_key_implILNS1_25lookback_scan_determinismE0ELb0ES3_N6thrust23THRUST_200600_302600_NS6detail15normal_iteratorINSB_10device_ptrIjEEEENSD_INSE_IS6_EEEESI_S6_NSB_4plusIvEENSB_8equal_toIvEES6_EE10hipError_tPvRmT2_T3_T4_T5_mT6_T7_P12ihipStream_tbENKUlT_T0_E_clISt17integral_constantIbLb0EES12_IbLb1EEEEDaSY_SZ_EUlSY_E_NS1_11comp_targetILNS1_3genE10ELNS1_11target_archE1200ELNS1_3gpuE4ELNS1_3repE0EEENS1_30default_config_static_selectorELNS0_4arch9wavefront6targetE0EEEvT1_.has_recursion, 0
	.set _ZN7rocprim17ROCPRIM_400000_NS6detail17trampoline_kernelINS0_14default_configENS1_27scan_by_key_config_selectorIj11FixedVectorIiLj8EEEEZZNS1_16scan_by_key_implILNS1_25lookback_scan_determinismE0ELb0ES3_N6thrust23THRUST_200600_302600_NS6detail15normal_iteratorINSB_10device_ptrIjEEEENSD_INSE_IS6_EEEESI_S6_NSB_4plusIvEENSB_8equal_toIvEES6_EE10hipError_tPvRmT2_T3_T4_T5_mT6_T7_P12ihipStream_tbENKUlT_T0_E_clISt17integral_constantIbLb0EES12_IbLb1EEEEDaSY_SZ_EUlSY_E_NS1_11comp_targetILNS1_3genE10ELNS1_11target_archE1200ELNS1_3gpuE4ELNS1_3repE0EEENS1_30default_config_static_selectorELNS0_4arch9wavefront6targetE0EEEvT1_.has_indirect_call, 0
	.section	.AMDGPU.csdata,"",@progbits
; Kernel info:
; codeLenInByte = 0
; TotalNumSgprs: 0
; NumVgprs: 0
; ScratchSize: 0
; MemoryBound: 0
; FloatMode: 240
; IeeeMode: 1
; LDSByteSize: 0 bytes/workgroup (compile time only)
; SGPRBlocks: 0
; VGPRBlocks: 0
; NumSGPRsForWavesPerEU: 1
; NumVGPRsForWavesPerEU: 1
; Occupancy: 16
; WaveLimiterHint : 0
; COMPUTE_PGM_RSRC2:SCRATCH_EN: 0
; COMPUTE_PGM_RSRC2:USER_SGPR: 6
; COMPUTE_PGM_RSRC2:TRAP_HANDLER: 0
; COMPUTE_PGM_RSRC2:TGID_X_EN: 1
; COMPUTE_PGM_RSRC2:TGID_Y_EN: 0
; COMPUTE_PGM_RSRC2:TGID_Z_EN: 0
; COMPUTE_PGM_RSRC2:TIDIG_COMP_CNT: 0
	.section	.text._ZN7rocprim17ROCPRIM_400000_NS6detail17trampoline_kernelINS0_14default_configENS1_27scan_by_key_config_selectorIj11FixedVectorIiLj8EEEEZZNS1_16scan_by_key_implILNS1_25lookback_scan_determinismE0ELb0ES3_N6thrust23THRUST_200600_302600_NS6detail15normal_iteratorINSB_10device_ptrIjEEEENSD_INSE_IS6_EEEESI_S6_NSB_4plusIvEENSB_8equal_toIvEES6_EE10hipError_tPvRmT2_T3_T4_T5_mT6_T7_P12ihipStream_tbENKUlT_T0_E_clISt17integral_constantIbLb0EES12_IbLb1EEEEDaSY_SZ_EUlSY_E_NS1_11comp_targetILNS1_3genE9ELNS1_11target_archE1100ELNS1_3gpuE3ELNS1_3repE0EEENS1_30default_config_static_selectorELNS0_4arch9wavefront6targetE0EEEvT1_,"axG",@progbits,_ZN7rocprim17ROCPRIM_400000_NS6detail17trampoline_kernelINS0_14default_configENS1_27scan_by_key_config_selectorIj11FixedVectorIiLj8EEEEZZNS1_16scan_by_key_implILNS1_25lookback_scan_determinismE0ELb0ES3_N6thrust23THRUST_200600_302600_NS6detail15normal_iteratorINSB_10device_ptrIjEEEENSD_INSE_IS6_EEEESI_S6_NSB_4plusIvEENSB_8equal_toIvEES6_EE10hipError_tPvRmT2_T3_T4_T5_mT6_T7_P12ihipStream_tbENKUlT_T0_E_clISt17integral_constantIbLb0EES12_IbLb1EEEEDaSY_SZ_EUlSY_E_NS1_11comp_targetILNS1_3genE9ELNS1_11target_archE1100ELNS1_3gpuE3ELNS1_3repE0EEENS1_30default_config_static_selectorELNS0_4arch9wavefront6targetE0EEEvT1_,comdat
	.protected	_ZN7rocprim17ROCPRIM_400000_NS6detail17trampoline_kernelINS0_14default_configENS1_27scan_by_key_config_selectorIj11FixedVectorIiLj8EEEEZZNS1_16scan_by_key_implILNS1_25lookback_scan_determinismE0ELb0ES3_N6thrust23THRUST_200600_302600_NS6detail15normal_iteratorINSB_10device_ptrIjEEEENSD_INSE_IS6_EEEESI_S6_NSB_4plusIvEENSB_8equal_toIvEES6_EE10hipError_tPvRmT2_T3_T4_T5_mT6_T7_P12ihipStream_tbENKUlT_T0_E_clISt17integral_constantIbLb0EES12_IbLb1EEEEDaSY_SZ_EUlSY_E_NS1_11comp_targetILNS1_3genE9ELNS1_11target_archE1100ELNS1_3gpuE3ELNS1_3repE0EEENS1_30default_config_static_selectorELNS0_4arch9wavefront6targetE0EEEvT1_ ; -- Begin function _ZN7rocprim17ROCPRIM_400000_NS6detail17trampoline_kernelINS0_14default_configENS1_27scan_by_key_config_selectorIj11FixedVectorIiLj8EEEEZZNS1_16scan_by_key_implILNS1_25lookback_scan_determinismE0ELb0ES3_N6thrust23THRUST_200600_302600_NS6detail15normal_iteratorINSB_10device_ptrIjEEEENSD_INSE_IS6_EEEESI_S6_NSB_4plusIvEENSB_8equal_toIvEES6_EE10hipError_tPvRmT2_T3_T4_T5_mT6_T7_P12ihipStream_tbENKUlT_T0_E_clISt17integral_constantIbLb0EES12_IbLb1EEEEDaSY_SZ_EUlSY_E_NS1_11comp_targetILNS1_3genE9ELNS1_11target_archE1100ELNS1_3gpuE3ELNS1_3repE0EEENS1_30default_config_static_selectorELNS0_4arch9wavefront6targetE0EEEvT1_
	.globl	_ZN7rocprim17ROCPRIM_400000_NS6detail17trampoline_kernelINS0_14default_configENS1_27scan_by_key_config_selectorIj11FixedVectorIiLj8EEEEZZNS1_16scan_by_key_implILNS1_25lookback_scan_determinismE0ELb0ES3_N6thrust23THRUST_200600_302600_NS6detail15normal_iteratorINSB_10device_ptrIjEEEENSD_INSE_IS6_EEEESI_S6_NSB_4plusIvEENSB_8equal_toIvEES6_EE10hipError_tPvRmT2_T3_T4_T5_mT6_T7_P12ihipStream_tbENKUlT_T0_E_clISt17integral_constantIbLb0EES12_IbLb1EEEEDaSY_SZ_EUlSY_E_NS1_11comp_targetILNS1_3genE9ELNS1_11target_archE1100ELNS1_3gpuE3ELNS1_3repE0EEENS1_30default_config_static_selectorELNS0_4arch9wavefront6targetE0EEEvT1_
	.p2align	8
	.type	_ZN7rocprim17ROCPRIM_400000_NS6detail17trampoline_kernelINS0_14default_configENS1_27scan_by_key_config_selectorIj11FixedVectorIiLj8EEEEZZNS1_16scan_by_key_implILNS1_25lookback_scan_determinismE0ELb0ES3_N6thrust23THRUST_200600_302600_NS6detail15normal_iteratorINSB_10device_ptrIjEEEENSD_INSE_IS6_EEEESI_S6_NSB_4plusIvEENSB_8equal_toIvEES6_EE10hipError_tPvRmT2_T3_T4_T5_mT6_T7_P12ihipStream_tbENKUlT_T0_E_clISt17integral_constantIbLb0EES12_IbLb1EEEEDaSY_SZ_EUlSY_E_NS1_11comp_targetILNS1_3genE9ELNS1_11target_archE1100ELNS1_3gpuE3ELNS1_3repE0EEENS1_30default_config_static_selectorELNS0_4arch9wavefront6targetE0EEEvT1_,@function
_ZN7rocprim17ROCPRIM_400000_NS6detail17trampoline_kernelINS0_14default_configENS1_27scan_by_key_config_selectorIj11FixedVectorIiLj8EEEEZZNS1_16scan_by_key_implILNS1_25lookback_scan_determinismE0ELb0ES3_N6thrust23THRUST_200600_302600_NS6detail15normal_iteratorINSB_10device_ptrIjEEEENSD_INSE_IS6_EEEESI_S6_NSB_4plusIvEENSB_8equal_toIvEES6_EE10hipError_tPvRmT2_T3_T4_T5_mT6_T7_P12ihipStream_tbENKUlT_T0_E_clISt17integral_constantIbLb0EES12_IbLb1EEEEDaSY_SZ_EUlSY_E_NS1_11comp_targetILNS1_3genE9ELNS1_11target_archE1100ELNS1_3gpuE3ELNS1_3repE0EEENS1_30default_config_static_selectorELNS0_4arch9wavefront6targetE0EEEvT1_: ; @_ZN7rocprim17ROCPRIM_400000_NS6detail17trampoline_kernelINS0_14default_configENS1_27scan_by_key_config_selectorIj11FixedVectorIiLj8EEEEZZNS1_16scan_by_key_implILNS1_25lookback_scan_determinismE0ELb0ES3_N6thrust23THRUST_200600_302600_NS6detail15normal_iteratorINSB_10device_ptrIjEEEENSD_INSE_IS6_EEEESI_S6_NSB_4plusIvEENSB_8equal_toIvEES6_EE10hipError_tPvRmT2_T3_T4_T5_mT6_T7_P12ihipStream_tbENKUlT_T0_E_clISt17integral_constantIbLb0EES12_IbLb1EEEEDaSY_SZ_EUlSY_E_NS1_11comp_targetILNS1_3genE9ELNS1_11target_archE1100ELNS1_3gpuE3ELNS1_3repE0EEENS1_30default_config_static_selectorELNS0_4arch9wavefront6targetE0EEEvT1_
; %bb.0:
	.section	.rodata,"a",@progbits
	.p2align	6, 0x0
	.amdhsa_kernel _ZN7rocprim17ROCPRIM_400000_NS6detail17trampoline_kernelINS0_14default_configENS1_27scan_by_key_config_selectorIj11FixedVectorIiLj8EEEEZZNS1_16scan_by_key_implILNS1_25lookback_scan_determinismE0ELb0ES3_N6thrust23THRUST_200600_302600_NS6detail15normal_iteratorINSB_10device_ptrIjEEEENSD_INSE_IS6_EEEESI_S6_NSB_4plusIvEENSB_8equal_toIvEES6_EE10hipError_tPvRmT2_T3_T4_T5_mT6_T7_P12ihipStream_tbENKUlT_T0_E_clISt17integral_constantIbLb0EES12_IbLb1EEEEDaSY_SZ_EUlSY_E_NS1_11comp_targetILNS1_3genE9ELNS1_11target_archE1100ELNS1_3gpuE3ELNS1_3repE0EEENS1_30default_config_static_selectorELNS0_4arch9wavefront6targetE0EEEvT1_
		.amdhsa_group_segment_fixed_size 0
		.amdhsa_private_segment_fixed_size 0
		.amdhsa_kernarg_size 160
		.amdhsa_user_sgpr_count 6
		.amdhsa_user_sgpr_private_segment_buffer 1
		.amdhsa_user_sgpr_dispatch_ptr 0
		.amdhsa_user_sgpr_queue_ptr 0
		.amdhsa_user_sgpr_kernarg_segment_ptr 1
		.amdhsa_user_sgpr_dispatch_id 0
		.amdhsa_user_sgpr_flat_scratch_init 0
		.amdhsa_user_sgpr_private_segment_size 0
		.amdhsa_wavefront_size32 1
		.amdhsa_uses_dynamic_stack 0
		.amdhsa_system_sgpr_private_segment_wavefront_offset 0
		.amdhsa_system_sgpr_workgroup_id_x 1
		.amdhsa_system_sgpr_workgroup_id_y 0
		.amdhsa_system_sgpr_workgroup_id_z 0
		.amdhsa_system_sgpr_workgroup_info 0
		.amdhsa_system_vgpr_workitem_id 0
		.amdhsa_next_free_vgpr 1
		.amdhsa_next_free_sgpr 1
		.amdhsa_reserve_vcc 0
		.amdhsa_reserve_flat_scratch 0
		.amdhsa_float_round_mode_32 0
		.amdhsa_float_round_mode_16_64 0
		.amdhsa_float_denorm_mode_32 3
		.amdhsa_float_denorm_mode_16_64 3
		.amdhsa_dx10_clamp 1
		.amdhsa_ieee_mode 1
		.amdhsa_fp16_overflow 0
		.amdhsa_workgroup_processor_mode 1
		.amdhsa_memory_ordered 1
		.amdhsa_forward_progress 1
		.amdhsa_shared_vgpr_count 0
		.amdhsa_exception_fp_ieee_invalid_op 0
		.amdhsa_exception_fp_denorm_src 0
		.amdhsa_exception_fp_ieee_div_zero 0
		.amdhsa_exception_fp_ieee_overflow 0
		.amdhsa_exception_fp_ieee_underflow 0
		.amdhsa_exception_fp_ieee_inexact 0
		.amdhsa_exception_int_div_zero 0
	.end_amdhsa_kernel
	.section	.text._ZN7rocprim17ROCPRIM_400000_NS6detail17trampoline_kernelINS0_14default_configENS1_27scan_by_key_config_selectorIj11FixedVectorIiLj8EEEEZZNS1_16scan_by_key_implILNS1_25lookback_scan_determinismE0ELb0ES3_N6thrust23THRUST_200600_302600_NS6detail15normal_iteratorINSB_10device_ptrIjEEEENSD_INSE_IS6_EEEESI_S6_NSB_4plusIvEENSB_8equal_toIvEES6_EE10hipError_tPvRmT2_T3_T4_T5_mT6_T7_P12ihipStream_tbENKUlT_T0_E_clISt17integral_constantIbLb0EES12_IbLb1EEEEDaSY_SZ_EUlSY_E_NS1_11comp_targetILNS1_3genE9ELNS1_11target_archE1100ELNS1_3gpuE3ELNS1_3repE0EEENS1_30default_config_static_selectorELNS0_4arch9wavefront6targetE0EEEvT1_,"axG",@progbits,_ZN7rocprim17ROCPRIM_400000_NS6detail17trampoline_kernelINS0_14default_configENS1_27scan_by_key_config_selectorIj11FixedVectorIiLj8EEEEZZNS1_16scan_by_key_implILNS1_25lookback_scan_determinismE0ELb0ES3_N6thrust23THRUST_200600_302600_NS6detail15normal_iteratorINSB_10device_ptrIjEEEENSD_INSE_IS6_EEEESI_S6_NSB_4plusIvEENSB_8equal_toIvEES6_EE10hipError_tPvRmT2_T3_T4_T5_mT6_T7_P12ihipStream_tbENKUlT_T0_E_clISt17integral_constantIbLb0EES12_IbLb1EEEEDaSY_SZ_EUlSY_E_NS1_11comp_targetILNS1_3genE9ELNS1_11target_archE1100ELNS1_3gpuE3ELNS1_3repE0EEENS1_30default_config_static_selectorELNS0_4arch9wavefront6targetE0EEEvT1_,comdat
.Lfunc_end2155:
	.size	_ZN7rocprim17ROCPRIM_400000_NS6detail17trampoline_kernelINS0_14default_configENS1_27scan_by_key_config_selectorIj11FixedVectorIiLj8EEEEZZNS1_16scan_by_key_implILNS1_25lookback_scan_determinismE0ELb0ES3_N6thrust23THRUST_200600_302600_NS6detail15normal_iteratorINSB_10device_ptrIjEEEENSD_INSE_IS6_EEEESI_S6_NSB_4plusIvEENSB_8equal_toIvEES6_EE10hipError_tPvRmT2_T3_T4_T5_mT6_T7_P12ihipStream_tbENKUlT_T0_E_clISt17integral_constantIbLb0EES12_IbLb1EEEEDaSY_SZ_EUlSY_E_NS1_11comp_targetILNS1_3genE9ELNS1_11target_archE1100ELNS1_3gpuE3ELNS1_3repE0EEENS1_30default_config_static_selectorELNS0_4arch9wavefront6targetE0EEEvT1_, .Lfunc_end2155-_ZN7rocprim17ROCPRIM_400000_NS6detail17trampoline_kernelINS0_14default_configENS1_27scan_by_key_config_selectorIj11FixedVectorIiLj8EEEEZZNS1_16scan_by_key_implILNS1_25lookback_scan_determinismE0ELb0ES3_N6thrust23THRUST_200600_302600_NS6detail15normal_iteratorINSB_10device_ptrIjEEEENSD_INSE_IS6_EEEESI_S6_NSB_4plusIvEENSB_8equal_toIvEES6_EE10hipError_tPvRmT2_T3_T4_T5_mT6_T7_P12ihipStream_tbENKUlT_T0_E_clISt17integral_constantIbLb0EES12_IbLb1EEEEDaSY_SZ_EUlSY_E_NS1_11comp_targetILNS1_3genE9ELNS1_11target_archE1100ELNS1_3gpuE3ELNS1_3repE0EEENS1_30default_config_static_selectorELNS0_4arch9wavefront6targetE0EEEvT1_
                                        ; -- End function
	.set _ZN7rocprim17ROCPRIM_400000_NS6detail17trampoline_kernelINS0_14default_configENS1_27scan_by_key_config_selectorIj11FixedVectorIiLj8EEEEZZNS1_16scan_by_key_implILNS1_25lookback_scan_determinismE0ELb0ES3_N6thrust23THRUST_200600_302600_NS6detail15normal_iteratorINSB_10device_ptrIjEEEENSD_INSE_IS6_EEEESI_S6_NSB_4plusIvEENSB_8equal_toIvEES6_EE10hipError_tPvRmT2_T3_T4_T5_mT6_T7_P12ihipStream_tbENKUlT_T0_E_clISt17integral_constantIbLb0EES12_IbLb1EEEEDaSY_SZ_EUlSY_E_NS1_11comp_targetILNS1_3genE9ELNS1_11target_archE1100ELNS1_3gpuE3ELNS1_3repE0EEENS1_30default_config_static_selectorELNS0_4arch9wavefront6targetE0EEEvT1_.num_vgpr, 0
	.set _ZN7rocprim17ROCPRIM_400000_NS6detail17trampoline_kernelINS0_14default_configENS1_27scan_by_key_config_selectorIj11FixedVectorIiLj8EEEEZZNS1_16scan_by_key_implILNS1_25lookback_scan_determinismE0ELb0ES3_N6thrust23THRUST_200600_302600_NS6detail15normal_iteratorINSB_10device_ptrIjEEEENSD_INSE_IS6_EEEESI_S6_NSB_4plusIvEENSB_8equal_toIvEES6_EE10hipError_tPvRmT2_T3_T4_T5_mT6_T7_P12ihipStream_tbENKUlT_T0_E_clISt17integral_constantIbLb0EES12_IbLb1EEEEDaSY_SZ_EUlSY_E_NS1_11comp_targetILNS1_3genE9ELNS1_11target_archE1100ELNS1_3gpuE3ELNS1_3repE0EEENS1_30default_config_static_selectorELNS0_4arch9wavefront6targetE0EEEvT1_.num_agpr, 0
	.set _ZN7rocprim17ROCPRIM_400000_NS6detail17trampoline_kernelINS0_14default_configENS1_27scan_by_key_config_selectorIj11FixedVectorIiLj8EEEEZZNS1_16scan_by_key_implILNS1_25lookback_scan_determinismE0ELb0ES3_N6thrust23THRUST_200600_302600_NS6detail15normal_iteratorINSB_10device_ptrIjEEEENSD_INSE_IS6_EEEESI_S6_NSB_4plusIvEENSB_8equal_toIvEES6_EE10hipError_tPvRmT2_T3_T4_T5_mT6_T7_P12ihipStream_tbENKUlT_T0_E_clISt17integral_constantIbLb0EES12_IbLb1EEEEDaSY_SZ_EUlSY_E_NS1_11comp_targetILNS1_3genE9ELNS1_11target_archE1100ELNS1_3gpuE3ELNS1_3repE0EEENS1_30default_config_static_selectorELNS0_4arch9wavefront6targetE0EEEvT1_.numbered_sgpr, 0
	.set _ZN7rocprim17ROCPRIM_400000_NS6detail17trampoline_kernelINS0_14default_configENS1_27scan_by_key_config_selectorIj11FixedVectorIiLj8EEEEZZNS1_16scan_by_key_implILNS1_25lookback_scan_determinismE0ELb0ES3_N6thrust23THRUST_200600_302600_NS6detail15normal_iteratorINSB_10device_ptrIjEEEENSD_INSE_IS6_EEEESI_S6_NSB_4plusIvEENSB_8equal_toIvEES6_EE10hipError_tPvRmT2_T3_T4_T5_mT6_T7_P12ihipStream_tbENKUlT_T0_E_clISt17integral_constantIbLb0EES12_IbLb1EEEEDaSY_SZ_EUlSY_E_NS1_11comp_targetILNS1_3genE9ELNS1_11target_archE1100ELNS1_3gpuE3ELNS1_3repE0EEENS1_30default_config_static_selectorELNS0_4arch9wavefront6targetE0EEEvT1_.num_named_barrier, 0
	.set _ZN7rocprim17ROCPRIM_400000_NS6detail17trampoline_kernelINS0_14default_configENS1_27scan_by_key_config_selectorIj11FixedVectorIiLj8EEEEZZNS1_16scan_by_key_implILNS1_25lookback_scan_determinismE0ELb0ES3_N6thrust23THRUST_200600_302600_NS6detail15normal_iteratorINSB_10device_ptrIjEEEENSD_INSE_IS6_EEEESI_S6_NSB_4plusIvEENSB_8equal_toIvEES6_EE10hipError_tPvRmT2_T3_T4_T5_mT6_T7_P12ihipStream_tbENKUlT_T0_E_clISt17integral_constantIbLb0EES12_IbLb1EEEEDaSY_SZ_EUlSY_E_NS1_11comp_targetILNS1_3genE9ELNS1_11target_archE1100ELNS1_3gpuE3ELNS1_3repE0EEENS1_30default_config_static_selectorELNS0_4arch9wavefront6targetE0EEEvT1_.private_seg_size, 0
	.set _ZN7rocprim17ROCPRIM_400000_NS6detail17trampoline_kernelINS0_14default_configENS1_27scan_by_key_config_selectorIj11FixedVectorIiLj8EEEEZZNS1_16scan_by_key_implILNS1_25lookback_scan_determinismE0ELb0ES3_N6thrust23THRUST_200600_302600_NS6detail15normal_iteratorINSB_10device_ptrIjEEEENSD_INSE_IS6_EEEESI_S6_NSB_4plusIvEENSB_8equal_toIvEES6_EE10hipError_tPvRmT2_T3_T4_T5_mT6_T7_P12ihipStream_tbENKUlT_T0_E_clISt17integral_constantIbLb0EES12_IbLb1EEEEDaSY_SZ_EUlSY_E_NS1_11comp_targetILNS1_3genE9ELNS1_11target_archE1100ELNS1_3gpuE3ELNS1_3repE0EEENS1_30default_config_static_selectorELNS0_4arch9wavefront6targetE0EEEvT1_.uses_vcc, 0
	.set _ZN7rocprim17ROCPRIM_400000_NS6detail17trampoline_kernelINS0_14default_configENS1_27scan_by_key_config_selectorIj11FixedVectorIiLj8EEEEZZNS1_16scan_by_key_implILNS1_25lookback_scan_determinismE0ELb0ES3_N6thrust23THRUST_200600_302600_NS6detail15normal_iteratorINSB_10device_ptrIjEEEENSD_INSE_IS6_EEEESI_S6_NSB_4plusIvEENSB_8equal_toIvEES6_EE10hipError_tPvRmT2_T3_T4_T5_mT6_T7_P12ihipStream_tbENKUlT_T0_E_clISt17integral_constantIbLb0EES12_IbLb1EEEEDaSY_SZ_EUlSY_E_NS1_11comp_targetILNS1_3genE9ELNS1_11target_archE1100ELNS1_3gpuE3ELNS1_3repE0EEENS1_30default_config_static_selectorELNS0_4arch9wavefront6targetE0EEEvT1_.uses_flat_scratch, 0
	.set _ZN7rocprim17ROCPRIM_400000_NS6detail17trampoline_kernelINS0_14default_configENS1_27scan_by_key_config_selectorIj11FixedVectorIiLj8EEEEZZNS1_16scan_by_key_implILNS1_25lookback_scan_determinismE0ELb0ES3_N6thrust23THRUST_200600_302600_NS6detail15normal_iteratorINSB_10device_ptrIjEEEENSD_INSE_IS6_EEEESI_S6_NSB_4plusIvEENSB_8equal_toIvEES6_EE10hipError_tPvRmT2_T3_T4_T5_mT6_T7_P12ihipStream_tbENKUlT_T0_E_clISt17integral_constantIbLb0EES12_IbLb1EEEEDaSY_SZ_EUlSY_E_NS1_11comp_targetILNS1_3genE9ELNS1_11target_archE1100ELNS1_3gpuE3ELNS1_3repE0EEENS1_30default_config_static_selectorELNS0_4arch9wavefront6targetE0EEEvT1_.has_dyn_sized_stack, 0
	.set _ZN7rocprim17ROCPRIM_400000_NS6detail17trampoline_kernelINS0_14default_configENS1_27scan_by_key_config_selectorIj11FixedVectorIiLj8EEEEZZNS1_16scan_by_key_implILNS1_25lookback_scan_determinismE0ELb0ES3_N6thrust23THRUST_200600_302600_NS6detail15normal_iteratorINSB_10device_ptrIjEEEENSD_INSE_IS6_EEEESI_S6_NSB_4plusIvEENSB_8equal_toIvEES6_EE10hipError_tPvRmT2_T3_T4_T5_mT6_T7_P12ihipStream_tbENKUlT_T0_E_clISt17integral_constantIbLb0EES12_IbLb1EEEEDaSY_SZ_EUlSY_E_NS1_11comp_targetILNS1_3genE9ELNS1_11target_archE1100ELNS1_3gpuE3ELNS1_3repE0EEENS1_30default_config_static_selectorELNS0_4arch9wavefront6targetE0EEEvT1_.has_recursion, 0
	.set _ZN7rocprim17ROCPRIM_400000_NS6detail17trampoline_kernelINS0_14default_configENS1_27scan_by_key_config_selectorIj11FixedVectorIiLj8EEEEZZNS1_16scan_by_key_implILNS1_25lookback_scan_determinismE0ELb0ES3_N6thrust23THRUST_200600_302600_NS6detail15normal_iteratorINSB_10device_ptrIjEEEENSD_INSE_IS6_EEEESI_S6_NSB_4plusIvEENSB_8equal_toIvEES6_EE10hipError_tPvRmT2_T3_T4_T5_mT6_T7_P12ihipStream_tbENKUlT_T0_E_clISt17integral_constantIbLb0EES12_IbLb1EEEEDaSY_SZ_EUlSY_E_NS1_11comp_targetILNS1_3genE9ELNS1_11target_archE1100ELNS1_3gpuE3ELNS1_3repE0EEENS1_30default_config_static_selectorELNS0_4arch9wavefront6targetE0EEEvT1_.has_indirect_call, 0
	.section	.AMDGPU.csdata,"",@progbits
; Kernel info:
; codeLenInByte = 0
; TotalNumSgprs: 0
; NumVgprs: 0
; ScratchSize: 0
; MemoryBound: 0
; FloatMode: 240
; IeeeMode: 1
; LDSByteSize: 0 bytes/workgroup (compile time only)
; SGPRBlocks: 0
; VGPRBlocks: 0
; NumSGPRsForWavesPerEU: 1
; NumVGPRsForWavesPerEU: 1
; Occupancy: 16
; WaveLimiterHint : 0
; COMPUTE_PGM_RSRC2:SCRATCH_EN: 0
; COMPUTE_PGM_RSRC2:USER_SGPR: 6
; COMPUTE_PGM_RSRC2:TRAP_HANDLER: 0
; COMPUTE_PGM_RSRC2:TGID_X_EN: 1
; COMPUTE_PGM_RSRC2:TGID_Y_EN: 0
; COMPUTE_PGM_RSRC2:TGID_Z_EN: 0
; COMPUTE_PGM_RSRC2:TIDIG_COMP_CNT: 0
	.section	.text._ZN7rocprim17ROCPRIM_400000_NS6detail17trampoline_kernelINS0_14default_configENS1_27scan_by_key_config_selectorIj11FixedVectorIiLj8EEEEZZNS1_16scan_by_key_implILNS1_25lookback_scan_determinismE0ELb0ES3_N6thrust23THRUST_200600_302600_NS6detail15normal_iteratorINSB_10device_ptrIjEEEENSD_INSE_IS6_EEEESI_S6_NSB_4plusIvEENSB_8equal_toIvEES6_EE10hipError_tPvRmT2_T3_T4_T5_mT6_T7_P12ihipStream_tbENKUlT_T0_E_clISt17integral_constantIbLb0EES12_IbLb1EEEEDaSY_SZ_EUlSY_E_NS1_11comp_targetILNS1_3genE8ELNS1_11target_archE1030ELNS1_3gpuE2ELNS1_3repE0EEENS1_30default_config_static_selectorELNS0_4arch9wavefront6targetE0EEEvT1_,"axG",@progbits,_ZN7rocprim17ROCPRIM_400000_NS6detail17trampoline_kernelINS0_14default_configENS1_27scan_by_key_config_selectorIj11FixedVectorIiLj8EEEEZZNS1_16scan_by_key_implILNS1_25lookback_scan_determinismE0ELb0ES3_N6thrust23THRUST_200600_302600_NS6detail15normal_iteratorINSB_10device_ptrIjEEEENSD_INSE_IS6_EEEESI_S6_NSB_4plusIvEENSB_8equal_toIvEES6_EE10hipError_tPvRmT2_T3_T4_T5_mT6_T7_P12ihipStream_tbENKUlT_T0_E_clISt17integral_constantIbLb0EES12_IbLb1EEEEDaSY_SZ_EUlSY_E_NS1_11comp_targetILNS1_3genE8ELNS1_11target_archE1030ELNS1_3gpuE2ELNS1_3repE0EEENS1_30default_config_static_selectorELNS0_4arch9wavefront6targetE0EEEvT1_,comdat
	.protected	_ZN7rocprim17ROCPRIM_400000_NS6detail17trampoline_kernelINS0_14default_configENS1_27scan_by_key_config_selectorIj11FixedVectorIiLj8EEEEZZNS1_16scan_by_key_implILNS1_25lookback_scan_determinismE0ELb0ES3_N6thrust23THRUST_200600_302600_NS6detail15normal_iteratorINSB_10device_ptrIjEEEENSD_INSE_IS6_EEEESI_S6_NSB_4plusIvEENSB_8equal_toIvEES6_EE10hipError_tPvRmT2_T3_T4_T5_mT6_T7_P12ihipStream_tbENKUlT_T0_E_clISt17integral_constantIbLb0EES12_IbLb1EEEEDaSY_SZ_EUlSY_E_NS1_11comp_targetILNS1_3genE8ELNS1_11target_archE1030ELNS1_3gpuE2ELNS1_3repE0EEENS1_30default_config_static_selectorELNS0_4arch9wavefront6targetE0EEEvT1_ ; -- Begin function _ZN7rocprim17ROCPRIM_400000_NS6detail17trampoline_kernelINS0_14default_configENS1_27scan_by_key_config_selectorIj11FixedVectorIiLj8EEEEZZNS1_16scan_by_key_implILNS1_25lookback_scan_determinismE0ELb0ES3_N6thrust23THRUST_200600_302600_NS6detail15normal_iteratorINSB_10device_ptrIjEEEENSD_INSE_IS6_EEEESI_S6_NSB_4plusIvEENSB_8equal_toIvEES6_EE10hipError_tPvRmT2_T3_T4_T5_mT6_T7_P12ihipStream_tbENKUlT_T0_E_clISt17integral_constantIbLb0EES12_IbLb1EEEEDaSY_SZ_EUlSY_E_NS1_11comp_targetILNS1_3genE8ELNS1_11target_archE1030ELNS1_3gpuE2ELNS1_3repE0EEENS1_30default_config_static_selectorELNS0_4arch9wavefront6targetE0EEEvT1_
	.globl	_ZN7rocprim17ROCPRIM_400000_NS6detail17trampoline_kernelINS0_14default_configENS1_27scan_by_key_config_selectorIj11FixedVectorIiLj8EEEEZZNS1_16scan_by_key_implILNS1_25lookback_scan_determinismE0ELb0ES3_N6thrust23THRUST_200600_302600_NS6detail15normal_iteratorINSB_10device_ptrIjEEEENSD_INSE_IS6_EEEESI_S6_NSB_4plusIvEENSB_8equal_toIvEES6_EE10hipError_tPvRmT2_T3_T4_T5_mT6_T7_P12ihipStream_tbENKUlT_T0_E_clISt17integral_constantIbLb0EES12_IbLb1EEEEDaSY_SZ_EUlSY_E_NS1_11comp_targetILNS1_3genE8ELNS1_11target_archE1030ELNS1_3gpuE2ELNS1_3repE0EEENS1_30default_config_static_selectorELNS0_4arch9wavefront6targetE0EEEvT1_
	.p2align	8
	.type	_ZN7rocprim17ROCPRIM_400000_NS6detail17trampoline_kernelINS0_14default_configENS1_27scan_by_key_config_selectorIj11FixedVectorIiLj8EEEEZZNS1_16scan_by_key_implILNS1_25lookback_scan_determinismE0ELb0ES3_N6thrust23THRUST_200600_302600_NS6detail15normal_iteratorINSB_10device_ptrIjEEEENSD_INSE_IS6_EEEESI_S6_NSB_4plusIvEENSB_8equal_toIvEES6_EE10hipError_tPvRmT2_T3_T4_T5_mT6_T7_P12ihipStream_tbENKUlT_T0_E_clISt17integral_constantIbLb0EES12_IbLb1EEEEDaSY_SZ_EUlSY_E_NS1_11comp_targetILNS1_3genE8ELNS1_11target_archE1030ELNS1_3gpuE2ELNS1_3repE0EEENS1_30default_config_static_selectorELNS0_4arch9wavefront6targetE0EEEvT1_,@function
_ZN7rocprim17ROCPRIM_400000_NS6detail17trampoline_kernelINS0_14default_configENS1_27scan_by_key_config_selectorIj11FixedVectorIiLj8EEEEZZNS1_16scan_by_key_implILNS1_25lookback_scan_determinismE0ELb0ES3_N6thrust23THRUST_200600_302600_NS6detail15normal_iteratorINSB_10device_ptrIjEEEENSD_INSE_IS6_EEEESI_S6_NSB_4plusIvEENSB_8equal_toIvEES6_EE10hipError_tPvRmT2_T3_T4_T5_mT6_T7_P12ihipStream_tbENKUlT_T0_E_clISt17integral_constantIbLb0EES12_IbLb1EEEEDaSY_SZ_EUlSY_E_NS1_11comp_targetILNS1_3genE8ELNS1_11target_archE1030ELNS1_3gpuE2ELNS1_3repE0EEENS1_30default_config_static_selectorELNS0_4arch9wavefront6targetE0EEEvT1_: ; @_ZN7rocprim17ROCPRIM_400000_NS6detail17trampoline_kernelINS0_14default_configENS1_27scan_by_key_config_selectorIj11FixedVectorIiLj8EEEEZZNS1_16scan_by_key_implILNS1_25lookback_scan_determinismE0ELb0ES3_N6thrust23THRUST_200600_302600_NS6detail15normal_iteratorINSB_10device_ptrIjEEEENSD_INSE_IS6_EEEESI_S6_NSB_4plusIvEENSB_8equal_toIvEES6_EE10hipError_tPvRmT2_T3_T4_T5_mT6_T7_P12ihipStream_tbENKUlT_T0_E_clISt17integral_constantIbLb0EES12_IbLb1EEEEDaSY_SZ_EUlSY_E_NS1_11comp_targetILNS1_3genE8ELNS1_11target_archE1030ELNS1_3gpuE2ELNS1_3repE0EEENS1_30default_config_static_selectorELNS0_4arch9wavefront6targetE0EEEvT1_
; %bb.0:
	s_clause 0x1
	s_load_dwordx2 s[28:29], s[4:5], 0x68
	s_load_dwordx8 s[12:19], s[4:5], 0x48
	s_add_u32 s0, s0, s7
	v_cmp_ne_u32_e64 s7, 0, v0
	v_cmp_eq_u32_e64 s6, 0, v0
	s_addc_u32 s1, s1, 0
	s_and_saveexec_b32 s8, s6
	s_cbranch_execz .LBB2156_4
; %bb.1:
	s_mov_b32 s10, exec_lo
	s_mov_b32 s9, exec_lo
	v_mbcnt_lo_u32_b32 v1, s10, 0
                                        ; implicit-def: $vgpr2
	v_cmpx_eq_u32_e32 0, v1
	s_cbranch_execz .LBB2156_3
; %bb.2:
	s_load_dwordx2 s[20:21], s[4:5], 0x98
	s_bcnt1_i32_b32 s10, s10
	v_mov_b32_e32 v2, 0
	v_mov_b32_e32 v3, s10
	s_waitcnt lgkmcnt(0)
	global_atomic_add v2, v2, v3, s[20:21] glc
.LBB2156_3:
	s_or_b32 exec_lo, exec_lo, s9
	s_waitcnt vmcnt(0)
	v_readfirstlane_b32 s9, v2
	v_mov_b32_e32 v2, 0
	v_add_nc_u32_e32 v1, s9, v1
	ds_write_b32 v2, v1
.LBB2156_4:
	s_or_b32 exec_lo, exec_lo, s8
	v_mov_b32_e32 v1, 0
	s_clause 0x2
	s_load_dwordx8 s[20:27], s[4:5], 0x0
	s_load_dword s8, s[4:5], 0x70
	s_load_dwordx8 s[36:43], s[4:5], 0x78
	s_waitcnt lgkmcnt(0)
	s_barrier
	buffer_gl0_inv
	ds_read_b32 v2, v1
	s_mov_b32 s4, 0
	s_waitcnt lgkmcnt(0)
	s_barrier
	buffer_gl0_inv
	s_barrier
	buffer_gl0_inv
	buffer_store_dword v1, off, s[0:3], 0 offset:348
	buffer_store_dword v1, off, s[0:3], 0 offset:344
	;; [unrolled: 1-line block ×9, first 2 shown]
	v_readfirstlane_b32 s35, v2
.LBB2156_5:                             ; =>This Inner Loop Header: Depth=1
	v_add_nc_u32_e64 v2, 0x140, s4
	s_add_i32 s4, s4, 4
	s_cmp_lg_u32 s4, 32
	buffer_store_dword v1, v2, s[0:3], 0 offen
	s_cbranch_scc1 .LBB2156_5
; %bb.6:
	v_mov_b32_e32 v1, 0
	s_mov_b32 s4, 36
	s_movk_i32 s9, 0x164
	buffer_store_byte v1, off, s[0:3], 0 offset:352
	buffer_store_dword v1, off, s[0:3], 0 offset:368
	buffer_store_dword v1, off, s[0:3], 0 offset:364
	;; [unrolled: 1-line block ×9, first 2 shown]
.LBB2156_7:                             ; =>This Inner Loop Header: Depth=1
	v_add_nc_u32_e64 v2, 0x140, s4
	s_add_i32 s4, s4, 4
	s_cmpk_lg_i32 s4, 0x44
	buffer_store_dword v1, v2, s[0:3], 0 offen
	s_cbranch_scc1 .LBB2156_7
; %bb.8:
	v_mov_b32_e32 v1, 0
	s_movk_i32 s4, 0x48
	s_movk_i32 s19, 0x188
	buffer_store_byte v1, off, s[0:3], 0 offset:388
	buffer_store_dword v1, off, s[0:3], 0 offset:404
	buffer_store_dword v1, off, s[0:3], 0 offset:400
	;; [unrolled: 1-line block ×9, first 2 shown]
.LBB2156_9:                             ; =>This Inner Loop Header: Depth=1
	v_add_nc_u32_e64 v2, 0x140, s4
	s_add_i32 s4, s4, 4
	s_cmpk_lg_i32 s4, 0x68
	buffer_store_dword v1, v2, s[0:3], 0 offen
	s_cbranch_scc1 .LBB2156_9
; %bb.10:
	v_mov_b32_e32 v1, 0
	s_mov_b32 s4, 0
	buffer_store_byte v1, off, s[0:3], 0 offset:424
.LBB2156_11:                            ; =>This Inner Loop Header: Depth=1
	v_add_nc_u32_e64 v2, 0xb0, s4
	s_add_i32 s4, s4, 4
	s_cmp_lg_u32 s4, 32
	buffer_store_dword v1, v2, s[0:3], 0 offen
	s_cbranch_scc1 .LBB2156_11
; %bb.12:
	v_mov_b32_e32 v1, 0
	s_mov_b32 s4, 32
.LBB2156_13:                            ; =>This Inner Loop Header: Depth=1
	v_add_nc_u32_e64 v2, 0xb0, s4
	s_add_i32 s4, s4, 4
	s_cmp_lg_u32 s4, 64
	buffer_store_dword v1, v2, s[0:3], 0 offen
	s_cbranch_scc1 .LBB2156_13
; %bb.14:
	v_mov_b32_e32 v1, 0
	s_mov_b32 s4, 64
.LBB2156_15:                            ; =>This Inner Loop Header: Depth=1
	v_add_nc_u32_e64 v2, 0xb0, s4
	s_add_i32 s4, s4, 4
	s_cmpk_lg_i32 s4, 0x60
	buffer_store_dword v1, v2, s[0:3], 0 offen
	s_cbranch_scc1 .LBB2156_15
; %bb.16:
	s_lshl_b64 s[4:5], s[22:23], 2
	s_movk_i32 s44, 0xf0
	s_add_u32 s30, s20, s4
	s_addc_u32 s31, s21, s5
	s_lshl_b64 s[10:11], s[22:23], 5
	s_mul_i32 s4, s29, s8
	s_mul_hi_u32 s5, s28, s8
	s_add_u32 s24, s24, s10
	s_addc_u32 s25, s25, s11
	s_add_i32 s33, s5, s4
	s_cmp_lg_u64 s[40:41], 0
	s_mul_i32 s4, s35, 0x300
	s_mov_b32 s5, 0
	s_cselect_b32 s46, -1, 0
	s_lshl_b64 s[20:21], s[4:5], 2
	s_movk_i32 s45, 0xd0
	s_add_u32 s22, s30, s20
	s_addc_u32 s23, s31, s21
	s_lshl_b64 s[20:21], s[4:5], 5
	s_mul_i32 s4, s28, s8
	s_add_u32 s40, s24, s20
	s_addc_u32 s41, s25, s21
	s_add_u32 s24, s4, s35
	s_addc_u32 s25, s33, 0
	s_add_u32 s30, s36, -1
	s_addc_u32 s31, s37, -1
	s_mul_i32 s33, s30, 0xfffffd00
	v_cmp_ge_u64_e64 s34, s[24:25], s[30:31]
	s_and_b32 vcc_lo, exec_lo, s34
	s_cbranch_vccz .LBB2156_38
; %bb.17:
	v_mov_b32_e32 v1, s22
	v_mov_b32_e32 v2, s23
	s_add_i32 s36, s33, s18
	v_cmp_gt_u32_e64 s8, s36, v0
	flat_load_dword v1, v[1:2]
	s_waitcnt vmcnt(0) lgkmcnt(0)
	v_mov_b32_e32 v2, v1
	s_and_saveexec_b32 s4, s8
	s_cbranch_execz .LBB2156_19
; %bb.18:
	v_lshlrev_b32_e32 v2, 2, v0
	v_add_co_u32 v2, s5, s22, v2
	v_add_co_ci_u32_e64 v3, null, s23, 0, s5
	flat_load_dword v2, v[2:3]
.LBB2156_19:
	s_or_b32 exec_lo, exec_lo, s4
	v_or_b32_e32 v7, 0x100, v0
	v_mov_b32_e32 v3, v1
	v_cmp_gt_u32_e64 s5, s36, v7
	s_and_saveexec_b32 s4, s5
	s_cbranch_execz .LBB2156_21
; %bb.20:
	v_lshlrev_b32_e32 v3, 2, v0
	v_add_co_u32 v3, s30, s22, v3
	v_add_co_ci_u32_e64 v4, null, s23, 0, s30
	flat_load_dword v3, v[3:4] offset:1024
.LBB2156_21:
	s_or_b32 exec_lo, exec_lo, s4
	v_or_b32_e32 v5, 0x200, v0
	v_cmp_gt_u32_e64 s4, s36, v5
	s_and_saveexec_b32 s30, s4
	s_cbranch_execz .LBB2156_23
; %bb.22:
	v_lshlrev_b32_e32 v1, 2, v5
	v_add_co_u32 v8, s31, s22, v1
	v_add_co_ci_u32_e64 v9, null, s23, 0, s31
	flat_load_dword v1, v[8:9]
.LBB2156_23:
	s_or_b32 exec_lo, exec_lo, s30
	v_lshlrev_b32_e32 v4, 2, v0
	v_lshlrev_b32_e32 v6, 3, v0
	s_cmp_eq_u64 s[24:25], 0
	s_mov_b64 s[30:31], s[22:23]
	s_waitcnt vmcnt(0) lgkmcnt(0)
	ds_write2st64_b32 v4, v2, v3 offset1:4
	v_add_nc_u32_e32 v8, v4, v6
	ds_write_b32 v4, v1 offset:2048
	s_waitcnt lgkmcnt(0)
	s_waitcnt_vscnt null, 0x0
	s_barrier
	buffer_gl0_inv
	ds_read2_b32 v[1:2], v8 offset1:1
	ds_read_b32 v3, v8 offset:8
	s_cbranch_scc1 .LBB2156_27
; %bb.24:
	s_andn2_b32 vcc_lo, exec_lo, s46
	s_cbranch_vccnz .LBB2156_465
; %bb.25:
	s_lshl_b64 s[30:31], s[24:25], 2
	s_add_u32 s30, s42, s30
	s_addc_u32 s31, s43, s31
	s_add_u32 s30, s30, -4
	s_addc_u32 s31, s31, -1
	s_cbranch_execnz .LBB2156_27
.LBB2156_26:
	s_add_u32 s30, s22, -4
	s_addc_u32 s31, s23, -1
.LBB2156_27:
	v_mov_b32_e32 v9, s30
	v_mov_b32_e32 v10, s31
	v_sub_nc_u32_e32 v6, v8, v6
	flat_load_dword v4, v[9:10]
	s_waitcnt lgkmcnt(1)
	ds_write_b32 v6, v3 offset:3072
	s_waitcnt vmcnt(0) lgkmcnt(0)
	s_barrier
	buffer_gl0_inv
	s_and_saveexec_b32 s30, s7
; %bb.28:
	ds_read_b32 v4, v6 offset:3068
; %bb.29:
	s_or_b32 exec_lo, exec_lo, s30
	s_waitcnt lgkmcnt(0)
	s_barrier
	buffer_gl0_inv
	s_and_saveexec_b32 s30, s8
	s_cbranch_execnz .LBB2156_463
; %bb.30:
	s_or_b32 exec_lo, exec_lo, s30
	s_and_saveexec_b32 s8, s5
	s_cbranch_execnz .LBB2156_464
.LBB2156_31:
	s_or_b32 exec_lo, exec_lo, s8
	s_and_saveexec_b32 s5, s4
	s_cbranch_execz .LBB2156_33
.LBB2156_32:
	v_lshlrev_b32_e32 v5, 5, v5
	v_add_co_u32 v11, s4, s40, v5
	v_add_co_ci_u32_e64 v12, null, s41, 0, s4
	s_clause 0x1
	flat_load_dwordx4 v[7:10], v[11:12]
	flat_load_dwordx4 v[11:14], v[11:12] offset:16
	s_waitcnt vmcnt(1) lgkmcnt(1)
	buffer_store_dword v7, off, s[0:3], 0 offset:240
	buffer_store_dword v8, off, s[0:3], 0 offset:244
	;; [unrolled: 1-line block ×4, first 2 shown]
	s_waitcnt vmcnt(0) lgkmcnt(0)
	buffer_store_dword v11, off, s[0:3], 0 offset:256
	buffer_store_dword v12, off, s[0:3], 0 offset:260
	;; [unrolled: 1-line block ×4, first 2 shown]
.LBB2156_33:
	s_or_b32 exec_lo, exec_lo, s5
	v_mov_b32_e32 v31, s45
	s_clause 0x7
	buffer_load_dword v7, off, s[0:3], 0 offset:176
	buffer_load_dword v8, off, s[0:3], 0 offset:180
	;; [unrolled: 1-line block ×8, first 2 shown]
	v_mov_b32_e32 v32, s44
	v_mad_u32_u24 v5, v0, 28, v6
	s_mov_b32 s30, 0
	s_clause 0xf
	buffer_load_dword v15, v31, s[0:3], 0 offen
	buffer_load_dword v16, v31, s[0:3], 0 offen offset:4
	buffer_load_dword v17, v31, s[0:3], 0 offen offset:8
	;; [unrolled: 1-line block ×7, first 2 shown]
	buffer_load_dword v23, v32, s[0:3], 0 offen
	buffer_load_dword v24, v32, s[0:3], 0 offen offset:4
	buffer_load_dword v25, v32, s[0:3], 0 offen offset:8
	buffer_load_dword v26, v32, s[0:3], 0 offen offset:12
	buffer_load_dword v27, v32, s[0:3], 0 offen offset:16
	buffer_load_dword v28, v32, s[0:3], 0 offen offset:20
	buffer_load_dword v29, v32, s[0:3], 0 offen offset:24
	buffer_load_dword v30, v32, s[0:3], 0 offen offset:28
	s_mov_b32 s5, 0
	s_mov_b32 s31, exec_lo
	v_lshl_add_u32 v6, v0, 6, v5
                                        ; implicit-def: $sgpr8
	s_waitcnt vmcnt(20)
	ds_write_b128 v5, v[7:10]
	s_waitcnt vmcnt(16)
	ds_write_b128 v5, v[11:14] offset:16
	s_waitcnt vmcnt(12)
	ds_write_b128 v5, v[15:18] offset:8192
	;; [unrolled: 2-line block ×5, first 2 shown]
	s_waitcnt lgkmcnt(0)
	s_waitcnt_vscnt null, 0x0
	s_barrier
	buffer_gl0_inv
	ds_read_b128 v[7:10], v6 offset:32
	ds_read_b128 v[11:14], v6 offset:48
	;; [unrolled: 1-line block ×4, first 2 shown]
	v_mul_u32_u24_e32 v5, 3, v0
	s_waitcnt lgkmcnt(3)
	buffer_store_dword v10, v31, s[0:3], 0 offen offset:12
	buffer_store_dword v9, v31, s[0:3], 0 offen offset:8
	;; [unrolled: 1-line block ×3, first 2 shown]
	buffer_store_dword v7, v31, s[0:3], 0 offen
	s_waitcnt lgkmcnt(2)
	buffer_store_dword v14, v31, s[0:3], 0 offen offset:28
	buffer_store_dword v13, v31, s[0:3], 0 offen offset:24
	;; [unrolled: 1-line block ×4, first 2 shown]
	s_waitcnt lgkmcnt(1)
	buffer_store_dword v18, v32, s[0:3], 0 offen offset:12
	buffer_store_dword v17, v32, s[0:3], 0 offen offset:8
	;; [unrolled: 1-line block ×3, first 2 shown]
	buffer_store_dword v15, v32, s[0:3], 0 offen
	s_waitcnt lgkmcnt(0)
	buffer_store_dword v22, v32, s[0:3], 0 offen offset:28
	buffer_store_dword v21, v32, s[0:3], 0 offen offset:24
	;; [unrolled: 1-line block ×4, first 2 shown]
	v_cmpx_gt_u32_e64 s36, v5
	s_cbranch_execz .LBB2156_37
; %bb.34:
	ds_read_b128 v[7:10], v6
	ds_read_b128 v[11:14], v6 offset:16
	v_add_nc_u32_e32 v15, 1, v5
	v_cmp_ne_u32_e32 vcc_lo, v4, v1
	s_mov_b32 s4, 0
	s_mov_b32 s5, exec_lo
                                        ; implicit-def: $sgpr8
	v_cndmask_b32_e64 v4, 0, 1, vcc_lo
	s_waitcnt lgkmcnt(1)
	buffer_store_dword v10, off, s[0:3], 0 offset:332
	buffer_store_dword v9, off, s[0:3], 0 offset:328
	buffer_store_dword v8, off, s[0:3], 0 offset:324
	buffer_store_dword v7, off, s[0:3], 0 offset:320
	s_waitcnt lgkmcnt(0)
	buffer_store_dword v14, off, s[0:3], 0 offset:348
	buffer_store_dword v13, off, s[0:3], 0 offset:344
	;; [unrolled: 1-line block ×4, first 2 shown]
	buffer_store_byte v4, off, s[0:3], 0 offset:352
	v_cmpx_gt_u32_e64 s36, v15
	s_xor_b32 s5, exec_lo, s5
	s_cbranch_execz .LBB2156_36
; %bb.35:
	v_add_nc_u32_e32 v4, 32, v6
	v_cmp_ne_u32_e64 s4, v1, v2
	v_cmp_ne_u32_e64 s8, v2, v3
	ds_read2_b32 v[6:7], v4 offset0:2 offset1:3
	ds_read2_b32 v[8:9], v4 offset0:4 offset1:5
	ds_read2_b32 v[10:11], v4 offset1:1
	ds_read2_b32 v[12:13], v4 offset0:6 offset1:7
	v_add_nc_u32_e32 v4, 2, v5
	v_cndmask_b32_e64 v1, 0, 1, s4
	v_cmp_gt_u32_e32 vcc_lo, s36, v4
	v_mov_b32_e32 v4, s9
	s_waitcnt lgkmcnt(3)
	buffer_store_dword v7, v4, s[0:3], 0 offen offset:12
	buffer_store_dword v6, v4, s[0:3], 0 offen offset:8
	s_waitcnt lgkmcnt(1)
	buffer_store_dword v11, v4, s[0:3], 0 offen offset:4
	buffer_store_dword v10, v4, s[0:3], 0 offen
	s_waitcnt lgkmcnt(0)
	buffer_store_dword v13, v4, s[0:3], 0 offen offset:28
	buffer_store_dword v12, v4, s[0:3], 0 offen offset:24
	;; [unrolled: 1-line block ×4, first 2 shown]
	buffer_store_byte v1, off, s[0:3], 0 offset:388
	s_and_b32 s4, vcc_lo, exec_lo
.LBB2156_36:
	s_or_b32 exec_lo, exec_lo, s5
	s_and_b32 s5, s4, exec_lo
.LBB2156_37:
	s_or_b32 exec_lo, exec_lo, s31
	s_and_b32 vcc_lo, exec_lo, s30
	s_cbranch_vccnz .LBB2156_39
	s_branch .LBB2156_47
.LBB2156_38:
                                        ; implicit-def: $sgpr8
	s_cbranch_execz .LBB2156_47
.LBB2156_39:
	v_lshlrev_b32_e32 v7, 2, v0
	v_lshlrev_b32_e32 v5, 3, v0
	s_cmp_eq_u64 s[24:25], 0
	v_add_co_u32 v1, s4, s22, v7
	v_add_co_ci_u32_e64 v2, null, s23, 0, s4
	v_add_nc_u32_e32 v6, v7, v5
	v_add_co_u32 v3, vcc_lo, 0x800, v1
	v_add_co_ci_u32_e64 v4, null, 0, v2, vcc_lo
	s_clause 0x2
	flat_load_dword v8, v[1:2]
	flat_load_dword v1, v[1:2] offset:1024
	flat_load_dword v2, v[3:4]
	s_waitcnt vmcnt(1) lgkmcnt(1)
	ds_write2st64_b32 v7, v8, v1 offset1:4
	s_waitcnt vmcnt(0) lgkmcnt(1)
	ds_write_b32 v7, v2 offset:2048
	s_waitcnt lgkmcnt(0)
	s_waitcnt_vscnt null, 0x0
	s_barrier
	buffer_gl0_inv
	ds_read2_b32 v[1:2], v6 offset1:1
	ds_read_b32 v3, v6 offset:8
	s_cbranch_scc1 .LBB2156_44
; %bb.40:
	s_andn2_b32 vcc_lo, exec_lo, s46
	s_cbranch_vccnz .LBB2156_466
; %bb.41:
	s_lshl_b64 s[4:5], s[24:25], 2
	s_add_u32 s4, s42, s4
	s_addc_u32 s5, s43, s5
	s_add_u32 s4, s4, -4
	s_addc_u32 s5, s5, -1
	s_cbranch_execnz .LBB2156_43
.LBB2156_42:
	s_add_u32 s4, s22, -4
	s_addc_u32 s5, s23, -1
.LBB2156_43:
	s_mov_b64 s[22:23], s[4:5]
.LBB2156_44:
	v_mov_b32_e32 v7, s22
	v_mov_b32_e32 v8, s23
	v_sub_nc_u32_e32 v5, v6, v5
	flat_load_dword v4, v[7:8]
	s_waitcnt lgkmcnt(1)
	ds_write_b32 v5, v3 offset:3072
	s_waitcnt vmcnt(0) lgkmcnt(0)
	s_barrier
	buffer_gl0_inv
	s_and_saveexec_b32 s4, s7
; %bb.45:
	ds_read_b32 v4, v5 offset:3068
; %bb.46:
	s_or_b32 exec_lo, exec_lo, s4
	v_lshlrev_b32_e32 v6, 5, v0
	s_waitcnt lgkmcnt(0)
	s_barrier
	buffer_gl0_inv
	v_mov_b32_e32 v31, s44
	v_add_co_u32 v14, s4, s40, v6
	v_add_co_ci_u32_e64 v15, null, s41, 0, s4
	v_mov_b32_e32 v30, s45
	v_add_co_u32 v16, vcc_lo, 0x2000, v14
	s_clause 0x1
	flat_load_dwordx4 v[6:9], v[14:15]
	flat_load_dwordx4 v[10:13], v[14:15] offset:16
	v_add_co_ci_u32_e64 v17, null, 0, v15, vcc_lo
	v_add_co_u32 v14, vcc_lo, 0x4000, v14
	v_add_co_ci_u32_e64 v15, null, 0, v15, vcc_lo
	v_mad_u32_u24 v5, v0, 28, v5
	v_cmp_ne_u32_e32 vcc_lo, v1, v2
	v_cmp_ne_u32_e64 s8, v2, v3
	s_mov_b32 s5, -1
	s_waitcnt vmcnt(1) lgkmcnt(1)
	buffer_store_dword v6, off, s[0:3], 0 offset:176
	buffer_store_dword v7, off, s[0:3], 0 offset:180
	;; [unrolled: 1-line block ×4, first 2 shown]
	s_waitcnt vmcnt(0) lgkmcnt(0)
	buffer_store_dword v10, off, s[0:3], 0 offset:192
	buffer_store_dword v11, off, s[0:3], 0 offset:196
	;; [unrolled: 1-line block ×4, first 2 shown]
	s_clause 0x1
	flat_load_dwordx4 v[6:9], v[16:17]
	flat_load_dwordx4 v[10:13], v[16:17] offset:16
	v_lshl_add_u32 v32, v0, 6, v5
	s_waitcnt vmcnt(1) lgkmcnt(1)
	buffer_store_dword v6, off, s[0:3], 0 offset:208
	buffer_store_dword v7, off, s[0:3], 0 offset:212
	;; [unrolled: 1-line block ×4, first 2 shown]
	s_waitcnt vmcnt(0) lgkmcnt(0)
	buffer_store_dword v10, off, s[0:3], 0 offset:224
	buffer_store_dword v11, off, s[0:3], 0 offset:228
	;; [unrolled: 1-line block ×4, first 2 shown]
	s_clause 0x1
	flat_load_dwordx4 v[6:9], v[14:15]
	flat_load_dwordx4 v[10:13], v[14:15] offset:16
	s_clause 0xf
	buffer_load_dword v14, off, s[0:3], 0 offset:176
	buffer_load_dword v15, off, s[0:3], 0 offset:180
	;; [unrolled: 1-line block ×8, first 2 shown]
	buffer_load_dword v22, v30, s[0:3], 0 offen
	buffer_load_dword v23, v30, s[0:3], 0 offen offset:4
	buffer_load_dword v24, v30, s[0:3], 0 offen offset:8
	;; [unrolled: 1-line block ×7, first 2 shown]
	s_waitcnt vmcnt(17) lgkmcnt(1)
	buffer_store_dword v6, off, s[0:3], 0 offset:240
	buffer_store_dword v7, off, s[0:3], 0 offset:244
	;; [unrolled: 1-line block ×4, first 2 shown]
	s_waitcnt vmcnt(16) lgkmcnt(0)
	buffer_store_dword v10, off, s[0:3], 0 offset:256
	buffer_store_dword v11, off, s[0:3], 0 offset:260
	buffer_store_dword v12, off, s[0:3], 0 offset:264
	buffer_store_dword v13, off, s[0:3], 0 offset:268
	s_clause 0x7
	buffer_load_dword v6, v31, s[0:3], 0 offen
	buffer_load_dword v7, v31, s[0:3], 0 offen offset:4
	buffer_load_dword v8, v31, s[0:3], 0 offen offset:8
	;; [unrolled: 1-line block ×7, first 2 shown]
	s_waitcnt vmcnt(20)
	ds_write_b128 v5, v[14:17]
	s_waitcnt vmcnt(16)
	ds_write_b128 v5, v[18:21] offset:16
	s_waitcnt vmcnt(8)
	ds_write_b128 v5, v[26:29] offset:8208
	ds_write_b128 v5, v[22:25] offset:8192
	s_waitcnt vmcnt(1)
	ds_write_b128 v5, v[10:13] offset:16400
	s_waitcnt vmcnt(0)
	ds_write_b128 v5, v[6:9] offset:16384
	s_waitcnt lgkmcnt(0)
	s_waitcnt_vscnt null, 0x0
	s_barrier
	buffer_gl0_inv
	ds_read_b128 v[5:8], v32 offset:32
	ds_read_b128 v[9:12], v32 offset:48
	;; [unrolled: 1-line block ×3, first 2 shown]
	v_cndmask_b32_e64 v25, 0, 1, vcc_lo
	v_cmp_ne_u32_e32 vcc_lo, v4, v1
	ds_read_b128 v[17:20], v32 offset:80
	ds_read_b128 v[1:4], v32
	ds_read_b128 v[21:24], v32 offset:16
	v_mov_b32_e32 v27, s9
	v_cndmask_b32_e64 v26, 0, 1, vcc_lo
	buffer_store_byte v26, off, s[0:3], 0 offset:352
	s_waitcnt lgkmcnt(5)
	buffer_store_dword v8, v30, s[0:3], 0 offen offset:12
	buffer_store_dword v7, v30, s[0:3], 0 offen offset:8
	;; [unrolled: 1-line block ×3, first 2 shown]
	buffer_store_dword v5, v30, s[0:3], 0 offen
	s_waitcnt lgkmcnt(4)
	buffer_store_dword v12, v30, s[0:3], 0 offen offset:28
	buffer_store_dword v11, v30, s[0:3], 0 offen offset:24
	;; [unrolled: 1-line block ×4, first 2 shown]
	s_waitcnt lgkmcnt(3)
	buffer_store_dword v16, v31, s[0:3], 0 offen offset:12
	buffer_store_dword v15, v31, s[0:3], 0 offen offset:8
	buffer_store_dword v14, v31, s[0:3], 0 offen offset:4
	buffer_store_dword v13, v31, s[0:3], 0 offen
	s_waitcnt lgkmcnt(2)
	buffer_store_dword v20, v31, s[0:3], 0 offen offset:28
	buffer_store_dword v19, v31, s[0:3], 0 offen offset:24
	;; [unrolled: 1-line block ×4, first 2 shown]
	s_waitcnt lgkmcnt(1)
	buffer_store_dword v4, off, s[0:3], 0 offset:332
	buffer_store_dword v3, off, s[0:3], 0 offset:328
	;; [unrolled: 1-line block ×4, first 2 shown]
	s_waitcnt lgkmcnt(0)
	buffer_store_dword v24, off, s[0:3], 0 offset:348
	buffer_store_dword v23, off, s[0:3], 0 offset:344
	buffer_store_dword v22, off, s[0:3], 0 offset:340
	buffer_store_dword v21, off, s[0:3], 0 offset:336
	buffer_store_dword v12, v27, s[0:3], 0 offen offset:28
	buffer_store_dword v11, v27, s[0:3], 0 offen offset:24
	buffer_store_dword v10, v27, s[0:3], 0 offen offset:20
	buffer_store_dword v9, v27, s[0:3], 0 offen offset:16
	buffer_store_dword v8, v27, s[0:3], 0 offen offset:12
	buffer_store_dword v7, v27, s[0:3], 0 offen offset:8
	buffer_store_dword v6, v27, s[0:3], 0 offen offset:4
	buffer_store_dword v5, v27, s[0:3], 0 offen
	buffer_store_byte v25, off, s[0:3], 0 offset:388
.LBB2156_47:
	s_and_saveexec_b32 s4, s5
	s_cbranch_execz .LBB2156_49
; %bb.48:
	v_mov_b32_e32 v1, s44
	v_mov_b32_e32 v9, s19
	v_cndmask_b32_e64 v10, 0, 1, s8
	s_clause 0x7
	buffer_load_dword v2, v1, s[0:3], 0 offen offset:12
	buffer_load_dword v3, v1, s[0:3], 0 offen offset:8
	;; [unrolled: 1-line block ×3, first 2 shown]
	buffer_load_dword v5, v1, s[0:3], 0 offen
	buffer_load_dword v6, v1, s[0:3], 0 offen offset:28
	buffer_load_dword v7, v1, s[0:3], 0 offen offset:24
	;; [unrolled: 1-line block ×4, first 2 shown]
	s_waitcnt vmcnt(7)
	buffer_store_dword v2, v9, s[0:3], 0 offen offset:12
	s_waitcnt vmcnt(6)
	buffer_store_dword v3, v9, s[0:3], 0 offen offset:8
	;; [unrolled: 2-line block ×3, first 2 shown]
	s_waitcnt vmcnt(4)
	buffer_store_dword v5, v9, s[0:3], 0 offen
	s_waitcnt vmcnt(3)
	buffer_store_dword v6, v9, s[0:3], 0 offen offset:28
	s_waitcnt vmcnt(2)
	buffer_store_dword v7, v9, s[0:3], 0 offen offset:24
	;; [unrolled: 2-line block ×4, first 2 shown]
	buffer_store_byte v10, off, s[0:3], 0 offset:424
.LBB2156_49:
	s_or_b32 exec_lo, exec_lo, s4
	s_cmp_lg_u32 s35, 0
	s_mov_b32 s4, 0
	s_waitcnt_vscnt null, 0x0
	s_barrier
	buffer_gl0_inv
	s_cbranch_scc0 .LBB2156_258
; %bb.50:
	v_mov_b32_e32 v1, 0
	buffer_store_dword v1, off, s[0:3], 0 offset:208
.LBB2156_51:                            ; =>This Inner Loop Header: Depth=1
	v_add_nc_u32_e64 v2, 0xb0, s4
	s_add_i32 s4, s4, 4
	s_cmp_lg_u32 s4, 32
	buffer_store_dword v1, v2, s[0:3], 0 offen
	s_cbranch_scc1 .LBB2156_51
; %bb.52:
	s_clause 0x9
	buffer_load_dword v1, off, s[0:3], 0 offset:332
	buffer_load_dword v2, off, s[0:3], 0 offset:328
	;; [unrolled: 1-line block ×4, first 2 shown]
	buffer_load_ubyte v9, off, s[0:3], 0 offset:388
	buffer_load_dword v5, off, s[0:3], 0 offset:348
	buffer_load_dword v6, off, s[0:3], 0 offset:344
	;; [unrolled: 1-line block ×4, first 2 shown]
	buffer_load_ubyte v10, off, s[0:3], 0 offset:352
	s_mov_b32 s4, exec_lo
	s_waitcnt vmcnt(9)
	buffer_store_dword v1, off, s[0:3], 0 offset:188
	s_waitcnt vmcnt(8)
	buffer_store_dword v2, off, s[0:3], 0 offset:184
	;; [unrolled: 2-line block ×8, first 2 shown]
                                        ; implicit-def: $vgpr4
                                        ; implicit-def: $vgpr1
                                        ; implicit-def: $vgpr2
                                        ; implicit-def: $vgpr3
                                        ; implicit-def: $vgpr5
                                        ; implicit-def: $vgpr6
                                        ; implicit-def: $vgpr7
                                        ; implicit-def: $vgpr8
	v_cmpx_ne_u16_e32 0, v9
	s_xor_b32 s4, exec_lo, s4
	s_cbranch_execz .LBB2156_54
; %bb.53:
	s_clause 0x7
	buffer_load_dword v1, off, s[0:3], 0 offset:356
	buffer_load_dword v2, off, s[0:3], 0 offset:360
	;; [unrolled: 1-line block ×8, first 2 shown]
.LBB2156_54:
	s_andn2_saveexec_b32 s4, s4
	s_cbranch_execz .LBB2156_60
; %bb.55:
	s_waitcnt vmcnt(7)
	v_mov_b32_e32 v1, 0
	s_mov_b32 s5, 0
.LBB2156_56:                            ; =>This Inner Loop Header: Depth=1
	s_waitcnt vmcnt(6)
	v_add_nc_u32_e64 v2, s5, 32
	s_add_i32 s5, s5, 4
	s_cmp_lg_u32 s5, 32
	buffer_store_dword v1, v2, s[0:3], 0 offen
	s_cbranch_scc1 .LBB2156_56
; %bb.57:
	s_mov_b32 s5, 0
	.p2align	6
.LBB2156_58:                            ; =>This Inner Loop Header: Depth=1
	v_add_nc_u32_e64 v1, 0xb0, s5
	v_add_nc_u32_e64 v2, 0x140, s5
	s_waitcnt vmcnt(5)
	v_add_nc_u32_e64 v3, s5, 32
	s_add_i32 s5, s5, 4
	s_clause 0x1
	buffer_load_dword v1, v1, s[0:3], 0 offen
	buffer_load_dword v2, v2, s[0:3], 0 offen offset:36
	s_cmp_lg_u32 s5, 32
	s_waitcnt vmcnt(0)
	v_add_nc_u32_e32 v1, v2, v1
	buffer_store_dword v1, v3, s[0:3], 0 offen
	s_cbranch_scc1 .LBB2156_58
; %bb.59:
	s_clause 0x7
	buffer_load_dword v1, off, s[0:3], 0 offset:32
	buffer_load_dword v2, off, s[0:3], 0 offset:36
	;; [unrolled: 1-line block ×8, first 2 shown]
.LBB2156_60:
	s_or_b32 exec_lo, exec_lo, s4
	buffer_load_ubyte v11, off, s[0:3], 0 offset:424
	s_mov_b32 s4, exec_lo
	s_waitcnt vmcnt(8)
	buffer_store_dword v1, off, s[0:3], 0 offset:176
	s_waitcnt vmcnt(7)
	buffer_store_dword v2, off, s[0:3], 0 offset:180
	;; [unrolled: 2-line block ×8, first 2 shown]
                                        ; implicit-def: $vgpr7
                                        ; implicit-def: $vgpr1
                                        ; implicit-def: $vgpr2
                                        ; implicit-def: $vgpr3
                                        ; implicit-def: $vgpr4
                                        ; implicit-def: $vgpr5
                                        ; implicit-def: $vgpr6
                                        ; implicit-def: $vgpr8
	s_waitcnt vmcnt(0)
	v_cmpx_ne_u16_e32 0, v11
	s_xor_b32 s4, exec_lo, s4
	s_cbranch_execz .LBB2156_62
; %bb.61:
	s_clause 0x7
	buffer_load_dword v1, off, s[0:3], 0 offset:392
	buffer_load_dword v2, off, s[0:3], 0 offset:396
	;; [unrolled: 1-line block ×8, first 2 shown]
.LBB2156_62:
	s_andn2_saveexec_b32 s4, s4
	s_cbranch_execz .LBB2156_68
; %bb.63:
	s_waitcnt vmcnt(7)
	v_mov_b32_e32 v1, 0
	s_mov_b32 s5, 0
.LBB2156_64:                            ; =>This Inner Loop Header: Depth=1
	s_waitcnt vmcnt(6)
	v_add_nc_u32_e64 v2, s5, 32
	s_add_i32 s5, s5, 4
	s_cmp_lg_u32 s5, 32
	buffer_store_dword v1, v2, s[0:3], 0 offen
	s_cbranch_scc1 .LBB2156_64
; %bb.65:
	s_mov_b32 s5, 0
	.p2align	6
.LBB2156_66:                            ; =>This Inner Loop Header: Depth=1
	v_add_nc_u32_e64 v1, 0xb0, s5
	v_add_nc_u32_e64 v2, 0x140, s5
	s_waitcnt vmcnt(5)
	v_add_nc_u32_e64 v3, s5, 32
	s_add_i32 s5, s5, 4
	s_clause 0x1
	buffer_load_dword v1, v1, s[0:3], 0 offen
	buffer_load_dword v2, v2, s[0:3], 0 offen offset:72
	s_cmp_lg_u32 s5, 32
	s_waitcnt vmcnt(0)
	v_add_nc_u32_e32 v1, v2, v1
	buffer_store_dword v1, v3, s[0:3], 0 offen
	s_cbranch_scc1 .LBB2156_66
; %bb.67:
	s_clause 0x7
	buffer_load_dword v1, off, s[0:3], 0 offset:32
	buffer_load_dword v2, off, s[0:3], 0 offset:36
	;; [unrolled: 1-line block ×8, first 2 shown]
.LBB2156_68:
	s_or_b32 exec_lo, exec_lo, s4
	s_clause 0x1
	buffer_load_ushort v12, off, s[0:3], 0 offset:209
	buffer_load_sbyte v14, off, s[0:3], 0 offset:211
	v_or_b32_e32 v9, v9, v10
	v_mov_b32_e32 v13, 0
	v_and_b32_e32 v10, 1, v11
	v_mbcnt_lo_u32_b32 v17, -1, 0
	s_waitcnt vmcnt(9)
	v_mov_b32_dpp v15, v1 row_shr:1 row_mask:0xf bank_mask:0xf
	s_waitcnt vmcnt(5)
	v_mov_b32_dpp v20, v5 row_shr:1 row_mask:0xf bank_mask:0xf
	v_cmp_ne_u16_sdwa s4, v9, v13 src0_sel:BYTE_0 src1_sel:DWORD
	v_cmp_eq_u32_e32 vcc_lo, 1, v10
	v_mov_b32_dpp v16, v2 row_shr:1 row_mask:0xf bank_mask:0xf
	v_mov_b32_dpp v18, v3 row_shr:1 row_mask:0xf bank_mask:0xf
	s_waitcnt vmcnt(3)
	v_mov_b32_dpp v21, v8 row_shr:1 row_mask:0xf bank_mask:0xf
	v_mov_b32_dpp v19, v4 row_shr:1 row_mask:0xf bank_mask:0xf
	s_or_b32 s4, s4, vcc_lo
	s_waitcnt vmcnt(2)
	v_mov_b32_dpp v22, v7 row_shr:1 row_mask:0xf bank_mask:0xf
	v_cndmask_b32_e64 v9, 0, 1, s4
	s_mov_b32 s4, exec_lo
	buffer_store_dword v1, off, s[0:3], 0 offset:272
	buffer_store_dword v2, off, s[0:3], 0 offset:276
	;; [unrolled: 1-line block ×8, first 2 shown]
	s_waitcnt vmcnt(1)
	v_lshlrev_b16 v10, 8, v12
	s_waitcnt vmcnt(0)
	v_perm_b32 v11, v12, v14, 0xc0c0005
	v_mov_b32_dpp v14, v6 row_shr:1 row_mask:0xf bank_mask:0xf
	v_or_b32_e32 v9, v9, v10
	v_and_b32_e32 v10, 15, v17
	v_and_b32_e32 v12, 0xffff, v9
	v_lshl_or_b32 v11, v11, 16, v12
	buffer_store_dword v15, off, s[0:3], 0 offset:176
	buffer_store_dword v16, off, s[0:3], 0 offset:180
	;; [unrolled: 1-line block ×5, first 2 shown]
	v_mov_b32_dpp v12, v11 row_shr:1 row_mask:0xf bank_mask:0xf
	buffer_store_dword v20, off, s[0:3], 0 offset:192
	buffer_store_dword v14, off, s[0:3], 0 offset:196
	buffer_store_dword v21, off, s[0:3], 0 offset:200
	buffer_store_dword v22, off, s[0:3], 0 offset:204
	buffer_store_dword v12, off, s[0:3], 0 offset:208
	v_cmpx_ne_u32_e32 0, v10
	s_cbranch_execz .LBB2156_76
; %bb.69:
	v_cmp_eq_u16_sdwa s8, v9, v13 src0_sel:BYTE_0 src1_sel:DWORD
	s_and_saveexec_b32 s5, s8
	s_cbranch_execz .LBB2156_75
; %bb.70:
	v_mov_b32_e32 v1, 0
	s_mov_b32 s8, 0
.LBB2156_71:                            ; =>This Inner Loop Header: Depth=1
	v_add_nc_u32_e64 v2, s8, 32
	s_add_i32 s8, s8, 4
	s_cmp_lg_u32 s8, 32
	buffer_store_dword v1, v2, s[0:3], 0 offen
	s_cbranch_scc1 .LBB2156_71
; %bb.72:
	s_mov_b32 s8, 0
	.p2align	6
.LBB2156_73:                            ; =>This Inner Loop Header: Depth=1
	v_add_nc_u32_e64 v1, 0xb0, s8
	v_add_nc_u32_e64 v2, 0x110, s8
	;; [unrolled: 1-line block ×3, first 2 shown]
	s_add_i32 s8, s8, 4
	s_clause 0x1
	buffer_load_dword v1, v1, s[0:3], 0 offen
	buffer_load_dword v2, v2, s[0:3], 0 offen
	s_cmp_lg_u32 s8, 32
	s_waitcnt vmcnt(0)
	v_add_nc_u32_e32 v1, v2, v1
	buffer_store_dword v1, v3, s[0:3], 0 offen
	s_cbranch_scc1 .LBB2156_73
; %bb.74:
	s_clause 0x7
	buffer_load_dword v1, off, s[0:3], 0 offset:32
	buffer_load_dword v2, off, s[0:3], 0 offset:36
	buffer_load_dword v3, off, s[0:3], 0 offset:40
	buffer_load_dword v4, off, s[0:3], 0 offset:44
	buffer_load_dword v5, off, s[0:3], 0 offset:48
	buffer_load_dword v6, off, s[0:3], 0 offset:52
	buffer_load_dword v8, off, s[0:3], 0 offset:56
	buffer_load_dword v7, off, s[0:3], 0 offset:60
.LBB2156_75:
	s_or_b32 exec_lo, exec_lo, s5
	v_or_b32_e32 v9, v12, v11
	v_and_b32_e32 v9, 1, v9
	buffer_store_byte v9, off, s[0:3], 0 offset:304
	buffer_load_dword v11, off, s[0:3], 0 offset:304
	s_waitcnt vmcnt(8)
	buffer_store_dword v1, off, s[0:3], 0 offset:272
	s_waitcnt vmcnt(7)
	buffer_store_dword v2, off, s[0:3], 0 offset:276
	;; [unrolled: 2-line block ×8, first 2 shown]
	s_waitcnt vmcnt(0)
	v_mov_b32_e32 v9, v11
.LBB2156_76:
	s_or_b32 exec_lo, exec_lo, s4
	v_mov_b32_dpp v13, v1 row_shr:2 row_mask:0xf bank_mask:0xf
	v_mov_b32_dpp v12, v11 row_shr:2 row_mask:0xf bank_mask:0xf
	;; [unrolled: 1-line block ×5, first 2 shown]
	s_mov_b32 s5, exec_lo
	v_mov_b32_dpp v18, v5 row_shr:2 row_mask:0xf bank_mask:0xf
	v_mov_b32_dpp v19, v6 row_shr:2 row_mask:0xf bank_mask:0xf
	v_mov_b32_dpp v20, v8 row_shr:2 row_mask:0xf bank_mask:0xf
	v_mov_b32_dpp v21, v7 row_shr:2 row_mask:0xf bank_mask:0xf
	buffer_store_dword v13, off, s[0:3], 0 offset:176
	buffer_store_dword v14, off, s[0:3], 0 offset:180
	;; [unrolled: 1-line block ×9, first 2 shown]
	v_cmpx_lt_u32_e32 1, v10
	s_cbranch_execz .LBB2156_83
; %bb.77:
	v_mov_b32_e32 v11, 0
	s_mov_b32 s8, 0
	v_cmp_eq_u16_sdwa s22, v9, v11 src0_sel:BYTE_0 src1_sel:DWORD
	s_and_saveexec_b32 s4, s22
	s_cbranch_execz .LBB2156_82
.LBB2156_78:                            ; =>This Inner Loop Header: Depth=1
	v_add_nc_u32_e64 v1, s8, 32
	s_add_i32 s8, s8, 4
	s_cmp_lg_u32 s8, 32
	buffer_store_dword v11, v1, s[0:3], 0 offen
	s_cbranch_scc1 .LBB2156_78
; %bb.79:
	s_mov_b32 s8, 0
	.p2align	6
.LBB2156_80:                            ; =>This Inner Loop Header: Depth=1
	v_add_nc_u32_e64 v1, 0xb0, s8
	v_add_nc_u32_e64 v2, 0x110, s8
	;; [unrolled: 1-line block ×3, first 2 shown]
	s_add_i32 s8, s8, 4
	s_clause 0x1
	buffer_load_dword v1, v1, s[0:3], 0 offen
	buffer_load_dword v2, v2, s[0:3], 0 offen
	s_cmp_lg_u32 s8, 32
	s_waitcnt vmcnt(0)
	v_add_nc_u32_e32 v1, v2, v1
	buffer_store_dword v1, v3, s[0:3], 0 offen
	s_cbranch_scc1 .LBB2156_80
; %bb.81:
	s_clause 0x7
	buffer_load_dword v1, off, s[0:3], 0 offset:32
	buffer_load_dword v2, off, s[0:3], 0 offset:36
	;; [unrolled: 1-line block ×8, first 2 shown]
.LBB2156_82:
	s_or_b32 exec_lo, exec_lo, s4
	v_and_b32_e32 v9, 1, v9
	v_and_b32_e32 v11, 1, v12
	v_cmp_eq_u32_e32 vcc_lo, 1, v9
	v_cmp_eq_u32_e64 s4, 1, v11
	s_or_b32 s4, vcc_lo, s4
	v_cndmask_b32_e64 v9, 0, 1, s4
	buffer_store_byte v9, off, s[0:3], 0 offset:304
	buffer_load_dword v11, off, s[0:3], 0 offset:304
	s_waitcnt vmcnt(8)
	buffer_store_dword v1, off, s[0:3], 0 offset:272
	s_waitcnt vmcnt(7)
	buffer_store_dword v2, off, s[0:3], 0 offset:276
	;; [unrolled: 2-line block ×8, first 2 shown]
	s_waitcnt vmcnt(0)
	v_mov_b32_e32 v9, v11
.LBB2156_83:
	s_or_b32 exec_lo, exec_lo, s5
	v_mov_b32_dpp v13, v1 row_shr:4 row_mask:0xf bank_mask:0xf
	v_mov_b32_dpp v12, v11 row_shr:4 row_mask:0xf bank_mask:0xf
	;; [unrolled: 1-line block ×5, first 2 shown]
	s_mov_b32 s5, exec_lo
	v_mov_b32_dpp v18, v5 row_shr:4 row_mask:0xf bank_mask:0xf
	v_mov_b32_dpp v19, v6 row_shr:4 row_mask:0xf bank_mask:0xf
	v_mov_b32_dpp v20, v8 row_shr:4 row_mask:0xf bank_mask:0xf
	v_mov_b32_dpp v21, v7 row_shr:4 row_mask:0xf bank_mask:0xf
	buffer_store_dword v13, off, s[0:3], 0 offset:176
	buffer_store_dword v14, off, s[0:3], 0 offset:180
	;; [unrolled: 1-line block ×9, first 2 shown]
	v_cmpx_lt_u32_e32 3, v10
	s_cbranch_execz .LBB2156_90
; %bb.84:
	v_mov_b32_e32 v11, 0
	s_mov_b32 s8, 0
	v_cmp_eq_u16_sdwa s22, v9, v11 src0_sel:BYTE_0 src1_sel:DWORD
	s_and_saveexec_b32 s4, s22
	s_cbranch_execz .LBB2156_89
.LBB2156_85:                            ; =>This Inner Loop Header: Depth=1
	v_add_nc_u32_e64 v1, s8, 32
	s_add_i32 s8, s8, 4
	s_cmp_lg_u32 s8, 32
	buffer_store_dword v11, v1, s[0:3], 0 offen
	s_cbranch_scc1 .LBB2156_85
; %bb.86:
	s_mov_b32 s8, 0
	.p2align	6
.LBB2156_87:                            ; =>This Inner Loop Header: Depth=1
	v_add_nc_u32_e64 v1, 0xb0, s8
	v_add_nc_u32_e64 v2, 0x110, s8
	;; [unrolled: 1-line block ×3, first 2 shown]
	s_add_i32 s8, s8, 4
	s_clause 0x1
	buffer_load_dword v1, v1, s[0:3], 0 offen
	buffer_load_dword v2, v2, s[0:3], 0 offen
	s_cmp_lg_u32 s8, 32
	s_waitcnt vmcnt(0)
	v_add_nc_u32_e32 v1, v2, v1
	buffer_store_dword v1, v3, s[0:3], 0 offen
	s_cbranch_scc1 .LBB2156_87
; %bb.88:
	s_clause 0x7
	buffer_load_dword v1, off, s[0:3], 0 offset:32
	buffer_load_dword v2, off, s[0:3], 0 offset:36
	;; [unrolled: 1-line block ×8, first 2 shown]
.LBB2156_89:
	s_or_b32 exec_lo, exec_lo, s4
	v_and_b32_e32 v9, 1, v9
	v_and_b32_e32 v11, 1, v12
	v_cmp_eq_u32_e32 vcc_lo, 1, v9
	v_cmp_eq_u32_e64 s4, 1, v11
	s_or_b32 s4, vcc_lo, s4
	v_cndmask_b32_e64 v9, 0, 1, s4
	buffer_store_byte v9, off, s[0:3], 0 offset:304
	buffer_load_dword v11, off, s[0:3], 0 offset:304
	s_waitcnt vmcnt(8)
	buffer_store_dword v1, off, s[0:3], 0 offset:272
	s_waitcnt vmcnt(7)
	buffer_store_dword v2, off, s[0:3], 0 offset:276
	;; [unrolled: 2-line block ×8, first 2 shown]
	s_waitcnt vmcnt(0)
	v_mov_b32_e32 v9, v11
.LBB2156_90:
	s_or_b32 exec_lo, exec_lo, s5
	v_mov_b32_dpp v13, v1 row_shr:8 row_mask:0xf bank_mask:0xf
	v_mov_b32_dpp v12, v11 row_shr:8 row_mask:0xf bank_mask:0xf
	;; [unrolled: 1-line block ×5, first 2 shown]
	s_mov_b32 s5, exec_lo
	v_mov_b32_dpp v18, v5 row_shr:8 row_mask:0xf bank_mask:0xf
	v_mov_b32_dpp v19, v6 row_shr:8 row_mask:0xf bank_mask:0xf
	;; [unrolled: 1-line block ×4, first 2 shown]
	buffer_store_dword v13, off, s[0:3], 0 offset:176
	buffer_store_dword v14, off, s[0:3], 0 offset:180
	;; [unrolled: 1-line block ×9, first 2 shown]
	v_cmpx_lt_u32_e32 7, v10
	s_cbranch_execz .LBB2156_97
; %bb.91:
	v_mov_b32_e32 v10, 0
	s_mov_b32 s8, 0
	v_cmp_eq_u16_sdwa s22, v9, v10 src0_sel:BYTE_0 src1_sel:DWORD
	s_and_saveexec_b32 s4, s22
	s_cbranch_execz .LBB2156_96
.LBB2156_92:                            ; =>This Inner Loop Header: Depth=1
	v_add_nc_u32_e64 v1, s8, 32
	s_add_i32 s8, s8, 4
	s_cmp_lg_u32 s8, 32
	buffer_store_dword v10, v1, s[0:3], 0 offen
	s_cbranch_scc1 .LBB2156_92
; %bb.93:
	s_mov_b32 s8, 0
	.p2align	6
.LBB2156_94:                            ; =>This Inner Loop Header: Depth=1
	v_add_nc_u32_e64 v1, 0xb0, s8
	v_add_nc_u32_e64 v2, 0x110, s8
	;; [unrolled: 1-line block ×3, first 2 shown]
	s_add_i32 s8, s8, 4
	s_clause 0x1
	buffer_load_dword v1, v1, s[0:3], 0 offen
	buffer_load_dword v2, v2, s[0:3], 0 offen
	s_cmp_lg_u32 s8, 32
	s_waitcnt vmcnt(0)
	v_add_nc_u32_e32 v1, v2, v1
	buffer_store_dword v1, v3, s[0:3], 0 offen
	s_cbranch_scc1 .LBB2156_94
; %bb.95:
	s_clause 0x7
	buffer_load_dword v1, off, s[0:3], 0 offset:32
	buffer_load_dword v2, off, s[0:3], 0 offset:36
	;; [unrolled: 1-line block ×8, first 2 shown]
.LBB2156_96:
	s_or_b32 exec_lo, exec_lo, s4
	v_and_b32_e32 v9, 1, v9
	v_and_b32_e32 v10, 1, v12
	v_cmp_eq_u32_e32 vcc_lo, 1, v9
	v_cmp_eq_u32_e64 s4, 1, v10
	s_or_b32 s4, vcc_lo, s4
	v_cndmask_b32_e64 v9, 0, 1, s4
	buffer_store_byte v9, off, s[0:3], 0 offset:304
	buffer_load_dword v11, off, s[0:3], 0 offset:304
	s_waitcnt vmcnt(8)
	buffer_store_dword v1, off, s[0:3], 0 offset:272
	s_waitcnt vmcnt(7)
	buffer_store_dword v2, off, s[0:3], 0 offset:276
	;; [unrolled: 2-line block ×8, first 2 shown]
	s_waitcnt vmcnt(0)
	v_mov_b32_e32 v9, v11
.LBB2156_97:
	s_or_b32 exec_lo, exec_lo, s5
	ds_swizzle_b32 v12, v1 offset:swizzle(BROADCAST,32,15)
	ds_swizzle_b32 v10, v11 offset:swizzle(BROADCAST,32,15)
	;; [unrolled: 1-line block ×9, first 2 shown]
	v_and_b32_e32 v11, 16, v17
	s_mov_b32 s5, exec_lo
	s_waitcnt lgkmcnt(8)
	buffer_store_dword v12, off, s[0:3], 0 offset:176
	s_waitcnt lgkmcnt(6)
	buffer_store_dword v13, off, s[0:3], 0 offset:180
	;; [unrolled: 2-line block ×8, first 2 shown]
	buffer_store_dword v10, off, s[0:3], 0 offset:208
	v_cmpx_ne_u32_e32 0, v11
	s_cbranch_execz .LBB2156_104
; %bb.98:
	v_mov_b32_e32 v11, 0
	s_mov_b32 s8, 0
	v_cmp_eq_u16_sdwa s22, v9, v11 src0_sel:BYTE_0 src1_sel:DWORD
	s_and_saveexec_b32 s4, s22
	s_cbranch_execz .LBB2156_103
.LBB2156_99:                            ; =>This Inner Loop Header: Depth=1
	v_add_nc_u32_e64 v1, s8, 32
	s_add_i32 s8, s8, 4
	s_cmp_lg_u32 s8, 32
	buffer_store_dword v11, v1, s[0:3], 0 offen
	s_cbranch_scc1 .LBB2156_99
; %bb.100:
	s_mov_b32 s8, 0
	.p2align	6
.LBB2156_101:                           ; =>This Inner Loop Header: Depth=1
	v_add_nc_u32_e64 v1, 0xb0, s8
	v_add_nc_u32_e64 v2, 0x110, s8
	;; [unrolled: 1-line block ×3, first 2 shown]
	s_add_i32 s8, s8, 4
	s_clause 0x1
	buffer_load_dword v1, v1, s[0:3], 0 offen
	buffer_load_dword v2, v2, s[0:3], 0 offen
	s_cmp_lg_u32 s8, 32
	s_waitcnt vmcnt(0)
	v_add_nc_u32_e32 v1, v2, v1
	buffer_store_dword v1, v3, s[0:3], 0 offen
	s_cbranch_scc1 .LBB2156_101
; %bb.102:
	s_clause 0x7
	buffer_load_dword v1, off, s[0:3], 0 offset:32
	buffer_load_dword v2, off, s[0:3], 0 offset:36
	;; [unrolled: 1-line block ×8, first 2 shown]
.LBB2156_103:
	s_or_b32 exec_lo, exec_lo, s4
	v_and_b32_e32 v9, 1, v9
	v_and_b32_e32 v10, 1, v10
	s_waitcnt vmcnt(7)
	buffer_store_dword v1, off, s[0:3], 0 offset:272
	s_waitcnt vmcnt(6)
	buffer_store_dword v2, off, s[0:3], 0 offset:276
	;; [unrolled: 2-line block ×3, first 2 shown]
	v_cmp_eq_u32_e32 vcc_lo, 1, v9
	v_cmp_eq_u32_e64 s4, 1, v10
	s_or_b32 s4, vcc_lo, s4
	v_cndmask_b32_e64 v9, 0, 1, s4
	s_waitcnt vmcnt(4)
	buffer_store_dword v4, off, s[0:3], 0 offset:284
	s_waitcnt vmcnt(3)
	buffer_store_dword v5, off, s[0:3], 0 offset:288
	;; [unrolled: 2-line block ×5, first 2 shown]
	buffer_store_byte v9, off, s[0:3], 0 offset:304
.LBB2156_104:
	s_or_b32 exec_lo, exec_lo, s5
	v_or_b32_e32 v11, 31, v0
	v_lshrrev_b32_e32 v10, 5, v0
	s_mov_b32 s4, exec_lo
	v_cmpx_eq_u32_e64 v0, v11
	s_cbranch_execz .LBB2156_106
; %bb.105:
	v_mul_u32_u24_e32 v11, 36, v10
	ds_write2_b32 v11, v1, v2 offset1:1
	ds_write2_b32 v11, v3, v4 offset0:2 offset1:3
	ds_write2_b32 v11, v5, v6 offset0:4 offset1:5
	ds_write2_b32 v11, v8, v7 offset0:6 offset1:7
	ds_write_b8 v11, v9 offset:32
.LBB2156_106:
	s_or_b32 exec_lo, exec_lo, s4
	s_mov_b32 s5, exec_lo
	s_waitcnt lgkmcnt(0)
	s_waitcnt_vscnt null, 0x0
	s_barrier
	buffer_gl0_inv
	v_cmpx_gt_u32_e32 8, v0
	s_cbranch_execz .LBB2156_130
; %bb.107:
	v_mul_u32_u24_e32 v9, 36, v0
	v_and_b32_e32 v12, 7, v17
	ds_read_b32 v11, v9 offset:32
	ds_read2_b32 v[1:2], v9 offset0:2 offset1:3
	ds_read2_b32 v[5:6], v9 offset0:4 offset1:5
	ds_read2_b32 v[3:4], v9 offset1:1
	ds_read2_b32 v[7:8], v9 offset0:6 offset1:7
	v_cmp_ne_u32_e32 vcc_lo, 0, v12
	s_waitcnt lgkmcnt(4)
	buffer_store_dword v11, off, s[0:3], 0 offset:64
	s_waitcnt lgkmcnt(3)
	buffer_store_dword v1, off, s[0:3], 0 offset:40
	;; [unrolled: 2-line block ×3, first 2 shown]
	buffer_store_dword v3, off, s[0:3], 0 offset:32
	buffer_store_dword v2, off, s[0:3], 0 offset:44
	s_waitcnt lgkmcnt(0)
	buffer_store_dword v7, off, s[0:3], 0 offset:56
	buffer_store_dword v6, off, s[0:3], 0 offset:52
	;; [unrolled: 1-line block ×4, first 2 shown]
	v_mov_b32_dpp v14, v3 row_shr:1 row_mask:0xf bank_mask:0xf
	v_mov_b32_dpp v13, v11 row_shr:1 row_mask:0xf bank_mask:0xf
	;; [unrolled: 1-line block ×9, first 2 shown]
	buffer_store_dword v14, off, s[0:3], 0 offset:176
	buffer_store_dword v15, off, s[0:3], 0 offset:180
	;; [unrolled: 1-line block ×9, first 2 shown]
	s_and_saveexec_b32 s4, vcc_lo
	s_cbranch_execz .LBB2156_115
; %bb.108:
	v_mov_b32_e32 v14, 0
	v_cmp_eq_u16_sdwa s22, v11, v14 src0_sel:BYTE_0 src1_sel:DWORD
	s_and_saveexec_b32 s8, s22
	s_cbranch_execz .LBB2156_114
; %bb.109:
	s_mov_b32 s22, 0
.LBB2156_110:                           ; =>This Inner Loop Header: Depth=1
	v_add_nc_u32_e64 v1, 0x44, s22
	s_add_i32 s22, s22, 4
	s_cmp_lg_u32 s22, 32
	buffer_store_dword v14, v1, s[0:3], 0 offen
	s_cbranch_scc1 .LBB2156_110
; %bb.111:
	s_mov_b32 s22, 0
	.p2align	6
.LBB2156_112:                           ; =>This Inner Loop Header: Depth=1
	v_add_nc_u32_e64 v1, 0xb0, s22
	v_add_nc_u32_e64 v2, s22, 32
	;; [unrolled: 1-line block ×3, first 2 shown]
	s_add_i32 s22, s22, 4
	s_clause 0x1
	buffer_load_dword v1, v1, s[0:3], 0 offen
	buffer_load_dword v2, v2, s[0:3], 0 offen
	s_cmp_lg_u32 s22, 32
	s_waitcnt vmcnt(0)
	v_add_nc_u32_e32 v1, v2, v1
	buffer_store_dword v1, v3, s[0:3], 0 offen
	s_cbranch_scc1 .LBB2156_112
; %bb.113:
	s_clause 0x7
	buffer_load_dword v3, off, s[0:3], 0 offset:68
	buffer_load_dword v4, off, s[0:3], 0 offset:72
	;; [unrolled: 1-line block ×8, first 2 shown]
.LBB2156_114:
	s_or_b32 exec_lo, exec_lo, s8
	v_or_b32_e32 v11, v13, v11
	v_and_b32_e32 v11, 1, v11
	buffer_store_byte v11, off, s[0:3], 0 offset:64
	buffer_load_dword v11, off, s[0:3], 0 offset:64
	s_waitcnt vmcnt(8)
	buffer_store_dword v3, off, s[0:3], 0 offset:32
	s_waitcnt vmcnt(7)
	buffer_store_dword v4, off, s[0:3], 0 offset:36
	;; [unrolled: 2-line block ×8, first 2 shown]
.LBB2156_115:
	s_or_b32 exec_lo, exec_lo, s4
	v_mov_b32_dpp v14, v3 row_shr:2 row_mask:0xf bank_mask:0xf
	s_waitcnt vmcnt(0)
	v_mov_b32_dpp v13, v11 row_shr:2 row_mask:0xf bank_mask:0xf
	v_mov_b32_dpp v15, v4 row_shr:2 row_mask:0xf bank_mask:0xf
	;; [unrolled: 1-line block ×4, first 2 shown]
	s_mov_b32 s8, exec_lo
	v_mov_b32_dpp v19, v5 row_shr:2 row_mask:0xf bank_mask:0xf
	v_mov_b32_dpp v20, v6 row_shr:2 row_mask:0xf bank_mask:0xf
	;; [unrolled: 1-line block ×4, first 2 shown]
	buffer_store_dword v14, off, s[0:3], 0 offset:176
	buffer_store_dword v15, off, s[0:3], 0 offset:180
	;; [unrolled: 1-line block ×9, first 2 shown]
	v_cmpx_lt_u32_e32 1, v12
	s_cbranch_execz .LBB2156_122
; %bb.116:
	v_mov_b32_e32 v14, 0
	s_mov_b32 s22, 0
	v_cmp_eq_u16_sdwa s23, v11, v14 src0_sel:BYTE_0 src1_sel:DWORD
	s_and_saveexec_b32 s4, s23
	s_cbranch_execz .LBB2156_121
.LBB2156_117:                           ; =>This Inner Loop Header: Depth=1
	v_add_nc_u32_e64 v1, 0x44, s22
	s_add_i32 s22, s22, 4
	s_cmp_lg_u32 s22, 32
	buffer_store_dword v14, v1, s[0:3], 0 offen
	s_cbranch_scc1 .LBB2156_117
; %bb.118:
	s_mov_b32 s22, 0
	.p2align	6
.LBB2156_119:                           ; =>This Inner Loop Header: Depth=1
	v_add_nc_u32_e64 v1, 0xb0, s22
	v_add_nc_u32_e64 v2, s22, 32
	;; [unrolled: 1-line block ×3, first 2 shown]
	s_add_i32 s22, s22, 4
	s_clause 0x1
	buffer_load_dword v1, v1, s[0:3], 0 offen
	buffer_load_dword v2, v2, s[0:3], 0 offen
	s_cmp_lg_u32 s22, 32
	s_waitcnt vmcnt(0)
	v_add_nc_u32_e32 v1, v2, v1
	buffer_store_dword v1, v3, s[0:3], 0 offen
	s_cbranch_scc1 .LBB2156_119
; %bb.120:
	s_clause 0x7
	buffer_load_dword v3, off, s[0:3], 0 offset:68
	buffer_load_dword v4, off, s[0:3], 0 offset:72
	buffer_load_dword v1, off, s[0:3], 0 offset:76
	buffer_load_dword v2, off, s[0:3], 0 offset:80
	buffer_load_dword v5, off, s[0:3], 0 offset:84
	buffer_load_dword v6, off, s[0:3], 0 offset:88
	buffer_load_dword v7, off, s[0:3], 0 offset:92
	buffer_load_dword v8, off, s[0:3], 0 offset:96
.LBB2156_121:
	s_or_b32 exec_lo, exec_lo, s4
	v_and_b32_e32 v11, 1, v11
	v_and_b32_e32 v13, 1, v13
	v_cmp_eq_u32_e32 vcc_lo, 1, v11
	v_cmp_eq_u32_e64 s4, 1, v13
	s_or_b32 s4, vcc_lo, s4
	v_cndmask_b32_e64 v11, 0, 1, s4
	buffer_store_byte v11, off, s[0:3], 0 offset:64
	buffer_load_dword v11, off, s[0:3], 0 offset:64
	s_waitcnt vmcnt(8)
	buffer_store_dword v3, off, s[0:3], 0 offset:32
	s_waitcnt vmcnt(7)
	buffer_store_dword v4, off, s[0:3], 0 offset:36
	;; [unrolled: 2-line block ×8, first 2 shown]
.LBB2156_122:
	s_or_b32 exec_lo, exec_lo, s8
	v_mov_b32_dpp v14, v3 row_shr:4 row_mask:0xf bank_mask:0xf
	s_waitcnt vmcnt(0)
	v_mov_b32_dpp v13, v11 row_shr:4 row_mask:0xf bank_mask:0xf
	v_mov_b32_dpp v15, v4 row_shr:4 row_mask:0xf bank_mask:0xf
	;; [unrolled: 1-line block ×4, first 2 shown]
	s_mov_b32 s8, exec_lo
	v_mov_b32_dpp v19, v5 row_shr:4 row_mask:0xf bank_mask:0xf
	v_mov_b32_dpp v20, v6 row_shr:4 row_mask:0xf bank_mask:0xf
	;; [unrolled: 1-line block ×4, first 2 shown]
	buffer_store_dword v14, off, s[0:3], 0 offset:176
	buffer_store_dword v15, off, s[0:3], 0 offset:180
	;; [unrolled: 1-line block ×9, first 2 shown]
	v_cmpx_lt_u32_e32 3, v12
	s_cbranch_execz .LBB2156_129
; %bb.123:
	v_mov_b32_e32 v12, 0
	s_mov_b32 s22, 0
	v_cmp_eq_u16_sdwa s23, v11, v12 src0_sel:BYTE_0 src1_sel:DWORD
	s_and_saveexec_b32 s4, s23
	s_cbranch_execz .LBB2156_128
.LBB2156_124:                           ; =>This Inner Loop Header: Depth=1
	v_add_nc_u32_e64 v1, 0x44, s22
	s_add_i32 s22, s22, 4
	s_cmp_lg_u32 s22, 32
	buffer_store_dword v12, v1, s[0:3], 0 offen
	s_cbranch_scc1 .LBB2156_124
; %bb.125:
	s_mov_b32 s22, 0
	.p2align	6
.LBB2156_126:                           ; =>This Inner Loop Header: Depth=1
	v_add_nc_u32_e64 v1, 0xb0, s22
	v_add_nc_u32_e64 v2, s22, 32
	;; [unrolled: 1-line block ×3, first 2 shown]
	s_add_i32 s22, s22, 4
	s_clause 0x1
	buffer_load_dword v1, v1, s[0:3], 0 offen
	buffer_load_dword v2, v2, s[0:3], 0 offen
	s_cmp_lg_u32 s22, 32
	s_waitcnt vmcnt(0)
	v_add_nc_u32_e32 v1, v2, v1
	buffer_store_dword v1, v3, s[0:3], 0 offen
	s_cbranch_scc1 .LBB2156_126
; %bb.127:
	s_clause 0x7
	buffer_load_dword v3, off, s[0:3], 0 offset:68
	buffer_load_dword v4, off, s[0:3], 0 offset:72
	;; [unrolled: 1-line block ×8, first 2 shown]
.LBB2156_128:
	s_or_b32 exec_lo, exec_lo, s4
	v_and_b32_e32 v11, 1, v11
	v_and_b32_e32 v12, 1, v13
	s_waitcnt vmcnt(7)
	buffer_store_dword v3, off, s[0:3], 0 offset:32
	s_waitcnt vmcnt(6)
	buffer_store_dword v4, off, s[0:3], 0 offset:36
	;; [unrolled: 2-line block ×8, first 2 shown]
	v_cmp_eq_u32_e32 vcc_lo, 1, v11
	v_cmp_eq_u32_e64 s4, 1, v12
	s_or_b32 s4, vcc_lo, s4
	v_cndmask_b32_e64 v11, 0, 1, s4
.LBB2156_129:
	s_or_b32 exec_lo, exec_lo, s8
	s_clause 0x7
	buffer_load_dword v1, off, s[0:3], 0 offset:32
	buffer_load_dword v2, off, s[0:3], 0 offset:36
	buffer_load_dword v3, off, s[0:3], 0 offset:40
	buffer_load_dword v4, off, s[0:3], 0 offset:44
	buffer_load_dword v5, off, s[0:3], 0 offset:48
	buffer_load_dword v6, off, s[0:3], 0 offset:56
	buffer_load_dword v7, off, s[0:3], 0 offset:60
	buffer_load_dword v8, off, s[0:3], 0 offset:52
	s_waitcnt vmcnt(4)
	ds_write2_b32 v9, v3, v4 offset0:2 offset1:3
	ds_write2_b32 v9, v1, v2 offset1:1
	s_waitcnt vmcnt(1)
	ds_write2_b32 v9, v6, v7 offset0:6 offset1:7
	s_waitcnt vmcnt(0)
	ds_write2_b32 v9, v5, v8 offset0:4 offset1:5
	ds_write_b8 v9, v11 offset:32
.LBB2156_130:
	s_or_b32 exec_lo, exec_lo, s5
	v_mov_b32_e32 v1, 0
	s_mov_b32 s4, 0
	s_waitcnt lgkmcnt(0)
	s_waitcnt_vscnt null, 0x0
	s_barrier
	buffer_gl0_inv
	buffer_store_dword v1, off, s[0:3], 0 offset:204
	buffer_store_dword v1, off, s[0:3], 0 offset:200
	;; [unrolled: 1-line block ×9, first 2 shown]
.LBB2156_131:                           ; =>This Inner Loop Header: Depth=1
	v_add_nc_u32_e64 v2, 0xb0, s4
	s_add_i32 s4, s4, 4
	s_cmp_lg_u32 s4, 32
	buffer_store_dword v1, v2, s[0:3], 0 offen
	s_cbranch_scc1 .LBB2156_131
; %bb.132:
	s_mov_b32 s5, exec_lo
	v_cmp_gt_u32_e32 vcc_lo, 32, v0
                                        ; implicit-def: $vgpr2
                                        ; implicit-def: $vgpr3
                                        ; implicit-def: $vgpr4
                                        ; implicit-def: $vgpr5
                                        ; implicit-def: $vgpr6
                                        ; implicit-def: $vgpr8
                                        ; implicit-def: $vgpr9
                                        ; implicit-def: $vgpr7
                                        ; implicit-def: $vgpr1
	v_cmpx_lt_u32_e32 31, v0
	s_xor_b32 s5, exec_lo, s5
	s_cbranch_execz .LBB2156_142
; %bb.133:
	buffer_load_ubyte v11, off, s[0:3], 0 offset:304
	v_mad_u32_u24 v1, v10, 36, 0xffffffdc
	v_mad_u32_u24 v10, v10, 36, -4
	ds_read2_b32 v[2:3], v1 offset0:2 offset1:3
	ds_read2_b32 v[4:5], v1 offset0:4 offset1:5
	ds_read2_b32 v[6:7], v1 offset1:1
	ds_read2_b32 v[8:9], v1 offset0:6 offset1:7
	ds_read_u8 v1, v10
	s_waitcnt lgkmcnt(4)
	buffer_store_dword v3, off, s[0:3], 0 offset:188
	buffer_store_dword v2, off, s[0:3], 0 offset:184
	s_waitcnt lgkmcnt(2)
	buffer_store_dword v7, off, s[0:3], 0 offset:180
	buffer_store_dword v6, off, s[0:3], 0 offset:176
	;; [unrolled: 3-line block ×3, first 2 shown]
	buffer_store_dword v5, off, s[0:3], 0 offset:196
	buffer_store_dword v4, off, s[0:3], 0 offset:192
                                        ; implicit-def: $vgpr7
                                        ; implicit-def: $vgpr2
                                        ; implicit-def: $vgpr3
                                        ; implicit-def: $vgpr4
                                        ; implicit-def: $vgpr5
                                        ; implicit-def: $vgpr6
                                        ; implicit-def: $vgpr8
                                        ; implicit-def: $vgpr9
	s_waitcnt vmcnt(0)
	v_cmp_ne_u16_e64 s4, 0, v11
	s_and_saveexec_b32 s8, s4
	s_xor_b32 s4, exec_lo, s8
	s_cbranch_execz .LBB2156_135
; %bb.134:
	s_clause 0x7
	buffer_load_dword v2, off, s[0:3], 0 offset:272
	buffer_load_dword v3, off, s[0:3], 0 offset:276
	;; [unrolled: 1-line block ×8, first 2 shown]
.LBB2156_135:
	s_andn2_saveexec_b32 s4, s4
	s_cbranch_execz .LBB2156_141
; %bb.136:
	s_waitcnt vmcnt(7)
	v_mov_b32_e32 v2, 0
	s_mov_b32 s8, 0
.LBB2156_137:                           ; =>This Inner Loop Header: Depth=1
	s_waitcnt vmcnt(6)
	v_add_nc_u32_e64 v3, s8, 32
	s_add_i32 s8, s8, 4
	s_cmp_lg_u32 s8, 32
	buffer_store_dword v2, v3, s[0:3], 0 offen
	s_cbranch_scc1 .LBB2156_137
; %bb.138:
	s_mov_b32 s8, 0
	.p2align	6
.LBB2156_139:                           ; =>This Inner Loop Header: Depth=1
	v_add_nc_u32_e64 v2, 0xb0, s8
	v_add_nc_u32_e64 v3, 0x110, s8
	s_waitcnt vmcnt(5)
	v_add_nc_u32_e64 v4, s8, 32
	s_add_i32 s8, s8, 4
	s_clause 0x1
	buffer_load_dword v2, v2, s[0:3], 0 offen
	buffer_load_dword v3, v3, s[0:3], 0 offen
	s_cmp_lg_u32 s8, 32
	s_waitcnt vmcnt(0)
	v_add_nc_u32_e32 v2, v3, v2
	buffer_store_dword v2, v4, s[0:3], 0 offen
	s_cbranch_scc1 .LBB2156_139
; %bb.140:
	s_clause 0x7
	buffer_load_dword v2, off, s[0:3], 0 offset:32
	buffer_load_dword v3, off, s[0:3], 0 offset:36
	;; [unrolled: 1-line block ×8, first 2 shown]
.LBB2156_141:
	s_or_b32 exec_lo, exec_lo, s4
	s_waitcnt lgkmcnt(0)
	v_or_b32_e32 v10, v11, v1
	buffer_store_byte v10, off, s[0:3], 0 offset:304
.LBB2156_142:
	s_andn2_saveexec_b32 s4, s5
	s_cbranch_execz .LBB2156_144
; %bb.143:
	s_clause 0x7
	buffer_load_dword v2, off, s[0:3], 0 offset:272
	buffer_load_dword v3, off, s[0:3], 0 offset:276
	;; [unrolled: 1-line block ×8, first 2 shown]
	v_mov_b32_e32 v1, 0
.LBB2156_144:
	s_or_b32 exec_lo, exec_lo, s4
	buffer_load_dword v10, off, s[0:3], 0 offset:304
	v_sub_co_u32 v11, s22, v17, 1
	v_cmp_gt_i32_e64 s4, 0, v11
	v_cndmask_b32_e64 v11, v11, v17, s4
	v_lshlrev_b32_e32 v11, 2, v11
	s_waitcnt vmcnt(8)
	ds_bpermute_b32 v2, v11, v2
	s_waitcnt vmcnt(7)
	ds_bpermute_b32 v3, v11, v3
	;; [unrolled: 2-line block ×3, first 2 shown]
	ds_bpermute_b32 v4, v11, v4
	s_waitcnt vmcnt(2)
	ds_bpermute_b32 v9, v11, v9
	ds_bpermute_b32 v5, v11, v5
	s_waitcnt vmcnt(1)
	ds_bpermute_b32 v7, v11, v7
	ds_bpermute_b32 v6, v11, v6
	s_waitcnt lgkmcnt(7)
	buffer_store_dword v2, off, s[0:3], 0 offset:272
	s_waitcnt lgkmcnt(6)
	buffer_store_dword v3, off, s[0:3], 0 offset:276
	;; [unrolled: 2-line block ×5, first 2 shown]
	s_waitcnt vmcnt(0)
	ds_bpermute_b32 v10, v11, v10
	buffer_store_dword v8, off, s[0:3], 0 offset:292
	buffer_store_dword v9, off, s[0:3], 0 offset:296
	;; [unrolled: 1-line block ×3, first 2 shown]
	s_waitcnt lgkmcnt(0)
	buffer_store_byte v10, off, s[0:3], 0 offset:304
	v_and_b32_e32 v2, 1, v10
	v_cmp_eq_u32_e64 s5, 1, v2
	s_and_saveexec_b32 s8, s22
	s_cbranch_execz .LBB2156_146
; %bb.145:
	s_clause 0x7
	buffer_load_dword v2, off, s[0:3], 0 offset:188
	buffer_load_dword v3, off, s[0:3], 0 offset:184
	;; [unrolled: 1-line block ×8, first 2 shown]
	v_and_b32_e32 v10, 1, v1
	s_andn2_b32 s5, s5, exec_lo
	s_waitcnt vmcnt(7)
	buffer_store_dword v2, off, s[0:3], 0 offset:284
	s_waitcnt vmcnt(6)
	buffer_store_dword v3, off, s[0:3], 0 offset:280
	;; [unrolled: 2-line block ×8, first 2 shown]
	buffer_store_byte v1, off, s[0:3], 0 offset:304
	v_cmp_eq_u32_e64 s4, 1, v10
	s_and_b32 s4, s4, exec_lo
	s_or_b32 s5, s5, s4
.LBB2156_146:
	s_or_b32 exec_lo, exec_lo, s8
	s_and_saveexec_b32 s8, vcc_lo
	s_cbranch_execz .LBB2156_268
; %bb.147:
	v_mov_b32_e32 v9, 0
	ds_read2_b32 v[1:2], v9 offset0:63 offset1:64
	ds_read2_b32 v[3:4], v9 offset0:65 offset1:66
	;; [unrolled: 1-line block ×4, first 2 shown]
	ds_read_b32 v18, v9 offset:284
	s_waitcnt lgkmcnt(4)
	buffer_store_dword v1, off, s[0:3], 0 offset:140
	buffer_store_dword v2, off, s[0:3], 0 offset:144
	s_waitcnt lgkmcnt(3)
	buffer_store_dword v3, off, s[0:3], 0 offset:148
	buffer_store_dword v4, off, s[0:3], 0 offset:152
	;; [unrolled: 3-line block ×4, first 2 shown]
	s_waitcnt lgkmcnt(0)
	buffer_store_dword v18, off, s[0:3], 0 offset:172
	s_and_saveexec_b32 s4, s22
	s_cbranch_execz .LBB2156_149
; %bb.148:
	s_add_i32 s23, s35, 32
	v_mov_b32_e32 v10, 1
	s_mul_i32 s24, s23, 36
	v_mov_b32_e32 v11, s23
	s_mul_hi_u32 s25, s23, 36
	s_add_u32 s24, s12, s24
	s_addc_u32 s25, s13, s25
	global_store_dwordx4 v9, v[1:4], s[24:25]
	global_store_dwordx4 v9, v[5:8], s[24:25] offset:16
	global_store_byte v9, v18, s[24:25] offset:32
	s_waitcnt_vscnt null, 0x0
	buffer_gl1_inv
	buffer_gl0_inv
	global_store_byte v11, v10, s[16:17]
.LBB2156_149:
	s_or_b32 exec_lo, exec_lo, s4
	s_mov_b32 s4, 0
	buffer_store_dword v9, off, s[0:3], 0 offset:132
	buffer_store_dword v9, off, s[0:3], 0 offset:128
	;; [unrolled: 1-line block ×9, first 2 shown]
.LBB2156_150:                           ; =>This Inner Loop Header: Depth=1
	v_add_nc_u32_e64 v10, 0x68, s4
	s_add_i32 s4, s4, 4
	s_cmp_lg_u32 s4, 32
	buffer_store_dword v9, v10, s[0:3], 0 offen
	s_cbranch_scc1 .LBB2156_150
; %bb.151:
	v_mov_b32_e32 v9, 0
	s_mov_b32 s4, 0
	buffer_store_byte v9, off, s[0:3], 0 offset:136
	buffer_store_dword v9, off, s[0:3], 0 offset:60
	buffer_store_dword v9, off, s[0:3], 0 offset:56
	;; [unrolled: 1-line block ×9, first 2 shown]
.LBB2156_152:                           ; =>This Inner Loop Header: Depth=1
	v_add_nc_u32_e64 v10, s4, 32
	s_add_i32 s4, s4, 4
	s_cmp_lg_u32 s4, 32
	buffer_store_dword v9, v10, s[0:3], 0 offen
	s_cbranch_scc1 .LBB2156_152
; %bb.153:
	v_xad_u32 v19, v17, -1, s35
	v_mov_b32_e32 v9, 0
	s_mov_b32 s4, exec_lo
	v_add_nc_u32_e32 v11, 32, v19
	buffer_store_byte v9, off, s[0:3], 0 offset:64
	global_load_ubyte v20, v11, s[16:17] glc dlc
	s_waitcnt vmcnt(0)
	v_cmpx_eq_u16_e32 0, v20
	s_cbranch_execz .LBB2156_157
; %bb.154:
	v_add_co_u32 v9, s23, s16, v11
	v_add_co_ci_u32_e64 v10, null, s17, 0, s23
	s_mov_b32 s23, 0
.LBB2156_155:                           ; =>This Inner Loop Header: Depth=1
	global_load_ubyte v20, v[9:10], off glc dlc
	s_waitcnt vmcnt(0)
	v_cmp_ne_u16_e32 vcc_lo, 0, v20
	s_or_b32 s23, vcc_lo, s23
	s_andn2_b32 exec_lo, exec_lo, s23
	s_cbranch_execnz .LBB2156_155
; %bb.156:
	s_or_b32 exec_lo, exec_lo, s23
.LBB2156_157:
	s_or_b32 exec_lo, exec_lo, s4
	v_mov_b32_e32 v9, s13
	v_mov_b32_e32 v12, s12
	v_cmp_eq_u16_e32 vcc_lo, 1, v20
	s_waitcnt_vscnt null, 0x0
	buffer_gl1_inv
	buffer_gl0_inv
	s_mov_b32 s4, 0
	v_cndmask_b32_e32 v10, s15, v9, vcc_lo
	v_cndmask_b32_e32 v9, s14, v12, vcc_lo
	v_mad_u64_u32 v[21:22], null, v11, 36, v[9:10]
	s_clause 0x2
	global_load_dwordx4 v[9:12], v[21:22], off
	global_load_dwordx4 v[13:16], v[21:22], off offset:16
	global_load_ubyte v22, v[21:22], off offset:32
	v_mov_b32_e32 v21, 0
	s_waitcnt vmcnt(2)
	buffer_store_dword v10, off, s[0:3], 0 offset:36
	buffer_store_dword v9, off, s[0:3], 0 offset:32
	;; [unrolled: 1-line block ×4, first 2 shown]
	s_waitcnt vmcnt(1)
	buffer_store_dword v15, off, s[0:3], 0 offset:56
	buffer_store_dword v14, off, s[0:3], 0 offset:52
	;; [unrolled: 1-line block ×4, first 2 shown]
	s_waitcnt vmcnt(0)
	buffer_store_byte v22, off, s[0:3], 0 offset:64
	buffer_store_dword v9, off, s[0:3], 0 offset:104
	buffer_store_dword v10, off, s[0:3], 0 offset:108
	;; [unrolled: 1-line block ×8, first 2 shown]
	buffer_store_byte v22, off, s[0:3], 0 offset:136
	buffer_store_dword v21, off, s[0:3], 0 offset:208
.LBB2156_158:                           ; =>This Inner Loop Header: Depth=1
	v_add_nc_u32_e64 v22, 0xb0, s4
	s_add_i32 s4, s4, 4
	s_cmp_lg_u32 s4, 32
	buffer_store_dword v21, v22, s[0:3], 0 offen
	s_cbranch_scc1 .LBB2156_158
; %bb.159:
	buffer_load_dword v31, off, s[0:3], 0 offset:136
	v_cmp_ne_u32_e32 vcc_lo, 31, v17
	v_lshlrev_b32_e64 v22, v17, -1
	s_mov_b32 s4, exec_lo
	v_add_co_ci_u32_e64 v21, null, 0, v17, vcc_lo
	v_cmp_eq_u16_e32 vcc_lo, 2, v20
	v_lshlrev_b32_e32 v21, 2, v21
	v_and_or_b32 v32, vcc_lo, v22, 0x80000000
	ds_bpermute_b32 v24, v21, v9
	ds_bpermute_b32 v25, v21, v10
	;; [unrolled: 1-line block ×8, first 2 shown]
	v_ffbl_b32_e32 v32, v32
	s_waitcnt lgkmcnt(7)
	buffer_store_dword v24, off, s[0:3], 0 offset:176
	s_waitcnt lgkmcnt(6)
	buffer_store_dword v25, off, s[0:3], 0 offset:180
	;; [unrolled: 2-line block ×8, first 2 shown]
	s_waitcnt vmcnt(0)
	ds_bpermute_b32 v23, v21, v31
	v_cmpx_lt_u32_e64 v17, v32
	s_cbranch_execz .LBB2156_167
; %bb.160:
	v_mov_b32_e32 v24, 0
	v_cmp_eq_u16_sdwa s24, v31, v24 src0_sel:BYTE_0 src1_sel:DWORD
	s_and_saveexec_b32 s23, s24
	s_cbranch_execz .LBB2156_166
; %bb.161:
	s_mov_b32 s24, 0
.LBB2156_162:                           ; =>This Inner Loop Header: Depth=1
	v_add_nc_u32_e64 v9, 0x44, s24
	s_add_i32 s24, s24, 4
	s_cmp_lg_u32 s24, 32
	buffer_store_dword v24, v9, s[0:3], 0 offen
	s_cbranch_scc1 .LBB2156_162
; %bb.163:
	s_mov_b32 s24, 0
	.p2align	6
.LBB2156_164:                           ; =>This Inner Loop Header: Depth=1
	v_add_nc_u32_e64 v9, 0xb0, s24
	v_add_nc_u32_e64 v10, 0x68, s24
	;; [unrolled: 1-line block ×3, first 2 shown]
	s_add_i32 s24, s24, 4
	s_clause 0x1
	buffer_load_dword v9, v9, s[0:3], 0 offen
	buffer_load_dword v10, v10, s[0:3], 0 offen
	s_cmp_lg_u32 s24, 32
	s_waitcnt vmcnt(0)
	v_add_nc_u32_e32 v9, v10, v9
	buffer_store_dword v9, v11, s[0:3], 0 offen
	s_cbranch_scc1 .LBB2156_164
; %bb.165:
	s_clause 0x7
	buffer_load_dword v9, off, s[0:3], 0 offset:68
	buffer_load_dword v10, off, s[0:3], 0 offset:72
	;; [unrolled: 1-line block ×8, first 2 shown]
.LBB2156_166:
	s_or_b32 exec_lo, exec_lo, s23
	s_waitcnt lgkmcnt(0)
	v_or_b32_e32 v23, v23, v31
	v_and_b32_e32 v23, 1, v23
	buffer_store_byte v23, off, s[0:3], 0 offset:136
	buffer_load_dword v31, off, s[0:3], 0 offset:136
	s_waitcnt vmcnt(8)
	buffer_store_dword v9, off, s[0:3], 0 offset:104
	s_waitcnt vmcnt(7)
	buffer_store_dword v10, off, s[0:3], 0 offset:108
	;; [unrolled: 2-line block ×8, first 2 shown]
.LBB2156_167:
	s_or_b32 exec_lo, exec_lo, s4
	v_cmp_gt_u32_e32 vcc_lo, 30, v17
	v_add_nc_u32_e32 v24, 2, v17
	s_mov_b32 s23, exec_lo
	s_waitcnt lgkmcnt(0)
	v_cndmask_b32_e64 v23, 0, 2, vcc_lo
	v_add_lshl_u32 v23, v23, v17, 2
	ds_bpermute_b32 v26, v23, v9
	s_waitcnt vmcnt(0)
	ds_bpermute_b32 v25, v23, v31
	ds_bpermute_b32 v27, v23, v10
	;; [unrolled: 1-line block ×8, first 2 shown]
	s_waitcnt lgkmcnt(8)
	buffer_store_dword v26, off, s[0:3], 0 offset:176
	s_waitcnt lgkmcnt(6)
	buffer_store_dword v27, off, s[0:3], 0 offset:180
	;; [unrolled: 2-line block ×8, first 2 shown]
	v_cmpx_le_u32_e64 v24, v32
	s_cbranch_execz .LBB2156_175
; %bb.168:
	v_mov_b32_e32 v26, 0
	v_cmp_eq_u16_sdwa s24, v31, v26 src0_sel:BYTE_0 src1_sel:DWORD
	s_and_saveexec_b32 s4, s24
	s_cbranch_execz .LBB2156_174
; %bb.169:
	s_mov_b32 s24, 0
.LBB2156_170:                           ; =>This Inner Loop Header: Depth=1
	v_add_nc_u32_e64 v9, 0x44, s24
	s_add_i32 s24, s24, 4
	s_cmp_lg_u32 s24, 32
	buffer_store_dword v26, v9, s[0:3], 0 offen
	s_cbranch_scc1 .LBB2156_170
; %bb.171:
	s_mov_b32 s24, 0
	.p2align	6
.LBB2156_172:                           ; =>This Inner Loop Header: Depth=1
	v_add_nc_u32_e64 v9, 0xb0, s24
	v_add_nc_u32_e64 v10, 0x68, s24
	;; [unrolled: 1-line block ×3, first 2 shown]
	s_add_i32 s24, s24, 4
	s_clause 0x1
	buffer_load_dword v9, v9, s[0:3], 0 offen
	buffer_load_dword v10, v10, s[0:3], 0 offen
	s_cmp_lg_u32 s24, 32
	s_waitcnt vmcnt(0)
	v_add_nc_u32_e32 v9, v10, v9
	buffer_store_dword v9, v11, s[0:3], 0 offen
	s_cbranch_scc1 .LBB2156_172
; %bb.173:
	s_clause 0x7
	buffer_load_dword v9, off, s[0:3], 0 offset:68
	buffer_load_dword v10, off, s[0:3], 0 offset:72
	;; [unrolled: 1-line block ×8, first 2 shown]
.LBB2156_174:
	s_or_b32 exec_lo, exec_lo, s4
	v_and_b32_e32 v26, 1, v31
	v_and_b32_e32 v25, 1, v25
	v_cmp_eq_u32_e32 vcc_lo, 1, v26
	v_cmp_eq_u32_e64 s4, 1, v25
	s_or_b32 s4, vcc_lo, s4
	v_cndmask_b32_e64 v25, 0, 1, s4
	buffer_store_byte v25, off, s[0:3], 0 offset:136
	buffer_load_dword v31, off, s[0:3], 0 offset:136
	s_waitcnt vmcnt(8)
	buffer_store_dword v9, off, s[0:3], 0 offset:104
	s_waitcnt vmcnt(7)
	buffer_store_dword v10, off, s[0:3], 0 offset:108
	;; [unrolled: 2-line block ×8, first 2 shown]
.LBB2156_175:
	s_or_b32 exec_lo, exec_lo, s23
	v_cmp_gt_u32_e32 vcc_lo, 28, v17
	v_add_nc_u32_e32 v26, 4, v17
	s_mov_b32 s23, exec_lo
	v_cndmask_b32_e64 v25, 0, 4, vcc_lo
	v_add_lshl_u32 v25, v25, v17, 2
	ds_bpermute_b32 v28, v25, v9
	s_waitcnt vmcnt(0)
	ds_bpermute_b32 v27, v25, v31
	ds_bpermute_b32 v29, v25, v10
	;; [unrolled: 1-line block ×8, first 2 shown]
	s_waitcnt lgkmcnt(8)
	buffer_store_dword v28, off, s[0:3], 0 offset:176
	s_waitcnt lgkmcnt(6)
	buffer_store_dword v29, off, s[0:3], 0 offset:180
	;; [unrolled: 2-line block ×8, first 2 shown]
	v_cmpx_le_u32_e64 v26, v32
	s_cbranch_execz .LBB2156_183
; %bb.176:
	v_mov_b32_e32 v28, 0
	v_cmp_eq_u16_sdwa s24, v31, v28 src0_sel:BYTE_0 src1_sel:DWORD
	s_and_saveexec_b32 s4, s24
	s_cbranch_execz .LBB2156_182
; %bb.177:
	s_mov_b32 s24, 0
.LBB2156_178:                           ; =>This Inner Loop Header: Depth=1
	v_add_nc_u32_e64 v9, 0x44, s24
	s_add_i32 s24, s24, 4
	s_cmp_lg_u32 s24, 32
	buffer_store_dword v28, v9, s[0:3], 0 offen
	s_cbranch_scc1 .LBB2156_178
; %bb.179:
	s_mov_b32 s24, 0
	.p2align	6
.LBB2156_180:                           ; =>This Inner Loop Header: Depth=1
	v_add_nc_u32_e64 v9, 0xb0, s24
	v_add_nc_u32_e64 v10, 0x68, s24
	;; [unrolled: 1-line block ×3, first 2 shown]
	s_add_i32 s24, s24, 4
	s_clause 0x1
	buffer_load_dword v9, v9, s[0:3], 0 offen
	buffer_load_dword v10, v10, s[0:3], 0 offen
	s_cmp_lg_u32 s24, 32
	s_waitcnt vmcnt(0)
	v_add_nc_u32_e32 v9, v10, v9
	buffer_store_dword v9, v11, s[0:3], 0 offen
	s_cbranch_scc1 .LBB2156_180
; %bb.181:
	s_clause 0x7
	buffer_load_dword v9, off, s[0:3], 0 offset:68
	buffer_load_dword v10, off, s[0:3], 0 offset:72
	;; [unrolled: 1-line block ×8, first 2 shown]
.LBB2156_182:
	s_or_b32 exec_lo, exec_lo, s4
	v_and_b32_e32 v28, 1, v31
	v_and_b32_e32 v27, 1, v27
	v_cmp_eq_u32_e32 vcc_lo, 1, v28
	v_cmp_eq_u32_e64 s4, 1, v27
	s_or_b32 s4, vcc_lo, s4
	v_cndmask_b32_e64 v27, 0, 1, s4
	buffer_store_byte v27, off, s[0:3], 0 offset:136
	buffer_load_dword v31, off, s[0:3], 0 offset:136
	s_waitcnt vmcnt(8)
	buffer_store_dword v9, off, s[0:3], 0 offset:104
	s_waitcnt vmcnt(7)
	buffer_store_dword v10, off, s[0:3], 0 offset:108
	;; [unrolled: 2-line block ×8, first 2 shown]
.LBB2156_183:
	s_or_b32 exec_lo, exec_lo, s23
	v_cmp_gt_u32_e32 vcc_lo, 24, v17
	v_add_nc_u32_e32 v28, 8, v17
	s_mov_b32 s23, exec_lo
	v_cndmask_b32_e64 v27, 0, 8, vcc_lo
	v_add_lshl_u32 v27, v27, v17, 2
	ds_bpermute_b32 v30, v27, v9
	s_waitcnt vmcnt(0)
	ds_bpermute_b32 v29, v27, v31
	ds_bpermute_b32 v33, v27, v10
	;; [unrolled: 1-line block ×8, first 2 shown]
	s_waitcnt lgkmcnt(8)
	buffer_store_dword v30, off, s[0:3], 0 offset:176
	s_waitcnt lgkmcnt(6)
	buffer_store_dword v33, off, s[0:3], 0 offset:180
	;; [unrolled: 2-line block ×8, first 2 shown]
	v_cmpx_le_u32_e64 v28, v32
	s_cbranch_execz .LBB2156_191
; %bb.184:
	v_mov_b32_e32 v30, 0
	v_cmp_eq_u16_sdwa s24, v31, v30 src0_sel:BYTE_0 src1_sel:DWORD
	s_and_saveexec_b32 s4, s24
	s_cbranch_execz .LBB2156_190
; %bb.185:
	s_mov_b32 s24, 0
.LBB2156_186:                           ; =>This Inner Loop Header: Depth=1
	v_add_nc_u32_e64 v9, 0x44, s24
	s_add_i32 s24, s24, 4
	s_cmp_lg_u32 s24, 32
	buffer_store_dword v30, v9, s[0:3], 0 offen
	s_cbranch_scc1 .LBB2156_186
; %bb.187:
	s_mov_b32 s24, 0
	.p2align	6
.LBB2156_188:                           ; =>This Inner Loop Header: Depth=1
	v_add_nc_u32_e64 v9, 0xb0, s24
	v_add_nc_u32_e64 v10, 0x68, s24
	;; [unrolled: 1-line block ×3, first 2 shown]
	s_add_i32 s24, s24, 4
	s_clause 0x1
	buffer_load_dword v9, v9, s[0:3], 0 offen
	buffer_load_dword v10, v10, s[0:3], 0 offen
	s_cmp_lg_u32 s24, 32
	s_waitcnt vmcnt(0)
	v_add_nc_u32_e32 v9, v10, v9
	buffer_store_dword v9, v11, s[0:3], 0 offen
	s_cbranch_scc1 .LBB2156_188
; %bb.189:
	s_clause 0x7
	buffer_load_dword v9, off, s[0:3], 0 offset:68
	buffer_load_dword v10, off, s[0:3], 0 offset:72
	;; [unrolled: 1-line block ×8, first 2 shown]
.LBB2156_190:
	s_or_b32 exec_lo, exec_lo, s4
	v_and_b32_e32 v30, 1, v31
	v_and_b32_e32 v29, 1, v29
	v_cmp_eq_u32_e32 vcc_lo, 1, v30
	v_cmp_eq_u32_e64 s4, 1, v29
	s_or_b32 s4, vcc_lo, s4
	v_cndmask_b32_e64 v29, 0, 1, s4
	buffer_store_byte v29, off, s[0:3], 0 offset:136
	buffer_load_dword v31, off, s[0:3], 0 offset:136
	s_waitcnt vmcnt(8)
	buffer_store_dword v9, off, s[0:3], 0 offset:104
	s_waitcnt vmcnt(7)
	buffer_store_dword v10, off, s[0:3], 0 offset:108
	;; [unrolled: 2-line block ×8, first 2 shown]
.LBB2156_191:
	s_or_b32 exec_lo, exec_lo, s23
	v_lshl_or_b32 v29, v17, 2, 64
	v_add_nc_u32_e32 v30, 16, v17
	s_mov_b32 s23, exec_lo
	ds_bpermute_b32 v34, v29, v9
	s_waitcnt vmcnt(0)
	ds_bpermute_b32 v33, v29, v31
	ds_bpermute_b32 v35, v29, v10
	;; [unrolled: 1-line block ×8, first 2 shown]
	s_waitcnt lgkmcnt(8)
	buffer_store_dword v34, off, s[0:3], 0 offset:176
	s_waitcnt lgkmcnt(6)
	buffer_store_dword v35, off, s[0:3], 0 offset:180
	;; [unrolled: 2-line block ×8, first 2 shown]
	v_cmpx_le_u32_e64 v30, v32
	s_cbranch_execz .LBB2156_198
; %bb.192:
	v_mov_b32_e32 v32, 0
	s_mov_b32 s24, 0
	v_cmp_eq_u16_sdwa s25, v31, v32 src0_sel:BYTE_0 src1_sel:DWORD
	s_and_saveexec_b32 s4, s25
	s_cbranch_execz .LBB2156_197
.LBB2156_193:                           ; =>This Inner Loop Header: Depth=1
	v_add_nc_u32_e64 v9, 0x44, s24
	s_add_i32 s24, s24, 4
	s_cmp_lg_u32 s24, 32
	buffer_store_dword v32, v9, s[0:3], 0 offen
	s_cbranch_scc1 .LBB2156_193
; %bb.194:
	s_mov_b32 s24, 0
	.p2align	6
.LBB2156_195:                           ; =>This Inner Loop Header: Depth=1
	v_add_nc_u32_e64 v9, 0xb0, s24
	v_add_nc_u32_e64 v10, 0x68, s24
	;; [unrolled: 1-line block ×3, first 2 shown]
	s_add_i32 s24, s24, 4
	s_clause 0x1
	buffer_load_dword v9, v9, s[0:3], 0 offen
	buffer_load_dword v10, v10, s[0:3], 0 offen
	s_cmp_lg_u32 s24, 32
	s_waitcnt vmcnt(0)
	v_add_nc_u32_e32 v9, v10, v9
	buffer_store_dword v9, v11, s[0:3], 0 offen
	s_cbranch_scc1 .LBB2156_195
; %bb.196:
	s_clause 0x7
	buffer_load_dword v9, off, s[0:3], 0 offset:68
	buffer_load_dword v10, off, s[0:3], 0 offset:72
	;; [unrolled: 1-line block ×8, first 2 shown]
.LBB2156_197:
	s_or_b32 exec_lo, exec_lo, s4
	v_and_b32_e32 v31, 1, v31
	v_and_b32_e32 v32, 1, v33
	s_waitcnt vmcnt(7)
	buffer_store_dword v9, off, s[0:3], 0 offset:104
	s_waitcnt vmcnt(6)
	buffer_store_dword v10, off, s[0:3], 0 offset:108
	;; [unrolled: 2-line block ×3, first 2 shown]
	v_cmp_eq_u32_e32 vcc_lo, 1, v31
	v_cmp_eq_u32_e64 s4, 1, v32
	s_or_b32 s4, vcc_lo, s4
	v_cndmask_b32_e64 v9, 0, 1, s4
	s_waitcnt vmcnt(4)
	buffer_store_dword v12, off, s[0:3], 0 offset:116
	s_waitcnt vmcnt(3)
	buffer_store_dword v13, off, s[0:3], 0 offset:120
	;; [unrolled: 2-line block ×5, first 2 shown]
	buffer_store_byte v9, off, s[0:3], 0 offset:136
.LBB2156_198:
	s_or_b32 exec_lo, exec_lo, s23
	s_clause 0x8
	buffer_load_dword v9, off, s[0:3], 0 offset:116
	buffer_load_dword v10, off, s[0:3], 0 offset:112
	;; [unrolled: 1-line block ×9, first 2 shown]
	v_mov_b32_e32 v31, 0
	v_mov_b32_e32 v32, 2
	s_waitcnt vmcnt(8)
	buffer_store_dword v9, off, s[0:3], 0 offset:80
	s_waitcnt vmcnt(7)
	buffer_store_dword v10, off, s[0:3], 0 offset:76
	s_waitcnt vmcnt(6)
	buffer_store_dword v11, off, s[0:3], 0 offset:72
	s_waitcnt vmcnt(5)
	buffer_store_dword v12, off, s[0:3], 0 offset:68
	s_waitcnt vmcnt(4)
	buffer_store_dword v13, off, s[0:3], 0 offset:96
	s_waitcnt vmcnt(3)
	buffer_store_dword v14, off, s[0:3], 0 offset:92
	s_waitcnt vmcnt(2)
	buffer_store_dword v15, off, s[0:3], 0 offset:88
	s_waitcnt vmcnt(1)
	buffer_store_dword v16, off, s[0:3], 0 offset:84
	s_waitcnt vmcnt(0)
	buffer_store_dword v33, off, s[0:3], 0 offset:100
	s_branch .LBB2156_202
.LBB2156_199:                           ;   in Loop: Header=BB2156_202 Depth=1
	s_clause 0x7
	buffer_load_dword v10, off, s[0:3], 0 offset:176
	buffer_load_dword v11, off, s[0:3], 0 offset:180
	;; [unrolled: 1-line block ×8, first 2 shown]
.LBB2156_200:                           ;   in Loop: Header=BB2156_202 Depth=1
	s_or_b32 exec_lo, exec_lo, s23
	v_and_b32_e32 v9, 1, v9
	v_subrev_nc_u32_e32 v19, 32, v19
	s_waitcnt vmcnt(7)
	buffer_store_dword v10, off, s[0:3], 0 offset:68
	s_waitcnt vmcnt(6)
	buffer_store_dword v11, off, s[0:3], 0 offset:72
	;; [unrolled: 2-line block ×8, first 2 shown]
	v_cmp_eq_u32_e32 vcc_lo, 1, v9
	s_or_b32 s4, vcc_lo, s4
	v_cndmask_b32_e64 v9, 0, 1, s4
	s_mov_b32 s4, 0
	buffer_store_byte v9, off, s[0:3], 0 offset:100
.LBB2156_201:                           ;   in Loop: Header=BB2156_202 Depth=1
	s_and_b32 vcc_lo, exec_lo, s4
	s_cbranch_vccnz .LBB2156_259
.LBB2156_202:                           ; =>This Loop Header: Depth=1
                                        ;     Child Loop BB2156_204 Depth 2
                                        ;     Child Loop BB2156_207 Depth 2
	;; [unrolled: 1-line block ×15, first 2 shown]
	v_cmp_ne_u16_sdwa s4, v20, v32 src0_sel:BYTE_0 src1_sel:DWORD
                                        ; implicit-def: $vgpr20
	s_cmp_lg_u32 s4, exec_lo
	s_mov_b32 s4, -1
	s_cbranch_scc1 .LBB2156_201
; %bb.203:                              ;   in Loop: Header=BB2156_202 Depth=1
	s_mov_b32 s4, 0
	buffer_store_dword v31, off, s[0:3], 0 offset:60
	buffer_store_dword v31, off, s[0:3], 0 offset:56
	;; [unrolled: 1-line block ×9, first 2 shown]
.LBB2156_204:                           ;   Parent Loop BB2156_202 Depth=1
                                        ; =>  This Inner Loop Header: Depth=2
	v_add_nc_u32_e64 v9, s4, 32
	s_add_i32 s4, s4, 4
	s_cmp_lg_u32 s4, 32
	buffer_store_dword v31, v9, s[0:3], 0 offen
	s_cbranch_scc1 .LBB2156_204
; %bb.205:                              ;   in Loop: Header=BB2156_202 Depth=1
	buffer_store_byte v31, off, s[0:3], 0 offset:64
	global_load_ubyte v20, v19, s[16:17] glc dlc
	s_mov_b32 s4, exec_lo
	s_waitcnt vmcnt(0)
	v_cmpx_eq_u16_e32 0, v20
	s_cbranch_execz .LBB2156_209
; %bb.206:                              ;   in Loop: Header=BB2156_202 Depth=1
	v_add_co_u32 v9, s23, s16, v19
	v_add_co_ci_u32_e64 v10, null, s17, 0, s23
	s_mov_b32 s23, 0
.LBB2156_207:                           ;   Parent Loop BB2156_202 Depth=1
                                        ; =>  This Inner Loop Header: Depth=2
	global_load_ubyte v20, v[9:10], off glc dlc
	s_waitcnt vmcnt(0)
	v_cmp_ne_u16_e32 vcc_lo, 0, v20
	s_or_b32 s23, vcc_lo, s23
	s_andn2_b32 exec_lo, exec_lo, s23
	s_cbranch_execnz .LBB2156_207
; %bb.208:                              ;   in Loop: Header=BB2156_202 Depth=1
	s_or_b32 exec_lo, exec_lo, s23
.LBB2156_209:                           ;   in Loop: Header=BB2156_202 Depth=1
	s_or_b32 exec_lo, exec_lo, s4
	v_mov_b32_e32 v9, s13
	v_mov_b32_e32 v11, s12
	v_cmp_eq_u16_e32 vcc_lo, 1, v20
	s_waitcnt_vscnt null, 0x0
	buffer_gl1_inv
	buffer_gl0_inv
	s_mov_b32 s4, 0
	v_cndmask_b32_e32 v10, s15, v9, vcc_lo
	v_cndmask_b32_e32 v9, s14, v11, vcc_lo
	v_mad_u64_u32 v[33:34], null, v19, 36, v[9:10]
	s_clause 0x2
	global_load_dwordx4 v[9:12], v[33:34], off
	global_load_dwordx4 v[13:16], v[33:34], off offset:16
	global_load_ubyte v33, v[33:34], off offset:32
	s_waitcnt vmcnt(2)
	buffer_store_dword v10, off, s[0:3], 0 offset:36
	buffer_store_dword v9, off, s[0:3], 0 offset:32
	;; [unrolled: 1-line block ×4, first 2 shown]
	s_waitcnt vmcnt(1)
	buffer_store_dword v15, off, s[0:3], 0 offset:56
	buffer_store_dword v14, off, s[0:3], 0 offset:52
	;; [unrolled: 1-line block ×4, first 2 shown]
	s_waitcnt vmcnt(0)
	buffer_store_byte v33, off, s[0:3], 0 offset:64
	buffer_store_dword v9, off, s[0:3], 0 offset:104
	buffer_store_dword v10, off, s[0:3], 0 offset:108
	;; [unrolled: 1-line block ×8, first 2 shown]
	buffer_store_byte v33, off, s[0:3], 0 offset:136
	buffer_store_dword v31, off, s[0:3], 0 offset:208
.LBB2156_210:                           ;   Parent Loop BB2156_202 Depth=1
                                        ; =>  This Inner Loop Header: Depth=2
	v_add_nc_u32_e64 v33, 0xb0, s4
	s_add_i32 s4, s4, 4
	s_cmp_lg_u32 s4, 32
	buffer_store_dword v31, v33, s[0:3], 0 offen
	s_cbranch_scc1 .LBB2156_210
; %bb.211:                              ;   in Loop: Header=BB2156_202 Depth=1
	buffer_load_dword v34, off, s[0:3], 0 offset:136
	ds_bpermute_b32 v36, v21, v9
	ds_bpermute_b32 v37, v21, v10
	;; [unrolled: 1-line block ×5, first 2 shown]
	v_cmp_eq_u16_e32 vcc_lo, 2, v20
	ds_bpermute_b32 v41, v21, v14
	ds_bpermute_b32 v42, v21, v15
	;; [unrolled: 1-line block ×3, first 2 shown]
	s_mov_b32 s4, exec_lo
	v_and_or_b32 v33, vcc_lo, v22, 0x80000000
	s_waitcnt lgkmcnt(7)
	buffer_store_dword v36, off, s[0:3], 0 offset:176
	s_waitcnt lgkmcnt(6)
	buffer_store_dword v37, off, s[0:3], 0 offset:180
	;; [unrolled: 2-line block ×8, first 2 shown]
	v_ffbl_b32_e32 v33, v33
	s_waitcnt vmcnt(0)
	ds_bpermute_b32 v35, v21, v34
	v_cmpx_lt_u32_e64 v17, v33
	s_cbranch_execz .LBB2156_219
; %bb.212:                              ;   in Loop: Header=BB2156_202 Depth=1
	v_cmp_eq_u16_sdwa s24, v34, v31 src0_sel:BYTE_0 src1_sel:DWORD
	s_and_saveexec_b32 s23, s24
	s_cbranch_execz .LBB2156_218
; %bb.213:                              ;   in Loop: Header=BB2156_202 Depth=1
	s_mov_b32 s24, 0
.LBB2156_214:                           ;   Parent Loop BB2156_202 Depth=1
                                        ; =>  This Inner Loop Header: Depth=2
	v_mov_b32_e32 v9, s24
	s_add_i32 s24, s24, 4
	s_cmp_lg_u32 s24, 32
	buffer_store_dword v31, v9, s[0:3], 0 offen
	s_cbranch_scc1 .LBB2156_214
; %bb.215:                              ;   in Loop: Header=BB2156_202 Depth=1
	s_mov_b32 s24, 0
	.p2align	6
.LBB2156_216:                           ;   Parent Loop BB2156_202 Depth=1
                                        ; =>  This Inner Loop Header: Depth=2
	v_add_nc_u32_e64 v9, 0xb0, s24
	v_add_nc_u32_e64 v10, 0x68, s24
	v_mov_b32_e32 v11, s24
	s_add_i32 s24, s24, 4
	s_clause 0x1
	buffer_load_dword v9, v9, s[0:3], 0 offen
	buffer_load_dword v10, v10, s[0:3], 0 offen
	s_cmp_lg_u32 s24, 32
	s_waitcnt vmcnt(0)
	v_add_nc_u32_e32 v9, v10, v9
	buffer_store_dword v9, v11, s[0:3], 0 offen
	s_cbranch_scc1 .LBB2156_216
; %bb.217:                              ;   in Loop: Header=BB2156_202 Depth=1
	s_clause 0x7
	buffer_load_dword v9, off, s[0:3], 0
	buffer_load_dword v10, off, s[0:3], 0 offset:4
	buffer_load_dword v11, off, s[0:3], 0 offset:8
	;; [unrolled: 1-line block ×7, first 2 shown]
.LBB2156_218:                           ;   in Loop: Header=BB2156_202 Depth=1
	s_or_b32 exec_lo, exec_lo, s23
	s_waitcnt lgkmcnt(0)
	v_or_b32_e32 v34, v35, v34
	v_and_b32_e32 v34, 1, v34
	buffer_store_byte v34, off, s[0:3], 0 offset:136
	buffer_load_dword v34, off, s[0:3], 0 offset:136
	s_waitcnt vmcnt(8)
	buffer_store_dword v9, off, s[0:3], 0 offset:104
	s_waitcnt vmcnt(7)
	buffer_store_dword v10, off, s[0:3], 0 offset:108
	;; [unrolled: 2-line block ×8, first 2 shown]
.LBB2156_219:                           ;   in Loop: Header=BB2156_202 Depth=1
	s_or_b32 exec_lo, exec_lo, s4
	ds_bpermute_b32 v36, v23, v9
	s_waitcnt vmcnt(0) lgkmcnt(1)
	ds_bpermute_b32 v35, v23, v34
	ds_bpermute_b32 v37, v23, v10
	;; [unrolled: 1-line block ×8, first 2 shown]
	s_mov_b32 s23, exec_lo
	s_waitcnt lgkmcnt(8)
	buffer_store_dword v36, off, s[0:3], 0 offset:176
	s_waitcnt lgkmcnt(6)
	buffer_store_dword v37, off, s[0:3], 0 offset:180
	;; [unrolled: 2-line block ×8, first 2 shown]
	v_cmpx_le_u32_e64 v24, v33
	s_cbranch_execz .LBB2156_227
; %bb.220:                              ;   in Loop: Header=BB2156_202 Depth=1
	v_cmp_eq_u16_sdwa s24, v34, v31 src0_sel:BYTE_0 src1_sel:DWORD
	s_and_saveexec_b32 s4, s24
	s_cbranch_execz .LBB2156_226
; %bb.221:                              ;   in Loop: Header=BB2156_202 Depth=1
	s_mov_b32 s24, 0
.LBB2156_222:                           ;   Parent Loop BB2156_202 Depth=1
                                        ; =>  This Inner Loop Header: Depth=2
	v_mov_b32_e32 v9, s24
	s_add_i32 s24, s24, 4
	s_cmp_lg_u32 s24, 32
	buffer_store_dword v31, v9, s[0:3], 0 offen
	s_cbranch_scc1 .LBB2156_222
; %bb.223:                              ;   in Loop: Header=BB2156_202 Depth=1
	s_mov_b32 s24, 0
	.p2align	6
.LBB2156_224:                           ;   Parent Loop BB2156_202 Depth=1
                                        ; =>  This Inner Loop Header: Depth=2
	v_add_nc_u32_e64 v9, 0xb0, s24
	v_add_nc_u32_e64 v10, 0x68, s24
	v_mov_b32_e32 v11, s24
	s_add_i32 s24, s24, 4
	s_clause 0x1
	buffer_load_dword v9, v9, s[0:3], 0 offen
	buffer_load_dword v10, v10, s[0:3], 0 offen
	s_cmp_lg_u32 s24, 32
	s_waitcnt vmcnt(0)
	v_add_nc_u32_e32 v9, v10, v9
	buffer_store_dword v9, v11, s[0:3], 0 offen
	s_cbranch_scc1 .LBB2156_224
; %bb.225:                              ;   in Loop: Header=BB2156_202 Depth=1
	s_clause 0x7
	buffer_load_dword v9, off, s[0:3], 0
	buffer_load_dword v10, off, s[0:3], 0 offset:4
	buffer_load_dword v11, off, s[0:3], 0 offset:8
	;; [unrolled: 1-line block ×7, first 2 shown]
.LBB2156_226:                           ;   in Loop: Header=BB2156_202 Depth=1
	s_or_b32 exec_lo, exec_lo, s4
	v_and_b32_e32 v34, 1, v34
	v_and_b32_e32 v35, 1, v35
	v_cmp_eq_u32_e32 vcc_lo, 1, v34
	v_cmp_eq_u32_e64 s4, 1, v35
	s_or_b32 s4, vcc_lo, s4
	v_cndmask_b32_e64 v34, 0, 1, s4
	buffer_store_byte v34, off, s[0:3], 0 offset:136
	buffer_load_dword v34, off, s[0:3], 0 offset:136
	s_waitcnt vmcnt(8)
	buffer_store_dword v9, off, s[0:3], 0 offset:104
	s_waitcnt vmcnt(7)
	buffer_store_dword v10, off, s[0:3], 0 offset:108
	;; [unrolled: 2-line block ×8, first 2 shown]
.LBB2156_227:                           ;   in Loop: Header=BB2156_202 Depth=1
	s_or_b32 exec_lo, exec_lo, s23
	ds_bpermute_b32 v36, v25, v9
	s_waitcnt vmcnt(0)
	ds_bpermute_b32 v35, v25, v34
	ds_bpermute_b32 v37, v25, v10
	;; [unrolled: 1-line block ×8, first 2 shown]
	s_mov_b32 s23, exec_lo
	s_waitcnt lgkmcnt(8)
	buffer_store_dword v36, off, s[0:3], 0 offset:176
	s_waitcnt lgkmcnt(6)
	buffer_store_dword v37, off, s[0:3], 0 offset:180
	;; [unrolled: 2-line block ×8, first 2 shown]
	v_cmpx_le_u32_e64 v26, v33
	s_cbranch_execz .LBB2156_235
; %bb.228:                              ;   in Loop: Header=BB2156_202 Depth=1
	v_cmp_eq_u16_sdwa s24, v34, v31 src0_sel:BYTE_0 src1_sel:DWORD
	s_and_saveexec_b32 s4, s24
	s_cbranch_execz .LBB2156_234
; %bb.229:                              ;   in Loop: Header=BB2156_202 Depth=1
	s_mov_b32 s24, 0
.LBB2156_230:                           ;   Parent Loop BB2156_202 Depth=1
                                        ; =>  This Inner Loop Header: Depth=2
	v_mov_b32_e32 v9, s24
	s_add_i32 s24, s24, 4
	s_cmp_lg_u32 s24, 32
	buffer_store_dword v31, v9, s[0:3], 0 offen
	s_cbranch_scc1 .LBB2156_230
; %bb.231:                              ;   in Loop: Header=BB2156_202 Depth=1
	s_mov_b32 s24, 0
	.p2align	6
.LBB2156_232:                           ;   Parent Loop BB2156_202 Depth=1
                                        ; =>  This Inner Loop Header: Depth=2
	v_add_nc_u32_e64 v9, 0xb0, s24
	v_add_nc_u32_e64 v10, 0x68, s24
	v_mov_b32_e32 v11, s24
	s_add_i32 s24, s24, 4
	s_clause 0x1
	buffer_load_dword v9, v9, s[0:3], 0 offen
	buffer_load_dword v10, v10, s[0:3], 0 offen
	s_cmp_lg_u32 s24, 32
	s_waitcnt vmcnt(0)
	v_add_nc_u32_e32 v9, v10, v9
	buffer_store_dword v9, v11, s[0:3], 0 offen
	s_cbranch_scc1 .LBB2156_232
; %bb.233:                              ;   in Loop: Header=BB2156_202 Depth=1
	s_clause 0x7
	buffer_load_dword v9, off, s[0:3], 0
	buffer_load_dword v10, off, s[0:3], 0 offset:4
	buffer_load_dword v11, off, s[0:3], 0 offset:8
	;; [unrolled: 1-line block ×7, first 2 shown]
.LBB2156_234:                           ;   in Loop: Header=BB2156_202 Depth=1
	s_or_b32 exec_lo, exec_lo, s4
	v_and_b32_e32 v34, 1, v34
	v_and_b32_e32 v35, 1, v35
	v_cmp_eq_u32_e32 vcc_lo, 1, v34
	v_cmp_eq_u32_e64 s4, 1, v35
	s_or_b32 s4, vcc_lo, s4
	v_cndmask_b32_e64 v34, 0, 1, s4
	buffer_store_byte v34, off, s[0:3], 0 offset:136
	buffer_load_dword v34, off, s[0:3], 0 offset:136
	s_waitcnt vmcnt(8)
	buffer_store_dword v9, off, s[0:3], 0 offset:104
	s_waitcnt vmcnt(7)
	buffer_store_dword v10, off, s[0:3], 0 offset:108
	;; [unrolled: 2-line block ×8, first 2 shown]
.LBB2156_235:                           ;   in Loop: Header=BB2156_202 Depth=1
	s_or_b32 exec_lo, exec_lo, s23
	ds_bpermute_b32 v36, v27, v9
	s_waitcnt vmcnt(0)
	ds_bpermute_b32 v35, v27, v34
	ds_bpermute_b32 v37, v27, v10
	;; [unrolled: 1-line block ×8, first 2 shown]
	s_mov_b32 s23, exec_lo
	s_waitcnt lgkmcnt(8)
	buffer_store_dword v36, off, s[0:3], 0 offset:176
	s_waitcnt lgkmcnt(6)
	buffer_store_dword v37, off, s[0:3], 0 offset:180
	;; [unrolled: 2-line block ×8, first 2 shown]
	v_cmpx_le_u32_e64 v28, v33
	s_cbranch_execz .LBB2156_243
; %bb.236:                              ;   in Loop: Header=BB2156_202 Depth=1
	v_cmp_eq_u16_sdwa s24, v34, v31 src0_sel:BYTE_0 src1_sel:DWORD
	s_and_saveexec_b32 s4, s24
	s_cbranch_execz .LBB2156_242
; %bb.237:                              ;   in Loop: Header=BB2156_202 Depth=1
	s_mov_b32 s24, 0
.LBB2156_238:                           ;   Parent Loop BB2156_202 Depth=1
                                        ; =>  This Inner Loop Header: Depth=2
	v_mov_b32_e32 v9, s24
	s_add_i32 s24, s24, 4
	s_cmp_lg_u32 s24, 32
	buffer_store_dword v31, v9, s[0:3], 0 offen
	s_cbranch_scc1 .LBB2156_238
; %bb.239:                              ;   in Loop: Header=BB2156_202 Depth=1
	s_mov_b32 s24, 0
	.p2align	6
.LBB2156_240:                           ;   Parent Loop BB2156_202 Depth=1
                                        ; =>  This Inner Loop Header: Depth=2
	v_add_nc_u32_e64 v9, 0xb0, s24
	v_add_nc_u32_e64 v10, 0x68, s24
	v_mov_b32_e32 v11, s24
	s_add_i32 s24, s24, 4
	s_clause 0x1
	buffer_load_dword v9, v9, s[0:3], 0 offen
	buffer_load_dword v10, v10, s[0:3], 0 offen
	s_cmp_lg_u32 s24, 32
	s_waitcnt vmcnt(0)
	v_add_nc_u32_e32 v9, v10, v9
	buffer_store_dword v9, v11, s[0:3], 0 offen
	s_cbranch_scc1 .LBB2156_240
; %bb.241:                              ;   in Loop: Header=BB2156_202 Depth=1
	s_clause 0x7
	buffer_load_dword v9, off, s[0:3], 0
	buffer_load_dword v10, off, s[0:3], 0 offset:4
	buffer_load_dword v11, off, s[0:3], 0 offset:8
	;; [unrolled: 1-line block ×7, first 2 shown]
.LBB2156_242:                           ;   in Loop: Header=BB2156_202 Depth=1
	s_or_b32 exec_lo, exec_lo, s4
	v_and_b32_e32 v34, 1, v34
	v_and_b32_e32 v35, 1, v35
	v_cmp_eq_u32_e32 vcc_lo, 1, v34
	v_cmp_eq_u32_e64 s4, 1, v35
	s_or_b32 s4, vcc_lo, s4
	v_cndmask_b32_e64 v34, 0, 1, s4
	buffer_store_byte v34, off, s[0:3], 0 offset:136
	buffer_load_dword v34, off, s[0:3], 0 offset:136
	s_waitcnt vmcnt(8)
	buffer_store_dword v9, off, s[0:3], 0 offset:104
	s_waitcnt vmcnt(7)
	buffer_store_dword v10, off, s[0:3], 0 offset:108
	;; [unrolled: 2-line block ×8, first 2 shown]
.LBB2156_243:                           ;   in Loop: Header=BB2156_202 Depth=1
	s_or_b32 exec_lo, exec_lo, s23
	ds_bpermute_b32 v36, v29, v9
	s_waitcnt vmcnt(0)
	ds_bpermute_b32 v35, v29, v34
	ds_bpermute_b32 v37, v29, v10
	;; [unrolled: 1-line block ×8, first 2 shown]
	v_and_b32_e32 v44, 1, v34
	s_mov_b32 s23, exec_lo
	s_waitcnt lgkmcnt(8)
	buffer_store_dword v36, off, s[0:3], 0 offset:176
	s_waitcnt lgkmcnt(6)
	buffer_store_dword v37, off, s[0:3], 0 offset:180
	s_waitcnt lgkmcnt(5)
	buffer_store_dword v38, off, s[0:3], 0 offset:184
	s_waitcnt lgkmcnt(4)
	buffer_store_dword v39, off, s[0:3], 0 offset:188
	s_waitcnt lgkmcnt(3)
	buffer_store_dword v40, off, s[0:3], 0 offset:192
	s_waitcnt lgkmcnt(2)
	buffer_store_dword v41, off, s[0:3], 0 offset:196
	s_waitcnt lgkmcnt(1)
	buffer_store_dword v42, off, s[0:3], 0 offset:200
	s_waitcnt lgkmcnt(0)
	buffer_store_dword v43, off, s[0:3], 0 offset:204
	v_cmp_eq_u32_e64 s4, 1, v44
	v_cmpx_le_u32_e64 v30, v33
	s_cbranch_execz .LBB2156_251
; %bb.244:                              ;   in Loop: Header=BB2156_202 Depth=1
	v_cmp_eq_u16_sdwa s25, v34, v31 src0_sel:BYTE_0 src1_sel:DWORD
	s_and_saveexec_b32 s24, s25
	s_cbranch_execz .LBB2156_250
; %bb.245:                              ;   in Loop: Header=BB2156_202 Depth=1
	s_mov_b32 s25, 0
.LBB2156_246:                           ;   Parent Loop BB2156_202 Depth=1
                                        ; =>  This Inner Loop Header: Depth=2
	v_mov_b32_e32 v9, s25
	s_add_i32 s25, s25, 4
	s_cmp_lg_u32 s25, 32
	buffer_store_dword v31, v9, s[0:3], 0 offen
	s_cbranch_scc1 .LBB2156_246
; %bb.247:                              ;   in Loop: Header=BB2156_202 Depth=1
	s_mov_b32 s25, 0
	.p2align	6
.LBB2156_248:                           ;   Parent Loop BB2156_202 Depth=1
                                        ; =>  This Inner Loop Header: Depth=2
	v_add_nc_u32_e64 v9, 0xb0, s25
	v_add_nc_u32_e64 v10, 0x68, s25
	v_mov_b32_e32 v11, s25
	s_add_i32 s25, s25, 4
	s_clause 0x1
	buffer_load_dword v9, v9, s[0:3], 0 offen
	buffer_load_dword v10, v10, s[0:3], 0 offen
	s_cmp_lg_u32 s25, 32
	s_waitcnt vmcnt(0)
	v_add_nc_u32_e32 v9, v10, v9
	buffer_store_dword v9, v11, s[0:3], 0 offen
	s_cbranch_scc1 .LBB2156_248
; %bb.249:                              ;   in Loop: Header=BB2156_202 Depth=1
	s_clause 0x7
	buffer_load_dword v9, off, s[0:3], 0
	buffer_load_dword v10, off, s[0:3], 0 offset:4
	buffer_load_dword v11, off, s[0:3], 0 offset:8
	;; [unrolled: 1-line block ×7, first 2 shown]
.LBB2156_250:                           ;   in Loop: Header=BB2156_202 Depth=1
	s_or_b32 exec_lo, exec_lo, s24
	v_and_b32_e32 v33, 1, v35
	s_waitcnt vmcnt(7)
	buffer_store_dword v9, off, s[0:3], 0 offset:104
	s_waitcnt vmcnt(6)
	buffer_store_dword v10, off, s[0:3], 0 offset:108
	;; [unrolled: 2-line block ×8, first 2 shown]
	v_cmp_eq_u32_e32 vcc_lo, 1, v33
	s_or_b32 s24, s4, vcc_lo
	s_andn2_b32 s4, s4, exec_lo
	v_cndmask_b32_e64 v9, 0, 1, s24
	s_and_b32 s24, s24, exec_lo
	s_or_b32 s4, s4, s24
	buffer_store_byte v9, off, s[0:3], 0 offset:136
.LBB2156_251:                           ;   in Loop: Header=BB2156_202 Depth=1
	s_or_b32 exec_lo, exec_lo, s23
	buffer_load_ubyte v9, off, s[0:3], 0 offset:100
	s_mov_b32 s23, exec_lo
                                        ; implicit-def: $vgpr12
                                        ; implicit-def: $vgpr10
                                        ; implicit-def: $vgpr11
                                        ; implicit-def: $vgpr13
                                        ; implicit-def: $vgpr14
                                        ; implicit-def: $vgpr15
                                        ; implicit-def: $vgpr16
                                        ; implicit-def: $vgpr33
	s_waitcnt vmcnt(0)
	v_cmpx_ne_u16_e32 0, v9
	s_xor_b32 s23, exec_lo, s23
	s_cbranch_execz .LBB2156_253
; %bb.252:                              ;   in Loop: Header=BB2156_202 Depth=1
	s_clause 0x7
	buffer_load_dword v10, off, s[0:3], 0 offset:68
	buffer_load_dword v11, off, s[0:3], 0 offset:72
	;; [unrolled: 1-line block ×8, first 2 shown]
.LBB2156_253:                           ;   in Loop: Header=BB2156_202 Depth=1
	s_andn2_saveexec_b32 s23, s23
	s_cbranch_execz .LBB2156_200
; %bb.254:                              ;   in Loop: Header=BB2156_202 Depth=1
	s_mov_b32 s24, 0
.LBB2156_255:                           ;   Parent Loop BB2156_202 Depth=1
                                        ; =>  This Inner Loop Header: Depth=2
	s_waitcnt vmcnt(7)
	v_add_nc_u32_e64 v10, 0xb0, s24
	s_add_i32 s24, s24, 4
	s_cmp_lg_u32 s24, 32
	buffer_store_dword v31, v10, s[0:3], 0 offen
	s_cbranch_scc1 .LBB2156_255
; %bb.256:                              ;   in Loop: Header=BB2156_202 Depth=1
	s_mov_b32 s24, 0
	.p2align	6
.LBB2156_257:                           ;   Parent Loop BB2156_202 Depth=1
                                        ; =>  This Inner Loop Header: Depth=2
	v_add_nc_u32_e64 v10, 0x68, s24
	s_waitcnt vmcnt(6)
	v_add_nc_u32_e64 v11, 0x44, s24
	s_waitcnt vmcnt(0)
	v_add_nc_u32_e64 v12, 0xb0, s24
	s_add_i32 s24, s24, 4
	s_clause 0x1
	buffer_load_dword v10, v10, s[0:3], 0 offen
	buffer_load_dword v11, v11, s[0:3], 0 offen
	s_cmp_lg_u32 s24, 32
	s_waitcnt vmcnt(0)
	v_add_nc_u32_e32 v10, v11, v10
	buffer_store_dword v10, v12, s[0:3], 0 offen
	s_cbranch_scc1 .LBB2156_257
	s_branch .LBB2156_199
.LBB2156_258:
	s_cbranch_execnz .LBB2156_303
	s_branch .LBB2156_442
.LBB2156_259:
	s_clause 0x8
	buffer_load_dword v9, off, s[0:3], 0 offset:68
	buffer_load_dword v10, off, s[0:3], 0 offset:72
	buffer_load_dword v11, off, s[0:3], 0 offset:76
	buffer_load_dword v12, off, s[0:3], 0 offset:80
	buffer_load_dword v13, off, s[0:3], 0 offset:84
	buffer_load_dword v14, off, s[0:3], 0 offset:88
	buffer_load_dword v15, off, s[0:3], 0 offset:92
	buffer_load_dword v16, off, s[0:3], 0 offset:96
	buffer_load_dword v17, off, s[0:3], 0 offset:100
	s_waitcnt vmcnt(8)
	buffer_store_dword v9, off, s[0:3], 0 offset:176
	s_waitcnt vmcnt(7)
	buffer_store_dword v10, off, s[0:3], 0 offset:180
	;; [unrolled: 2-line block ×9, first 2 shown]
	s_and_saveexec_b32 s4, s22
	s_cbranch_execz .LBB2156_266
; %bb.260:
	v_mov_b32_e32 v19, 0
	v_cmp_ne_u32_sdwa s12, v18, v19 src0_sel:BYTE_0 src1_sel:DWORD
	s_and_b32 vcc_lo, exec_lo, s12
	s_mov_b32 s12, 0
	s_cbranch_vccnz .LBB2156_265
.LBB2156_261:                           ; =>This Inner Loop Header: Depth=1
	v_add_nc_u32_e64 v1, s12, 32
	s_add_i32 s12, s12, 4
	s_cmp_lg_u32 s12, 32
	buffer_store_dword v19, v1, s[0:3], 0 offen
	s_cbranch_scc1 .LBB2156_261
; %bb.262:
	s_mov_b32 s12, 0
	.p2align	6
.LBB2156_263:                           ; =>This Inner Loop Header: Depth=1
	v_add_nc_u32_e64 v1, 0xb0, s12
	v_add_nc_u32_e64 v2, 0x8c, s12
	;; [unrolled: 1-line block ×3, first 2 shown]
	s_add_i32 s12, s12, 4
	s_clause 0x1
	buffer_load_dword v1, v1, s[0:3], 0 offen
	buffer_load_dword v2, v2, s[0:3], 0 offen
	s_cmp_lg_u32 s12, 32
	s_waitcnt vmcnt(0)
	v_add_nc_u32_e32 v1, v2, v1
	buffer_store_dword v1, v3, s[0:3], 0 offen
	s_cbranch_scc1 .LBB2156_263
; %bb.264:
	s_clause 0x7
	buffer_load_dword v1, off, s[0:3], 0 offset:32
	buffer_load_dword v2, off, s[0:3], 0 offset:36
	buffer_load_dword v3, off, s[0:3], 0 offset:40
	buffer_load_dword v4, off, s[0:3], 0 offset:44
	buffer_load_dword v5, off, s[0:3], 0 offset:48
	buffer_load_dword v6, off, s[0:3], 0 offset:52
	buffer_load_dword v7, off, s[0:3], 0 offset:56
	buffer_load_dword v8, off, s[0:3], 0 offset:60
.LBB2156_265:
	v_or_b32_e32 v18, v18, v17
	s_add_i32 s22, s35, 32
	v_mov_b32_e32 v19, 0
	s_mul_i32 s12, s22, 36
	v_mov_b32_e32 v20, 2
	v_mov_b32_e32 v21, s22
	s_mul_hi_u32 s13, s22, 36
	v_and_b32_e32 v18, 1, v18
	s_add_u32 s12, s14, s12
	s_addc_u32 s13, s15, s13
	s_waitcnt vmcnt(4)
	global_store_dwordx4 v19, v[1:4], s[12:13]
	s_waitcnt vmcnt(0)
	global_store_dwordx4 v19, v[5:8], s[12:13] offset:16
	global_store_byte v19, v18, s[12:13] offset:32
	s_waitcnt_vscnt null, 0x0
	buffer_gl1_inv
	buffer_gl0_inv
	global_store_byte v21, v20, s[16:17]
.LBB2156_266:
	s_or_b32 exec_lo, exec_lo, s4
	s_and_b32 exec_lo, exec_lo, s6
	s_cbranch_execz .LBB2156_268
; %bb.267:
	v_mov_b32_e32 v1, 0
	ds_write2_b32 v1, v9, v10 offset0:63 offset1:64
	ds_write2_b32 v1, v11, v12 offset0:65 offset1:66
	ds_write2_b32 v1, v13, v14 offset0:67 offset1:68
	ds_write2_b32 v1, v15, v16 offset0:69 offset1:70
	ds_write_b8 v1, v17 offset:284
.LBB2156_268:
	s_or_b32 exec_lo, exec_lo, s8
	s_waitcnt lgkmcnt(0)
	s_waitcnt_vscnt null, 0x0
	s_barrier
	buffer_gl0_inv
	buffer_load_ubyte v2, off, s[0:3], 0 offset:352
	v_mov_b32_e32 v3, 0
	ds_read2_b32 v[4:5], v3 offset0:63 offset1:64
	ds_read2_b32 v[6:7], v3 offset0:65 offset1:66
	;; [unrolled: 1-line block ×4, first 2 shown]
	ds_read_b32 v1, v3 offset:284
	s_waitcnt lgkmcnt(4)
	buffer_store_dword v4, off, s[0:3], 0 offset:176
	buffer_store_dword v5, off, s[0:3], 0 offset:180
	s_waitcnt lgkmcnt(3)
	buffer_store_dword v6, off, s[0:3], 0 offset:184
	buffer_store_dword v7, off, s[0:3], 0 offset:188
	;; [unrolled: 3-line block ×4, first 2 shown]
	s_waitcnt lgkmcnt(0)
	buffer_store_dword v1, off, s[0:3], 0 offset:208
	s_and_saveexec_b32 s4, s7
	s_cbranch_execz .LBB2156_278
; %bb.269:
	s_waitcnt vmcnt(0)
	v_cmp_ne_u16_sdwa s8, v2, v3 src0_sel:BYTE_0 src1_sel:DWORD
                                        ; implicit-def: $vgpr5
                                        ; implicit-def: $vgpr3
                                        ; implicit-def: $vgpr4
                                        ; implicit-def: $vgpr6
                                        ; implicit-def: $vgpr7
                                        ; implicit-def: $vgpr8
                                        ; implicit-def: $vgpr9
                                        ; implicit-def: $vgpr10
	s_and_saveexec_b32 s12, s8
	s_xor_b32 s8, exec_lo, s12
	s_cbranch_execz .LBB2156_271
; %bb.270:
	s_clause 0x7
	buffer_load_dword v3, off, s[0:3], 0 offset:320
	buffer_load_dword v4, off, s[0:3], 0 offset:324
	;; [unrolled: 1-line block ×8, first 2 shown]
.LBB2156_271:
	s_andn2_saveexec_b32 s8, s8
	s_cbranch_execz .LBB2156_277
; %bb.272:
	s_waitcnt vmcnt(7)
	v_mov_b32_e32 v3, 0
	s_mov_b32 s12, 0
.LBB2156_273:                           ; =>This Inner Loop Header: Depth=1
	s_waitcnt vmcnt(6)
	v_add_nc_u32_e64 v4, s12, 32
	s_add_i32 s12, s12, 4
	s_cmp_lg_u32 s12, 32
	buffer_store_dword v3, v4, s[0:3], 0 offen
	s_cbranch_scc1 .LBB2156_273
; %bb.274:
	s_mov_b32 s12, 0
	.p2align	6
.LBB2156_275:                           ; =>This Inner Loop Header: Depth=1
	v_add_nc_u32_e64 v3, 0x110, s12
	v_add_nc_u32_e64 v4, 0x140, s12
	s_waitcnt vmcnt(0)
	v_add_nc_u32_e64 v5, s12, 32
	s_add_i32 s12, s12, 4
	s_clause 0x1
	buffer_load_dword v3, v3, s[0:3], 0 offen
	buffer_load_dword v4, v4, s[0:3], 0 offen
	s_cmp_lg_u32 s12, 32
	s_waitcnt vmcnt(0)
	v_add_nc_u32_e32 v3, v4, v3
	buffer_store_dword v3, v5, s[0:3], 0 offen
	s_cbranch_scc1 .LBB2156_275
; %bb.276:
	s_clause 0x7
	buffer_load_dword v3, off, s[0:3], 0 offset:32
	buffer_load_dword v4, off, s[0:3], 0 offset:36
	;; [unrolled: 1-line block ×8, first 2 shown]
.LBB2156_277:
	s_or_b32 exec_lo, exec_lo, s8
	v_and_b32_e32 v2, 1, v2
	s_waitcnt vmcnt(7)
	buffer_store_dword v3, off, s[0:3], 0 offset:320
	s_waitcnt vmcnt(6)
	buffer_store_dword v4, off, s[0:3], 0 offset:324
	s_waitcnt vmcnt(5)
	buffer_store_dword v6, off, s[0:3], 0 offset:328
	s_waitcnt vmcnt(4)
	buffer_store_dword v7, off, s[0:3], 0 offset:332
	s_waitcnt vmcnt(3)
	buffer_store_dword v8, off, s[0:3], 0 offset:336
	s_waitcnt vmcnt(2)
	buffer_store_dword v9, off, s[0:3], 0 offset:340
	s_waitcnt vmcnt(1)
	buffer_store_dword v10, off, s[0:3], 0 offset:344
	s_waitcnt vmcnt(0)
	buffer_store_dword v5, off, s[0:3], 0 offset:348
	v_cmp_eq_u32_e32 vcc_lo, 1, v2
	s_or_b32 s5, vcc_lo, s5
	v_cndmask_b32_e64 v2, 0, 1, s5
.LBB2156_278:
	s_or_b32 exec_lo, exec_lo, s4
	v_mov_b32_e32 v3, 0
                                        ; implicit-def: $vgpr7
                                        ; implicit-def: $vgpr4
                                        ; implicit-def: $vgpr5
                                        ; implicit-def: $vgpr6
                                        ; implicit-def: $vgpr8
                                        ; implicit-def: $vgpr9
                                        ; implicit-def: $vgpr10
                                        ; implicit-def: $vgpr11
	s_waitcnt vmcnt(0)
	v_cmp_ne_u16_sdwa s4, v2, v3 src0_sel:BYTE_0 src1_sel:DWORD
	s_and_saveexec_b32 s5, s4
	s_xor_b32 s4, exec_lo, s5
	s_cbranch_execz .LBB2156_280
; %bb.279:
	s_clause 0x7
	buffer_load_dword v4, off, s[0:3], 0 offset:320
	buffer_load_dword v5, off, s[0:3], 0 offset:324
	buffer_load_dword v6, off, s[0:3], 0 offset:328
	buffer_load_dword v8, off, s[0:3], 0 offset:332
	buffer_load_dword v9, off, s[0:3], 0 offset:336
	buffer_load_dword v10, off, s[0:3], 0 offset:340
	buffer_load_dword v11, off, s[0:3], 0 offset:344
	buffer_load_dword v7, off, s[0:3], 0 offset:348
.LBB2156_280:
	s_andn2_saveexec_b32 s4, s4
	s_cbranch_execz .LBB2156_286
; %bb.281:
	v_mov_b32_e32 v3, 0
	s_mov_b32 s5, 0
.LBB2156_282:                           ; =>This Inner Loop Header: Depth=1
	s_waitcnt vmcnt(7)
	v_add_nc_u32_e64 v4, s5, 32
	s_add_i32 s5, s5, 4
	s_cmp_lg_u32 s5, 32
	buffer_store_dword v3, v4, s[0:3], 0 offen
	s_cbranch_scc1 .LBB2156_282
; %bb.283:
	s_mov_b32 s5, 0
	.p2align	6
.LBB2156_284:                           ; =>This Inner Loop Header: Depth=1
	v_add_nc_u32_e64 v3, 0xb0, s5
	v_add_nc_u32_e64 v4, 0x140, s5
	s_waitcnt vmcnt(6)
	v_add_nc_u32_e64 v5, s5, 32
	s_add_i32 s5, s5, 4
	s_clause 0x1
	buffer_load_dword v3, v3, s[0:3], 0 offen
	buffer_load_dword v4, v4, s[0:3], 0 offen
	s_cmp_lg_u32 s5, 32
	s_waitcnt vmcnt(0)
	v_add_nc_u32_e32 v3, v4, v3
	buffer_store_dword v3, v5, s[0:3], 0 offen
	s_cbranch_scc1 .LBB2156_284
; %bb.285:
	s_clause 0x7
	buffer_load_dword v4, off, s[0:3], 0 offset:32
	buffer_load_dword v5, off, s[0:3], 0 offset:36
	;; [unrolled: 1-line block ×8, first 2 shown]
.LBB2156_286:
	s_or_b32 exec_lo, exec_lo, s4
	buffer_load_ubyte v3, off, s[0:3], 0 offset:388
	v_or_b32_e32 v1, v2, v1
	s_waitcnt vmcnt(8)
	buffer_store_dword v4, off, s[0:3], 0 offset:320
	s_waitcnt vmcnt(7)
	buffer_store_dword v5, off, s[0:3], 0 offset:324
	;; [unrolled: 2-line block ×5, first 2 shown]
                                        ; implicit-def: $vgpr6
                                        ; implicit-def: $vgpr2
                                        ; implicit-def: $vgpr4
                                        ; implicit-def: $vgpr5
                                        ; implicit-def: $vgpr8
                                        ; implicit-def: $vgpr9
	v_and_b32_e32 v1, 1, v1
	s_waitcnt vmcnt(3)
	buffer_store_dword v10, off, s[0:3], 0 offset:340
	s_waitcnt vmcnt(2)
	buffer_store_dword v11, off, s[0:3], 0 offset:344
	;; [unrolled: 2-line block ×3, first 2 shown]
	buffer_store_byte v1, off, s[0:3], 0 offset:352
                                        ; implicit-def: $vgpr7
                                        ; implicit-def: $vgpr10
	v_cmp_eq_u32_e32 vcc_lo, 1, v1
	s_waitcnt vmcnt(0)
	v_cmp_ne_u16_e64 s4, 0, v3
	s_and_saveexec_b32 s5, s4
	s_xor_b32 s4, exec_lo, s5
	s_cbranch_execz .LBB2156_288
; %bb.287:
	s_clause 0x7
	buffer_load_dword v2, off, s[0:3], 0 offset:356
	buffer_load_dword v4, off, s[0:3], 0 offset:360
	;; [unrolled: 1-line block ×8, first 2 shown]
.LBB2156_288:
	s_andn2_saveexec_b32 s4, s4
	s_cbranch_execz .LBB2156_294
; %bb.289:
	v_mov_b32_e32 v1, 0
	s_mov_b32 s5, 0
.LBB2156_290:                           ; =>This Inner Loop Header: Depth=1
	s_waitcnt vmcnt(7)
	v_add_nc_u32_e64 v2, s5, 32
	s_add_i32 s5, s5, 4
	s_cmp_lg_u32 s5, 32
	buffer_store_dword v1, v2, s[0:3], 0 offen
	s_cbranch_scc1 .LBB2156_290
; %bb.291:
	s_mov_b32 s5, 0
.LBB2156_292:                           ; =>This Inner Loop Header: Depth=1
	v_add_nc_u32_e64 v1, 0x140, s5
	s_waitcnt vmcnt(6)
	v_add_nc_u32_e64 v4, s5, 32
	s_add_i32 s5, s5, 4
	s_clause 0x1
	buffer_load_dword v2, v1, s[0:3], 0 offen
	buffer_load_dword v1, v1, s[0:3], 0 offen offset:36
	s_cmp_lg_u32 s5, 32
	s_waitcnt vmcnt(0)
	v_add_nc_u32_e32 v1, v1, v2
	buffer_store_dword v1, v4, s[0:3], 0 offen
	s_cbranch_scc1 .LBB2156_292
; %bb.293:
	s_clause 0x7
	buffer_load_dword v2, off, s[0:3], 0 offset:32
	buffer_load_dword v4, off, s[0:3], 0 offset:36
	;; [unrolled: 1-line block ×8, first 2 shown]
.LBB2156_294:
	s_or_b32 exec_lo, exec_lo, s4
	buffer_load_ubyte v1, off, s[0:3], 0 offset:424
	v_and_b32_e32 v3, 1, v3
	s_mov_b32 s5, exec_lo
	v_cmp_eq_u32_e64 s4, 1, v3
	s_or_b32 s4, s4, vcc_lo
	v_cndmask_b32_e64 v3, 0, 1, s4
	s_waitcnt vmcnt(8)
	buffer_store_dword v2, off, s[0:3], 0 offset:356
	s_waitcnt vmcnt(7)
	buffer_store_dword v4, off, s[0:3], 0 offset:360
	;; [unrolled: 2-line block ×8, first 2 shown]
	buffer_store_byte v3, off, s[0:3], 0 offset:388
                                        ; implicit-def: $vgpr4
                                        ; implicit-def: $vgpr2
                                        ; implicit-def: $vgpr3
                                        ; implicit-def: $vgpr5
                                        ; implicit-def: $vgpr6
                                        ; implicit-def: $vgpr7
                                        ; implicit-def: $vgpr8
                                        ; implicit-def: $vgpr9
	s_waitcnt vmcnt(0)
	v_cmpx_ne_u16_e32 0, v1
	s_xor_b32 s5, exec_lo, s5
	s_cbranch_execz .LBB2156_296
; %bb.295:
	s_clause 0x7
	buffer_load_dword v2, off, s[0:3], 0 offset:392
	buffer_load_dword v3, off, s[0:3], 0 offset:396
	;; [unrolled: 1-line block ×8, first 2 shown]
.LBB2156_296:
	s_andn2_saveexec_b32 s5, s5
	s_cbranch_execz .LBB2156_302
; %bb.297:
	s_waitcnt vmcnt(7)
	v_mov_b32_e32 v2, 0
	s_mov_b32 s8, 0
.LBB2156_298:                           ; =>This Inner Loop Header: Depth=1
	s_waitcnt vmcnt(6)
	v_add_nc_u32_e64 v3, s8, 32
	s_add_i32 s8, s8, 4
	s_cmp_lg_u32 s8, 32
	buffer_store_dword v2, v3, s[0:3], 0 offen
	s_cbranch_scc1 .LBB2156_298
; %bb.299:
	s_mov_b32 s8, 0
.LBB2156_300:                           ; =>This Inner Loop Header: Depth=1
	v_add_nc_u32_e64 v2, 0x140, s8
	s_waitcnt vmcnt(0)
	v_add_nc_u32_e64 v4, s8, 32
	s_add_i32 s8, s8, 4
	s_clause 0x1
	buffer_load_dword v3, v2, s[0:3], 0 offen offset:36
	buffer_load_dword v2, v2, s[0:3], 0 offen offset:72
	s_cmp_lg_u32 s8, 32
	s_waitcnt vmcnt(0)
	v_add_nc_u32_e32 v2, v2, v3
	buffer_store_dword v2, v4, s[0:3], 0 offen
	s_cbranch_scc1 .LBB2156_300
; %bb.301:
	s_clause 0x7
	buffer_load_dword v2, off, s[0:3], 0 offset:32
	buffer_load_dword v3, off, s[0:3], 0 offset:36
	;; [unrolled: 1-line block ×8, first 2 shown]
.LBB2156_302:
	s_or_b32 exec_lo, exec_lo, s5
	v_and_b32_e32 v1, 1, v1
	s_waitcnt vmcnt(7)
	buffer_store_dword v2, off, s[0:3], 0 offset:392
	s_waitcnt vmcnt(6)
	buffer_store_dword v3, off, s[0:3], 0 offset:396
	;; [unrolled: 2-line block ×8, first 2 shown]
	v_cmp_eq_u32_e32 vcc_lo, 1, v1
	s_or_b32 s4, vcc_lo, s4
	v_cndmask_b32_e64 v1, 0, 1, s4
	buffer_store_byte v1, off, s[0:3], 0 offset:424
	s_branch .LBB2156_442
.LBB2156_303:
	s_cmp_lg_u64 s[28:29], 0
	s_cselect_b32 s4, -1, 0
	s_cmp_lg_u64 s[38:39], 0
	s_cselect_b32 s5, -1, 0
	s_and_b32 s4, s4, s5
	s_and_b32 s4, s6, s4
	s_and_saveexec_b32 s8, s4
	s_cbranch_execz .LBB2156_313
; %bb.304:
	buffer_load_ubyte v1, off, s[0:3], 0 offset:352
	s_mov_b32 s4, exec_lo
                                        ; implicit-def: $vgpr5
                                        ; implicit-def: $vgpr2
                                        ; implicit-def: $vgpr3
                                        ; implicit-def: $vgpr4
                                        ; implicit-def: $vgpr6
                                        ; implicit-def: $vgpr7
                                        ; implicit-def: $vgpr8
                                        ; implicit-def: $vgpr9
	s_waitcnt vmcnt(0)
	v_cmpx_ne_u16_e32 0, v1
	s_xor_b32 s4, exec_lo, s4
	s_cbranch_execz .LBB2156_306
; %bb.305:
	s_clause 0x7
	buffer_load_dword v2, off, s[0:3], 0 offset:320
	buffer_load_dword v3, off, s[0:3], 0 offset:324
	;; [unrolled: 1-line block ×8, first 2 shown]
.LBB2156_306:
	s_andn2_saveexec_b32 s12, s4
	s_cbranch_execz .LBB2156_312
; %bb.307:
	s_waitcnt vmcnt(7)
	v_mov_b32_e32 v2, 0
	s_mov_b32 s4, 0
.LBB2156_308:                           ; =>This Inner Loop Header: Depth=1
	s_waitcnt vmcnt(6)
	v_add_nc_u32_e64 v3, 0xb0, s4
	s_add_i32 s4, s4, 4
	s_cmp_lg_u32 s4, 32
	buffer_store_dword v2, v3, s[0:3], 0 offen
	s_cbranch_scc1 .LBB2156_308
; %bb.309:
	v_mov_b32_e32 v2, 0
	s_mov_b32 s13, 0
	s_mov_b64 s[4:5], s[38:39]
	.p2align	6
.LBB2156_310:                           ; =>This Inner Loop Header: Depth=1
	v_add_nc_u32_e64 v3, 0x140, s13
	global_load_dword v4, v2, s[4:5]
	s_waitcnt vmcnt(1)
	v_add_nc_u32_e64 v5, 0xb0, s13
	s_add_i32 s13, s13, 4
	s_add_u32 s4, s4, 4
	buffer_load_dword v3, v3, s[0:3], 0 offen
	s_addc_u32 s5, s5, 0
	s_cmp_lg_u32 s13, 32
	s_waitcnt vmcnt(0)
	v_add_nc_u32_e32 v3, v3, v4
	buffer_store_dword v3, v5, s[0:3], 0 offen
	s_cbranch_scc1 .LBB2156_310
; %bb.311:
	s_clause 0x7
	buffer_load_dword v2, off, s[0:3], 0 offset:176
	buffer_load_dword v3, off, s[0:3], 0 offset:180
	;; [unrolled: 1-line block ×8, first 2 shown]
.LBB2156_312:
	s_or_b32 exec_lo, exec_lo, s12
	v_mov_b32_e32 v10, 0
	global_load_ubyte v10, v10, s[38:39] offset:32
	s_waitcnt vmcnt(8)
	buffer_store_dword v2, off, s[0:3], 0 offset:320
	s_waitcnt vmcnt(7)
	buffer_store_dword v3, off, s[0:3], 0 offset:324
	;; [unrolled: 2-line block ×3, first 2 shown]
	s_waitcnt vmcnt(0)
	v_or_b32_e32 v1, v1, v10
	v_and_b32_e32 v1, 1, v1
	buffer_store_dword v6, off, s[0:3], 0 offset:332
	buffer_store_dword v7, off, s[0:3], 0 offset:336
	;; [unrolled: 1-line block ×5, first 2 shown]
	buffer_store_byte v1, off, s[0:3], 0 offset:352
.LBB2156_313:
	s_or_b32 exec_lo, exec_lo, s8
	v_mov_b32_e32 v1, 0
	s_mov_b32 s4, 0
	buffer_store_dword v1, off, s[0:3], 0 offset:168
	buffer_store_dword v1, off, s[0:3], 0 offset:164
	;; [unrolled: 1-line block ×9, first 2 shown]
.LBB2156_314:                           ; =>This Inner Loop Header: Depth=1
	v_add_nc_u32_e64 v2, 0x8c, s4
	s_add_i32 s4, s4, 4
	s_cmp_lg_u32 s4, 32
	buffer_store_dword v1, v2, s[0:3], 0 offen
	s_cbranch_scc1 .LBB2156_314
; %bb.315:
	v_mov_b32_e32 v1, 0
	s_mov_b32 s4, 0
	buffer_store_byte v1, off, s[0:3], 0 offset:172
	buffer_store_dword v1, off, s[0:3], 0 offset:208
.LBB2156_316:                           ; =>This Inner Loop Header: Depth=1
	v_add_nc_u32_e64 v2, 0xb0, s4
	s_add_i32 s4, s4, 4
	s_cmp_lg_u32 s4, 32
	buffer_store_dword v1, v2, s[0:3], 0 offen
	s_cbranch_scc1 .LBB2156_316
; %bb.317:
	s_clause 0x9
	buffer_load_dword v1, off, s[0:3], 0 offset:332
	buffer_load_dword v2, off, s[0:3], 0 offset:328
	;; [unrolled: 1-line block ×4, first 2 shown]
	buffer_load_ubyte v9, off, s[0:3], 0 offset:388
	buffer_load_dword v5, off, s[0:3], 0 offset:348
	buffer_load_dword v6, off, s[0:3], 0 offset:344
	;; [unrolled: 1-line block ×4, first 2 shown]
	buffer_load_ubyte v10, off, s[0:3], 0 offset:352
	s_mov_b32 s4, exec_lo
	s_waitcnt vmcnt(9)
	buffer_store_dword v1, off, s[0:3], 0 offset:188
	s_waitcnt vmcnt(8)
	buffer_store_dword v2, off, s[0:3], 0 offset:184
	;; [unrolled: 2-line block ×8, first 2 shown]
                                        ; implicit-def: $vgpr4
                                        ; implicit-def: $vgpr1
                                        ; implicit-def: $vgpr2
                                        ; implicit-def: $vgpr3
                                        ; implicit-def: $vgpr5
                                        ; implicit-def: $vgpr6
                                        ; implicit-def: $vgpr7
                                        ; implicit-def: $vgpr8
	v_cmpx_ne_u16_e32 0, v9
	s_xor_b32 s4, exec_lo, s4
	s_cbranch_execz .LBB2156_319
; %bb.318:
	s_clause 0x7
	buffer_load_dword v1, off, s[0:3], 0 offset:356
	buffer_load_dword v2, off, s[0:3], 0 offset:360
	;; [unrolled: 1-line block ×8, first 2 shown]
.LBB2156_319:
	s_andn2_saveexec_b32 s4, s4
	s_cbranch_execz .LBB2156_325
; %bb.320:
	s_waitcnt vmcnt(7)
	v_mov_b32_e32 v1, 0
	s_mov_b32 s5, 0
.LBB2156_321:                           ; =>This Inner Loop Header: Depth=1
	s_waitcnt vmcnt(6)
	v_add_nc_u32_e64 v2, s5, 32
	s_add_i32 s5, s5, 4
	s_cmp_lg_u32 s5, 32
	buffer_store_dword v1, v2, s[0:3], 0 offen
	s_cbranch_scc1 .LBB2156_321
; %bb.322:
	s_mov_b32 s5, 0
	.p2align	6
.LBB2156_323:                           ; =>This Inner Loop Header: Depth=1
	v_add_nc_u32_e64 v1, 0xb0, s5
	v_add_nc_u32_e64 v2, 0x140, s5
	s_waitcnt vmcnt(5)
	v_add_nc_u32_e64 v3, s5, 32
	s_add_i32 s5, s5, 4
	s_clause 0x1
	buffer_load_dword v1, v1, s[0:3], 0 offen
	buffer_load_dword v2, v2, s[0:3], 0 offen offset:36
	s_cmp_lg_u32 s5, 32
	s_waitcnt vmcnt(0)
	v_add_nc_u32_e32 v1, v2, v1
	buffer_store_dword v1, v3, s[0:3], 0 offen
	s_cbranch_scc1 .LBB2156_323
; %bb.324:
	s_clause 0x7
	buffer_load_dword v1, off, s[0:3], 0 offset:32
	buffer_load_dword v2, off, s[0:3], 0 offset:36
	;; [unrolled: 1-line block ×8, first 2 shown]
.LBB2156_325:
	s_or_b32 exec_lo, exec_lo, s4
	buffer_load_ubyte v11, off, s[0:3], 0 offset:424
	s_mov_b32 s4, exec_lo
	s_waitcnt vmcnt(8)
	buffer_store_dword v1, off, s[0:3], 0 offset:176
	s_waitcnt vmcnt(7)
	buffer_store_dword v2, off, s[0:3], 0 offset:180
	;; [unrolled: 2-line block ×8, first 2 shown]
                                        ; implicit-def: $vgpr7
                                        ; implicit-def: $vgpr1
                                        ; implicit-def: $vgpr2
                                        ; implicit-def: $vgpr3
                                        ; implicit-def: $vgpr4
                                        ; implicit-def: $vgpr5
                                        ; implicit-def: $vgpr6
                                        ; implicit-def: $vgpr8
	s_waitcnt vmcnt(0)
	v_cmpx_ne_u16_e32 0, v11
	s_xor_b32 s4, exec_lo, s4
	s_cbranch_execz .LBB2156_327
; %bb.326:
	s_clause 0x7
	buffer_load_dword v1, off, s[0:3], 0 offset:392
	buffer_load_dword v2, off, s[0:3], 0 offset:396
	;; [unrolled: 1-line block ×8, first 2 shown]
.LBB2156_327:
	s_andn2_saveexec_b32 s4, s4
	s_cbranch_execz .LBB2156_333
; %bb.328:
	s_waitcnt vmcnt(7)
	v_mov_b32_e32 v1, 0
	s_mov_b32 s5, 0
.LBB2156_329:                           ; =>This Inner Loop Header: Depth=1
	s_waitcnt vmcnt(6)
	v_add_nc_u32_e64 v2, s5, 32
	s_add_i32 s5, s5, 4
	s_cmp_lg_u32 s5, 32
	buffer_store_dword v1, v2, s[0:3], 0 offen
	s_cbranch_scc1 .LBB2156_329
; %bb.330:
	s_mov_b32 s5, 0
	.p2align	6
.LBB2156_331:                           ; =>This Inner Loop Header: Depth=1
	v_add_nc_u32_e64 v1, 0xb0, s5
	v_add_nc_u32_e64 v2, 0x140, s5
	s_waitcnt vmcnt(5)
	v_add_nc_u32_e64 v3, s5, 32
	s_add_i32 s5, s5, 4
	s_clause 0x1
	buffer_load_dword v1, v1, s[0:3], 0 offen
	buffer_load_dword v2, v2, s[0:3], 0 offen offset:72
	s_cmp_lg_u32 s5, 32
	s_waitcnt vmcnt(0)
	v_add_nc_u32_e32 v1, v2, v1
	buffer_store_dword v1, v3, s[0:3], 0 offen
	s_cbranch_scc1 .LBB2156_331
; %bb.332:
	s_clause 0x7
	buffer_load_dword v1, off, s[0:3], 0 offset:32
	buffer_load_dword v2, off, s[0:3], 0 offset:36
	;; [unrolled: 1-line block ×8, first 2 shown]
.LBB2156_333:
	s_or_b32 exec_lo, exec_lo, s4
	s_clause 0x1
	buffer_load_ushort v12, off, s[0:3], 0 offset:209
	buffer_load_sbyte v13, off, s[0:3], 0 offset:211
	v_or_b32_e32 v10, v9, v10
	v_mov_b32_e32 v14, 0
	v_and_b32_e32 v11, 1, v11
	v_mbcnt_lo_u32_b32 v9, -1, 0
	s_waitcnt vmcnt(9)
	v_mov_b32_dpp v15, v1 row_shr:1 row_mask:0xf bank_mask:0xf
	s_waitcnt vmcnt(5)
	v_mov_b32_dpp v19, v5 row_shr:1 row_mask:0xf bank_mask:0xf
	v_cmp_ne_u16_sdwa s4, v10, v14 src0_sel:BYTE_0 src1_sel:DWORD
	v_cmp_eq_u32_e32 vcc_lo, 1, v11
	v_mov_b32_dpp v16, v2 row_shr:1 row_mask:0xf bank_mask:0xf
	s_waitcnt vmcnt(4)
	v_mov_b32_dpp v20, v6 row_shr:1 row_mask:0xf bank_mask:0xf
	v_mov_b32_dpp v17, v3 row_shr:1 row_mask:0xf bank_mask:0xf
	s_waitcnt vmcnt(3)
	v_mov_b32_dpp v21, v8 row_shr:1 row_mask:0xf bank_mask:0xf
	s_or_b32 s4, s4, vcc_lo
	v_mov_b32_dpp v18, v4 row_shr:1 row_mask:0xf bank_mask:0xf
	v_cndmask_b32_e64 v10, 0, 1, s4
	s_waitcnt vmcnt(2)
	v_mov_b32_dpp v22, v7 row_shr:1 row_mask:0xf bank_mask:0xf
	s_mov_b32 s4, exec_lo
	buffer_store_dword v1, off, s[0:3], 0 offset:104
	buffer_store_dword v2, off, s[0:3], 0 offset:108
	buffer_store_dword v3, off, s[0:3], 0 offset:112
	buffer_store_dword v4, off, s[0:3], 0 offset:116
	buffer_store_dword v5, off, s[0:3], 0 offset:120
	buffer_store_dword v6, off, s[0:3], 0 offset:124
	buffer_store_dword v8, off, s[0:3], 0 offset:128
	buffer_store_dword v7, off, s[0:3], 0 offset:132
	s_waitcnt vmcnt(1)
	v_lshlrev_b16 v11, 8, v12
	s_waitcnt vmcnt(0)
	v_perm_b32 v12, v12, v13, 0xc0c0005
	v_or_b32_e32 v10, v10, v11
	v_and_b32_e32 v11, 15, v9
	v_and_b32_e32 v13, 0xffff, v10
	v_lshl_or_b32 v12, v12, 16, v13
	buffer_store_dword v15, off, s[0:3], 0 offset:176
	buffer_store_dword v16, off, s[0:3], 0 offset:180
	;; [unrolled: 1-line block ×5, first 2 shown]
	v_mov_b32_dpp v13, v12 row_shr:1 row_mask:0xf bank_mask:0xf
	buffer_store_dword v19, off, s[0:3], 0 offset:192
	buffer_store_dword v20, off, s[0:3], 0 offset:196
	;; [unrolled: 1-line block ×5, first 2 shown]
	v_cmpx_ne_u32_e32 0, v11
	s_cbranch_execz .LBB2156_341
; %bb.334:
	v_cmp_eq_u16_sdwa s8, v10, v14 src0_sel:BYTE_0 src1_sel:DWORD
	s_and_saveexec_b32 s5, s8
	s_cbranch_execz .LBB2156_340
; %bb.335:
	v_mov_b32_e32 v1, 0
	s_mov_b32 s8, 0
.LBB2156_336:                           ; =>This Inner Loop Header: Depth=1
	v_add_nc_u32_e64 v2, s8, 32
	s_add_i32 s8, s8, 4
	s_cmp_lg_u32 s8, 32
	buffer_store_dword v1, v2, s[0:3], 0 offen
	s_cbranch_scc1 .LBB2156_336
; %bb.337:
	s_mov_b32 s8, 0
	.p2align	6
.LBB2156_338:                           ; =>This Inner Loop Header: Depth=1
	v_add_nc_u32_e64 v1, 0xb0, s8
	v_add_nc_u32_e64 v2, 0x68, s8
	;; [unrolled: 1-line block ×3, first 2 shown]
	s_add_i32 s8, s8, 4
	s_clause 0x1
	buffer_load_dword v1, v1, s[0:3], 0 offen
	buffer_load_dword v2, v2, s[0:3], 0 offen
	s_cmp_lg_u32 s8, 32
	s_waitcnt vmcnt(0)
	v_add_nc_u32_e32 v1, v2, v1
	buffer_store_dword v1, v3, s[0:3], 0 offen
	s_cbranch_scc1 .LBB2156_338
; %bb.339:
	s_clause 0x7
	buffer_load_dword v1, off, s[0:3], 0 offset:32
	buffer_load_dword v2, off, s[0:3], 0 offset:36
	;; [unrolled: 1-line block ×8, first 2 shown]
.LBB2156_340:
	s_or_b32 exec_lo, exec_lo, s5
	v_or_b32_e32 v10, v13, v12
	v_and_b32_e32 v10, 1, v10
	buffer_store_byte v10, off, s[0:3], 0 offset:136
	buffer_load_dword v12, off, s[0:3], 0 offset:136
	s_waitcnt vmcnt(8)
	buffer_store_dword v1, off, s[0:3], 0 offset:104
	s_waitcnt vmcnt(7)
	buffer_store_dword v2, off, s[0:3], 0 offset:108
	;; [unrolled: 2-line block ×8, first 2 shown]
	s_waitcnt vmcnt(0)
	v_mov_b32_e32 v10, v12
.LBB2156_341:
	s_or_b32 exec_lo, exec_lo, s4
	v_mov_b32_dpp v14, v1 row_shr:2 row_mask:0xf bank_mask:0xf
	v_mov_b32_dpp v13, v12 row_shr:2 row_mask:0xf bank_mask:0xf
	v_mov_b32_dpp v15, v2 row_shr:2 row_mask:0xf bank_mask:0xf
	v_mov_b32_dpp v16, v3 row_shr:2 row_mask:0xf bank_mask:0xf
	v_mov_b32_dpp v17, v4 row_shr:2 row_mask:0xf bank_mask:0xf
	s_mov_b32 s5, exec_lo
	v_mov_b32_dpp v18, v5 row_shr:2 row_mask:0xf bank_mask:0xf
	v_mov_b32_dpp v19, v6 row_shr:2 row_mask:0xf bank_mask:0xf
	v_mov_b32_dpp v20, v8 row_shr:2 row_mask:0xf bank_mask:0xf
	v_mov_b32_dpp v21, v7 row_shr:2 row_mask:0xf bank_mask:0xf
	buffer_store_dword v14, off, s[0:3], 0 offset:176
	buffer_store_dword v15, off, s[0:3], 0 offset:180
	;; [unrolled: 1-line block ×9, first 2 shown]
	v_cmpx_lt_u32_e32 1, v11
	s_cbranch_execz .LBB2156_348
; %bb.342:
	v_mov_b32_e32 v12, 0
	s_mov_b32 s8, 0
	v_cmp_eq_u16_sdwa s12, v10, v12 src0_sel:BYTE_0 src1_sel:DWORD
	s_and_saveexec_b32 s4, s12
	s_cbranch_execz .LBB2156_347
.LBB2156_343:                           ; =>This Inner Loop Header: Depth=1
	v_add_nc_u32_e64 v1, s8, 32
	s_add_i32 s8, s8, 4
	s_cmp_lg_u32 s8, 32
	buffer_store_dword v12, v1, s[0:3], 0 offen
	s_cbranch_scc1 .LBB2156_343
; %bb.344:
	s_mov_b32 s8, 0
	.p2align	6
.LBB2156_345:                           ; =>This Inner Loop Header: Depth=1
	v_add_nc_u32_e64 v1, 0xb0, s8
	v_add_nc_u32_e64 v2, 0x68, s8
	v_add_nc_u32_e64 v3, s8, 32
	s_add_i32 s8, s8, 4
	s_clause 0x1
	buffer_load_dword v1, v1, s[0:3], 0 offen
	buffer_load_dword v2, v2, s[0:3], 0 offen
	s_cmp_lg_u32 s8, 32
	s_waitcnt vmcnt(0)
	v_add_nc_u32_e32 v1, v2, v1
	buffer_store_dword v1, v3, s[0:3], 0 offen
	s_cbranch_scc1 .LBB2156_345
; %bb.346:
	s_clause 0x7
	buffer_load_dword v1, off, s[0:3], 0 offset:32
	buffer_load_dword v2, off, s[0:3], 0 offset:36
	;; [unrolled: 1-line block ×8, first 2 shown]
.LBB2156_347:
	s_or_b32 exec_lo, exec_lo, s4
	v_and_b32_e32 v10, 1, v10
	v_and_b32_e32 v12, 1, v13
	v_cmp_eq_u32_e32 vcc_lo, 1, v10
	v_cmp_eq_u32_e64 s4, 1, v12
	s_or_b32 s4, vcc_lo, s4
	v_cndmask_b32_e64 v10, 0, 1, s4
	buffer_store_byte v10, off, s[0:3], 0 offset:136
	buffer_load_dword v12, off, s[0:3], 0 offset:136
	s_waitcnt vmcnt(8)
	buffer_store_dword v1, off, s[0:3], 0 offset:104
	s_waitcnt vmcnt(7)
	buffer_store_dword v2, off, s[0:3], 0 offset:108
	;; [unrolled: 2-line block ×8, first 2 shown]
	s_waitcnt vmcnt(0)
	v_mov_b32_e32 v10, v12
.LBB2156_348:
	s_or_b32 exec_lo, exec_lo, s5
	v_mov_b32_dpp v14, v1 row_shr:4 row_mask:0xf bank_mask:0xf
	v_mov_b32_dpp v13, v12 row_shr:4 row_mask:0xf bank_mask:0xf
	;; [unrolled: 1-line block ×5, first 2 shown]
	s_mov_b32 s5, exec_lo
	v_mov_b32_dpp v18, v5 row_shr:4 row_mask:0xf bank_mask:0xf
	v_mov_b32_dpp v19, v6 row_shr:4 row_mask:0xf bank_mask:0xf
	v_mov_b32_dpp v20, v8 row_shr:4 row_mask:0xf bank_mask:0xf
	v_mov_b32_dpp v21, v7 row_shr:4 row_mask:0xf bank_mask:0xf
	buffer_store_dword v14, off, s[0:3], 0 offset:176
	buffer_store_dword v15, off, s[0:3], 0 offset:180
	;; [unrolled: 1-line block ×9, first 2 shown]
	v_cmpx_lt_u32_e32 3, v11
	s_cbranch_execz .LBB2156_355
; %bb.349:
	v_mov_b32_e32 v12, 0
	s_mov_b32 s8, 0
	v_cmp_eq_u16_sdwa s12, v10, v12 src0_sel:BYTE_0 src1_sel:DWORD
	s_and_saveexec_b32 s4, s12
	s_cbranch_execz .LBB2156_354
.LBB2156_350:                           ; =>This Inner Loop Header: Depth=1
	v_add_nc_u32_e64 v1, s8, 32
	s_add_i32 s8, s8, 4
	s_cmp_lg_u32 s8, 32
	buffer_store_dword v12, v1, s[0:3], 0 offen
	s_cbranch_scc1 .LBB2156_350
; %bb.351:
	s_mov_b32 s8, 0
	.p2align	6
.LBB2156_352:                           ; =>This Inner Loop Header: Depth=1
	v_add_nc_u32_e64 v1, 0xb0, s8
	v_add_nc_u32_e64 v2, 0x68, s8
	;; [unrolled: 1-line block ×3, first 2 shown]
	s_add_i32 s8, s8, 4
	s_clause 0x1
	buffer_load_dword v1, v1, s[0:3], 0 offen
	buffer_load_dword v2, v2, s[0:3], 0 offen
	s_cmp_lg_u32 s8, 32
	s_waitcnt vmcnt(0)
	v_add_nc_u32_e32 v1, v2, v1
	buffer_store_dword v1, v3, s[0:3], 0 offen
	s_cbranch_scc1 .LBB2156_352
; %bb.353:
	s_clause 0x7
	buffer_load_dword v1, off, s[0:3], 0 offset:32
	buffer_load_dword v2, off, s[0:3], 0 offset:36
	;; [unrolled: 1-line block ×8, first 2 shown]
.LBB2156_354:
	s_or_b32 exec_lo, exec_lo, s4
	v_and_b32_e32 v10, 1, v10
	v_and_b32_e32 v12, 1, v13
	v_cmp_eq_u32_e32 vcc_lo, 1, v10
	v_cmp_eq_u32_e64 s4, 1, v12
	s_or_b32 s4, vcc_lo, s4
	v_cndmask_b32_e64 v10, 0, 1, s4
	buffer_store_byte v10, off, s[0:3], 0 offset:136
	buffer_load_dword v12, off, s[0:3], 0 offset:136
	s_waitcnt vmcnt(8)
	buffer_store_dword v1, off, s[0:3], 0 offset:104
	s_waitcnt vmcnt(7)
	buffer_store_dword v2, off, s[0:3], 0 offset:108
	;; [unrolled: 2-line block ×8, first 2 shown]
	s_waitcnt vmcnt(0)
	v_mov_b32_e32 v10, v12
.LBB2156_355:
	s_or_b32 exec_lo, exec_lo, s5
	v_mov_b32_dpp v14, v1 row_shr:8 row_mask:0xf bank_mask:0xf
	v_mov_b32_dpp v13, v12 row_shr:8 row_mask:0xf bank_mask:0xf
	;; [unrolled: 1-line block ×5, first 2 shown]
	s_mov_b32 s5, exec_lo
	v_mov_b32_dpp v18, v5 row_shr:8 row_mask:0xf bank_mask:0xf
	v_mov_b32_dpp v19, v6 row_shr:8 row_mask:0xf bank_mask:0xf
	;; [unrolled: 1-line block ×4, first 2 shown]
	buffer_store_dword v14, off, s[0:3], 0 offset:176
	buffer_store_dword v15, off, s[0:3], 0 offset:180
	;; [unrolled: 1-line block ×9, first 2 shown]
	v_cmpx_lt_u32_e32 7, v11
	s_cbranch_execz .LBB2156_362
; %bb.356:
	v_mov_b32_e32 v11, 0
	s_mov_b32 s8, 0
	v_cmp_eq_u16_sdwa s12, v10, v11 src0_sel:BYTE_0 src1_sel:DWORD
	s_and_saveexec_b32 s4, s12
	s_cbranch_execz .LBB2156_361
.LBB2156_357:                           ; =>This Inner Loop Header: Depth=1
	v_add_nc_u32_e64 v1, s8, 32
	s_add_i32 s8, s8, 4
	s_cmp_lg_u32 s8, 32
	buffer_store_dword v11, v1, s[0:3], 0 offen
	s_cbranch_scc1 .LBB2156_357
; %bb.358:
	s_mov_b32 s8, 0
	.p2align	6
.LBB2156_359:                           ; =>This Inner Loop Header: Depth=1
	v_add_nc_u32_e64 v1, 0xb0, s8
	v_add_nc_u32_e64 v2, 0x68, s8
	;; [unrolled: 1-line block ×3, first 2 shown]
	s_add_i32 s8, s8, 4
	s_clause 0x1
	buffer_load_dword v1, v1, s[0:3], 0 offen
	buffer_load_dword v2, v2, s[0:3], 0 offen
	s_cmp_lg_u32 s8, 32
	s_waitcnt vmcnt(0)
	v_add_nc_u32_e32 v1, v2, v1
	buffer_store_dword v1, v3, s[0:3], 0 offen
	s_cbranch_scc1 .LBB2156_359
; %bb.360:
	s_clause 0x7
	buffer_load_dword v1, off, s[0:3], 0 offset:32
	buffer_load_dword v2, off, s[0:3], 0 offset:36
	;; [unrolled: 1-line block ×8, first 2 shown]
.LBB2156_361:
	s_or_b32 exec_lo, exec_lo, s4
	v_and_b32_e32 v10, 1, v10
	v_and_b32_e32 v11, 1, v13
	v_cmp_eq_u32_e32 vcc_lo, 1, v10
	v_cmp_eq_u32_e64 s4, 1, v11
	s_or_b32 s4, vcc_lo, s4
	v_cndmask_b32_e64 v10, 0, 1, s4
	buffer_store_byte v10, off, s[0:3], 0 offset:136
	buffer_load_dword v12, off, s[0:3], 0 offset:136
	s_waitcnt vmcnt(8)
	buffer_store_dword v1, off, s[0:3], 0 offset:104
	s_waitcnt vmcnt(7)
	buffer_store_dword v2, off, s[0:3], 0 offset:108
	;; [unrolled: 2-line block ×8, first 2 shown]
	s_waitcnt vmcnt(0)
	v_mov_b32_e32 v10, v12
.LBB2156_362:
	s_or_b32 exec_lo, exec_lo, s5
	ds_swizzle_b32 v13, v1 offset:swizzle(BROADCAST,32,15)
	ds_swizzle_b32 v11, v12 offset:swizzle(BROADCAST,32,15)
	;; [unrolled: 1-line block ×9, first 2 shown]
	v_and_b32_e32 v12, 16, v9
	s_mov_b32 s5, exec_lo
	s_waitcnt lgkmcnt(8)
	buffer_store_dword v13, off, s[0:3], 0 offset:176
	s_waitcnt lgkmcnt(6)
	buffer_store_dword v14, off, s[0:3], 0 offset:180
	;; [unrolled: 2-line block ×8, first 2 shown]
	buffer_store_dword v11, off, s[0:3], 0 offset:208
	v_cmpx_ne_u32_e32 0, v12
	s_cbranch_execz .LBB2156_369
; %bb.363:
	v_mov_b32_e32 v12, 0
	s_mov_b32 s8, 0
	v_cmp_eq_u16_sdwa s12, v10, v12 src0_sel:BYTE_0 src1_sel:DWORD
	s_and_saveexec_b32 s4, s12
	s_cbranch_execz .LBB2156_368
.LBB2156_364:                           ; =>This Inner Loop Header: Depth=1
	v_add_nc_u32_e64 v1, s8, 32
	s_add_i32 s8, s8, 4
	s_cmp_lg_u32 s8, 32
	buffer_store_dword v12, v1, s[0:3], 0 offen
	s_cbranch_scc1 .LBB2156_364
; %bb.365:
	s_mov_b32 s8, 0
	.p2align	6
.LBB2156_366:                           ; =>This Inner Loop Header: Depth=1
	v_add_nc_u32_e64 v1, 0xb0, s8
	v_add_nc_u32_e64 v2, 0x68, s8
	v_add_nc_u32_e64 v3, s8, 32
	s_add_i32 s8, s8, 4
	s_clause 0x1
	buffer_load_dword v1, v1, s[0:3], 0 offen
	buffer_load_dword v2, v2, s[0:3], 0 offen
	s_cmp_lg_u32 s8, 32
	s_waitcnt vmcnt(0)
	v_add_nc_u32_e32 v1, v2, v1
	buffer_store_dword v1, v3, s[0:3], 0 offen
	s_cbranch_scc1 .LBB2156_366
; %bb.367:
	s_clause 0x7
	buffer_load_dword v1, off, s[0:3], 0 offset:32
	buffer_load_dword v2, off, s[0:3], 0 offset:36
	;; [unrolled: 1-line block ×8, first 2 shown]
.LBB2156_368:
	s_or_b32 exec_lo, exec_lo, s4
	v_and_b32_e32 v10, 1, v10
	v_and_b32_e32 v11, 1, v11
	s_waitcnt vmcnt(7)
	buffer_store_dword v1, off, s[0:3], 0 offset:104
	s_waitcnt vmcnt(6)
	buffer_store_dword v2, off, s[0:3], 0 offset:108
	;; [unrolled: 2-line block ×3, first 2 shown]
	v_cmp_eq_u32_e32 vcc_lo, 1, v10
	v_cmp_eq_u32_e64 s4, 1, v11
	s_or_b32 s4, vcc_lo, s4
	v_cndmask_b32_e64 v10, 0, 1, s4
	s_waitcnt vmcnt(4)
	buffer_store_dword v4, off, s[0:3], 0 offset:116
	s_waitcnt vmcnt(3)
	buffer_store_dword v5, off, s[0:3], 0 offset:120
	;; [unrolled: 2-line block ×5, first 2 shown]
	buffer_store_byte v10, off, s[0:3], 0 offset:136
.LBB2156_369:
	s_or_b32 exec_lo, exec_lo, s5
	v_or_b32_e32 v12, 31, v0
	v_lshrrev_b32_e32 v11, 5, v0
	s_mov_b32 s4, exec_lo
	v_cmpx_eq_u32_e64 v0, v12
	s_cbranch_execz .LBB2156_371
; %bb.370:
	v_mul_u32_u24_e32 v12, 36, v11
	ds_write2_b32 v12, v1, v2 offset1:1
	ds_write2_b32 v12, v3, v4 offset0:2 offset1:3
	ds_write2_b32 v12, v5, v6 offset0:4 offset1:5
	;; [unrolled: 1-line block ×3, first 2 shown]
	ds_write_b8 v12, v10 offset:32
.LBB2156_371:
	s_or_b32 exec_lo, exec_lo, s4
	s_mov_b32 s5, exec_lo
	s_waitcnt lgkmcnt(0)
	s_waitcnt_vscnt null, 0x0
	s_barrier
	buffer_gl0_inv
	v_cmpx_gt_u32_e32 8, v0
	s_cbranch_execz .LBB2156_395
; %bb.372:
	v_mul_u32_u24_e32 v10, 36, v0
	v_and_b32_e32 v13, 7, v9
	ds_read_b32 v12, v10 offset:32
	ds_read2_b32 v[1:2], v10 offset0:2 offset1:3
	ds_read2_b32 v[5:6], v10 offset0:4 offset1:5
	ds_read2_b32 v[3:4], v10 offset1:1
	ds_read2_b32 v[7:8], v10 offset0:6 offset1:7
	v_cmp_ne_u32_e32 vcc_lo, 0, v13
	s_waitcnt lgkmcnt(4)
	buffer_store_dword v12, off, s[0:3], 0 offset:64
	s_waitcnt lgkmcnt(3)
	buffer_store_dword v1, off, s[0:3], 0 offset:40
	;; [unrolled: 2-line block ×3, first 2 shown]
	buffer_store_dword v3, off, s[0:3], 0 offset:32
	buffer_store_dword v2, off, s[0:3], 0 offset:44
	s_waitcnt lgkmcnt(0)
	buffer_store_dword v7, off, s[0:3], 0 offset:56
	buffer_store_dword v6, off, s[0:3], 0 offset:52
	;; [unrolled: 1-line block ×4, first 2 shown]
	v_mov_b32_dpp v15, v3 row_shr:1 row_mask:0xf bank_mask:0xf
	v_mov_b32_dpp v14, v12 row_shr:1 row_mask:0xf bank_mask:0xf
	;; [unrolled: 1-line block ×9, first 2 shown]
	buffer_store_dword v15, off, s[0:3], 0 offset:176
	buffer_store_dword v16, off, s[0:3], 0 offset:180
	;; [unrolled: 1-line block ×9, first 2 shown]
	s_and_saveexec_b32 s4, vcc_lo
	s_cbranch_execz .LBB2156_380
; %bb.373:
	v_mov_b32_e32 v15, 0
	v_cmp_eq_u16_sdwa s12, v12, v15 src0_sel:BYTE_0 src1_sel:DWORD
	s_and_saveexec_b32 s8, s12
	s_cbranch_execz .LBB2156_379
; %bb.374:
	s_mov_b32 s12, 0
.LBB2156_375:                           ; =>This Inner Loop Header: Depth=1
	v_add_nc_u32_e64 v1, 0x44, s12
	s_add_i32 s12, s12, 4
	s_cmp_lg_u32 s12, 32
	buffer_store_dword v15, v1, s[0:3], 0 offen
	s_cbranch_scc1 .LBB2156_375
; %bb.376:
	s_mov_b32 s12, 0
	.p2align	6
.LBB2156_377:                           ; =>This Inner Loop Header: Depth=1
	v_add_nc_u32_e64 v1, 0xb0, s12
	v_add_nc_u32_e64 v2, s12, 32
	;; [unrolled: 1-line block ×3, first 2 shown]
	s_add_i32 s12, s12, 4
	s_clause 0x1
	buffer_load_dword v1, v1, s[0:3], 0 offen
	buffer_load_dword v2, v2, s[0:3], 0 offen
	s_cmp_lg_u32 s12, 32
	s_waitcnt vmcnt(0)
	v_add_nc_u32_e32 v1, v2, v1
	buffer_store_dword v1, v3, s[0:3], 0 offen
	s_cbranch_scc1 .LBB2156_377
; %bb.378:
	s_clause 0x7
	buffer_load_dword v3, off, s[0:3], 0 offset:68
	buffer_load_dword v4, off, s[0:3], 0 offset:72
	;; [unrolled: 1-line block ×8, first 2 shown]
.LBB2156_379:
	s_or_b32 exec_lo, exec_lo, s8
	v_or_b32_e32 v12, v14, v12
	v_and_b32_e32 v12, 1, v12
	buffer_store_byte v12, off, s[0:3], 0 offset:64
	buffer_load_dword v12, off, s[0:3], 0 offset:64
	s_waitcnt vmcnt(8)
	buffer_store_dword v3, off, s[0:3], 0 offset:32
	s_waitcnt vmcnt(7)
	buffer_store_dword v4, off, s[0:3], 0 offset:36
	;; [unrolled: 2-line block ×8, first 2 shown]
.LBB2156_380:
	s_or_b32 exec_lo, exec_lo, s4
	v_mov_b32_dpp v15, v3 row_shr:2 row_mask:0xf bank_mask:0xf
	s_waitcnt vmcnt(0)
	v_mov_b32_dpp v14, v12 row_shr:2 row_mask:0xf bank_mask:0xf
	v_mov_b32_dpp v16, v4 row_shr:2 row_mask:0xf bank_mask:0xf
	;; [unrolled: 1-line block ×4, first 2 shown]
	s_mov_b32 s8, exec_lo
	v_mov_b32_dpp v19, v5 row_shr:2 row_mask:0xf bank_mask:0xf
	v_mov_b32_dpp v20, v6 row_shr:2 row_mask:0xf bank_mask:0xf
	;; [unrolled: 1-line block ×4, first 2 shown]
	buffer_store_dword v15, off, s[0:3], 0 offset:176
	buffer_store_dword v16, off, s[0:3], 0 offset:180
	;; [unrolled: 1-line block ×9, first 2 shown]
	v_cmpx_lt_u32_e32 1, v13
	s_cbranch_execz .LBB2156_387
; %bb.381:
	v_mov_b32_e32 v15, 0
	s_mov_b32 s12, 0
	v_cmp_eq_u16_sdwa s13, v12, v15 src0_sel:BYTE_0 src1_sel:DWORD
	s_and_saveexec_b32 s4, s13
	s_cbranch_execz .LBB2156_386
.LBB2156_382:                           ; =>This Inner Loop Header: Depth=1
	v_add_nc_u32_e64 v1, 0x44, s12
	s_add_i32 s12, s12, 4
	s_cmp_lg_u32 s12, 32
	buffer_store_dword v15, v1, s[0:3], 0 offen
	s_cbranch_scc1 .LBB2156_382
; %bb.383:
	s_mov_b32 s12, 0
	.p2align	6
.LBB2156_384:                           ; =>This Inner Loop Header: Depth=1
	v_add_nc_u32_e64 v1, 0xb0, s12
	v_add_nc_u32_e64 v2, s12, 32
	;; [unrolled: 1-line block ×3, first 2 shown]
	s_add_i32 s12, s12, 4
	s_clause 0x1
	buffer_load_dword v1, v1, s[0:3], 0 offen
	buffer_load_dword v2, v2, s[0:3], 0 offen
	s_cmp_lg_u32 s12, 32
	s_waitcnt vmcnt(0)
	v_add_nc_u32_e32 v1, v2, v1
	buffer_store_dword v1, v3, s[0:3], 0 offen
	s_cbranch_scc1 .LBB2156_384
; %bb.385:
	s_clause 0x7
	buffer_load_dword v3, off, s[0:3], 0 offset:68
	buffer_load_dword v4, off, s[0:3], 0 offset:72
	;; [unrolled: 1-line block ×8, first 2 shown]
.LBB2156_386:
	s_or_b32 exec_lo, exec_lo, s4
	v_and_b32_e32 v12, 1, v12
	v_and_b32_e32 v14, 1, v14
	v_cmp_eq_u32_e32 vcc_lo, 1, v12
	v_cmp_eq_u32_e64 s4, 1, v14
	s_or_b32 s4, vcc_lo, s4
	v_cndmask_b32_e64 v12, 0, 1, s4
	buffer_store_byte v12, off, s[0:3], 0 offset:64
	buffer_load_dword v12, off, s[0:3], 0 offset:64
	s_waitcnt vmcnt(8)
	buffer_store_dword v3, off, s[0:3], 0 offset:32
	s_waitcnt vmcnt(7)
	buffer_store_dword v4, off, s[0:3], 0 offset:36
	;; [unrolled: 2-line block ×8, first 2 shown]
.LBB2156_387:
	s_or_b32 exec_lo, exec_lo, s8
	v_mov_b32_dpp v15, v3 row_shr:4 row_mask:0xf bank_mask:0xf
	s_waitcnt vmcnt(0)
	v_mov_b32_dpp v14, v12 row_shr:4 row_mask:0xf bank_mask:0xf
	v_mov_b32_dpp v16, v4 row_shr:4 row_mask:0xf bank_mask:0xf
	;; [unrolled: 1-line block ×4, first 2 shown]
	s_mov_b32 s8, exec_lo
	v_mov_b32_dpp v19, v5 row_shr:4 row_mask:0xf bank_mask:0xf
	v_mov_b32_dpp v20, v6 row_shr:4 row_mask:0xf bank_mask:0xf
	;; [unrolled: 1-line block ×4, first 2 shown]
	buffer_store_dword v15, off, s[0:3], 0 offset:176
	buffer_store_dword v16, off, s[0:3], 0 offset:180
	;; [unrolled: 1-line block ×9, first 2 shown]
	v_cmpx_lt_u32_e32 3, v13
	s_cbranch_execz .LBB2156_394
; %bb.388:
	v_mov_b32_e32 v13, 0
	s_mov_b32 s12, 0
	v_cmp_eq_u16_sdwa s13, v12, v13 src0_sel:BYTE_0 src1_sel:DWORD
	s_and_saveexec_b32 s4, s13
	s_cbranch_execz .LBB2156_393
.LBB2156_389:                           ; =>This Inner Loop Header: Depth=1
	v_add_nc_u32_e64 v1, 0x44, s12
	s_add_i32 s12, s12, 4
	s_cmp_lg_u32 s12, 32
	buffer_store_dword v13, v1, s[0:3], 0 offen
	s_cbranch_scc1 .LBB2156_389
; %bb.390:
	s_mov_b32 s12, 0
	.p2align	6
.LBB2156_391:                           ; =>This Inner Loop Header: Depth=1
	v_add_nc_u32_e64 v1, 0xb0, s12
	v_add_nc_u32_e64 v2, s12, 32
	;; [unrolled: 1-line block ×3, first 2 shown]
	s_add_i32 s12, s12, 4
	s_clause 0x1
	buffer_load_dword v1, v1, s[0:3], 0 offen
	buffer_load_dword v2, v2, s[0:3], 0 offen
	s_cmp_lg_u32 s12, 32
	s_waitcnt vmcnt(0)
	v_add_nc_u32_e32 v1, v2, v1
	buffer_store_dword v1, v3, s[0:3], 0 offen
	s_cbranch_scc1 .LBB2156_391
; %bb.392:
	s_clause 0x7
	buffer_load_dword v3, off, s[0:3], 0 offset:68
	buffer_load_dword v4, off, s[0:3], 0 offset:72
	;; [unrolled: 1-line block ×8, first 2 shown]
.LBB2156_393:
	s_or_b32 exec_lo, exec_lo, s4
	v_and_b32_e32 v12, 1, v12
	v_and_b32_e32 v13, 1, v14
	s_waitcnt vmcnt(7)
	buffer_store_dword v3, off, s[0:3], 0 offset:32
	s_waitcnt vmcnt(6)
	buffer_store_dword v4, off, s[0:3], 0 offset:36
	;; [unrolled: 2-line block ×8, first 2 shown]
	v_cmp_eq_u32_e32 vcc_lo, 1, v12
	v_cmp_eq_u32_e64 s4, 1, v13
	s_or_b32 s4, vcc_lo, s4
	v_cndmask_b32_e64 v12, 0, 1, s4
.LBB2156_394:
	s_or_b32 exec_lo, exec_lo, s8
	s_clause 0x7
	buffer_load_dword v1, off, s[0:3], 0 offset:32
	buffer_load_dword v2, off, s[0:3], 0 offset:36
	;; [unrolled: 1-line block ×8, first 2 shown]
	s_waitcnt vmcnt(4)
	ds_write2_b32 v10, v3, v4 offset0:2 offset1:3
	ds_write2_b32 v10, v1, v2 offset1:1
	s_waitcnt vmcnt(1)
	ds_write2_b32 v10, v6, v7 offset0:6 offset1:7
	s_waitcnt vmcnt(0)
	ds_write2_b32 v10, v5, v8 offset0:4 offset1:5
	ds_write_b8 v10, v12 offset:32
.LBB2156_395:
	s_or_b32 exec_lo, exec_lo, s5
	v_mov_b32_e32 v1, 0
	s_mov_b32 s4, 0
	s_waitcnt lgkmcnt(0)
	s_waitcnt_vscnt null, 0x0
	s_barrier
	buffer_gl0_inv
	buffer_store_dword v1, off, s[0:3], 0 offset:204
	buffer_store_dword v1, off, s[0:3], 0 offset:200
	;; [unrolled: 1-line block ×9, first 2 shown]
.LBB2156_396:                           ; =>This Inner Loop Header: Depth=1
	v_add_nc_u32_e64 v2, 0xb0, s4
	s_add_i32 s4, s4, 4
	s_cmp_lg_u32 s4, 32
	buffer_store_dword v1, v2, s[0:3], 0 offen
	s_cbranch_scc1 .LBB2156_396
; %bb.397:
	s_mov_b32 s4, exec_lo
                                        ; implicit-def: $vgpr2
                                        ; implicit-def: $vgpr3
                                        ; implicit-def: $vgpr4
                                        ; implicit-def: $vgpr5
                                        ; implicit-def: $vgpr6
                                        ; implicit-def: $vgpr8
                                        ; implicit-def: $vgpr10
                                        ; implicit-def: $vgpr7
                                        ; implicit-def: $vgpr1
	v_cmpx_lt_u32_e32 31, v0
	s_xor_b32 s4, exec_lo, s4
	s_cbranch_execz .LBB2156_407
; %bb.398:
	buffer_load_ubyte v12, off, s[0:3], 0 offset:136
	v_mad_u32_u24 v1, v11, 36, 0xffffffdc
	v_mad_u32_u24 v8, v11, 36, -4
	s_mov_b32 s5, exec_lo
	ds_read2_b32 v[2:3], v1 offset0:2 offset1:3
	ds_read2_b32 v[4:5], v1 offset0:4 offset1:5
	ds_read2_b32 v[6:7], v1 offset1:1
	ds_read2_b32 v[10:11], v1 offset0:6 offset1:7
	ds_read_u8 v1, v8
                                        ; implicit-def: $vgpr8
	s_waitcnt lgkmcnt(4)
	buffer_store_dword v3, off, s[0:3], 0 offset:188
	buffer_store_dword v2, off, s[0:3], 0 offset:184
	s_waitcnt lgkmcnt(2)
	buffer_store_dword v7, off, s[0:3], 0 offset:180
	buffer_store_dword v6, off, s[0:3], 0 offset:176
	;; [unrolled: 3-line block ×3, first 2 shown]
	buffer_store_dword v5, off, s[0:3], 0 offset:196
	buffer_store_dword v4, off, s[0:3], 0 offset:192
                                        ; implicit-def: $vgpr7
                                        ; implicit-def: $vgpr2
                                        ; implicit-def: $vgpr3
                                        ; implicit-def: $vgpr4
                                        ; implicit-def: $vgpr5
                                        ; implicit-def: $vgpr6
                                        ; implicit-def: $vgpr10
	s_waitcnt vmcnt(0)
	v_cmpx_ne_u16_e32 0, v12
	s_xor_b32 s5, exec_lo, s5
	s_cbranch_execz .LBB2156_400
; %bb.399:
	s_clause 0x7
	buffer_load_dword v2, off, s[0:3], 0 offset:104
	buffer_load_dword v3, off, s[0:3], 0 offset:108
	;; [unrolled: 1-line block ×8, first 2 shown]
.LBB2156_400:
	s_andn2_saveexec_b32 s5, s5
	s_cbranch_execz .LBB2156_406
; %bb.401:
	s_waitcnt vmcnt(7)
	v_mov_b32_e32 v2, 0
	s_mov_b32 s8, 0
.LBB2156_402:                           ; =>This Inner Loop Header: Depth=1
	s_waitcnt vmcnt(6)
	v_add_nc_u32_e64 v3, s8, 32
	s_add_i32 s8, s8, 4
	s_cmp_lg_u32 s8, 32
	buffer_store_dword v2, v3, s[0:3], 0 offen
	s_cbranch_scc1 .LBB2156_402
; %bb.403:
	s_mov_b32 s8, 0
	.p2align	6
.LBB2156_404:                           ; =>This Inner Loop Header: Depth=1
	v_add_nc_u32_e64 v2, 0xb0, s8
	v_add_nc_u32_e64 v3, 0x68, s8
	s_waitcnt vmcnt(5)
	v_add_nc_u32_e64 v4, s8, 32
	s_add_i32 s8, s8, 4
	s_clause 0x1
	buffer_load_dword v2, v2, s[0:3], 0 offen
	buffer_load_dword v3, v3, s[0:3], 0 offen
	s_cmp_lg_u32 s8, 32
	s_waitcnt vmcnt(0)
	v_add_nc_u32_e32 v2, v3, v2
	buffer_store_dword v2, v4, s[0:3], 0 offen
	s_cbranch_scc1 .LBB2156_404
; %bb.405:
	s_clause 0x7
	buffer_load_dword v2, off, s[0:3], 0 offset:32
	buffer_load_dword v3, off, s[0:3], 0 offset:36
	buffer_load_dword v4, off, s[0:3], 0 offset:40
	buffer_load_dword v5, off, s[0:3], 0 offset:44
	buffer_load_dword v6, off, s[0:3], 0 offset:48
	buffer_load_dword v8, off, s[0:3], 0 offset:52
	buffer_load_dword v10, off, s[0:3], 0 offset:56
	buffer_load_dword v7, off, s[0:3], 0 offset:60
.LBB2156_406:
	s_or_b32 exec_lo, exec_lo, s5
	s_waitcnt lgkmcnt(0)
	v_or_b32_e32 v11, v12, v1
	buffer_store_byte v11, off, s[0:3], 0 offset:136
.LBB2156_407:
	s_andn2_saveexec_b32 s4, s4
	s_cbranch_execz .LBB2156_409
; %bb.408:
	s_clause 0x7
	buffer_load_dword v2, off, s[0:3], 0 offset:104
	buffer_load_dword v3, off, s[0:3], 0 offset:108
	;; [unrolled: 1-line block ×8, first 2 shown]
	v_mov_b32_e32 v1, 0
.LBB2156_409:
	s_or_b32 exec_lo, exec_lo, s4
	buffer_load_dword v11, off, s[0:3], 0 offset:136
	v_sub_co_u32 v12, s5, v9, 1
	v_cmp_gt_i32_e32 vcc_lo, 0, v12
	v_cndmask_b32_e32 v9, v12, v9, vcc_lo
	v_lshlrev_b32_e32 v14, 2, v9
	s_waitcnt vmcnt(8)
	ds_bpermute_b32 v12, v14, v2
	s_waitcnt vmcnt(7)
	ds_bpermute_b32 v9, v14, v3
	s_waitcnt vmcnt(6)
	ds_bpermute_b32 v4, v14, v4
	s_waitcnt vmcnt(5)
	ds_bpermute_b32 v3, v14, v5
	s_waitcnt vmcnt(4)
	ds_bpermute_b32 v13, v14, v6
	s_waitcnt vmcnt(3)
	ds_bpermute_b32 v8, v14, v8
	s_waitcnt vmcnt(2)
	ds_bpermute_b32 v6, v14, v10
	s_waitcnt vmcnt(1)
	ds_bpermute_b32 v5, v14, v7
	s_waitcnt vmcnt(0)
	ds_bpermute_b32 v2, v14, v11
	s_waitcnt lgkmcnt(8)
	buffer_store_dword v12, off, s[0:3], 0 offset:104
	s_waitcnt lgkmcnt(7)
	buffer_store_dword v9, off, s[0:3], 0 offset:108
	;; [unrolled: 2-line block ×8, first 2 shown]
	s_waitcnt lgkmcnt(0)
	buffer_store_byte v2, off, s[0:3], 0 offset:136
	s_and_saveexec_b32 s4, s5
	s_cbranch_execz .LBB2156_411
; %bb.410:
	s_clause 0x7
	buffer_load_dword v3, off, s[0:3], 0 offset:188
	buffer_load_dword v4, off, s[0:3], 0 offset:184
	;; [unrolled: 1-line block ×8, first 2 shown]
	v_mov_b32_e32 v2, v1
	s_waitcnt vmcnt(7)
	buffer_store_dword v3, off, s[0:3], 0 offset:116
	s_waitcnt vmcnt(6)
	buffer_store_dword v4, off, s[0:3], 0 offset:112
	;; [unrolled: 2-line block ×8, first 2 shown]
	buffer_store_byte v1, off, s[0:3], 0 offset:136
.LBB2156_411:
	s_or_b32 exec_lo, exec_lo, s4
	s_clause 0x8
	buffer_load_dword v7, off, s[0:3], 0 offset:332
	buffer_load_dword v10, off, s[0:3], 0 offset:328
	;; [unrolled: 1-line block ×9, first 2 shown]
	buffer_store_dword v12, off, s[0:3], 0 offset:32
	buffer_store_dword v9, off, s[0:3], 0 offset:36
	;; [unrolled: 1-line block ×4, first 2 shown]
	v_perm_b32 v3, v2, v11, 0x3020104
                                        ; implicit-def: $vgpr4
                                        ; implicit-def: $vgpr9
	buffer_store_dword v13, off, s[0:3], 0 offset:48
	buffer_store_dword v8, off, s[0:3], 0 offset:52
	buffer_store_dword v6, off, s[0:3], 0 offset:56
	buffer_store_dword v5, off, s[0:3], 0 offset:60
	buffer_store_dword v3, off, s[0:3], 0 offset:64
	s_waitcnt vmcnt(8)
	buffer_store_dword v7, off, s[0:3], 0 offset:80
	s_waitcnt vmcnt(7)
	buffer_store_dword v10, off, s[0:3], 0 offset:76
	;; [unrolled: 2-line block ×9, first 2 shown]
                                        ; implicit-def: $vgpr5
                                        ; implicit-def: $vgpr3
                                        ; implicit-def: $vgpr6
                                        ; implicit-def: $vgpr7
                                        ; implicit-def: $vgpr10
                                        ; implicit-def: $vgpr8
	s_and_saveexec_b32 s4, s7
	s_xor_b32 s4, exec_lo, s4
	s_cbranch_execz .LBB2156_421
; %bb.412:
	v_mov_b32_e32 v3, 0
                                        ; implicit-def: $vgpr8
                                        ; implicit-def: $vgpr5
                                        ; implicit-def: $vgpr4
                                        ; implicit-def: $vgpr6
                                        ; implicit-def: $vgpr7
                                        ; implicit-def: $vgpr9
                                        ; implicit-def: $vgpr10
	v_cmp_ne_u16_sdwa s5, v1, v3 src0_sel:BYTE_0 src1_sel:DWORD
                                        ; implicit-def: $vgpr3
	s_and_saveexec_b32 s7, s5
	s_xor_b32 s5, exec_lo, s7
	s_cbranch_execz .LBB2156_414
; %bb.413:
	s_clause 0x7
	buffer_load_dword v5, off, s[0:3], 0 offset:68
	buffer_load_dword v3, off, s[0:3], 0 offset:72
	;; [unrolled: 1-line block ×8, first 2 shown]
.LBB2156_414:
	s_andn2_saveexec_b32 s5, s5
	s_cbranch_execz .LBB2156_420
; %bb.415:
	s_waitcnt vmcnt(6)
	v_mov_b32_e32 v3, 0
	s_mov_b32 s7, 0
.LBB2156_416:                           ; =>This Inner Loop Header: Depth=1
	s_waitcnt vmcnt(5)
	v_add_nc_u32_e64 v4, 0xb0, s7
	s_add_i32 s7, s7, 4
	s_cmp_lg_u32 s7, 32
	buffer_store_dword v3, v4, s[0:3], 0 offen
	s_cbranch_scc1 .LBB2156_416
; %bb.417:
	s_mov_b32 s7, 0
	.p2align	6
.LBB2156_418:                           ; =>This Inner Loop Header: Depth=1
	v_add_nc_u32_e64 v3, s7, 32
	v_add_nc_u32_e64 v4, 0x44, s7
	;; [unrolled: 1-line block ×3, first 2 shown]
	s_add_i32 s7, s7, 4
	s_clause 0x1
	buffer_load_dword v3, v3, s[0:3], 0 offen
	buffer_load_dword v4, v4, s[0:3], 0 offen
	s_cmp_lg_u32 s7, 32
	s_waitcnt vmcnt(0)
	v_add_nc_u32_e32 v3, v4, v3
	buffer_store_dword v3, v5, s[0:3], 0 offen
	s_cbranch_scc1 .LBB2156_418
; %bb.419:
	s_clause 0x7
	buffer_load_dword v5, off, s[0:3], 0 offset:176
	buffer_load_dword v3, off, s[0:3], 0 offset:180
	;; [unrolled: 1-line block ×8, first 2 shown]
.LBB2156_420:
	s_or_b32 exec_lo, exec_lo, s5
	v_and_b32_e32 v2, 1, v2
	s_waitcnt vmcnt(7)
	buffer_store_dword v5, off, s[0:3], 0 offset:68
	s_waitcnt vmcnt(6)
	buffer_store_dword v3, off, s[0:3], 0 offset:72
	;; [unrolled: 2-line block ×8, first 2 shown]
	;;#ASMSTART
	;;#ASMEND
	v_or_b32_e32 v1, v1, v2
.LBB2156_421:
	s_andn2_saveexec_b32 s4, s4
	s_cbranch_execz .LBB2156_423
; %bb.422:
	s_clause 0x7
	buffer_load_dword v5, off, s[0:3], 0 offset:68
	buffer_load_dword v3, off, s[0:3], 0 offset:72
	;; [unrolled: 1-line block ×8, first 2 shown]
.LBB2156_423:
	s_or_b32 exec_lo, exec_lo, s4
	s_clause 0xa
	buffer_load_dword v11, off, s[0:3], 0 offset:80
	buffer_load_dword v12, off, s[0:3], 0 offset:76
	;; [unrolled: 1-line block ×8, first 2 shown]
	buffer_load_ushort v19, off, s[0:3], 0 offset:101
	buffer_load_ubyte v20, off, s[0:3], 0 offset:103
	buffer_load_ubyte v2, off, s[0:3], 0 offset:388
	s_mov_b32 s4, exec_lo
	buffer_store_byte v1, off, s[0:3], 0 offset:352
	s_waitcnt vmcnt(18)
	buffer_store_dword v5, off, s[0:3], 0 offset:176
	s_waitcnt vmcnt(10)
	buffer_store_dword v11, off, s[0:3], 0 offset:332
	;; [unrolled: 2-line block ×9, first 2 shown]
	s_waitcnt vmcnt(2)
	v_perm_b32 v5, v1, v19, 0xc0c0004
	s_waitcnt vmcnt(1)
	v_perm_b32 v11, v19, v20, 0xc0c0005
	buffer_store_dword v3, off, s[0:3], 0 offset:180
	buffer_store_dword v4, off, s[0:3], 0 offset:184
	buffer_store_dword v6, off, s[0:3], 0 offset:188
	buffer_store_dword v7, off, s[0:3], 0 offset:192
                                        ; implicit-def: $vgpr4
                                        ; implicit-def: $vgpr7
                                        ; implicit-def: $vgpr6
	v_lshl_or_b32 v3, v11, 16, v5
                                        ; implicit-def: $vgpr5
                                        ; implicit-def: $vgpr11
	buffer_store_dword v9, off, s[0:3], 0 offset:196
	buffer_store_dword v10, off, s[0:3], 0 offset:200
	;; [unrolled: 1-line block ×4, first 2 shown]
                                        ; implicit-def: $vgpr9
                                        ; implicit-def: $vgpr10
                                        ; implicit-def: $vgpr8
	s_waitcnt vmcnt(0)
	v_cmpx_ne_u16_e32 0, v2
	s_xor_b32 s4, exec_lo, s4
	s_cbranch_execz .LBB2156_425
; %bb.424:
	s_clause 0x7
	buffer_load_dword v4, off, s[0:3], 0 offset:356
	buffer_load_dword v5, off, s[0:3], 0 offset:360
	;; [unrolled: 1-line block ×8, first 2 shown]
.LBB2156_425:
	s_andn2_saveexec_b32 s4, s4
	s_cbranch_execz .LBB2156_431
; %bb.426:
	v_mov_b32_e32 v3, 0
	s_mov_b32 s5, 0
.LBB2156_427:                           ; =>This Inner Loop Header: Depth=1
	s_waitcnt vmcnt(7)
	v_add_nc_u32_e64 v4, 0x110, s5
	s_add_i32 s5, s5, 4
	s_cmp_lg_u32 s5, 32
	buffer_store_dword v3, v4, s[0:3], 0 offen
	s_cbranch_scc1 .LBB2156_427
; %bb.428:
	s_mov_b32 s5, 0
	.p2align	6
.LBB2156_429:                           ; =>This Inner Loop Header: Depth=1
	v_add_nc_u32_e64 v3, 0xb0, s5
	v_add_nc_u32_e64 v4, 0x140, s5
	s_waitcnt vmcnt(6)
	v_add_nc_u32_e64 v5, 0x110, s5
	s_add_i32 s5, s5, 4
	s_clause 0x1
	buffer_load_dword v3, v3, s[0:3], 0 offen
	buffer_load_dword v4, v4, s[0:3], 0 offen offset:36
	s_cmp_lg_u32 s5, 32
	s_waitcnt vmcnt(0)
	v_add_nc_u32_e32 v3, v4, v3
	buffer_store_dword v3, v5, s[0:3], 0 offen
	s_cbranch_scc1 .LBB2156_429
; %bb.430:
	s_clause 0x7
	buffer_load_dword v4, off, s[0:3], 0 offset:272
	buffer_load_dword v5, off, s[0:3], 0 offset:276
	buffer_load_dword v7, off, s[0:3], 0 offset:280
	buffer_load_dword v10, off, s[0:3], 0 offset:284
	buffer_load_dword v6, off, s[0:3], 0 offset:288
	buffer_load_dword v8, off, s[0:3], 0 offset:292
	buffer_load_dword v11, off, s[0:3], 0 offset:296
	buffer_load_dword v9, off, s[0:3], 0 offset:300
.LBB2156_431:
	s_or_b32 exec_lo, exec_lo, s4
	buffer_load_ubyte v3, off, s[0:3], 0 offset:424
	v_or_b32_e32 v1, v2, v1
	s_mov_b32 s4, exec_lo
	v_mov_b32_e32 v2, s9
	s_waitcnt vmcnt(8)
	buffer_store_dword v4, off, s[0:3], 0 offset:176
	s_waitcnt vmcnt(7)
	buffer_store_dword v5, off, s[0:3], 0 offset:180
	;; [unrolled: 2-line block ×8, first 2 shown]
	buffer_store_dword v10, v2, s[0:3], 0 offen offset:12
	buffer_store_dword v7, v2, s[0:3], 0 offen offset:8
	;; [unrolled: 1-line block ×3, first 2 shown]
	buffer_store_dword v4, v2, s[0:3], 0 offen
	buffer_store_dword v9, v2, s[0:3], 0 offen offset:28
	buffer_store_dword v11, v2, s[0:3], 0 offen offset:24
	;; [unrolled: 1-line block ×4, first 2 shown]
	buffer_store_byte v1, off, s[0:3], 0 offset:388
                                        ; implicit-def: $vgpr7
                                        ; implicit-def: $vgpr2
                                        ; implicit-def: $vgpr4
                                        ; implicit-def: $vgpr6
                                        ; implicit-def: $vgpr9
                                        ; implicit-def: $vgpr5
                                        ; implicit-def: $vgpr8
                                        ; implicit-def: $vgpr10
	s_waitcnt vmcnt(0)
	v_cmpx_ne_u16_e32 0, v3
	s_xor_b32 s4, exec_lo, s4
	s_cbranch_execz .LBB2156_433
; %bb.432:
	s_clause 0x7
	buffer_load_dword v2, off, s[0:3], 0 offset:392
	buffer_load_dword v4, off, s[0:3], 0 offset:396
	;; [unrolled: 1-line block ×8, first 2 shown]
.LBB2156_433:
	s_andn2_saveexec_b32 s4, s4
	s_cbranch_execz .LBB2156_439
; %bb.434:
	s_waitcnt vmcnt(7)
	v_mov_b32_e32 v2, 0
	s_mov_b32 s5, 0
.LBB2156_435:                           ; =>This Inner Loop Header: Depth=1
	s_waitcnt vmcnt(6)
	v_add_nc_u32_e64 v4, 0x110, s5
	s_add_i32 s5, s5, 4
	s_cmp_lg_u32 s5, 32
	buffer_store_dword v2, v4, s[0:3], 0 offen
	s_cbranch_scc1 .LBB2156_435
; %bb.436:
	s_mov_b32 s5, 0
	.p2align	6
.LBB2156_437:                           ; =>This Inner Loop Header: Depth=1
	v_add_nc_u32_e64 v2, 0xb0, s5
	v_add_nc_u32_e64 v4, 0x140, s5
	s_waitcnt vmcnt(3)
	v_add_nc_u32_e64 v5, 0x110, s5
	s_add_i32 s5, s5, 4
	s_clause 0x1
	buffer_load_dword v2, v2, s[0:3], 0 offen
	buffer_load_dword v4, v4, s[0:3], 0 offen offset:72
	s_cmp_lg_u32 s5, 32
	s_waitcnt vmcnt(0)
	v_add_nc_u32_e32 v2, v4, v2
	buffer_store_dword v2, v5, s[0:3], 0 offen
	s_cbranch_scc1 .LBB2156_437
; %bb.438:
	s_clause 0x7
	buffer_load_dword v2, off, s[0:3], 0 offset:272
	buffer_load_dword v4, off, s[0:3], 0 offset:276
	;; [unrolled: 1-line block ×8, first 2 shown]
.LBB2156_439:
	s_or_b32 exec_lo, exec_lo, s4
	v_mov_b32_e32 v11, 0
	v_and_b32_e32 v3, 1, v3
	v_mov_b32_e32 v20, s19
	ds_read2_b32 v[12:13], v11 offset0:69 offset1:70
	ds_read2_b32 v[14:15], v11 offset0:67 offset1:68
	;; [unrolled: 1-line block ×4, first 2 shown]
	v_cmp_ne_u16_sdwa s4, v1, v11 src0_sel:BYTE_0 src1_sel:DWORD
	ds_read_u8 v1, v11 offset:284
	v_cmp_eq_u32_e32 vcc_lo, 1, v3
	s_waitcnt vmcnt(4)
	buffer_store_dword v9, v20, s[0:3], 0 offen offset:12
	buffer_store_dword v6, v20, s[0:3], 0 offen offset:8
	;; [unrolled: 1-line block ×3, first 2 shown]
	buffer_store_dword v2, v20, s[0:3], 0 offen
	s_or_b32 s4, s4, vcc_lo
	v_cndmask_b32_e64 v2, 0, 1, s4
	s_waitcnt vmcnt(0)
	buffer_store_dword v7, v20, s[0:3], 0 offen offset:28
	buffer_store_dword v10, v20, s[0:3], 0 offen offset:24
	;; [unrolled: 1-line block ×4, first 2 shown]
	buffer_store_byte v2, off, s[0:3], 0 offset:424
	s_waitcnt lgkmcnt(4)
	buffer_store_dword v13, off, s[0:3], 0 offset:168
	buffer_store_dword v12, off, s[0:3], 0 offset:164
	s_waitcnt lgkmcnt(3)
	buffer_store_dword v15, off, s[0:3], 0 offset:160
	buffer_store_dword v14, off, s[0:3], 0 offset:156
	;; [unrolled: 3-line block ×4, first 2 shown]
	s_waitcnt lgkmcnt(0)
	buffer_store_byte v1, off, s[0:3], 0 offset:172
	s_and_saveexec_b32 s4, s6
	s_cbranch_execz .LBB2156_441
; %bb.440:
	s_clause 0x7
	buffer_load_dword v2, off, s[0:3], 0 offset:140
	buffer_load_dword v3, off, s[0:3], 0 offset:144
	buffer_load_dword v4, off, s[0:3], 0 offset:148
	buffer_load_dword v5, off, s[0:3], 0 offset:152
	buffer_load_dword v6, off, s[0:3], 0 offset:156
	buffer_load_dword v7, off, s[0:3], 0 offset:160
	buffer_load_dword v8, off, s[0:3], 0 offset:164
	buffer_load_dword v9, off, s[0:3], 0 offset:168
	v_mov_b32_e32 v10, 2
	global_store_byte v11, v1, s[14:15] offset:1184
	s_waitcnt vmcnt(4)
	global_store_dwordx4 v11, v[2:5], s[14:15] offset:1152
	s_waitcnt vmcnt(0)
	global_store_dwordx4 v11, v[6:9], s[14:15] offset:1168
	s_waitcnt_vscnt null, 0x0
	buffer_gl1_inv
	buffer_gl0_inv
	global_store_byte v11, v10, s[16:17] offset:32
.LBB2156_441:
	s_or_b32 exec_lo, exec_lo, s4
.LBB2156_442:
	v_mov_b32_e32 v1, 0
	s_mov_b32 s4, 0
.LBB2156_443:                           ; =>This Inner Loop Header: Depth=1
	v_add_nc_u32_e64 v2, 0xb0, s4
	s_add_i32 s4, s4, 4
	s_cmp_lg_u32 s4, 32
	buffer_store_dword v1, v2, s[0:3], 0 offen
	s_cbranch_scc1 .LBB2156_443
; %bb.444:
	v_mov_b32_e32 v1, 0
	s_mov_b32 s4, 32
.LBB2156_445:                           ; =>This Inner Loop Header: Depth=1
	v_add_nc_u32_e64 v2, 0xb0, s4
	s_add_i32 s4, s4, 4
	s_cmp_lg_u32 s4, 64
	buffer_store_dword v1, v2, s[0:3], 0 offen
	s_cbranch_scc1 .LBB2156_445
; %bb.446:
	v_mov_b32_e32 v1, 0
	s_mov_b32 s4, 64
.LBB2156_447:                           ; =>This Inner Loop Header: Depth=1
	v_add_nc_u32_e64 v2, 0xb0, s4
	s_add_i32 s4, s4, 4
	s_cmpk_lg_i32 s4, 0x60
	buffer_store_dword v1, v2, s[0:3], 0 offen
	s_cbranch_scc1 .LBB2156_447
; %bb.448:
	s_add_u32 s4, s26, s10
	s_addc_u32 s5, s27, s11
	s_add_u32 s4, s4, s20
	s_movk_i32 s6, 0xf0
	s_movk_i32 s7, 0xd0
	s_addc_u32 s5, s5, s21
	s_and_b32 vcc_lo, exec_lo, s34
	s_cbranch_vccz .LBB2156_458
; %bb.449:
	v_mul_u32_u24_e32 v1, 3, v0
	s_add_i32 s33, s33, s18
	s_mov_b32 s8, exec_lo
	v_cmpx_gt_u32_e64 s33, v1
	s_cbranch_execz .LBB2156_453
; %bb.450:
	s_clause 0x7
	buffer_load_dword v2, off, s[0:3], 0 offset:332
	buffer_load_dword v3, off, s[0:3], 0 offset:328
	;; [unrolled: 1-line block ×8, first 2 shown]
	v_add_nc_u32_e32 v10, 1, v1
	s_waitcnt vmcnt(7)
	buffer_store_dword v2, off, s[0:3], 0 offset:188
	s_waitcnt vmcnt(6)
	buffer_store_dword v3, off, s[0:3], 0 offset:184
	s_waitcnt vmcnt(5)
	buffer_store_dword v4, off, s[0:3], 0 offset:180
	s_waitcnt vmcnt(4)
	buffer_store_dword v5, off, s[0:3], 0 offset:176
	s_waitcnt vmcnt(3)
	buffer_store_dword v6, off, s[0:3], 0 offset:204
	s_waitcnt vmcnt(2)
	buffer_store_dword v7, off, s[0:3], 0 offset:200
	s_waitcnt vmcnt(1)
	buffer_store_dword v8, off, s[0:3], 0 offset:196
	s_waitcnt vmcnt(0)
	buffer_store_dword v9, off, s[0:3], 0 offset:192
	v_cmp_gt_u32_e32 vcc_lo, s33, v10
	s_and_b32 exec_lo, exec_lo, vcc_lo
	s_cbranch_execz .LBB2156_453
; %bb.451:
	v_mov_b32_e32 v2, s9
	v_add_nc_u32_e32 v10, 2, v1
	v_mov_b32_e32 v11, s7
	s_clause 0x7
	buffer_load_dword v3, v2, s[0:3], 0 offen offset:12
	buffer_load_dword v4, v2, s[0:3], 0 offen offset:8
	;; [unrolled: 1-line block ×3, first 2 shown]
	buffer_load_dword v6, v2, s[0:3], 0 offen
	buffer_load_dword v7, v2, s[0:3], 0 offen offset:28
	buffer_load_dword v8, v2, s[0:3], 0 offen offset:24
	;; [unrolled: 1-line block ×4, first 2 shown]
	v_cmp_gt_u32_e32 vcc_lo, s33, v10
	s_waitcnt vmcnt(7)
	buffer_store_dword v3, v11, s[0:3], 0 offen offset:12
	s_waitcnt vmcnt(6)
	buffer_store_dword v4, v11, s[0:3], 0 offen offset:8
	;; [unrolled: 2-line block ×3, first 2 shown]
	s_waitcnt vmcnt(4)
	buffer_store_dword v6, v11, s[0:3], 0 offen
	s_waitcnt vmcnt(3)
	buffer_store_dword v7, v11, s[0:3], 0 offen offset:28
	s_waitcnt vmcnt(2)
	buffer_store_dword v8, v11, s[0:3], 0 offen offset:24
	s_waitcnt vmcnt(1)
	buffer_store_dword v9, v11, s[0:3], 0 offen offset:20
	s_waitcnt vmcnt(0)
	buffer_store_dword v2, v11, s[0:3], 0 offen offset:16
	s_and_b32 exec_lo, exec_lo, vcc_lo
	s_cbranch_execz .LBB2156_453
; %bb.452:
	v_mov_b32_e32 v2, s19
	v_mov_b32_e32 v10, s6
	s_clause 0x7
	buffer_load_dword v3, v2, s[0:3], 0 offen offset:12
	buffer_load_dword v4, v2, s[0:3], 0 offen offset:8
	;; [unrolled: 1-line block ×3, first 2 shown]
	buffer_load_dword v6, v2, s[0:3], 0 offen
	buffer_load_dword v7, v2, s[0:3], 0 offen offset:28
	buffer_load_dword v8, v2, s[0:3], 0 offen offset:24
	;; [unrolled: 1-line block ×4, first 2 shown]
	s_waitcnt vmcnt(7)
	buffer_store_dword v3, v10, s[0:3], 0 offen offset:12
	s_waitcnt vmcnt(6)
	buffer_store_dword v4, v10, s[0:3], 0 offen offset:8
	;; [unrolled: 2-line block ×3, first 2 shown]
	s_waitcnt vmcnt(4)
	buffer_store_dword v6, v10, s[0:3], 0 offen
	s_waitcnt vmcnt(3)
	buffer_store_dword v7, v10, s[0:3], 0 offen offset:28
	s_waitcnt vmcnt(2)
	buffer_store_dword v8, v10, s[0:3], 0 offen offset:24
	s_waitcnt vmcnt(1)
	buffer_store_dword v9, v10, s[0:3], 0 offen offset:20
	s_waitcnt vmcnt(0)
	buffer_store_dword v2, v10, s[0:3], 0 offen offset:16
.LBB2156_453:
	s_or_b32 exec_lo, exec_lo, s8
	v_mov_b32_e32 v28, s7
	s_waitcnt_vscnt null, 0x0
	s_barrier
	buffer_gl0_inv
	s_clause 0x7
	buffer_load_dword v4, off, s[0:3], 0 offset:176
	buffer_load_dword v5, off, s[0:3], 0 offset:180
	;; [unrolled: 1-line block ×8, first 2 shown]
	v_mov_b32_e32 v29, s6
	s_clause 0xf
	buffer_load_dword v12, v28, s[0:3], 0 offen
	buffer_load_dword v13, v28, s[0:3], 0 offen offset:4
	buffer_load_dword v14, v28, s[0:3], 0 offen offset:8
	;; [unrolled: 1-line block ×7, first 2 shown]
	buffer_load_dword v20, v29, s[0:3], 0 offen
	buffer_load_dword v21, v29, s[0:3], 0 offen offset:4
	buffer_load_dword v22, v29, s[0:3], 0 offen offset:8
	;; [unrolled: 1-line block ×7, first 2 shown]
	v_lshlrev_b32_e32 v1, 5, v1
	v_lshlrev_b32_e32 v2, 6, v0
	s_waitcnt vmcnt(20)
	ds_write_b128 v1, v[4:7]
	s_waitcnt vmcnt(16)
	ds_write_b128 v1, v[8:11] offset:16
	s_waitcnt vmcnt(12)
	ds_write_b128 v1, v[12:15] offset:32
	;; [unrolled: 2-line block ×5, first 2 shown]
	v_sub_nc_u32_e32 v3, v1, v2
	s_waitcnt lgkmcnt(0)
	s_barrier
	buffer_gl0_inv
	ds_read_b128 v[4:7], v3 offset:8192
	ds_read_b128 v[8:11], v3 offset:8208
	;; [unrolled: 1-line block ×3, first 2 shown]
	v_lshlrev_b32_e32 v1, 5, v0
	ds_read_b128 v[16:19], v3 offset:16400
	s_waitcnt lgkmcnt(3)
	buffer_store_dword v7, v28, s[0:3], 0 offen offset:12
	buffer_store_dword v6, v28, s[0:3], 0 offen offset:8
	;; [unrolled: 1-line block ×3, first 2 shown]
	buffer_store_dword v4, v28, s[0:3], 0 offen
	s_waitcnt lgkmcnt(2)
	buffer_store_dword v11, v28, s[0:3], 0 offen offset:28
	buffer_store_dword v10, v28, s[0:3], 0 offen offset:24
	;; [unrolled: 1-line block ×4, first 2 shown]
	s_waitcnt lgkmcnt(1)
	buffer_store_dword v15, v29, s[0:3], 0 offen offset:12
	buffer_store_dword v14, v29, s[0:3], 0 offen offset:8
	;; [unrolled: 1-line block ×3, first 2 shown]
	buffer_store_dword v12, v29, s[0:3], 0 offen
	s_waitcnt lgkmcnt(0)
	buffer_store_dword v19, v29, s[0:3], 0 offen offset:28
	buffer_store_dword v18, v29, s[0:3], 0 offen offset:24
	;; [unrolled: 1-line block ×4, first 2 shown]
	v_add_co_u32 v1, s8, s4, v1
	v_add_co_ci_u32_e64 v2, null, s5, 0, s8
	s_mov_b32 s8, exec_lo
	v_cmpx_gt_u32_e64 s33, v0
	s_cbranch_execz .LBB2156_455
; %bb.454:
	ds_read2_b32 v[5:6], v3 offset0:2 offset1:3
	ds_read2_b32 v[7:8], v3 offset0:4 offset1:5
	;; [unrolled: 1-line block ×3, first 2 shown]
	ds_read2_b32 v[3:4], v3 offset1:1
	s_waitcnt lgkmcnt(0)
	flat_store_dwordx4 v[1:2], v[3:6]
	flat_store_dwordx4 v[1:2], v[7:10] offset:16
.LBB2156_455:
	s_or_b32 exec_lo, exec_lo, s8
	v_or_b32_e32 v3, 0x100, v0
	s_mov_b32 s8, exec_lo
	v_cmpx_gt_u32_e64 s33, v3
	s_cbranch_execz .LBB2156_457
; %bb.456:
	v_mov_b32_e32 v6, s7
	v_add_co_u32 v1, vcc_lo, 0x2000, v1
	v_add_co_ci_u32_e64 v2, null, 0, v2, vcc_lo
	s_clause 0x7
	buffer_load_dword v3, v6, s[0:3], 0 offen
	buffer_load_dword v4, v6, s[0:3], 0 offen offset:4
	buffer_load_dword v5, v6, s[0:3], 0 offen offset:8
	;; [unrolled: 1-line block ×7, first 2 shown]
	s_waitcnt vmcnt(1)
	flat_store_dwordx4 v[1:2], v[7:10] offset:16
	s_waitcnt vmcnt(0)
	flat_store_dwordx4 v[1:2], v[3:6]
.LBB2156_457:
	s_or_b32 exec_lo, exec_lo, s8
	v_or_b32_e32 v1, 0x200, v0
	v_cmp_gt_u32_e64 s8, s33, v1
	s_branch .LBB2156_460
.LBB2156_458:
	s_mov_b32 s8, 0
	s_cbranch_execz .LBB2156_460
; %bb.459:
	v_mov_b32_e32 v1, s9
	v_mov_b32_e32 v10, s19
	s_clause 0x7
	buffer_load_dword v2, off, s[0:3], 0 offset:328
	buffer_load_dword v3, off, s[0:3], 0 offset:332
	;; [unrolled: 1-line block ×8, first 2 shown]
	v_mov_b32_e32 v29, s7
	v_mov_b32_e32 v30, s6
	s_clause 0xf
	buffer_load_dword v11, v1, s[0:3], 0 offen offset:12
	buffer_load_dword v12, v1, s[0:3], 0 offen offset:8
	;; [unrolled: 1-line block ×3, first 2 shown]
	buffer_load_dword v14, v1, s[0:3], 0 offen
	buffer_load_dword v15, v1, s[0:3], 0 offen offset:28
	buffer_load_dword v16, v1, s[0:3], 0 offen offset:24
	;; [unrolled: 1-line block ×7, first 2 shown]
	buffer_load_dword v21, v10, s[0:3], 0 offen
	buffer_load_dword v22, v10, s[0:3], 0 offen offset:28
	buffer_load_dword v23, v10, s[0:3], 0 offen offset:24
	;; [unrolled: 1-line block ×4, first 2 shown]
	v_mul_u32_u24_e32 v25, 0x60, v0
	v_lshlrev_b32_e32 v26, 6, v0
	s_or_b32 s8, s8, exec_lo
	s_waitcnt vmcnt(22)
	buffer_store_dword v3, off, s[0:3], 0 offset:188
	buffer_store_dword v2, off, s[0:3], 0 offset:184
	s_waitcnt vmcnt(20)
	buffer_store_dword v5, off, s[0:3], 0 offset:180
	buffer_store_dword v4, off, s[0:3], 0 offset:176
	;; [unrolled: 3-line block ×4, first 2 shown]
	s_waitcnt vmcnt(15)
	buffer_store_dword v11, v29, s[0:3], 0 offen offset:12
	s_waitcnt vmcnt(14)
	buffer_store_dword v12, v29, s[0:3], 0 offen offset:8
	;; [unrolled: 2-line block ×3, first 2 shown]
	s_waitcnt vmcnt(12)
	buffer_store_dword v14, v29, s[0:3], 0 offen
	s_waitcnt vmcnt(11)
	buffer_store_dword v15, v29, s[0:3], 0 offen offset:28
	s_waitcnt vmcnt(10)
	buffer_store_dword v16, v29, s[0:3], 0 offen offset:24
	;; [unrolled: 2-line block ×7, first 2 shown]
	s_waitcnt vmcnt(4)
	buffer_store_dword v21, v30, s[0:3], 0 offen
	s_waitcnt vmcnt(3)
	buffer_store_dword v22, v30, s[0:3], 0 offen offset:28
	s_waitcnt vmcnt(2)
	buffer_store_dword v23, v30, s[0:3], 0 offen offset:24
	;; [unrolled: 2-line block ×4, first 2 shown]
	s_waitcnt lgkmcnt(0)
	s_waitcnt_vscnt null, 0x0
	s_barrier
	buffer_gl0_inv
	s_clause 0x17
	buffer_load_dword v1, off, s[0:3], 0 offset:176
	buffer_load_dword v2, off, s[0:3], 0 offset:180
	;; [unrolled: 1-line block ×8, first 2 shown]
	buffer_load_dword v9, v29, s[0:3], 0 offen
	buffer_load_dword v10, v29, s[0:3], 0 offen offset:4
	buffer_load_dword v11, v29, s[0:3], 0 offen offset:8
	buffer_load_dword v12, v29, s[0:3], 0 offen offset:12
	buffer_load_dword v13, v29, s[0:3], 0 offen offset:16
	buffer_load_dword v14, v29, s[0:3], 0 offen offset:20
	buffer_load_dword v15, v29, s[0:3], 0 offen offset:24
	buffer_load_dword v16, v29, s[0:3], 0 offen offset:28
	buffer_load_dword v17, v30, s[0:3], 0 offen
	buffer_load_dword v18, v30, s[0:3], 0 offen offset:4
	buffer_load_dword v19, v30, s[0:3], 0 offen offset:8
	;; [unrolled: 1-line block ×7, first 2 shown]
	v_sub_nc_u32_e32 v27, v25, v26
	s_waitcnt vmcnt(20)
	ds_write_b128 v25, v[1:4]
	s_waitcnt vmcnt(16)
	ds_write_b128 v25, v[5:8] offset:16
	s_waitcnt vmcnt(12)
	ds_write_b128 v25, v[9:12] offset:32
	;; [unrolled: 2-line block ×5, first 2 shown]
	v_lshlrev_b32_e32 v13, 5, v0
	s_waitcnt lgkmcnt(0)
	s_barrier
	buffer_gl0_inv
	ds_read_b128 v[1:4], v27 offset:8192
	ds_read_b128 v[5:8], v27 offset:8208
	;; [unrolled: 1-line block ×3, first 2 shown]
	v_add_co_u32 v25, s7, s4, v13
	ds_read_b128 v[13:16], v27 offset:16400
	ds_read2_b32 v[19:20], v27 offset0:6 offset1:7
	ds_read2_b32 v[17:18], v27 offset0:4 offset1:5
	ds_read2_b32 v[21:22], v27 offset1:1
	ds_read2_b32 v[23:24], v27 offset0:2 offset1:3
	v_add_co_ci_u32_e64 v26, null, s5, 0, s7
	v_add_co_u32 v27, vcc_lo, 0x2000, v25
	s_waitcnt lgkmcnt(7)
	buffer_store_dword v4, v29, s[0:3], 0 offen offset:12
	buffer_store_dword v3, v29, s[0:3], 0 offen offset:8
	;; [unrolled: 1-line block ×3, first 2 shown]
	buffer_store_dword v1, v29, s[0:3], 0 offen
	s_waitcnt lgkmcnt(6)
	buffer_store_dword v8, v29, s[0:3], 0 offen offset:28
	buffer_store_dword v7, v29, s[0:3], 0 offen offset:24
	;; [unrolled: 1-line block ×4, first 2 shown]
	s_waitcnt lgkmcnt(5)
	buffer_store_dword v12, v30, s[0:3], 0 offen offset:12
	buffer_store_dword v11, v30, s[0:3], 0 offen offset:8
	;; [unrolled: 1-line block ×3, first 2 shown]
	buffer_store_dword v9, v30, s[0:3], 0 offen
	s_waitcnt lgkmcnt(4)
	buffer_store_dword v16, v30, s[0:3], 0 offen offset:28
	buffer_store_dword v15, v30, s[0:3], 0 offen offset:24
	buffer_store_dword v14, v30, s[0:3], 0 offen offset:20
	buffer_store_dword v13, v30, s[0:3], 0 offen offset:16
	v_add_co_ci_u32_e64 v28, null, 0, v26, vcc_lo
	s_waitcnt lgkmcnt(2)
	flat_store_dwordx4 v[25:26], v[17:20] offset:16
	s_waitcnt lgkmcnt(1)
	flat_store_dwordx4 v[25:26], v[21:24]
	flat_store_dwordx4 v[27:28], v[1:4]
	flat_store_dwordx4 v[27:28], v[5:8] offset:16
.LBB2156_460:
	s_and_saveexec_b32 s7, s8
	s_cbranch_execnz .LBB2156_462
; %bb.461:
	s_endpgm
.LBB2156_462:
	v_mov_b32_e32 v4, s6
	v_lshlrev_b32_e32 v0, 5, v0
	s_clause 0x7
	buffer_load_dword v1, v4, s[0:3], 0 offen
	buffer_load_dword v2, v4, s[0:3], 0 offen offset:4
	buffer_load_dword v3, v4, s[0:3], 0 offen offset:8
	;; [unrolled: 1-line block ×7, first 2 shown]
	v_add_co_u32 v0, s4, s4, v0
	v_add_co_ci_u32_e64 v10, null, s5, 0, s4
	v_add_co_u32 v9, vcc_lo, 0x4000, v0
	v_add_co_ci_u32_e64 v10, null, 0, v10, vcc_lo
	s_waitcnt vmcnt(1)
	flat_store_dwordx4 v[9:10], v[5:8] offset:16
	s_waitcnt vmcnt(0)
	flat_store_dwordx4 v[9:10], v[1:4]
	s_endpgm
.LBB2156_463:
	v_lshlrev_b32_e32 v8, 5, v0
	v_add_co_u32 v12, s8, s40, v8
	v_add_co_ci_u32_e64 v13, null, s41, 0, s8
	s_clause 0x1
	flat_load_dwordx4 v[8:11], v[12:13]
	flat_load_dwordx4 v[12:15], v[12:13] offset:16
	s_waitcnt vmcnt(1) lgkmcnt(1)
	buffer_store_dword v8, off, s[0:3], 0 offset:176
	buffer_store_dword v9, off, s[0:3], 0 offset:180
	;; [unrolled: 1-line block ×4, first 2 shown]
	s_waitcnt vmcnt(0) lgkmcnt(0)
	buffer_store_dword v12, off, s[0:3], 0 offset:192
	buffer_store_dword v13, off, s[0:3], 0 offset:196
	;; [unrolled: 1-line block ×4, first 2 shown]
	s_or_b32 exec_lo, exec_lo, s30
	s_and_saveexec_b32 s8, s5
	s_cbranch_execz .LBB2156_31
.LBB2156_464:
	v_lshlrev_b32_e32 v7, 5, v7
	v_add_co_u32 v11, s5, s40, v7
	v_add_co_ci_u32_e64 v12, null, s41, 0, s5
	s_clause 0x1
	flat_load_dwordx4 v[7:10], v[11:12]
	flat_load_dwordx4 v[11:14], v[11:12] offset:16
	s_waitcnt vmcnt(1) lgkmcnt(1)
	buffer_store_dword v7, off, s[0:3], 0 offset:208
	buffer_store_dword v8, off, s[0:3], 0 offset:212
	;; [unrolled: 1-line block ×4, first 2 shown]
	s_waitcnt vmcnt(0) lgkmcnt(0)
	buffer_store_dword v11, off, s[0:3], 0 offset:224
	buffer_store_dword v12, off, s[0:3], 0 offset:228
	;; [unrolled: 1-line block ×4, first 2 shown]
	s_or_b32 exec_lo, exec_lo, s8
	s_and_saveexec_b32 s5, s4
	s_cbranch_execnz .LBB2156_32
	s_branch .LBB2156_33
.LBB2156_465:
                                        ; implicit-def: $sgpr30_sgpr31
	s_branch .LBB2156_26
.LBB2156_466:
                                        ; implicit-def: $sgpr4_sgpr5
	s_branch .LBB2156_42
	.section	.rodata,"a",@progbits
	.p2align	6, 0x0
	.amdhsa_kernel _ZN7rocprim17ROCPRIM_400000_NS6detail17trampoline_kernelINS0_14default_configENS1_27scan_by_key_config_selectorIj11FixedVectorIiLj8EEEEZZNS1_16scan_by_key_implILNS1_25lookback_scan_determinismE0ELb0ES3_N6thrust23THRUST_200600_302600_NS6detail15normal_iteratorINSB_10device_ptrIjEEEENSD_INSE_IS6_EEEESI_S6_NSB_4plusIvEENSB_8equal_toIvEES6_EE10hipError_tPvRmT2_T3_T4_T5_mT6_T7_P12ihipStream_tbENKUlT_T0_E_clISt17integral_constantIbLb0EES12_IbLb1EEEEDaSY_SZ_EUlSY_E_NS1_11comp_targetILNS1_3genE8ELNS1_11target_archE1030ELNS1_3gpuE2ELNS1_3repE0EEENS1_30default_config_static_selectorELNS0_4arch9wavefront6targetE0EEEvT1_
		.amdhsa_group_segment_fixed_size 24576
		.amdhsa_private_segment_fixed_size 432
		.amdhsa_kernarg_size 160
		.amdhsa_user_sgpr_count 6
		.amdhsa_user_sgpr_private_segment_buffer 1
		.amdhsa_user_sgpr_dispatch_ptr 0
		.amdhsa_user_sgpr_queue_ptr 0
		.amdhsa_user_sgpr_kernarg_segment_ptr 1
		.amdhsa_user_sgpr_dispatch_id 0
		.amdhsa_user_sgpr_flat_scratch_init 0
		.amdhsa_user_sgpr_private_segment_size 0
		.amdhsa_wavefront_size32 1
		.amdhsa_uses_dynamic_stack 0
		.amdhsa_system_sgpr_private_segment_wavefront_offset 1
		.amdhsa_system_sgpr_workgroup_id_x 1
		.amdhsa_system_sgpr_workgroup_id_y 0
		.amdhsa_system_sgpr_workgroup_id_z 0
		.amdhsa_system_sgpr_workgroup_info 0
		.amdhsa_system_vgpr_workitem_id 0
		.amdhsa_next_free_vgpr 81
		.amdhsa_next_free_sgpr 47
		.amdhsa_reserve_vcc 1
		.amdhsa_reserve_flat_scratch 1
		.amdhsa_float_round_mode_32 0
		.amdhsa_float_round_mode_16_64 0
		.amdhsa_float_denorm_mode_32 3
		.amdhsa_float_denorm_mode_16_64 3
		.amdhsa_dx10_clamp 1
		.amdhsa_ieee_mode 1
		.amdhsa_fp16_overflow 0
		.amdhsa_workgroup_processor_mode 1
		.amdhsa_memory_ordered 1
		.amdhsa_forward_progress 1
		.amdhsa_shared_vgpr_count 0
		.amdhsa_exception_fp_ieee_invalid_op 0
		.amdhsa_exception_fp_denorm_src 0
		.amdhsa_exception_fp_ieee_div_zero 0
		.amdhsa_exception_fp_ieee_overflow 0
		.amdhsa_exception_fp_ieee_underflow 0
		.amdhsa_exception_fp_ieee_inexact 0
		.amdhsa_exception_int_div_zero 0
	.end_amdhsa_kernel
	.section	.text._ZN7rocprim17ROCPRIM_400000_NS6detail17trampoline_kernelINS0_14default_configENS1_27scan_by_key_config_selectorIj11FixedVectorIiLj8EEEEZZNS1_16scan_by_key_implILNS1_25lookback_scan_determinismE0ELb0ES3_N6thrust23THRUST_200600_302600_NS6detail15normal_iteratorINSB_10device_ptrIjEEEENSD_INSE_IS6_EEEESI_S6_NSB_4plusIvEENSB_8equal_toIvEES6_EE10hipError_tPvRmT2_T3_T4_T5_mT6_T7_P12ihipStream_tbENKUlT_T0_E_clISt17integral_constantIbLb0EES12_IbLb1EEEEDaSY_SZ_EUlSY_E_NS1_11comp_targetILNS1_3genE8ELNS1_11target_archE1030ELNS1_3gpuE2ELNS1_3repE0EEENS1_30default_config_static_selectorELNS0_4arch9wavefront6targetE0EEEvT1_,"axG",@progbits,_ZN7rocprim17ROCPRIM_400000_NS6detail17trampoline_kernelINS0_14default_configENS1_27scan_by_key_config_selectorIj11FixedVectorIiLj8EEEEZZNS1_16scan_by_key_implILNS1_25lookback_scan_determinismE0ELb0ES3_N6thrust23THRUST_200600_302600_NS6detail15normal_iteratorINSB_10device_ptrIjEEEENSD_INSE_IS6_EEEESI_S6_NSB_4plusIvEENSB_8equal_toIvEES6_EE10hipError_tPvRmT2_T3_T4_T5_mT6_T7_P12ihipStream_tbENKUlT_T0_E_clISt17integral_constantIbLb0EES12_IbLb1EEEEDaSY_SZ_EUlSY_E_NS1_11comp_targetILNS1_3genE8ELNS1_11target_archE1030ELNS1_3gpuE2ELNS1_3repE0EEENS1_30default_config_static_selectorELNS0_4arch9wavefront6targetE0EEEvT1_,comdat
.Lfunc_end2156:
	.size	_ZN7rocprim17ROCPRIM_400000_NS6detail17trampoline_kernelINS0_14default_configENS1_27scan_by_key_config_selectorIj11FixedVectorIiLj8EEEEZZNS1_16scan_by_key_implILNS1_25lookback_scan_determinismE0ELb0ES3_N6thrust23THRUST_200600_302600_NS6detail15normal_iteratorINSB_10device_ptrIjEEEENSD_INSE_IS6_EEEESI_S6_NSB_4plusIvEENSB_8equal_toIvEES6_EE10hipError_tPvRmT2_T3_T4_T5_mT6_T7_P12ihipStream_tbENKUlT_T0_E_clISt17integral_constantIbLb0EES12_IbLb1EEEEDaSY_SZ_EUlSY_E_NS1_11comp_targetILNS1_3genE8ELNS1_11target_archE1030ELNS1_3gpuE2ELNS1_3repE0EEENS1_30default_config_static_selectorELNS0_4arch9wavefront6targetE0EEEvT1_, .Lfunc_end2156-_ZN7rocprim17ROCPRIM_400000_NS6detail17trampoline_kernelINS0_14default_configENS1_27scan_by_key_config_selectorIj11FixedVectorIiLj8EEEEZZNS1_16scan_by_key_implILNS1_25lookback_scan_determinismE0ELb0ES3_N6thrust23THRUST_200600_302600_NS6detail15normal_iteratorINSB_10device_ptrIjEEEENSD_INSE_IS6_EEEESI_S6_NSB_4plusIvEENSB_8equal_toIvEES6_EE10hipError_tPvRmT2_T3_T4_T5_mT6_T7_P12ihipStream_tbENKUlT_T0_E_clISt17integral_constantIbLb0EES12_IbLb1EEEEDaSY_SZ_EUlSY_E_NS1_11comp_targetILNS1_3genE8ELNS1_11target_archE1030ELNS1_3gpuE2ELNS1_3repE0EEENS1_30default_config_static_selectorELNS0_4arch9wavefront6targetE0EEEvT1_
                                        ; -- End function
	.set _ZN7rocprim17ROCPRIM_400000_NS6detail17trampoline_kernelINS0_14default_configENS1_27scan_by_key_config_selectorIj11FixedVectorIiLj8EEEEZZNS1_16scan_by_key_implILNS1_25lookback_scan_determinismE0ELb0ES3_N6thrust23THRUST_200600_302600_NS6detail15normal_iteratorINSB_10device_ptrIjEEEENSD_INSE_IS6_EEEESI_S6_NSB_4plusIvEENSB_8equal_toIvEES6_EE10hipError_tPvRmT2_T3_T4_T5_mT6_T7_P12ihipStream_tbENKUlT_T0_E_clISt17integral_constantIbLb0EES12_IbLb1EEEEDaSY_SZ_EUlSY_E_NS1_11comp_targetILNS1_3genE8ELNS1_11target_archE1030ELNS1_3gpuE2ELNS1_3repE0EEENS1_30default_config_static_selectorELNS0_4arch9wavefront6targetE0EEEvT1_.num_vgpr, 45
	.set _ZN7rocprim17ROCPRIM_400000_NS6detail17trampoline_kernelINS0_14default_configENS1_27scan_by_key_config_selectorIj11FixedVectorIiLj8EEEEZZNS1_16scan_by_key_implILNS1_25lookback_scan_determinismE0ELb0ES3_N6thrust23THRUST_200600_302600_NS6detail15normal_iteratorINSB_10device_ptrIjEEEENSD_INSE_IS6_EEEESI_S6_NSB_4plusIvEENSB_8equal_toIvEES6_EE10hipError_tPvRmT2_T3_T4_T5_mT6_T7_P12ihipStream_tbENKUlT_T0_E_clISt17integral_constantIbLb0EES12_IbLb1EEEEDaSY_SZ_EUlSY_E_NS1_11comp_targetILNS1_3genE8ELNS1_11target_archE1030ELNS1_3gpuE2ELNS1_3repE0EEENS1_30default_config_static_selectorELNS0_4arch9wavefront6targetE0EEEvT1_.num_agpr, 0
	.set _ZN7rocprim17ROCPRIM_400000_NS6detail17trampoline_kernelINS0_14default_configENS1_27scan_by_key_config_selectorIj11FixedVectorIiLj8EEEEZZNS1_16scan_by_key_implILNS1_25lookback_scan_determinismE0ELb0ES3_N6thrust23THRUST_200600_302600_NS6detail15normal_iteratorINSB_10device_ptrIjEEEENSD_INSE_IS6_EEEESI_S6_NSB_4plusIvEENSB_8equal_toIvEES6_EE10hipError_tPvRmT2_T3_T4_T5_mT6_T7_P12ihipStream_tbENKUlT_T0_E_clISt17integral_constantIbLb0EES12_IbLb1EEEEDaSY_SZ_EUlSY_E_NS1_11comp_targetILNS1_3genE8ELNS1_11target_archE1030ELNS1_3gpuE2ELNS1_3repE0EEENS1_30default_config_static_selectorELNS0_4arch9wavefront6targetE0EEEvT1_.numbered_sgpr, 47
	.set _ZN7rocprim17ROCPRIM_400000_NS6detail17trampoline_kernelINS0_14default_configENS1_27scan_by_key_config_selectorIj11FixedVectorIiLj8EEEEZZNS1_16scan_by_key_implILNS1_25lookback_scan_determinismE0ELb0ES3_N6thrust23THRUST_200600_302600_NS6detail15normal_iteratorINSB_10device_ptrIjEEEENSD_INSE_IS6_EEEESI_S6_NSB_4plusIvEENSB_8equal_toIvEES6_EE10hipError_tPvRmT2_T3_T4_T5_mT6_T7_P12ihipStream_tbENKUlT_T0_E_clISt17integral_constantIbLb0EES12_IbLb1EEEEDaSY_SZ_EUlSY_E_NS1_11comp_targetILNS1_3genE8ELNS1_11target_archE1030ELNS1_3gpuE2ELNS1_3repE0EEENS1_30default_config_static_selectorELNS0_4arch9wavefront6targetE0EEEvT1_.num_named_barrier, 0
	.set _ZN7rocprim17ROCPRIM_400000_NS6detail17trampoline_kernelINS0_14default_configENS1_27scan_by_key_config_selectorIj11FixedVectorIiLj8EEEEZZNS1_16scan_by_key_implILNS1_25lookback_scan_determinismE0ELb0ES3_N6thrust23THRUST_200600_302600_NS6detail15normal_iteratorINSB_10device_ptrIjEEEENSD_INSE_IS6_EEEESI_S6_NSB_4plusIvEENSB_8equal_toIvEES6_EE10hipError_tPvRmT2_T3_T4_T5_mT6_T7_P12ihipStream_tbENKUlT_T0_E_clISt17integral_constantIbLb0EES12_IbLb1EEEEDaSY_SZ_EUlSY_E_NS1_11comp_targetILNS1_3genE8ELNS1_11target_archE1030ELNS1_3gpuE2ELNS1_3repE0EEENS1_30default_config_static_selectorELNS0_4arch9wavefront6targetE0EEEvT1_.private_seg_size, 432
	.set _ZN7rocprim17ROCPRIM_400000_NS6detail17trampoline_kernelINS0_14default_configENS1_27scan_by_key_config_selectorIj11FixedVectorIiLj8EEEEZZNS1_16scan_by_key_implILNS1_25lookback_scan_determinismE0ELb0ES3_N6thrust23THRUST_200600_302600_NS6detail15normal_iteratorINSB_10device_ptrIjEEEENSD_INSE_IS6_EEEESI_S6_NSB_4plusIvEENSB_8equal_toIvEES6_EE10hipError_tPvRmT2_T3_T4_T5_mT6_T7_P12ihipStream_tbENKUlT_T0_E_clISt17integral_constantIbLb0EES12_IbLb1EEEEDaSY_SZ_EUlSY_E_NS1_11comp_targetILNS1_3genE8ELNS1_11target_archE1030ELNS1_3gpuE2ELNS1_3repE0EEENS1_30default_config_static_selectorELNS0_4arch9wavefront6targetE0EEEvT1_.uses_vcc, 1
	.set _ZN7rocprim17ROCPRIM_400000_NS6detail17trampoline_kernelINS0_14default_configENS1_27scan_by_key_config_selectorIj11FixedVectorIiLj8EEEEZZNS1_16scan_by_key_implILNS1_25lookback_scan_determinismE0ELb0ES3_N6thrust23THRUST_200600_302600_NS6detail15normal_iteratorINSB_10device_ptrIjEEEENSD_INSE_IS6_EEEESI_S6_NSB_4plusIvEENSB_8equal_toIvEES6_EE10hipError_tPvRmT2_T3_T4_T5_mT6_T7_P12ihipStream_tbENKUlT_T0_E_clISt17integral_constantIbLb0EES12_IbLb1EEEEDaSY_SZ_EUlSY_E_NS1_11comp_targetILNS1_3genE8ELNS1_11target_archE1030ELNS1_3gpuE2ELNS1_3repE0EEENS1_30default_config_static_selectorELNS0_4arch9wavefront6targetE0EEEvT1_.uses_flat_scratch, 1
	.set _ZN7rocprim17ROCPRIM_400000_NS6detail17trampoline_kernelINS0_14default_configENS1_27scan_by_key_config_selectorIj11FixedVectorIiLj8EEEEZZNS1_16scan_by_key_implILNS1_25lookback_scan_determinismE0ELb0ES3_N6thrust23THRUST_200600_302600_NS6detail15normal_iteratorINSB_10device_ptrIjEEEENSD_INSE_IS6_EEEESI_S6_NSB_4plusIvEENSB_8equal_toIvEES6_EE10hipError_tPvRmT2_T3_T4_T5_mT6_T7_P12ihipStream_tbENKUlT_T0_E_clISt17integral_constantIbLb0EES12_IbLb1EEEEDaSY_SZ_EUlSY_E_NS1_11comp_targetILNS1_3genE8ELNS1_11target_archE1030ELNS1_3gpuE2ELNS1_3repE0EEENS1_30default_config_static_selectorELNS0_4arch9wavefront6targetE0EEEvT1_.has_dyn_sized_stack, 0
	.set _ZN7rocprim17ROCPRIM_400000_NS6detail17trampoline_kernelINS0_14default_configENS1_27scan_by_key_config_selectorIj11FixedVectorIiLj8EEEEZZNS1_16scan_by_key_implILNS1_25lookback_scan_determinismE0ELb0ES3_N6thrust23THRUST_200600_302600_NS6detail15normal_iteratorINSB_10device_ptrIjEEEENSD_INSE_IS6_EEEESI_S6_NSB_4plusIvEENSB_8equal_toIvEES6_EE10hipError_tPvRmT2_T3_T4_T5_mT6_T7_P12ihipStream_tbENKUlT_T0_E_clISt17integral_constantIbLb0EES12_IbLb1EEEEDaSY_SZ_EUlSY_E_NS1_11comp_targetILNS1_3genE8ELNS1_11target_archE1030ELNS1_3gpuE2ELNS1_3repE0EEENS1_30default_config_static_selectorELNS0_4arch9wavefront6targetE0EEEvT1_.has_recursion, 0
	.set _ZN7rocprim17ROCPRIM_400000_NS6detail17trampoline_kernelINS0_14default_configENS1_27scan_by_key_config_selectorIj11FixedVectorIiLj8EEEEZZNS1_16scan_by_key_implILNS1_25lookback_scan_determinismE0ELb0ES3_N6thrust23THRUST_200600_302600_NS6detail15normal_iteratorINSB_10device_ptrIjEEEENSD_INSE_IS6_EEEESI_S6_NSB_4plusIvEENSB_8equal_toIvEES6_EE10hipError_tPvRmT2_T3_T4_T5_mT6_T7_P12ihipStream_tbENKUlT_T0_E_clISt17integral_constantIbLb0EES12_IbLb1EEEEDaSY_SZ_EUlSY_E_NS1_11comp_targetILNS1_3genE8ELNS1_11target_archE1030ELNS1_3gpuE2ELNS1_3repE0EEENS1_30default_config_static_selectorELNS0_4arch9wavefront6targetE0EEEvT1_.has_indirect_call, 0
	.section	.AMDGPU.csdata,"",@progbits
; Kernel info:
; codeLenInByte = 34140
; TotalNumSgprs: 49
; NumVgprs: 45
; ScratchSize: 432
; MemoryBound: 0
; FloatMode: 240
; IeeeMode: 1
; LDSByteSize: 24576 bytes/workgroup (compile time only)
; SGPRBlocks: 0
; VGPRBlocks: 10
; NumSGPRsForWavesPerEU: 49
; NumVGPRsForWavesPerEU: 81
; Occupancy: 10
; WaveLimiterHint : 1
; COMPUTE_PGM_RSRC2:SCRATCH_EN: 1
; COMPUTE_PGM_RSRC2:USER_SGPR: 6
; COMPUTE_PGM_RSRC2:TRAP_HANDLER: 0
; COMPUTE_PGM_RSRC2:TGID_X_EN: 1
; COMPUTE_PGM_RSRC2:TGID_Y_EN: 0
; COMPUTE_PGM_RSRC2:TGID_Z_EN: 0
; COMPUTE_PGM_RSRC2:TIDIG_COMP_CNT: 0
	.section	.text._ZN7rocprim17ROCPRIM_400000_NS6detail17trampoline_kernelINS0_14default_configENS1_27scan_by_key_config_selectorIj11FixedVectorIiLj8EEEEZZNS1_16scan_by_key_implILNS1_25lookback_scan_determinismE0ELb1ES3_N6thrust23THRUST_200600_302600_NS6detail15normal_iteratorINSB_10device_ptrIjEEEENSD_INSE_IS6_EEEESI_S6_NSB_4plusIvEENSB_8equal_toIvEES6_EE10hipError_tPvRmT2_T3_T4_T5_mT6_T7_P12ihipStream_tbENKUlT_T0_E_clISt17integral_constantIbLb0EES13_EEDaSY_SZ_EUlSY_E_NS1_11comp_targetILNS1_3genE0ELNS1_11target_archE4294967295ELNS1_3gpuE0ELNS1_3repE0EEENS1_30default_config_static_selectorELNS0_4arch9wavefront6targetE0EEEvT1_,"axG",@progbits,_ZN7rocprim17ROCPRIM_400000_NS6detail17trampoline_kernelINS0_14default_configENS1_27scan_by_key_config_selectorIj11FixedVectorIiLj8EEEEZZNS1_16scan_by_key_implILNS1_25lookback_scan_determinismE0ELb1ES3_N6thrust23THRUST_200600_302600_NS6detail15normal_iteratorINSB_10device_ptrIjEEEENSD_INSE_IS6_EEEESI_S6_NSB_4plusIvEENSB_8equal_toIvEES6_EE10hipError_tPvRmT2_T3_T4_T5_mT6_T7_P12ihipStream_tbENKUlT_T0_E_clISt17integral_constantIbLb0EES13_EEDaSY_SZ_EUlSY_E_NS1_11comp_targetILNS1_3genE0ELNS1_11target_archE4294967295ELNS1_3gpuE0ELNS1_3repE0EEENS1_30default_config_static_selectorELNS0_4arch9wavefront6targetE0EEEvT1_,comdat
	.protected	_ZN7rocprim17ROCPRIM_400000_NS6detail17trampoline_kernelINS0_14default_configENS1_27scan_by_key_config_selectorIj11FixedVectorIiLj8EEEEZZNS1_16scan_by_key_implILNS1_25lookback_scan_determinismE0ELb1ES3_N6thrust23THRUST_200600_302600_NS6detail15normal_iteratorINSB_10device_ptrIjEEEENSD_INSE_IS6_EEEESI_S6_NSB_4plusIvEENSB_8equal_toIvEES6_EE10hipError_tPvRmT2_T3_T4_T5_mT6_T7_P12ihipStream_tbENKUlT_T0_E_clISt17integral_constantIbLb0EES13_EEDaSY_SZ_EUlSY_E_NS1_11comp_targetILNS1_3genE0ELNS1_11target_archE4294967295ELNS1_3gpuE0ELNS1_3repE0EEENS1_30default_config_static_selectorELNS0_4arch9wavefront6targetE0EEEvT1_ ; -- Begin function _ZN7rocprim17ROCPRIM_400000_NS6detail17trampoline_kernelINS0_14default_configENS1_27scan_by_key_config_selectorIj11FixedVectorIiLj8EEEEZZNS1_16scan_by_key_implILNS1_25lookback_scan_determinismE0ELb1ES3_N6thrust23THRUST_200600_302600_NS6detail15normal_iteratorINSB_10device_ptrIjEEEENSD_INSE_IS6_EEEESI_S6_NSB_4plusIvEENSB_8equal_toIvEES6_EE10hipError_tPvRmT2_T3_T4_T5_mT6_T7_P12ihipStream_tbENKUlT_T0_E_clISt17integral_constantIbLb0EES13_EEDaSY_SZ_EUlSY_E_NS1_11comp_targetILNS1_3genE0ELNS1_11target_archE4294967295ELNS1_3gpuE0ELNS1_3repE0EEENS1_30default_config_static_selectorELNS0_4arch9wavefront6targetE0EEEvT1_
	.globl	_ZN7rocprim17ROCPRIM_400000_NS6detail17trampoline_kernelINS0_14default_configENS1_27scan_by_key_config_selectorIj11FixedVectorIiLj8EEEEZZNS1_16scan_by_key_implILNS1_25lookback_scan_determinismE0ELb1ES3_N6thrust23THRUST_200600_302600_NS6detail15normal_iteratorINSB_10device_ptrIjEEEENSD_INSE_IS6_EEEESI_S6_NSB_4plusIvEENSB_8equal_toIvEES6_EE10hipError_tPvRmT2_T3_T4_T5_mT6_T7_P12ihipStream_tbENKUlT_T0_E_clISt17integral_constantIbLb0EES13_EEDaSY_SZ_EUlSY_E_NS1_11comp_targetILNS1_3genE0ELNS1_11target_archE4294967295ELNS1_3gpuE0ELNS1_3repE0EEENS1_30default_config_static_selectorELNS0_4arch9wavefront6targetE0EEEvT1_
	.p2align	8
	.type	_ZN7rocprim17ROCPRIM_400000_NS6detail17trampoline_kernelINS0_14default_configENS1_27scan_by_key_config_selectorIj11FixedVectorIiLj8EEEEZZNS1_16scan_by_key_implILNS1_25lookback_scan_determinismE0ELb1ES3_N6thrust23THRUST_200600_302600_NS6detail15normal_iteratorINSB_10device_ptrIjEEEENSD_INSE_IS6_EEEESI_S6_NSB_4plusIvEENSB_8equal_toIvEES6_EE10hipError_tPvRmT2_T3_T4_T5_mT6_T7_P12ihipStream_tbENKUlT_T0_E_clISt17integral_constantIbLb0EES13_EEDaSY_SZ_EUlSY_E_NS1_11comp_targetILNS1_3genE0ELNS1_11target_archE4294967295ELNS1_3gpuE0ELNS1_3repE0EEENS1_30default_config_static_selectorELNS0_4arch9wavefront6targetE0EEEvT1_,@function
_ZN7rocprim17ROCPRIM_400000_NS6detail17trampoline_kernelINS0_14default_configENS1_27scan_by_key_config_selectorIj11FixedVectorIiLj8EEEEZZNS1_16scan_by_key_implILNS1_25lookback_scan_determinismE0ELb1ES3_N6thrust23THRUST_200600_302600_NS6detail15normal_iteratorINSB_10device_ptrIjEEEENSD_INSE_IS6_EEEESI_S6_NSB_4plusIvEENSB_8equal_toIvEES6_EE10hipError_tPvRmT2_T3_T4_T5_mT6_T7_P12ihipStream_tbENKUlT_T0_E_clISt17integral_constantIbLb0EES13_EEDaSY_SZ_EUlSY_E_NS1_11comp_targetILNS1_3genE0ELNS1_11target_archE4294967295ELNS1_3gpuE0ELNS1_3repE0EEENS1_30default_config_static_selectorELNS0_4arch9wavefront6targetE0EEEvT1_: ; @_ZN7rocprim17ROCPRIM_400000_NS6detail17trampoline_kernelINS0_14default_configENS1_27scan_by_key_config_selectorIj11FixedVectorIiLj8EEEEZZNS1_16scan_by_key_implILNS1_25lookback_scan_determinismE0ELb1ES3_N6thrust23THRUST_200600_302600_NS6detail15normal_iteratorINSB_10device_ptrIjEEEENSD_INSE_IS6_EEEESI_S6_NSB_4plusIvEENSB_8equal_toIvEES6_EE10hipError_tPvRmT2_T3_T4_T5_mT6_T7_P12ihipStream_tbENKUlT_T0_E_clISt17integral_constantIbLb0EES13_EEDaSY_SZ_EUlSY_E_NS1_11comp_targetILNS1_3genE0ELNS1_11target_archE4294967295ELNS1_3gpuE0ELNS1_3repE0EEENS1_30default_config_static_selectorELNS0_4arch9wavefront6targetE0EEEvT1_
; %bb.0:
	.section	.rodata,"a",@progbits
	.p2align	6, 0x0
	.amdhsa_kernel _ZN7rocprim17ROCPRIM_400000_NS6detail17trampoline_kernelINS0_14default_configENS1_27scan_by_key_config_selectorIj11FixedVectorIiLj8EEEEZZNS1_16scan_by_key_implILNS1_25lookback_scan_determinismE0ELb1ES3_N6thrust23THRUST_200600_302600_NS6detail15normal_iteratorINSB_10device_ptrIjEEEENSD_INSE_IS6_EEEESI_S6_NSB_4plusIvEENSB_8equal_toIvEES6_EE10hipError_tPvRmT2_T3_T4_T5_mT6_T7_P12ihipStream_tbENKUlT_T0_E_clISt17integral_constantIbLb0EES13_EEDaSY_SZ_EUlSY_E_NS1_11comp_targetILNS1_3genE0ELNS1_11target_archE4294967295ELNS1_3gpuE0ELNS1_3repE0EEENS1_30default_config_static_selectorELNS0_4arch9wavefront6targetE0EEEvT1_
		.amdhsa_group_segment_fixed_size 0
		.amdhsa_private_segment_fixed_size 0
		.amdhsa_kernarg_size 160
		.amdhsa_user_sgpr_count 6
		.amdhsa_user_sgpr_private_segment_buffer 1
		.amdhsa_user_sgpr_dispatch_ptr 0
		.amdhsa_user_sgpr_queue_ptr 0
		.amdhsa_user_sgpr_kernarg_segment_ptr 1
		.amdhsa_user_sgpr_dispatch_id 0
		.amdhsa_user_sgpr_flat_scratch_init 0
		.amdhsa_user_sgpr_private_segment_size 0
		.amdhsa_wavefront_size32 1
		.amdhsa_uses_dynamic_stack 0
		.amdhsa_system_sgpr_private_segment_wavefront_offset 0
		.amdhsa_system_sgpr_workgroup_id_x 1
		.amdhsa_system_sgpr_workgroup_id_y 0
		.amdhsa_system_sgpr_workgroup_id_z 0
		.amdhsa_system_sgpr_workgroup_info 0
		.amdhsa_system_vgpr_workitem_id 0
		.amdhsa_next_free_vgpr 1
		.amdhsa_next_free_sgpr 1
		.amdhsa_reserve_vcc 0
		.amdhsa_reserve_flat_scratch 0
		.amdhsa_float_round_mode_32 0
		.amdhsa_float_round_mode_16_64 0
		.amdhsa_float_denorm_mode_32 3
		.amdhsa_float_denorm_mode_16_64 3
		.amdhsa_dx10_clamp 1
		.amdhsa_ieee_mode 1
		.amdhsa_fp16_overflow 0
		.amdhsa_workgroup_processor_mode 1
		.amdhsa_memory_ordered 1
		.amdhsa_forward_progress 1
		.amdhsa_shared_vgpr_count 0
		.amdhsa_exception_fp_ieee_invalid_op 0
		.amdhsa_exception_fp_denorm_src 0
		.amdhsa_exception_fp_ieee_div_zero 0
		.amdhsa_exception_fp_ieee_overflow 0
		.amdhsa_exception_fp_ieee_underflow 0
		.amdhsa_exception_fp_ieee_inexact 0
		.amdhsa_exception_int_div_zero 0
	.end_amdhsa_kernel
	.section	.text._ZN7rocprim17ROCPRIM_400000_NS6detail17trampoline_kernelINS0_14default_configENS1_27scan_by_key_config_selectorIj11FixedVectorIiLj8EEEEZZNS1_16scan_by_key_implILNS1_25lookback_scan_determinismE0ELb1ES3_N6thrust23THRUST_200600_302600_NS6detail15normal_iteratorINSB_10device_ptrIjEEEENSD_INSE_IS6_EEEESI_S6_NSB_4plusIvEENSB_8equal_toIvEES6_EE10hipError_tPvRmT2_T3_T4_T5_mT6_T7_P12ihipStream_tbENKUlT_T0_E_clISt17integral_constantIbLb0EES13_EEDaSY_SZ_EUlSY_E_NS1_11comp_targetILNS1_3genE0ELNS1_11target_archE4294967295ELNS1_3gpuE0ELNS1_3repE0EEENS1_30default_config_static_selectorELNS0_4arch9wavefront6targetE0EEEvT1_,"axG",@progbits,_ZN7rocprim17ROCPRIM_400000_NS6detail17trampoline_kernelINS0_14default_configENS1_27scan_by_key_config_selectorIj11FixedVectorIiLj8EEEEZZNS1_16scan_by_key_implILNS1_25lookback_scan_determinismE0ELb1ES3_N6thrust23THRUST_200600_302600_NS6detail15normal_iteratorINSB_10device_ptrIjEEEENSD_INSE_IS6_EEEESI_S6_NSB_4plusIvEENSB_8equal_toIvEES6_EE10hipError_tPvRmT2_T3_T4_T5_mT6_T7_P12ihipStream_tbENKUlT_T0_E_clISt17integral_constantIbLb0EES13_EEDaSY_SZ_EUlSY_E_NS1_11comp_targetILNS1_3genE0ELNS1_11target_archE4294967295ELNS1_3gpuE0ELNS1_3repE0EEENS1_30default_config_static_selectorELNS0_4arch9wavefront6targetE0EEEvT1_,comdat
.Lfunc_end2157:
	.size	_ZN7rocprim17ROCPRIM_400000_NS6detail17trampoline_kernelINS0_14default_configENS1_27scan_by_key_config_selectorIj11FixedVectorIiLj8EEEEZZNS1_16scan_by_key_implILNS1_25lookback_scan_determinismE0ELb1ES3_N6thrust23THRUST_200600_302600_NS6detail15normal_iteratorINSB_10device_ptrIjEEEENSD_INSE_IS6_EEEESI_S6_NSB_4plusIvEENSB_8equal_toIvEES6_EE10hipError_tPvRmT2_T3_T4_T5_mT6_T7_P12ihipStream_tbENKUlT_T0_E_clISt17integral_constantIbLb0EES13_EEDaSY_SZ_EUlSY_E_NS1_11comp_targetILNS1_3genE0ELNS1_11target_archE4294967295ELNS1_3gpuE0ELNS1_3repE0EEENS1_30default_config_static_selectorELNS0_4arch9wavefront6targetE0EEEvT1_, .Lfunc_end2157-_ZN7rocprim17ROCPRIM_400000_NS6detail17trampoline_kernelINS0_14default_configENS1_27scan_by_key_config_selectorIj11FixedVectorIiLj8EEEEZZNS1_16scan_by_key_implILNS1_25lookback_scan_determinismE0ELb1ES3_N6thrust23THRUST_200600_302600_NS6detail15normal_iteratorINSB_10device_ptrIjEEEENSD_INSE_IS6_EEEESI_S6_NSB_4plusIvEENSB_8equal_toIvEES6_EE10hipError_tPvRmT2_T3_T4_T5_mT6_T7_P12ihipStream_tbENKUlT_T0_E_clISt17integral_constantIbLb0EES13_EEDaSY_SZ_EUlSY_E_NS1_11comp_targetILNS1_3genE0ELNS1_11target_archE4294967295ELNS1_3gpuE0ELNS1_3repE0EEENS1_30default_config_static_selectorELNS0_4arch9wavefront6targetE0EEEvT1_
                                        ; -- End function
	.set _ZN7rocprim17ROCPRIM_400000_NS6detail17trampoline_kernelINS0_14default_configENS1_27scan_by_key_config_selectorIj11FixedVectorIiLj8EEEEZZNS1_16scan_by_key_implILNS1_25lookback_scan_determinismE0ELb1ES3_N6thrust23THRUST_200600_302600_NS6detail15normal_iteratorINSB_10device_ptrIjEEEENSD_INSE_IS6_EEEESI_S6_NSB_4plusIvEENSB_8equal_toIvEES6_EE10hipError_tPvRmT2_T3_T4_T5_mT6_T7_P12ihipStream_tbENKUlT_T0_E_clISt17integral_constantIbLb0EES13_EEDaSY_SZ_EUlSY_E_NS1_11comp_targetILNS1_3genE0ELNS1_11target_archE4294967295ELNS1_3gpuE0ELNS1_3repE0EEENS1_30default_config_static_selectorELNS0_4arch9wavefront6targetE0EEEvT1_.num_vgpr, 0
	.set _ZN7rocprim17ROCPRIM_400000_NS6detail17trampoline_kernelINS0_14default_configENS1_27scan_by_key_config_selectorIj11FixedVectorIiLj8EEEEZZNS1_16scan_by_key_implILNS1_25lookback_scan_determinismE0ELb1ES3_N6thrust23THRUST_200600_302600_NS6detail15normal_iteratorINSB_10device_ptrIjEEEENSD_INSE_IS6_EEEESI_S6_NSB_4plusIvEENSB_8equal_toIvEES6_EE10hipError_tPvRmT2_T3_T4_T5_mT6_T7_P12ihipStream_tbENKUlT_T0_E_clISt17integral_constantIbLb0EES13_EEDaSY_SZ_EUlSY_E_NS1_11comp_targetILNS1_3genE0ELNS1_11target_archE4294967295ELNS1_3gpuE0ELNS1_3repE0EEENS1_30default_config_static_selectorELNS0_4arch9wavefront6targetE0EEEvT1_.num_agpr, 0
	.set _ZN7rocprim17ROCPRIM_400000_NS6detail17trampoline_kernelINS0_14default_configENS1_27scan_by_key_config_selectorIj11FixedVectorIiLj8EEEEZZNS1_16scan_by_key_implILNS1_25lookback_scan_determinismE0ELb1ES3_N6thrust23THRUST_200600_302600_NS6detail15normal_iteratorINSB_10device_ptrIjEEEENSD_INSE_IS6_EEEESI_S6_NSB_4plusIvEENSB_8equal_toIvEES6_EE10hipError_tPvRmT2_T3_T4_T5_mT6_T7_P12ihipStream_tbENKUlT_T0_E_clISt17integral_constantIbLb0EES13_EEDaSY_SZ_EUlSY_E_NS1_11comp_targetILNS1_3genE0ELNS1_11target_archE4294967295ELNS1_3gpuE0ELNS1_3repE0EEENS1_30default_config_static_selectorELNS0_4arch9wavefront6targetE0EEEvT1_.numbered_sgpr, 0
	.set _ZN7rocprim17ROCPRIM_400000_NS6detail17trampoline_kernelINS0_14default_configENS1_27scan_by_key_config_selectorIj11FixedVectorIiLj8EEEEZZNS1_16scan_by_key_implILNS1_25lookback_scan_determinismE0ELb1ES3_N6thrust23THRUST_200600_302600_NS6detail15normal_iteratorINSB_10device_ptrIjEEEENSD_INSE_IS6_EEEESI_S6_NSB_4plusIvEENSB_8equal_toIvEES6_EE10hipError_tPvRmT2_T3_T4_T5_mT6_T7_P12ihipStream_tbENKUlT_T0_E_clISt17integral_constantIbLb0EES13_EEDaSY_SZ_EUlSY_E_NS1_11comp_targetILNS1_3genE0ELNS1_11target_archE4294967295ELNS1_3gpuE0ELNS1_3repE0EEENS1_30default_config_static_selectorELNS0_4arch9wavefront6targetE0EEEvT1_.num_named_barrier, 0
	.set _ZN7rocprim17ROCPRIM_400000_NS6detail17trampoline_kernelINS0_14default_configENS1_27scan_by_key_config_selectorIj11FixedVectorIiLj8EEEEZZNS1_16scan_by_key_implILNS1_25lookback_scan_determinismE0ELb1ES3_N6thrust23THRUST_200600_302600_NS6detail15normal_iteratorINSB_10device_ptrIjEEEENSD_INSE_IS6_EEEESI_S6_NSB_4plusIvEENSB_8equal_toIvEES6_EE10hipError_tPvRmT2_T3_T4_T5_mT6_T7_P12ihipStream_tbENKUlT_T0_E_clISt17integral_constantIbLb0EES13_EEDaSY_SZ_EUlSY_E_NS1_11comp_targetILNS1_3genE0ELNS1_11target_archE4294967295ELNS1_3gpuE0ELNS1_3repE0EEENS1_30default_config_static_selectorELNS0_4arch9wavefront6targetE0EEEvT1_.private_seg_size, 0
	.set _ZN7rocprim17ROCPRIM_400000_NS6detail17trampoline_kernelINS0_14default_configENS1_27scan_by_key_config_selectorIj11FixedVectorIiLj8EEEEZZNS1_16scan_by_key_implILNS1_25lookback_scan_determinismE0ELb1ES3_N6thrust23THRUST_200600_302600_NS6detail15normal_iteratorINSB_10device_ptrIjEEEENSD_INSE_IS6_EEEESI_S6_NSB_4plusIvEENSB_8equal_toIvEES6_EE10hipError_tPvRmT2_T3_T4_T5_mT6_T7_P12ihipStream_tbENKUlT_T0_E_clISt17integral_constantIbLb0EES13_EEDaSY_SZ_EUlSY_E_NS1_11comp_targetILNS1_3genE0ELNS1_11target_archE4294967295ELNS1_3gpuE0ELNS1_3repE0EEENS1_30default_config_static_selectorELNS0_4arch9wavefront6targetE0EEEvT1_.uses_vcc, 0
	.set _ZN7rocprim17ROCPRIM_400000_NS6detail17trampoline_kernelINS0_14default_configENS1_27scan_by_key_config_selectorIj11FixedVectorIiLj8EEEEZZNS1_16scan_by_key_implILNS1_25lookback_scan_determinismE0ELb1ES3_N6thrust23THRUST_200600_302600_NS6detail15normal_iteratorINSB_10device_ptrIjEEEENSD_INSE_IS6_EEEESI_S6_NSB_4plusIvEENSB_8equal_toIvEES6_EE10hipError_tPvRmT2_T3_T4_T5_mT6_T7_P12ihipStream_tbENKUlT_T0_E_clISt17integral_constantIbLb0EES13_EEDaSY_SZ_EUlSY_E_NS1_11comp_targetILNS1_3genE0ELNS1_11target_archE4294967295ELNS1_3gpuE0ELNS1_3repE0EEENS1_30default_config_static_selectorELNS0_4arch9wavefront6targetE0EEEvT1_.uses_flat_scratch, 0
	.set _ZN7rocprim17ROCPRIM_400000_NS6detail17trampoline_kernelINS0_14default_configENS1_27scan_by_key_config_selectorIj11FixedVectorIiLj8EEEEZZNS1_16scan_by_key_implILNS1_25lookback_scan_determinismE0ELb1ES3_N6thrust23THRUST_200600_302600_NS6detail15normal_iteratorINSB_10device_ptrIjEEEENSD_INSE_IS6_EEEESI_S6_NSB_4plusIvEENSB_8equal_toIvEES6_EE10hipError_tPvRmT2_T3_T4_T5_mT6_T7_P12ihipStream_tbENKUlT_T0_E_clISt17integral_constantIbLb0EES13_EEDaSY_SZ_EUlSY_E_NS1_11comp_targetILNS1_3genE0ELNS1_11target_archE4294967295ELNS1_3gpuE0ELNS1_3repE0EEENS1_30default_config_static_selectorELNS0_4arch9wavefront6targetE0EEEvT1_.has_dyn_sized_stack, 0
	.set _ZN7rocprim17ROCPRIM_400000_NS6detail17trampoline_kernelINS0_14default_configENS1_27scan_by_key_config_selectorIj11FixedVectorIiLj8EEEEZZNS1_16scan_by_key_implILNS1_25lookback_scan_determinismE0ELb1ES3_N6thrust23THRUST_200600_302600_NS6detail15normal_iteratorINSB_10device_ptrIjEEEENSD_INSE_IS6_EEEESI_S6_NSB_4plusIvEENSB_8equal_toIvEES6_EE10hipError_tPvRmT2_T3_T4_T5_mT6_T7_P12ihipStream_tbENKUlT_T0_E_clISt17integral_constantIbLb0EES13_EEDaSY_SZ_EUlSY_E_NS1_11comp_targetILNS1_3genE0ELNS1_11target_archE4294967295ELNS1_3gpuE0ELNS1_3repE0EEENS1_30default_config_static_selectorELNS0_4arch9wavefront6targetE0EEEvT1_.has_recursion, 0
	.set _ZN7rocprim17ROCPRIM_400000_NS6detail17trampoline_kernelINS0_14default_configENS1_27scan_by_key_config_selectorIj11FixedVectorIiLj8EEEEZZNS1_16scan_by_key_implILNS1_25lookback_scan_determinismE0ELb1ES3_N6thrust23THRUST_200600_302600_NS6detail15normal_iteratorINSB_10device_ptrIjEEEENSD_INSE_IS6_EEEESI_S6_NSB_4plusIvEENSB_8equal_toIvEES6_EE10hipError_tPvRmT2_T3_T4_T5_mT6_T7_P12ihipStream_tbENKUlT_T0_E_clISt17integral_constantIbLb0EES13_EEDaSY_SZ_EUlSY_E_NS1_11comp_targetILNS1_3genE0ELNS1_11target_archE4294967295ELNS1_3gpuE0ELNS1_3repE0EEENS1_30default_config_static_selectorELNS0_4arch9wavefront6targetE0EEEvT1_.has_indirect_call, 0
	.section	.AMDGPU.csdata,"",@progbits
; Kernel info:
; codeLenInByte = 0
; TotalNumSgprs: 0
; NumVgprs: 0
; ScratchSize: 0
; MemoryBound: 0
; FloatMode: 240
; IeeeMode: 1
; LDSByteSize: 0 bytes/workgroup (compile time only)
; SGPRBlocks: 0
; VGPRBlocks: 0
; NumSGPRsForWavesPerEU: 1
; NumVGPRsForWavesPerEU: 1
; Occupancy: 16
; WaveLimiterHint : 0
; COMPUTE_PGM_RSRC2:SCRATCH_EN: 0
; COMPUTE_PGM_RSRC2:USER_SGPR: 6
; COMPUTE_PGM_RSRC2:TRAP_HANDLER: 0
; COMPUTE_PGM_RSRC2:TGID_X_EN: 1
; COMPUTE_PGM_RSRC2:TGID_Y_EN: 0
; COMPUTE_PGM_RSRC2:TGID_Z_EN: 0
; COMPUTE_PGM_RSRC2:TIDIG_COMP_CNT: 0
	.section	.text._ZN7rocprim17ROCPRIM_400000_NS6detail17trampoline_kernelINS0_14default_configENS1_27scan_by_key_config_selectorIj11FixedVectorIiLj8EEEEZZNS1_16scan_by_key_implILNS1_25lookback_scan_determinismE0ELb1ES3_N6thrust23THRUST_200600_302600_NS6detail15normal_iteratorINSB_10device_ptrIjEEEENSD_INSE_IS6_EEEESI_S6_NSB_4plusIvEENSB_8equal_toIvEES6_EE10hipError_tPvRmT2_T3_T4_T5_mT6_T7_P12ihipStream_tbENKUlT_T0_E_clISt17integral_constantIbLb0EES13_EEDaSY_SZ_EUlSY_E_NS1_11comp_targetILNS1_3genE10ELNS1_11target_archE1201ELNS1_3gpuE5ELNS1_3repE0EEENS1_30default_config_static_selectorELNS0_4arch9wavefront6targetE0EEEvT1_,"axG",@progbits,_ZN7rocprim17ROCPRIM_400000_NS6detail17trampoline_kernelINS0_14default_configENS1_27scan_by_key_config_selectorIj11FixedVectorIiLj8EEEEZZNS1_16scan_by_key_implILNS1_25lookback_scan_determinismE0ELb1ES3_N6thrust23THRUST_200600_302600_NS6detail15normal_iteratorINSB_10device_ptrIjEEEENSD_INSE_IS6_EEEESI_S6_NSB_4plusIvEENSB_8equal_toIvEES6_EE10hipError_tPvRmT2_T3_T4_T5_mT6_T7_P12ihipStream_tbENKUlT_T0_E_clISt17integral_constantIbLb0EES13_EEDaSY_SZ_EUlSY_E_NS1_11comp_targetILNS1_3genE10ELNS1_11target_archE1201ELNS1_3gpuE5ELNS1_3repE0EEENS1_30default_config_static_selectorELNS0_4arch9wavefront6targetE0EEEvT1_,comdat
	.protected	_ZN7rocprim17ROCPRIM_400000_NS6detail17trampoline_kernelINS0_14default_configENS1_27scan_by_key_config_selectorIj11FixedVectorIiLj8EEEEZZNS1_16scan_by_key_implILNS1_25lookback_scan_determinismE0ELb1ES3_N6thrust23THRUST_200600_302600_NS6detail15normal_iteratorINSB_10device_ptrIjEEEENSD_INSE_IS6_EEEESI_S6_NSB_4plusIvEENSB_8equal_toIvEES6_EE10hipError_tPvRmT2_T3_T4_T5_mT6_T7_P12ihipStream_tbENKUlT_T0_E_clISt17integral_constantIbLb0EES13_EEDaSY_SZ_EUlSY_E_NS1_11comp_targetILNS1_3genE10ELNS1_11target_archE1201ELNS1_3gpuE5ELNS1_3repE0EEENS1_30default_config_static_selectorELNS0_4arch9wavefront6targetE0EEEvT1_ ; -- Begin function _ZN7rocprim17ROCPRIM_400000_NS6detail17trampoline_kernelINS0_14default_configENS1_27scan_by_key_config_selectorIj11FixedVectorIiLj8EEEEZZNS1_16scan_by_key_implILNS1_25lookback_scan_determinismE0ELb1ES3_N6thrust23THRUST_200600_302600_NS6detail15normal_iteratorINSB_10device_ptrIjEEEENSD_INSE_IS6_EEEESI_S6_NSB_4plusIvEENSB_8equal_toIvEES6_EE10hipError_tPvRmT2_T3_T4_T5_mT6_T7_P12ihipStream_tbENKUlT_T0_E_clISt17integral_constantIbLb0EES13_EEDaSY_SZ_EUlSY_E_NS1_11comp_targetILNS1_3genE10ELNS1_11target_archE1201ELNS1_3gpuE5ELNS1_3repE0EEENS1_30default_config_static_selectorELNS0_4arch9wavefront6targetE0EEEvT1_
	.globl	_ZN7rocprim17ROCPRIM_400000_NS6detail17trampoline_kernelINS0_14default_configENS1_27scan_by_key_config_selectorIj11FixedVectorIiLj8EEEEZZNS1_16scan_by_key_implILNS1_25lookback_scan_determinismE0ELb1ES3_N6thrust23THRUST_200600_302600_NS6detail15normal_iteratorINSB_10device_ptrIjEEEENSD_INSE_IS6_EEEESI_S6_NSB_4plusIvEENSB_8equal_toIvEES6_EE10hipError_tPvRmT2_T3_T4_T5_mT6_T7_P12ihipStream_tbENKUlT_T0_E_clISt17integral_constantIbLb0EES13_EEDaSY_SZ_EUlSY_E_NS1_11comp_targetILNS1_3genE10ELNS1_11target_archE1201ELNS1_3gpuE5ELNS1_3repE0EEENS1_30default_config_static_selectorELNS0_4arch9wavefront6targetE0EEEvT1_
	.p2align	8
	.type	_ZN7rocprim17ROCPRIM_400000_NS6detail17trampoline_kernelINS0_14default_configENS1_27scan_by_key_config_selectorIj11FixedVectorIiLj8EEEEZZNS1_16scan_by_key_implILNS1_25lookback_scan_determinismE0ELb1ES3_N6thrust23THRUST_200600_302600_NS6detail15normal_iteratorINSB_10device_ptrIjEEEENSD_INSE_IS6_EEEESI_S6_NSB_4plusIvEENSB_8equal_toIvEES6_EE10hipError_tPvRmT2_T3_T4_T5_mT6_T7_P12ihipStream_tbENKUlT_T0_E_clISt17integral_constantIbLb0EES13_EEDaSY_SZ_EUlSY_E_NS1_11comp_targetILNS1_3genE10ELNS1_11target_archE1201ELNS1_3gpuE5ELNS1_3repE0EEENS1_30default_config_static_selectorELNS0_4arch9wavefront6targetE0EEEvT1_,@function
_ZN7rocprim17ROCPRIM_400000_NS6detail17trampoline_kernelINS0_14default_configENS1_27scan_by_key_config_selectorIj11FixedVectorIiLj8EEEEZZNS1_16scan_by_key_implILNS1_25lookback_scan_determinismE0ELb1ES3_N6thrust23THRUST_200600_302600_NS6detail15normal_iteratorINSB_10device_ptrIjEEEENSD_INSE_IS6_EEEESI_S6_NSB_4plusIvEENSB_8equal_toIvEES6_EE10hipError_tPvRmT2_T3_T4_T5_mT6_T7_P12ihipStream_tbENKUlT_T0_E_clISt17integral_constantIbLb0EES13_EEDaSY_SZ_EUlSY_E_NS1_11comp_targetILNS1_3genE10ELNS1_11target_archE1201ELNS1_3gpuE5ELNS1_3repE0EEENS1_30default_config_static_selectorELNS0_4arch9wavefront6targetE0EEEvT1_: ; @_ZN7rocprim17ROCPRIM_400000_NS6detail17trampoline_kernelINS0_14default_configENS1_27scan_by_key_config_selectorIj11FixedVectorIiLj8EEEEZZNS1_16scan_by_key_implILNS1_25lookback_scan_determinismE0ELb1ES3_N6thrust23THRUST_200600_302600_NS6detail15normal_iteratorINSB_10device_ptrIjEEEENSD_INSE_IS6_EEEESI_S6_NSB_4plusIvEENSB_8equal_toIvEES6_EE10hipError_tPvRmT2_T3_T4_T5_mT6_T7_P12ihipStream_tbENKUlT_T0_E_clISt17integral_constantIbLb0EES13_EEDaSY_SZ_EUlSY_E_NS1_11comp_targetILNS1_3genE10ELNS1_11target_archE1201ELNS1_3gpuE5ELNS1_3repE0EEENS1_30default_config_static_selectorELNS0_4arch9wavefront6targetE0EEEvT1_
; %bb.0:
	.section	.rodata,"a",@progbits
	.p2align	6, 0x0
	.amdhsa_kernel _ZN7rocprim17ROCPRIM_400000_NS6detail17trampoline_kernelINS0_14default_configENS1_27scan_by_key_config_selectorIj11FixedVectorIiLj8EEEEZZNS1_16scan_by_key_implILNS1_25lookback_scan_determinismE0ELb1ES3_N6thrust23THRUST_200600_302600_NS6detail15normal_iteratorINSB_10device_ptrIjEEEENSD_INSE_IS6_EEEESI_S6_NSB_4plusIvEENSB_8equal_toIvEES6_EE10hipError_tPvRmT2_T3_T4_T5_mT6_T7_P12ihipStream_tbENKUlT_T0_E_clISt17integral_constantIbLb0EES13_EEDaSY_SZ_EUlSY_E_NS1_11comp_targetILNS1_3genE10ELNS1_11target_archE1201ELNS1_3gpuE5ELNS1_3repE0EEENS1_30default_config_static_selectorELNS0_4arch9wavefront6targetE0EEEvT1_
		.amdhsa_group_segment_fixed_size 0
		.amdhsa_private_segment_fixed_size 0
		.amdhsa_kernarg_size 160
		.amdhsa_user_sgpr_count 6
		.amdhsa_user_sgpr_private_segment_buffer 1
		.amdhsa_user_sgpr_dispatch_ptr 0
		.amdhsa_user_sgpr_queue_ptr 0
		.amdhsa_user_sgpr_kernarg_segment_ptr 1
		.amdhsa_user_sgpr_dispatch_id 0
		.amdhsa_user_sgpr_flat_scratch_init 0
		.amdhsa_user_sgpr_private_segment_size 0
		.amdhsa_wavefront_size32 1
		.amdhsa_uses_dynamic_stack 0
		.amdhsa_system_sgpr_private_segment_wavefront_offset 0
		.amdhsa_system_sgpr_workgroup_id_x 1
		.amdhsa_system_sgpr_workgroup_id_y 0
		.amdhsa_system_sgpr_workgroup_id_z 0
		.amdhsa_system_sgpr_workgroup_info 0
		.amdhsa_system_vgpr_workitem_id 0
		.amdhsa_next_free_vgpr 1
		.amdhsa_next_free_sgpr 1
		.amdhsa_reserve_vcc 0
		.amdhsa_reserve_flat_scratch 0
		.amdhsa_float_round_mode_32 0
		.amdhsa_float_round_mode_16_64 0
		.amdhsa_float_denorm_mode_32 3
		.amdhsa_float_denorm_mode_16_64 3
		.amdhsa_dx10_clamp 1
		.amdhsa_ieee_mode 1
		.amdhsa_fp16_overflow 0
		.amdhsa_workgroup_processor_mode 1
		.amdhsa_memory_ordered 1
		.amdhsa_forward_progress 1
		.amdhsa_shared_vgpr_count 0
		.amdhsa_exception_fp_ieee_invalid_op 0
		.amdhsa_exception_fp_denorm_src 0
		.amdhsa_exception_fp_ieee_div_zero 0
		.amdhsa_exception_fp_ieee_overflow 0
		.amdhsa_exception_fp_ieee_underflow 0
		.amdhsa_exception_fp_ieee_inexact 0
		.amdhsa_exception_int_div_zero 0
	.end_amdhsa_kernel
	.section	.text._ZN7rocprim17ROCPRIM_400000_NS6detail17trampoline_kernelINS0_14default_configENS1_27scan_by_key_config_selectorIj11FixedVectorIiLj8EEEEZZNS1_16scan_by_key_implILNS1_25lookback_scan_determinismE0ELb1ES3_N6thrust23THRUST_200600_302600_NS6detail15normal_iteratorINSB_10device_ptrIjEEEENSD_INSE_IS6_EEEESI_S6_NSB_4plusIvEENSB_8equal_toIvEES6_EE10hipError_tPvRmT2_T3_T4_T5_mT6_T7_P12ihipStream_tbENKUlT_T0_E_clISt17integral_constantIbLb0EES13_EEDaSY_SZ_EUlSY_E_NS1_11comp_targetILNS1_3genE10ELNS1_11target_archE1201ELNS1_3gpuE5ELNS1_3repE0EEENS1_30default_config_static_selectorELNS0_4arch9wavefront6targetE0EEEvT1_,"axG",@progbits,_ZN7rocprim17ROCPRIM_400000_NS6detail17trampoline_kernelINS0_14default_configENS1_27scan_by_key_config_selectorIj11FixedVectorIiLj8EEEEZZNS1_16scan_by_key_implILNS1_25lookback_scan_determinismE0ELb1ES3_N6thrust23THRUST_200600_302600_NS6detail15normal_iteratorINSB_10device_ptrIjEEEENSD_INSE_IS6_EEEESI_S6_NSB_4plusIvEENSB_8equal_toIvEES6_EE10hipError_tPvRmT2_T3_T4_T5_mT6_T7_P12ihipStream_tbENKUlT_T0_E_clISt17integral_constantIbLb0EES13_EEDaSY_SZ_EUlSY_E_NS1_11comp_targetILNS1_3genE10ELNS1_11target_archE1201ELNS1_3gpuE5ELNS1_3repE0EEENS1_30default_config_static_selectorELNS0_4arch9wavefront6targetE0EEEvT1_,comdat
.Lfunc_end2158:
	.size	_ZN7rocprim17ROCPRIM_400000_NS6detail17trampoline_kernelINS0_14default_configENS1_27scan_by_key_config_selectorIj11FixedVectorIiLj8EEEEZZNS1_16scan_by_key_implILNS1_25lookback_scan_determinismE0ELb1ES3_N6thrust23THRUST_200600_302600_NS6detail15normal_iteratorINSB_10device_ptrIjEEEENSD_INSE_IS6_EEEESI_S6_NSB_4plusIvEENSB_8equal_toIvEES6_EE10hipError_tPvRmT2_T3_T4_T5_mT6_T7_P12ihipStream_tbENKUlT_T0_E_clISt17integral_constantIbLb0EES13_EEDaSY_SZ_EUlSY_E_NS1_11comp_targetILNS1_3genE10ELNS1_11target_archE1201ELNS1_3gpuE5ELNS1_3repE0EEENS1_30default_config_static_selectorELNS0_4arch9wavefront6targetE0EEEvT1_, .Lfunc_end2158-_ZN7rocprim17ROCPRIM_400000_NS6detail17trampoline_kernelINS0_14default_configENS1_27scan_by_key_config_selectorIj11FixedVectorIiLj8EEEEZZNS1_16scan_by_key_implILNS1_25lookback_scan_determinismE0ELb1ES3_N6thrust23THRUST_200600_302600_NS6detail15normal_iteratorINSB_10device_ptrIjEEEENSD_INSE_IS6_EEEESI_S6_NSB_4plusIvEENSB_8equal_toIvEES6_EE10hipError_tPvRmT2_T3_T4_T5_mT6_T7_P12ihipStream_tbENKUlT_T0_E_clISt17integral_constantIbLb0EES13_EEDaSY_SZ_EUlSY_E_NS1_11comp_targetILNS1_3genE10ELNS1_11target_archE1201ELNS1_3gpuE5ELNS1_3repE0EEENS1_30default_config_static_selectorELNS0_4arch9wavefront6targetE0EEEvT1_
                                        ; -- End function
	.set _ZN7rocprim17ROCPRIM_400000_NS6detail17trampoline_kernelINS0_14default_configENS1_27scan_by_key_config_selectorIj11FixedVectorIiLj8EEEEZZNS1_16scan_by_key_implILNS1_25lookback_scan_determinismE0ELb1ES3_N6thrust23THRUST_200600_302600_NS6detail15normal_iteratorINSB_10device_ptrIjEEEENSD_INSE_IS6_EEEESI_S6_NSB_4plusIvEENSB_8equal_toIvEES6_EE10hipError_tPvRmT2_T3_T4_T5_mT6_T7_P12ihipStream_tbENKUlT_T0_E_clISt17integral_constantIbLb0EES13_EEDaSY_SZ_EUlSY_E_NS1_11comp_targetILNS1_3genE10ELNS1_11target_archE1201ELNS1_3gpuE5ELNS1_3repE0EEENS1_30default_config_static_selectorELNS0_4arch9wavefront6targetE0EEEvT1_.num_vgpr, 0
	.set _ZN7rocprim17ROCPRIM_400000_NS6detail17trampoline_kernelINS0_14default_configENS1_27scan_by_key_config_selectorIj11FixedVectorIiLj8EEEEZZNS1_16scan_by_key_implILNS1_25lookback_scan_determinismE0ELb1ES3_N6thrust23THRUST_200600_302600_NS6detail15normal_iteratorINSB_10device_ptrIjEEEENSD_INSE_IS6_EEEESI_S6_NSB_4plusIvEENSB_8equal_toIvEES6_EE10hipError_tPvRmT2_T3_T4_T5_mT6_T7_P12ihipStream_tbENKUlT_T0_E_clISt17integral_constantIbLb0EES13_EEDaSY_SZ_EUlSY_E_NS1_11comp_targetILNS1_3genE10ELNS1_11target_archE1201ELNS1_3gpuE5ELNS1_3repE0EEENS1_30default_config_static_selectorELNS0_4arch9wavefront6targetE0EEEvT1_.num_agpr, 0
	.set _ZN7rocprim17ROCPRIM_400000_NS6detail17trampoline_kernelINS0_14default_configENS1_27scan_by_key_config_selectorIj11FixedVectorIiLj8EEEEZZNS1_16scan_by_key_implILNS1_25lookback_scan_determinismE0ELb1ES3_N6thrust23THRUST_200600_302600_NS6detail15normal_iteratorINSB_10device_ptrIjEEEENSD_INSE_IS6_EEEESI_S6_NSB_4plusIvEENSB_8equal_toIvEES6_EE10hipError_tPvRmT2_T3_T4_T5_mT6_T7_P12ihipStream_tbENKUlT_T0_E_clISt17integral_constantIbLb0EES13_EEDaSY_SZ_EUlSY_E_NS1_11comp_targetILNS1_3genE10ELNS1_11target_archE1201ELNS1_3gpuE5ELNS1_3repE0EEENS1_30default_config_static_selectorELNS0_4arch9wavefront6targetE0EEEvT1_.numbered_sgpr, 0
	.set _ZN7rocprim17ROCPRIM_400000_NS6detail17trampoline_kernelINS0_14default_configENS1_27scan_by_key_config_selectorIj11FixedVectorIiLj8EEEEZZNS1_16scan_by_key_implILNS1_25lookback_scan_determinismE0ELb1ES3_N6thrust23THRUST_200600_302600_NS6detail15normal_iteratorINSB_10device_ptrIjEEEENSD_INSE_IS6_EEEESI_S6_NSB_4plusIvEENSB_8equal_toIvEES6_EE10hipError_tPvRmT2_T3_T4_T5_mT6_T7_P12ihipStream_tbENKUlT_T0_E_clISt17integral_constantIbLb0EES13_EEDaSY_SZ_EUlSY_E_NS1_11comp_targetILNS1_3genE10ELNS1_11target_archE1201ELNS1_3gpuE5ELNS1_3repE0EEENS1_30default_config_static_selectorELNS0_4arch9wavefront6targetE0EEEvT1_.num_named_barrier, 0
	.set _ZN7rocprim17ROCPRIM_400000_NS6detail17trampoline_kernelINS0_14default_configENS1_27scan_by_key_config_selectorIj11FixedVectorIiLj8EEEEZZNS1_16scan_by_key_implILNS1_25lookback_scan_determinismE0ELb1ES3_N6thrust23THRUST_200600_302600_NS6detail15normal_iteratorINSB_10device_ptrIjEEEENSD_INSE_IS6_EEEESI_S6_NSB_4plusIvEENSB_8equal_toIvEES6_EE10hipError_tPvRmT2_T3_T4_T5_mT6_T7_P12ihipStream_tbENKUlT_T0_E_clISt17integral_constantIbLb0EES13_EEDaSY_SZ_EUlSY_E_NS1_11comp_targetILNS1_3genE10ELNS1_11target_archE1201ELNS1_3gpuE5ELNS1_3repE0EEENS1_30default_config_static_selectorELNS0_4arch9wavefront6targetE0EEEvT1_.private_seg_size, 0
	.set _ZN7rocprim17ROCPRIM_400000_NS6detail17trampoline_kernelINS0_14default_configENS1_27scan_by_key_config_selectorIj11FixedVectorIiLj8EEEEZZNS1_16scan_by_key_implILNS1_25lookback_scan_determinismE0ELb1ES3_N6thrust23THRUST_200600_302600_NS6detail15normal_iteratorINSB_10device_ptrIjEEEENSD_INSE_IS6_EEEESI_S6_NSB_4plusIvEENSB_8equal_toIvEES6_EE10hipError_tPvRmT2_T3_T4_T5_mT6_T7_P12ihipStream_tbENKUlT_T0_E_clISt17integral_constantIbLb0EES13_EEDaSY_SZ_EUlSY_E_NS1_11comp_targetILNS1_3genE10ELNS1_11target_archE1201ELNS1_3gpuE5ELNS1_3repE0EEENS1_30default_config_static_selectorELNS0_4arch9wavefront6targetE0EEEvT1_.uses_vcc, 0
	.set _ZN7rocprim17ROCPRIM_400000_NS6detail17trampoline_kernelINS0_14default_configENS1_27scan_by_key_config_selectorIj11FixedVectorIiLj8EEEEZZNS1_16scan_by_key_implILNS1_25lookback_scan_determinismE0ELb1ES3_N6thrust23THRUST_200600_302600_NS6detail15normal_iteratorINSB_10device_ptrIjEEEENSD_INSE_IS6_EEEESI_S6_NSB_4plusIvEENSB_8equal_toIvEES6_EE10hipError_tPvRmT2_T3_T4_T5_mT6_T7_P12ihipStream_tbENKUlT_T0_E_clISt17integral_constantIbLb0EES13_EEDaSY_SZ_EUlSY_E_NS1_11comp_targetILNS1_3genE10ELNS1_11target_archE1201ELNS1_3gpuE5ELNS1_3repE0EEENS1_30default_config_static_selectorELNS0_4arch9wavefront6targetE0EEEvT1_.uses_flat_scratch, 0
	.set _ZN7rocprim17ROCPRIM_400000_NS6detail17trampoline_kernelINS0_14default_configENS1_27scan_by_key_config_selectorIj11FixedVectorIiLj8EEEEZZNS1_16scan_by_key_implILNS1_25lookback_scan_determinismE0ELb1ES3_N6thrust23THRUST_200600_302600_NS6detail15normal_iteratorINSB_10device_ptrIjEEEENSD_INSE_IS6_EEEESI_S6_NSB_4plusIvEENSB_8equal_toIvEES6_EE10hipError_tPvRmT2_T3_T4_T5_mT6_T7_P12ihipStream_tbENKUlT_T0_E_clISt17integral_constantIbLb0EES13_EEDaSY_SZ_EUlSY_E_NS1_11comp_targetILNS1_3genE10ELNS1_11target_archE1201ELNS1_3gpuE5ELNS1_3repE0EEENS1_30default_config_static_selectorELNS0_4arch9wavefront6targetE0EEEvT1_.has_dyn_sized_stack, 0
	.set _ZN7rocprim17ROCPRIM_400000_NS6detail17trampoline_kernelINS0_14default_configENS1_27scan_by_key_config_selectorIj11FixedVectorIiLj8EEEEZZNS1_16scan_by_key_implILNS1_25lookback_scan_determinismE0ELb1ES3_N6thrust23THRUST_200600_302600_NS6detail15normal_iteratorINSB_10device_ptrIjEEEENSD_INSE_IS6_EEEESI_S6_NSB_4plusIvEENSB_8equal_toIvEES6_EE10hipError_tPvRmT2_T3_T4_T5_mT6_T7_P12ihipStream_tbENKUlT_T0_E_clISt17integral_constantIbLb0EES13_EEDaSY_SZ_EUlSY_E_NS1_11comp_targetILNS1_3genE10ELNS1_11target_archE1201ELNS1_3gpuE5ELNS1_3repE0EEENS1_30default_config_static_selectorELNS0_4arch9wavefront6targetE0EEEvT1_.has_recursion, 0
	.set _ZN7rocprim17ROCPRIM_400000_NS6detail17trampoline_kernelINS0_14default_configENS1_27scan_by_key_config_selectorIj11FixedVectorIiLj8EEEEZZNS1_16scan_by_key_implILNS1_25lookback_scan_determinismE0ELb1ES3_N6thrust23THRUST_200600_302600_NS6detail15normal_iteratorINSB_10device_ptrIjEEEENSD_INSE_IS6_EEEESI_S6_NSB_4plusIvEENSB_8equal_toIvEES6_EE10hipError_tPvRmT2_T3_T4_T5_mT6_T7_P12ihipStream_tbENKUlT_T0_E_clISt17integral_constantIbLb0EES13_EEDaSY_SZ_EUlSY_E_NS1_11comp_targetILNS1_3genE10ELNS1_11target_archE1201ELNS1_3gpuE5ELNS1_3repE0EEENS1_30default_config_static_selectorELNS0_4arch9wavefront6targetE0EEEvT1_.has_indirect_call, 0
	.section	.AMDGPU.csdata,"",@progbits
; Kernel info:
; codeLenInByte = 0
; TotalNumSgprs: 0
; NumVgprs: 0
; ScratchSize: 0
; MemoryBound: 0
; FloatMode: 240
; IeeeMode: 1
; LDSByteSize: 0 bytes/workgroup (compile time only)
; SGPRBlocks: 0
; VGPRBlocks: 0
; NumSGPRsForWavesPerEU: 1
; NumVGPRsForWavesPerEU: 1
; Occupancy: 16
; WaveLimiterHint : 0
; COMPUTE_PGM_RSRC2:SCRATCH_EN: 0
; COMPUTE_PGM_RSRC2:USER_SGPR: 6
; COMPUTE_PGM_RSRC2:TRAP_HANDLER: 0
; COMPUTE_PGM_RSRC2:TGID_X_EN: 1
; COMPUTE_PGM_RSRC2:TGID_Y_EN: 0
; COMPUTE_PGM_RSRC2:TGID_Z_EN: 0
; COMPUTE_PGM_RSRC2:TIDIG_COMP_CNT: 0
	.section	.text._ZN7rocprim17ROCPRIM_400000_NS6detail17trampoline_kernelINS0_14default_configENS1_27scan_by_key_config_selectorIj11FixedVectorIiLj8EEEEZZNS1_16scan_by_key_implILNS1_25lookback_scan_determinismE0ELb1ES3_N6thrust23THRUST_200600_302600_NS6detail15normal_iteratorINSB_10device_ptrIjEEEENSD_INSE_IS6_EEEESI_S6_NSB_4plusIvEENSB_8equal_toIvEES6_EE10hipError_tPvRmT2_T3_T4_T5_mT6_T7_P12ihipStream_tbENKUlT_T0_E_clISt17integral_constantIbLb0EES13_EEDaSY_SZ_EUlSY_E_NS1_11comp_targetILNS1_3genE5ELNS1_11target_archE942ELNS1_3gpuE9ELNS1_3repE0EEENS1_30default_config_static_selectorELNS0_4arch9wavefront6targetE0EEEvT1_,"axG",@progbits,_ZN7rocprim17ROCPRIM_400000_NS6detail17trampoline_kernelINS0_14default_configENS1_27scan_by_key_config_selectorIj11FixedVectorIiLj8EEEEZZNS1_16scan_by_key_implILNS1_25lookback_scan_determinismE0ELb1ES3_N6thrust23THRUST_200600_302600_NS6detail15normal_iteratorINSB_10device_ptrIjEEEENSD_INSE_IS6_EEEESI_S6_NSB_4plusIvEENSB_8equal_toIvEES6_EE10hipError_tPvRmT2_T3_T4_T5_mT6_T7_P12ihipStream_tbENKUlT_T0_E_clISt17integral_constantIbLb0EES13_EEDaSY_SZ_EUlSY_E_NS1_11comp_targetILNS1_3genE5ELNS1_11target_archE942ELNS1_3gpuE9ELNS1_3repE0EEENS1_30default_config_static_selectorELNS0_4arch9wavefront6targetE0EEEvT1_,comdat
	.protected	_ZN7rocprim17ROCPRIM_400000_NS6detail17trampoline_kernelINS0_14default_configENS1_27scan_by_key_config_selectorIj11FixedVectorIiLj8EEEEZZNS1_16scan_by_key_implILNS1_25lookback_scan_determinismE0ELb1ES3_N6thrust23THRUST_200600_302600_NS6detail15normal_iteratorINSB_10device_ptrIjEEEENSD_INSE_IS6_EEEESI_S6_NSB_4plusIvEENSB_8equal_toIvEES6_EE10hipError_tPvRmT2_T3_T4_T5_mT6_T7_P12ihipStream_tbENKUlT_T0_E_clISt17integral_constantIbLb0EES13_EEDaSY_SZ_EUlSY_E_NS1_11comp_targetILNS1_3genE5ELNS1_11target_archE942ELNS1_3gpuE9ELNS1_3repE0EEENS1_30default_config_static_selectorELNS0_4arch9wavefront6targetE0EEEvT1_ ; -- Begin function _ZN7rocprim17ROCPRIM_400000_NS6detail17trampoline_kernelINS0_14default_configENS1_27scan_by_key_config_selectorIj11FixedVectorIiLj8EEEEZZNS1_16scan_by_key_implILNS1_25lookback_scan_determinismE0ELb1ES3_N6thrust23THRUST_200600_302600_NS6detail15normal_iteratorINSB_10device_ptrIjEEEENSD_INSE_IS6_EEEESI_S6_NSB_4plusIvEENSB_8equal_toIvEES6_EE10hipError_tPvRmT2_T3_T4_T5_mT6_T7_P12ihipStream_tbENKUlT_T0_E_clISt17integral_constantIbLb0EES13_EEDaSY_SZ_EUlSY_E_NS1_11comp_targetILNS1_3genE5ELNS1_11target_archE942ELNS1_3gpuE9ELNS1_3repE0EEENS1_30default_config_static_selectorELNS0_4arch9wavefront6targetE0EEEvT1_
	.globl	_ZN7rocprim17ROCPRIM_400000_NS6detail17trampoline_kernelINS0_14default_configENS1_27scan_by_key_config_selectorIj11FixedVectorIiLj8EEEEZZNS1_16scan_by_key_implILNS1_25lookback_scan_determinismE0ELb1ES3_N6thrust23THRUST_200600_302600_NS6detail15normal_iteratorINSB_10device_ptrIjEEEENSD_INSE_IS6_EEEESI_S6_NSB_4plusIvEENSB_8equal_toIvEES6_EE10hipError_tPvRmT2_T3_T4_T5_mT6_T7_P12ihipStream_tbENKUlT_T0_E_clISt17integral_constantIbLb0EES13_EEDaSY_SZ_EUlSY_E_NS1_11comp_targetILNS1_3genE5ELNS1_11target_archE942ELNS1_3gpuE9ELNS1_3repE0EEENS1_30default_config_static_selectorELNS0_4arch9wavefront6targetE0EEEvT1_
	.p2align	8
	.type	_ZN7rocprim17ROCPRIM_400000_NS6detail17trampoline_kernelINS0_14default_configENS1_27scan_by_key_config_selectorIj11FixedVectorIiLj8EEEEZZNS1_16scan_by_key_implILNS1_25lookback_scan_determinismE0ELb1ES3_N6thrust23THRUST_200600_302600_NS6detail15normal_iteratorINSB_10device_ptrIjEEEENSD_INSE_IS6_EEEESI_S6_NSB_4plusIvEENSB_8equal_toIvEES6_EE10hipError_tPvRmT2_T3_T4_T5_mT6_T7_P12ihipStream_tbENKUlT_T0_E_clISt17integral_constantIbLb0EES13_EEDaSY_SZ_EUlSY_E_NS1_11comp_targetILNS1_3genE5ELNS1_11target_archE942ELNS1_3gpuE9ELNS1_3repE0EEENS1_30default_config_static_selectorELNS0_4arch9wavefront6targetE0EEEvT1_,@function
_ZN7rocprim17ROCPRIM_400000_NS6detail17trampoline_kernelINS0_14default_configENS1_27scan_by_key_config_selectorIj11FixedVectorIiLj8EEEEZZNS1_16scan_by_key_implILNS1_25lookback_scan_determinismE0ELb1ES3_N6thrust23THRUST_200600_302600_NS6detail15normal_iteratorINSB_10device_ptrIjEEEENSD_INSE_IS6_EEEESI_S6_NSB_4plusIvEENSB_8equal_toIvEES6_EE10hipError_tPvRmT2_T3_T4_T5_mT6_T7_P12ihipStream_tbENKUlT_T0_E_clISt17integral_constantIbLb0EES13_EEDaSY_SZ_EUlSY_E_NS1_11comp_targetILNS1_3genE5ELNS1_11target_archE942ELNS1_3gpuE9ELNS1_3repE0EEENS1_30default_config_static_selectorELNS0_4arch9wavefront6targetE0EEEvT1_: ; @_ZN7rocprim17ROCPRIM_400000_NS6detail17trampoline_kernelINS0_14default_configENS1_27scan_by_key_config_selectorIj11FixedVectorIiLj8EEEEZZNS1_16scan_by_key_implILNS1_25lookback_scan_determinismE0ELb1ES3_N6thrust23THRUST_200600_302600_NS6detail15normal_iteratorINSB_10device_ptrIjEEEENSD_INSE_IS6_EEEESI_S6_NSB_4plusIvEENSB_8equal_toIvEES6_EE10hipError_tPvRmT2_T3_T4_T5_mT6_T7_P12ihipStream_tbENKUlT_T0_E_clISt17integral_constantIbLb0EES13_EEDaSY_SZ_EUlSY_E_NS1_11comp_targetILNS1_3genE5ELNS1_11target_archE942ELNS1_3gpuE9ELNS1_3repE0EEENS1_30default_config_static_selectorELNS0_4arch9wavefront6targetE0EEEvT1_
; %bb.0:
	.section	.rodata,"a",@progbits
	.p2align	6, 0x0
	.amdhsa_kernel _ZN7rocprim17ROCPRIM_400000_NS6detail17trampoline_kernelINS0_14default_configENS1_27scan_by_key_config_selectorIj11FixedVectorIiLj8EEEEZZNS1_16scan_by_key_implILNS1_25lookback_scan_determinismE0ELb1ES3_N6thrust23THRUST_200600_302600_NS6detail15normal_iteratorINSB_10device_ptrIjEEEENSD_INSE_IS6_EEEESI_S6_NSB_4plusIvEENSB_8equal_toIvEES6_EE10hipError_tPvRmT2_T3_T4_T5_mT6_T7_P12ihipStream_tbENKUlT_T0_E_clISt17integral_constantIbLb0EES13_EEDaSY_SZ_EUlSY_E_NS1_11comp_targetILNS1_3genE5ELNS1_11target_archE942ELNS1_3gpuE9ELNS1_3repE0EEENS1_30default_config_static_selectorELNS0_4arch9wavefront6targetE0EEEvT1_
		.amdhsa_group_segment_fixed_size 0
		.amdhsa_private_segment_fixed_size 0
		.amdhsa_kernarg_size 160
		.amdhsa_user_sgpr_count 6
		.amdhsa_user_sgpr_private_segment_buffer 1
		.amdhsa_user_sgpr_dispatch_ptr 0
		.amdhsa_user_sgpr_queue_ptr 0
		.amdhsa_user_sgpr_kernarg_segment_ptr 1
		.amdhsa_user_sgpr_dispatch_id 0
		.amdhsa_user_sgpr_flat_scratch_init 0
		.amdhsa_user_sgpr_private_segment_size 0
		.amdhsa_wavefront_size32 1
		.amdhsa_uses_dynamic_stack 0
		.amdhsa_system_sgpr_private_segment_wavefront_offset 0
		.amdhsa_system_sgpr_workgroup_id_x 1
		.amdhsa_system_sgpr_workgroup_id_y 0
		.amdhsa_system_sgpr_workgroup_id_z 0
		.amdhsa_system_sgpr_workgroup_info 0
		.amdhsa_system_vgpr_workitem_id 0
		.amdhsa_next_free_vgpr 1
		.amdhsa_next_free_sgpr 1
		.amdhsa_reserve_vcc 0
		.amdhsa_reserve_flat_scratch 0
		.amdhsa_float_round_mode_32 0
		.amdhsa_float_round_mode_16_64 0
		.amdhsa_float_denorm_mode_32 3
		.amdhsa_float_denorm_mode_16_64 3
		.amdhsa_dx10_clamp 1
		.amdhsa_ieee_mode 1
		.amdhsa_fp16_overflow 0
		.amdhsa_workgroup_processor_mode 1
		.amdhsa_memory_ordered 1
		.amdhsa_forward_progress 1
		.amdhsa_shared_vgpr_count 0
		.amdhsa_exception_fp_ieee_invalid_op 0
		.amdhsa_exception_fp_denorm_src 0
		.amdhsa_exception_fp_ieee_div_zero 0
		.amdhsa_exception_fp_ieee_overflow 0
		.amdhsa_exception_fp_ieee_underflow 0
		.amdhsa_exception_fp_ieee_inexact 0
		.amdhsa_exception_int_div_zero 0
	.end_amdhsa_kernel
	.section	.text._ZN7rocprim17ROCPRIM_400000_NS6detail17trampoline_kernelINS0_14default_configENS1_27scan_by_key_config_selectorIj11FixedVectorIiLj8EEEEZZNS1_16scan_by_key_implILNS1_25lookback_scan_determinismE0ELb1ES3_N6thrust23THRUST_200600_302600_NS6detail15normal_iteratorINSB_10device_ptrIjEEEENSD_INSE_IS6_EEEESI_S6_NSB_4plusIvEENSB_8equal_toIvEES6_EE10hipError_tPvRmT2_T3_T4_T5_mT6_T7_P12ihipStream_tbENKUlT_T0_E_clISt17integral_constantIbLb0EES13_EEDaSY_SZ_EUlSY_E_NS1_11comp_targetILNS1_3genE5ELNS1_11target_archE942ELNS1_3gpuE9ELNS1_3repE0EEENS1_30default_config_static_selectorELNS0_4arch9wavefront6targetE0EEEvT1_,"axG",@progbits,_ZN7rocprim17ROCPRIM_400000_NS6detail17trampoline_kernelINS0_14default_configENS1_27scan_by_key_config_selectorIj11FixedVectorIiLj8EEEEZZNS1_16scan_by_key_implILNS1_25lookback_scan_determinismE0ELb1ES3_N6thrust23THRUST_200600_302600_NS6detail15normal_iteratorINSB_10device_ptrIjEEEENSD_INSE_IS6_EEEESI_S6_NSB_4plusIvEENSB_8equal_toIvEES6_EE10hipError_tPvRmT2_T3_T4_T5_mT6_T7_P12ihipStream_tbENKUlT_T0_E_clISt17integral_constantIbLb0EES13_EEDaSY_SZ_EUlSY_E_NS1_11comp_targetILNS1_3genE5ELNS1_11target_archE942ELNS1_3gpuE9ELNS1_3repE0EEENS1_30default_config_static_selectorELNS0_4arch9wavefront6targetE0EEEvT1_,comdat
.Lfunc_end2159:
	.size	_ZN7rocprim17ROCPRIM_400000_NS6detail17trampoline_kernelINS0_14default_configENS1_27scan_by_key_config_selectorIj11FixedVectorIiLj8EEEEZZNS1_16scan_by_key_implILNS1_25lookback_scan_determinismE0ELb1ES3_N6thrust23THRUST_200600_302600_NS6detail15normal_iteratorINSB_10device_ptrIjEEEENSD_INSE_IS6_EEEESI_S6_NSB_4plusIvEENSB_8equal_toIvEES6_EE10hipError_tPvRmT2_T3_T4_T5_mT6_T7_P12ihipStream_tbENKUlT_T0_E_clISt17integral_constantIbLb0EES13_EEDaSY_SZ_EUlSY_E_NS1_11comp_targetILNS1_3genE5ELNS1_11target_archE942ELNS1_3gpuE9ELNS1_3repE0EEENS1_30default_config_static_selectorELNS0_4arch9wavefront6targetE0EEEvT1_, .Lfunc_end2159-_ZN7rocprim17ROCPRIM_400000_NS6detail17trampoline_kernelINS0_14default_configENS1_27scan_by_key_config_selectorIj11FixedVectorIiLj8EEEEZZNS1_16scan_by_key_implILNS1_25lookback_scan_determinismE0ELb1ES3_N6thrust23THRUST_200600_302600_NS6detail15normal_iteratorINSB_10device_ptrIjEEEENSD_INSE_IS6_EEEESI_S6_NSB_4plusIvEENSB_8equal_toIvEES6_EE10hipError_tPvRmT2_T3_T4_T5_mT6_T7_P12ihipStream_tbENKUlT_T0_E_clISt17integral_constantIbLb0EES13_EEDaSY_SZ_EUlSY_E_NS1_11comp_targetILNS1_3genE5ELNS1_11target_archE942ELNS1_3gpuE9ELNS1_3repE0EEENS1_30default_config_static_selectorELNS0_4arch9wavefront6targetE0EEEvT1_
                                        ; -- End function
	.set _ZN7rocprim17ROCPRIM_400000_NS6detail17trampoline_kernelINS0_14default_configENS1_27scan_by_key_config_selectorIj11FixedVectorIiLj8EEEEZZNS1_16scan_by_key_implILNS1_25lookback_scan_determinismE0ELb1ES3_N6thrust23THRUST_200600_302600_NS6detail15normal_iteratorINSB_10device_ptrIjEEEENSD_INSE_IS6_EEEESI_S6_NSB_4plusIvEENSB_8equal_toIvEES6_EE10hipError_tPvRmT2_T3_T4_T5_mT6_T7_P12ihipStream_tbENKUlT_T0_E_clISt17integral_constantIbLb0EES13_EEDaSY_SZ_EUlSY_E_NS1_11comp_targetILNS1_3genE5ELNS1_11target_archE942ELNS1_3gpuE9ELNS1_3repE0EEENS1_30default_config_static_selectorELNS0_4arch9wavefront6targetE0EEEvT1_.num_vgpr, 0
	.set _ZN7rocprim17ROCPRIM_400000_NS6detail17trampoline_kernelINS0_14default_configENS1_27scan_by_key_config_selectorIj11FixedVectorIiLj8EEEEZZNS1_16scan_by_key_implILNS1_25lookback_scan_determinismE0ELb1ES3_N6thrust23THRUST_200600_302600_NS6detail15normal_iteratorINSB_10device_ptrIjEEEENSD_INSE_IS6_EEEESI_S6_NSB_4plusIvEENSB_8equal_toIvEES6_EE10hipError_tPvRmT2_T3_T4_T5_mT6_T7_P12ihipStream_tbENKUlT_T0_E_clISt17integral_constantIbLb0EES13_EEDaSY_SZ_EUlSY_E_NS1_11comp_targetILNS1_3genE5ELNS1_11target_archE942ELNS1_3gpuE9ELNS1_3repE0EEENS1_30default_config_static_selectorELNS0_4arch9wavefront6targetE0EEEvT1_.num_agpr, 0
	.set _ZN7rocprim17ROCPRIM_400000_NS6detail17trampoline_kernelINS0_14default_configENS1_27scan_by_key_config_selectorIj11FixedVectorIiLj8EEEEZZNS1_16scan_by_key_implILNS1_25lookback_scan_determinismE0ELb1ES3_N6thrust23THRUST_200600_302600_NS6detail15normal_iteratorINSB_10device_ptrIjEEEENSD_INSE_IS6_EEEESI_S6_NSB_4plusIvEENSB_8equal_toIvEES6_EE10hipError_tPvRmT2_T3_T4_T5_mT6_T7_P12ihipStream_tbENKUlT_T0_E_clISt17integral_constantIbLb0EES13_EEDaSY_SZ_EUlSY_E_NS1_11comp_targetILNS1_3genE5ELNS1_11target_archE942ELNS1_3gpuE9ELNS1_3repE0EEENS1_30default_config_static_selectorELNS0_4arch9wavefront6targetE0EEEvT1_.numbered_sgpr, 0
	.set _ZN7rocprim17ROCPRIM_400000_NS6detail17trampoline_kernelINS0_14default_configENS1_27scan_by_key_config_selectorIj11FixedVectorIiLj8EEEEZZNS1_16scan_by_key_implILNS1_25lookback_scan_determinismE0ELb1ES3_N6thrust23THRUST_200600_302600_NS6detail15normal_iteratorINSB_10device_ptrIjEEEENSD_INSE_IS6_EEEESI_S6_NSB_4plusIvEENSB_8equal_toIvEES6_EE10hipError_tPvRmT2_T3_T4_T5_mT6_T7_P12ihipStream_tbENKUlT_T0_E_clISt17integral_constantIbLb0EES13_EEDaSY_SZ_EUlSY_E_NS1_11comp_targetILNS1_3genE5ELNS1_11target_archE942ELNS1_3gpuE9ELNS1_3repE0EEENS1_30default_config_static_selectorELNS0_4arch9wavefront6targetE0EEEvT1_.num_named_barrier, 0
	.set _ZN7rocprim17ROCPRIM_400000_NS6detail17trampoline_kernelINS0_14default_configENS1_27scan_by_key_config_selectorIj11FixedVectorIiLj8EEEEZZNS1_16scan_by_key_implILNS1_25lookback_scan_determinismE0ELb1ES3_N6thrust23THRUST_200600_302600_NS6detail15normal_iteratorINSB_10device_ptrIjEEEENSD_INSE_IS6_EEEESI_S6_NSB_4plusIvEENSB_8equal_toIvEES6_EE10hipError_tPvRmT2_T3_T4_T5_mT6_T7_P12ihipStream_tbENKUlT_T0_E_clISt17integral_constantIbLb0EES13_EEDaSY_SZ_EUlSY_E_NS1_11comp_targetILNS1_3genE5ELNS1_11target_archE942ELNS1_3gpuE9ELNS1_3repE0EEENS1_30default_config_static_selectorELNS0_4arch9wavefront6targetE0EEEvT1_.private_seg_size, 0
	.set _ZN7rocprim17ROCPRIM_400000_NS6detail17trampoline_kernelINS0_14default_configENS1_27scan_by_key_config_selectorIj11FixedVectorIiLj8EEEEZZNS1_16scan_by_key_implILNS1_25lookback_scan_determinismE0ELb1ES3_N6thrust23THRUST_200600_302600_NS6detail15normal_iteratorINSB_10device_ptrIjEEEENSD_INSE_IS6_EEEESI_S6_NSB_4plusIvEENSB_8equal_toIvEES6_EE10hipError_tPvRmT2_T3_T4_T5_mT6_T7_P12ihipStream_tbENKUlT_T0_E_clISt17integral_constantIbLb0EES13_EEDaSY_SZ_EUlSY_E_NS1_11comp_targetILNS1_3genE5ELNS1_11target_archE942ELNS1_3gpuE9ELNS1_3repE0EEENS1_30default_config_static_selectorELNS0_4arch9wavefront6targetE0EEEvT1_.uses_vcc, 0
	.set _ZN7rocprim17ROCPRIM_400000_NS6detail17trampoline_kernelINS0_14default_configENS1_27scan_by_key_config_selectorIj11FixedVectorIiLj8EEEEZZNS1_16scan_by_key_implILNS1_25lookback_scan_determinismE0ELb1ES3_N6thrust23THRUST_200600_302600_NS6detail15normal_iteratorINSB_10device_ptrIjEEEENSD_INSE_IS6_EEEESI_S6_NSB_4plusIvEENSB_8equal_toIvEES6_EE10hipError_tPvRmT2_T3_T4_T5_mT6_T7_P12ihipStream_tbENKUlT_T0_E_clISt17integral_constantIbLb0EES13_EEDaSY_SZ_EUlSY_E_NS1_11comp_targetILNS1_3genE5ELNS1_11target_archE942ELNS1_3gpuE9ELNS1_3repE0EEENS1_30default_config_static_selectorELNS0_4arch9wavefront6targetE0EEEvT1_.uses_flat_scratch, 0
	.set _ZN7rocprim17ROCPRIM_400000_NS6detail17trampoline_kernelINS0_14default_configENS1_27scan_by_key_config_selectorIj11FixedVectorIiLj8EEEEZZNS1_16scan_by_key_implILNS1_25lookback_scan_determinismE0ELb1ES3_N6thrust23THRUST_200600_302600_NS6detail15normal_iteratorINSB_10device_ptrIjEEEENSD_INSE_IS6_EEEESI_S6_NSB_4plusIvEENSB_8equal_toIvEES6_EE10hipError_tPvRmT2_T3_T4_T5_mT6_T7_P12ihipStream_tbENKUlT_T0_E_clISt17integral_constantIbLb0EES13_EEDaSY_SZ_EUlSY_E_NS1_11comp_targetILNS1_3genE5ELNS1_11target_archE942ELNS1_3gpuE9ELNS1_3repE0EEENS1_30default_config_static_selectorELNS0_4arch9wavefront6targetE0EEEvT1_.has_dyn_sized_stack, 0
	.set _ZN7rocprim17ROCPRIM_400000_NS6detail17trampoline_kernelINS0_14default_configENS1_27scan_by_key_config_selectorIj11FixedVectorIiLj8EEEEZZNS1_16scan_by_key_implILNS1_25lookback_scan_determinismE0ELb1ES3_N6thrust23THRUST_200600_302600_NS6detail15normal_iteratorINSB_10device_ptrIjEEEENSD_INSE_IS6_EEEESI_S6_NSB_4plusIvEENSB_8equal_toIvEES6_EE10hipError_tPvRmT2_T3_T4_T5_mT6_T7_P12ihipStream_tbENKUlT_T0_E_clISt17integral_constantIbLb0EES13_EEDaSY_SZ_EUlSY_E_NS1_11comp_targetILNS1_3genE5ELNS1_11target_archE942ELNS1_3gpuE9ELNS1_3repE0EEENS1_30default_config_static_selectorELNS0_4arch9wavefront6targetE0EEEvT1_.has_recursion, 0
	.set _ZN7rocprim17ROCPRIM_400000_NS6detail17trampoline_kernelINS0_14default_configENS1_27scan_by_key_config_selectorIj11FixedVectorIiLj8EEEEZZNS1_16scan_by_key_implILNS1_25lookback_scan_determinismE0ELb1ES3_N6thrust23THRUST_200600_302600_NS6detail15normal_iteratorINSB_10device_ptrIjEEEENSD_INSE_IS6_EEEESI_S6_NSB_4plusIvEENSB_8equal_toIvEES6_EE10hipError_tPvRmT2_T3_T4_T5_mT6_T7_P12ihipStream_tbENKUlT_T0_E_clISt17integral_constantIbLb0EES13_EEDaSY_SZ_EUlSY_E_NS1_11comp_targetILNS1_3genE5ELNS1_11target_archE942ELNS1_3gpuE9ELNS1_3repE0EEENS1_30default_config_static_selectorELNS0_4arch9wavefront6targetE0EEEvT1_.has_indirect_call, 0
	.section	.AMDGPU.csdata,"",@progbits
; Kernel info:
; codeLenInByte = 0
; TotalNumSgprs: 0
; NumVgprs: 0
; ScratchSize: 0
; MemoryBound: 0
; FloatMode: 240
; IeeeMode: 1
; LDSByteSize: 0 bytes/workgroup (compile time only)
; SGPRBlocks: 0
; VGPRBlocks: 0
; NumSGPRsForWavesPerEU: 1
; NumVGPRsForWavesPerEU: 1
; Occupancy: 16
; WaveLimiterHint : 0
; COMPUTE_PGM_RSRC2:SCRATCH_EN: 0
; COMPUTE_PGM_RSRC2:USER_SGPR: 6
; COMPUTE_PGM_RSRC2:TRAP_HANDLER: 0
; COMPUTE_PGM_RSRC2:TGID_X_EN: 1
; COMPUTE_PGM_RSRC2:TGID_Y_EN: 0
; COMPUTE_PGM_RSRC2:TGID_Z_EN: 0
; COMPUTE_PGM_RSRC2:TIDIG_COMP_CNT: 0
	.section	.text._ZN7rocprim17ROCPRIM_400000_NS6detail17trampoline_kernelINS0_14default_configENS1_27scan_by_key_config_selectorIj11FixedVectorIiLj8EEEEZZNS1_16scan_by_key_implILNS1_25lookback_scan_determinismE0ELb1ES3_N6thrust23THRUST_200600_302600_NS6detail15normal_iteratorINSB_10device_ptrIjEEEENSD_INSE_IS6_EEEESI_S6_NSB_4plusIvEENSB_8equal_toIvEES6_EE10hipError_tPvRmT2_T3_T4_T5_mT6_T7_P12ihipStream_tbENKUlT_T0_E_clISt17integral_constantIbLb0EES13_EEDaSY_SZ_EUlSY_E_NS1_11comp_targetILNS1_3genE4ELNS1_11target_archE910ELNS1_3gpuE8ELNS1_3repE0EEENS1_30default_config_static_selectorELNS0_4arch9wavefront6targetE0EEEvT1_,"axG",@progbits,_ZN7rocprim17ROCPRIM_400000_NS6detail17trampoline_kernelINS0_14default_configENS1_27scan_by_key_config_selectorIj11FixedVectorIiLj8EEEEZZNS1_16scan_by_key_implILNS1_25lookback_scan_determinismE0ELb1ES3_N6thrust23THRUST_200600_302600_NS6detail15normal_iteratorINSB_10device_ptrIjEEEENSD_INSE_IS6_EEEESI_S6_NSB_4plusIvEENSB_8equal_toIvEES6_EE10hipError_tPvRmT2_T3_T4_T5_mT6_T7_P12ihipStream_tbENKUlT_T0_E_clISt17integral_constantIbLb0EES13_EEDaSY_SZ_EUlSY_E_NS1_11comp_targetILNS1_3genE4ELNS1_11target_archE910ELNS1_3gpuE8ELNS1_3repE0EEENS1_30default_config_static_selectorELNS0_4arch9wavefront6targetE0EEEvT1_,comdat
	.protected	_ZN7rocprim17ROCPRIM_400000_NS6detail17trampoline_kernelINS0_14default_configENS1_27scan_by_key_config_selectorIj11FixedVectorIiLj8EEEEZZNS1_16scan_by_key_implILNS1_25lookback_scan_determinismE0ELb1ES3_N6thrust23THRUST_200600_302600_NS6detail15normal_iteratorINSB_10device_ptrIjEEEENSD_INSE_IS6_EEEESI_S6_NSB_4plusIvEENSB_8equal_toIvEES6_EE10hipError_tPvRmT2_T3_T4_T5_mT6_T7_P12ihipStream_tbENKUlT_T0_E_clISt17integral_constantIbLb0EES13_EEDaSY_SZ_EUlSY_E_NS1_11comp_targetILNS1_3genE4ELNS1_11target_archE910ELNS1_3gpuE8ELNS1_3repE0EEENS1_30default_config_static_selectorELNS0_4arch9wavefront6targetE0EEEvT1_ ; -- Begin function _ZN7rocprim17ROCPRIM_400000_NS6detail17trampoline_kernelINS0_14default_configENS1_27scan_by_key_config_selectorIj11FixedVectorIiLj8EEEEZZNS1_16scan_by_key_implILNS1_25lookback_scan_determinismE0ELb1ES3_N6thrust23THRUST_200600_302600_NS6detail15normal_iteratorINSB_10device_ptrIjEEEENSD_INSE_IS6_EEEESI_S6_NSB_4plusIvEENSB_8equal_toIvEES6_EE10hipError_tPvRmT2_T3_T4_T5_mT6_T7_P12ihipStream_tbENKUlT_T0_E_clISt17integral_constantIbLb0EES13_EEDaSY_SZ_EUlSY_E_NS1_11comp_targetILNS1_3genE4ELNS1_11target_archE910ELNS1_3gpuE8ELNS1_3repE0EEENS1_30default_config_static_selectorELNS0_4arch9wavefront6targetE0EEEvT1_
	.globl	_ZN7rocprim17ROCPRIM_400000_NS6detail17trampoline_kernelINS0_14default_configENS1_27scan_by_key_config_selectorIj11FixedVectorIiLj8EEEEZZNS1_16scan_by_key_implILNS1_25lookback_scan_determinismE0ELb1ES3_N6thrust23THRUST_200600_302600_NS6detail15normal_iteratorINSB_10device_ptrIjEEEENSD_INSE_IS6_EEEESI_S6_NSB_4plusIvEENSB_8equal_toIvEES6_EE10hipError_tPvRmT2_T3_T4_T5_mT6_T7_P12ihipStream_tbENKUlT_T0_E_clISt17integral_constantIbLb0EES13_EEDaSY_SZ_EUlSY_E_NS1_11comp_targetILNS1_3genE4ELNS1_11target_archE910ELNS1_3gpuE8ELNS1_3repE0EEENS1_30default_config_static_selectorELNS0_4arch9wavefront6targetE0EEEvT1_
	.p2align	8
	.type	_ZN7rocprim17ROCPRIM_400000_NS6detail17trampoline_kernelINS0_14default_configENS1_27scan_by_key_config_selectorIj11FixedVectorIiLj8EEEEZZNS1_16scan_by_key_implILNS1_25lookback_scan_determinismE0ELb1ES3_N6thrust23THRUST_200600_302600_NS6detail15normal_iteratorINSB_10device_ptrIjEEEENSD_INSE_IS6_EEEESI_S6_NSB_4plusIvEENSB_8equal_toIvEES6_EE10hipError_tPvRmT2_T3_T4_T5_mT6_T7_P12ihipStream_tbENKUlT_T0_E_clISt17integral_constantIbLb0EES13_EEDaSY_SZ_EUlSY_E_NS1_11comp_targetILNS1_3genE4ELNS1_11target_archE910ELNS1_3gpuE8ELNS1_3repE0EEENS1_30default_config_static_selectorELNS0_4arch9wavefront6targetE0EEEvT1_,@function
_ZN7rocprim17ROCPRIM_400000_NS6detail17trampoline_kernelINS0_14default_configENS1_27scan_by_key_config_selectorIj11FixedVectorIiLj8EEEEZZNS1_16scan_by_key_implILNS1_25lookback_scan_determinismE0ELb1ES3_N6thrust23THRUST_200600_302600_NS6detail15normal_iteratorINSB_10device_ptrIjEEEENSD_INSE_IS6_EEEESI_S6_NSB_4plusIvEENSB_8equal_toIvEES6_EE10hipError_tPvRmT2_T3_T4_T5_mT6_T7_P12ihipStream_tbENKUlT_T0_E_clISt17integral_constantIbLb0EES13_EEDaSY_SZ_EUlSY_E_NS1_11comp_targetILNS1_3genE4ELNS1_11target_archE910ELNS1_3gpuE8ELNS1_3repE0EEENS1_30default_config_static_selectorELNS0_4arch9wavefront6targetE0EEEvT1_: ; @_ZN7rocprim17ROCPRIM_400000_NS6detail17trampoline_kernelINS0_14default_configENS1_27scan_by_key_config_selectorIj11FixedVectorIiLj8EEEEZZNS1_16scan_by_key_implILNS1_25lookback_scan_determinismE0ELb1ES3_N6thrust23THRUST_200600_302600_NS6detail15normal_iteratorINSB_10device_ptrIjEEEENSD_INSE_IS6_EEEESI_S6_NSB_4plusIvEENSB_8equal_toIvEES6_EE10hipError_tPvRmT2_T3_T4_T5_mT6_T7_P12ihipStream_tbENKUlT_T0_E_clISt17integral_constantIbLb0EES13_EEDaSY_SZ_EUlSY_E_NS1_11comp_targetILNS1_3genE4ELNS1_11target_archE910ELNS1_3gpuE8ELNS1_3repE0EEENS1_30default_config_static_selectorELNS0_4arch9wavefront6targetE0EEEvT1_
; %bb.0:
	.section	.rodata,"a",@progbits
	.p2align	6, 0x0
	.amdhsa_kernel _ZN7rocprim17ROCPRIM_400000_NS6detail17trampoline_kernelINS0_14default_configENS1_27scan_by_key_config_selectorIj11FixedVectorIiLj8EEEEZZNS1_16scan_by_key_implILNS1_25lookback_scan_determinismE0ELb1ES3_N6thrust23THRUST_200600_302600_NS6detail15normal_iteratorINSB_10device_ptrIjEEEENSD_INSE_IS6_EEEESI_S6_NSB_4plusIvEENSB_8equal_toIvEES6_EE10hipError_tPvRmT2_T3_T4_T5_mT6_T7_P12ihipStream_tbENKUlT_T0_E_clISt17integral_constantIbLb0EES13_EEDaSY_SZ_EUlSY_E_NS1_11comp_targetILNS1_3genE4ELNS1_11target_archE910ELNS1_3gpuE8ELNS1_3repE0EEENS1_30default_config_static_selectorELNS0_4arch9wavefront6targetE0EEEvT1_
		.amdhsa_group_segment_fixed_size 0
		.amdhsa_private_segment_fixed_size 0
		.amdhsa_kernarg_size 160
		.amdhsa_user_sgpr_count 6
		.amdhsa_user_sgpr_private_segment_buffer 1
		.amdhsa_user_sgpr_dispatch_ptr 0
		.amdhsa_user_sgpr_queue_ptr 0
		.amdhsa_user_sgpr_kernarg_segment_ptr 1
		.amdhsa_user_sgpr_dispatch_id 0
		.amdhsa_user_sgpr_flat_scratch_init 0
		.amdhsa_user_sgpr_private_segment_size 0
		.amdhsa_wavefront_size32 1
		.amdhsa_uses_dynamic_stack 0
		.amdhsa_system_sgpr_private_segment_wavefront_offset 0
		.amdhsa_system_sgpr_workgroup_id_x 1
		.amdhsa_system_sgpr_workgroup_id_y 0
		.amdhsa_system_sgpr_workgroup_id_z 0
		.amdhsa_system_sgpr_workgroup_info 0
		.amdhsa_system_vgpr_workitem_id 0
		.amdhsa_next_free_vgpr 1
		.amdhsa_next_free_sgpr 1
		.amdhsa_reserve_vcc 0
		.amdhsa_reserve_flat_scratch 0
		.amdhsa_float_round_mode_32 0
		.amdhsa_float_round_mode_16_64 0
		.amdhsa_float_denorm_mode_32 3
		.amdhsa_float_denorm_mode_16_64 3
		.amdhsa_dx10_clamp 1
		.amdhsa_ieee_mode 1
		.amdhsa_fp16_overflow 0
		.amdhsa_workgroup_processor_mode 1
		.amdhsa_memory_ordered 1
		.amdhsa_forward_progress 1
		.amdhsa_shared_vgpr_count 0
		.amdhsa_exception_fp_ieee_invalid_op 0
		.amdhsa_exception_fp_denorm_src 0
		.amdhsa_exception_fp_ieee_div_zero 0
		.amdhsa_exception_fp_ieee_overflow 0
		.amdhsa_exception_fp_ieee_underflow 0
		.amdhsa_exception_fp_ieee_inexact 0
		.amdhsa_exception_int_div_zero 0
	.end_amdhsa_kernel
	.section	.text._ZN7rocprim17ROCPRIM_400000_NS6detail17trampoline_kernelINS0_14default_configENS1_27scan_by_key_config_selectorIj11FixedVectorIiLj8EEEEZZNS1_16scan_by_key_implILNS1_25lookback_scan_determinismE0ELb1ES3_N6thrust23THRUST_200600_302600_NS6detail15normal_iteratorINSB_10device_ptrIjEEEENSD_INSE_IS6_EEEESI_S6_NSB_4plusIvEENSB_8equal_toIvEES6_EE10hipError_tPvRmT2_T3_T4_T5_mT6_T7_P12ihipStream_tbENKUlT_T0_E_clISt17integral_constantIbLb0EES13_EEDaSY_SZ_EUlSY_E_NS1_11comp_targetILNS1_3genE4ELNS1_11target_archE910ELNS1_3gpuE8ELNS1_3repE0EEENS1_30default_config_static_selectorELNS0_4arch9wavefront6targetE0EEEvT1_,"axG",@progbits,_ZN7rocprim17ROCPRIM_400000_NS6detail17trampoline_kernelINS0_14default_configENS1_27scan_by_key_config_selectorIj11FixedVectorIiLj8EEEEZZNS1_16scan_by_key_implILNS1_25lookback_scan_determinismE0ELb1ES3_N6thrust23THRUST_200600_302600_NS6detail15normal_iteratorINSB_10device_ptrIjEEEENSD_INSE_IS6_EEEESI_S6_NSB_4plusIvEENSB_8equal_toIvEES6_EE10hipError_tPvRmT2_T3_T4_T5_mT6_T7_P12ihipStream_tbENKUlT_T0_E_clISt17integral_constantIbLb0EES13_EEDaSY_SZ_EUlSY_E_NS1_11comp_targetILNS1_3genE4ELNS1_11target_archE910ELNS1_3gpuE8ELNS1_3repE0EEENS1_30default_config_static_selectorELNS0_4arch9wavefront6targetE0EEEvT1_,comdat
.Lfunc_end2160:
	.size	_ZN7rocprim17ROCPRIM_400000_NS6detail17trampoline_kernelINS0_14default_configENS1_27scan_by_key_config_selectorIj11FixedVectorIiLj8EEEEZZNS1_16scan_by_key_implILNS1_25lookback_scan_determinismE0ELb1ES3_N6thrust23THRUST_200600_302600_NS6detail15normal_iteratorINSB_10device_ptrIjEEEENSD_INSE_IS6_EEEESI_S6_NSB_4plusIvEENSB_8equal_toIvEES6_EE10hipError_tPvRmT2_T3_T4_T5_mT6_T7_P12ihipStream_tbENKUlT_T0_E_clISt17integral_constantIbLb0EES13_EEDaSY_SZ_EUlSY_E_NS1_11comp_targetILNS1_3genE4ELNS1_11target_archE910ELNS1_3gpuE8ELNS1_3repE0EEENS1_30default_config_static_selectorELNS0_4arch9wavefront6targetE0EEEvT1_, .Lfunc_end2160-_ZN7rocprim17ROCPRIM_400000_NS6detail17trampoline_kernelINS0_14default_configENS1_27scan_by_key_config_selectorIj11FixedVectorIiLj8EEEEZZNS1_16scan_by_key_implILNS1_25lookback_scan_determinismE0ELb1ES3_N6thrust23THRUST_200600_302600_NS6detail15normal_iteratorINSB_10device_ptrIjEEEENSD_INSE_IS6_EEEESI_S6_NSB_4plusIvEENSB_8equal_toIvEES6_EE10hipError_tPvRmT2_T3_T4_T5_mT6_T7_P12ihipStream_tbENKUlT_T0_E_clISt17integral_constantIbLb0EES13_EEDaSY_SZ_EUlSY_E_NS1_11comp_targetILNS1_3genE4ELNS1_11target_archE910ELNS1_3gpuE8ELNS1_3repE0EEENS1_30default_config_static_selectorELNS0_4arch9wavefront6targetE0EEEvT1_
                                        ; -- End function
	.set _ZN7rocprim17ROCPRIM_400000_NS6detail17trampoline_kernelINS0_14default_configENS1_27scan_by_key_config_selectorIj11FixedVectorIiLj8EEEEZZNS1_16scan_by_key_implILNS1_25lookback_scan_determinismE0ELb1ES3_N6thrust23THRUST_200600_302600_NS6detail15normal_iteratorINSB_10device_ptrIjEEEENSD_INSE_IS6_EEEESI_S6_NSB_4plusIvEENSB_8equal_toIvEES6_EE10hipError_tPvRmT2_T3_T4_T5_mT6_T7_P12ihipStream_tbENKUlT_T0_E_clISt17integral_constantIbLb0EES13_EEDaSY_SZ_EUlSY_E_NS1_11comp_targetILNS1_3genE4ELNS1_11target_archE910ELNS1_3gpuE8ELNS1_3repE0EEENS1_30default_config_static_selectorELNS0_4arch9wavefront6targetE0EEEvT1_.num_vgpr, 0
	.set _ZN7rocprim17ROCPRIM_400000_NS6detail17trampoline_kernelINS0_14default_configENS1_27scan_by_key_config_selectorIj11FixedVectorIiLj8EEEEZZNS1_16scan_by_key_implILNS1_25lookback_scan_determinismE0ELb1ES3_N6thrust23THRUST_200600_302600_NS6detail15normal_iteratorINSB_10device_ptrIjEEEENSD_INSE_IS6_EEEESI_S6_NSB_4plusIvEENSB_8equal_toIvEES6_EE10hipError_tPvRmT2_T3_T4_T5_mT6_T7_P12ihipStream_tbENKUlT_T0_E_clISt17integral_constantIbLb0EES13_EEDaSY_SZ_EUlSY_E_NS1_11comp_targetILNS1_3genE4ELNS1_11target_archE910ELNS1_3gpuE8ELNS1_3repE0EEENS1_30default_config_static_selectorELNS0_4arch9wavefront6targetE0EEEvT1_.num_agpr, 0
	.set _ZN7rocprim17ROCPRIM_400000_NS6detail17trampoline_kernelINS0_14default_configENS1_27scan_by_key_config_selectorIj11FixedVectorIiLj8EEEEZZNS1_16scan_by_key_implILNS1_25lookback_scan_determinismE0ELb1ES3_N6thrust23THRUST_200600_302600_NS6detail15normal_iteratorINSB_10device_ptrIjEEEENSD_INSE_IS6_EEEESI_S6_NSB_4plusIvEENSB_8equal_toIvEES6_EE10hipError_tPvRmT2_T3_T4_T5_mT6_T7_P12ihipStream_tbENKUlT_T0_E_clISt17integral_constantIbLb0EES13_EEDaSY_SZ_EUlSY_E_NS1_11comp_targetILNS1_3genE4ELNS1_11target_archE910ELNS1_3gpuE8ELNS1_3repE0EEENS1_30default_config_static_selectorELNS0_4arch9wavefront6targetE0EEEvT1_.numbered_sgpr, 0
	.set _ZN7rocprim17ROCPRIM_400000_NS6detail17trampoline_kernelINS0_14default_configENS1_27scan_by_key_config_selectorIj11FixedVectorIiLj8EEEEZZNS1_16scan_by_key_implILNS1_25lookback_scan_determinismE0ELb1ES3_N6thrust23THRUST_200600_302600_NS6detail15normal_iteratorINSB_10device_ptrIjEEEENSD_INSE_IS6_EEEESI_S6_NSB_4plusIvEENSB_8equal_toIvEES6_EE10hipError_tPvRmT2_T3_T4_T5_mT6_T7_P12ihipStream_tbENKUlT_T0_E_clISt17integral_constantIbLb0EES13_EEDaSY_SZ_EUlSY_E_NS1_11comp_targetILNS1_3genE4ELNS1_11target_archE910ELNS1_3gpuE8ELNS1_3repE0EEENS1_30default_config_static_selectorELNS0_4arch9wavefront6targetE0EEEvT1_.num_named_barrier, 0
	.set _ZN7rocprim17ROCPRIM_400000_NS6detail17trampoline_kernelINS0_14default_configENS1_27scan_by_key_config_selectorIj11FixedVectorIiLj8EEEEZZNS1_16scan_by_key_implILNS1_25lookback_scan_determinismE0ELb1ES3_N6thrust23THRUST_200600_302600_NS6detail15normal_iteratorINSB_10device_ptrIjEEEENSD_INSE_IS6_EEEESI_S6_NSB_4plusIvEENSB_8equal_toIvEES6_EE10hipError_tPvRmT2_T3_T4_T5_mT6_T7_P12ihipStream_tbENKUlT_T0_E_clISt17integral_constantIbLb0EES13_EEDaSY_SZ_EUlSY_E_NS1_11comp_targetILNS1_3genE4ELNS1_11target_archE910ELNS1_3gpuE8ELNS1_3repE0EEENS1_30default_config_static_selectorELNS0_4arch9wavefront6targetE0EEEvT1_.private_seg_size, 0
	.set _ZN7rocprim17ROCPRIM_400000_NS6detail17trampoline_kernelINS0_14default_configENS1_27scan_by_key_config_selectorIj11FixedVectorIiLj8EEEEZZNS1_16scan_by_key_implILNS1_25lookback_scan_determinismE0ELb1ES3_N6thrust23THRUST_200600_302600_NS6detail15normal_iteratorINSB_10device_ptrIjEEEENSD_INSE_IS6_EEEESI_S6_NSB_4plusIvEENSB_8equal_toIvEES6_EE10hipError_tPvRmT2_T3_T4_T5_mT6_T7_P12ihipStream_tbENKUlT_T0_E_clISt17integral_constantIbLb0EES13_EEDaSY_SZ_EUlSY_E_NS1_11comp_targetILNS1_3genE4ELNS1_11target_archE910ELNS1_3gpuE8ELNS1_3repE0EEENS1_30default_config_static_selectorELNS0_4arch9wavefront6targetE0EEEvT1_.uses_vcc, 0
	.set _ZN7rocprim17ROCPRIM_400000_NS6detail17trampoline_kernelINS0_14default_configENS1_27scan_by_key_config_selectorIj11FixedVectorIiLj8EEEEZZNS1_16scan_by_key_implILNS1_25lookback_scan_determinismE0ELb1ES3_N6thrust23THRUST_200600_302600_NS6detail15normal_iteratorINSB_10device_ptrIjEEEENSD_INSE_IS6_EEEESI_S6_NSB_4plusIvEENSB_8equal_toIvEES6_EE10hipError_tPvRmT2_T3_T4_T5_mT6_T7_P12ihipStream_tbENKUlT_T0_E_clISt17integral_constantIbLb0EES13_EEDaSY_SZ_EUlSY_E_NS1_11comp_targetILNS1_3genE4ELNS1_11target_archE910ELNS1_3gpuE8ELNS1_3repE0EEENS1_30default_config_static_selectorELNS0_4arch9wavefront6targetE0EEEvT1_.uses_flat_scratch, 0
	.set _ZN7rocprim17ROCPRIM_400000_NS6detail17trampoline_kernelINS0_14default_configENS1_27scan_by_key_config_selectorIj11FixedVectorIiLj8EEEEZZNS1_16scan_by_key_implILNS1_25lookback_scan_determinismE0ELb1ES3_N6thrust23THRUST_200600_302600_NS6detail15normal_iteratorINSB_10device_ptrIjEEEENSD_INSE_IS6_EEEESI_S6_NSB_4plusIvEENSB_8equal_toIvEES6_EE10hipError_tPvRmT2_T3_T4_T5_mT6_T7_P12ihipStream_tbENKUlT_T0_E_clISt17integral_constantIbLb0EES13_EEDaSY_SZ_EUlSY_E_NS1_11comp_targetILNS1_3genE4ELNS1_11target_archE910ELNS1_3gpuE8ELNS1_3repE0EEENS1_30default_config_static_selectorELNS0_4arch9wavefront6targetE0EEEvT1_.has_dyn_sized_stack, 0
	.set _ZN7rocprim17ROCPRIM_400000_NS6detail17trampoline_kernelINS0_14default_configENS1_27scan_by_key_config_selectorIj11FixedVectorIiLj8EEEEZZNS1_16scan_by_key_implILNS1_25lookback_scan_determinismE0ELb1ES3_N6thrust23THRUST_200600_302600_NS6detail15normal_iteratorINSB_10device_ptrIjEEEENSD_INSE_IS6_EEEESI_S6_NSB_4plusIvEENSB_8equal_toIvEES6_EE10hipError_tPvRmT2_T3_T4_T5_mT6_T7_P12ihipStream_tbENKUlT_T0_E_clISt17integral_constantIbLb0EES13_EEDaSY_SZ_EUlSY_E_NS1_11comp_targetILNS1_3genE4ELNS1_11target_archE910ELNS1_3gpuE8ELNS1_3repE0EEENS1_30default_config_static_selectorELNS0_4arch9wavefront6targetE0EEEvT1_.has_recursion, 0
	.set _ZN7rocprim17ROCPRIM_400000_NS6detail17trampoline_kernelINS0_14default_configENS1_27scan_by_key_config_selectorIj11FixedVectorIiLj8EEEEZZNS1_16scan_by_key_implILNS1_25lookback_scan_determinismE0ELb1ES3_N6thrust23THRUST_200600_302600_NS6detail15normal_iteratorINSB_10device_ptrIjEEEENSD_INSE_IS6_EEEESI_S6_NSB_4plusIvEENSB_8equal_toIvEES6_EE10hipError_tPvRmT2_T3_T4_T5_mT6_T7_P12ihipStream_tbENKUlT_T0_E_clISt17integral_constantIbLb0EES13_EEDaSY_SZ_EUlSY_E_NS1_11comp_targetILNS1_3genE4ELNS1_11target_archE910ELNS1_3gpuE8ELNS1_3repE0EEENS1_30default_config_static_selectorELNS0_4arch9wavefront6targetE0EEEvT1_.has_indirect_call, 0
	.section	.AMDGPU.csdata,"",@progbits
; Kernel info:
; codeLenInByte = 0
; TotalNumSgprs: 0
; NumVgprs: 0
; ScratchSize: 0
; MemoryBound: 0
; FloatMode: 240
; IeeeMode: 1
; LDSByteSize: 0 bytes/workgroup (compile time only)
; SGPRBlocks: 0
; VGPRBlocks: 0
; NumSGPRsForWavesPerEU: 1
; NumVGPRsForWavesPerEU: 1
; Occupancy: 16
; WaveLimiterHint : 0
; COMPUTE_PGM_RSRC2:SCRATCH_EN: 0
; COMPUTE_PGM_RSRC2:USER_SGPR: 6
; COMPUTE_PGM_RSRC2:TRAP_HANDLER: 0
; COMPUTE_PGM_RSRC2:TGID_X_EN: 1
; COMPUTE_PGM_RSRC2:TGID_Y_EN: 0
; COMPUTE_PGM_RSRC2:TGID_Z_EN: 0
; COMPUTE_PGM_RSRC2:TIDIG_COMP_CNT: 0
	.section	.text._ZN7rocprim17ROCPRIM_400000_NS6detail17trampoline_kernelINS0_14default_configENS1_27scan_by_key_config_selectorIj11FixedVectorIiLj8EEEEZZNS1_16scan_by_key_implILNS1_25lookback_scan_determinismE0ELb1ES3_N6thrust23THRUST_200600_302600_NS6detail15normal_iteratorINSB_10device_ptrIjEEEENSD_INSE_IS6_EEEESI_S6_NSB_4plusIvEENSB_8equal_toIvEES6_EE10hipError_tPvRmT2_T3_T4_T5_mT6_T7_P12ihipStream_tbENKUlT_T0_E_clISt17integral_constantIbLb0EES13_EEDaSY_SZ_EUlSY_E_NS1_11comp_targetILNS1_3genE3ELNS1_11target_archE908ELNS1_3gpuE7ELNS1_3repE0EEENS1_30default_config_static_selectorELNS0_4arch9wavefront6targetE0EEEvT1_,"axG",@progbits,_ZN7rocprim17ROCPRIM_400000_NS6detail17trampoline_kernelINS0_14default_configENS1_27scan_by_key_config_selectorIj11FixedVectorIiLj8EEEEZZNS1_16scan_by_key_implILNS1_25lookback_scan_determinismE0ELb1ES3_N6thrust23THRUST_200600_302600_NS6detail15normal_iteratorINSB_10device_ptrIjEEEENSD_INSE_IS6_EEEESI_S6_NSB_4plusIvEENSB_8equal_toIvEES6_EE10hipError_tPvRmT2_T3_T4_T5_mT6_T7_P12ihipStream_tbENKUlT_T0_E_clISt17integral_constantIbLb0EES13_EEDaSY_SZ_EUlSY_E_NS1_11comp_targetILNS1_3genE3ELNS1_11target_archE908ELNS1_3gpuE7ELNS1_3repE0EEENS1_30default_config_static_selectorELNS0_4arch9wavefront6targetE0EEEvT1_,comdat
	.protected	_ZN7rocprim17ROCPRIM_400000_NS6detail17trampoline_kernelINS0_14default_configENS1_27scan_by_key_config_selectorIj11FixedVectorIiLj8EEEEZZNS1_16scan_by_key_implILNS1_25lookback_scan_determinismE0ELb1ES3_N6thrust23THRUST_200600_302600_NS6detail15normal_iteratorINSB_10device_ptrIjEEEENSD_INSE_IS6_EEEESI_S6_NSB_4plusIvEENSB_8equal_toIvEES6_EE10hipError_tPvRmT2_T3_T4_T5_mT6_T7_P12ihipStream_tbENKUlT_T0_E_clISt17integral_constantIbLb0EES13_EEDaSY_SZ_EUlSY_E_NS1_11comp_targetILNS1_3genE3ELNS1_11target_archE908ELNS1_3gpuE7ELNS1_3repE0EEENS1_30default_config_static_selectorELNS0_4arch9wavefront6targetE0EEEvT1_ ; -- Begin function _ZN7rocprim17ROCPRIM_400000_NS6detail17trampoline_kernelINS0_14default_configENS1_27scan_by_key_config_selectorIj11FixedVectorIiLj8EEEEZZNS1_16scan_by_key_implILNS1_25lookback_scan_determinismE0ELb1ES3_N6thrust23THRUST_200600_302600_NS6detail15normal_iteratorINSB_10device_ptrIjEEEENSD_INSE_IS6_EEEESI_S6_NSB_4plusIvEENSB_8equal_toIvEES6_EE10hipError_tPvRmT2_T3_T4_T5_mT6_T7_P12ihipStream_tbENKUlT_T0_E_clISt17integral_constantIbLb0EES13_EEDaSY_SZ_EUlSY_E_NS1_11comp_targetILNS1_3genE3ELNS1_11target_archE908ELNS1_3gpuE7ELNS1_3repE0EEENS1_30default_config_static_selectorELNS0_4arch9wavefront6targetE0EEEvT1_
	.globl	_ZN7rocprim17ROCPRIM_400000_NS6detail17trampoline_kernelINS0_14default_configENS1_27scan_by_key_config_selectorIj11FixedVectorIiLj8EEEEZZNS1_16scan_by_key_implILNS1_25lookback_scan_determinismE0ELb1ES3_N6thrust23THRUST_200600_302600_NS6detail15normal_iteratorINSB_10device_ptrIjEEEENSD_INSE_IS6_EEEESI_S6_NSB_4plusIvEENSB_8equal_toIvEES6_EE10hipError_tPvRmT2_T3_T4_T5_mT6_T7_P12ihipStream_tbENKUlT_T0_E_clISt17integral_constantIbLb0EES13_EEDaSY_SZ_EUlSY_E_NS1_11comp_targetILNS1_3genE3ELNS1_11target_archE908ELNS1_3gpuE7ELNS1_3repE0EEENS1_30default_config_static_selectorELNS0_4arch9wavefront6targetE0EEEvT1_
	.p2align	8
	.type	_ZN7rocprim17ROCPRIM_400000_NS6detail17trampoline_kernelINS0_14default_configENS1_27scan_by_key_config_selectorIj11FixedVectorIiLj8EEEEZZNS1_16scan_by_key_implILNS1_25lookback_scan_determinismE0ELb1ES3_N6thrust23THRUST_200600_302600_NS6detail15normal_iteratorINSB_10device_ptrIjEEEENSD_INSE_IS6_EEEESI_S6_NSB_4plusIvEENSB_8equal_toIvEES6_EE10hipError_tPvRmT2_T3_T4_T5_mT6_T7_P12ihipStream_tbENKUlT_T0_E_clISt17integral_constantIbLb0EES13_EEDaSY_SZ_EUlSY_E_NS1_11comp_targetILNS1_3genE3ELNS1_11target_archE908ELNS1_3gpuE7ELNS1_3repE0EEENS1_30default_config_static_selectorELNS0_4arch9wavefront6targetE0EEEvT1_,@function
_ZN7rocprim17ROCPRIM_400000_NS6detail17trampoline_kernelINS0_14default_configENS1_27scan_by_key_config_selectorIj11FixedVectorIiLj8EEEEZZNS1_16scan_by_key_implILNS1_25lookback_scan_determinismE0ELb1ES3_N6thrust23THRUST_200600_302600_NS6detail15normal_iteratorINSB_10device_ptrIjEEEENSD_INSE_IS6_EEEESI_S6_NSB_4plusIvEENSB_8equal_toIvEES6_EE10hipError_tPvRmT2_T3_T4_T5_mT6_T7_P12ihipStream_tbENKUlT_T0_E_clISt17integral_constantIbLb0EES13_EEDaSY_SZ_EUlSY_E_NS1_11comp_targetILNS1_3genE3ELNS1_11target_archE908ELNS1_3gpuE7ELNS1_3repE0EEENS1_30default_config_static_selectorELNS0_4arch9wavefront6targetE0EEEvT1_: ; @_ZN7rocprim17ROCPRIM_400000_NS6detail17trampoline_kernelINS0_14default_configENS1_27scan_by_key_config_selectorIj11FixedVectorIiLj8EEEEZZNS1_16scan_by_key_implILNS1_25lookback_scan_determinismE0ELb1ES3_N6thrust23THRUST_200600_302600_NS6detail15normal_iteratorINSB_10device_ptrIjEEEENSD_INSE_IS6_EEEESI_S6_NSB_4plusIvEENSB_8equal_toIvEES6_EE10hipError_tPvRmT2_T3_T4_T5_mT6_T7_P12ihipStream_tbENKUlT_T0_E_clISt17integral_constantIbLb0EES13_EEDaSY_SZ_EUlSY_E_NS1_11comp_targetILNS1_3genE3ELNS1_11target_archE908ELNS1_3gpuE7ELNS1_3repE0EEENS1_30default_config_static_selectorELNS0_4arch9wavefront6targetE0EEEvT1_
; %bb.0:
	.section	.rodata,"a",@progbits
	.p2align	6, 0x0
	.amdhsa_kernel _ZN7rocprim17ROCPRIM_400000_NS6detail17trampoline_kernelINS0_14default_configENS1_27scan_by_key_config_selectorIj11FixedVectorIiLj8EEEEZZNS1_16scan_by_key_implILNS1_25lookback_scan_determinismE0ELb1ES3_N6thrust23THRUST_200600_302600_NS6detail15normal_iteratorINSB_10device_ptrIjEEEENSD_INSE_IS6_EEEESI_S6_NSB_4plusIvEENSB_8equal_toIvEES6_EE10hipError_tPvRmT2_T3_T4_T5_mT6_T7_P12ihipStream_tbENKUlT_T0_E_clISt17integral_constantIbLb0EES13_EEDaSY_SZ_EUlSY_E_NS1_11comp_targetILNS1_3genE3ELNS1_11target_archE908ELNS1_3gpuE7ELNS1_3repE0EEENS1_30default_config_static_selectorELNS0_4arch9wavefront6targetE0EEEvT1_
		.amdhsa_group_segment_fixed_size 0
		.amdhsa_private_segment_fixed_size 0
		.amdhsa_kernarg_size 160
		.amdhsa_user_sgpr_count 6
		.amdhsa_user_sgpr_private_segment_buffer 1
		.amdhsa_user_sgpr_dispatch_ptr 0
		.amdhsa_user_sgpr_queue_ptr 0
		.amdhsa_user_sgpr_kernarg_segment_ptr 1
		.amdhsa_user_sgpr_dispatch_id 0
		.amdhsa_user_sgpr_flat_scratch_init 0
		.amdhsa_user_sgpr_private_segment_size 0
		.amdhsa_wavefront_size32 1
		.amdhsa_uses_dynamic_stack 0
		.amdhsa_system_sgpr_private_segment_wavefront_offset 0
		.amdhsa_system_sgpr_workgroup_id_x 1
		.amdhsa_system_sgpr_workgroup_id_y 0
		.amdhsa_system_sgpr_workgroup_id_z 0
		.amdhsa_system_sgpr_workgroup_info 0
		.amdhsa_system_vgpr_workitem_id 0
		.amdhsa_next_free_vgpr 1
		.amdhsa_next_free_sgpr 1
		.amdhsa_reserve_vcc 0
		.amdhsa_reserve_flat_scratch 0
		.amdhsa_float_round_mode_32 0
		.amdhsa_float_round_mode_16_64 0
		.amdhsa_float_denorm_mode_32 3
		.amdhsa_float_denorm_mode_16_64 3
		.amdhsa_dx10_clamp 1
		.amdhsa_ieee_mode 1
		.amdhsa_fp16_overflow 0
		.amdhsa_workgroup_processor_mode 1
		.amdhsa_memory_ordered 1
		.amdhsa_forward_progress 1
		.amdhsa_shared_vgpr_count 0
		.amdhsa_exception_fp_ieee_invalid_op 0
		.amdhsa_exception_fp_denorm_src 0
		.amdhsa_exception_fp_ieee_div_zero 0
		.amdhsa_exception_fp_ieee_overflow 0
		.amdhsa_exception_fp_ieee_underflow 0
		.amdhsa_exception_fp_ieee_inexact 0
		.amdhsa_exception_int_div_zero 0
	.end_amdhsa_kernel
	.section	.text._ZN7rocprim17ROCPRIM_400000_NS6detail17trampoline_kernelINS0_14default_configENS1_27scan_by_key_config_selectorIj11FixedVectorIiLj8EEEEZZNS1_16scan_by_key_implILNS1_25lookback_scan_determinismE0ELb1ES3_N6thrust23THRUST_200600_302600_NS6detail15normal_iteratorINSB_10device_ptrIjEEEENSD_INSE_IS6_EEEESI_S6_NSB_4plusIvEENSB_8equal_toIvEES6_EE10hipError_tPvRmT2_T3_T4_T5_mT6_T7_P12ihipStream_tbENKUlT_T0_E_clISt17integral_constantIbLb0EES13_EEDaSY_SZ_EUlSY_E_NS1_11comp_targetILNS1_3genE3ELNS1_11target_archE908ELNS1_3gpuE7ELNS1_3repE0EEENS1_30default_config_static_selectorELNS0_4arch9wavefront6targetE0EEEvT1_,"axG",@progbits,_ZN7rocprim17ROCPRIM_400000_NS6detail17trampoline_kernelINS0_14default_configENS1_27scan_by_key_config_selectorIj11FixedVectorIiLj8EEEEZZNS1_16scan_by_key_implILNS1_25lookback_scan_determinismE0ELb1ES3_N6thrust23THRUST_200600_302600_NS6detail15normal_iteratorINSB_10device_ptrIjEEEENSD_INSE_IS6_EEEESI_S6_NSB_4plusIvEENSB_8equal_toIvEES6_EE10hipError_tPvRmT2_T3_T4_T5_mT6_T7_P12ihipStream_tbENKUlT_T0_E_clISt17integral_constantIbLb0EES13_EEDaSY_SZ_EUlSY_E_NS1_11comp_targetILNS1_3genE3ELNS1_11target_archE908ELNS1_3gpuE7ELNS1_3repE0EEENS1_30default_config_static_selectorELNS0_4arch9wavefront6targetE0EEEvT1_,comdat
.Lfunc_end2161:
	.size	_ZN7rocprim17ROCPRIM_400000_NS6detail17trampoline_kernelINS0_14default_configENS1_27scan_by_key_config_selectorIj11FixedVectorIiLj8EEEEZZNS1_16scan_by_key_implILNS1_25lookback_scan_determinismE0ELb1ES3_N6thrust23THRUST_200600_302600_NS6detail15normal_iteratorINSB_10device_ptrIjEEEENSD_INSE_IS6_EEEESI_S6_NSB_4plusIvEENSB_8equal_toIvEES6_EE10hipError_tPvRmT2_T3_T4_T5_mT6_T7_P12ihipStream_tbENKUlT_T0_E_clISt17integral_constantIbLb0EES13_EEDaSY_SZ_EUlSY_E_NS1_11comp_targetILNS1_3genE3ELNS1_11target_archE908ELNS1_3gpuE7ELNS1_3repE0EEENS1_30default_config_static_selectorELNS0_4arch9wavefront6targetE0EEEvT1_, .Lfunc_end2161-_ZN7rocprim17ROCPRIM_400000_NS6detail17trampoline_kernelINS0_14default_configENS1_27scan_by_key_config_selectorIj11FixedVectorIiLj8EEEEZZNS1_16scan_by_key_implILNS1_25lookback_scan_determinismE0ELb1ES3_N6thrust23THRUST_200600_302600_NS6detail15normal_iteratorINSB_10device_ptrIjEEEENSD_INSE_IS6_EEEESI_S6_NSB_4plusIvEENSB_8equal_toIvEES6_EE10hipError_tPvRmT2_T3_T4_T5_mT6_T7_P12ihipStream_tbENKUlT_T0_E_clISt17integral_constantIbLb0EES13_EEDaSY_SZ_EUlSY_E_NS1_11comp_targetILNS1_3genE3ELNS1_11target_archE908ELNS1_3gpuE7ELNS1_3repE0EEENS1_30default_config_static_selectorELNS0_4arch9wavefront6targetE0EEEvT1_
                                        ; -- End function
	.set _ZN7rocprim17ROCPRIM_400000_NS6detail17trampoline_kernelINS0_14default_configENS1_27scan_by_key_config_selectorIj11FixedVectorIiLj8EEEEZZNS1_16scan_by_key_implILNS1_25lookback_scan_determinismE0ELb1ES3_N6thrust23THRUST_200600_302600_NS6detail15normal_iteratorINSB_10device_ptrIjEEEENSD_INSE_IS6_EEEESI_S6_NSB_4plusIvEENSB_8equal_toIvEES6_EE10hipError_tPvRmT2_T3_T4_T5_mT6_T7_P12ihipStream_tbENKUlT_T0_E_clISt17integral_constantIbLb0EES13_EEDaSY_SZ_EUlSY_E_NS1_11comp_targetILNS1_3genE3ELNS1_11target_archE908ELNS1_3gpuE7ELNS1_3repE0EEENS1_30default_config_static_selectorELNS0_4arch9wavefront6targetE0EEEvT1_.num_vgpr, 0
	.set _ZN7rocprim17ROCPRIM_400000_NS6detail17trampoline_kernelINS0_14default_configENS1_27scan_by_key_config_selectorIj11FixedVectorIiLj8EEEEZZNS1_16scan_by_key_implILNS1_25lookback_scan_determinismE0ELb1ES3_N6thrust23THRUST_200600_302600_NS6detail15normal_iteratorINSB_10device_ptrIjEEEENSD_INSE_IS6_EEEESI_S6_NSB_4plusIvEENSB_8equal_toIvEES6_EE10hipError_tPvRmT2_T3_T4_T5_mT6_T7_P12ihipStream_tbENKUlT_T0_E_clISt17integral_constantIbLb0EES13_EEDaSY_SZ_EUlSY_E_NS1_11comp_targetILNS1_3genE3ELNS1_11target_archE908ELNS1_3gpuE7ELNS1_3repE0EEENS1_30default_config_static_selectorELNS0_4arch9wavefront6targetE0EEEvT1_.num_agpr, 0
	.set _ZN7rocprim17ROCPRIM_400000_NS6detail17trampoline_kernelINS0_14default_configENS1_27scan_by_key_config_selectorIj11FixedVectorIiLj8EEEEZZNS1_16scan_by_key_implILNS1_25lookback_scan_determinismE0ELb1ES3_N6thrust23THRUST_200600_302600_NS6detail15normal_iteratorINSB_10device_ptrIjEEEENSD_INSE_IS6_EEEESI_S6_NSB_4plusIvEENSB_8equal_toIvEES6_EE10hipError_tPvRmT2_T3_T4_T5_mT6_T7_P12ihipStream_tbENKUlT_T0_E_clISt17integral_constantIbLb0EES13_EEDaSY_SZ_EUlSY_E_NS1_11comp_targetILNS1_3genE3ELNS1_11target_archE908ELNS1_3gpuE7ELNS1_3repE0EEENS1_30default_config_static_selectorELNS0_4arch9wavefront6targetE0EEEvT1_.numbered_sgpr, 0
	.set _ZN7rocprim17ROCPRIM_400000_NS6detail17trampoline_kernelINS0_14default_configENS1_27scan_by_key_config_selectorIj11FixedVectorIiLj8EEEEZZNS1_16scan_by_key_implILNS1_25lookback_scan_determinismE0ELb1ES3_N6thrust23THRUST_200600_302600_NS6detail15normal_iteratorINSB_10device_ptrIjEEEENSD_INSE_IS6_EEEESI_S6_NSB_4plusIvEENSB_8equal_toIvEES6_EE10hipError_tPvRmT2_T3_T4_T5_mT6_T7_P12ihipStream_tbENKUlT_T0_E_clISt17integral_constantIbLb0EES13_EEDaSY_SZ_EUlSY_E_NS1_11comp_targetILNS1_3genE3ELNS1_11target_archE908ELNS1_3gpuE7ELNS1_3repE0EEENS1_30default_config_static_selectorELNS0_4arch9wavefront6targetE0EEEvT1_.num_named_barrier, 0
	.set _ZN7rocprim17ROCPRIM_400000_NS6detail17trampoline_kernelINS0_14default_configENS1_27scan_by_key_config_selectorIj11FixedVectorIiLj8EEEEZZNS1_16scan_by_key_implILNS1_25lookback_scan_determinismE0ELb1ES3_N6thrust23THRUST_200600_302600_NS6detail15normal_iteratorINSB_10device_ptrIjEEEENSD_INSE_IS6_EEEESI_S6_NSB_4plusIvEENSB_8equal_toIvEES6_EE10hipError_tPvRmT2_T3_T4_T5_mT6_T7_P12ihipStream_tbENKUlT_T0_E_clISt17integral_constantIbLb0EES13_EEDaSY_SZ_EUlSY_E_NS1_11comp_targetILNS1_3genE3ELNS1_11target_archE908ELNS1_3gpuE7ELNS1_3repE0EEENS1_30default_config_static_selectorELNS0_4arch9wavefront6targetE0EEEvT1_.private_seg_size, 0
	.set _ZN7rocprim17ROCPRIM_400000_NS6detail17trampoline_kernelINS0_14default_configENS1_27scan_by_key_config_selectorIj11FixedVectorIiLj8EEEEZZNS1_16scan_by_key_implILNS1_25lookback_scan_determinismE0ELb1ES3_N6thrust23THRUST_200600_302600_NS6detail15normal_iteratorINSB_10device_ptrIjEEEENSD_INSE_IS6_EEEESI_S6_NSB_4plusIvEENSB_8equal_toIvEES6_EE10hipError_tPvRmT2_T3_T4_T5_mT6_T7_P12ihipStream_tbENKUlT_T0_E_clISt17integral_constantIbLb0EES13_EEDaSY_SZ_EUlSY_E_NS1_11comp_targetILNS1_3genE3ELNS1_11target_archE908ELNS1_3gpuE7ELNS1_3repE0EEENS1_30default_config_static_selectorELNS0_4arch9wavefront6targetE0EEEvT1_.uses_vcc, 0
	.set _ZN7rocprim17ROCPRIM_400000_NS6detail17trampoline_kernelINS0_14default_configENS1_27scan_by_key_config_selectorIj11FixedVectorIiLj8EEEEZZNS1_16scan_by_key_implILNS1_25lookback_scan_determinismE0ELb1ES3_N6thrust23THRUST_200600_302600_NS6detail15normal_iteratorINSB_10device_ptrIjEEEENSD_INSE_IS6_EEEESI_S6_NSB_4plusIvEENSB_8equal_toIvEES6_EE10hipError_tPvRmT2_T3_T4_T5_mT6_T7_P12ihipStream_tbENKUlT_T0_E_clISt17integral_constantIbLb0EES13_EEDaSY_SZ_EUlSY_E_NS1_11comp_targetILNS1_3genE3ELNS1_11target_archE908ELNS1_3gpuE7ELNS1_3repE0EEENS1_30default_config_static_selectorELNS0_4arch9wavefront6targetE0EEEvT1_.uses_flat_scratch, 0
	.set _ZN7rocprim17ROCPRIM_400000_NS6detail17trampoline_kernelINS0_14default_configENS1_27scan_by_key_config_selectorIj11FixedVectorIiLj8EEEEZZNS1_16scan_by_key_implILNS1_25lookback_scan_determinismE0ELb1ES3_N6thrust23THRUST_200600_302600_NS6detail15normal_iteratorINSB_10device_ptrIjEEEENSD_INSE_IS6_EEEESI_S6_NSB_4plusIvEENSB_8equal_toIvEES6_EE10hipError_tPvRmT2_T3_T4_T5_mT6_T7_P12ihipStream_tbENKUlT_T0_E_clISt17integral_constantIbLb0EES13_EEDaSY_SZ_EUlSY_E_NS1_11comp_targetILNS1_3genE3ELNS1_11target_archE908ELNS1_3gpuE7ELNS1_3repE0EEENS1_30default_config_static_selectorELNS0_4arch9wavefront6targetE0EEEvT1_.has_dyn_sized_stack, 0
	.set _ZN7rocprim17ROCPRIM_400000_NS6detail17trampoline_kernelINS0_14default_configENS1_27scan_by_key_config_selectorIj11FixedVectorIiLj8EEEEZZNS1_16scan_by_key_implILNS1_25lookback_scan_determinismE0ELb1ES3_N6thrust23THRUST_200600_302600_NS6detail15normal_iteratorINSB_10device_ptrIjEEEENSD_INSE_IS6_EEEESI_S6_NSB_4plusIvEENSB_8equal_toIvEES6_EE10hipError_tPvRmT2_T3_T4_T5_mT6_T7_P12ihipStream_tbENKUlT_T0_E_clISt17integral_constantIbLb0EES13_EEDaSY_SZ_EUlSY_E_NS1_11comp_targetILNS1_3genE3ELNS1_11target_archE908ELNS1_3gpuE7ELNS1_3repE0EEENS1_30default_config_static_selectorELNS0_4arch9wavefront6targetE0EEEvT1_.has_recursion, 0
	.set _ZN7rocprim17ROCPRIM_400000_NS6detail17trampoline_kernelINS0_14default_configENS1_27scan_by_key_config_selectorIj11FixedVectorIiLj8EEEEZZNS1_16scan_by_key_implILNS1_25lookback_scan_determinismE0ELb1ES3_N6thrust23THRUST_200600_302600_NS6detail15normal_iteratorINSB_10device_ptrIjEEEENSD_INSE_IS6_EEEESI_S6_NSB_4plusIvEENSB_8equal_toIvEES6_EE10hipError_tPvRmT2_T3_T4_T5_mT6_T7_P12ihipStream_tbENKUlT_T0_E_clISt17integral_constantIbLb0EES13_EEDaSY_SZ_EUlSY_E_NS1_11comp_targetILNS1_3genE3ELNS1_11target_archE908ELNS1_3gpuE7ELNS1_3repE0EEENS1_30default_config_static_selectorELNS0_4arch9wavefront6targetE0EEEvT1_.has_indirect_call, 0
	.section	.AMDGPU.csdata,"",@progbits
; Kernel info:
; codeLenInByte = 0
; TotalNumSgprs: 0
; NumVgprs: 0
; ScratchSize: 0
; MemoryBound: 0
; FloatMode: 240
; IeeeMode: 1
; LDSByteSize: 0 bytes/workgroup (compile time only)
; SGPRBlocks: 0
; VGPRBlocks: 0
; NumSGPRsForWavesPerEU: 1
; NumVGPRsForWavesPerEU: 1
; Occupancy: 16
; WaveLimiterHint : 0
; COMPUTE_PGM_RSRC2:SCRATCH_EN: 0
; COMPUTE_PGM_RSRC2:USER_SGPR: 6
; COMPUTE_PGM_RSRC2:TRAP_HANDLER: 0
; COMPUTE_PGM_RSRC2:TGID_X_EN: 1
; COMPUTE_PGM_RSRC2:TGID_Y_EN: 0
; COMPUTE_PGM_RSRC2:TGID_Z_EN: 0
; COMPUTE_PGM_RSRC2:TIDIG_COMP_CNT: 0
	.section	.text._ZN7rocprim17ROCPRIM_400000_NS6detail17trampoline_kernelINS0_14default_configENS1_27scan_by_key_config_selectorIj11FixedVectorIiLj8EEEEZZNS1_16scan_by_key_implILNS1_25lookback_scan_determinismE0ELb1ES3_N6thrust23THRUST_200600_302600_NS6detail15normal_iteratorINSB_10device_ptrIjEEEENSD_INSE_IS6_EEEESI_S6_NSB_4plusIvEENSB_8equal_toIvEES6_EE10hipError_tPvRmT2_T3_T4_T5_mT6_T7_P12ihipStream_tbENKUlT_T0_E_clISt17integral_constantIbLb0EES13_EEDaSY_SZ_EUlSY_E_NS1_11comp_targetILNS1_3genE2ELNS1_11target_archE906ELNS1_3gpuE6ELNS1_3repE0EEENS1_30default_config_static_selectorELNS0_4arch9wavefront6targetE0EEEvT1_,"axG",@progbits,_ZN7rocprim17ROCPRIM_400000_NS6detail17trampoline_kernelINS0_14default_configENS1_27scan_by_key_config_selectorIj11FixedVectorIiLj8EEEEZZNS1_16scan_by_key_implILNS1_25lookback_scan_determinismE0ELb1ES3_N6thrust23THRUST_200600_302600_NS6detail15normal_iteratorINSB_10device_ptrIjEEEENSD_INSE_IS6_EEEESI_S6_NSB_4plusIvEENSB_8equal_toIvEES6_EE10hipError_tPvRmT2_T3_T4_T5_mT6_T7_P12ihipStream_tbENKUlT_T0_E_clISt17integral_constantIbLb0EES13_EEDaSY_SZ_EUlSY_E_NS1_11comp_targetILNS1_3genE2ELNS1_11target_archE906ELNS1_3gpuE6ELNS1_3repE0EEENS1_30default_config_static_selectorELNS0_4arch9wavefront6targetE0EEEvT1_,comdat
	.protected	_ZN7rocprim17ROCPRIM_400000_NS6detail17trampoline_kernelINS0_14default_configENS1_27scan_by_key_config_selectorIj11FixedVectorIiLj8EEEEZZNS1_16scan_by_key_implILNS1_25lookback_scan_determinismE0ELb1ES3_N6thrust23THRUST_200600_302600_NS6detail15normal_iteratorINSB_10device_ptrIjEEEENSD_INSE_IS6_EEEESI_S6_NSB_4plusIvEENSB_8equal_toIvEES6_EE10hipError_tPvRmT2_T3_T4_T5_mT6_T7_P12ihipStream_tbENKUlT_T0_E_clISt17integral_constantIbLb0EES13_EEDaSY_SZ_EUlSY_E_NS1_11comp_targetILNS1_3genE2ELNS1_11target_archE906ELNS1_3gpuE6ELNS1_3repE0EEENS1_30default_config_static_selectorELNS0_4arch9wavefront6targetE0EEEvT1_ ; -- Begin function _ZN7rocprim17ROCPRIM_400000_NS6detail17trampoline_kernelINS0_14default_configENS1_27scan_by_key_config_selectorIj11FixedVectorIiLj8EEEEZZNS1_16scan_by_key_implILNS1_25lookback_scan_determinismE0ELb1ES3_N6thrust23THRUST_200600_302600_NS6detail15normal_iteratorINSB_10device_ptrIjEEEENSD_INSE_IS6_EEEESI_S6_NSB_4plusIvEENSB_8equal_toIvEES6_EE10hipError_tPvRmT2_T3_T4_T5_mT6_T7_P12ihipStream_tbENKUlT_T0_E_clISt17integral_constantIbLb0EES13_EEDaSY_SZ_EUlSY_E_NS1_11comp_targetILNS1_3genE2ELNS1_11target_archE906ELNS1_3gpuE6ELNS1_3repE0EEENS1_30default_config_static_selectorELNS0_4arch9wavefront6targetE0EEEvT1_
	.globl	_ZN7rocprim17ROCPRIM_400000_NS6detail17trampoline_kernelINS0_14default_configENS1_27scan_by_key_config_selectorIj11FixedVectorIiLj8EEEEZZNS1_16scan_by_key_implILNS1_25lookback_scan_determinismE0ELb1ES3_N6thrust23THRUST_200600_302600_NS6detail15normal_iteratorINSB_10device_ptrIjEEEENSD_INSE_IS6_EEEESI_S6_NSB_4plusIvEENSB_8equal_toIvEES6_EE10hipError_tPvRmT2_T3_T4_T5_mT6_T7_P12ihipStream_tbENKUlT_T0_E_clISt17integral_constantIbLb0EES13_EEDaSY_SZ_EUlSY_E_NS1_11comp_targetILNS1_3genE2ELNS1_11target_archE906ELNS1_3gpuE6ELNS1_3repE0EEENS1_30default_config_static_selectorELNS0_4arch9wavefront6targetE0EEEvT1_
	.p2align	8
	.type	_ZN7rocprim17ROCPRIM_400000_NS6detail17trampoline_kernelINS0_14default_configENS1_27scan_by_key_config_selectorIj11FixedVectorIiLj8EEEEZZNS1_16scan_by_key_implILNS1_25lookback_scan_determinismE0ELb1ES3_N6thrust23THRUST_200600_302600_NS6detail15normal_iteratorINSB_10device_ptrIjEEEENSD_INSE_IS6_EEEESI_S6_NSB_4plusIvEENSB_8equal_toIvEES6_EE10hipError_tPvRmT2_T3_T4_T5_mT6_T7_P12ihipStream_tbENKUlT_T0_E_clISt17integral_constantIbLb0EES13_EEDaSY_SZ_EUlSY_E_NS1_11comp_targetILNS1_3genE2ELNS1_11target_archE906ELNS1_3gpuE6ELNS1_3repE0EEENS1_30default_config_static_selectorELNS0_4arch9wavefront6targetE0EEEvT1_,@function
_ZN7rocprim17ROCPRIM_400000_NS6detail17trampoline_kernelINS0_14default_configENS1_27scan_by_key_config_selectorIj11FixedVectorIiLj8EEEEZZNS1_16scan_by_key_implILNS1_25lookback_scan_determinismE0ELb1ES3_N6thrust23THRUST_200600_302600_NS6detail15normal_iteratorINSB_10device_ptrIjEEEENSD_INSE_IS6_EEEESI_S6_NSB_4plusIvEENSB_8equal_toIvEES6_EE10hipError_tPvRmT2_T3_T4_T5_mT6_T7_P12ihipStream_tbENKUlT_T0_E_clISt17integral_constantIbLb0EES13_EEDaSY_SZ_EUlSY_E_NS1_11comp_targetILNS1_3genE2ELNS1_11target_archE906ELNS1_3gpuE6ELNS1_3repE0EEENS1_30default_config_static_selectorELNS0_4arch9wavefront6targetE0EEEvT1_: ; @_ZN7rocprim17ROCPRIM_400000_NS6detail17trampoline_kernelINS0_14default_configENS1_27scan_by_key_config_selectorIj11FixedVectorIiLj8EEEEZZNS1_16scan_by_key_implILNS1_25lookback_scan_determinismE0ELb1ES3_N6thrust23THRUST_200600_302600_NS6detail15normal_iteratorINSB_10device_ptrIjEEEENSD_INSE_IS6_EEEESI_S6_NSB_4plusIvEENSB_8equal_toIvEES6_EE10hipError_tPvRmT2_T3_T4_T5_mT6_T7_P12ihipStream_tbENKUlT_T0_E_clISt17integral_constantIbLb0EES13_EEDaSY_SZ_EUlSY_E_NS1_11comp_targetILNS1_3genE2ELNS1_11target_archE906ELNS1_3gpuE6ELNS1_3repE0EEENS1_30default_config_static_selectorELNS0_4arch9wavefront6targetE0EEEvT1_
; %bb.0:
	.section	.rodata,"a",@progbits
	.p2align	6, 0x0
	.amdhsa_kernel _ZN7rocprim17ROCPRIM_400000_NS6detail17trampoline_kernelINS0_14default_configENS1_27scan_by_key_config_selectorIj11FixedVectorIiLj8EEEEZZNS1_16scan_by_key_implILNS1_25lookback_scan_determinismE0ELb1ES3_N6thrust23THRUST_200600_302600_NS6detail15normal_iteratorINSB_10device_ptrIjEEEENSD_INSE_IS6_EEEESI_S6_NSB_4plusIvEENSB_8equal_toIvEES6_EE10hipError_tPvRmT2_T3_T4_T5_mT6_T7_P12ihipStream_tbENKUlT_T0_E_clISt17integral_constantIbLb0EES13_EEDaSY_SZ_EUlSY_E_NS1_11comp_targetILNS1_3genE2ELNS1_11target_archE906ELNS1_3gpuE6ELNS1_3repE0EEENS1_30default_config_static_selectorELNS0_4arch9wavefront6targetE0EEEvT1_
		.amdhsa_group_segment_fixed_size 0
		.amdhsa_private_segment_fixed_size 0
		.amdhsa_kernarg_size 160
		.amdhsa_user_sgpr_count 6
		.amdhsa_user_sgpr_private_segment_buffer 1
		.amdhsa_user_sgpr_dispatch_ptr 0
		.amdhsa_user_sgpr_queue_ptr 0
		.amdhsa_user_sgpr_kernarg_segment_ptr 1
		.amdhsa_user_sgpr_dispatch_id 0
		.amdhsa_user_sgpr_flat_scratch_init 0
		.amdhsa_user_sgpr_private_segment_size 0
		.amdhsa_wavefront_size32 1
		.amdhsa_uses_dynamic_stack 0
		.amdhsa_system_sgpr_private_segment_wavefront_offset 0
		.amdhsa_system_sgpr_workgroup_id_x 1
		.amdhsa_system_sgpr_workgroup_id_y 0
		.amdhsa_system_sgpr_workgroup_id_z 0
		.amdhsa_system_sgpr_workgroup_info 0
		.amdhsa_system_vgpr_workitem_id 0
		.amdhsa_next_free_vgpr 1
		.amdhsa_next_free_sgpr 1
		.amdhsa_reserve_vcc 0
		.amdhsa_reserve_flat_scratch 0
		.amdhsa_float_round_mode_32 0
		.amdhsa_float_round_mode_16_64 0
		.amdhsa_float_denorm_mode_32 3
		.amdhsa_float_denorm_mode_16_64 3
		.amdhsa_dx10_clamp 1
		.amdhsa_ieee_mode 1
		.amdhsa_fp16_overflow 0
		.amdhsa_workgroup_processor_mode 1
		.amdhsa_memory_ordered 1
		.amdhsa_forward_progress 1
		.amdhsa_shared_vgpr_count 0
		.amdhsa_exception_fp_ieee_invalid_op 0
		.amdhsa_exception_fp_denorm_src 0
		.amdhsa_exception_fp_ieee_div_zero 0
		.amdhsa_exception_fp_ieee_overflow 0
		.amdhsa_exception_fp_ieee_underflow 0
		.amdhsa_exception_fp_ieee_inexact 0
		.amdhsa_exception_int_div_zero 0
	.end_amdhsa_kernel
	.section	.text._ZN7rocprim17ROCPRIM_400000_NS6detail17trampoline_kernelINS0_14default_configENS1_27scan_by_key_config_selectorIj11FixedVectorIiLj8EEEEZZNS1_16scan_by_key_implILNS1_25lookback_scan_determinismE0ELb1ES3_N6thrust23THRUST_200600_302600_NS6detail15normal_iteratorINSB_10device_ptrIjEEEENSD_INSE_IS6_EEEESI_S6_NSB_4plusIvEENSB_8equal_toIvEES6_EE10hipError_tPvRmT2_T3_T4_T5_mT6_T7_P12ihipStream_tbENKUlT_T0_E_clISt17integral_constantIbLb0EES13_EEDaSY_SZ_EUlSY_E_NS1_11comp_targetILNS1_3genE2ELNS1_11target_archE906ELNS1_3gpuE6ELNS1_3repE0EEENS1_30default_config_static_selectorELNS0_4arch9wavefront6targetE0EEEvT1_,"axG",@progbits,_ZN7rocprim17ROCPRIM_400000_NS6detail17trampoline_kernelINS0_14default_configENS1_27scan_by_key_config_selectorIj11FixedVectorIiLj8EEEEZZNS1_16scan_by_key_implILNS1_25lookback_scan_determinismE0ELb1ES3_N6thrust23THRUST_200600_302600_NS6detail15normal_iteratorINSB_10device_ptrIjEEEENSD_INSE_IS6_EEEESI_S6_NSB_4plusIvEENSB_8equal_toIvEES6_EE10hipError_tPvRmT2_T3_T4_T5_mT6_T7_P12ihipStream_tbENKUlT_T0_E_clISt17integral_constantIbLb0EES13_EEDaSY_SZ_EUlSY_E_NS1_11comp_targetILNS1_3genE2ELNS1_11target_archE906ELNS1_3gpuE6ELNS1_3repE0EEENS1_30default_config_static_selectorELNS0_4arch9wavefront6targetE0EEEvT1_,comdat
.Lfunc_end2162:
	.size	_ZN7rocprim17ROCPRIM_400000_NS6detail17trampoline_kernelINS0_14default_configENS1_27scan_by_key_config_selectorIj11FixedVectorIiLj8EEEEZZNS1_16scan_by_key_implILNS1_25lookback_scan_determinismE0ELb1ES3_N6thrust23THRUST_200600_302600_NS6detail15normal_iteratorINSB_10device_ptrIjEEEENSD_INSE_IS6_EEEESI_S6_NSB_4plusIvEENSB_8equal_toIvEES6_EE10hipError_tPvRmT2_T3_T4_T5_mT6_T7_P12ihipStream_tbENKUlT_T0_E_clISt17integral_constantIbLb0EES13_EEDaSY_SZ_EUlSY_E_NS1_11comp_targetILNS1_3genE2ELNS1_11target_archE906ELNS1_3gpuE6ELNS1_3repE0EEENS1_30default_config_static_selectorELNS0_4arch9wavefront6targetE0EEEvT1_, .Lfunc_end2162-_ZN7rocprim17ROCPRIM_400000_NS6detail17trampoline_kernelINS0_14default_configENS1_27scan_by_key_config_selectorIj11FixedVectorIiLj8EEEEZZNS1_16scan_by_key_implILNS1_25lookback_scan_determinismE0ELb1ES3_N6thrust23THRUST_200600_302600_NS6detail15normal_iteratorINSB_10device_ptrIjEEEENSD_INSE_IS6_EEEESI_S6_NSB_4plusIvEENSB_8equal_toIvEES6_EE10hipError_tPvRmT2_T3_T4_T5_mT6_T7_P12ihipStream_tbENKUlT_T0_E_clISt17integral_constantIbLb0EES13_EEDaSY_SZ_EUlSY_E_NS1_11comp_targetILNS1_3genE2ELNS1_11target_archE906ELNS1_3gpuE6ELNS1_3repE0EEENS1_30default_config_static_selectorELNS0_4arch9wavefront6targetE0EEEvT1_
                                        ; -- End function
	.set _ZN7rocprim17ROCPRIM_400000_NS6detail17trampoline_kernelINS0_14default_configENS1_27scan_by_key_config_selectorIj11FixedVectorIiLj8EEEEZZNS1_16scan_by_key_implILNS1_25lookback_scan_determinismE0ELb1ES3_N6thrust23THRUST_200600_302600_NS6detail15normal_iteratorINSB_10device_ptrIjEEEENSD_INSE_IS6_EEEESI_S6_NSB_4plusIvEENSB_8equal_toIvEES6_EE10hipError_tPvRmT2_T3_T4_T5_mT6_T7_P12ihipStream_tbENKUlT_T0_E_clISt17integral_constantIbLb0EES13_EEDaSY_SZ_EUlSY_E_NS1_11comp_targetILNS1_3genE2ELNS1_11target_archE906ELNS1_3gpuE6ELNS1_3repE0EEENS1_30default_config_static_selectorELNS0_4arch9wavefront6targetE0EEEvT1_.num_vgpr, 0
	.set _ZN7rocprim17ROCPRIM_400000_NS6detail17trampoline_kernelINS0_14default_configENS1_27scan_by_key_config_selectorIj11FixedVectorIiLj8EEEEZZNS1_16scan_by_key_implILNS1_25lookback_scan_determinismE0ELb1ES3_N6thrust23THRUST_200600_302600_NS6detail15normal_iteratorINSB_10device_ptrIjEEEENSD_INSE_IS6_EEEESI_S6_NSB_4plusIvEENSB_8equal_toIvEES6_EE10hipError_tPvRmT2_T3_T4_T5_mT6_T7_P12ihipStream_tbENKUlT_T0_E_clISt17integral_constantIbLb0EES13_EEDaSY_SZ_EUlSY_E_NS1_11comp_targetILNS1_3genE2ELNS1_11target_archE906ELNS1_3gpuE6ELNS1_3repE0EEENS1_30default_config_static_selectorELNS0_4arch9wavefront6targetE0EEEvT1_.num_agpr, 0
	.set _ZN7rocprim17ROCPRIM_400000_NS6detail17trampoline_kernelINS0_14default_configENS1_27scan_by_key_config_selectorIj11FixedVectorIiLj8EEEEZZNS1_16scan_by_key_implILNS1_25lookback_scan_determinismE0ELb1ES3_N6thrust23THRUST_200600_302600_NS6detail15normal_iteratorINSB_10device_ptrIjEEEENSD_INSE_IS6_EEEESI_S6_NSB_4plusIvEENSB_8equal_toIvEES6_EE10hipError_tPvRmT2_T3_T4_T5_mT6_T7_P12ihipStream_tbENKUlT_T0_E_clISt17integral_constantIbLb0EES13_EEDaSY_SZ_EUlSY_E_NS1_11comp_targetILNS1_3genE2ELNS1_11target_archE906ELNS1_3gpuE6ELNS1_3repE0EEENS1_30default_config_static_selectorELNS0_4arch9wavefront6targetE0EEEvT1_.numbered_sgpr, 0
	.set _ZN7rocprim17ROCPRIM_400000_NS6detail17trampoline_kernelINS0_14default_configENS1_27scan_by_key_config_selectorIj11FixedVectorIiLj8EEEEZZNS1_16scan_by_key_implILNS1_25lookback_scan_determinismE0ELb1ES3_N6thrust23THRUST_200600_302600_NS6detail15normal_iteratorINSB_10device_ptrIjEEEENSD_INSE_IS6_EEEESI_S6_NSB_4plusIvEENSB_8equal_toIvEES6_EE10hipError_tPvRmT2_T3_T4_T5_mT6_T7_P12ihipStream_tbENKUlT_T0_E_clISt17integral_constantIbLb0EES13_EEDaSY_SZ_EUlSY_E_NS1_11comp_targetILNS1_3genE2ELNS1_11target_archE906ELNS1_3gpuE6ELNS1_3repE0EEENS1_30default_config_static_selectorELNS0_4arch9wavefront6targetE0EEEvT1_.num_named_barrier, 0
	.set _ZN7rocprim17ROCPRIM_400000_NS6detail17trampoline_kernelINS0_14default_configENS1_27scan_by_key_config_selectorIj11FixedVectorIiLj8EEEEZZNS1_16scan_by_key_implILNS1_25lookback_scan_determinismE0ELb1ES3_N6thrust23THRUST_200600_302600_NS6detail15normal_iteratorINSB_10device_ptrIjEEEENSD_INSE_IS6_EEEESI_S6_NSB_4plusIvEENSB_8equal_toIvEES6_EE10hipError_tPvRmT2_T3_T4_T5_mT6_T7_P12ihipStream_tbENKUlT_T0_E_clISt17integral_constantIbLb0EES13_EEDaSY_SZ_EUlSY_E_NS1_11comp_targetILNS1_3genE2ELNS1_11target_archE906ELNS1_3gpuE6ELNS1_3repE0EEENS1_30default_config_static_selectorELNS0_4arch9wavefront6targetE0EEEvT1_.private_seg_size, 0
	.set _ZN7rocprim17ROCPRIM_400000_NS6detail17trampoline_kernelINS0_14default_configENS1_27scan_by_key_config_selectorIj11FixedVectorIiLj8EEEEZZNS1_16scan_by_key_implILNS1_25lookback_scan_determinismE0ELb1ES3_N6thrust23THRUST_200600_302600_NS6detail15normal_iteratorINSB_10device_ptrIjEEEENSD_INSE_IS6_EEEESI_S6_NSB_4plusIvEENSB_8equal_toIvEES6_EE10hipError_tPvRmT2_T3_T4_T5_mT6_T7_P12ihipStream_tbENKUlT_T0_E_clISt17integral_constantIbLb0EES13_EEDaSY_SZ_EUlSY_E_NS1_11comp_targetILNS1_3genE2ELNS1_11target_archE906ELNS1_3gpuE6ELNS1_3repE0EEENS1_30default_config_static_selectorELNS0_4arch9wavefront6targetE0EEEvT1_.uses_vcc, 0
	.set _ZN7rocprim17ROCPRIM_400000_NS6detail17trampoline_kernelINS0_14default_configENS1_27scan_by_key_config_selectorIj11FixedVectorIiLj8EEEEZZNS1_16scan_by_key_implILNS1_25lookback_scan_determinismE0ELb1ES3_N6thrust23THRUST_200600_302600_NS6detail15normal_iteratorINSB_10device_ptrIjEEEENSD_INSE_IS6_EEEESI_S6_NSB_4plusIvEENSB_8equal_toIvEES6_EE10hipError_tPvRmT2_T3_T4_T5_mT6_T7_P12ihipStream_tbENKUlT_T0_E_clISt17integral_constantIbLb0EES13_EEDaSY_SZ_EUlSY_E_NS1_11comp_targetILNS1_3genE2ELNS1_11target_archE906ELNS1_3gpuE6ELNS1_3repE0EEENS1_30default_config_static_selectorELNS0_4arch9wavefront6targetE0EEEvT1_.uses_flat_scratch, 0
	.set _ZN7rocprim17ROCPRIM_400000_NS6detail17trampoline_kernelINS0_14default_configENS1_27scan_by_key_config_selectorIj11FixedVectorIiLj8EEEEZZNS1_16scan_by_key_implILNS1_25lookback_scan_determinismE0ELb1ES3_N6thrust23THRUST_200600_302600_NS6detail15normal_iteratorINSB_10device_ptrIjEEEENSD_INSE_IS6_EEEESI_S6_NSB_4plusIvEENSB_8equal_toIvEES6_EE10hipError_tPvRmT2_T3_T4_T5_mT6_T7_P12ihipStream_tbENKUlT_T0_E_clISt17integral_constantIbLb0EES13_EEDaSY_SZ_EUlSY_E_NS1_11comp_targetILNS1_3genE2ELNS1_11target_archE906ELNS1_3gpuE6ELNS1_3repE0EEENS1_30default_config_static_selectorELNS0_4arch9wavefront6targetE0EEEvT1_.has_dyn_sized_stack, 0
	.set _ZN7rocprim17ROCPRIM_400000_NS6detail17trampoline_kernelINS0_14default_configENS1_27scan_by_key_config_selectorIj11FixedVectorIiLj8EEEEZZNS1_16scan_by_key_implILNS1_25lookback_scan_determinismE0ELb1ES3_N6thrust23THRUST_200600_302600_NS6detail15normal_iteratorINSB_10device_ptrIjEEEENSD_INSE_IS6_EEEESI_S6_NSB_4plusIvEENSB_8equal_toIvEES6_EE10hipError_tPvRmT2_T3_T4_T5_mT6_T7_P12ihipStream_tbENKUlT_T0_E_clISt17integral_constantIbLb0EES13_EEDaSY_SZ_EUlSY_E_NS1_11comp_targetILNS1_3genE2ELNS1_11target_archE906ELNS1_3gpuE6ELNS1_3repE0EEENS1_30default_config_static_selectorELNS0_4arch9wavefront6targetE0EEEvT1_.has_recursion, 0
	.set _ZN7rocprim17ROCPRIM_400000_NS6detail17trampoline_kernelINS0_14default_configENS1_27scan_by_key_config_selectorIj11FixedVectorIiLj8EEEEZZNS1_16scan_by_key_implILNS1_25lookback_scan_determinismE0ELb1ES3_N6thrust23THRUST_200600_302600_NS6detail15normal_iteratorINSB_10device_ptrIjEEEENSD_INSE_IS6_EEEESI_S6_NSB_4plusIvEENSB_8equal_toIvEES6_EE10hipError_tPvRmT2_T3_T4_T5_mT6_T7_P12ihipStream_tbENKUlT_T0_E_clISt17integral_constantIbLb0EES13_EEDaSY_SZ_EUlSY_E_NS1_11comp_targetILNS1_3genE2ELNS1_11target_archE906ELNS1_3gpuE6ELNS1_3repE0EEENS1_30default_config_static_selectorELNS0_4arch9wavefront6targetE0EEEvT1_.has_indirect_call, 0
	.section	.AMDGPU.csdata,"",@progbits
; Kernel info:
; codeLenInByte = 0
; TotalNumSgprs: 0
; NumVgprs: 0
; ScratchSize: 0
; MemoryBound: 0
; FloatMode: 240
; IeeeMode: 1
; LDSByteSize: 0 bytes/workgroup (compile time only)
; SGPRBlocks: 0
; VGPRBlocks: 0
; NumSGPRsForWavesPerEU: 1
; NumVGPRsForWavesPerEU: 1
; Occupancy: 16
; WaveLimiterHint : 0
; COMPUTE_PGM_RSRC2:SCRATCH_EN: 0
; COMPUTE_PGM_RSRC2:USER_SGPR: 6
; COMPUTE_PGM_RSRC2:TRAP_HANDLER: 0
; COMPUTE_PGM_RSRC2:TGID_X_EN: 1
; COMPUTE_PGM_RSRC2:TGID_Y_EN: 0
; COMPUTE_PGM_RSRC2:TGID_Z_EN: 0
; COMPUTE_PGM_RSRC2:TIDIG_COMP_CNT: 0
	.section	.text._ZN7rocprim17ROCPRIM_400000_NS6detail17trampoline_kernelINS0_14default_configENS1_27scan_by_key_config_selectorIj11FixedVectorIiLj8EEEEZZNS1_16scan_by_key_implILNS1_25lookback_scan_determinismE0ELb1ES3_N6thrust23THRUST_200600_302600_NS6detail15normal_iteratorINSB_10device_ptrIjEEEENSD_INSE_IS6_EEEESI_S6_NSB_4plusIvEENSB_8equal_toIvEES6_EE10hipError_tPvRmT2_T3_T4_T5_mT6_T7_P12ihipStream_tbENKUlT_T0_E_clISt17integral_constantIbLb0EES13_EEDaSY_SZ_EUlSY_E_NS1_11comp_targetILNS1_3genE10ELNS1_11target_archE1200ELNS1_3gpuE4ELNS1_3repE0EEENS1_30default_config_static_selectorELNS0_4arch9wavefront6targetE0EEEvT1_,"axG",@progbits,_ZN7rocprim17ROCPRIM_400000_NS6detail17trampoline_kernelINS0_14default_configENS1_27scan_by_key_config_selectorIj11FixedVectorIiLj8EEEEZZNS1_16scan_by_key_implILNS1_25lookback_scan_determinismE0ELb1ES3_N6thrust23THRUST_200600_302600_NS6detail15normal_iteratorINSB_10device_ptrIjEEEENSD_INSE_IS6_EEEESI_S6_NSB_4plusIvEENSB_8equal_toIvEES6_EE10hipError_tPvRmT2_T3_T4_T5_mT6_T7_P12ihipStream_tbENKUlT_T0_E_clISt17integral_constantIbLb0EES13_EEDaSY_SZ_EUlSY_E_NS1_11comp_targetILNS1_3genE10ELNS1_11target_archE1200ELNS1_3gpuE4ELNS1_3repE0EEENS1_30default_config_static_selectorELNS0_4arch9wavefront6targetE0EEEvT1_,comdat
	.protected	_ZN7rocprim17ROCPRIM_400000_NS6detail17trampoline_kernelINS0_14default_configENS1_27scan_by_key_config_selectorIj11FixedVectorIiLj8EEEEZZNS1_16scan_by_key_implILNS1_25lookback_scan_determinismE0ELb1ES3_N6thrust23THRUST_200600_302600_NS6detail15normal_iteratorINSB_10device_ptrIjEEEENSD_INSE_IS6_EEEESI_S6_NSB_4plusIvEENSB_8equal_toIvEES6_EE10hipError_tPvRmT2_T3_T4_T5_mT6_T7_P12ihipStream_tbENKUlT_T0_E_clISt17integral_constantIbLb0EES13_EEDaSY_SZ_EUlSY_E_NS1_11comp_targetILNS1_3genE10ELNS1_11target_archE1200ELNS1_3gpuE4ELNS1_3repE0EEENS1_30default_config_static_selectorELNS0_4arch9wavefront6targetE0EEEvT1_ ; -- Begin function _ZN7rocprim17ROCPRIM_400000_NS6detail17trampoline_kernelINS0_14default_configENS1_27scan_by_key_config_selectorIj11FixedVectorIiLj8EEEEZZNS1_16scan_by_key_implILNS1_25lookback_scan_determinismE0ELb1ES3_N6thrust23THRUST_200600_302600_NS6detail15normal_iteratorINSB_10device_ptrIjEEEENSD_INSE_IS6_EEEESI_S6_NSB_4plusIvEENSB_8equal_toIvEES6_EE10hipError_tPvRmT2_T3_T4_T5_mT6_T7_P12ihipStream_tbENKUlT_T0_E_clISt17integral_constantIbLb0EES13_EEDaSY_SZ_EUlSY_E_NS1_11comp_targetILNS1_3genE10ELNS1_11target_archE1200ELNS1_3gpuE4ELNS1_3repE0EEENS1_30default_config_static_selectorELNS0_4arch9wavefront6targetE0EEEvT1_
	.globl	_ZN7rocprim17ROCPRIM_400000_NS6detail17trampoline_kernelINS0_14default_configENS1_27scan_by_key_config_selectorIj11FixedVectorIiLj8EEEEZZNS1_16scan_by_key_implILNS1_25lookback_scan_determinismE0ELb1ES3_N6thrust23THRUST_200600_302600_NS6detail15normal_iteratorINSB_10device_ptrIjEEEENSD_INSE_IS6_EEEESI_S6_NSB_4plusIvEENSB_8equal_toIvEES6_EE10hipError_tPvRmT2_T3_T4_T5_mT6_T7_P12ihipStream_tbENKUlT_T0_E_clISt17integral_constantIbLb0EES13_EEDaSY_SZ_EUlSY_E_NS1_11comp_targetILNS1_3genE10ELNS1_11target_archE1200ELNS1_3gpuE4ELNS1_3repE0EEENS1_30default_config_static_selectorELNS0_4arch9wavefront6targetE0EEEvT1_
	.p2align	8
	.type	_ZN7rocprim17ROCPRIM_400000_NS6detail17trampoline_kernelINS0_14default_configENS1_27scan_by_key_config_selectorIj11FixedVectorIiLj8EEEEZZNS1_16scan_by_key_implILNS1_25lookback_scan_determinismE0ELb1ES3_N6thrust23THRUST_200600_302600_NS6detail15normal_iteratorINSB_10device_ptrIjEEEENSD_INSE_IS6_EEEESI_S6_NSB_4plusIvEENSB_8equal_toIvEES6_EE10hipError_tPvRmT2_T3_T4_T5_mT6_T7_P12ihipStream_tbENKUlT_T0_E_clISt17integral_constantIbLb0EES13_EEDaSY_SZ_EUlSY_E_NS1_11comp_targetILNS1_3genE10ELNS1_11target_archE1200ELNS1_3gpuE4ELNS1_3repE0EEENS1_30default_config_static_selectorELNS0_4arch9wavefront6targetE0EEEvT1_,@function
_ZN7rocprim17ROCPRIM_400000_NS6detail17trampoline_kernelINS0_14default_configENS1_27scan_by_key_config_selectorIj11FixedVectorIiLj8EEEEZZNS1_16scan_by_key_implILNS1_25lookback_scan_determinismE0ELb1ES3_N6thrust23THRUST_200600_302600_NS6detail15normal_iteratorINSB_10device_ptrIjEEEENSD_INSE_IS6_EEEESI_S6_NSB_4plusIvEENSB_8equal_toIvEES6_EE10hipError_tPvRmT2_T3_T4_T5_mT6_T7_P12ihipStream_tbENKUlT_T0_E_clISt17integral_constantIbLb0EES13_EEDaSY_SZ_EUlSY_E_NS1_11comp_targetILNS1_3genE10ELNS1_11target_archE1200ELNS1_3gpuE4ELNS1_3repE0EEENS1_30default_config_static_selectorELNS0_4arch9wavefront6targetE0EEEvT1_: ; @_ZN7rocprim17ROCPRIM_400000_NS6detail17trampoline_kernelINS0_14default_configENS1_27scan_by_key_config_selectorIj11FixedVectorIiLj8EEEEZZNS1_16scan_by_key_implILNS1_25lookback_scan_determinismE0ELb1ES3_N6thrust23THRUST_200600_302600_NS6detail15normal_iteratorINSB_10device_ptrIjEEEENSD_INSE_IS6_EEEESI_S6_NSB_4plusIvEENSB_8equal_toIvEES6_EE10hipError_tPvRmT2_T3_T4_T5_mT6_T7_P12ihipStream_tbENKUlT_T0_E_clISt17integral_constantIbLb0EES13_EEDaSY_SZ_EUlSY_E_NS1_11comp_targetILNS1_3genE10ELNS1_11target_archE1200ELNS1_3gpuE4ELNS1_3repE0EEENS1_30default_config_static_selectorELNS0_4arch9wavefront6targetE0EEEvT1_
; %bb.0:
	.section	.rodata,"a",@progbits
	.p2align	6, 0x0
	.amdhsa_kernel _ZN7rocprim17ROCPRIM_400000_NS6detail17trampoline_kernelINS0_14default_configENS1_27scan_by_key_config_selectorIj11FixedVectorIiLj8EEEEZZNS1_16scan_by_key_implILNS1_25lookback_scan_determinismE0ELb1ES3_N6thrust23THRUST_200600_302600_NS6detail15normal_iteratorINSB_10device_ptrIjEEEENSD_INSE_IS6_EEEESI_S6_NSB_4plusIvEENSB_8equal_toIvEES6_EE10hipError_tPvRmT2_T3_T4_T5_mT6_T7_P12ihipStream_tbENKUlT_T0_E_clISt17integral_constantIbLb0EES13_EEDaSY_SZ_EUlSY_E_NS1_11comp_targetILNS1_3genE10ELNS1_11target_archE1200ELNS1_3gpuE4ELNS1_3repE0EEENS1_30default_config_static_selectorELNS0_4arch9wavefront6targetE0EEEvT1_
		.amdhsa_group_segment_fixed_size 0
		.amdhsa_private_segment_fixed_size 0
		.amdhsa_kernarg_size 160
		.amdhsa_user_sgpr_count 6
		.amdhsa_user_sgpr_private_segment_buffer 1
		.amdhsa_user_sgpr_dispatch_ptr 0
		.amdhsa_user_sgpr_queue_ptr 0
		.amdhsa_user_sgpr_kernarg_segment_ptr 1
		.amdhsa_user_sgpr_dispatch_id 0
		.amdhsa_user_sgpr_flat_scratch_init 0
		.amdhsa_user_sgpr_private_segment_size 0
		.amdhsa_wavefront_size32 1
		.amdhsa_uses_dynamic_stack 0
		.amdhsa_system_sgpr_private_segment_wavefront_offset 0
		.amdhsa_system_sgpr_workgroup_id_x 1
		.amdhsa_system_sgpr_workgroup_id_y 0
		.amdhsa_system_sgpr_workgroup_id_z 0
		.amdhsa_system_sgpr_workgroup_info 0
		.amdhsa_system_vgpr_workitem_id 0
		.amdhsa_next_free_vgpr 1
		.amdhsa_next_free_sgpr 1
		.amdhsa_reserve_vcc 0
		.amdhsa_reserve_flat_scratch 0
		.amdhsa_float_round_mode_32 0
		.amdhsa_float_round_mode_16_64 0
		.amdhsa_float_denorm_mode_32 3
		.amdhsa_float_denorm_mode_16_64 3
		.amdhsa_dx10_clamp 1
		.amdhsa_ieee_mode 1
		.amdhsa_fp16_overflow 0
		.amdhsa_workgroup_processor_mode 1
		.amdhsa_memory_ordered 1
		.amdhsa_forward_progress 1
		.amdhsa_shared_vgpr_count 0
		.amdhsa_exception_fp_ieee_invalid_op 0
		.amdhsa_exception_fp_denorm_src 0
		.amdhsa_exception_fp_ieee_div_zero 0
		.amdhsa_exception_fp_ieee_overflow 0
		.amdhsa_exception_fp_ieee_underflow 0
		.amdhsa_exception_fp_ieee_inexact 0
		.amdhsa_exception_int_div_zero 0
	.end_amdhsa_kernel
	.section	.text._ZN7rocprim17ROCPRIM_400000_NS6detail17trampoline_kernelINS0_14default_configENS1_27scan_by_key_config_selectorIj11FixedVectorIiLj8EEEEZZNS1_16scan_by_key_implILNS1_25lookback_scan_determinismE0ELb1ES3_N6thrust23THRUST_200600_302600_NS6detail15normal_iteratorINSB_10device_ptrIjEEEENSD_INSE_IS6_EEEESI_S6_NSB_4plusIvEENSB_8equal_toIvEES6_EE10hipError_tPvRmT2_T3_T4_T5_mT6_T7_P12ihipStream_tbENKUlT_T0_E_clISt17integral_constantIbLb0EES13_EEDaSY_SZ_EUlSY_E_NS1_11comp_targetILNS1_3genE10ELNS1_11target_archE1200ELNS1_3gpuE4ELNS1_3repE0EEENS1_30default_config_static_selectorELNS0_4arch9wavefront6targetE0EEEvT1_,"axG",@progbits,_ZN7rocprim17ROCPRIM_400000_NS6detail17trampoline_kernelINS0_14default_configENS1_27scan_by_key_config_selectorIj11FixedVectorIiLj8EEEEZZNS1_16scan_by_key_implILNS1_25lookback_scan_determinismE0ELb1ES3_N6thrust23THRUST_200600_302600_NS6detail15normal_iteratorINSB_10device_ptrIjEEEENSD_INSE_IS6_EEEESI_S6_NSB_4plusIvEENSB_8equal_toIvEES6_EE10hipError_tPvRmT2_T3_T4_T5_mT6_T7_P12ihipStream_tbENKUlT_T0_E_clISt17integral_constantIbLb0EES13_EEDaSY_SZ_EUlSY_E_NS1_11comp_targetILNS1_3genE10ELNS1_11target_archE1200ELNS1_3gpuE4ELNS1_3repE0EEENS1_30default_config_static_selectorELNS0_4arch9wavefront6targetE0EEEvT1_,comdat
.Lfunc_end2163:
	.size	_ZN7rocprim17ROCPRIM_400000_NS6detail17trampoline_kernelINS0_14default_configENS1_27scan_by_key_config_selectorIj11FixedVectorIiLj8EEEEZZNS1_16scan_by_key_implILNS1_25lookback_scan_determinismE0ELb1ES3_N6thrust23THRUST_200600_302600_NS6detail15normal_iteratorINSB_10device_ptrIjEEEENSD_INSE_IS6_EEEESI_S6_NSB_4plusIvEENSB_8equal_toIvEES6_EE10hipError_tPvRmT2_T3_T4_T5_mT6_T7_P12ihipStream_tbENKUlT_T0_E_clISt17integral_constantIbLb0EES13_EEDaSY_SZ_EUlSY_E_NS1_11comp_targetILNS1_3genE10ELNS1_11target_archE1200ELNS1_3gpuE4ELNS1_3repE0EEENS1_30default_config_static_selectorELNS0_4arch9wavefront6targetE0EEEvT1_, .Lfunc_end2163-_ZN7rocprim17ROCPRIM_400000_NS6detail17trampoline_kernelINS0_14default_configENS1_27scan_by_key_config_selectorIj11FixedVectorIiLj8EEEEZZNS1_16scan_by_key_implILNS1_25lookback_scan_determinismE0ELb1ES3_N6thrust23THRUST_200600_302600_NS6detail15normal_iteratorINSB_10device_ptrIjEEEENSD_INSE_IS6_EEEESI_S6_NSB_4plusIvEENSB_8equal_toIvEES6_EE10hipError_tPvRmT2_T3_T4_T5_mT6_T7_P12ihipStream_tbENKUlT_T0_E_clISt17integral_constantIbLb0EES13_EEDaSY_SZ_EUlSY_E_NS1_11comp_targetILNS1_3genE10ELNS1_11target_archE1200ELNS1_3gpuE4ELNS1_3repE0EEENS1_30default_config_static_selectorELNS0_4arch9wavefront6targetE0EEEvT1_
                                        ; -- End function
	.set _ZN7rocprim17ROCPRIM_400000_NS6detail17trampoline_kernelINS0_14default_configENS1_27scan_by_key_config_selectorIj11FixedVectorIiLj8EEEEZZNS1_16scan_by_key_implILNS1_25lookback_scan_determinismE0ELb1ES3_N6thrust23THRUST_200600_302600_NS6detail15normal_iteratorINSB_10device_ptrIjEEEENSD_INSE_IS6_EEEESI_S6_NSB_4plusIvEENSB_8equal_toIvEES6_EE10hipError_tPvRmT2_T3_T4_T5_mT6_T7_P12ihipStream_tbENKUlT_T0_E_clISt17integral_constantIbLb0EES13_EEDaSY_SZ_EUlSY_E_NS1_11comp_targetILNS1_3genE10ELNS1_11target_archE1200ELNS1_3gpuE4ELNS1_3repE0EEENS1_30default_config_static_selectorELNS0_4arch9wavefront6targetE0EEEvT1_.num_vgpr, 0
	.set _ZN7rocprim17ROCPRIM_400000_NS6detail17trampoline_kernelINS0_14default_configENS1_27scan_by_key_config_selectorIj11FixedVectorIiLj8EEEEZZNS1_16scan_by_key_implILNS1_25lookback_scan_determinismE0ELb1ES3_N6thrust23THRUST_200600_302600_NS6detail15normal_iteratorINSB_10device_ptrIjEEEENSD_INSE_IS6_EEEESI_S6_NSB_4plusIvEENSB_8equal_toIvEES6_EE10hipError_tPvRmT2_T3_T4_T5_mT6_T7_P12ihipStream_tbENKUlT_T0_E_clISt17integral_constantIbLb0EES13_EEDaSY_SZ_EUlSY_E_NS1_11comp_targetILNS1_3genE10ELNS1_11target_archE1200ELNS1_3gpuE4ELNS1_3repE0EEENS1_30default_config_static_selectorELNS0_4arch9wavefront6targetE0EEEvT1_.num_agpr, 0
	.set _ZN7rocprim17ROCPRIM_400000_NS6detail17trampoline_kernelINS0_14default_configENS1_27scan_by_key_config_selectorIj11FixedVectorIiLj8EEEEZZNS1_16scan_by_key_implILNS1_25lookback_scan_determinismE0ELb1ES3_N6thrust23THRUST_200600_302600_NS6detail15normal_iteratorINSB_10device_ptrIjEEEENSD_INSE_IS6_EEEESI_S6_NSB_4plusIvEENSB_8equal_toIvEES6_EE10hipError_tPvRmT2_T3_T4_T5_mT6_T7_P12ihipStream_tbENKUlT_T0_E_clISt17integral_constantIbLb0EES13_EEDaSY_SZ_EUlSY_E_NS1_11comp_targetILNS1_3genE10ELNS1_11target_archE1200ELNS1_3gpuE4ELNS1_3repE0EEENS1_30default_config_static_selectorELNS0_4arch9wavefront6targetE0EEEvT1_.numbered_sgpr, 0
	.set _ZN7rocprim17ROCPRIM_400000_NS6detail17trampoline_kernelINS0_14default_configENS1_27scan_by_key_config_selectorIj11FixedVectorIiLj8EEEEZZNS1_16scan_by_key_implILNS1_25lookback_scan_determinismE0ELb1ES3_N6thrust23THRUST_200600_302600_NS6detail15normal_iteratorINSB_10device_ptrIjEEEENSD_INSE_IS6_EEEESI_S6_NSB_4plusIvEENSB_8equal_toIvEES6_EE10hipError_tPvRmT2_T3_T4_T5_mT6_T7_P12ihipStream_tbENKUlT_T0_E_clISt17integral_constantIbLb0EES13_EEDaSY_SZ_EUlSY_E_NS1_11comp_targetILNS1_3genE10ELNS1_11target_archE1200ELNS1_3gpuE4ELNS1_3repE0EEENS1_30default_config_static_selectorELNS0_4arch9wavefront6targetE0EEEvT1_.num_named_barrier, 0
	.set _ZN7rocprim17ROCPRIM_400000_NS6detail17trampoline_kernelINS0_14default_configENS1_27scan_by_key_config_selectorIj11FixedVectorIiLj8EEEEZZNS1_16scan_by_key_implILNS1_25lookback_scan_determinismE0ELb1ES3_N6thrust23THRUST_200600_302600_NS6detail15normal_iteratorINSB_10device_ptrIjEEEENSD_INSE_IS6_EEEESI_S6_NSB_4plusIvEENSB_8equal_toIvEES6_EE10hipError_tPvRmT2_T3_T4_T5_mT6_T7_P12ihipStream_tbENKUlT_T0_E_clISt17integral_constantIbLb0EES13_EEDaSY_SZ_EUlSY_E_NS1_11comp_targetILNS1_3genE10ELNS1_11target_archE1200ELNS1_3gpuE4ELNS1_3repE0EEENS1_30default_config_static_selectorELNS0_4arch9wavefront6targetE0EEEvT1_.private_seg_size, 0
	.set _ZN7rocprim17ROCPRIM_400000_NS6detail17trampoline_kernelINS0_14default_configENS1_27scan_by_key_config_selectorIj11FixedVectorIiLj8EEEEZZNS1_16scan_by_key_implILNS1_25lookback_scan_determinismE0ELb1ES3_N6thrust23THRUST_200600_302600_NS6detail15normal_iteratorINSB_10device_ptrIjEEEENSD_INSE_IS6_EEEESI_S6_NSB_4plusIvEENSB_8equal_toIvEES6_EE10hipError_tPvRmT2_T3_T4_T5_mT6_T7_P12ihipStream_tbENKUlT_T0_E_clISt17integral_constantIbLb0EES13_EEDaSY_SZ_EUlSY_E_NS1_11comp_targetILNS1_3genE10ELNS1_11target_archE1200ELNS1_3gpuE4ELNS1_3repE0EEENS1_30default_config_static_selectorELNS0_4arch9wavefront6targetE0EEEvT1_.uses_vcc, 0
	.set _ZN7rocprim17ROCPRIM_400000_NS6detail17trampoline_kernelINS0_14default_configENS1_27scan_by_key_config_selectorIj11FixedVectorIiLj8EEEEZZNS1_16scan_by_key_implILNS1_25lookback_scan_determinismE0ELb1ES3_N6thrust23THRUST_200600_302600_NS6detail15normal_iteratorINSB_10device_ptrIjEEEENSD_INSE_IS6_EEEESI_S6_NSB_4plusIvEENSB_8equal_toIvEES6_EE10hipError_tPvRmT2_T3_T4_T5_mT6_T7_P12ihipStream_tbENKUlT_T0_E_clISt17integral_constantIbLb0EES13_EEDaSY_SZ_EUlSY_E_NS1_11comp_targetILNS1_3genE10ELNS1_11target_archE1200ELNS1_3gpuE4ELNS1_3repE0EEENS1_30default_config_static_selectorELNS0_4arch9wavefront6targetE0EEEvT1_.uses_flat_scratch, 0
	.set _ZN7rocprim17ROCPRIM_400000_NS6detail17trampoline_kernelINS0_14default_configENS1_27scan_by_key_config_selectorIj11FixedVectorIiLj8EEEEZZNS1_16scan_by_key_implILNS1_25lookback_scan_determinismE0ELb1ES3_N6thrust23THRUST_200600_302600_NS6detail15normal_iteratorINSB_10device_ptrIjEEEENSD_INSE_IS6_EEEESI_S6_NSB_4plusIvEENSB_8equal_toIvEES6_EE10hipError_tPvRmT2_T3_T4_T5_mT6_T7_P12ihipStream_tbENKUlT_T0_E_clISt17integral_constantIbLb0EES13_EEDaSY_SZ_EUlSY_E_NS1_11comp_targetILNS1_3genE10ELNS1_11target_archE1200ELNS1_3gpuE4ELNS1_3repE0EEENS1_30default_config_static_selectorELNS0_4arch9wavefront6targetE0EEEvT1_.has_dyn_sized_stack, 0
	.set _ZN7rocprim17ROCPRIM_400000_NS6detail17trampoline_kernelINS0_14default_configENS1_27scan_by_key_config_selectorIj11FixedVectorIiLj8EEEEZZNS1_16scan_by_key_implILNS1_25lookback_scan_determinismE0ELb1ES3_N6thrust23THRUST_200600_302600_NS6detail15normal_iteratorINSB_10device_ptrIjEEEENSD_INSE_IS6_EEEESI_S6_NSB_4plusIvEENSB_8equal_toIvEES6_EE10hipError_tPvRmT2_T3_T4_T5_mT6_T7_P12ihipStream_tbENKUlT_T0_E_clISt17integral_constantIbLb0EES13_EEDaSY_SZ_EUlSY_E_NS1_11comp_targetILNS1_3genE10ELNS1_11target_archE1200ELNS1_3gpuE4ELNS1_3repE0EEENS1_30default_config_static_selectorELNS0_4arch9wavefront6targetE0EEEvT1_.has_recursion, 0
	.set _ZN7rocprim17ROCPRIM_400000_NS6detail17trampoline_kernelINS0_14default_configENS1_27scan_by_key_config_selectorIj11FixedVectorIiLj8EEEEZZNS1_16scan_by_key_implILNS1_25lookback_scan_determinismE0ELb1ES3_N6thrust23THRUST_200600_302600_NS6detail15normal_iteratorINSB_10device_ptrIjEEEENSD_INSE_IS6_EEEESI_S6_NSB_4plusIvEENSB_8equal_toIvEES6_EE10hipError_tPvRmT2_T3_T4_T5_mT6_T7_P12ihipStream_tbENKUlT_T0_E_clISt17integral_constantIbLb0EES13_EEDaSY_SZ_EUlSY_E_NS1_11comp_targetILNS1_3genE10ELNS1_11target_archE1200ELNS1_3gpuE4ELNS1_3repE0EEENS1_30default_config_static_selectorELNS0_4arch9wavefront6targetE0EEEvT1_.has_indirect_call, 0
	.section	.AMDGPU.csdata,"",@progbits
; Kernel info:
; codeLenInByte = 0
; TotalNumSgprs: 0
; NumVgprs: 0
; ScratchSize: 0
; MemoryBound: 0
; FloatMode: 240
; IeeeMode: 1
; LDSByteSize: 0 bytes/workgroup (compile time only)
; SGPRBlocks: 0
; VGPRBlocks: 0
; NumSGPRsForWavesPerEU: 1
; NumVGPRsForWavesPerEU: 1
; Occupancy: 16
; WaveLimiterHint : 0
; COMPUTE_PGM_RSRC2:SCRATCH_EN: 0
; COMPUTE_PGM_RSRC2:USER_SGPR: 6
; COMPUTE_PGM_RSRC2:TRAP_HANDLER: 0
; COMPUTE_PGM_RSRC2:TGID_X_EN: 1
; COMPUTE_PGM_RSRC2:TGID_Y_EN: 0
; COMPUTE_PGM_RSRC2:TGID_Z_EN: 0
; COMPUTE_PGM_RSRC2:TIDIG_COMP_CNT: 0
	.section	.text._ZN7rocprim17ROCPRIM_400000_NS6detail17trampoline_kernelINS0_14default_configENS1_27scan_by_key_config_selectorIj11FixedVectorIiLj8EEEEZZNS1_16scan_by_key_implILNS1_25lookback_scan_determinismE0ELb1ES3_N6thrust23THRUST_200600_302600_NS6detail15normal_iteratorINSB_10device_ptrIjEEEENSD_INSE_IS6_EEEESI_S6_NSB_4plusIvEENSB_8equal_toIvEES6_EE10hipError_tPvRmT2_T3_T4_T5_mT6_T7_P12ihipStream_tbENKUlT_T0_E_clISt17integral_constantIbLb0EES13_EEDaSY_SZ_EUlSY_E_NS1_11comp_targetILNS1_3genE9ELNS1_11target_archE1100ELNS1_3gpuE3ELNS1_3repE0EEENS1_30default_config_static_selectorELNS0_4arch9wavefront6targetE0EEEvT1_,"axG",@progbits,_ZN7rocprim17ROCPRIM_400000_NS6detail17trampoline_kernelINS0_14default_configENS1_27scan_by_key_config_selectorIj11FixedVectorIiLj8EEEEZZNS1_16scan_by_key_implILNS1_25lookback_scan_determinismE0ELb1ES3_N6thrust23THRUST_200600_302600_NS6detail15normal_iteratorINSB_10device_ptrIjEEEENSD_INSE_IS6_EEEESI_S6_NSB_4plusIvEENSB_8equal_toIvEES6_EE10hipError_tPvRmT2_T3_T4_T5_mT6_T7_P12ihipStream_tbENKUlT_T0_E_clISt17integral_constantIbLb0EES13_EEDaSY_SZ_EUlSY_E_NS1_11comp_targetILNS1_3genE9ELNS1_11target_archE1100ELNS1_3gpuE3ELNS1_3repE0EEENS1_30default_config_static_selectorELNS0_4arch9wavefront6targetE0EEEvT1_,comdat
	.protected	_ZN7rocprim17ROCPRIM_400000_NS6detail17trampoline_kernelINS0_14default_configENS1_27scan_by_key_config_selectorIj11FixedVectorIiLj8EEEEZZNS1_16scan_by_key_implILNS1_25lookback_scan_determinismE0ELb1ES3_N6thrust23THRUST_200600_302600_NS6detail15normal_iteratorINSB_10device_ptrIjEEEENSD_INSE_IS6_EEEESI_S6_NSB_4plusIvEENSB_8equal_toIvEES6_EE10hipError_tPvRmT2_T3_T4_T5_mT6_T7_P12ihipStream_tbENKUlT_T0_E_clISt17integral_constantIbLb0EES13_EEDaSY_SZ_EUlSY_E_NS1_11comp_targetILNS1_3genE9ELNS1_11target_archE1100ELNS1_3gpuE3ELNS1_3repE0EEENS1_30default_config_static_selectorELNS0_4arch9wavefront6targetE0EEEvT1_ ; -- Begin function _ZN7rocprim17ROCPRIM_400000_NS6detail17trampoline_kernelINS0_14default_configENS1_27scan_by_key_config_selectorIj11FixedVectorIiLj8EEEEZZNS1_16scan_by_key_implILNS1_25lookback_scan_determinismE0ELb1ES3_N6thrust23THRUST_200600_302600_NS6detail15normal_iteratorINSB_10device_ptrIjEEEENSD_INSE_IS6_EEEESI_S6_NSB_4plusIvEENSB_8equal_toIvEES6_EE10hipError_tPvRmT2_T3_T4_T5_mT6_T7_P12ihipStream_tbENKUlT_T0_E_clISt17integral_constantIbLb0EES13_EEDaSY_SZ_EUlSY_E_NS1_11comp_targetILNS1_3genE9ELNS1_11target_archE1100ELNS1_3gpuE3ELNS1_3repE0EEENS1_30default_config_static_selectorELNS0_4arch9wavefront6targetE0EEEvT1_
	.globl	_ZN7rocprim17ROCPRIM_400000_NS6detail17trampoline_kernelINS0_14default_configENS1_27scan_by_key_config_selectorIj11FixedVectorIiLj8EEEEZZNS1_16scan_by_key_implILNS1_25lookback_scan_determinismE0ELb1ES3_N6thrust23THRUST_200600_302600_NS6detail15normal_iteratorINSB_10device_ptrIjEEEENSD_INSE_IS6_EEEESI_S6_NSB_4plusIvEENSB_8equal_toIvEES6_EE10hipError_tPvRmT2_T3_T4_T5_mT6_T7_P12ihipStream_tbENKUlT_T0_E_clISt17integral_constantIbLb0EES13_EEDaSY_SZ_EUlSY_E_NS1_11comp_targetILNS1_3genE9ELNS1_11target_archE1100ELNS1_3gpuE3ELNS1_3repE0EEENS1_30default_config_static_selectorELNS0_4arch9wavefront6targetE0EEEvT1_
	.p2align	8
	.type	_ZN7rocprim17ROCPRIM_400000_NS6detail17trampoline_kernelINS0_14default_configENS1_27scan_by_key_config_selectorIj11FixedVectorIiLj8EEEEZZNS1_16scan_by_key_implILNS1_25lookback_scan_determinismE0ELb1ES3_N6thrust23THRUST_200600_302600_NS6detail15normal_iteratorINSB_10device_ptrIjEEEENSD_INSE_IS6_EEEESI_S6_NSB_4plusIvEENSB_8equal_toIvEES6_EE10hipError_tPvRmT2_T3_T4_T5_mT6_T7_P12ihipStream_tbENKUlT_T0_E_clISt17integral_constantIbLb0EES13_EEDaSY_SZ_EUlSY_E_NS1_11comp_targetILNS1_3genE9ELNS1_11target_archE1100ELNS1_3gpuE3ELNS1_3repE0EEENS1_30default_config_static_selectorELNS0_4arch9wavefront6targetE0EEEvT1_,@function
_ZN7rocprim17ROCPRIM_400000_NS6detail17trampoline_kernelINS0_14default_configENS1_27scan_by_key_config_selectorIj11FixedVectorIiLj8EEEEZZNS1_16scan_by_key_implILNS1_25lookback_scan_determinismE0ELb1ES3_N6thrust23THRUST_200600_302600_NS6detail15normal_iteratorINSB_10device_ptrIjEEEENSD_INSE_IS6_EEEESI_S6_NSB_4plusIvEENSB_8equal_toIvEES6_EE10hipError_tPvRmT2_T3_T4_T5_mT6_T7_P12ihipStream_tbENKUlT_T0_E_clISt17integral_constantIbLb0EES13_EEDaSY_SZ_EUlSY_E_NS1_11comp_targetILNS1_3genE9ELNS1_11target_archE1100ELNS1_3gpuE3ELNS1_3repE0EEENS1_30default_config_static_selectorELNS0_4arch9wavefront6targetE0EEEvT1_: ; @_ZN7rocprim17ROCPRIM_400000_NS6detail17trampoline_kernelINS0_14default_configENS1_27scan_by_key_config_selectorIj11FixedVectorIiLj8EEEEZZNS1_16scan_by_key_implILNS1_25lookback_scan_determinismE0ELb1ES3_N6thrust23THRUST_200600_302600_NS6detail15normal_iteratorINSB_10device_ptrIjEEEENSD_INSE_IS6_EEEESI_S6_NSB_4plusIvEENSB_8equal_toIvEES6_EE10hipError_tPvRmT2_T3_T4_T5_mT6_T7_P12ihipStream_tbENKUlT_T0_E_clISt17integral_constantIbLb0EES13_EEDaSY_SZ_EUlSY_E_NS1_11comp_targetILNS1_3genE9ELNS1_11target_archE1100ELNS1_3gpuE3ELNS1_3repE0EEENS1_30default_config_static_selectorELNS0_4arch9wavefront6targetE0EEEvT1_
; %bb.0:
	.section	.rodata,"a",@progbits
	.p2align	6, 0x0
	.amdhsa_kernel _ZN7rocprim17ROCPRIM_400000_NS6detail17trampoline_kernelINS0_14default_configENS1_27scan_by_key_config_selectorIj11FixedVectorIiLj8EEEEZZNS1_16scan_by_key_implILNS1_25lookback_scan_determinismE0ELb1ES3_N6thrust23THRUST_200600_302600_NS6detail15normal_iteratorINSB_10device_ptrIjEEEENSD_INSE_IS6_EEEESI_S6_NSB_4plusIvEENSB_8equal_toIvEES6_EE10hipError_tPvRmT2_T3_T4_T5_mT6_T7_P12ihipStream_tbENKUlT_T0_E_clISt17integral_constantIbLb0EES13_EEDaSY_SZ_EUlSY_E_NS1_11comp_targetILNS1_3genE9ELNS1_11target_archE1100ELNS1_3gpuE3ELNS1_3repE0EEENS1_30default_config_static_selectorELNS0_4arch9wavefront6targetE0EEEvT1_
		.amdhsa_group_segment_fixed_size 0
		.amdhsa_private_segment_fixed_size 0
		.amdhsa_kernarg_size 160
		.amdhsa_user_sgpr_count 6
		.amdhsa_user_sgpr_private_segment_buffer 1
		.amdhsa_user_sgpr_dispatch_ptr 0
		.amdhsa_user_sgpr_queue_ptr 0
		.amdhsa_user_sgpr_kernarg_segment_ptr 1
		.amdhsa_user_sgpr_dispatch_id 0
		.amdhsa_user_sgpr_flat_scratch_init 0
		.amdhsa_user_sgpr_private_segment_size 0
		.amdhsa_wavefront_size32 1
		.amdhsa_uses_dynamic_stack 0
		.amdhsa_system_sgpr_private_segment_wavefront_offset 0
		.amdhsa_system_sgpr_workgroup_id_x 1
		.amdhsa_system_sgpr_workgroup_id_y 0
		.amdhsa_system_sgpr_workgroup_id_z 0
		.amdhsa_system_sgpr_workgroup_info 0
		.amdhsa_system_vgpr_workitem_id 0
		.amdhsa_next_free_vgpr 1
		.amdhsa_next_free_sgpr 1
		.amdhsa_reserve_vcc 0
		.amdhsa_reserve_flat_scratch 0
		.amdhsa_float_round_mode_32 0
		.amdhsa_float_round_mode_16_64 0
		.amdhsa_float_denorm_mode_32 3
		.amdhsa_float_denorm_mode_16_64 3
		.amdhsa_dx10_clamp 1
		.amdhsa_ieee_mode 1
		.amdhsa_fp16_overflow 0
		.amdhsa_workgroup_processor_mode 1
		.amdhsa_memory_ordered 1
		.amdhsa_forward_progress 1
		.amdhsa_shared_vgpr_count 0
		.amdhsa_exception_fp_ieee_invalid_op 0
		.amdhsa_exception_fp_denorm_src 0
		.amdhsa_exception_fp_ieee_div_zero 0
		.amdhsa_exception_fp_ieee_overflow 0
		.amdhsa_exception_fp_ieee_underflow 0
		.amdhsa_exception_fp_ieee_inexact 0
		.amdhsa_exception_int_div_zero 0
	.end_amdhsa_kernel
	.section	.text._ZN7rocprim17ROCPRIM_400000_NS6detail17trampoline_kernelINS0_14default_configENS1_27scan_by_key_config_selectorIj11FixedVectorIiLj8EEEEZZNS1_16scan_by_key_implILNS1_25lookback_scan_determinismE0ELb1ES3_N6thrust23THRUST_200600_302600_NS6detail15normal_iteratorINSB_10device_ptrIjEEEENSD_INSE_IS6_EEEESI_S6_NSB_4plusIvEENSB_8equal_toIvEES6_EE10hipError_tPvRmT2_T3_T4_T5_mT6_T7_P12ihipStream_tbENKUlT_T0_E_clISt17integral_constantIbLb0EES13_EEDaSY_SZ_EUlSY_E_NS1_11comp_targetILNS1_3genE9ELNS1_11target_archE1100ELNS1_3gpuE3ELNS1_3repE0EEENS1_30default_config_static_selectorELNS0_4arch9wavefront6targetE0EEEvT1_,"axG",@progbits,_ZN7rocprim17ROCPRIM_400000_NS6detail17trampoline_kernelINS0_14default_configENS1_27scan_by_key_config_selectorIj11FixedVectorIiLj8EEEEZZNS1_16scan_by_key_implILNS1_25lookback_scan_determinismE0ELb1ES3_N6thrust23THRUST_200600_302600_NS6detail15normal_iteratorINSB_10device_ptrIjEEEENSD_INSE_IS6_EEEESI_S6_NSB_4plusIvEENSB_8equal_toIvEES6_EE10hipError_tPvRmT2_T3_T4_T5_mT6_T7_P12ihipStream_tbENKUlT_T0_E_clISt17integral_constantIbLb0EES13_EEDaSY_SZ_EUlSY_E_NS1_11comp_targetILNS1_3genE9ELNS1_11target_archE1100ELNS1_3gpuE3ELNS1_3repE0EEENS1_30default_config_static_selectorELNS0_4arch9wavefront6targetE0EEEvT1_,comdat
.Lfunc_end2164:
	.size	_ZN7rocprim17ROCPRIM_400000_NS6detail17trampoline_kernelINS0_14default_configENS1_27scan_by_key_config_selectorIj11FixedVectorIiLj8EEEEZZNS1_16scan_by_key_implILNS1_25lookback_scan_determinismE0ELb1ES3_N6thrust23THRUST_200600_302600_NS6detail15normal_iteratorINSB_10device_ptrIjEEEENSD_INSE_IS6_EEEESI_S6_NSB_4plusIvEENSB_8equal_toIvEES6_EE10hipError_tPvRmT2_T3_T4_T5_mT6_T7_P12ihipStream_tbENKUlT_T0_E_clISt17integral_constantIbLb0EES13_EEDaSY_SZ_EUlSY_E_NS1_11comp_targetILNS1_3genE9ELNS1_11target_archE1100ELNS1_3gpuE3ELNS1_3repE0EEENS1_30default_config_static_selectorELNS0_4arch9wavefront6targetE0EEEvT1_, .Lfunc_end2164-_ZN7rocprim17ROCPRIM_400000_NS6detail17trampoline_kernelINS0_14default_configENS1_27scan_by_key_config_selectorIj11FixedVectorIiLj8EEEEZZNS1_16scan_by_key_implILNS1_25lookback_scan_determinismE0ELb1ES3_N6thrust23THRUST_200600_302600_NS6detail15normal_iteratorINSB_10device_ptrIjEEEENSD_INSE_IS6_EEEESI_S6_NSB_4plusIvEENSB_8equal_toIvEES6_EE10hipError_tPvRmT2_T3_T4_T5_mT6_T7_P12ihipStream_tbENKUlT_T0_E_clISt17integral_constantIbLb0EES13_EEDaSY_SZ_EUlSY_E_NS1_11comp_targetILNS1_3genE9ELNS1_11target_archE1100ELNS1_3gpuE3ELNS1_3repE0EEENS1_30default_config_static_selectorELNS0_4arch9wavefront6targetE0EEEvT1_
                                        ; -- End function
	.set _ZN7rocprim17ROCPRIM_400000_NS6detail17trampoline_kernelINS0_14default_configENS1_27scan_by_key_config_selectorIj11FixedVectorIiLj8EEEEZZNS1_16scan_by_key_implILNS1_25lookback_scan_determinismE0ELb1ES3_N6thrust23THRUST_200600_302600_NS6detail15normal_iteratorINSB_10device_ptrIjEEEENSD_INSE_IS6_EEEESI_S6_NSB_4plusIvEENSB_8equal_toIvEES6_EE10hipError_tPvRmT2_T3_T4_T5_mT6_T7_P12ihipStream_tbENKUlT_T0_E_clISt17integral_constantIbLb0EES13_EEDaSY_SZ_EUlSY_E_NS1_11comp_targetILNS1_3genE9ELNS1_11target_archE1100ELNS1_3gpuE3ELNS1_3repE0EEENS1_30default_config_static_selectorELNS0_4arch9wavefront6targetE0EEEvT1_.num_vgpr, 0
	.set _ZN7rocprim17ROCPRIM_400000_NS6detail17trampoline_kernelINS0_14default_configENS1_27scan_by_key_config_selectorIj11FixedVectorIiLj8EEEEZZNS1_16scan_by_key_implILNS1_25lookback_scan_determinismE0ELb1ES3_N6thrust23THRUST_200600_302600_NS6detail15normal_iteratorINSB_10device_ptrIjEEEENSD_INSE_IS6_EEEESI_S6_NSB_4plusIvEENSB_8equal_toIvEES6_EE10hipError_tPvRmT2_T3_T4_T5_mT6_T7_P12ihipStream_tbENKUlT_T0_E_clISt17integral_constantIbLb0EES13_EEDaSY_SZ_EUlSY_E_NS1_11comp_targetILNS1_3genE9ELNS1_11target_archE1100ELNS1_3gpuE3ELNS1_3repE0EEENS1_30default_config_static_selectorELNS0_4arch9wavefront6targetE0EEEvT1_.num_agpr, 0
	.set _ZN7rocprim17ROCPRIM_400000_NS6detail17trampoline_kernelINS0_14default_configENS1_27scan_by_key_config_selectorIj11FixedVectorIiLj8EEEEZZNS1_16scan_by_key_implILNS1_25lookback_scan_determinismE0ELb1ES3_N6thrust23THRUST_200600_302600_NS6detail15normal_iteratorINSB_10device_ptrIjEEEENSD_INSE_IS6_EEEESI_S6_NSB_4plusIvEENSB_8equal_toIvEES6_EE10hipError_tPvRmT2_T3_T4_T5_mT6_T7_P12ihipStream_tbENKUlT_T0_E_clISt17integral_constantIbLb0EES13_EEDaSY_SZ_EUlSY_E_NS1_11comp_targetILNS1_3genE9ELNS1_11target_archE1100ELNS1_3gpuE3ELNS1_3repE0EEENS1_30default_config_static_selectorELNS0_4arch9wavefront6targetE0EEEvT1_.numbered_sgpr, 0
	.set _ZN7rocprim17ROCPRIM_400000_NS6detail17trampoline_kernelINS0_14default_configENS1_27scan_by_key_config_selectorIj11FixedVectorIiLj8EEEEZZNS1_16scan_by_key_implILNS1_25lookback_scan_determinismE0ELb1ES3_N6thrust23THRUST_200600_302600_NS6detail15normal_iteratorINSB_10device_ptrIjEEEENSD_INSE_IS6_EEEESI_S6_NSB_4plusIvEENSB_8equal_toIvEES6_EE10hipError_tPvRmT2_T3_T4_T5_mT6_T7_P12ihipStream_tbENKUlT_T0_E_clISt17integral_constantIbLb0EES13_EEDaSY_SZ_EUlSY_E_NS1_11comp_targetILNS1_3genE9ELNS1_11target_archE1100ELNS1_3gpuE3ELNS1_3repE0EEENS1_30default_config_static_selectorELNS0_4arch9wavefront6targetE0EEEvT1_.num_named_barrier, 0
	.set _ZN7rocprim17ROCPRIM_400000_NS6detail17trampoline_kernelINS0_14default_configENS1_27scan_by_key_config_selectorIj11FixedVectorIiLj8EEEEZZNS1_16scan_by_key_implILNS1_25lookback_scan_determinismE0ELb1ES3_N6thrust23THRUST_200600_302600_NS6detail15normal_iteratorINSB_10device_ptrIjEEEENSD_INSE_IS6_EEEESI_S6_NSB_4plusIvEENSB_8equal_toIvEES6_EE10hipError_tPvRmT2_T3_T4_T5_mT6_T7_P12ihipStream_tbENKUlT_T0_E_clISt17integral_constantIbLb0EES13_EEDaSY_SZ_EUlSY_E_NS1_11comp_targetILNS1_3genE9ELNS1_11target_archE1100ELNS1_3gpuE3ELNS1_3repE0EEENS1_30default_config_static_selectorELNS0_4arch9wavefront6targetE0EEEvT1_.private_seg_size, 0
	.set _ZN7rocprim17ROCPRIM_400000_NS6detail17trampoline_kernelINS0_14default_configENS1_27scan_by_key_config_selectorIj11FixedVectorIiLj8EEEEZZNS1_16scan_by_key_implILNS1_25lookback_scan_determinismE0ELb1ES3_N6thrust23THRUST_200600_302600_NS6detail15normal_iteratorINSB_10device_ptrIjEEEENSD_INSE_IS6_EEEESI_S6_NSB_4plusIvEENSB_8equal_toIvEES6_EE10hipError_tPvRmT2_T3_T4_T5_mT6_T7_P12ihipStream_tbENKUlT_T0_E_clISt17integral_constantIbLb0EES13_EEDaSY_SZ_EUlSY_E_NS1_11comp_targetILNS1_3genE9ELNS1_11target_archE1100ELNS1_3gpuE3ELNS1_3repE0EEENS1_30default_config_static_selectorELNS0_4arch9wavefront6targetE0EEEvT1_.uses_vcc, 0
	.set _ZN7rocprim17ROCPRIM_400000_NS6detail17trampoline_kernelINS0_14default_configENS1_27scan_by_key_config_selectorIj11FixedVectorIiLj8EEEEZZNS1_16scan_by_key_implILNS1_25lookback_scan_determinismE0ELb1ES3_N6thrust23THRUST_200600_302600_NS6detail15normal_iteratorINSB_10device_ptrIjEEEENSD_INSE_IS6_EEEESI_S6_NSB_4plusIvEENSB_8equal_toIvEES6_EE10hipError_tPvRmT2_T3_T4_T5_mT6_T7_P12ihipStream_tbENKUlT_T0_E_clISt17integral_constantIbLb0EES13_EEDaSY_SZ_EUlSY_E_NS1_11comp_targetILNS1_3genE9ELNS1_11target_archE1100ELNS1_3gpuE3ELNS1_3repE0EEENS1_30default_config_static_selectorELNS0_4arch9wavefront6targetE0EEEvT1_.uses_flat_scratch, 0
	.set _ZN7rocprim17ROCPRIM_400000_NS6detail17trampoline_kernelINS0_14default_configENS1_27scan_by_key_config_selectorIj11FixedVectorIiLj8EEEEZZNS1_16scan_by_key_implILNS1_25lookback_scan_determinismE0ELb1ES3_N6thrust23THRUST_200600_302600_NS6detail15normal_iteratorINSB_10device_ptrIjEEEENSD_INSE_IS6_EEEESI_S6_NSB_4plusIvEENSB_8equal_toIvEES6_EE10hipError_tPvRmT2_T3_T4_T5_mT6_T7_P12ihipStream_tbENKUlT_T0_E_clISt17integral_constantIbLb0EES13_EEDaSY_SZ_EUlSY_E_NS1_11comp_targetILNS1_3genE9ELNS1_11target_archE1100ELNS1_3gpuE3ELNS1_3repE0EEENS1_30default_config_static_selectorELNS0_4arch9wavefront6targetE0EEEvT1_.has_dyn_sized_stack, 0
	.set _ZN7rocprim17ROCPRIM_400000_NS6detail17trampoline_kernelINS0_14default_configENS1_27scan_by_key_config_selectorIj11FixedVectorIiLj8EEEEZZNS1_16scan_by_key_implILNS1_25lookback_scan_determinismE0ELb1ES3_N6thrust23THRUST_200600_302600_NS6detail15normal_iteratorINSB_10device_ptrIjEEEENSD_INSE_IS6_EEEESI_S6_NSB_4plusIvEENSB_8equal_toIvEES6_EE10hipError_tPvRmT2_T3_T4_T5_mT6_T7_P12ihipStream_tbENKUlT_T0_E_clISt17integral_constantIbLb0EES13_EEDaSY_SZ_EUlSY_E_NS1_11comp_targetILNS1_3genE9ELNS1_11target_archE1100ELNS1_3gpuE3ELNS1_3repE0EEENS1_30default_config_static_selectorELNS0_4arch9wavefront6targetE0EEEvT1_.has_recursion, 0
	.set _ZN7rocprim17ROCPRIM_400000_NS6detail17trampoline_kernelINS0_14default_configENS1_27scan_by_key_config_selectorIj11FixedVectorIiLj8EEEEZZNS1_16scan_by_key_implILNS1_25lookback_scan_determinismE0ELb1ES3_N6thrust23THRUST_200600_302600_NS6detail15normal_iteratorINSB_10device_ptrIjEEEENSD_INSE_IS6_EEEESI_S6_NSB_4plusIvEENSB_8equal_toIvEES6_EE10hipError_tPvRmT2_T3_T4_T5_mT6_T7_P12ihipStream_tbENKUlT_T0_E_clISt17integral_constantIbLb0EES13_EEDaSY_SZ_EUlSY_E_NS1_11comp_targetILNS1_3genE9ELNS1_11target_archE1100ELNS1_3gpuE3ELNS1_3repE0EEENS1_30default_config_static_selectorELNS0_4arch9wavefront6targetE0EEEvT1_.has_indirect_call, 0
	.section	.AMDGPU.csdata,"",@progbits
; Kernel info:
; codeLenInByte = 0
; TotalNumSgprs: 0
; NumVgprs: 0
; ScratchSize: 0
; MemoryBound: 0
; FloatMode: 240
; IeeeMode: 1
; LDSByteSize: 0 bytes/workgroup (compile time only)
; SGPRBlocks: 0
; VGPRBlocks: 0
; NumSGPRsForWavesPerEU: 1
; NumVGPRsForWavesPerEU: 1
; Occupancy: 16
; WaveLimiterHint : 0
; COMPUTE_PGM_RSRC2:SCRATCH_EN: 0
; COMPUTE_PGM_RSRC2:USER_SGPR: 6
; COMPUTE_PGM_RSRC2:TRAP_HANDLER: 0
; COMPUTE_PGM_RSRC2:TGID_X_EN: 1
; COMPUTE_PGM_RSRC2:TGID_Y_EN: 0
; COMPUTE_PGM_RSRC2:TGID_Z_EN: 0
; COMPUTE_PGM_RSRC2:TIDIG_COMP_CNT: 0
	.section	.text._ZN7rocprim17ROCPRIM_400000_NS6detail17trampoline_kernelINS0_14default_configENS1_27scan_by_key_config_selectorIj11FixedVectorIiLj8EEEEZZNS1_16scan_by_key_implILNS1_25lookback_scan_determinismE0ELb1ES3_N6thrust23THRUST_200600_302600_NS6detail15normal_iteratorINSB_10device_ptrIjEEEENSD_INSE_IS6_EEEESI_S6_NSB_4plusIvEENSB_8equal_toIvEES6_EE10hipError_tPvRmT2_T3_T4_T5_mT6_T7_P12ihipStream_tbENKUlT_T0_E_clISt17integral_constantIbLb0EES13_EEDaSY_SZ_EUlSY_E_NS1_11comp_targetILNS1_3genE8ELNS1_11target_archE1030ELNS1_3gpuE2ELNS1_3repE0EEENS1_30default_config_static_selectorELNS0_4arch9wavefront6targetE0EEEvT1_,"axG",@progbits,_ZN7rocprim17ROCPRIM_400000_NS6detail17trampoline_kernelINS0_14default_configENS1_27scan_by_key_config_selectorIj11FixedVectorIiLj8EEEEZZNS1_16scan_by_key_implILNS1_25lookback_scan_determinismE0ELb1ES3_N6thrust23THRUST_200600_302600_NS6detail15normal_iteratorINSB_10device_ptrIjEEEENSD_INSE_IS6_EEEESI_S6_NSB_4plusIvEENSB_8equal_toIvEES6_EE10hipError_tPvRmT2_T3_T4_T5_mT6_T7_P12ihipStream_tbENKUlT_T0_E_clISt17integral_constantIbLb0EES13_EEDaSY_SZ_EUlSY_E_NS1_11comp_targetILNS1_3genE8ELNS1_11target_archE1030ELNS1_3gpuE2ELNS1_3repE0EEENS1_30default_config_static_selectorELNS0_4arch9wavefront6targetE0EEEvT1_,comdat
	.protected	_ZN7rocprim17ROCPRIM_400000_NS6detail17trampoline_kernelINS0_14default_configENS1_27scan_by_key_config_selectorIj11FixedVectorIiLj8EEEEZZNS1_16scan_by_key_implILNS1_25lookback_scan_determinismE0ELb1ES3_N6thrust23THRUST_200600_302600_NS6detail15normal_iteratorINSB_10device_ptrIjEEEENSD_INSE_IS6_EEEESI_S6_NSB_4plusIvEENSB_8equal_toIvEES6_EE10hipError_tPvRmT2_T3_T4_T5_mT6_T7_P12ihipStream_tbENKUlT_T0_E_clISt17integral_constantIbLb0EES13_EEDaSY_SZ_EUlSY_E_NS1_11comp_targetILNS1_3genE8ELNS1_11target_archE1030ELNS1_3gpuE2ELNS1_3repE0EEENS1_30default_config_static_selectorELNS0_4arch9wavefront6targetE0EEEvT1_ ; -- Begin function _ZN7rocprim17ROCPRIM_400000_NS6detail17trampoline_kernelINS0_14default_configENS1_27scan_by_key_config_selectorIj11FixedVectorIiLj8EEEEZZNS1_16scan_by_key_implILNS1_25lookback_scan_determinismE0ELb1ES3_N6thrust23THRUST_200600_302600_NS6detail15normal_iteratorINSB_10device_ptrIjEEEENSD_INSE_IS6_EEEESI_S6_NSB_4plusIvEENSB_8equal_toIvEES6_EE10hipError_tPvRmT2_T3_T4_T5_mT6_T7_P12ihipStream_tbENKUlT_T0_E_clISt17integral_constantIbLb0EES13_EEDaSY_SZ_EUlSY_E_NS1_11comp_targetILNS1_3genE8ELNS1_11target_archE1030ELNS1_3gpuE2ELNS1_3repE0EEENS1_30default_config_static_selectorELNS0_4arch9wavefront6targetE0EEEvT1_
	.globl	_ZN7rocprim17ROCPRIM_400000_NS6detail17trampoline_kernelINS0_14default_configENS1_27scan_by_key_config_selectorIj11FixedVectorIiLj8EEEEZZNS1_16scan_by_key_implILNS1_25lookback_scan_determinismE0ELb1ES3_N6thrust23THRUST_200600_302600_NS6detail15normal_iteratorINSB_10device_ptrIjEEEENSD_INSE_IS6_EEEESI_S6_NSB_4plusIvEENSB_8equal_toIvEES6_EE10hipError_tPvRmT2_T3_T4_T5_mT6_T7_P12ihipStream_tbENKUlT_T0_E_clISt17integral_constantIbLb0EES13_EEDaSY_SZ_EUlSY_E_NS1_11comp_targetILNS1_3genE8ELNS1_11target_archE1030ELNS1_3gpuE2ELNS1_3repE0EEENS1_30default_config_static_selectorELNS0_4arch9wavefront6targetE0EEEvT1_
	.p2align	8
	.type	_ZN7rocprim17ROCPRIM_400000_NS6detail17trampoline_kernelINS0_14default_configENS1_27scan_by_key_config_selectorIj11FixedVectorIiLj8EEEEZZNS1_16scan_by_key_implILNS1_25lookback_scan_determinismE0ELb1ES3_N6thrust23THRUST_200600_302600_NS6detail15normal_iteratorINSB_10device_ptrIjEEEENSD_INSE_IS6_EEEESI_S6_NSB_4plusIvEENSB_8equal_toIvEES6_EE10hipError_tPvRmT2_T3_T4_T5_mT6_T7_P12ihipStream_tbENKUlT_T0_E_clISt17integral_constantIbLb0EES13_EEDaSY_SZ_EUlSY_E_NS1_11comp_targetILNS1_3genE8ELNS1_11target_archE1030ELNS1_3gpuE2ELNS1_3repE0EEENS1_30default_config_static_selectorELNS0_4arch9wavefront6targetE0EEEvT1_,@function
_ZN7rocprim17ROCPRIM_400000_NS6detail17trampoline_kernelINS0_14default_configENS1_27scan_by_key_config_selectorIj11FixedVectorIiLj8EEEEZZNS1_16scan_by_key_implILNS1_25lookback_scan_determinismE0ELb1ES3_N6thrust23THRUST_200600_302600_NS6detail15normal_iteratorINSB_10device_ptrIjEEEENSD_INSE_IS6_EEEESI_S6_NSB_4plusIvEENSB_8equal_toIvEES6_EE10hipError_tPvRmT2_T3_T4_T5_mT6_T7_P12ihipStream_tbENKUlT_T0_E_clISt17integral_constantIbLb0EES13_EEDaSY_SZ_EUlSY_E_NS1_11comp_targetILNS1_3genE8ELNS1_11target_archE1030ELNS1_3gpuE2ELNS1_3repE0EEENS1_30default_config_static_selectorELNS0_4arch9wavefront6targetE0EEEvT1_: ; @_ZN7rocprim17ROCPRIM_400000_NS6detail17trampoline_kernelINS0_14default_configENS1_27scan_by_key_config_selectorIj11FixedVectorIiLj8EEEEZZNS1_16scan_by_key_implILNS1_25lookback_scan_determinismE0ELb1ES3_N6thrust23THRUST_200600_302600_NS6detail15normal_iteratorINSB_10device_ptrIjEEEENSD_INSE_IS6_EEEESI_S6_NSB_4plusIvEENSB_8equal_toIvEES6_EE10hipError_tPvRmT2_T3_T4_T5_mT6_T7_P12ihipStream_tbENKUlT_T0_E_clISt17integral_constantIbLb0EES13_EEDaSY_SZ_EUlSY_E_NS1_11comp_targetILNS1_3genE8ELNS1_11target_archE1030ELNS1_3gpuE2ELNS1_3repE0EEENS1_30default_config_static_selectorELNS0_4arch9wavefront6targetE0EEEvT1_
; %bb.0:
	s_add_u32 s0, s0, s7
	s_clause 0x5
	s_load_dwordx8 s[16:23], s[4:5], 0x0
	s_load_dwordx8 s[24:31], s[4:5], 0x20
	;; [unrolled: 1-line block ×3, first 2 shown]
	s_load_dwordx2 s[34:35], s[4:5], 0x68
	s_load_dword s7, s[4:5], 0x70
	s_load_dwordx4 s[36:39], s[4:5], 0x78
	v_mov_b32_e32 v1, 0
	s_addc_u32 s1, s1, 0
	s_mov_b32 s4, 0
	s_waitcnt lgkmcnt(0)
	s_barrier
	buffer_gl0_inv
	buffer_store_dword v1, off, s[0:3], 0 offset:348
	buffer_store_dword v1, off, s[0:3], 0 offset:344
	;; [unrolled: 1-line block ×9, first 2 shown]
.LBB2165_1:                             ; =>This Inner Loop Header: Depth=1
	v_add_nc_u32_e64 v2, 0x140, s4
	s_add_i32 s4, s4, 4
	s_cmp_lg_u32 s4, 32
	buffer_store_dword v1, v2, s[0:3], 0 offen
	s_cbranch_scc1 .LBB2165_1
; %bb.2:
	v_mov_b32_e32 v1, 0
	s_mov_b32 s4, 36
	s_movk_i32 s15, 0x164
	buffer_store_byte v1, off, s[0:3], 0 offset:352
	buffer_store_dword v1, off, s[0:3], 0 offset:368
	buffer_store_dword v1, off, s[0:3], 0 offset:364
	;; [unrolled: 1-line block ×9, first 2 shown]
.LBB2165_3:                             ; =>This Inner Loop Header: Depth=1
	v_add_nc_u32_e64 v2, 0x140, s4
	s_add_i32 s4, s4, 4
	s_cmpk_lg_i32 s4, 0x44
	buffer_store_dword v1, v2, s[0:3], 0 offen
	s_cbranch_scc1 .LBB2165_3
; %bb.4:
	v_mov_b32_e32 v1, 0
	s_movk_i32 s4, 0x48
	s_movk_i32 s33, 0x188
	buffer_store_byte v1, off, s[0:3], 0 offset:388
	buffer_store_dword v1, off, s[0:3], 0 offset:404
	buffer_store_dword v1, off, s[0:3], 0 offset:400
	;; [unrolled: 1-line block ×9, first 2 shown]
.LBB2165_5:                             ; =>This Inner Loop Header: Depth=1
	v_add_nc_u32_e64 v2, 0x140, s4
	s_add_i32 s4, s4, 4
	s_cmpk_lg_i32 s4, 0x68
	buffer_store_dword v1, v2, s[0:3], 0 offen
	s_cbranch_scc1 .LBB2165_5
; %bb.6:
	v_mov_b32_e32 v1, 0
	v_mov_b32_e32 v2, s24
	;; [unrolled: 1-line block ×5, first 2 shown]
	buffer_store_byte v1, off, s[0:3], 0 offset:424
	buffer_store_dword v2, off, s[0:3], 0 offset:128
	buffer_store_dword v3, off, s[0:3], 0 offset:132
	v_mov_b32_e32 v2, s27
	v_mov_b32_e32 v3, s28
	buffer_store_dword v4, off, s[0:3], 0 offset:136
	v_mov_b32_e32 v4, s29
	s_mov_b32 s4, 0
	buffer_store_dword v2, off, s[0:3], 0 offset:140
	v_mov_b32_e32 v2, s31
	buffer_store_dword v3, off, s[0:3], 0 offset:144
	buffer_store_dword v4, off, s[0:3], 0 offset:148
	;; [unrolled: 1-line block ×4, first 2 shown]
.LBB2165_7:                             ; =>This Inner Loop Header: Depth=1
	v_mov_b32_e32 v2, s4
	s_add_i32 s4, s4, 4
	s_cmp_lg_u32 s4, 32
	buffer_store_dword v1, v2, s[0:3], 0 offen
	s_cbranch_scc1 .LBB2165_7
; %bb.8:
	v_mov_b32_e32 v1, 0
	s_mov_b32 s4, 32
.LBB2165_9:                             ; =>This Inner Loop Header: Depth=1
	v_mov_b32_e32 v2, s4
	s_add_i32 s4, s4, 4
	s_cmp_lg_u32 s4, 64
	buffer_store_dword v1, v2, s[0:3], 0 offen
	s_cbranch_scc1 .LBB2165_9
; %bb.10:
	v_mov_b32_e32 v1, 0
	s_mov_b32 s4, 64
.LBB2165_11:                            ; =>This Inner Loop Header: Depth=1
	v_mov_b32_e32 v2, s4
	s_add_i32 s4, s4, 4
	s_cmpk_lg_i32 s4, 0x60
	buffer_store_dword v1, v2, s[0:3], 0 offen
	s_cbranch_scc1 .LBB2165_11
; %bb.12:
	s_lshl_b64 s[4:5], s[18:19], 2
	s_mul_i32 s41, s35, s7
	s_add_u32 s42, s16, s4
	s_mul_hi_u32 s4, s34, s7
	s_addc_u32 s43, s17, s5
	s_lshl_b64 s[16:17], s[18:19], 5
	s_add_i32 s45, s4, s41
	s_mul_i32 s4, s6, 0x300
	s_mov_b32 s5, 0
	s_add_u32 s44, s20, s16
	s_addc_u32 s46, s21, s17
	s_lshl_b64 s[18:19], s[4:5], 2
	s_mov_b32 s40, 64
	s_add_u32 s20, s42, s18
	s_addc_u32 s21, s43, s19
	s_lshl_b64 s[18:19], s[4:5], 5
	s_mul_i32 s4, s34, s7
	s_add_u32 s42, s44, s18
	s_addc_u32 s43, s46, s19
	s_add_u32 s44, s4, s6
	s_addc_u32 s45, s45, 0
	s_add_u32 s36, s36, -1
	s_addc_u32 s37, s37, -1
	s_mov_b32 s41, 32
	v_cmp_ge_u64_e64 s37, s[44:45], s[36:37]
	s_mulk_i32 s36, 0xfd00
	s_and_b32 vcc_lo, exec_lo, s37
	s_cbranch_vccz .LBB2165_30
; %bb.13:
	v_mov_b32_e32 v1, s20
	v_mov_b32_e32 v2, s21
	s_add_i32 s44, s36, s14
	v_cmp_gt_u32_e64 s5, s44, v0
	flat_load_dword v1, v[1:2]
	s_waitcnt vmcnt(0) lgkmcnt(0)
	v_mov_b32_e32 v2, v1
	s_and_saveexec_b32 s4, s5
	s_cbranch_execz .LBB2165_15
; %bb.14:
	v_lshlrev_b32_e32 v2, 2, v0
	v_add_co_u32 v2, s7, s20, v2
	v_add_co_ci_u32_e64 v3, null, s21, 0, s7
	flat_load_dword v2, v[2:3]
.LBB2165_15:
	s_or_b32 exec_lo, exec_lo, s4
	v_or_b32_e32 v4, 0x100, v0
	v_mov_b32_e32 v3, v1
	v_cmp_gt_u32_e64 s4, s44, v4
	s_and_saveexec_b32 s7, s4
	s_cbranch_execz .LBB2165_17
; %bb.16:
	v_lshlrev_b32_e32 v3, 2, v0
	v_add_co_u32 v5, s45, s20, v3
	v_add_co_ci_u32_e64 v6, null, s21, 0, s45
	flat_load_dword v3, v[5:6] offset:1024
.LBB2165_17:
	s_or_b32 exec_lo, exec_lo, s7
	v_or_b32_e32 v7, 0x200, v0
	v_cmp_gt_u32_e32 vcc_lo, s44, v7
	s_and_saveexec_b32 s7, vcc_lo
	s_cbranch_execz .LBB2165_19
; %bb.18:
	v_lshlrev_b32_e32 v1, 2, v7
	v_add_co_u32 v5, s45, s20, v1
	v_add_co_ci_u32_e64 v6, null, s21, 0, s45
	flat_load_dword v1, v[5:6]
.LBB2165_19:
	s_or_b32 exec_lo, exec_lo, s7
	v_mov_b32_e32 v8, s20
	v_lshlrev_b32_e32 v6, 2, v0
	v_mov_b32_e32 v9, s21
	s_mov_b32 s45, exec_lo
	s_waitcnt vmcnt(0) lgkmcnt(0)
	ds_write2st64_b32 v6, v2, v3 offset1:4
	ds_write_b32 v6, v1 offset:2048
	s_waitcnt lgkmcnt(0)
	s_waitcnt_vscnt null, 0x0
	s_barrier
	buffer_gl0_inv
	flat_load_dword v3, v[8:9]
	v_lshl_add_u32 v1, v0, 3, v6
	ds_read_b32 v5, v1
	ds_read2_b32 v[1:2], v1 offset0:1 offset1:2
	s_waitcnt lgkmcnt(1)
	ds_write_b32 v6, v5 offset:4096
	s_waitcnt vmcnt(0) lgkmcnt(0)
	s_barrier
	buffer_gl0_inv
	v_cmpx_ne_u32_e32 0xff, v0
; %bb.20:
	ds_read_b32 v3, v6 offset:4100
; %bb.21:
	s_or_b32 exec_lo, exec_lo, s45
	s_waitcnt lgkmcnt(0)
	s_barrier
	buffer_gl0_inv
	s_and_saveexec_b32 s7, s5
	s_cbranch_execnz .LBB2165_404
; %bb.22:
	s_or_b32 exec_lo, exec_lo, s7
	s_and_saveexec_b32 s5, s4
	s_cbranch_execnz .LBB2165_405
.LBB2165_23:
	s_or_b32 exec_lo, exec_lo, s5
	v_mul_u32_u24_e32 v4, 3, v0
	s_and_saveexec_b32 s4, vcc_lo
	s_cbranch_execz .LBB2165_25
.LBB2165_24:
	v_lshlrev_b32_e32 v7, 5, v7
	v_add_co_u32 v11, s5, s42, v7
	v_add_co_ci_u32_e64 v12, null, s43, 0, s5
	s_clause 0x1
	flat_load_dwordx4 v[7:10], v[11:12]
	flat_load_dwordx4 v[11:14], v[11:12] offset:16
	s_waitcnt vmcnt(1) lgkmcnt(1)
	buffer_store_dword v7, off, s[0:3], 0 offset:64
	buffer_store_dword v8, off, s[0:3], 0 offset:68
	;; [unrolled: 1-line block ×4, first 2 shown]
	s_waitcnt vmcnt(0) lgkmcnt(0)
	buffer_store_dword v11, off, s[0:3], 0 offset:80
	buffer_store_dword v12, off, s[0:3], 0 offset:84
	;; [unrolled: 1-line block ×4, first 2 shown]
.LBB2165_25:
	s_or_b32 exec_lo, exec_lo, s4
	v_mov_b32_e32 v31, s41
	s_clause 0x7
	buffer_load_dword v7, off, s[0:3], 0
	buffer_load_dword v8, off, s[0:3], 0 offset:4
	buffer_load_dword v9, off, s[0:3], 0 offset:8
	;; [unrolled: 1-line block ×7, first 2 shown]
	v_mov_b32_e32 v32, s40
	v_mad_u32_u24 v6, v0, 28, v6
	v_cmp_gt_u32_e32 vcc_lo, s44, v4
	s_clause 0xf
	buffer_load_dword v15, v31, s[0:3], 0 offen
	buffer_load_dword v16, v31, s[0:3], 0 offen offset:4
	buffer_load_dword v17, v31, s[0:3], 0 offen offset:8
	;; [unrolled: 1-line block ×7, first 2 shown]
	buffer_load_dword v23, v32, s[0:3], 0 offen
	buffer_load_dword v24, v32, s[0:3], 0 offen offset:4
	buffer_load_dword v25, v32, s[0:3], 0 offen offset:8
	;; [unrolled: 1-line block ×7, first 2 shown]
	s_mov_b32 s4, 0
	s_mov_b32 s5, 0
	v_lshl_add_u32 v33, v0, 6, v6
                                        ; implicit-def: $sgpr7
	s_waitcnt vmcnt(20)
	ds_write_b128 v6, v[7:10]
	s_waitcnt vmcnt(16)
	ds_write_b128 v6, v[11:14] offset:16
	s_waitcnt vmcnt(12)
	ds_write_b128 v6, v[15:18] offset:8192
	;; [unrolled: 2-line block ×5, first 2 shown]
	s_waitcnt lgkmcnt(0)
	s_waitcnt_vscnt null, 0x0
	s_barrier
	buffer_gl0_inv
	ds_read_b128 v[6:9], v33
	ds_read_b128 v[10:13], v33 offset:16
	ds_read_b128 v[14:17], v33 offset:32
	;; [unrolled: 1-line block ×5, first 2 shown]
	s_waitcnt lgkmcnt(5)
	buffer_store_dword v9, off, s[0:3], 0 offset:12
	buffer_store_dword v8, off, s[0:3], 0 offset:8
	;; [unrolled: 1-line block ×3, first 2 shown]
	buffer_store_dword v6, off, s[0:3], 0
	s_waitcnt lgkmcnt(4)
	buffer_store_dword v13, off, s[0:3], 0 offset:28
	buffer_store_dword v12, off, s[0:3], 0 offset:24
	;; [unrolled: 1-line block ×4, first 2 shown]
	s_waitcnt lgkmcnt(3)
	buffer_store_dword v17, v31, s[0:3], 0 offen offset:12
	buffer_store_dword v16, v31, s[0:3], 0 offen offset:8
	;; [unrolled: 1-line block ×3, first 2 shown]
	buffer_store_dword v14, v31, s[0:3], 0 offen
	s_waitcnt lgkmcnt(2)
	buffer_store_dword v21, v31, s[0:3], 0 offen offset:28
	buffer_store_dword v20, v31, s[0:3], 0 offen offset:24
	;; [unrolled: 1-line block ×4, first 2 shown]
	s_waitcnt lgkmcnt(1)
	buffer_store_dword v25, v32, s[0:3], 0 offen offset:12
	buffer_store_dword v24, v32, s[0:3], 0 offen offset:8
	;; [unrolled: 1-line block ×3, first 2 shown]
	buffer_store_dword v22, v32, s[0:3], 0 offen
	s_waitcnt lgkmcnt(0)
	buffer_store_dword v29, v32, s[0:3], 0 offen offset:28
	buffer_store_dword v28, v32, s[0:3], 0 offen offset:24
	;; [unrolled: 1-line block ×4, first 2 shown]
	s_and_saveexec_b32 s45, vcc_lo
	s_cbranch_execz .LBB2165_29
; %bb.26:
	v_mov_b32_e32 v6, 0x80
	v_cmp_ne_u32_e32 vcc_lo, v5, v1
	v_add_nc_u32_e32 v15, 1, v4
	s_mov_b32 s46, 0
	s_mov_b32 s5, exec_lo
                                        ; implicit-def: $sgpr7
	v_cndmask_b32_e32 v7, 0, v6, vcc_lo
	v_cndmask_b32_e64 v5, 0, 1, vcc_lo
	s_clause 0x7
	buffer_load_dword v8, v7, s[0:3], 0 offen offset:12
	buffer_load_dword v9, v7, s[0:3], 0 offen offset:8
	buffer_load_dword v10, v7, s[0:3], 0 offen offset:4
	buffer_load_dword v11, v7, s[0:3], 0 offen
	buffer_load_dword v12, v7, s[0:3], 0 offen offset:28
	buffer_load_dword v13, v7, s[0:3], 0 offen offset:24
	;; [unrolled: 1-line block ×4, first 2 shown]
	s_waitcnt vmcnt(7)
	buffer_store_dword v8, off, s[0:3], 0 offset:332
	s_waitcnt vmcnt(6)
	buffer_store_dword v9, off, s[0:3], 0 offset:328
	;; [unrolled: 2-line block ×8, first 2 shown]
	buffer_store_byte v5, off, s[0:3], 0 offset:352
	v_cmpx_gt_u32_e64 s44, v15
	s_xor_b32 s5, exec_lo, s5
	s_cbranch_execz .LBB2165_28
; %bb.27:
	v_cmp_ne_u32_e32 vcc_lo, v1, v2
	v_add_nc_u32_e32 v4, 2, v4
	v_cmp_ne_u32_e64 s7, v2, v3
	v_cndmask_b32_e32 v5, s41, v6, vcc_lo
	v_cndmask_b32_e64 v1, 0, 1, vcc_lo
	v_cmp_gt_u32_e32 vcc_lo, s44, v4
	v_mov_b32_e32 v4, s15
	s_clause 0x7
	buffer_load_dword v6, v5, s[0:3], 0 offen offset:12
	buffer_load_dword v7, v5, s[0:3], 0 offen offset:8
	;; [unrolled: 1-line block ×3, first 2 shown]
	buffer_load_dword v9, v5, s[0:3], 0 offen
	buffer_load_dword v10, v5, s[0:3], 0 offen offset:28
	buffer_load_dword v11, v5, s[0:3], 0 offen offset:24
	;; [unrolled: 1-line block ×4, first 2 shown]
	s_waitcnt vmcnt(7)
	buffer_store_dword v6, v4, s[0:3], 0 offen offset:12
	s_waitcnt vmcnt(6)
	buffer_store_dword v7, v4, s[0:3], 0 offen offset:8
	;; [unrolled: 2-line block ×3, first 2 shown]
	s_waitcnt vmcnt(4)
	buffer_store_dword v9, v4, s[0:3], 0 offen
	s_waitcnt vmcnt(3)
	buffer_store_dword v10, v4, s[0:3], 0 offen offset:28
	s_waitcnt vmcnt(2)
	buffer_store_dword v11, v4, s[0:3], 0 offen offset:24
	;; [unrolled: 2-line block ×4, first 2 shown]
	buffer_store_byte v1, off, s[0:3], 0 offset:388
	s_and_b32 s46, vcc_lo, exec_lo
.LBB2165_28:
	s_or_b32 exec_lo, exec_lo, s5
	s_and_b32 s5, s46, exec_lo
.LBB2165_29:
	s_or_b32 exec_lo, exec_lo, s45
	s_and_b32 vcc_lo, exec_lo, s4
	s_cbranch_vccnz .LBB2165_31
	s_branch .LBB2165_34
.LBB2165_30:
                                        ; implicit-def: $sgpr7
	s_cbranch_execz .LBB2165_34
.LBB2165_31:
	v_lshlrev_b32_e32 v4, 2, v0
	v_add_co_u32 v1, s4, s20, v4
	v_add_co_ci_u32_e64 v2, null, s21, 0, s4
	v_add_co_u32 v5, vcc_lo, 0x800, v1
	v_add_co_ci_u32_e64 v6, null, 0, v2, vcc_lo
	s_clause 0x2
	flat_load_dword v3, v[1:2]
	flat_load_dword v7, v[1:2] offset:1024
	flat_load_dword v5, v[5:6]
	v_add_co_u32 v1, s4, 0x800, s20
	v_add_co_ci_u32_e64 v2, null, 0, s21, s4
	s_mov_b32 s4, exec_lo
	s_waitcnt vmcnt(1) lgkmcnt(1)
	ds_write2st64_b32 v4, v3, v7 offset1:4
	s_waitcnt vmcnt(0) lgkmcnt(1)
	ds_write_b32 v4, v5 offset:2048
	s_waitcnt lgkmcnt(0)
	s_waitcnt_vscnt null, 0x0
	s_barrier
	buffer_gl0_inv
	flat_load_dword v3, v[1:2] offset:1024
	v_lshl_add_u32 v1, v0, 3, v4
	ds_read_b32 v5, v1
	ds_read2_b32 v[1:2], v1 offset0:1 offset1:2
	s_waitcnt lgkmcnt(1)
	ds_write_b32 v4, v5 offset:4096
	s_waitcnt vmcnt(0) lgkmcnt(0)
	s_barrier
	buffer_gl0_inv
	v_cmpx_ne_u32_e32 0xff, v0
; %bb.32:
	ds_read_b32 v3, v4 offset:4100
; %bb.33:
	s_or_b32 exec_lo, exec_lo, s4
	v_lshlrev_b32_e32 v6, 5, v0
	s_waitcnt lgkmcnt(0)
	s_barrier
	buffer_gl0_inv
	v_mov_b32_e32 v31, s40
	v_add_co_u32 v14, s4, s42, v6
	v_add_co_ci_u32_e64 v15, null, s43, 0, s4
	v_mov_b32_e32 v30, s41
	v_add_co_u32 v16, vcc_lo, 0x2000, v14
	s_clause 0x1
	flat_load_dwordx4 v[6:9], v[14:15]
	flat_load_dwordx4 v[10:13], v[14:15] offset:16
	v_add_co_ci_u32_e64 v17, null, 0, v15, vcc_lo
	v_add_co_u32 v14, vcc_lo, 0x4000, v14
	v_add_co_ci_u32_e64 v15, null, 0, v15, vcc_lo
	v_mad_u32_u24 v4, v0, 28, v4
	v_cmp_ne_u32_e32 vcc_lo, v5, v1
	v_cmp_ne_u32_e64 s4, v1, v2
	v_cmp_ne_u32_e64 s7, v2, v3
	s_mov_b32 s5, -1
	v_lshl_add_u32 v32, v0, 6, v4
	v_cndmask_b32_e64 v1, 0, 1, vcc_lo
	v_mov_b32_e32 v2, s15
	s_waitcnt vmcnt(1) lgkmcnt(1)
	buffer_store_dword v6, off, s[0:3], 0
	buffer_store_dword v7, off, s[0:3], 0 offset:4
	buffer_store_dword v8, off, s[0:3], 0 offset:8
	;; [unrolled: 1-line block ×3, first 2 shown]
	s_waitcnt vmcnt(0) lgkmcnt(0)
	buffer_store_dword v10, off, s[0:3], 0 offset:16
	buffer_store_dword v11, off, s[0:3], 0 offset:20
	;; [unrolled: 1-line block ×4, first 2 shown]
	s_clause 0x1
	flat_load_dwordx4 v[6:9], v[16:17]
	flat_load_dwordx4 v[10:13], v[16:17] offset:16
	s_waitcnt vmcnt(1) lgkmcnt(1)
	buffer_store_dword v6, off, s[0:3], 0 offset:32
	buffer_store_dword v7, off, s[0:3], 0 offset:36
	;; [unrolled: 1-line block ×4, first 2 shown]
	s_waitcnt vmcnt(0) lgkmcnt(0)
	buffer_store_dword v10, off, s[0:3], 0 offset:48
	buffer_store_dword v11, off, s[0:3], 0 offset:52
	;; [unrolled: 1-line block ×4, first 2 shown]
	s_clause 0x1
	flat_load_dwordx4 v[6:9], v[14:15]
	flat_load_dwordx4 v[10:13], v[14:15] offset:16
	s_clause 0xf
	buffer_load_dword v14, off, s[0:3], 0
	buffer_load_dword v15, off, s[0:3], 0 offset:4
	buffer_load_dword v16, off, s[0:3], 0 offset:8
	;; [unrolled: 1-line block ×7, first 2 shown]
	buffer_load_dword v22, v30, s[0:3], 0 offen
	buffer_load_dword v23, v30, s[0:3], 0 offen offset:4
	buffer_load_dword v24, v30, s[0:3], 0 offen offset:8
	;; [unrolled: 1-line block ×7, first 2 shown]
	s_waitcnt vmcnt(17) lgkmcnt(1)
	buffer_store_dword v6, off, s[0:3], 0 offset:64
	buffer_store_dword v7, off, s[0:3], 0 offset:68
	;; [unrolled: 1-line block ×4, first 2 shown]
	s_waitcnt vmcnt(16) lgkmcnt(0)
	buffer_store_dword v10, off, s[0:3], 0 offset:80
	buffer_store_dword v11, off, s[0:3], 0 offset:84
	buffer_store_dword v12, off, s[0:3], 0 offset:88
	buffer_store_dword v13, off, s[0:3], 0 offset:92
	s_clause 0x7
	buffer_load_dword v6, v31, s[0:3], 0 offen
	buffer_load_dword v7, v31, s[0:3], 0 offen offset:4
	buffer_load_dword v8, v31, s[0:3], 0 offen offset:8
	;; [unrolled: 1-line block ×7, first 2 shown]
	s_waitcnt vmcnt(20)
	ds_write_b128 v4, v[14:17]
	s_waitcnt vmcnt(16)
	ds_write_b128 v4, v[18:21] offset:16
	s_waitcnt vmcnt(8)
	ds_write_b128 v4, v[26:29] offset:8208
	ds_write_b128 v4, v[22:25] offset:8192
	s_waitcnt vmcnt(1)
	ds_write_b128 v4, v[10:13] offset:16400
	s_waitcnt vmcnt(0)
	ds_write_b128 v4, v[6:9] offset:16384
	s_waitcnt lgkmcnt(0)
	s_waitcnt_vscnt null, 0x0
	s_barrier
	buffer_gl0_inv
	ds_read_b128 v[6:9], v32
	ds_read_b128 v[10:13], v32 offset:16
	ds_read_b128 v[14:17], v32 offset:32
	;; [unrolled: 1-line block ×3, first 2 shown]
	v_mov_b32_e32 v4, 0x80
	v_cndmask_b32_e64 v22, 0, 1, s4
	s_waitcnt lgkmcnt(3)
	buffer_store_dword v9, off, s[0:3], 0 offset:12
	buffer_store_dword v8, off, s[0:3], 0 offset:8
	;; [unrolled: 1-line block ×3, first 2 shown]
	buffer_store_dword v6, off, s[0:3], 0
	s_waitcnt lgkmcnt(2)
	buffer_store_dword v13, off, s[0:3], 0 offset:28
	buffer_store_dword v12, off, s[0:3], 0 offset:24
	;; [unrolled: 1-line block ×4, first 2 shown]
	s_waitcnt lgkmcnt(1)
	buffer_store_dword v17, v30, s[0:3], 0 offen offset:12
	v_cndmask_b32_e32 v5, 0, v4, vcc_lo
	v_cndmask_b32_e64 v4, s41, v4, s4
	s_clause 0x7
	buffer_load_dword v12, v5, s[0:3], 0 offen
	buffer_load_dword v13, v5, s[0:3], 0 offen offset:4
	buffer_load_dword v17, v5, s[0:3], 0 offen offset:8
	;; [unrolled: 1-line block ×7, first 2 shown]
	buffer_store_dword v16, v30, s[0:3], 0 offen offset:8
	buffer_store_dword v15, v30, s[0:3], 0 offen offset:4
	buffer_store_dword v14, v30, s[0:3], 0 offen
	s_waitcnt lgkmcnt(0)
	buffer_store_dword v21, v30, s[0:3], 0 offen offset:28
	buffer_store_dword v20, v30, s[0:3], 0 offen offset:24
	;; [unrolled: 1-line block ×4, first 2 shown]
	s_clause 0x7
	buffer_load_dword v14, v4, s[0:3], 0 offen offset:28
	buffer_load_dword v15, v4, s[0:3], 0 offen offset:24
	;; [unrolled: 1-line block ×7, first 2 shown]
	buffer_load_dword v28, v4, s[0:3], 0 offen
	ds_read_b128 v[4:7], v32 offset:64
	ds_read_b128 v[8:11], v32 offset:80
	buffer_store_byte v1, off, s[0:3], 0 offset:352
	s_waitcnt lgkmcnt(1)
	buffer_store_dword v7, v31, s[0:3], 0 offen offset:12
	buffer_store_dword v6, v31, s[0:3], 0 offen offset:8
	;; [unrolled: 1-line block ×3, first 2 shown]
	buffer_store_dword v4, v31, s[0:3], 0 offen
	s_waitcnt lgkmcnt(0)
	buffer_store_dword v11, v31, s[0:3], 0 offen offset:28
	buffer_store_dword v10, v31, s[0:3], 0 offen offset:24
	;; [unrolled: 1-line block ×4, first 2 shown]
	s_waitcnt vmcnt(8)
	buffer_store_dword v27, off, s[0:3], 0 offset:348
	buffer_store_dword v26, off, s[0:3], 0 offset:344
	;; [unrolled: 1-line block ×8, first 2 shown]
	s_waitcnt vmcnt(7)
	buffer_store_dword v14, v2, s[0:3], 0 offen offset:28
	s_waitcnt vmcnt(6)
	buffer_store_dword v15, v2, s[0:3], 0 offen offset:24
	;; [unrolled: 2-line block ×7, first 2 shown]
	s_waitcnt vmcnt(0)
	buffer_store_dword v28, v2, s[0:3], 0 offen
	buffer_store_byte v22, off, s[0:3], 0 offset:388
.LBB2165_34:
	s_and_saveexec_b32 s4, s5
	s_cbranch_execz .LBB2165_36
; %bb.35:
	v_mov_b32_e32 v1, 0x80
	v_mov_b32_e32 v9, s33
	v_cndmask_b32_e64 v10, 0, 1, s7
	v_cndmask_b32_e64 v1, s40, v1, s7
	s_clause 0x7
	buffer_load_dword v2, v1, s[0:3], 0 offen offset:12
	buffer_load_dword v3, v1, s[0:3], 0 offen offset:8
	;; [unrolled: 1-line block ×3, first 2 shown]
	buffer_load_dword v5, v1, s[0:3], 0 offen
	buffer_load_dword v6, v1, s[0:3], 0 offen offset:28
	buffer_load_dword v7, v1, s[0:3], 0 offen offset:24
	;; [unrolled: 1-line block ×4, first 2 shown]
	s_waitcnt vmcnt(7)
	buffer_store_dword v2, v9, s[0:3], 0 offen offset:12
	s_waitcnt vmcnt(6)
	buffer_store_dword v3, v9, s[0:3], 0 offen offset:8
	;; [unrolled: 2-line block ×3, first 2 shown]
	s_waitcnt vmcnt(4)
	buffer_store_dword v5, v9, s[0:3], 0 offen
	s_waitcnt vmcnt(3)
	buffer_store_dword v6, v9, s[0:3], 0 offen offset:28
	s_waitcnt vmcnt(2)
	buffer_store_dword v7, v9, s[0:3], 0 offen offset:24
	;; [unrolled: 2-line block ×4, first 2 shown]
	buffer_store_byte v10, off, s[0:3], 0 offset:424
.LBB2165_36:
	s_or_b32 exec_lo, exec_lo, s4
	s_cmp_lg_u32 s6, 0
	s_waitcnt_vscnt null, 0x0
	s_barrier
	buffer_gl0_inv
	s_cbranch_scc0 .LBB2165_243
; %bb.37:
	s_clause 0x9
	buffer_load_dword v1, off, s[0:3], 0 offset:332
	buffer_load_dword v3, off, s[0:3], 0 offset:328
	;; [unrolled: 1-line block ×5, first 2 shown]
	buffer_load_ubyte v2, off, s[0:3], 0 offset:388
	buffer_load_dword v7, off, s[0:3], 0 offset:344
	buffer_load_dword v8, off, s[0:3], 0 offset:340
	buffer_load_dword v9, off, s[0:3], 0 offset:336
	buffer_load_dword v10, off, s[0:3], 0 offset:352
	s_mov_b32 s4, exec_lo
	s_waitcnt vmcnt(9)
	buffer_store_dword v1, off, s[0:3], 0 offset:284
	s_waitcnt vmcnt(8)
	buffer_store_dword v3, off, s[0:3], 0 offset:280
	;; [unrolled: 2-line block ×9, first 2 shown]
                                        ; implicit-def: $vgpr5
                                        ; implicit-def: $vgpr1
                                        ; implicit-def: $vgpr3
                                        ; implicit-def: $vgpr4
                                        ; implicit-def: $vgpr6
                                        ; implicit-def: $vgpr7
                                        ; implicit-def: $vgpr8
                                        ; implicit-def: $vgpr9
	v_cmpx_ne_u16_e32 0, v2
	s_xor_b32 s4, exec_lo, s4
	s_cbranch_execz .LBB2165_39
; %bb.38:
	s_clause 0x7
	buffer_load_dword v1, off, s[0:3], 0 offset:356
	buffer_load_dword v3, off, s[0:3], 0 offset:360
	;; [unrolled: 1-line block ×8, first 2 shown]
.LBB2165_39:
	s_andn2_saveexec_b32 s4, s4
	s_cbranch_execz .LBB2165_45
; %bb.40:
	s_waitcnt vmcnt(7)
	v_mov_b32_e32 v1, 0
	s_mov_b32 s5, 0
.LBB2165_41:                            ; =>This Inner Loop Header: Depth=1
	s_waitcnt vmcnt(6)
	v_mov_b32_e32 v3, s5
	s_add_i32 s5, s5, 4
	s_cmp_lg_u32 s5, 32
	buffer_store_dword v1, v3, s[0:3], 0 offen
	s_cbranch_scc1 .LBB2165_41
; %bb.42:
	s_mov_b32 s5, 0
	.p2align	6
.LBB2165_43:                            ; =>This Inner Loop Header: Depth=1
	v_add_nc_u32_e64 v1, 0x110, s5
	v_add_nc_u32_e64 v3, 0x140, s5
	s_waitcnt vmcnt(5)
	v_mov_b32_e32 v4, s5
	s_add_i32 s5, s5, 4
	s_clause 0x1
	buffer_load_dword v1, v1, s[0:3], 0 offen
	buffer_load_dword v3, v3, s[0:3], 0 offen offset:36
	s_cmp_lg_u32 s5, 32
	s_waitcnt vmcnt(0)
	v_add_nc_u32_e32 v1, v3, v1
	buffer_store_dword v1, v4, s[0:3], 0 offen
	s_cbranch_scc1 .LBB2165_43
; %bb.44:
	s_clause 0x7
	buffer_load_dword v1, off, s[0:3], 0
	buffer_load_dword v3, off, s[0:3], 0 offset:4
	buffer_load_dword v4, off, s[0:3], 0 offset:8
	;; [unrolled: 1-line block ×7, first 2 shown]
.LBB2165_45:
	s_or_b32 exec_lo, exec_lo, s4
	buffer_load_ubyte v11, off, s[0:3], 0 offset:424
	s_mov_b32 s4, exec_lo
	s_waitcnt vmcnt(8)
	buffer_store_dword v1, off, s[0:3], 0 offset:272
	s_waitcnt vmcnt(7)
	buffer_store_dword v3, off, s[0:3], 0 offset:276
	;; [unrolled: 2-line block ×8, first 2 shown]
                                        ; implicit-def: $vgpr9
                                        ; implicit-def: $vgpr1
                                        ; implicit-def: $vgpr3
                                        ; implicit-def: $vgpr4
                                        ; implicit-def: $vgpr5
                                        ; implicit-def: $vgpr6
                                        ; implicit-def: $vgpr7
                                        ; implicit-def: $vgpr8
	s_waitcnt vmcnt(0)
	v_cmpx_ne_u16_e32 0, v11
	s_xor_b32 s4, exec_lo, s4
	s_cbranch_execz .LBB2165_47
; %bb.46:
	s_clause 0x7
	buffer_load_dword v1, off, s[0:3], 0 offset:392
	buffer_load_dword v3, off, s[0:3], 0 offset:396
	;; [unrolled: 1-line block ×8, first 2 shown]
.LBB2165_47:
	s_andn2_saveexec_b32 s4, s4
	s_cbranch_execz .LBB2165_53
; %bb.48:
	s_waitcnt vmcnt(7)
	v_mov_b32_e32 v1, 0
	s_mov_b32 s5, 0
.LBB2165_49:                            ; =>This Inner Loop Header: Depth=1
	s_waitcnt vmcnt(6)
	v_mov_b32_e32 v3, s5
	s_add_i32 s5, s5, 4
	s_cmp_lg_u32 s5, 32
	buffer_store_dword v1, v3, s[0:3], 0 offen
	s_cbranch_scc1 .LBB2165_49
; %bb.50:
	s_mov_b32 s5, 0
	.p2align	6
.LBB2165_51:                            ; =>This Inner Loop Header: Depth=1
	v_add_nc_u32_e64 v1, 0x110, s5
	v_add_nc_u32_e64 v3, 0x140, s5
	s_waitcnt vmcnt(5)
	v_mov_b32_e32 v4, s5
	s_add_i32 s5, s5, 4
	s_clause 0x1
	buffer_load_dword v1, v1, s[0:3], 0 offen
	buffer_load_dword v3, v3, s[0:3], 0 offen offset:72
	s_cmp_lg_u32 s5, 32
	s_waitcnt vmcnt(0)
	v_add_nc_u32_e32 v1, v3, v1
	buffer_store_dword v1, v4, s[0:3], 0 offen
	s_cbranch_scc1 .LBB2165_51
; %bb.52:
	s_clause 0x7
	buffer_load_dword v1, off, s[0:3], 0
	buffer_load_dword v3, off, s[0:3], 0 offset:4
	buffer_load_dword v4, off, s[0:3], 0 offset:8
	;; [unrolled: 1-line block ×7, first 2 shown]
.LBB2165_53:
	s_or_b32 exec_lo, exec_lo, s4
	v_and_b32_e32 v10, 1, v10
	v_or_b32_e32 v2, v11, v2
	v_mbcnt_lo_u32_b32 v17, -1, 0
	s_waitcnt vmcnt(7)
	v_mov_b32_dpp v11, v1 row_shr:1 row_mask:0xf bank_mask:0xf
	s_waitcnt vmcnt(6)
	v_mov_b32_dpp v12, v3 row_shr:1 row_mask:0xf bank_mask:0xf
	v_cmp_eq_u32_e32 vcc_lo, 1, v10
	v_cmp_ne_u16_e64 s4, 0, v2
	s_waitcnt vmcnt(5)
	v_mov_b32_dpp v13, v4 row_shr:1 row_mask:0xf bank_mask:0xf
	s_waitcnt vmcnt(4)
	v_mov_b32_dpp v14, v5 row_shr:1 row_mask:0xf bank_mask:0xf
	;; [unrolled: 2-line block ×3, first 2 shown]
	v_and_b32_e32 v10, 15, v17
	s_or_b32 s4, s4, vcc_lo
	s_waitcnt vmcnt(2)
	v_mov_b32_dpp v16, v7 row_shr:1 row_mask:0xf bank_mask:0xf
	v_cndmask_b32_e64 v2, 0, 1, s4
	s_waitcnt vmcnt(1)
	v_mov_b32_dpp v18, v8 row_shr:1 row_mask:0xf bank_mask:0xf
	s_waitcnt vmcnt(0)
	v_mov_b32_dpp v19, v9 row_shr:1 row_mask:0xf bank_mask:0xf
	s_mov_b32 s4, exec_lo
	buffer_store_byte v2, off, s[0:3], 0 offset:304
	buffer_load_dword v2, off, s[0:3], 0 offset:304
	buffer_store_dword v1, off, s[0:3], 0 offset:272
	buffer_store_dword v3, off, s[0:3], 0 offset:276
	;; [unrolled: 1-line block ×8, first 2 shown]
	buffer_store_dword v11, off, s[0:3], 0
	buffer_store_dword v12, off, s[0:3], 0 offset:4
	buffer_store_dword v13, off, s[0:3], 0 offset:8
	;; [unrolled: 1-line block ×3, first 2 shown]
	s_waitcnt vmcnt(0)
	v_mov_b32_dpp v11, v2 row_shr:1 row_mask:0xf bank_mask:0xf
	buffer_store_dword v15, off, s[0:3], 0 offset:16
	buffer_store_dword v16, off, s[0:3], 0 offset:20
	buffer_store_dword v18, off, s[0:3], 0 offset:24
	buffer_store_dword v19, off, s[0:3], 0 offset:28
	buffer_store_dword v11, off, s[0:3], 0 offset:32
	v_cmpx_ne_u32_e32 0, v10
	s_xor_b32 s4, exec_lo, s4
	s_cbranch_execz .LBB2165_61
; %bb.54:
	v_mov_b32_e32 v12, 0
	v_cmp_eq_u16_sdwa s7, v2, v12 src0_sel:BYTE_0 src1_sel:DWORD
	s_and_saveexec_b32 s5, s7
	s_cbranch_execz .LBB2165_60
; %bb.55:
	s_mov_b32 s7, 0
.LBB2165_56:                            ; =>This Inner Loop Header: Depth=1
	v_add_nc_u32_e64 v1, 0x80, s7
	s_add_i32 s7, s7, 4
	s_cmp_lg_u32 s7, 32
	buffer_store_dword v12, v1, s[0:3], 0 offen
	s_cbranch_scc1 .LBB2165_56
; %bb.57:
	s_mov_b32 s7, 0
	.p2align	6
.LBB2165_58:                            ; =>This Inner Loop Header: Depth=1
	v_mov_b32_e32 v1, s7
	v_add_nc_u32_e64 v3, 0x110, s7
	v_add_nc_u32_e64 v4, 0x80, s7
	s_add_i32 s7, s7, 4
	s_clause 0x1
	buffer_load_dword v1, v1, s[0:3], 0 offen
	buffer_load_dword v3, v3, s[0:3], 0 offen
	s_cmp_lg_u32 s7, 32
	s_waitcnt vmcnt(0)
	v_add_nc_u32_e32 v1, v3, v1
	buffer_store_dword v1, v4, s[0:3], 0 offen
	s_cbranch_scc1 .LBB2165_58
; %bb.59:
	s_clause 0x7
	buffer_load_dword v1, off, s[0:3], 0 offset:128
	buffer_load_dword v3, off, s[0:3], 0 offset:132
	;; [unrolled: 1-line block ×8, first 2 shown]
.LBB2165_60:
	s_or_b32 exec_lo, exec_lo, s5
	v_or_b32_e32 v2, v11, v2
	v_and_b32_e32 v2, 1, v2
	buffer_store_byte v2, off, s[0:3], 0 offset:304
	buffer_load_dword v2, off, s[0:3], 0 offset:304
	s_waitcnt vmcnt(8)
	buffer_store_dword v1, off, s[0:3], 0 offset:272
	s_waitcnt vmcnt(7)
	buffer_store_dword v3, off, s[0:3], 0 offset:276
	;; [unrolled: 2-line block ×8, first 2 shown]
.LBB2165_61:
	s_or_b32 exec_lo, exec_lo, s4
	v_mov_b32_dpp v12, v1 row_shr:2 row_mask:0xf bank_mask:0xf
	s_waitcnt vmcnt(0)
	v_mov_b32_dpp v11, v2 row_shr:2 row_mask:0xf bank_mask:0xf
	v_mov_b32_dpp v13, v3 row_shr:2 row_mask:0xf bank_mask:0xf
	;; [unrolled: 1-line block ×4, first 2 shown]
	s_mov_b32 s5, exec_lo
	v_mov_b32_dpp v16, v6 row_shr:2 row_mask:0xf bank_mask:0xf
	v_mov_b32_dpp v18, v7 row_shr:2 row_mask:0xf bank_mask:0xf
	;; [unrolled: 1-line block ×4, first 2 shown]
	buffer_store_dword v12, off, s[0:3], 0
	buffer_store_dword v13, off, s[0:3], 0 offset:4
	buffer_store_dword v14, off, s[0:3], 0 offset:8
	;; [unrolled: 1-line block ×8, first 2 shown]
	v_cmpx_lt_u32_e32 1, v10
	s_cbranch_execz .LBB2165_68
; %bb.62:
	v_mov_b32_e32 v12, 0
	s_mov_b32 s7, 0
	v_cmp_eq_u16_sdwa s20, v2, v12 src0_sel:BYTE_0 src1_sel:DWORD
	s_and_saveexec_b32 s4, s20
	s_cbranch_execz .LBB2165_67
.LBB2165_63:                            ; =>This Inner Loop Header: Depth=1
	v_add_nc_u32_e64 v1, 0x80, s7
	s_add_i32 s7, s7, 4
	s_cmp_lg_u32 s7, 32
	buffer_store_dword v12, v1, s[0:3], 0 offen
	s_cbranch_scc1 .LBB2165_63
; %bb.64:
	s_mov_b32 s7, 0
	.p2align	6
.LBB2165_65:                            ; =>This Inner Loop Header: Depth=1
	v_mov_b32_e32 v1, s7
	v_add_nc_u32_e64 v3, 0x110, s7
	v_add_nc_u32_e64 v4, 0x80, s7
	s_add_i32 s7, s7, 4
	s_clause 0x1
	buffer_load_dword v1, v1, s[0:3], 0 offen
	buffer_load_dword v3, v3, s[0:3], 0 offen
	s_cmp_lg_u32 s7, 32
	s_waitcnt vmcnt(0)
	v_add_nc_u32_e32 v1, v3, v1
	buffer_store_dword v1, v4, s[0:3], 0 offen
	s_cbranch_scc1 .LBB2165_65
; %bb.66:
	s_clause 0x7
	buffer_load_dword v1, off, s[0:3], 0 offset:128
	buffer_load_dword v3, off, s[0:3], 0 offset:132
	;; [unrolled: 1-line block ×8, first 2 shown]
.LBB2165_67:
	s_or_b32 exec_lo, exec_lo, s4
	v_and_b32_e32 v2, 1, v2
	v_and_b32_e32 v11, 1, v11
	v_cmp_eq_u32_e32 vcc_lo, 1, v2
	v_cmp_eq_u32_e64 s4, 1, v11
	s_or_b32 s4, vcc_lo, s4
	v_cndmask_b32_e64 v2, 0, 1, s4
	buffer_store_byte v2, off, s[0:3], 0 offset:304
	buffer_load_dword v2, off, s[0:3], 0 offset:304
	s_waitcnt vmcnt(8)
	buffer_store_dword v1, off, s[0:3], 0 offset:272
	s_waitcnt vmcnt(7)
	buffer_store_dword v3, off, s[0:3], 0 offset:276
	;; [unrolled: 2-line block ×8, first 2 shown]
.LBB2165_68:
	s_or_b32 exec_lo, exec_lo, s5
	v_mov_b32_dpp v12, v1 row_shr:4 row_mask:0xf bank_mask:0xf
	s_waitcnt vmcnt(0)
	v_mov_b32_dpp v11, v2 row_shr:4 row_mask:0xf bank_mask:0xf
	v_mov_b32_dpp v13, v3 row_shr:4 row_mask:0xf bank_mask:0xf
	;; [unrolled: 1-line block ×4, first 2 shown]
	s_mov_b32 s5, exec_lo
	v_mov_b32_dpp v16, v6 row_shr:4 row_mask:0xf bank_mask:0xf
	v_mov_b32_dpp v18, v7 row_shr:4 row_mask:0xf bank_mask:0xf
	;; [unrolled: 1-line block ×4, first 2 shown]
	buffer_store_dword v12, off, s[0:3], 0
	buffer_store_dword v13, off, s[0:3], 0 offset:4
	buffer_store_dword v14, off, s[0:3], 0 offset:8
	;; [unrolled: 1-line block ×8, first 2 shown]
	v_cmpx_lt_u32_e32 3, v10
	s_cbranch_execz .LBB2165_75
; %bb.69:
	v_mov_b32_e32 v12, 0
	s_mov_b32 s7, 0
	v_cmp_eq_u16_sdwa s20, v2, v12 src0_sel:BYTE_0 src1_sel:DWORD
	s_and_saveexec_b32 s4, s20
	s_cbranch_execz .LBB2165_74
.LBB2165_70:                            ; =>This Inner Loop Header: Depth=1
	v_add_nc_u32_e64 v1, 0x80, s7
	s_add_i32 s7, s7, 4
	s_cmp_lg_u32 s7, 32
	buffer_store_dword v12, v1, s[0:3], 0 offen
	s_cbranch_scc1 .LBB2165_70
; %bb.71:
	s_mov_b32 s7, 0
	.p2align	6
.LBB2165_72:                            ; =>This Inner Loop Header: Depth=1
	v_mov_b32_e32 v1, s7
	v_add_nc_u32_e64 v3, 0x110, s7
	v_add_nc_u32_e64 v4, 0x80, s7
	s_add_i32 s7, s7, 4
	s_clause 0x1
	buffer_load_dword v1, v1, s[0:3], 0 offen
	buffer_load_dword v3, v3, s[0:3], 0 offen
	s_cmp_lg_u32 s7, 32
	s_waitcnt vmcnt(0)
	v_add_nc_u32_e32 v1, v3, v1
	buffer_store_dword v1, v4, s[0:3], 0 offen
	s_cbranch_scc1 .LBB2165_72
; %bb.73:
	s_clause 0x7
	buffer_load_dword v1, off, s[0:3], 0 offset:128
	buffer_load_dword v3, off, s[0:3], 0 offset:132
	;; [unrolled: 1-line block ×8, first 2 shown]
.LBB2165_74:
	s_or_b32 exec_lo, exec_lo, s4
	v_and_b32_e32 v2, 1, v2
	v_and_b32_e32 v11, 1, v11
	v_cmp_eq_u32_e32 vcc_lo, 1, v2
	v_cmp_eq_u32_e64 s4, 1, v11
	s_or_b32 s4, vcc_lo, s4
	v_cndmask_b32_e64 v2, 0, 1, s4
	buffer_store_byte v2, off, s[0:3], 0 offset:304
	buffer_load_dword v2, off, s[0:3], 0 offset:304
	s_waitcnt vmcnt(8)
	buffer_store_dword v1, off, s[0:3], 0 offset:272
	s_waitcnt vmcnt(7)
	buffer_store_dword v3, off, s[0:3], 0 offset:276
	;; [unrolled: 2-line block ×8, first 2 shown]
.LBB2165_75:
	s_or_b32 exec_lo, exec_lo, s5
	v_mov_b32_dpp v12, v1 row_shr:8 row_mask:0xf bank_mask:0xf
	s_waitcnt vmcnt(0)
	v_mov_b32_dpp v11, v2 row_shr:8 row_mask:0xf bank_mask:0xf
	v_mov_b32_dpp v13, v3 row_shr:8 row_mask:0xf bank_mask:0xf
	;; [unrolled: 1-line block ×4, first 2 shown]
	s_mov_b32 s5, exec_lo
	v_mov_b32_dpp v16, v6 row_shr:8 row_mask:0xf bank_mask:0xf
	v_mov_b32_dpp v18, v7 row_shr:8 row_mask:0xf bank_mask:0xf
	;; [unrolled: 1-line block ×4, first 2 shown]
	buffer_store_dword v12, off, s[0:3], 0
	buffer_store_dword v13, off, s[0:3], 0 offset:4
	buffer_store_dword v14, off, s[0:3], 0 offset:8
	;; [unrolled: 1-line block ×8, first 2 shown]
	v_cmpx_lt_u32_e32 7, v10
	s_cbranch_execz .LBB2165_82
; %bb.76:
	v_mov_b32_e32 v10, 0
	s_mov_b32 s7, 0
	v_cmp_eq_u16_sdwa s20, v2, v10 src0_sel:BYTE_0 src1_sel:DWORD
	s_and_saveexec_b32 s4, s20
	s_cbranch_execz .LBB2165_81
.LBB2165_77:                            ; =>This Inner Loop Header: Depth=1
	v_add_nc_u32_e64 v1, 0x80, s7
	s_add_i32 s7, s7, 4
	s_cmp_lg_u32 s7, 32
	buffer_store_dword v10, v1, s[0:3], 0 offen
	s_cbranch_scc1 .LBB2165_77
; %bb.78:
	s_mov_b32 s7, 0
	.p2align	6
.LBB2165_79:                            ; =>This Inner Loop Header: Depth=1
	v_mov_b32_e32 v1, s7
	v_add_nc_u32_e64 v3, 0x110, s7
	v_add_nc_u32_e64 v4, 0x80, s7
	s_add_i32 s7, s7, 4
	s_clause 0x1
	buffer_load_dword v1, v1, s[0:3], 0 offen
	buffer_load_dword v3, v3, s[0:3], 0 offen
	s_cmp_lg_u32 s7, 32
	s_waitcnt vmcnt(0)
	v_add_nc_u32_e32 v1, v3, v1
	buffer_store_dword v1, v4, s[0:3], 0 offen
	s_cbranch_scc1 .LBB2165_79
; %bb.80:
	s_clause 0x7
	buffer_load_dword v1, off, s[0:3], 0 offset:128
	buffer_load_dword v3, off, s[0:3], 0 offset:132
	;; [unrolled: 1-line block ×8, first 2 shown]
.LBB2165_81:
	s_or_b32 exec_lo, exec_lo, s4
	v_and_b32_e32 v2, 1, v2
	v_and_b32_e32 v10, 1, v11
	v_cmp_eq_u32_e32 vcc_lo, 1, v2
	v_cmp_eq_u32_e64 s4, 1, v10
	s_or_b32 s4, vcc_lo, s4
	v_cndmask_b32_e64 v2, 0, 1, s4
	buffer_store_byte v2, off, s[0:3], 0 offset:304
	buffer_load_dword v2, off, s[0:3], 0 offset:304
	s_waitcnt vmcnt(8)
	buffer_store_dword v1, off, s[0:3], 0 offset:272
	s_waitcnt vmcnt(7)
	buffer_store_dword v3, off, s[0:3], 0 offset:276
	s_waitcnt vmcnt(6)
	buffer_store_dword v4, off, s[0:3], 0 offset:280
	s_waitcnt vmcnt(5)
	buffer_store_dword v5, off, s[0:3], 0 offset:284
	s_waitcnt vmcnt(4)
	buffer_store_dword v6, off, s[0:3], 0 offset:288
	s_waitcnt vmcnt(3)
	buffer_store_dword v7, off, s[0:3], 0 offset:292
	s_waitcnt vmcnt(2)
	buffer_store_dword v8, off, s[0:3], 0 offset:296
	s_waitcnt vmcnt(1)
	buffer_store_dword v9, off, s[0:3], 0 offset:300
.LBB2165_82:
	s_or_b32 exec_lo, exec_lo, s5
	ds_swizzle_b32 v11, v1 offset:swizzle(BROADCAST,32,15)
	s_waitcnt vmcnt(0)
	ds_swizzle_b32 v10, v2 offset:swizzle(BROADCAST,32,15)
	ds_swizzle_b32 v12, v3 offset:swizzle(BROADCAST,32,15)
	;; [unrolled: 1-line block ×8, first 2 shown]
	v_and_b32_e32 v20, 16, v17
	s_mov_b32 s5, exec_lo
	s_waitcnt lgkmcnt(8)
	buffer_store_dword v11, off, s[0:3], 0
	s_waitcnt lgkmcnt(6)
	buffer_store_dword v12, off, s[0:3], 0 offset:4
	s_waitcnt lgkmcnt(5)
	buffer_store_dword v13, off, s[0:3], 0 offset:8
	;; [unrolled: 2-line block ×7, first 2 shown]
	buffer_store_dword v10, off, s[0:3], 0 offset:32
	v_cmpx_ne_u32_e32 0, v20
	s_cbranch_execz .LBB2165_89
; %bb.83:
	v_mov_b32_e32 v11, 0
	s_mov_b32 s7, 0
	v_cmp_eq_u16_sdwa s20, v2, v11 src0_sel:BYTE_0 src1_sel:DWORD
	s_and_saveexec_b32 s4, s20
	s_cbranch_execz .LBB2165_88
.LBB2165_84:                            ; =>This Inner Loop Header: Depth=1
	v_add_nc_u32_e64 v1, 0x80, s7
	s_add_i32 s7, s7, 4
	s_cmp_lg_u32 s7, 32
	buffer_store_dword v11, v1, s[0:3], 0 offen
	s_cbranch_scc1 .LBB2165_84
; %bb.85:
	s_mov_b32 s7, 0
	.p2align	6
.LBB2165_86:                            ; =>This Inner Loop Header: Depth=1
	v_mov_b32_e32 v1, s7
	v_add_nc_u32_e64 v3, 0x110, s7
	v_add_nc_u32_e64 v4, 0x80, s7
	s_add_i32 s7, s7, 4
	s_clause 0x1
	buffer_load_dword v1, v1, s[0:3], 0 offen
	buffer_load_dword v3, v3, s[0:3], 0 offen
	s_cmp_lg_u32 s7, 32
	s_waitcnt vmcnt(0)
	v_add_nc_u32_e32 v1, v3, v1
	buffer_store_dword v1, v4, s[0:3], 0 offen
	s_cbranch_scc1 .LBB2165_86
; %bb.87:
	s_clause 0x7
	buffer_load_dword v1, off, s[0:3], 0 offset:128
	buffer_load_dword v3, off, s[0:3], 0 offset:132
	;; [unrolled: 1-line block ×8, first 2 shown]
.LBB2165_88:
	s_or_b32 exec_lo, exec_lo, s4
	v_and_b32_e32 v2, 1, v2
	v_and_b32_e32 v10, 1, v10
	s_waitcnt vmcnt(7)
	buffer_store_dword v1, off, s[0:3], 0 offset:272
	s_waitcnt vmcnt(6)
	buffer_store_dword v3, off, s[0:3], 0 offset:276
	;; [unrolled: 2-line block ×3, first 2 shown]
	v_cmp_eq_u32_e32 vcc_lo, 1, v2
	v_cmp_eq_u32_e64 s4, 1, v10
	s_or_b32 s4, vcc_lo, s4
	v_cndmask_b32_e64 v2, 0, 1, s4
	s_waitcnt vmcnt(4)
	buffer_store_dword v5, off, s[0:3], 0 offset:284
	s_waitcnt vmcnt(3)
	buffer_store_dword v6, off, s[0:3], 0 offset:288
	;; [unrolled: 2-line block ×5, first 2 shown]
	buffer_store_byte v2, off, s[0:3], 0 offset:304
.LBB2165_89:
	s_or_b32 exec_lo, exec_lo, s5
	v_or_b32_e32 v11, 31, v0
	v_lshrrev_b32_e32 v10, 5, v0
	s_mov_b32 s4, exec_lo
	v_cmpx_eq_u32_e64 v0, v11
	s_cbranch_execz .LBB2165_91
; %bb.90:
	v_mul_u32_u24_e32 v11, 36, v10
	ds_write2_b32 v11, v1, v3 offset1:1
	ds_write2_b32 v11, v4, v5 offset0:2 offset1:3
	ds_write2_b32 v11, v6, v7 offset0:4 offset1:5
	;; [unrolled: 1-line block ×3, first 2 shown]
	ds_write_b8 v11, v2 offset:32
.LBB2165_91:
	s_or_b32 exec_lo, exec_lo, s4
	s_mov_b32 s5, exec_lo
	s_waitcnt lgkmcnt(0)
	s_waitcnt_vscnt null, 0x0
	s_barrier
	buffer_gl0_inv
	v_cmpx_gt_u32_e32 8, v0
	s_cbranch_execz .LBB2165_115
; %bb.92:
	v_mul_u32_u24_e32 v9, 36, v0
	v_and_b32_e32 v12, 7, v17
	ds_read_b32 v11, v9 offset:32
	ds_read2_b32 v[1:2], v9 offset0:2 offset1:3
	ds_read2_b32 v[5:6], v9 offset0:4 offset1:5
	ds_read2_b32 v[3:4], v9 offset1:1
	ds_read2_b32 v[7:8], v9 offset0:6 offset1:7
	v_cmp_ne_u32_e32 vcc_lo, 0, v12
	s_waitcnt lgkmcnt(4)
	buffer_store_dword v11, off, s[0:3], 0 offset:160
	s_waitcnt lgkmcnt(3)
	buffer_store_dword v1, off, s[0:3], 0 offset:136
	;; [unrolled: 2-line block ×3, first 2 shown]
	buffer_store_dword v3, off, s[0:3], 0 offset:128
	buffer_store_dword v2, off, s[0:3], 0 offset:140
	s_waitcnt lgkmcnt(0)
	buffer_store_dword v7, off, s[0:3], 0 offset:152
	buffer_store_dword v6, off, s[0:3], 0 offset:148
	;; [unrolled: 1-line block ×4, first 2 shown]
	v_mov_b32_dpp v14, v3 row_shr:1 row_mask:0xf bank_mask:0xf
	v_mov_b32_dpp v13, v11 row_shr:1 row_mask:0xf bank_mask:0xf
	;; [unrolled: 1-line block ×9, first 2 shown]
	buffer_store_dword v14, off, s[0:3], 0
	buffer_store_dword v15, off, s[0:3], 0 offset:4
	buffer_store_dword v16, off, s[0:3], 0 offset:8
	;; [unrolled: 1-line block ×8, first 2 shown]
	s_and_saveexec_b32 s4, vcc_lo
	s_cbranch_execz .LBB2165_100
; %bb.93:
	v_mov_b32_e32 v14, 0
	v_cmp_eq_u16_sdwa s20, v11, v14 src0_sel:BYTE_0 src1_sel:DWORD
	s_and_saveexec_b32 s7, s20
	s_cbranch_execz .LBB2165_99
; %bb.94:
	s_mov_b32 s20, 0
.LBB2165_95:                            ; =>This Inner Loop Header: Depth=1
	v_add_nc_u32_e64 v1, 0xa4, s20
	s_add_i32 s20, s20, 4
	s_cmp_lg_u32 s20, 32
	buffer_store_dword v14, v1, s[0:3], 0 offen
	s_cbranch_scc1 .LBB2165_95
; %bb.96:
	s_mov_b32 s20, 0
	.p2align	6
.LBB2165_97:                            ; =>This Inner Loop Header: Depth=1
	v_mov_b32_e32 v1, s20
	v_add_nc_u32_e64 v2, 0x80, s20
	v_add_nc_u32_e64 v3, 0xa4, s20
	s_add_i32 s20, s20, 4
	s_clause 0x1
	buffer_load_dword v1, v1, s[0:3], 0 offen
	buffer_load_dword v2, v2, s[0:3], 0 offen
	s_cmp_lg_u32 s20, 32
	s_waitcnt vmcnt(0)
	v_add_nc_u32_e32 v1, v2, v1
	buffer_store_dword v1, v3, s[0:3], 0 offen
	s_cbranch_scc1 .LBB2165_97
; %bb.98:
	s_clause 0x7
	buffer_load_dword v3, off, s[0:3], 0 offset:164
	buffer_load_dword v4, off, s[0:3], 0 offset:168
	;; [unrolled: 1-line block ×8, first 2 shown]
.LBB2165_99:
	s_or_b32 exec_lo, exec_lo, s7
	v_or_b32_e32 v11, v13, v11
	v_and_b32_e32 v11, 1, v11
	buffer_store_byte v11, off, s[0:3], 0 offset:160
	buffer_load_dword v11, off, s[0:3], 0 offset:160
	s_waitcnt vmcnt(8)
	buffer_store_dword v3, off, s[0:3], 0 offset:128
	s_waitcnt vmcnt(7)
	buffer_store_dword v4, off, s[0:3], 0 offset:132
	;; [unrolled: 2-line block ×8, first 2 shown]
.LBB2165_100:
	s_or_b32 exec_lo, exec_lo, s4
	v_mov_b32_dpp v14, v3 row_shr:2 row_mask:0xf bank_mask:0xf
	s_waitcnt vmcnt(0)
	v_mov_b32_dpp v13, v11 row_shr:2 row_mask:0xf bank_mask:0xf
	v_mov_b32_dpp v15, v4 row_shr:2 row_mask:0xf bank_mask:0xf
	;; [unrolled: 1-line block ×4, first 2 shown]
	s_mov_b32 s7, exec_lo
	v_mov_b32_dpp v19, v5 row_shr:2 row_mask:0xf bank_mask:0xf
	v_mov_b32_dpp v20, v6 row_shr:2 row_mask:0xf bank_mask:0xf
	;; [unrolled: 1-line block ×4, first 2 shown]
	buffer_store_dword v14, off, s[0:3], 0
	buffer_store_dword v15, off, s[0:3], 0 offset:4
	buffer_store_dword v16, off, s[0:3], 0 offset:8
	;; [unrolled: 1-line block ×8, first 2 shown]
	v_cmpx_lt_u32_e32 1, v12
	s_cbranch_execz .LBB2165_107
; %bb.101:
	v_mov_b32_e32 v14, 0
	s_mov_b32 s20, 0
	v_cmp_eq_u16_sdwa s21, v11, v14 src0_sel:BYTE_0 src1_sel:DWORD
	s_and_saveexec_b32 s4, s21
	s_cbranch_execz .LBB2165_106
.LBB2165_102:                           ; =>This Inner Loop Header: Depth=1
	v_add_nc_u32_e64 v1, 0xa4, s20
	s_add_i32 s20, s20, 4
	s_cmp_lg_u32 s20, 32
	buffer_store_dword v14, v1, s[0:3], 0 offen
	s_cbranch_scc1 .LBB2165_102
; %bb.103:
	s_mov_b32 s20, 0
	.p2align	6
.LBB2165_104:                           ; =>This Inner Loop Header: Depth=1
	v_mov_b32_e32 v1, s20
	v_add_nc_u32_e64 v2, 0x80, s20
	v_add_nc_u32_e64 v3, 0xa4, s20
	s_add_i32 s20, s20, 4
	s_clause 0x1
	buffer_load_dword v1, v1, s[0:3], 0 offen
	buffer_load_dword v2, v2, s[0:3], 0 offen
	s_cmp_lg_u32 s20, 32
	s_waitcnt vmcnt(0)
	v_add_nc_u32_e32 v1, v2, v1
	buffer_store_dword v1, v3, s[0:3], 0 offen
	s_cbranch_scc1 .LBB2165_104
; %bb.105:
	s_clause 0x7
	buffer_load_dword v3, off, s[0:3], 0 offset:164
	buffer_load_dword v4, off, s[0:3], 0 offset:168
	;; [unrolled: 1-line block ×8, first 2 shown]
.LBB2165_106:
	s_or_b32 exec_lo, exec_lo, s4
	v_and_b32_e32 v11, 1, v11
	v_and_b32_e32 v13, 1, v13
	v_cmp_eq_u32_e32 vcc_lo, 1, v11
	v_cmp_eq_u32_e64 s4, 1, v13
	s_or_b32 s4, vcc_lo, s4
	v_cndmask_b32_e64 v11, 0, 1, s4
	buffer_store_byte v11, off, s[0:3], 0 offset:160
	buffer_load_dword v11, off, s[0:3], 0 offset:160
	s_waitcnt vmcnt(8)
	buffer_store_dword v3, off, s[0:3], 0 offset:128
	s_waitcnt vmcnt(7)
	buffer_store_dword v4, off, s[0:3], 0 offset:132
	s_waitcnt vmcnt(6)
	buffer_store_dword v1, off, s[0:3], 0 offset:136
	s_waitcnt vmcnt(5)
	buffer_store_dword v2, off, s[0:3], 0 offset:140
	s_waitcnt vmcnt(4)
	buffer_store_dword v5, off, s[0:3], 0 offset:144
	s_waitcnt vmcnt(3)
	buffer_store_dword v6, off, s[0:3], 0 offset:148
	s_waitcnt vmcnt(2)
	buffer_store_dword v7, off, s[0:3], 0 offset:152
	s_waitcnt vmcnt(1)
	buffer_store_dword v8, off, s[0:3], 0 offset:156
.LBB2165_107:
	s_or_b32 exec_lo, exec_lo, s7
	v_mov_b32_dpp v14, v3 row_shr:4 row_mask:0xf bank_mask:0xf
	s_waitcnt vmcnt(0)
	v_mov_b32_dpp v13, v11 row_shr:4 row_mask:0xf bank_mask:0xf
	v_mov_b32_dpp v15, v4 row_shr:4 row_mask:0xf bank_mask:0xf
	;; [unrolled: 1-line block ×4, first 2 shown]
	s_mov_b32 s7, exec_lo
	v_mov_b32_dpp v19, v5 row_shr:4 row_mask:0xf bank_mask:0xf
	v_mov_b32_dpp v20, v6 row_shr:4 row_mask:0xf bank_mask:0xf
	;; [unrolled: 1-line block ×4, first 2 shown]
	buffer_store_dword v14, off, s[0:3], 0
	buffer_store_dword v15, off, s[0:3], 0 offset:4
	buffer_store_dword v16, off, s[0:3], 0 offset:8
	;; [unrolled: 1-line block ×8, first 2 shown]
	v_cmpx_lt_u32_e32 3, v12
	s_cbranch_execz .LBB2165_114
; %bb.108:
	v_mov_b32_e32 v12, 0
	s_mov_b32 s20, 0
	v_cmp_eq_u16_sdwa s21, v11, v12 src0_sel:BYTE_0 src1_sel:DWORD
	s_and_saveexec_b32 s4, s21
	s_cbranch_execz .LBB2165_113
.LBB2165_109:                           ; =>This Inner Loop Header: Depth=1
	v_add_nc_u32_e64 v1, 0xa4, s20
	s_add_i32 s20, s20, 4
	s_cmp_lg_u32 s20, 32
	buffer_store_dword v12, v1, s[0:3], 0 offen
	s_cbranch_scc1 .LBB2165_109
; %bb.110:
	s_mov_b32 s20, 0
	.p2align	6
.LBB2165_111:                           ; =>This Inner Loop Header: Depth=1
	v_mov_b32_e32 v1, s20
	v_add_nc_u32_e64 v2, 0x80, s20
	v_add_nc_u32_e64 v3, 0xa4, s20
	s_add_i32 s20, s20, 4
	s_clause 0x1
	buffer_load_dword v1, v1, s[0:3], 0 offen
	buffer_load_dword v2, v2, s[0:3], 0 offen
	s_cmp_lg_u32 s20, 32
	s_waitcnt vmcnt(0)
	v_add_nc_u32_e32 v1, v2, v1
	buffer_store_dword v1, v3, s[0:3], 0 offen
	s_cbranch_scc1 .LBB2165_111
; %bb.112:
	s_clause 0x7
	buffer_load_dword v3, off, s[0:3], 0 offset:164
	buffer_load_dword v4, off, s[0:3], 0 offset:168
	;; [unrolled: 1-line block ×8, first 2 shown]
.LBB2165_113:
	s_or_b32 exec_lo, exec_lo, s4
	v_and_b32_e32 v11, 1, v11
	v_and_b32_e32 v12, 1, v13
	s_waitcnt vmcnt(7)
	buffer_store_dword v3, off, s[0:3], 0 offset:128
	s_waitcnt vmcnt(6)
	buffer_store_dword v4, off, s[0:3], 0 offset:132
	;; [unrolled: 2-line block ×8, first 2 shown]
	v_cmp_eq_u32_e32 vcc_lo, 1, v11
	v_cmp_eq_u32_e64 s4, 1, v12
	s_or_b32 s4, vcc_lo, s4
	v_cndmask_b32_e64 v11, 0, 1, s4
.LBB2165_114:
	s_or_b32 exec_lo, exec_lo, s7
	s_clause 0x7
	buffer_load_dword v1, off, s[0:3], 0 offset:128
	buffer_load_dword v2, off, s[0:3], 0 offset:132
	;; [unrolled: 1-line block ×8, first 2 shown]
	s_waitcnt vmcnt(4)
	ds_write2_b32 v9, v3, v4 offset0:2 offset1:3
	ds_write2_b32 v9, v1, v2 offset1:1
	s_waitcnt vmcnt(1)
	ds_write2_b32 v9, v6, v7 offset0:6 offset1:7
	s_waitcnt vmcnt(0)
	ds_write2_b32 v9, v5, v8 offset0:4 offset1:5
	ds_write_b8 v9, v11 offset:32
.LBB2165_115:
	s_or_b32 exec_lo, exec_lo, s5
	v_mov_b32_e32 v1, 0
	s_mov_b32 s4, 0
	s_waitcnt lgkmcnt(0)
	s_waitcnt_vscnt null, 0x0
	s_barrier
	buffer_gl0_inv
	buffer_store_dword v1, off, s[0:3], 0 offset:28
	buffer_store_dword v1, off, s[0:3], 0 offset:24
	;; [unrolled: 1-line block ×7, first 2 shown]
	buffer_store_dword v1, off, s[0:3], 0
	buffer_store_dword v1, off, s[0:3], 0 offset:32
.LBB2165_116:                           ; =>This Inner Loop Header: Depth=1
	v_mov_b32_e32 v2, s4
	s_add_i32 s4, s4, 4
	s_cmp_lg_u32 s4, 32
	buffer_store_dword v1, v2, s[0:3], 0 offen
	s_cbranch_scc1 .LBB2165_116
; %bb.117:
	s_mov_b32 s5, exec_lo
	v_cmp_gt_u32_e32 vcc_lo, 32, v0
                                        ; implicit-def: $vgpr2
                                        ; implicit-def: $vgpr3
                                        ; implicit-def: $vgpr4
                                        ; implicit-def: $vgpr5
                                        ; implicit-def: $vgpr6
                                        ; implicit-def: $vgpr8
                                        ; implicit-def: $vgpr9
                                        ; implicit-def: $vgpr7
                                        ; implicit-def: $vgpr1
	v_cmpx_lt_u32_e32 31, v0
	s_xor_b32 s5, exec_lo, s5
	s_cbranch_execz .LBB2165_127
; %bb.118:
	buffer_load_ubyte v11, off, s[0:3], 0 offset:304
	v_mad_u32_u24 v1, v10, 36, 0xffffffdc
	v_mad_u32_u24 v10, v10, 36, -4
	ds_read2_b32 v[2:3], v1 offset0:2 offset1:3
	ds_read2_b32 v[4:5], v1 offset0:4 offset1:5
	ds_read2_b32 v[6:7], v1 offset1:1
	ds_read2_b32 v[8:9], v1 offset0:6 offset1:7
	ds_read_u8 v1, v10
	s_waitcnt lgkmcnt(4)
	buffer_store_dword v3, off, s[0:3], 0 offset:12
	buffer_store_dword v2, off, s[0:3], 0 offset:8
	s_waitcnt lgkmcnt(2)
	buffer_store_dword v7, off, s[0:3], 0 offset:4
	buffer_store_dword v6, off, s[0:3], 0
	s_waitcnt lgkmcnt(1)
	buffer_store_dword v9, off, s[0:3], 0 offset:28
	buffer_store_dword v8, off, s[0:3], 0 offset:24
	;; [unrolled: 1-line block ×4, first 2 shown]
                                        ; implicit-def: $vgpr7
                                        ; implicit-def: $vgpr2
                                        ; implicit-def: $vgpr3
                                        ; implicit-def: $vgpr4
                                        ; implicit-def: $vgpr5
                                        ; implicit-def: $vgpr6
                                        ; implicit-def: $vgpr8
                                        ; implicit-def: $vgpr9
	s_waitcnt vmcnt(0)
	v_cmp_ne_u16_e64 s4, 0, v11
	s_and_saveexec_b32 s7, s4
	s_xor_b32 s4, exec_lo, s7
	s_cbranch_execz .LBB2165_120
; %bb.119:
	s_clause 0x7
	buffer_load_dword v2, off, s[0:3], 0 offset:272
	buffer_load_dword v3, off, s[0:3], 0 offset:276
	;; [unrolled: 1-line block ×8, first 2 shown]
.LBB2165_120:
	s_andn2_saveexec_b32 s4, s4
	s_cbranch_execz .LBB2165_126
; %bb.121:
	s_waitcnt vmcnt(7)
	v_mov_b32_e32 v2, 0
	s_mov_b32 s7, 0
.LBB2165_122:                           ; =>This Inner Loop Header: Depth=1
	s_waitcnt vmcnt(6)
	v_add_nc_u32_e64 v3, 0x80, s7
	s_add_i32 s7, s7, 4
	s_cmp_lg_u32 s7, 32
	buffer_store_dword v2, v3, s[0:3], 0 offen
	s_cbranch_scc1 .LBB2165_122
; %bb.123:
	s_mov_b32 s7, 0
	.p2align	6
.LBB2165_124:                           ; =>This Inner Loop Header: Depth=1
	v_mov_b32_e32 v2, s7
	v_add_nc_u32_e64 v3, 0x110, s7
	s_waitcnt vmcnt(5)
	v_add_nc_u32_e64 v4, 0x80, s7
	s_add_i32 s7, s7, 4
	s_clause 0x1
	buffer_load_dword v2, v2, s[0:3], 0 offen
	buffer_load_dword v3, v3, s[0:3], 0 offen
	s_cmp_lg_u32 s7, 32
	s_waitcnt vmcnt(0)
	v_add_nc_u32_e32 v2, v3, v2
	buffer_store_dword v2, v4, s[0:3], 0 offen
	s_cbranch_scc1 .LBB2165_124
; %bb.125:
	s_clause 0x7
	buffer_load_dword v2, off, s[0:3], 0 offset:128
	buffer_load_dword v3, off, s[0:3], 0 offset:132
	;; [unrolled: 1-line block ×8, first 2 shown]
.LBB2165_126:
	s_or_b32 exec_lo, exec_lo, s4
	s_waitcnt lgkmcnt(0)
	v_or_b32_e32 v10, v11, v1
	buffer_store_byte v10, off, s[0:3], 0 offset:304
.LBB2165_127:
	s_andn2_saveexec_b32 s4, s5
	s_cbranch_execz .LBB2165_129
; %bb.128:
	s_clause 0x7
	buffer_load_dword v2, off, s[0:3], 0 offset:272
	buffer_load_dword v3, off, s[0:3], 0 offset:276
	;; [unrolled: 1-line block ×8, first 2 shown]
	v_mov_b32_e32 v1, 0
.LBB2165_129:
	s_or_b32 exec_lo, exec_lo, s4
	buffer_load_dword v10, off, s[0:3], 0 offset:304
	v_sub_co_u32 v11, s7, v17, 1
	v_cmp_gt_i32_e64 s4, 0, v11
	v_cndmask_b32_e64 v11, v11, v17, s4
	v_lshlrev_b32_e32 v11, 2, v11
	s_waitcnt vmcnt(8)
	ds_bpermute_b32 v2, v11, v2
	s_waitcnt vmcnt(7)
	ds_bpermute_b32 v3, v11, v3
	;; [unrolled: 2-line block ×9, first 2 shown]
	s_waitcnt lgkmcnt(8)
	buffer_store_dword v2, off, s[0:3], 0 offset:272
	s_waitcnt lgkmcnt(7)
	buffer_store_dword v3, off, s[0:3], 0 offset:276
	;; [unrolled: 2-line block ×8, first 2 shown]
	s_waitcnt lgkmcnt(0)
	buffer_store_byte v10, off, s[0:3], 0 offset:304
	s_and_saveexec_b32 s4, s7
	s_cbranch_execz .LBB2165_131
; %bb.130:
	s_clause 0x7
	buffer_load_dword v2, off, s[0:3], 0 offset:12
	buffer_load_dword v3, off, s[0:3], 0 offset:8
	;; [unrolled: 1-line block ×3, first 2 shown]
	buffer_load_dword v5, off, s[0:3], 0
	buffer_load_dword v6, off, s[0:3], 0 offset:28
	buffer_load_dword v7, off, s[0:3], 0 offset:24
	;; [unrolled: 1-line block ×4, first 2 shown]
	s_waitcnt vmcnt(7)
	buffer_store_dword v2, off, s[0:3], 0 offset:284
	s_waitcnt vmcnt(6)
	buffer_store_dword v3, off, s[0:3], 0 offset:280
	;; [unrolled: 2-line block ×8, first 2 shown]
	buffer_store_byte v1, off, s[0:3], 0 offset:304
.LBB2165_131:
	s_or_b32 exec_lo, exec_lo, s4
	s_and_saveexec_b32 s5, vcc_lo
	s_cbranch_execz .LBB2165_253
; %bb.132:
	v_mov_b32_e32 v9, 0
	ds_read2_b32 v[1:2], v9 offset0:63 offset1:64
	ds_read2_b32 v[3:4], v9 offset0:65 offset1:66
	;; [unrolled: 1-line block ×4, first 2 shown]
	ds_read_b32 v18, v9 offset:284
	s_waitcnt lgkmcnt(4)
	buffer_store_dword v1, off, s[0:3], 0 offset:236
	buffer_store_dword v2, off, s[0:3], 0 offset:240
	s_waitcnt lgkmcnt(3)
	buffer_store_dword v3, off, s[0:3], 0 offset:244
	buffer_store_dword v4, off, s[0:3], 0 offset:248
	;; [unrolled: 3-line block ×4, first 2 shown]
	s_waitcnt lgkmcnt(0)
	buffer_store_dword v18, off, s[0:3], 0 offset:268
	s_and_saveexec_b32 s4, s7
	s_cbranch_execz .LBB2165_134
; %bb.133:
	s_add_i32 s40, s6, 32
	v_mov_b32_e32 v10, 1
	s_mul_i32 s20, s40, 36
	v_mov_b32_e32 v11, s40
	s_mul_hi_u32 s21, s40, 36
	s_add_u32 s20, s8, s20
	s_addc_u32 s21, s9, s21
	global_store_dwordx4 v9, v[1:4], s[20:21]
	global_store_dwordx4 v9, v[5:8], s[20:21] offset:16
	global_store_byte v9, v18, s[20:21] offset:32
	s_waitcnt_vscnt null, 0x0
	buffer_gl1_inv
	buffer_gl0_inv
	global_store_byte v11, v10, s[12:13]
.LBB2165_134:
	s_or_b32 exec_lo, exec_lo, s4
	s_mov_b32 s4, 0
	buffer_store_dword v9, off, s[0:3], 0 offset:228
	buffer_store_dword v9, off, s[0:3], 0 offset:224
	;; [unrolled: 1-line block ×9, first 2 shown]
.LBB2165_135:                           ; =>This Inner Loop Header: Depth=1
	v_add_nc_u32_e64 v10, 0xc8, s4
	s_add_i32 s4, s4, 4
	s_cmp_lg_u32 s4, 32
	buffer_store_dword v9, v10, s[0:3], 0 offen
	s_cbranch_scc1 .LBB2165_135
; %bb.136:
	v_mov_b32_e32 v9, 0
	s_mov_b32 s4, 0
	buffer_store_byte v9, off, s[0:3], 0 offset:232
	buffer_store_dword v9, off, s[0:3], 0 offset:156
	buffer_store_dword v9, off, s[0:3], 0 offset:152
	;; [unrolled: 1-line block ×9, first 2 shown]
.LBB2165_137:                           ; =>This Inner Loop Header: Depth=1
	v_add_nc_u32_e64 v10, 0x80, s4
	s_add_i32 s4, s4, 4
	s_cmp_lg_u32 s4, 32
	buffer_store_dword v9, v10, s[0:3], 0 offen
	s_cbranch_scc1 .LBB2165_137
; %bb.138:
	v_xad_u32 v19, v17, -1, s6
	v_mov_b32_e32 v9, 0
	s_mov_b32 s4, exec_lo
	v_add_nc_u32_e32 v11, 32, v19
	buffer_store_byte v9, off, s[0:3], 0 offset:160
	global_load_ubyte v20, v11, s[12:13] glc dlc
	s_waitcnt vmcnt(0)
	v_cmpx_eq_u16_e32 0, v20
	s_cbranch_execz .LBB2165_142
; %bb.139:
	v_add_co_u32 v9, s20, s12, v11
	v_add_co_ci_u32_e64 v10, null, s13, 0, s20
	s_mov_b32 s20, 0
.LBB2165_140:                           ; =>This Inner Loop Header: Depth=1
	global_load_ubyte v20, v[9:10], off glc dlc
	s_waitcnt vmcnt(0)
	v_cmp_ne_u16_e32 vcc_lo, 0, v20
	s_or_b32 s20, vcc_lo, s20
	s_andn2_b32 exec_lo, exec_lo, s20
	s_cbranch_execnz .LBB2165_140
; %bb.141:
	s_or_b32 exec_lo, exec_lo, s20
.LBB2165_142:
	s_or_b32 exec_lo, exec_lo, s4
	v_mov_b32_e32 v9, s9
	v_mov_b32_e32 v12, s8
	v_cmp_eq_u16_e32 vcc_lo, 1, v20
	s_waitcnt_vscnt null, 0x0
	buffer_gl1_inv
	buffer_gl0_inv
	s_mov_b32 s4, 0
	v_cndmask_b32_e32 v10, s11, v9, vcc_lo
	v_cndmask_b32_e32 v9, s10, v12, vcc_lo
	v_mad_u64_u32 v[21:22], null, v11, 36, v[9:10]
	s_clause 0x2
	global_load_dwordx4 v[9:12], v[21:22], off
	global_load_dwordx4 v[13:16], v[21:22], off offset:16
	global_load_ubyte v22, v[21:22], off offset:32
	v_mov_b32_e32 v21, 0
	s_waitcnt vmcnt(2)
	buffer_store_dword v10, off, s[0:3], 0 offset:132
	buffer_store_dword v9, off, s[0:3], 0 offset:128
	;; [unrolled: 1-line block ×4, first 2 shown]
	s_waitcnt vmcnt(1)
	buffer_store_dword v15, off, s[0:3], 0 offset:152
	buffer_store_dword v14, off, s[0:3], 0 offset:148
	;; [unrolled: 1-line block ×4, first 2 shown]
	s_waitcnt vmcnt(0)
	buffer_store_byte v22, off, s[0:3], 0 offset:160
	buffer_store_dword v9, off, s[0:3], 0 offset:200
	buffer_store_dword v10, off, s[0:3], 0 offset:204
	;; [unrolled: 1-line block ×8, first 2 shown]
	buffer_store_byte v22, off, s[0:3], 0 offset:232
	buffer_store_dword v21, off, s[0:3], 0 offset:32
.LBB2165_143:                           ; =>This Inner Loop Header: Depth=1
	v_mov_b32_e32 v22, s4
	s_add_i32 s4, s4, 4
	s_cmp_lg_u32 s4, 32
	buffer_store_dword v21, v22, s[0:3], 0 offen
	s_cbranch_scc1 .LBB2165_143
; %bb.144:
	buffer_load_dword v31, off, s[0:3], 0 offset:232
	v_cmp_ne_u32_e32 vcc_lo, 31, v17
	v_lshlrev_b32_e64 v22, v17, -1
	s_mov_b32 s4, exec_lo
	v_add_co_ci_u32_e64 v21, null, 0, v17, vcc_lo
	v_cmp_eq_u16_e32 vcc_lo, 2, v20
	v_lshlrev_b32_e32 v21, 2, v21
	v_and_or_b32 v32, vcc_lo, v22, 0x80000000
	ds_bpermute_b32 v24, v21, v9
	ds_bpermute_b32 v25, v21, v10
	;; [unrolled: 1-line block ×8, first 2 shown]
	v_ffbl_b32_e32 v32, v32
	s_waitcnt lgkmcnt(7)
	buffer_store_dword v24, off, s[0:3], 0
	s_waitcnt lgkmcnt(6)
	buffer_store_dword v25, off, s[0:3], 0 offset:4
	s_waitcnt lgkmcnt(5)
	buffer_store_dword v26, off, s[0:3], 0 offset:8
	;; [unrolled: 2-line block ×7, first 2 shown]
	s_waitcnt vmcnt(0)
	ds_bpermute_b32 v23, v21, v31
	v_cmpx_lt_u32_e64 v17, v32
	s_cbranch_execz .LBB2165_152
; %bb.145:
	v_mov_b32_e32 v24, 0
	v_cmp_eq_u16_sdwa s21, v31, v24 src0_sel:BYTE_0 src1_sel:DWORD
	s_and_saveexec_b32 s20, s21
	s_cbranch_execz .LBB2165_151
; %bb.146:
	s_mov_b32 s21, 0
.LBB2165_147:                           ; =>This Inner Loop Header: Depth=1
	v_add_nc_u32_e64 v9, 0xa4, s21
	s_add_i32 s21, s21, 4
	s_cmp_lg_u32 s21, 32
	buffer_store_dword v24, v9, s[0:3], 0 offen
	s_cbranch_scc1 .LBB2165_147
; %bb.148:
	s_mov_b32 s21, 0
	.p2align	6
.LBB2165_149:                           ; =>This Inner Loop Header: Depth=1
	v_mov_b32_e32 v9, s21
	v_add_nc_u32_e64 v10, 0xc8, s21
	v_add_nc_u32_e64 v11, 0xa4, s21
	s_add_i32 s21, s21, 4
	s_clause 0x1
	buffer_load_dword v9, v9, s[0:3], 0 offen
	buffer_load_dword v10, v10, s[0:3], 0 offen
	s_cmp_lg_u32 s21, 32
	s_waitcnt vmcnt(0)
	v_add_nc_u32_e32 v9, v10, v9
	buffer_store_dword v9, v11, s[0:3], 0 offen
	s_cbranch_scc1 .LBB2165_149
; %bb.150:
	s_clause 0x7
	buffer_load_dword v9, off, s[0:3], 0 offset:164
	buffer_load_dword v10, off, s[0:3], 0 offset:168
	buffer_load_dword v11, off, s[0:3], 0 offset:172
	buffer_load_dword v12, off, s[0:3], 0 offset:176
	buffer_load_dword v13, off, s[0:3], 0 offset:180
	buffer_load_dword v14, off, s[0:3], 0 offset:184
	buffer_load_dword v15, off, s[0:3], 0 offset:188
	buffer_load_dword v16, off, s[0:3], 0 offset:192
.LBB2165_151:
	s_or_b32 exec_lo, exec_lo, s20
	s_waitcnt lgkmcnt(0)
	v_or_b32_e32 v23, v23, v31
	v_and_b32_e32 v23, 1, v23
	buffer_store_byte v23, off, s[0:3], 0 offset:232
	buffer_load_dword v31, off, s[0:3], 0 offset:232
	s_waitcnt vmcnt(8)
	buffer_store_dword v9, off, s[0:3], 0 offset:200
	s_waitcnt vmcnt(7)
	buffer_store_dword v10, off, s[0:3], 0 offset:204
	;; [unrolled: 2-line block ×8, first 2 shown]
.LBB2165_152:
	s_or_b32 exec_lo, exec_lo, s4
	v_cmp_gt_u32_e32 vcc_lo, 30, v17
	v_add_nc_u32_e32 v24, 2, v17
	s_mov_b32 s20, exec_lo
	s_waitcnt lgkmcnt(0)
	v_cndmask_b32_e64 v23, 0, 2, vcc_lo
	v_add_lshl_u32 v23, v23, v17, 2
	ds_bpermute_b32 v26, v23, v9
	s_waitcnt vmcnt(0)
	ds_bpermute_b32 v25, v23, v31
	ds_bpermute_b32 v27, v23, v10
	ds_bpermute_b32 v28, v23, v11
	ds_bpermute_b32 v29, v23, v12
	ds_bpermute_b32 v30, v23, v13
	ds_bpermute_b32 v33, v23, v14
	ds_bpermute_b32 v34, v23, v15
	ds_bpermute_b32 v35, v23, v16
	s_waitcnt lgkmcnt(8)
	buffer_store_dword v26, off, s[0:3], 0
	s_waitcnt lgkmcnt(6)
	buffer_store_dword v27, off, s[0:3], 0 offset:4
	s_waitcnt lgkmcnt(5)
	buffer_store_dword v28, off, s[0:3], 0 offset:8
	;; [unrolled: 2-line block ×7, first 2 shown]
	v_cmpx_le_u32_e64 v24, v32
	s_cbranch_execz .LBB2165_160
; %bb.153:
	v_mov_b32_e32 v26, 0
	v_cmp_eq_u16_sdwa s21, v31, v26 src0_sel:BYTE_0 src1_sel:DWORD
	s_and_saveexec_b32 s4, s21
	s_cbranch_execz .LBB2165_159
; %bb.154:
	s_mov_b32 s21, 0
.LBB2165_155:                           ; =>This Inner Loop Header: Depth=1
	v_add_nc_u32_e64 v9, 0xa4, s21
	s_add_i32 s21, s21, 4
	s_cmp_lg_u32 s21, 32
	buffer_store_dword v26, v9, s[0:3], 0 offen
	s_cbranch_scc1 .LBB2165_155
; %bb.156:
	s_mov_b32 s21, 0
	.p2align	6
.LBB2165_157:                           ; =>This Inner Loop Header: Depth=1
	v_mov_b32_e32 v9, s21
	v_add_nc_u32_e64 v10, 0xc8, s21
	v_add_nc_u32_e64 v11, 0xa4, s21
	s_add_i32 s21, s21, 4
	s_clause 0x1
	buffer_load_dword v9, v9, s[0:3], 0 offen
	buffer_load_dword v10, v10, s[0:3], 0 offen
	s_cmp_lg_u32 s21, 32
	s_waitcnt vmcnt(0)
	v_add_nc_u32_e32 v9, v10, v9
	buffer_store_dword v9, v11, s[0:3], 0 offen
	s_cbranch_scc1 .LBB2165_157
; %bb.158:
	s_clause 0x7
	buffer_load_dword v9, off, s[0:3], 0 offset:164
	buffer_load_dword v10, off, s[0:3], 0 offset:168
	;; [unrolled: 1-line block ×8, first 2 shown]
.LBB2165_159:
	s_or_b32 exec_lo, exec_lo, s4
	v_and_b32_e32 v26, 1, v31
	v_and_b32_e32 v25, 1, v25
	v_cmp_eq_u32_e32 vcc_lo, 1, v26
	v_cmp_eq_u32_e64 s4, 1, v25
	s_or_b32 s4, vcc_lo, s4
	v_cndmask_b32_e64 v25, 0, 1, s4
	buffer_store_byte v25, off, s[0:3], 0 offset:232
	buffer_load_dword v31, off, s[0:3], 0 offset:232
	s_waitcnt vmcnt(8)
	buffer_store_dword v9, off, s[0:3], 0 offset:200
	s_waitcnt vmcnt(7)
	buffer_store_dword v10, off, s[0:3], 0 offset:204
	;; [unrolled: 2-line block ×8, first 2 shown]
.LBB2165_160:
	s_or_b32 exec_lo, exec_lo, s20
	v_cmp_gt_u32_e32 vcc_lo, 28, v17
	v_add_nc_u32_e32 v26, 4, v17
	s_mov_b32 s20, exec_lo
	v_cndmask_b32_e64 v25, 0, 4, vcc_lo
	v_add_lshl_u32 v25, v25, v17, 2
	ds_bpermute_b32 v28, v25, v9
	s_waitcnt vmcnt(0)
	ds_bpermute_b32 v27, v25, v31
	ds_bpermute_b32 v29, v25, v10
	;; [unrolled: 1-line block ×8, first 2 shown]
	s_waitcnt lgkmcnt(8)
	buffer_store_dword v28, off, s[0:3], 0
	s_waitcnt lgkmcnt(6)
	buffer_store_dword v29, off, s[0:3], 0 offset:4
	s_waitcnt lgkmcnt(5)
	buffer_store_dword v30, off, s[0:3], 0 offset:8
	;; [unrolled: 2-line block ×7, first 2 shown]
	v_cmpx_le_u32_e64 v26, v32
	s_cbranch_execz .LBB2165_168
; %bb.161:
	v_mov_b32_e32 v28, 0
	v_cmp_eq_u16_sdwa s21, v31, v28 src0_sel:BYTE_0 src1_sel:DWORD
	s_and_saveexec_b32 s4, s21
	s_cbranch_execz .LBB2165_167
; %bb.162:
	s_mov_b32 s21, 0
.LBB2165_163:                           ; =>This Inner Loop Header: Depth=1
	v_add_nc_u32_e64 v9, 0xa4, s21
	s_add_i32 s21, s21, 4
	s_cmp_lg_u32 s21, 32
	buffer_store_dword v28, v9, s[0:3], 0 offen
	s_cbranch_scc1 .LBB2165_163
; %bb.164:
	s_mov_b32 s21, 0
	.p2align	6
.LBB2165_165:                           ; =>This Inner Loop Header: Depth=1
	v_mov_b32_e32 v9, s21
	v_add_nc_u32_e64 v10, 0xc8, s21
	v_add_nc_u32_e64 v11, 0xa4, s21
	s_add_i32 s21, s21, 4
	s_clause 0x1
	buffer_load_dword v9, v9, s[0:3], 0 offen
	buffer_load_dword v10, v10, s[0:3], 0 offen
	s_cmp_lg_u32 s21, 32
	s_waitcnt vmcnt(0)
	v_add_nc_u32_e32 v9, v10, v9
	buffer_store_dword v9, v11, s[0:3], 0 offen
	s_cbranch_scc1 .LBB2165_165
; %bb.166:
	s_clause 0x7
	buffer_load_dword v9, off, s[0:3], 0 offset:164
	buffer_load_dword v10, off, s[0:3], 0 offset:168
	;; [unrolled: 1-line block ×8, first 2 shown]
.LBB2165_167:
	s_or_b32 exec_lo, exec_lo, s4
	v_and_b32_e32 v28, 1, v31
	v_and_b32_e32 v27, 1, v27
	v_cmp_eq_u32_e32 vcc_lo, 1, v28
	v_cmp_eq_u32_e64 s4, 1, v27
	s_or_b32 s4, vcc_lo, s4
	v_cndmask_b32_e64 v27, 0, 1, s4
	buffer_store_byte v27, off, s[0:3], 0 offset:232
	buffer_load_dword v31, off, s[0:3], 0 offset:232
	s_waitcnt vmcnt(8)
	buffer_store_dword v9, off, s[0:3], 0 offset:200
	s_waitcnt vmcnt(7)
	buffer_store_dword v10, off, s[0:3], 0 offset:204
	;; [unrolled: 2-line block ×8, first 2 shown]
.LBB2165_168:
	s_or_b32 exec_lo, exec_lo, s20
	v_cmp_gt_u32_e32 vcc_lo, 24, v17
	v_add_nc_u32_e32 v28, 8, v17
	s_mov_b32 s20, exec_lo
	v_cndmask_b32_e64 v27, 0, 8, vcc_lo
	v_add_lshl_u32 v27, v27, v17, 2
	ds_bpermute_b32 v30, v27, v9
	s_waitcnt vmcnt(0)
	ds_bpermute_b32 v29, v27, v31
	ds_bpermute_b32 v33, v27, v10
	ds_bpermute_b32 v34, v27, v11
	ds_bpermute_b32 v35, v27, v12
	ds_bpermute_b32 v36, v27, v13
	ds_bpermute_b32 v37, v27, v14
	ds_bpermute_b32 v38, v27, v15
	ds_bpermute_b32 v39, v27, v16
	s_waitcnt lgkmcnt(8)
	buffer_store_dword v30, off, s[0:3], 0
	s_waitcnt lgkmcnt(6)
	buffer_store_dword v33, off, s[0:3], 0 offset:4
	s_waitcnt lgkmcnt(5)
	buffer_store_dword v34, off, s[0:3], 0 offset:8
	s_waitcnt lgkmcnt(4)
	buffer_store_dword v35, off, s[0:3], 0 offset:12
	s_waitcnt lgkmcnt(3)
	buffer_store_dword v36, off, s[0:3], 0 offset:16
	s_waitcnt lgkmcnt(2)
	buffer_store_dword v37, off, s[0:3], 0 offset:20
	s_waitcnt lgkmcnt(1)
	buffer_store_dword v38, off, s[0:3], 0 offset:24
	s_waitcnt lgkmcnt(0)
	buffer_store_dword v39, off, s[0:3], 0 offset:28
	v_cmpx_le_u32_e64 v28, v32
	s_cbranch_execz .LBB2165_176
; %bb.169:
	v_mov_b32_e32 v30, 0
	v_cmp_eq_u16_sdwa s21, v31, v30 src0_sel:BYTE_0 src1_sel:DWORD
	s_and_saveexec_b32 s4, s21
	s_cbranch_execz .LBB2165_175
; %bb.170:
	s_mov_b32 s21, 0
.LBB2165_171:                           ; =>This Inner Loop Header: Depth=1
	v_add_nc_u32_e64 v9, 0xa4, s21
	s_add_i32 s21, s21, 4
	s_cmp_lg_u32 s21, 32
	buffer_store_dword v30, v9, s[0:3], 0 offen
	s_cbranch_scc1 .LBB2165_171
; %bb.172:
	s_mov_b32 s21, 0
	.p2align	6
.LBB2165_173:                           ; =>This Inner Loop Header: Depth=1
	v_mov_b32_e32 v9, s21
	v_add_nc_u32_e64 v10, 0xc8, s21
	v_add_nc_u32_e64 v11, 0xa4, s21
	s_add_i32 s21, s21, 4
	s_clause 0x1
	buffer_load_dword v9, v9, s[0:3], 0 offen
	buffer_load_dword v10, v10, s[0:3], 0 offen
	s_cmp_lg_u32 s21, 32
	s_waitcnt vmcnt(0)
	v_add_nc_u32_e32 v9, v10, v9
	buffer_store_dword v9, v11, s[0:3], 0 offen
	s_cbranch_scc1 .LBB2165_173
; %bb.174:
	s_clause 0x7
	buffer_load_dword v9, off, s[0:3], 0 offset:164
	buffer_load_dword v10, off, s[0:3], 0 offset:168
	;; [unrolled: 1-line block ×8, first 2 shown]
.LBB2165_175:
	s_or_b32 exec_lo, exec_lo, s4
	v_and_b32_e32 v30, 1, v31
	v_and_b32_e32 v29, 1, v29
	v_cmp_eq_u32_e32 vcc_lo, 1, v30
	v_cmp_eq_u32_e64 s4, 1, v29
	s_or_b32 s4, vcc_lo, s4
	v_cndmask_b32_e64 v29, 0, 1, s4
	buffer_store_byte v29, off, s[0:3], 0 offset:232
	buffer_load_dword v31, off, s[0:3], 0 offset:232
	s_waitcnt vmcnt(8)
	buffer_store_dword v9, off, s[0:3], 0 offset:200
	s_waitcnt vmcnt(7)
	buffer_store_dword v10, off, s[0:3], 0 offset:204
	;; [unrolled: 2-line block ×8, first 2 shown]
.LBB2165_176:
	s_or_b32 exec_lo, exec_lo, s20
	v_lshl_or_b32 v29, v17, 2, 64
	v_add_nc_u32_e32 v30, 16, v17
	s_mov_b32 s20, exec_lo
	ds_bpermute_b32 v34, v29, v9
	s_waitcnt vmcnt(0)
	ds_bpermute_b32 v33, v29, v31
	ds_bpermute_b32 v35, v29, v10
	;; [unrolled: 1-line block ×8, first 2 shown]
	s_waitcnt lgkmcnt(8)
	buffer_store_dword v34, off, s[0:3], 0
	s_waitcnt lgkmcnt(6)
	buffer_store_dword v35, off, s[0:3], 0 offset:4
	s_waitcnt lgkmcnt(5)
	buffer_store_dword v36, off, s[0:3], 0 offset:8
	;; [unrolled: 2-line block ×7, first 2 shown]
	v_cmpx_le_u32_e64 v30, v32
	s_cbranch_execz .LBB2165_183
; %bb.177:
	v_mov_b32_e32 v32, 0
	s_mov_b32 s21, 0
	v_cmp_eq_u16_sdwa s40, v31, v32 src0_sel:BYTE_0 src1_sel:DWORD
	s_and_saveexec_b32 s4, s40
	s_cbranch_execz .LBB2165_182
.LBB2165_178:                           ; =>This Inner Loop Header: Depth=1
	v_add_nc_u32_e64 v9, 0xa4, s21
	s_add_i32 s21, s21, 4
	s_cmp_lg_u32 s21, 32
	buffer_store_dword v32, v9, s[0:3], 0 offen
	s_cbranch_scc1 .LBB2165_178
; %bb.179:
	s_mov_b32 s21, 0
	.p2align	6
.LBB2165_180:                           ; =>This Inner Loop Header: Depth=1
	v_mov_b32_e32 v9, s21
	v_add_nc_u32_e64 v10, 0xc8, s21
	v_add_nc_u32_e64 v11, 0xa4, s21
	s_add_i32 s21, s21, 4
	s_clause 0x1
	buffer_load_dword v9, v9, s[0:3], 0 offen
	buffer_load_dword v10, v10, s[0:3], 0 offen
	s_cmp_lg_u32 s21, 32
	s_waitcnt vmcnt(0)
	v_add_nc_u32_e32 v9, v10, v9
	buffer_store_dword v9, v11, s[0:3], 0 offen
	s_cbranch_scc1 .LBB2165_180
; %bb.181:
	s_clause 0x7
	buffer_load_dword v9, off, s[0:3], 0 offset:164
	buffer_load_dword v10, off, s[0:3], 0 offset:168
	;; [unrolled: 1-line block ×8, first 2 shown]
.LBB2165_182:
	s_or_b32 exec_lo, exec_lo, s4
	v_and_b32_e32 v31, 1, v31
	v_and_b32_e32 v32, 1, v33
	s_waitcnt vmcnt(7)
	buffer_store_dword v9, off, s[0:3], 0 offset:200
	s_waitcnt vmcnt(6)
	buffer_store_dword v10, off, s[0:3], 0 offset:204
	;; [unrolled: 2-line block ×3, first 2 shown]
	v_cmp_eq_u32_e32 vcc_lo, 1, v31
	v_cmp_eq_u32_e64 s4, 1, v32
	s_or_b32 s4, vcc_lo, s4
	v_cndmask_b32_e64 v9, 0, 1, s4
	s_waitcnt vmcnt(4)
	buffer_store_dword v12, off, s[0:3], 0 offset:212
	s_waitcnt vmcnt(3)
	buffer_store_dword v13, off, s[0:3], 0 offset:216
	;; [unrolled: 2-line block ×5, first 2 shown]
	buffer_store_byte v9, off, s[0:3], 0 offset:232
.LBB2165_183:
	s_or_b32 exec_lo, exec_lo, s20
	s_clause 0x8
	buffer_load_dword v9, off, s[0:3], 0 offset:212
	buffer_load_dword v10, off, s[0:3], 0 offset:208
	buffer_load_dword v11, off, s[0:3], 0 offset:204
	buffer_load_dword v12, off, s[0:3], 0 offset:200
	buffer_load_dword v13, off, s[0:3], 0 offset:228
	buffer_load_dword v14, off, s[0:3], 0 offset:224
	buffer_load_dword v15, off, s[0:3], 0 offset:220
	buffer_load_dword v16, off, s[0:3], 0 offset:216
	buffer_load_dword v33, off, s[0:3], 0 offset:232
	v_mov_b32_e32 v31, 0
	v_mov_b32_e32 v32, 2
	s_waitcnt vmcnt(8)
	buffer_store_dword v9, off, s[0:3], 0 offset:176
	s_waitcnt vmcnt(7)
	buffer_store_dword v10, off, s[0:3], 0 offset:172
	;; [unrolled: 2-line block ×9, first 2 shown]
	s_branch .LBB2165_187
.LBB2165_184:                           ;   in Loop: Header=BB2165_187 Depth=1
	s_clause 0x7
	buffer_load_dword v10, off, s[0:3], 0
	buffer_load_dword v11, off, s[0:3], 0 offset:4
	buffer_load_dword v13, off, s[0:3], 0 offset:8
	;; [unrolled: 1-line block ×7, first 2 shown]
.LBB2165_185:                           ;   in Loop: Header=BB2165_187 Depth=1
	s_or_b32 exec_lo, exec_lo, s20
	v_and_b32_e32 v9, 1, v9
	v_subrev_nc_u32_e32 v19, 32, v19
	s_waitcnt vmcnt(7)
	buffer_store_dword v10, off, s[0:3], 0 offset:164
	s_waitcnt vmcnt(6)
	buffer_store_dword v11, off, s[0:3], 0 offset:168
	;; [unrolled: 2-line block ×8, first 2 shown]
	v_cmp_eq_u32_e32 vcc_lo, 1, v9
	s_or_b32 s4, vcc_lo, s4
	v_cndmask_b32_e64 v9, 0, 1, s4
	s_mov_b32 s4, 0
	buffer_store_byte v9, off, s[0:3], 0 offset:196
.LBB2165_186:                           ;   in Loop: Header=BB2165_187 Depth=1
	s_and_b32 vcc_lo, exec_lo, s4
	s_cbranch_vccnz .LBB2165_244
.LBB2165_187:                           ; =>This Loop Header: Depth=1
                                        ;     Child Loop BB2165_189 Depth 2
                                        ;     Child Loop BB2165_192 Depth 2
	;; [unrolled: 1-line block ×15, first 2 shown]
	v_cmp_ne_u16_sdwa s4, v20, v32 src0_sel:BYTE_0 src1_sel:DWORD
                                        ; implicit-def: $vgpr20
	s_cmp_lg_u32 s4, exec_lo
	s_mov_b32 s4, -1
	s_cbranch_scc1 .LBB2165_186
; %bb.188:                              ;   in Loop: Header=BB2165_187 Depth=1
	s_mov_b32 s4, 0
	buffer_store_dword v31, off, s[0:3], 0 offset:156
	buffer_store_dword v31, off, s[0:3], 0 offset:152
	;; [unrolled: 1-line block ×9, first 2 shown]
.LBB2165_189:                           ;   Parent Loop BB2165_187 Depth=1
                                        ; =>  This Inner Loop Header: Depth=2
	v_add_nc_u32_e64 v9, 0x80, s4
	s_add_i32 s4, s4, 4
	s_cmp_lg_u32 s4, 32
	buffer_store_dword v31, v9, s[0:3], 0 offen
	s_cbranch_scc1 .LBB2165_189
; %bb.190:                              ;   in Loop: Header=BB2165_187 Depth=1
	buffer_store_byte v31, off, s[0:3], 0 offset:160
	global_load_ubyte v20, v19, s[12:13] glc dlc
	s_mov_b32 s4, exec_lo
	s_waitcnt vmcnt(0)
	v_cmpx_eq_u16_e32 0, v20
	s_cbranch_execz .LBB2165_194
; %bb.191:                              ;   in Loop: Header=BB2165_187 Depth=1
	v_add_co_u32 v9, s20, s12, v19
	v_add_co_ci_u32_e64 v10, null, s13, 0, s20
	s_mov_b32 s20, 0
.LBB2165_192:                           ;   Parent Loop BB2165_187 Depth=1
                                        ; =>  This Inner Loop Header: Depth=2
	global_load_ubyte v20, v[9:10], off glc dlc
	s_waitcnt vmcnt(0)
	v_cmp_ne_u16_e32 vcc_lo, 0, v20
	s_or_b32 s20, vcc_lo, s20
	s_andn2_b32 exec_lo, exec_lo, s20
	s_cbranch_execnz .LBB2165_192
; %bb.193:                              ;   in Loop: Header=BB2165_187 Depth=1
	s_or_b32 exec_lo, exec_lo, s20
.LBB2165_194:                           ;   in Loop: Header=BB2165_187 Depth=1
	s_or_b32 exec_lo, exec_lo, s4
	v_mov_b32_e32 v9, s9
	v_mov_b32_e32 v11, s8
	v_cmp_eq_u16_e32 vcc_lo, 1, v20
	s_waitcnt_vscnt null, 0x0
	buffer_gl1_inv
	buffer_gl0_inv
	s_mov_b32 s4, 0
	v_cndmask_b32_e32 v10, s11, v9, vcc_lo
	v_cndmask_b32_e32 v9, s10, v11, vcc_lo
	v_mad_u64_u32 v[33:34], null, v19, 36, v[9:10]
	s_clause 0x2
	global_load_dwordx4 v[9:12], v[33:34], off
	global_load_dwordx4 v[13:16], v[33:34], off offset:16
	global_load_ubyte v33, v[33:34], off offset:32
	s_waitcnt vmcnt(2)
	buffer_store_dword v10, off, s[0:3], 0 offset:132
	buffer_store_dword v9, off, s[0:3], 0 offset:128
	;; [unrolled: 1-line block ×4, first 2 shown]
	s_waitcnt vmcnt(1)
	buffer_store_dword v15, off, s[0:3], 0 offset:152
	buffer_store_dword v14, off, s[0:3], 0 offset:148
	;; [unrolled: 1-line block ×4, first 2 shown]
	s_waitcnt vmcnt(0)
	buffer_store_byte v33, off, s[0:3], 0 offset:160
	buffer_store_dword v9, off, s[0:3], 0 offset:200
	buffer_store_dword v10, off, s[0:3], 0 offset:204
	;; [unrolled: 1-line block ×8, first 2 shown]
	buffer_store_byte v33, off, s[0:3], 0 offset:232
	buffer_store_dword v31, off, s[0:3], 0 offset:32
.LBB2165_195:                           ;   Parent Loop BB2165_187 Depth=1
                                        ; =>  This Inner Loop Header: Depth=2
	v_mov_b32_e32 v33, s4
	s_add_i32 s4, s4, 4
	s_cmp_lg_u32 s4, 32
	buffer_store_dword v31, v33, s[0:3], 0 offen
	s_cbranch_scc1 .LBB2165_195
; %bb.196:                              ;   in Loop: Header=BB2165_187 Depth=1
	buffer_load_dword v34, off, s[0:3], 0 offset:232
	ds_bpermute_b32 v36, v21, v9
	ds_bpermute_b32 v37, v21, v10
	;; [unrolled: 1-line block ×5, first 2 shown]
	v_cmp_eq_u16_e32 vcc_lo, 2, v20
	ds_bpermute_b32 v41, v21, v14
	ds_bpermute_b32 v42, v21, v15
	;; [unrolled: 1-line block ×3, first 2 shown]
	s_mov_b32 s4, exec_lo
	v_and_or_b32 v33, vcc_lo, v22, 0x80000000
	s_waitcnt lgkmcnt(7)
	buffer_store_dword v36, off, s[0:3], 0
	s_waitcnt lgkmcnt(6)
	buffer_store_dword v37, off, s[0:3], 0 offset:4
	s_waitcnt lgkmcnt(5)
	buffer_store_dword v38, off, s[0:3], 0 offset:8
	;; [unrolled: 2-line block ×7, first 2 shown]
	v_ffbl_b32_e32 v33, v33
	s_waitcnt vmcnt(0)
	ds_bpermute_b32 v35, v21, v34
	v_cmpx_lt_u32_e64 v17, v33
	s_cbranch_execz .LBB2165_204
; %bb.197:                              ;   in Loop: Header=BB2165_187 Depth=1
	v_cmp_eq_u16_sdwa s21, v34, v31 src0_sel:BYTE_0 src1_sel:DWORD
	s_and_saveexec_b32 s20, s21
	s_cbranch_execz .LBB2165_203
; %bb.198:                              ;   in Loop: Header=BB2165_187 Depth=1
	s_mov_b32 s21, 0
.LBB2165_199:                           ;   Parent Loop BB2165_187 Depth=1
                                        ; =>  This Inner Loop Header: Depth=2
	v_add_nc_u32_e64 v9, 0x60, s21
	s_add_i32 s21, s21, 4
	s_cmp_lg_u32 s21, 32
	buffer_store_dword v31, v9, s[0:3], 0 offen
	s_cbranch_scc1 .LBB2165_199
; %bb.200:                              ;   in Loop: Header=BB2165_187 Depth=1
	s_mov_b32 s21, 0
	.p2align	6
.LBB2165_201:                           ;   Parent Loop BB2165_187 Depth=1
                                        ; =>  This Inner Loop Header: Depth=2
	v_mov_b32_e32 v9, s21
	v_add_nc_u32_e64 v10, 0xc8, s21
	v_add_nc_u32_e64 v11, 0x60, s21
	s_add_i32 s21, s21, 4
	s_clause 0x1
	buffer_load_dword v9, v9, s[0:3], 0 offen
	buffer_load_dword v10, v10, s[0:3], 0 offen
	s_cmp_lg_u32 s21, 32
	s_waitcnt vmcnt(0)
	v_add_nc_u32_e32 v9, v10, v9
	buffer_store_dword v9, v11, s[0:3], 0 offen
	s_cbranch_scc1 .LBB2165_201
; %bb.202:                              ;   in Loop: Header=BB2165_187 Depth=1
	s_clause 0x7
	buffer_load_dword v9, off, s[0:3], 0 offset:96
	buffer_load_dword v10, off, s[0:3], 0 offset:100
	;; [unrolled: 1-line block ×8, first 2 shown]
.LBB2165_203:                           ;   in Loop: Header=BB2165_187 Depth=1
	s_or_b32 exec_lo, exec_lo, s20
	s_waitcnt lgkmcnt(0)
	v_or_b32_e32 v34, v35, v34
	v_and_b32_e32 v34, 1, v34
	buffer_store_byte v34, off, s[0:3], 0 offset:232
	buffer_load_dword v34, off, s[0:3], 0 offset:232
	s_waitcnt vmcnt(8)
	buffer_store_dword v9, off, s[0:3], 0 offset:200
	s_waitcnt vmcnt(7)
	buffer_store_dword v10, off, s[0:3], 0 offset:204
	;; [unrolled: 2-line block ×8, first 2 shown]
.LBB2165_204:                           ;   in Loop: Header=BB2165_187 Depth=1
	s_or_b32 exec_lo, exec_lo, s4
	ds_bpermute_b32 v36, v23, v9
	s_waitcnt vmcnt(0) lgkmcnt(1)
	ds_bpermute_b32 v35, v23, v34
	ds_bpermute_b32 v37, v23, v10
	;; [unrolled: 1-line block ×8, first 2 shown]
	s_mov_b32 s20, exec_lo
	s_waitcnt lgkmcnt(8)
	buffer_store_dword v36, off, s[0:3], 0
	s_waitcnt lgkmcnt(6)
	buffer_store_dword v37, off, s[0:3], 0 offset:4
	s_waitcnt lgkmcnt(5)
	buffer_store_dword v38, off, s[0:3], 0 offset:8
	;; [unrolled: 2-line block ×7, first 2 shown]
	v_cmpx_le_u32_e64 v24, v33
	s_cbranch_execz .LBB2165_212
; %bb.205:                              ;   in Loop: Header=BB2165_187 Depth=1
	v_cmp_eq_u16_sdwa s21, v34, v31 src0_sel:BYTE_0 src1_sel:DWORD
	s_and_saveexec_b32 s4, s21
	s_cbranch_execz .LBB2165_211
; %bb.206:                              ;   in Loop: Header=BB2165_187 Depth=1
	s_mov_b32 s21, 0
.LBB2165_207:                           ;   Parent Loop BB2165_187 Depth=1
                                        ; =>  This Inner Loop Header: Depth=2
	v_add_nc_u32_e64 v9, 0x60, s21
	s_add_i32 s21, s21, 4
	s_cmp_lg_u32 s21, 32
	buffer_store_dword v31, v9, s[0:3], 0 offen
	s_cbranch_scc1 .LBB2165_207
; %bb.208:                              ;   in Loop: Header=BB2165_187 Depth=1
	s_mov_b32 s21, 0
	.p2align	6
.LBB2165_209:                           ;   Parent Loop BB2165_187 Depth=1
                                        ; =>  This Inner Loop Header: Depth=2
	v_mov_b32_e32 v9, s21
	v_add_nc_u32_e64 v10, 0xc8, s21
	v_add_nc_u32_e64 v11, 0x60, s21
	s_add_i32 s21, s21, 4
	s_clause 0x1
	buffer_load_dword v9, v9, s[0:3], 0 offen
	buffer_load_dword v10, v10, s[0:3], 0 offen
	s_cmp_lg_u32 s21, 32
	s_waitcnt vmcnt(0)
	v_add_nc_u32_e32 v9, v10, v9
	buffer_store_dword v9, v11, s[0:3], 0 offen
	s_cbranch_scc1 .LBB2165_209
; %bb.210:                              ;   in Loop: Header=BB2165_187 Depth=1
	s_clause 0x7
	buffer_load_dword v9, off, s[0:3], 0 offset:96
	buffer_load_dword v10, off, s[0:3], 0 offset:100
	;; [unrolled: 1-line block ×8, first 2 shown]
.LBB2165_211:                           ;   in Loop: Header=BB2165_187 Depth=1
	s_or_b32 exec_lo, exec_lo, s4
	v_and_b32_e32 v34, 1, v34
	v_and_b32_e32 v35, 1, v35
	v_cmp_eq_u32_e32 vcc_lo, 1, v34
	v_cmp_eq_u32_e64 s4, 1, v35
	s_or_b32 s4, vcc_lo, s4
	v_cndmask_b32_e64 v34, 0, 1, s4
	buffer_store_byte v34, off, s[0:3], 0 offset:232
	buffer_load_dword v34, off, s[0:3], 0 offset:232
	s_waitcnt vmcnt(8)
	buffer_store_dword v9, off, s[0:3], 0 offset:200
	s_waitcnt vmcnt(7)
	buffer_store_dword v10, off, s[0:3], 0 offset:204
	;; [unrolled: 2-line block ×8, first 2 shown]
.LBB2165_212:                           ;   in Loop: Header=BB2165_187 Depth=1
	s_or_b32 exec_lo, exec_lo, s20
	ds_bpermute_b32 v36, v25, v9
	s_waitcnt vmcnt(0)
	ds_bpermute_b32 v35, v25, v34
	ds_bpermute_b32 v37, v25, v10
	;; [unrolled: 1-line block ×8, first 2 shown]
	s_mov_b32 s20, exec_lo
	s_waitcnt lgkmcnt(8)
	buffer_store_dword v36, off, s[0:3], 0
	s_waitcnt lgkmcnt(6)
	buffer_store_dword v37, off, s[0:3], 0 offset:4
	s_waitcnt lgkmcnt(5)
	buffer_store_dword v38, off, s[0:3], 0 offset:8
	;; [unrolled: 2-line block ×7, first 2 shown]
	v_cmpx_le_u32_e64 v26, v33
	s_cbranch_execz .LBB2165_220
; %bb.213:                              ;   in Loop: Header=BB2165_187 Depth=1
	v_cmp_eq_u16_sdwa s21, v34, v31 src0_sel:BYTE_0 src1_sel:DWORD
	s_and_saveexec_b32 s4, s21
	s_cbranch_execz .LBB2165_219
; %bb.214:                              ;   in Loop: Header=BB2165_187 Depth=1
	s_mov_b32 s21, 0
.LBB2165_215:                           ;   Parent Loop BB2165_187 Depth=1
                                        ; =>  This Inner Loop Header: Depth=2
	v_add_nc_u32_e64 v9, 0x60, s21
	s_add_i32 s21, s21, 4
	s_cmp_lg_u32 s21, 32
	buffer_store_dword v31, v9, s[0:3], 0 offen
	s_cbranch_scc1 .LBB2165_215
; %bb.216:                              ;   in Loop: Header=BB2165_187 Depth=1
	s_mov_b32 s21, 0
	.p2align	6
.LBB2165_217:                           ;   Parent Loop BB2165_187 Depth=1
                                        ; =>  This Inner Loop Header: Depth=2
	v_mov_b32_e32 v9, s21
	v_add_nc_u32_e64 v10, 0xc8, s21
	v_add_nc_u32_e64 v11, 0x60, s21
	s_add_i32 s21, s21, 4
	s_clause 0x1
	buffer_load_dword v9, v9, s[0:3], 0 offen
	buffer_load_dword v10, v10, s[0:3], 0 offen
	s_cmp_lg_u32 s21, 32
	s_waitcnt vmcnt(0)
	v_add_nc_u32_e32 v9, v10, v9
	buffer_store_dword v9, v11, s[0:3], 0 offen
	s_cbranch_scc1 .LBB2165_217
; %bb.218:                              ;   in Loop: Header=BB2165_187 Depth=1
	s_clause 0x7
	buffer_load_dword v9, off, s[0:3], 0 offset:96
	buffer_load_dword v10, off, s[0:3], 0 offset:100
	;; [unrolled: 1-line block ×8, first 2 shown]
.LBB2165_219:                           ;   in Loop: Header=BB2165_187 Depth=1
	s_or_b32 exec_lo, exec_lo, s4
	v_and_b32_e32 v34, 1, v34
	v_and_b32_e32 v35, 1, v35
	v_cmp_eq_u32_e32 vcc_lo, 1, v34
	v_cmp_eq_u32_e64 s4, 1, v35
	s_or_b32 s4, vcc_lo, s4
	v_cndmask_b32_e64 v34, 0, 1, s4
	buffer_store_byte v34, off, s[0:3], 0 offset:232
	buffer_load_dword v34, off, s[0:3], 0 offset:232
	s_waitcnt vmcnt(8)
	buffer_store_dword v9, off, s[0:3], 0 offset:200
	s_waitcnt vmcnt(7)
	buffer_store_dword v10, off, s[0:3], 0 offset:204
	;; [unrolled: 2-line block ×8, first 2 shown]
.LBB2165_220:                           ;   in Loop: Header=BB2165_187 Depth=1
	s_or_b32 exec_lo, exec_lo, s20
	ds_bpermute_b32 v36, v27, v9
	s_waitcnt vmcnt(0)
	ds_bpermute_b32 v35, v27, v34
	ds_bpermute_b32 v37, v27, v10
	;; [unrolled: 1-line block ×8, first 2 shown]
	s_mov_b32 s20, exec_lo
	s_waitcnt lgkmcnt(8)
	buffer_store_dword v36, off, s[0:3], 0
	s_waitcnt lgkmcnt(6)
	buffer_store_dword v37, off, s[0:3], 0 offset:4
	s_waitcnt lgkmcnt(5)
	buffer_store_dword v38, off, s[0:3], 0 offset:8
	;; [unrolled: 2-line block ×7, first 2 shown]
	v_cmpx_le_u32_e64 v28, v33
	s_cbranch_execz .LBB2165_228
; %bb.221:                              ;   in Loop: Header=BB2165_187 Depth=1
	v_cmp_eq_u16_sdwa s21, v34, v31 src0_sel:BYTE_0 src1_sel:DWORD
	s_and_saveexec_b32 s4, s21
	s_cbranch_execz .LBB2165_227
; %bb.222:                              ;   in Loop: Header=BB2165_187 Depth=1
	s_mov_b32 s21, 0
.LBB2165_223:                           ;   Parent Loop BB2165_187 Depth=1
                                        ; =>  This Inner Loop Header: Depth=2
	v_add_nc_u32_e64 v9, 0x60, s21
	s_add_i32 s21, s21, 4
	s_cmp_lg_u32 s21, 32
	buffer_store_dword v31, v9, s[0:3], 0 offen
	s_cbranch_scc1 .LBB2165_223
; %bb.224:                              ;   in Loop: Header=BB2165_187 Depth=1
	s_mov_b32 s21, 0
	.p2align	6
.LBB2165_225:                           ;   Parent Loop BB2165_187 Depth=1
                                        ; =>  This Inner Loop Header: Depth=2
	v_mov_b32_e32 v9, s21
	v_add_nc_u32_e64 v10, 0xc8, s21
	v_add_nc_u32_e64 v11, 0x60, s21
	s_add_i32 s21, s21, 4
	s_clause 0x1
	buffer_load_dword v9, v9, s[0:3], 0 offen
	buffer_load_dword v10, v10, s[0:3], 0 offen
	s_cmp_lg_u32 s21, 32
	s_waitcnt vmcnt(0)
	v_add_nc_u32_e32 v9, v10, v9
	buffer_store_dword v9, v11, s[0:3], 0 offen
	s_cbranch_scc1 .LBB2165_225
; %bb.226:                              ;   in Loop: Header=BB2165_187 Depth=1
	s_clause 0x7
	buffer_load_dword v9, off, s[0:3], 0 offset:96
	buffer_load_dword v10, off, s[0:3], 0 offset:100
	;; [unrolled: 1-line block ×8, first 2 shown]
.LBB2165_227:                           ;   in Loop: Header=BB2165_187 Depth=1
	s_or_b32 exec_lo, exec_lo, s4
	v_and_b32_e32 v34, 1, v34
	v_and_b32_e32 v35, 1, v35
	v_cmp_eq_u32_e32 vcc_lo, 1, v34
	v_cmp_eq_u32_e64 s4, 1, v35
	s_or_b32 s4, vcc_lo, s4
	v_cndmask_b32_e64 v34, 0, 1, s4
	buffer_store_byte v34, off, s[0:3], 0 offset:232
	buffer_load_dword v34, off, s[0:3], 0 offset:232
	s_waitcnt vmcnt(8)
	buffer_store_dword v9, off, s[0:3], 0 offset:200
	s_waitcnt vmcnt(7)
	buffer_store_dword v10, off, s[0:3], 0 offset:204
	;; [unrolled: 2-line block ×8, first 2 shown]
.LBB2165_228:                           ;   in Loop: Header=BB2165_187 Depth=1
	s_or_b32 exec_lo, exec_lo, s20
	ds_bpermute_b32 v36, v29, v9
	s_waitcnt vmcnt(0)
	ds_bpermute_b32 v35, v29, v34
	ds_bpermute_b32 v37, v29, v10
	;; [unrolled: 1-line block ×8, first 2 shown]
	v_and_b32_e32 v44, 1, v34
	s_mov_b32 s20, exec_lo
	s_waitcnt lgkmcnt(8)
	buffer_store_dword v36, off, s[0:3], 0
	s_waitcnt lgkmcnt(6)
	buffer_store_dword v37, off, s[0:3], 0 offset:4
	s_waitcnt lgkmcnt(5)
	buffer_store_dword v38, off, s[0:3], 0 offset:8
	;; [unrolled: 2-line block ×7, first 2 shown]
	v_cmp_eq_u32_e64 s4, 1, v44
	v_cmpx_le_u32_e64 v30, v33
	s_cbranch_execz .LBB2165_236
; %bb.229:                              ;   in Loop: Header=BB2165_187 Depth=1
	v_cmp_eq_u16_sdwa s40, v34, v31 src0_sel:BYTE_0 src1_sel:DWORD
	s_and_saveexec_b32 s21, s40
	s_cbranch_execz .LBB2165_235
; %bb.230:                              ;   in Loop: Header=BB2165_187 Depth=1
	s_mov_b32 s40, 0
.LBB2165_231:                           ;   Parent Loop BB2165_187 Depth=1
                                        ; =>  This Inner Loop Header: Depth=2
	v_add_nc_u32_e64 v9, 0x60, s40
	s_add_i32 s40, s40, 4
	s_cmp_lg_u32 s40, 32
	buffer_store_dword v31, v9, s[0:3], 0 offen
	s_cbranch_scc1 .LBB2165_231
; %bb.232:                              ;   in Loop: Header=BB2165_187 Depth=1
	s_mov_b32 s40, 0
	.p2align	6
.LBB2165_233:                           ;   Parent Loop BB2165_187 Depth=1
                                        ; =>  This Inner Loop Header: Depth=2
	v_mov_b32_e32 v9, s40
	v_add_nc_u32_e64 v10, 0xc8, s40
	v_add_nc_u32_e64 v11, 0x60, s40
	s_add_i32 s40, s40, 4
	s_clause 0x1
	buffer_load_dword v9, v9, s[0:3], 0 offen
	buffer_load_dword v10, v10, s[0:3], 0 offen
	s_cmp_lg_u32 s40, 32
	s_waitcnt vmcnt(0)
	v_add_nc_u32_e32 v9, v10, v9
	buffer_store_dword v9, v11, s[0:3], 0 offen
	s_cbranch_scc1 .LBB2165_233
; %bb.234:                              ;   in Loop: Header=BB2165_187 Depth=1
	s_clause 0x7
	buffer_load_dword v9, off, s[0:3], 0 offset:96
	buffer_load_dword v10, off, s[0:3], 0 offset:100
	;; [unrolled: 1-line block ×8, first 2 shown]
.LBB2165_235:                           ;   in Loop: Header=BB2165_187 Depth=1
	s_or_b32 exec_lo, exec_lo, s21
	v_and_b32_e32 v33, 1, v35
	s_waitcnt vmcnt(7)
	buffer_store_dword v9, off, s[0:3], 0 offset:200
	s_waitcnt vmcnt(6)
	buffer_store_dword v10, off, s[0:3], 0 offset:204
	;; [unrolled: 2-line block ×8, first 2 shown]
	v_cmp_eq_u32_e32 vcc_lo, 1, v33
	s_or_b32 s21, s4, vcc_lo
	s_andn2_b32 s4, s4, exec_lo
	v_cndmask_b32_e64 v9, 0, 1, s21
	s_and_b32 s21, s21, exec_lo
	s_or_b32 s4, s4, s21
	buffer_store_byte v9, off, s[0:3], 0 offset:232
.LBB2165_236:                           ;   in Loop: Header=BB2165_187 Depth=1
	s_or_b32 exec_lo, exec_lo, s20
	buffer_load_ubyte v9, off, s[0:3], 0 offset:196
	s_mov_b32 s20, exec_lo
                                        ; implicit-def: $vgpr12
                                        ; implicit-def: $vgpr10
                                        ; implicit-def: $vgpr11
                                        ; implicit-def: $vgpr13
                                        ; implicit-def: $vgpr14
                                        ; implicit-def: $vgpr15
                                        ; implicit-def: $vgpr16
                                        ; implicit-def: $vgpr33
	s_waitcnt vmcnt(0)
	v_cmpx_ne_u16_e32 0, v9
	s_xor_b32 s20, exec_lo, s20
	s_cbranch_execz .LBB2165_238
; %bb.237:                              ;   in Loop: Header=BB2165_187 Depth=1
	s_clause 0x7
	buffer_load_dword v10, off, s[0:3], 0 offset:164
	buffer_load_dword v11, off, s[0:3], 0 offset:168
	;; [unrolled: 1-line block ×8, first 2 shown]
.LBB2165_238:                           ;   in Loop: Header=BB2165_187 Depth=1
	s_andn2_saveexec_b32 s20, s20
	s_cbranch_execz .LBB2165_185
; %bb.239:                              ;   in Loop: Header=BB2165_187 Depth=1
	s_mov_b32 s21, 0
.LBB2165_240:                           ;   Parent Loop BB2165_187 Depth=1
                                        ; =>  This Inner Loop Header: Depth=2
	s_waitcnt vmcnt(7)
	v_mov_b32_e32 v10, s21
	s_add_i32 s21, s21, 4
	s_cmp_lg_u32 s21, 32
	buffer_store_dword v31, v10, s[0:3], 0 offen
	s_cbranch_scc1 .LBB2165_240
; %bb.241:                              ;   in Loop: Header=BB2165_187 Depth=1
	s_mov_b32 s21, 0
	.p2align	6
.LBB2165_242:                           ;   Parent Loop BB2165_187 Depth=1
                                        ; =>  This Inner Loop Header: Depth=2
	v_add_nc_u32_e64 v10, 0xc8, s21
	s_waitcnt vmcnt(6)
	v_add_nc_u32_e64 v11, 0xa4, s21
	s_waitcnt vmcnt(0)
	v_mov_b32_e32 v12, s21
	s_add_i32 s21, s21, 4
	s_clause 0x1
	buffer_load_dword v10, v10, s[0:3], 0 offen
	buffer_load_dword v11, v11, s[0:3], 0 offen
	s_cmp_lg_u32 s21, 32
	s_waitcnt vmcnt(0)
	v_add_nc_u32_e32 v10, v11, v10
	buffer_store_dword v10, v12, s[0:3], 0 offen
	s_cbranch_scc1 .LBB2165_242
	s_branch .LBB2165_184
.LBB2165_243:
	s_cbranch_execnz .LBB2165_282
	s_branch .LBB2165_415
.LBB2165_244:
	s_clause 0x8
	buffer_load_dword v9, off, s[0:3], 0 offset:164
	buffer_load_dword v10, off, s[0:3], 0 offset:168
	;; [unrolled: 1-line block ×9, first 2 shown]
	s_waitcnt vmcnt(8)
	buffer_store_dword v9, off, s[0:3], 0
	s_waitcnt vmcnt(7)
	buffer_store_dword v10, off, s[0:3], 0 offset:4
	s_waitcnt vmcnt(6)
	buffer_store_dword v11, off, s[0:3], 0 offset:8
	;; [unrolled: 2-line block ×8, first 2 shown]
	s_and_saveexec_b32 s4, s7
	s_cbranch_execz .LBB2165_251
; %bb.245:
	v_mov_b32_e32 v19, 0
	v_cmp_ne_u32_sdwa s7, v18, v19 src0_sel:BYTE_0 src1_sel:DWORD
	s_and_b32 vcc_lo, exec_lo, s7
	s_mov_b32 s7, 0
	s_cbranch_vccnz .LBB2165_250
.LBB2165_246:                           ; =>This Inner Loop Header: Depth=1
	v_add_nc_u32_e64 v1, 0x80, s7
	s_add_i32 s7, s7, 4
	s_cmp_lg_u32 s7, 32
	buffer_store_dword v19, v1, s[0:3], 0 offen
	s_cbranch_scc1 .LBB2165_246
; %bb.247:
	s_mov_b32 s7, 0
	.p2align	6
.LBB2165_248:                           ; =>This Inner Loop Header: Depth=1
	v_mov_b32_e32 v1, s7
	v_add_nc_u32_e64 v2, 0xec, s7
	v_add_nc_u32_e64 v3, 0x80, s7
	s_add_i32 s7, s7, 4
	s_clause 0x1
	buffer_load_dword v1, v1, s[0:3], 0 offen
	buffer_load_dword v2, v2, s[0:3], 0 offen
	s_cmp_lg_u32 s7, 32
	s_waitcnt vmcnt(0)
	v_add_nc_u32_e32 v1, v2, v1
	buffer_store_dword v1, v3, s[0:3], 0 offen
	s_cbranch_scc1 .LBB2165_248
; %bb.249:
	s_clause 0x7
	buffer_load_dword v1, off, s[0:3], 0 offset:128
	buffer_load_dword v2, off, s[0:3], 0 offset:132
	;; [unrolled: 1-line block ×8, first 2 shown]
.LBB2165_250:
	v_or_b32_e32 v18, v18, v17
	s_add_i32 s8, s6, 32
	v_mov_b32_e32 v19, 0
	s_mul_i32 s6, s8, 36
	v_mov_b32_e32 v20, 2
	v_mov_b32_e32 v21, s8
	s_mul_hi_u32 s7, s8, 36
	v_and_b32_e32 v18, 1, v18
	s_add_u32 s6, s10, s6
	s_addc_u32 s7, s11, s7
	s_waitcnt vmcnt(4)
	global_store_dwordx4 v19, v[1:4], s[6:7]
	s_waitcnt vmcnt(0)
	global_store_dwordx4 v19, v[5:8], s[6:7] offset:16
	global_store_byte v19, v18, s[6:7] offset:32
	s_waitcnt_vscnt null, 0x0
	buffer_gl1_inv
	buffer_gl0_inv
	global_store_byte v21, v20, s[12:13]
.LBB2165_251:
	s_or_b32 exec_lo, exec_lo, s4
	v_cmp_eq_u32_e32 vcc_lo, 0, v0
	s_and_b32 exec_lo, exec_lo, vcc_lo
	s_cbranch_execz .LBB2165_253
; %bb.252:
	v_mov_b32_e32 v1, 0
	ds_write2_b32 v1, v9, v10 offset0:63 offset1:64
	ds_write2_b32 v1, v11, v12 offset0:65 offset1:66
	;; [unrolled: 1-line block ×4, first 2 shown]
	ds_write_b8 v1, v17 offset:284
.LBB2165_253:
	s_or_b32 exec_lo, exec_lo, s5
	s_waitcnt lgkmcnt(0)
	s_waitcnt_vscnt null, 0x0
	s_barrier
	buffer_gl0_inv
	s_clause 0x8
	buffer_load_dword v1, off, s[0:3], 0 offset:332
	buffer_load_dword v11, off, s[0:3], 0 offset:328
	buffer_load_dword v12, off, s[0:3], 0 offset:324
	buffer_load_dword v13, off, s[0:3], 0 offset:320
	buffer_load_dword v14, off, s[0:3], 0 offset:348
	buffer_load_dword v15, off, s[0:3], 0 offset:344
	buffer_load_dword v16, off, s[0:3], 0 offset:340
	buffer_load_dword v17, off, s[0:3], 0 offset:336
	buffer_load_dword v18, off, s[0:3], 0 offset:352
	v_mov_b32_e32 v2, 0
	ds_read2_b32 v[3:4], v2 offset0:63 offset1:64
	ds_read2_b32 v[5:6], v2 offset0:65 offset1:66
	ds_read2_b32 v[7:8], v2 offset0:67 offset1:68
	ds_read2_b32 v[9:10], v2 offset0:69 offset1:70
	ds_read_b32 v2, v2 offset:284
	v_cmp_ne_u32_e32 vcc_lo, 0, v0
	s_waitcnt lgkmcnt(4)
	buffer_store_dword v3, off, s[0:3], 0
	buffer_store_dword v4, off, s[0:3], 0 offset:4
	s_waitcnt lgkmcnt(3)
	buffer_store_dword v5, off, s[0:3], 0 offset:8
	buffer_store_dword v6, off, s[0:3], 0 offset:12
	s_waitcnt lgkmcnt(2)
	buffer_store_dword v7, off, s[0:3], 0 offset:16
	;; [unrolled: 3-line block ×4, first 2 shown]
	buffer_store_dword v6, off, s[0:3], 0 offset:176
	buffer_store_dword v5, off, s[0:3], 0 offset:172
	;; [unrolled: 1-line block ×8, first 2 shown]
	s_waitcnt vmcnt(8)
	buffer_store_dword v1, off, s[0:3], 0 offset:140
	s_waitcnt vmcnt(7)
	buffer_store_dword v11, off, s[0:3], 0 offset:136
	;; [unrolled: 2-line block ×9, first 2 shown]
	buffer_store_dword v2, off, s[0:3], 0 offset:196
                                        ; implicit-def: $vgpr1
	s_and_saveexec_b32 s4, vcc_lo
	s_xor_b32 s4, exec_lo, s4
	s_cbranch_execz .LBB2165_263
; %bb.254:
	buffer_load_ubyte v1, off, s[0:3], 0 offset:304
	s_mov_b32 s5, exec_lo
                                        ; implicit-def: $vgpr6
                                        ; implicit-def: $vgpr3
                                        ; implicit-def: $vgpr4
                                        ; implicit-def: $vgpr5
                                        ; implicit-def: $vgpr7
                                        ; implicit-def: $vgpr8
                                        ; implicit-def: $vgpr9
                                        ; implicit-def: $vgpr10
	s_waitcnt vmcnt(0)
	v_cmpx_ne_u16_e32 0, v1
	s_xor_b32 s5, exec_lo, s5
	s_cbranch_execz .LBB2165_256
; %bb.255:
	s_clause 0x7
	buffer_load_dword v3, off, s[0:3], 0 offset:272
	buffer_load_dword v4, off, s[0:3], 0 offset:276
	;; [unrolled: 1-line block ×8, first 2 shown]
.LBB2165_256:
	s_andn2_saveexec_b32 s5, s5
	s_cbranch_execz .LBB2165_262
; %bb.257:
	s_waitcnt vmcnt(7)
	v_mov_b32_e32 v3, 0
	s_mov_b32 s6, 0
.LBB2165_258:                           ; =>This Inner Loop Header: Depth=1
	s_waitcnt vmcnt(6)
	v_add_nc_u32_e64 v4, 0xc8, s6
	s_add_i32 s6, s6, 4
	s_cmp_lg_u32 s6, 32
	buffer_store_dword v3, v4, s[0:3], 0 offen
	s_cbranch_scc1 .LBB2165_258
; %bb.259:
	s_mov_b32 s6, 0
	.p2align	6
.LBB2165_260:                           ; =>This Inner Loop Header: Depth=1
	v_mov_b32_e32 v3, s6
	v_add_nc_u32_e64 v4, 0x110, s6
	s_waitcnt vmcnt(5)
	v_add_nc_u32_e64 v5, 0xc8, s6
	s_add_i32 s6, s6, 4
	s_clause 0x1
	buffer_load_dword v3, v3, s[0:3], 0 offen
	buffer_load_dword v4, v4, s[0:3], 0 offen
	s_cmp_lg_u32 s6, 32
	s_waitcnt vmcnt(0)
	v_add_nc_u32_e32 v3, v4, v3
	buffer_store_dword v3, v5, s[0:3], 0 offen
	s_cbranch_scc1 .LBB2165_260
; %bb.261:
	s_clause 0x7
	buffer_load_dword v3, off, s[0:3], 0 offset:200
	buffer_load_dword v4, off, s[0:3], 0 offset:204
	;; [unrolled: 1-line block ×8, first 2 shown]
.LBB2165_262:
	s_or_b32 exec_lo, exec_lo, s5
	v_or_b32_e32 v1, v1, v2
	s_waitcnt vmcnt(7)
	buffer_store_dword v3, off, s[0:3], 0 offset:164
	s_waitcnt vmcnt(6)
	buffer_store_dword v4, off, s[0:3], 0 offset:168
	;; [unrolled: 2-line block ×8, first 2 shown]
	v_and_b32_e32 v1, 1, v1
.LBB2165_263:
	s_andn2_saveexec_b32 s4, s4
	s_cbranch_execz .LBB2165_265
; %bb.264:
	buffer_load_ubyte v1, off, s[0:3], 0 offset:196
.LBB2165_265:
	s_or_b32 exec_lo, exec_lo, s4
	s_clause 0x8
	buffer_load_dword v3, off, s[0:3], 0 offset:176
	buffer_load_dword v4, off, s[0:3], 0 offset:172
	;; [unrolled: 1-line block ×5, first 2 shown]
	buffer_load_ubyte v2, off, s[0:3], 0 offset:160
	buffer_load_dword v8, off, s[0:3], 0 offset:188
	buffer_load_dword v9, off, s[0:3], 0 offset:184
	;; [unrolled: 1-line block ×3, first 2 shown]
	s_mov_b32 s4, exec_lo
                                        ; implicit-def: $vgpr11
	s_waitcnt vmcnt(8)
	buffer_store_dword v3, off, s[0:3], 0 offset:332
	s_waitcnt vmcnt(7)
	buffer_store_dword v4, off, s[0:3], 0 offset:328
	;; [unrolled: 2-line block ×8, first 2 shown]
	buffer_store_byte v1, off, s[0:3], 0 offset:352
                                        ; implicit-def: $vgpr4
                                        ; implicit-def: $vgpr7
                                        ; implicit-def: $vgpr8
                                        ; implicit-def: $vgpr9
                                        ; implicit-def: $vgpr10
                                        ; implicit-def: $vgpr5
                                        ; implicit-def: $vgpr6
	v_cmpx_ne_u16_e32 0, v2
	s_xor_b32 s4, exec_lo, s4
	s_cbranch_execz .LBB2165_267
; %bb.266:
	s_clause 0x7
	buffer_load_dword v7, off, s[0:3], 0 offset:128
	buffer_load_dword v8, off, s[0:3], 0 offset:132
	;; [unrolled: 1-line block ×8, first 2 shown]
.LBB2165_267:
	s_andn2_saveexec_b32 s4, s4
	s_cbranch_execz .LBB2165_273
; %bb.268:
	v_mov_b32_e32 v3, 0
	s_mov_b32 s5, 0
.LBB2165_269:                           ; =>This Inner Loop Header: Depth=1
	s_waitcnt vmcnt(0)
	v_add_nc_u32_e64 v4, 0xc8, s5
	s_add_i32 s5, s5, 4
	s_cmp_lg_u32 s5, 32
	buffer_store_dword v3, v4, s[0:3], 0 offen
	s_cbranch_scc1 .LBB2165_269
; %bb.270:
	s_mov_b32 s5, 0
	.p2align	6
.LBB2165_271:                           ; =>This Inner Loop Header: Depth=1
	v_add_nc_u32_e64 v3, 0xa4, s5
	v_add_nc_u32_e64 v4, 0x80, s5
	;; [unrolled: 1-line block ×3, first 2 shown]
	s_add_i32 s5, s5, 4
	s_clause 0x1
	buffer_load_dword v3, v3, s[0:3], 0 offen
	buffer_load_dword v4, v4, s[0:3], 0 offen
	s_cmp_lg_u32 s5, 32
	s_waitcnt vmcnt(0)
	v_add_nc_u32_e32 v3, v4, v3
	buffer_store_dword v3, v5, s[0:3], 0 offen
	s_cbranch_scc1 .LBB2165_271
; %bb.272:
	s_clause 0x7
	buffer_load_dword v7, off, s[0:3], 0 offset:200
	buffer_load_dword v8, off, s[0:3], 0 offset:204
	;; [unrolled: 1-line block ×8, first 2 shown]
.LBB2165_273:
	s_or_b32 exec_lo, exec_lo, s4
	v_mov_b32_e32 v12, s15
	v_or_b32_e32 v1, v2, v1
                                        ; implicit-def: $vgpr2
	s_clause 0x8
	buffer_load_dword v13, v12, s[0:3], 0 offen offset:12
	buffer_load_dword v14, v12, s[0:3], 0 offen offset:8
	;; [unrolled: 1-line block ×3, first 2 shown]
	buffer_load_dword v16, v12, s[0:3], 0 offen
	buffer_load_dword v17, v12, s[0:3], 0 offen offset:28
	buffer_load_dword v18, v12, s[0:3], 0 offen offset:24
	;; [unrolled: 1-line block ×4, first 2 shown]
	buffer_load_ubyte v3, off, s[0:3], 0 offset:388
	v_and_b32_e32 v1, 1, v1
	s_waitcnt vmcnt(16)
	buffer_store_dword v7, off, s[0:3], 0 offset:164
	s_waitcnt vmcnt(15)
	buffer_store_dword v8, off, s[0:3], 0 offset:168
	;; [unrolled: 2-line block ×8, first 2 shown]
	buffer_store_dword v7, v12, s[0:3], 0 offen
	buffer_store_dword v8, v12, s[0:3], 0 offen offset:4
	buffer_store_dword v9, v12, s[0:3], 0 offen offset:8
	buffer_store_dword v10, v12, s[0:3], 0 offen offset:12
	buffer_store_dword v11, v12, s[0:3], 0 offen offset:16
                                        ; implicit-def: $vgpr8
                                        ; implicit-def: $vgpr7
                                        ; implicit-def: $vgpr9
	s_waitcnt vmcnt(8)
	buffer_store_dword v13, off, s[0:3], 0 offset:140
	s_waitcnt vmcnt(7)
	buffer_store_dword v14, off, s[0:3], 0 offset:136
	;; [unrolled: 2-line block ×8, first 2 shown]
	s_waitcnt vmcnt(0)
	v_cmp_ne_u16_e64 s4, 0, v3
	v_cmp_eq_u32_e32 vcc_lo, 1, v1
	buffer_store_dword v5, v12, s[0:3], 0 offen offset:20
	buffer_store_dword v6, v12, s[0:3], 0 offen offset:24
	;; [unrolled: 1-line block ×3, first 2 shown]
	buffer_store_byte v1, off, s[0:3], 0 offset:388
                                        ; implicit-def: $vgpr6
                                        ; implicit-def: $vgpr1
                                        ; implicit-def: $vgpr5
                                        ; implicit-def: $vgpr4
	s_and_saveexec_b32 s5, s4
	s_xor_b32 s4, exec_lo, s5
	s_cbranch_execz .LBB2165_275
; %bb.274:
	s_clause 0x7
	buffer_load_dword v1, off, s[0:3], 0 offset:128
	buffer_load_dword v2, off, s[0:3], 0 offset:132
	;; [unrolled: 1-line block ×8, first 2 shown]
.LBB2165_275:
	s_andn2_saveexec_b32 s4, s4
	s_cbranch_execz .LBB2165_281
; %bb.276:
	s_waitcnt vmcnt(7)
	v_mov_b32_e32 v1, 0
	s_mov_b32 s5, 0
.LBB2165_277:                           ; =>This Inner Loop Header: Depth=1
	s_waitcnt vmcnt(6)
	v_add_nc_u32_e64 v2, 0xc8, s5
	s_add_i32 s5, s5, 4
	s_cmp_lg_u32 s5, 32
	buffer_store_dword v1, v2, s[0:3], 0 offen
	s_cbranch_scc1 .LBB2165_277
; %bb.278:
	s_mov_b32 s5, 0
	.p2align	6
.LBB2165_279:                           ; =>This Inner Loop Header: Depth=1
	v_add_nc_u32_e64 v1, 0xa4, s5
	v_add_nc_u32_e64 v2, 0x80, s5
	s_waitcnt vmcnt(3)
	v_add_nc_u32_e64 v4, 0xc8, s5
	s_add_i32 s5, s5, 4
	s_clause 0x1
	buffer_load_dword v1, v1, s[0:3], 0 offen
	buffer_load_dword v2, v2, s[0:3], 0 offen
	s_cmp_lg_u32 s5, 32
	s_waitcnt vmcnt(0)
	v_add_nc_u32_e32 v1, v2, v1
	buffer_store_dword v1, v4, s[0:3], 0 offen
	s_cbranch_scc1 .LBB2165_279
; %bb.280:
	s_clause 0x7
	buffer_load_dword v1, off, s[0:3], 0 offset:200
	buffer_load_dword v2, off, s[0:3], 0 offset:204
	buffer_load_dword v5, off, s[0:3], 0 offset:208
	buffer_load_dword v8, off, s[0:3], 0 offset:212
	buffer_load_dword v4, off, s[0:3], 0 offset:216
	buffer_load_dword v7, off, s[0:3], 0 offset:220
	buffer_load_dword v9, off, s[0:3], 0 offset:224
	buffer_load_dword v6, off, s[0:3], 0 offset:228
.LBB2165_281:
	s_or_b32 exec_lo, exec_lo, s4
	v_and_b32_e32 v3, 1, v3
	v_mov_b32_e32 v10, s33
	s_waitcnt vmcnt(4)
	buffer_store_dword v8, v10, s[0:3], 0 offen offset:12
	buffer_store_dword v5, v10, s[0:3], 0 offen offset:8
	;; [unrolled: 1-line block ×3, first 2 shown]
	buffer_store_dword v1, v10, s[0:3], 0 offen
	v_cmp_eq_u32_e64 s4, 1, v3
	s_waitcnt vmcnt(0)
	buffer_store_dword v6, v10, s[0:3], 0 offen offset:28
	buffer_store_dword v9, v10, s[0:3], 0 offen offset:24
	;; [unrolled: 1-line block ×4, first 2 shown]
	s_or_b32 s4, s4, vcc_lo
	v_cndmask_b32_e64 v1, 0, 1, s4
	buffer_store_byte v1, off, s[0:3], 0 offset:424
	s_branch .LBB2165_415
.LBB2165_282:
	s_cmp_eq_u64 s[34:35], 0
	v_mov_b32_e32 v4, s31
	s_cselect_b32 s4, -1, 0
	s_cmp_eq_u64 s[38:39], 0
	v_mov_b32_e32 v3, s30
	s_cselect_b32 s5, -1, 0
	v_mov_b32_e32 v2, s29
	v_mov_b32_e32 v1, s28
	;; [unrolled: 1-line block ×6, first 2 shown]
	s_or_b32 s4, s4, s5
	s_and_b32 vcc_lo, exec_lo, s4
	s_cbranch_vccnz .LBB2165_284
; %bb.283:
	v_mov_b32_e32 v1, 0
	s_clause 0x1
	global_load_dwordx4 v[5:8], v1, s[38:39]
	global_load_dwordx4 v[1:4], v1, s[38:39] offset:16
.LBB2165_284:
	v_mov_b32_e32 v9, 0
	s_mov_b32 s4, 0
	buffer_store_dword v9, off, s[0:3], 0 offset:300
	buffer_store_dword v9, off, s[0:3], 0 offset:296
	;; [unrolled: 1-line block ×9, first 2 shown]
.LBB2165_285:                           ; =>This Inner Loop Header: Depth=1
	v_add_nc_u32_e64 v10, 0x110, s4
	s_add_i32 s4, s4, 4
	s_cmp_lg_u32 s4, 32
	buffer_store_dword v9, v10, s[0:3], 0 offen
	s_cbranch_scc1 .LBB2165_285
; %bb.286:
	s_clause 0x9
	buffer_load_dword v9, off, s[0:3], 0 offset:332
	buffer_load_dword v10, off, s[0:3], 0 offset:328
	;; [unrolled: 1-line block ×5, first 2 shown]
	buffer_load_ubyte v11, off, s[0:3], 0 offset:388
	buffer_load_dword v15, off, s[0:3], 0 offset:344
	buffer_load_dword v16, off, s[0:3], 0 offset:340
	;; [unrolled: 1-line block ×4, first 2 shown]
	s_mov_b32 s4, exec_lo
	v_mov_b32_e32 v19, 0
	s_waitcnt vmcnt(11)
	buffer_store_dword v5, off, s[0:3], 0 offset:236
	buffer_store_dword v6, off, s[0:3], 0 offset:240
	;; [unrolled: 1-line block ×4, first 2 shown]
	s_waitcnt vmcnt(10)
	buffer_store_dword v1, off, s[0:3], 0 offset:252
	buffer_store_dword v2, off, s[0:3], 0 offset:256
	;; [unrolled: 1-line block ×4, first 2 shown]
	buffer_store_byte v19, off, s[0:3], 0 offset:304
	buffer_store_byte v19, off, s[0:3], 0 offset:268
	s_waitcnt vmcnt(9)
	buffer_store_dword v9, off, s[0:3], 0 offset:212
	s_waitcnt vmcnt(8)
	buffer_store_dword v10, off, s[0:3], 0 offset:208
	;; [unrolled: 2-line block ×9, first 2 shown]
                                        ; implicit-def: $vgpr13
                                        ; implicit-def: $vgpr9
                                        ; implicit-def: $vgpr10
                                        ; implicit-def: $vgpr12
                                        ; implicit-def: $vgpr14
                                        ; implicit-def: $vgpr15
                                        ; implicit-def: $vgpr16
                                        ; implicit-def: $vgpr18
	v_cmpx_ne_u16_e32 0, v11
	s_xor_b32 s4, exec_lo, s4
	s_cbranch_execz .LBB2165_288
; %bb.287:
	s_clause 0x7
	buffer_load_dword v9, off, s[0:3], 0 offset:356
	buffer_load_dword v10, off, s[0:3], 0 offset:360
	;; [unrolled: 1-line block ×8, first 2 shown]
.LBB2165_288:
	s_andn2_saveexec_b32 s4, s4
	s_cbranch_execz .LBB2165_294
; %bb.289:
	s_waitcnt vmcnt(7)
	v_mov_b32_e32 v9, 0
	s_mov_b32 s5, 0
.LBB2165_290:                           ; =>This Inner Loop Header: Depth=1
	s_waitcnt vmcnt(6)
	v_mov_b32_e32 v10, s5
	s_add_i32 s5, s5, 4
	s_cmp_lg_u32 s5, 32
	buffer_store_dword v9, v10, s[0:3], 0 offen
	s_cbranch_scc1 .LBB2165_290
; %bb.291:
	s_mov_b32 s5, 0
	.p2align	6
.LBB2165_292:                           ; =>This Inner Loop Header: Depth=1
	v_add_nc_u32_e64 v9, 0xc8, s5
	v_add_nc_u32_e64 v10, 0x140, s5
	s_waitcnt vmcnt(5)
	v_mov_b32_e32 v12, s5
	s_add_i32 s5, s5, 4
	s_clause 0x1
	buffer_load_dword v9, v9, s[0:3], 0 offen
	buffer_load_dword v10, v10, s[0:3], 0 offen offset:36
	s_cmp_lg_u32 s5, 32
	s_waitcnt vmcnt(0)
	v_add_nc_u32_e32 v9, v10, v9
	buffer_store_dword v9, v12, s[0:3], 0 offen
	s_cbranch_scc1 .LBB2165_292
; %bb.293:
	s_clause 0x7
	buffer_load_dword v9, off, s[0:3], 0
	buffer_load_dword v10, off, s[0:3], 0 offset:4
	buffer_load_dword v12, off, s[0:3], 0 offset:8
	;; [unrolled: 1-line block ×7, first 2 shown]
.LBB2165_294:
	s_or_b32 exec_lo, exec_lo, s4
	buffer_load_ubyte v19, off, s[0:3], 0 offset:424
	s_mov_b32 s4, exec_lo
	s_waitcnt vmcnt(8)
	buffer_store_dword v9, off, s[0:3], 0 offset:200
	s_waitcnt vmcnt(7)
	buffer_store_dword v10, off, s[0:3], 0 offset:204
	;; [unrolled: 2-line block ×8, first 2 shown]
                                        ; implicit-def: $vgpr18
                                        ; implicit-def: $vgpr9
                                        ; implicit-def: $vgpr10
                                        ; implicit-def: $vgpr12
                                        ; implicit-def: $vgpr13
                                        ; implicit-def: $vgpr14
                                        ; implicit-def: $vgpr15
                                        ; implicit-def: $vgpr16
	s_waitcnt vmcnt(0)
	v_cmpx_ne_u16_e32 0, v19
	s_xor_b32 s4, exec_lo, s4
	s_cbranch_execz .LBB2165_296
; %bb.295:
	s_clause 0x7
	buffer_load_dword v9, off, s[0:3], 0 offset:392
	buffer_load_dword v10, off, s[0:3], 0 offset:396
	;; [unrolled: 1-line block ×8, first 2 shown]
.LBB2165_296:
	s_andn2_saveexec_b32 s4, s4
	s_cbranch_execz .LBB2165_302
; %bb.297:
	s_waitcnt vmcnt(7)
	v_mov_b32_e32 v9, 0
	s_mov_b32 s5, 0
.LBB2165_298:                           ; =>This Inner Loop Header: Depth=1
	s_waitcnt vmcnt(6)
	v_mov_b32_e32 v10, s5
	s_add_i32 s5, s5, 4
	s_cmp_lg_u32 s5, 32
	buffer_store_dword v9, v10, s[0:3], 0 offen
	s_cbranch_scc1 .LBB2165_298
; %bb.299:
	s_mov_b32 s5, 0
	.p2align	6
.LBB2165_300:                           ; =>This Inner Loop Header: Depth=1
	v_add_nc_u32_e64 v9, 0xc8, s5
	v_add_nc_u32_e64 v10, 0x140, s5
	s_waitcnt vmcnt(5)
	v_mov_b32_e32 v12, s5
	s_add_i32 s5, s5, 4
	s_clause 0x1
	buffer_load_dword v9, v9, s[0:3], 0 offen
	buffer_load_dword v10, v10, s[0:3], 0 offen offset:72
	s_cmp_lg_u32 s5, 32
	s_waitcnt vmcnt(0)
	v_add_nc_u32_e32 v9, v10, v9
	buffer_store_dword v9, v12, s[0:3], 0 offen
	s_cbranch_scc1 .LBB2165_300
; %bb.301:
	s_clause 0x7
	buffer_load_dword v9, off, s[0:3], 0
	buffer_load_dword v10, off, s[0:3], 0 offset:4
	buffer_load_dword v12, off, s[0:3], 0 offset:8
	;; [unrolled: 1-line block ×7, first 2 shown]
.LBB2165_302:
	s_or_b32 exec_lo, exec_lo, s4
	v_and_b32_e32 v17, 1, v17
	v_or_b32_e32 v11, v19, v11
	v_mov_b32_e32 v21, 0
	s_waitcnt vmcnt(7)
	v_mov_b32_dpp v20, v9 row_shr:1 row_mask:0xf bank_mask:0xf
	s_waitcnt vmcnt(6)
	v_mov_b32_dpp v22, v10 row_shr:1 row_mask:0xf bank_mask:0xf
	v_cmp_eq_u32_e32 vcc_lo, 1, v17
	v_cmp_ne_u16_e64 s4, 0, v11
	v_mbcnt_lo_u32_b32 v17, -1, 0
	s_waitcnt vmcnt(5)
	v_mov_b32_dpp v23, v12 row_shr:1 row_mask:0xf bank_mask:0xf
	s_waitcnt vmcnt(4)
	v_mov_b32_dpp v24, v13 row_shr:1 row_mask:0xf bank_mask:0xf
	;; [unrolled: 2-line block ×3, first 2 shown]
	s_or_b32 s4, s4, vcc_lo
	v_and_b32_e32 v19, 15, v17
	v_cndmask_b32_e64 v11, 0, 1, s4
	s_waitcnt vmcnt(2)
	v_mov_b32_dpp v26, v15 row_shr:1 row_mask:0xf bank_mask:0xf
	s_waitcnt vmcnt(1)
	v_mov_b32_dpp v27, v16 row_shr:1 row_mask:0xf bank_mask:0xf
	;; [unrolled: 2-line block ×3, first 2 shown]
	s_mov_b32 s4, exec_lo
	buffer_store_byte v11, off, s[0:3], 0 offset:232
	buffer_load_dword v11, off, s[0:3], 0 offset:232
	buffer_store_dword v5, off, s[0:3], 0 offset:164
	buffer_store_dword v6, off, s[0:3], 0 offset:168
	buffer_store_dword v7, off, s[0:3], 0 offset:172
	buffer_store_dword v8, off, s[0:3], 0 offset:176
	buffer_store_dword v1, off, s[0:3], 0 offset:180
	buffer_store_dword v2, off, s[0:3], 0 offset:184
	buffer_store_dword v3, off, s[0:3], 0 offset:188
	buffer_store_dword v4, off, s[0:3], 0 offset:192
	buffer_store_dword v9, off, s[0:3], 0 offset:200
	buffer_store_dword v10, off, s[0:3], 0 offset:204
	buffer_store_dword v12, off, s[0:3], 0 offset:208
	buffer_store_dword v13, off, s[0:3], 0 offset:212
	buffer_store_dword v14, off, s[0:3], 0 offset:216
	buffer_store_dword v15, off, s[0:3], 0 offset:220
	buffer_store_dword v16, off, s[0:3], 0 offset:224
	buffer_store_dword v18, off, s[0:3], 0 offset:228
	buffer_store_byte v21, off, s[0:3], 0 offset:196
	buffer_store_dword v20, off, s[0:3], 0
	buffer_store_dword v22, off, s[0:3], 0 offset:4
	buffer_store_dword v23, off, s[0:3], 0 offset:8
	;; [unrolled: 1-line block ×3, first 2 shown]
	s_waitcnt vmcnt(0)
	v_mov_b32_dpp v20, v11 row_shr:1 row_mask:0xf bank_mask:0xf
	buffer_store_dword v25, off, s[0:3], 0 offset:16
	buffer_store_dword v26, off, s[0:3], 0 offset:20
	;; [unrolled: 1-line block ×5, first 2 shown]
	v_cmpx_ne_u32_e32 0, v19
	s_xor_b32 s4, exec_lo, s4
	s_cbranch_execz .LBB2165_310
; %bb.303:
	v_cmp_eq_u16_sdwa s6, v11, v21 src0_sel:BYTE_0 src1_sel:DWORD
	s_and_saveexec_b32 s5, s6
	s_cbranch_execz .LBB2165_309
; %bb.304:
	v_mov_b32_e32 v9, 0
	s_mov_b32 s6, 0
.LBB2165_305:                           ; =>This Inner Loop Header: Depth=1
	v_add_nc_u32_e64 v10, 0x80, s6
	s_add_i32 s6, s6, 4
	s_cmp_lg_u32 s6, 32
	buffer_store_dword v9, v10, s[0:3], 0 offen
	s_cbranch_scc1 .LBB2165_305
; %bb.306:
	s_mov_b32 s6, 0
	.p2align	6
.LBB2165_307:                           ; =>This Inner Loop Header: Depth=1
	v_mov_b32_e32 v9, s6
	v_add_nc_u32_e64 v10, 0xc8, s6
	v_add_nc_u32_e64 v12, 0x80, s6
	s_add_i32 s6, s6, 4
	s_clause 0x1
	buffer_load_dword v9, v9, s[0:3], 0 offen
	buffer_load_dword v10, v10, s[0:3], 0 offen
	s_cmp_lg_u32 s6, 32
	s_waitcnt vmcnt(0)
	v_add_nc_u32_e32 v9, v10, v9
	buffer_store_dword v9, v12, s[0:3], 0 offen
	s_cbranch_scc1 .LBB2165_307
; %bb.308:
	s_clause 0x7
	buffer_load_dword v9, off, s[0:3], 0 offset:128
	buffer_load_dword v10, off, s[0:3], 0 offset:132
	;; [unrolled: 1-line block ×8, first 2 shown]
.LBB2165_309:
	s_or_b32 exec_lo, exec_lo, s5
	v_or_b32_e32 v11, v20, v11
	v_and_b32_e32 v11, 1, v11
	buffer_store_byte v11, off, s[0:3], 0 offset:232
	buffer_load_dword v11, off, s[0:3], 0 offset:232
	s_waitcnt vmcnt(8)
	buffer_store_dword v9, off, s[0:3], 0 offset:200
	s_waitcnt vmcnt(7)
	buffer_store_dword v10, off, s[0:3], 0 offset:204
	;; [unrolled: 2-line block ×8, first 2 shown]
.LBB2165_310:
	s_or_b32 exec_lo, exec_lo, s4
	v_mov_b32_dpp v21, v9 row_shr:2 row_mask:0xf bank_mask:0xf
	s_waitcnt vmcnt(0)
	v_mov_b32_dpp v20, v11 row_shr:2 row_mask:0xf bank_mask:0xf
	v_mov_b32_dpp v22, v10 row_shr:2 row_mask:0xf bank_mask:0xf
	;; [unrolled: 1-line block ×4, first 2 shown]
	s_mov_b32 s5, exec_lo
	v_mov_b32_dpp v25, v14 row_shr:2 row_mask:0xf bank_mask:0xf
	v_mov_b32_dpp v26, v15 row_shr:2 row_mask:0xf bank_mask:0xf
	;; [unrolled: 1-line block ×4, first 2 shown]
	buffer_store_dword v21, off, s[0:3], 0
	buffer_store_dword v22, off, s[0:3], 0 offset:4
	buffer_store_dword v23, off, s[0:3], 0 offset:8
	;; [unrolled: 1-line block ×8, first 2 shown]
	v_cmpx_lt_u32_e32 1, v19
	s_cbranch_execz .LBB2165_317
; %bb.311:
	v_mov_b32_e32 v21, 0
	s_mov_b32 s6, 0
	v_cmp_eq_u16_sdwa s7, v11, v21 src0_sel:BYTE_0 src1_sel:DWORD
	s_and_saveexec_b32 s4, s7
	s_cbranch_execz .LBB2165_316
.LBB2165_312:                           ; =>This Inner Loop Header: Depth=1
	v_add_nc_u32_e64 v9, 0x80, s6
	s_add_i32 s6, s6, 4
	s_cmp_lg_u32 s6, 32
	buffer_store_dword v21, v9, s[0:3], 0 offen
	s_cbranch_scc1 .LBB2165_312
; %bb.313:
	s_mov_b32 s6, 0
	.p2align	6
.LBB2165_314:                           ; =>This Inner Loop Header: Depth=1
	v_mov_b32_e32 v9, s6
	v_add_nc_u32_e64 v10, 0xc8, s6
	v_add_nc_u32_e64 v12, 0x80, s6
	s_add_i32 s6, s6, 4
	s_clause 0x1
	buffer_load_dword v9, v9, s[0:3], 0 offen
	buffer_load_dword v10, v10, s[0:3], 0 offen
	s_cmp_lg_u32 s6, 32
	s_waitcnt vmcnt(0)
	v_add_nc_u32_e32 v9, v10, v9
	buffer_store_dword v9, v12, s[0:3], 0 offen
	s_cbranch_scc1 .LBB2165_314
; %bb.315:
	s_clause 0x7
	buffer_load_dword v9, off, s[0:3], 0 offset:128
	buffer_load_dword v10, off, s[0:3], 0 offset:132
	buffer_load_dword v12, off, s[0:3], 0 offset:136
	buffer_load_dword v13, off, s[0:3], 0 offset:140
	buffer_load_dword v14, off, s[0:3], 0 offset:144
	buffer_load_dword v15, off, s[0:3], 0 offset:148
	buffer_load_dword v16, off, s[0:3], 0 offset:152
	buffer_load_dword v18, off, s[0:3], 0 offset:156
.LBB2165_316:
	s_or_b32 exec_lo, exec_lo, s4
	v_and_b32_e32 v11, 1, v11
	v_and_b32_e32 v20, 1, v20
	v_cmp_eq_u32_e32 vcc_lo, 1, v11
	v_cmp_eq_u32_e64 s4, 1, v20
	s_or_b32 s4, vcc_lo, s4
	v_cndmask_b32_e64 v11, 0, 1, s4
	buffer_store_byte v11, off, s[0:3], 0 offset:232
	buffer_load_dword v11, off, s[0:3], 0 offset:232
	s_waitcnt vmcnt(8)
	buffer_store_dword v9, off, s[0:3], 0 offset:200
	s_waitcnt vmcnt(7)
	buffer_store_dword v10, off, s[0:3], 0 offset:204
	;; [unrolled: 2-line block ×8, first 2 shown]
.LBB2165_317:
	s_or_b32 exec_lo, exec_lo, s5
	v_mov_b32_dpp v21, v9 row_shr:4 row_mask:0xf bank_mask:0xf
	s_waitcnt vmcnt(0)
	v_mov_b32_dpp v20, v11 row_shr:4 row_mask:0xf bank_mask:0xf
	v_mov_b32_dpp v22, v10 row_shr:4 row_mask:0xf bank_mask:0xf
	;; [unrolled: 1-line block ×4, first 2 shown]
	s_mov_b32 s5, exec_lo
	v_mov_b32_dpp v25, v14 row_shr:4 row_mask:0xf bank_mask:0xf
	v_mov_b32_dpp v26, v15 row_shr:4 row_mask:0xf bank_mask:0xf
	v_mov_b32_dpp v27, v16 row_shr:4 row_mask:0xf bank_mask:0xf
	v_mov_b32_dpp v28, v18 row_shr:4 row_mask:0xf bank_mask:0xf
	buffer_store_dword v21, off, s[0:3], 0
	buffer_store_dword v22, off, s[0:3], 0 offset:4
	buffer_store_dword v23, off, s[0:3], 0 offset:8
	;; [unrolled: 1-line block ×8, first 2 shown]
	v_cmpx_lt_u32_e32 3, v19
	s_cbranch_execz .LBB2165_324
; %bb.318:
	v_mov_b32_e32 v21, 0
	s_mov_b32 s6, 0
	v_cmp_eq_u16_sdwa s7, v11, v21 src0_sel:BYTE_0 src1_sel:DWORD
	s_and_saveexec_b32 s4, s7
	s_cbranch_execz .LBB2165_323
.LBB2165_319:                           ; =>This Inner Loop Header: Depth=1
	v_add_nc_u32_e64 v9, 0x80, s6
	s_add_i32 s6, s6, 4
	s_cmp_lg_u32 s6, 32
	buffer_store_dword v21, v9, s[0:3], 0 offen
	s_cbranch_scc1 .LBB2165_319
; %bb.320:
	s_mov_b32 s6, 0
	.p2align	6
.LBB2165_321:                           ; =>This Inner Loop Header: Depth=1
	v_mov_b32_e32 v9, s6
	v_add_nc_u32_e64 v10, 0xc8, s6
	v_add_nc_u32_e64 v12, 0x80, s6
	s_add_i32 s6, s6, 4
	s_clause 0x1
	buffer_load_dword v9, v9, s[0:3], 0 offen
	buffer_load_dword v10, v10, s[0:3], 0 offen
	s_cmp_lg_u32 s6, 32
	s_waitcnt vmcnt(0)
	v_add_nc_u32_e32 v9, v10, v9
	buffer_store_dword v9, v12, s[0:3], 0 offen
	s_cbranch_scc1 .LBB2165_321
; %bb.322:
	s_clause 0x7
	buffer_load_dword v9, off, s[0:3], 0 offset:128
	buffer_load_dword v10, off, s[0:3], 0 offset:132
	;; [unrolled: 1-line block ×8, first 2 shown]
.LBB2165_323:
	s_or_b32 exec_lo, exec_lo, s4
	v_and_b32_e32 v11, 1, v11
	v_and_b32_e32 v20, 1, v20
	v_cmp_eq_u32_e32 vcc_lo, 1, v11
	v_cmp_eq_u32_e64 s4, 1, v20
	s_or_b32 s4, vcc_lo, s4
	v_cndmask_b32_e64 v11, 0, 1, s4
	buffer_store_byte v11, off, s[0:3], 0 offset:232
	buffer_load_dword v11, off, s[0:3], 0 offset:232
	s_waitcnt vmcnt(8)
	buffer_store_dword v9, off, s[0:3], 0 offset:200
	s_waitcnt vmcnt(7)
	buffer_store_dword v10, off, s[0:3], 0 offset:204
	;; [unrolled: 2-line block ×8, first 2 shown]
.LBB2165_324:
	s_or_b32 exec_lo, exec_lo, s5
	v_mov_b32_dpp v21, v9 row_shr:8 row_mask:0xf bank_mask:0xf
	s_waitcnt vmcnt(0)
	v_mov_b32_dpp v20, v11 row_shr:8 row_mask:0xf bank_mask:0xf
	v_mov_b32_dpp v22, v10 row_shr:8 row_mask:0xf bank_mask:0xf
	;; [unrolled: 1-line block ×4, first 2 shown]
	s_mov_b32 s5, exec_lo
	v_mov_b32_dpp v25, v14 row_shr:8 row_mask:0xf bank_mask:0xf
	v_mov_b32_dpp v26, v15 row_shr:8 row_mask:0xf bank_mask:0xf
	;; [unrolled: 1-line block ×4, first 2 shown]
	buffer_store_dword v21, off, s[0:3], 0
	buffer_store_dword v22, off, s[0:3], 0 offset:4
	buffer_store_dword v23, off, s[0:3], 0 offset:8
	;; [unrolled: 1-line block ×8, first 2 shown]
	v_cmpx_lt_u32_e32 7, v19
	s_cbranch_execz .LBB2165_331
; %bb.325:
	v_mov_b32_e32 v19, 0
	s_mov_b32 s6, 0
	v_cmp_eq_u16_sdwa s7, v11, v19 src0_sel:BYTE_0 src1_sel:DWORD
	s_and_saveexec_b32 s4, s7
	s_cbranch_execz .LBB2165_330
.LBB2165_326:                           ; =>This Inner Loop Header: Depth=1
	v_add_nc_u32_e64 v9, 0x80, s6
	s_add_i32 s6, s6, 4
	s_cmp_lg_u32 s6, 32
	buffer_store_dword v19, v9, s[0:3], 0 offen
	s_cbranch_scc1 .LBB2165_326
; %bb.327:
	s_mov_b32 s6, 0
	.p2align	6
.LBB2165_328:                           ; =>This Inner Loop Header: Depth=1
	v_mov_b32_e32 v9, s6
	v_add_nc_u32_e64 v10, 0xc8, s6
	v_add_nc_u32_e64 v12, 0x80, s6
	s_add_i32 s6, s6, 4
	s_clause 0x1
	buffer_load_dword v9, v9, s[0:3], 0 offen
	buffer_load_dword v10, v10, s[0:3], 0 offen
	s_cmp_lg_u32 s6, 32
	s_waitcnt vmcnt(0)
	v_add_nc_u32_e32 v9, v10, v9
	buffer_store_dword v9, v12, s[0:3], 0 offen
	s_cbranch_scc1 .LBB2165_328
; %bb.329:
	s_clause 0x7
	buffer_load_dword v9, off, s[0:3], 0 offset:128
	buffer_load_dword v10, off, s[0:3], 0 offset:132
	;; [unrolled: 1-line block ×8, first 2 shown]
.LBB2165_330:
	s_or_b32 exec_lo, exec_lo, s4
	v_and_b32_e32 v11, 1, v11
	v_and_b32_e32 v19, 1, v20
	v_cmp_eq_u32_e32 vcc_lo, 1, v11
	v_cmp_eq_u32_e64 s4, 1, v19
	s_or_b32 s4, vcc_lo, s4
	v_cndmask_b32_e64 v11, 0, 1, s4
	buffer_store_byte v11, off, s[0:3], 0 offset:232
	buffer_load_dword v11, off, s[0:3], 0 offset:232
	s_waitcnt vmcnt(8)
	buffer_store_dword v9, off, s[0:3], 0 offset:200
	s_waitcnt vmcnt(7)
	buffer_store_dword v10, off, s[0:3], 0 offset:204
	s_waitcnt vmcnt(6)
	buffer_store_dword v12, off, s[0:3], 0 offset:208
	s_waitcnt vmcnt(5)
	buffer_store_dword v13, off, s[0:3], 0 offset:212
	s_waitcnt vmcnt(4)
	buffer_store_dword v14, off, s[0:3], 0 offset:216
	s_waitcnt vmcnt(3)
	buffer_store_dword v15, off, s[0:3], 0 offset:220
	s_waitcnt vmcnt(2)
	buffer_store_dword v16, off, s[0:3], 0 offset:224
	s_waitcnt vmcnt(1)
	buffer_store_dword v18, off, s[0:3], 0 offset:228
.LBB2165_331:
	s_or_b32 exec_lo, exec_lo, s5
	ds_swizzle_b32 v20, v9 offset:swizzle(BROADCAST,32,15)
	s_waitcnt vmcnt(0)
	ds_swizzle_b32 v19, v11 offset:swizzle(BROADCAST,32,15)
	ds_swizzle_b32 v21, v10 offset:swizzle(BROADCAST,32,15)
	;; [unrolled: 1-line block ×8, first 2 shown]
	v_and_b32_e32 v28, 16, v17
	s_mov_b32 s5, exec_lo
	s_waitcnt lgkmcnt(8)
	buffer_store_dword v20, off, s[0:3], 0
	s_waitcnt lgkmcnt(6)
	buffer_store_dword v21, off, s[0:3], 0 offset:4
	s_waitcnt lgkmcnt(5)
	buffer_store_dword v22, off, s[0:3], 0 offset:8
	;; [unrolled: 2-line block ×7, first 2 shown]
	buffer_store_dword v19, off, s[0:3], 0 offset:32
	v_cmpx_ne_u32_e32 0, v28
	s_cbranch_execz .LBB2165_338
; %bb.332:
	v_mov_b32_e32 v20, 0
	s_mov_b32 s6, 0
	v_cmp_eq_u16_sdwa s7, v11, v20 src0_sel:BYTE_0 src1_sel:DWORD
	s_and_saveexec_b32 s4, s7
	s_cbranch_execz .LBB2165_337
.LBB2165_333:                           ; =>This Inner Loop Header: Depth=1
	v_add_nc_u32_e64 v9, 0x80, s6
	s_add_i32 s6, s6, 4
	s_cmp_lg_u32 s6, 32
	buffer_store_dword v20, v9, s[0:3], 0 offen
	s_cbranch_scc1 .LBB2165_333
; %bb.334:
	s_mov_b32 s6, 0
	.p2align	6
.LBB2165_335:                           ; =>This Inner Loop Header: Depth=1
	v_mov_b32_e32 v9, s6
	v_add_nc_u32_e64 v10, 0xc8, s6
	v_add_nc_u32_e64 v12, 0x80, s6
	s_add_i32 s6, s6, 4
	s_clause 0x1
	buffer_load_dword v9, v9, s[0:3], 0 offen
	buffer_load_dword v10, v10, s[0:3], 0 offen
	s_cmp_lg_u32 s6, 32
	s_waitcnt vmcnt(0)
	v_add_nc_u32_e32 v9, v10, v9
	buffer_store_dword v9, v12, s[0:3], 0 offen
	s_cbranch_scc1 .LBB2165_335
; %bb.336:
	s_clause 0x7
	buffer_load_dword v9, off, s[0:3], 0 offset:128
	buffer_load_dword v10, off, s[0:3], 0 offset:132
	;; [unrolled: 1-line block ×8, first 2 shown]
.LBB2165_337:
	s_or_b32 exec_lo, exec_lo, s4
	v_and_b32_e32 v11, 1, v11
	v_and_b32_e32 v19, 1, v19
	s_waitcnt vmcnt(7)
	buffer_store_dword v9, off, s[0:3], 0 offset:200
	s_waitcnt vmcnt(6)
	buffer_store_dword v10, off, s[0:3], 0 offset:204
	;; [unrolled: 2-line block ×3, first 2 shown]
	v_cmp_eq_u32_e32 vcc_lo, 1, v11
	v_cmp_eq_u32_e64 s4, 1, v19
	s_or_b32 s4, vcc_lo, s4
	v_cndmask_b32_e64 v11, 0, 1, s4
	s_waitcnt vmcnt(4)
	buffer_store_dword v13, off, s[0:3], 0 offset:212
	s_waitcnt vmcnt(3)
	buffer_store_dword v14, off, s[0:3], 0 offset:216
	;; [unrolled: 2-line block ×5, first 2 shown]
	buffer_store_byte v11, off, s[0:3], 0 offset:232
.LBB2165_338:
	s_or_b32 exec_lo, exec_lo, s5
	v_or_b32_e32 v20, 31, v0
	v_lshrrev_b32_e32 v19, 5, v0
	s_mov_b32 s4, exec_lo
	v_cmpx_eq_u32_e64 v0, v20
	s_cbranch_execz .LBB2165_340
; %bb.339:
	v_mul_u32_u24_e32 v20, 36, v19
	ds_write2_b32 v20, v9, v10 offset1:1
	ds_write2_b32 v20, v12, v13 offset0:2 offset1:3
	ds_write2_b32 v20, v14, v15 offset0:4 offset1:5
	;; [unrolled: 1-line block ×3, first 2 shown]
	ds_write_b8 v20, v11 offset:32
.LBB2165_340:
	s_or_b32 exec_lo, exec_lo, s4
	s_mov_b32 s5, exec_lo
	s_waitcnt lgkmcnt(0)
	s_waitcnt_vscnt null, 0x0
	s_barrier
	buffer_gl0_inv
	v_cmpx_gt_u32_e32 8, v0
	s_cbranch_execz .LBB2165_364
; %bb.341:
	v_mul_u32_u24_e32 v18, 36, v0
	v_and_b32_e32 v21, 7, v17
	ds_read_b32 v20, v18 offset:32
	ds_read2_b32 v[9:10], v18 offset0:2 offset1:3
	ds_read2_b32 v[13:14], v18 offset0:4 offset1:5
	ds_read2_b32 v[11:12], v18 offset1:1
	ds_read2_b32 v[15:16], v18 offset0:6 offset1:7
	v_cmp_ne_u32_e32 vcc_lo, 0, v21
	s_waitcnt lgkmcnt(4)
	buffer_store_dword v20, off, s[0:3], 0 offset:160
	s_waitcnt lgkmcnt(3)
	buffer_store_dword v9, off, s[0:3], 0 offset:136
	;; [unrolled: 2-line block ×3, first 2 shown]
	buffer_store_dword v11, off, s[0:3], 0 offset:128
	buffer_store_dword v10, off, s[0:3], 0 offset:140
	s_waitcnt lgkmcnt(0)
	buffer_store_dword v15, off, s[0:3], 0 offset:152
	buffer_store_dword v14, off, s[0:3], 0 offset:148
	;; [unrolled: 1-line block ×4, first 2 shown]
	v_mov_b32_dpp v23, v11 row_shr:1 row_mask:0xf bank_mask:0xf
	v_mov_b32_dpp v22, v20 row_shr:1 row_mask:0xf bank_mask:0xf
	;; [unrolled: 1-line block ×9, first 2 shown]
	buffer_store_dword v23, off, s[0:3], 0
	buffer_store_dword v24, off, s[0:3], 0 offset:4
	buffer_store_dword v25, off, s[0:3], 0 offset:8
	;; [unrolled: 1-line block ×8, first 2 shown]
	s_and_saveexec_b32 s4, vcc_lo
	s_cbranch_execz .LBB2165_349
; %bb.342:
	v_mov_b32_e32 v23, 0
	v_cmp_eq_u16_sdwa s7, v20, v23 src0_sel:BYTE_0 src1_sel:DWORD
	s_and_saveexec_b32 s6, s7
	s_cbranch_execz .LBB2165_348
; %bb.343:
	s_mov_b32 s7, 0
.LBB2165_344:                           ; =>This Inner Loop Header: Depth=1
	v_add_nc_u32_e64 v9, 0x60, s7
	s_add_i32 s7, s7, 4
	s_cmp_lg_u32 s7, 32
	buffer_store_dword v23, v9, s[0:3], 0 offen
	s_cbranch_scc1 .LBB2165_344
; %bb.345:
	s_mov_b32 s7, 0
	.p2align	6
.LBB2165_346:                           ; =>This Inner Loop Header: Depth=1
	v_mov_b32_e32 v9, s7
	v_add_nc_u32_e64 v10, 0x80, s7
	v_add_nc_u32_e64 v11, 0x60, s7
	s_add_i32 s7, s7, 4
	s_clause 0x1
	buffer_load_dword v9, v9, s[0:3], 0 offen
	buffer_load_dword v10, v10, s[0:3], 0 offen
	s_cmp_lg_u32 s7, 32
	s_waitcnt vmcnt(0)
	v_add_nc_u32_e32 v9, v10, v9
	buffer_store_dword v9, v11, s[0:3], 0 offen
	s_cbranch_scc1 .LBB2165_346
; %bb.347:
	s_clause 0x7
	buffer_load_dword v11, off, s[0:3], 0 offset:96
	buffer_load_dword v12, off, s[0:3], 0 offset:100
	buffer_load_dword v9, off, s[0:3], 0 offset:104
	buffer_load_dword v10, off, s[0:3], 0 offset:108
	buffer_load_dword v13, off, s[0:3], 0 offset:112
	buffer_load_dword v14, off, s[0:3], 0 offset:116
	buffer_load_dword v15, off, s[0:3], 0 offset:120
	buffer_load_dword v16, off, s[0:3], 0 offset:124
.LBB2165_348:
	s_or_b32 exec_lo, exec_lo, s6
	v_or_b32_e32 v20, v22, v20
	v_and_b32_e32 v20, 1, v20
	buffer_store_byte v20, off, s[0:3], 0 offset:160
	buffer_load_dword v20, off, s[0:3], 0 offset:160
	s_waitcnt vmcnt(8)
	buffer_store_dword v11, off, s[0:3], 0 offset:128
	s_waitcnt vmcnt(7)
	buffer_store_dword v12, off, s[0:3], 0 offset:132
	;; [unrolled: 2-line block ×8, first 2 shown]
.LBB2165_349:
	s_or_b32 exec_lo, exec_lo, s4
	v_mov_b32_dpp v23, v11 row_shr:2 row_mask:0xf bank_mask:0xf
	s_waitcnt vmcnt(0)
	v_mov_b32_dpp v22, v20 row_shr:2 row_mask:0xf bank_mask:0xf
	v_mov_b32_dpp v24, v12 row_shr:2 row_mask:0xf bank_mask:0xf
	;; [unrolled: 1-line block ×4, first 2 shown]
	s_mov_b32 s6, exec_lo
	v_mov_b32_dpp v27, v13 row_shr:2 row_mask:0xf bank_mask:0xf
	v_mov_b32_dpp v28, v14 row_shr:2 row_mask:0xf bank_mask:0xf
	;; [unrolled: 1-line block ×4, first 2 shown]
	buffer_store_dword v23, off, s[0:3], 0
	buffer_store_dword v24, off, s[0:3], 0 offset:4
	buffer_store_dword v25, off, s[0:3], 0 offset:8
	;; [unrolled: 1-line block ×8, first 2 shown]
	v_cmpx_lt_u32_e32 1, v21
	s_cbranch_execz .LBB2165_356
; %bb.350:
	v_mov_b32_e32 v23, 0
	s_mov_b32 s7, 0
	v_cmp_eq_u16_sdwa s8, v20, v23 src0_sel:BYTE_0 src1_sel:DWORD
	s_and_saveexec_b32 s4, s8
	s_cbranch_execz .LBB2165_355
.LBB2165_351:                           ; =>This Inner Loop Header: Depth=1
	v_add_nc_u32_e64 v9, 0x60, s7
	s_add_i32 s7, s7, 4
	s_cmp_lg_u32 s7, 32
	buffer_store_dword v23, v9, s[0:3], 0 offen
	s_cbranch_scc1 .LBB2165_351
; %bb.352:
	s_mov_b32 s7, 0
	.p2align	6
.LBB2165_353:                           ; =>This Inner Loop Header: Depth=1
	v_mov_b32_e32 v9, s7
	v_add_nc_u32_e64 v10, 0x80, s7
	v_add_nc_u32_e64 v11, 0x60, s7
	s_add_i32 s7, s7, 4
	s_clause 0x1
	buffer_load_dword v9, v9, s[0:3], 0 offen
	buffer_load_dword v10, v10, s[0:3], 0 offen
	s_cmp_lg_u32 s7, 32
	s_waitcnt vmcnt(0)
	v_add_nc_u32_e32 v9, v10, v9
	buffer_store_dword v9, v11, s[0:3], 0 offen
	s_cbranch_scc1 .LBB2165_353
; %bb.354:
	s_clause 0x7
	buffer_load_dword v11, off, s[0:3], 0 offset:96
	buffer_load_dword v12, off, s[0:3], 0 offset:100
	;; [unrolled: 1-line block ×8, first 2 shown]
.LBB2165_355:
	s_or_b32 exec_lo, exec_lo, s4
	v_and_b32_e32 v20, 1, v20
	v_and_b32_e32 v22, 1, v22
	v_cmp_eq_u32_e32 vcc_lo, 1, v20
	v_cmp_eq_u32_e64 s4, 1, v22
	s_or_b32 s4, vcc_lo, s4
	v_cndmask_b32_e64 v20, 0, 1, s4
	buffer_store_byte v20, off, s[0:3], 0 offset:160
	buffer_load_dword v20, off, s[0:3], 0 offset:160
	s_waitcnt vmcnt(8)
	buffer_store_dword v11, off, s[0:3], 0 offset:128
	s_waitcnt vmcnt(7)
	buffer_store_dword v12, off, s[0:3], 0 offset:132
	;; [unrolled: 2-line block ×8, first 2 shown]
.LBB2165_356:
	s_or_b32 exec_lo, exec_lo, s6
	v_mov_b32_dpp v23, v11 row_shr:4 row_mask:0xf bank_mask:0xf
	s_waitcnt vmcnt(0)
	v_mov_b32_dpp v22, v20 row_shr:4 row_mask:0xf bank_mask:0xf
	v_mov_b32_dpp v24, v12 row_shr:4 row_mask:0xf bank_mask:0xf
	;; [unrolled: 1-line block ×4, first 2 shown]
	s_mov_b32 s6, exec_lo
	v_mov_b32_dpp v27, v13 row_shr:4 row_mask:0xf bank_mask:0xf
	v_mov_b32_dpp v28, v14 row_shr:4 row_mask:0xf bank_mask:0xf
	;; [unrolled: 1-line block ×4, first 2 shown]
	buffer_store_dword v23, off, s[0:3], 0
	buffer_store_dword v24, off, s[0:3], 0 offset:4
	buffer_store_dword v25, off, s[0:3], 0 offset:8
	;; [unrolled: 1-line block ×8, first 2 shown]
	v_cmpx_lt_u32_e32 3, v21
	s_cbranch_execz .LBB2165_363
; %bb.357:
	v_mov_b32_e32 v21, 0
	s_mov_b32 s7, 0
	v_cmp_eq_u16_sdwa s8, v20, v21 src0_sel:BYTE_0 src1_sel:DWORD
	s_and_saveexec_b32 s4, s8
	s_cbranch_execz .LBB2165_362
.LBB2165_358:                           ; =>This Inner Loop Header: Depth=1
	v_add_nc_u32_e64 v9, 0x60, s7
	s_add_i32 s7, s7, 4
	s_cmp_lg_u32 s7, 32
	buffer_store_dword v21, v9, s[0:3], 0 offen
	s_cbranch_scc1 .LBB2165_358
; %bb.359:
	s_mov_b32 s7, 0
	.p2align	6
.LBB2165_360:                           ; =>This Inner Loop Header: Depth=1
	v_mov_b32_e32 v9, s7
	v_add_nc_u32_e64 v10, 0x80, s7
	v_add_nc_u32_e64 v11, 0x60, s7
	s_add_i32 s7, s7, 4
	s_clause 0x1
	buffer_load_dword v9, v9, s[0:3], 0 offen
	buffer_load_dword v10, v10, s[0:3], 0 offen
	s_cmp_lg_u32 s7, 32
	s_waitcnt vmcnt(0)
	v_add_nc_u32_e32 v9, v10, v9
	buffer_store_dword v9, v11, s[0:3], 0 offen
	s_cbranch_scc1 .LBB2165_360
; %bb.361:
	s_clause 0x7
	buffer_load_dword v11, off, s[0:3], 0 offset:96
	buffer_load_dword v12, off, s[0:3], 0 offset:100
	buffer_load_dword v9, off, s[0:3], 0 offset:104
	buffer_load_dword v10, off, s[0:3], 0 offset:108
	buffer_load_dword v13, off, s[0:3], 0 offset:112
	buffer_load_dword v14, off, s[0:3], 0 offset:116
	buffer_load_dword v15, off, s[0:3], 0 offset:120
	buffer_load_dword v16, off, s[0:3], 0 offset:124
.LBB2165_362:
	s_or_b32 exec_lo, exec_lo, s4
	v_and_b32_e32 v20, 1, v20
	v_and_b32_e32 v21, 1, v22
	s_waitcnt vmcnt(7)
	buffer_store_dword v11, off, s[0:3], 0 offset:128
	s_waitcnt vmcnt(6)
	buffer_store_dword v12, off, s[0:3], 0 offset:132
	;; [unrolled: 2-line block ×8, first 2 shown]
	v_cmp_eq_u32_e32 vcc_lo, 1, v20
	v_cmp_eq_u32_e64 s4, 1, v21
	s_or_b32 s4, vcc_lo, s4
	v_cndmask_b32_e64 v20, 0, 1, s4
.LBB2165_363:
	s_or_b32 exec_lo, exec_lo, s6
	s_clause 0x7
	buffer_load_dword v9, off, s[0:3], 0 offset:128
	buffer_load_dword v10, off, s[0:3], 0 offset:132
	buffer_load_dword v11, off, s[0:3], 0 offset:136
	buffer_load_dword v12, off, s[0:3], 0 offset:140
	buffer_load_dword v13, off, s[0:3], 0 offset:144
	buffer_load_dword v14, off, s[0:3], 0 offset:152
	buffer_load_dword v15, off, s[0:3], 0 offset:156
	buffer_load_dword v16, off, s[0:3], 0 offset:148
	s_waitcnt vmcnt(4)
	ds_write2_b32 v18, v11, v12 offset0:2 offset1:3
	ds_write2_b32 v18, v9, v10 offset1:1
	s_waitcnt vmcnt(1)
	ds_write2_b32 v18, v14, v15 offset0:6 offset1:7
	s_waitcnt vmcnt(0)
	ds_write2_b32 v18, v13, v16 offset0:4 offset1:5
	ds_write_b8 v18, v20 offset:32
.LBB2165_364:
	s_or_b32 exec_lo, exec_lo, s5
	s_waitcnt lgkmcnt(0)
	s_waitcnt_vscnt null, 0x0
	s_barrier
	buffer_gl0_inv
	s_clause 0x8
	buffer_load_dword v9, off, s[0:3], 0 offset:176
	buffer_load_dword v10, off, s[0:3], 0 offset:172
	;; [unrolled: 1-line block ×9, first 2 shown]
	s_mov_b32 s4, exec_lo
	s_waitcnt vmcnt(8)
	buffer_store_dword v9, off, s[0:3], 0 offset:12
	s_waitcnt vmcnt(7)
	buffer_store_dword v10, off, s[0:3], 0 offset:8
	;; [unrolled: 2-line block ×3, first 2 shown]
	s_waitcnt vmcnt(5)
	buffer_store_dword v12, off, s[0:3], 0
	s_waitcnt vmcnt(4)
	buffer_store_dword v13, off, s[0:3], 0 offset:28
	s_waitcnt vmcnt(3)
	buffer_store_dword v14, off, s[0:3], 0 offset:24
	;; [unrolled: 2-line block ×5, first 2 shown]
	v_cmpx_lt_u32_e32 31, v0
	s_cbranch_execz .LBB2165_374
; %bb.365:
	v_mad_u32_u24 v9, v19, 36, -4
	v_mad_u32_u24 v20, v19, 36, 0xffffffdc
	s_mov_b32 s5, exec_lo
                                        ; implicit-def: $vgpr12
                                        ; implicit-def: $vgpr13
                                        ; implicit-def: $vgpr15
	ds_read_u8 v18, v9
                                        ; implicit-def: $vgpr9
	s_waitcnt lgkmcnt(0)
	v_cmpx_ne_u16_e32 0, v18
	s_xor_b32 s5, exec_lo, s5
	s_cbranch_execz .LBB2165_367
; %bb.366:
	v_mul_u32_u24_e32 v9, 36, v19
	v_subrev_nc_u32_e32 v11, 28, v9
	v_subrev_nc_u32_e32 v12, 20, v9
	v_add_nc_u32_e32 v19, -12, v9
	ds_read2_b32 v[9:10], v20 offset1:1
	ds_read2_b32 v[13:14], v11 offset1:1
	;; [unrolled: 1-line block ×4, first 2 shown]
                                        ; implicit-def: $vgpr20
.LBB2165_367:
	s_andn2_saveexec_b32 s5, s5
	s_cbranch_execz .LBB2165_373
; %bb.368:
	s_waitcnt lgkmcnt(3)
	v_mov_b32_e32 v9, 0
	s_mov_b32 s6, 0
.LBB2165_369:                           ; =>This Inner Loop Header: Depth=1
	v_add_nc_u32_e64 v10, 0x80, s6
	s_add_i32 s6, s6, 4
	s_cmp_lg_u32 s6, 32
	buffer_store_dword v9, v10, s[0:3], 0 offen
	s_cbranch_scc1 .LBB2165_369
; %bb.370:
	s_mov_b32 s6, 0
	.p2align	6
.LBB2165_371:                           ; =>This Inner Loop Header: Depth=1
	v_add_nc_u32_e64 v9, 0xa4, s6
	v_add_nc_u32_e32 v10, s6, v20
	s_waitcnt lgkmcnt(0)
	v_add_nc_u32_e64 v11, 0x80, s6
	s_add_i32 s6, s6, 4
	s_cmp_lg_u32 s6, 32
	buffer_load_dword v9, v9, s[0:3], 0 offen
	ds_read_b32 v10, v10
	s_waitcnt vmcnt(0) lgkmcnt(0)
	v_add_nc_u32_e32 v9, v10, v9
	buffer_store_dword v9, v11, s[0:3], 0 offen
	s_cbranch_scc1 .LBB2165_371
; %bb.372:
	s_clause 0x7
	buffer_load_dword v9, off, s[0:3], 0 offset:128
	buffer_load_dword v10, off, s[0:3], 0 offset:132
	;; [unrolled: 1-line block ×8, first 2 shown]
.LBB2165_373:
	s_or_b32 exec_lo, exec_lo, s5
	buffer_load_ubyte v19, off, s[0:3], 0 offset:196
	s_waitcnt vmcnt(8) lgkmcnt(3)
	buffer_store_dword v9, off, s[0:3], 0
	s_waitcnt vmcnt(7)
	buffer_store_dword v10, off, s[0:3], 0 offset:4
	s_waitcnt vmcnt(6) lgkmcnt(2)
	buffer_store_dword v13, off, s[0:3], 0 offset:8
	s_waitcnt vmcnt(0)
	v_or_b32_e32 v18, v18, v19
	v_and_b32_e32 v9, 1, v18
	buffer_store_dword v14, off, s[0:3], 0 offset:12
	s_waitcnt lgkmcnt(1)
	buffer_store_dword v15, off, s[0:3], 0 offset:16
	buffer_store_dword v16, off, s[0:3], 0 offset:20
	s_waitcnt lgkmcnt(0)
	buffer_store_dword v11, off, s[0:3], 0 offset:24
	buffer_store_dword v12, off, s[0:3], 0 offset:28
	buffer_store_byte v9, off, s[0:3], 0 offset:32
.LBB2165_374:
	s_or_b32 exec_lo, exec_lo, s4
	buffer_load_ubyte v9, off, s[0:3], 0 offset:232
	s_mov_b32 s4, exec_lo
                                        ; implicit-def: $vgpr13
                                        ; implicit-def: $vgpr10
                                        ; implicit-def: $vgpr11
                                        ; implicit-def: $vgpr12
                                        ; implicit-def: $vgpr14
                                        ; implicit-def: $vgpr15
                                        ; implicit-def: $vgpr16
                                        ; implicit-def: $vgpr18
	s_waitcnt vmcnt(0)
	v_cmpx_ne_u16_e32 0, v9
	s_xor_b32 s4, exec_lo, s4
	s_cbranch_execz .LBB2165_376
; %bb.375:
	s_clause 0x7
	buffer_load_dword v10, off, s[0:3], 0 offset:200
	buffer_load_dword v11, off, s[0:3], 0 offset:204
	;; [unrolled: 1-line block ×8, first 2 shown]
.LBB2165_376:
	s_andn2_saveexec_b32 s4, s4
	s_cbranch_execz .LBB2165_382
; %bb.377:
	s_waitcnt vmcnt(7)
	v_mov_b32_e32 v10, 0
	s_mov_b32 s5, 0
.LBB2165_378:                           ; =>This Inner Loop Header: Depth=1
	s_waitcnt vmcnt(6)
	v_add_nc_u32_e64 v11, 0x80, s5
	s_add_i32 s5, s5, 4
	s_cmp_lg_u32 s5, 32
	buffer_store_dword v10, v11, s[0:3], 0 offen
	s_cbranch_scc1 .LBB2165_378
; %bb.379:
	s_mov_b32 s5, 0
	.p2align	6
.LBB2165_380:                           ; =>This Inner Loop Header: Depth=1
	v_mov_b32_e32 v10, s5
	v_add_nc_u32_e64 v11, 0xc8, s5
	s_waitcnt vmcnt(5)
	v_add_nc_u32_e64 v12, 0x80, s5
	s_add_i32 s5, s5, 4
	s_clause 0x1
	buffer_load_dword v10, v10, s[0:3], 0 offen
	buffer_load_dword v11, v11, s[0:3], 0 offen
	s_cmp_lg_u32 s5, 32
	s_waitcnt vmcnt(0)
	v_add_nc_u32_e32 v10, v11, v10
	buffer_store_dword v10, v12, s[0:3], 0 offen
	s_cbranch_scc1 .LBB2165_380
; %bb.381:
	s_clause 0x7
	buffer_load_dword v10, off, s[0:3], 0 offset:128
	buffer_load_dword v11, off, s[0:3], 0 offset:132
	;; [unrolled: 1-line block ×8, first 2 shown]
.LBB2165_382:
	s_or_b32 exec_lo, exec_lo, s4
	buffer_load_ubyte v19, off, s[0:3], 0 offset:32
	v_sub_co_u32 v20, s5, v17, 1
	v_cmp_gt_i32_e32 vcc_lo, 0, v20
	v_cndmask_b32_e32 v17, v20, v17, vcc_lo
	v_lshlrev_b32_e32 v17, 2, v17
	s_waitcnt vmcnt(8)
	ds_bpermute_b32 v10, v17, v10
	s_waitcnt vmcnt(7)
	ds_bpermute_b32 v11, v17, v11
	s_waitcnt vmcnt(6)
	ds_bpermute_b32 v12, v17, v12
	s_waitcnt vmcnt(5)
	ds_bpermute_b32 v14, v17, v14
	s_waitcnt vmcnt(4)
	ds_bpermute_b32 v15, v17, v15
	s_waitcnt vmcnt(3)
	ds_bpermute_b32 v16, v17, v16
	s_waitcnt vmcnt(2)
	ds_bpermute_b32 v18, v17, v18
	s_waitcnt vmcnt(1)
	ds_bpermute_b32 v13, v17, v13
	s_waitcnt vmcnt(0)
	v_or_b32_e32 v9, v9, v19
	v_and_b32_e32 v9, 1, v9
	buffer_store_byte v9, off, s[0:3], 0 offset:232
	buffer_load_dword v9, off, s[0:3], 0 offset:232
	s_waitcnt lgkmcnt(7)
	buffer_store_dword v10, off, s[0:3], 0 offset:200
	s_waitcnt lgkmcnt(6)
	buffer_store_dword v11, off, s[0:3], 0 offset:204
	;; [unrolled: 2-line block ×8, first 2 shown]
	s_waitcnt vmcnt(0)
	ds_bpermute_b32 v9, v17, v9
	s_and_saveexec_b32 s4, s5
	s_cbranch_execz .LBB2165_384
; %bb.383:
	s_clause 0x7
	buffer_load_dword v10, off, s[0:3], 0 offset:12
	buffer_load_dword v11, off, s[0:3], 0 offset:8
	;; [unrolled: 1-line block ×3, first 2 shown]
	buffer_load_dword v13, off, s[0:3], 0
	buffer_load_dword v14, off, s[0:3], 0 offset:28
	buffer_load_dword v15, off, s[0:3], 0 offset:24
	;; [unrolled: 1-line block ×4, first 2 shown]
	s_waitcnt lgkmcnt(0)
	v_mov_b32_e32 v9, v19
	s_waitcnt vmcnt(7)
	buffer_store_dword v10, off, s[0:3], 0 offset:212
	s_waitcnt vmcnt(6)
	buffer_store_dword v11, off, s[0:3], 0 offset:208
	;; [unrolled: 2-line block ×8, first 2 shown]
.LBB2165_384:
	s_or_b32 exec_lo, exec_lo, s4
	s_clause 0x8
	buffer_load_dword v10, off, s[0:3], 0 offset:332
	buffer_load_dword v11, off, s[0:3], 0 offset:328
	;; [unrolled: 1-line block ×9, first 2 shown]
	buffer_store_dword v5, off, s[0:3], 0 offset:128
	buffer_store_dword v6, off, s[0:3], 0 offset:132
	;; [unrolled: 1-line block ×8, first 2 shown]
	v_mov_b32_e32 v1, 0
	v_cmp_eq_u32_e64 s4, 0, v0
	s_mov_b32 s5, exec_lo
	s_waitcnt vmcnt(8)
	buffer_store_dword v10, off, s[0:3], 0 offset:12
	s_waitcnt vmcnt(7)
	buffer_store_dword v11, off, s[0:3], 0 offset:8
	;; [unrolled: 2-line block ×3, first 2 shown]
	s_waitcnt vmcnt(5)
	buffer_store_dword v13, off, s[0:3], 0
	s_waitcnt vmcnt(4)
	buffer_store_dword v14, off, s[0:3], 0 offset:28
	s_waitcnt vmcnt(3)
	buffer_store_dword v15, off, s[0:3], 0 offset:24
	;; [unrolled: 2-line block ×5, first 2 shown]
	buffer_store_byte v1, off, s[0:3], 0 offset:160
	v_cmpx_ne_u32_e32 0, v0
	s_cbranch_execz .LBB2165_386
; %bb.385:
	s_clause 0x7
	buffer_load_dword v2, off, s[0:3], 0 offset:212
	buffer_load_dword v3, off, s[0:3], 0 offset:208
	;; [unrolled: 1-line block ×8, first 2 shown]
	s_waitcnt lgkmcnt(0)
	v_mov_b32_e32 v1, v9
	s_waitcnt vmcnt(7)
	buffer_store_dword v2, off, s[0:3], 0 offset:140
	s_waitcnt vmcnt(6)
	buffer_store_dword v3, off, s[0:3], 0 offset:136
	;; [unrolled: 2-line block ×8, first 2 shown]
.LBB2165_386:
	s_or_b32 exec_lo, exec_lo, s5
	s_clause 0x6
	buffer_load_dword v2, off, s[0:3], 0 offset:140
	buffer_load_dword v4, off, s[0:3], 0 offset:136
	;; [unrolled: 1-line block ×5, first 2 shown]
	buffer_load_ubyte v3, off, s[0:3], 0 offset:32
	buffer_load_dword v8, off, s[0:3], 0 offset:152
	s_waitcnt lgkmcnt(0)
	s_clause 0x1
	buffer_load_dword v9, off, s[0:3], 0 offset:148
	buffer_load_dword v10, off, s[0:3], 0 offset:144
	s_mov_b32 s5, exec_lo
                                        ; implicit-def: $vgpr11
	s_waitcnt vmcnt(8)
	buffer_store_dword v2, off, s[0:3], 0 offset:332
	s_waitcnt vmcnt(7)
	buffer_store_dword v4, off, s[0:3], 0 offset:328
	;; [unrolled: 2-line block ×8, first 2 shown]
	buffer_store_byte v1, off, s[0:3], 0 offset:352
                                        ; implicit-def: $vgpr4
                                        ; implicit-def: $vgpr7
                                        ; implicit-def: $vgpr8
                                        ; implicit-def: $vgpr9
                                        ; implicit-def: $vgpr10
                                        ; implicit-def: $vgpr5
                                        ; implicit-def: $vgpr6
	v_cmpx_ne_u16_e32 0, v3
	s_xor_b32 s5, exec_lo, s5
	s_cbranch_execz .LBB2165_388
; %bb.387:
	s_clause 0x7
	buffer_load_dword v7, off, s[0:3], 0
	buffer_load_dword v8, off, s[0:3], 0 offset:4
	buffer_load_dword v9, off, s[0:3], 0 offset:8
	;; [unrolled: 1-line block ×7, first 2 shown]
.LBB2165_388:
	s_andn2_saveexec_b32 s5, s5
	s_cbranch_execz .LBB2165_394
; %bb.389:
	v_mov_b32_e32 v2, 0
	s_mov_b32 s6, 0
.LBB2165_390:                           ; =>This Inner Loop Header: Depth=1
	s_waitcnt vmcnt(0)
	v_add_nc_u32_e64 v4, 0xa4, s6
	s_add_i32 s6, s6, 4
	s_cmp_lg_u32 s6, 32
	buffer_store_dword v2, v4, s[0:3], 0 offen
	s_cbranch_scc1 .LBB2165_390
; %bb.391:
	s_mov_b32 s6, 0
	.p2align	6
.LBB2165_392:                           ; =>This Inner Loop Header: Depth=1
	v_add_nc_u32_e64 v2, 0x80, s6
	v_mov_b32_e32 v4, s6
	v_add_nc_u32_e64 v5, 0xa4, s6
	s_add_i32 s6, s6, 4
	s_clause 0x1
	buffer_load_dword v2, v2, s[0:3], 0 offen
	buffer_load_dword v4, v4, s[0:3], 0 offen
	s_cmp_lg_u32 s6, 32
	s_waitcnt vmcnt(0)
	v_add_nc_u32_e32 v2, v4, v2
	buffer_store_dword v2, v5, s[0:3], 0 offen
	s_cbranch_scc1 .LBB2165_392
; %bb.393:
	s_clause 0x7
	buffer_load_dword v7, off, s[0:3], 0 offset:164
	buffer_load_dword v8, off, s[0:3], 0 offset:168
	;; [unrolled: 1-line block ×8, first 2 shown]
.LBB2165_394:
	s_or_b32 exec_lo, exec_lo, s5
	v_mov_b32_e32 v12, s15
	v_or_b32_e32 v1, v3, v1
                                        ; implicit-def: $vgpr3
	s_clause 0x8
	buffer_load_dword v13, v12, s[0:3], 0 offen offset:12
	buffer_load_dword v14, v12, s[0:3], 0 offen offset:8
	;; [unrolled: 1-line block ×3, first 2 shown]
	buffer_load_dword v16, v12, s[0:3], 0 offen
	buffer_load_dword v17, v12, s[0:3], 0 offen offset:28
	buffer_load_dword v18, v12, s[0:3], 0 offen offset:24
	buffer_load_dword v19, v12, s[0:3], 0 offen offset:20
	buffer_load_dword v20, v12, s[0:3], 0 offen offset:16
	buffer_load_ubyte v2, off, s[0:3], 0 offset:388
	v_and_b32_e32 v1, 1, v1
	s_waitcnt vmcnt(16)
	buffer_store_dword v7, off, s[0:3], 0 offset:128
	s_waitcnt vmcnt(15)
	buffer_store_dword v8, off, s[0:3], 0 offset:132
	;; [unrolled: 2-line block ×8, first 2 shown]
	buffer_store_dword v7, v12, s[0:3], 0 offen
	buffer_store_dword v8, v12, s[0:3], 0 offen offset:4
	buffer_store_dword v9, v12, s[0:3], 0 offen offset:8
	;; [unrolled: 1-line block ×4, first 2 shown]
                                        ; implicit-def: $vgpr8
                                        ; implicit-def: $vgpr7
                                        ; implicit-def: $vgpr10
	s_waitcnt vmcnt(8)
	buffer_store_dword v13, off, s[0:3], 0 offset:12
	s_waitcnt vmcnt(7)
	buffer_store_dword v14, off, s[0:3], 0 offset:8
	;; [unrolled: 2-line block ×3, first 2 shown]
	s_waitcnt vmcnt(5)
	buffer_store_dword v16, off, s[0:3], 0
	s_waitcnt vmcnt(4)
	buffer_store_dword v17, off, s[0:3], 0 offset:28
	s_waitcnt vmcnt(3)
	buffer_store_dword v18, off, s[0:3], 0 offset:24
	;; [unrolled: 2-line block ×4, first 2 shown]
	s_waitcnt vmcnt(0)
	v_cmp_ne_u16_e64 s5, 0, v2
	v_cmp_eq_u32_e32 vcc_lo, 1, v1
	buffer_store_dword v5, v12, s[0:3], 0 offen offset:20
	buffer_store_dword v6, v12, s[0:3], 0 offen offset:24
	;; [unrolled: 1-line block ×3, first 2 shown]
	buffer_store_byte v1, off, s[0:3], 0 offset:388
                                        ; implicit-def: $vgpr6
                                        ; implicit-def: $vgpr1
                                        ; implicit-def: $vgpr5
                                        ; implicit-def: $vgpr4
	s_and_saveexec_b32 s6, s5
	s_xor_b32 s5, exec_lo, s6
	s_cbranch_execz .LBB2165_396
; %bb.395:
	s_clause 0x7
	buffer_load_dword v1, off, s[0:3], 0
	buffer_load_dword v3, off, s[0:3], 0 offset:4
	buffer_load_dword v5, off, s[0:3], 0 offset:8
	;; [unrolled: 1-line block ×7, first 2 shown]
.LBB2165_396:
	s_andn2_saveexec_b32 s5, s5
	s_cbranch_execz .LBB2165_402
; %bb.397:
	s_waitcnt vmcnt(7)
	v_mov_b32_e32 v1, 0
	s_mov_b32 s6, 0
.LBB2165_398:                           ; =>This Inner Loop Header: Depth=1
	s_waitcnt vmcnt(6)
	v_add_nc_u32_e64 v3, 0xa4, s6
	s_add_i32 s6, s6, 4
	s_cmp_lg_u32 s6, 32
	buffer_store_dword v1, v3, s[0:3], 0 offen
	s_cbranch_scc1 .LBB2165_398
; %bb.399:
	s_mov_b32 s6, 0
	.p2align	6
.LBB2165_400:                           ; =>This Inner Loop Header: Depth=1
	v_add_nc_u32_e64 v1, 0x80, s6
	v_mov_b32_e32 v3, s6
	s_waitcnt vmcnt(3)
	v_add_nc_u32_e64 v4, 0xa4, s6
	s_add_i32 s6, s6, 4
	s_clause 0x1
	buffer_load_dword v1, v1, s[0:3], 0 offen
	buffer_load_dword v3, v3, s[0:3], 0 offen
	s_cmp_lg_u32 s6, 32
	s_waitcnt vmcnt(0)
	v_add_nc_u32_e32 v1, v3, v1
	buffer_store_dword v1, v4, s[0:3], 0 offen
	s_cbranch_scc1 .LBB2165_400
; %bb.401:
	s_clause 0x7
	buffer_load_dword v1, off, s[0:3], 0 offset:164
	buffer_load_dword v3, off, s[0:3], 0 offset:168
	buffer_load_dword v5, off, s[0:3], 0 offset:172
	buffer_load_dword v8, off, s[0:3], 0 offset:176
	buffer_load_dword v4, off, s[0:3], 0 offset:180
	buffer_load_dword v7, off, s[0:3], 0 offset:184
	buffer_load_dword v10, off, s[0:3], 0 offset:188
	buffer_load_dword v6, off, s[0:3], 0 offset:192
.LBB2165_402:
	s_or_b32 exec_lo, exec_lo, s5
	v_mov_b32_e32 v19, 0
	v_and_b32_e32 v2, 1, v2
	v_mov_b32_e32 v20, s33
	ds_read2_b32 v[11:12], v19 offset0:69 offset1:70
	ds_read2_b32 v[13:14], v19 offset0:67 offset1:68
	ds_read_u8 v9, v19 offset:284
	ds_read2_b32 v[15:16], v19 offset0:65 offset1:66
	ds_read2_b32 v[17:18], v19 offset0:63 offset1:64
	v_cmp_eq_u32_e64 s5, 1, v2
	s_waitcnt vmcnt(4)
	buffer_store_dword v8, v20, s[0:3], 0 offen offset:12
	buffer_store_dword v5, v20, s[0:3], 0 offen offset:8
	;; [unrolled: 1-line block ×3, first 2 shown]
	buffer_store_dword v1, v20, s[0:3], 0 offen
	s_or_b32 s5, s5, vcc_lo
	v_cndmask_b32_e64 v1, 0, 1, s5
	s_waitcnt vmcnt(0)
	buffer_store_dword v6, v20, s[0:3], 0 offen offset:28
	buffer_store_dword v10, v20, s[0:3], 0 offen offset:24
	;; [unrolled: 1-line block ×4, first 2 shown]
	buffer_store_byte v1, off, s[0:3], 0 offset:424
	s_waitcnt lgkmcnt(4)
	buffer_store_dword v12, off, s[0:3], 0 offset:300
	buffer_store_dword v11, off, s[0:3], 0 offset:296
	s_waitcnt lgkmcnt(3)
	buffer_store_dword v14, off, s[0:3], 0 offset:292
	s_waitcnt lgkmcnt(2)
	v_cmp_ne_u32_sdwa s5, v9, v19 src0_sel:WORD_0 src1_sel:DWORD
	buffer_store_dword v13, off, s[0:3], 0 offset:288
	s_waitcnt lgkmcnt(1)
	buffer_store_dword v16, off, s[0:3], 0 offset:284
	buffer_store_dword v15, off, s[0:3], 0 offset:280
	s_waitcnt lgkmcnt(0)
	buffer_store_dword v18, off, s[0:3], 0 offset:276
	buffer_store_dword v17, off, s[0:3], 0 offset:272
	s_and_b32 vcc_lo, exec_lo, s5
	s_mov_b32 s5, 0
	s_cbranch_vccz .LBB2165_406
; %bb.403:
	s_clause 0x7
	buffer_load_dword v1, off, s[0:3], 0 offset:272
	buffer_load_dword v2, off, s[0:3], 0 offset:276
	;; [unrolled: 1-line block ×8, first 2 shown]
	s_andn2_b32 vcc_lo, exec_lo, s5
	s_cbranch_vccz .LBB2165_407
	s_branch .LBB2165_412
.LBB2165_404:
	v_lshlrev_b32_e32 v8, 5, v0
	v_add_co_u32 v12, s5, s42, v8
	v_add_co_ci_u32_e64 v13, null, s43, 0, s5
	s_clause 0x1
	flat_load_dwordx4 v[8:11], v[12:13]
	flat_load_dwordx4 v[12:15], v[12:13] offset:16
	s_waitcnt vmcnt(1) lgkmcnt(1)
	buffer_store_dword v8, off, s[0:3], 0
	buffer_store_dword v9, off, s[0:3], 0 offset:4
	buffer_store_dword v10, off, s[0:3], 0 offset:8
	;; [unrolled: 1-line block ×3, first 2 shown]
	s_waitcnt vmcnt(0) lgkmcnt(0)
	buffer_store_dword v12, off, s[0:3], 0 offset:16
	buffer_store_dword v13, off, s[0:3], 0 offset:20
	;; [unrolled: 1-line block ×4, first 2 shown]
	s_or_b32 exec_lo, exec_lo, s7
	s_and_saveexec_b32 s5, s4
	s_cbranch_execz .LBB2165_23
.LBB2165_405:
	v_lshlrev_b32_e32 v4, 5, v4
	v_add_co_u32 v12, s4, s42, v4
	v_add_co_ci_u32_e64 v13, null, s43, 0, s4
	s_clause 0x1
	flat_load_dwordx4 v[8:11], v[12:13]
	flat_load_dwordx4 v[12:15], v[12:13] offset:16
	s_waitcnt vmcnt(1) lgkmcnt(1)
	buffer_store_dword v8, off, s[0:3], 0 offset:32
	buffer_store_dword v9, off, s[0:3], 0 offset:36
	buffer_store_dword v10, off, s[0:3], 0 offset:40
	buffer_store_dword v11, off, s[0:3], 0 offset:44
	s_waitcnt vmcnt(0) lgkmcnt(0)
	buffer_store_dword v12, off, s[0:3], 0 offset:48
	buffer_store_dword v13, off, s[0:3], 0 offset:52
	;; [unrolled: 1-line block ×4, first 2 shown]
	s_or_b32 exec_lo, exec_lo, s5
	v_mul_u32_u24_e32 v4, 3, v0
	s_and_saveexec_b32 s4, vcc_lo
	s_cbranch_execnz .LBB2165_24
	s_branch .LBB2165_25
.LBB2165_406:
                                        ; implicit-def: $vgpr8
                                        ; implicit-def: $vgpr1
.LBB2165_407:
	s_waitcnt vmcnt(7)
	v_mov_b32_e32 v1, 0
	s_mov_b32 s5, 0
.LBB2165_408:                           ; =>This Inner Loop Header: Depth=1
	s_waitcnt vmcnt(6)
	v_mov_b32_e32 v2, s5
	s_add_i32 s5, s5, 4
	s_cmp_lg_u32 s5, 32
	buffer_store_dword v1, v2, s[0:3], 0 offen
	s_cbranch_scc1 .LBB2165_408
; %bb.409:
	s_mov_b32 s5, 0
	.p2align	6
.LBB2165_410:                           ; =>This Inner Loop Header: Depth=1
	v_add_nc_u32_e64 v1, 0xec, s5
	v_add_nc_u32_e64 v2, 0x110, s5
	s_waitcnt vmcnt(5)
	v_mov_b32_e32 v3, s5
	s_add_i32 s5, s5, 4
	s_clause 0x1
	buffer_load_dword v1, v1, s[0:3], 0 offen
	buffer_load_dword v2, v2, s[0:3], 0 offen
	s_cmp_lg_u32 s5, 32
	s_waitcnt vmcnt(0)
	v_add_nc_u32_e32 v1, v2, v1
	buffer_store_dword v1, v3, s[0:3], 0 offen
	s_cbranch_scc1 .LBB2165_410
; %bb.411:
	s_clause 0x7
	buffer_load_dword v1, off, s[0:3], 0
	buffer_load_dword v2, off, s[0:3], 0 offset:4
	buffer_load_dword v3, off, s[0:3], 0 offset:8
	;; [unrolled: 1-line block ×7, first 2 shown]
.LBB2165_412:
	s_waitcnt vmcnt(7)
	buffer_store_dword v1, off, s[0:3], 0 offset:272
	s_waitcnt vmcnt(6)
	buffer_store_dword v2, off, s[0:3], 0 offset:276
	;; [unrolled: 2-line block ×8, first 2 shown]
	buffer_store_byte v9, off, s[0:3], 0 offset:304
	s_and_saveexec_b32 s5, s4
	s_cbranch_execz .LBB2165_414
; %bb.413:
	v_mov_b32_e32 v10, 0
	v_mov_b32_e32 v11, 2
	global_store_dwordx4 v10, v[1:4], s[10:11] offset:1152
	global_store_dwordx4 v10, v[5:8], s[10:11] offset:1168
	global_store_byte v10, v9, s[10:11] offset:1184
	s_waitcnt_vscnt null, 0x0
	buffer_gl1_inv
	buffer_gl0_inv
	global_store_byte v10, v11, s[12:13] offset:32
.LBB2165_414:
	s_or_b32 exec_lo, exec_lo, s5
.LBB2165_415:
	v_mov_b32_e32 v1, 0
	s_mov_b32 s4, 0
.LBB2165_416:                           ; =>This Inner Loop Header: Depth=1
	v_mov_b32_e32 v2, s4
	s_add_i32 s4, s4, 4
	s_cmp_lg_u32 s4, 32
	buffer_store_dword v1, v2, s[0:3], 0 offen
	s_cbranch_scc1 .LBB2165_416
; %bb.417:
	v_mov_b32_e32 v1, 0
	s_mov_b32 s4, 32
.LBB2165_418:                           ; =>This Inner Loop Header: Depth=1
	v_mov_b32_e32 v2, s4
	s_add_i32 s4, s4, 4
	s_cmp_lg_u32 s4, 64
	buffer_store_dword v1, v2, s[0:3], 0 offen
	s_cbranch_scc1 .LBB2165_418
; %bb.419:
	v_mov_b32_e32 v1, 0
	s_mov_b32 s4, 64
.LBB2165_420:                           ; =>This Inner Loop Header: Depth=1
	v_mov_b32_e32 v2, s4
	s_add_i32 s4, s4, 4
	s_cmpk_lg_i32 s4, 0x60
	buffer_store_dword v1, v2, s[0:3], 0 offen
	s_cbranch_scc1 .LBB2165_420
; %bb.421:
	s_add_u32 s4, s22, s16
	s_addc_u32 s5, s23, s17
	s_add_u32 s4, s4, s18
	s_mov_b32 s6, 64
	s_mov_b32 s7, 32
	s_addc_u32 s5, s5, s19
	s_and_b32 vcc_lo, exec_lo, s37
	s_cbranch_vccz .LBB2165_431
; %bb.422:
	v_mul_u32_u24_e32 v1, 3, v0
	s_add_i32 s36, s36, s14
	s_mov_b32 s8, exec_lo
	v_cmpx_gt_u32_e64 s36, v1
	s_cbranch_execz .LBB2165_426
; %bb.423:
	s_clause 0x7
	buffer_load_dword v2, off, s[0:3], 0 offset:332
	buffer_load_dword v3, off, s[0:3], 0 offset:328
	;; [unrolled: 1-line block ×8, first 2 shown]
	v_add_nc_u32_e32 v10, 1, v1
	s_waitcnt vmcnt(7)
	buffer_store_dword v2, off, s[0:3], 0 offset:12
	s_waitcnt vmcnt(6)
	buffer_store_dword v3, off, s[0:3], 0 offset:8
	;; [unrolled: 2-line block ×3, first 2 shown]
	s_waitcnt vmcnt(4)
	buffer_store_dword v5, off, s[0:3], 0
	s_waitcnt vmcnt(3)
	buffer_store_dword v6, off, s[0:3], 0 offset:28
	s_waitcnt vmcnt(2)
	buffer_store_dword v7, off, s[0:3], 0 offset:24
	;; [unrolled: 2-line block ×4, first 2 shown]
	v_cmp_gt_u32_e32 vcc_lo, s36, v10
	s_and_b32 exec_lo, exec_lo, vcc_lo
	s_cbranch_execz .LBB2165_426
; %bb.424:
	v_mov_b32_e32 v2, s15
	v_add_nc_u32_e32 v10, 2, v1
	v_mov_b32_e32 v11, s7
	s_clause 0x7
	buffer_load_dword v3, v2, s[0:3], 0 offen offset:12
	buffer_load_dword v4, v2, s[0:3], 0 offen offset:8
	buffer_load_dword v5, v2, s[0:3], 0 offen offset:4
	buffer_load_dword v6, v2, s[0:3], 0 offen
	buffer_load_dword v7, v2, s[0:3], 0 offen offset:28
	buffer_load_dword v8, v2, s[0:3], 0 offen offset:24
	;; [unrolled: 1-line block ×4, first 2 shown]
	v_cmp_gt_u32_e32 vcc_lo, s36, v10
	s_waitcnt vmcnt(7)
	buffer_store_dword v3, v11, s[0:3], 0 offen offset:12
	s_waitcnt vmcnt(6)
	buffer_store_dword v4, v11, s[0:3], 0 offen offset:8
	s_waitcnt vmcnt(5)
	buffer_store_dword v5, v11, s[0:3], 0 offen offset:4
	s_waitcnt vmcnt(4)
	buffer_store_dword v6, v11, s[0:3], 0 offen
	s_waitcnt vmcnt(3)
	buffer_store_dword v7, v11, s[0:3], 0 offen offset:28
	s_waitcnt vmcnt(2)
	buffer_store_dword v8, v11, s[0:3], 0 offen offset:24
	;; [unrolled: 2-line block ×4, first 2 shown]
	s_and_b32 exec_lo, exec_lo, vcc_lo
	s_cbranch_execz .LBB2165_426
; %bb.425:
	v_mov_b32_e32 v2, s33
	v_mov_b32_e32 v10, s6
	s_clause 0x7
	buffer_load_dword v3, v2, s[0:3], 0 offen offset:12
	buffer_load_dword v4, v2, s[0:3], 0 offen offset:8
	;; [unrolled: 1-line block ×3, first 2 shown]
	buffer_load_dword v6, v2, s[0:3], 0 offen
	buffer_load_dword v7, v2, s[0:3], 0 offen offset:28
	buffer_load_dword v8, v2, s[0:3], 0 offen offset:24
	;; [unrolled: 1-line block ×4, first 2 shown]
	s_waitcnt vmcnt(7)
	buffer_store_dword v3, v10, s[0:3], 0 offen offset:12
	s_waitcnt vmcnt(6)
	buffer_store_dword v4, v10, s[0:3], 0 offen offset:8
	;; [unrolled: 2-line block ×3, first 2 shown]
	s_waitcnt vmcnt(4)
	buffer_store_dword v6, v10, s[0:3], 0 offen
	s_waitcnt vmcnt(3)
	buffer_store_dword v7, v10, s[0:3], 0 offen offset:28
	s_waitcnt vmcnt(2)
	buffer_store_dword v8, v10, s[0:3], 0 offen offset:24
	;; [unrolled: 2-line block ×4, first 2 shown]
.LBB2165_426:
	s_or_b32 exec_lo, exec_lo, s8
	v_mov_b32_e32 v28, s7
	s_waitcnt_vscnt null, 0x0
	s_barrier
	buffer_gl0_inv
	s_clause 0x7
	buffer_load_dword v4, off, s[0:3], 0
	buffer_load_dword v5, off, s[0:3], 0 offset:4
	buffer_load_dword v6, off, s[0:3], 0 offset:8
	;; [unrolled: 1-line block ×7, first 2 shown]
	v_mov_b32_e32 v29, s6
	s_clause 0xf
	buffer_load_dword v12, v28, s[0:3], 0 offen
	buffer_load_dword v13, v28, s[0:3], 0 offen offset:4
	buffer_load_dword v14, v28, s[0:3], 0 offen offset:8
	;; [unrolled: 1-line block ×7, first 2 shown]
	buffer_load_dword v20, v29, s[0:3], 0 offen
	buffer_load_dword v21, v29, s[0:3], 0 offen offset:4
	buffer_load_dword v22, v29, s[0:3], 0 offen offset:8
	;; [unrolled: 1-line block ×7, first 2 shown]
	v_lshlrev_b32_e32 v1, 5, v1
	v_lshlrev_b32_e32 v2, 6, v0
	s_waitcnt vmcnt(20)
	ds_write_b128 v1, v[4:7]
	s_waitcnt vmcnt(16)
	ds_write_b128 v1, v[8:11] offset:16
	s_waitcnt vmcnt(12)
	ds_write_b128 v1, v[12:15] offset:32
	;; [unrolled: 2-line block ×5, first 2 shown]
	v_sub_nc_u32_e32 v3, v1, v2
	s_waitcnt lgkmcnt(0)
	s_barrier
	buffer_gl0_inv
	ds_read_b128 v[4:7], v3 offset:8192
	ds_read_b128 v[8:11], v3 offset:8208
	;; [unrolled: 1-line block ×3, first 2 shown]
	v_lshlrev_b32_e32 v1, 5, v0
	ds_read_b128 v[16:19], v3 offset:16400
	s_waitcnt lgkmcnt(3)
	buffer_store_dword v7, v28, s[0:3], 0 offen offset:12
	buffer_store_dword v6, v28, s[0:3], 0 offen offset:8
	;; [unrolled: 1-line block ×3, first 2 shown]
	buffer_store_dword v4, v28, s[0:3], 0 offen
	s_waitcnt lgkmcnt(2)
	buffer_store_dword v11, v28, s[0:3], 0 offen offset:28
	buffer_store_dword v10, v28, s[0:3], 0 offen offset:24
	;; [unrolled: 1-line block ×4, first 2 shown]
	s_waitcnt lgkmcnt(1)
	buffer_store_dword v15, v29, s[0:3], 0 offen offset:12
	buffer_store_dword v14, v29, s[0:3], 0 offen offset:8
	;; [unrolled: 1-line block ×3, first 2 shown]
	buffer_store_dword v12, v29, s[0:3], 0 offen
	s_waitcnt lgkmcnt(0)
	buffer_store_dword v19, v29, s[0:3], 0 offen offset:28
	buffer_store_dword v18, v29, s[0:3], 0 offen offset:24
	;; [unrolled: 1-line block ×4, first 2 shown]
	v_add_co_u32 v1, s8, s4, v1
	v_add_co_ci_u32_e64 v2, null, s5, 0, s8
	s_mov_b32 s8, exec_lo
	v_cmpx_gt_u32_e64 s36, v0
	s_cbranch_execz .LBB2165_428
; %bb.427:
	ds_read2_b32 v[5:6], v3 offset0:2 offset1:3
	ds_read2_b32 v[7:8], v3 offset0:4 offset1:5
	;; [unrolled: 1-line block ×3, first 2 shown]
	ds_read2_b32 v[3:4], v3 offset1:1
	s_waitcnt lgkmcnt(0)
	flat_store_dwordx4 v[1:2], v[3:6]
	flat_store_dwordx4 v[1:2], v[7:10] offset:16
.LBB2165_428:
	s_or_b32 exec_lo, exec_lo, s8
	v_or_b32_e32 v3, 0x100, v0
	s_mov_b32 s8, exec_lo
	v_cmpx_gt_u32_e64 s36, v3
	s_cbranch_execz .LBB2165_430
; %bb.429:
	v_mov_b32_e32 v6, s7
	v_add_co_u32 v1, vcc_lo, 0x2000, v1
	v_add_co_ci_u32_e64 v2, null, 0, v2, vcc_lo
	s_clause 0x7
	buffer_load_dword v3, v6, s[0:3], 0 offen
	buffer_load_dword v4, v6, s[0:3], 0 offen offset:4
	buffer_load_dword v5, v6, s[0:3], 0 offen offset:8
	;; [unrolled: 1-line block ×7, first 2 shown]
	s_waitcnt vmcnt(1)
	flat_store_dwordx4 v[1:2], v[7:10] offset:16
	s_waitcnt vmcnt(0)
	flat_store_dwordx4 v[1:2], v[3:6]
.LBB2165_430:
	s_or_b32 exec_lo, exec_lo, s8
	v_or_b32_e32 v1, 0x200, v0
	v_cmp_gt_u32_e64 s8, s36, v1
	s_branch .LBB2165_433
.LBB2165_431:
	s_mov_b32 s8, 0
	s_cbranch_execz .LBB2165_433
; %bb.432:
	v_mov_b32_e32 v1, s15
	v_mov_b32_e32 v10, s33
	s_clause 0x7
	buffer_load_dword v2, off, s[0:3], 0 offset:328
	buffer_load_dword v3, off, s[0:3], 0 offset:332
	;; [unrolled: 1-line block ×8, first 2 shown]
	v_mov_b32_e32 v29, s7
	v_mov_b32_e32 v30, s6
	s_clause 0xf
	buffer_load_dword v11, v1, s[0:3], 0 offen offset:12
	buffer_load_dword v12, v1, s[0:3], 0 offen offset:8
	;; [unrolled: 1-line block ×3, first 2 shown]
	buffer_load_dword v14, v1, s[0:3], 0 offen
	buffer_load_dword v15, v1, s[0:3], 0 offen offset:28
	buffer_load_dword v16, v1, s[0:3], 0 offen offset:24
	;; [unrolled: 1-line block ×7, first 2 shown]
	buffer_load_dword v21, v10, s[0:3], 0 offen
	buffer_load_dword v22, v10, s[0:3], 0 offen offset:28
	buffer_load_dword v23, v10, s[0:3], 0 offen offset:24
	;; [unrolled: 1-line block ×4, first 2 shown]
	v_mul_u32_u24_e32 v25, 0x60, v0
	v_lshlrev_b32_e32 v26, 6, v0
	s_or_b32 s8, s8, exec_lo
	s_waitcnt vmcnt(22)
	buffer_store_dword v3, off, s[0:3], 0 offset:12
	buffer_store_dword v2, off, s[0:3], 0 offset:8
	s_waitcnt vmcnt(20)
	buffer_store_dword v5, off, s[0:3], 0 offset:4
	buffer_store_dword v4, off, s[0:3], 0
	s_waitcnt vmcnt(18)
	buffer_store_dword v7, off, s[0:3], 0 offset:28
	buffer_store_dword v6, off, s[0:3], 0 offset:24
	s_waitcnt vmcnt(16)
	buffer_store_dword v9, off, s[0:3], 0 offset:20
	buffer_store_dword v8, off, s[0:3], 0 offset:16
	s_waitcnt vmcnt(15)
	buffer_store_dword v11, v29, s[0:3], 0 offen offset:12
	s_waitcnt vmcnt(14)
	buffer_store_dword v12, v29, s[0:3], 0 offen offset:8
	;; [unrolled: 2-line block ×3, first 2 shown]
	s_waitcnt vmcnt(12)
	buffer_store_dword v14, v29, s[0:3], 0 offen
	s_waitcnt vmcnt(11)
	buffer_store_dword v15, v29, s[0:3], 0 offen offset:28
	s_waitcnt vmcnt(10)
	buffer_store_dword v16, v29, s[0:3], 0 offen offset:24
	;; [unrolled: 2-line block ×7, first 2 shown]
	s_waitcnt vmcnt(4)
	buffer_store_dword v21, v30, s[0:3], 0 offen
	s_waitcnt vmcnt(3)
	buffer_store_dword v22, v30, s[0:3], 0 offen offset:28
	s_waitcnt vmcnt(2)
	buffer_store_dword v23, v30, s[0:3], 0 offen offset:24
	;; [unrolled: 2-line block ×4, first 2 shown]
	s_waitcnt lgkmcnt(0)
	s_waitcnt_vscnt null, 0x0
	s_barrier
	buffer_gl0_inv
	s_clause 0x17
	buffer_load_dword v1, off, s[0:3], 0
	buffer_load_dword v2, off, s[0:3], 0 offset:4
	buffer_load_dword v3, off, s[0:3], 0 offset:8
	;; [unrolled: 1-line block ×7, first 2 shown]
	buffer_load_dword v9, v29, s[0:3], 0 offen
	buffer_load_dword v10, v29, s[0:3], 0 offen offset:4
	buffer_load_dword v11, v29, s[0:3], 0 offen offset:8
	buffer_load_dword v12, v29, s[0:3], 0 offen offset:12
	buffer_load_dword v13, v29, s[0:3], 0 offen offset:16
	buffer_load_dword v14, v29, s[0:3], 0 offen offset:20
	buffer_load_dword v15, v29, s[0:3], 0 offen offset:24
	buffer_load_dword v16, v29, s[0:3], 0 offen offset:28
	buffer_load_dword v17, v30, s[0:3], 0 offen
	buffer_load_dword v18, v30, s[0:3], 0 offen offset:4
	buffer_load_dword v19, v30, s[0:3], 0 offen offset:8
	;; [unrolled: 1-line block ×7, first 2 shown]
	v_sub_nc_u32_e32 v27, v25, v26
	s_waitcnt vmcnt(20)
	ds_write_b128 v25, v[1:4]
	s_waitcnt vmcnt(16)
	ds_write_b128 v25, v[5:8] offset:16
	s_waitcnt vmcnt(12)
	ds_write_b128 v25, v[9:12] offset:32
	;; [unrolled: 2-line block ×5, first 2 shown]
	v_lshlrev_b32_e32 v13, 5, v0
	s_waitcnt lgkmcnt(0)
	s_barrier
	buffer_gl0_inv
	ds_read_b128 v[1:4], v27 offset:8192
	ds_read_b128 v[5:8], v27 offset:8208
	;; [unrolled: 1-line block ×3, first 2 shown]
	v_add_co_u32 v25, s7, s4, v13
	ds_read_b128 v[13:16], v27 offset:16400
	ds_read2_b32 v[19:20], v27 offset0:6 offset1:7
	ds_read2_b32 v[17:18], v27 offset0:4 offset1:5
	ds_read2_b32 v[21:22], v27 offset1:1
	ds_read2_b32 v[23:24], v27 offset0:2 offset1:3
	v_add_co_ci_u32_e64 v26, null, s5, 0, s7
	v_add_co_u32 v27, vcc_lo, 0x2000, v25
	s_waitcnt lgkmcnt(7)
	buffer_store_dword v4, v29, s[0:3], 0 offen offset:12
	buffer_store_dword v3, v29, s[0:3], 0 offen offset:8
	;; [unrolled: 1-line block ×3, first 2 shown]
	buffer_store_dword v1, v29, s[0:3], 0 offen
	s_waitcnt lgkmcnt(6)
	buffer_store_dword v8, v29, s[0:3], 0 offen offset:28
	buffer_store_dword v7, v29, s[0:3], 0 offen offset:24
	;; [unrolled: 1-line block ×4, first 2 shown]
	s_waitcnt lgkmcnt(5)
	buffer_store_dword v12, v30, s[0:3], 0 offen offset:12
	buffer_store_dword v11, v30, s[0:3], 0 offen offset:8
	;; [unrolled: 1-line block ×3, first 2 shown]
	buffer_store_dword v9, v30, s[0:3], 0 offen
	s_waitcnt lgkmcnt(4)
	buffer_store_dword v16, v30, s[0:3], 0 offen offset:28
	buffer_store_dword v15, v30, s[0:3], 0 offen offset:24
	;; [unrolled: 1-line block ×4, first 2 shown]
	v_add_co_ci_u32_e64 v28, null, 0, v26, vcc_lo
	s_waitcnt lgkmcnt(2)
	flat_store_dwordx4 v[25:26], v[17:20] offset:16
	s_waitcnt lgkmcnt(1)
	flat_store_dwordx4 v[25:26], v[21:24]
	flat_store_dwordx4 v[27:28], v[1:4]
	flat_store_dwordx4 v[27:28], v[5:8] offset:16
.LBB2165_433:
	s_and_saveexec_b32 s7, s8
	s_cbranch_execnz .LBB2165_435
; %bb.434:
	s_endpgm
.LBB2165_435:
	v_mov_b32_e32 v4, s6
	v_lshlrev_b32_e32 v0, 5, v0
	s_clause 0x7
	buffer_load_dword v1, v4, s[0:3], 0 offen
	buffer_load_dword v2, v4, s[0:3], 0 offen offset:4
	buffer_load_dword v3, v4, s[0:3], 0 offen offset:8
	buffer_load_dword v5, v4, s[0:3], 0 offen offset:16
	buffer_load_dword v6, v4, s[0:3], 0 offen offset:20
	buffer_load_dword v7, v4, s[0:3], 0 offen offset:24
	buffer_load_dword v8, v4, s[0:3], 0 offen offset:28
	buffer_load_dword v4, v4, s[0:3], 0 offen offset:12
	v_add_co_u32 v0, s4, s4, v0
	v_add_co_ci_u32_e64 v10, null, s5, 0, s4
	v_add_co_u32 v9, vcc_lo, 0x4000, v0
	v_add_co_ci_u32_e64 v10, null, 0, v10, vcc_lo
	s_waitcnt vmcnt(1)
	flat_store_dwordx4 v[9:10], v[5:8] offset:16
	s_waitcnt vmcnt(0)
	flat_store_dwordx4 v[9:10], v[1:4]
	s_endpgm
	.section	.rodata,"a",@progbits
	.p2align	6, 0x0
	.amdhsa_kernel _ZN7rocprim17ROCPRIM_400000_NS6detail17trampoline_kernelINS0_14default_configENS1_27scan_by_key_config_selectorIj11FixedVectorIiLj8EEEEZZNS1_16scan_by_key_implILNS1_25lookback_scan_determinismE0ELb1ES3_N6thrust23THRUST_200600_302600_NS6detail15normal_iteratorINSB_10device_ptrIjEEEENSD_INSE_IS6_EEEESI_S6_NSB_4plusIvEENSB_8equal_toIvEES6_EE10hipError_tPvRmT2_T3_T4_T5_mT6_T7_P12ihipStream_tbENKUlT_T0_E_clISt17integral_constantIbLb0EES13_EEDaSY_SZ_EUlSY_E_NS1_11comp_targetILNS1_3genE8ELNS1_11target_archE1030ELNS1_3gpuE2ELNS1_3repE0EEENS1_30default_config_static_selectorELNS0_4arch9wavefront6targetE0EEEvT1_
		.amdhsa_group_segment_fixed_size 24576
		.amdhsa_private_segment_fixed_size 432
		.amdhsa_kernarg_size 160
		.amdhsa_user_sgpr_count 6
		.amdhsa_user_sgpr_private_segment_buffer 1
		.amdhsa_user_sgpr_dispatch_ptr 0
		.amdhsa_user_sgpr_queue_ptr 0
		.amdhsa_user_sgpr_kernarg_segment_ptr 1
		.amdhsa_user_sgpr_dispatch_id 0
		.amdhsa_user_sgpr_flat_scratch_init 0
		.amdhsa_user_sgpr_private_segment_size 0
		.amdhsa_wavefront_size32 1
		.amdhsa_uses_dynamic_stack 0
		.amdhsa_system_sgpr_private_segment_wavefront_offset 1
		.amdhsa_system_sgpr_workgroup_id_x 1
		.amdhsa_system_sgpr_workgroup_id_y 0
		.amdhsa_system_sgpr_workgroup_id_z 0
		.amdhsa_system_sgpr_workgroup_info 0
		.amdhsa_system_vgpr_workitem_id 0
		.amdhsa_next_free_vgpr 81
		.amdhsa_next_free_sgpr 47
		.amdhsa_reserve_vcc 1
		.amdhsa_reserve_flat_scratch 1
		.amdhsa_float_round_mode_32 0
		.amdhsa_float_round_mode_16_64 0
		.amdhsa_float_denorm_mode_32 3
		.amdhsa_float_denorm_mode_16_64 3
		.amdhsa_dx10_clamp 1
		.amdhsa_ieee_mode 1
		.amdhsa_fp16_overflow 0
		.amdhsa_workgroup_processor_mode 1
		.amdhsa_memory_ordered 1
		.amdhsa_forward_progress 1
		.amdhsa_shared_vgpr_count 0
		.amdhsa_exception_fp_ieee_invalid_op 0
		.amdhsa_exception_fp_denorm_src 0
		.amdhsa_exception_fp_ieee_div_zero 0
		.amdhsa_exception_fp_ieee_overflow 0
		.amdhsa_exception_fp_ieee_underflow 0
		.amdhsa_exception_fp_ieee_inexact 0
		.amdhsa_exception_int_div_zero 0
	.end_amdhsa_kernel
	.section	.text._ZN7rocprim17ROCPRIM_400000_NS6detail17trampoline_kernelINS0_14default_configENS1_27scan_by_key_config_selectorIj11FixedVectorIiLj8EEEEZZNS1_16scan_by_key_implILNS1_25lookback_scan_determinismE0ELb1ES3_N6thrust23THRUST_200600_302600_NS6detail15normal_iteratorINSB_10device_ptrIjEEEENSD_INSE_IS6_EEEESI_S6_NSB_4plusIvEENSB_8equal_toIvEES6_EE10hipError_tPvRmT2_T3_T4_T5_mT6_T7_P12ihipStream_tbENKUlT_T0_E_clISt17integral_constantIbLb0EES13_EEDaSY_SZ_EUlSY_E_NS1_11comp_targetILNS1_3genE8ELNS1_11target_archE1030ELNS1_3gpuE2ELNS1_3repE0EEENS1_30default_config_static_selectorELNS0_4arch9wavefront6targetE0EEEvT1_,"axG",@progbits,_ZN7rocprim17ROCPRIM_400000_NS6detail17trampoline_kernelINS0_14default_configENS1_27scan_by_key_config_selectorIj11FixedVectorIiLj8EEEEZZNS1_16scan_by_key_implILNS1_25lookback_scan_determinismE0ELb1ES3_N6thrust23THRUST_200600_302600_NS6detail15normal_iteratorINSB_10device_ptrIjEEEENSD_INSE_IS6_EEEESI_S6_NSB_4plusIvEENSB_8equal_toIvEES6_EE10hipError_tPvRmT2_T3_T4_T5_mT6_T7_P12ihipStream_tbENKUlT_T0_E_clISt17integral_constantIbLb0EES13_EEDaSY_SZ_EUlSY_E_NS1_11comp_targetILNS1_3genE8ELNS1_11target_archE1030ELNS1_3gpuE2ELNS1_3repE0EEENS1_30default_config_static_selectorELNS0_4arch9wavefront6targetE0EEEvT1_,comdat
.Lfunc_end2165:
	.size	_ZN7rocprim17ROCPRIM_400000_NS6detail17trampoline_kernelINS0_14default_configENS1_27scan_by_key_config_selectorIj11FixedVectorIiLj8EEEEZZNS1_16scan_by_key_implILNS1_25lookback_scan_determinismE0ELb1ES3_N6thrust23THRUST_200600_302600_NS6detail15normal_iteratorINSB_10device_ptrIjEEEENSD_INSE_IS6_EEEESI_S6_NSB_4plusIvEENSB_8equal_toIvEES6_EE10hipError_tPvRmT2_T3_T4_T5_mT6_T7_P12ihipStream_tbENKUlT_T0_E_clISt17integral_constantIbLb0EES13_EEDaSY_SZ_EUlSY_E_NS1_11comp_targetILNS1_3genE8ELNS1_11target_archE1030ELNS1_3gpuE2ELNS1_3repE0EEENS1_30default_config_static_selectorELNS0_4arch9wavefront6targetE0EEEvT1_, .Lfunc_end2165-_ZN7rocprim17ROCPRIM_400000_NS6detail17trampoline_kernelINS0_14default_configENS1_27scan_by_key_config_selectorIj11FixedVectorIiLj8EEEEZZNS1_16scan_by_key_implILNS1_25lookback_scan_determinismE0ELb1ES3_N6thrust23THRUST_200600_302600_NS6detail15normal_iteratorINSB_10device_ptrIjEEEENSD_INSE_IS6_EEEESI_S6_NSB_4plusIvEENSB_8equal_toIvEES6_EE10hipError_tPvRmT2_T3_T4_T5_mT6_T7_P12ihipStream_tbENKUlT_T0_E_clISt17integral_constantIbLb0EES13_EEDaSY_SZ_EUlSY_E_NS1_11comp_targetILNS1_3genE8ELNS1_11target_archE1030ELNS1_3gpuE2ELNS1_3repE0EEENS1_30default_config_static_selectorELNS0_4arch9wavefront6targetE0EEEvT1_
                                        ; -- End function
	.set _ZN7rocprim17ROCPRIM_400000_NS6detail17trampoline_kernelINS0_14default_configENS1_27scan_by_key_config_selectorIj11FixedVectorIiLj8EEEEZZNS1_16scan_by_key_implILNS1_25lookback_scan_determinismE0ELb1ES3_N6thrust23THRUST_200600_302600_NS6detail15normal_iteratorINSB_10device_ptrIjEEEENSD_INSE_IS6_EEEESI_S6_NSB_4plusIvEENSB_8equal_toIvEES6_EE10hipError_tPvRmT2_T3_T4_T5_mT6_T7_P12ihipStream_tbENKUlT_T0_E_clISt17integral_constantIbLb0EES13_EEDaSY_SZ_EUlSY_E_NS1_11comp_targetILNS1_3genE8ELNS1_11target_archE1030ELNS1_3gpuE2ELNS1_3repE0EEENS1_30default_config_static_selectorELNS0_4arch9wavefront6targetE0EEEvT1_.num_vgpr, 45
	.set _ZN7rocprim17ROCPRIM_400000_NS6detail17trampoline_kernelINS0_14default_configENS1_27scan_by_key_config_selectorIj11FixedVectorIiLj8EEEEZZNS1_16scan_by_key_implILNS1_25lookback_scan_determinismE0ELb1ES3_N6thrust23THRUST_200600_302600_NS6detail15normal_iteratorINSB_10device_ptrIjEEEENSD_INSE_IS6_EEEESI_S6_NSB_4plusIvEENSB_8equal_toIvEES6_EE10hipError_tPvRmT2_T3_T4_T5_mT6_T7_P12ihipStream_tbENKUlT_T0_E_clISt17integral_constantIbLb0EES13_EEDaSY_SZ_EUlSY_E_NS1_11comp_targetILNS1_3genE8ELNS1_11target_archE1030ELNS1_3gpuE2ELNS1_3repE0EEENS1_30default_config_static_selectorELNS0_4arch9wavefront6targetE0EEEvT1_.num_agpr, 0
	.set _ZN7rocprim17ROCPRIM_400000_NS6detail17trampoline_kernelINS0_14default_configENS1_27scan_by_key_config_selectorIj11FixedVectorIiLj8EEEEZZNS1_16scan_by_key_implILNS1_25lookback_scan_determinismE0ELb1ES3_N6thrust23THRUST_200600_302600_NS6detail15normal_iteratorINSB_10device_ptrIjEEEENSD_INSE_IS6_EEEESI_S6_NSB_4plusIvEENSB_8equal_toIvEES6_EE10hipError_tPvRmT2_T3_T4_T5_mT6_T7_P12ihipStream_tbENKUlT_T0_E_clISt17integral_constantIbLb0EES13_EEDaSY_SZ_EUlSY_E_NS1_11comp_targetILNS1_3genE8ELNS1_11target_archE1030ELNS1_3gpuE2ELNS1_3repE0EEENS1_30default_config_static_selectorELNS0_4arch9wavefront6targetE0EEEvT1_.numbered_sgpr, 47
	.set _ZN7rocprim17ROCPRIM_400000_NS6detail17trampoline_kernelINS0_14default_configENS1_27scan_by_key_config_selectorIj11FixedVectorIiLj8EEEEZZNS1_16scan_by_key_implILNS1_25lookback_scan_determinismE0ELb1ES3_N6thrust23THRUST_200600_302600_NS6detail15normal_iteratorINSB_10device_ptrIjEEEENSD_INSE_IS6_EEEESI_S6_NSB_4plusIvEENSB_8equal_toIvEES6_EE10hipError_tPvRmT2_T3_T4_T5_mT6_T7_P12ihipStream_tbENKUlT_T0_E_clISt17integral_constantIbLb0EES13_EEDaSY_SZ_EUlSY_E_NS1_11comp_targetILNS1_3genE8ELNS1_11target_archE1030ELNS1_3gpuE2ELNS1_3repE0EEENS1_30default_config_static_selectorELNS0_4arch9wavefront6targetE0EEEvT1_.num_named_barrier, 0
	.set _ZN7rocprim17ROCPRIM_400000_NS6detail17trampoline_kernelINS0_14default_configENS1_27scan_by_key_config_selectorIj11FixedVectorIiLj8EEEEZZNS1_16scan_by_key_implILNS1_25lookback_scan_determinismE0ELb1ES3_N6thrust23THRUST_200600_302600_NS6detail15normal_iteratorINSB_10device_ptrIjEEEENSD_INSE_IS6_EEEESI_S6_NSB_4plusIvEENSB_8equal_toIvEES6_EE10hipError_tPvRmT2_T3_T4_T5_mT6_T7_P12ihipStream_tbENKUlT_T0_E_clISt17integral_constantIbLb0EES13_EEDaSY_SZ_EUlSY_E_NS1_11comp_targetILNS1_3genE8ELNS1_11target_archE1030ELNS1_3gpuE2ELNS1_3repE0EEENS1_30default_config_static_selectorELNS0_4arch9wavefront6targetE0EEEvT1_.private_seg_size, 432
	.set _ZN7rocprim17ROCPRIM_400000_NS6detail17trampoline_kernelINS0_14default_configENS1_27scan_by_key_config_selectorIj11FixedVectorIiLj8EEEEZZNS1_16scan_by_key_implILNS1_25lookback_scan_determinismE0ELb1ES3_N6thrust23THRUST_200600_302600_NS6detail15normal_iteratorINSB_10device_ptrIjEEEENSD_INSE_IS6_EEEESI_S6_NSB_4plusIvEENSB_8equal_toIvEES6_EE10hipError_tPvRmT2_T3_T4_T5_mT6_T7_P12ihipStream_tbENKUlT_T0_E_clISt17integral_constantIbLb0EES13_EEDaSY_SZ_EUlSY_E_NS1_11comp_targetILNS1_3genE8ELNS1_11target_archE1030ELNS1_3gpuE2ELNS1_3repE0EEENS1_30default_config_static_selectorELNS0_4arch9wavefront6targetE0EEEvT1_.uses_vcc, 1
	.set _ZN7rocprim17ROCPRIM_400000_NS6detail17trampoline_kernelINS0_14default_configENS1_27scan_by_key_config_selectorIj11FixedVectorIiLj8EEEEZZNS1_16scan_by_key_implILNS1_25lookback_scan_determinismE0ELb1ES3_N6thrust23THRUST_200600_302600_NS6detail15normal_iteratorINSB_10device_ptrIjEEEENSD_INSE_IS6_EEEESI_S6_NSB_4plusIvEENSB_8equal_toIvEES6_EE10hipError_tPvRmT2_T3_T4_T5_mT6_T7_P12ihipStream_tbENKUlT_T0_E_clISt17integral_constantIbLb0EES13_EEDaSY_SZ_EUlSY_E_NS1_11comp_targetILNS1_3genE8ELNS1_11target_archE1030ELNS1_3gpuE2ELNS1_3repE0EEENS1_30default_config_static_selectorELNS0_4arch9wavefront6targetE0EEEvT1_.uses_flat_scratch, 1
	.set _ZN7rocprim17ROCPRIM_400000_NS6detail17trampoline_kernelINS0_14default_configENS1_27scan_by_key_config_selectorIj11FixedVectorIiLj8EEEEZZNS1_16scan_by_key_implILNS1_25lookback_scan_determinismE0ELb1ES3_N6thrust23THRUST_200600_302600_NS6detail15normal_iteratorINSB_10device_ptrIjEEEENSD_INSE_IS6_EEEESI_S6_NSB_4plusIvEENSB_8equal_toIvEES6_EE10hipError_tPvRmT2_T3_T4_T5_mT6_T7_P12ihipStream_tbENKUlT_T0_E_clISt17integral_constantIbLb0EES13_EEDaSY_SZ_EUlSY_E_NS1_11comp_targetILNS1_3genE8ELNS1_11target_archE1030ELNS1_3gpuE2ELNS1_3repE0EEENS1_30default_config_static_selectorELNS0_4arch9wavefront6targetE0EEEvT1_.has_dyn_sized_stack, 0
	.set _ZN7rocprim17ROCPRIM_400000_NS6detail17trampoline_kernelINS0_14default_configENS1_27scan_by_key_config_selectorIj11FixedVectorIiLj8EEEEZZNS1_16scan_by_key_implILNS1_25lookback_scan_determinismE0ELb1ES3_N6thrust23THRUST_200600_302600_NS6detail15normal_iteratorINSB_10device_ptrIjEEEENSD_INSE_IS6_EEEESI_S6_NSB_4plusIvEENSB_8equal_toIvEES6_EE10hipError_tPvRmT2_T3_T4_T5_mT6_T7_P12ihipStream_tbENKUlT_T0_E_clISt17integral_constantIbLb0EES13_EEDaSY_SZ_EUlSY_E_NS1_11comp_targetILNS1_3genE8ELNS1_11target_archE1030ELNS1_3gpuE2ELNS1_3repE0EEENS1_30default_config_static_selectorELNS0_4arch9wavefront6targetE0EEEvT1_.has_recursion, 0
	.set _ZN7rocprim17ROCPRIM_400000_NS6detail17trampoline_kernelINS0_14default_configENS1_27scan_by_key_config_selectorIj11FixedVectorIiLj8EEEEZZNS1_16scan_by_key_implILNS1_25lookback_scan_determinismE0ELb1ES3_N6thrust23THRUST_200600_302600_NS6detail15normal_iteratorINSB_10device_ptrIjEEEENSD_INSE_IS6_EEEESI_S6_NSB_4plusIvEENSB_8equal_toIvEES6_EE10hipError_tPvRmT2_T3_T4_T5_mT6_T7_P12ihipStream_tbENKUlT_T0_E_clISt17integral_constantIbLb0EES13_EEDaSY_SZ_EUlSY_E_NS1_11comp_targetILNS1_3genE8ELNS1_11target_archE1030ELNS1_3gpuE2ELNS1_3repE0EEENS1_30default_config_static_selectorELNS0_4arch9wavefront6targetE0EEEvT1_.has_indirect_call, 0
	.section	.AMDGPU.csdata,"",@progbits
; Kernel info:
; codeLenInByte = 34780
; TotalNumSgprs: 49
; NumVgprs: 45
; ScratchSize: 432
; MemoryBound: 1
; FloatMode: 240
; IeeeMode: 1
; LDSByteSize: 24576 bytes/workgroup (compile time only)
; SGPRBlocks: 0
; VGPRBlocks: 10
; NumSGPRsForWavesPerEU: 49
; NumVGPRsForWavesPerEU: 81
; Occupancy: 10
; WaveLimiterHint : 1
; COMPUTE_PGM_RSRC2:SCRATCH_EN: 1
; COMPUTE_PGM_RSRC2:USER_SGPR: 6
; COMPUTE_PGM_RSRC2:TRAP_HANDLER: 0
; COMPUTE_PGM_RSRC2:TGID_X_EN: 1
; COMPUTE_PGM_RSRC2:TGID_Y_EN: 0
; COMPUTE_PGM_RSRC2:TGID_Z_EN: 0
; COMPUTE_PGM_RSRC2:TIDIG_COMP_CNT: 0
	.section	.text._ZN7rocprim17ROCPRIM_400000_NS6detail17trampoline_kernelINS0_14default_configENS1_27scan_by_key_config_selectorIj11FixedVectorIiLj8EEEEZZNS1_16scan_by_key_implILNS1_25lookback_scan_determinismE0ELb1ES3_N6thrust23THRUST_200600_302600_NS6detail15normal_iteratorINSB_10device_ptrIjEEEENSD_INSE_IS6_EEEESI_S6_NSB_4plusIvEENSB_8equal_toIvEES6_EE10hipError_tPvRmT2_T3_T4_T5_mT6_T7_P12ihipStream_tbENKUlT_T0_E_clISt17integral_constantIbLb1EES13_EEDaSY_SZ_EUlSY_E_NS1_11comp_targetILNS1_3genE0ELNS1_11target_archE4294967295ELNS1_3gpuE0ELNS1_3repE0EEENS1_30default_config_static_selectorELNS0_4arch9wavefront6targetE0EEEvT1_,"axG",@progbits,_ZN7rocprim17ROCPRIM_400000_NS6detail17trampoline_kernelINS0_14default_configENS1_27scan_by_key_config_selectorIj11FixedVectorIiLj8EEEEZZNS1_16scan_by_key_implILNS1_25lookback_scan_determinismE0ELb1ES3_N6thrust23THRUST_200600_302600_NS6detail15normal_iteratorINSB_10device_ptrIjEEEENSD_INSE_IS6_EEEESI_S6_NSB_4plusIvEENSB_8equal_toIvEES6_EE10hipError_tPvRmT2_T3_T4_T5_mT6_T7_P12ihipStream_tbENKUlT_T0_E_clISt17integral_constantIbLb1EES13_EEDaSY_SZ_EUlSY_E_NS1_11comp_targetILNS1_3genE0ELNS1_11target_archE4294967295ELNS1_3gpuE0ELNS1_3repE0EEENS1_30default_config_static_selectorELNS0_4arch9wavefront6targetE0EEEvT1_,comdat
	.protected	_ZN7rocprim17ROCPRIM_400000_NS6detail17trampoline_kernelINS0_14default_configENS1_27scan_by_key_config_selectorIj11FixedVectorIiLj8EEEEZZNS1_16scan_by_key_implILNS1_25lookback_scan_determinismE0ELb1ES3_N6thrust23THRUST_200600_302600_NS6detail15normal_iteratorINSB_10device_ptrIjEEEENSD_INSE_IS6_EEEESI_S6_NSB_4plusIvEENSB_8equal_toIvEES6_EE10hipError_tPvRmT2_T3_T4_T5_mT6_T7_P12ihipStream_tbENKUlT_T0_E_clISt17integral_constantIbLb1EES13_EEDaSY_SZ_EUlSY_E_NS1_11comp_targetILNS1_3genE0ELNS1_11target_archE4294967295ELNS1_3gpuE0ELNS1_3repE0EEENS1_30default_config_static_selectorELNS0_4arch9wavefront6targetE0EEEvT1_ ; -- Begin function _ZN7rocprim17ROCPRIM_400000_NS6detail17trampoline_kernelINS0_14default_configENS1_27scan_by_key_config_selectorIj11FixedVectorIiLj8EEEEZZNS1_16scan_by_key_implILNS1_25lookback_scan_determinismE0ELb1ES3_N6thrust23THRUST_200600_302600_NS6detail15normal_iteratorINSB_10device_ptrIjEEEENSD_INSE_IS6_EEEESI_S6_NSB_4plusIvEENSB_8equal_toIvEES6_EE10hipError_tPvRmT2_T3_T4_T5_mT6_T7_P12ihipStream_tbENKUlT_T0_E_clISt17integral_constantIbLb1EES13_EEDaSY_SZ_EUlSY_E_NS1_11comp_targetILNS1_3genE0ELNS1_11target_archE4294967295ELNS1_3gpuE0ELNS1_3repE0EEENS1_30default_config_static_selectorELNS0_4arch9wavefront6targetE0EEEvT1_
	.globl	_ZN7rocprim17ROCPRIM_400000_NS6detail17trampoline_kernelINS0_14default_configENS1_27scan_by_key_config_selectorIj11FixedVectorIiLj8EEEEZZNS1_16scan_by_key_implILNS1_25lookback_scan_determinismE0ELb1ES3_N6thrust23THRUST_200600_302600_NS6detail15normal_iteratorINSB_10device_ptrIjEEEENSD_INSE_IS6_EEEESI_S6_NSB_4plusIvEENSB_8equal_toIvEES6_EE10hipError_tPvRmT2_T3_T4_T5_mT6_T7_P12ihipStream_tbENKUlT_T0_E_clISt17integral_constantIbLb1EES13_EEDaSY_SZ_EUlSY_E_NS1_11comp_targetILNS1_3genE0ELNS1_11target_archE4294967295ELNS1_3gpuE0ELNS1_3repE0EEENS1_30default_config_static_selectorELNS0_4arch9wavefront6targetE0EEEvT1_
	.p2align	8
	.type	_ZN7rocprim17ROCPRIM_400000_NS6detail17trampoline_kernelINS0_14default_configENS1_27scan_by_key_config_selectorIj11FixedVectorIiLj8EEEEZZNS1_16scan_by_key_implILNS1_25lookback_scan_determinismE0ELb1ES3_N6thrust23THRUST_200600_302600_NS6detail15normal_iteratorINSB_10device_ptrIjEEEENSD_INSE_IS6_EEEESI_S6_NSB_4plusIvEENSB_8equal_toIvEES6_EE10hipError_tPvRmT2_T3_T4_T5_mT6_T7_P12ihipStream_tbENKUlT_T0_E_clISt17integral_constantIbLb1EES13_EEDaSY_SZ_EUlSY_E_NS1_11comp_targetILNS1_3genE0ELNS1_11target_archE4294967295ELNS1_3gpuE0ELNS1_3repE0EEENS1_30default_config_static_selectorELNS0_4arch9wavefront6targetE0EEEvT1_,@function
_ZN7rocprim17ROCPRIM_400000_NS6detail17trampoline_kernelINS0_14default_configENS1_27scan_by_key_config_selectorIj11FixedVectorIiLj8EEEEZZNS1_16scan_by_key_implILNS1_25lookback_scan_determinismE0ELb1ES3_N6thrust23THRUST_200600_302600_NS6detail15normal_iteratorINSB_10device_ptrIjEEEENSD_INSE_IS6_EEEESI_S6_NSB_4plusIvEENSB_8equal_toIvEES6_EE10hipError_tPvRmT2_T3_T4_T5_mT6_T7_P12ihipStream_tbENKUlT_T0_E_clISt17integral_constantIbLb1EES13_EEDaSY_SZ_EUlSY_E_NS1_11comp_targetILNS1_3genE0ELNS1_11target_archE4294967295ELNS1_3gpuE0ELNS1_3repE0EEENS1_30default_config_static_selectorELNS0_4arch9wavefront6targetE0EEEvT1_: ; @_ZN7rocprim17ROCPRIM_400000_NS6detail17trampoline_kernelINS0_14default_configENS1_27scan_by_key_config_selectorIj11FixedVectorIiLj8EEEEZZNS1_16scan_by_key_implILNS1_25lookback_scan_determinismE0ELb1ES3_N6thrust23THRUST_200600_302600_NS6detail15normal_iteratorINSB_10device_ptrIjEEEENSD_INSE_IS6_EEEESI_S6_NSB_4plusIvEENSB_8equal_toIvEES6_EE10hipError_tPvRmT2_T3_T4_T5_mT6_T7_P12ihipStream_tbENKUlT_T0_E_clISt17integral_constantIbLb1EES13_EEDaSY_SZ_EUlSY_E_NS1_11comp_targetILNS1_3genE0ELNS1_11target_archE4294967295ELNS1_3gpuE0ELNS1_3repE0EEENS1_30default_config_static_selectorELNS0_4arch9wavefront6targetE0EEEvT1_
; %bb.0:
	.section	.rodata,"a",@progbits
	.p2align	6, 0x0
	.amdhsa_kernel _ZN7rocprim17ROCPRIM_400000_NS6detail17trampoline_kernelINS0_14default_configENS1_27scan_by_key_config_selectorIj11FixedVectorIiLj8EEEEZZNS1_16scan_by_key_implILNS1_25lookback_scan_determinismE0ELb1ES3_N6thrust23THRUST_200600_302600_NS6detail15normal_iteratorINSB_10device_ptrIjEEEENSD_INSE_IS6_EEEESI_S6_NSB_4plusIvEENSB_8equal_toIvEES6_EE10hipError_tPvRmT2_T3_T4_T5_mT6_T7_P12ihipStream_tbENKUlT_T0_E_clISt17integral_constantIbLb1EES13_EEDaSY_SZ_EUlSY_E_NS1_11comp_targetILNS1_3genE0ELNS1_11target_archE4294967295ELNS1_3gpuE0ELNS1_3repE0EEENS1_30default_config_static_selectorELNS0_4arch9wavefront6targetE0EEEvT1_
		.amdhsa_group_segment_fixed_size 0
		.amdhsa_private_segment_fixed_size 0
		.amdhsa_kernarg_size 160
		.amdhsa_user_sgpr_count 6
		.amdhsa_user_sgpr_private_segment_buffer 1
		.amdhsa_user_sgpr_dispatch_ptr 0
		.amdhsa_user_sgpr_queue_ptr 0
		.amdhsa_user_sgpr_kernarg_segment_ptr 1
		.amdhsa_user_sgpr_dispatch_id 0
		.amdhsa_user_sgpr_flat_scratch_init 0
		.amdhsa_user_sgpr_private_segment_size 0
		.amdhsa_wavefront_size32 1
		.amdhsa_uses_dynamic_stack 0
		.amdhsa_system_sgpr_private_segment_wavefront_offset 0
		.amdhsa_system_sgpr_workgroup_id_x 1
		.amdhsa_system_sgpr_workgroup_id_y 0
		.amdhsa_system_sgpr_workgroup_id_z 0
		.amdhsa_system_sgpr_workgroup_info 0
		.amdhsa_system_vgpr_workitem_id 0
		.amdhsa_next_free_vgpr 1
		.amdhsa_next_free_sgpr 1
		.amdhsa_reserve_vcc 0
		.amdhsa_reserve_flat_scratch 0
		.amdhsa_float_round_mode_32 0
		.amdhsa_float_round_mode_16_64 0
		.amdhsa_float_denorm_mode_32 3
		.amdhsa_float_denorm_mode_16_64 3
		.amdhsa_dx10_clamp 1
		.amdhsa_ieee_mode 1
		.amdhsa_fp16_overflow 0
		.amdhsa_workgroup_processor_mode 1
		.amdhsa_memory_ordered 1
		.amdhsa_forward_progress 1
		.amdhsa_shared_vgpr_count 0
		.amdhsa_exception_fp_ieee_invalid_op 0
		.amdhsa_exception_fp_denorm_src 0
		.amdhsa_exception_fp_ieee_div_zero 0
		.amdhsa_exception_fp_ieee_overflow 0
		.amdhsa_exception_fp_ieee_underflow 0
		.amdhsa_exception_fp_ieee_inexact 0
		.amdhsa_exception_int_div_zero 0
	.end_amdhsa_kernel
	.section	.text._ZN7rocprim17ROCPRIM_400000_NS6detail17trampoline_kernelINS0_14default_configENS1_27scan_by_key_config_selectorIj11FixedVectorIiLj8EEEEZZNS1_16scan_by_key_implILNS1_25lookback_scan_determinismE0ELb1ES3_N6thrust23THRUST_200600_302600_NS6detail15normal_iteratorINSB_10device_ptrIjEEEENSD_INSE_IS6_EEEESI_S6_NSB_4plusIvEENSB_8equal_toIvEES6_EE10hipError_tPvRmT2_T3_T4_T5_mT6_T7_P12ihipStream_tbENKUlT_T0_E_clISt17integral_constantIbLb1EES13_EEDaSY_SZ_EUlSY_E_NS1_11comp_targetILNS1_3genE0ELNS1_11target_archE4294967295ELNS1_3gpuE0ELNS1_3repE0EEENS1_30default_config_static_selectorELNS0_4arch9wavefront6targetE0EEEvT1_,"axG",@progbits,_ZN7rocprim17ROCPRIM_400000_NS6detail17trampoline_kernelINS0_14default_configENS1_27scan_by_key_config_selectorIj11FixedVectorIiLj8EEEEZZNS1_16scan_by_key_implILNS1_25lookback_scan_determinismE0ELb1ES3_N6thrust23THRUST_200600_302600_NS6detail15normal_iteratorINSB_10device_ptrIjEEEENSD_INSE_IS6_EEEESI_S6_NSB_4plusIvEENSB_8equal_toIvEES6_EE10hipError_tPvRmT2_T3_T4_T5_mT6_T7_P12ihipStream_tbENKUlT_T0_E_clISt17integral_constantIbLb1EES13_EEDaSY_SZ_EUlSY_E_NS1_11comp_targetILNS1_3genE0ELNS1_11target_archE4294967295ELNS1_3gpuE0ELNS1_3repE0EEENS1_30default_config_static_selectorELNS0_4arch9wavefront6targetE0EEEvT1_,comdat
.Lfunc_end2166:
	.size	_ZN7rocprim17ROCPRIM_400000_NS6detail17trampoline_kernelINS0_14default_configENS1_27scan_by_key_config_selectorIj11FixedVectorIiLj8EEEEZZNS1_16scan_by_key_implILNS1_25lookback_scan_determinismE0ELb1ES3_N6thrust23THRUST_200600_302600_NS6detail15normal_iteratorINSB_10device_ptrIjEEEENSD_INSE_IS6_EEEESI_S6_NSB_4plusIvEENSB_8equal_toIvEES6_EE10hipError_tPvRmT2_T3_T4_T5_mT6_T7_P12ihipStream_tbENKUlT_T0_E_clISt17integral_constantIbLb1EES13_EEDaSY_SZ_EUlSY_E_NS1_11comp_targetILNS1_3genE0ELNS1_11target_archE4294967295ELNS1_3gpuE0ELNS1_3repE0EEENS1_30default_config_static_selectorELNS0_4arch9wavefront6targetE0EEEvT1_, .Lfunc_end2166-_ZN7rocprim17ROCPRIM_400000_NS6detail17trampoline_kernelINS0_14default_configENS1_27scan_by_key_config_selectorIj11FixedVectorIiLj8EEEEZZNS1_16scan_by_key_implILNS1_25lookback_scan_determinismE0ELb1ES3_N6thrust23THRUST_200600_302600_NS6detail15normal_iteratorINSB_10device_ptrIjEEEENSD_INSE_IS6_EEEESI_S6_NSB_4plusIvEENSB_8equal_toIvEES6_EE10hipError_tPvRmT2_T3_T4_T5_mT6_T7_P12ihipStream_tbENKUlT_T0_E_clISt17integral_constantIbLb1EES13_EEDaSY_SZ_EUlSY_E_NS1_11comp_targetILNS1_3genE0ELNS1_11target_archE4294967295ELNS1_3gpuE0ELNS1_3repE0EEENS1_30default_config_static_selectorELNS0_4arch9wavefront6targetE0EEEvT1_
                                        ; -- End function
	.set _ZN7rocprim17ROCPRIM_400000_NS6detail17trampoline_kernelINS0_14default_configENS1_27scan_by_key_config_selectorIj11FixedVectorIiLj8EEEEZZNS1_16scan_by_key_implILNS1_25lookback_scan_determinismE0ELb1ES3_N6thrust23THRUST_200600_302600_NS6detail15normal_iteratorINSB_10device_ptrIjEEEENSD_INSE_IS6_EEEESI_S6_NSB_4plusIvEENSB_8equal_toIvEES6_EE10hipError_tPvRmT2_T3_T4_T5_mT6_T7_P12ihipStream_tbENKUlT_T0_E_clISt17integral_constantIbLb1EES13_EEDaSY_SZ_EUlSY_E_NS1_11comp_targetILNS1_3genE0ELNS1_11target_archE4294967295ELNS1_3gpuE0ELNS1_3repE0EEENS1_30default_config_static_selectorELNS0_4arch9wavefront6targetE0EEEvT1_.num_vgpr, 0
	.set _ZN7rocprim17ROCPRIM_400000_NS6detail17trampoline_kernelINS0_14default_configENS1_27scan_by_key_config_selectorIj11FixedVectorIiLj8EEEEZZNS1_16scan_by_key_implILNS1_25lookback_scan_determinismE0ELb1ES3_N6thrust23THRUST_200600_302600_NS6detail15normal_iteratorINSB_10device_ptrIjEEEENSD_INSE_IS6_EEEESI_S6_NSB_4plusIvEENSB_8equal_toIvEES6_EE10hipError_tPvRmT2_T3_T4_T5_mT6_T7_P12ihipStream_tbENKUlT_T0_E_clISt17integral_constantIbLb1EES13_EEDaSY_SZ_EUlSY_E_NS1_11comp_targetILNS1_3genE0ELNS1_11target_archE4294967295ELNS1_3gpuE0ELNS1_3repE0EEENS1_30default_config_static_selectorELNS0_4arch9wavefront6targetE0EEEvT1_.num_agpr, 0
	.set _ZN7rocprim17ROCPRIM_400000_NS6detail17trampoline_kernelINS0_14default_configENS1_27scan_by_key_config_selectorIj11FixedVectorIiLj8EEEEZZNS1_16scan_by_key_implILNS1_25lookback_scan_determinismE0ELb1ES3_N6thrust23THRUST_200600_302600_NS6detail15normal_iteratorINSB_10device_ptrIjEEEENSD_INSE_IS6_EEEESI_S6_NSB_4plusIvEENSB_8equal_toIvEES6_EE10hipError_tPvRmT2_T3_T4_T5_mT6_T7_P12ihipStream_tbENKUlT_T0_E_clISt17integral_constantIbLb1EES13_EEDaSY_SZ_EUlSY_E_NS1_11comp_targetILNS1_3genE0ELNS1_11target_archE4294967295ELNS1_3gpuE0ELNS1_3repE0EEENS1_30default_config_static_selectorELNS0_4arch9wavefront6targetE0EEEvT1_.numbered_sgpr, 0
	.set _ZN7rocprim17ROCPRIM_400000_NS6detail17trampoline_kernelINS0_14default_configENS1_27scan_by_key_config_selectorIj11FixedVectorIiLj8EEEEZZNS1_16scan_by_key_implILNS1_25lookback_scan_determinismE0ELb1ES3_N6thrust23THRUST_200600_302600_NS6detail15normal_iteratorINSB_10device_ptrIjEEEENSD_INSE_IS6_EEEESI_S6_NSB_4plusIvEENSB_8equal_toIvEES6_EE10hipError_tPvRmT2_T3_T4_T5_mT6_T7_P12ihipStream_tbENKUlT_T0_E_clISt17integral_constantIbLb1EES13_EEDaSY_SZ_EUlSY_E_NS1_11comp_targetILNS1_3genE0ELNS1_11target_archE4294967295ELNS1_3gpuE0ELNS1_3repE0EEENS1_30default_config_static_selectorELNS0_4arch9wavefront6targetE0EEEvT1_.num_named_barrier, 0
	.set _ZN7rocprim17ROCPRIM_400000_NS6detail17trampoline_kernelINS0_14default_configENS1_27scan_by_key_config_selectorIj11FixedVectorIiLj8EEEEZZNS1_16scan_by_key_implILNS1_25lookback_scan_determinismE0ELb1ES3_N6thrust23THRUST_200600_302600_NS6detail15normal_iteratorINSB_10device_ptrIjEEEENSD_INSE_IS6_EEEESI_S6_NSB_4plusIvEENSB_8equal_toIvEES6_EE10hipError_tPvRmT2_T3_T4_T5_mT6_T7_P12ihipStream_tbENKUlT_T0_E_clISt17integral_constantIbLb1EES13_EEDaSY_SZ_EUlSY_E_NS1_11comp_targetILNS1_3genE0ELNS1_11target_archE4294967295ELNS1_3gpuE0ELNS1_3repE0EEENS1_30default_config_static_selectorELNS0_4arch9wavefront6targetE0EEEvT1_.private_seg_size, 0
	.set _ZN7rocprim17ROCPRIM_400000_NS6detail17trampoline_kernelINS0_14default_configENS1_27scan_by_key_config_selectorIj11FixedVectorIiLj8EEEEZZNS1_16scan_by_key_implILNS1_25lookback_scan_determinismE0ELb1ES3_N6thrust23THRUST_200600_302600_NS6detail15normal_iteratorINSB_10device_ptrIjEEEENSD_INSE_IS6_EEEESI_S6_NSB_4plusIvEENSB_8equal_toIvEES6_EE10hipError_tPvRmT2_T3_T4_T5_mT6_T7_P12ihipStream_tbENKUlT_T0_E_clISt17integral_constantIbLb1EES13_EEDaSY_SZ_EUlSY_E_NS1_11comp_targetILNS1_3genE0ELNS1_11target_archE4294967295ELNS1_3gpuE0ELNS1_3repE0EEENS1_30default_config_static_selectorELNS0_4arch9wavefront6targetE0EEEvT1_.uses_vcc, 0
	.set _ZN7rocprim17ROCPRIM_400000_NS6detail17trampoline_kernelINS0_14default_configENS1_27scan_by_key_config_selectorIj11FixedVectorIiLj8EEEEZZNS1_16scan_by_key_implILNS1_25lookback_scan_determinismE0ELb1ES3_N6thrust23THRUST_200600_302600_NS6detail15normal_iteratorINSB_10device_ptrIjEEEENSD_INSE_IS6_EEEESI_S6_NSB_4plusIvEENSB_8equal_toIvEES6_EE10hipError_tPvRmT2_T3_T4_T5_mT6_T7_P12ihipStream_tbENKUlT_T0_E_clISt17integral_constantIbLb1EES13_EEDaSY_SZ_EUlSY_E_NS1_11comp_targetILNS1_3genE0ELNS1_11target_archE4294967295ELNS1_3gpuE0ELNS1_3repE0EEENS1_30default_config_static_selectorELNS0_4arch9wavefront6targetE0EEEvT1_.uses_flat_scratch, 0
	.set _ZN7rocprim17ROCPRIM_400000_NS6detail17trampoline_kernelINS0_14default_configENS1_27scan_by_key_config_selectorIj11FixedVectorIiLj8EEEEZZNS1_16scan_by_key_implILNS1_25lookback_scan_determinismE0ELb1ES3_N6thrust23THRUST_200600_302600_NS6detail15normal_iteratorINSB_10device_ptrIjEEEENSD_INSE_IS6_EEEESI_S6_NSB_4plusIvEENSB_8equal_toIvEES6_EE10hipError_tPvRmT2_T3_T4_T5_mT6_T7_P12ihipStream_tbENKUlT_T0_E_clISt17integral_constantIbLb1EES13_EEDaSY_SZ_EUlSY_E_NS1_11comp_targetILNS1_3genE0ELNS1_11target_archE4294967295ELNS1_3gpuE0ELNS1_3repE0EEENS1_30default_config_static_selectorELNS0_4arch9wavefront6targetE0EEEvT1_.has_dyn_sized_stack, 0
	.set _ZN7rocprim17ROCPRIM_400000_NS6detail17trampoline_kernelINS0_14default_configENS1_27scan_by_key_config_selectorIj11FixedVectorIiLj8EEEEZZNS1_16scan_by_key_implILNS1_25lookback_scan_determinismE0ELb1ES3_N6thrust23THRUST_200600_302600_NS6detail15normal_iteratorINSB_10device_ptrIjEEEENSD_INSE_IS6_EEEESI_S6_NSB_4plusIvEENSB_8equal_toIvEES6_EE10hipError_tPvRmT2_T3_T4_T5_mT6_T7_P12ihipStream_tbENKUlT_T0_E_clISt17integral_constantIbLb1EES13_EEDaSY_SZ_EUlSY_E_NS1_11comp_targetILNS1_3genE0ELNS1_11target_archE4294967295ELNS1_3gpuE0ELNS1_3repE0EEENS1_30default_config_static_selectorELNS0_4arch9wavefront6targetE0EEEvT1_.has_recursion, 0
	.set _ZN7rocprim17ROCPRIM_400000_NS6detail17trampoline_kernelINS0_14default_configENS1_27scan_by_key_config_selectorIj11FixedVectorIiLj8EEEEZZNS1_16scan_by_key_implILNS1_25lookback_scan_determinismE0ELb1ES3_N6thrust23THRUST_200600_302600_NS6detail15normal_iteratorINSB_10device_ptrIjEEEENSD_INSE_IS6_EEEESI_S6_NSB_4plusIvEENSB_8equal_toIvEES6_EE10hipError_tPvRmT2_T3_T4_T5_mT6_T7_P12ihipStream_tbENKUlT_T0_E_clISt17integral_constantIbLb1EES13_EEDaSY_SZ_EUlSY_E_NS1_11comp_targetILNS1_3genE0ELNS1_11target_archE4294967295ELNS1_3gpuE0ELNS1_3repE0EEENS1_30default_config_static_selectorELNS0_4arch9wavefront6targetE0EEEvT1_.has_indirect_call, 0
	.section	.AMDGPU.csdata,"",@progbits
; Kernel info:
; codeLenInByte = 0
; TotalNumSgprs: 0
; NumVgprs: 0
; ScratchSize: 0
; MemoryBound: 0
; FloatMode: 240
; IeeeMode: 1
; LDSByteSize: 0 bytes/workgroup (compile time only)
; SGPRBlocks: 0
; VGPRBlocks: 0
; NumSGPRsForWavesPerEU: 1
; NumVGPRsForWavesPerEU: 1
; Occupancy: 16
; WaveLimiterHint : 0
; COMPUTE_PGM_RSRC2:SCRATCH_EN: 0
; COMPUTE_PGM_RSRC2:USER_SGPR: 6
; COMPUTE_PGM_RSRC2:TRAP_HANDLER: 0
; COMPUTE_PGM_RSRC2:TGID_X_EN: 1
; COMPUTE_PGM_RSRC2:TGID_Y_EN: 0
; COMPUTE_PGM_RSRC2:TGID_Z_EN: 0
; COMPUTE_PGM_RSRC2:TIDIG_COMP_CNT: 0
	.section	.text._ZN7rocprim17ROCPRIM_400000_NS6detail17trampoline_kernelINS0_14default_configENS1_27scan_by_key_config_selectorIj11FixedVectorIiLj8EEEEZZNS1_16scan_by_key_implILNS1_25lookback_scan_determinismE0ELb1ES3_N6thrust23THRUST_200600_302600_NS6detail15normal_iteratorINSB_10device_ptrIjEEEENSD_INSE_IS6_EEEESI_S6_NSB_4plusIvEENSB_8equal_toIvEES6_EE10hipError_tPvRmT2_T3_T4_T5_mT6_T7_P12ihipStream_tbENKUlT_T0_E_clISt17integral_constantIbLb1EES13_EEDaSY_SZ_EUlSY_E_NS1_11comp_targetILNS1_3genE10ELNS1_11target_archE1201ELNS1_3gpuE5ELNS1_3repE0EEENS1_30default_config_static_selectorELNS0_4arch9wavefront6targetE0EEEvT1_,"axG",@progbits,_ZN7rocprim17ROCPRIM_400000_NS6detail17trampoline_kernelINS0_14default_configENS1_27scan_by_key_config_selectorIj11FixedVectorIiLj8EEEEZZNS1_16scan_by_key_implILNS1_25lookback_scan_determinismE0ELb1ES3_N6thrust23THRUST_200600_302600_NS6detail15normal_iteratorINSB_10device_ptrIjEEEENSD_INSE_IS6_EEEESI_S6_NSB_4plusIvEENSB_8equal_toIvEES6_EE10hipError_tPvRmT2_T3_T4_T5_mT6_T7_P12ihipStream_tbENKUlT_T0_E_clISt17integral_constantIbLb1EES13_EEDaSY_SZ_EUlSY_E_NS1_11comp_targetILNS1_3genE10ELNS1_11target_archE1201ELNS1_3gpuE5ELNS1_3repE0EEENS1_30default_config_static_selectorELNS0_4arch9wavefront6targetE0EEEvT1_,comdat
	.protected	_ZN7rocprim17ROCPRIM_400000_NS6detail17trampoline_kernelINS0_14default_configENS1_27scan_by_key_config_selectorIj11FixedVectorIiLj8EEEEZZNS1_16scan_by_key_implILNS1_25lookback_scan_determinismE0ELb1ES3_N6thrust23THRUST_200600_302600_NS6detail15normal_iteratorINSB_10device_ptrIjEEEENSD_INSE_IS6_EEEESI_S6_NSB_4plusIvEENSB_8equal_toIvEES6_EE10hipError_tPvRmT2_T3_T4_T5_mT6_T7_P12ihipStream_tbENKUlT_T0_E_clISt17integral_constantIbLb1EES13_EEDaSY_SZ_EUlSY_E_NS1_11comp_targetILNS1_3genE10ELNS1_11target_archE1201ELNS1_3gpuE5ELNS1_3repE0EEENS1_30default_config_static_selectorELNS0_4arch9wavefront6targetE0EEEvT1_ ; -- Begin function _ZN7rocprim17ROCPRIM_400000_NS6detail17trampoline_kernelINS0_14default_configENS1_27scan_by_key_config_selectorIj11FixedVectorIiLj8EEEEZZNS1_16scan_by_key_implILNS1_25lookback_scan_determinismE0ELb1ES3_N6thrust23THRUST_200600_302600_NS6detail15normal_iteratorINSB_10device_ptrIjEEEENSD_INSE_IS6_EEEESI_S6_NSB_4plusIvEENSB_8equal_toIvEES6_EE10hipError_tPvRmT2_T3_T4_T5_mT6_T7_P12ihipStream_tbENKUlT_T0_E_clISt17integral_constantIbLb1EES13_EEDaSY_SZ_EUlSY_E_NS1_11comp_targetILNS1_3genE10ELNS1_11target_archE1201ELNS1_3gpuE5ELNS1_3repE0EEENS1_30default_config_static_selectorELNS0_4arch9wavefront6targetE0EEEvT1_
	.globl	_ZN7rocprim17ROCPRIM_400000_NS6detail17trampoline_kernelINS0_14default_configENS1_27scan_by_key_config_selectorIj11FixedVectorIiLj8EEEEZZNS1_16scan_by_key_implILNS1_25lookback_scan_determinismE0ELb1ES3_N6thrust23THRUST_200600_302600_NS6detail15normal_iteratorINSB_10device_ptrIjEEEENSD_INSE_IS6_EEEESI_S6_NSB_4plusIvEENSB_8equal_toIvEES6_EE10hipError_tPvRmT2_T3_T4_T5_mT6_T7_P12ihipStream_tbENKUlT_T0_E_clISt17integral_constantIbLb1EES13_EEDaSY_SZ_EUlSY_E_NS1_11comp_targetILNS1_3genE10ELNS1_11target_archE1201ELNS1_3gpuE5ELNS1_3repE0EEENS1_30default_config_static_selectorELNS0_4arch9wavefront6targetE0EEEvT1_
	.p2align	8
	.type	_ZN7rocprim17ROCPRIM_400000_NS6detail17trampoline_kernelINS0_14default_configENS1_27scan_by_key_config_selectorIj11FixedVectorIiLj8EEEEZZNS1_16scan_by_key_implILNS1_25lookback_scan_determinismE0ELb1ES3_N6thrust23THRUST_200600_302600_NS6detail15normal_iteratorINSB_10device_ptrIjEEEENSD_INSE_IS6_EEEESI_S6_NSB_4plusIvEENSB_8equal_toIvEES6_EE10hipError_tPvRmT2_T3_T4_T5_mT6_T7_P12ihipStream_tbENKUlT_T0_E_clISt17integral_constantIbLb1EES13_EEDaSY_SZ_EUlSY_E_NS1_11comp_targetILNS1_3genE10ELNS1_11target_archE1201ELNS1_3gpuE5ELNS1_3repE0EEENS1_30default_config_static_selectorELNS0_4arch9wavefront6targetE0EEEvT1_,@function
_ZN7rocprim17ROCPRIM_400000_NS6detail17trampoline_kernelINS0_14default_configENS1_27scan_by_key_config_selectorIj11FixedVectorIiLj8EEEEZZNS1_16scan_by_key_implILNS1_25lookback_scan_determinismE0ELb1ES3_N6thrust23THRUST_200600_302600_NS6detail15normal_iteratorINSB_10device_ptrIjEEEENSD_INSE_IS6_EEEESI_S6_NSB_4plusIvEENSB_8equal_toIvEES6_EE10hipError_tPvRmT2_T3_T4_T5_mT6_T7_P12ihipStream_tbENKUlT_T0_E_clISt17integral_constantIbLb1EES13_EEDaSY_SZ_EUlSY_E_NS1_11comp_targetILNS1_3genE10ELNS1_11target_archE1201ELNS1_3gpuE5ELNS1_3repE0EEENS1_30default_config_static_selectorELNS0_4arch9wavefront6targetE0EEEvT1_: ; @_ZN7rocprim17ROCPRIM_400000_NS6detail17trampoline_kernelINS0_14default_configENS1_27scan_by_key_config_selectorIj11FixedVectorIiLj8EEEEZZNS1_16scan_by_key_implILNS1_25lookback_scan_determinismE0ELb1ES3_N6thrust23THRUST_200600_302600_NS6detail15normal_iteratorINSB_10device_ptrIjEEEENSD_INSE_IS6_EEEESI_S6_NSB_4plusIvEENSB_8equal_toIvEES6_EE10hipError_tPvRmT2_T3_T4_T5_mT6_T7_P12ihipStream_tbENKUlT_T0_E_clISt17integral_constantIbLb1EES13_EEDaSY_SZ_EUlSY_E_NS1_11comp_targetILNS1_3genE10ELNS1_11target_archE1201ELNS1_3gpuE5ELNS1_3repE0EEENS1_30default_config_static_selectorELNS0_4arch9wavefront6targetE0EEEvT1_
; %bb.0:
	.section	.rodata,"a",@progbits
	.p2align	6, 0x0
	.amdhsa_kernel _ZN7rocprim17ROCPRIM_400000_NS6detail17trampoline_kernelINS0_14default_configENS1_27scan_by_key_config_selectorIj11FixedVectorIiLj8EEEEZZNS1_16scan_by_key_implILNS1_25lookback_scan_determinismE0ELb1ES3_N6thrust23THRUST_200600_302600_NS6detail15normal_iteratorINSB_10device_ptrIjEEEENSD_INSE_IS6_EEEESI_S6_NSB_4plusIvEENSB_8equal_toIvEES6_EE10hipError_tPvRmT2_T3_T4_T5_mT6_T7_P12ihipStream_tbENKUlT_T0_E_clISt17integral_constantIbLb1EES13_EEDaSY_SZ_EUlSY_E_NS1_11comp_targetILNS1_3genE10ELNS1_11target_archE1201ELNS1_3gpuE5ELNS1_3repE0EEENS1_30default_config_static_selectorELNS0_4arch9wavefront6targetE0EEEvT1_
		.amdhsa_group_segment_fixed_size 0
		.amdhsa_private_segment_fixed_size 0
		.amdhsa_kernarg_size 160
		.amdhsa_user_sgpr_count 6
		.amdhsa_user_sgpr_private_segment_buffer 1
		.amdhsa_user_sgpr_dispatch_ptr 0
		.amdhsa_user_sgpr_queue_ptr 0
		.amdhsa_user_sgpr_kernarg_segment_ptr 1
		.amdhsa_user_sgpr_dispatch_id 0
		.amdhsa_user_sgpr_flat_scratch_init 0
		.amdhsa_user_sgpr_private_segment_size 0
		.amdhsa_wavefront_size32 1
		.amdhsa_uses_dynamic_stack 0
		.amdhsa_system_sgpr_private_segment_wavefront_offset 0
		.amdhsa_system_sgpr_workgroup_id_x 1
		.amdhsa_system_sgpr_workgroup_id_y 0
		.amdhsa_system_sgpr_workgroup_id_z 0
		.amdhsa_system_sgpr_workgroup_info 0
		.amdhsa_system_vgpr_workitem_id 0
		.amdhsa_next_free_vgpr 1
		.amdhsa_next_free_sgpr 1
		.amdhsa_reserve_vcc 0
		.amdhsa_reserve_flat_scratch 0
		.amdhsa_float_round_mode_32 0
		.amdhsa_float_round_mode_16_64 0
		.amdhsa_float_denorm_mode_32 3
		.amdhsa_float_denorm_mode_16_64 3
		.amdhsa_dx10_clamp 1
		.amdhsa_ieee_mode 1
		.amdhsa_fp16_overflow 0
		.amdhsa_workgroup_processor_mode 1
		.amdhsa_memory_ordered 1
		.amdhsa_forward_progress 1
		.amdhsa_shared_vgpr_count 0
		.amdhsa_exception_fp_ieee_invalid_op 0
		.amdhsa_exception_fp_denorm_src 0
		.amdhsa_exception_fp_ieee_div_zero 0
		.amdhsa_exception_fp_ieee_overflow 0
		.amdhsa_exception_fp_ieee_underflow 0
		.amdhsa_exception_fp_ieee_inexact 0
		.amdhsa_exception_int_div_zero 0
	.end_amdhsa_kernel
	.section	.text._ZN7rocprim17ROCPRIM_400000_NS6detail17trampoline_kernelINS0_14default_configENS1_27scan_by_key_config_selectorIj11FixedVectorIiLj8EEEEZZNS1_16scan_by_key_implILNS1_25lookback_scan_determinismE0ELb1ES3_N6thrust23THRUST_200600_302600_NS6detail15normal_iteratorINSB_10device_ptrIjEEEENSD_INSE_IS6_EEEESI_S6_NSB_4plusIvEENSB_8equal_toIvEES6_EE10hipError_tPvRmT2_T3_T4_T5_mT6_T7_P12ihipStream_tbENKUlT_T0_E_clISt17integral_constantIbLb1EES13_EEDaSY_SZ_EUlSY_E_NS1_11comp_targetILNS1_3genE10ELNS1_11target_archE1201ELNS1_3gpuE5ELNS1_3repE0EEENS1_30default_config_static_selectorELNS0_4arch9wavefront6targetE0EEEvT1_,"axG",@progbits,_ZN7rocprim17ROCPRIM_400000_NS6detail17trampoline_kernelINS0_14default_configENS1_27scan_by_key_config_selectorIj11FixedVectorIiLj8EEEEZZNS1_16scan_by_key_implILNS1_25lookback_scan_determinismE0ELb1ES3_N6thrust23THRUST_200600_302600_NS6detail15normal_iteratorINSB_10device_ptrIjEEEENSD_INSE_IS6_EEEESI_S6_NSB_4plusIvEENSB_8equal_toIvEES6_EE10hipError_tPvRmT2_T3_T4_T5_mT6_T7_P12ihipStream_tbENKUlT_T0_E_clISt17integral_constantIbLb1EES13_EEDaSY_SZ_EUlSY_E_NS1_11comp_targetILNS1_3genE10ELNS1_11target_archE1201ELNS1_3gpuE5ELNS1_3repE0EEENS1_30default_config_static_selectorELNS0_4arch9wavefront6targetE0EEEvT1_,comdat
.Lfunc_end2167:
	.size	_ZN7rocprim17ROCPRIM_400000_NS6detail17trampoline_kernelINS0_14default_configENS1_27scan_by_key_config_selectorIj11FixedVectorIiLj8EEEEZZNS1_16scan_by_key_implILNS1_25lookback_scan_determinismE0ELb1ES3_N6thrust23THRUST_200600_302600_NS6detail15normal_iteratorINSB_10device_ptrIjEEEENSD_INSE_IS6_EEEESI_S6_NSB_4plusIvEENSB_8equal_toIvEES6_EE10hipError_tPvRmT2_T3_T4_T5_mT6_T7_P12ihipStream_tbENKUlT_T0_E_clISt17integral_constantIbLb1EES13_EEDaSY_SZ_EUlSY_E_NS1_11comp_targetILNS1_3genE10ELNS1_11target_archE1201ELNS1_3gpuE5ELNS1_3repE0EEENS1_30default_config_static_selectorELNS0_4arch9wavefront6targetE0EEEvT1_, .Lfunc_end2167-_ZN7rocprim17ROCPRIM_400000_NS6detail17trampoline_kernelINS0_14default_configENS1_27scan_by_key_config_selectorIj11FixedVectorIiLj8EEEEZZNS1_16scan_by_key_implILNS1_25lookback_scan_determinismE0ELb1ES3_N6thrust23THRUST_200600_302600_NS6detail15normal_iteratorINSB_10device_ptrIjEEEENSD_INSE_IS6_EEEESI_S6_NSB_4plusIvEENSB_8equal_toIvEES6_EE10hipError_tPvRmT2_T3_T4_T5_mT6_T7_P12ihipStream_tbENKUlT_T0_E_clISt17integral_constantIbLb1EES13_EEDaSY_SZ_EUlSY_E_NS1_11comp_targetILNS1_3genE10ELNS1_11target_archE1201ELNS1_3gpuE5ELNS1_3repE0EEENS1_30default_config_static_selectorELNS0_4arch9wavefront6targetE0EEEvT1_
                                        ; -- End function
	.set _ZN7rocprim17ROCPRIM_400000_NS6detail17trampoline_kernelINS0_14default_configENS1_27scan_by_key_config_selectorIj11FixedVectorIiLj8EEEEZZNS1_16scan_by_key_implILNS1_25lookback_scan_determinismE0ELb1ES3_N6thrust23THRUST_200600_302600_NS6detail15normal_iteratorINSB_10device_ptrIjEEEENSD_INSE_IS6_EEEESI_S6_NSB_4plusIvEENSB_8equal_toIvEES6_EE10hipError_tPvRmT2_T3_T4_T5_mT6_T7_P12ihipStream_tbENKUlT_T0_E_clISt17integral_constantIbLb1EES13_EEDaSY_SZ_EUlSY_E_NS1_11comp_targetILNS1_3genE10ELNS1_11target_archE1201ELNS1_3gpuE5ELNS1_3repE0EEENS1_30default_config_static_selectorELNS0_4arch9wavefront6targetE0EEEvT1_.num_vgpr, 0
	.set _ZN7rocprim17ROCPRIM_400000_NS6detail17trampoline_kernelINS0_14default_configENS1_27scan_by_key_config_selectorIj11FixedVectorIiLj8EEEEZZNS1_16scan_by_key_implILNS1_25lookback_scan_determinismE0ELb1ES3_N6thrust23THRUST_200600_302600_NS6detail15normal_iteratorINSB_10device_ptrIjEEEENSD_INSE_IS6_EEEESI_S6_NSB_4plusIvEENSB_8equal_toIvEES6_EE10hipError_tPvRmT2_T3_T4_T5_mT6_T7_P12ihipStream_tbENKUlT_T0_E_clISt17integral_constantIbLb1EES13_EEDaSY_SZ_EUlSY_E_NS1_11comp_targetILNS1_3genE10ELNS1_11target_archE1201ELNS1_3gpuE5ELNS1_3repE0EEENS1_30default_config_static_selectorELNS0_4arch9wavefront6targetE0EEEvT1_.num_agpr, 0
	.set _ZN7rocprim17ROCPRIM_400000_NS6detail17trampoline_kernelINS0_14default_configENS1_27scan_by_key_config_selectorIj11FixedVectorIiLj8EEEEZZNS1_16scan_by_key_implILNS1_25lookback_scan_determinismE0ELb1ES3_N6thrust23THRUST_200600_302600_NS6detail15normal_iteratorINSB_10device_ptrIjEEEENSD_INSE_IS6_EEEESI_S6_NSB_4plusIvEENSB_8equal_toIvEES6_EE10hipError_tPvRmT2_T3_T4_T5_mT6_T7_P12ihipStream_tbENKUlT_T0_E_clISt17integral_constantIbLb1EES13_EEDaSY_SZ_EUlSY_E_NS1_11comp_targetILNS1_3genE10ELNS1_11target_archE1201ELNS1_3gpuE5ELNS1_3repE0EEENS1_30default_config_static_selectorELNS0_4arch9wavefront6targetE0EEEvT1_.numbered_sgpr, 0
	.set _ZN7rocprim17ROCPRIM_400000_NS6detail17trampoline_kernelINS0_14default_configENS1_27scan_by_key_config_selectorIj11FixedVectorIiLj8EEEEZZNS1_16scan_by_key_implILNS1_25lookback_scan_determinismE0ELb1ES3_N6thrust23THRUST_200600_302600_NS6detail15normal_iteratorINSB_10device_ptrIjEEEENSD_INSE_IS6_EEEESI_S6_NSB_4plusIvEENSB_8equal_toIvEES6_EE10hipError_tPvRmT2_T3_T4_T5_mT6_T7_P12ihipStream_tbENKUlT_T0_E_clISt17integral_constantIbLb1EES13_EEDaSY_SZ_EUlSY_E_NS1_11comp_targetILNS1_3genE10ELNS1_11target_archE1201ELNS1_3gpuE5ELNS1_3repE0EEENS1_30default_config_static_selectorELNS0_4arch9wavefront6targetE0EEEvT1_.num_named_barrier, 0
	.set _ZN7rocprim17ROCPRIM_400000_NS6detail17trampoline_kernelINS0_14default_configENS1_27scan_by_key_config_selectorIj11FixedVectorIiLj8EEEEZZNS1_16scan_by_key_implILNS1_25lookback_scan_determinismE0ELb1ES3_N6thrust23THRUST_200600_302600_NS6detail15normal_iteratorINSB_10device_ptrIjEEEENSD_INSE_IS6_EEEESI_S6_NSB_4plusIvEENSB_8equal_toIvEES6_EE10hipError_tPvRmT2_T3_T4_T5_mT6_T7_P12ihipStream_tbENKUlT_T0_E_clISt17integral_constantIbLb1EES13_EEDaSY_SZ_EUlSY_E_NS1_11comp_targetILNS1_3genE10ELNS1_11target_archE1201ELNS1_3gpuE5ELNS1_3repE0EEENS1_30default_config_static_selectorELNS0_4arch9wavefront6targetE0EEEvT1_.private_seg_size, 0
	.set _ZN7rocprim17ROCPRIM_400000_NS6detail17trampoline_kernelINS0_14default_configENS1_27scan_by_key_config_selectorIj11FixedVectorIiLj8EEEEZZNS1_16scan_by_key_implILNS1_25lookback_scan_determinismE0ELb1ES3_N6thrust23THRUST_200600_302600_NS6detail15normal_iteratorINSB_10device_ptrIjEEEENSD_INSE_IS6_EEEESI_S6_NSB_4plusIvEENSB_8equal_toIvEES6_EE10hipError_tPvRmT2_T3_T4_T5_mT6_T7_P12ihipStream_tbENKUlT_T0_E_clISt17integral_constantIbLb1EES13_EEDaSY_SZ_EUlSY_E_NS1_11comp_targetILNS1_3genE10ELNS1_11target_archE1201ELNS1_3gpuE5ELNS1_3repE0EEENS1_30default_config_static_selectorELNS0_4arch9wavefront6targetE0EEEvT1_.uses_vcc, 0
	.set _ZN7rocprim17ROCPRIM_400000_NS6detail17trampoline_kernelINS0_14default_configENS1_27scan_by_key_config_selectorIj11FixedVectorIiLj8EEEEZZNS1_16scan_by_key_implILNS1_25lookback_scan_determinismE0ELb1ES3_N6thrust23THRUST_200600_302600_NS6detail15normal_iteratorINSB_10device_ptrIjEEEENSD_INSE_IS6_EEEESI_S6_NSB_4plusIvEENSB_8equal_toIvEES6_EE10hipError_tPvRmT2_T3_T4_T5_mT6_T7_P12ihipStream_tbENKUlT_T0_E_clISt17integral_constantIbLb1EES13_EEDaSY_SZ_EUlSY_E_NS1_11comp_targetILNS1_3genE10ELNS1_11target_archE1201ELNS1_3gpuE5ELNS1_3repE0EEENS1_30default_config_static_selectorELNS0_4arch9wavefront6targetE0EEEvT1_.uses_flat_scratch, 0
	.set _ZN7rocprim17ROCPRIM_400000_NS6detail17trampoline_kernelINS0_14default_configENS1_27scan_by_key_config_selectorIj11FixedVectorIiLj8EEEEZZNS1_16scan_by_key_implILNS1_25lookback_scan_determinismE0ELb1ES3_N6thrust23THRUST_200600_302600_NS6detail15normal_iteratorINSB_10device_ptrIjEEEENSD_INSE_IS6_EEEESI_S6_NSB_4plusIvEENSB_8equal_toIvEES6_EE10hipError_tPvRmT2_T3_T4_T5_mT6_T7_P12ihipStream_tbENKUlT_T0_E_clISt17integral_constantIbLb1EES13_EEDaSY_SZ_EUlSY_E_NS1_11comp_targetILNS1_3genE10ELNS1_11target_archE1201ELNS1_3gpuE5ELNS1_3repE0EEENS1_30default_config_static_selectorELNS0_4arch9wavefront6targetE0EEEvT1_.has_dyn_sized_stack, 0
	.set _ZN7rocprim17ROCPRIM_400000_NS6detail17trampoline_kernelINS0_14default_configENS1_27scan_by_key_config_selectorIj11FixedVectorIiLj8EEEEZZNS1_16scan_by_key_implILNS1_25lookback_scan_determinismE0ELb1ES3_N6thrust23THRUST_200600_302600_NS6detail15normal_iteratorINSB_10device_ptrIjEEEENSD_INSE_IS6_EEEESI_S6_NSB_4plusIvEENSB_8equal_toIvEES6_EE10hipError_tPvRmT2_T3_T4_T5_mT6_T7_P12ihipStream_tbENKUlT_T0_E_clISt17integral_constantIbLb1EES13_EEDaSY_SZ_EUlSY_E_NS1_11comp_targetILNS1_3genE10ELNS1_11target_archE1201ELNS1_3gpuE5ELNS1_3repE0EEENS1_30default_config_static_selectorELNS0_4arch9wavefront6targetE0EEEvT1_.has_recursion, 0
	.set _ZN7rocprim17ROCPRIM_400000_NS6detail17trampoline_kernelINS0_14default_configENS1_27scan_by_key_config_selectorIj11FixedVectorIiLj8EEEEZZNS1_16scan_by_key_implILNS1_25lookback_scan_determinismE0ELb1ES3_N6thrust23THRUST_200600_302600_NS6detail15normal_iteratorINSB_10device_ptrIjEEEENSD_INSE_IS6_EEEESI_S6_NSB_4plusIvEENSB_8equal_toIvEES6_EE10hipError_tPvRmT2_T3_T4_T5_mT6_T7_P12ihipStream_tbENKUlT_T0_E_clISt17integral_constantIbLb1EES13_EEDaSY_SZ_EUlSY_E_NS1_11comp_targetILNS1_3genE10ELNS1_11target_archE1201ELNS1_3gpuE5ELNS1_3repE0EEENS1_30default_config_static_selectorELNS0_4arch9wavefront6targetE0EEEvT1_.has_indirect_call, 0
	.section	.AMDGPU.csdata,"",@progbits
; Kernel info:
; codeLenInByte = 0
; TotalNumSgprs: 0
; NumVgprs: 0
; ScratchSize: 0
; MemoryBound: 0
; FloatMode: 240
; IeeeMode: 1
; LDSByteSize: 0 bytes/workgroup (compile time only)
; SGPRBlocks: 0
; VGPRBlocks: 0
; NumSGPRsForWavesPerEU: 1
; NumVGPRsForWavesPerEU: 1
; Occupancy: 16
; WaveLimiterHint : 0
; COMPUTE_PGM_RSRC2:SCRATCH_EN: 0
; COMPUTE_PGM_RSRC2:USER_SGPR: 6
; COMPUTE_PGM_RSRC2:TRAP_HANDLER: 0
; COMPUTE_PGM_RSRC2:TGID_X_EN: 1
; COMPUTE_PGM_RSRC2:TGID_Y_EN: 0
; COMPUTE_PGM_RSRC2:TGID_Z_EN: 0
; COMPUTE_PGM_RSRC2:TIDIG_COMP_CNT: 0
	.section	.text._ZN7rocprim17ROCPRIM_400000_NS6detail17trampoline_kernelINS0_14default_configENS1_27scan_by_key_config_selectorIj11FixedVectorIiLj8EEEEZZNS1_16scan_by_key_implILNS1_25lookback_scan_determinismE0ELb1ES3_N6thrust23THRUST_200600_302600_NS6detail15normal_iteratorINSB_10device_ptrIjEEEENSD_INSE_IS6_EEEESI_S6_NSB_4plusIvEENSB_8equal_toIvEES6_EE10hipError_tPvRmT2_T3_T4_T5_mT6_T7_P12ihipStream_tbENKUlT_T0_E_clISt17integral_constantIbLb1EES13_EEDaSY_SZ_EUlSY_E_NS1_11comp_targetILNS1_3genE5ELNS1_11target_archE942ELNS1_3gpuE9ELNS1_3repE0EEENS1_30default_config_static_selectorELNS0_4arch9wavefront6targetE0EEEvT1_,"axG",@progbits,_ZN7rocprim17ROCPRIM_400000_NS6detail17trampoline_kernelINS0_14default_configENS1_27scan_by_key_config_selectorIj11FixedVectorIiLj8EEEEZZNS1_16scan_by_key_implILNS1_25lookback_scan_determinismE0ELb1ES3_N6thrust23THRUST_200600_302600_NS6detail15normal_iteratorINSB_10device_ptrIjEEEENSD_INSE_IS6_EEEESI_S6_NSB_4plusIvEENSB_8equal_toIvEES6_EE10hipError_tPvRmT2_T3_T4_T5_mT6_T7_P12ihipStream_tbENKUlT_T0_E_clISt17integral_constantIbLb1EES13_EEDaSY_SZ_EUlSY_E_NS1_11comp_targetILNS1_3genE5ELNS1_11target_archE942ELNS1_3gpuE9ELNS1_3repE0EEENS1_30default_config_static_selectorELNS0_4arch9wavefront6targetE0EEEvT1_,comdat
	.protected	_ZN7rocprim17ROCPRIM_400000_NS6detail17trampoline_kernelINS0_14default_configENS1_27scan_by_key_config_selectorIj11FixedVectorIiLj8EEEEZZNS1_16scan_by_key_implILNS1_25lookback_scan_determinismE0ELb1ES3_N6thrust23THRUST_200600_302600_NS6detail15normal_iteratorINSB_10device_ptrIjEEEENSD_INSE_IS6_EEEESI_S6_NSB_4plusIvEENSB_8equal_toIvEES6_EE10hipError_tPvRmT2_T3_T4_T5_mT6_T7_P12ihipStream_tbENKUlT_T0_E_clISt17integral_constantIbLb1EES13_EEDaSY_SZ_EUlSY_E_NS1_11comp_targetILNS1_3genE5ELNS1_11target_archE942ELNS1_3gpuE9ELNS1_3repE0EEENS1_30default_config_static_selectorELNS0_4arch9wavefront6targetE0EEEvT1_ ; -- Begin function _ZN7rocprim17ROCPRIM_400000_NS6detail17trampoline_kernelINS0_14default_configENS1_27scan_by_key_config_selectorIj11FixedVectorIiLj8EEEEZZNS1_16scan_by_key_implILNS1_25lookback_scan_determinismE0ELb1ES3_N6thrust23THRUST_200600_302600_NS6detail15normal_iteratorINSB_10device_ptrIjEEEENSD_INSE_IS6_EEEESI_S6_NSB_4plusIvEENSB_8equal_toIvEES6_EE10hipError_tPvRmT2_T3_T4_T5_mT6_T7_P12ihipStream_tbENKUlT_T0_E_clISt17integral_constantIbLb1EES13_EEDaSY_SZ_EUlSY_E_NS1_11comp_targetILNS1_3genE5ELNS1_11target_archE942ELNS1_3gpuE9ELNS1_3repE0EEENS1_30default_config_static_selectorELNS0_4arch9wavefront6targetE0EEEvT1_
	.globl	_ZN7rocprim17ROCPRIM_400000_NS6detail17trampoline_kernelINS0_14default_configENS1_27scan_by_key_config_selectorIj11FixedVectorIiLj8EEEEZZNS1_16scan_by_key_implILNS1_25lookback_scan_determinismE0ELb1ES3_N6thrust23THRUST_200600_302600_NS6detail15normal_iteratorINSB_10device_ptrIjEEEENSD_INSE_IS6_EEEESI_S6_NSB_4plusIvEENSB_8equal_toIvEES6_EE10hipError_tPvRmT2_T3_T4_T5_mT6_T7_P12ihipStream_tbENKUlT_T0_E_clISt17integral_constantIbLb1EES13_EEDaSY_SZ_EUlSY_E_NS1_11comp_targetILNS1_3genE5ELNS1_11target_archE942ELNS1_3gpuE9ELNS1_3repE0EEENS1_30default_config_static_selectorELNS0_4arch9wavefront6targetE0EEEvT1_
	.p2align	8
	.type	_ZN7rocprim17ROCPRIM_400000_NS6detail17trampoline_kernelINS0_14default_configENS1_27scan_by_key_config_selectorIj11FixedVectorIiLj8EEEEZZNS1_16scan_by_key_implILNS1_25lookback_scan_determinismE0ELb1ES3_N6thrust23THRUST_200600_302600_NS6detail15normal_iteratorINSB_10device_ptrIjEEEENSD_INSE_IS6_EEEESI_S6_NSB_4plusIvEENSB_8equal_toIvEES6_EE10hipError_tPvRmT2_T3_T4_T5_mT6_T7_P12ihipStream_tbENKUlT_T0_E_clISt17integral_constantIbLb1EES13_EEDaSY_SZ_EUlSY_E_NS1_11comp_targetILNS1_3genE5ELNS1_11target_archE942ELNS1_3gpuE9ELNS1_3repE0EEENS1_30default_config_static_selectorELNS0_4arch9wavefront6targetE0EEEvT1_,@function
_ZN7rocprim17ROCPRIM_400000_NS6detail17trampoline_kernelINS0_14default_configENS1_27scan_by_key_config_selectorIj11FixedVectorIiLj8EEEEZZNS1_16scan_by_key_implILNS1_25lookback_scan_determinismE0ELb1ES3_N6thrust23THRUST_200600_302600_NS6detail15normal_iteratorINSB_10device_ptrIjEEEENSD_INSE_IS6_EEEESI_S6_NSB_4plusIvEENSB_8equal_toIvEES6_EE10hipError_tPvRmT2_T3_T4_T5_mT6_T7_P12ihipStream_tbENKUlT_T0_E_clISt17integral_constantIbLb1EES13_EEDaSY_SZ_EUlSY_E_NS1_11comp_targetILNS1_3genE5ELNS1_11target_archE942ELNS1_3gpuE9ELNS1_3repE0EEENS1_30default_config_static_selectorELNS0_4arch9wavefront6targetE0EEEvT1_: ; @_ZN7rocprim17ROCPRIM_400000_NS6detail17trampoline_kernelINS0_14default_configENS1_27scan_by_key_config_selectorIj11FixedVectorIiLj8EEEEZZNS1_16scan_by_key_implILNS1_25lookback_scan_determinismE0ELb1ES3_N6thrust23THRUST_200600_302600_NS6detail15normal_iteratorINSB_10device_ptrIjEEEENSD_INSE_IS6_EEEESI_S6_NSB_4plusIvEENSB_8equal_toIvEES6_EE10hipError_tPvRmT2_T3_T4_T5_mT6_T7_P12ihipStream_tbENKUlT_T0_E_clISt17integral_constantIbLb1EES13_EEDaSY_SZ_EUlSY_E_NS1_11comp_targetILNS1_3genE5ELNS1_11target_archE942ELNS1_3gpuE9ELNS1_3repE0EEENS1_30default_config_static_selectorELNS0_4arch9wavefront6targetE0EEEvT1_
; %bb.0:
	.section	.rodata,"a",@progbits
	.p2align	6, 0x0
	.amdhsa_kernel _ZN7rocprim17ROCPRIM_400000_NS6detail17trampoline_kernelINS0_14default_configENS1_27scan_by_key_config_selectorIj11FixedVectorIiLj8EEEEZZNS1_16scan_by_key_implILNS1_25lookback_scan_determinismE0ELb1ES3_N6thrust23THRUST_200600_302600_NS6detail15normal_iteratorINSB_10device_ptrIjEEEENSD_INSE_IS6_EEEESI_S6_NSB_4plusIvEENSB_8equal_toIvEES6_EE10hipError_tPvRmT2_T3_T4_T5_mT6_T7_P12ihipStream_tbENKUlT_T0_E_clISt17integral_constantIbLb1EES13_EEDaSY_SZ_EUlSY_E_NS1_11comp_targetILNS1_3genE5ELNS1_11target_archE942ELNS1_3gpuE9ELNS1_3repE0EEENS1_30default_config_static_selectorELNS0_4arch9wavefront6targetE0EEEvT1_
		.amdhsa_group_segment_fixed_size 0
		.amdhsa_private_segment_fixed_size 0
		.amdhsa_kernarg_size 160
		.amdhsa_user_sgpr_count 6
		.amdhsa_user_sgpr_private_segment_buffer 1
		.amdhsa_user_sgpr_dispatch_ptr 0
		.amdhsa_user_sgpr_queue_ptr 0
		.amdhsa_user_sgpr_kernarg_segment_ptr 1
		.amdhsa_user_sgpr_dispatch_id 0
		.amdhsa_user_sgpr_flat_scratch_init 0
		.amdhsa_user_sgpr_private_segment_size 0
		.amdhsa_wavefront_size32 1
		.amdhsa_uses_dynamic_stack 0
		.amdhsa_system_sgpr_private_segment_wavefront_offset 0
		.amdhsa_system_sgpr_workgroup_id_x 1
		.amdhsa_system_sgpr_workgroup_id_y 0
		.amdhsa_system_sgpr_workgroup_id_z 0
		.amdhsa_system_sgpr_workgroup_info 0
		.amdhsa_system_vgpr_workitem_id 0
		.amdhsa_next_free_vgpr 1
		.amdhsa_next_free_sgpr 1
		.amdhsa_reserve_vcc 0
		.amdhsa_reserve_flat_scratch 0
		.amdhsa_float_round_mode_32 0
		.amdhsa_float_round_mode_16_64 0
		.amdhsa_float_denorm_mode_32 3
		.amdhsa_float_denorm_mode_16_64 3
		.amdhsa_dx10_clamp 1
		.amdhsa_ieee_mode 1
		.amdhsa_fp16_overflow 0
		.amdhsa_workgroup_processor_mode 1
		.amdhsa_memory_ordered 1
		.amdhsa_forward_progress 1
		.amdhsa_shared_vgpr_count 0
		.amdhsa_exception_fp_ieee_invalid_op 0
		.amdhsa_exception_fp_denorm_src 0
		.amdhsa_exception_fp_ieee_div_zero 0
		.amdhsa_exception_fp_ieee_overflow 0
		.amdhsa_exception_fp_ieee_underflow 0
		.amdhsa_exception_fp_ieee_inexact 0
		.amdhsa_exception_int_div_zero 0
	.end_amdhsa_kernel
	.section	.text._ZN7rocprim17ROCPRIM_400000_NS6detail17trampoline_kernelINS0_14default_configENS1_27scan_by_key_config_selectorIj11FixedVectorIiLj8EEEEZZNS1_16scan_by_key_implILNS1_25lookback_scan_determinismE0ELb1ES3_N6thrust23THRUST_200600_302600_NS6detail15normal_iteratorINSB_10device_ptrIjEEEENSD_INSE_IS6_EEEESI_S6_NSB_4plusIvEENSB_8equal_toIvEES6_EE10hipError_tPvRmT2_T3_T4_T5_mT6_T7_P12ihipStream_tbENKUlT_T0_E_clISt17integral_constantIbLb1EES13_EEDaSY_SZ_EUlSY_E_NS1_11comp_targetILNS1_3genE5ELNS1_11target_archE942ELNS1_3gpuE9ELNS1_3repE0EEENS1_30default_config_static_selectorELNS0_4arch9wavefront6targetE0EEEvT1_,"axG",@progbits,_ZN7rocprim17ROCPRIM_400000_NS6detail17trampoline_kernelINS0_14default_configENS1_27scan_by_key_config_selectorIj11FixedVectorIiLj8EEEEZZNS1_16scan_by_key_implILNS1_25lookback_scan_determinismE0ELb1ES3_N6thrust23THRUST_200600_302600_NS6detail15normal_iteratorINSB_10device_ptrIjEEEENSD_INSE_IS6_EEEESI_S6_NSB_4plusIvEENSB_8equal_toIvEES6_EE10hipError_tPvRmT2_T3_T4_T5_mT6_T7_P12ihipStream_tbENKUlT_T0_E_clISt17integral_constantIbLb1EES13_EEDaSY_SZ_EUlSY_E_NS1_11comp_targetILNS1_3genE5ELNS1_11target_archE942ELNS1_3gpuE9ELNS1_3repE0EEENS1_30default_config_static_selectorELNS0_4arch9wavefront6targetE0EEEvT1_,comdat
.Lfunc_end2168:
	.size	_ZN7rocprim17ROCPRIM_400000_NS6detail17trampoline_kernelINS0_14default_configENS1_27scan_by_key_config_selectorIj11FixedVectorIiLj8EEEEZZNS1_16scan_by_key_implILNS1_25lookback_scan_determinismE0ELb1ES3_N6thrust23THRUST_200600_302600_NS6detail15normal_iteratorINSB_10device_ptrIjEEEENSD_INSE_IS6_EEEESI_S6_NSB_4plusIvEENSB_8equal_toIvEES6_EE10hipError_tPvRmT2_T3_T4_T5_mT6_T7_P12ihipStream_tbENKUlT_T0_E_clISt17integral_constantIbLb1EES13_EEDaSY_SZ_EUlSY_E_NS1_11comp_targetILNS1_3genE5ELNS1_11target_archE942ELNS1_3gpuE9ELNS1_3repE0EEENS1_30default_config_static_selectorELNS0_4arch9wavefront6targetE0EEEvT1_, .Lfunc_end2168-_ZN7rocprim17ROCPRIM_400000_NS6detail17trampoline_kernelINS0_14default_configENS1_27scan_by_key_config_selectorIj11FixedVectorIiLj8EEEEZZNS1_16scan_by_key_implILNS1_25lookback_scan_determinismE0ELb1ES3_N6thrust23THRUST_200600_302600_NS6detail15normal_iteratorINSB_10device_ptrIjEEEENSD_INSE_IS6_EEEESI_S6_NSB_4plusIvEENSB_8equal_toIvEES6_EE10hipError_tPvRmT2_T3_T4_T5_mT6_T7_P12ihipStream_tbENKUlT_T0_E_clISt17integral_constantIbLb1EES13_EEDaSY_SZ_EUlSY_E_NS1_11comp_targetILNS1_3genE5ELNS1_11target_archE942ELNS1_3gpuE9ELNS1_3repE0EEENS1_30default_config_static_selectorELNS0_4arch9wavefront6targetE0EEEvT1_
                                        ; -- End function
	.set _ZN7rocprim17ROCPRIM_400000_NS6detail17trampoline_kernelINS0_14default_configENS1_27scan_by_key_config_selectorIj11FixedVectorIiLj8EEEEZZNS1_16scan_by_key_implILNS1_25lookback_scan_determinismE0ELb1ES3_N6thrust23THRUST_200600_302600_NS6detail15normal_iteratorINSB_10device_ptrIjEEEENSD_INSE_IS6_EEEESI_S6_NSB_4plusIvEENSB_8equal_toIvEES6_EE10hipError_tPvRmT2_T3_T4_T5_mT6_T7_P12ihipStream_tbENKUlT_T0_E_clISt17integral_constantIbLb1EES13_EEDaSY_SZ_EUlSY_E_NS1_11comp_targetILNS1_3genE5ELNS1_11target_archE942ELNS1_3gpuE9ELNS1_3repE0EEENS1_30default_config_static_selectorELNS0_4arch9wavefront6targetE0EEEvT1_.num_vgpr, 0
	.set _ZN7rocprim17ROCPRIM_400000_NS6detail17trampoline_kernelINS0_14default_configENS1_27scan_by_key_config_selectorIj11FixedVectorIiLj8EEEEZZNS1_16scan_by_key_implILNS1_25lookback_scan_determinismE0ELb1ES3_N6thrust23THRUST_200600_302600_NS6detail15normal_iteratorINSB_10device_ptrIjEEEENSD_INSE_IS6_EEEESI_S6_NSB_4plusIvEENSB_8equal_toIvEES6_EE10hipError_tPvRmT2_T3_T4_T5_mT6_T7_P12ihipStream_tbENKUlT_T0_E_clISt17integral_constantIbLb1EES13_EEDaSY_SZ_EUlSY_E_NS1_11comp_targetILNS1_3genE5ELNS1_11target_archE942ELNS1_3gpuE9ELNS1_3repE0EEENS1_30default_config_static_selectorELNS0_4arch9wavefront6targetE0EEEvT1_.num_agpr, 0
	.set _ZN7rocprim17ROCPRIM_400000_NS6detail17trampoline_kernelINS0_14default_configENS1_27scan_by_key_config_selectorIj11FixedVectorIiLj8EEEEZZNS1_16scan_by_key_implILNS1_25lookback_scan_determinismE0ELb1ES3_N6thrust23THRUST_200600_302600_NS6detail15normal_iteratorINSB_10device_ptrIjEEEENSD_INSE_IS6_EEEESI_S6_NSB_4plusIvEENSB_8equal_toIvEES6_EE10hipError_tPvRmT2_T3_T4_T5_mT6_T7_P12ihipStream_tbENKUlT_T0_E_clISt17integral_constantIbLb1EES13_EEDaSY_SZ_EUlSY_E_NS1_11comp_targetILNS1_3genE5ELNS1_11target_archE942ELNS1_3gpuE9ELNS1_3repE0EEENS1_30default_config_static_selectorELNS0_4arch9wavefront6targetE0EEEvT1_.numbered_sgpr, 0
	.set _ZN7rocprim17ROCPRIM_400000_NS6detail17trampoline_kernelINS0_14default_configENS1_27scan_by_key_config_selectorIj11FixedVectorIiLj8EEEEZZNS1_16scan_by_key_implILNS1_25lookback_scan_determinismE0ELb1ES3_N6thrust23THRUST_200600_302600_NS6detail15normal_iteratorINSB_10device_ptrIjEEEENSD_INSE_IS6_EEEESI_S6_NSB_4plusIvEENSB_8equal_toIvEES6_EE10hipError_tPvRmT2_T3_T4_T5_mT6_T7_P12ihipStream_tbENKUlT_T0_E_clISt17integral_constantIbLb1EES13_EEDaSY_SZ_EUlSY_E_NS1_11comp_targetILNS1_3genE5ELNS1_11target_archE942ELNS1_3gpuE9ELNS1_3repE0EEENS1_30default_config_static_selectorELNS0_4arch9wavefront6targetE0EEEvT1_.num_named_barrier, 0
	.set _ZN7rocprim17ROCPRIM_400000_NS6detail17trampoline_kernelINS0_14default_configENS1_27scan_by_key_config_selectorIj11FixedVectorIiLj8EEEEZZNS1_16scan_by_key_implILNS1_25lookback_scan_determinismE0ELb1ES3_N6thrust23THRUST_200600_302600_NS6detail15normal_iteratorINSB_10device_ptrIjEEEENSD_INSE_IS6_EEEESI_S6_NSB_4plusIvEENSB_8equal_toIvEES6_EE10hipError_tPvRmT2_T3_T4_T5_mT6_T7_P12ihipStream_tbENKUlT_T0_E_clISt17integral_constantIbLb1EES13_EEDaSY_SZ_EUlSY_E_NS1_11comp_targetILNS1_3genE5ELNS1_11target_archE942ELNS1_3gpuE9ELNS1_3repE0EEENS1_30default_config_static_selectorELNS0_4arch9wavefront6targetE0EEEvT1_.private_seg_size, 0
	.set _ZN7rocprim17ROCPRIM_400000_NS6detail17trampoline_kernelINS0_14default_configENS1_27scan_by_key_config_selectorIj11FixedVectorIiLj8EEEEZZNS1_16scan_by_key_implILNS1_25lookback_scan_determinismE0ELb1ES3_N6thrust23THRUST_200600_302600_NS6detail15normal_iteratorINSB_10device_ptrIjEEEENSD_INSE_IS6_EEEESI_S6_NSB_4plusIvEENSB_8equal_toIvEES6_EE10hipError_tPvRmT2_T3_T4_T5_mT6_T7_P12ihipStream_tbENKUlT_T0_E_clISt17integral_constantIbLb1EES13_EEDaSY_SZ_EUlSY_E_NS1_11comp_targetILNS1_3genE5ELNS1_11target_archE942ELNS1_3gpuE9ELNS1_3repE0EEENS1_30default_config_static_selectorELNS0_4arch9wavefront6targetE0EEEvT1_.uses_vcc, 0
	.set _ZN7rocprim17ROCPRIM_400000_NS6detail17trampoline_kernelINS0_14default_configENS1_27scan_by_key_config_selectorIj11FixedVectorIiLj8EEEEZZNS1_16scan_by_key_implILNS1_25lookback_scan_determinismE0ELb1ES3_N6thrust23THRUST_200600_302600_NS6detail15normal_iteratorINSB_10device_ptrIjEEEENSD_INSE_IS6_EEEESI_S6_NSB_4plusIvEENSB_8equal_toIvEES6_EE10hipError_tPvRmT2_T3_T4_T5_mT6_T7_P12ihipStream_tbENKUlT_T0_E_clISt17integral_constantIbLb1EES13_EEDaSY_SZ_EUlSY_E_NS1_11comp_targetILNS1_3genE5ELNS1_11target_archE942ELNS1_3gpuE9ELNS1_3repE0EEENS1_30default_config_static_selectorELNS0_4arch9wavefront6targetE0EEEvT1_.uses_flat_scratch, 0
	.set _ZN7rocprim17ROCPRIM_400000_NS6detail17trampoline_kernelINS0_14default_configENS1_27scan_by_key_config_selectorIj11FixedVectorIiLj8EEEEZZNS1_16scan_by_key_implILNS1_25lookback_scan_determinismE0ELb1ES3_N6thrust23THRUST_200600_302600_NS6detail15normal_iteratorINSB_10device_ptrIjEEEENSD_INSE_IS6_EEEESI_S6_NSB_4plusIvEENSB_8equal_toIvEES6_EE10hipError_tPvRmT2_T3_T4_T5_mT6_T7_P12ihipStream_tbENKUlT_T0_E_clISt17integral_constantIbLb1EES13_EEDaSY_SZ_EUlSY_E_NS1_11comp_targetILNS1_3genE5ELNS1_11target_archE942ELNS1_3gpuE9ELNS1_3repE0EEENS1_30default_config_static_selectorELNS0_4arch9wavefront6targetE0EEEvT1_.has_dyn_sized_stack, 0
	.set _ZN7rocprim17ROCPRIM_400000_NS6detail17trampoline_kernelINS0_14default_configENS1_27scan_by_key_config_selectorIj11FixedVectorIiLj8EEEEZZNS1_16scan_by_key_implILNS1_25lookback_scan_determinismE0ELb1ES3_N6thrust23THRUST_200600_302600_NS6detail15normal_iteratorINSB_10device_ptrIjEEEENSD_INSE_IS6_EEEESI_S6_NSB_4plusIvEENSB_8equal_toIvEES6_EE10hipError_tPvRmT2_T3_T4_T5_mT6_T7_P12ihipStream_tbENKUlT_T0_E_clISt17integral_constantIbLb1EES13_EEDaSY_SZ_EUlSY_E_NS1_11comp_targetILNS1_3genE5ELNS1_11target_archE942ELNS1_3gpuE9ELNS1_3repE0EEENS1_30default_config_static_selectorELNS0_4arch9wavefront6targetE0EEEvT1_.has_recursion, 0
	.set _ZN7rocprim17ROCPRIM_400000_NS6detail17trampoline_kernelINS0_14default_configENS1_27scan_by_key_config_selectorIj11FixedVectorIiLj8EEEEZZNS1_16scan_by_key_implILNS1_25lookback_scan_determinismE0ELb1ES3_N6thrust23THRUST_200600_302600_NS6detail15normal_iteratorINSB_10device_ptrIjEEEENSD_INSE_IS6_EEEESI_S6_NSB_4plusIvEENSB_8equal_toIvEES6_EE10hipError_tPvRmT2_T3_T4_T5_mT6_T7_P12ihipStream_tbENKUlT_T0_E_clISt17integral_constantIbLb1EES13_EEDaSY_SZ_EUlSY_E_NS1_11comp_targetILNS1_3genE5ELNS1_11target_archE942ELNS1_3gpuE9ELNS1_3repE0EEENS1_30default_config_static_selectorELNS0_4arch9wavefront6targetE0EEEvT1_.has_indirect_call, 0
	.section	.AMDGPU.csdata,"",@progbits
; Kernel info:
; codeLenInByte = 0
; TotalNumSgprs: 0
; NumVgprs: 0
; ScratchSize: 0
; MemoryBound: 0
; FloatMode: 240
; IeeeMode: 1
; LDSByteSize: 0 bytes/workgroup (compile time only)
; SGPRBlocks: 0
; VGPRBlocks: 0
; NumSGPRsForWavesPerEU: 1
; NumVGPRsForWavesPerEU: 1
; Occupancy: 16
; WaveLimiterHint : 0
; COMPUTE_PGM_RSRC2:SCRATCH_EN: 0
; COMPUTE_PGM_RSRC2:USER_SGPR: 6
; COMPUTE_PGM_RSRC2:TRAP_HANDLER: 0
; COMPUTE_PGM_RSRC2:TGID_X_EN: 1
; COMPUTE_PGM_RSRC2:TGID_Y_EN: 0
; COMPUTE_PGM_RSRC2:TGID_Z_EN: 0
; COMPUTE_PGM_RSRC2:TIDIG_COMP_CNT: 0
	.section	.text._ZN7rocprim17ROCPRIM_400000_NS6detail17trampoline_kernelINS0_14default_configENS1_27scan_by_key_config_selectorIj11FixedVectorIiLj8EEEEZZNS1_16scan_by_key_implILNS1_25lookback_scan_determinismE0ELb1ES3_N6thrust23THRUST_200600_302600_NS6detail15normal_iteratorINSB_10device_ptrIjEEEENSD_INSE_IS6_EEEESI_S6_NSB_4plusIvEENSB_8equal_toIvEES6_EE10hipError_tPvRmT2_T3_T4_T5_mT6_T7_P12ihipStream_tbENKUlT_T0_E_clISt17integral_constantIbLb1EES13_EEDaSY_SZ_EUlSY_E_NS1_11comp_targetILNS1_3genE4ELNS1_11target_archE910ELNS1_3gpuE8ELNS1_3repE0EEENS1_30default_config_static_selectorELNS0_4arch9wavefront6targetE0EEEvT1_,"axG",@progbits,_ZN7rocprim17ROCPRIM_400000_NS6detail17trampoline_kernelINS0_14default_configENS1_27scan_by_key_config_selectorIj11FixedVectorIiLj8EEEEZZNS1_16scan_by_key_implILNS1_25lookback_scan_determinismE0ELb1ES3_N6thrust23THRUST_200600_302600_NS6detail15normal_iteratorINSB_10device_ptrIjEEEENSD_INSE_IS6_EEEESI_S6_NSB_4plusIvEENSB_8equal_toIvEES6_EE10hipError_tPvRmT2_T3_T4_T5_mT6_T7_P12ihipStream_tbENKUlT_T0_E_clISt17integral_constantIbLb1EES13_EEDaSY_SZ_EUlSY_E_NS1_11comp_targetILNS1_3genE4ELNS1_11target_archE910ELNS1_3gpuE8ELNS1_3repE0EEENS1_30default_config_static_selectorELNS0_4arch9wavefront6targetE0EEEvT1_,comdat
	.protected	_ZN7rocprim17ROCPRIM_400000_NS6detail17trampoline_kernelINS0_14default_configENS1_27scan_by_key_config_selectorIj11FixedVectorIiLj8EEEEZZNS1_16scan_by_key_implILNS1_25lookback_scan_determinismE0ELb1ES3_N6thrust23THRUST_200600_302600_NS6detail15normal_iteratorINSB_10device_ptrIjEEEENSD_INSE_IS6_EEEESI_S6_NSB_4plusIvEENSB_8equal_toIvEES6_EE10hipError_tPvRmT2_T3_T4_T5_mT6_T7_P12ihipStream_tbENKUlT_T0_E_clISt17integral_constantIbLb1EES13_EEDaSY_SZ_EUlSY_E_NS1_11comp_targetILNS1_3genE4ELNS1_11target_archE910ELNS1_3gpuE8ELNS1_3repE0EEENS1_30default_config_static_selectorELNS0_4arch9wavefront6targetE0EEEvT1_ ; -- Begin function _ZN7rocprim17ROCPRIM_400000_NS6detail17trampoline_kernelINS0_14default_configENS1_27scan_by_key_config_selectorIj11FixedVectorIiLj8EEEEZZNS1_16scan_by_key_implILNS1_25lookback_scan_determinismE0ELb1ES3_N6thrust23THRUST_200600_302600_NS6detail15normal_iteratorINSB_10device_ptrIjEEEENSD_INSE_IS6_EEEESI_S6_NSB_4plusIvEENSB_8equal_toIvEES6_EE10hipError_tPvRmT2_T3_T4_T5_mT6_T7_P12ihipStream_tbENKUlT_T0_E_clISt17integral_constantIbLb1EES13_EEDaSY_SZ_EUlSY_E_NS1_11comp_targetILNS1_3genE4ELNS1_11target_archE910ELNS1_3gpuE8ELNS1_3repE0EEENS1_30default_config_static_selectorELNS0_4arch9wavefront6targetE0EEEvT1_
	.globl	_ZN7rocprim17ROCPRIM_400000_NS6detail17trampoline_kernelINS0_14default_configENS1_27scan_by_key_config_selectorIj11FixedVectorIiLj8EEEEZZNS1_16scan_by_key_implILNS1_25lookback_scan_determinismE0ELb1ES3_N6thrust23THRUST_200600_302600_NS6detail15normal_iteratorINSB_10device_ptrIjEEEENSD_INSE_IS6_EEEESI_S6_NSB_4plusIvEENSB_8equal_toIvEES6_EE10hipError_tPvRmT2_T3_T4_T5_mT6_T7_P12ihipStream_tbENKUlT_T0_E_clISt17integral_constantIbLb1EES13_EEDaSY_SZ_EUlSY_E_NS1_11comp_targetILNS1_3genE4ELNS1_11target_archE910ELNS1_3gpuE8ELNS1_3repE0EEENS1_30default_config_static_selectorELNS0_4arch9wavefront6targetE0EEEvT1_
	.p2align	8
	.type	_ZN7rocprim17ROCPRIM_400000_NS6detail17trampoline_kernelINS0_14default_configENS1_27scan_by_key_config_selectorIj11FixedVectorIiLj8EEEEZZNS1_16scan_by_key_implILNS1_25lookback_scan_determinismE0ELb1ES3_N6thrust23THRUST_200600_302600_NS6detail15normal_iteratorINSB_10device_ptrIjEEEENSD_INSE_IS6_EEEESI_S6_NSB_4plusIvEENSB_8equal_toIvEES6_EE10hipError_tPvRmT2_T3_T4_T5_mT6_T7_P12ihipStream_tbENKUlT_T0_E_clISt17integral_constantIbLb1EES13_EEDaSY_SZ_EUlSY_E_NS1_11comp_targetILNS1_3genE4ELNS1_11target_archE910ELNS1_3gpuE8ELNS1_3repE0EEENS1_30default_config_static_selectorELNS0_4arch9wavefront6targetE0EEEvT1_,@function
_ZN7rocprim17ROCPRIM_400000_NS6detail17trampoline_kernelINS0_14default_configENS1_27scan_by_key_config_selectorIj11FixedVectorIiLj8EEEEZZNS1_16scan_by_key_implILNS1_25lookback_scan_determinismE0ELb1ES3_N6thrust23THRUST_200600_302600_NS6detail15normal_iteratorINSB_10device_ptrIjEEEENSD_INSE_IS6_EEEESI_S6_NSB_4plusIvEENSB_8equal_toIvEES6_EE10hipError_tPvRmT2_T3_T4_T5_mT6_T7_P12ihipStream_tbENKUlT_T0_E_clISt17integral_constantIbLb1EES13_EEDaSY_SZ_EUlSY_E_NS1_11comp_targetILNS1_3genE4ELNS1_11target_archE910ELNS1_3gpuE8ELNS1_3repE0EEENS1_30default_config_static_selectorELNS0_4arch9wavefront6targetE0EEEvT1_: ; @_ZN7rocprim17ROCPRIM_400000_NS6detail17trampoline_kernelINS0_14default_configENS1_27scan_by_key_config_selectorIj11FixedVectorIiLj8EEEEZZNS1_16scan_by_key_implILNS1_25lookback_scan_determinismE0ELb1ES3_N6thrust23THRUST_200600_302600_NS6detail15normal_iteratorINSB_10device_ptrIjEEEENSD_INSE_IS6_EEEESI_S6_NSB_4plusIvEENSB_8equal_toIvEES6_EE10hipError_tPvRmT2_T3_T4_T5_mT6_T7_P12ihipStream_tbENKUlT_T0_E_clISt17integral_constantIbLb1EES13_EEDaSY_SZ_EUlSY_E_NS1_11comp_targetILNS1_3genE4ELNS1_11target_archE910ELNS1_3gpuE8ELNS1_3repE0EEENS1_30default_config_static_selectorELNS0_4arch9wavefront6targetE0EEEvT1_
; %bb.0:
	.section	.rodata,"a",@progbits
	.p2align	6, 0x0
	.amdhsa_kernel _ZN7rocprim17ROCPRIM_400000_NS6detail17trampoline_kernelINS0_14default_configENS1_27scan_by_key_config_selectorIj11FixedVectorIiLj8EEEEZZNS1_16scan_by_key_implILNS1_25lookback_scan_determinismE0ELb1ES3_N6thrust23THRUST_200600_302600_NS6detail15normal_iteratorINSB_10device_ptrIjEEEENSD_INSE_IS6_EEEESI_S6_NSB_4plusIvEENSB_8equal_toIvEES6_EE10hipError_tPvRmT2_T3_T4_T5_mT6_T7_P12ihipStream_tbENKUlT_T0_E_clISt17integral_constantIbLb1EES13_EEDaSY_SZ_EUlSY_E_NS1_11comp_targetILNS1_3genE4ELNS1_11target_archE910ELNS1_3gpuE8ELNS1_3repE0EEENS1_30default_config_static_selectorELNS0_4arch9wavefront6targetE0EEEvT1_
		.amdhsa_group_segment_fixed_size 0
		.amdhsa_private_segment_fixed_size 0
		.amdhsa_kernarg_size 160
		.amdhsa_user_sgpr_count 6
		.amdhsa_user_sgpr_private_segment_buffer 1
		.amdhsa_user_sgpr_dispatch_ptr 0
		.amdhsa_user_sgpr_queue_ptr 0
		.amdhsa_user_sgpr_kernarg_segment_ptr 1
		.amdhsa_user_sgpr_dispatch_id 0
		.amdhsa_user_sgpr_flat_scratch_init 0
		.amdhsa_user_sgpr_private_segment_size 0
		.amdhsa_wavefront_size32 1
		.amdhsa_uses_dynamic_stack 0
		.amdhsa_system_sgpr_private_segment_wavefront_offset 0
		.amdhsa_system_sgpr_workgroup_id_x 1
		.amdhsa_system_sgpr_workgroup_id_y 0
		.amdhsa_system_sgpr_workgroup_id_z 0
		.amdhsa_system_sgpr_workgroup_info 0
		.amdhsa_system_vgpr_workitem_id 0
		.amdhsa_next_free_vgpr 1
		.amdhsa_next_free_sgpr 1
		.amdhsa_reserve_vcc 0
		.amdhsa_reserve_flat_scratch 0
		.amdhsa_float_round_mode_32 0
		.amdhsa_float_round_mode_16_64 0
		.amdhsa_float_denorm_mode_32 3
		.amdhsa_float_denorm_mode_16_64 3
		.amdhsa_dx10_clamp 1
		.amdhsa_ieee_mode 1
		.amdhsa_fp16_overflow 0
		.amdhsa_workgroup_processor_mode 1
		.amdhsa_memory_ordered 1
		.amdhsa_forward_progress 1
		.amdhsa_shared_vgpr_count 0
		.amdhsa_exception_fp_ieee_invalid_op 0
		.amdhsa_exception_fp_denorm_src 0
		.amdhsa_exception_fp_ieee_div_zero 0
		.amdhsa_exception_fp_ieee_overflow 0
		.amdhsa_exception_fp_ieee_underflow 0
		.amdhsa_exception_fp_ieee_inexact 0
		.amdhsa_exception_int_div_zero 0
	.end_amdhsa_kernel
	.section	.text._ZN7rocprim17ROCPRIM_400000_NS6detail17trampoline_kernelINS0_14default_configENS1_27scan_by_key_config_selectorIj11FixedVectorIiLj8EEEEZZNS1_16scan_by_key_implILNS1_25lookback_scan_determinismE0ELb1ES3_N6thrust23THRUST_200600_302600_NS6detail15normal_iteratorINSB_10device_ptrIjEEEENSD_INSE_IS6_EEEESI_S6_NSB_4plusIvEENSB_8equal_toIvEES6_EE10hipError_tPvRmT2_T3_T4_T5_mT6_T7_P12ihipStream_tbENKUlT_T0_E_clISt17integral_constantIbLb1EES13_EEDaSY_SZ_EUlSY_E_NS1_11comp_targetILNS1_3genE4ELNS1_11target_archE910ELNS1_3gpuE8ELNS1_3repE0EEENS1_30default_config_static_selectorELNS0_4arch9wavefront6targetE0EEEvT1_,"axG",@progbits,_ZN7rocprim17ROCPRIM_400000_NS6detail17trampoline_kernelINS0_14default_configENS1_27scan_by_key_config_selectorIj11FixedVectorIiLj8EEEEZZNS1_16scan_by_key_implILNS1_25lookback_scan_determinismE0ELb1ES3_N6thrust23THRUST_200600_302600_NS6detail15normal_iteratorINSB_10device_ptrIjEEEENSD_INSE_IS6_EEEESI_S6_NSB_4plusIvEENSB_8equal_toIvEES6_EE10hipError_tPvRmT2_T3_T4_T5_mT6_T7_P12ihipStream_tbENKUlT_T0_E_clISt17integral_constantIbLb1EES13_EEDaSY_SZ_EUlSY_E_NS1_11comp_targetILNS1_3genE4ELNS1_11target_archE910ELNS1_3gpuE8ELNS1_3repE0EEENS1_30default_config_static_selectorELNS0_4arch9wavefront6targetE0EEEvT1_,comdat
.Lfunc_end2169:
	.size	_ZN7rocprim17ROCPRIM_400000_NS6detail17trampoline_kernelINS0_14default_configENS1_27scan_by_key_config_selectorIj11FixedVectorIiLj8EEEEZZNS1_16scan_by_key_implILNS1_25lookback_scan_determinismE0ELb1ES3_N6thrust23THRUST_200600_302600_NS6detail15normal_iteratorINSB_10device_ptrIjEEEENSD_INSE_IS6_EEEESI_S6_NSB_4plusIvEENSB_8equal_toIvEES6_EE10hipError_tPvRmT2_T3_T4_T5_mT6_T7_P12ihipStream_tbENKUlT_T0_E_clISt17integral_constantIbLb1EES13_EEDaSY_SZ_EUlSY_E_NS1_11comp_targetILNS1_3genE4ELNS1_11target_archE910ELNS1_3gpuE8ELNS1_3repE0EEENS1_30default_config_static_selectorELNS0_4arch9wavefront6targetE0EEEvT1_, .Lfunc_end2169-_ZN7rocprim17ROCPRIM_400000_NS6detail17trampoline_kernelINS0_14default_configENS1_27scan_by_key_config_selectorIj11FixedVectorIiLj8EEEEZZNS1_16scan_by_key_implILNS1_25lookback_scan_determinismE0ELb1ES3_N6thrust23THRUST_200600_302600_NS6detail15normal_iteratorINSB_10device_ptrIjEEEENSD_INSE_IS6_EEEESI_S6_NSB_4plusIvEENSB_8equal_toIvEES6_EE10hipError_tPvRmT2_T3_T4_T5_mT6_T7_P12ihipStream_tbENKUlT_T0_E_clISt17integral_constantIbLb1EES13_EEDaSY_SZ_EUlSY_E_NS1_11comp_targetILNS1_3genE4ELNS1_11target_archE910ELNS1_3gpuE8ELNS1_3repE0EEENS1_30default_config_static_selectorELNS0_4arch9wavefront6targetE0EEEvT1_
                                        ; -- End function
	.set _ZN7rocprim17ROCPRIM_400000_NS6detail17trampoline_kernelINS0_14default_configENS1_27scan_by_key_config_selectorIj11FixedVectorIiLj8EEEEZZNS1_16scan_by_key_implILNS1_25lookback_scan_determinismE0ELb1ES3_N6thrust23THRUST_200600_302600_NS6detail15normal_iteratorINSB_10device_ptrIjEEEENSD_INSE_IS6_EEEESI_S6_NSB_4plusIvEENSB_8equal_toIvEES6_EE10hipError_tPvRmT2_T3_T4_T5_mT6_T7_P12ihipStream_tbENKUlT_T0_E_clISt17integral_constantIbLb1EES13_EEDaSY_SZ_EUlSY_E_NS1_11comp_targetILNS1_3genE4ELNS1_11target_archE910ELNS1_3gpuE8ELNS1_3repE0EEENS1_30default_config_static_selectorELNS0_4arch9wavefront6targetE0EEEvT1_.num_vgpr, 0
	.set _ZN7rocprim17ROCPRIM_400000_NS6detail17trampoline_kernelINS0_14default_configENS1_27scan_by_key_config_selectorIj11FixedVectorIiLj8EEEEZZNS1_16scan_by_key_implILNS1_25lookback_scan_determinismE0ELb1ES3_N6thrust23THRUST_200600_302600_NS6detail15normal_iteratorINSB_10device_ptrIjEEEENSD_INSE_IS6_EEEESI_S6_NSB_4plusIvEENSB_8equal_toIvEES6_EE10hipError_tPvRmT2_T3_T4_T5_mT6_T7_P12ihipStream_tbENKUlT_T0_E_clISt17integral_constantIbLb1EES13_EEDaSY_SZ_EUlSY_E_NS1_11comp_targetILNS1_3genE4ELNS1_11target_archE910ELNS1_3gpuE8ELNS1_3repE0EEENS1_30default_config_static_selectorELNS0_4arch9wavefront6targetE0EEEvT1_.num_agpr, 0
	.set _ZN7rocprim17ROCPRIM_400000_NS6detail17trampoline_kernelINS0_14default_configENS1_27scan_by_key_config_selectorIj11FixedVectorIiLj8EEEEZZNS1_16scan_by_key_implILNS1_25lookback_scan_determinismE0ELb1ES3_N6thrust23THRUST_200600_302600_NS6detail15normal_iteratorINSB_10device_ptrIjEEEENSD_INSE_IS6_EEEESI_S6_NSB_4plusIvEENSB_8equal_toIvEES6_EE10hipError_tPvRmT2_T3_T4_T5_mT6_T7_P12ihipStream_tbENKUlT_T0_E_clISt17integral_constantIbLb1EES13_EEDaSY_SZ_EUlSY_E_NS1_11comp_targetILNS1_3genE4ELNS1_11target_archE910ELNS1_3gpuE8ELNS1_3repE0EEENS1_30default_config_static_selectorELNS0_4arch9wavefront6targetE0EEEvT1_.numbered_sgpr, 0
	.set _ZN7rocprim17ROCPRIM_400000_NS6detail17trampoline_kernelINS0_14default_configENS1_27scan_by_key_config_selectorIj11FixedVectorIiLj8EEEEZZNS1_16scan_by_key_implILNS1_25lookback_scan_determinismE0ELb1ES3_N6thrust23THRUST_200600_302600_NS6detail15normal_iteratorINSB_10device_ptrIjEEEENSD_INSE_IS6_EEEESI_S6_NSB_4plusIvEENSB_8equal_toIvEES6_EE10hipError_tPvRmT2_T3_T4_T5_mT6_T7_P12ihipStream_tbENKUlT_T0_E_clISt17integral_constantIbLb1EES13_EEDaSY_SZ_EUlSY_E_NS1_11comp_targetILNS1_3genE4ELNS1_11target_archE910ELNS1_3gpuE8ELNS1_3repE0EEENS1_30default_config_static_selectorELNS0_4arch9wavefront6targetE0EEEvT1_.num_named_barrier, 0
	.set _ZN7rocprim17ROCPRIM_400000_NS6detail17trampoline_kernelINS0_14default_configENS1_27scan_by_key_config_selectorIj11FixedVectorIiLj8EEEEZZNS1_16scan_by_key_implILNS1_25lookback_scan_determinismE0ELb1ES3_N6thrust23THRUST_200600_302600_NS6detail15normal_iteratorINSB_10device_ptrIjEEEENSD_INSE_IS6_EEEESI_S6_NSB_4plusIvEENSB_8equal_toIvEES6_EE10hipError_tPvRmT2_T3_T4_T5_mT6_T7_P12ihipStream_tbENKUlT_T0_E_clISt17integral_constantIbLb1EES13_EEDaSY_SZ_EUlSY_E_NS1_11comp_targetILNS1_3genE4ELNS1_11target_archE910ELNS1_3gpuE8ELNS1_3repE0EEENS1_30default_config_static_selectorELNS0_4arch9wavefront6targetE0EEEvT1_.private_seg_size, 0
	.set _ZN7rocprim17ROCPRIM_400000_NS6detail17trampoline_kernelINS0_14default_configENS1_27scan_by_key_config_selectorIj11FixedVectorIiLj8EEEEZZNS1_16scan_by_key_implILNS1_25lookback_scan_determinismE0ELb1ES3_N6thrust23THRUST_200600_302600_NS6detail15normal_iteratorINSB_10device_ptrIjEEEENSD_INSE_IS6_EEEESI_S6_NSB_4plusIvEENSB_8equal_toIvEES6_EE10hipError_tPvRmT2_T3_T4_T5_mT6_T7_P12ihipStream_tbENKUlT_T0_E_clISt17integral_constantIbLb1EES13_EEDaSY_SZ_EUlSY_E_NS1_11comp_targetILNS1_3genE4ELNS1_11target_archE910ELNS1_3gpuE8ELNS1_3repE0EEENS1_30default_config_static_selectorELNS0_4arch9wavefront6targetE0EEEvT1_.uses_vcc, 0
	.set _ZN7rocprim17ROCPRIM_400000_NS6detail17trampoline_kernelINS0_14default_configENS1_27scan_by_key_config_selectorIj11FixedVectorIiLj8EEEEZZNS1_16scan_by_key_implILNS1_25lookback_scan_determinismE0ELb1ES3_N6thrust23THRUST_200600_302600_NS6detail15normal_iteratorINSB_10device_ptrIjEEEENSD_INSE_IS6_EEEESI_S6_NSB_4plusIvEENSB_8equal_toIvEES6_EE10hipError_tPvRmT2_T3_T4_T5_mT6_T7_P12ihipStream_tbENKUlT_T0_E_clISt17integral_constantIbLb1EES13_EEDaSY_SZ_EUlSY_E_NS1_11comp_targetILNS1_3genE4ELNS1_11target_archE910ELNS1_3gpuE8ELNS1_3repE0EEENS1_30default_config_static_selectorELNS0_4arch9wavefront6targetE0EEEvT1_.uses_flat_scratch, 0
	.set _ZN7rocprim17ROCPRIM_400000_NS6detail17trampoline_kernelINS0_14default_configENS1_27scan_by_key_config_selectorIj11FixedVectorIiLj8EEEEZZNS1_16scan_by_key_implILNS1_25lookback_scan_determinismE0ELb1ES3_N6thrust23THRUST_200600_302600_NS6detail15normal_iteratorINSB_10device_ptrIjEEEENSD_INSE_IS6_EEEESI_S6_NSB_4plusIvEENSB_8equal_toIvEES6_EE10hipError_tPvRmT2_T3_T4_T5_mT6_T7_P12ihipStream_tbENKUlT_T0_E_clISt17integral_constantIbLb1EES13_EEDaSY_SZ_EUlSY_E_NS1_11comp_targetILNS1_3genE4ELNS1_11target_archE910ELNS1_3gpuE8ELNS1_3repE0EEENS1_30default_config_static_selectorELNS0_4arch9wavefront6targetE0EEEvT1_.has_dyn_sized_stack, 0
	.set _ZN7rocprim17ROCPRIM_400000_NS6detail17trampoline_kernelINS0_14default_configENS1_27scan_by_key_config_selectorIj11FixedVectorIiLj8EEEEZZNS1_16scan_by_key_implILNS1_25lookback_scan_determinismE0ELb1ES3_N6thrust23THRUST_200600_302600_NS6detail15normal_iteratorINSB_10device_ptrIjEEEENSD_INSE_IS6_EEEESI_S6_NSB_4plusIvEENSB_8equal_toIvEES6_EE10hipError_tPvRmT2_T3_T4_T5_mT6_T7_P12ihipStream_tbENKUlT_T0_E_clISt17integral_constantIbLb1EES13_EEDaSY_SZ_EUlSY_E_NS1_11comp_targetILNS1_3genE4ELNS1_11target_archE910ELNS1_3gpuE8ELNS1_3repE0EEENS1_30default_config_static_selectorELNS0_4arch9wavefront6targetE0EEEvT1_.has_recursion, 0
	.set _ZN7rocprim17ROCPRIM_400000_NS6detail17trampoline_kernelINS0_14default_configENS1_27scan_by_key_config_selectorIj11FixedVectorIiLj8EEEEZZNS1_16scan_by_key_implILNS1_25lookback_scan_determinismE0ELb1ES3_N6thrust23THRUST_200600_302600_NS6detail15normal_iteratorINSB_10device_ptrIjEEEENSD_INSE_IS6_EEEESI_S6_NSB_4plusIvEENSB_8equal_toIvEES6_EE10hipError_tPvRmT2_T3_T4_T5_mT6_T7_P12ihipStream_tbENKUlT_T0_E_clISt17integral_constantIbLb1EES13_EEDaSY_SZ_EUlSY_E_NS1_11comp_targetILNS1_3genE4ELNS1_11target_archE910ELNS1_3gpuE8ELNS1_3repE0EEENS1_30default_config_static_selectorELNS0_4arch9wavefront6targetE0EEEvT1_.has_indirect_call, 0
	.section	.AMDGPU.csdata,"",@progbits
; Kernel info:
; codeLenInByte = 0
; TotalNumSgprs: 0
; NumVgprs: 0
; ScratchSize: 0
; MemoryBound: 0
; FloatMode: 240
; IeeeMode: 1
; LDSByteSize: 0 bytes/workgroup (compile time only)
; SGPRBlocks: 0
; VGPRBlocks: 0
; NumSGPRsForWavesPerEU: 1
; NumVGPRsForWavesPerEU: 1
; Occupancy: 16
; WaveLimiterHint : 0
; COMPUTE_PGM_RSRC2:SCRATCH_EN: 0
; COMPUTE_PGM_RSRC2:USER_SGPR: 6
; COMPUTE_PGM_RSRC2:TRAP_HANDLER: 0
; COMPUTE_PGM_RSRC2:TGID_X_EN: 1
; COMPUTE_PGM_RSRC2:TGID_Y_EN: 0
; COMPUTE_PGM_RSRC2:TGID_Z_EN: 0
; COMPUTE_PGM_RSRC2:TIDIG_COMP_CNT: 0
	.section	.text._ZN7rocprim17ROCPRIM_400000_NS6detail17trampoline_kernelINS0_14default_configENS1_27scan_by_key_config_selectorIj11FixedVectorIiLj8EEEEZZNS1_16scan_by_key_implILNS1_25lookback_scan_determinismE0ELb1ES3_N6thrust23THRUST_200600_302600_NS6detail15normal_iteratorINSB_10device_ptrIjEEEENSD_INSE_IS6_EEEESI_S6_NSB_4plusIvEENSB_8equal_toIvEES6_EE10hipError_tPvRmT2_T3_T4_T5_mT6_T7_P12ihipStream_tbENKUlT_T0_E_clISt17integral_constantIbLb1EES13_EEDaSY_SZ_EUlSY_E_NS1_11comp_targetILNS1_3genE3ELNS1_11target_archE908ELNS1_3gpuE7ELNS1_3repE0EEENS1_30default_config_static_selectorELNS0_4arch9wavefront6targetE0EEEvT1_,"axG",@progbits,_ZN7rocprim17ROCPRIM_400000_NS6detail17trampoline_kernelINS0_14default_configENS1_27scan_by_key_config_selectorIj11FixedVectorIiLj8EEEEZZNS1_16scan_by_key_implILNS1_25lookback_scan_determinismE0ELb1ES3_N6thrust23THRUST_200600_302600_NS6detail15normal_iteratorINSB_10device_ptrIjEEEENSD_INSE_IS6_EEEESI_S6_NSB_4plusIvEENSB_8equal_toIvEES6_EE10hipError_tPvRmT2_T3_T4_T5_mT6_T7_P12ihipStream_tbENKUlT_T0_E_clISt17integral_constantIbLb1EES13_EEDaSY_SZ_EUlSY_E_NS1_11comp_targetILNS1_3genE3ELNS1_11target_archE908ELNS1_3gpuE7ELNS1_3repE0EEENS1_30default_config_static_selectorELNS0_4arch9wavefront6targetE0EEEvT1_,comdat
	.protected	_ZN7rocprim17ROCPRIM_400000_NS6detail17trampoline_kernelINS0_14default_configENS1_27scan_by_key_config_selectorIj11FixedVectorIiLj8EEEEZZNS1_16scan_by_key_implILNS1_25lookback_scan_determinismE0ELb1ES3_N6thrust23THRUST_200600_302600_NS6detail15normal_iteratorINSB_10device_ptrIjEEEENSD_INSE_IS6_EEEESI_S6_NSB_4plusIvEENSB_8equal_toIvEES6_EE10hipError_tPvRmT2_T3_T4_T5_mT6_T7_P12ihipStream_tbENKUlT_T0_E_clISt17integral_constantIbLb1EES13_EEDaSY_SZ_EUlSY_E_NS1_11comp_targetILNS1_3genE3ELNS1_11target_archE908ELNS1_3gpuE7ELNS1_3repE0EEENS1_30default_config_static_selectorELNS0_4arch9wavefront6targetE0EEEvT1_ ; -- Begin function _ZN7rocprim17ROCPRIM_400000_NS6detail17trampoline_kernelINS0_14default_configENS1_27scan_by_key_config_selectorIj11FixedVectorIiLj8EEEEZZNS1_16scan_by_key_implILNS1_25lookback_scan_determinismE0ELb1ES3_N6thrust23THRUST_200600_302600_NS6detail15normal_iteratorINSB_10device_ptrIjEEEENSD_INSE_IS6_EEEESI_S6_NSB_4plusIvEENSB_8equal_toIvEES6_EE10hipError_tPvRmT2_T3_T4_T5_mT6_T7_P12ihipStream_tbENKUlT_T0_E_clISt17integral_constantIbLb1EES13_EEDaSY_SZ_EUlSY_E_NS1_11comp_targetILNS1_3genE3ELNS1_11target_archE908ELNS1_3gpuE7ELNS1_3repE0EEENS1_30default_config_static_selectorELNS0_4arch9wavefront6targetE0EEEvT1_
	.globl	_ZN7rocprim17ROCPRIM_400000_NS6detail17trampoline_kernelINS0_14default_configENS1_27scan_by_key_config_selectorIj11FixedVectorIiLj8EEEEZZNS1_16scan_by_key_implILNS1_25lookback_scan_determinismE0ELb1ES3_N6thrust23THRUST_200600_302600_NS6detail15normal_iteratorINSB_10device_ptrIjEEEENSD_INSE_IS6_EEEESI_S6_NSB_4plusIvEENSB_8equal_toIvEES6_EE10hipError_tPvRmT2_T3_T4_T5_mT6_T7_P12ihipStream_tbENKUlT_T0_E_clISt17integral_constantIbLb1EES13_EEDaSY_SZ_EUlSY_E_NS1_11comp_targetILNS1_3genE3ELNS1_11target_archE908ELNS1_3gpuE7ELNS1_3repE0EEENS1_30default_config_static_selectorELNS0_4arch9wavefront6targetE0EEEvT1_
	.p2align	8
	.type	_ZN7rocprim17ROCPRIM_400000_NS6detail17trampoline_kernelINS0_14default_configENS1_27scan_by_key_config_selectorIj11FixedVectorIiLj8EEEEZZNS1_16scan_by_key_implILNS1_25lookback_scan_determinismE0ELb1ES3_N6thrust23THRUST_200600_302600_NS6detail15normal_iteratorINSB_10device_ptrIjEEEENSD_INSE_IS6_EEEESI_S6_NSB_4plusIvEENSB_8equal_toIvEES6_EE10hipError_tPvRmT2_T3_T4_T5_mT6_T7_P12ihipStream_tbENKUlT_T0_E_clISt17integral_constantIbLb1EES13_EEDaSY_SZ_EUlSY_E_NS1_11comp_targetILNS1_3genE3ELNS1_11target_archE908ELNS1_3gpuE7ELNS1_3repE0EEENS1_30default_config_static_selectorELNS0_4arch9wavefront6targetE0EEEvT1_,@function
_ZN7rocprim17ROCPRIM_400000_NS6detail17trampoline_kernelINS0_14default_configENS1_27scan_by_key_config_selectorIj11FixedVectorIiLj8EEEEZZNS1_16scan_by_key_implILNS1_25lookback_scan_determinismE0ELb1ES3_N6thrust23THRUST_200600_302600_NS6detail15normal_iteratorINSB_10device_ptrIjEEEENSD_INSE_IS6_EEEESI_S6_NSB_4plusIvEENSB_8equal_toIvEES6_EE10hipError_tPvRmT2_T3_T4_T5_mT6_T7_P12ihipStream_tbENKUlT_T0_E_clISt17integral_constantIbLb1EES13_EEDaSY_SZ_EUlSY_E_NS1_11comp_targetILNS1_3genE3ELNS1_11target_archE908ELNS1_3gpuE7ELNS1_3repE0EEENS1_30default_config_static_selectorELNS0_4arch9wavefront6targetE0EEEvT1_: ; @_ZN7rocprim17ROCPRIM_400000_NS6detail17trampoline_kernelINS0_14default_configENS1_27scan_by_key_config_selectorIj11FixedVectorIiLj8EEEEZZNS1_16scan_by_key_implILNS1_25lookback_scan_determinismE0ELb1ES3_N6thrust23THRUST_200600_302600_NS6detail15normal_iteratorINSB_10device_ptrIjEEEENSD_INSE_IS6_EEEESI_S6_NSB_4plusIvEENSB_8equal_toIvEES6_EE10hipError_tPvRmT2_T3_T4_T5_mT6_T7_P12ihipStream_tbENKUlT_T0_E_clISt17integral_constantIbLb1EES13_EEDaSY_SZ_EUlSY_E_NS1_11comp_targetILNS1_3genE3ELNS1_11target_archE908ELNS1_3gpuE7ELNS1_3repE0EEENS1_30default_config_static_selectorELNS0_4arch9wavefront6targetE0EEEvT1_
; %bb.0:
	.section	.rodata,"a",@progbits
	.p2align	6, 0x0
	.amdhsa_kernel _ZN7rocprim17ROCPRIM_400000_NS6detail17trampoline_kernelINS0_14default_configENS1_27scan_by_key_config_selectorIj11FixedVectorIiLj8EEEEZZNS1_16scan_by_key_implILNS1_25lookback_scan_determinismE0ELb1ES3_N6thrust23THRUST_200600_302600_NS6detail15normal_iteratorINSB_10device_ptrIjEEEENSD_INSE_IS6_EEEESI_S6_NSB_4plusIvEENSB_8equal_toIvEES6_EE10hipError_tPvRmT2_T3_T4_T5_mT6_T7_P12ihipStream_tbENKUlT_T0_E_clISt17integral_constantIbLb1EES13_EEDaSY_SZ_EUlSY_E_NS1_11comp_targetILNS1_3genE3ELNS1_11target_archE908ELNS1_3gpuE7ELNS1_3repE0EEENS1_30default_config_static_selectorELNS0_4arch9wavefront6targetE0EEEvT1_
		.amdhsa_group_segment_fixed_size 0
		.amdhsa_private_segment_fixed_size 0
		.amdhsa_kernarg_size 160
		.amdhsa_user_sgpr_count 6
		.amdhsa_user_sgpr_private_segment_buffer 1
		.amdhsa_user_sgpr_dispatch_ptr 0
		.amdhsa_user_sgpr_queue_ptr 0
		.amdhsa_user_sgpr_kernarg_segment_ptr 1
		.amdhsa_user_sgpr_dispatch_id 0
		.amdhsa_user_sgpr_flat_scratch_init 0
		.amdhsa_user_sgpr_private_segment_size 0
		.amdhsa_wavefront_size32 1
		.amdhsa_uses_dynamic_stack 0
		.amdhsa_system_sgpr_private_segment_wavefront_offset 0
		.amdhsa_system_sgpr_workgroup_id_x 1
		.amdhsa_system_sgpr_workgroup_id_y 0
		.amdhsa_system_sgpr_workgroup_id_z 0
		.amdhsa_system_sgpr_workgroup_info 0
		.amdhsa_system_vgpr_workitem_id 0
		.amdhsa_next_free_vgpr 1
		.amdhsa_next_free_sgpr 1
		.amdhsa_reserve_vcc 0
		.amdhsa_reserve_flat_scratch 0
		.amdhsa_float_round_mode_32 0
		.amdhsa_float_round_mode_16_64 0
		.amdhsa_float_denorm_mode_32 3
		.amdhsa_float_denorm_mode_16_64 3
		.amdhsa_dx10_clamp 1
		.amdhsa_ieee_mode 1
		.amdhsa_fp16_overflow 0
		.amdhsa_workgroup_processor_mode 1
		.amdhsa_memory_ordered 1
		.amdhsa_forward_progress 1
		.amdhsa_shared_vgpr_count 0
		.amdhsa_exception_fp_ieee_invalid_op 0
		.amdhsa_exception_fp_denorm_src 0
		.amdhsa_exception_fp_ieee_div_zero 0
		.amdhsa_exception_fp_ieee_overflow 0
		.amdhsa_exception_fp_ieee_underflow 0
		.amdhsa_exception_fp_ieee_inexact 0
		.amdhsa_exception_int_div_zero 0
	.end_amdhsa_kernel
	.section	.text._ZN7rocprim17ROCPRIM_400000_NS6detail17trampoline_kernelINS0_14default_configENS1_27scan_by_key_config_selectorIj11FixedVectorIiLj8EEEEZZNS1_16scan_by_key_implILNS1_25lookback_scan_determinismE0ELb1ES3_N6thrust23THRUST_200600_302600_NS6detail15normal_iteratorINSB_10device_ptrIjEEEENSD_INSE_IS6_EEEESI_S6_NSB_4plusIvEENSB_8equal_toIvEES6_EE10hipError_tPvRmT2_T3_T4_T5_mT6_T7_P12ihipStream_tbENKUlT_T0_E_clISt17integral_constantIbLb1EES13_EEDaSY_SZ_EUlSY_E_NS1_11comp_targetILNS1_3genE3ELNS1_11target_archE908ELNS1_3gpuE7ELNS1_3repE0EEENS1_30default_config_static_selectorELNS0_4arch9wavefront6targetE0EEEvT1_,"axG",@progbits,_ZN7rocprim17ROCPRIM_400000_NS6detail17trampoline_kernelINS0_14default_configENS1_27scan_by_key_config_selectorIj11FixedVectorIiLj8EEEEZZNS1_16scan_by_key_implILNS1_25lookback_scan_determinismE0ELb1ES3_N6thrust23THRUST_200600_302600_NS6detail15normal_iteratorINSB_10device_ptrIjEEEENSD_INSE_IS6_EEEESI_S6_NSB_4plusIvEENSB_8equal_toIvEES6_EE10hipError_tPvRmT2_T3_T4_T5_mT6_T7_P12ihipStream_tbENKUlT_T0_E_clISt17integral_constantIbLb1EES13_EEDaSY_SZ_EUlSY_E_NS1_11comp_targetILNS1_3genE3ELNS1_11target_archE908ELNS1_3gpuE7ELNS1_3repE0EEENS1_30default_config_static_selectorELNS0_4arch9wavefront6targetE0EEEvT1_,comdat
.Lfunc_end2170:
	.size	_ZN7rocprim17ROCPRIM_400000_NS6detail17trampoline_kernelINS0_14default_configENS1_27scan_by_key_config_selectorIj11FixedVectorIiLj8EEEEZZNS1_16scan_by_key_implILNS1_25lookback_scan_determinismE0ELb1ES3_N6thrust23THRUST_200600_302600_NS6detail15normal_iteratorINSB_10device_ptrIjEEEENSD_INSE_IS6_EEEESI_S6_NSB_4plusIvEENSB_8equal_toIvEES6_EE10hipError_tPvRmT2_T3_T4_T5_mT6_T7_P12ihipStream_tbENKUlT_T0_E_clISt17integral_constantIbLb1EES13_EEDaSY_SZ_EUlSY_E_NS1_11comp_targetILNS1_3genE3ELNS1_11target_archE908ELNS1_3gpuE7ELNS1_3repE0EEENS1_30default_config_static_selectorELNS0_4arch9wavefront6targetE0EEEvT1_, .Lfunc_end2170-_ZN7rocprim17ROCPRIM_400000_NS6detail17trampoline_kernelINS0_14default_configENS1_27scan_by_key_config_selectorIj11FixedVectorIiLj8EEEEZZNS1_16scan_by_key_implILNS1_25lookback_scan_determinismE0ELb1ES3_N6thrust23THRUST_200600_302600_NS6detail15normal_iteratorINSB_10device_ptrIjEEEENSD_INSE_IS6_EEEESI_S6_NSB_4plusIvEENSB_8equal_toIvEES6_EE10hipError_tPvRmT2_T3_T4_T5_mT6_T7_P12ihipStream_tbENKUlT_T0_E_clISt17integral_constantIbLb1EES13_EEDaSY_SZ_EUlSY_E_NS1_11comp_targetILNS1_3genE3ELNS1_11target_archE908ELNS1_3gpuE7ELNS1_3repE0EEENS1_30default_config_static_selectorELNS0_4arch9wavefront6targetE0EEEvT1_
                                        ; -- End function
	.set _ZN7rocprim17ROCPRIM_400000_NS6detail17trampoline_kernelINS0_14default_configENS1_27scan_by_key_config_selectorIj11FixedVectorIiLj8EEEEZZNS1_16scan_by_key_implILNS1_25lookback_scan_determinismE0ELb1ES3_N6thrust23THRUST_200600_302600_NS6detail15normal_iteratorINSB_10device_ptrIjEEEENSD_INSE_IS6_EEEESI_S6_NSB_4plusIvEENSB_8equal_toIvEES6_EE10hipError_tPvRmT2_T3_T4_T5_mT6_T7_P12ihipStream_tbENKUlT_T0_E_clISt17integral_constantIbLb1EES13_EEDaSY_SZ_EUlSY_E_NS1_11comp_targetILNS1_3genE3ELNS1_11target_archE908ELNS1_3gpuE7ELNS1_3repE0EEENS1_30default_config_static_selectorELNS0_4arch9wavefront6targetE0EEEvT1_.num_vgpr, 0
	.set _ZN7rocprim17ROCPRIM_400000_NS6detail17trampoline_kernelINS0_14default_configENS1_27scan_by_key_config_selectorIj11FixedVectorIiLj8EEEEZZNS1_16scan_by_key_implILNS1_25lookback_scan_determinismE0ELb1ES3_N6thrust23THRUST_200600_302600_NS6detail15normal_iteratorINSB_10device_ptrIjEEEENSD_INSE_IS6_EEEESI_S6_NSB_4plusIvEENSB_8equal_toIvEES6_EE10hipError_tPvRmT2_T3_T4_T5_mT6_T7_P12ihipStream_tbENKUlT_T0_E_clISt17integral_constantIbLb1EES13_EEDaSY_SZ_EUlSY_E_NS1_11comp_targetILNS1_3genE3ELNS1_11target_archE908ELNS1_3gpuE7ELNS1_3repE0EEENS1_30default_config_static_selectorELNS0_4arch9wavefront6targetE0EEEvT1_.num_agpr, 0
	.set _ZN7rocprim17ROCPRIM_400000_NS6detail17trampoline_kernelINS0_14default_configENS1_27scan_by_key_config_selectorIj11FixedVectorIiLj8EEEEZZNS1_16scan_by_key_implILNS1_25lookback_scan_determinismE0ELb1ES3_N6thrust23THRUST_200600_302600_NS6detail15normal_iteratorINSB_10device_ptrIjEEEENSD_INSE_IS6_EEEESI_S6_NSB_4plusIvEENSB_8equal_toIvEES6_EE10hipError_tPvRmT2_T3_T4_T5_mT6_T7_P12ihipStream_tbENKUlT_T0_E_clISt17integral_constantIbLb1EES13_EEDaSY_SZ_EUlSY_E_NS1_11comp_targetILNS1_3genE3ELNS1_11target_archE908ELNS1_3gpuE7ELNS1_3repE0EEENS1_30default_config_static_selectorELNS0_4arch9wavefront6targetE0EEEvT1_.numbered_sgpr, 0
	.set _ZN7rocprim17ROCPRIM_400000_NS6detail17trampoline_kernelINS0_14default_configENS1_27scan_by_key_config_selectorIj11FixedVectorIiLj8EEEEZZNS1_16scan_by_key_implILNS1_25lookback_scan_determinismE0ELb1ES3_N6thrust23THRUST_200600_302600_NS6detail15normal_iteratorINSB_10device_ptrIjEEEENSD_INSE_IS6_EEEESI_S6_NSB_4plusIvEENSB_8equal_toIvEES6_EE10hipError_tPvRmT2_T3_T4_T5_mT6_T7_P12ihipStream_tbENKUlT_T0_E_clISt17integral_constantIbLb1EES13_EEDaSY_SZ_EUlSY_E_NS1_11comp_targetILNS1_3genE3ELNS1_11target_archE908ELNS1_3gpuE7ELNS1_3repE0EEENS1_30default_config_static_selectorELNS0_4arch9wavefront6targetE0EEEvT1_.num_named_barrier, 0
	.set _ZN7rocprim17ROCPRIM_400000_NS6detail17trampoline_kernelINS0_14default_configENS1_27scan_by_key_config_selectorIj11FixedVectorIiLj8EEEEZZNS1_16scan_by_key_implILNS1_25lookback_scan_determinismE0ELb1ES3_N6thrust23THRUST_200600_302600_NS6detail15normal_iteratorINSB_10device_ptrIjEEEENSD_INSE_IS6_EEEESI_S6_NSB_4plusIvEENSB_8equal_toIvEES6_EE10hipError_tPvRmT2_T3_T4_T5_mT6_T7_P12ihipStream_tbENKUlT_T0_E_clISt17integral_constantIbLb1EES13_EEDaSY_SZ_EUlSY_E_NS1_11comp_targetILNS1_3genE3ELNS1_11target_archE908ELNS1_3gpuE7ELNS1_3repE0EEENS1_30default_config_static_selectorELNS0_4arch9wavefront6targetE0EEEvT1_.private_seg_size, 0
	.set _ZN7rocprim17ROCPRIM_400000_NS6detail17trampoline_kernelINS0_14default_configENS1_27scan_by_key_config_selectorIj11FixedVectorIiLj8EEEEZZNS1_16scan_by_key_implILNS1_25lookback_scan_determinismE0ELb1ES3_N6thrust23THRUST_200600_302600_NS6detail15normal_iteratorINSB_10device_ptrIjEEEENSD_INSE_IS6_EEEESI_S6_NSB_4plusIvEENSB_8equal_toIvEES6_EE10hipError_tPvRmT2_T3_T4_T5_mT6_T7_P12ihipStream_tbENKUlT_T0_E_clISt17integral_constantIbLb1EES13_EEDaSY_SZ_EUlSY_E_NS1_11comp_targetILNS1_3genE3ELNS1_11target_archE908ELNS1_3gpuE7ELNS1_3repE0EEENS1_30default_config_static_selectorELNS0_4arch9wavefront6targetE0EEEvT1_.uses_vcc, 0
	.set _ZN7rocprim17ROCPRIM_400000_NS6detail17trampoline_kernelINS0_14default_configENS1_27scan_by_key_config_selectorIj11FixedVectorIiLj8EEEEZZNS1_16scan_by_key_implILNS1_25lookback_scan_determinismE0ELb1ES3_N6thrust23THRUST_200600_302600_NS6detail15normal_iteratorINSB_10device_ptrIjEEEENSD_INSE_IS6_EEEESI_S6_NSB_4plusIvEENSB_8equal_toIvEES6_EE10hipError_tPvRmT2_T3_T4_T5_mT6_T7_P12ihipStream_tbENKUlT_T0_E_clISt17integral_constantIbLb1EES13_EEDaSY_SZ_EUlSY_E_NS1_11comp_targetILNS1_3genE3ELNS1_11target_archE908ELNS1_3gpuE7ELNS1_3repE0EEENS1_30default_config_static_selectorELNS0_4arch9wavefront6targetE0EEEvT1_.uses_flat_scratch, 0
	.set _ZN7rocprim17ROCPRIM_400000_NS6detail17trampoline_kernelINS0_14default_configENS1_27scan_by_key_config_selectorIj11FixedVectorIiLj8EEEEZZNS1_16scan_by_key_implILNS1_25lookback_scan_determinismE0ELb1ES3_N6thrust23THRUST_200600_302600_NS6detail15normal_iteratorINSB_10device_ptrIjEEEENSD_INSE_IS6_EEEESI_S6_NSB_4plusIvEENSB_8equal_toIvEES6_EE10hipError_tPvRmT2_T3_T4_T5_mT6_T7_P12ihipStream_tbENKUlT_T0_E_clISt17integral_constantIbLb1EES13_EEDaSY_SZ_EUlSY_E_NS1_11comp_targetILNS1_3genE3ELNS1_11target_archE908ELNS1_3gpuE7ELNS1_3repE0EEENS1_30default_config_static_selectorELNS0_4arch9wavefront6targetE0EEEvT1_.has_dyn_sized_stack, 0
	.set _ZN7rocprim17ROCPRIM_400000_NS6detail17trampoline_kernelINS0_14default_configENS1_27scan_by_key_config_selectorIj11FixedVectorIiLj8EEEEZZNS1_16scan_by_key_implILNS1_25lookback_scan_determinismE0ELb1ES3_N6thrust23THRUST_200600_302600_NS6detail15normal_iteratorINSB_10device_ptrIjEEEENSD_INSE_IS6_EEEESI_S6_NSB_4plusIvEENSB_8equal_toIvEES6_EE10hipError_tPvRmT2_T3_T4_T5_mT6_T7_P12ihipStream_tbENKUlT_T0_E_clISt17integral_constantIbLb1EES13_EEDaSY_SZ_EUlSY_E_NS1_11comp_targetILNS1_3genE3ELNS1_11target_archE908ELNS1_3gpuE7ELNS1_3repE0EEENS1_30default_config_static_selectorELNS0_4arch9wavefront6targetE0EEEvT1_.has_recursion, 0
	.set _ZN7rocprim17ROCPRIM_400000_NS6detail17trampoline_kernelINS0_14default_configENS1_27scan_by_key_config_selectorIj11FixedVectorIiLj8EEEEZZNS1_16scan_by_key_implILNS1_25lookback_scan_determinismE0ELb1ES3_N6thrust23THRUST_200600_302600_NS6detail15normal_iteratorINSB_10device_ptrIjEEEENSD_INSE_IS6_EEEESI_S6_NSB_4plusIvEENSB_8equal_toIvEES6_EE10hipError_tPvRmT2_T3_T4_T5_mT6_T7_P12ihipStream_tbENKUlT_T0_E_clISt17integral_constantIbLb1EES13_EEDaSY_SZ_EUlSY_E_NS1_11comp_targetILNS1_3genE3ELNS1_11target_archE908ELNS1_3gpuE7ELNS1_3repE0EEENS1_30default_config_static_selectorELNS0_4arch9wavefront6targetE0EEEvT1_.has_indirect_call, 0
	.section	.AMDGPU.csdata,"",@progbits
; Kernel info:
; codeLenInByte = 0
; TotalNumSgprs: 0
; NumVgprs: 0
; ScratchSize: 0
; MemoryBound: 0
; FloatMode: 240
; IeeeMode: 1
; LDSByteSize: 0 bytes/workgroup (compile time only)
; SGPRBlocks: 0
; VGPRBlocks: 0
; NumSGPRsForWavesPerEU: 1
; NumVGPRsForWavesPerEU: 1
; Occupancy: 16
; WaveLimiterHint : 0
; COMPUTE_PGM_RSRC2:SCRATCH_EN: 0
; COMPUTE_PGM_RSRC2:USER_SGPR: 6
; COMPUTE_PGM_RSRC2:TRAP_HANDLER: 0
; COMPUTE_PGM_RSRC2:TGID_X_EN: 1
; COMPUTE_PGM_RSRC2:TGID_Y_EN: 0
; COMPUTE_PGM_RSRC2:TGID_Z_EN: 0
; COMPUTE_PGM_RSRC2:TIDIG_COMP_CNT: 0
	.section	.text._ZN7rocprim17ROCPRIM_400000_NS6detail17trampoline_kernelINS0_14default_configENS1_27scan_by_key_config_selectorIj11FixedVectorIiLj8EEEEZZNS1_16scan_by_key_implILNS1_25lookback_scan_determinismE0ELb1ES3_N6thrust23THRUST_200600_302600_NS6detail15normal_iteratorINSB_10device_ptrIjEEEENSD_INSE_IS6_EEEESI_S6_NSB_4plusIvEENSB_8equal_toIvEES6_EE10hipError_tPvRmT2_T3_T4_T5_mT6_T7_P12ihipStream_tbENKUlT_T0_E_clISt17integral_constantIbLb1EES13_EEDaSY_SZ_EUlSY_E_NS1_11comp_targetILNS1_3genE2ELNS1_11target_archE906ELNS1_3gpuE6ELNS1_3repE0EEENS1_30default_config_static_selectorELNS0_4arch9wavefront6targetE0EEEvT1_,"axG",@progbits,_ZN7rocprim17ROCPRIM_400000_NS6detail17trampoline_kernelINS0_14default_configENS1_27scan_by_key_config_selectorIj11FixedVectorIiLj8EEEEZZNS1_16scan_by_key_implILNS1_25lookback_scan_determinismE0ELb1ES3_N6thrust23THRUST_200600_302600_NS6detail15normal_iteratorINSB_10device_ptrIjEEEENSD_INSE_IS6_EEEESI_S6_NSB_4plusIvEENSB_8equal_toIvEES6_EE10hipError_tPvRmT2_T3_T4_T5_mT6_T7_P12ihipStream_tbENKUlT_T0_E_clISt17integral_constantIbLb1EES13_EEDaSY_SZ_EUlSY_E_NS1_11comp_targetILNS1_3genE2ELNS1_11target_archE906ELNS1_3gpuE6ELNS1_3repE0EEENS1_30default_config_static_selectorELNS0_4arch9wavefront6targetE0EEEvT1_,comdat
	.protected	_ZN7rocprim17ROCPRIM_400000_NS6detail17trampoline_kernelINS0_14default_configENS1_27scan_by_key_config_selectorIj11FixedVectorIiLj8EEEEZZNS1_16scan_by_key_implILNS1_25lookback_scan_determinismE0ELb1ES3_N6thrust23THRUST_200600_302600_NS6detail15normal_iteratorINSB_10device_ptrIjEEEENSD_INSE_IS6_EEEESI_S6_NSB_4plusIvEENSB_8equal_toIvEES6_EE10hipError_tPvRmT2_T3_T4_T5_mT6_T7_P12ihipStream_tbENKUlT_T0_E_clISt17integral_constantIbLb1EES13_EEDaSY_SZ_EUlSY_E_NS1_11comp_targetILNS1_3genE2ELNS1_11target_archE906ELNS1_3gpuE6ELNS1_3repE0EEENS1_30default_config_static_selectorELNS0_4arch9wavefront6targetE0EEEvT1_ ; -- Begin function _ZN7rocprim17ROCPRIM_400000_NS6detail17trampoline_kernelINS0_14default_configENS1_27scan_by_key_config_selectorIj11FixedVectorIiLj8EEEEZZNS1_16scan_by_key_implILNS1_25lookback_scan_determinismE0ELb1ES3_N6thrust23THRUST_200600_302600_NS6detail15normal_iteratorINSB_10device_ptrIjEEEENSD_INSE_IS6_EEEESI_S6_NSB_4plusIvEENSB_8equal_toIvEES6_EE10hipError_tPvRmT2_T3_T4_T5_mT6_T7_P12ihipStream_tbENKUlT_T0_E_clISt17integral_constantIbLb1EES13_EEDaSY_SZ_EUlSY_E_NS1_11comp_targetILNS1_3genE2ELNS1_11target_archE906ELNS1_3gpuE6ELNS1_3repE0EEENS1_30default_config_static_selectorELNS0_4arch9wavefront6targetE0EEEvT1_
	.globl	_ZN7rocprim17ROCPRIM_400000_NS6detail17trampoline_kernelINS0_14default_configENS1_27scan_by_key_config_selectorIj11FixedVectorIiLj8EEEEZZNS1_16scan_by_key_implILNS1_25lookback_scan_determinismE0ELb1ES3_N6thrust23THRUST_200600_302600_NS6detail15normal_iteratorINSB_10device_ptrIjEEEENSD_INSE_IS6_EEEESI_S6_NSB_4plusIvEENSB_8equal_toIvEES6_EE10hipError_tPvRmT2_T3_T4_T5_mT6_T7_P12ihipStream_tbENKUlT_T0_E_clISt17integral_constantIbLb1EES13_EEDaSY_SZ_EUlSY_E_NS1_11comp_targetILNS1_3genE2ELNS1_11target_archE906ELNS1_3gpuE6ELNS1_3repE0EEENS1_30default_config_static_selectorELNS0_4arch9wavefront6targetE0EEEvT1_
	.p2align	8
	.type	_ZN7rocprim17ROCPRIM_400000_NS6detail17trampoline_kernelINS0_14default_configENS1_27scan_by_key_config_selectorIj11FixedVectorIiLj8EEEEZZNS1_16scan_by_key_implILNS1_25lookback_scan_determinismE0ELb1ES3_N6thrust23THRUST_200600_302600_NS6detail15normal_iteratorINSB_10device_ptrIjEEEENSD_INSE_IS6_EEEESI_S6_NSB_4plusIvEENSB_8equal_toIvEES6_EE10hipError_tPvRmT2_T3_T4_T5_mT6_T7_P12ihipStream_tbENKUlT_T0_E_clISt17integral_constantIbLb1EES13_EEDaSY_SZ_EUlSY_E_NS1_11comp_targetILNS1_3genE2ELNS1_11target_archE906ELNS1_3gpuE6ELNS1_3repE0EEENS1_30default_config_static_selectorELNS0_4arch9wavefront6targetE0EEEvT1_,@function
_ZN7rocprim17ROCPRIM_400000_NS6detail17trampoline_kernelINS0_14default_configENS1_27scan_by_key_config_selectorIj11FixedVectorIiLj8EEEEZZNS1_16scan_by_key_implILNS1_25lookback_scan_determinismE0ELb1ES3_N6thrust23THRUST_200600_302600_NS6detail15normal_iteratorINSB_10device_ptrIjEEEENSD_INSE_IS6_EEEESI_S6_NSB_4plusIvEENSB_8equal_toIvEES6_EE10hipError_tPvRmT2_T3_T4_T5_mT6_T7_P12ihipStream_tbENKUlT_T0_E_clISt17integral_constantIbLb1EES13_EEDaSY_SZ_EUlSY_E_NS1_11comp_targetILNS1_3genE2ELNS1_11target_archE906ELNS1_3gpuE6ELNS1_3repE0EEENS1_30default_config_static_selectorELNS0_4arch9wavefront6targetE0EEEvT1_: ; @_ZN7rocprim17ROCPRIM_400000_NS6detail17trampoline_kernelINS0_14default_configENS1_27scan_by_key_config_selectorIj11FixedVectorIiLj8EEEEZZNS1_16scan_by_key_implILNS1_25lookback_scan_determinismE0ELb1ES3_N6thrust23THRUST_200600_302600_NS6detail15normal_iteratorINSB_10device_ptrIjEEEENSD_INSE_IS6_EEEESI_S6_NSB_4plusIvEENSB_8equal_toIvEES6_EE10hipError_tPvRmT2_T3_T4_T5_mT6_T7_P12ihipStream_tbENKUlT_T0_E_clISt17integral_constantIbLb1EES13_EEDaSY_SZ_EUlSY_E_NS1_11comp_targetILNS1_3genE2ELNS1_11target_archE906ELNS1_3gpuE6ELNS1_3repE0EEENS1_30default_config_static_selectorELNS0_4arch9wavefront6targetE0EEEvT1_
; %bb.0:
	.section	.rodata,"a",@progbits
	.p2align	6, 0x0
	.amdhsa_kernel _ZN7rocprim17ROCPRIM_400000_NS6detail17trampoline_kernelINS0_14default_configENS1_27scan_by_key_config_selectorIj11FixedVectorIiLj8EEEEZZNS1_16scan_by_key_implILNS1_25lookback_scan_determinismE0ELb1ES3_N6thrust23THRUST_200600_302600_NS6detail15normal_iteratorINSB_10device_ptrIjEEEENSD_INSE_IS6_EEEESI_S6_NSB_4plusIvEENSB_8equal_toIvEES6_EE10hipError_tPvRmT2_T3_T4_T5_mT6_T7_P12ihipStream_tbENKUlT_T0_E_clISt17integral_constantIbLb1EES13_EEDaSY_SZ_EUlSY_E_NS1_11comp_targetILNS1_3genE2ELNS1_11target_archE906ELNS1_3gpuE6ELNS1_3repE0EEENS1_30default_config_static_selectorELNS0_4arch9wavefront6targetE0EEEvT1_
		.amdhsa_group_segment_fixed_size 0
		.amdhsa_private_segment_fixed_size 0
		.amdhsa_kernarg_size 160
		.amdhsa_user_sgpr_count 6
		.amdhsa_user_sgpr_private_segment_buffer 1
		.amdhsa_user_sgpr_dispatch_ptr 0
		.amdhsa_user_sgpr_queue_ptr 0
		.amdhsa_user_sgpr_kernarg_segment_ptr 1
		.amdhsa_user_sgpr_dispatch_id 0
		.amdhsa_user_sgpr_flat_scratch_init 0
		.amdhsa_user_sgpr_private_segment_size 0
		.amdhsa_wavefront_size32 1
		.amdhsa_uses_dynamic_stack 0
		.amdhsa_system_sgpr_private_segment_wavefront_offset 0
		.amdhsa_system_sgpr_workgroup_id_x 1
		.amdhsa_system_sgpr_workgroup_id_y 0
		.amdhsa_system_sgpr_workgroup_id_z 0
		.amdhsa_system_sgpr_workgroup_info 0
		.amdhsa_system_vgpr_workitem_id 0
		.amdhsa_next_free_vgpr 1
		.amdhsa_next_free_sgpr 1
		.amdhsa_reserve_vcc 0
		.amdhsa_reserve_flat_scratch 0
		.amdhsa_float_round_mode_32 0
		.amdhsa_float_round_mode_16_64 0
		.amdhsa_float_denorm_mode_32 3
		.amdhsa_float_denorm_mode_16_64 3
		.amdhsa_dx10_clamp 1
		.amdhsa_ieee_mode 1
		.amdhsa_fp16_overflow 0
		.amdhsa_workgroup_processor_mode 1
		.amdhsa_memory_ordered 1
		.amdhsa_forward_progress 1
		.amdhsa_shared_vgpr_count 0
		.amdhsa_exception_fp_ieee_invalid_op 0
		.amdhsa_exception_fp_denorm_src 0
		.amdhsa_exception_fp_ieee_div_zero 0
		.amdhsa_exception_fp_ieee_overflow 0
		.amdhsa_exception_fp_ieee_underflow 0
		.amdhsa_exception_fp_ieee_inexact 0
		.amdhsa_exception_int_div_zero 0
	.end_amdhsa_kernel
	.section	.text._ZN7rocprim17ROCPRIM_400000_NS6detail17trampoline_kernelINS0_14default_configENS1_27scan_by_key_config_selectorIj11FixedVectorIiLj8EEEEZZNS1_16scan_by_key_implILNS1_25lookback_scan_determinismE0ELb1ES3_N6thrust23THRUST_200600_302600_NS6detail15normal_iteratorINSB_10device_ptrIjEEEENSD_INSE_IS6_EEEESI_S6_NSB_4plusIvEENSB_8equal_toIvEES6_EE10hipError_tPvRmT2_T3_T4_T5_mT6_T7_P12ihipStream_tbENKUlT_T0_E_clISt17integral_constantIbLb1EES13_EEDaSY_SZ_EUlSY_E_NS1_11comp_targetILNS1_3genE2ELNS1_11target_archE906ELNS1_3gpuE6ELNS1_3repE0EEENS1_30default_config_static_selectorELNS0_4arch9wavefront6targetE0EEEvT1_,"axG",@progbits,_ZN7rocprim17ROCPRIM_400000_NS6detail17trampoline_kernelINS0_14default_configENS1_27scan_by_key_config_selectorIj11FixedVectorIiLj8EEEEZZNS1_16scan_by_key_implILNS1_25lookback_scan_determinismE0ELb1ES3_N6thrust23THRUST_200600_302600_NS6detail15normal_iteratorINSB_10device_ptrIjEEEENSD_INSE_IS6_EEEESI_S6_NSB_4plusIvEENSB_8equal_toIvEES6_EE10hipError_tPvRmT2_T3_T4_T5_mT6_T7_P12ihipStream_tbENKUlT_T0_E_clISt17integral_constantIbLb1EES13_EEDaSY_SZ_EUlSY_E_NS1_11comp_targetILNS1_3genE2ELNS1_11target_archE906ELNS1_3gpuE6ELNS1_3repE0EEENS1_30default_config_static_selectorELNS0_4arch9wavefront6targetE0EEEvT1_,comdat
.Lfunc_end2171:
	.size	_ZN7rocprim17ROCPRIM_400000_NS6detail17trampoline_kernelINS0_14default_configENS1_27scan_by_key_config_selectorIj11FixedVectorIiLj8EEEEZZNS1_16scan_by_key_implILNS1_25lookback_scan_determinismE0ELb1ES3_N6thrust23THRUST_200600_302600_NS6detail15normal_iteratorINSB_10device_ptrIjEEEENSD_INSE_IS6_EEEESI_S6_NSB_4plusIvEENSB_8equal_toIvEES6_EE10hipError_tPvRmT2_T3_T4_T5_mT6_T7_P12ihipStream_tbENKUlT_T0_E_clISt17integral_constantIbLb1EES13_EEDaSY_SZ_EUlSY_E_NS1_11comp_targetILNS1_3genE2ELNS1_11target_archE906ELNS1_3gpuE6ELNS1_3repE0EEENS1_30default_config_static_selectorELNS0_4arch9wavefront6targetE0EEEvT1_, .Lfunc_end2171-_ZN7rocprim17ROCPRIM_400000_NS6detail17trampoline_kernelINS0_14default_configENS1_27scan_by_key_config_selectorIj11FixedVectorIiLj8EEEEZZNS1_16scan_by_key_implILNS1_25lookback_scan_determinismE0ELb1ES3_N6thrust23THRUST_200600_302600_NS6detail15normal_iteratorINSB_10device_ptrIjEEEENSD_INSE_IS6_EEEESI_S6_NSB_4plusIvEENSB_8equal_toIvEES6_EE10hipError_tPvRmT2_T3_T4_T5_mT6_T7_P12ihipStream_tbENKUlT_T0_E_clISt17integral_constantIbLb1EES13_EEDaSY_SZ_EUlSY_E_NS1_11comp_targetILNS1_3genE2ELNS1_11target_archE906ELNS1_3gpuE6ELNS1_3repE0EEENS1_30default_config_static_selectorELNS0_4arch9wavefront6targetE0EEEvT1_
                                        ; -- End function
	.set _ZN7rocprim17ROCPRIM_400000_NS6detail17trampoline_kernelINS0_14default_configENS1_27scan_by_key_config_selectorIj11FixedVectorIiLj8EEEEZZNS1_16scan_by_key_implILNS1_25lookback_scan_determinismE0ELb1ES3_N6thrust23THRUST_200600_302600_NS6detail15normal_iteratorINSB_10device_ptrIjEEEENSD_INSE_IS6_EEEESI_S6_NSB_4plusIvEENSB_8equal_toIvEES6_EE10hipError_tPvRmT2_T3_T4_T5_mT6_T7_P12ihipStream_tbENKUlT_T0_E_clISt17integral_constantIbLb1EES13_EEDaSY_SZ_EUlSY_E_NS1_11comp_targetILNS1_3genE2ELNS1_11target_archE906ELNS1_3gpuE6ELNS1_3repE0EEENS1_30default_config_static_selectorELNS0_4arch9wavefront6targetE0EEEvT1_.num_vgpr, 0
	.set _ZN7rocprim17ROCPRIM_400000_NS6detail17trampoline_kernelINS0_14default_configENS1_27scan_by_key_config_selectorIj11FixedVectorIiLj8EEEEZZNS1_16scan_by_key_implILNS1_25lookback_scan_determinismE0ELb1ES3_N6thrust23THRUST_200600_302600_NS6detail15normal_iteratorINSB_10device_ptrIjEEEENSD_INSE_IS6_EEEESI_S6_NSB_4plusIvEENSB_8equal_toIvEES6_EE10hipError_tPvRmT2_T3_T4_T5_mT6_T7_P12ihipStream_tbENKUlT_T0_E_clISt17integral_constantIbLb1EES13_EEDaSY_SZ_EUlSY_E_NS1_11comp_targetILNS1_3genE2ELNS1_11target_archE906ELNS1_3gpuE6ELNS1_3repE0EEENS1_30default_config_static_selectorELNS0_4arch9wavefront6targetE0EEEvT1_.num_agpr, 0
	.set _ZN7rocprim17ROCPRIM_400000_NS6detail17trampoline_kernelINS0_14default_configENS1_27scan_by_key_config_selectorIj11FixedVectorIiLj8EEEEZZNS1_16scan_by_key_implILNS1_25lookback_scan_determinismE0ELb1ES3_N6thrust23THRUST_200600_302600_NS6detail15normal_iteratorINSB_10device_ptrIjEEEENSD_INSE_IS6_EEEESI_S6_NSB_4plusIvEENSB_8equal_toIvEES6_EE10hipError_tPvRmT2_T3_T4_T5_mT6_T7_P12ihipStream_tbENKUlT_T0_E_clISt17integral_constantIbLb1EES13_EEDaSY_SZ_EUlSY_E_NS1_11comp_targetILNS1_3genE2ELNS1_11target_archE906ELNS1_3gpuE6ELNS1_3repE0EEENS1_30default_config_static_selectorELNS0_4arch9wavefront6targetE0EEEvT1_.numbered_sgpr, 0
	.set _ZN7rocprim17ROCPRIM_400000_NS6detail17trampoline_kernelINS0_14default_configENS1_27scan_by_key_config_selectorIj11FixedVectorIiLj8EEEEZZNS1_16scan_by_key_implILNS1_25lookback_scan_determinismE0ELb1ES3_N6thrust23THRUST_200600_302600_NS6detail15normal_iteratorINSB_10device_ptrIjEEEENSD_INSE_IS6_EEEESI_S6_NSB_4plusIvEENSB_8equal_toIvEES6_EE10hipError_tPvRmT2_T3_T4_T5_mT6_T7_P12ihipStream_tbENKUlT_T0_E_clISt17integral_constantIbLb1EES13_EEDaSY_SZ_EUlSY_E_NS1_11comp_targetILNS1_3genE2ELNS1_11target_archE906ELNS1_3gpuE6ELNS1_3repE0EEENS1_30default_config_static_selectorELNS0_4arch9wavefront6targetE0EEEvT1_.num_named_barrier, 0
	.set _ZN7rocprim17ROCPRIM_400000_NS6detail17trampoline_kernelINS0_14default_configENS1_27scan_by_key_config_selectorIj11FixedVectorIiLj8EEEEZZNS1_16scan_by_key_implILNS1_25lookback_scan_determinismE0ELb1ES3_N6thrust23THRUST_200600_302600_NS6detail15normal_iteratorINSB_10device_ptrIjEEEENSD_INSE_IS6_EEEESI_S6_NSB_4plusIvEENSB_8equal_toIvEES6_EE10hipError_tPvRmT2_T3_T4_T5_mT6_T7_P12ihipStream_tbENKUlT_T0_E_clISt17integral_constantIbLb1EES13_EEDaSY_SZ_EUlSY_E_NS1_11comp_targetILNS1_3genE2ELNS1_11target_archE906ELNS1_3gpuE6ELNS1_3repE0EEENS1_30default_config_static_selectorELNS0_4arch9wavefront6targetE0EEEvT1_.private_seg_size, 0
	.set _ZN7rocprim17ROCPRIM_400000_NS6detail17trampoline_kernelINS0_14default_configENS1_27scan_by_key_config_selectorIj11FixedVectorIiLj8EEEEZZNS1_16scan_by_key_implILNS1_25lookback_scan_determinismE0ELb1ES3_N6thrust23THRUST_200600_302600_NS6detail15normal_iteratorINSB_10device_ptrIjEEEENSD_INSE_IS6_EEEESI_S6_NSB_4plusIvEENSB_8equal_toIvEES6_EE10hipError_tPvRmT2_T3_T4_T5_mT6_T7_P12ihipStream_tbENKUlT_T0_E_clISt17integral_constantIbLb1EES13_EEDaSY_SZ_EUlSY_E_NS1_11comp_targetILNS1_3genE2ELNS1_11target_archE906ELNS1_3gpuE6ELNS1_3repE0EEENS1_30default_config_static_selectorELNS0_4arch9wavefront6targetE0EEEvT1_.uses_vcc, 0
	.set _ZN7rocprim17ROCPRIM_400000_NS6detail17trampoline_kernelINS0_14default_configENS1_27scan_by_key_config_selectorIj11FixedVectorIiLj8EEEEZZNS1_16scan_by_key_implILNS1_25lookback_scan_determinismE0ELb1ES3_N6thrust23THRUST_200600_302600_NS6detail15normal_iteratorINSB_10device_ptrIjEEEENSD_INSE_IS6_EEEESI_S6_NSB_4plusIvEENSB_8equal_toIvEES6_EE10hipError_tPvRmT2_T3_T4_T5_mT6_T7_P12ihipStream_tbENKUlT_T0_E_clISt17integral_constantIbLb1EES13_EEDaSY_SZ_EUlSY_E_NS1_11comp_targetILNS1_3genE2ELNS1_11target_archE906ELNS1_3gpuE6ELNS1_3repE0EEENS1_30default_config_static_selectorELNS0_4arch9wavefront6targetE0EEEvT1_.uses_flat_scratch, 0
	.set _ZN7rocprim17ROCPRIM_400000_NS6detail17trampoline_kernelINS0_14default_configENS1_27scan_by_key_config_selectorIj11FixedVectorIiLj8EEEEZZNS1_16scan_by_key_implILNS1_25lookback_scan_determinismE0ELb1ES3_N6thrust23THRUST_200600_302600_NS6detail15normal_iteratorINSB_10device_ptrIjEEEENSD_INSE_IS6_EEEESI_S6_NSB_4plusIvEENSB_8equal_toIvEES6_EE10hipError_tPvRmT2_T3_T4_T5_mT6_T7_P12ihipStream_tbENKUlT_T0_E_clISt17integral_constantIbLb1EES13_EEDaSY_SZ_EUlSY_E_NS1_11comp_targetILNS1_3genE2ELNS1_11target_archE906ELNS1_3gpuE6ELNS1_3repE0EEENS1_30default_config_static_selectorELNS0_4arch9wavefront6targetE0EEEvT1_.has_dyn_sized_stack, 0
	.set _ZN7rocprim17ROCPRIM_400000_NS6detail17trampoline_kernelINS0_14default_configENS1_27scan_by_key_config_selectorIj11FixedVectorIiLj8EEEEZZNS1_16scan_by_key_implILNS1_25lookback_scan_determinismE0ELb1ES3_N6thrust23THRUST_200600_302600_NS6detail15normal_iteratorINSB_10device_ptrIjEEEENSD_INSE_IS6_EEEESI_S6_NSB_4plusIvEENSB_8equal_toIvEES6_EE10hipError_tPvRmT2_T3_T4_T5_mT6_T7_P12ihipStream_tbENKUlT_T0_E_clISt17integral_constantIbLb1EES13_EEDaSY_SZ_EUlSY_E_NS1_11comp_targetILNS1_3genE2ELNS1_11target_archE906ELNS1_3gpuE6ELNS1_3repE0EEENS1_30default_config_static_selectorELNS0_4arch9wavefront6targetE0EEEvT1_.has_recursion, 0
	.set _ZN7rocprim17ROCPRIM_400000_NS6detail17trampoline_kernelINS0_14default_configENS1_27scan_by_key_config_selectorIj11FixedVectorIiLj8EEEEZZNS1_16scan_by_key_implILNS1_25lookback_scan_determinismE0ELb1ES3_N6thrust23THRUST_200600_302600_NS6detail15normal_iteratorINSB_10device_ptrIjEEEENSD_INSE_IS6_EEEESI_S6_NSB_4plusIvEENSB_8equal_toIvEES6_EE10hipError_tPvRmT2_T3_T4_T5_mT6_T7_P12ihipStream_tbENKUlT_T0_E_clISt17integral_constantIbLb1EES13_EEDaSY_SZ_EUlSY_E_NS1_11comp_targetILNS1_3genE2ELNS1_11target_archE906ELNS1_3gpuE6ELNS1_3repE0EEENS1_30default_config_static_selectorELNS0_4arch9wavefront6targetE0EEEvT1_.has_indirect_call, 0
	.section	.AMDGPU.csdata,"",@progbits
; Kernel info:
; codeLenInByte = 0
; TotalNumSgprs: 0
; NumVgprs: 0
; ScratchSize: 0
; MemoryBound: 0
; FloatMode: 240
; IeeeMode: 1
; LDSByteSize: 0 bytes/workgroup (compile time only)
; SGPRBlocks: 0
; VGPRBlocks: 0
; NumSGPRsForWavesPerEU: 1
; NumVGPRsForWavesPerEU: 1
; Occupancy: 16
; WaveLimiterHint : 0
; COMPUTE_PGM_RSRC2:SCRATCH_EN: 0
; COMPUTE_PGM_RSRC2:USER_SGPR: 6
; COMPUTE_PGM_RSRC2:TRAP_HANDLER: 0
; COMPUTE_PGM_RSRC2:TGID_X_EN: 1
; COMPUTE_PGM_RSRC2:TGID_Y_EN: 0
; COMPUTE_PGM_RSRC2:TGID_Z_EN: 0
; COMPUTE_PGM_RSRC2:TIDIG_COMP_CNT: 0
	.section	.text._ZN7rocprim17ROCPRIM_400000_NS6detail17trampoline_kernelINS0_14default_configENS1_27scan_by_key_config_selectorIj11FixedVectorIiLj8EEEEZZNS1_16scan_by_key_implILNS1_25lookback_scan_determinismE0ELb1ES3_N6thrust23THRUST_200600_302600_NS6detail15normal_iteratorINSB_10device_ptrIjEEEENSD_INSE_IS6_EEEESI_S6_NSB_4plusIvEENSB_8equal_toIvEES6_EE10hipError_tPvRmT2_T3_T4_T5_mT6_T7_P12ihipStream_tbENKUlT_T0_E_clISt17integral_constantIbLb1EES13_EEDaSY_SZ_EUlSY_E_NS1_11comp_targetILNS1_3genE10ELNS1_11target_archE1200ELNS1_3gpuE4ELNS1_3repE0EEENS1_30default_config_static_selectorELNS0_4arch9wavefront6targetE0EEEvT1_,"axG",@progbits,_ZN7rocprim17ROCPRIM_400000_NS6detail17trampoline_kernelINS0_14default_configENS1_27scan_by_key_config_selectorIj11FixedVectorIiLj8EEEEZZNS1_16scan_by_key_implILNS1_25lookback_scan_determinismE0ELb1ES3_N6thrust23THRUST_200600_302600_NS6detail15normal_iteratorINSB_10device_ptrIjEEEENSD_INSE_IS6_EEEESI_S6_NSB_4plusIvEENSB_8equal_toIvEES6_EE10hipError_tPvRmT2_T3_T4_T5_mT6_T7_P12ihipStream_tbENKUlT_T0_E_clISt17integral_constantIbLb1EES13_EEDaSY_SZ_EUlSY_E_NS1_11comp_targetILNS1_3genE10ELNS1_11target_archE1200ELNS1_3gpuE4ELNS1_3repE0EEENS1_30default_config_static_selectorELNS0_4arch9wavefront6targetE0EEEvT1_,comdat
	.protected	_ZN7rocprim17ROCPRIM_400000_NS6detail17trampoline_kernelINS0_14default_configENS1_27scan_by_key_config_selectorIj11FixedVectorIiLj8EEEEZZNS1_16scan_by_key_implILNS1_25lookback_scan_determinismE0ELb1ES3_N6thrust23THRUST_200600_302600_NS6detail15normal_iteratorINSB_10device_ptrIjEEEENSD_INSE_IS6_EEEESI_S6_NSB_4plusIvEENSB_8equal_toIvEES6_EE10hipError_tPvRmT2_T3_T4_T5_mT6_T7_P12ihipStream_tbENKUlT_T0_E_clISt17integral_constantIbLb1EES13_EEDaSY_SZ_EUlSY_E_NS1_11comp_targetILNS1_3genE10ELNS1_11target_archE1200ELNS1_3gpuE4ELNS1_3repE0EEENS1_30default_config_static_selectorELNS0_4arch9wavefront6targetE0EEEvT1_ ; -- Begin function _ZN7rocprim17ROCPRIM_400000_NS6detail17trampoline_kernelINS0_14default_configENS1_27scan_by_key_config_selectorIj11FixedVectorIiLj8EEEEZZNS1_16scan_by_key_implILNS1_25lookback_scan_determinismE0ELb1ES3_N6thrust23THRUST_200600_302600_NS6detail15normal_iteratorINSB_10device_ptrIjEEEENSD_INSE_IS6_EEEESI_S6_NSB_4plusIvEENSB_8equal_toIvEES6_EE10hipError_tPvRmT2_T3_T4_T5_mT6_T7_P12ihipStream_tbENKUlT_T0_E_clISt17integral_constantIbLb1EES13_EEDaSY_SZ_EUlSY_E_NS1_11comp_targetILNS1_3genE10ELNS1_11target_archE1200ELNS1_3gpuE4ELNS1_3repE0EEENS1_30default_config_static_selectorELNS0_4arch9wavefront6targetE0EEEvT1_
	.globl	_ZN7rocprim17ROCPRIM_400000_NS6detail17trampoline_kernelINS0_14default_configENS1_27scan_by_key_config_selectorIj11FixedVectorIiLj8EEEEZZNS1_16scan_by_key_implILNS1_25lookback_scan_determinismE0ELb1ES3_N6thrust23THRUST_200600_302600_NS6detail15normal_iteratorINSB_10device_ptrIjEEEENSD_INSE_IS6_EEEESI_S6_NSB_4plusIvEENSB_8equal_toIvEES6_EE10hipError_tPvRmT2_T3_T4_T5_mT6_T7_P12ihipStream_tbENKUlT_T0_E_clISt17integral_constantIbLb1EES13_EEDaSY_SZ_EUlSY_E_NS1_11comp_targetILNS1_3genE10ELNS1_11target_archE1200ELNS1_3gpuE4ELNS1_3repE0EEENS1_30default_config_static_selectorELNS0_4arch9wavefront6targetE0EEEvT1_
	.p2align	8
	.type	_ZN7rocprim17ROCPRIM_400000_NS6detail17trampoline_kernelINS0_14default_configENS1_27scan_by_key_config_selectorIj11FixedVectorIiLj8EEEEZZNS1_16scan_by_key_implILNS1_25lookback_scan_determinismE0ELb1ES3_N6thrust23THRUST_200600_302600_NS6detail15normal_iteratorINSB_10device_ptrIjEEEENSD_INSE_IS6_EEEESI_S6_NSB_4plusIvEENSB_8equal_toIvEES6_EE10hipError_tPvRmT2_T3_T4_T5_mT6_T7_P12ihipStream_tbENKUlT_T0_E_clISt17integral_constantIbLb1EES13_EEDaSY_SZ_EUlSY_E_NS1_11comp_targetILNS1_3genE10ELNS1_11target_archE1200ELNS1_3gpuE4ELNS1_3repE0EEENS1_30default_config_static_selectorELNS0_4arch9wavefront6targetE0EEEvT1_,@function
_ZN7rocprim17ROCPRIM_400000_NS6detail17trampoline_kernelINS0_14default_configENS1_27scan_by_key_config_selectorIj11FixedVectorIiLj8EEEEZZNS1_16scan_by_key_implILNS1_25lookback_scan_determinismE0ELb1ES3_N6thrust23THRUST_200600_302600_NS6detail15normal_iteratorINSB_10device_ptrIjEEEENSD_INSE_IS6_EEEESI_S6_NSB_4plusIvEENSB_8equal_toIvEES6_EE10hipError_tPvRmT2_T3_T4_T5_mT6_T7_P12ihipStream_tbENKUlT_T0_E_clISt17integral_constantIbLb1EES13_EEDaSY_SZ_EUlSY_E_NS1_11comp_targetILNS1_3genE10ELNS1_11target_archE1200ELNS1_3gpuE4ELNS1_3repE0EEENS1_30default_config_static_selectorELNS0_4arch9wavefront6targetE0EEEvT1_: ; @_ZN7rocprim17ROCPRIM_400000_NS6detail17trampoline_kernelINS0_14default_configENS1_27scan_by_key_config_selectorIj11FixedVectorIiLj8EEEEZZNS1_16scan_by_key_implILNS1_25lookback_scan_determinismE0ELb1ES3_N6thrust23THRUST_200600_302600_NS6detail15normal_iteratorINSB_10device_ptrIjEEEENSD_INSE_IS6_EEEESI_S6_NSB_4plusIvEENSB_8equal_toIvEES6_EE10hipError_tPvRmT2_T3_T4_T5_mT6_T7_P12ihipStream_tbENKUlT_T0_E_clISt17integral_constantIbLb1EES13_EEDaSY_SZ_EUlSY_E_NS1_11comp_targetILNS1_3genE10ELNS1_11target_archE1200ELNS1_3gpuE4ELNS1_3repE0EEENS1_30default_config_static_selectorELNS0_4arch9wavefront6targetE0EEEvT1_
; %bb.0:
	.section	.rodata,"a",@progbits
	.p2align	6, 0x0
	.amdhsa_kernel _ZN7rocprim17ROCPRIM_400000_NS6detail17trampoline_kernelINS0_14default_configENS1_27scan_by_key_config_selectorIj11FixedVectorIiLj8EEEEZZNS1_16scan_by_key_implILNS1_25lookback_scan_determinismE0ELb1ES3_N6thrust23THRUST_200600_302600_NS6detail15normal_iteratorINSB_10device_ptrIjEEEENSD_INSE_IS6_EEEESI_S6_NSB_4plusIvEENSB_8equal_toIvEES6_EE10hipError_tPvRmT2_T3_T4_T5_mT6_T7_P12ihipStream_tbENKUlT_T0_E_clISt17integral_constantIbLb1EES13_EEDaSY_SZ_EUlSY_E_NS1_11comp_targetILNS1_3genE10ELNS1_11target_archE1200ELNS1_3gpuE4ELNS1_3repE0EEENS1_30default_config_static_selectorELNS0_4arch9wavefront6targetE0EEEvT1_
		.amdhsa_group_segment_fixed_size 0
		.amdhsa_private_segment_fixed_size 0
		.amdhsa_kernarg_size 160
		.amdhsa_user_sgpr_count 6
		.amdhsa_user_sgpr_private_segment_buffer 1
		.amdhsa_user_sgpr_dispatch_ptr 0
		.amdhsa_user_sgpr_queue_ptr 0
		.amdhsa_user_sgpr_kernarg_segment_ptr 1
		.amdhsa_user_sgpr_dispatch_id 0
		.amdhsa_user_sgpr_flat_scratch_init 0
		.amdhsa_user_sgpr_private_segment_size 0
		.amdhsa_wavefront_size32 1
		.amdhsa_uses_dynamic_stack 0
		.amdhsa_system_sgpr_private_segment_wavefront_offset 0
		.amdhsa_system_sgpr_workgroup_id_x 1
		.amdhsa_system_sgpr_workgroup_id_y 0
		.amdhsa_system_sgpr_workgroup_id_z 0
		.amdhsa_system_sgpr_workgroup_info 0
		.amdhsa_system_vgpr_workitem_id 0
		.amdhsa_next_free_vgpr 1
		.amdhsa_next_free_sgpr 1
		.amdhsa_reserve_vcc 0
		.amdhsa_reserve_flat_scratch 0
		.amdhsa_float_round_mode_32 0
		.amdhsa_float_round_mode_16_64 0
		.amdhsa_float_denorm_mode_32 3
		.amdhsa_float_denorm_mode_16_64 3
		.amdhsa_dx10_clamp 1
		.amdhsa_ieee_mode 1
		.amdhsa_fp16_overflow 0
		.amdhsa_workgroup_processor_mode 1
		.amdhsa_memory_ordered 1
		.amdhsa_forward_progress 1
		.amdhsa_shared_vgpr_count 0
		.amdhsa_exception_fp_ieee_invalid_op 0
		.amdhsa_exception_fp_denorm_src 0
		.amdhsa_exception_fp_ieee_div_zero 0
		.amdhsa_exception_fp_ieee_overflow 0
		.amdhsa_exception_fp_ieee_underflow 0
		.amdhsa_exception_fp_ieee_inexact 0
		.amdhsa_exception_int_div_zero 0
	.end_amdhsa_kernel
	.section	.text._ZN7rocprim17ROCPRIM_400000_NS6detail17trampoline_kernelINS0_14default_configENS1_27scan_by_key_config_selectorIj11FixedVectorIiLj8EEEEZZNS1_16scan_by_key_implILNS1_25lookback_scan_determinismE0ELb1ES3_N6thrust23THRUST_200600_302600_NS6detail15normal_iteratorINSB_10device_ptrIjEEEENSD_INSE_IS6_EEEESI_S6_NSB_4plusIvEENSB_8equal_toIvEES6_EE10hipError_tPvRmT2_T3_T4_T5_mT6_T7_P12ihipStream_tbENKUlT_T0_E_clISt17integral_constantIbLb1EES13_EEDaSY_SZ_EUlSY_E_NS1_11comp_targetILNS1_3genE10ELNS1_11target_archE1200ELNS1_3gpuE4ELNS1_3repE0EEENS1_30default_config_static_selectorELNS0_4arch9wavefront6targetE0EEEvT1_,"axG",@progbits,_ZN7rocprim17ROCPRIM_400000_NS6detail17trampoline_kernelINS0_14default_configENS1_27scan_by_key_config_selectorIj11FixedVectorIiLj8EEEEZZNS1_16scan_by_key_implILNS1_25lookback_scan_determinismE0ELb1ES3_N6thrust23THRUST_200600_302600_NS6detail15normal_iteratorINSB_10device_ptrIjEEEENSD_INSE_IS6_EEEESI_S6_NSB_4plusIvEENSB_8equal_toIvEES6_EE10hipError_tPvRmT2_T3_T4_T5_mT6_T7_P12ihipStream_tbENKUlT_T0_E_clISt17integral_constantIbLb1EES13_EEDaSY_SZ_EUlSY_E_NS1_11comp_targetILNS1_3genE10ELNS1_11target_archE1200ELNS1_3gpuE4ELNS1_3repE0EEENS1_30default_config_static_selectorELNS0_4arch9wavefront6targetE0EEEvT1_,comdat
.Lfunc_end2172:
	.size	_ZN7rocprim17ROCPRIM_400000_NS6detail17trampoline_kernelINS0_14default_configENS1_27scan_by_key_config_selectorIj11FixedVectorIiLj8EEEEZZNS1_16scan_by_key_implILNS1_25lookback_scan_determinismE0ELb1ES3_N6thrust23THRUST_200600_302600_NS6detail15normal_iteratorINSB_10device_ptrIjEEEENSD_INSE_IS6_EEEESI_S6_NSB_4plusIvEENSB_8equal_toIvEES6_EE10hipError_tPvRmT2_T3_T4_T5_mT6_T7_P12ihipStream_tbENKUlT_T0_E_clISt17integral_constantIbLb1EES13_EEDaSY_SZ_EUlSY_E_NS1_11comp_targetILNS1_3genE10ELNS1_11target_archE1200ELNS1_3gpuE4ELNS1_3repE0EEENS1_30default_config_static_selectorELNS0_4arch9wavefront6targetE0EEEvT1_, .Lfunc_end2172-_ZN7rocprim17ROCPRIM_400000_NS6detail17trampoline_kernelINS0_14default_configENS1_27scan_by_key_config_selectorIj11FixedVectorIiLj8EEEEZZNS1_16scan_by_key_implILNS1_25lookback_scan_determinismE0ELb1ES3_N6thrust23THRUST_200600_302600_NS6detail15normal_iteratorINSB_10device_ptrIjEEEENSD_INSE_IS6_EEEESI_S6_NSB_4plusIvEENSB_8equal_toIvEES6_EE10hipError_tPvRmT2_T3_T4_T5_mT6_T7_P12ihipStream_tbENKUlT_T0_E_clISt17integral_constantIbLb1EES13_EEDaSY_SZ_EUlSY_E_NS1_11comp_targetILNS1_3genE10ELNS1_11target_archE1200ELNS1_3gpuE4ELNS1_3repE0EEENS1_30default_config_static_selectorELNS0_4arch9wavefront6targetE0EEEvT1_
                                        ; -- End function
	.set _ZN7rocprim17ROCPRIM_400000_NS6detail17trampoline_kernelINS0_14default_configENS1_27scan_by_key_config_selectorIj11FixedVectorIiLj8EEEEZZNS1_16scan_by_key_implILNS1_25lookback_scan_determinismE0ELb1ES3_N6thrust23THRUST_200600_302600_NS6detail15normal_iteratorINSB_10device_ptrIjEEEENSD_INSE_IS6_EEEESI_S6_NSB_4plusIvEENSB_8equal_toIvEES6_EE10hipError_tPvRmT2_T3_T4_T5_mT6_T7_P12ihipStream_tbENKUlT_T0_E_clISt17integral_constantIbLb1EES13_EEDaSY_SZ_EUlSY_E_NS1_11comp_targetILNS1_3genE10ELNS1_11target_archE1200ELNS1_3gpuE4ELNS1_3repE0EEENS1_30default_config_static_selectorELNS0_4arch9wavefront6targetE0EEEvT1_.num_vgpr, 0
	.set _ZN7rocprim17ROCPRIM_400000_NS6detail17trampoline_kernelINS0_14default_configENS1_27scan_by_key_config_selectorIj11FixedVectorIiLj8EEEEZZNS1_16scan_by_key_implILNS1_25lookback_scan_determinismE0ELb1ES3_N6thrust23THRUST_200600_302600_NS6detail15normal_iteratorINSB_10device_ptrIjEEEENSD_INSE_IS6_EEEESI_S6_NSB_4plusIvEENSB_8equal_toIvEES6_EE10hipError_tPvRmT2_T3_T4_T5_mT6_T7_P12ihipStream_tbENKUlT_T0_E_clISt17integral_constantIbLb1EES13_EEDaSY_SZ_EUlSY_E_NS1_11comp_targetILNS1_3genE10ELNS1_11target_archE1200ELNS1_3gpuE4ELNS1_3repE0EEENS1_30default_config_static_selectorELNS0_4arch9wavefront6targetE0EEEvT1_.num_agpr, 0
	.set _ZN7rocprim17ROCPRIM_400000_NS6detail17trampoline_kernelINS0_14default_configENS1_27scan_by_key_config_selectorIj11FixedVectorIiLj8EEEEZZNS1_16scan_by_key_implILNS1_25lookback_scan_determinismE0ELb1ES3_N6thrust23THRUST_200600_302600_NS6detail15normal_iteratorINSB_10device_ptrIjEEEENSD_INSE_IS6_EEEESI_S6_NSB_4plusIvEENSB_8equal_toIvEES6_EE10hipError_tPvRmT2_T3_T4_T5_mT6_T7_P12ihipStream_tbENKUlT_T0_E_clISt17integral_constantIbLb1EES13_EEDaSY_SZ_EUlSY_E_NS1_11comp_targetILNS1_3genE10ELNS1_11target_archE1200ELNS1_3gpuE4ELNS1_3repE0EEENS1_30default_config_static_selectorELNS0_4arch9wavefront6targetE0EEEvT1_.numbered_sgpr, 0
	.set _ZN7rocprim17ROCPRIM_400000_NS6detail17trampoline_kernelINS0_14default_configENS1_27scan_by_key_config_selectorIj11FixedVectorIiLj8EEEEZZNS1_16scan_by_key_implILNS1_25lookback_scan_determinismE0ELb1ES3_N6thrust23THRUST_200600_302600_NS6detail15normal_iteratorINSB_10device_ptrIjEEEENSD_INSE_IS6_EEEESI_S6_NSB_4plusIvEENSB_8equal_toIvEES6_EE10hipError_tPvRmT2_T3_T4_T5_mT6_T7_P12ihipStream_tbENKUlT_T0_E_clISt17integral_constantIbLb1EES13_EEDaSY_SZ_EUlSY_E_NS1_11comp_targetILNS1_3genE10ELNS1_11target_archE1200ELNS1_3gpuE4ELNS1_3repE0EEENS1_30default_config_static_selectorELNS0_4arch9wavefront6targetE0EEEvT1_.num_named_barrier, 0
	.set _ZN7rocprim17ROCPRIM_400000_NS6detail17trampoline_kernelINS0_14default_configENS1_27scan_by_key_config_selectorIj11FixedVectorIiLj8EEEEZZNS1_16scan_by_key_implILNS1_25lookback_scan_determinismE0ELb1ES3_N6thrust23THRUST_200600_302600_NS6detail15normal_iteratorINSB_10device_ptrIjEEEENSD_INSE_IS6_EEEESI_S6_NSB_4plusIvEENSB_8equal_toIvEES6_EE10hipError_tPvRmT2_T3_T4_T5_mT6_T7_P12ihipStream_tbENKUlT_T0_E_clISt17integral_constantIbLb1EES13_EEDaSY_SZ_EUlSY_E_NS1_11comp_targetILNS1_3genE10ELNS1_11target_archE1200ELNS1_3gpuE4ELNS1_3repE0EEENS1_30default_config_static_selectorELNS0_4arch9wavefront6targetE0EEEvT1_.private_seg_size, 0
	.set _ZN7rocprim17ROCPRIM_400000_NS6detail17trampoline_kernelINS0_14default_configENS1_27scan_by_key_config_selectorIj11FixedVectorIiLj8EEEEZZNS1_16scan_by_key_implILNS1_25lookback_scan_determinismE0ELb1ES3_N6thrust23THRUST_200600_302600_NS6detail15normal_iteratorINSB_10device_ptrIjEEEENSD_INSE_IS6_EEEESI_S6_NSB_4plusIvEENSB_8equal_toIvEES6_EE10hipError_tPvRmT2_T3_T4_T5_mT6_T7_P12ihipStream_tbENKUlT_T0_E_clISt17integral_constantIbLb1EES13_EEDaSY_SZ_EUlSY_E_NS1_11comp_targetILNS1_3genE10ELNS1_11target_archE1200ELNS1_3gpuE4ELNS1_3repE0EEENS1_30default_config_static_selectorELNS0_4arch9wavefront6targetE0EEEvT1_.uses_vcc, 0
	.set _ZN7rocprim17ROCPRIM_400000_NS6detail17trampoline_kernelINS0_14default_configENS1_27scan_by_key_config_selectorIj11FixedVectorIiLj8EEEEZZNS1_16scan_by_key_implILNS1_25lookback_scan_determinismE0ELb1ES3_N6thrust23THRUST_200600_302600_NS6detail15normal_iteratorINSB_10device_ptrIjEEEENSD_INSE_IS6_EEEESI_S6_NSB_4plusIvEENSB_8equal_toIvEES6_EE10hipError_tPvRmT2_T3_T4_T5_mT6_T7_P12ihipStream_tbENKUlT_T0_E_clISt17integral_constantIbLb1EES13_EEDaSY_SZ_EUlSY_E_NS1_11comp_targetILNS1_3genE10ELNS1_11target_archE1200ELNS1_3gpuE4ELNS1_3repE0EEENS1_30default_config_static_selectorELNS0_4arch9wavefront6targetE0EEEvT1_.uses_flat_scratch, 0
	.set _ZN7rocprim17ROCPRIM_400000_NS6detail17trampoline_kernelINS0_14default_configENS1_27scan_by_key_config_selectorIj11FixedVectorIiLj8EEEEZZNS1_16scan_by_key_implILNS1_25lookback_scan_determinismE0ELb1ES3_N6thrust23THRUST_200600_302600_NS6detail15normal_iteratorINSB_10device_ptrIjEEEENSD_INSE_IS6_EEEESI_S6_NSB_4plusIvEENSB_8equal_toIvEES6_EE10hipError_tPvRmT2_T3_T4_T5_mT6_T7_P12ihipStream_tbENKUlT_T0_E_clISt17integral_constantIbLb1EES13_EEDaSY_SZ_EUlSY_E_NS1_11comp_targetILNS1_3genE10ELNS1_11target_archE1200ELNS1_3gpuE4ELNS1_3repE0EEENS1_30default_config_static_selectorELNS0_4arch9wavefront6targetE0EEEvT1_.has_dyn_sized_stack, 0
	.set _ZN7rocprim17ROCPRIM_400000_NS6detail17trampoline_kernelINS0_14default_configENS1_27scan_by_key_config_selectorIj11FixedVectorIiLj8EEEEZZNS1_16scan_by_key_implILNS1_25lookback_scan_determinismE0ELb1ES3_N6thrust23THRUST_200600_302600_NS6detail15normal_iteratorINSB_10device_ptrIjEEEENSD_INSE_IS6_EEEESI_S6_NSB_4plusIvEENSB_8equal_toIvEES6_EE10hipError_tPvRmT2_T3_T4_T5_mT6_T7_P12ihipStream_tbENKUlT_T0_E_clISt17integral_constantIbLb1EES13_EEDaSY_SZ_EUlSY_E_NS1_11comp_targetILNS1_3genE10ELNS1_11target_archE1200ELNS1_3gpuE4ELNS1_3repE0EEENS1_30default_config_static_selectorELNS0_4arch9wavefront6targetE0EEEvT1_.has_recursion, 0
	.set _ZN7rocprim17ROCPRIM_400000_NS6detail17trampoline_kernelINS0_14default_configENS1_27scan_by_key_config_selectorIj11FixedVectorIiLj8EEEEZZNS1_16scan_by_key_implILNS1_25lookback_scan_determinismE0ELb1ES3_N6thrust23THRUST_200600_302600_NS6detail15normal_iteratorINSB_10device_ptrIjEEEENSD_INSE_IS6_EEEESI_S6_NSB_4plusIvEENSB_8equal_toIvEES6_EE10hipError_tPvRmT2_T3_T4_T5_mT6_T7_P12ihipStream_tbENKUlT_T0_E_clISt17integral_constantIbLb1EES13_EEDaSY_SZ_EUlSY_E_NS1_11comp_targetILNS1_3genE10ELNS1_11target_archE1200ELNS1_3gpuE4ELNS1_3repE0EEENS1_30default_config_static_selectorELNS0_4arch9wavefront6targetE0EEEvT1_.has_indirect_call, 0
	.section	.AMDGPU.csdata,"",@progbits
; Kernel info:
; codeLenInByte = 0
; TotalNumSgprs: 0
; NumVgprs: 0
; ScratchSize: 0
; MemoryBound: 0
; FloatMode: 240
; IeeeMode: 1
; LDSByteSize: 0 bytes/workgroup (compile time only)
; SGPRBlocks: 0
; VGPRBlocks: 0
; NumSGPRsForWavesPerEU: 1
; NumVGPRsForWavesPerEU: 1
; Occupancy: 16
; WaveLimiterHint : 0
; COMPUTE_PGM_RSRC2:SCRATCH_EN: 0
; COMPUTE_PGM_RSRC2:USER_SGPR: 6
; COMPUTE_PGM_RSRC2:TRAP_HANDLER: 0
; COMPUTE_PGM_RSRC2:TGID_X_EN: 1
; COMPUTE_PGM_RSRC2:TGID_Y_EN: 0
; COMPUTE_PGM_RSRC2:TGID_Z_EN: 0
; COMPUTE_PGM_RSRC2:TIDIG_COMP_CNT: 0
	.section	.text._ZN7rocprim17ROCPRIM_400000_NS6detail17trampoline_kernelINS0_14default_configENS1_27scan_by_key_config_selectorIj11FixedVectorIiLj8EEEEZZNS1_16scan_by_key_implILNS1_25lookback_scan_determinismE0ELb1ES3_N6thrust23THRUST_200600_302600_NS6detail15normal_iteratorINSB_10device_ptrIjEEEENSD_INSE_IS6_EEEESI_S6_NSB_4plusIvEENSB_8equal_toIvEES6_EE10hipError_tPvRmT2_T3_T4_T5_mT6_T7_P12ihipStream_tbENKUlT_T0_E_clISt17integral_constantIbLb1EES13_EEDaSY_SZ_EUlSY_E_NS1_11comp_targetILNS1_3genE9ELNS1_11target_archE1100ELNS1_3gpuE3ELNS1_3repE0EEENS1_30default_config_static_selectorELNS0_4arch9wavefront6targetE0EEEvT1_,"axG",@progbits,_ZN7rocprim17ROCPRIM_400000_NS6detail17trampoline_kernelINS0_14default_configENS1_27scan_by_key_config_selectorIj11FixedVectorIiLj8EEEEZZNS1_16scan_by_key_implILNS1_25lookback_scan_determinismE0ELb1ES3_N6thrust23THRUST_200600_302600_NS6detail15normal_iteratorINSB_10device_ptrIjEEEENSD_INSE_IS6_EEEESI_S6_NSB_4plusIvEENSB_8equal_toIvEES6_EE10hipError_tPvRmT2_T3_T4_T5_mT6_T7_P12ihipStream_tbENKUlT_T0_E_clISt17integral_constantIbLb1EES13_EEDaSY_SZ_EUlSY_E_NS1_11comp_targetILNS1_3genE9ELNS1_11target_archE1100ELNS1_3gpuE3ELNS1_3repE0EEENS1_30default_config_static_selectorELNS0_4arch9wavefront6targetE0EEEvT1_,comdat
	.protected	_ZN7rocprim17ROCPRIM_400000_NS6detail17trampoline_kernelINS0_14default_configENS1_27scan_by_key_config_selectorIj11FixedVectorIiLj8EEEEZZNS1_16scan_by_key_implILNS1_25lookback_scan_determinismE0ELb1ES3_N6thrust23THRUST_200600_302600_NS6detail15normal_iteratorINSB_10device_ptrIjEEEENSD_INSE_IS6_EEEESI_S6_NSB_4plusIvEENSB_8equal_toIvEES6_EE10hipError_tPvRmT2_T3_T4_T5_mT6_T7_P12ihipStream_tbENKUlT_T0_E_clISt17integral_constantIbLb1EES13_EEDaSY_SZ_EUlSY_E_NS1_11comp_targetILNS1_3genE9ELNS1_11target_archE1100ELNS1_3gpuE3ELNS1_3repE0EEENS1_30default_config_static_selectorELNS0_4arch9wavefront6targetE0EEEvT1_ ; -- Begin function _ZN7rocprim17ROCPRIM_400000_NS6detail17trampoline_kernelINS0_14default_configENS1_27scan_by_key_config_selectorIj11FixedVectorIiLj8EEEEZZNS1_16scan_by_key_implILNS1_25lookback_scan_determinismE0ELb1ES3_N6thrust23THRUST_200600_302600_NS6detail15normal_iteratorINSB_10device_ptrIjEEEENSD_INSE_IS6_EEEESI_S6_NSB_4plusIvEENSB_8equal_toIvEES6_EE10hipError_tPvRmT2_T3_T4_T5_mT6_T7_P12ihipStream_tbENKUlT_T0_E_clISt17integral_constantIbLb1EES13_EEDaSY_SZ_EUlSY_E_NS1_11comp_targetILNS1_3genE9ELNS1_11target_archE1100ELNS1_3gpuE3ELNS1_3repE0EEENS1_30default_config_static_selectorELNS0_4arch9wavefront6targetE0EEEvT1_
	.globl	_ZN7rocprim17ROCPRIM_400000_NS6detail17trampoline_kernelINS0_14default_configENS1_27scan_by_key_config_selectorIj11FixedVectorIiLj8EEEEZZNS1_16scan_by_key_implILNS1_25lookback_scan_determinismE0ELb1ES3_N6thrust23THRUST_200600_302600_NS6detail15normal_iteratorINSB_10device_ptrIjEEEENSD_INSE_IS6_EEEESI_S6_NSB_4plusIvEENSB_8equal_toIvEES6_EE10hipError_tPvRmT2_T3_T4_T5_mT6_T7_P12ihipStream_tbENKUlT_T0_E_clISt17integral_constantIbLb1EES13_EEDaSY_SZ_EUlSY_E_NS1_11comp_targetILNS1_3genE9ELNS1_11target_archE1100ELNS1_3gpuE3ELNS1_3repE0EEENS1_30default_config_static_selectorELNS0_4arch9wavefront6targetE0EEEvT1_
	.p2align	8
	.type	_ZN7rocprim17ROCPRIM_400000_NS6detail17trampoline_kernelINS0_14default_configENS1_27scan_by_key_config_selectorIj11FixedVectorIiLj8EEEEZZNS1_16scan_by_key_implILNS1_25lookback_scan_determinismE0ELb1ES3_N6thrust23THRUST_200600_302600_NS6detail15normal_iteratorINSB_10device_ptrIjEEEENSD_INSE_IS6_EEEESI_S6_NSB_4plusIvEENSB_8equal_toIvEES6_EE10hipError_tPvRmT2_T3_T4_T5_mT6_T7_P12ihipStream_tbENKUlT_T0_E_clISt17integral_constantIbLb1EES13_EEDaSY_SZ_EUlSY_E_NS1_11comp_targetILNS1_3genE9ELNS1_11target_archE1100ELNS1_3gpuE3ELNS1_3repE0EEENS1_30default_config_static_selectorELNS0_4arch9wavefront6targetE0EEEvT1_,@function
_ZN7rocprim17ROCPRIM_400000_NS6detail17trampoline_kernelINS0_14default_configENS1_27scan_by_key_config_selectorIj11FixedVectorIiLj8EEEEZZNS1_16scan_by_key_implILNS1_25lookback_scan_determinismE0ELb1ES3_N6thrust23THRUST_200600_302600_NS6detail15normal_iteratorINSB_10device_ptrIjEEEENSD_INSE_IS6_EEEESI_S6_NSB_4plusIvEENSB_8equal_toIvEES6_EE10hipError_tPvRmT2_T3_T4_T5_mT6_T7_P12ihipStream_tbENKUlT_T0_E_clISt17integral_constantIbLb1EES13_EEDaSY_SZ_EUlSY_E_NS1_11comp_targetILNS1_3genE9ELNS1_11target_archE1100ELNS1_3gpuE3ELNS1_3repE0EEENS1_30default_config_static_selectorELNS0_4arch9wavefront6targetE0EEEvT1_: ; @_ZN7rocprim17ROCPRIM_400000_NS6detail17trampoline_kernelINS0_14default_configENS1_27scan_by_key_config_selectorIj11FixedVectorIiLj8EEEEZZNS1_16scan_by_key_implILNS1_25lookback_scan_determinismE0ELb1ES3_N6thrust23THRUST_200600_302600_NS6detail15normal_iteratorINSB_10device_ptrIjEEEENSD_INSE_IS6_EEEESI_S6_NSB_4plusIvEENSB_8equal_toIvEES6_EE10hipError_tPvRmT2_T3_T4_T5_mT6_T7_P12ihipStream_tbENKUlT_T0_E_clISt17integral_constantIbLb1EES13_EEDaSY_SZ_EUlSY_E_NS1_11comp_targetILNS1_3genE9ELNS1_11target_archE1100ELNS1_3gpuE3ELNS1_3repE0EEENS1_30default_config_static_selectorELNS0_4arch9wavefront6targetE0EEEvT1_
; %bb.0:
	.section	.rodata,"a",@progbits
	.p2align	6, 0x0
	.amdhsa_kernel _ZN7rocprim17ROCPRIM_400000_NS6detail17trampoline_kernelINS0_14default_configENS1_27scan_by_key_config_selectorIj11FixedVectorIiLj8EEEEZZNS1_16scan_by_key_implILNS1_25lookback_scan_determinismE0ELb1ES3_N6thrust23THRUST_200600_302600_NS6detail15normal_iteratorINSB_10device_ptrIjEEEENSD_INSE_IS6_EEEESI_S6_NSB_4plusIvEENSB_8equal_toIvEES6_EE10hipError_tPvRmT2_T3_T4_T5_mT6_T7_P12ihipStream_tbENKUlT_T0_E_clISt17integral_constantIbLb1EES13_EEDaSY_SZ_EUlSY_E_NS1_11comp_targetILNS1_3genE9ELNS1_11target_archE1100ELNS1_3gpuE3ELNS1_3repE0EEENS1_30default_config_static_selectorELNS0_4arch9wavefront6targetE0EEEvT1_
		.amdhsa_group_segment_fixed_size 0
		.amdhsa_private_segment_fixed_size 0
		.amdhsa_kernarg_size 160
		.amdhsa_user_sgpr_count 6
		.amdhsa_user_sgpr_private_segment_buffer 1
		.amdhsa_user_sgpr_dispatch_ptr 0
		.amdhsa_user_sgpr_queue_ptr 0
		.amdhsa_user_sgpr_kernarg_segment_ptr 1
		.amdhsa_user_sgpr_dispatch_id 0
		.amdhsa_user_sgpr_flat_scratch_init 0
		.amdhsa_user_sgpr_private_segment_size 0
		.amdhsa_wavefront_size32 1
		.amdhsa_uses_dynamic_stack 0
		.amdhsa_system_sgpr_private_segment_wavefront_offset 0
		.amdhsa_system_sgpr_workgroup_id_x 1
		.amdhsa_system_sgpr_workgroup_id_y 0
		.amdhsa_system_sgpr_workgroup_id_z 0
		.amdhsa_system_sgpr_workgroup_info 0
		.amdhsa_system_vgpr_workitem_id 0
		.amdhsa_next_free_vgpr 1
		.amdhsa_next_free_sgpr 1
		.amdhsa_reserve_vcc 0
		.amdhsa_reserve_flat_scratch 0
		.amdhsa_float_round_mode_32 0
		.amdhsa_float_round_mode_16_64 0
		.amdhsa_float_denorm_mode_32 3
		.amdhsa_float_denorm_mode_16_64 3
		.amdhsa_dx10_clamp 1
		.amdhsa_ieee_mode 1
		.amdhsa_fp16_overflow 0
		.amdhsa_workgroup_processor_mode 1
		.amdhsa_memory_ordered 1
		.amdhsa_forward_progress 1
		.amdhsa_shared_vgpr_count 0
		.amdhsa_exception_fp_ieee_invalid_op 0
		.amdhsa_exception_fp_denorm_src 0
		.amdhsa_exception_fp_ieee_div_zero 0
		.amdhsa_exception_fp_ieee_overflow 0
		.amdhsa_exception_fp_ieee_underflow 0
		.amdhsa_exception_fp_ieee_inexact 0
		.amdhsa_exception_int_div_zero 0
	.end_amdhsa_kernel
	.section	.text._ZN7rocprim17ROCPRIM_400000_NS6detail17trampoline_kernelINS0_14default_configENS1_27scan_by_key_config_selectorIj11FixedVectorIiLj8EEEEZZNS1_16scan_by_key_implILNS1_25lookback_scan_determinismE0ELb1ES3_N6thrust23THRUST_200600_302600_NS6detail15normal_iteratorINSB_10device_ptrIjEEEENSD_INSE_IS6_EEEESI_S6_NSB_4plusIvEENSB_8equal_toIvEES6_EE10hipError_tPvRmT2_T3_T4_T5_mT6_T7_P12ihipStream_tbENKUlT_T0_E_clISt17integral_constantIbLb1EES13_EEDaSY_SZ_EUlSY_E_NS1_11comp_targetILNS1_3genE9ELNS1_11target_archE1100ELNS1_3gpuE3ELNS1_3repE0EEENS1_30default_config_static_selectorELNS0_4arch9wavefront6targetE0EEEvT1_,"axG",@progbits,_ZN7rocprim17ROCPRIM_400000_NS6detail17trampoline_kernelINS0_14default_configENS1_27scan_by_key_config_selectorIj11FixedVectorIiLj8EEEEZZNS1_16scan_by_key_implILNS1_25lookback_scan_determinismE0ELb1ES3_N6thrust23THRUST_200600_302600_NS6detail15normal_iteratorINSB_10device_ptrIjEEEENSD_INSE_IS6_EEEESI_S6_NSB_4plusIvEENSB_8equal_toIvEES6_EE10hipError_tPvRmT2_T3_T4_T5_mT6_T7_P12ihipStream_tbENKUlT_T0_E_clISt17integral_constantIbLb1EES13_EEDaSY_SZ_EUlSY_E_NS1_11comp_targetILNS1_3genE9ELNS1_11target_archE1100ELNS1_3gpuE3ELNS1_3repE0EEENS1_30default_config_static_selectorELNS0_4arch9wavefront6targetE0EEEvT1_,comdat
.Lfunc_end2173:
	.size	_ZN7rocprim17ROCPRIM_400000_NS6detail17trampoline_kernelINS0_14default_configENS1_27scan_by_key_config_selectorIj11FixedVectorIiLj8EEEEZZNS1_16scan_by_key_implILNS1_25lookback_scan_determinismE0ELb1ES3_N6thrust23THRUST_200600_302600_NS6detail15normal_iteratorINSB_10device_ptrIjEEEENSD_INSE_IS6_EEEESI_S6_NSB_4plusIvEENSB_8equal_toIvEES6_EE10hipError_tPvRmT2_T3_T4_T5_mT6_T7_P12ihipStream_tbENKUlT_T0_E_clISt17integral_constantIbLb1EES13_EEDaSY_SZ_EUlSY_E_NS1_11comp_targetILNS1_3genE9ELNS1_11target_archE1100ELNS1_3gpuE3ELNS1_3repE0EEENS1_30default_config_static_selectorELNS0_4arch9wavefront6targetE0EEEvT1_, .Lfunc_end2173-_ZN7rocprim17ROCPRIM_400000_NS6detail17trampoline_kernelINS0_14default_configENS1_27scan_by_key_config_selectorIj11FixedVectorIiLj8EEEEZZNS1_16scan_by_key_implILNS1_25lookback_scan_determinismE0ELb1ES3_N6thrust23THRUST_200600_302600_NS6detail15normal_iteratorINSB_10device_ptrIjEEEENSD_INSE_IS6_EEEESI_S6_NSB_4plusIvEENSB_8equal_toIvEES6_EE10hipError_tPvRmT2_T3_T4_T5_mT6_T7_P12ihipStream_tbENKUlT_T0_E_clISt17integral_constantIbLb1EES13_EEDaSY_SZ_EUlSY_E_NS1_11comp_targetILNS1_3genE9ELNS1_11target_archE1100ELNS1_3gpuE3ELNS1_3repE0EEENS1_30default_config_static_selectorELNS0_4arch9wavefront6targetE0EEEvT1_
                                        ; -- End function
	.set _ZN7rocprim17ROCPRIM_400000_NS6detail17trampoline_kernelINS0_14default_configENS1_27scan_by_key_config_selectorIj11FixedVectorIiLj8EEEEZZNS1_16scan_by_key_implILNS1_25lookback_scan_determinismE0ELb1ES3_N6thrust23THRUST_200600_302600_NS6detail15normal_iteratorINSB_10device_ptrIjEEEENSD_INSE_IS6_EEEESI_S6_NSB_4plusIvEENSB_8equal_toIvEES6_EE10hipError_tPvRmT2_T3_T4_T5_mT6_T7_P12ihipStream_tbENKUlT_T0_E_clISt17integral_constantIbLb1EES13_EEDaSY_SZ_EUlSY_E_NS1_11comp_targetILNS1_3genE9ELNS1_11target_archE1100ELNS1_3gpuE3ELNS1_3repE0EEENS1_30default_config_static_selectorELNS0_4arch9wavefront6targetE0EEEvT1_.num_vgpr, 0
	.set _ZN7rocprim17ROCPRIM_400000_NS6detail17trampoline_kernelINS0_14default_configENS1_27scan_by_key_config_selectorIj11FixedVectorIiLj8EEEEZZNS1_16scan_by_key_implILNS1_25lookback_scan_determinismE0ELb1ES3_N6thrust23THRUST_200600_302600_NS6detail15normal_iteratorINSB_10device_ptrIjEEEENSD_INSE_IS6_EEEESI_S6_NSB_4plusIvEENSB_8equal_toIvEES6_EE10hipError_tPvRmT2_T3_T4_T5_mT6_T7_P12ihipStream_tbENKUlT_T0_E_clISt17integral_constantIbLb1EES13_EEDaSY_SZ_EUlSY_E_NS1_11comp_targetILNS1_3genE9ELNS1_11target_archE1100ELNS1_3gpuE3ELNS1_3repE0EEENS1_30default_config_static_selectorELNS0_4arch9wavefront6targetE0EEEvT1_.num_agpr, 0
	.set _ZN7rocprim17ROCPRIM_400000_NS6detail17trampoline_kernelINS0_14default_configENS1_27scan_by_key_config_selectorIj11FixedVectorIiLj8EEEEZZNS1_16scan_by_key_implILNS1_25lookback_scan_determinismE0ELb1ES3_N6thrust23THRUST_200600_302600_NS6detail15normal_iteratorINSB_10device_ptrIjEEEENSD_INSE_IS6_EEEESI_S6_NSB_4plusIvEENSB_8equal_toIvEES6_EE10hipError_tPvRmT2_T3_T4_T5_mT6_T7_P12ihipStream_tbENKUlT_T0_E_clISt17integral_constantIbLb1EES13_EEDaSY_SZ_EUlSY_E_NS1_11comp_targetILNS1_3genE9ELNS1_11target_archE1100ELNS1_3gpuE3ELNS1_3repE0EEENS1_30default_config_static_selectorELNS0_4arch9wavefront6targetE0EEEvT1_.numbered_sgpr, 0
	.set _ZN7rocprim17ROCPRIM_400000_NS6detail17trampoline_kernelINS0_14default_configENS1_27scan_by_key_config_selectorIj11FixedVectorIiLj8EEEEZZNS1_16scan_by_key_implILNS1_25lookback_scan_determinismE0ELb1ES3_N6thrust23THRUST_200600_302600_NS6detail15normal_iteratorINSB_10device_ptrIjEEEENSD_INSE_IS6_EEEESI_S6_NSB_4plusIvEENSB_8equal_toIvEES6_EE10hipError_tPvRmT2_T3_T4_T5_mT6_T7_P12ihipStream_tbENKUlT_T0_E_clISt17integral_constantIbLb1EES13_EEDaSY_SZ_EUlSY_E_NS1_11comp_targetILNS1_3genE9ELNS1_11target_archE1100ELNS1_3gpuE3ELNS1_3repE0EEENS1_30default_config_static_selectorELNS0_4arch9wavefront6targetE0EEEvT1_.num_named_barrier, 0
	.set _ZN7rocprim17ROCPRIM_400000_NS6detail17trampoline_kernelINS0_14default_configENS1_27scan_by_key_config_selectorIj11FixedVectorIiLj8EEEEZZNS1_16scan_by_key_implILNS1_25lookback_scan_determinismE0ELb1ES3_N6thrust23THRUST_200600_302600_NS6detail15normal_iteratorINSB_10device_ptrIjEEEENSD_INSE_IS6_EEEESI_S6_NSB_4plusIvEENSB_8equal_toIvEES6_EE10hipError_tPvRmT2_T3_T4_T5_mT6_T7_P12ihipStream_tbENKUlT_T0_E_clISt17integral_constantIbLb1EES13_EEDaSY_SZ_EUlSY_E_NS1_11comp_targetILNS1_3genE9ELNS1_11target_archE1100ELNS1_3gpuE3ELNS1_3repE0EEENS1_30default_config_static_selectorELNS0_4arch9wavefront6targetE0EEEvT1_.private_seg_size, 0
	.set _ZN7rocprim17ROCPRIM_400000_NS6detail17trampoline_kernelINS0_14default_configENS1_27scan_by_key_config_selectorIj11FixedVectorIiLj8EEEEZZNS1_16scan_by_key_implILNS1_25lookback_scan_determinismE0ELb1ES3_N6thrust23THRUST_200600_302600_NS6detail15normal_iteratorINSB_10device_ptrIjEEEENSD_INSE_IS6_EEEESI_S6_NSB_4plusIvEENSB_8equal_toIvEES6_EE10hipError_tPvRmT2_T3_T4_T5_mT6_T7_P12ihipStream_tbENKUlT_T0_E_clISt17integral_constantIbLb1EES13_EEDaSY_SZ_EUlSY_E_NS1_11comp_targetILNS1_3genE9ELNS1_11target_archE1100ELNS1_3gpuE3ELNS1_3repE0EEENS1_30default_config_static_selectorELNS0_4arch9wavefront6targetE0EEEvT1_.uses_vcc, 0
	.set _ZN7rocprim17ROCPRIM_400000_NS6detail17trampoline_kernelINS0_14default_configENS1_27scan_by_key_config_selectorIj11FixedVectorIiLj8EEEEZZNS1_16scan_by_key_implILNS1_25lookback_scan_determinismE0ELb1ES3_N6thrust23THRUST_200600_302600_NS6detail15normal_iteratorINSB_10device_ptrIjEEEENSD_INSE_IS6_EEEESI_S6_NSB_4plusIvEENSB_8equal_toIvEES6_EE10hipError_tPvRmT2_T3_T4_T5_mT6_T7_P12ihipStream_tbENKUlT_T0_E_clISt17integral_constantIbLb1EES13_EEDaSY_SZ_EUlSY_E_NS1_11comp_targetILNS1_3genE9ELNS1_11target_archE1100ELNS1_3gpuE3ELNS1_3repE0EEENS1_30default_config_static_selectorELNS0_4arch9wavefront6targetE0EEEvT1_.uses_flat_scratch, 0
	.set _ZN7rocprim17ROCPRIM_400000_NS6detail17trampoline_kernelINS0_14default_configENS1_27scan_by_key_config_selectorIj11FixedVectorIiLj8EEEEZZNS1_16scan_by_key_implILNS1_25lookback_scan_determinismE0ELb1ES3_N6thrust23THRUST_200600_302600_NS6detail15normal_iteratorINSB_10device_ptrIjEEEENSD_INSE_IS6_EEEESI_S6_NSB_4plusIvEENSB_8equal_toIvEES6_EE10hipError_tPvRmT2_T3_T4_T5_mT6_T7_P12ihipStream_tbENKUlT_T0_E_clISt17integral_constantIbLb1EES13_EEDaSY_SZ_EUlSY_E_NS1_11comp_targetILNS1_3genE9ELNS1_11target_archE1100ELNS1_3gpuE3ELNS1_3repE0EEENS1_30default_config_static_selectorELNS0_4arch9wavefront6targetE0EEEvT1_.has_dyn_sized_stack, 0
	.set _ZN7rocprim17ROCPRIM_400000_NS6detail17trampoline_kernelINS0_14default_configENS1_27scan_by_key_config_selectorIj11FixedVectorIiLj8EEEEZZNS1_16scan_by_key_implILNS1_25lookback_scan_determinismE0ELb1ES3_N6thrust23THRUST_200600_302600_NS6detail15normal_iteratorINSB_10device_ptrIjEEEENSD_INSE_IS6_EEEESI_S6_NSB_4plusIvEENSB_8equal_toIvEES6_EE10hipError_tPvRmT2_T3_T4_T5_mT6_T7_P12ihipStream_tbENKUlT_T0_E_clISt17integral_constantIbLb1EES13_EEDaSY_SZ_EUlSY_E_NS1_11comp_targetILNS1_3genE9ELNS1_11target_archE1100ELNS1_3gpuE3ELNS1_3repE0EEENS1_30default_config_static_selectorELNS0_4arch9wavefront6targetE0EEEvT1_.has_recursion, 0
	.set _ZN7rocprim17ROCPRIM_400000_NS6detail17trampoline_kernelINS0_14default_configENS1_27scan_by_key_config_selectorIj11FixedVectorIiLj8EEEEZZNS1_16scan_by_key_implILNS1_25lookback_scan_determinismE0ELb1ES3_N6thrust23THRUST_200600_302600_NS6detail15normal_iteratorINSB_10device_ptrIjEEEENSD_INSE_IS6_EEEESI_S6_NSB_4plusIvEENSB_8equal_toIvEES6_EE10hipError_tPvRmT2_T3_T4_T5_mT6_T7_P12ihipStream_tbENKUlT_T0_E_clISt17integral_constantIbLb1EES13_EEDaSY_SZ_EUlSY_E_NS1_11comp_targetILNS1_3genE9ELNS1_11target_archE1100ELNS1_3gpuE3ELNS1_3repE0EEENS1_30default_config_static_selectorELNS0_4arch9wavefront6targetE0EEEvT1_.has_indirect_call, 0
	.section	.AMDGPU.csdata,"",@progbits
; Kernel info:
; codeLenInByte = 0
; TotalNumSgprs: 0
; NumVgprs: 0
; ScratchSize: 0
; MemoryBound: 0
; FloatMode: 240
; IeeeMode: 1
; LDSByteSize: 0 bytes/workgroup (compile time only)
; SGPRBlocks: 0
; VGPRBlocks: 0
; NumSGPRsForWavesPerEU: 1
; NumVGPRsForWavesPerEU: 1
; Occupancy: 16
; WaveLimiterHint : 0
; COMPUTE_PGM_RSRC2:SCRATCH_EN: 0
; COMPUTE_PGM_RSRC2:USER_SGPR: 6
; COMPUTE_PGM_RSRC2:TRAP_HANDLER: 0
; COMPUTE_PGM_RSRC2:TGID_X_EN: 1
; COMPUTE_PGM_RSRC2:TGID_Y_EN: 0
; COMPUTE_PGM_RSRC2:TGID_Z_EN: 0
; COMPUTE_PGM_RSRC2:TIDIG_COMP_CNT: 0
	.section	.text._ZN7rocprim17ROCPRIM_400000_NS6detail17trampoline_kernelINS0_14default_configENS1_27scan_by_key_config_selectorIj11FixedVectorIiLj8EEEEZZNS1_16scan_by_key_implILNS1_25lookback_scan_determinismE0ELb1ES3_N6thrust23THRUST_200600_302600_NS6detail15normal_iteratorINSB_10device_ptrIjEEEENSD_INSE_IS6_EEEESI_S6_NSB_4plusIvEENSB_8equal_toIvEES6_EE10hipError_tPvRmT2_T3_T4_T5_mT6_T7_P12ihipStream_tbENKUlT_T0_E_clISt17integral_constantIbLb1EES13_EEDaSY_SZ_EUlSY_E_NS1_11comp_targetILNS1_3genE8ELNS1_11target_archE1030ELNS1_3gpuE2ELNS1_3repE0EEENS1_30default_config_static_selectorELNS0_4arch9wavefront6targetE0EEEvT1_,"axG",@progbits,_ZN7rocprim17ROCPRIM_400000_NS6detail17trampoline_kernelINS0_14default_configENS1_27scan_by_key_config_selectorIj11FixedVectorIiLj8EEEEZZNS1_16scan_by_key_implILNS1_25lookback_scan_determinismE0ELb1ES3_N6thrust23THRUST_200600_302600_NS6detail15normal_iteratorINSB_10device_ptrIjEEEENSD_INSE_IS6_EEEESI_S6_NSB_4plusIvEENSB_8equal_toIvEES6_EE10hipError_tPvRmT2_T3_T4_T5_mT6_T7_P12ihipStream_tbENKUlT_T0_E_clISt17integral_constantIbLb1EES13_EEDaSY_SZ_EUlSY_E_NS1_11comp_targetILNS1_3genE8ELNS1_11target_archE1030ELNS1_3gpuE2ELNS1_3repE0EEENS1_30default_config_static_selectorELNS0_4arch9wavefront6targetE0EEEvT1_,comdat
	.protected	_ZN7rocprim17ROCPRIM_400000_NS6detail17trampoline_kernelINS0_14default_configENS1_27scan_by_key_config_selectorIj11FixedVectorIiLj8EEEEZZNS1_16scan_by_key_implILNS1_25lookback_scan_determinismE0ELb1ES3_N6thrust23THRUST_200600_302600_NS6detail15normal_iteratorINSB_10device_ptrIjEEEENSD_INSE_IS6_EEEESI_S6_NSB_4plusIvEENSB_8equal_toIvEES6_EE10hipError_tPvRmT2_T3_T4_T5_mT6_T7_P12ihipStream_tbENKUlT_T0_E_clISt17integral_constantIbLb1EES13_EEDaSY_SZ_EUlSY_E_NS1_11comp_targetILNS1_3genE8ELNS1_11target_archE1030ELNS1_3gpuE2ELNS1_3repE0EEENS1_30default_config_static_selectorELNS0_4arch9wavefront6targetE0EEEvT1_ ; -- Begin function _ZN7rocprim17ROCPRIM_400000_NS6detail17trampoline_kernelINS0_14default_configENS1_27scan_by_key_config_selectorIj11FixedVectorIiLj8EEEEZZNS1_16scan_by_key_implILNS1_25lookback_scan_determinismE0ELb1ES3_N6thrust23THRUST_200600_302600_NS6detail15normal_iteratorINSB_10device_ptrIjEEEENSD_INSE_IS6_EEEESI_S6_NSB_4plusIvEENSB_8equal_toIvEES6_EE10hipError_tPvRmT2_T3_T4_T5_mT6_T7_P12ihipStream_tbENKUlT_T0_E_clISt17integral_constantIbLb1EES13_EEDaSY_SZ_EUlSY_E_NS1_11comp_targetILNS1_3genE8ELNS1_11target_archE1030ELNS1_3gpuE2ELNS1_3repE0EEENS1_30default_config_static_selectorELNS0_4arch9wavefront6targetE0EEEvT1_
	.globl	_ZN7rocprim17ROCPRIM_400000_NS6detail17trampoline_kernelINS0_14default_configENS1_27scan_by_key_config_selectorIj11FixedVectorIiLj8EEEEZZNS1_16scan_by_key_implILNS1_25lookback_scan_determinismE0ELb1ES3_N6thrust23THRUST_200600_302600_NS6detail15normal_iteratorINSB_10device_ptrIjEEEENSD_INSE_IS6_EEEESI_S6_NSB_4plusIvEENSB_8equal_toIvEES6_EE10hipError_tPvRmT2_T3_T4_T5_mT6_T7_P12ihipStream_tbENKUlT_T0_E_clISt17integral_constantIbLb1EES13_EEDaSY_SZ_EUlSY_E_NS1_11comp_targetILNS1_3genE8ELNS1_11target_archE1030ELNS1_3gpuE2ELNS1_3repE0EEENS1_30default_config_static_selectorELNS0_4arch9wavefront6targetE0EEEvT1_
	.p2align	8
	.type	_ZN7rocprim17ROCPRIM_400000_NS6detail17trampoline_kernelINS0_14default_configENS1_27scan_by_key_config_selectorIj11FixedVectorIiLj8EEEEZZNS1_16scan_by_key_implILNS1_25lookback_scan_determinismE0ELb1ES3_N6thrust23THRUST_200600_302600_NS6detail15normal_iteratorINSB_10device_ptrIjEEEENSD_INSE_IS6_EEEESI_S6_NSB_4plusIvEENSB_8equal_toIvEES6_EE10hipError_tPvRmT2_T3_T4_T5_mT6_T7_P12ihipStream_tbENKUlT_T0_E_clISt17integral_constantIbLb1EES13_EEDaSY_SZ_EUlSY_E_NS1_11comp_targetILNS1_3genE8ELNS1_11target_archE1030ELNS1_3gpuE2ELNS1_3repE0EEENS1_30default_config_static_selectorELNS0_4arch9wavefront6targetE0EEEvT1_,@function
_ZN7rocprim17ROCPRIM_400000_NS6detail17trampoline_kernelINS0_14default_configENS1_27scan_by_key_config_selectorIj11FixedVectorIiLj8EEEEZZNS1_16scan_by_key_implILNS1_25lookback_scan_determinismE0ELb1ES3_N6thrust23THRUST_200600_302600_NS6detail15normal_iteratorINSB_10device_ptrIjEEEENSD_INSE_IS6_EEEESI_S6_NSB_4plusIvEENSB_8equal_toIvEES6_EE10hipError_tPvRmT2_T3_T4_T5_mT6_T7_P12ihipStream_tbENKUlT_T0_E_clISt17integral_constantIbLb1EES13_EEDaSY_SZ_EUlSY_E_NS1_11comp_targetILNS1_3genE8ELNS1_11target_archE1030ELNS1_3gpuE2ELNS1_3repE0EEENS1_30default_config_static_selectorELNS0_4arch9wavefront6targetE0EEEvT1_: ; @_ZN7rocprim17ROCPRIM_400000_NS6detail17trampoline_kernelINS0_14default_configENS1_27scan_by_key_config_selectorIj11FixedVectorIiLj8EEEEZZNS1_16scan_by_key_implILNS1_25lookback_scan_determinismE0ELb1ES3_N6thrust23THRUST_200600_302600_NS6detail15normal_iteratorINSB_10device_ptrIjEEEENSD_INSE_IS6_EEEESI_S6_NSB_4plusIvEENSB_8equal_toIvEES6_EE10hipError_tPvRmT2_T3_T4_T5_mT6_T7_P12ihipStream_tbENKUlT_T0_E_clISt17integral_constantIbLb1EES13_EEDaSY_SZ_EUlSY_E_NS1_11comp_targetILNS1_3genE8ELNS1_11target_archE1030ELNS1_3gpuE2ELNS1_3repE0EEENS1_30default_config_static_selectorELNS0_4arch9wavefront6targetE0EEEvT1_
; %bb.0:
	s_endpgm
	.section	.rodata,"a",@progbits
	.p2align	6, 0x0
	.amdhsa_kernel _ZN7rocprim17ROCPRIM_400000_NS6detail17trampoline_kernelINS0_14default_configENS1_27scan_by_key_config_selectorIj11FixedVectorIiLj8EEEEZZNS1_16scan_by_key_implILNS1_25lookback_scan_determinismE0ELb1ES3_N6thrust23THRUST_200600_302600_NS6detail15normal_iteratorINSB_10device_ptrIjEEEENSD_INSE_IS6_EEEESI_S6_NSB_4plusIvEENSB_8equal_toIvEES6_EE10hipError_tPvRmT2_T3_T4_T5_mT6_T7_P12ihipStream_tbENKUlT_T0_E_clISt17integral_constantIbLb1EES13_EEDaSY_SZ_EUlSY_E_NS1_11comp_targetILNS1_3genE8ELNS1_11target_archE1030ELNS1_3gpuE2ELNS1_3repE0EEENS1_30default_config_static_selectorELNS0_4arch9wavefront6targetE0EEEvT1_
		.amdhsa_group_segment_fixed_size 0
		.amdhsa_private_segment_fixed_size 0
		.amdhsa_kernarg_size 160
		.amdhsa_user_sgpr_count 6
		.amdhsa_user_sgpr_private_segment_buffer 1
		.amdhsa_user_sgpr_dispatch_ptr 0
		.amdhsa_user_sgpr_queue_ptr 0
		.amdhsa_user_sgpr_kernarg_segment_ptr 1
		.amdhsa_user_sgpr_dispatch_id 0
		.amdhsa_user_sgpr_flat_scratch_init 0
		.amdhsa_user_sgpr_private_segment_size 0
		.amdhsa_wavefront_size32 1
		.amdhsa_uses_dynamic_stack 0
		.amdhsa_system_sgpr_private_segment_wavefront_offset 0
		.amdhsa_system_sgpr_workgroup_id_x 1
		.amdhsa_system_sgpr_workgroup_id_y 0
		.amdhsa_system_sgpr_workgroup_id_z 0
		.amdhsa_system_sgpr_workgroup_info 0
		.amdhsa_system_vgpr_workitem_id 0
		.amdhsa_next_free_vgpr 1
		.amdhsa_next_free_sgpr 1
		.amdhsa_reserve_vcc 0
		.amdhsa_reserve_flat_scratch 0
		.amdhsa_float_round_mode_32 0
		.amdhsa_float_round_mode_16_64 0
		.amdhsa_float_denorm_mode_32 3
		.amdhsa_float_denorm_mode_16_64 3
		.amdhsa_dx10_clamp 1
		.amdhsa_ieee_mode 1
		.amdhsa_fp16_overflow 0
		.amdhsa_workgroup_processor_mode 1
		.amdhsa_memory_ordered 1
		.amdhsa_forward_progress 1
		.amdhsa_shared_vgpr_count 0
		.amdhsa_exception_fp_ieee_invalid_op 0
		.amdhsa_exception_fp_denorm_src 0
		.amdhsa_exception_fp_ieee_div_zero 0
		.amdhsa_exception_fp_ieee_overflow 0
		.amdhsa_exception_fp_ieee_underflow 0
		.amdhsa_exception_fp_ieee_inexact 0
		.amdhsa_exception_int_div_zero 0
	.end_amdhsa_kernel
	.section	.text._ZN7rocprim17ROCPRIM_400000_NS6detail17trampoline_kernelINS0_14default_configENS1_27scan_by_key_config_selectorIj11FixedVectorIiLj8EEEEZZNS1_16scan_by_key_implILNS1_25lookback_scan_determinismE0ELb1ES3_N6thrust23THRUST_200600_302600_NS6detail15normal_iteratorINSB_10device_ptrIjEEEENSD_INSE_IS6_EEEESI_S6_NSB_4plusIvEENSB_8equal_toIvEES6_EE10hipError_tPvRmT2_T3_T4_T5_mT6_T7_P12ihipStream_tbENKUlT_T0_E_clISt17integral_constantIbLb1EES13_EEDaSY_SZ_EUlSY_E_NS1_11comp_targetILNS1_3genE8ELNS1_11target_archE1030ELNS1_3gpuE2ELNS1_3repE0EEENS1_30default_config_static_selectorELNS0_4arch9wavefront6targetE0EEEvT1_,"axG",@progbits,_ZN7rocprim17ROCPRIM_400000_NS6detail17trampoline_kernelINS0_14default_configENS1_27scan_by_key_config_selectorIj11FixedVectorIiLj8EEEEZZNS1_16scan_by_key_implILNS1_25lookback_scan_determinismE0ELb1ES3_N6thrust23THRUST_200600_302600_NS6detail15normal_iteratorINSB_10device_ptrIjEEEENSD_INSE_IS6_EEEESI_S6_NSB_4plusIvEENSB_8equal_toIvEES6_EE10hipError_tPvRmT2_T3_T4_T5_mT6_T7_P12ihipStream_tbENKUlT_T0_E_clISt17integral_constantIbLb1EES13_EEDaSY_SZ_EUlSY_E_NS1_11comp_targetILNS1_3genE8ELNS1_11target_archE1030ELNS1_3gpuE2ELNS1_3repE0EEENS1_30default_config_static_selectorELNS0_4arch9wavefront6targetE0EEEvT1_,comdat
.Lfunc_end2174:
	.size	_ZN7rocprim17ROCPRIM_400000_NS6detail17trampoline_kernelINS0_14default_configENS1_27scan_by_key_config_selectorIj11FixedVectorIiLj8EEEEZZNS1_16scan_by_key_implILNS1_25lookback_scan_determinismE0ELb1ES3_N6thrust23THRUST_200600_302600_NS6detail15normal_iteratorINSB_10device_ptrIjEEEENSD_INSE_IS6_EEEESI_S6_NSB_4plusIvEENSB_8equal_toIvEES6_EE10hipError_tPvRmT2_T3_T4_T5_mT6_T7_P12ihipStream_tbENKUlT_T0_E_clISt17integral_constantIbLb1EES13_EEDaSY_SZ_EUlSY_E_NS1_11comp_targetILNS1_3genE8ELNS1_11target_archE1030ELNS1_3gpuE2ELNS1_3repE0EEENS1_30default_config_static_selectorELNS0_4arch9wavefront6targetE0EEEvT1_, .Lfunc_end2174-_ZN7rocprim17ROCPRIM_400000_NS6detail17trampoline_kernelINS0_14default_configENS1_27scan_by_key_config_selectorIj11FixedVectorIiLj8EEEEZZNS1_16scan_by_key_implILNS1_25lookback_scan_determinismE0ELb1ES3_N6thrust23THRUST_200600_302600_NS6detail15normal_iteratorINSB_10device_ptrIjEEEENSD_INSE_IS6_EEEESI_S6_NSB_4plusIvEENSB_8equal_toIvEES6_EE10hipError_tPvRmT2_T3_T4_T5_mT6_T7_P12ihipStream_tbENKUlT_T0_E_clISt17integral_constantIbLb1EES13_EEDaSY_SZ_EUlSY_E_NS1_11comp_targetILNS1_3genE8ELNS1_11target_archE1030ELNS1_3gpuE2ELNS1_3repE0EEENS1_30default_config_static_selectorELNS0_4arch9wavefront6targetE0EEEvT1_
                                        ; -- End function
	.set _ZN7rocprim17ROCPRIM_400000_NS6detail17trampoline_kernelINS0_14default_configENS1_27scan_by_key_config_selectorIj11FixedVectorIiLj8EEEEZZNS1_16scan_by_key_implILNS1_25lookback_scan_determinismE0ELb1ES3_N6thrust23THRUST_200600_302600_NS6detail15normal_iteratorINSB_10device_ptrIjEEEENSD_INSE_IS6_EEEESI_S6_NSB_4plusIvEENSB_8equal_toIvEES6_EE10hipError_tPvRmT2_T3_T4_T5_mT6_T7_P12ihipStream_tbENKUlT_T0_E_clISt17integral_constantIbLb1EES13_EEDaSY_SZ_EUlSY_E_NS1_11comp_targetILNS1_3genE8ELNS1_11target_archE1030ELNS1_3gpuE2ELNS1_3repE0EEENS1_30default_config_static_selectorELNS0_4arch9wavefront6targetE0EEEvT1_.num_vgpr, 0
	.set _ZN7rocprim17ROCPRIM_400000_NS6detail17trampoline_kernelINS0_14default_configENS1_27scan_by_key_config_selectorIj11FixedVectorIiLj8EEEEZZNS1_16scan_by_key_implILNS1_25lookback_scan_determinismE0ELb1ES3_N6thrust23THRUST_200600_302600_NS6detail15normal_iteratorINSB_10device_ptrIjEEEENSD_INSE_IS6_EEEESI_S6_NSB_4plusIvEENSB_8equal_toIvEES6_EE10hipError_tPvRmT2_T3_T4_T5_mT6_T7_P12ihipStream_tbENKUlT_T0_E_clISt17integral_constantIbLb1EES13_EEDaSY_SZ_EUlSY_E_NS1_11comp_targetILNS1_3genE8ELNS1_11target_archE1030ELNS1_3gpuE2ELNS1_3repE0EEENS1_30default_config_static_selectorELNS0_4arch9wavefront6targetE0EEEvT1_.num_agpr, 0
	.set _ZN7rocprim17ROCPRIM_400000_NS6detail17trampoline_kernelINS0_14default_configENS1_27scan_by_key_config_selectorIj11FixedVectorIiLj8EEEEZZNS1_16scan_by_key_implILNS1_25lookback_scan_determinismE0ELb1ES3_N6thrust23THRUST_200600_302600_NS6detail15normal_iteratorINSB_10device_ptrIjEEEENSD_INSE_IS6_EEEESI_S6_NSB_4plusIvEENSB_8equal_toIvEES6_EE10hipError_tPvRmT2_T3_T4_T5_mT6_T7_P12ihipStream_tbENKUlT_T0_E_clISt17integral_constantIbLb1EES13_EEDaSY_SZ_EUlSY_E_NS1_11comp_targetILNS1_3genE8ELNS1_11target_archE1030ELNS1_3gpuE2ELNS1_3repE0EEENS1_30default_config_static_selectorELNS0_4arch9wavefront6targetE0EEEvT1_.numbered_sgpr, 0
	.set _ZN7rocprim17ROCPRIM_400000_NS6detail17trampoline_kernelINS0_14default_configENS1_27scan_by_key_config_selectorIj11FixedVectorIiLj8EEEEZZNS1_16scan_by_key_implILNS1_25lookback_scan_determinismE0ELb1ES3_N6thrust23THRUST_200600_302600_NS6detail15normal_iteratorINSB_10device_ptrIjEEEENSD_INSE_IS6_EEEESI_S6_NSB_4plusIvEENSB_8equal_toIvEES6_EE10hipError_tPvRmT2_T3_T4_T5_mT6_T7_P12ihipStream_tbENKUlT_T0_E_clISt17integral_constantIbLb1EES13_EEDaSY_SZ_EUlSY_E_NS1_11comp_targetILNS1_3genE8ELNS1_11target_archE1030ELNS1_3gpuE2ELNS1_3repE0EEENS1_30default_config_static_selectorELNS0_4arch9wavefront6targetE0EEEvT1_.num_named_barrier, 0
	.set _ZN7rocprim17ROCPRIM_400000_NS6detail17trampoline_kernelINS0_14default_configENS1_27scan_by_key_config_selectorIj11FixedVectorIiLj8EEEEZZNS1_16scan_by_key_implILNS1_25lookback_scan_determinismE0ELb1ES3_N6thrust23THRUST_200600_302600_NS6detail15normal_iteratorINSB_10device_ptrIjEEEENSD_INSE_IS6_EEEESI_S6_NSB_4plusIvEENSB_8equal_toIvEES6_EE10hipError_tPvRmT2_T3_T4_T5_mT6_T7_P12ihipStream_tbENKUlT_T0_E_clISt17integral_constantIbLb1EES13_EEDaSY_SZ_EUlSY_E_NS1_11comp_targetILNS1_3genE8ELNS1_11target_archE1030ELNS1_3gpuE2ELNS1_3repE0EEENS1_30default_config_static_selectorELNS0_4arch9wavefront6targetE0EEEvT1_.private_seg_size, 0
	.set _ZN7rocprim17ROCPRIM_400000_NS6detail17trampoline_kernelINS0_14default_configENS1_27scan_by_key_config_selectorIj11FixedVectorIiLj8EEEEZZNS1_16scan_by_key_implILNS1_25lookback_scan_determinismE0ELb1ES3_N6thrust23THRUST_200600_302600_NS6detail15normal_iteratorINSB_10device_ptrIjEEEENSD_INSE_IS6_EEEESI_S6_NSB_4plusIvEENSB_8equal_toIvEES6_EE10hipError_tPvRmT2_T3_T4_T5_mT6_T7_P12ihipStream_tbENKUlT_T0_E_clISt17integral_constantIbLb1EES13_EEDaSY_SZ_EUlSY_E_NS1_11comp_targetILNS1_3genE8ELNS1_11target_archE1030ELNS1_3gpuE2ELNS1_3repE0EEENS1_30default_config_static_selectorELNS0_4arch9wavefront6targetE0EEEvT1_.uses_vcc, 0
	.set _ZN7rocprim17ROCPRIM_400000_NS6detail17trampoline_kernelINS0_14default_configENS1_27scan_by_key_config_selectorIj11FixedVectorIiLj8EEEEZZNS1_16scan_by_key_implILNS1_25lookback_scan_determinismE0ELb1ES3_N6thrust23THRUST_200600_302600_NS6detail15normal_iteratorINSB_10device_ptrIjEEEENSD_INSE_IS6_EEEESI_S6_NSB_4plusIvEENSB_8equal_toIvEES6_EE10hipError_tPvRmT2_T3_T4_T5_mT6_T7_P12ihipStream_tbENKUlT_T0_E_clISt17integral_constantIbLb1EES13_EEDaSY_SZ_EUlSY_E_NS1_11comp_targetILNS1_3genE8ELNS1_11target_archE1030ELNS1_3gpuE2ELNS1_3repE0EEENS1_30default_config_static_selectorELNS0_4arch9wavefront6targetE0EEEvT1_.uses_flat_scratch, 0
	.set _ZN7rocprim17ROCPRIM_400000_NS6detail17trampoline_kernelINS0_14default_configENS1_27scan_by_key_config_selectorIj11FixedVectorIiLj8EEEEZZNS1_16scan_by_key_implILNS1_25lookback_scan_determinismE0ELb1ES3_N6thrust23THRUST_200600_302600_NS6detail15normal_iteratorINSB_10device_ptrIjEEEENSD_INSE_IS6_EEEESI_S6_NSB_4plusIvEENSB_8equal_toIvEES6_EE10hipError_tPvRmT2_T3_T4_T5_mT6_T7_P12ihipStream_tbENKUlT_T0_E_clISt17integral_constantIbLb1EES13_EEDaSY_SZ_EUlSY_E_NS1_11comp_targetILNS1_3genE8ELNS1_11target_archE1030ELNS1_3gpuE2ELNS1_3repE0EEENS1_30default_config_static_selectorELNS0_4arch9wavefront6targetE0EEEvT1_.has_dyn_sized_stack, 0
	.set _ZN7rocprim17ROCPRIM_400000_NS6detail17trampoline_kernelINS0_14default_configENS1_27scan_by_key_config_selectorIj11FixedVectorIiLj8EEEEZZNS1_16scan_by_key_implILNS1_25lookback_scan_determinismE0ELb1ES3_N6thrust23THRUST_200600_302600_NS6detail15normal_iteratorINSB_10device_ptrIjEEEENSD_INSE_IS6_EEEESI_S6_NSB_4plusIvEENSB_8equal_toIvEES6_EE10hipError_tPvRmT2_T3_T4_T5_mT6_T7_P12ihipStream_tbENKUlT_T0_E_clISt17integral_constantIbLb1EES13_EEDaSY_SZ_EUlSY_E_NS1_11comp_targetILNS1_3genE8ELNS1_11target_archE1030ELNS1_3gpuE2ELNS1_3repE0EEENS1_30default_config_static_selectorELNS0_4arch9wavefront6targetE0EEEvT1_.has_recursion, 0
	.set _ZN7rocprim17ROCPRIM_400000_NS6detail17trampoline_kernelINS0_14default_configENS1_27scan_by_key_config_selectorIj11FixedVectorIiLj8EEEEZZNS1_16scan_by_key_implILNS1_25lookback_scan_determinismE0ELb1ES3_N6thrust23THRUST_200600_302600_NS6detail15normal_iteratorINSB_10device_ptrIjEEEENSD_INSE_IS6_EEEESI_S6_NSB_4plusIvEENSB_8equal_toIvEES6_EE10hipError_tPvRmT2_T3_T4_T5_mT6_T7_P12ihipStream_tbENKUlT_T0_E_clISt17integral_constantIbLb1EES13_EEDaSY_SZ_EUlSY_E_NS1_11comp_targetILNS1_3genE8ELNS1_11target_archE1030ELNS1_3gpuE2ELNS1_3repE0EEENS1_30default_config_static_selectorELNS0_4arch9wavefront6targetE0EEEvT1_.has_indirect_call, 0
	.section	.AMDGPU.csdata,"",@progbits
; Kernel info:
; codeLenInByte = 4
; TotalNumSgprs: 0
; NumVgprs: 0
; ScratchSize: 0
; MemoryBound: 0
; FloatMode: 240
; IeeeMode: 1
; LDSByteSize: 0 bytes/workgroup (compile time only)
; SGPRBlocks: 0
; VGPRBlocks: 0
; NumSGPRsForWavesPerEU: 1
; NumVGPRsForWavesPerEU: 1
; Occupancy: 16
; WaveLimiterHint : 0
; COMPUTE_PGM_RSRC2:SCRATCH_EN: 0
; COMPUTE_PGM_RSRC2:USER_SGPR: 6
; COMPUTE_PGM_RSRC2:TRAP_HANDLER: 0
; COMPUTE_PGM_RSRC2:TGID_X_EN: 1
; COMPUTE_PGM_RSRC2:TGID_Y_EN: 0
; COMPUTE_PGM_RSRC2:TGID_Z_EN: 0
; COMPUTE_PGM_RSRC2:TIDIG_COMP_CNT: 0
	.section	.text._ZN7rocprim17ROCPRIM_400000_NS6detail17trampoline_kernelINS0_14default_configENS1_27scan_by_key_config_selectorIj11FixedVectorIiLj8EEEEZZNS1_16scan_by_key_implILNS1_25lookback_scan_determinismE0ELb1ES3_N6thrust23THRUST_200600_302600_NS6detail15normal_iteratorINSB_10device_ptrIjEEEENSD_INSE_IS6_EEEESI_S6_NSB_4plusIvEENSB_8equal_toIvEES6_EE10hipError_tPvRmT2_T3_T4_T5_mT6_T7_P12ihipStream_tbENKUlT_T0_E_clISt17integral_constantIbLb1EES12_IbLb0EEEEDaSY_SZ_EUlSY_E_NS1_11comp_targetILNS1_3genE0ELNS1_11target_archE4294967295ELNS1_3gpuE0ELNS1_3repE0EEENS1_30default_config_static_selectorELNS0_4arch9wavefront6targetE0EEEvT1_,"axG",@progbits,_ZN7rocprim17ROCPRIM_400000_NS6detail17trampoline_kernelINS0_14default_configENS1_27scan_by_key_config_selectorIj11FixedVectorIiLj8EEEEZZNS1_16scan_by_key_implILNS1_25lookback_scan_determinismE0ELb1ES3_N6thrust23THRUST_200600_302600_NS6detail15normal_iteratorINSB_10device_ptrIjEEEENSD_INSE_IS6_EEEESI_S6_NSB_4plusIvEENSB_8equal_toIvEES6_EE10hipError_tPvRmT2_T3_T4_T5_mT6_T7_P12ihipStream_tbENKUlT_T0_E_clISt17integral_constantIbLb1EES12_IbLb0EEEEDaSY_SZ_EUlSY_E_NS1_11comp_targetILNS1_3genE0ELNS1_11target_archE4294967295ELNS1_3gpuE0ELNS1_3repE0EEENS1_30default_config_static_selectorELNS0_4arch9wavefront6targetE0EEEvT1_,comdat
	.protected	_ZN7rocprim17ROCPRIM_400000_NS6detail17trampoline_kernelINS0_14default_configENS1_27scan_by_key_config_selectorIj11FixedVectorIiLj8EEEEZZNS1_16scan_by_key_implILNS1_25lookback_scan_determinismE0ELb1ES3_N6thrust23THRUST_200600_302600_NS6detail15normal_iteratorINSB_10device_ptrIjEEEENSD_INSE_IS6_EEEESI_S6_NSB_4plusIvEENSB_8equal_toIvEES6_EE10hipError_tPvRmT2_T3_T4_T5_mT6_T7_P12ihipStream_tbENKUlT_T0_E_clISt17integral_constantIbLb1EES12_IbLb0EEEEDaSY_SZ_EUlSY_E_NS1_11comp_targetILNS1_3genE0ELNS1_11target_archE4294967295ELNS1_3gpuE0ELNS1_3repE0EEENS1_30default_config_static_selectorELNS0_4arch9wavefront6targetE0EEEvT1_ ; -- Begin function _ZN7rocprim17ROCPRIM_400000_NS6detail17trampoline_kernelINS0_14default_configENS1_27scan_by_key_config_selectorIj11FixedVectorIiLj8EEEEZZNS1_16scan_by_key_implILNS1_25lookback_scan_determinismE0ELb1ES3_N6thrust23THRUST_200600_302600_NS6detail15normal_iteratorINSB_10device_ptrIjEEEENSD_INSE_IS6_EEEESI_S6_NSB_4plusIvEENSB_8equal_toIvEES6_EE10hipError_tPvRmT2_T3_T4_T5_mT6_T7_P12ihipStream_tbENKUlT_T0_E_clISt17integral_constantIbLb1EES12_IbLb0EEEEDaSY_SZ_EUlSY_E_NS1_11comp_targetILNS1_3genE0ELNS1_11target_archE4294967295ELNS1_3gpuE0ELNS1_3repE0EEENS1_30default_config_static_selectorELNS0_4arch9wavefront6targetE0EEEvT1_
	.globl	_ZN7rocprim17ROCPRIM_400000_NS6detail17trampoline_kernelINS0_14default_configENS1_27scan_by_key_config_selectorIj11FixedVectorIiLj8EEEEZZNS1_16scan_by_key_implILNS1_25lookback_scan_determinismE0ELb1ES3_N6thrust23THRUST_200600_302600_NS6detail15normal_iteratorINSB_10device_ptrIjEEEENSD_INSE_IS6_EEEESI_S6_NSB_4plusIvEENSB_8equal_toIvEES6_EE10hipError_tPvRmT2_T3_T4_T5_mT6_T7_P12ihipStream_tbENKUlT_T0_E_clISt17integral_constantIbLb1EES12_IbLb0EEEEDaSY_SZ_EUlSY_E_NS1_11comp_targetILNS1_3genE0ELNS1_11target_archE4294967295ELNS1_3gpuE0ELNS1_3repE0EEENS1_30default_config_static_selectorELNS0_4arch9wavefront6targetE0EEEvT1_
	.p2align	8
	.type	_ZN7rocprim17ROCPRIM_400000_NS6detail17trampoline_kernelINS0_14default_configENS1_27scan_by_key_config_selectorIj11FixedVectorIiLj8EEEEZZNS1_16scan_by_key_implILNS1_25lookback_scan_determinismE0ELb1ES3_N6thrust23THRUST_200600_302600_NS6detail15normal_iteratorINSB_10device_ptrIjEEEENSD_INSE_IS6_EEEESI_S6_NSB_4plusIvEENSB_8equal_toIvEES6_EE10hipError_tPvRmT2_T3_T4_T5_mT6_T7_P12ihipStream_tbENKUlT_T0_E_clISt17integral_constantIbLb1EES12_IbLb0EEEEDaSY_SZ_EUlSY_E_NS1_11comp_targetILNS1_3genE0ELNS1_11target_archE4294967295ELNS1_3gpuE0ELNS1_3repE0EEENS1_30default_config_static_selectorELNS0_4arch9wavefront6targetE0EEEvT1_,@function
_ZN7rocprim17ROCPRIM_400000_NS6detail17trampoline_kernelINS0_14default_configENS1_27scan_by_key_config_selectorIj11FixedVectorIiLj8EEEEZZNS1_16scan_by_key_implILNS1_25lookback_scan_determinismE0ELb1ES3_N6thrust23THRUST_200600_302600_NS6detail15normal_iteratorINSB_10device_ptrIjEEEENSD_INSE_IS6_EEEESI_S6_NSB_4plusIvEENSB_8equal_toIvEES6_EE10hipError_tPvRmT2_T3_T4_T5_mT6_T7_P12ihipStream_tbENKUlT_T0_E_clISt17integral_constantIbLb1EES12_IbLb0EEEEDaSY_SZ_EUlSY_E_NS1_11comp_targetILNS1_3genE0ELNS1_11target_archE4294967295ELNS1_3gpuE0ELNS1_3repE0EEENS1_30default_config_static_selectorELNS0_4arch9wavefront6targetE0EEEvT1_: ; @_ZN7rocprim17ROCPRIM_400000_NS6detail17trampoline_kernelINS0_14default_configENS1_27scan_by_key_config_selectorIj11FixedVectorIiLj8EEEEZZNS1_16scan_by_key_implILNS1_25lookback_scan_determinismE0ELb1ES3_N6thrust23THRUST_200600_302600_NS6detail15normal_iteratorINSB_10device_ptrIjEEEENSD_INSE_IS6_EEEESI_S6_NSB_4plusIvEENSB_8equal_toIvEES6_EE10hipError_tPvRmT2_T3_T4_T5_mT6_T7_P12ihipStream_tbENKUlT_T0_E_clISt17integral_constantIbLb1EES12_IbLb0EEEEDaSY_SZ_EUlSY_E_NS1_11comp_targetILNS1_3genE0ELNS1_11target_archE4294967295ELNS1_3gpuE0ELNS1_3repE0EEENS1_30default_config_static_selectorELNS0_4arch9wavefront6targetE0EEEvT1_
; %bb.0:
	.section	.rodata,"a",@progbits
	.p2align	6, 0x0
	.amdhsa_kernel _ZN7rocprim17ROCPRIM_400000_NS6detail17trampoline_kernelINS0_14default_configENS1_27scan_by_key_config_selectorIj11FixedVectorIiLj8EEEEZZNS1_16scan_by_key_implILNS1_25lookback_scan_determinismE0ELb1ES3_N6thrust23THRUST_200600_302600_NS6detail15normal_iteratorINSB_10device_ptrIjEEEENSD_INSE_IS6_EEEESI_S6_NSB_4plusIvEENSB_8equal_toIvEES6_EE10hipError_tPvRmT2_T3_T4_T5_mT6_T7_P12ihipStream_tbENKUlT_T0_E_clISt17integral_constantIbLb1EES12_IbLb0EEEEDaSY_SZ_EUlSY_E_NS1_11comp_targetILNS1_3genE0ELNS1_11target_archE4294967295ELNS1_3gpuE0ELNS1_3repE0EEENS1_30default_config_static_selectorELNS0_4arch9wavefront6targetE0EEEvT1_
		.amdhsa_group_segment_fixed_size 0
		.amdhsa_private_segment_fixed_size 0
		.amdhsa_kernarg_size 160
		.amdhsa_user_sgpr_count 6
		.amdhsa_user_sgpr_private_segment_buffer 1
		.amdhsa_user_sgpr_dispatch_ptr 0
		.amdhsa_user_sgpr_queue_ptr 0
		.amdhsa_user_sgpr_kernarg_segment_ptr 1
		.amdhsa_user_sgpr_dispatch_id 0
		.amdhsa_user_sgpr_flat_scratch_init 0
		.amdhsa_user_sgpr_private_segment_size 0
		.amdhsa_wavefront_size32 1
		.amdhsa_uses_dynamic_stack 0
		.amdhsa_system_sgpr_private_segment_wavefront_offset 0
		.amdhsa_system_sgpr_workgroup_id_x 1
		.amdhsa_system_sgpr_workgroup_id_y 0
		.amdhsa_system_sgpr_workgroup_id_z 0
		.amdhsa_system_sgpr_workgroup_info 0
		.amdhsa_system_vgpr_workitem_id 0
		.amdhsa_next_free_vgpr 1
		.amdhsa_next_free_sgpr 1
		.amdhsa_reserve_vcc 0
		.amdhsa_reserve_flat_scratch 0
		.amdhsa_float_round_mode_32 0
		.amdhsa_float_round_mode_16_64 0
		.amdhsa_float_denorm_mode_32 3
		.amdhsa_float_denorm_mode_16_64 3
		.amdhsa_dx10_clamp 1
		.amdhsa_ieee_mode 1
		.amdhsa_fp16_overflow 0
		.amdhsa_workgroup_processor_mode 1
		.amdhsa_memory_ordered 1
		.amdhsa_forward_progress 1
		.amdhsa_shared_vgpr_count 0
		.amdhsa_exception_fp_ieee_invalid_op 0
		.amdhsa_exception_fp_denorm_src 0
		.amdhsa_exception_fp_ieee_div_zero 0
		.amdhsa_exception_fp_ieee_overflow 0
		.amdhsa_exception_fp_ieee_underflow 0
		.amdhsa_exception_fp_ieee_inexact 0
		.amdhsa_exception_int_div_zero 0
	.end_amdhsa_kernel
	.section	.text._ZN7rocprim17ROCPRIM_400000_NS6detail17trampoline_kernelINS0_14default_configENS1_27scan_by_key_config_selectorIj11FixedVectorIiLj8EEEEZZNS1_16scan_by_key_implILNS1_25lookback_scan_determinismE0ELb1ES3_N6thrust23THRUST_200600_302600_NS6detail15normal_iteratorINSB_10device_ptrIjEEEENSD_INSE_IS6_EEEESI_S6_NSB_4plusIvEENSB_8equal_toIvEES6_EE10hipError_tPvRmT2_T3_T4_T5_mT6_T7_P12ihipStream_tbENKUlT_T0_E_clISt17integral_constantIbLb1EES12_IbLb0EEEEDaSY_SZ_EUlSY_E_NS1_11comp_targetILNS1_3genE0ELNS1_11target_archE4294967295ELNS1_3gpuE0ELNS1_3repE0EEENS1_30default_config_static_selectorELNS0_4arch9wavefront6targetE0EEEvT1_,"axG",@progbits,_ZN7rocprim17ROCPRIM_400000_NS6detail17trampoline_kernelINS0_14default_configENS1_27scan_by_key_config_selectorIj11FixedVectorIiLj8EEEEZZNS1_16scan_by_key_implILNS1_25lookback_scan_determinismE0ELb1ES3_N6thrust23THRUST_200600_302600_NS6detail15normal_iteratorINSB_10device_ptrIjEEEENSD_INSE_IS6_EEEESI_S6_NSB_4plusIvEENSB_8equal_toIvEES6_EE10hipError_tPvRmT2_T3_T4_T5_mT6_T7_P12ihipStream_tbENKUlT_T0_E_clISt17integral_constantIbLb1EES12_IbLb0EEEEDaSY_SZ_EUlSY_E_NS1_11comp_targetILNS1_3genE0ELNS1_11target_archE4294967295ELNS1_3gpuE0ELNS1_3repE0EEENS1_30default_config_static_selectorELNS0_4arch9wavefront6targetE0EEEvT1_,comdat
.Lfunc_end2175:
	.size	_ZN7rocprim17ROCPRIM_400000_NS6detail17trampoline_kernelINS0_14default_configENS1_27scan_by_key_config_selectorIj11FixedVectorIiLj8EEEEZZNS1_16scan_by_key_implILNS1_25lookback_scan_determinismE0ELb1ES3_N6thrust23THRUST_200600_302600_NS6detail15normal_iteratorINSB_10device_ptrIjEEEENSD_INSE_IS6_EEEESI_S6_NSB_4plusIvEENSB_8equal_toIvEES6_EE10hipError_tPvRmT2_T3_T4_T5_mT6_T7_P12ihipStream_tbENKUlT_T0_E_clISt17integral_constantIbLb1EES12_IbLb0EEEEDaSY_SZ_EUlSY_E_NS1_11comp_targetILNS1_3genE0ELNS1_11target_archE4294967295ELNS1_3gpuE0ELNS1_3repE0EEENS1_30default_config_static_selectorELNS0_4arch9wavefront6targetE0EEEvT1_, .Lfunc_end2175-_ZN7rocprim17ROCPRIM_400000_NS6detail17trampoline_kernelINS0_14default_configENS1_27scan_by_key_config_selectorIj11FixedVectorIiLj8EEEEZZNS1_16scan_by_key_implILNS1_25lookback_scan_determinismE0ELb1ES3_N6thrust23THRUST_200600_302600_NS6detail15normal_iteratorINSB_10device_ptrIjEEEENSD_INSE_IS6_EEEESI_S6_NSB_4plusIvEENSB_8equal_toIvEES6_EE10hipError_tPvRmT2_T3_T4_T5_mT6_T7_P12ihipStream_tbENKUlT_T0_E_clISt17integral_constantIbLb1EES12_IbLb0EEEEDaSY_SZ_EUlSY_E_NS1_11comp_targetILNS1_3genE0ELNS1_11target_archE4294967295ELNS1_3gpuE0ELNS1_3repE0EEENS1_30default_config_static_selectorELNS0_4arch9wavefront6targetE0EEEvT1_
                                        ; -- End function
	.set _ZN7rocprim17ROCPRIM_400000_NS6detail17trampoline_kernelINS0_14default_configENS1_27scan_by_key_config_selectorIj11FixedVectorIiLj8EEEEZZNS1_16scan_by_key_implILNS1_25lookback_scan_determinismE0ELb1ES3_N6thrust23THRUST_200600_302600_NS6detail15normal_iteratorINSB_10device_ptrIjEEEENSD_INSE_IS6_EEEESI_S6_NSB_4plusIvEENSB_8equal_toIvEES6_EE10hipError_tPvRmT2_T3_T4_T5_mT6_T7_P12ihipStream_tbENKUlT_T0_E_clISt17integral_constantIbLb1EES12_IbLb0EEEEDaSY_SZ_EUlSY_E_NS1_11comp_targetILNS1_3genE0ELNS1_11target_archE4294967295ELNS1_3gpuE0ELNS1_3repE0EEENS1_30default_config_static_selectorELNS0_4arch9wavefront6targetE0EEEvT1_.num_vgpr, 0
	.set _ZN7rocprim17ROCPRIM_400000_NS6detail17trampoline_kernelINS0_14default_configENS1_27scan_by_key_config_selectorIj11FixedVectorIiLj8EEEEZZNS1_16scan_by_key_implILNS1_25lookback_scan_determinismE0ELb1ES3_N6thrust23THRUST_200600_302600_NS6detail15normal_iteratorINSB_10device_ptrIjEEEENSD_INSE_IS6_EEEESI_S6_NSB_4plusIvEENSB_8equal_toIvEES6_EE10hipError_tPvRmT2_T3_T4_T5_mT6_T7_P12ihipStream_tbENKUlT_T0_E_clISt17integral_constantIbLb1EES12_IbLb0EEEEDaSY_SZ_EUlSY_E_NS1_11comp_targetILNS1_3genE0ELNS1_11target_archE4294967295ELNS1_3gpuE0ELNS1_3repE0EEENS1_30default_config_static_selectorELNS0_4arch9wavefront6targetE0EEEvT1_.num_agpr, 0
	.set _ZN7rocprim17ROCPRIM_400000_NS6detail17trampoline_kernelINS0_14default_configENS1_27scan_by_key_config_selectorIj11FixedVectorIiLj8EEEEZZNS1_16scan_by_key_implILNS1_25lookback_scan_determinismE0ELb1ES3_N6thrust23THRUST_200600_302600_NS6detail15normal_iteratorINSB_10device_ptrIjEEEENSD_INSE_IS6_EEEESI_S6_NSB_4plusIvEENSB_8equal_toIvEES6_EE10hipError_tPvRmT2_T3_T4_T5_mT6_T7_P12ihipStream_tbENKUlT_T0_E_clISt17integral_constantIbLb1EES12_IbLb0EEEEDaSY_SZ_EUlSY_E_NS1_11comp_targetILNS1_3genE0ELNS1_11target_archE4294967295ELNS1_3gpuE0ELNS1_3repE0EEENS1_30default_config_static_selectorELNS0_4arch9wavefront6targetE0EEEvT1_.numbered_sgpr, 0
	.set _ZN7rocprim17ROCPRIM_400000_NS6detail17trampoline_kernelINS0_14default_configENS1_27scan_by_key_config_selectorIj11FixedVectorIiLj8EEEEZZNS1_16scan_by_key_implILNS1_25lookback_scan_determinismE0ELb1ES3_N6thrust23THRUST_200600_302600_NS6detail15normal_iteratorINSB_10device_ptrIjEEEENSD_INSE_IS6_EEEESI_S6_NSB_4plusIvEENSB_8equal_toIvEES6_EE10hipError_tPvRmT2_T3_T4_T5_mT6_T7_P12ihipStream_tbENKUlT_T0_E_clISt17integral_constantIbLb1EES12_IbLb0EEEEDaSY_SZ_EUlSY_E_NS1_11comp_targetILNS1_3genE0ELNS1_11target_archE4294967295ELNS1_3gpuE0ELNS1_3repE0EEENS1_30default_config_static_selectorELNS0_4arch9wavefront6targetE0EEEvT1_.num_named_barrier, 0
	.set _ZN7rocprim17ROCPRIM_400000_NS6detail17trampoline_kernelINS0_14default_configENS1_27scan_by_key_config_selectorIj11FixedVectorIiLj8EEEEZZNS1_16scan_by_key_implILNS1_25lookback_scan_determinismE0ELb1ES3_N6thrust23THRUST_200600_302600_NS6detail15normal_iteratorINSB_10device_ptrIjEEEENSD_INSE_IS6_EEEESI_S6_NSB_4plusIvEENSB_8equal_toIvEES6_EE10hipError_tPvRmT2_T3_T4_T5_mT6_T7_P12ihipStream_tbENKUlT_T0_E_clISt17integral_constantIbLb1EES12_IbLb0EEEEDaSY_SZ_EUlSY_E_NS1_11comp_targetILNS1_3genE0ELNS1_11target_archE4294967295ELNS1_3gpuE0ELNS1_3repE0EEENS1_30default_config_static_selectorELNS0_4arch9wavefront6targetE0EEEvT1_.private_seg_size, 0
	.set _ZN7rocprim17ROCPRIM_400000_NS6detail17trampoline_kernelINS0_14default_configENS1_27scan_by_key_config_selectorIj11FixedVectorIiLj8EEEEZZNS1_16scan_by_key_implILNS1_25lookback_scan_determinismE0ELb1ES3_N6thrust23THRUST_200600_302600_NS6detail15normal_iteratorINSB_10device_ptrIjEEEENSD_INSE_IS6_EEEESI_S6_NSB_4plusIvEENSB_8equal_toIvEES6_EE10hipError_tPvRmT2_T3_T4_T5_mT6_T7_P12ihipStream_tbENKUlT_T0_E_clISt17integral_constantIbLb1EES12_IbLb0EEEEDaSY_SZ_EUlSY_E_NS1_11comp_targetILNS1_3genE0ELNS1_11target_archE4294967295ELNS1_3gpuE0ELNS1_3repE0EEENS1_30default_config_static_selectorELNS0_4arch9wavefront6targetE0EEEvT1_.uses_vcc, 0
	.set _ZN7rocprim17ROCPRIM_400000_NS6detail17trampoline_kernelINS0_14default_configENS1_27scan_by_key_config_selectorIj11FixedVectorIiLj8EEEEZZNS1_16scan_by_key_implILNS1_25lookback_scan_determinismE0ELb1ES3_N6thrust23THRUST_200600_302600_NS6detail15normal_iteratorINSB_10device_ptrIjEEEENSD_INSE_IS6_EEEESI_S6_NSB_4plusIvEENSB_8equal_toIvEES6_EE10hipError_tPvRmT2_T3_T4_T5_mT6_T7_P12ihipStream_tbENKUlT_T0_E_clISt17integral_constantIbLb1EES12_IbLb0EEEEDaSY_SZ_EUlSY_E_NS1_11comp_targetILNS1_3genE0ELNS1_11target_archE4294967295ELNS1_3gpuE0ELNS1_3repE0EEENS1_30default_config_static_selectorELNS0_4arch9wavefront6targetE0EEEvT1_.uses_flat_scratch, 0
	.set _ZN7rocprim17ROCPRIM_400000_NS6detail17trampoline_kernelINS0_14default_configENS1_27scan_by_key_config_selectorIj11FixedVectorIiLj8EEEEZZNS1_16scan_by_key_implILNS1_25lookback_scan_determinismE0ELb1ES3_N6thrust23THRUST_200600_302600_NS6detail15normal_iteratorINSB_10device_ptrIjEEEENSD_INSE_IS6_EEEESI_S6_NSB_4plusIvEENSB_8equal_toIvEES6_EE10hipError_tPvRmT2_T3_T4_T5_mT6_T7_P12ihipStream_tbENKUlT_T0_E_clISt17integral_constantIbLb1EES12_IbLb0EEEEDaSY_SZ_EUlSY_E_NS1_11comp_targetILNS1_3genE0ELNS1_11target_archE4294967295ELNS1_3gpuE0ELNS1_3repE0EEENS1_30default_config_static_selectorELNS0_4arch9wavefront6targetE0EEEvT1_.has_dyn_sized_stack, 0
	.set _ZN7rocprim17ROCPRIM_400000_NS6detail17trampoline_kernelINS0_14default_configENS1_27scan_by_key_config_selectorIj11FixedVectorIiLj8EEEEZZNS1_16scan_by_key_implILNS1_25lookback_scan_determinismE0ELb1ES3_N6thrust23THRUST_200600_302600_NS6detail15normal_iteratorINSB_10device_ptrIjEEEENSD_INSE_IS6_EEEESI_S6_NSB_4plusIvEENSB_8equal_toIvEES6_EE10hipError_tPvRmT2_T3_T4_T5_mT6_T7_P12ihipStream_tbENKUlT_T0_E_clISt17integral_constantIbLb1EES12_IbLb0EEEEDaSY_SZ_EUlSY_E_NS1_11comp_targetILNS1_3genE0ELNS1_11target_archE4294967295ELNS1_3gpuE0ELNS1_3repE0EEENS1_30default_config_static_selectorELNS0_4arch9wavefront6targetE0EEEvT1_.has_recursion, 0
	.set _ZN7rocprim17ROCPRIM_400000_NS6detail17trampoline_kernelINS0_14default_configENS1_27scan_by_key_config_selectorIj11FixedVectorIiLj8EEEEZZNS1_16scan_by_key_implILNS1_25lookback_scan_determinismE0ELb1ES3_N6thrust23THRUST_200600_302600_NS6detail15normal_iteratorINSB_10device_ptrIjEEEENSD_INSE_IS6_EEEESI_S6_NSB_4plusIvEENSB_8equal_toIvEES6_EE10hipError_tPvRmT2_T3_T4_T5_mT6_T7_P12ihipStream_tbENKUlT_T0_E_clISt17integral_constantIbLb1EES12_IbLb0EEEEDaSY_SZ_EUlSY_E_NS1_11comp_targetILNS1_3genE0ELNS1_11target_archE4294967295ELNS1_3gpuE0ELNS1_3repE0EEENS1_30default_config_static_selectorELNS0_4arch9wavefront6targetE0EEEvT1_.has_indirect_call, 0
	.section	.AMDGPU.csdata,"",@progbits
; Kernel info:
; codeLenInByte = 0
; TotalNumSgprs: 0
; NumVgprs: 0
; ScratchSize: 0
; MemoryBound: 0
; FloatMode: 240
; IeeeMode: 1
; LDSByteSize: 0 bytes/workgroup (compile time only)
; SGPRBlocks: 0
; VGPRBlocks: 0
; NumSGPRsForWavesPerEU: 1
; NumVGPRsForWavesPerEU: 1
; Occupancy: 16
; WaveLimiterHint : 0
; COMPUTE_PGM_RSRC2:SCRATCH_EN: 0
; COMPUTE_PGM_RSRC2:USER_SGPR: 6
; COMPUTE_PGM_RSRC2:TRAP_HANDLER: 0
; COMPUTE_PGM_RSRC2:TGID_X_EN: 1
; COMPUTE_PGM_RSRC2:TGID_Y_EN: 0
; COMPUTE_PGM_RSRC2:TGID_Z_EN: 0
; COMPUTE_PGM_RSRC2:TIDIG_COMP_CNT: 0
	.section	.text._ZN7rocprim17ROCPRIM_400000_NS6detail17trampoline_kernelINS0_14default_configENS1_27scan_by_key_config_selectorIj11FixedVectorIiLj8EEEEZZNS1_16scan_by_key_implILNS1_25lookback_scan_determinismE0ELb1ES3_N6thrust23THRUST_200600_302600_NS6detail15normal_iteratorINSB_10device_ptrIjEEEENSD_INSE_IS6_EEEESI_S6_NSB_4plusIvEENSB_8equal_toIvEES6_EE10hipError_tPvRmT2_T3_T4_T5_mT6_T7_P12ihipStream_tbENKUlT_T0_E_clISt17integral_constantIbLb1EES12_IbLb0EEEEDaSY_SZ_EUlSY_E_NS1_11comp_targetILNS1_3genE10ELNS1_11target_archE1201ELNS1_3gpuE5ELNS1_3repE0EEENS1_30default_config_static_selectorELNS0_4arch9wavefront6targetE0EEEvT1_,"axG",@progbits,_ZN7rocprim17ROCPRIM_400000_NS6detail17trampoline_kernelINS0_14default_configENS1_27scan_by_key_config_selectorIj11FixedVectorIiLj8EEEEZZNS1_16scan_by_key_implILNS1_25lookback_scan_determinismE0ELb1ES3_N6thrust23THRUST_200600_302600_NS6detail15normal_iteratorINSB_10device_ptrIjEEEENSD_INSE_IS6_EEEESI_S6_NSB_4plusIvEENSB_8equal_toIvEES6_EE10hipError_tPvRmT2_T3_T4_T5_mT6_T7_P12ihipStream_tbENKUlT_T0_E_clISt17integral_constantIbLb1EES12_IbLb0EEEEDaSY_SZ_EUlSY_E_NS1_11comp_targetILNS1_3genE10ELNS1_11target_archE1201ELNS1_3gpuE5ELNS1_3repE0EEENS1_30default_config_static_selectorELNS0_4arch9wavefront6targetE0EEEvT1_,comdat
	.protected	_ZN7rocprim17ROCPRIM_400000_NS6detail17trampoline_kernelINS0_14default_configENS1_27scan_by_key_config_selectorIj11FixedVectorIiLj8EEEEZZNS1_16scan_by_key_implILNS1_25lookback_scan_determinismE0ELb1ES3_N6thrust23THRUST_200600_302600_NS6detail15normal_iteratorINSB_10device_ptrIjEEEENSD_INSE_IS6_EEEESI_S6_NSB_4plusIvEENSB_8equal_toIvEES6_EE10hipError_tPvRmT2_T3_T4_T5_mT6_T7_P12ihipStream_tbENKUlT_T0_E_clISt17integral_constantIbLb1EES12_IbLb0EEEEDaSY_SZ_EUlSY_E_NS1_11comp_targetILNS1_3genE10ELNS1_11target_archE1201ELNS1_3gpuE5ELNS1_3repE0EEENS1_30default_config_static_selectorELNS0_4arch9wavefront6targetE0EEEvT1_ ; -- Begin function _ZN7rocprim17ROCPRIM_400000_NS6detail17trampoline_kernelINS0_14default_configENS1_27scan_by_key_config_selectorIj11FixedVectorIiLj8EEEEZZNS1_16scan_by_key_implILNS1_25lookback_scan_determinismE0ELb1ES3_N6thrust23THRUST_200600_302600_NS6detail15normal_iteratorINSB_10device_ptrIjEEEENSD_INSE_IS6_EEEESI_S6_NSB_4plusIvEENSB_8equal_toIvEES6_EE10hipError_tPvRmT2_T3_T4_T5_mT6_T7_P12ihipStream_tbENKUlT_T0_E_clISt17integral_constantIbLb1EES12_IbLb0EEEEDaSY_SZ_EUlSY_E_NS1_11comp_targetILNS1_3genE10ELNS1_11target_archE1201ELNS1_3gpuE5ELNS1_3repE0EEENS1_30default_config_static_selectorELNS0_4arch9wavefront6targetE0EEEvT1_
	.globl	_ZN7rocprim17ROCPRIM_400000_NS6detail17trampoline_kernelINS0_14default_configENS1_27scan_by_key_config_selectorIj11FixedVectorIiLj8EEEEZZNS1_16scan_by_key_implILNS1_25lookback_scan_determinismE0ELb1ES3_N6thrust23THRUST_200600_302600_NS6detail15normal_iteratorINSB_10device_ptrIjEEEENSD_INSE_IS6_EEEESI_S6_NSB_4plusIvEENSB_8equal_toIvEES6_EE10hipError_tPvRmT2_T3_T4_T5_mT6_T7_P12ihipStream_tbENKUlT_T0_E_clISt17integral_constantIbLb1EES12_IbLb0EEEEDaSY_SZ_EUlSY_E_NS1_11comp_targetILNS1_3genE10ELNS1_11target_archE1201ELNS1_3gpuE5ELNS1_3repE0EEENS1_30default_config_static_selectorELNS0_4arch9wavefront6targetE0EEEvT1_
	.p2align	8
	.type	_ZN7rocprim17ROCPRIM_400000_NS6detail17trampoline_kernelINS0_14default_configENS1_27scan_by_key_config_selectorIj11FixedVectorIiLj8EEEEZZNS1_16scan_by_key_implILNS1_25lookback_scan_determinismE0ELb1ES3_N6thrust23THRUST_200600_302600_NS6detail15normal_iteratorINSB_10device_ptrIjEEEENSD_INSE_IS6_EEEESI_S6_NSB_4plusIvEENSB_8equal_toIvEES6_EE10hipError_tPvRmT2_T3_T4_T5_mT6_T7_P12ihipStream_tbENKUlT_T0_E_clISt17integral_constantIbLb1EES12_IbLb0EEEEDaSY_SZ_EUlSY_E_NS1_11comp_targetILNS1_3genE10ELNS1_11target_archE1201ELNS1_3gpuE5ELNS1_3repE0EEENS1_30default_config_static_selectorELNS0_4arch9wavefront6targetE0EEEvT1_,@function
_ZN7rocprim17ROCPRIM_400000_NS6detail17trampoline_kernelINS0_14default_configENS1_27scan_by_key_config_selectorIj11FixedVectorIiLj8EEEEZZNS1_16scan_by_key_implILNS1_25lookback_scan_determinismE0ELb1ES3_N6thrust23THRUST_200600_302600_NS6detail15normal_iteratorINSB_10device_ptrIjEEEENSD_INSE_IS6_EEEESI_S6_NSB_4plusIvEENSB_8equal_toIvEES6_EE10hipError_tPvRmT2_T3_T4_T5_mT6_T7_P12ihipStream_tbENKUlT_T0_E_clISt17integral_constantIbLb1EES12_IbLb0EEEEDaSY_SZ_EUlSY_E_NS1_11comp_targetILNS1_3genE10ELNS1_11target_archE1201ELNS1_3gpuE5ELNS1_3repE0EEENS1_30default_config_static_selectorELNS0_4arch9wavefront6targetE0EEEvT1_: ; @_ZN7rocprim17ROCPRIM_400000_NS6detail17trampoline_kernelINS0_14default_configENS1_27scan_by_key_config_selectorIj11FixedVectorIiLj8EEEEZZNS1_16scan_by_key_implILNS1_25lookback_scan_determinismE0ELb1ES3_N6thrust23THRUST_200600_302600_NS6detail15normal_iteratorINSB_10device_ptrIjEEEENSD_INSE_IS6_EEEESI_S6_NSB_4plusIvEENSB_8equal_toIvEES6_EE10hipError_tPvRmT2_T3_T4_T5_mT6_T7_P12ihipStream_tbENKUlT_T0_E_clISt17integral_constantIbLb1EES12_IbLb0EEEEDaSY_SZ_EUlSY_E_NS1_11comp_targetILNS1_3genE10ELNS1_11target_archE1201ELNS1_3gpuE5ELNS1_3repE0EEENS1_30default_config_static_selectorELNS0_4arch9wavefront6targetE0EEEvT1_
; %bb.0:
	.section	.rodata,"a",@progbits
	.p2align	6, 0x0
	.amdhsa_kernel _ZN7rocprim17ROCPRIM_400000_NS6detail17trampoline_kernelINS0_14default_configENS1_27scan_by_key_config_selectorIj11FixedVectorIiLj8EEEEZZNS1_16scan_by_key_implILNS1_25lookback_scan_determinismE0ELb1ES3_N6thrust23THRUST_200600_302600_NS6detail15normal_iteratorINSB_10device_ptrIjEEEENSD_INSE_IS6_EEEESI_S6_NSB_4plusIvEENSB_8equal_toIvEES6_EE10hipError_tPvRmT2_T3_T4_T5_mT6_T7_P12ihipStream_tbENKUlT_T0_E_clISt17integral_constantIbLb1EES12_IbLb0EEEEDaSY_SZ_EUlSY_E_NS1_11comp_targetILNS1_3genE10ELNS1_11target_archE1201ELNS1_3gpuE5ELNS1_3repE0EEENS1_30default_config_static_selectorELNS0_4arch9wavefront6targetE0EEEvT1_
		.amdhsa_group_segment_fixed_size 0
		.amdhsa_private_segment_fixed_size 0
		.amdhsa_kernarg_size 160
		.amdhsa_user_sgpr_count 6
		.amdhsa_user_sgpr_private_segment_buffer 1
		.amdhsa_user_sgpr_dispatch_ptr 0
		.amdhsa_user_sgpr_queue_ptr 0
		.amdhsa_user_sgpr_kernarg_segment_ptr 1
		.amdhsa_user_sgpr_dispatch_id 0
		.amdhsa_user_sgpr_flat_scratch_init 0
		.amdhsa_user_sgpr_private_segment_size 0
		.amdhsa_wavefront_size32 1
		.amdhsa_uses_dynamic_stack 0
		.amdhsa_system_sgpr_private_segment_wavefront_offset 0
		.amdhsa_system_sgpr_workgroup_id_x 1
		.amdhsa_system_sgpr_workgroup_id_y 0
		.amdhsa_system_sgpr_workgroup_id_z 0
		.amdhsa_system_sgpr_workgroup_info 0
		.amdhsa_system_vgpr_workitem_id 0
		.amdhsa_next_free_vgpr 1
		.amdhsa_next_free_sgpr 1
		.amdhsa_reserve_vcc 0
		.amdhsa_reserve_flat_scratch 0
		.amdhsa_float_round_mode_32 0
		.amdhsa_float_round_mode_16_64 0
		.amdhsa_float_denorm_mode_32 3
		.amdhsa_float_denorm_mode_16_64 3
		.amdhsa_dx10_clamp 1
		.amdhsa_ieee_mode 1
		.amdhsa_fp16_overflow 0
		.amdhsa_workgroup_processor_mode 1
		.amdhsa_memory_ordered 1
		.amdhsa_forward_progress 1
		.amdhsa_shared_vgpr_count 0
		.amdhsa_exception_fp_ieee_invalid_op 0
		.amdhsa_exception_fp_denorm_src 0
		.amdhsa_exception_fp_ieee_div_zero 0
		.amdhsa_exception_fp_ieee_overflow 0
		.amdhsa_exception_fp_ieee_underflow 0
		.amdhsa_exception_fp_ieee_inexact 0
		.amdhsa_exception_int_div_zero 0
	.end_amdhsa_kernel
	.section	.text._ZN7rocprim17ROCPRIM_400000_NS6detail17trampoline_kernelINS0_14default_configENS1_27scan_by_key_config_selectorIj11FixedVectorIiLj8EEEEZZNS1_16scan_by_key_implILNS1_25lookback_scan_determinismE0ELb1ES3_N6thrust23THRUST_200600_302600_NS6detail15normal_iteratorINSB_10device_ptrIjEEEENSD_INSE_IS6_EEEESI_S6_NSB_4plusIvEENSB_8equal_toIvEES6_EE10hipError_tPvRmT2_T3_T4_T5_mT6_T7_P12ihipStream_tbENKUlT_T0_E_clISt17integral_constantIbLb1EES12_IbLb0EEEEDaSY_SZ_EUlSY_E_NS1_11comp_targetILNS1_3genE10ELNS1_11target_archE1201ELNS1_3gpuE5ELNS1_3repE0EEENS1_30default_config_static_selectorELNS0_4arch9wavefront6targetE0EEEvT1_,"axG",@progbits,_ZN7rocprim17ROCPRIM_400000_NS6detail17trampoline_kernelINS0_14default_configENS1_27scan_by_key_config_selectorIj11FixedVectorIiLj8EEEEZZNS1_16scan_by_key_implILNS1_25lookback_scan_determinismE0ELb1ES3_N6thrust23THRUST_200600_302600_NS6detail15normal_iteratorINSB_10device_ptrIjEEEENSD_INSE_IS6_EEEESI_S6_NSB_4plusIvEENSB_8equal_toIvEES6_EE10hipError_tPvRmT2_T3_T4_T5_mT6_T7_P12ihipStream_tbENKUlT_T0_E_clISt17integral_constantIbLb1EES12_IbLb0EEEEDaSY_SZ_EUlSY_E_NS1_11comp_targetILNS1_3genE10ELNS1_11target_archE1201ELNS1_3gpuE5ELNS1_3repE0EEENS1_30default_config_static_selectorELNS0_4arch9wavefront6targetE0EEEvT1_,comdat
.Lfunc_end2176:
	.size	_ZN7rocprim17ROCPRIM_400000_NS6detail17trampoline_kernelINS0_14default_configENS1_27scan_by_key_config_selectorIj11FixedVectorIiLj8EEEEZZNS1_16scan_by_key_implILNS1_25lookback_scan_determinismE0ELb1ES3_N6thrust23THRUST_200600_302600_NS6detail15normal_iteratorINSB_10device_ptrIjEEEENSD_INSE_IS6_EEEESI_S6_NSB_4plusIvEENSB_8equal_toIvEES6_EE10hipError_tPvRmT2_T3_T4_T5_mT6_T7_P12ihipStream_tbENKUlT_T0_E_clISt17integral_constantIbLb1EES12_IbLb0EEEEDaSY_SZ_EUlSY_E_NS1_11comp_targetILNS1_3genE10ELNS1_11target_archE1201ELNS1_3gpuE5ELNS1_3repE0EEENS1_30default_config_static_selectorELNS0_4arch9wavefront6targetE0EEEvT1_, .Lfunc_end2176-_ZN7rocprim17ROCPRIM_400000_NS6detail17trampoline_kernelINS0_14default_configENS1_27scan_by_key_config_selectorIj11FixedVectorIiLj8EEEEZZNS1_16scan_by_key_implILNS1_25lookback_scan_determinismE0ELb1ES3_N6thrust23THRUST_200600_302600_NS6detail15normal_iteratorINSB_10device_ptrIjEEEENSD_INSE_IS6_EEEESI_S6_NSB_4plusIvEENSB_8equal_toIvEES6_EE10hipError_tPvRmT2_T3_T4_T5_mT6_T7_P12ihipStream_tbENKUlT_T0_E_clISt17integral_constantIbLb1EES12_IbLb0EEEEDaSY_SZ_EUlSY_E_NS1_11comp_targetILNS1_3genE10ELNS1_11target_archE1201ELNS1_3gpuE5ELNS1_3repE0EEENS1_30default_config_static_selectorELNS0_4arch9wavefront6targetE0EEEvT1_
                                        ; -- End function
	.set _ZN7rocprim17ROCPRIM_400000_NS6detail17trampoline_kernelINS0_14default_configENS1_27scan_by_key_config_selectorIj11FixedVectorIiLj8EEEEZZNS1_16scan_by_key_implILNS1_25lookback_scan_determinismE0ELb1ES3_N6thrust23THRUST_200600_302600_NS6detail15normal_iteratorINSB_10device_ptrIjEEEENSD_INSE_IS6_EEEESI_S6_NSB_4plusIvEENSB_8equal_toIvEES6_EE10hipError_tPvRmT2_T3_T4_T5_mT6_T7_P12ihipStream_tbENKUlT_T0_E_clISt17integral_constantIbLb1EES12_IbLb0EEEEDaSY_SZ_EUlSY_E_NS1_11comp_targetILNS1_3genE10ELNS1_11target_archE1201ELNS1_3gpuE5ELNS1_3repE0EEENS1_30default_config_static_selectorELNS0_4arch9wavefront6targetE0EEEvT1_.num_vgpr, 0
	.set _ZN7rocprim17ROCPRIM_400000_NS6detail17trampoline_kernelINS0_14default_configENS1_27scan_by_key_config_selectorIj11FixedVectorIiLj8EEEEZZNS1_16scan_by_key_implILNS1_25lookback_scan_determinismE0ELb1ES3_N6thrust23THRUST_200600_302600_NS6detail15normal_iteratorINSB_10device_ptrIjEEEENSD_INSE_IS6_EEEESI_S6_NSB_4plusIvEENSB_8equal_toIvEES6_EE10hipError_tPvRmT2_T3_T4_T5_mT6_T7_P12ihipStream_tbENKUlT_T0_E_clISt17integral_constantIbLb1EES12_IbLb0EEEEDaSY_SZ_EUlSY_E_NS1_11comp_targetILNS1_3genE10ELNS1_11target_archE1201ELNS1_3gpuE5ELNS1_3repE0EEENS1_30default_config_static_selectorELNS0_4arch9wavefront6targetE0EEEvT1_.num_agpr, 0
	.set _ZN7rocprim17ROCPRIM_400000_NS6detail17trampoline_kernelINS0_14default_configENS1_27scan_by_key_config_selectorIj11FixedVectorIiLj8EEEEZZNS1_16scan_by_key_implILNS1_25lookback_scan_determinismE0ELb1ES3_N6thrust23THRUST_200600_302600_NS6detail15normal_iteratorINSB_10device_ptrIjEEEENSD_INSE_IS6_EEEESI_S6_NSB_4plusIvEENSB_8equal_toIvEES6_EE10hipError_tPvRmT2_T3_T4_T5_mT6_T7_P12ihipStream_tbENKUlT_T0_E_clISt17integral_constantIbLb1EES12_IbLb0EEEEDaSY_SZ_EUlSY_E_NS1_11comp_targetILNS1_3genE10ELNS1_11target_archE1201ELNS1_3gpuE5ELNS1_3repE0EEENS1_30default_config_static_selectorELNS0_4arch9wavefront6targetE0EEEvT1_.numbered_sgpr, 0
	.set _ZN7rocprim17ROCPRIM_400000_NS6detail17trampoline_kernelINS0_14default_configENS1_27scan_by_key_config_selectorIj11FixedVectorIiLj8EEEEZZNS1_16scan_by_key_implILNS1_25lookback_scan_determinismE0ELb1ES3_N6thrust23THRUST_200600_302600_NS6detail15normal_iteratorINSB_10device_ptrIjEEEENSD_INSE_IS6_EEEESI_S6_NSB_4plusIvEENSB_8equal_toIvEES6_EE10hipError_tPvRmT2_T3_T4_T5_mT6_T7_P12ihipStream_tbENKUlT_T0_E_clISt17integral_constantIbLb1EES12_IbLb0EEEEDaSY_SZ_EUlSY_E_NS1_11comp_targetILNS1_3genE10ELNS1_11target_archE1201ELNS1_3gpuE5ELNS1_3repE0EEENS1_30default_config_static_selectorELNS0_4arch9wavefront6targetE0EEEvT1_.num_named_barrier, 0
	.set _ZN7rocprim17ROCPRIM_400000_NS6detail17trampoline_kernelINS0_14default_configENS1_27scan_by_key_config_selectorIj11FixedVectorIiLj8EEEEZZNS1_16scan_by_key_implILNS1_25lookback_scan_determinismE0ELb1ES3_N6thrust23THRUST_200600_302600_NS6detail15normal_iteratorINSB_10device_ptrIjEEEENSD_INSE_IS6_EEEESI_S6_NSB_4plusIvEENSB_8equal_toIvEES6_EE10hipError_tPvRmT2_T3_T4_T5_mT6_T7_P12ihipStream_tbENKUlT_T0_E_clISt17integral_constantIbLb1EES12_IbLb0EEEEDaSY_SZ_EUlSY_E_NS1_11comp_targetILNS1_3genE10ELNS1_11target_archE1201ELNS1_3gpuE5ELNS1_3repE0EEENS1_30default_config_static_selectorELNS0_4arch9wavefront6targetE0EEEvT1_.private_seg_size, 0
	.set _ZN7rocprim17ROCPRIM_400000_NS6detail17trampoline_kernelINS0_14default_configENS1_27scan_by_key_config_selectorIj11FixedVectorIiLj8EEEEZZNS1_16scan_by_key_implILNS1_25lookback_scan_determinismE0ELb1ES3_N6thrust23THRUST_200600_302600_NS6detail15normal_iteratorINSB_10device_ptrIjEEEENSD_INSE_IS6_EEEESI_S6_NSB_4plusIvEENSB_8equal_toIvEES6_EE10hipError_tPvRmT2_T3_T4_T5_mT6_T7_P12ihipStream_tbENKUlT_T0_E_clISt17integral_constantIbLb1EES12_IbLb0EEEEDaSY_SZ_EUlSY_E_NS1_11comp_targetILNS1_3genE10ELNS1_11target_archE1201ELNS1_3gpuE5ELNS1_3repE0EEENS1_30default_config_static_selectorELNS0_4arch9wavefront6targetE0EEEvT1_.uses_vcc, 0
	.set _ZN7rocprim17ROCPRIM_400000_NS6detail17trampoline_kernelINS0_14default_configENS1_27scan_by_key_config_selectorIj11FixedVectorIiLj8EEEEZZNS1_16scan_by_key_implILNS1_25lookback_scan_determinismE0ELb1ES3_N6thrust23THRUST_200600_302600_NS6detail15normal_iteratorINSB_10device_ptrIjEEEENSD_INSE_IS6_EEEESI_S6_NSB_4plusIvEENSB_8equal_toIvEES6_EE10hipError_tPvRmT2_T3_T4_T5_mT6_T7_P12ihipStream_tbENKUlT_T0_E_clISt17integral_constantIbLb1EES12_IbLb0EEEEDaSY_SZ_EUlSY_E_NS1_11comp_targetILNS1_3genE10ELNS1_11target_archE1201ELNS1_3gpuE5ELNS1_3repE0EEENS1_30default_config_static_selectorELNS0_4arch9wavefront6targetE0EEEvT1_.uses_flat_scratch, 0
	.set _ZN7rocprim17ROCPRIM_400000_NS6detail17trampoline_kernelINS0_14default_configENS1_27scan_by_key_config_selectorIj11FixedVectorIiLj8EEEEZZNS1_16scan_by_key_implILNS1_25lookback_scan_determinismE0ELb1ES3_N6thrust23THRUST_200600_302600_NS6detail15normal_iteratorINSB_10device_ptrIjEEEENSD_INSE_IS6_EEEESI_S6_NSB_4plusIvEENSB_8equal_toIvEES6_EE10hipError_tPvRmT2_T3_T4_T5_mT6_T7_P12ihipStream_tbENKUlT_T0_E_clISt17integral_constantIbLb1EES12_IbLb0EEEEDaSY_SZ_EUlSY_E_NS1_11comp_targetILNS1_3genE10ELNS1_11target_archE1201ELNS1_3gpuE5ELNS1_3repE0EEENS1_30default_config_static_selectorELNS0_4arch9wavefront6targetE0EEEvT1_.has_dyn_sized_stack, 0
	.set _ZN7rocprim17ROCPRIM_400000_NS6detail17trampoline_kernelINS0_14default_configENS1_27scan_by_key_config_selectorIj11FixedVectorIiLj8EEEEZZNS1_16scan_by_key_implILNS1_25lookback_scan_determinismE0ELb1ES3_N6thrust23THRUST_200600_302600_NS6detail15normal_iteratorINSB_10device_ptrIjEEEENSD_INSE_IS6_EEEESI_S6_NSB_4plusIvEENSB_8equal_toIvEES6_EE10hipError_tPvRmT2_T3_T4_T5_mT6_T7_P12ihipStream_tbENKUlT_T0_E_clISt17integral_constantIbLb1EES12_IbLb0EEEEDaSY_SZ_EUlSY_E_NS1_11comp_targetILNS1_3genE10ELNS1_11target_archE1201ELNS1_3gpuE5ELNS1_3repE0EEENS1_30default_config_static_selectorELNS0_4arch9wavefront6targetE0EEEvT1_.has_recursion, 0
	.set _ZN7rocprim17ROCPRIM_400000_NS6detail17trampoline_kernelINS0_14default_configENS1_27scan_by_key_config_selectorIj11FixedVectorIiLj8EEEEZZNS1_16scan_by_key_implILNS1_25lookback_scan_determinismE0ELb1ES3_N6thrust23THRUST_200600_302600_NS6detail15normal_iteratorINSB_10device_ptrIjEEEENSD_INSE_IS6_EEEESI_S6_NSB_4plusIvEENSB_8equal_toIvEES6_EE10hipError_tPvRmT2_T3_T4_T5_mT6_T7_P12ihipStream_tbENKUlT_T0_E_clISt17integral_constantIbLb1EES12_IbLb0EEEEDaSY_SZ_EUlSY_E_NS1_11comp_targetILNS1_3genE10ELNS1_11target_archE1201ELNS1_3gpuE5ELNS1_3repE0EEENS1_30default_config_static_selectorELNS0_4arch9wavefront6targetE0EEEvT1_.has_indirect_call, 0
	.section	.AMDGPU.csdata,"",@progbits
; Kernel info:
; codeLenInByte = 0
; TotalNumSgprs: 0
; NumVgprs: 0
; ScratchSize: 0
; MemoryBound: 0
; FloatMode: 240
; IeeeMode: 1
; LDSByteSize: 0 bytes/workgroup (compile time only)
; SGPRBlocks: 0
; VGPRBlocks: 0
; NumSGPRsForWavesPerEU: 1
; NumVGPRsForWavesPerEU: 1
; Occupancy: 16
; WaveLimiterHint : 0
; COMPUTE_PGM_RSRC2:SCRATCH_EN: 0
; COMPUTE_PGM_RSRC2:USER_SGPR: 6
; COMPUTE_PGM_RSRC2:TRAP_HANDLER: 0
; COMPUTE_PGM_RSRC2:TGID_X_EN: 1
; COMPUTE_PGM_RSRC2:TGID_Y_EN: 0
; COMPUTE_PGM_RSRC2:TGID_Z_EN: 0
; COMPUTE_PGM_RSRC2:TIDIG_COMP_CNT: 0
	.section	.text._ZN7rocprim17ROCPRIM_400000_NS6detail17trampoline_kernelINS0_14default_configENS1_27scan_by_key_config_selectorIj11FixedVectorIiLj8EEEEZZNS1_16scan_by_key_implILNS1_25lookback_scan_determinismE0ELb1ES3_N6thrust23THRUST_200600_302600_NS6detail15normal_iteratorINSB_10device_ptrIjEEEENSD_INSE_IS6_EEEESI_S6_NSB_4plusIvEENSB_8equal_toIvEES6_EE10hipError_tPvRmT2_T3_T4_T5_mT6_T7_P12ihipStream_tbENKUlT_T0_E_clISt17integral_constantIbLb1EES12_IbLb0EEEEDaSY_SZ_EUlSY_E_NS1_11comp_targetILNS1_3genE5ELNS1_11target_archE942ELNS1_3gpuE9ELNS1_3repE0EEENS1_30default_config_static_selectorELNS0_4arch9wavefront6targetE0EEEvT1_,"axG",@progbits,_ZN7rocprim17ROCPRIM_400000_NS6detail17trampoline_kernelINS0_14default_configENS1_27scan_by_key_config_selectorIj11FixedVectorIiLj8EEEEZZNS1_16scan_by_key_implILNS1_25lookback_scan_determinismE0ELb1ES3_N6thrust23THRUST_200600_302600_NS6detail15normal_iteratorINSB_10device_ptrIjEEEENSD_INSE_IS6_EEEESI_S6_NSB_4plusIvEENSB_8equal_toIvEES6_EE10hipError_tPvRmT2_T3_T4_T5_mT6_T7_P12ihipStream_tbENKUlT_T0_E_clISt17integral_constantIbLb1EES12_IbLb0EEEEDaSY_SZ_EUlSY_E_NS1_11comp_targetILNS1_3genE5ELNS1_11target_archE942ELNS1_3gpuE9ELNS1_3repE0EEENS1_30default_config_static_selectorELNS0_4arch9wavefront6targetE0EEEvT1_,comdat
	.protected	_ZN7rocprim17ROCPRIM_400000_NS6detail17trampoline_kernelINS0_14default_configENS1_27scan_by_key_config_selectorIj11FixedVectorIiLj8EEEEZZNS1_16scan_by_key_implILNS1_25lookback_scan_determinismE0ELb1ES3_N6thrust23THRUST_200600_302600_NS6detail15normal_iteratorINSB_10device_ptrIjEEEENSD_INSE_IS6_EEEESI_S6_NSB_4plusIvEENSB_8equal_toIvEES6_EE10hipError_tPvRmT2_T3_T4_T5_mT6_T7_P12ihipStream_tbENKUlT_T0_E_clISt17integral_constantIbLb1EES12_IbLb0EEEEDaSY_SZ_EUlSY_E_NS1_11comp_targetILNS1_3genE5ELNS1_11target_archE942ELNS1_3gpuE9ELNS1_3repE0EEENS1_30default_config_static_selectorELNS0_4arch9wavefront6targetE0EEEvT1_ ; -- Begin function _ZN7rocprim17ROCPRIM_400000_NS6detail17trampoline_kernelINS0_14default_configENS1_27scan_by_key_config_selectorIj11FixedVectorIiLj8EEEEZZNS1_16scan_by_key_implILNS1_25lookback_scan_determinismE0ELb1ES3_N6thrust23THRUST_200600_302600_NS6detail15normal_iteratorINSB_10device_ptrIjEEEENSD_INSE_IS6_EEEESI_S6_NSB_4plusIvEENSB_8equal_toIvEES6_EE10hipError_tPvRmT2_T3_T4_T5_mT6_T7_P12ihipStream_tbENKUlT_T0_E_clISt17integral_constantIbLb1EES12_IbLb0EEEEDaSY_SZ_EUlSY_E_NS1_11comp_targetILNS1_3genE5ELNS1_11target_archE942ELNS1_3gpuE9ELNS1_3repE0EEENS1_30default_config_static_selectorELNS0_4arch9wavefront6targetE0EEEvT1_
	.globl	_ZN7rocprim17ROCPRIM_400000_NS6detail17trampoline_kernelINS0_14default_configENS1_27scan_by_key_config_selectorIj11FixedVectorIiLj8EEEEZZNS1_16scan_by_key_implILNS1_25lookback_scan_determinismE0ELb1ES3_N6thrust23THRUST_200600_302600_NS6detail15normal_iteratorINSB_10device_ptrIjEEEENSD_INSE_IS6_EEEESI_S6_NSB_4plusIvEENSB_8equal_toIvEES6_EE10hipError_tPvRmT2_T3_T4_T5_mT6_T7_P12ihipStream_tbENKUlT_T0_E_clISt17integral_constantIbLb1EES12_IbLb0EEEEDaSY_SZ_EUlSY_E_NS1_11comp_targetILNS1_3genE5ELNS1_11target_archE942ELNS1_3gpuE9ELNS1_3repE0EEENS1_30default_config_static_selectorELNS0_4arch9wavefront6targetE0EEEvT1_
	.p2align	8
	.type	_ZN7rocprim17ROCPRIM_400000_NS6detail17trampoline_kernelINS0_14default_configENS1_27scan_by_key_config_selectorIj11FixedVectorIiLj8EEEEZZNS1_16scan_by_key_implILNS1_25lookback_scan_determinismE0ELb1ES3_N6thrust23THRUST_200600_302600_NS6detail15normal_iteratorINSB_10device_ptrIjEEEENSD_INSE_IS6_EEEESI_S6_NSB_4plusIvEENSB_8equal_toIvEES6_EE10hipError_tPvRmT2_T3_T4_T5_mT6_T7_P12ihipStream_tbENKUlT_T0_E_clISt17integral_constantIbLb1EES12_IbLb0EEEEDaSY_SZ_EUlSY_E_NS1_11comp_targetILNS1_3genE5ELNS1_11target_archE942ELNS1_3gpuE9ELNS1_3repE0EEENS1_30default_config_static_selectorELNS0_4arch9wavefront6targetE0EEEvT1_,@function
_ZN7rocprim17ROCPRIM_400000_NS6detail17trampoline_kernelINS0_14default_configENS1_27scan_by_key_config_selectorIj11FixedVectorIiLj8EEEEZZNS1_16scan_by_key_implILNS1_25lookback_scan_determinismE0ELb1ES3_N6thrust23THRUST_200600_302600_NS6detail15normal_iteratorINSB_10device_ptrIjEEEENSD_INSE_IS6_EEEESI_S6_NSB_4plusIvEENSB_8equal_toIvEES6_EE10hipError_tPvRmT2_T3_T4_T5_mT6_T7_P12ihipStream_tbENKUlT_T0_E_clISt17integral_constantIbLb1EES12_IbLb0EEEEDaSY_SZ_EUlSY_E_NS1_11comp_targetILNS1_3genE5ELNS1_11target_archE942ELNS1_3gpuE9ELNS1_3repE0EEENS1_30default_config_static_selectorELNS0_4arch9wavefront6targetE0EEEvT1_: ; @_ZN7rocprim17ROCPRIM_400000_NS6detail17trampoline_kernelINS0_14default_configENS1_27scan_by_key_config_selectorIj11FixedVectorIiLj8EEEEZZNS1_16scan_by_key_implILNS1_25lookback_scan_determinismE0ELb1ES3_N6thrust23THRUST_200600_302600_NS6detail15normal_iteratorINSB_10device_ptrIjEEEENSD_INSE_IS6_EEEESI_S6_NSB_4plusIvEENSB_8equal_toIvEES6_EE10hipError_tPvRmT2_T3_T4_T5_mT6_T7_P12ihipStream_tbENKUlT_T0_E_clISt17integral_constantIbLb1EES12_IbLb0EEEEDaSY_SZ_EUlSY_E_NS1_11comp_targetILNS1_3genE5ELNS1_11target_archE942ELNS1_3gpuE9ELNS1_3repE0EEENS1_30default_config_static_selectorELNS0_4arch9wavefront6targetE0EEEvT1_
; %bb.0:
	.section	.rodata,"a",@progbits
	.p2align	6, 0x0
	.amdhsa_kernel _ZN7rocprim17ROCPRIM_400000_NS6detail17trampoline_kernelINS0_14default_configENS1_27scan_by_key_config_selectorIj11FixedVectorIiLj8EEEEZZNS1_16scan_by_key_implILNS1_25lookback_scan_determinismE0ELb1ES3_N6thrust23THRUST_200600_302600_NS6detail15normal_iteratorINSB_10device_ptrIjEEEENSD_INSE_IS6_EEEESI_S6_NSB_4plusIvEENSB_8equal_toIvEES6_EE10hipError_tPvRmT2_T3_T4_T5_mT6_T7_P12ihipStream_tbENKUlT_T0_E_clISt17integral_constantIbLb1EES12_IbLb0EEEEDaSY_SZ_EUlSY_E_NS1_11comp_targetILNS1_3genE5ELNS1_11target_archE942ELNS1_3gpuE9ELNS1_3repE0EEENS1_30default_config_static_selectorELNS0_4arch9wavefront6targetE0EEEvT1_
		.amdhsa_group_segment_fixed_size 0
		.amdhsa_private_segment_fixed_size 0
		.amdhsa_kernarg_size 160
		.amdhsa_user_sgpr_count 6
		.amdhsa_user_sgpr_private_segment_buffer 1
		.amdhsa_user_sgpr_dispatch_ptr 0
		.amdhsa_user_sgpr_queue_ptr 0
		.amdhsa_user_sgpr_kernarg_segment_ptr 1
		.amdhsa_user_sgpr_dispatch_id 0
		.amdhsa_user_sgpr_flat_scratch_init 0
		.amdhsa_user_sgpr_private_segment_size 0
		.amdhsa_wavefront_size32 1
		.amdhsa_uses_dynamic_stack 0
		.amdhsa_system_sgpr_private_segment_wavefront_offset 0
		.amdhsa_system_sgpr_workgroup_id_x 1
		.amdhsa_system_sgpr_workgroup_id_y 0
		.amdhsa_system_sgpr_workgroup_id_z 0
		.amdhsa_system_sgpr_workgroup_info 0
		.amdhsa_system_vgpr_workitem_id 0
		.amdhsa_next_free_vgpr 1
		.amdhsa_next_free_sgpr 1
		.amdhsa_reserve_vcc 0
		.amdhsa_reserve_flat_scratch 0
		.amdhsa_float_round_mode_32 0
		.amdhsa_float_round_mode_16_64 0
		.amdhsa_float_denorm_mode_32 3
		.amdhsa_float_denorm_mode_16_64 3
		.amdhsa_dx10_clamp 1
		.amdhsa_ieee_mode 1
		.amdhsa_fp16_overflow 0
		.amdhsa_workgroup_processor_mode 1
		.amdhsa_memory_ordered 1
		.amdhsa_forward_progress 1
		.amdhsa_shared_vgpr_count 0
		.amdhsa_exception_fp_ieee_invalid_op 0
		.amdhsa_exception_fp_denorm_src 0
		.amdhsa_exception_fp_ieee_div_zero 0
		.amdhsa_exception_fp_ieee_overflow 0
		.amdhsa_exception_fp_ieee_underflow 0
		.amdhsa_exception_fp_ieee_inexact 0
		.amdhsa_exception_int_div_zero 0
	.end_amdhsa_kernel
	.section	.text._ZN7rocprim17ROCPRIM_400000_NS6detail17trampoline_kernelINS0_14default_configENS1_27scan_by_key_config_selectorIj11FixedVectorIiLj8EEEEZZNS1_16scan_by_key_implILNS1_25lookback_scan_determinismE0ELb1ES3_N6thrust23THRUST_200600_302600_NS6detail15normal_iteratorINSB_10device_ptrIjEEEENSD_INSE_IS6_EEEESI_S6_NSB_4plusIvEENSB_8equal_toIvEES6_EE10hipError_tPvRmT2_T3_T4_T5_mT6_T7_P12ihipStream_tbENKUlT_T0_E_clISt17integral_constantIbLb1EES12_IbLb0EEEEDaSY_SZ_EUlSY_E_NS1_11comp_targetILNS1_3genE5ELNS1_11target_archE942ELNS1_3gpuE9ELNS1_3repE0EEENS1_30default_config_static_selectorELNS0_4arch9wavefront6targetE0EEEvT1_,"axG",@progbits,_ZN7rocprim17ROCPRIM_400000_NS6detail17trampoline_kernelINS0_14default_configENS1_27scan_by_key_config_selectorIj11FixedVectorIiLj8EEEEZZNS1_16scan_by_key_implILNS1_25lookback_scan_determinismE0ELb1ES3_N6thrust23THRUST_200600_302600_NS6detail15normal_iteratorINSB_10device_ptrIjEEEENSD_INSE_IS6_EEEESI_S6_NSB_4plusIvEENSB_8equal_toIvEES6_EE10hipError_tPvRmT2_T3_T4_T5_mT6_T7_P12ihipStream_tbENKUlT_T0_E_clISt17integral_constantIbLb1EES12_IbLb0EEEEDaSY_SZ_EUlSY_E_NS1_11comp_targetILNS1_3genE5ELNS1_11target_archE942ELNS1_3gpuE9ELNS1_3repE0EEENS1_30default_config_static_selectorELNS0_4arch9wavefront6targetE0EEEvT1_,comdat
.Lfunc_end2177:
	.size	_ZN7rocprim17ROCPRIM_400000_NS6detail17trampoline_kernelINS0_14default_configENS1_27scan_by_key_config_selectorIj11FixedVectorIiLj8EEEEZZNS1_16scan_by_key_implILNS1_25lookback_scan_determinismE0ELb1ES3_N6thrust23THRUST_200600_302600_NS6detail15normal_iteratorINSB_10device_ptrIjEEEENSD_INSE_IS6_EEEESI_S6_NSB_4plusIvEENSB_8equal_toIvEES6_EE10hipError_tPvRmT2_T3_T4_T5_mT6_T7_P12ihipStream_tbENKUlT_T0_E_clISt17integral_constantIbLb1EES12_IbLb0EEEEDaSY_SZ_EUlSY_E_NS1_11comp_targetILNS1_3genE5ELNS1_11target_archE942ELNS1_3gpuE9ELNS1_3repE0EEENS1_30default_config_static_selectorELNS0_4arch9wavefront6targetE0EEEvT1_, .Lfunc_end2177-_ZN7rocprim17ROCPRIM_400000_NS6detail17trampoline_kernelINS0_14default_configENS1_27scan_by_key_config_selectorIj11FixedVectorIiLj8EEEEZZNS1_16scan_by_key_implILNS1_25lookback_scan_determinismE0ELb1ES3_N6thrust23THRUST_200600_302600_NS6detail15normal_iteratorINSB_10device_ptrIjEEEENSD_INSE_IS6_EEEESI_S6_NSB_4plusIvEENSB_8equal_toIvEES6_EE10hipError_tPvRmT2_T3_T4_T5_mT6_T7_P12ihipStream_tbENKUlT_T0_E_clISt17integral_constantIbLb1EES12_IbLb0EEEEDaSY_SZ_EUlSY_E_NS1_11comp_targetILNS1_3genE5ELNS1_11target_archE942ELNS1_3gpuE9ELNS1_3repE0EEENS1_30default_config_static_selectorELNS0_4arch9wavefront6targetE0EEEvT1_
                                        ; -- End function
	.set _ZN7rocprim17ROCPRIM_400000_NS6detail17trampoline_kernelINS0_14default_configENS1_27scan_by_key_config_selectorIj11FixedVectorIiLj8EEEEZZNS1_16scan_by_key_implILNS1_25lookback_scan_determinismE0ELb1ES3_N6thrust23THRUST_200600_302600_NS6detail15normal_iteratorINSB_10device_ptrIjEEEENSD_INSE_IS6_EEEESI_S6_NSB_4plusIvEENSB_8equal_toIvEES6_EE10hipError_tPvRmT2_T3_T4_T5_mT6_T7_P12ihipStream_tbENKUlT_T0_E_clISt17integral_constantIbLb1EES12_IbLb0EEEEDaSY_SZ_EUlSY_E_NS1_11comp_targetILNS1_3genE5ELNS1_11target_archE942ELNS1_3gpuE9ELNS1_3repE0EEENS1_30default_config_static_selectorELNS0_4arch9wavefront6targetE0EEEvT1_.num_vgpr, 0
	.set _ZN7rocprim17ROCPRIM_400000_NS6detail17trampoline_kernelINS0_14default_configENS1_27scan_by_key_config_selectorIj11FixedVectorIiLj8EEEEZZNS1_16scan_by_key_implILNS1_25lookback_scan_determinismE0ELb1ES3_N6thrust23THRUST_200600_302600_NS6detail15normal_iteratorINSB_10device_ptrIjEEEENSD_INSE_IS6_EEEESI_S6_NSB_4plusIvEENSB_8equal_toIvEES6_EE10hipError_tPvRmT2_T3_T4_T5_mT6_T7_P12ihipStream_tbENKUlT_T0_E_clISt17integral_constantIbLb1EES12_IbLb0EEEEDaSY_SZ_EUlSY_E_NS1_11comp_targetILNS1_3genE5ELNS1_11target_archE942ELNS1_3gpuE9ELNS1_3repE0EEENS1_30default_config_static_selectorELNS0_4arch9wavefront6targetE0EEEvT1_.num_agpr, 0
	.set _ZN7rocprim17ROCPRIM_400000_NS6detail17trampoline_kernelINS0_14default_configENS1_27scan_by_key_config_selectorIj11FixedVectorIiLj8EEEEZZNS1_16scan_by_key_implILNS1_25lookback_scan_determinismE0ELb1ES3_N6thrust23THRUST_200600_302600_NS6detail15normal_iteratorINSB_10device_ptrIjEEEENSD_INSE_IS6_EEEESI_S6_NSB_4plusIvEENSB_8equal_toIvEES6_EE10hipError_tPvRmT2_T3_T4_T5_mT6_T7_P12ihipStream_tbENKUlT_T0_E_clISt17integral_constantIbLb1EES12_IbLb0EEEEDaSY_SZ_EUlSY_E_NS1_11comp_targetILNS1_3genE5ELNS1_11target_archE942ELNS1_3gpuE9ELNS1_3repE0EEENS1_30default_config_static_selectorELNS0_4arch9wavefront6targetE0EEEvT1_.numbered_sgpr, 0
	.set _ZN7rocprim17ROCPRIM_400000_NS6detail17trampoline_kernelINS0_14default_configENS1_27scan_by_key_config_selectorIj11FixedVectorIiLj8EEEEZZNS1_16scan_by_key_implILNS1_25lookback_scan_determinismE0ELb1ES3_N6thrust23THRUST_200600_302600_NS6detail15normal_iteratorINSB_10device_ptrIjEEEENSD_INSE_IS6_EEEESI_S6_NSB_4plusIvEENSB_8equal_toIvEES6_EE10hipError_tPvRmT2_T3_T4_T5_mT6_T7_P12ihipStream_tbENKUlT_T0_E_clISt17integral_constantIbLb1EES12_IbLb0EEEEDaSY_SZ_EUlSY_E_NS1_11comp_targetILNS1_3genE5ELNS1_11target_archE942ELNS1_3gpuE9ELNS1_3repE0EEENS1_30default_config_static_selectorELNS0_4arch9wavefront6targetE0EEEvT1_.num_named_barrier, 0
	.set _ZN7rocprim17ROCPRIM_400000_NS6detail17trampoline_kernelINS0_14default_configENS1_27scan_by_key_config_selectorIj11FixedVectorIiLj8EEEEZZNS1_16scan_by_key_implILNS1_25lookback_scan_determinismE0ELb1ES3_N6thrust23THRUST_200600_302600_NS6detail15normal_iteratorINSB_10device_ptrIjEEEENSD_INSE_IS6_EEEESI_S6_NSB_4plusIvEENSB_8equal_toIvEES6_EE10hipError_tPvRmT2_T3_T4_T5_mT6_T7_P12ihipStream_tbENKUlT_T0_E_clISt17integral_constantIbLb1EES12_IbLb0EEEEDaSY_SZ_EUlSY_E_NS1_11comp_targetILNS1_3genE5ELNS1_11target_archE942ELNS1_3gpuE9ELNS1_3repE0EEENS1_30default_config_static_selectorELNS0_4arch9wavefront6targetE0EEEvT1_.private_seg_size, 0
	.set _ZN7rocprim17ROCPRIM_400000_NS6detail17trampoline_kernelINS0_14default_configENS1_27scan_by_key_config_selectorIj11FixedVectorIiLj8EEEEZZNS1_16scan_by_key_implILNS1_25lookback_scan_determinismE0ELb1ES3_N6thrust23THRUST_200600_302600_NS6detail15normal_iteratorINSB_10device_ptrIjEEEENSD_INSE_IS6_EEEESI_S6_NSB_4plusIvEENSB_8equal_toIvEES6_EE10hipError_tPvRmT2_T3_T4_T5_mT6_T7_P12ihipStream_tbENKUlT_T0_E_clISt17integral_constantIbLb1EES12_IbLb0EEEEDaSY_SZ_EUlSY_E_NS1_11comp_targetILNS1_3genE5ELNS1_11target_archE942ELNS1_3gpuE9ELNS1_3repE0EEENS1_30default_config_static_selectorELNS0_4arch9wavefront6targetE0EEEvT1_.uses_vcc, 0
	.set _ZN7rocprim17ROCPRIM_400000_NS6detail17trampoline_kernelINS0_14default_configENS1_27scan_by_key_config_selectorIj11FixedVectorIiLj8EEEEZZNS1_16scan_by_key_implILNS1_25lookback_scan_determinismE0ELb1ES3_N6thrust23THRUST_200600_302600_NS6detail15normal_iteratorINSB_10device_ptrIjEEEENSD_INSE_IS6_EEEESI_S6_NSB_4plusIvEENSB_8equal_toIvEES6_EE10hipError_tPvRmT2_T3_T4_T5_mT6_T7_P12ihipStream_tbENKUlT_T0_E_clISt17integral_constantIbLb1EES12_IbLb0EEEEDaSY_SZ_EUlSY_E_NS1_11comp_targetILNS1_3genE5ELNS1_11target_archE942ELNS1_3gpuE9ELNS1_3repE0EEENS1_30default_config_static_selectorELNS0_4arch9wavefront6targetE0EEEvT1_.uses_flat_scratch, 0
	.set _ZN7rocprim17ROCPRIM_400000_NS6detail17trampoline_kernelINS0_14default_configENS1_27scan_by_key_config_selectorIj11FixedVectorIiLj8EEEEZZNS1_16scan_by_key_implILNS1_25lookback_scan_determinismE0ELb1ES3_N6thrust23THRUST_200600_302600_NS6detail15normal_iteratorINSB_10device_ptrIjEEEENSD_INSE_IS6_EEEESI_S6_NSB_4plusIvEENSB_8equal_toIvEES6_EE10hipError_tPvRmT2_T3_T4_T5_mT6_T7_P12ihipStream_tbENKUlT_T0_E_clISt17integral_constantIbLb1EES12_IbLb0EEEEDaSY_SZ_EUlSY_E_NS1_11comp_targetILNS1_3genE5ELNS1_11target_archE942ELNS1_3gpuE9ELNS1_3repE0EEENS1_30default_config_static_selectorELNS0_4arch9wavefront6targetE0EEEvT1_.has_dyn_sized_stack, 0
	.set _ZN7rocprim17ROCPRIM_400000_NS6detail17trampoline_kernelINS0_14default_configENS1_27scan_by_key_config_selectorIj11FixedVectorIiLj8EEEEZZNS1_16scan_by_key_implILNS1_25lookback_scan_determinismE0ELb1ES3_N6thrust23THRUST_200600_302600_NS6detail15normal_iteratorINSB_10device_ptrIjEEEENSD_INSE_IS6_EEEESI_S6_NSB_4plusIvEENSB_8equal_toIvEES6_EE10hipError_tPvRmT2_T3_T4_T5_mT6_T7_P12ihipStream_tbENKUlT_T0_E_clISt17integral_constantIbLb1EES12_IbLb0EEEEDaSY_SZ_EUlSY_E_NS1_11comp_targetILNS1_3genE5ELNS1_11target_archE942ELNS1_3gpuE9ELNS1_3repE0EEENS1_30default_config_static_selectorELNS0_4arch9wavefront6targetE0EEEvT1_.has_recursion, 0
	.set _ZN7rocprim17ROCPRIM_400000_NS6detail17trampoline_kernelINS0_14default_configENS1_27scan_by_key_config_selectorIj11FixedVectorIiLj8EEEEZZNS1_16scan_by_key_implILNS1_25lookback_scan_determinismE0ELb1ES3_N6thrust23THRUST_200600_302600_NS6detail15normal_iteratorINSB_10device_ptrIjEEEENSD_INSE_IS6_EEEESI_S6_NSB_4plusIvEENSB_8equal_toIvEES6_EE10hipError_tPvRmT2_T3_T4_T5_mT6_T7_P12ihipStream_tbENKUlT_T0_E_clISt17integral_constantIbLb1EES12_IbLb0EEEEDaSY_SZ_EUlSY_E_NS1_11comp_targetILNS1_3genE5ELNS1_11target_archE942ELNS1_3gpuE9ELNS1_3repE0EEENS1_30default_config_static_selectorELNS0_4arch9wavefront6targetE0EEEvT1_.has_indirect_call, 0
	.section	.AMDGPU.csdata,"",@progbits
; Kernel info:
; codeLenInByte = 0
; TotalNumSgprs: 0
; NumVgprs: 0
; ScratchSize: 0
; MemoryBound: 0
; FloatMode: 240
; IeeeMode: 1
; LDSByteSize: 0 bytes/workgroup (compile time only)
; SGPRBlocks: 0
; VGPRBlocks: 0
; NumSGPRsForWavesPerEU: 1
; NumVGPRsForWavesPerEU: 1
; Occupancy: 16
; WaveLimiterHint : 0
; COMPUTE_PGM_RSRC2:SCRATCH_EN: 0
; COMPUTE_PGM_RSRC2:USER_SGPR: 6
; COMPUTE_PGM_RSRC2:TRAP_HANDLER: 0
; COMPUTE_PGM_RSRC2:TGID_X_EN: 1
; COMPUTE_PGM_RSRC2:TGID_Y_EN: 0
; COMPUTE_PGM_RSRC2:TGID_Z_EN: 0
; COMPUTE_PGM_RSRC2:TIDIG_COMP_CNT: 0
	.section	.text._ZN7rocprim17ROCPRIM_400000_NS6detail17trampoline_kernelINS0_14default_configENS1_27scan_by_key_config_selectorIj11FixedVectorIiLj8EEEEZZNS1_16scan_by_key_implILNS1_25lookback_scan_determinismE0ELb1ES3_N6thrust23THRUST_200600_302600_NS6detail15normal_iteratorINSB_10device_ptrIjEEEENSD_INSE_IS6_EEEESI_S6_NSB_4plusIvEENSB_8equal_toIvEES6_EE10hipError_tPvRmT2_T3_T4_T5_mT6_T7_P12ihipStream_tbENKUlT_T0_E_clISt17integral_constantIbLb1EES12_IbLb0EEEEDaSY_SZ_EUlSY_E_NS1_11comp_targetILNS1_3genE4ELNS1_11target_archE910ELNS1_3gpuE8ELNS1_3repE0EEENS1_30default_config_static_selectorELNS0_4arch9wavefront6targetE0EEEvT1_,"axG",@progbits,_ZN7rocprim17ROCPRIM_400000_NS6detail17trampoline_kernelINS0_14default_configENS1_27scan_by_key_config_selectorIj11FixedVectorIiLj8EEEEZZNS1_16scan_by_key_implILNS1_25lookback_scan_determinismE0ELb1ES3_N6thrust23THRUST_200600_302600_NS6detail15normal_iteratorINSB_10device_ptrIjEEEENSD_INSE_IS6_EEEESI_S6_NSB_4plusIvEENSB_8equal_toIvEES6_EE10hipError_tPvRmT2_T3_T4_T5_mT6_T7_P12ihipStream_tbENKUlT_T0_E_clISt17integral_constantIbLb1EES12_IbLb0EEEEDaSY_SZ_EUlSY_E_NS1_11comp_targetILNS1_3genE4ELNS1_11target_archE910ELNS1_3gpuE8ELNS1_3repE0EEENS1_30default_config_static_selectorELNS0_4arch9wavefront6targetE0EEEvT1_,comdat
	.protected	_ZN7rocprim17ROCPRIM_400000_NS6detail17trampoline_kernelINS0_14default_configENS1_27scan_by_key_config_selectorIj11FixedVectorIiLj8EEEEZZNS1_16scan_by_key_implILNS1_25lookback_scan_determinismE0ELb1ES3_N6thrust23THRUST_200600_302600_NS6detail15normal_iteratorINSB_10device_ptrIjEEEENSD_INSE_IS6_EEEESI_S6_NSB_4plusIvEENSB_8equal_toIvEES6_EE10hipError_tPvRmT2_T3_T4_T5_mT6_T7_P12ihipStream_tbENKUlT_T0_E_clISt17integral_constantIbLb1EES12_IbLb0EEEEDaSY_SZ_EUlSY_E_NS1_11comp_targetILNS1_3genE4ELNS1_11target_archE910ELNS1_3gpuE8ELNS1_3repE0EEENS1_30default_config_static_selectorELNS0_4arch9wavefront6targetE0EEEvT1_ ; -- Begin function _ZN7rocprim17ROCPRIM_400000_NS6detail17trampoline_kernelINS0_14default_configENS1_27scan_by_key_config_selectorIj11FixedVectorIiLj8EEEEZZNS1_16scan_by_key_implILNS1_25lookback_scan_determinismE0ELb1ES3_N6thrust23THRUST_200600_302600_NS6detail15normal_iteratorINSB_10device_ptrIjEEEENSD_INSE_IS6_EEEESI_S6_NSB_4plusIvEENSB_8equal_toIvEES6_EE10hipError_tPvRmT2_T3_T4_T5_mT6_T7_P12ihipStream_tbENKUlT_T0_E_clISt17integral_constantIbLb1EES12_IbLb0EEEEDaSY_SZ_EUlSY_E_NS1_11comp_targetILNS1_3genE4ELNS1_11target_archE910ELNS1_3gpuE8ELNS1_3repE0EEENS1_30default_config_static_selectorELNS0_4arch9wavefront6targetE0EEEvT1_
	.globl	_ZN7rocprim17ROCPRIM_400000_NS6detail17trampoline_kernelINS0_14default_configENS1_27scan_by_key_config_selectorIj11FixedVectorIiLj8EEEEZZNS1_16scan_by_key_implILNS1_25lookback_scan_determinismE0ELb1ES3_N6thrust23THRUST_200600_302600_NS6detail15normal_iteratorINSB_10device_ptrIjEEEENSD_INSE_IS6_EEEESI_S6_NSB_4plusIvEENSB_8equal_toIvEES6_EE10hipError_tPvRmT2_T3_T4_T5_mT6_T7_P12ihipStream_tbENKUlT_T0_E_clISt17integral_constantIbLb1EES12_IbLb0EEEEDaSY_SZ_EUlSY_E_NS1_11comp_targetILNS1_3genE4ELNS1_11target_archE910ELNS1_3gpuE8ELNS1_3repE0EEENS1_30default_config_static_selectorELNS0_4arch9wavefront6targetE0EEEvT1_
	.p2align	8
	.type	_ZN7rocprim17ROCPRIM_400000_NS6detail17trampoline_kernelINS0_14default_configENS1_27scan_by_key_config_selectorIj11FixedVectorIiLj8EEEEZZNS1_16scan_by_key_implILNS1_25lookback_scan_determinismE0ELb1ES3_N6thrust23THRUST_200600_302600_NS6detail15normal_iteratorINSB_10device_ptrIjEEEENSD_INSE_IS6_EEEESI_S6_NSB_4plusIvEENSB_8equal_toIvEES6_EE10hipError_tPvRmT2_T3_T4_T5_mT6_T7_P12ihipStream_tbENKUlT_T0_E_clISt17integral_constantIbLb1EES12_IbLb0EEEEDaSY_SZ_EUlSY_E_NS1_11comp_targetILNS1_3genE4ELNS1_11target_archE910ELNS1_3gpuE8ELNS1_3repE0EEENS1_30default_config_static_selectorELNS0_4arch9wavefront6targetE0EEEvT1_,@function
_ZN7rocprim17ROCPRIM_400000_NS6detail17trampoline_kernelINS0_14default_configENS1_27scan_by_key_config_selectorIj11FixedVectorIiLj8EEEEZZNS1_16scan_by_key_implILNS1_25lookback_scan_determinismE0ELb1ES3_N6thrust23THRUST_200600_302600_NS6detail15normal_iteratorINSB_10device_ptrIjEEEENSD_INSE_IS6_EEEESI_S6_NSB_4plusIvEENSB_8equal_toIvEES6_EE10hipError_tPvRmT2_T3_T4_T5_mT6_T7_P12ihipStream_tbENKUlT_T0_E_clISt17integral_constantIbLb1EES12_IbLb0EEEEDaSY_SZ_EUlSY_E_NS1_11comp_targetILNS1_3genE4ELNS1_11target_archE910ELNS1_3gpuE8ELNS1_3repE0EEENS1_30default_config_static_selectorELNS0_4arch9wavefront6targetE0EEEvT1_: ; @_ZN7rocprim17ROCPRIM_400000_NS6detail17trampoline_kernelINS0_14default_configENS1_27scan_by_key_config_selectorIj11FixedVectorIiLj8EEEEZZNS1_16scan_by_key_implILNS1_25lookback_scan_determinismE0ELb1ES3_N6thrust23THRUST_200600_302600_NS6detail15normal_iteratorINSB_10device_ptrIjEEEENSD_INSE_IS6_EEEESI_S6_NSB_4plusIvEENSB_8equal_toIvEES6_EE10hipError_tPvRmT2_T3_T4_T5_mT6_T7_P12ihipStream_tbENKUlT_T0_E_clISt17integral_constantIbLb1EES12_IbLb0EEEEDaSY_SZ_EUlSY_E_NS1_11comp_targetILNS1_3genE4ELNS1_11target_archE910ELNS1_3gpuE8ELNS1_3repE0EEENS1_30default_config_static_selectorELNS0_4arch9wavefront6targetE0EEEvT1_
; %bb.0:
	.section	.rodata,"a",@progbits
	.p2align	6, 0x0
	.amdhsa_kernel _ZN7rocprim17ROCPRIM_400000_NS6detail17trampoline_kernelINS0_14default_configENS1_27scan_by_key_config_selectorIj11FixedVectorIiLj8EEEEZZNS1_16scan_by_key_implILNS1_25lookback_scan_determinismE0ELb1ES3_N6thrust23THRUST_200600_302600_NS6detail15normal_iteratorINSB_10device_ptrIjEEEENSD_INSE_IS6_EEEESI_S6_NSB_4plusIvEENSB_8equal_toIvEES6_EE10hipError_tPvRmT2_T3_T4_T5_mT6_T7_P12ihipStream_tbENKUlT_T0_E_clISt17integral_constantIbLb1EES12_IbLb0EEEEDaSY_SZ_EUlSY_E_NS1_11comp_targetILNS1_3genE4ELNS1_11target_archE910ELNS1_3gpuE8ELNS1_3repE0EEENS1_30default_config_static_selectorELNS0_4arch9wavefront6targetE0EEEvT1_
		.amdhsa_group_segment_fixed_size 0
		.amdhsa_private_segment_fixed_size 0
		.amdhsa_kernarg_size 160
		.amdhsa_user_sgpr_count 6
		.amdhsa_user_sgpr_private_segment_buffer 1
		.amdhsa_user_sgpr_dispatch_ptr 0
		.amdhsa_user_sgpr_queue_ptr 0
		.amdhsa_user_sgpr_kernarg_segment_ptr 1
		.amdhsa_user_sgpr_dispatch_id 0
		.amdhsa_user_sgpr_flat_scratch_init 0
		.amdhsa_user_sgpr_private_segment_size 0
		.amdhsa_wavefront_size32 1
		.amdhsa_uses_dynamic_stack 0
		.amdhsa_system_sgpr_private_segment_wavefront_offset 0
		.amdhsa_system_sgpr_workgroup_id_x 1
		.amdhsa_system_sgpr_workgroup_id_y 0
		.amdhsa_system_sgpr_workgroup_id_z 0
		.amdhsa_system_sgpr_workgroup_info 0
		.amdhsa_system_vgpr_workitem_id 0
		.amdhsa_next_free_vgpr 1
		.amdhsa_next_free_sgpr 1
		.amdhsa_reserve_vcc 0
		.amdhsa_reserve_flat_scratch 0
		.amdhsa_float_round_mode_32 0
		.amdhsa_float_round_mode_16_64 0
		.amdhsa_float_denorm_mode_32 3
		.amdhsa_float_denorm_mode_16_64 3
		.amdhsa_dx10_clamp 1
		.amdhsa_ieee_mode 1
		.amdhsa_fp16_overflow 0
		.amdhsa_workgroup_processor_mode 1
		.amdhsa_memory_ordered 1
		.amdhsa_forward_progress 1
		.amdhsa_shared_vgpr_count 0
		.amdhsa_exception_fp_ieee_invalid_op 0
		.amdhsa_exception_fp_denorm_src 0
		.amdhsa_exception_fp_ieee_div_zero 0
		.amdhsa_exception_fp_ieee_overflow 0
		.amdhsa_exception_fp_ieee_underflow 0
		.amdhsa_exception_fp_ieee_inexact 0
		.amdhsa_exception_int_div_zero 0
	.end_amdhsa_kernel
	.section	.text._ZN7rocprim17ROCPRIM_400000_NS6detail17trampoline_kernelINS0_14default_configENS1_27scan_by_key_config_selectorIj11FixedVectorIiLj8EEEEZZNS1_16scan_by_key_implILNS1_25lookback_scan_determinismE0ELb1ES3_N6thrust23THRUST_200600_302600_NS6detail15normal_iteratorINSB_10device_ptrIjEEEENSD_INSE_IS6_EEEESI_S6_NSB_4plusIvEENSB_8equal_toIvEES6_EE10hipError_tPvRmT2_T3_T4_T5_mT6_T7_P12ihipStream_tbENKUlT_T0_E_clISt17integral_constantIbLb1EES12_IbLb0EEEEDaSY_SZ_EUlSY_E_NS1_11comp_targetILNS1_3genE4ELNS1_11target_archE910ELNS1_3gpuE8ELNS1_3repE0EEENS1_30default_config_static_selectorELNS0_4arch9wavefront6targetE0EEEvT1_,"axG",@progbits,_ZN7rocprim17ROCPRIM_400000_NS6detail17trampoline_kernelINS0_14default_configENS1_27scan_by_key_config_selectorIj11FixedVectorIiLj8EEEEZZNS1_16scan_by_key_implILNS1_25lookback_scan_determinismE0ELb1ES3_N6thrust23THRUST_200600_302600_NS6detail15normal_iteratorINSB_10device_ptrIjEEEENSD_INSE_IS6_EEEESI_S6_NSB_4plusIvEENSB_8equal_toIvEES6_EE10hipError_tPvRmT2_T3_T4_T5_mT6_T7_P12ihipStream_tbENKUlT_T0_E_clISt17integral_constantIbLb1EES12_IbLb0EEEEDaSY_SZ_EUlSY_E_NS1_11comp_targetILNS1_3genE4ELNS1_11target_archE910ELNS1_3gpuE8ELNS1_3repE0EEENS1_30default_config_static_selectorELNS0_4arch9wavefront6targetE0EEEvT1_,comdat
.Lfunc_end2178:
	.size	_ZN7rocprim17ROCPRIM_400000_NS6detail17trampoline_kernelINS0_14default_configENS1_27scan_by_key_config_selectorIj11FixedVectorIiLj8EEEEZZNS1_16scan_by_key_implILNS1_25lookback_scan_determinismE0ELb1ES3_N6thrust23THRUST_200600_302600_NS6detail15normal_iteratorINSB_10device_ptrIjEEEENSD_INSE_IS6_EEEESI_S6_NSB_4plusIvEENSB_8equal_toIvEES6_EE10hipError_tPvRmT2_T3_T4_T5_mT6_T7_P12ihipStream_tbENKUlT_T0_E_clISt17integral_constantIbLb1EES12_IbLb0EEEEDaSY_SZ_EUlSY_E_NS1_11comp_targetILNS1_3genE4ELNS1_11target_archE910ELNS1_3gpuE8ELNS1_3repE0EEENS1_30default_config_static_selectorELNS0_4arch9wavefront6targetE0EEEvT1_, .Lfunc_end2178-_ZN7rocprim17ROCPRIM_400000_NS6detail17trampoline_kernelINS0_14default_configENS1_27scan_by_key_config_selectorIj11FixedVectorIiLj8EEEEZZNS1_16scan_by_key_implILNS1_25lookback_scan_determinismE0ELb1ES3_N6thrust23THRUST_200600_302600_NS6detail15normal_iteratorINSB_10device_ptrIjEEEENSD_INSE_IS6_EEEESI_S6_NSB_4plusIvEENSB_8equal_toIvEES6_EE10hipError_tPvRmT2_T3_T4_T5_mT6_T7_P12ihipStream_tbENKUlT_T0_E_clISt17integral_constantIbLb1EES12_IbLb0EEEEDaSY_SZ_EUlSY_E_NS1_11comp_targetILNS1_3genE4ELNS1_11target_archE910ELNS1_3gpuE8ELNS1_3repE0EEENS1_30default_config_static_selectorELNS0_4arch9wavefront6targetE0EEEvT1_
                                        ; -- End function
	.set _ZN7rocprim17ROCPRIM_400000_NS6detail17trampoline_kernelINS0_14default_configENS1_27scan_by_key_config_selectorIj11FixedVectorIiLj8EEEEZZNS1_16scan_by_key_implILNS1_25lookback_scan_determinismE0ELb1ES3_N6thrust23THRUST_200600_302600_NS6detail15normal_iteratorINSB_10device_ptrIjEEEENSD_INSE_IS6_EEEESI_S6_NSB_4plusIvEENSB_8equal_toIvEES6_EE10hipError_tPvRmT2_T3_T4_T5_mT6_T7_P12ihipStream_tbENKUlT_T0_E_clISt17integral_constantIbLb1EES12_IbLb0EEEEDaSY_SZ_EUlSY_E_NS1_11comp_targetILNS1_3genE4ELNS1_11target_archE910ELNS1_3gpuE8ELNS1_3repE0EEENS1_30default_config_static_selectorELNS0_4arch9wavefront6targetE0EEEvT1_.num_vgpr, 0
	.set _ZN7rocprim17ROCPRIM_400000_NS6detail17trampoline_kernelINS0_14default_configENS1_27scan_by_key_config_selectorIj11FixedVectorIiLj8EEEEZZNS1_16scan_by_key_implILNS1_25lookback_scan_determinismE0ELb1ES3_N6thrust23THRUST_200600_302600_NS6detail15normal_iteratorINSB_10device_ptrIjEEEENSD_INSE_IS6_EEEESI_S6_NSB_4plusIvEENSB_8equal_toIvEES6_EE10hipError_tPvRmT2_T3_T4_T5_mT6_T7_P12ihipStream_tbENKUlT_T0_E_clISt17integral_constantIbLb1EES12_IbLb0EEEEDaSY_SZ_EUlSY_E_NS1_11comp_targetILNS1_3genE4ELNS1_11target_archE910ELNS1_3gpuE8ELNS1_3repE0EEENS1_30default_config_static_selectorELNS0_4arch9wavefront6targetE0EEEvT1_.num_agpr, 0
	.set _ZN7rocprim17ROCPRIM_400000_NS6detail17trampoline_kernelINS0_14default_configENS1_27scan_by_key_config_selectorIj11FixedVectorIiLj8EEEEZZNS1_16scan_by_key_implILNS1_25lookback_scan_determinismE0ELb1ES3_N6thrust23THRUST_200600_302600_NS6detail15normal_iteratorINSB_10device_ptrIjEEEENSD_INSE_IS6_EEEESI_S6_NSB_4plusIvEENSB_8equal_toIvEES6_EE10hipError_tPvRmT2_T3_T4_T5_mT6_T7_P12ihipStream_tbENKUlT_T0_E_clISt17integral_constantIbLb1EES12_IbLb0EEEEDaSY_SZ_EUlSY_E_NS1_11comp_targetILNS1_3genE4ELNS1_11target_archE910ELNS1_3gpuE8ELNS1_3repE0EEENS1_30default_config_static_selectorELNS0_4arch9wavefront6targetE0EEEvT1_.numbered_sgpr, 0
	.set _ZN7rocprim17ROCPRIM_400000_NS6detail17trampoline_kernelINS0_14default_configENS1_27scan_by_key_config_selectorIj11FixedVectorIiLj8EEEEZZNS1_16scan_by_key_implILNS1_25lookback_scan_determinismE0ELb1ES3_N6thrust23THRUST_200600_302600_NS6detail15normal_iteratorINSB_10device_ptrIjEEEENSD_INSE_IS6_EEEESI_S6_NSB_4plusIvEENSB_8equal_toIvEES6_EE10hipError_tPvRmT2_T3_T4_T5_mT6_T7_P12ihipStream_tbENKUlT_T0_E_clISt17integral_constantIbLb1EES12_IbLb0EEEEDaSY_SZ_EUlSY_E_NS1_11comp_targetILNS1_3genE4ELNS1_11target_archE910ELNS1_3gpuE8ELNS1_3repE0EEENS1_30default_config_static_selectorELNS0_4arch9wavefront6targetE0EEEvT1_.num_named_barrier, 0
	.set _ZN7rocprim17ROCPRIM_400000_NS6detail17trampoline_kernelINS0_14default_configENS1_27scan_by_key_config_selectorIj11FixedVectorIiLj8EEEEZZNS1_16scan_by_key_implILNS1_25lookback_scan_determinismE0ELb1ES3_N6thrust23THRUST_200600_302600_NS6detail15normal_iteratorINSB_10device_ptrIjEEEENSD_INSE_IS6_EEEESI_S6_NSB_4plusIvEENSB_8equal_toIvEES6_EE10hipError_tPvRmT2_T3_T4_T5_mT6_T7_P12ihipStream_tbENKUlT_T0_E_clISt17integral_constantIbLb1EES12_IbLb0EEEEDaSY_SZ_EUlSY_E_NS1_11comp_targetILNS1_3genE4ELNS1_11target_archE910ELNS1_3gpuE8ELNS1_3repE0EEENS1_30default_config_static_selectorELNS0_4arch9wavefront6targetE0EEEvT1_.private_seg_size, 0
	.set _ZN7rocprim17ROCPRIM_400000_NS6detail17trampoline_kernelINS0_14default_configENS1_27scan_by_key_config_selectorIj11FixedVectorIiLj8EEEEZZNS1_16scan_by_key_implILNS1_25lookback_scan_determinismE0ELb1ES3_N6thrust23THRUST_200600_302600_NS6detail15normal_iteratorINSB_10device_ptrIjEEEENSD_INSE_IS6_EEEESI_S6_NSB_4plusIvEENSB_8equal_toIvEES6_EE10hipError_tPvRmT2_T3_T4_T5_mT6_T7_P12ihipStream_tbENKUlT_T0_E_clISt17integral_constantIbLb1EES12_IbLb0EEEEDaSY_SZ_EUlSY_E_NS1_11comp_targetILNS1_3genE4ELNS1_11target_archE910ELNS1_3gpuE8ELNS1_3repE0EEENS1_30default_config_static_selectorELNS0_4arch9wavefront6targetE0EEEvT1_.uses_vcc, 0
	.set _ZN7rocprim17ROCPRIM_400000_NS6detail17trampoline_kernelINS0_14default_configENS1_27scan_by_key_config_selectorIj11FixedVectorIiLj8EEEEZZNS1_16scan_by_key_implILNS1_25lookback_scan_determinismE0ELb1ES3_N6thrust23THRUST_200600_302600_NS6detail15normal_iteratorINSB_10device_ptrIjEEEENSD_INSE_IS6_EEEESI_S6_NSB_4plusIvEENSB_8equal_toIvEES6_EE10hipError_tPvRmT2_T3_T4_T5_mT6_T7_P12ihipStream_tbENKUlT_T0_E_clISt17integral_constantIbLb1EES12_IbLb0EEEEDaSY_SZ_EUlSY_E_NS1_11comp_targetILNS1_3genE4ELNS1_11target_archE910ELNS1_3gpuE8ELNS1_3repE0EEENS1_30default_config_static_selectorELNS0_4arch9wavefront6targetE0EEEvT1_.uses_flat_scratch, 0
	.set _ZN7rocprim17ROCPRIM_400000_NS6detail17trampoline_kernelINS0_14default_configENS1_27scan_by_key_config_selectorIj11FixedVectorIiLj8EEEEZZNS1_16scan_by_key_implILNS1_25lookback_scan_determinismE0ELb1ES3_N6thrust23THRUST_200600_302600_NS6detail15normal_iteratorINSB_10device_ptrIjEEEENSD_INSE_IS6_EEEESI_S6_NSB_4plusIvEENSB_8equal_toIvEES6_EE10hipError_tPvRmT2_T3_T4_T5_mT6_T7_P12ihipStream_tbENKUlT_T0_E_clISt17integral_constantIbLb1EES12_IbLb0EEEEDaSY_SZ_EUlSY_E_NS1_11comp_targetILNS1_3genE4ELNS1_11target_archE910ELNS1_3gpuE8ELNS1_3repE0EEENS1_30default_config_static_selectorELNS0_4arch9wavefront6targetE0EEEvT1_.has_dyn_sized_stack, 0
	.set _ZN7rocprim17ROCPRIM_400000_NS6detail17trampoline_kernelINS0_14default_configENS1_27scan_by_key_config_selectorIj11FixedVectorIiLj8EEEEZZNS1_16scan_by_key_implILNS1_25lookback_scan_determinismE0ELb1ES3_N6thrust23THRUST_200600_302600_NS6detail15normal_iteratorINSB_10device_ptrIjEEEENSD_INSE_IS6_EEEESI_S6_NSB_4plusIvEENSB_8equal_toIvEES6_EE10hipError_tPvRmT2_T3_T4_T5_mT6_T7_P12ihipStream_tbENKUlT_T0_E_clISt17integral_constantIbLb1EES12_IbLb0EEEEDaSY_SZ_EUlSY_E_NS1_11comp_targetILNS1_3genE4ELNS1_11target_archE910ELNS1_3gpuE8ELNS1_3repE0EEENS1_30default_config_static_selectorELNS0_4arch9wavefront6targetE0EEEvT1_.has_recursion, 0
	.set _ZN7rocprim17ROCPRIM_400000_NS6detail17trampoline_kernelINS0_14default_configENS1_27scan_by_key_config_selectorIj11FixedVectorIiLj8EEEEZZNS1_16scan_by_key_implILNS1_25lookback_scan_determinismE0ELb1ES3_N6thrust23THRUST_200600_302600_NS6detail15normal_iteratorINSB_10device_ptrIjEEEENSD_INSE_IS6_EEEESI_S6_NSB_4plusIvEENSB_8equal_toIvEES6_EE10hipError_tPvRmT2_T3_T4_T5_mT6_T7_P12ihipStream_tbENKUlT_T0_E_clISt17integral_constantIbLb1EES12_IbLb0EEEEDaSY_SZ_EUlSY_E_NS1_11comp_targetILNS1_3genE4ELNS1_11target_archE910ELNS1_3gpuE8ELNS1_3repE0EEENS1_30default_config_static_selectorELNS0_4arch9wavefront6targetE0EEEvT1_.has_indirect_call, 0
	.section	.AMDGPU.csdata,"",@progbits
; Kernel info:
; codeLenInByte = 0
; TotalNumSgprs: 0
; NumVgprs: 0
; ScratchSize: 0
; MemoryBound: 0
; FloatMode: 240
; IeeeMode: 1
; LDSByteSize: 0 bytes/workgroup (compile time only)
; SGPRBlocks: 0
; VGPRBlocks: 0
; NumSGPRsForWavesPerEU: 1
; NumVGPRsForWavesPerEU: 1
; Occupancy: 16
; WaveLimiterHint : 0
; COMPUTE_PGM_RSRC2:SCRATCH_EN: 0
; COMPUTE_PGM_RSRC2:USER_SGPR: 6
; COMPUTE_PGM_RSRC2:TRAP_HANDLER: 0
; COMPUTE_PGM_RSRC2:TGID_X_EN: 1
; COMPUTE_PGM_RSRC2:TGID_Y_EN: 0
; COMPUTE_PGM_RSRC2:TGID_Z_EN: 0
; COMPUTE_PGM_RSRC2:TIDIG_COMP_CNT: 0
	.section	.text._ZN7rocprim17ROCPRIM_400000_NS6detail17trampoline_kernelINS0_14default_configENS1_27scan_by_key_config_selectorIj11FixedVectorIiLj8EEEEZZNS1_16scan_by_key_implILNS1_25lookback_scan_determinismE0ELb1ES3_N6thrust23THRUST_200600_302600_NS6detail15normal_iteratorINSB_10device_ptrIjEEEENSD_INSE_IS6_EEEESI_S6_NSB_4plusIvEENSB_8equal_toIvEES6_EE10hipError_tPvRmT2_T3_T4_T5_mT6_T7_P12ihipStream_tbENKUlT_T0_E_clISt17integral_constantIbLb1EES12_IbLb0EEEEDaSY_SZ_EUlSY_E_NS1_11comp_targetILNS1_3genE3ELNS1_11target_archE908ELNS1_3gpuE7ELNS1_3repE0EEENS1_30default_config_static_selectorELNS0_4arch9wavefront6targetE0EEEvT1_,"axG",@progbits,_ZN7rocprim17ROCPRIM_400000_NS6detail17trampoline_kernelINS0_14default_configENS1_27scan_by_key_config_selectorIj11FixedVectorIiLj8EEEEZZNS1_16scan_by_key_implILNS1_25lookback_scan_determinismE0ELb1ES3_N6thrust23THRUST_200600_302600_NS6detail15normal_iteratorINSB_10device_ptrIjEEEENSD_INSE_IS6_EEEESI_S6_NSB_4plusIvEENSB_8equal_toIvEES6_EE10hipError_tPvRmT2_T3_T4_T5_mT6_T7_P12ihipStream_tbENKUlT_T0_E_clISt17integral_constantIbLb1EES12_IbLb0EEEEDaSY_SZ_EUlSY_E_NS1_11comp_targetILNS1_3genE3ELNS1_11target_archE908ELNS1_3gpuE7ELNS1_3repE0EEENS1_30default_config_static_selectorELNS0_4arch9wavefront6targetE0EEEvT1_,comdat
	.protected	_ZN7rocprim17ROCPRIM_400000_NS6detail17trampoline_kernelINS0_14default_configENS1_27scan_by_key_config_selectorIj11FixedVectorIiLj8EEEEZZNS1_16scan_by_key_implILNS1_25lookback_scan_determinismE0ELb1ES3_N6thrust23THRUST_200600_302600_NS6detail15normal_iteratorINSB_10device_ptrIjEEEENSD_INSE_IS6_EEEESI_S6_NSB_4plusIvEENSB_8equal_toIvEES6_EE10hipError_tPvRmT2_T3_T4_T5_mT6_T7_P12ihipStream_tbENKUlT_T0_E_clISt17integral_constantIbLb1EES12_IbLb0EEEEDaSY_SZ_EUlSY_E_NS1_11comp_targetILNS1_3genE3ELNS1_11target_archE908ELNS1_3gpuE7ELNS1_3repE0EEENS1_30default_config_static_selectorELNS0_4arch9wavefront6targetE0EEEvT1_ ; -- Begin function _ZN7rocprim17ROCPRIM_400000_NS6detail17trampoline_kernelINS0_14default_configENS1_27scan_by_key_config_selectorIj11FixedVectorIiLj8EEEEZZNS1_16scan_by_key_implILNS1_25lookback_scan_determinismE0ELb1ES3_N6thrust23THRUST_200600_302600_NS6detail15normal_iteratorINSB_10device_ptrIjEEEENSD_INSE_IS6_EEEESI_S6_NSB_4plusIvEENSB_8equal_toIvEES6_EE10hipError_tPvRmT2_T3_T4_T5_mT6_T7_P12ihipStream_tbENKUlT_T0_E_clISt17integral_constantIbLb1EES12_IbLb0EEEEDaSY_SZ_EUlSY_E_NS1_11comp_targetILNS1_3genE3ELNS1_11target_archE908ELNS1_3gpuE7ELNS1_3repE0EEENS1_30default_config_static_selectorELNS0_4arch9wavefront6targetE0EEEvT1_
	.globl	_ZN7rocprim17ROCPRIM_400000_NS6detail17trampoline_kernelINS0_14default_configENS1_27scan_by_key_config_selectorIj11FixedVectorIiLj8EEEEZZNS1_16scan_by_key_implILNS1_25lookback_scan_determinismE0ELb1ES3_N6thrust23THRUST_200600_302600_NS6detail15normal_iteratorINSB_10device_ptrIjEEEENSD_INSE_IS6_EEEESI_S6_NSB_4plusIvEENSB_8equal_toIvEES6_EE10hipError_tPvRmT2_T3_T4_T5_mT6_T7_P12ihipStream_tbENKUlT_T0_E_clISt17integral_constantIbLb1EES12_IbLb0EEEEDaSY_SZ_EUlSY_E_NS1_11comp_targetILNS1_3genE3ELNS1_11target_archE908ELNS1_3gpuE7ELNS1_3repE0EEENS1_30default_config_static_selectorELNS0_4arch9wavefront6targetE0EEEvT1_
	.p2align	8
	.type	_ZN7rocprim17ROCPRIM_400000_NS6detail17trampoline_kernelINS0_14default_configENS1_27scan_by_key_config_selectorIj11FixedVectorIiLj8EEEEZZNS1_16scan_by_key_implILNS1_25lookback_scan_determinismE0ELb1ES3_N6thrust23THRUST_200600_302600_NS6detail15normal_iteratorINSB_10device_ptrIjEEEENSD_INSE_IS6_EEEESI_S6_NSB_4plusIvEENSB_8equal_toIvEES6_EE10hipError_tPvRmT2_T3_T4_T5_mT6_T7_P12ihipStream_tbENKUlT_T0_E_clISt17integral_constantIbLb1EES12_IbLb0EEEEDaSY_SZ_EUlSY_E_NS1_11comp_targetILNS1_3genE3ELNS1_11target_archE908ELNS1_3gpuE7ELNS1_3repE0EEENS1_30default_config_static_selectorELNS0_4arch9wavefront6targetE0EEEvT1_,@function
_ZN7rocprim17ROCPRIM_400000_NS6detail17trampoline_kernelINS0_14default_configENS1_27scan_by_key_config_selectorIj11FixedVectorIiLj8EEEEZZNS1_16scan_by_key_implILNS1_25lookback_scan_determinismE0ELb1ES3_N6thrust23THRUST_200600_302600_NS6detail15normal_iteratorINSB_10device_ptrIjEEEENSD_INSE_IS6_EEEESI_S6_NSB_4plusIvEENSB_8equal_toIvEES6_EE10hipError_tPvRmT2_T3_T4_T5_mT6_T7_P12ihipStream_tbENKUlT_T0_E_clISt17integral_constantIbLb1EES12_IbLb0EEEEDaSY_SZ_EUlSY_E_NS1_11comp_targetILNS1_3genE3ELNS1_11target_archE908ELNS1_3gpuE7ELNS1_3repE0EEENS1_30default_config_static_selectorELNS0_4arch9wavefront6targetE0EEEvT1_: ; @_ZN7rocprim17ROCPRIM_400000_NS6detail17trampoline_kernelINS0_14default_configENS1_27scan_by_key_config_selectorIj11FixedVectorIiLj8EEEEZZNS1_16scan_by_key_implILNS1_25lookback_scan_determinismE0ELb1ES3_N6thrust23THRUST_200600_302600_NS6detail15normal_iteratorINSB_10device_ptrIjEEEENSD_INSE_IS6_EEEESI_S6_NSB_4plusIvEENSB_8equal_toIvEES6_EE10hipError_tPvRmT2_T3_T4_T5_mT6_T7_P12ihipStream_tbENKUlT_T0_E_clISt17integral_constantIbLb1EES12_IbLb0EEEEDaSY_SZ_EUlSY_E_NS1_11comp_targetILNS1_3genE3ELNS1_11target_archE908ELNS1_3gpuE7ELNS1_3repE0EEENS1_30default_config_static_selectorELNS0_4arch9wavefront6targetE0EEEvT1_
; %bb.0:
	.section	.rodata,"a",@progbits
	.p2align	6, 0x0
	.amdhsa_kernel _ZN7rocprim17ROCPRIM_400000_NS6detail17trampoline_kernelINS0_14default_configENS1_27scan_by_key_config_selectorIj11FixedVectorIiLj8EEEEZZNS1_16scan_by_key_implILNS1_25lookback_scan_determinismE0ELb1ES3_N6thrust23THRUST_200600_302600_NS6detail15normal_iteratorINSB_10device_ptrIjEEEENSD_INSE_IS6_EEEESI_S6_NSB_4plusIvEENSB_8equal_toIvEES6_EE10hipError_tPvRmT2_T3_T4_T5_mT6_T7_P12ihipStream_tbENKUlT_T0_E_clISt17integral_constantIbLb1EES12_IbLb0EEEEDaSY_SZ_EUlSY_E_NS1_11comp_targetILNS1_3genE3ELNS1_11target_archE908ELNS1_3gpuE7ELNS1_3repE0EEENS1_30default_config_static_selectorELNS0_4arch9wavefront6targetE0EEEvT1_
		.amdhsa_group_segment_fixed_size 0
		.amdhsa_private_segment_fixed_size 0
		.amdhsa_kernarg_size 160
		.amdhsa_user_sgpr_count 6
		.amdhsa_user_sgpr_private_segment_buffer 1
		.amdhsa_user_sgpr_dispatch_ptr 0
		.amdhsa_user_sgpr_queue_ptr 0
		.amdhsa_user_sgpr_kernarg_segment_ptr 1
		.amdhsa_user_sgpr_dispatch_id 0
		.amdhsa_user_sgpr_flat_scratch_init 0
		.amdhsa_user_sgpr_private_segment_size 0
		.amdhsa_wavefront_size32 1
		.amdhsa_uses_dynamic_stack 0
		.amdhsa_system_sgpr_private_segment_wavefront_offset 0
		.amdhsa_system_sgpr_workgroup_id_x 1
		.amdhsa_system_sgpr_workgroup_id_y 0
		.amdhsa_system_sgpr_workgroup_id_z 0
		.amdhsa_system_sgpr_workgroup_info 0
		.amdhsa_system_vgpr_workitem_id 0
		.amdhsa_next_free_vgpr 1
		.amdhsa_next_free_sgpr 1
		.amdhsa_reserve_vcc 0
		.amdhsa_reserve_flat_scratch 0
		.amdhsa_float_round_mode_32 0
		.amdhsa_float_round_mode_16_64 0
		.amdhsa_float_denorm_mode_32 3
		.amdhsa_float_denorm_mode_16_64 3
		.amdhsa_dx10_clamp 1
		.amdhsa_ieee_mode 1
		.amdhsa_fp16_overflow 0
		.amdhsa_workgroup_processor_mode 1
		.amdhsa_memory_ordered 1
		.amdhsa_forward_progress 1
		.amdhsa_shared_vgpr_count 0
		.amdhsa_exception_fp_ieee_invalid_op 0
		.amdhsa_exception_fp_denorm_src 0
		.amdhsa_exception_fp_ieee_div_zero 0
		.amdhsa_exception_fp_ieee_overflow 0
		.amdhsa_exception_fp_ieee_underflow 0
		.amdhsa_exception_fp_ieee_inexact 0
		.amdhsa_exception_int_div_zero 0
	.end_amdhsa_kernel
	.section	.text._ZN7rocprim17ROCPRIM_400000_NS6detail17trampoline_kernelINS0_14default_configENS1_27scan_by_key_config_selectorIj11FixedVectorIiLj8EEEEZZNS1_16scan_by_key_implILNS1_25lookback_scan_determinismE0ELb1ES3_N6thrust23THRUST_200600_302600_NS6detail15normal_iteratorINSB_10device_ptrIjEEEENSD_INSE_IS6_EEEESI_S6_NSB_4plusIvEENSB_8equal_toIvEES6_EE10hipError_tPvRmT2_T3_T4_T5_mT6_T7_P12ihipStream_tbENKUlT_T0_E_clISt17integral_constantIbLb1EES12_IbLb0EEEEDaSY_SZ_EUlSY_E_NS1_11comp_targetILNS1_3genE3ELNS1_11target_archE908ELNS1_3gpuE7ELNS1_3repE0EEENS1_30default_config_static_selectorELNS0_4arch9wavefront6targetE0EEEvT1_,"axG",@progbits,_ZN7rocprim17ROCPRIM_400000_NS6detail17trampoline_kernelINS0_14default_configENS1_27scan_by_key_config_selectorIj11FixedVectorIiLj8EEEEZZNS1_16scan_by_key_implILNS1_25lookback_scan_determinismE0ELb1ES3_N6thrust23THRUST_200600_302600_NS6detail15normal_iteratorINSB_10device_ptrIjEEEENSD_INSE_IS6_EEEESI_S6_NSB_4plusIvEENSB_8equal_toIvEES6_EE10hipError_tPvRmT2_T3_T4_T5_mT6_T7_P12ihipStream_tbENKUlT_T0_E_clISt17integral_constantIbLb1EES12_IbLb0EEEEDaSY_SZ_EUlSY_E_NS1_11comp_targetILNS1_3genE3ELNS1_11target_archE908ELNS1_3gpuE7ELNS1_3repE0EEENS1_30default_config_static_selectorELNS0_4arch9wavefront6targetE0EEEvT1_,comdat
.Lfunc_end2179:
	.size	_ZN7rocprim17ROCPRIM_400000_NS6detail17trampoline_kernelINS0_14default_configENS1_27scan_by_key_config_selectorIj11FixedVectorIiLj8EEEEZZNS1_16scan_by_key_implILNS1_25lookback_scan_determinismE0ELb1ES3_N6thrust23THRUST_200600_302600_NS6detail15normal_iteratorINSB_10device_ptrIjEEEENSD_INSE_IS6_EEEESI_S6_NSB_4plusIvEENSB_8equal_toIvEES6_EE10hipError_tPvRmT2_T3_T4_T5_mT6_T7_P12ihipStream_tbENKUlT_T0_E_clISt17integral_constantIbLb1EES12_IbLb0EEEEDaSY_SZ_EUlSY_E_NS1_11comp_targetILNS1_3genE3ELNS1_11target_archE908ELNS1_3gpuE7ELNS1_3repE0EEENS1_30default_config_static_selectorELNS0_4arch9wavefront6targetE0EEEvT1_, .Lfunc_end2179-_ZN7rocprim17ROCPRIM_400000_NS6detail17trampoline_kernelINS0_14default_configENS1_27scan_by_key_config_selectorIj11FixedVectorIiLj8EEEEZZNS1_16scan_by_key_implILNS1_25lookback_scan_determinismE0ELb1ES3_N6thrust23THRUST_200600_302600_NS6detail15normal_iteratorINSB_10device_ptrIjEEEENSD_INSE_IS6_EEEESI_S6_NSB_4plusIvEENSB_8equal_toIvEES6_EE10hipError_tPvRmT2_T3_T4_T5_mT6_T7_P12ihipStream_tbENKUlT_T0_E_clISt17integral_constantIbLb1EES12_IbLb0EEEEDaSY_SZ_EUlSY_E_NS1_11comp_targetILNS1_3genE3ELNS1_11target_archE908ELNS1_3gpuE7ELNS1_3repE0EEENS1_30default_config_static_selectorELNS0_4arch9wavefront6targetE0EEEvT1_
                                        ; -- End function
	.set _ZN7rocprim17ROCPRIM_400000_NS6detail17trampoline_kernelINS0_14default_configENS1_27scan_by_key_config_selectorIj11FixedVectorIiLj8EEEEZZNS1_16scan_by_key_implILNS1_25lookback_scan_determinismE0ELb1ES3_N6thrust23THRUST_200600_302600_NS6detail15normal_iteratorINSB_10device_ptrIjEEEENSD_INSE_IS6_EEEESI_S6_NSB_4plusIvEENSB_8equal_toIvEES6_EE10hipError_tPvRmT2_T3_T4_T5_mT6_T7_P12ihipStream_tbENKUlT_T0_E_clISt17integral_constantIbLb1EES12_IbLb0EEEEDaSY_SZ_EUlSY_E_NS1_11comp_targetILNS1_3genE3ELNS1_11target_archE908ELNS1_3gpuE7ELNS1_3repE0EEENS1_30default_config_static_selectorELNS0_4arch9wavefront6targetE0EEEvT1_.num_vgpr, 0
	.set _ZN7rocprim17ROCPRIM_400000_NS6detail17trampoline_kernelINS0_14default_configENS1_27scan_by_key_config_selectorIj11FixedVectorIiLj8EEEEZZNS1_16scan_by_key_implILNS1_25lookback_scan_determinismE0ELb1ES3_N6thrust23THRUST_200600_302600_NS6detail15normal_iteratorINSB_10device_ptrIjEEEENSD_INSE_IS6_EEEESI_S6_NSB_4plusIvEENSB_8equal_toIvEES6_EE10hipError_tPvRmT2_T3_T4_T5_mT6_T7_P12ihipStream_tbENKUlT_T0_E_clISt17integral_constantIbLb1EES12_IbLb0EEEEDaSY_SZ_EUlSY_E_NS1_11comp_targetILNS1_3genE3ELNS1_11target_archE908ELNS1_3gpuE7ELNS1_3repE0EEENS1_30default_config_static_selectorELNS0_4arch9wavefront6targetE0EEEvT1_.num_agpr, 0
	.set _ZN7rocprim17ROCPRIM_400000_NS6detail17trampoline_kernelINS0_14default_configENS1_27scan_by_key_config_selectorIj11FixedVectorIiLj8EEEEZZNS1_16scan_by_key_implILNS1_25lookback_scan_determinismE0ELb1ES3_N6thrust23THRUST_200600_302600_NS6detail15normal_iteratorINSB_10device_ptrIjEEEENSD_INSE_IS6_EEEESI_S6_NSB_4plusIvEENSB_8equal_toIvEES6_EE10hipError_tPvRmT2_T3_T4_T5_mT6_T7_P12ihipStream_tbENKUlT_T0_E_clISt17integral_constantIbLb1EES12_IbLb0EEEEDaSY_SZ_EUlSY_E_NS1_11comp_targetILNS1_3genE3ELNS1_11target_archE908ELNS1_3gpuE7ELNS1_3repE0EEENS1_30default_config_static_selectorELNS0_4arch9wavefront6targetE0EEEvT1_.numbered_sgpr, 0
	.set _ZN7rocprim17ROCPRIM_400000_NS6detail17trampoline_kernelINS0_14default_configENS1_27scan_by_key_config_selectorIj11FixedVectorIiLj8EEEEZZNS1_16scan_by_key_implILNS1_25lookback_scan_determinismE0ELb1ES3_N6thrust23THRUST_200600_302600_NS6detail15normal_iteratorINSB_10device_ptrIjEEEENSD_INSE_IS6_EEEESI_S6_NSB_4plusIvEENSB_8equal_toIvEES6_EE10hipError_tPvRmT2_T3_T4_T5_mT6_T7_P12ihipStream_tbENKUlT_T0_E_clISt17integral_constantIbLb1EES12_IbLb0EEEEDaSY_SZ_EUlSY_E_NS1_11comp_targetILNS1_3genE3ELNS1_11target_archE908ELNS1_3gpuE7ELNS1_3repE0EEENS1_30default_config_static_selectorELNS0_4arch9wavefront6targetE0EEEvT1_.num_named_barrier, 0
	.set _ZN7rocprim17ROCPRIM_400000_NS6detail17trampoline_kernelINS0_14default_configENS1_27scan_by_key_config_selectorIj11FixedVectorIiLj8EEEEZZNS1_16scan_by_key_implILNS1_25lookback_scan_determinismE0ELb1ES3_N6thrust23THRUST_200600_302600_NS6detail15normal_iteratorINSB_10device_ptrIjEEEENSD_INSE_IS6_EEEESI_S6_NSB_4plusIvEENSB_8equal_toIvEES6_EE10hipError_tPvRmT2_T3_T4_T5_mT6_T7_P12ihipStream_tbENKUlT_T0_E_clISt17integral_constantIbLb1EES12_IbLb0EEEEDaSY_SZ_EUlSY_E_NS1_11comp_targetILNS1_3genE3ELNS1_11target_archE908ELNS1_3gpuE7ELNS1_3repE0EEENS1_30default_config_static_selectorELNS0_4arch9wavefront6targetE0EEEvT1_.private_seg_size, 0
	.set _ZN7rocprim17ROCPRIM_400000_NS6detail17trampoline_kernelINS0_14default_configENS1_27scan_by_key_config_selectorIj11FixedVectorIiLj8EEEEZZNS1_16scan_by_key_implILNS1_25lookback_scan_determinismE0ELb1ES3_N6thrust23THRUST_200600_302600_NS6detail15normal_iteratorINSB_10device_ptrIjEEEENSD_INSE_IS6_EEEESI_S6_NSB_4plusIvEENSB_8equal_toIvEES6_EE10hipError_tPvRmT2_T3_T4_T5_mT6_T7_P12ihipStream_tbENKUlT_T0_E_clISt17integral_constantIbLb1EES12_IbLb0EEEEDaSY_SZ_EUlSY_E_NS1_11comp_targetILNS1_3genE3ELNS1_11target_archE908ELNS1_3gpuE7ELNS1_3repE0EEENS1_30default_config_static_selectorELNS0_4arch9wavefront6targetE0EEEvT1_.uses_vcc, 0
	.set _ZN7rocprim17ROCPRIM_400000_NS6detail17trampoline_kernelINS0_14default_configENS1_27scan_by_key_config_selectorIj11FixedVectorIiLj8EEEEZZNS1_16scan_by_key_implILNS1_25lookback_scan_determinismE0ELb1ES3_N6thrust23THRUST_200600_302600_NS6detail15normal_iteratorINSB_10device_ptrIjEEEENSD_INSE_IS6_EEEESI_S6_NSB_4plusIvEENSB_8equal_toIvEES6_EE10hipError_tPvRmT2_T3_T4_T5_mT6_T7_P12ihipStream_tbENKUlT_T0_E_clISt17integral_constantIbLb1EES12_IbLb0EEEEDaSY_SZ_EUlSY_E_NS1_11comp_targetILNS1_3genE3ELNS1_11target_archE908ELNS1_3gpuE7ELNS1_3repE0EEENS1_30default_config_static_selectorELNS0_4arch9wavefront6targetE0EEEvT1_.uses_flat_scratch, 0
	.set _ZN7rocprim17ROCPRIM_400000_NS6detail17trampoline_kernelINS0_14default_configENS1_27scan_by_key_config_selectorIj11FixedVectorIiLj8EEEEZZNS1_16scan_by_key_implILNS1_25lookback_scan_determinismE0ELb1ES3_N6thrust23THRUST_200600_302600_NS6detail15normal_iteratorINSB_10device_ptrIjEEEENSD_INSE_IS6_EEEESI_S6_NSB_4plusIvEENSB_8equal_toIvEES6_EE10hipError_tPvRmT2_T3_T4_T5_mT6_T7_P12ihipStream_tbENKUlT_T0_E_clISt17integral_constantIbLb1EES12_IbLb0EEEEDaSY_SZ_EUlSY_E_NS1_11comp_targetILNS1_3genE3ELNS1_11target_archE908ELNS1_3gpuE7ELNS1_3repE0EEENS1_30default_config_static_selectorELNS0_4arch9wavefront6targetE0EEEvT1_.has_dyn_sized_stack, 0
	.set _ZN7rocprim17ROCPRIM_400000_NS6detail17trampoline_kernelINS0_14default_configENS1_27scan_by_key_config_selectorIj11FixedVectorIiLj8EEEEZZNS1_16scan_by_key_implILNS1_25lookback_scan_determinismE0ELb1ES3_N6thrust23THRUST_200600_302600_NS6detail15normal_iteratorINSB_10device_ptrIjEEEENSD_INSE_IS6_EEEESI_S6_NSB_4plusIvEENSB_8equal_toIvEES6_EE10hipError_tPvRmT2_T3_T4_T5_mT6_T7_P12ihipStream_tbENKUlT_T0_E_clISt17integral_constantIbLb1EES12_IbLb0EEEEDaSY_SZ_EUlSY_E_NS1_11comp_targetILNS1_3genE3ELNS1_11target_archE908ELNS1_3gpuE7ELNS1_3repE0EEENS1_30default_config_static_selectorELNS0_4arch9wavefront6targetE0EEEvT1_.has_recursion, 0
	.set _ZN7rocprim17ROCPRIM_400000_NS6detail17trampoline_kernelINS0_14default_configENS1_27scan_by_key_config_selectorIj11FixedVectorIiLj8EEEEZZNS1_16scan_by_key_implILNS1_25lookback_scan_determinismE0ELb1ES3_N6thrust23THRUST_200600_302600_NS6detail15normal_iteratorINSB_10device_ptrIjEEEENSD_INSE_IS6_EEEESI_S6_NSB_4plusIvEENSB_8equal_toIvEES6_EE10hipError_tPvRmT2_T3_T4_T5_mT6_T7_P12ihipStream_tbENKUlT_T0_E_clISt17integral_constantIbLb1EES12_IbLb0EEEEDaSY_SZ_EUlSY_E_NS1_11comp_targetILNS1_3genE3ELNS1_11target_archE908ELNS1_3gpuE7ELNS1_3repE0EEENS1_30default_config_static_selectorELNS0_4arch9wavefront6targetE0EEEvT1_.has_indirect_call, 0
	.section	.AMDGPU.csdata,"",@progbits
; Kernel info:
; codeLenInByte = 0
; TotalNumSgprs: 0
; NumVgprs: 0
; ScratchSize: 0
; MemoryBound: 0
; FloatMode: 240
; IeeeMode: 1
; LDSByteSize: 0 bytes/workgroup (compile time only)
; SGPRBlocks: 0
; VGPRBlocks: 0
; NumSGPRsForWavesPerEU: 1
; NumVGPRsForWavesPerEU: 1
; Occupancy: 16
; WaveLimiterHint : 0
; COMPUTE_PGM_RSRC2:SCRATCH_EN: 0
; COMPUTE_PGM_RSRC2:USER_SGPR: 6
; COMPUTE_PGM_RSRC2:TRAP_HANDLER: 0
; COMPUTE_PGM_RSRC2:TGID_X_EN: 1
; COMPUTE_PGM_RSRC2:TGID_Y_EN: 0
; COMPUTE_PGM_RSRC2:TGID_Z_EN: 0
; COMPUTE_PGM_RSRC2:TIDIG_COMP_CNT: 0
	.section	.text._ZN7rocprim17ROCPRIM_400000_NS6detail17trampoline_kernelINS0_14default_configENS1_27scan_by_key_config_selectorIj11FixedVectorIiLj8EEEEZZNS1_16scan_by_key_implILNS1_25lookback_scan_determinismE0ELb1ES3_N6thrust23THRUST_200600_302600_NS6detail15normal_iteratorINSB_10device_ptrIjEEEENSD_INSE_IS6_EEEESI_S6_NSB_4plusIvEENSB_8equal_toIvEES6_EE10hipError_tPvRmT2_T3_T4_T5_mT6_T7_P12ihipStream_tbENKUlT_T0_E_clISt17integral_constantIbLb1EES12_IbLb0EEEEDaSY_SZ_EUlSY_E_NS1_11comp_targetILNS1_3genE2ELNS1_11target_archE906ELNS1_3gpuE6ELNS1_3repE0EEENS1_30default_config_static_selectorELNS0_4arch9wavefront6targetE0EEEvT1_,"axG",@progbits,_ZN7rocprim17ROCPRIM_400000_NS6detail17trampoline_kernelINS0_14default_configENS1_27scan_by_key_config_selectorIj11FixedVectorIiLj8EEEEZZNS1_16scan_by_key_implILNS1_25lookback_scan_determinismE0ELb1ES3_N6thrust23THRUST_200600_302600_NS6detail15normal_iteratorINSB_10device_ptrIjEEEENSD_INSE_IS6_EEEESI_S6_NSB_4plusIvEENSB_8equal_toIvEES6_EE10hipError_tPvRmT2_T3_T4_T5_mT6_T7_P12ihipStream_tbENKUlT_T0_E_clISt17integral_constantIbLb1EES12_IbLb0EEEEDaSY_SZ_EUlSY_E_NS1_11comp_targetILNS1_3genE2ELNS1_11target_archE906ELNS1_3gpuE6ELNS1_3repE0EEENS1_30default_config_static_selectorELNS0_4arch9wavefront6targetE0EEEvT1_,comdat
	.protected	_ZN7rocprim17ROCPRIM_400000_NS6detail17trampoline_kernelINS0_14default_configENS1_27scan_by_key_config_selectorIj11FixedVectorIiLj8EEEEZZNS1_16scan_by_key_implILNS1_25lookback_scan_determinismE0ELb1ES3_N6thrust23THRUST_200600_302600_NS6detail15normal_iteratorINSB_10device_ptrIjEEEENSD_INSE_IS6_EEEESI_S6_NSB_4plusIvEENSB_8equal_toIvEES6_EE10hipError_tPvRmT2_T3_T4_T5_mT6_T7_P12ihipStream_tbENKUlT_T0_E_clISt17integral_constantIbLb1EES12_IbLb0EEEEDaSY_SZ_EUlSY_E_NS1_11comp_targetILNS1_3genE2ELNS1_11target_archE906ELNS1_3gpuE6ELNS1_3repE0EEENS1_30default_config_static_selectorELNS0_4arch9wavefront6targetE0EEEvT1_ ; -- Begin function _ZN7rocprim17ROCPRIM_400000_NS6detail17trampoline_kernelINS0_14default_configENS1_27scan_by_key_config_selectorIj11FixedVectorIiLj8EEEEZZNS1_16scan_by_key_implILNS1_25lookback_scan_determinismE0ELb1ES3_N6thrust23THRUST_200600_302600_NS6detail15normal_iteratorINSB_10device_ptrIjEEEENSD_INSE_IS6_EEEESI_S6_NSB_4plusIvEENSB_8equal_toIvEES6_EE10hipError_tPvRmT2_T3_T4_T5_mT6_T7_P12ihipStream_tbENKUlT_T0_E_clISt17integral_constantIbLb1EES12_IbLb0EEEEDaSY_SZ_EUlSY_E_NS1_11comp_targetILNS1_3genE2ELNS1_11target_archE906ELNS1_3gpuE6ELNS1_3repE0EEENS1_30default_config_static_selectorELNS0_4arch9wavefront6targetE0EEEvT1_
	.globl	_ZN7rocprim17ROCPRIM_400000_NS6detail17trampoline_kernelINS0_14default_configENS1_27scan_by_key_config_selectorIj11FixedVectorIiLj8EEEEZZNS1_16scan_by_key_implILNS1_25lookback_scan_determinismE0ELb1ES3_N6thrust23THRUST_200600_302600_NS6detail15normal_iteratorINSB_10device_ptrIjEEEENSD_INSE_IS6_EEEESI_S6_NSB_4plusIvEENSB_8equal_toIvEES6_EE10hipError_tPvRmT2_T3_T4_T5_mT6_T7_P12ihipStream_tbENKUlT_T0_E_clISt17integral_constantIbLb1EES12_IbLb0EEEEDaSY_SZ_EUlSY_E_NS1_11comp_targetILNS1_3genE2ELNS1_11target_archE906ELNS1_3gpuE6ELNS1_3repE0EEENS1_30default_config_static_selectorELNS0_4arch9wavefront6targetE0EEEvT1_
	.p2align	8
	.type	_ZN7rocprim17ROCPRIM_400000_NS6detail17trampoline_kernelINS0_14default_configENS1_27scan_by_key_config_selectorIj11FixedVectorIiLj8EEEEZZNS1_16scan_by_key_implILNS1_25lookback_scan_determinismE0ELb1ES3_N6thrust23THRUST_200600_302600_NS6detail15normal_iteratorINSB_10device_ptrIjEEEENSD_INSE_IS6_EEEESI_S6_NSB_4plusIvEENSB_8equal_toIvEES6_EE10hipError_tPvRmT2_T3_T4_T5_mT6_T7_P12ihipStream_tbENKUlT_T0_E_clISt17integral_constantIbLb1EES12_IbLb0EEEEDaSY_SZ_EUlSY_E_NS1_11comp_targetILNS1_3genE2ELNS1_11target_archE906ELNS1_3gpuE6ELNS1_3repE0EEENS1_30default_config_static_selectorELNS0_4arch9wavefront6targetE0EEEvT1_,@function
_ZN7rocprim17ROCPRIM_400000_NS6detail17trampoline_kernelINS0_14default_configENS1_27scan_by_key_config_selectorIj11FixedVectorIiLj8EEEEZZNS1_16scan_by_key_implILNS1_25lookback_scan_determinismE0ELb1ES3_N6thrust23THRUST_200600_302600_NS6detail15normal_iteratorINSB_10device_ptrIjEEEENSD_INSE_IS6_EEEESI_S6_NSB_4plusIvEENSB_8equal_toIvEES6_EE10hipError_tPvRmT2_T3_T4_T5_mT6_T7_P12ihipStream_tbENKUlT_T0_E_clISt17integral_constantIbLb1EES12_IbLb0EEEEDaSY_SZ_EUlSY_E_NS1_11comp_targetILNS1_3genE2ELNS1_11target_archE906ELNS1_3gpuE6ELNS1_3repE0EEENS1_30default_config_static_selectorELNS0_4arch9wavefront6targetE0EEEvT1_: ; @_ZN7rocprim17ROCPRIM_400000_NS6detail17trampoline_kernelINS0_14default_configENS1_27scan_by_key_config_selectorIj11FixedVectorIiLj8EEEEZZNS1_16scan_by_key_implILNS1_25lookback_scan_determinismE0ELb1ES3_N6thrust23THRUST_200600_302600_NS6detail15normal_iteratorINSB_10device_ptrIjEEEENSD_INSE_IS6_EEEESI_S6_NSB_4plusIvEENSB_8equal_toIvEES6_EE10hipError_tPvRmT2_T3_T4_T5_mT6_T7_P12ihipStream_tbENKUlT_T0_E_clISt17integral_constantIbLb1EES12_IbLb0EEEEDaSY_SZ_EUlSY_E_NS1_11comp_targetILNS1_3genE2ELNS1_11target_archE906ELNS1_3gpuE6ELNS1_3repE0EEENS1_30default_config_static_selectorELNS0_4arch9wavefront6targetE0EEEvT1_
; %bb.0:
	.section	.rodata,"a",@progbits
	.p2align	6, 0x0
	.amdhsa_kernel _ZN7rocprim17ROCPRIM_400000_NS6detail17trampoline_kernelINS0_14default_configENS1_27scan_by_key_config_selectorIj11FixedVectorIiLj8EEEEZZNS1_16scan_by_key_implILNS1_25lookback_scan_determinismE0ELb1ES3_N6thrust23THRUST_200600_302600_NS6detail15normal_iteratorINSB_10device_ptrIjEEEENSD_INSE_IS6_EEEESI_S6_NSB_4plusIvEENSB_8equal_toIvEES6_EE10hipError_tPvRmT2_T3_T4_T5_mT6_T7_P12ihipStream_tbENKUlT_T0_E_clISt17integral_constantIbLb1EES12_IbLb0EEEEDaSY_SZ_EUlSY_E_NS1_11comp_targetILNS1_3genE2ELNS1_11target_archE906ELNS1_3gpuE6ELNS1_3repE0EEENS1_30default_config_static_selectorELNS0_4arch9wavefront6targetE0EEEvT1_
		.amdhsa_group_segment_fixed_size 0
		.amdhsa_private_segment_fixed_size 0
		.amdhsa_kernarg_size 160
		.amdhsa_user_sgpr_count 6
		.amdhsa_user_sgpr_private_segment_buffer 1
		.amdhsa_user_sgpr_dispatch_ptr 0
		.amdhsa_user_sgpr_queue_ptr 0
		.amdhsa_user_sgpr_kernarg_segment_ptr 1
		.amdhsa_user_sgpr_dispatch_id 0
		.amdhsa_user_sgpr_flat_scratch_init 0
		.amdhsa_user_sgpr_private_segment_size 0
		.amdhsa_wavefront_size32 1
		.amdhsa_uses_dynamic_stack 0
		.amdhsa_system_sgpr_private_segment_wavefront_offset 0
		.amdhsa_system_sgpr_workgroup_id_x 1
		.amdhsa_system_sgpr_workgroup_id_y 0
		.amdhsa_system_sgpr_workgroup_id_z 0
		.amdhsa_system_sgpr_workgroup_info 0
		.amdhsa_system_vgpr_workitem_id 0
		.amdhsa_next_free_vgpr 1
		.amdhsa_next_free_sgpr 1
		.amdhsa_reserve_vcc 0
		.amdhsa_reserve_flat_scratch 0
		.amdhsa_float_round_mode_32 0
		.amdhsa_float_round_mode_16_64 0
		.amdhsa_float_denorm_mode_32 3
		.amdhsa_float_denorm_mode_16_64 3
		.amdhsa_dx10_clamp 1
		.amdhsa_ieee_mode 1
		.amdhsa_fp16_overflow 0
		.amdhsa_workgroup_processor_mode 1
		.amdhsa_memory_ordered 1
		.amdhsa_forward_progress 1
		.amdhsa_shared_vgpr_count 0
		.amdhsa_exception_fp_ieee_invalid_op 0
		.amdhsa_exception_fp_denorm_src 0
		.amdhsa_exception_fp_ieee_div_zero 0
		.amdhsa_exception_fp_ieee_overflow 0
		.amdhsa_exception_fp_ieee_underflow 0
		.amdhsa_exception_fp_ieee_inexact 0
		.amdhsa_exception_int_div_zero 0
	.end_amdhsa_kernel
	.section	.text._ZN7rocprim17ROCPRIM_400000_NS6detail17trampoline_kernelINS0_14default_configENS1_27scan_by_key_config_selectorIj11FixedVectorIiLj8EEEEZZNS1_16scan_by_key_implILNS1_25lookback_scan_determinismE0ELb1ES3_N6thrust23THRUST_200600_302600_NS6detail15normal_iteratorINSB_10device_ptrIjEEEENSD_INSE_IS6_EEEESI_S6_NSB_4plusIvEENSB_8equal_toIvEES6_EE10hipError_tPvRmT2_T3_T4_T5_mT6_T7_P12ihipStream_tbENKUlT_T0_E_clISt17integral_constantIbLb1EES12_IbLb0EEEEDaSY_SZ_EUlSY_E_NS1_11comp_targetILNS1_3genE2ELNS1_11target_archE906ELNS1_3gpuE6ELNS1_3repE0EEENS1_30default_config_static_selectorELNS0_4arch9wavefront6targetE0EEEvT1_,"axG",@progbits,_ZN7rocprim17ROCPRIM_400000_NS6detail17trampoline_kernelINS0_14default_configENS1_27scan_by_key_config_selectorIj11FixedVectorIiLj8EEEEZZNS1_16scan_by_key_implILNS1_25lookback_scan_determinismE0ELb1ES3_N6thrust23THRUST_200600_302600_NS6detail15normal_iteratorINSB_10device_ptrIjEEEENSD_INSE_IS6_EEEESI_S6_NSB_4plusIvEENSB_8equal_toIvEES6_EE10hipError_tPvRmT2_T3_T4_T5_mT6_T7_P12ihipStream_tbENKUlT_T0_E_clISt17integral_constantIbLb1EES12_IbLb0EEEEDaSY_SZ_EUlSY_E_NS1_11comp_targetILNS1_3genE2ELNS1_11target_archE906ELNS1_3gpuE6ELNS1_3repE0EEENS1_30default_config_static_selectorELNS0_4arch9wavefront6targetE0EEEvT1_,comdat
.Lfunc_end2180:
	.size	_ZN7rocprim17ROCPRIM_400000_NS6detail17trampoline_kernelINS0_14default_configENS1_27scan_by_key_config_selectorIj11FixedVectorIiLj8EEEEZZNS1_16scan_by_key_implILNS1_25lookback_scan_determinismE0ELb1ES3_N6thrust23THRUST_200600_302600_NS6detail15normal_iteratorINSB_10device_ptrIjEEEENSD_INSE_IS6_EEEESI_S6_NSB_4plusIvEENSB_8equal_toIvEES6_EE10hipError_tPvRmT2_T3_T4_T5_mT6_T7_P12ihipStream_tbENKUlT_T0_E_clISt17integral_constantIbLb1EES12_IbLb0EEEEDaSY_SZ_EUlSY_E_NS1_11comp_targetILNS1_3genE2ELNS1_11target_archE906ELNS1_3gpuE6ELNS1_3repE0EEENS1_30default_config_static_selectorELNS0_4arch9wavefront6targetE0EEEvT1_, .Lfunc_end2180-_ZN7rocprim17ROCPRIM_400000_NS6detail17trampoline_kernelINS0_14default_configENS1_27scan_by_key_config_selectorIj11FixedVectorIiLj8EEEEZZNS1_16scan_by_key_implILNS1_25lookback_scan_determinismE0ELb1ES3_N6thrust23THRUST_200600_302600_NS6detail15normal_iteratorINSB_10device_ptrIjEEEENSD_INSE_IS6_EEEESI_S6_NSB_4plusIvEENSB_8equal_toIvEES6_EE10hipError_tPvRmT2_T3_T4_T5_mT6_T7_P12ihipStream_tbENKUlT_T0_E_clISt17integral_constantIbLb1EES12_IbLb0EEEEDaSY_SZ_EUlSY_E_NS1_11comp_targetILNS1_3genE2ELNS1_11target_archE906ELNS1_3gpuE6ELNS1_3repE0EEENS1_30default_config_static_selectorELNS0_4arch9wavefront6targetE0EEEvT1_
                                        ; -- End function
	.set _ZN7rocprim17ROCPRIM_400000_NS6detail17trampoline_kernelINS0_14default_configENS1_27scan_by_key_config_selectorIj11FixedVectorIiLj8EEEEZZNS1_16scan_by_key_implILNS1_25lookback_scan_determinismE0ELb1ES3_N6thrust23THRUST_200600_302600_NS6detail15normal_iteratorINSB_10device_ptrIjEEEENSD_INSE_IS6_EEEESI_S6_NSB_4plusIvEENSB_8equal_toIvEES6_EE10hipError_tPvRmT2_T3_T4_T5_mT6_T7_P12ihipStream_tbENKUlT_T0_E_clISt17integral_constantIbLb1EES12_IbLb0EEEEDaSY_SZ_EUlSY_E_NS1_11comp_targetILNS1_3genE2ELNS1_11target_archE906ELNS1_3gpuE6ELNS1_3repE0EEENS1_30default_config_static_selectorELNS0_4arch9wavefront6targetE0EEEvT1_.num_vgpr, 0
	.set _ZN7rocprim17ROCPRIM_400000_NS6detail17trampoline_kernelINS0_14default_configENS1_27scan_by_key_config_selectorIj11FixedVectorIiLj8EEEEZZNS1_16scan_by_key_implILNS1_25lookback_scan_determinismE0ELb1ES3_N6thrust23THRUST_200600_302600_NS6detail15normal_iteratorINSB_10device_ptrIjEEEENSD_INSE_IS6_EEEESI_S6_NSB_4plusIvEENSB_8equal_toIvEES6_EE10hipError_tPvRmT2_T3_T4_T5_mT6_T7_P12ihipStream_tbENKUlT_T0_E_clISt17integral_constantIbLb1EES12_IbLb0EEEEDaSY_SZ_EUlSY_E_NS1_11comp_targetILNS1_3genE2ELNS1_11target_archE906ELNS1_3gpuE6ELNS1_3repE0EEENS1_30default_config_static_selectorELNS0_4arch9wavefront6targetE0EEEvT1_.num_agpr, 0
	.set _ZN7rocprim17ROCPRIM_400000_NS6detail17trampoline_kernelINS0_14default_configENS1_27scan_by_key_config_selectorIj11FixedVectorIiLj8EEEEZZNS1_16scan_by_key_implILNS1_25lookback_scan_determinismE0ELb1ES3_N6thrust23THRUST_200600_302600_NS6detail15normal_iteratorINSB_10device_ptrIjEEEENSD_INSE_IS6_EEEESI_S6_NSB_4plusIvEENSB_8equal_toIvEES6_EE10hipError_tPvRmT2_T3_T4_T5_mT6_T7_P12ihipStream_tbENKUlT_T0_E_clISt17integral_constantIbLb1EES12_IbLb0EEEEDaSY_SZ_EUlSY_E_NS1_11comp_targetILNS1_3genE2ELNS1_11target_archE906ELNS1_3gpuE6ELNS1_3repE0EEENS1_30default_config_static_selectorELNS0_4arch9wavefront6targetE0EEEvT1_.numbered_sgpr, 0
	.set _ZN7rocprim17ROCPRIM_400000_NS6detail17trampoline_kernelINS0_14default_configENS1_27scan_by_key_config_selectorIj11FixedVectorIiLj8EEEEZZNS1_16scan_by_key_implILNS1_25lookback_scan_determinismE0ELb1ES3_N6thrust23THRUST_200600_302600_NS6detail15normal_iteratorINSB_10device_ptrIjEEEENSD_INSE_IS6_EEEESI_S6_NSB_4plusIvEENSB_8equal_toIvEES6_EE10hipError_tPvRmT2_T3_T4_T5_mT6_T7_P12ihipStream_tbENKUlT_T0_E_clISt17integral_constantIbLb1EES12_IbLb0EEEEDaSY_SZ_EUlSY_E_NS1_11comp_targetILNS1_3genE2ELNS1_11target_archE906ELNS1_3gpuE6ELNS1_3repE0EEENS1_30default_config_static_selectorELNS0_4arch9wavefront6targetE0EEEvT1_.num_named_barrier, 0
	.set _ZN7rocprim17ROCPRIM_400000_NS6detail17trampoline_kernelINS0_14default_configENS1_27scan_by_key_config_selectorIj11FixedVectorIiLj8EEEEZZNS1_16scan_by_key_implILNS1_25lookback_scan_determinismE0ELb1ES3_N6thrust23THRUST_200600_302600_NS6detail15normal_iteratorINSB_10device_ptrIjEEEENSD_INSE_IS6_EEEESI_S6_NSB_4plusIvEENSB_8equal_toIvEES6_EE10hipError_tPvRmT2_T3_T4_T5_mT6_T7_P12ihipStream_tbENKUlT_T0_E_clISt17integral_constantIbLb1EES12_IbLb0EEEEDaSY_SZ_EUlSY_E_NS1_11comp_targetILNS1_3genE2ELNS1_11target_archE906ELNS1_3gpuE6ELNS1_3repE0EEENS1_30default_config_static_selectorELNS0_4arch9wavefront6targetE0EEEvT1_.private_seg_size, 0
	.set _ZN7rocprim17ROCPRIM_400000_NS6detail17trampoline_kernelINS0_14default_configENS1_27scan_by_key_config_selectorIj11FixedVectorIiLj8EEEEZZNS1_16scan_by_key_implILNS1_25lookback_scan_determinismE0ELb1ES3_N6thrust23THRUST_200600_302600_NS6detail15normal_iteratorINSB_10device_ptrIjEEEENSD_INSE_IS6_EEEESI_S6_NSB_4plusIvEENSB_8equal_toIvEES6_EE10hipError_tPvRmT2_T3_T4_T5_mT6_T7_P12ihipStream_tbENKUlT_T0_E_clISt17integral_constantIbLb1EES12_IbLb0EEEEDaSY_SZ_EUlSY_E_NS1_11comp_targetILNS1_3genE2ELNS1_11target_archE906ELNS1_3gpuE6ELNS1_3repE0EEENS1_30default_config_static_selectorELNS0_4arch9wavefront6targetE0EEEvT1_.uses_vcc, 0
	.set _ZN7rocprim17ROCPRIM_400000_NS6detail17trampoline_kernelINS0_14default_configENS1_27scan_by_key_config_selectorIj11FixedVectorIiLj8EEEEZZNS1_16scan_by_key_implILNS1_25lookback_scan_determinismE0ELb1ES3_N6thrust23THRUST_200600_302600_NS6detail15normal_iteratorINSB_10device_ptrIjEEEENSD_INSE_IS6_EEEESI_S6_NSB_4plusIvEENSB_8equal_toIvEES6_EE10hipError_tPvRmT2_T3_T4_T5_mT6_T7_P12ihipStream_tbENKUlT_T0_E_clISt17integral_constantIbLb1EES12_IbLb0EEEEDaSY_SZ_EUlSY_E_NS1_11comp_targetILNS1_3genE2ELNS1_11target_archE906ELNS1_3gpuE6ELNS1_3repE0EEENS1_30default_config_static_selectorELNS0_4arch9wavefront6targetE0EEEvT1_.uses_flat_scratch, 0
	.set _ZN7rocprim17ROCPRIM_400000_NS6detail17trampoline_kernelINS0_14default_configENS1_27scan_by_key_config_selectorIj11FixedVectorIiLj8EEEEZZNS1_16scan_by_key_implILNS1_25lookback_scan_determinismE0ELb1ES3_N6thrust23THRUST_200600_302600_NS6detail15normal_iteratorINSB_10device_ptrIjEEEENSD_INSE_IS6_EEEESI_S6_NSB_4plusIvEENSB_8equal_toIvEES6_EE10hipError_tPvRmT2_T3_T4_T5_mT6_T7_P12ihipStream_tbENKUlT_T0_E_clISt17integral_constantIbLb1EES12_IbLb0EEEEDaSY_SZ_EUlSY_E_NS1_11comp_targetILNS1_3genE2ELNS1_11target_archE906ELNS1_3gpuE6ELNS1_3repE0EEENS1_30default_config_static_selectorELNS0_4arch9wavefront6targetE0EEEvT1_.has_dyn_sized_stack, 0
	.set _ZN7rocprim17ROCPRIM_400000_NS6detail17trampoline_kernelINS0_14default_configENS1_27scan_by_key_config_selectorIj11FixedVectorIiLj8EEEEZZNS1_16scan_by_key_implILNS1_25lookback_scan_determinismE0ELb1ES3_N6thrust23THRUST_200600_302600_NS6detail15normal_iteratorINSB_10device_ptrIjEEEENSD_INSE_IS6_EEEESI_S6_NSB_4plusIvEENSB_8equal_toIvEES6_EE10hipError_tPvRmT2_T3_T4_T5_mT6_T7_P12ihipStream_tbENKUlT_T0_E_clISt17integral_constantIbLb1EES12_IbLb0EEEEDaSY_SZ_EUlSY_E_NS1_11comp_targetILNS1_3genE2ELNS1_11target_archE906ELNS1_3gpuE6ELNS1_3repE0EEENS1_30default_config_static_selectorELNS0_4arch9wavefront6targetE0EEEvT1_.has_recursion, 0
	.set _ZN7rocprim17ROCPRIM_400000_NS6detail17trampoline_kernelINS0_14default_configENS1_27scan_by_key_config_selectorIj11FixedVectorIiLj8EEEEZZNS1_16scan_by_key_implILNS1_25lookback_scan_determinismE0ELb1ES3_N6thrust23THRUST_200600_302600_NS6detail15normal_iteratorINSB_10device_ptrIjEEEENSD_INSE_IS6_EEEESI_S6_NSB_4plusIvEENSB_8equal_toIvEES6_EE10hipError_tPvRmT2_T3_T4_T5_mT6_T7_P12ihipStream_tbENKUlT_T0_E_clISt17integral_constantIbLb1EES12_IbLb0EEEEDaSY_SZ_EUlSY_E_NS1_11comp_targetILNS1_3genE2ELNS1_11target_archE906ELNS1_3gpuE6ELNS1_3repE0EEENS1_30default_config_static_selectorELNS0_4arch9wavefront6targetE0EEEvT1_.has_indirect_call, 0
	.section	.AMDGPU.csdata,"",@progbits
; Kernel info:
; codeLenInByte = 0
; TotalNumSgprs: 0
; NumVgprs: 0
; ScratchSize: 0
; MemoryBound: 0
; FloatMode: 240
; IeeeMode: 1
; LDSByteSize: 0 bytes/workgroup (compile time only)
; SGPRBlocks: 0
; VGPRBlocks: 0
; NumSGPRsForWavesPerEU: 1
; NumVGPRsForWavesPerEU: 1
; Occupancy: 16
; WaveLimiterHint : 0
; COMPUTE_PGM_RSRC2:SCRATCH_EN: 0
; COMPUTE_PGM_RSRC2:USER_SGPR: 6
; COMPUTE_PGM_RSRC2:TRAP_HANDLER: 0
; COMPUTE_PGM_RSRC2:TGID_X_EN: 1
; COMPUTE_PGM_RSRC2:TGID_Y_EN: 0
; COMPUTE_PGM_RSRC2:TGID_Z_EN: 0
; COMPUTE_PGM_RSRC2:TIDIG_COMP_CNT: 0
	.section	.text._ZN7rocprim17ROCPRIM_400000_NS6detail17trampoline_kernelINS0_14default_configENS1_27scan_by_key_config_selectorIj11FixedVectorIiLj8EEEEZZNS1_16scan_by_key_implILNS1_25lookback_scan_determinismE0ELb1ES3_N6thrust23THRUST_200600_302600_NS6detail15normal_iteratorINSB_10device_ptrIjEEEENSD_INSE_IS6_EEEESI_S6_NSB_4plusIvEENSB_8equal_toIvEES6_EE10hipError_tPvRmT2_T3_T4_T5_mT6_T7_P12ihipStream_tbENKUlT_T0_E_clISt17integral_constantIbLb1EES12_IbLb0EEEEDaSY_SZ_EUlSY_E_NS1_11comp_targetILNS1_3genE10ELNS1_11target_archE1200ELNS1_3gpuE4ELNS1_3repE0EEENS1_30default_config_static_selectorELNS0_4arch9wavefront6targetE0EEEvT1_,"axG",@progbits,_ZN7rocprim17ROCPRIM_400000_NS6detail17trampoline_kernelINS0_14default_configENS1_27scan_by_key_config_selectorIj11FixedVectorIiLj8EEEEZZNS1_16scan_by_key_implILNS1_25lookback_scan_determinismE0ELb1ES3_N6thrust23THRUST_200600_302600_NS6detail15normal_iteratorINSB_10device_ptrIjEEEENSD_INSE_IS6_EEEESI_S6_NSB_4plusIvEENSB_8equal_toIvEES6_EE10hipError_tPvRmT2_T3_T4_T5_mT6_T7_P12ihipStream_tbENKUlT_T0_E_clISt17integral_constantIbLb1EES12_IbLb0EEEEDaSY_SZ_EUlSY_E_NS1_11comp_targetILNS1_3genE10ELNS1_11target_archE1200ELNS1_3gpuE4ELNS1_3repE0EEENS1_30default_config_static_selectorELNS0_4arch9wavefront6targetE0EEEvT1_,comdat
	.protected	_ZN7rocprim17ROCPRIM_400000_NS6detail17trampoline_kernelINS0_14default_configENS1_27scan_by_key_config_selectorIj11FixedVectorIiLj8EEEEZZNS1_16scan_by_key_implILNS1_25lookback_scan_determinismE0ELb1ES3_N6thrust23THRUST_200600_302600_NS6detail15normal_iteratorINSB_10device_ptrIjEEEENSD_INSE_IS6_EEEESI_S6_NSB_4plusIvEENSB_8equal_toIvEES6_EE10hipError_tPvRmT2_T3_T4_T5_mT6_T7_P12ihipStream_tbENKUlT_T0_E_clISt17integral_constantIbLb1EES12_IbLb0EEEEDaSY_SZ_EUlSY_E_NS1_11comp_targetILNS1_3genE10ELNS1_11target_archE1200ELNS1_3gpuE4ELNS1_3repE0EEENS1_30default_config_static_selectorELNS0_4arch9wavefront6targetE0EEEvT1_ ; -- Begin function _ZN7rocprim17ROCPRIM_400000_NS6detail17trampoline_kernelINS0_14default_configENS1_27scan_by_key_config_selectorIj11FixedVectorIiLj8EEEEZZNS1_16scan_by_key_implILNS1_25lookback_scan_determinismE0ELb1ES3_N6thrust23THRUST_200600_302600_NS6detail15normal_iteratorINSB_10device_ptrIjEEEENSD_INSE_IS6_EEEESI_S6_NSB_4plusIvEENSB_8equal_toIvEES6_EE10hipError_tPvRmT2_T3_T4_T5_mT6_T7_P12ihipStream_tbENKUlT_T0_E_clISt17integral_constantIbLb1EES12_IbLb0EEEEDaSY_SZ_EUlSY_E_NS1_11comp_targetILNS1_3genE10ELNS1_11target_archE1200ELNS1_3gpuE4ELNS1_3repE0EEENS1_30default_config_static_selectorELNS0_4arch9wavefront6targetE0EEEvT1_
	.globl	_ZN7rocprim17ROCPRIM_400000_NS6detail17trampoline_kernelINS0_14default_configENS1_27scan_by_key_config_selectorIj11FixedVectorIiLj8EEEEZZNS1_16scan_by_key_implILNS1_25lookback_scan_determinismE0ELb1ES3_N6thrust23THRUST_200600_302600_NS6detail15normal_iteratorINSB_10device_ptrIjEEEENSD_INSE_IS6_EEEESI_S6_NSB_4plusIvEENSB_8equal_toIvEES6_EE10hipError_tPvRmT2_T3_T4_T5_mT6_T7_P12ihipStream_tbENKUlT_T0_E_clISt17integral_constantIbLb1EES12_IbLb0EEEEDaSY_SZ_EUlSY_E_NS1_11comp_targetILNS1_3genE10ELNS1_11target_archE1200ELNS1_3gpuE4ELNS1_3repE0EEENS1_30default_config_static_selectorELNS0_4arch9wavefront6targetE0EEEvT1_
	.p2align	8
	.type	_ZN7rocprim17ROCPRIM_400000_NS6detail17trampoline_kernelINS0_14default_configENS1_27scan_by_key_config_selectorIj11FixedVectorIiLj8EEEEZZNS1_16scan_by_key_implILNS1_25lookback_scan_determinismE0ELb1ES3_N6thrust23THRUST_200600_302600_NS6detail15normal_iteratorINSB_10device_ptrIjEEEENSD_INSE_IS6_EEEESI_S6_NSB_4plusIvEENSB_8equal_toIvEES6_EE10hipError_tPvRmT2_T3_T4_T5_mT6_T7_P12ihipStream_tbENKUlT_T0_E_clISt17integral_constantIbLb1EES12_IbLb0EEEEDaSY_SZ_EUlSY_E_NS1_11comp_targetILNS1_3genE10ELNS1_11target_archE1200ELNS1_3gpuE4ELNS1_3repE0EEENS1_30default_config_static_selectorELNS0_4arch9wavefront6targetE0EEEvT1_,@function
_ZN7rocprim17ROCPRIM_400000_NS6detail17trampoline_kernelINS0_14default_configENS1_27scan_by_key_config_selectorIj11FixedVectorIiLj8EEEEZZNS1_16scan_by_key_implILNS1_25lookback_scan_determinismE0ELb1ES3_N6thrust23THRUST_200600_302600_NS6detail15normal_iteratorINSB_10device_ptrIjEEEENSD_INSE_IS6_EEEESI_S6_NSB_4plusIvEENSB_8equal_toIvEES6_EE10hipError_tPvRmT2_T3_T4_T5_mT6_T7_P12ihipStream_tbENKUlT_T0_E_clISt17integral_constantIbLb1EES12_IbLb0EEEEDaSY_SZ_EUlSY_E_NS1_11comp_targetILNS1_3genE10ELNS1_11target_archE1200ELNS1_3gpuE4ELNS1_3repE0EEENS1_30default_config_static_selectorELNS0_4arch9wavefront6targetE0EEEvT1_: ; @_ZN7rocprim17ROCPRIM_400000_NS6detail17trampoline_kernelINS0_14default_configENS1_27scan_by_key_config_selectorIj11FixedVectorIiLj8EEEEZZNS1_16scan_by_key_implILNS1_25lookback_scan_determinismE0ELb1ES3_N6thrust23THRUST_200600_302600_NS6detail15normal_iteratorINSB_10device_ptrIjEEEENSD_INSE_IS6_EEEESI_S6_NSB_4plusIvEENSB_8equal_toIvEES6_EE10hipError_tPvRmT2_T3_T4_T5_mT6_T7_P12ihipStream_tbENKUlT_T0_E_clISt17integral_constantIbLb1EES12_IbLb0EEEEDaSY_SZ_EUlSY_E_NS1_11comp_targetILNS1_3genE10ELNS1_11target_archE1200ELNS1_3gpuE4ELNS1_3repE0EEENS1_30default_config_static_selectorELNS0_4arch9wavefront6targetE0EEEvT1_
; %bb.0:
	.section	.rodata,"a",@progbits
	.p2align	6, 0x0
	.amdhsa_kernel _ZN7rocprim17ROCPRIM_400000_NS6detail17trampoline_kernelINS0_14default_configENS1_27scan_by_key_config_selectorIj11FixedVectorIiLj8EEEEZZNS1_16scan_by_key_implILNS1_25lookback_scan_determinismE0ELb1ES3_N6thrust23THRUST_200600_302600_NS6detail15normal_iteratorINSB_10device_ptrIjEEEENSD_INSE_IS6_EEEESI_S6_NSB_4plusIvEENSB_8equal_toIvEES6_EE10hipError_tPvRmT2_T3_T4_T5_mT6_T7_P12ihipStream_tbENKUlT_T0_E_clISt17integral_constantIbLb1EES12_IbLb0EEEEDaSY_SZ_EUlSY_E_NS1_11comp_targetILNS1_3genE10ELNS1_11target_archE1200ELNS1_3gpuE4ELNS1_3repE0EEENS1_30default_config_static_selectorELNS0_4arch9wavefront6targetE0EEEvT1_
		.amdhsa_group_segment_fixed_size 0
		.amdhsa_private_segment_fixed_size 0
		.amdhsa_kernarg_size 160
		.amdhsa_user_sgpr_count 6
		.amdhsa_user_sgpr_private_segment_buffer 1
		.amdhsa_user_sgpr_dispatch_ptr 0
		.amdhsa_user_sgpr_queue_ptr 0
		.amdhsa_user_sgpr_kernarg_segment_ptr 1
		.amdhsa_user_sgpr_dispatch_id 0
		.amdhsa_user_sgpr_flat_scratch_init 0
		.amdhsa_user_sgpr_private_segment_size 0
		.amdhsa_wavefront_size32 1
		.amdhsa_uses_dynamic_stack 0
		.amdhsa_system_sgpr_private_segment_wavefront_offset 0
		.amdhsa_system_sgpr_workgroup_id_x 1
		.amdhsa_system_sgpr_workgroup_id_y 0
		.amdhsa_system_sgpr_workgroup_id_z 0
		.amdhsa_system_sgpr_workgroup_info 0
		.amdhsa_system_vgpr_workitem_id 0
		.amdhsa_next_free_vgpr 1
		.amdhsa_next_free_sgpr 1
		.amdhsa_reserve_vcc 0
		.amdhsa_reserve_flat_scratch 0
		.amdhsa_float_round_mode_32 0
		.amdhsa_float_round_mode_16_64 0
		.amdhsa_float_denorm_mode_32 3
		.amdhsa_float_denorm_mode_16_64 3
		.amdhsa_dx10_clamp 1
		.amdhsa_ieee_mode 1
		.amdhsa_fp16_overflow 0
		.amdhsa_workgroup_processor_mode 1
		.amdhsa_memory_ordered 1
		.amdhsa_forward_progress 1
		.amdhsa_shared_vgpr_count 0
		.amdhsa_exception_fp_ieee_invalid_op 0
		.amdhsa_exception_fp_denorm_src 0
		.amdhsa_exception_fp_ieee_div_zero 0
		.amdhsa_exception_fp_ieee_overflow 0
		.amdhsa_exception_fp_ieee_underflow 0
		.amdhsa_exception_fp_ieee_inexact 0
		.amdhsa_exception_int_div_zero 0
	.end_amdhsa_kernel
	.section	.text._ZN7rocprim17ROCPRIM_400000_NS6detail17trampoline_kernelINS0_14default_configENS1_27scan_by_key_config_selectorIj11FixedVectorIiLj8EEEEZZNS1_16scan_by_key_implILNS1_25lookback_scan_determinismE0ELb1ES3_N6thrust23THRUST_200600_302600_NS6detail15normal_iteratorINSB_10device_ptrIjEEEENSD_INSE_IS6_EEEESI_S6_NSB_4plusIvEENSB_8equal_toIvEES6_EE10hipError_tPvRmT2_T3_T4_T5_mT6_T7_P12ihipStream_tbENKUlT_T0_E_clISt17integral_constantIbLb1EES12_IbLb0EEEEDaSY_SZ_EUlSY_E_NS1_11comp_targetILNS1_3genE10ELNS1_11target_archE1200ELNS1_3gpuE4ELNS1_3repE0EEENS1_30default_config_static_selectorELNS0_4arch9wavefront6targetE0EEEvT1_,"axG",@progbits,_ZN7rocprim17ROCPRIM_400000_NS6detail17trampoline_kernelINS0_14default_configENS1_27scan_by_key_config_selectorIj11FixedVectorIiLj8EEEEZZNS1_16scan_by_key_implILNS1_25lookback_scan_determinismE0ELb1ES3_N6thrust23THRUST_200600_302600_NS6detail15normal_iteratorINSB_10device_ptrIjEEEENSD_INSE_IS6_EEEESI_S6_NSB_4plusIvEENSB_8equal_toIvEES6_EE10hipError_tPvRmT2_T3_T4_T5_mT6_T7_P12ihipStream_tbENKUlT_T0_E_clISt17integral_constantIbLb1EES12_IbLb0EEEEDaSY_SZ_EUlSY_E_NS1_11comp_targetILNS1_3genE10ELNS1_11target_archE1200ELNS1_3gpuE4ELNS1_3repE0EEENS1_30default_config_static_selectorELNS0_4arch9wavefront6targetE0EEEvT1_,comdat
.Lfunc_end2181:
	.size	_ZN7rocprim17ROCPRIM_400000_NS6detail17trampoline_kernelINS0_14default_configENS1_27scan_by_key_config_selectorIj11FixedVectorIiLj8EEEEZZNS1_16scan_by_key_implILNS1_25lookback_scan_determinismE0ELb1ES3_N6thrust23THRUST_200600_302600_NS6detail15normal_iteratorINSB_10device_ptrIjEEEENSD_INSE_IS6_EEEESI_S6_NSB_4plusIvEENSB_8equal_toIvEES6_EE10hipError_tPvRmT2_T3_T4_T5_mT6_T7_P12ihipStream_tbENKUlT_T0_E_clISt17integral_constantIbLb1EES12_IbLb0EEEEDaSY_SZ_EUlSY_E_NS1_11comp_targetILNS1_3genE10ELNS1_11target_archE1200ELNS1_3gpuE4ELNS1_3repE0EEENS1_30default_config_static_selectorELNS0_4arch9wavefront6targetE0EEEvT1_, .Lfunc_end2181-_ZN7rocprim17ROCPRIM_400000_NS6detail17trampoline_kernelINS0_14default_configENS1_27scan_by_key_config_selectorIj11FixedVectorIiLj8EEEEZZNS1_16scan_by_key_implILNS1_25lookback_scan_determinismE0ELb1ES3_N6thrust23THRUST_200600_302600_NS6detail15normal_iteratorINSB_10device_ptrIjEEEENSD_INSE_IS6_EEEESI_S6_NSB_4plusIvEENSB_8equal_toIvEES6_EE10hipError_tPvRmT2_T3_T4_T5_mT6_T7_P12ihipStream_tbENKUlT_T0_E_clISt17integral_constantIbLb1EES12_IbLb0EEEEDaSY_SZ_EUlSY_E_NS1_11comp_targetILNS1_3genE10ELNS1_11target_archE1200ELNS1_3gpuE4ELNS1_3repE0EEENS1_30default_config_static_selectorELNS0_4arch9wavefront6targetE0EEEvT1_
                                        ; -- End function
	.set _ZN7rocprim17ROCPRIM_400000_NS6detail17trampoline_kernelINS0_14default_configENS1_27scan_by_key_config_selectorIj11FixedVectorIiLj8EEEEZZNS1_16scan_by_key_implILNS1_25lookback_scan_determinismE0ELb1ES3_N6thrust23THRUST_200600_302600_NS6detail15normal_iteratorINSB_10device_ptrIjEEEENSD_INSE_IS6_EEEESI_S6_NSB_4plusIvEENSB_8equal_toIvEES6_EE10hipError_tPvRmT2_T3_T4_T5_mT6_T7_P12ihipStream_tbENKUlT_T0_E_clISt17integral_constantIbLb1EES12_IbLb0EEEEDaSY_SZ_EUlSY_E_NS1_11comp_targetILNS1_3genE10ELNS1_11target_archE1200ELNS1_3gpuE4ELNS1_3repE0EEENS1_30default_config_static_selectorELNS0_4arch9wavefront6targetE0EEEvT1_.num_vgpr, 0
	.set _ZN7rocprim17ROCPRIM_400000_NS6detail17trampoline_kernelINS0_14default_configENS1_27scan_by_key_config_selectorIj11FixedVectorIiLj8EEEEZZNS1_16scan_by_key_implILNS1_25lookback_scan_determinismE0ELb1ES3_N6thrust23THRUST_200600_302600_NS6detail15normal_iteratorINSB_10device_ptrIjEEEENSD_INSE_IS6_EEEESI_S6_NSB_4plusIvEENSB_8equal_toIvEES6_EE10hipError_tPvRmT2_T3_T4_T5_mT6_T7_P12ihipStream_tbENKUlT_T0_E_clISt17integral_constantIbLb1EES12_IbLb0EEEEDaSY_SZ_EUlSY_E_NS1_11comp_targetILNS1_3genE10ELNS1_11target_archE1200ELNS1_3gpuE4ELNS1_3repE0EEENS1_30default_config_static_selectorELNS0_4arch9wavefront6targetE0EEEvT1_.num_agpr, 0
	.set _ZN7rocprim17ROCPRIM_400000_NS6detail17trampoline_kernelINS0_14default_configENS1_27scan_by_key_config_selectorIj11FixedVectorIiLj8EEEEZZNS1_16scan_by_key_implILNS1_25lookback_scan_determinismE0ELb1ES3_N6thrust23THRUST_200600_302600_NS6detail15normal_iteratorINSB_10device_ptrIjEEEENSD_INSE_IS6_EEEESI_S6_NSB_4plusIvEENSB_8equal_toIvEES6_EE10hipError_tPvRmT2_T3_T4_T5_mT6_T7_P12ihipStream_tbENKUlT_T0_E_clISt17integral_constantIbLb1EES12_IbLb0EEEEDaSY_SZ_EUlSY_E_NS1_11comp_targetILNS1_3genE10ELNS1_11target_archE1200ELNS1_3gpuE4ELNS1_3repE0EEENS1_30default_config_static_selectorELNS0_4arch9wavefront6targetE0EEEvT1_.numbered_sgpr, 0
	.set _ZN7rocprim17ROCPRIM_400000_NS6detail17trampoline_kernelINS0_14default_configENS1_27scan_by_key_config_selectorIj11FixedVectorIiLj8EEEEZZNS1_16scan_by_key_implILNS1_25lookback_scan_determinismE0ELb1ES3_N6thrust23THRUST_200600_302600_NS6detail15normal_iteratorINSB_10device_ptrIjEEEENSD_INSE_IS6_EEEESI_S6_NSB_4plusIvEENSB_8equal_toIvEES6_EE10hipError_tPvRmT2_T3_T4_T5_mT6_T7_P12ihipStream_tbENKUlT_T0_E_clISt17integral_constantIbLb1EES12_IbLb0EEEEDaSY_SZ_EUlSY_E_NS1_11comp_targetILNS1_3genE10ELNS1_11target_archE1200ELNS1_3gpuE4ELNS1_3repE0EEENS1_30default_config_static_selectorELNS0_4arch9wavefront6targetE0EEEvT1_.num_named_barrier, 0
	.set _ZN7rocprim17ROCPRIM_400000_NS6detail17trampoline_kernelINS0_14default_configENS1_27scan_by_key_config_selectorIj11FixedVectorIiLj8EEEEZZNS1_16scan_by_key_implILNS1_25lookback_scan_determinismE0ELb1ES3_N6thrust23THRUST_200600_302600_NS6detail15normal_iteratorINSB_10device_ptrIjEEEENSD_INSE_IS6_EEEESI_S6_NSB_4plusIvEENSB_8equal_toIvEES6_EE10hipError_tPvRmT2_T3_T4_T5_mT6_T7_P12ihipStream_tbENKUlT_T0_E_clISt17integral_constantIbLb1EES12_IbLb0EEEEDaSY_SZ_EUlSY_E_NS1_11comp_targetILNS1_3genE10ELNS1_11target_archE1200ELNS1_3gpuE4ELNS1_3repE0EEENS1_30default_config_static_selectorELNS0_4arch9wavefront6targetE0EEEvT1_.private_seg_size, 0
	.set _ZN7rocprim17ROCPRIM_400000_NS6detail17trampoline_kernelINS0_14default_configENS1_27scan_by_key_config_selectorIj11FixedVectorIiLj8EEEEZZNS1_16scan_by_key_implILNS1_25lookback_scan_determinismE0ELb1ES3_N6thrust23THRUST_200600_302600_NS6detail15normal_iteratorINSB_10device_ptrIjEEEENSD_INSE_IS6_EEEESI_S6_NSB_4plusIvEENSB_8equal_toIvEES6_EE10hipError_tPvRmT2_T3_T4_T5_mT6_T7_P12ihipStream_tbENKUlT_T0_E_clISt17integral_constantIbLb1EES12_IbLb0EEEEDaSY_SZ_EUlSY_E_NS1_11comp_targetILNS1_3genE10ELNS1_11target_archE1200ELNS1_3gpuE4ELNS1_3repE0EEENS1_30default_config_static_selectorELNS0_4arch9wavefront6targetE0EEEvT1_.uses_vcc, 0
	.set _ZN7rocprim17ROCPRIM_400000_NS6detail17trampoline_kernelINS0_14default_configENS1_27scan_by_key_config_selectorIj11FixedVectorIiLj8EEEEZZNS1_16scan_by_key_implILNS1_25lookback_scan_determinismE0ELb1ES3_N6thrust23THRUST_200600_302600_NS6detail15normal_iteratorINSB_10device_ptrIjEEEENSD_INSE_IS6_EEEESI_S6_NSB_4plusIvEENSB_8equal_toIvEES6_EE10hipError_tPvRmT2_T3_T4_T5_mT6_T7_P12ihipStream_tbENKUlT_T0_E_clISt17integral_constantIbLb1EES12_IbLb0EEEEDaSY_SZ_EUlSY_E_NS1_11comp_targetILNS1_3genE10ELNS1_11target_archE1200ELNS1_3gpuE4ELNS1_3repE0EEENS1_30default_config_static_selectorELNS0_4arch9wavefront6targetE0EEEvT1_.uses_flat_scratch, 0
	.set _ZN7rocprim17ROCPRIM_400000_NS6detail17trampoline_kernelINS0_14default_configENS1_27scan_by_key_config_selectorIj11FixedVectorIiLj8EEEEZZNS1_16scan_by_key_implILNS1_25lookback_scan_determinismE0ELb1ES3_N6thrust23THRUST_200600_302600_NS6detail15normal_iteratorINSB_10device_ptrIjEEEENSD_INSE_IS6_EEEESI_S6_NSB_4plusIvEENSB_8equal_toIvEES6_EE10hipError_tPvRmT2_T3_T4_T5_mT6_T7_P12ihipStream_tbENKUlT_T0_E_clISt17integral_constantIbLb1EES12_IbLb0EEEEDaSY_SZ_EUlSY_E_NS1_11comp_targetILNS1_3genE10ELNS1_11target_archE1200ELNS1_3gpuE4ELNS1_3repE0EEENS1_30default_config_static_selectorELNS0_4arch9wavefront6targetE0EEEvT1_.has_dyn_sized_stack, 0
	.set _ZN7rocprim17ROCPRIM_400000_NS6detail17trampoline_kernelINS0_14default_configENS1_27scan_by_key_config_selectorIj11FixedVectorIiLj8EEEEZZNS1_16scan_by_key_implILNS1_25lookback_scan_determinismE0ELb1ES3_N6thrust23THRUST_200600_302600_NS6detail15normal_iteratorINSB_10device_ptrIjEEEENSD_INSE_IS6_EEEESI_S6_NSB_4plusIvEENSB_8equal_toIvEES6_EE10hipError_tPvRmT2_T3_T4_T5_mT6_T7_P12ihipStream_tbENKUlT_T0_E_clISt17integral_constantIbLb1EES12_IbLb0EEEEDaSY_SZ_EUlSY_E_NS1_11comp_targetILNS1_3genE10ELNS1_11target_archE1200ELNS1_3gpuE4ELNS1_3repE0EEENS1_30default_config_static_selectorELNS0_4arch9wavefront6targetE0EEEvT1_.has_recursion, 0
	.set _ZN7rocprim17ROCPRIM_400000_NS6detail17trampoline_kernelINS0_14default_configENS1_27scan_by_key_config_selectorIj11FixedVectorIiLj8EEEEZZNS1_16scan_by_key_implILNS1_25lookback_scan_determinismE0ELb1ES3_N6thrust23THRUST_200600_302600_NS6detail15normal_iteratorINSB_10device_ptrIjEEEENSD_INSE_IS6_EEEESI_S6_NSB_4plusIvEENSB_8equal_toIvEES6_EE10hipError_tPvRmT2_T3_T4_T5_mT6_T7_P12ihipStream_tbENKUlT_T0_E_clISt17integral_constantIbLb1EES12_IbLb0EEEEDaSY_SZ_EUlSY_E_NS1_11comp_targetILNS1_3genE10ELNS1_11target_archE1200ELNS1_3gpuE4ELNS1_3repE0EEENS1_30default_config_static_selectorELNS0_4arch9wavefront6targetE0EEEvT1_.has_indirect_call, 0
	.section	.AMDGPU.csdata,"",@progbits
; Kernel info:
; codeLenInByte = 0
; TotalNumSgprs: 0
; NumVgprs: 0
; ScratchSize: 0
; MemoryBound: 0
; FloatMode: 240
; IeeeMode: 1
; LDSByteSize: 0 bytes/workgroup (compile time only)
; SGPRBlocks: 0
; VGPRBlocks: 0
; NumSGPRsForWavesPerEU: 1
; NumVGPRsForWavesPerEU: 1
; Occupancy: 16
; WaveLimiterHint : 0
; COMPUTE_PGM_RSRC2:SCRATCH_EN: 0
; COMPUTE_PGM_RSRC2:USER_SGPR: 6
; COMPUTE_PGM_RSRC2:TRAP_HANDLER: 0
; COMPUTE_PGM_RSRC2:TGID_X_EN: 1
; COMPUTE_PGM_RSRC2:TGID_Y_EN: 0
; COMPUTE_PGM_RSRC2:TGID_Z_EN: 0
; COMPUTE_PGM_RSRC2:TIDIG_COMP_CNT: 0
	.section	.text._ZN7rocprim17ROCPRIM_400000_NS6detail17trampoline_kernelINS0_14default_configENS1_27scan_by_key_config_selectorIj11FixedVectorIiLj8EEEEZZNS1_16scan_by_key_implILNS1_25lookback_scan_determinismE0ELb1ES3_N6thrust23THRUST_200600_302600_NS6detail15normal_iteratorINSB_10device_ptrIjEEEENSD_INSE_IS6_EEEESI_S6_NSB_4plusIvEENSB_8equal_toIvEES6_EE10hipError_tPvRmT2_T3_T4_T5_mT6_T7_P12ihipStream_tbENKUlT_T0_E_clISt17integral_constantIbLb1EES12_IbLb0EEEEDaSY_SZ_EUlSY_E_NS1_11comp_targetILNS1_3genE9ELNS1_11target_archE1100ELNS1_3gpuE3ELNS1_3repE0EEENS1_30default_config_static_selectorELNS0_4arch9wavefront6targetE0EEEvT1_,"axG",@progbits,_ZN7rocprim17ROCPRIM_400000_NS6detail17trampoline_kernelINS0_14default_configENS1_27scan_by_key_config_selectorIj11FixedVectorIiLj8EEEEZZNS1_16scan_by_key_implILNS1_25lookback_scan_determinismE0ELb1ES3_N6thrust23THRUST_200600_302600_NS6detail15normal_iteratorINSB_10device_ptrIjEEEENSD_INSE_IS6_EEEESI_S6_NSB_4plusIvEENSB_8equal_toIvEES6_EE10hipError_tPvRmT2_T3_T4_T5_mT6_T7_P12ihipStream_tbENKUlT_T0_E_clISt17integral_constantIbLb1EES12_IbLb0EEEEDaSY_SZ_EUlSY_E_NS1_11comp_targetILNS1_3genE9ELNS1_11target_archE1100ELNS1_3gpuE3ELNS1_3repE0EEENS1_30default_config_static_selectorELNS0_4arch9wavefront6targetE0EEEvT1_,comdat
	.protected	_ZN7rocprim17ROCPRIM_400000_NS6detail17trampoline_kernelINS0_14default_configENS1_27scan_by_key_config_selectorIj11FixedVectorIiLj8EEEEZZNS1_16scan_by_key_implILNS1_25lookback_scan_determinismE0ELb1ES3_N6thrust23THRUST_200600_302600_NS6detail15normal_iteratorINSB_10device_ptrIjEEEENSD_INSE_IS6_EEEESI_S6_NSB_4plusIvEENSB_8equal_toIvEES6_EE10hipError_tPvRmT2_T3_T4_T5_mT6_T7_P12ihipStream_tbENKUlT_T0_E_clISt17integral_constantIbLb1EES12_IbLb0EEEEDaSY_SZ_EUlSY_E_NS1_11comp_targetILNS1_3genE9ELNS1_11target_archE1100ELNS1_3gpuE3ELNS1_3repE0EEENS1_30default_config_static_selectorELNS0_4arch9wavefront6targetE0EEEvT1_ ; -- Begin function _ZN7rocprim17ROCPRIM_400000_NS6detail17trampoline_kernelINS0_14default_configENS1_27scan_by_key_config_selectorIj11FixedVectorIiLj8EEEEZZNS1_16scan_by_key_implILNS1_25lookback_scan_determinismE0ELb1ES3_N6thrust23THRUST_200600_302600_NS6detail15normal_iteratorINSB_10device_ptrIjEEEENSD_INSE_IS6_EEEESI_S6_NSB_4plusIvEENSB_8equal_toIvEES6_EE10hipError_tPvRmT2_T3_T4_T5_mT6_T7_P12ihipStream_tbENKUlT_T0_E_clISt17integral_constantIbLb1EES12_IbLb0EEEEDaSY_SZ_EUlSY_E_NS1_11comp_targetILNS1_3genE9ELNS1_11target_archE1100ELNS1_3gpuE3ELNS1_3repE0EEENS1_30default_config_static_selectorELNS0_4arch9wavefront6targetE0EEEvT1_
	.globl	_ZN7rocprim17ROCPRIM_400000_NS6detail17trampoline_kernelINS0_14default_configENS1_27scan_by_key_config_selectorIj11FixedVectorIiLj8EEEEZZNS1_16scan_by_key_implILNS1_25lookback_scan_determinismE0ELb1ES3_N6thrust23THRUST_200600_302600_NS6detail15normal_iteratorINSB_10device_ptrIjEEEENSD_INSE_IS6_EEEESI_S6_NSB_4plusIvEENSB_8equal_toIvEES6_EE10hipError_tPvRmT2_T3_T4_T5_mT6_T7_P12ihipStream_tbENKUlT_T0_E_clISt17integral_constantIbLb1EES12_IbLb0EEEEDaSY_SZ_EUlSY_E_NS1_11comp_targetILNS1_3genE9ELNS1_11target_archE1100ELNS1_3gpuE3ELNS1_3repE0EEENS1_30default_config_static_selectorELNS0_4arch9wavefront6targetE0EEEvT1_
	.p2align	8
	.type	_ZN7rocprim17ROCPRIM_400000_NS6detail17trampoline_kernelINS0_14default_configENS1_27scan_by_key_config_selectorIj11FixedVectorIiLj8EEEEZZNS1_16scan_by_key_implILNS1_25lookback_scan_determinismE0ELb1ES3_N6thrust23THRUST_200600_302600_NS6detail15normal_iteratorINSB_10device_ptrIjEEEENSD_INSE_IS6_EEEESI_S6_NSB_4plusIvEENSB_8equal_toIvEES6_EE10hipError_tPvRmT2_T3_T4_T5_mT6_T7_P12ihipStream_tbENKUlT_T0_E_clISt17integral_constantIbLb1EES12_IbLb0EEEEDaSY_SZ_EUlSY_E_NS1_11comp_targetILNS1_3genE9ELNS1_11target_archE1100ELNS1_3gpuE3ELNS1_3repE0EEENS1_30default_config_static_selectorELNS0_4arch9wavefront6targetE0EEEvT1_,@function
_ZN7rocprim17ROCPRIM_400000_NS6detail17trampoline_kernelINS0_14default_configENS1_27scan_by_key_config_selectorIj11FixedVectorIiLj8EEEEZZNS1_16scan_by_key_implILNS1_25lookback_scan_determinismE0ELb1ES3_N6thrust23THRUST_200600_302600_NS6detail15normal_iteratorINSB_10device_ptrIjEEEENSD_INSE_IS6_EEEESI_S6_NSB_4plusIvEENSB_8equal_toIvEES6_EE10hipError_tPvRmT2_T3_T4_T5_mT6_T7_P12ihipStream_tbENKUlT_T0_E_clISt17integral_constantIbLb1EES12_IbLb0EEEEDaSY_SZ_EUlSY_E_NS1_11comp_targetILNS1_3genE9ELNS1_11target_archE1100ELNS1_3gpuE3ELNS1_3repE0EEENS1_30default_config_static_selectorELNS0_4arch9wavefront6targetE0EEEvT1_: ; @_ZN7rocprim17ROCPRIM_400000_NS6detail17trampoline_kernelINS0_14default_configENS1_27scan_by_key_config_selectorIj11FixedVectorIiLj8EEEEZZNS1_16scan_by_key_implILNS1_25lookback_scan_determinismE0ELb1ES3_N6thrust23THRUST_200600_302600_NS6detail15normal_iteratorINSB_10device_ptrIjEEEENSD_INSE_IS6_EEEESI_S6_NSB_4plusIvEENSB_8equal_toIvEES6_EE10hipError_tPvRmT2_T3_T4_T5_mT6_T7_P12ihipStream_tbENKUlT_T0_E_clISt17integral_constantIbLb1EES12_IbLb0EEEEDaSY_SZ_EUlSY_E_NS1_11comp_targetILNS1_3genE9ELNS1_11target_archE1100ELNS1_3gpuE3ELNS1_3repE0EEENS1_30default_config_static_selectorELNS0_4arch9wavefront6targetE0EEEvT1_
; %bb.0:
	.section	.rodata,"a",@progbits
	.p2align	6, 0x0
	.amdhsa_kernel _ZN7rocprim17ROCPRIM_400000_NS6detail17trampoline_kernelINS0_14default_configENS1_27scan_by_key_config_selectorIj11FixedVectorIiLj8EEEEZZNS1_16scan_by_key_implILNS1_25lookback_scan_determinismE0ELb1ES3_N6thrust23THRUST_200600_302600_NS6detail15normal_iteratorINSB_10device_ptrIjEEEENSD_INSE_IS6_EEEESI_S6_NSB_4plusIvEENSB_8equal_toIvEES6_EE10hipError_tPvRmT2_T3_T4_T5_mT6_T7_P12ihipStream_tbENKUlT_T0_E_clISt17integral_constantIbLb1EES12_IbLb0EEEEDaSY_SZ_EUlSY_E_NS1_11comp_targetILNS1_3genE9ELNS1_11target_archE1100ELNS1_3gpuE3ELNS1_3repE0EEENS1_30default_config_static_selectorELNS0_4arch9wavefront6targetE0EEEvT1_
		.amdhsa_group_segment_fixed_size 0
		.amdhsa_private_segment_fixed_size 0
		.amdhsa_kernarg_size 160
		.amdhsa_user_sgpr_count 6
		.amdhsa_user_sgpr_private_segment_buffer 1
		.amdhsa_user_sgpr_dispatch_ptr 0
		.amdhsa_user_sgpr_queue_ptr 0
		.amdhsa_user_sgpr_kernarg_segment_ptr 1
		.amdhsa_user_sgpr_dispatch_id 0
		.amdhsa_user_sgpr_flat_scratch_init 0
		.amdhsa_user_sgpr_private_segment_size 0
		.amdhsa_wavefront_size32 1
		.amdhsa_uses_dynamic_stack 0
		.amdhsa_system_sgpr_private_segment_wavefront_offset 0
		.amdhsa_system_sgpr_workgroup_id_x 1
		.amdhsa_system_sgpr_workgroup_id_y 0
		.amdhsa_system_sgpr_workgroup_id_z 0
		.amdhsa_system_sgpr_workgroup_info 0
		.amdhsa_system_vgpr_workitem_id 0
		.amdhsa_next_free_vgpr 1
		.amdhsa_next_free_sgpr 1
		.amdhsa_reserve_vcc 0
		.amdhsa_reserve_flat_scratch 0
		.amdhsa_float_round_mode_32 0
		.amdhsa_float_round_mode_16_64 0
		.amdhsa_float_denorm_mode_32 3
		.amdhsa_float_denorm_mode_16_64 3
		.amdhsa_dx10_clamp 1
		.amdhsa_ieee_mode 1
		.amdhsa_fp16_overflow 0
		.amdhsa_workgroup_processor_mode 1
		.amdhsa_memory_ordered 1
		.amdhsa_forward_progress 1
		.amdhsa_shared_vgpr_count 0
		.amdhsa_exception_fp_ieee_invalid_op 0
		.amdhsa_exception_fp_denorm_src 0
		.amdhsa_exception_fp_ieee_div_zero 0
		.amdhsa_exception_fp_ieee_overflow 0
		.amdhsa_exception_fp_ieee_underflow 0
		.amdhsa_exception_fp_ieee_inexact 0
		.amdhsa_exception_int_div_zero 0
	.end_amdhsa_kernel
	.section	.text._ZN7rocprim17ROCPRIM_400000_NS6detail17trampoline_kernelINS0_14default_configENS1_27scan_by_key_config_selectorIj11FixedVectorIiLj8EEEEZZNS1_16scan_by_key_implILNS1_25lookback_scan_determinismE0ELb1ES3_N6thrust23THRUST_200600_302600_NS6detail15normal_iteratorINSB_10device_ptrIjEEEENSD_INSE_IS6_EEEESI_S6_NSB_4plusIvEENSB_8equal_toIvEES6_EE10hipError_tPvRmT2_T3_T4_T5_mT6_T7_P12ihipStream_tbENKUlT_T0_E_clISt17integral_constantIbLb1EES12_IbLb0EEEEDaSY_SZ_EUlSY_E_NS1_11comp_targetILNS1_3genE9ELNS1_11target_archE1100ELNS1_3gpuE3ELNS1_3repE0EEENS1_30default_config_static_selectorELNS0_4arch9wavefront6targetE0EEEvT1_,"axG",@progbits,_ZN7rocprim17ROCPRIM_400000_NS6detail17trampoline_kernelINS0_14default_configENS1_27scan_by_key_config_selectorIj11FixedVectorIiLj8EEEEZZNS1_16scan_by_key_implILNS1_25lookback_scan_determinismE0ELb1ES3_N6thrust23THRUST_200600_302600_NS6detail15normal_iteratorINSB_10device_ptrIjEEEENSD_INSE_IS6_EEEESI_S6_NSB_4plusIvEENSB_8equal_toIvEES6_EE10hipError_tPvRmT2_T3_T4_T5_mT6_T7_P12ihipStream_tbENKUlT_T0_E_clISt17integral_constantIbLb1EES12_IbLb0EEEEDaSY_SZ_EUlSY_E_NS1_11comp_targetILNS1_3genE9ELNS1_11target_archE1100ELNS1_3gpuE3ELNS1_3repE0EEENS1_30default_config_static_selectorELNS0_4arch9wavefront6targetE0EEEvT1_,comdat
.Lfunc_end2182:
	.size	_ZN7rocprim17ROCPRIM_400000_NS6detail17trampoline_kernelINS0_14default_configENS1_27scan_by_key_config_selectorIj11FixedVectorIiLj8EEEEZZNS1_16scan_by_key_implILNS1_25lookback_scan_determinismE0ELb1ES3_N6thrust23THRUST_200600_302600_NS6detail15normal_iteratorINSB_10device_ptrIjEEEENSD_INSE_IS6_EEEESI_S6_NSB_4plusIvEENSB_8equal_toIvEES6_EE10hipError_tPvRmT2_T3_T4_T5_mT6_T7_P12ihipStream_tbENKUlT_T0_E_clISt17integral_constantIbLb1EES12_IbLb0EEEEDaSY_SZ_EUlSY_E_NS1_11comp_targetILNS1_3genE9ELNS1_11target_archE1100ELNS1_3gpuE3ELNS1_3repE0EEENS1_30default_config_static_selectorELNS0_4arch9wavefront6targetE0EEEvT1_, .Lfunc_end2182-_ZN7rocprim17ROCPRIM_400000_NS6detail17trampoline_kernelINS0_14default_configENS1_27scan_by_key_config_selectorIj11FixedVectorIiLj8EEEEZZNS1_16scan_by_key_implILNS1_25lookback_scan_determinismE0ELb1ES3_N6thrust23THRUST_200600_302600_NS6detail15normal_iteratorINSB_10device_ptrIjEEEENSD_INSE_IS6_EEEESI_S6_NSB_4plusIvEENSB_8equal_toIvEES6_EE10hipError_tPvRmT2_T3_T4_T5_mT6_T7_P12ihipStream_tbENKUlT_T0_E_clISt17integral_constantIbLb1EES12_IbLb0EEEEDaSY_SZ_EUlSY_E_NS1_11comp_targetILNS1_3genE9ELNS1_11target_archE1100ELNS1_3gpuE3ELNS1_3repE0EEENS1_30default_config_static_selectorELNS0_4arch9wavefront6targetE0EEEvT1_
                                        ; -- End function
	.set _ZN7rocprim17ROCPRIM_400000_NS6detail17trampoline_kernelINS0_14default_configENS1_27scan_by_key_config_selectorIj11FixedVectorIiLj8EEEEZZNS1_16scan_by_key_implILNS1_25lookback_scan_determinismE0ELb1ES3_N6thrust23THRUST_200600_302600_NS6detail15normal_iteratorINSB_10device_ptrIjEEEENSD_INSE_IS6_EEEESI_S6_NSB_4plusIvEENSB_8equal_toIvEES6_EE10hipError_tPvRmT2_T3_T4_T5_mT6_T7_P12ihipStream_tbENKUlT_T0_E_clISt17integral_constantIbLb1EES12_IbLb0EEEEDaSY_SZ_EUlSY_E_NS1_11comp_targetILNS1_3genE9ELNS1_11target_archE1100ELNS1_3gpuE3ELNS1_3repE0EEENS1_30default_config_static_selectorELNS0_4arch9wavefront6targetE0EEEvT1_.num_vgpr, 0
	.set _ZN7rocprim17ROCPRIM_400000_NS6detail17trampoline_kernelINS0_14default_configENS1_27scan_by_key_config_selectorIj11FixedVectorIiLj8EEEEZZNS1_16scan_by_key_implILNS1_25lookback_scan_determinismE0ELb1ES3_N6thrust23THRUST_200600_302600_NS6detail15normal_iteratorINSB_10device_ptrIjEEEENSD_INSE_IS6_EEEESI_S6_NSB_4plusIvEENSB_8equal_toIvEES6_EE10hipError_tPvRmT2_T3_T4_T5_mT6_T7_P12ihipStream_tbENKUlT_T0_E_clISt17integral_constantIbLb1EES12_IbLb0EEEEDaSY_SZ_EUlSY_E_NS1_11comp_targetILNS1_3genE9ELNS1_11target_archE1100ELNS1_3gpuE3ELNS1_3repE0EEENS1_30default_config_static_selectorELNS0_4arch9wavefront6targetE0EEEvT1_.num_agpr, 0
	.set _ZN7rocprim17ROCPRIM_400000_NS6detail17trampoline_kernelINS0_14default_configENS1_27scan_by_key_config_selectorIj11FixedVectorIiLj8EEEEZZNS1_16scan_by_key_implILNS1_25lookback_scan_determinismE0ELb1ES3_N6thrust23THRUST_200600_302600_NS6detail15normal_iteratorINSB_10device_ptrIjEEEENSD_INSE_IS6_EEEESI_S6_NSB_4plusIvEENSB_8equal_toIvEES6_EE10hipError_tPvRmT2_T3_T4_T5_mT6_T7_P12ihipStream_tbENKUlT_T0_E_clISt17integral_constantIbLb1EES12_IbLb0EEEEDaSY_SZ_EUlSY_E_NS1_11comp_targetILNS1_3genE9ELNS1_11target_archE1100ELNS1_3gpuE3ELNS1_3repE0EEENS1_30default_config_static_selectorELNS0_4arch9wavefront6targetE0EEEvT1_.numbered_sgpr, 0
	.set _ZN7rocprim17ROCPRIM_400000_NS6detail17trampoline_kernelINS0_14default_configENS1_27scan_by_key_config_selectorIj11FixedVectorIiLj8EEEEZZNS1_16scan_by_key_implILNS1_25lookback_scan_determinismE0ELb1ES3_N6thrust23THRUST_200600_302600_NS6detail15normal_iteratorINSB_10device_ptrIjEEEENSD_INSE_IS6_EEEESI_S6_NSB_4plusIvEENSB_8equal_toIvEES6_EE10hipError_tPvRmT2_T3_T4_T5_mT6_T7_P12ihipStream_tbENKUlT_T0_E_clISt17integral_constantIbLb1EES12_IbLb0EEEEDaSY_SZ_EUlSY_E_NS1_11comp_targetILNS1_3genE9ELNS1_11target_archE1100ELNS1_3gpuE3ELNS1_3repE0EEENS1_30default_config_static_selectorELNS0_4arch9wavefront6targetE0EEEvT1_.num_named_barrier, 0
	.set _ZN7rocprim17ROCPRIM_400000_NS6detail17trampoline_kernelINS0_14default_configENS1_27scan_by_key_config_selectorIj11FixedVectorIiLj8EEEEZZNS1_16scan_by_key_implILNS1_25lookback_scan_determinismE0ELb1ES3_N6thrust23THRUST_200600_302600_NS6detail15normal_iteratorINSB_10device_ptrIjEEEENSD_INSE_IS6_EEEESI_S6_NSB_4plusIvEENSB_8equal_toIvEES6_EE10hipError_tPvRmT2_T3_T4_T5_mT6_T7_P12ihipStream_tbENKUlT_T0_E_clISt17integral_constantIbLb1EES12_IbLb0EEEEDaSY_SZ_EUlSY_E_NS1_11comp_targetILNS1_3genE9ELNS1_11target_archE1100ELNS1_3gpuE3ELNS1_3repE0EEENS1_30default_config_static_selectorELNS0_4arch9wavefront6targetE0EEEvT1_.private_seg_size, 0
	.set _ZN7rocprim17ROCPRIM_400000_NS6detail17trampoline_kernelINS0_14default_configENS1_27scan_by_key_config_selectorIj11FixedVectorIiLj8EEEEZZNS1_16scan_by_key_implILNS1_25lookback_scan_determinismE0ELb1ES3_N6thrust23THRUST_200600_302600_NS6detail15normal_iteratorINSB_10device_ptrIjEEEENSD_INSE_IS6_EEEESI_S6_NSB_4plusIvEENSB_8equal_toIvEES6_EE10hipError_tPvRmT2_T3_T4_T5_mT6_T7_P12ihipStream_tbENKUlT_T0_E_clISt17integral_constantIbLb1EES12_IbLb0EEEEDaSY_SZ_EUlSY_E_NS1_11comp_targetILNS1_3genE9ELNS1_11target_archE1100ELNS1_3gpuE3ELNS1_3repE0EEENS1_30default_config_static_selectorELNS0_4arch9wavefront6targetE0EEEvT1_.uses_vcc, 0
	.set _ZN7rocprim17ROCPRIM_400000_NS6detail17trampoline_kernelINS0_14default_configENS1_27scan_by_key_config_selectorIj11FixedVectorIiLj8EEEEZZNS1_16scan_by_key_implILNS1_25lookback_scan_determinismE0ELb1ES3_N6thrust23THRUST_200600_302600_NS6detail15normal_iteratorINSB_10device_ptrIjEEEENSD_INSE_IS6_EEEESI_S6_NSB_4plusIvEENSB_8equal_toIvEES6_EE10hipError_tPvRmT2_T3_T4_T5_mT6_T7_P12ihipStream_tbENKUlT_T0_E_clISt17integral_constantIbLb1EES12_IbLb0EEEEDaSY_SZ_EUlSY_E_NS1_11comp_targetILNS1_3genE9ELNS1_11target_archE1100ELNS1_3gpuE3ELNS1_3repE0EEENS1_30default_config_static_selectorELNS0_4arch9wavefront6targetE0EEEvT1_.uses_flat_scratch, 0
	.set _ZN7rocprim17ROCPRIM_400000_NS6detail17trampoline_kernelINS0_14default_configENS1_27scan_by_key_config_selectorIj11FixedVectorIiLj8EEEEZZNS1_16scan_by_key_implILNS1_25lookback_scan_determinismE0ELb1ES3_N6thrust23THRUST_200600_302600_NS6detail15normal_iteratorINSB_10device_ptrIjEEEENSD_INSE_IS6_EEEESI_S6_NSB_4plusIvEENSB_8equal_toIvEES6_EE10hipError_tPvRmT2_T3_T4_T5_mT6_T7_P12ihipStream_tbENKUlT_T0_E_clISt17integral_constantIbLb1EES12_IbLb0EEEEDaSY_SZ_EUlSY_E_NS1_11comp_targetILNS1_3genE9ELNS1_11target_archE1100ELNS1_3gpuE3ELNS1_3repE0EEENS1_30default_config_static_selectorELNS0_4arch9wavefront6targetE0EEEvT1_.has_dyn_sized_stack, 0
	.set _ZN7rocprim17ROCPRIM_400000_NS6detail17trampoline_kernelINS0_14default_configENS1_27scan_by_key_config_selectorIj11FixedVectorIiLj8EEEEZZNS1_16scan_by_key_implILNS1_25lookback_scan_determinismE0ELb1ES3_N6thrust23THRUST_200600_302600_NS6detail15normal_iteratorINSB_10device_ptrIjEEEENSD_INSE_IS6_EEEESI_S6_NSB_4plusIvEENSB_8equal_toIvEES6_EE10hipError_tPvRmT2_T3_T4_T5_mT6_T7_P12ihipStream_tbENKUlT_T0_E_clISt17integral_constantIbLb1EES12_IbLb0EEEEDaSY_SZ_EUlSY_E_NS1_11comp_targetILNS1_3genE9ELNS1_11target_archE1100ELNS1_3gpuE3ELNS1_3repE0EEENS1_30default_config_static_selectorELNS0_4arch9wavefront6targetE0EEEvT1_.has_recursion, 0
	.set _ZN7rocprim17ROCPRIM_400000_NS6detail17trampoline_kernelINS0_14default_configENS1_27scan_by_key_config_selectorIj11FixedVectorIiLj8EEEEZZNS1_16scan_by_key_implILNS1_25lookback_scan_determinismE0ELb1ES3_N6thrust23THRUST_200600_302600_NS6detail15normal_iteratorINSB_10device_ptrIjEEEENSD_INSE_IS6_EEEESI_S6_NSB_4plusIvEENSB_8equal_toIvEES6_EE10hipError_tPvRmT2_T3_T4_T5_mT6_T7_P12ihipStream_tbENKUlT_T0_E_clISt17integral_constantIbLb1EES12_IbLb0EEEEDaSY_SZ_EUlSY_E_NS1_11comp_targetILNS1_3genE9ELNS1_11target_archE1100ELNS1_3gpuE3ELNS1_3repE0EEENS1_30default_config_static_selectorELNS0_4arch9wavefront6targetE0EEEvT1_.has_indirect_call, 0
	.section	.AMDGPU.csdata,"",@progbits
; Kernel info:
; codeLenInByte = 0
; TotalNumSgprs: 0
; NumVgprs: 0
; ScratchSize: 0
; MemoryBound: 0
; FloatMode: 240
; IeeeMode: 1
; LDSByteSize: 0 bytes/workgroup (compile time only)
; SGPRBlocks: 0
; VGPRBlocks: 0
; NumSGPRsForWavesPerEU: 1
; NumVGPRsForWavesPerEU: 1
; Occupancy: 16
; WaveLimiterHint : 0
; COMPUTE_PGM_RSRC2:SCRATCH_EN: 0
; COMPUTE_PGM_RSRC2:USER_SGPR: 6
; COMPUTE_PGM_RSRC2:TRAP_HANDLER: 0
; COMPUTE_PGM_RSRC2:TGID_X_EN: 1
; COMPUTE_PGM_RSRC2:TGID_Y_EN: 0
; COMPUTE_PGM_RSRC2:TGID_Z_EN: 0
; COMPUTE_PGM_RSRC2:TIDIG_COMP_CNT: 0
	.section	.text._ZN7rocprim17ROCPRIM_400000_NS6detail17trampoline_kernelINS0_14default_configENS1_27scan_by_key_config_selectorIj11FixedVectorIiLj8EEEEZZNS1_16scan_by_key_implILNS1_25lookback_scan_determinismE0ELb1ES3_N6thrust23THRUST_200600_302600_NS6detail15normal_iteratorINSB_10device_ptrIjEEEENSD_INSE_IS6_EEEESI_S6_NSB_4plusIvEENSB_8equal_toIvEES6_EE10hipError_tPvRmT2_T3_T4_T5_mT6_T7_P12ihipStream_tbENKUlT_T0_E_clISt17integral_constantIbLb1EES12_IbLb0EEEEDaSY_SZ_EUlSY_E_NS1_11comp_targetILNS1_3genE8ELNS1_11target_archE1030ELNS1_3gpuE2ELNS1_3repE0EEENS1_30default_config_static_selectorELNS0_4arch9wavefront6targetE0EEEvT1_,"axG",@progbits,_ZN7rocprim17ROCPRIM_400000_NS6detail17trampoline_kernelINS0_14default_configENS1_27scan_by_key_config_selectorIj11FixedVectorIiLj8EEEEZZNS1_16scan_by_key_implILNS1_25lookback_scan_determinismE0ELb1ES3_N6thrust23THRUST_200600_302600_NS6detail15normal_iteratorINSB_10device_ptrIjEEEENSD_INSE_IS6_EEEESI_S6_NSB_4plusIvEENSB_8equal_toIvEES6_EE10hipError_tPvRmT2_T3_T4_T5_mT6_T7_P12ihipStream_tbENKUlT_T0_E_clISt17integral_constantIbLb1EES12_IbLb0EEEEDaSY_SZ_EUlSY_E_NS1_11comp_targetILNS1_3genE8ELNS1_11target_archE1030ELNS1_3gpuE2ELNS1_3repE0EEENS1_30default_config_static_selectorELNS0_4arch9wavefront6targetE0EEEvT1_,comdat
	.protected	_ZN7rocprim17ROCPRIM_400000_NS6detail17trampoline_kernelINS0_14default_configENS1_27scan_by_key_config_selectorIj11FixedVectorIiLj8EEEEZZNS1_16scan_by_key_implILNS1_25lookback_scan_determinismE0ELb1ES3_N6thrust23THRUST_200600_302600_NS6detail15normal_iteratorINSB_10device_ptrIjEEEENSD_INSE_IS6_EEEESI_S6_NSB_4plusIvEENSB_8equal_toIvEES6_EE10hipError_tPvRmT2_T3_T4_T5_mT6_T7_P12ihipStream_tbENKUlT_T0_E_clISt17integral_constantIbLb1EES12_IbLb0EEEEDaSY_SZ_EUlSY_E_NS1_11comp_targetILNS1_3genE8ELNS1_11target_archE1030ELNS1_3gpuE2ELNS1_3repE0EEENS1_30default_config_static_selectorELNS0_4arch9wavefront6targetE0EEEvT1_ ; -- Begin function _ZN7rocprim17ROCPRIM_400000_NS6detail17trampoline_kernelINS0_14default_configENS1_27scan_by_key_config_selectorIj11FixedVectorIiLj8EEEEZZNS1_16scan_by_key_implILNS1_25lookback_scan_determinismE0ELb1ES3_N6thrust23THRUST_200600_302600_NS6detail15normal_iteratorINSB_10device_ptrIjEEEENSD_INSE_IS6_EEEESI_S6_NSB_4plusIvEENSB_8equal_toIvEES6_EE10hipError_tPvRmT2_T3_T4_T5_mT6_T7_P12ihipStream_tbENKUlT_T0_E_clISt17integral_constantIbLb1EES12_IbLb0EEEEDaSY_SZ_EUlSY_E_NS1_11comp_targetILNS1_3genE8ELNS1_11target_archE1030ELNS1_3gpuE2ELNS1_3repE0EEENS1_30default_config_static_selectorELNS0_4arch9wavefront6targetE0EEEvT1_
	.globl	_ZN7rocprim17ROCPRIM_400000_NS6detail17trampoline_kernelINS0_14default_configENS1_27scan_by_key_config_selectorIj11FixedVectorIiLj8EEEEZZNS1_16scan_by_key_implILNS1_25lookback_scan_determinismE0ELb1ES3_N6thrust23THRUST_200600_302600_NS6detail15normal_iteratorINSB_10device_ptrIjEEEENSD_INSE_IS6_EEEESI_S6_NSB_4plusIvEENSB_8equal_toIvEES6_EE10hipError_tPvRmT2_T3_T4_T5_mT6_T7_P12ihipStream_tbENKUlT_T0_E_clISt17integral_constantIbLb1EES12_IbLb0EEEEDaSY_SZ_EUlSY_E_NS1_11comp_targetILNS1_3genE8ELNS1_11target_archE1030ELNS1_3gpuE2ELNS1_3repE0EEENS1_30default_config_static_selectorELNS0_4arch9wavefront6targetE0EEEvT1_
	.p2align	8
	.type	_ZN7rocprim17ROCPRIM_400000_NS6detail17trampoline_kernelINS0_14default_configENS1_27scan_by_key_config_selectorIj11FixedVectorIiLj8EEEEZZNS1_16scan_by_key_implILNS1_25lookback_scan_determinismE0ELb1ES3_N6thrust23THRUST_200600_302600_NS6detail15normal_iteratorINSB_10device_ptrIjEEEENSD_INSE_IS6_EEEESI_S6_NSB_4plusIvEENSB_8equal_toIvEES6_EE10hipError_tPvRmT2_T3_T4_T5_mT6_T7_P12ihipStream_tbENKUlT_T0_E_clISt17integral_constantIbLb1EES12_IbLb0EEEEDaSY_SZ_EUlSY_E_NS1_11comp_targetILNS1_3genE8ELNS1_11target_archE1030ELNS1_3gpuE2ELNS1_3repE0EEENS1_30default_config_static_selectorELNS0_4arch9wavefront6targetE0EEEvT1_,@function
_ZN7rocprim17ROCPRIM_400000_NS6detail17trampoline_kernelINS0_14default_configENS1_27scan_by_key_config_selectorIj11FixedVectorIiLj8EEEEZZNS1_16scan_by_key_implILNS1_25lookback_scan_determinismE0ELb1ES3_N6thrust23THRUST_200600_302600_NS6detail15normal_iteratorINSB_10device_ptrIjEEEENSD_INSE_IS6_EEEESI_S6_NSB_4plusIvEENSB_8equal_toIvEES6_EE10hipError_tPvRmT2_T3_T4_T5_mT6_T7_P12ihipStream_tbENKUlT_T0_E_clISt17integral_constantIbLb1EES12_IbLb0EEEEDaSY_SZ_EUlSY_E_NS1_11comp_targetILNS1_3genE8ELNS1_11target_archE1030ELNS1_3gpuE2ELNS1_3repE0EEENS1_30default_config_static_selectorELNS0_4arch9wavefront6targetE0EEEvT1_: ; @_ZN7rocprim17ROCPRIM_400000_NS6detail17trampoline_kernelINS0_14default_configENS1_27scan_by_key_config_selectorIj11FixedVectorIiLj8EEEEZZNS1_16scan_by_key_implILNS1_25lookback_scan_determinismE0ELb1ES3_N6thrust23THRUST_200600_302600_NS6detail15normal_iteratorINSB_10device_ptrIjEEEENSD_INSE_IS6_EEEESI_S6_NSB_4plusIvEENSB_8equal_toIvEES6_EE10hipError_tPvRmT2_T3_T4_T5_mT6_T7_P12ihipStream_tbENKUlT_T0_E_clISt17integral_constantIbLb1EES12_IbLb0EEEEDaSY_SZ_EUlSY_E_NS1_11comp_targetILNS1_3genE8ELNS1_11target_archE1030ELNS1_3gpuE2ELNS1_3repE0EEENS1_30default_config_static_selectorELNS0_4arch9wavefront6targetE0EEEvT1_
; %bb.0:
	s_endpgm
	.section	.rodata,"a",@progbits
	.p2align	6, 0x0
	.amdhsa_kernel _ZN7rocprim17ROCPRIM_400000_NS6detail17trampoline_kernelINS0_14default_configENS1_27scan_by_key_config_selectorIj11FixedVectorIiLj8EEEEZZNS1_16scan_by_key_implILNS1_25lookback_scan_determinismE0ELb1ES3_N6thrust23THRUST_200600_302600_NS6detail15normal_iteratorINSB_10device_ptrIjEEEENSD_INSE_IS6_EEEESI_S6_NSB_4plusIvEENSB_8equal_toIvEES6_EE10hipError_tPvRmT2_T3_T4_T5_mT6_T7_P12ihipStream_tbENKUlT_T0_E_clISt17integral_constantIbLb1EES12_IbLb0EEEEDaSY_SZ_EUlSY_E_NS1_11comp_targetILNS1_3genE8ELNS1_11target_archE1030ELNS1_3gpuE2ELNS1_3repE0EEENS1_30default_config_static_selectorELNS0_4arch9wavefront6targetE0EEEvT1_
		.amdhsa_group_segment_fixed_size 0
		.amdhsa_private_segment_fixed_size 0
		.amdhsa_kernarg_size 160
		.amdhsa_user_sgpr_count 6
		.amdhsa_user_sgpr_private_segment_buffer 1
		.amdhsa_user_sgpr_dispatch_ptr 0
		.amdhsa_user_sgpr_queue_ptr 0
		.amdhsa_user_sgpr_kernarg_segment_ptr 1
		.amdhsa_user_sgpr_dispatch_id 0
		.amdhsa_user_sgpr_flat_scratch_init 0
		.amdhsa_user_sgpr_private_segment_size 0
		.amdhsa_wavefront_size32 1
		.amdhsa_uses_dynamic_stack 0
		.amdhsa_system_sgpr_private_segment_wavefront_offset 0
		.amdhsa_system_sgpr_workgroup_id_x 1
		.amdhsa_system_sgpr_workgroup_id_y 0
		.amdhsa_system_sgpr_workgroup_id_z 0
		.amdhsa_system_sgpr_workgroup_info 0
		.amdhsa_system_vgpr_workitem_id 0
		.amdhsa_next_free_vgpr 1
		.amdhsa_next_free_sgpr 1
		.amdhsa_reserve_vcc 0
		.amdhsa_reserve_flat_scratch 0
		.amdhsa_float_round_mode_32 0
		.amdhsa_float_round_mode_16_64 0
		.amdhsa_float_denorm_mode_32 3
		.amdhsa_float_denorm_mode_16_64 3
		.amdhsa_dx10_clamp 1
		.amdhsa_ieee_mode 1
		.amdhsa_fp16_overflow 0
		.amdhsa_workgroup_processor_mode 1
		.amdhsa_memory_ordered 1
		.amdhsa_forward_progress 1
		.amdhsa_shared_vgpr_count 0
		.amdhsa_exception_fp_ieee_invalid_op 0
		.amdhsa_exception_fp_denorm_src 0
		.amdhsa_exception_fp_ieee_div_zero 0
		.amdhsa_exception_fp_ieee_overflow 0
		.amdhsa_exception_fp_ieee_underflow 0
		.amdhsa_exception_fp_ieee_inexact 0
		.amdhsa_exception_int_div_zero 0
	.end_amdhsa_kernel
	.section	.text._ZN7rocprim17ROCPRIM_400000_NS6detail17trampoline_kernelINS0_14default_configENS1_27scan_by_key_config_selectorIj11FixedVectorIiLj8EEEEZZNS1_16scan_by_key_implILNS1_25lookback_scan_determinismE0ELb1ES3_N6thrust23THRUST_200600_302600_NS6detail15normal_iteratorINSB_10device_ptrIjEEEENSD_INSE_IS6_EEEESI_S6_NSB_4plusIvEENSB_8equal_toIvEES6_EE10hipError_tPvRmT2_T3_T4_T5_mT6_T7_P12ihipStream_tbENKUlT_T0_E_clISt17integral_constantIbLb1EES12_IbLb0EEEEDaSY_SZ_EUlSY_E_NS1_11comp_targetILNS1_3genE8ELNS1_11target_archE1030ELNS1_3gpuE2ELNS1_3repE0EEENS1_30default_config_static_selectorELNS0_4arch9wavefront6targetE0EEEvT1_,"axG",@progbits,_ZN7rocprim17ROCPRIM_400000_NS6detail17trampoline_kernelINS0_14default_configENS1_27scan_by_key_config_selectorIj11FixedVectorIiLj8EEEEZZNS1_16scan_by_key_implILNS1_25lookback_scan_determinismE0ELb1ES3_N6thrust23THRUST_200600_302600_NS6detail15normal_iteratorINSB_10device_ptrIjEEEENSD_INSE_IS6_EEEESI_S6_NSB_4plusIvEENSB_8equal_toIvEES6_EE10hipError_tPvRmT2_T3_T4_T5_mT6_T7_P12ihipStream_tbENKUlT_T0_E_clISt17integral_constantIbLb1EES12_IbLb0EEEEDaSY_SZ_EUlSY_E_NS1_11comp_targetILNS1_3genE8ELNS1_11target_archE1030ELNS1_3gpuE2ELNS1_3repE0EEENS1_30default_config_static_selectorELNS0_4arch9wavefront6targetE0EEEvT1_,comdat
.Lfunc_end2183:
	.size	_ZN7rocprim17ROCPRIM_400000_NS6detail17trampoline_kernelINS0_14default_configENS1_27scan_by_key_config_selectorIj11FixedVectorIiLj8EEEEZZNS1_16scan_by_key_implILNS1_25lookback_scan_determinismE0ELb1ES3_N6thrust23THRUST_200600_302600_NS6detail15normal_iteratorINSB_10device_ptrIjEEEENSD_INSE_IS6_EEEESI_S6_NSB_4plusIvEENSB_8equal_toIvEES6_EE10hipError_tPvRmT2_T3_T4_T5_mT6_T7_P12ihipStream_tbENKUlT_T0_E_clISt17integral_constantIbLb1EES12_IbLb0EEEEDaSY_SZ_EUlSY_E_NS1_11comp_targetILNS1_3genE8ELNS1_11target_archE1030ELNS1_3gpuE2ELNS1_3repE0EEENS1_30default_config_static_selectorELNS0_4arch9wavefront6targetE0EEEvT1_, .Lfunc_end2183-_ZN7rocprim17ROCPRIM_400000_NS6detail17trampoline_kernelINS0_14default_configENS1_27scan_by_key_config_selectorIj11FixedVectorIiLj8EEEEZZNS1_16scan_by_key_implILNS1_25lookback_scan_determinismE0ELb1ES3_N6thrust23THRUST_200600_302600_NS6detail15normal_iteratorINSB_10device_ptrIjEEEENSD_INSE_IS6_EEEESI_S6_NSB_4plusIvEENSB_8equal_toIvEES6_EE10hipError_tPvRmT2_T3_T4_T5_mT6_T7_P12ihipStream_tbENKUlT_T0_E_clISt17integral_constantIbLb1EES12_IbLb0EEEEDaSY_SZ_EUlSY_E_NS1_11comp_targetILNS1_3genE8ELNS1_11target_archE1030ELNS1_3gpuE2ELNS1_3repE0EEENS1_30default_config_static_selectorELNS0_4arch9wavefront6targetE0EEEvT1_
                                        ; -- End function
	.set _ZN7rocprim17ROCPRIM_400000_NS6detail17trampoline_kernelINS0_14default_configENS1_27scan_by_key_config_selectorIj11FixedVectorIiLj8EEEEZZNS1_16scan_by_key_implILNS1_25lookback_scan_determinismE0ELb1ES3_N6thrust23THRUST_200600_302600_NS6detail15normal_iteratorINSB_10device_ptrIjEEEENSD_INSE_IS6_EEEESI_S6_NSB_4plusIvEENSB_8equal_toIvEES6_EE10hipError_tPvRmT2_T3_T4_T5_mT6_T7_P12ihipStream_tbENKUlT_T0_E_clISt17integral_constantIbLb1EES12_IbLb0EEEEDaSY_SZ_EUlSY_E_NS1_11comp_targetILNS1_3genE8ELNS1_11target_archE1030ELNS1_3gpuE2ELNS1_3repE0EEENS1_30default_config_static_selectorELNS0_4arch9wavefront6targetE0EEEvT1_.num_vgpr, 0
	.set _ZN7rocprim17ROCPRIM_400000_NS6detail17trampoline_kernelINS0_14default_configENS1_27scan_by_key_config_selectorIj11FixedVectorIiLj8EEEEZZNS1_16scan_by_key_implILNS1_25lookback_scan_determinismE0ELb1ES3_N6thrust23THRUST_200600_302600_NS6detail15normal_iteratorINSB_10device_ptrIjEEEENSD_INSE_IS6_EEEESI_S6_NSB_4plusIvEENSB_8equal_toIvEES6_EE10hipError_tPvRmT2_T3_T4_T5_mT6_T7_P12ihipStream_tbENKUlT_T0_E_clISt17integral_constantIbLb1EES12_IbLb0EEEEDaSY_SZ_EUlSY_E_NS1_11comp_targetILNS1_3genE8ELNS1_11target_archE1030ELNS1_3gpuE2ELNS1_3repE0EEENS1_30default_config_static_selectorELNS0_4arch9wavefront6targetE0EEEvT1_.num_agpr, 0
	.set _ZN7rocprim17ROCPRIM_400000_NS6detail17trampoline_kernelINS0_14default_configENS1_27scan_by_key_config_selectorIj11FixedVectorIiLj8EEEEZZNS1_16scan_by_key_implILNS1_25lookback_scan_determinismE0ELb1ES3_N6thrust23THRUST_200600_302600_NS6detail15normal_iteratorINSB_10device_ptrIjEEEENSD_INSE_IS6_EEEESI_S6_NSB_4plusIvEENSB_8equal_toIvEES6_EE10hipError_tPvRmT2_T3_T4_T5_mT6_T7_P12ihipStream_tbENKUlT_T0_E_clISt17integral_constantIbLb1EES12_IbLb0EEEEDaSY_SZ_EUlSY_E_NS1_11comp_targetILNS1_3genE8ELNS1_11target_archE1030ELNS1_3gpuE2ELNS1_3repE0EEENS1_30default_config_static_selectorELNS0_4arch9wavefront6targetE0EEEvT1_.numbered_sgpr, 0
	.set _ZN7rocprim17ROCPRIM_400000_NS6detail17trampoline_kernelINS0_14default_configENS1_27scan_by_key_config_selectorIj11FixedVectorIiLj8EEEEZZNS1_16scan_by_key_implILNS1_25lookback_scan_determinismE0ELb1ES3_N6thrust23THRUST_200600_302600_NS6detail15normal_iteratorINSB_10device_ptrIjEEEENSD_INSE_IS6_EEEESI_S6_NSB_4plusIvEENSB_8equal_toIvEES6_EE10hipError_tPvRmT2_T3_T4_T5_mT6_T7_P12ihipStream_tbENKUlT_T0_E_clISt17integral_constantIbLb1EES12_IbLb0EEEEDaSY_SZ_EUlSY_E_NS1_11comp_targetILNS1_3genE8ELNS1_11target_archE1030ELNS1_3gpuE2ELNS1_3repE0EEENS1_30default_config_static_selectorELNS0_4arch9wavefront6targetE0EEEvT1_.num_named_barrier, 0
	.set _ZN7rocprim17ROCPRIM_400000_NS6detail17trampoline_kernelINS0_14default_configENS1_27scan_by_key_config_selectorIj11FixedVectorIiLj8EEEEZZNS1_16scan_by_key_implILNS1_25lookback_scan_determinismE0ELb1ES3_N6thrust23THRUST_200600_302600_NS6detail15normal_iteratorINSB_10device_ptrIjEEEENSD_INSE_IS6_EEEESI_S6_NSB_4plusIvEENSB_8equal_toIvEES6_EE10hipError_tPvRmT2_T3_T4_T5_mT6_T7_P12ihipStream_tbENKUlT_T0_E_clISt17integral_constantIbLb1EES12_IbLb0EEEEDaSY_SZ_EUlSY_E_NS1_11comp_targetILNS1_3genE8ELNS1_11target_archE1030ELNS1_3gpuE2ELNS1_3repE0EEENS1_30default_config_static_selectorELNS0_4arch9wavefront6targetE0EEEvT1_.private_seg_size, 0
	.set _ZN7rocprim17ROCPRIM_400000_NS6detail17trampoline_kernelINS0_14default_configENS1_27scan_by_key_config_selectorIj11FixedVectorIiLj8EEEEZZNS1_16scan_by_key_implILNS1_25lookback_scan_determinismE0ELb1ES3_N6thrust23THRUST_200600_302600_NS6detail15normal_iteratorINSB_10device_ptrIjEEEENSD_INSE_IS6_EEEESI_S6_NSB_4plusIvEENSB_8equal_toIvEES6_EE10hipError_tPvRmT2_T3_T4_T5_mT6_T7_P12ihipStream_tbENKUlT_T0_E_clISt17integral_constantIbLb1EES12_IbLb0EEEEDaSY_SZ_EUlSY_E_NS1_11comp_targetILNS1_3genE8ELNS1_11target_archE1030ELNS1_3gpuE2ELNS1_3repE0EEENS1_30default_config_static_selectorELNS0_4arch9wavefront6targetE0EEEvT1_.uses_vcc, 0
	.set _ZN7rocprim17ROCPRIM_400000_NS6detail17trampoline_kernelINS0_14default_configENS1_27scan_by_key_config_selectorIj11FixedVectorIiLj8EEEEZZNS1_16scan_by_key_implILNS1_25lookback_scan_determinismE0ELb1ES3_N6thrust23THRUST_200600_302600_NS6detail15normal_iteratorINSB_10device_ptrIjEEEENSD_INSE_IS6_EEEESI_S6_NSB_4plusIvEENSB_8equal_toIvEES6_EE10hipError_tPvRmT2_T3_T4_T5_mT6_T7_P12ihipStream_tbENKUlT_T0_E_clISt17integral_constantIbLb1EES12_IbLb0EEEEDaSY_SZ_EUlSY_E_NS1_11comp_targetILNS1_3genE8ELNS1_11target_archE1030ELNS1_3gpuE2ELNS1_3repE0EEENS1_30default_config_static_selectorELNS0_4arch9wavefront6targetE0EEEvT1_.uses_flat_scratch, 0
	.set _ZN7rocprim17ROCPRIM_400000_NS6detail17trampoline_kernelINS0_14default_configENS1_27scan_by_key_config_selectorIj11FixedVectorIiLj8EEEEZZNS1_16scan_by_key_implILNS1_25lookback_scan_determinismE0ELb1ES3_N6thrust23THRUST_200600_302600_NS6detail15normal_iteratorINSB_10device_ptrIjEEEENSD_INSE_IS6_EEEESI_S6_NSB_4plusIvEENSB_8equal_toIvEES6_EE10hipError_tPvRmT2_T3_T4_T5_mT6_T7_P12ihipStream_tbENKUlT_T0_E_clISt17integral_constantIbLb1EES12_IbLb0EEEEDaSY_SZ_EUlSY_E_NS1_11comp_targetILNS1_3genE8ELNS1_11target_archE1030ELNS1_3gpuE2ELNS1_3repE0EEENS1_30default_config_static_selectorELNS0_4arch9wavefront6targetE0EEEvT1_.has_dyn_sized_stack, 0
	.set _ZN7rocprim17ROCPRIM_400000_NS6detail17trampoline_kernelINS0_14default_configENS1_27scan_by_key_config_selectorIj11FixedVectorIiLj8EEEEZZNS1_16scan_by_key_implILNS1_25lookback_scan_determinismE0ELb1ES3_N6thrust23THRUST_200600_302600_NS6detail15normal_iteratorINSB_10device_ptrIjEEEENSD_INSE_IS6_EEEESI_S6_NSB_4plusIvEENSB_8equal_toIvEES6_EE10hipError_tPvRmT2_T3_T4_T5_mT6_T7_P12ihipStream_tbENKUlT_T0_E_clISt17integral_constantIbLb1EES12_IbLb0EEEEDaSY_SZ_EUlSY_E_NS1_11comp_targetILNS1_3genE8ELNS1_11target_archE1030ELNS1_3gpuE2ELNS1_3repE0EEENS1_30default_config_static_selectorELNS0_4arch9wavefront6targetE0EEEvT1_.has_recursion, 0
	.set _ZN7rocprim17ROCPRIM_400000_NS6detail17trampoline_kernelINS0_14default_configENS1_27scan_by_key_config_selectorIj11FixedVectorIiLj8EEEEZZNS1_16scan_by_key_implILNS1_25lookback_scan_determinismE0ELb1ES3_N6thrust23THRUST_200600_302600_NS6detail15normal_iteratorINSB_10device_ptrIjEEEENSD_INSE_IS6_EEEESI_S6_NSB_4plusIvEENSB_8equal_toIvEES6_EE10hipError_tPvRmT2_T3_T4_T5_mT6_T7_P12ihipStream_tbENKUlT_T0_E_clISt17integral_constantIbLb1EES12_IbLb0EEEEDaSY_SZ_EUlSY_E_NS1_11comp_targetILNS1_3genE8ELNS1_11target_archE1030ELNS1_3gpuE2ELNS1_3repE0EEENS1_30default_config_static_selectorELNS0_4arch9wavefront6targetE0EEEvT1_.has_indirect_call, 0
	.section	.AMDGPU.csdata,"",@progbits
; Kernel info:
; codeLenInByte = 4
; TotalNumSgprs: 0
; NumVgprs: 0
; ScratchSize: 0
; MemoryBound: 0
; FloatMode: 240
; IeeeMode: 1
; LDSByteSize: 0 bytes/workgroup (compile time only)
; SGPRBlocks: 0
; VGPRBlocks: 0
; NumSGPRsForWavesPerEU: 1
; NumVGPRsForWavesPerEU: 1
; Occupancy: 16
; WaveLimiterHint : 0
; COMPUTE_PGM_RSRC2:SCRATCH_EN: 0
; COMPUTE_PGM_RSRC2:USER_SGPR: 6
; COMPUTE_PGM_RSRC2:TRAP_HANDLER: 0
; COMPUTE_PGM_RSRC2:TGID_X_EN: 1
; COMPUTE_PGM_RSRC2:TGID_Y_EN: 0
; COMPUTE_PGM_RSRC2:TGID_Z_EN: 0
; COMPUTE_PGM_RSRC2:TIDIG_COMP_CNT: 0
	.section	.text._ZN7rocprim17ROCPRIM_400000_NS6detail17trampoline_kernelINS0_14default_configENS1_27scan_by_key_config_selectorIj11FixedVectorIiLj8EEEEZZNS1_16scan_by_key_implILNS1_25lookback_scan_determinismE0ELb1ES3_N6thrust23THRUST_200600_302600_NS6detail15normal_iteratorINSB_10device_ptrIjEEEENSD_INSE_IS6_EEEESI_S6_NSB_4plusIvEENSB_8equal_toIvEES6_EE10hipError_tPvRmT2_T3_T4_T5_mT6_T7_P12ihipStream_tbENKUlT_T0_E_clISt17integral_constantIbLb0EES12_IbLb1EEEEDaSY_SZ_EUlSY_E_NS1_11comp_targetILNS1_3genE0ELNS1_11target_archE4294967295ELNS1_3gpuE0ELNS1_3repE0EEENS1_30default_config_static_selectorELNS0_4arch9wavefront6targetE0EEEvT1_,"axG",@progbits,_ZN7rocprim17ROCPRIM_400000_NS6detail17trampoline_kernelINS0_14default_configENS1_27scan_by_key_config_selectorIj11FixedVectorIiLj8EEEEZZNS1_16scan_by_key_implILNS1_25lookback_scan_determinismE0ELb1ES3_N6thrust23THRUST_200600_302600_NS6detail15normal_iteratorINSB_10device_ptrIjEEEENSD_INSE_IS6_EEEESI_S6_NSB_4plusIvEENSB_8equal_toIvEES6_EE10hipError_tPvRmT2_T3_T4_T5_mT6_T7_P12ihipStream_tbENKUlT_T0_E_clISt17integral_constantIbLb0EES12_IbLb1EEEEDaSY_SZ_EUlSY_E_NS1_11comp_targetILNS1_3genE0ELNS1_11target_archE4294967295ELNS1_3gpuE0ELNS1_3repE0EEENS1_30default_config_static_selectorELNS0_4arch9wavefront6targetE0EEEvT1_,comdat
	.protected	_ZN7rocprim17ROCPRIM_400000_NS6detail17trampoline_kernelINS0_14default_configENS1_27scan_by_key_config_selectorIj11FixedVectorIiLj8EEEEZZNS1_16scan_by_key_implILNS1_25lookback_scan_determinismE0ELb1ES3_N6thrust23THRUST_200600_302600_NS6detail15normal_iteratorINSB_10device_ptrIjEEEENSD_INSE_IS6_EEEESI_S6_NSB_4plusIvEENSB_8equal_toIvEES6_EE10hipError_tPvRmT2_T3_T4_T5_mT6_T7_P12ihipStream_tbENKUlT_T0_E_clISt17integral_constantIbLb0EES12_IbLb1EEEEDaSY_SZ_EUlSY_E_NS1_11comp_targetILNS1_3genE0ELNS1_11target_archE4294967295ELNS1_3gpuE0ELNS1_3repE0EEENS1_30default_config_static_selectorELNS0_4arch9wavefront6targetE0EEEvT1_ ; -- Begin function _ZN7rocprim17ROCPRIM_400000_NS6detail17trampoline_kernelINS0_14default_configENS1_27scan_by_key_config_selectorIj11FixedVectorIiLj8EEEEZZNS1_16scan_by_key_implILNS1_25lookback_scan_determinismE0ELb1ES3_N6thrust23THRUST_200600_302600_NS6detail15normal_iteratorINSB_10device_ptrIjEEEENSD_INSE_IS6_EEEESI_S6_NSB_4plusIvEENSB_8equal_toIvEES6_EE10hipError_tPvRmT2_T3_T4_T5_mT6_T7_P12ihipStream_tbENKUlT_T0_E_clISt17integral_constantIbLb0EES12_IbLb1EEEEDaSY_SZ_EUlSY_E_NS1_11comp_targetILNS1_3genE0ELNS1_11target_archE4294967295ELNS1_3gpuE0ELNS1_3repE0EEENS1_30default_config_static_selectorELNS0_4arch9wavefront6targetE0EEEvT1_
	.globl	_ZN7rocprim17ROCPRIM_400000_NS6detail17trampoline_kernelINS0_14default_configENS1_27scan_by_key_config_selectorIj11FixedVectorIiLj8EEEEZZNS1_16scan_by_key_implILNS1_25lookback_scan_determinismE0ELb1ES3_N6thrust23THRUST_200600_302600_NS6detail15normal_iteratorINSB_10device_ptrIjEEEENSD_INSE_IS6_EEEESI_S6_NSB_4plusIvEENSB_8equal_toIvEES6_EE10hipError_tPvRmT2_T3_T4_T5_mT6_T7_P12ihipStream_tbENKUlT_T0_E_clISt17integral_constantIbLb0EES12_IbLb1EEEEDaSY_SZ_EUlSY_E_NS1_11comp_targetILNS1_3genE0ELNS1_11target_archE4294967295ELNS1_3gpuE0ELNS1_3repE0EEENS1_30default_config_static_selectorELNS0_4arch9wavefront6targetE0EEEvT1_
	.p2align	8
	.type	_ZN7rocprim17ROCPRIM_400000_NS6detail17trampoline_kernelINS0_14default_configENS1_27scan_by_key_config_selectorIj11FixedVectorIiLj8EEEEZZNS1_16scan_by_key_implILNS1_25lookback_scan_determinismE0ELb1ES3_N6thrust23THRUST_200600_302600_NS6detail15normal_iteratorINSB_10device_ptrIjEEEENSD_INSE_IS6_EEEESI_S6_NSB_4plusIvEENSB_8equal_toIvEES6_EE10hipError_tPvRmT2_T3_T4_T5_mT6_T7_P12ihipStream_tbENKUlT_T0_E_clISt17integral_constantIbLb0EES12_IbLb1EEEEDaSY_SZ_EUlSY_E_NS1_11comp_targetILNS1_3genE0ELNS1_11target_archE4294967295ELNS1_3gpuE0ELNS1_3repE0EEENS1_30default_config_static_selectorELNS0_4arch9wavefront6targetE0EEEvT1_,@function
_ZN7rocprim17ROCPRIM_400000_NS6detail17trampoline_kernelINS0_14default_configENS1_27scan_by_key_config_selectorIj11FixedVectorIiLj8EEEEZZNS1_16scan_by_key_implILNS1_25lookback_scan_determinismE0ELb1ES3_N6thrust23THRUST_200600_302600_NS6detail15normal_iteratorINSB_10device_ptrIjEEEENSD_INSE_IS6_EEEESI_S6_NSB_4plusIvEENSB_8equal_toIvEES6_EE10hipError_tPvRmT2_T3_T4_T5_mT6_T7_P12ihipStream_tbENKUlT_T0_E_clISt17integral_constantIbLb0EES12_IbLb1EEEEDaSY_SZ_EUlSY_E_NS1_11comp_targetILNS1_3genE0ELNS1_11target_archE4294967295ELNS1_3gpuE0ELNS1_3repE0EEENS1_30default_config_static_selectorELNS0_4arch9wavefront6targetE0EEEvT1_: ; @_ZN7rocprim17ROCPRIM_400000_NS6detail17trampoline_kernelINS0_14default_configENS1_27scan_by_key_config_selectorIj11FixedVectorIiLj8EEEEZZNS1_16scan_by_key_implILNS1_25lookback_scan_determinismE0ELb1ES3_N6thrust23THRUST_200600_302600_NS6detail15normal_iteratorINSB_10device_ptrIjEEEENSD_INSE_IS6_EEEESI_S6_NSB_4plusIvEENSB_8equal_toIvEES6_EE10hipError_tPvRmT2_T3_T4_T5_mT6_T7_P12ihipStream_tbENKUlT_T0_E_clISt17integral_constantIbLb0EES12_IbLb1EEEEDaSY_SZ_EUlSY_E_NS1_11comp_targetILNS1_3genE0ELNS1_11target_archE4294967295ELNS1_3gpuE0ELNS1_3repE0EEENS1_30default_config_static_selectorELNS0_4arch9wavefront6targetE0EEEvT1_
; %bb.0:
	.section	.rodata,"a",@progbits
	.p2align	6, 0x0
	.amdhsa_kernel _ZN7rocprim17ROCPRIM_400000_NS6detail17trampoline_kernelINS0_14default_configENS1_27scan_by_key_config_selectorIj11FixedVectorIiLj8EEEEZZNS1_16scan_by_key_implILNS1_25lookback_scan_determinismE0ELb1ES3_N6thrust23THRUST_200600_302600_NS6detail15normal_iteratorINSB_10device_ptrIjEEEENSD_INSE_IS6_EEEESI_S6_NSB_4plusIvEENSB_8equal_toIvEES6_EE10hipError_tPvRmT2_T3_T4_T5_mT6_T7_P12ihipStream_tbENKUlT_T0_E_clISt17integral_constantIbLb0EES12_IbLb1EEEEDaSY_SZ_EUlSY_E_NS1_11comp_targetILNS1_3genE0ELNS1_11target_archE4294967295ELNS1_3gpuE0ELNS1_3repE0EEENS1_30default_config_static_selectorELNS0_4arch9wavefront6targetE0EEEvT1_
		.amdhsa_group_segment_fixed_size 0
		.amdhsa_private_segment_fixed_size 0
		.amdhsa_kernarg_size 160
		.amdhsa_user_sgpr_count 6
		.amdhsa_user_sgpr_private_segment_buffer 1
		.amdhsa_user_sgpr_dispatch_ptr 0
		.amdhsa_user_sgpr_queue_ptr 0
		.amdhsa_user_sgpr_kernarg_segment_ptr 1
		.amdhsa_user_sgpr_dispatch_id 0
		.amdhsa_user_sgpr_flat_scratch_init 0
		.amdhsa_user_sgpr_private_segment_size 0
		.amdhsa_wavefront_size32 1
		.amdhsa_uses_dynamic_stack 0
		.amdhsa_system_sgpr_private_segment_wavefront_offset 0
		.amdhsa_system_sgpr_workgroup_id_x 1
		.amdhsa_system_sgpr_workgroup_id_y 0
		.amdhsa_system_sgpr_workgroup_id_z 0
		.amdhsa_system_sgpr_workgroup_info 0
		.amdhsa_system_vgpr_workitem_id 0
		.amdhsa_next_free_vgpr 1
		.amdhsa_next_free_sgpr 1
		.amdhsa_reserve_vcc 0
		.amdhsa_reserve_flat_scratch 0
		.amdhsa_float_round_mode_32 0
		.amdhsa_float_round_mode_16_64 0
		.amdhsa_float_denorm_mode_32 3
		.amdhsa_float_denorm_mode_16_64 3
		.amdhsa_dx10_clamp 1
		.amdhsa_ieee_mode 1
		.amdhsa_fp16_overflow 0
		.amdhsa_workgroup_processor_mode 1
		.amdhsa_memory_ordered 1
		.amdhsa_forward_progress 1
		.amdhsa_shared_vgpr_count 0
		.amdhsa_exception_fp_ieee_invalid_op 0
		.amdhsa_exception_fp_denorm_src 0
		.amdhsa_exception_fp_ieee_div_zero 0
		.amdhsa_exception_fp_ieee_overflow 0
		.amdhsa_exception_fp_ieee_underflow 0
		.amdhsa_exception_fp_ieee_inexact 0
		.amdhsa_exception_int_div_zero 0
	.end_amdhsa_kernel
	.section	.text._ZN7rocprim17ROCPRIM_400000_NS6detail17trampoline_kernelINS0_14default_configENS1_27scan_by_key_config_selectorIj11FixedVectorIiLj8EEEEZZNS1_16scan_by_key_implILNS1_25lookback_scan_determinismE0ELb1ES3_N6thrust23THRUST_200600_302600_NS6detail15normal_iteratorINSB_10device_ptrIjEEEENSD_INSE_IS6_EEEESI_S6_NSB_4plusIvEENSB_8equal_toIvEES6_EE10hipError_tPvRmT2_T3_T4_T5_mT6_T7_P12ihipStream_tbENKUlT_T0_E_clISt17integral_constantIbLb0EES12_IbLb1EEEEDaSY_SZ_EUlSY_E_NS1_11comp_targetILNS1_3genE0ELNS1_11target_archE4294967295ELNS1_3gpuE0ELNS1_3repE0EEENS1_30default_config_static_selectorELNS0_4arch9wavefront6targetE0EEEvT1_,"axG",@progbits,_ZN7rocprim17ROCPRIM_400000_NS6detail17trampoline_kernelINS0_14default_configENS1_27scan_by_key_config_selectorIj11FixedVectorIiLj8EEEEZZNS1_16scan_by_key_implILNS1_25lookback_scan_determinismE0ELb1ES3_N6thrust23THRUST_200600_302600_NS6detail15normal_iteratorINSB_10device_ptrIjEEEENSD_INSE_IS6_EEEESI_S6_NSB_4plusIvEENSB_8equal_toIvEES6_EE10hipError_tPvRmT2_T3_T4_T5_mT6_T7_P12ihipStream_tbENKUlT_T0_E_clISt17integral_constantIbLb0EES12_IbLb1EEEEDaSY_SZ_EUlSY_E_NS1_11comp_targetILNS1_3genE0ELNS1_11target_archE4294967295ELNS1_3gpuE0ELNS1_3repE0EEENS1_30default_config_static_selectorELNS0_4arch9wavefront6targetE0EEEvT1_,comdat
.Lfunc_end2184:
	.size	_ZN7rocprim17ROCPRIM_400000_NS6detail17trampoline_kernelINS0_14default_configENS1_27scan_by_key_config_selectorIj11FixedVectorIiLj8EEEEZZNS1_16scan_by_key_implILNS1_25lookback_scan_determinismE0ELb1ES3_N6thrust23THRUST_200600_302600_NS6detail15normal_iteratorINSB_10device_ptrIjEEEENSD_INSE_IS6_EEEESI_S6_NSB_4plusIvEENSB_8equal_toIvEES6_EE10hipError_tPvRmT2_T3_T4_T5_mT6_T7_P12ihipStream_tbENKUlT_T0_E_clISt17integral_constantIbLb0EES12_IbLb1EEEEDaSY_SZ_EUlSY_E_NS1_11comp_targetILNS1_3genE0ELNS1_11target_archE4294967295ELNS1_3gpuE0ELNS1_3repE0EEENS1_30default_config_static_selectorELNS0_4arch9wavefront6targetE0EEEvT1_, .Lfunc_end2184-_ZN7rocprim17ROCPRIM_400000_NS6detail17trampoline_kernelINS0_14default_configENS1_27scan_by_key_config_selectorIj11FixedVectorIiLj8EEEEZZNS1_16scan_by_key_implILNS1_25lookback_scan_determinismE0ELb1ES3_N6thrust23THRUST_200600_302600_NS6detail15normal_iteratorINSB_10device_ptrIjEEEENSD_INSE_IS6_EEEESI_S6_NSB_4plusIvEENSB_8equal_toIvEES6_EE10hipError_tPvRmT2_T3_T4_T5_mT6_T7_P12ihipStream_tbENKUlT_T0_E_clISt17integral_constantIbLb0EES12_IbLb1EEEEDaSY_SZ_EUlSY_E_NS1_11comp_targetILNS1_3genE0ELNS1_11target_archE4294967295ELNS1_3gpuE0ELNS1_3repE0EEENS1_30default_config_static_selectorELNS0_4arch9wavefront6targetE0EEEvT1_
                                        ; -- End function
	.set _ZN7rocprim17ROCPRIM_400000_NS6detail17trampoline_kernelINS0_14default_configENS1_27scan_by_key_config_selectorIj11FixedVectorIiLj8EEEEZZNS1_16scan_by_key_implILNS1_25lookback_scan_determinismE0ELb1ES3_N6thrust23THRUST_200600_302600_NS6detail15normal_iteratorINSB_10device_ptrIjEEEENSD_INSE_IS6_EEEESI_S6_NSB_4plusIvEENSB_8equal_toIvEES6_EE10hipError_tPvRmT2_T3_T4_T5_mT6_T7_P12ihipStream_tbENKUlT_T0_E_clISt17integral_constantIbLb0EES12_IbLb1EEEEDaSY_SZ_EUlSY_E_NS1_11comp_targetILNS1_3genE0ELNS1_11target_archE4294967295ELNS1_3gpuE0ELNS1_3repE0EEENS1_30default_config_static_selectorELNS0_4arch9wavefront6targetE0EEEvT1_.num_vgpr, 0
	.set _ZN7rocprim17ROCPRIM_400000_NS6detail17trampoline_kernelINS0_14default_configENS1_27scan_by_key_config_selectorIj11FixedVectorIiLj8EEEEZZNS1_16scan_by_key_implILNS1_25lookback_scan_determinismE0ELb1ES3_N6thrust23THRUST_200600_302600_NS6detail15normal_iteratorINSB_10device_ptrIjEEEENSD_INSE_IS6_EEEESI_S6_NSB_4plusIvEENSB_8equal_toIvEES6_EE10hipError_tPvRmT2_T3_T4_T5_mT6_T7_P12ihipStream_tbENKUlT_T0_E_clISt17integral_constantIbLb0EES12_IbLb1EEEEDaSY_SZ_EUlSY_E_NS1_11comp_targetILNS1_3genE0ELNS1_11target_archE4294967295ELNS1_3gpuE0ELNS1_3repE0EEENS1_30default_config_static_selectorELNS0_4arch9wavefront6targetE0EEEvT1_.num_agpr, 0
	.set _ZN7rocprim17ROCPRIM_400000_NS6detail17trampoline_kernelINS0_14default_configENS1_27scan_by_key_config_selectorIj11FixedVectorIiLj8EEEEZZNS1_16scan_by_key_implILNS1_25lookback_scan_determinismE0ELb1ES3_N6thrust23THRUST_200600_302600_NS6detail15normal_iteratorINSB_10device_ptrIjEEEENSD_INSE_IS6_EEEESI_S6_NSB_4plusIvEENSB_8equal_toIvEES6_EE10hipError_tPvRmT2_T3_T4_T5_mT6_T7_P12ihipStream_tbENKUlT_T0_E_clISt17integral_constantIbLb0EES12_IbLb1EEEEDaSY_SZ_EUlSY_E_NS1_11comp_targetILNS1_3genE0ELNS1_11target_archE4294967295ELNS1_3gpuE0ELNS1_3repE0EEENS1_30default_config_static_selectorELNS0_4arch9wavefront6targetE0EEEvT1_.numbered_sgpr, 0
	.set _ZN7rocprim17ROCPRIM_400000_NS6detail17trampoline_kernelINS0_14default_configENS1_27scan_by_key_config_selectorIj11FixedVectorIiLj8EEEEZZNS1_16scan_by_key_implILNS1_25lookback_scan_determinismE0ELb1ES3_N6thrust23THRUST_200600_302600_NS6detail15normal_iteratorINSB_10device_ptrIjEEEENSD_INSE_IS6_EEEESI_S6_NSB_4plusIvEENSB_8equal_toIvEES6_EE10hipError_tPvRmT2_T3_T4_T5_mT6_T7_P12ihipStream_tbENKUlT_T0_E_clISt17integral_constantIbLb0EES12_IbLb1EEEEDaSY_SZ_EUlSY_E_NS1_11comp_targetILNS1_3genE0ELNS1_11target_archE4294967295ELNS1_3gpuE0ELNS1_3repE0EEENS1_30default_config_static_selectorELNS0_4arch9wavefront6targetE0EEEvT1_.num_named_barrier, 0
	.set _ZN7rocprim17ROCPRIM_400000_NS6detail17trampoline_kernelINS0_14default_configENS1_27scan_by_key_config_selectorIj11FixedVectorIiLj8EEEEZZNS1_16scan_by_key_implILNS1_25lookback_scan_determinismE0ELb1ES3_N6thrust23THRUST_200600_302600_NS6detail15normal_iteratorINSB_10device_ptrIjEEEENSD_INSE_IS6_EEEESI_S6_NSB_4plusIvEENSB_8equal_toIvEES6_EE10hipError_tPvRmT2_T3_T4_T5_mT6_T7_P12ihipStream_tbENKUlT_T0_E_clISt17integral_constantIbLb0EES12_IbLb1EEEEDaSY_SZ_EUlSY_E_NS1_11comp_targetILNS1_3genE0ELNS1_11target_archE4294967295ELNS1_3gpuE0ELNS1_3repE0EEENS1_30default_config_static_selectorELNS0_4arch9wavefront6targetE0EEEvT1_.private_seg_size, 0
	.set _ZN7rocprim17ROCPRIM_400000_NS6detail17trampoline_kernelINS0_14default_configENS1_27scan_by_key_config_selectorIj11FixedVectorIiLj8EEEEZZNS1_16scan_by_key_implILNS1_25lookback_scan_determinismE0ELb1ES3_N6thrust23THRUST_200600_302600_NS6detail15normal_iteratorINSB_10device_ptrIjEEEENSD_INSE_IS6_EEEESI_S6_NSB_4plusIvEENSB_8equal_toIvEES6_EE10hipError_tPvRmT2_T3_T4_T5_mT6_T7_P12ihipStream_tbENKUlT_T0_E_clISt17integral_constantIbLb0EES12_IbLb1EEEEDaSY_SZ_EUlSY_E_NS1_11comp_targetILNS1_3genE0ELNS1_11target_archE4294967295ELNS1_3gpuE0ELNS1_3repE0EEENS1_30default_config_static_selectorELNS0_4arch9wavefront6targetE0EEEvT1_.uses_vcc, 0
	.set _ZN7rocprim17ROCPRIM_400000_NS6detail17trampoline_kernelINS0_14default_configENS1_27scan_by_key_config_selectorIj11FixedVectorIiLj8EEEEZZNS1_16scan_by_key_implILNS1_25lookback_scan_determinismE0ELb1ES3_N6thrust23THRUST_200600_302600_NS6detail15normal_iteratorINSB_10device_ptrIjEEEENSD_INSE_IS6_EEEESI_S6_NSB_4plusIvEENSB_8equal_toIvEES6_EE10hipError_tPvRmT2_T3_T4_T5_mT6_T7_P12ihipStream_tbENKUlT_T0_E_clISt17integral_constantIbLb0EES12_IbLb1EEEEDaSY_SZ_EUlSY_E_NS1_11comp_targetILNS1_3genE0ELNS1_11target_archE4294967295ELNS1_3gpuE0ELNS1_3repE0EEENS1_30default_config_static_selectorELNS0_4arch9wavefront6targetE0EEEvT1_.uses_flat_scratch, 0
	.set _ZN7rocprim17ROCPRIM_400000_NS6detail17trampoline_kernelINS0_14default_configENS1_27scan_by_key_config_selectorIj11FixedVectorIiLj8EEEEZZNS1_16scan_by_key_implILNS1_25lookback_scan_determinismE0ELb1ES3_N6thrust23THRUST_200600_302600_NS6detail15normal_iteratorINSB_10device_ptrIjEEEENSD_INSE_IS6_EEEESI_S6_NSB_4plusIvEENSB_8equal_toIvEES6_EE10hipError_tPvRmT2_T3_T4_T5_mT6_T7_P12ihipStream_tbENKUlT_T0_E_clISt17integral_constantIbLb0EES12_IbLb1EEEEDaSY_SZ_EUlSY_E_NS1_11comp_targetILNS1_3genE0ELNS1_11target_archE4294967295ELNS1_3gpuE0ELNS1_3repE0EEENS1_30default_config_static_selectorELNS0_4arch9wavefront6targetE0EEEvT1_.has_dyn_sized_stack, 0
	.set _ZN7rocprim17ROCPRIM_400000_NS6detail17trampoline_kernelINS0_14default_configENS1_27scan_by_key_config_selectorIj11FixedVectorIiLj8EEEEZZNS1_16scan_by_key_implILNS1_25lookback_scan_determinismE0ELb1ES3_N6thrust23THRUST_200600_302600_NS6detail15normal_iteratorINSB_10device_ptrIjEEEENSD_INSE_IS6_EEEESI_S6_NSB_4plusIvEENSB_8equal_toIvEES6_EE10hipError_tPvRmT2_T3_T4_T5_mT6_T7_P12ihipStream_tbENKUlT_T0_E_clISt17integral_constantIbLb0EES12_IbLb1EEEEDaSY_SZ_EUlSY_E_NS1_11comp_targetILNS1_3genE0ELNS1_11target_archE4294967295ELNS1_3gpuE0ELNS1_3repE0EEENS1_30default_config_static_selectorELNS0_4arch9wavefront6targetE0EEEvT1_.has_recursion, 0
	.set _ZN7rocprim17ROCPRIM_400000_NS6detail17trampoline_kernelINS0_14default_configENS1_27scan_by_key_config_selectorIj11FixedVectorIiLj8EEEEZZNS1_16scan_by_key_implILNS1_25lookback_scan_determinismE0ELb1ES3_N6thrust23THRUST_200600_302600_NS6detail15normal_iteratorINSB_10device_ptrIjEEEENSD_INSE_IS6_EEEESI_S6_NSB_4plusIvEENSB_8equal_toIvEES6_EE10hipError_tPvRmT2_T3_T4_T5_mT6_T7_P12ihipStream_tbENKUlT_T0_E_clISt17integral_constantIbLb0EES12_IbLb1EEEEDaSY_SZ_EUlSY_E_NS1_11comp_targetILNS1_3genE0ELNS1_11target_archE4294967295ELNS1_3gpuE0ELNS1_3repE0EEENS1_30default_config_static_selectorELNS0_4arch9wavefront6targetE0EEEvT1_.has_indirect_call, 0
	.section	.AMDGPU.csdata,"",@progbits
; Kernel info:
; codeLenInByte = 0
; TotalNumSgprs: 0
; NumVgprs: 0
; ScratchSize: 0
; MemoryBound: 0
; FloatMode: 240
; IeeeMode: 1
; LDSByteSize: 0 bytes/workgroup (compile time only)
; SGPRBlocks: 0
; VGPRBlocks: 0
; NumSGPRsForWavesPerEU: 1
; NumVGPRsForWavesPerEU: 1
; Occupancy: 16
; WaveLimiterHint : 0
; COMPUTE_PGM_RSRC2:SCRATCH_EN: 0
; COMPUTE_PGM_RSRC2:USER_SGPR: 6
; COMPUTE_PGM_RSRC2:TRAP_HANDLER: 0
; COMPUTE_PGM_RSRC2:TGID_X_EN: 1
; COMPUTE_PGM_RSRC2:TGID_Y_EN: 0
; COMPUTE_PGM_RSRC2:TGID_Z_EN: 0
; COMPUTE_PGM_RSRC2:TIDIG_COMP_CNT: 0
	.section	.text._ZN7rocprim17ROCPRIM_400000_NS6detail17trampoline_kernelINS0_14default_configENS1_27scan_by_key_config_selectorIj11FixedVectorIiLj8EEEEZZNS1_16scan_by_key_implILNS1_25lookback_scan_determinismE0ELb1ES3_N6thrust23THRUST_200600_302600_NS6detail15normal_iteratorINSB_10device_ptrIjEEEENSD_INSE_IS6_EEEESI_S6_NSB_4plusIvEENSB_8equal_toIvEES6_EE10hipError_tPvRmT2_T3_T4_T5_mT6_T7_P12ihipStream_tbENKUlT_T0_E_clISt17integral_constantIbLb0EES12_IbLb1EEEEDaSY_SZ_EUlSY_E_NS1_11comp_targetILNS1_3genE10ELNS1_11target_archE1201ELNS1_3gpuE5ELNS1_3repE0EEENS1_30default_config_static_selectorELNS0_4arch9wavefront6targetE0EEEvT1_,"axG",@progbits,_ZN7rocprim17ROCPRIM_400000_NS6detail17trampoline_kernelINS0_14default_configENS1_27scan_by_key_config_selectorIj11FixedVectorIiLj8EEEEZZNS1_16scan_by_key_implILNS1_25lookback_scan_determinismE0ELb1ES3_N6thrust23THRUST_200600_302600_NS6detail15normal_iteratorINSB_10device_ptrIjEEEENSD_INSE_IS6_EEEESI_S6_NSB_4plusIvEENSB_8equal_toIvEES6_EE10hipError_tPvRmT2_T3_T4_T5_mT6_T7_P12ihipStream_tbENKUlT_T0_E_clISt17integral_constantIbLb0EES12_IbLb1EEEEDaSY_SZ_EUlSY_E_NS1_11comp_targetILNS1_3genE10ELNS1_11target_archE1201ELNS1_3gpuE5ELNS1_3repE0EEENS1_30default_config_static_selectorELNS0_4arch9wavefront6targetE0EEEvT1_,comdat
	.protected	_ZN7rocprim17ROCPRIM_400000_NS6detail17trampoline_kernelINS0_14default_configENS1_27scan_by_key_config_selectorIj11FixedVectorIiLj8EEEEZZNS1_16scan_by_key_implILNS1_25lookback_scan_determinismE0ELb1ES3_N6thrust23THRUST_200600_302600_NS6detail15normal_iteratorINSB_10device_ptrIjEEEENSD_INSE_IS6_EEEESI_S6_NSB_4plusIvEENSB_8equal_toIvEES6_EE10hipError_tPvRmT2_T3_T4_T5_mT6_T7_P12ihipStream_tbENKUlT_T0_E_clISt17integral_constantIbLb0EES12_IbLb1EEEEDaSY_SZ_EUlSY_E_NS1_11comp_targetILNS1_3genE10ELNS1_11target_archE1201ELNS1_3gpuE5ELNS1_3repE0EEENS1_30default_config_static_selectorELNS0_4arch9wavefront6targetE0EEEvT1_ ; -- Begin function _ZN7rocprim17ROCPRIM_400000_NS6detail17trampoline_kernelINS0_14default_configENS1_27scan_by_key_config_selectorIj11FixedVectorIiLj8EEEEZZNS1_16scan_by_key_implILNS1_25lookback_scan_determinismE0ELb1ES3_N6thrust23THRUST_200600_302600_NS6detail15normal_iteratorINSB_10device_ptrIjEEEENSD_INSE_IS6_EEEESI_S6_NSB_4plusIvEENSB_8equal_toIvEES6_EE10hipError_tPvRmT2_T3_T4_T5_mT6_T7_P12ihipStream_tbENKUlT_T0_E_clISt17integral_constantIbLb0EES12_IbLb1EEEEDaSY_SZ_EUlSY_E_NS1_11comp_targetILNS1_3genE10ELNS1_11target_archE1201ELNS1_3gpuE5ELNS1_3repE0EEENS1_30default_config_static_selectorELNS0_4arch9wavefront6targetE0EEEvT1_
	.globl	_ZN7rocprim17ROCPRIM_400000_NS6detail17trampoline_kernelINS0_14default_configENS1_27scan_by_key_config_selectorIj11FixedVectorIiLj8EEEEZZNS1_16scan_by_key_implILNS1_25lookback_scan_determinismE0ELb1ES3_N6thrust23THRUST_200600_302600_NS6detail15normal_iteratorINSB_10device_ptrIjEEEENSD_INSE_IS6_EEEESI_S6_NSB_4plusIvEENSB_8equal_toIvEES6_EE10hipError_tPvRmT2_T3_T4_T5_mT6_T7_P12ihipStream_tbENKUlT_T0_E_clISt17integral_constantIbLb0EES12_IbLb1EEEEDaSY_SZ_EUlSY_E_NS1_11comp_targetILNS1_3genE10ELNS1_11target_archE1201ELNS1_3gpuE5ELNS1_3repE0EEENS1_30default_config_static_selectorELNS0_4arch9wavefront6targetE0EEEvT1_
	.p2align	8
	.type	_ZN7rocprim17ROCPRIM_400000_NS6detail17trampoline_kernelINS0_14default_configENS1_27scan_by_key_config_selectorIj11FixedVectorIiLj8EEEEZZNS1_16scan_by_key_implILNS1_25lookback_scan_determinismE0ELb1ES3_N6thrust23THRUST_200600_302600_NS6detail15normal_iteratorINSB_10device_ptrIjEEEENSD_INSE_IS6_EEEESI_S6_NSB_4plusIvEENSB_8equal_toIvEES6_EE10hipError_tPvRmT2_T3_T4_T5_mT6_T7_P12ihipStream_tbENKUlT_T0_E_clISt17integral_constantIbLb0EES12_IbLb1EEEEDaSY_SZ_EUlSY_E_NS1_11comp_targetILNS1_3genE10ELNS1_11target_archE1201ELNS1_3gpuE5ELNS1_3repE0EEENS1_30default_config_static_selectorELNS0_4arch9wavefront6targetE0EEEvT1_,@function
_ZN7rocprim17ROCPRIM_400000_NS6detail17trampoline_kernelINS0_14default_configENS1_27scan_by_key_config_selectorIj11FixedVectorIiLj8EEEEZZNS1_16scan_by_key_implILNS1_25lookback_scan_determinismE0ELb1ES3_N6thrust23THRUST_200600_302600_NS6detail15normal_iteratorINSB_10device_ptrIjEEEENSD_INSE_IS6_EEEESI_S6_NSB_4plusIvEENSB_8equal_toIvEES6_EE10hipError_tPvRmT2_T3_T4_T5_mT6_T7_P12ihipStream_tbENKUlT_T0_E_clISt17integral_constantIbLb0EES12_IbLb1EEEEDaSY_SZ_EUlSY_E_NS1_11comp_targetILNS1_3genE10ELNS1_11target_archE1201ELNS1_3gpuE5ELNS1_3repE0EEENS1_30default_config_static_selectorELNS0_4arch9wavefront6targetE0EEEvT1_: ; @_ZN7rocprim17ROCPRIM_400000_NS6detail17trampoline_kernelINS0_14default_configENS1_27scan_by_key_config_selectorIj11FixedVectorIiLj8EEEEZZNS1_16scan_by_key_implILNS1_25lookback_scan_determinismE0ELb1ES3_N6thrust23THRUST_200600_302600_NS6detail15normal_iteratorINSB_10device_ptrIjEEEENSD_INSE_IS6_EEEESI_S6_NSB_4plusIvEENSB_8equal_toIvEES6_EE10hipError_tPvRmT2_T3_T4_T5_mT6_T7_P12ihipStream_tbENKUlT_T0_E_clISt17integral_constantIbLb0EES12_IbLb1EEEEDaSY_SZ_EUlSY_E_NS1_11comp_targetILNS1_3genE10ELNS1_11target_archE1201ELNS1_3gpuE5ELNS1_3repE0EEENS1_30default_config_static_selectorELNS0_4arch9wavefront6targetE0EEEvT1_
; %bb.0:
	.section	.rodata,"a",@progbits
	.p2align	6, 0x0
	.amdhsa_kernel _ZN7rocprim17ROCPRIM_400000_NS6detail17trampoline_kernelINS0_14default_configENS1_27scan_by_key_config_selectorIj11FixedVectorIiLj8EEEEZZNS1_16scan_by_key_implILNS1_25lookback_scan_determinismE0ELb1ES3_N6thrust23THRUST_200600_302600_NS6detail15normal_iteratorINSB_10device_ptrIjEEEENSD_INSE_IS6_EEEESI_S6_NSB_4plusIvEENSB_8equal_toIvEES6_EE10hipError_tPvRmT2_T3_T4_T5_mT6_T7_P12ihipStream_tbENKUlT_T0_E_clISt17integral_constantIbLb0EES12_IbLb1EEEEDaSY_SZ_EUlSY_E_NS1_11comp_targetILNS1_3genE10ELNS1_11target_archE1201ELNS1_3gpuE5ELNS1_3repE0EEENS1_30default_config_static_selectorELNS0_4arch9wavefront6targetE0EEEvT1_
		.amdhsa_group_segment_fixed_size 0
		.amdhsa_private_segment_fixed_size 0
		.amdhsa_kernarg_size 160
		.amdhsa_user_sgpr_count 6
		.amdhsa_user_sgpr_private_segment_buffer 1
		.amdhsa_user_sgpr_dispatch_ptr 0
		.amdhsa_user_sgpr_queue_ptr 0
		.amdhsa_user_sgpr_kernarg_segment_ptr 1
		.amdhsa_user_sgpr_dispatch_id 0
		.amdhsa_user_sgpr_flat_scratch_init 0
		.amdhsa_user_sgpr_private_segment_size 0
		.amdhsa_wavefront_size32 1
		.amdhsa_uses_dynamic_stack 0
		.amdhsa_system_sgpr_private_segment_wavefront_offset 0
		.amdhsa_system_sgpr_workgroup_id_x 1
		.amdhsa_system_sgpr_workgroup_id_y 0
		.amdhsa_system_sgpr_workgroup_id_z 0
		.amdhsa_system_sgpr_workgroup_info 0
		.amdhsa_system_vgpr_workitem_id 0
		.amdhsa_next_free_vgpr 1
		.amdhsa_next_free_sgpr 1
		.amdhsa_reserve_vcc 0
		.amdhsa_reserve_flat_scratch 0
		.amdhsa_float_round_mode_32 0
		.amdhsa_float_round_mode_16_64 0
		.amdhsa_float_denorm_mode_32 3
		.amdhsa_float_denorm_mode_16_64 3
		.amdhsa_dx10_clamp 1
		.amdhsa_ieee_mode 1
		.amdhsa_fp16_overflow 0
		.amdhsa_workgroup_processor_mode 1
		.amdhsa_memory_ordered 1
		.amdhsa_forward_progress 1
		.amdhsa_shared_vgpr_count 0
		.amdhsa_exception_fp_ieee_invalid_op 0
		.amdhsa_exception_fp_denorm_src 0
		.amdhsa_exception_fp_ieee_div_zero 0
		.amdhsa_exception_fp_ieee_overflow 0
		.amdhsa_exception_fp_ieee_underflow 0
		.amdhsa_exception_fp_ieee_inexact 0
		.amdhsa_exception_int_div_zero 0
	.end_amdhsa_kernel
	.section	.text._ZN7rocprim17ROCPRIM_400000_NS6detail17trampoline_kernelINS0_14default_configENS1_27scan_by_key_config_selectorIj11FixedVectorIiLj8EEEEZZNS1_16scan_by_key_implILNS1_25lookback_scan_determinismE0ELb1ES3_N6thrust23THRUST_200600_302600_NS6detail15normal_iteratorINSB_10device_ptrIjEEEENSD_INSE_IS6_EEEESI_S6_NSB_4plusIvEENSB_8equal_toIvEES6_EE10hipError_tPvRmT2_T3_T4_T5_mT6_T7_P12ihipStream_tbENKUlT_T0_E_clISt17integral_constantIbLb0EES12_IbLb1EEEEDaSY_SZ_EUlSY_E_NS1_11comp_targetILNS1_3genE10ELNS1_11target_archE1201ELNS1_3gpuE5ELNS1_3repE0EEENS1_30default_config_static_selectorELNS0_4arch9wavefront6targetE0EEEvT1_,"axG",@progbits,_ZN7rocprim17ROCPRIM_400000_NS6detail17trampoline_kernelINS0_14default_configENS1_27scan_by_key_config_selectorIj11FixedVectorIiLj8EEEEZZNS1_16scan_by_key_implILNS1_25lookback_scan_determinismE0ELb1ES3_N6thrust23THRUST_200600_302600_NS6detail15normal_iteratorINSB_10device_ptrIjEEEENSD_INSE_IS6_EEEESI_S6_NSB_4plusIvEENSB_8equal_toIvEES6_EE10hipError_tPvRmT2_T3_T4_T5_mT6_T7_P12ihipStream_tbENKUlT_T0_E_clISt17integral_constantIbLb0EES12_IbLb1EEEEDaSY_SZ_EUlSY_E_NS1_11comp_targetILNS1_3genE10ELNS1_11target_archE1201ELNS1_3gpuE5ELNS1_3repE0EEENS1_30default_config_static_selectorELNS0_4arch9wavefront6targetE0EEEvT1_,comdat
.Lfunc_end2185:
	.size	_ZN7rocprim17ROCPRIM_400000_NS6detail17trampoline_kernelINS0_14default_configENS1_27scan_by_key_config_selectorIj11FixedVectorIiLj8EEEEZZNS1_16scan_by_key_implILNS1_25lookback_scan_determinismE0ELb1ES3_N6thrust23THRUST_200600_302600_NS6detail15normal_iteratorINSB_10device_ptrIjEEEENSD_INSE_IS6_EEEESI_S6_NSB_4plusIvEENSB_8equal_toIvEES6_EE10hipError_tPvRmT2_T3_T4_T5_mT6_T7_P12ihipStream_tbENKUlT_T0_E_clISt17integral_constantIbLb0EES12_IbLb1EEEEDaSY_SZ_EUlSY_E_NS1_11comp_targetILNS1_3genE10ELNS1_11target_archE1201ELNS1_3gpuE5ELNS1_3repE0EEENS1_30default_config_static_selectorELNS0_4arch9wavefront6targetE0EEEvT1_, .Lfunc_end2185-_ZN7rocprim17ROCPRIM_400000_NS6detail17trampoline_kernelINS0_14default_configENS1_27scan_by_key_config_selectorIj11FixedVectorIiLj8EEEEZZNS1_16scan_by_key_implILNS1_25lookback_scan_determinismE0ELb1ES3_N6thrust23THRUST_200600_302600_NS6detail15normal_iteratorINSB_10device_ptrIjEEEENSD_INSE_IS6_EEEESI_S6_NSB_4plusIvEENSB_8equal_toIvEES6_EE10hipError_tPvRmT2_T3_T4_T5_mT6_T7_P12ihipStream_tbENKUlT_T0_E_clISt17integral_constantIbLb0EES12_IbLb1EEEEDaSY_SZ_EUlSY_E_NS1_11comp_targetILNS1_3genE10ELNS1_11target_archE1201ELNS1_3gpuE5ELNS1_3repE0EEENS1_30default_config_static_selectorELNS0_4arch9wavefront6targetE0EEEvT1_
                                        ; -- End function
	.set _ZN7rocprim17ROCPRIM_400000_NS6detail17trampoline_kernelINS0_14default_configENS1_27scan_by_key_config_selectorIj11FixedVectorIiLj8EEEEZZNS1_16scan_by_key_implILNS1_25lookback_scan_determinismE0ELb1ES3_N6thrust23THRUST_200600_302600_NS6detail15normal_iteratorINSB_10device_ptrIjEEEENSD_INSE_IS6_EEEESI_S6_NSB_4plusIvEENSB_8equal_toIvEES6_EE10hipError_tPvRmT2_T3_T4_T5_mT6_T7_P12ihipStream_tbENKUlT_T0_E_clISt17integral_constantIbLb0EES12_IbLb1EEEEDaSY_SZ_EUlSY_E_NS1_11comp_targetILNS1_3genE10ELNS1_11target_archE1201ELNS1_3gpuE5ELNS1_3repE0EEENS1_30default_config_static_selectorELNS0_4arch9wavefront6targetE0EEEvT1_.num_vgpr, 0
	.set _ZN7rocprim17ROCPRIM_400000_NS6detail17trampoline_kernelINS0_14default_configENS1_27scan_by_key_config_selectorIj11FixedVectorIiLj8EEEEZZNS1_16scan_by_key_implILNS1_25lookback_scan_determinismE0ELb1ES3_N6thrust23THRUST_200600_302600_NS6detail15normal_iteratorINSB_10device_ptrIjEEEENSD_INSE_IS6_EEEESI_S6_NSB_4plusIvEENSB_8equal_toIvEES6_EE10hipError_tPvRmT2_T3_T4_T5_mT6_T7_P12ihipStream_tbENKUlT_T0_E_clISt17integral_constantIbLb0EES12_IbLb1EEEEDaSY_SZ_EUlSY_E_NS1_11comp_targetILNS1_3genE10ELNS1_11target_archE1201ELNS1_3gpuE5ELNS1_3repE0EEENS1_30default_config_static_selectorELNS0_4arch9wavefront6targetE0EEEvT1_.num_agpr, 0
	.set _ZN7rocprim17ROCPRIM_400000_NS6detail17trampoline_kernelINS0_14default_configENS1_27scan_by_key_config_selectorIj11FixedVectorIiLj8EEEEZZNS1_16scan_by_key_implILNS1_25lookback_scan_determinismE0ELb1ES3_N6thrust23THRUST_200600_302600_NS6detail15normal_iteratorINSB_10device_ptrIjEEEENSD_INSE_IS6_EEEESI_S6_NSB_4plusIvEENSB_8equal_toIvEES6_EE10hipError_tPvRmT2_T3_T4_T5_mT6_T7_P12ihipStream_tbENKUlT_T0_E_clISt17integral_constantIbLb0EES12_IbLb1EEEEDaSY_SZ_EUlSY_E_NS1_11comp_targetILNS1_3genE10ELNS1_11target_archE1201ELNS1_3gpuE5ELNS1_3repE0EEENS1_30default_config_static_selectorELNS0_4arch9wavefront6targetE0EEEvT1_.numbered_sgpr, 0
	.set _ZN7rocprim17ROCPRIM_400000_NS6detail17trampoline_kernelINS0_14default_configENS1_27scan_by_key_config_selectorIj11FixedVectorIiLj8EEEEZZNS1_16scan_by_key_implILNS1_25lookback_scan_determinismE0ELb1ES3_N6thrust23THRUST_200600_302600_NS6detail15normal_iteratorINSB_10device_ptrIjEEEENSD_INSE_IS6_EEEESI_S6_NSB_4plusIvEENSB_8equal_toIvEES6_EE10hipError_tPvRmT2_T3_T4_T5_mT6_T7_P12ihipStream_tbENKUlT_T0_E_clISt17integral_constantIbLb0EES12_IbLb1EEEEDaSY_SZ_EUlSY_E_NS1_11comp_targetILNS1_3genE10ELNS1_11target_archE1201ELNS1_3gpuE5ELNS1_3repE0EEENS1_30default_config_static_selectorELNS0_4arch9wavefront6targetE0EEEvT1_.num_named_barrier, 0
	.set _ZN7rocprim17ROCPRIM_400000_NS6detail17trampoline_kernelINS0_14default_configENS1_27scan_by_key_config_selectorIj11FixedVectorIiLj8EEEEZZNS1_16scan_by_key_implILNS1_25lookback_scan_determinismE0ELb1ES3_N6thrust23THRUST_200600_302600_NS6detail15normal_iteratorINSB_10device_ptrIjEEEENSD_INSE_IS6_EEEESI_S6_NSB_4plusIvEENSB_8equal_toIvEES6_EE10hipError_tPvRmT2_T3_T4_T5_mT6_T7_P12ihipStream_tbENKUlT_T0_E_clISt17integral_constantIbLb0EES12_IbLb1EEEEDaSY_SZ_EUlSY_E_NS1_11comp_targetILNS1_3genE10ELNS1_11target_archE1201ELNS1_3gpuE5ELNS1_3repE0EEENS1_30default_config_static_selectorELNS0_4arch9wavefront6targetE0EEEvT1_.private_seg_size, 0
	.set _ZN7rocprim17ROCPRIM_400000_NS6detail17trampoline_kernelINS0_14default_configENS1_27scan_by_key_config_selectorIj11FixedVectorIiLj8EEEEZZNS1_16scan_by_key_implILNS1_25lookback_scan_determinismE0ELb1ES3_N6thrust23THRUST_200600_302600_NS6detail15normal_iteratorINSB_10device_ptrIjEEEENSD_INSE_IS6_EEEESI_S6_NSB_4plusIvEENSB_8equal_toIvEES6_EE10hipError_tPvRmT2_T3_T4_T5_mT6_T7_P12ihipStream_tbENKUlT_T0_E_clISt17integral_constantIbLb0EES12_IbLb1EEEEDaSY_SZ_EUlSY_E_NS1_11comp_targetILNS1_3genE10ELNS1_11target_archE1201ELNS1_3gpuE5ELNS1_3repE0EEENS1_30default_config_static_selectorELNS0_4arch9wavefront6targetE0EEEvT1_.uses_vcc, 0
	.set _ZN7rocprim17ROCPRIM_400000_NS6detail17trampoline_kernelINS0_14default_configENS1_27scan_by_key_config_selectorIj11FixedVectorIiLj8EEEEZZNS1_16scan_by_key_implILNS1_25lookback_scan_determinismE0ELb1ES3_N6thrust23THRUST_200600_302600_NS6detail15normal_iteratorINSB_10device_ptrIjEEEENSD_INSE_IS6_EEEESI_S6_NSB_4plusIvEENSB_8equal_toIvEES6_EE10hipError_tPvRmT2_T3_T4_T5_mT6_T7_P12ihipStream_tbENKUlT_T0_E_clISt17integral_constantIbLb0EES12_IbLb1EEEEDaSY_SZ_EUlSY_E_NS1_11comp_targetILNS1_3genE10ELNS1_11target_archE1201ELNS1_3gpuE5ELNS1_3repE0EEENS1_30default_config_static_selectorELNS0_4arch9wavefront6targetE0EEEvT1_.uses_flat_scratch, 0
	.set _ZN7rocprim17ROCPRIM_400000_NS6detail17trampoline_kernelINS0_14default_configENS1_27scan_by_key_config_selectorIj11FixedVectorIiLj8EEEEZZNS1_16scan_by_key_implILNS1_25lookback_scan_determinismE0ELb1ES3_N6thrust23THRUST_200600_302600_NS6detail15normal_iteratorINSB_10device_ptrIjEEEENSD_INSE_IS6_EEEESI_S6_NSB_4plusIvEENSB_8equal_toIvEES6_EE10hipError_tPvRmT2_T3_T4_T5_mT6_T7_P12ihipStream_tbENKUlT_T0_E_clISt17integral_constantIbLb0EES12_IbLb1EEEEDaSY_SZ_EUlSY_E_NS1_11comp_targetILNS1_3genE10ELNS1_11target_archE1201ELNS1_3gpuE5ELNS1_3repE0EEENS1_30default_config_static_selectorELNS0_4arch9wavefront6targetE0EEEvT1_.has_dyn_sized_stack, 0
	.set _ZN7rocprim17ROCPRIM_400000_NS6detail17trampoline_kernelINS0_14default_configENS1_27scan_by_key_config_selectorIj11FixedVectorIiLj8EEEEZZNS1_16scan_by_key_implILNS1_25lookback_scan_determinismE0ELb1ES3_N6thrust23THRUST_200600_302600_NS6detail15normal_iteratorINSB_10device_ptrIjEEEENSD_INSE_IS6_EEEESI_S6_NSB_4plusIvEENSB_8equal_toIvEES6_EE10hipError_tPvRmT2_T3_T4_T5_mT6_T7_P12ihipStream_tbENKUlT_T0_E_clISt17integral_constantIbLb0EES12_IbLb1EEEEDaSY_SZ_EUlSY_E_NS1_11comp_targetILNS1_3genE10ELNS1_11target_archE1201ELNS1_3gpuE5ELNS1_3repE0EEENS1_30default_config_static_selectorELNS0_4arch9wavefront6targetE0EEEvT1_.has_recursion, 0
	.set _ZN7rocprim17ROCPRIM_400000_NS6detail17trampoline_kernelINS0_14default_configENS1_27scan_by_key_config_selectorIj11FixedVectorIiLj8EEEEZZNS1_16scan_by_key_implILNS1_25lookback_scan_determinismE0ELb1ES3_N6thrust23THRUST_200600_302600_NS6detail15normal_iteratorINSB_10device_ptrIjEEEENSD_INSE_IS6_EEEESI_S6_NSB_4plusIvEENSB_8equal_toIvEES6_EE10hipError_tPvRmT2_T3_T4_T5_mT6_T7_P12ihipStream_tbENKUlT_T0_E_clISt17integral_constantIbLb0EES12_IbLb1EEEEDaSY_SZ_EUlSY_E_NS1_11comp_targetILNS1_3genE10ELNS1_11target_archE1201ELNS1_3gpuE5ELNS1_3repE0EEENS1_30default_config_static_selectorELNS0_4arch9wavefront6targetE0EEEvT1_.has_indirect_call, 0
	.section	.AMDGPU.csdata,"",@progbits
; Kernel info:
; codeLenInByte = 0
; TotalNumSgprs: 0
; NumVgprs: 0
; ScratchSize: 0
; MemoryBound: 0
; FloatMode: 240
; IeeeMode: 1
; LDSByteSize: 0 bytes/workgroup (compile time only)
; SGPRBlocks: 0
; VGPRBlocks: 0
; NumSGPRsForWavesPerEU: 1
; NumVGPRsForWavesPerEU: 1
; Occupancy: 16
; WaveLimiterHint : 0
; COMPUTE_PGM_RSRC2:SCRATCH_EN: 0
; COMPUTE_PGM_RSRC2:USER_SGPR: 6
; COMPUTE_PGM_RSRC2:TRAP_HANDLER: 0
; COMPUTE_PGM_RSRC2:TGID_X_EN: 1
; COMPUTE_PGM_RSRC2:TGID_Y_EN: 0
; COMPUTE_PGM_RSRC2:TGID_Z_EN: 0
; COMPUTE_PGM_RSRC2:TIDIG_COMP_CNT: 0
	.section	.text._ZN7rocprim17ROCPRIM_400000_NS6detail17trampoline_kernelINS0_14default_configENS1_27scan_by_key_config_selectorIj11FixedVectorIiLj8EEEEZZNS1_16scan_by_key_implILNS1_25lookback_scan_determinismE0ELb1ES3_N6thrust23THRUST_200600_302600_NS6detail15normal_iteratorINSB_10device_ptrIjEEEENSD_INSE_IS6_EEEESI_S6_NSB_4plusIvEENSB_8equal_toIvEES6_EE10hipError_tPvRmT2_T3_T4_T5_mT6_T7_P12ihipStream_tbENKUlT_T0_E_clISt17integral_constantIbLb0EES12_IbLb1EEEEDaSY_SZ_EUlSY_E_NS1_11comp_targetILNS1_3genE5ELNS1_11target_archE942ELNS1_3gpuE9ELNS1_3repE0EEENS1_30default_config_static_selectorELNS0_4arch9wavefront6targetE0EEEvT1_,"axG",@progbits,_ZN7rocprim17ROCPRIM_400000_NS6detail17trampoline_kernelINS0_14default_configENS1_27scan_by_key_config_selectorIj11FixedVectorIiLj8EEEEZZNS1_16scan_by_key_implILNS1_25lookback_scan_determinismE0ELb1ES3_N6thrust23THRUST_200600_302600_NS6detail15normal_iteratorINSB_10device_ptrIjEEEENSD_INSE_IS6_EEEESI_S6_NSB_4plusIvEENSB_8equal_toIvEES6_EE10hipError_tPvRmT2_T3_T4_T5_mT6_T7_P12ihipStream_tbENKUlT_T0_E_clISt17integral_constantIbLb0EES12_IbLb1EEEEDaSY_SZ_EUlSY_E_NS1_11comp_targetILNS1_3genE5ELNS1_11target_archE942ELNS1_3gpuE9ELNS1_3repE0EEENS1_30default_config_static_selectorELNS0_4arch9wavefront6targetE0EEEvT1_,comdat
	.protected	_ZN7rocprim17ROCPRIM_400000_NS6detail17trampoline_kernelINS0_14default_configENS1_27scan_by_key_config_selectorIj11FixedVectorIiLj8EEEEZZNS1_16scan_by_key_implILNS1_25lookback_scan_determinismE0ELb1ES3_N6thrust23THRUST_200600_302600_NS6detail15normal_iteratorINSB_10device_ptrIjEEEENSD_INSE_IS6_EEEESI_S6_NSB_4plusIvEENSB_8equal_toIvEES6_EE10hipError_tPvRmT2_T3_T4_T5_mT6_T7_P12ihipStream_tbENKUlT_T0_E_clISt17integral_constantIbLb0EES12_IbLb1EEEEDaSY_SZ_EUlSY_E_NS1_11comp_targetILNS1_3genE5ELNS1_11target_archE942ELNS1_3gpuE9ELNS1_3repE0EEENS1_30default_config_static_selectorELNS0_4arch9wavefront6targetE0EEEvT1_ ; -- Begin function _ZN7rocprim17ROCPRIM_400000_NS6detail17trampoline_kernelINS0_14default_configENS1_27scan_by_key_config_selectorIj11FixedVectorIiLj8EEEEZZNS1_16scan_by_key_implILNS1_25lookback_scan_determinismE0ELb1ES3_N6thrust23THRUST_200600_302600_NS6detail15normal_iteratorINSB_10device_ptrIjEEEENSD_INSE_IS6_EEEESI_S6_NSB_4plusIvEENSB_8equal_toIvEES6_EE10hipError_tPvRmT2_T3_T4_T5_mT6_T7_P12ihipStream_tbENKUlT_T0_E_clISt17integral_constantIbLb0EES12_IbLb1EEEEDaSY_SZ_EUlSY_E_NS1_11comp_targetILNS1_3genE5ELNS1_11target_archE942ELNS1_3gpuE9ELNS1_3repE0EEENS1_30default_config_static_selectorELNS0_4arch9wavefront6targetE0EEEvT1_
	.globl	_ZN7rocprim17ROCPRIM_400000_NS6detail17trampoline_kernelINS0_14default_configENS1_27scan_by_key_config_selectorIj11FixedVectorIiLj8EEEEZZNS1_16scan_by_key_implILNS1_25lookback_scan_determinismE0ELb1ES3_N6thrust23THRUST_200600_302600_NS6detail15normal_iteratorINSB_10device_ptrIjEEEENSD_INSE_IS6_EEEESI_S6_NSB_4plusIvEENSB_8equal_toIvEES6_EE10hipError_tPvRmT2_T3_T4_T5_mT6_T7_P12ihipStream_tbENKUlT_T0_E_clISt17integral_constantIbLb0EES12_IbLb1EEEEDaSY_SZ_EUlSY_E_NS1_11comp_targetILNS1_3genE5ELNS1_11target_archE942ELNS1_3gpuE9ELNS1_3repE0EEENS1_30default_config_static_selectorELNS0_4arch9wavefront6targetE0EEEvT1_
	.p2align	8
	.type	_ZN7rocprim17ROCPRIM_400000_NS6detail17trampoline_kernelINS0_14default_configENS1_27scan_by_key_config_selectorIj11FixedVectorIiLj8EEEEZZNS1_16scan_by_key_implILNS1_25lookback_scan_determinismE0ELb1ES3_N6thrust23THRUST_200600_302600_NS6detail15normal_iteratorINSB_10device_ptrIjEEEENSD_INSE_IS6_EEEESI_S6_NSB_4plusIvEENSB_8equal_toIvEES6_EE10hipError_tPvRmT2_T3_T4_T5_mT6_T7_P12ihipStream_tbENKUlT_T0_E_clISt17integral_constantIbLb0EES12_IbLb1EEEEDaSY_SZ_EUlSY_E_NS1_11comp_targetILNS1_3genE5ELNS1_11target_archE942ELNS1_3gpuE9ELNS1_3repE0EEENS1_30default_config_static_selectorELNS0_4arch9wavefront6targetE0EEEvT1_,@function
_ZN7rocprim17ROCPRIM_400000_NS6detail17trampoline_kernelINS0_14default_configENS1_27scan_by_key_config_selectorIj11FixedVectorIiLj8EEEEZZNS1_16scan_by_key_implILNS1_25lookback_scan_determinismE0ELb1ES3_N6thrust23THRUST_200600_302600_NS6detail15normal_iteratorINSB_10device_ptrIjEEEENSD_INSE_IS6_EEEESI_S6_NSB_4plusIvEENSB_8equal_toIvEES6_EE10hipError_tPvRmT2_T3_T4_T5_mT6_T7_P12ihipStream_tbENKUlT_T0_E_clISt17integral_constantIbLb0EES12_IbLb1EEEEDaSY_SZ_EUlSY_E_NS1_11comp_targetILNS1_3genE5ELNS1_11target_archE942ELNS1_3gpuE9ELNS1_3repE0EEENS1_30default_config_static_selectorELNS0_4arch9wavefront6targetE0EEEvT1_: ; @_ZN7rocprim17ROCPRIM_400000_NS6detail17trampoline_kernelINS0_14default_configENS1_27scan_by_key_config_selectorIj11FixedVectorIiLj8EEEEZZNS1_16scan_by_key_implILNS1_25lookback_scan_determinismE0ELb1ES3_N6thrust23THRUST_200600_302600_NS6detail15normal_iteratorINSB_10device_ptrIjEEEENSD_INSE_IS6_EEEESI_S6_NSB_4plusIvEENSB_8equal_toIvEES6_EE10hipError_tPvRmT2_T3_T4_T5_mT6_T7_P12ihipStream_tbENKUlT_T0_E_clISt17integral_constantIbLb0EES12_IbLb1EEEEDaSY_SZ_EUlSY_E_NS1_11comp_targetILNS1_3genE5ELNS1_11target_archE942ELNS1_3gpuE9ELNS1_3repE0EEENS1_30default_config_static_selectorELNS0_4arch9wavefront6targetE0EEEvT1_
; %bb.0:
	.section	.rodata,"a",@progbits
	.p2align	6, 0x0
	.amdhsa_kernel _ZN7rocprim17ROCPRIM_400000_NS6detail17trampoline_kernelINS0_14default_configENS1_27scan_by_key_config_selectorIj11FixedVectorIiLj8EEEEZZNS1_16scan_by_key_implILNS1_25lookback_scan_determinismE0ELb1ES3_N6thrust23THRUST_200600_302600_NS6detail15normal_iteratorINSB_10device_ptrIjEEEENSD_INSE_IS6_EEEESI_S6_NSB_4plusIvEENSB_8equal_toIvEES6_EE10hipError_tPvRmT2_T3_T4_T5_mT6_T7_P12ihipStream_tbENKUlT_T0_E_clISt17integral_constantIbLb0EES12_IbLb1EEEEDaSY_SZ_EUlSY_E_NS1_11comp_targetILNS1_3genE5ELNS1_11target_archE942ELNS1_3gpuE9ELNS1_3repE0EEENS1_30default_config_static_selectorELNS0_4arch9wavefront6targetE0EEEvT1_
		.amdhsa_group_segment_fixed_size 0
		.amdhsa_private_segment_fixed_size 0
		.amdhsa_kernarg_size 160
		.amdhsa_user_sgpr_count 6
		.amdhsa_user_sgpr_private_segment_buffer 1
		.amdhsa_user_sgpr_dispatch_ptr 0
		.amdhsa_user_sgpr_queue_ptr 0
		.amdhsa_user_sgpr_kernarg_segment_ptr 1
		.amdhsa_user_sgpr_dispatch_id 0
		.amdhsa_user_sgpr_flat_scratch_init 0
		.amdhsa_user_sgpr_private_segment_size 0
		.amdhsa_wavefront_size32 1
		.amdhsa_uses_dynamic_stack 0
		.amdhsa_system_sgpr_private_segment_wavefront_offset 0
		.amdhsa_system_sgpr_workgroup_id_x 1
		.amdhsa_system_sgpr_workgroup_id_y 0
		.amdhsa_system_sgpr_workgroup_id_z 0
		.amdhsa_system_sgpr_workgroup_info 0
		.amdhsa_system_vgpr_workitem_id 0
		.amdhsa_next_free_vgpr 1
		.amdhsa_next_free_sgpr 1
		.amdhsa_reserve_vcc 0
		.amdhsa_reserve_flat_scratch 0
		.amdhsa_float_round_mode_32 0
		.amdhsa_float_round_mode_16_64 0
		.amdhsa_float_denorm_mode_32 3
		.amdhsa_float_denorm_mode_16_64 3
		.amdhsa_dx10_clamp 1
		.amdhsa_ieee_mode 1
		.amdhsa_fp16_overflow 0
		.amdhsa_workgroup_processor_mode 1
		.amdhsa_memory_ordered 1
		.amdhsa_forward_progress 1
		.amdhsa_shared_vgpr_count 0
		.amdhsa_exception_fp_ieee_invalid_op 0
		.amdhsa_exception_fp_denorm_src 0
		.amdhsa_exception_fp_ieee_div_zero 0
		.amdhsa_exception_fp_ieee_overflow 0
		.amdhsa_exception_fp_ieee_underflow 0
		.amdhsa_exception_fp_ieee_inexact 0
		.amdhsa_exception_int_div_zero 0
	.end_amdhsa_kernel
	.section	.text._ZN7rocprim17ROCPRIM_400000_NS6detail17trampoline_kernelINS0_14default_configENS1_27scan_by_key_config_selectorIj11FixedVectorIiLj8EEEEZZNS1_16scan_by_key_implILNS1_25lookback_scan_determinismE0ELb1ES3_N6thrust23THRUST_200600_302600_NS6detail15normal_iteratorINSB_10device_ptrIjEEEENSD_INSE_IS6_EEEESI_S6_NSB_4plusIvEENSB_8equal_toIvEES6_EE10hipError_tPvRmT2_T3_T4_T5_mT6_T7_P12ihipStream_tbENKUlT_T0_E_clISt17integral_constantIbLb0EES12_IbLb1EEEEDaSY_SZ_EUlSY_E_NS1_11comp_targetILNS1_3genE5ELNS1_11target_archE942ELNS1_3gpuE9ELNS1_3repE0EEENS1_30default_config_static_selectorELNS0_4arch9wavefront6targetE0EEEvT1_,"axG",@progbits,_ZN7rocprim17ROCPRIM_400000_NS6detail17trampoline_kernelINS0_14default_configENS1_27scan_by_key_config_selectorIj11FixedVectorIiLj8EEEEZZNS1_16scan_by_key_implILNS1_25lookback_scan_determinismE0ELb1ES3_N6thrust23THRUST_200600_302600_NS6detail15normal_iteratorINSB_10device_ptrIjEEEENSD_INSE_IS6_EEEESI_S6_NSB_4plusIvEENSB_8equal_toIvEES6_EE10hipError_tPvRmT2_T3_T4_T5_mT6_T7_P12ihipStream_tbENKUlT_T0_E_clISt17integral_constantIbLb0EES12_IbLb1EEEEDaSY_SZ_EUlSY_E_NS1_11comp_targetILNS1_3genE5ELNS1_11target_archE942ELNS1_3gpuE9ELNS1_3repE0EEENS1_30default_config_static_selectorELNS0_4arch9wavefront6targetE0EEEvT1_,comdat
.Lfunc_end2186:
	.size	_ZN7rocprim17ROCPRIM_400000_NS6detail17trampoline_kernelINS0_14default_configENS1_27scan_by_key_config_selectorIj11FixedVectorIiLj8EEEEZZNS1_16scan_by_key_implILNS1_25lookback_scan_determinismE0ELb1ES3_N6thrust23THRUST_200600_302600_NS6detail15normal_iteratorINSB_10device_ptrIjEEEENSD_INSE_IS6_EEEESI_S6_NSB_4plusIvEENSB_8equal_toIvEES6_EE10hipError_tPvRmT2_T3_T4_T5_mT6_T7_P12ihipStream_tbENKUlT_T0_E_clISt17integral_constantIbLb0EES12_IbLb1EEEEDaSY_SZ_EUlSY_E_NS1_11comp_targetILNS1_3genE5ELNS1_11target_archE942ELNS1_3gpuE9ELNS1_3repE0EEENS1_30default_config_static_selectorELNS0_4arch9wavefront6targetE0EEEvT1_, .Lfunc_end2186-_ZN7rocprim17ROCPRIM_400000_NS6detail17trampoline_kernelINS0_14default_configENS1_27scan_by_key_config_selectorIj11FixedVectorIiLj8EEEEZZNS1_16scan_by_key_implILNS1_25lookback_scan_determinismE0ELb1ES3_N6thrust23THRUST_200600_302600_NS6detail15normal_iteratorINSB_10device_ptrIjEEEENSD_INSE_IS6_EEEESI_S6_NSB_4plusIvEENSB_8equal_toIvEES6_EE10hipError_tPvRmT2_T3_T4_T5_mT6_T7_P12ihipStream_tbENKUlT_T0_E_clISt17integral_constantIbLb0EES12_IbLb1EEEEDaSY_SZ_EUlSY_E_NS1_11comp_targetILNS1_3genE5ELNS1_11target_archE942ELNS1_3gpuE9ELNS1_3repE0EEENS1_30default_config_static_selectorELNS0_4arch9wavefront6targetE0EEEvT1_
                                        ; -- End function
	.set _ZN7rocprim17ROCPRIM_400000_NS6detail17trampoline_kernelINS0_14default_configENS1_27scan_by_key_config_selectorIj11FixedVectorIiLj8EEEEZZNS1_16scan_by_key_implILNS1_25lookback_scan_determinismE0ELb1ES3_N6thrust23THRUST_200600_302600_NS6detail15normal_iteratorINSB_10device_ptrIjEEEENSD_INSE_IS6_EEEESI_S6_NSB_4plusIvEENSB_8equal_toIvEES6_EE10hipError_tPvRmT2_T3_T4_T5_mT6_T7_P12ihipStream_tbENKUlT_T0_E_clISt17integral_constantIbLb0EES12_IbLb1EEEEDaSY_SZ_EUlSY_E_NS1_11comp_targetILNS1_3genE5ELNS1_11target_archE942ELNS1_3gpuE9ELNS1_3repE0EEENS1_30default_config_static_selectorELNS0_4arch9wavefront6targetE0EEEvT1_.num_vgpr, 0
	.set _ZN7rocprim17ROCPRIM_400000_NS6detail17trampoline_kernelINS0_14default_configENS1_27scan_by_key_config_selectorIj11FixedVectorIiLj8EEEEZZNS1_16scan_by_key_implILNS1_25lookback_scan_determinismE0ELb1ES3_N6thrust23THRUST_200600_302600_NS6detail15normal_iteratorINSB_10device_ptrIjEEEENSD_INSE_IS6_EEEESI_S6_NSB_4plusIvEENSB_8equal_toIvEES6_EE10hipError_tPvRmT2_T3_T4_T5_mT6_T7_P12ihipStream_tbENKUlT_T0_E_clISt17integral_constantIbLb0EES12_IbLb1EEEEDaSY_SZ_EUlSY_E_NS1_11comp_targetILNS1_3genE5ELNS1_11target_archE942ELNS1_3gpuE9ELNS1_3repE0EEENS1_30default_config_static_selectorELNS0_4arch9wavefront6targetE0EEEvT1_.num_agpr, 0
	.set _ZN7rocprim17ROCPRIM_400000_NS6detail17trampoline_kernelINS0_14default_configENS1_27scan_by_key_config_selectorIj11FixedVectorIiLj8EEEEZZNS1_16scan_by_key_implILNS1_25lookback_scan_determinismE0ELb1ES3_N6thrust23THRUST_200600_302600_NS6detail15normal_iteratorINSB_10device_ptrIjEEEENSD_INSE_IS6_EEEESI_S6_NSB_4plusIvEENSB_8equal_toIvEES6_EE10hipError_tPvRmT2_T3_T4_T5_mT6_T7_P12ihipStream_tbENKUlT_T0_E_clISt17integral_constantIbLb0EES12_IbLb1EEEEDaSY_SZ_EUlSY_E_NS1_11comp_targetILNS1_3genE5ELNS1_11target_archE942ELNS1_3gpuE9ELNS1_3repE0EEENS1_30default_config_static_selectorELNS0_4arch9wavefront6targetE0EEEvT1_.numbered_sgpr, 0
	.set _ZN7rocprim17ROCPRIM_400000_NS6detail17trampoline_kernelINS0_14default_configENS1_27scan_by_key_config_selectorIj11FixedVectorIiLj8EEEEZZNS1_16scan_by_key_implILNS1_25lookback_scan_determinismE0ELb1ES3_N6thrust23THRUST_200600_302600_NS6detail15normal_iteratorINSB_10device_ptrIjEEEENSD_INSE_IS6_EEEESI_S6_NSB_4plusIvEENSB_8equal_toIvEES6_EE10hipError_tPvRmT2_T3_T4_T5_mT6_T7_P12ihipStream_tbENKUlT_T0_E_clISt17integral_constantIbLb0EES12_IbLb1EEEEDaSY_SZ_EUlSY_E_NS1_11comp_targetILNS1_3genE5ELNS1_11target_archE942ELNS1_3gpuE9ELNS1_3repE0EEENS1_30default_config_static_selectorELNS0_4arch9wavefront6targetE0EEEvT1_.num_named_barrier, 0
	.set _ZN7rocprim17ROCPRIM_400000_NS6detail17trampoline_kernelINS0_14default_configENS1_27scan_by_key_config_selectorIj11FixedVectorIiLj8EEEEZZNS1_16scan_by_key_implILNS1_25lookback_scan_determinismE0ELb1ES3_N6thrust23THRUST_200600_302600_NS6detail15normal_iteratorINSB_10device_ptrIjEEEENSD_INSE_IS6_EEEESI_S6_NSB_4plusIvEENSB_8equal_toIvEES6_EE10hipError_tPvRmT2_T3_T4_T5_mT6_T7_P12ihipStream_tbENKUlT_T0_E_clISt17integral_constantIbLb0EES12_IbLb1EEEEDaSY_SZ_EUlSY_E_NS1_11comp_targetILNS1_3genE5ELNS1_11target_archE942ELNS1_3gpuE9ELNS1_3repE0EEENS1_30default_config_static_selectorELNS0_4arch9wavefront6targetE0EEEvT1_.private_seg_size, 0
	.set _ZN7rocprim17ROCPRIM_400000_NS6detail17trampoline_kernelINS0_14default_configENS1_27scan_by_key_config_selectorIj11FixedVectorIiLj8EEEEZZNS1_16scan_by_key_implILNS1_25lookback_scan_determinismE0ELb1ES3_N6thrust23THRUST_200600_302600_NS6detail15normal_iteratorINSB_10device_ptrIjEEEENSD_INSE_IS6_EEEESI_S6_NSB_4plusIvEENSB_8equal_toIvEES6_EE10hipError_tPvRmT2_T3_T4_T5_mT6_T7_P12ihipStream_tbENKUlT_T0_E_clISt17integral_constantIbLb0EES12_IbLb1EEEEDaSY_SZ_EUlSY_E_NS1_11comp_targetILNS1_3genE5ELNS1_11target_archE942ELNS1_3gpuE9ELNS1_3repE0EEENS1_30default_config_static_selectorELNS0_4arch9wavefront6targetE0EEEvT1_.uses_vcc, 0
	.set _ZN7rocprim17ROCPRIM_400000_NS6detail17trampoline_kernelINS0_14default_configENS1_27scan_by_key_config_selectorIj11FixedVectorIiLj8EEEEZZNS1_16scan_by_key_implILNS1_25lookback_scan_determinismE0ELb1ES3_N6thrust23THRUST_200600_302600_NS6detail15normal_iteratorINSB_10device_ptrIjEEEENSD_INSE_IS6_EEEESI_S6_NSB_4plusIvEENSB_8equal_toIvEES6_EE10hipError_tPvRmT2_T3_T4_T5_mT6_T7_P12ihipStream_tbENKUlT_T0_E_clISt17integral_constantIbLb0EES12_IbLb1EEEEDaSY_SZ_EUlSY_E_NS1_11comp_targetILNS1_3genE5ELNS1_11target_archE942ELNS1_3gpuE9ELNS1_3repE0EEENS1_30default_config_static_selectorELNS0_4arch9wavefront6targetE0EEEvT1_.uses_flat_scratch, 0
	.set _ZN7rocprim17ROCPRIM_400000_NS6detail17trampoline_kernelINS0_14default_configENS1_27scan_by_key_config_selectorIj11FixedVectorIiLj8EEEEZZNS1_16scan_by_key_implILNS1_25lookback_scan_determinismE0ELb1ES3_N6thrust23THRUST_200600_302600_NS6detail15normal_iteratorINSB_10device_ptrIjEEEENSD_INSE_IS6_EEEESI_S6_NSB_4plusIvEENSB_8equal_toIvEES6_EE10hipError_tPvRmT2_T3_T4_T5_mT6_T7_P12ihipStream_tbENKUlT_T0_E_clISt17integral_constantIbLb0EES12_IbLb1EEEEDaSY_SZ_EUlSY_E_NS1_11comp_targetILNS1_3genE5ELNS1_11target_archE942ELNS1_3gpuE9ELNS1_3repE0EEENS1_30default_config_static_selectorELNS0_4arch9wavefront6targetE0EEEvT1_.has_dyn_sized_stack, 0
	.set _ZN7rocprim17ROCPRIM_400000_NS6detail17trampoline_kernelINS0_14default_configENS1_27scan_by_key_config_selectorIj11FixedVectorIiLj8EEEEZZNS1_16scan_by_key_implILNS1_25lookback_scan_determinismE0ELb1ES3_N6thrust23THRUST_200600_302600_NS6detail15normal_iteratorINSB_10device_ptrIjEEEENSD_INSE_IS6_EEEESI_S6_NSB_4plusIvEENSB_8equal_toIvEES6_EE10hipError_tPvRmT2_T3_T4_T5_mT6_T7_P12ihipStream_tbENKUlT_T0_E_clISt17integral_constantIbLb0EES12_IbLb1EEEEDaSY_SZ_EUlSY_E_NS1_11comp_targetILNS1_3genE5ELNS1_11target_archE942ELNS1_3gpuE9ELNS1_3repE0EEENS1_30default_config_static_selectorELNS0_4arch9wavefront6targetE0EEEvT1_.has_recursion, 0
	.set _ZN7rocprim17ROCPRIM_400000_NS6detail17trampoline_kernelINS0_14default_configENS1_27scan_by_key_config_selectorIj11FixedVectorIiLj8EEEEZZNS1_16scan_by_key_implILNS1_25lookback_scan_determinismE0ELb1ES3_N6thrust23THRUST_200600_302600_NS6detail15normal_iteratorINSB_10device_ptrIjEEEENSD_INSE_IS6_EEEESI_S6_NSB_4plusIvEENSB_8equal_toIvEES6_EE10hipError_tPvRmT2_T3_T4_T5_mT6_T7_P12ihipStream_tbENKUlT_T0_E_clISt17integral_constantIbLb0EES12_IbLb1EEEEDaSY_SZ_EUlSY_E_NS1_11comp_targetILNS1_3genE5ELNS1_11target_archE942ELNS1_3gpuE9ELNS1_3repE0EEENS1_30default_config_static_selectorELNS0_4arch9wavefront6targetE0EEEvT1_.has_indirect_call, 0
	.section	.AMDGPU.csdata,"",@progbits
; Kernel info:
; codeLenInByte = 0
; TotalNumSgprs: 0
; NumVgprs: 0
; ScratchSize: 0
; MemoryBound: 0
; FloatMode: 240
; IeeeMode: 1
; LDSByteSize: 0 bytes/workgroup (compile time only)
; SGPRBlocks: 0
; VGPRBlocks: 0
; NumSGPRsForWavesPerEU: 1
; NumVGPRsForWavesPerEU: 1
; Occupancy: 16
; WaveLimiterHint : 0
; COMPUTE_PGM_RSRC2:SCRATCH_EN: 0
; COMPUTE_PGM_RSRC2:USER_SGPR: 6
; COMPUTE_PGM_RSRC2:TRAP_HANDLER: 0
; COMPUTE_PGM_RSRC2:TGID_X_EN: 1
; COMPUTE_PGM_RSRC2:TGID_Y_EN: 0
; COMPUTE_PGM_RSRC2:TGID_Z_EN: 0
; COMPUTE_PGM_RSRC2:TIDIG_COMP_CNT: 0
	.section	.text._ZN7rocprim17ROCPRIM_400000_NS6detail17trampoline_kernelINS0_14default_configENS1_27scan_by_key_config_selectorIj11FixedVectorIiLj8EEEEZZNS1_16scan_by_key_implILNS1_25lookback_scan_determinismE0ELb1ES3_N6thrust23THRUST_200600_302600_NS6detail15normal_iteratorINSB_10device_ptrIjEEEENSD_INSE_IS6_EEEESI_S6_NSB_4plusIvEENSB_8equal_toIvEES6_EE10hipError_tPvRmT2_T3_T4_T5_mT6_T7_P12ihipStream_tbENKUlT_T0_E_clISt17integral_constantIbLb0EES12_IbLb1EEEEDaSY_SZ_EUlSY_E_NS1_11comp_targetILNS1_3genE4ELNS1_11target_archE910ELNS1_3gpuE8ELNS1_3repE0EEENS1_30default_config_static_selectorELNS0_4arch9wavefront6targetE0EEEvT1_,"axG",@progbits,_ZN7rocprim17ROCPRIM_400000_NS6detail17trampoline_kernelINS0_14default_configENS1_27scan_by_key_config_selectorIj11FixedVectorIiLj8EEEEZZNS1_16scan_by_key_implILNS1_25lookback_scan_determinismE0ELb1ES3_N6thrust23THRUST_200600_302600_NS6detail15normal_iteratorINSB_10device_ptrIjEEEENSD_INSE_IS6_EEEESI_S6_NSB_4plusIvEENSB_8equal_toIvEES6_EE10hipError_tPvRmT2_T3_T4_T5_mT6_T7_P12ihipStream_tbENKUlT_T0_E_clISt17integral_constantIbLb0EES12_IbLb1EEEEDaSY_SZ_EUlSY_E_NS1_11comp_targetILNS1_3genE4ELNS1_11target_archE910ELNS1_3gpuE8ELNS1_3repE0EEENS1_30default_config_static_selectorELNS0_4arch9wavefront6targetE0EEEvT1_,comdat
	.protected	_ZN7rocprim17ROCPRIM_400000_NS6detail17trampoline_kernelINS0_14default_configENS1_27scan_by_key_config_selectorIj11FixedVectorIiLj8EEEEZZNS1_16scan_by_key_implILNS1_25lookback_scan_determinismE0ELb1ES3_N6thrust23THRUST_200600_302600_NS6detail15normal_iteratorINSB_10device_ptrIjEEEENSD_INSE_IS6_EEEESI_S6_NSB_4plusIvEENSB_8equal_toIvEES6_EE10hipError_tPvRmT2_T3_T4_T5_mT6_T7_P12ihipStream_tbENKUlT_T0_E_clISt17integral_constantIbLb0EES12_IbLb1EEEEDaSY_SZ_EUlSY_E_NS1_11comp_targetILNS1_3genE4ELNS1_11target_archE910ELNS1_3gpuE8ELNS1_3repE0EEENS1_30default_config_static_selectorELNS0_4arch9wavefront6targetE0EEEvT1_ ; -- Begin function _ZN7rocprim17ROCPRIM_400000_NS6detail17trampoline_kernelINS0_14default_configENS1_27scan_by_key_config_selectorIj11FixedVectorIiLj8EEEEZZNS1_16scan_by_key_implILNS1_25lookback_scan_determinismE0ELb1ES3_N6thrust23THRUST_200600_302600_NS6detail15normal_iteratorINSB_10device_ptrIjEEEENSD_INSE_IS6_EEEESI_S6_NSB_4plusIvEENSB_8equal_toIvEES6_EE10hipError_tPvRmT2_T3_T4_T5_mT6_T7_P12ihipStream_tbENKUlT_T0_E_clISt17integral_constantIbLb0EES12_IbLb1EEEEDaSY_SZ_EUlSY_E_NS1_11comp_targetILNS1_3genE4ELNS1_11target_archE910ELNS1_3gpuE8ELNS1_3repE0EEENS1_30default_config_static_selectorELNS0_4arch9wavefront6targetE0EEEvT1_
	.globl	_ZN7rocprim17ROCPRIM_400000_NS6detail17trampoline_kernelINS0_14default_configENS1_27scan_by_key_config_selectorIj11FixedVectorIiLj8EEEEZZNS1_16scan_by_key_implILNS1_25lookback_scan_determinismE0ELb1ES3_N6thrust23THRUST_200600_302600_NS6detail15normal_iteratorINSB_10device_ptrIjEEEENSD_INSE_IS6_EEEESI_S6_NSB_4plusIvEENSB_8equal_toIvEES6_EE10hipError_tPvRmT2_T3_T4_T5_mT6_T7_P12ihipStream_tbENKUlT_T0_E_clISt17integral_constantIbLb0EES12_IbLb1EEEEDaSY_SZ_EUlSY_E_NS1_11comp_targetILNS1_3genE4ELNS1_11target_archE910ELNS1_3gpuE8ELNS1_3repE0EEENS1_30default_config_static_selectorELNS0_4arch9wavefront6targetE0EEEvT1_
	.p2align	8
	.type	_ZN7rocprim17ROCPRIM_400000_NS6detail17trampoline_kernelINS0_14default_configENS1_27scan_by_key_config_selectorIj11FixedVectorIiLj8EEEEZZNS1_16scan_by_key_implILNS1_25lookback_scan_determinismE0ELb1ES3_N6thrust23THRUST_200600_302600_NS6detail15normal_iteratorINSB_10device_ptrIjEEEENSD_INSE_IS6_EEEESI_S6_NSB_4plusIvEENSB_8equal_toIvEES6_EE10hipError_tPvRmT2_T3_T4_T5_mT6_T7_P12ihipStream_tbENKUlT_T0_E_clISt17integral_constantIbLb0EES12_IbLb1EEEEDaSY_SZ_EUlSY_E_NS1_11comp_targetILNS1_3genE4ELNS1_11target_archE910ELNS1_3gpuE8ELNS1_3repE0EEENS1_30default_config_static_selectorELNS0_4arch9wavefront6targetE0EEEvT1_,@function
_ZN7rocprim17ROCPRIM_400000_NS6detail17trampoline_kernelINS0_14default_configENS1_27scan_by_key_config_selectorIj11FixedVectorIiLj8EEEEZZNS1_16scan_by_key_implILNS1_25lookback_scan_determinismE0ELb1ES3_N6thrust23THRUST_200600_302600_NS6detail15normal_iteratorINSB_10device_ptrIjEEEENSD_INSE_IS6_EEEESI_S6_NSB_4plusIvEENSB_8equal_toIvEES6_EE10hipError_tPvRmT2_T3_T4_T5_mT6_T7_P12ihipStream_tbENKUlT_T0_E_clISt17integral_constantIbLb0EES12_IbLb1EEEEDaSY_SZ_EUlSY_E_NS1_11comp_targetILNS1_3genE4ELNS1_11target_archE910ELNS1_3gpuE8ELNS1_3repE0EEENS1_30default_config_static_selectorELNS0_4arch9wavefront6targetE0EEEvT1_: ; @_ZN7rocprim17ROCPRIM_400000_NS6detail17trampoline_kernelINS0_14default_configENS1_27scan_by_key_config_selectorIj11FixedVectorIiLj8EEEEZZNS1_16scan_by_key_implILNS1_25lookback_scan_determinismE0ELb1ES3_N6thrust23THRUST_200600_302600_NS6detail15normal_iteratorINSB_10device_ptrIjEEEENSD_INSE_IS6_EEEESI_S6_NSB_4plusIvEENSB_8equal_toIvEES6_EE10hipError_tPvRmT2_T3_T4_T5_mT6_T7_P12ihipStream_tbENKUlT_T0_E_clISt17integral_constantIbLb0EES12_IbLb1EEEEDaSY_SZ_EUlSY_E_NS1_11comp_targetILNS1_3genE4ELNS1_11target_archE910ELNS1_3gpuE8ELNS1_3repE0EEENS1_30default_config_static_selectorELNS0_4arch9wavefront6targetE0EEEvT1_
; %bb.0:
	.section	.rodata,"a",@progbits
	.p2align	6, 0x0
	.amdhsa_kernel _ZN7rocprim17ROCPRIM_400000_NS6detail17trampoline_kernelINS0_14default_configENS1_27scan_by_key_config_selectorIj11FixedVectorIiLj8EEEEZZNS1_16scan_by_key_implILNS1_25lookback_scan_determinismE0ELb1ES3_N6thrust23THRUST_200600_302600_NS6detail15normal_iteratorINSB_10device_ptrIjEEEENSD_INSE_IS6_EEEESI_S6_NSB_4plusIvEENSB_8equal_toIvEES6_EE10hipError_tPvRmT2_T3_T4_T5_mT6_T7_P12ihipStream_tbENKUlT_T0_E_clISt17integral_constantIbLb0EES12_IbLb1EEEEDaSY_SZ_EUlSY_E_NS1_11comp_targetILNS1_3genE4ELNS1_11target_archE910ELNS1_3gpuE8ELNS1_3repE0EEENS1_30default_config_static_selectorELNS0_4arch9wavefront6targetE0EEEvT1_
		.amdhsa_group_segment_fixed_size 0
		.amdhsa_private_segment_fixed_size 0
		.amdhsa_kernarg_size 160
		.amdhsa_user_sgpr_count 6
		.amdhsa_user_sgpr_private_segment_buffer 1
		.amdhsa_user_sgpr_dispatch_ptr 0
		.amdhsa_user_sgpr_queue_ptr 0
		.amdhsa_user_sgpr_kernarg_segment_ptr 1
		.amdhsa_user_sgpr_dispatch_id 0
		.amdhsa_user_sgpr_flat_scratch_init 0
		.amdhsa_user_sgpr_private_segment_size 0
		.amdhsa_wavefront_size32 1
		.amdhsa_uses_dynamic_stack 0
		.amdhsa_system_sgpr_private_segment_wavefront_offset 0
		.amdhsa_system_sgpr_workgroup_id_x 1
		.amdhsa_system_sgpr_workgroup_id_y 0
		.amdhsa_system_sgpr_workgroup_id_z 0
		.amdhsa_system_sgpr_workgroup_info 0
		.amdhsa_system_vgpr_workitem_id 0
		.amdhsa_next_free_vgpr 1
		.amdhsa_next_free_sgpr 1
		.amdhsa_reserve_vcc 0
		.amdhsa_reserve_flat_scratch 0
		.amdhsa_float_round_mode_32 0
		.amdhsa_float_round_mode_16_64 0
		.amdhsa_float_denorm_mode_32 3
		.amdhsa_float_denorm_mode_16_64 3
		.amdhsa_dx10_clamp 1
		.amdhsa_ieee_mode 1
		.amdhsa_fp16_overflow 0
		.amdhsa_workgroup_processor_mode 1
		.amdhsa_memory_ordered 1
		.amdhsa_forward_progress 1
		.amdhsa_shared_vgpr_count 0
		.amdhsa_exception_fp_ieee_invalid_op 0
		.amdhsa_exception_fp_denorm_src 0
		.amdhsa_exception_fp_ieee_div_zero 0
		.amdhsa_exception_fp_ieee_overflow 0
		.amdhsa_exception_fp_ieee_underflow 0
		.amdhsa_exception_fp_ieee_inexact 0
		.amdhsa_exception_int_div_zero 0
	.end_amdhsa_kernel
	.section	.text._ZN7rocprim17ROCPRIM_400000_NS6detail17trampoline_kernelINS0_14default_configENS1_27scan_by_key_config_selectorIj11FixedVectorIiLj8EEEEZZNS1_16scan_by_key_implILNS1_25lookback_scan_determinismE0ELb1ES3_N6thrust23THRUST_200600_302600_NS6detail15normal_iteratorINSB_10device_ptrIjEEEENSD_INSE_IS6_EEEESI_S6_NSB_4plusIvEENSB_8equal_toIvEES6_EE10hipError_tPvRmT2_T3_T4_T5_mT6_T7_P12ihipStream_tbENKUlT_T0_E_clISt17integral_constantIbLb0EES12_IbLb1EEEEDaSY_SZ_EUlSY_E_NS1_11comp_targetILNS1_3genE4ELNS1_11target_archE910ELNS1_3gpuE8ELNS1_3repE0EEENS1_30default_config_static_selectorELNS0_4arch9wavefront6targetE0EEEvT1_,"axG",@progbits,_ZN7rocprim17ROCPRIM_400000_NS6detail17trampoline_kernelINS0_14default_configENS1_27scan_by_key_config_selectorIj11FixedVectorIiLj8EEEEZZNS1_16scan_by_key_implILNS1_25lookback_scan_determinismE0ELb1ES3_N6thrust23THRUST_200600_302600_NS6detail15normal_iteratorINSB_10device_ptrIjEEEENSD_INSE_IS6_EEEESI_S6_NSB_4plusIvEENSB_8equal_toIvEES6_EE10hipError_tPvRmT2_T3_T4_T5_mT6_T7_P12ihipStream_tbENKUlT_T0_E_clISt17integral_constantIbLb0EES12_IbLb1EEEEDaSY_SZ_EUlSY_E_NS1_11comp_targetILNS1_3genE4ELNS1_11target_archE910ELNS1_3gpuE8ELNS1_3repE0EEENS1_30default_config_static_selectorELNS0_4arch9wavefront6targetE0EEEvT1_,comdat
.Lfunc_end2187:
	.size	_ZN7rocprim17ROCPRIM_400000_NS6detail17trampoline_kernelINS0_14default_configENS1_27scan_by_key_config_selectorIj11FixedVectorIiLj8EEEEZZNS1_16scan_by_key_implILNS1_25lookback_scan_determinismE0ELb1ES3_N6thrust23THRUST_200600_302600_NS6detail15normal_iteratorINSB_10device_ptrIjEEEENSD_INSE_IS6_EEEESI_S6_NSB_4plusIvEENSB_8equal_toIvEES6_EE10hipError_tPvRmT2_T3_T4_T5_mT6_T7_P12ihipStream_tbENKUlT_T0_E_clISt17integral_constantIbLb0EES12_IbLb1EEEEDaSY_SZ_EUlSY_E_NS1_11comp_targetILNS1_3genE4ELNS1_11target_archE910ELNS1_3gpuE8ELNS1_3repE0EEENS1_30default_config_static_selectorELNS0_4arch9wavefront6targetE0EEEvT1_, .Lfunc_end2187-_ZN7rocprim17ROCPRIM_400000_NS6detail17trampoline_kernelINS0_14default_configENS1_27scan_by_key_config_selectorIj11FixedVectorIiLj8EEEEZZNS1_16scan_by_key_implILNS1_25lookback_scan_determinismE0ELb1ES3_N6thrust23THRUST_200600_302600_NS6detail15normal_iteratorINSB_10device_ptrIjEEEENSD_INSE_IS6_EEEESI_S6_NSB_4plusIvEENSB_8equal_toIvEES6_EE10hipError_tPvRmT2_T3_T4_T5_mT6_T7_P12ihipStream_tbENKUlT_T0_E_clISt17integral_constantIbLb0EES12_IbLb1EEEEDaSY_SZ_EUlSY_E_NS1_11comp_targetILNS1_3genE4ELNS1_11target_archE910ELNS1_3gpuE8ELNS1_3repE0EEENS1_30default_config_static_selectorELNS0_4arch9wavefront6targetE0EEEvT1_
                                        ; -- End function
	.set _ZN7rocprim17ROCPRIM_400000_NS6detail17trampoline_kernelINS0_14default_configENS1_27scan_by_key_config_selectorIj11FixedVectorIiLj8EEEEZZNS1_16scan_by_key_implILNS1_25lookback_scan_determinismE0ELb1ES3_N6thrust23THRUST_200600_302600_NS6detail15normal_iteratorINSB_10device_ptrIjEEEENSD_INSE_IS6_EEEESI_S6_NSB_4plusIvEENSB_8equal_toIvEES6_EE10hipError_tPvRmT2_T3_T4_T5_mT6_T7_P12ihipStream_tbENKUlT_T0_E_clISt17integral_constantIbLb0EES12_IbLb1EEEEDaSY_SZ_EUlSY_E_NS1_11comp_targetILNS1_3genE4ELNS1_11target_archE910ELNS1_3gpuE8ELNS1_3repE0EEENS1_30default_config_static_selectorELNS0_4arch9wavefront6targetE0EEEvT1_.num_vgpr, 0
	.set _ZN7rocprim17ROCPRIM_400000_NS6detail17trampoline_kernelINS0_14default_configENS1_27scan_by_key_config_selectorIj11FixedVectorIiLj8EEEEZZNS1_16scan_by_key_implILNS1_25lookback_scan_determinismE0ELb1ES3_N6thrust23THRUST_200600_302600_NS6detail15normal_iteratorINSB_10device_ptrIjEEEENSD_INSE_IS6_EEEESI_S6_NSB_4plusIvEENSB_8equal_toIvEES6_EE10hipError_tPvRmT2_T3_T4_T5_mT6_T7_P12ihipStream_tbENKUlT_T0_E_clISt17integral_constantIbLb0EES12_IbLb1EEEEDaSY_SZ_EUlSY_E_NS1_11comp_targetILNS1_3genE4ELNS1_11target_archE910ELNS1_3gpuE8ELNS1_3repE0EEENS1_30default_config_static_selectorELNS0_4arch9wavefront6targetE0EEEvT1_.num_agpr, 0
	.set _ZN7rocprim17ROCPRIM_400000_NS6detail17trampoline_kernelINS0_14default_configENS1_27scan_by_key_config_selectorIj11FixedVectorIiLj8EEEEZZNS1_16scan_by_key_implILNS1_25lookback_scan_determinismE0ELb1ES3_N6thrust23THRUST_200600_302600_NS6detail15normal_iteratorINSB_10device_ptrIjEEEENSD_INSE_IS6_EEEESI_S6_NSB_4plusIvEENSB_8equal_toIvEES6_EE10hipError_tPvRmT2_T3_T4_T5_mT6_T7_P12ihipStream_tbENKUlT_T0_E_clISt17integral_constantIbLb0EES12_IbLb1EEEEDaSY_SZ_EUlSY_E_NS1_11comp_targetILNS1_3genE4ELNS1_11target_archE910ELNS1_3gpuE8ELNS1_3repE0EEENS1_30default_config_static_selectorELNS0_4arch9wavefront6targetE0EEEvT1_.numbered_sgpr, 0
	.set _ZN7rocprim17ROCPRIM_400000_NS6detail17trampoline_kernelINS0_14default_configENS1_27scan_by_key_config_selectorIj11FixedVectorIiLj8EEEEZZNS1_16scan_by_key_implILNS1_25lookback_scan_determinismE0ELb1ES3_N6thrust23THRUST_200600_302600_NS6detail15normal_iteratorINSB_10device_ptrIjEEEENSD_INSE_IS6_EEEESI_S6_NSB_4plusIvEENSB_8equal_toIvEES6_EE10hipError_tPvRmT2_T3_T4_T5_mT6_T7_P12ihipStream_tbENKUlT_T0_E_clISt17integral_constantIbLb0EES12_IbLb1EEEEDaSY_SZ_EUlSY_E_NS1_11comp_targetILNS1_3genE4ELNS1_11target_archE910ELNS1_3gpuE8ELNS1_3repE0EEENS1_30default_config_static_selectorELNS0_4arch9wavefront6targetE0EEEvT1_.num_named_barrier, 0
	.set _ZN7rocprim17ROCPRIM_400000_NS6detail17trampoline_kernelINS0_14default_configENS1_27scan_by_key_config_selectorIj11FixedVectorIiLj8EEEEZZNS1_16scan_by_key_implILNS1_25lookback_scan_determinismE0ELb1ES3_N6thrust23THRUST_200600_302600_NS6detail15normal_iteratorINSB_10device_ptrIjEEEENSD_INSE_IS6_EEEESI_S6_NSB_4plusIvEENSB_8equal_toIvEES6_EE10hipError_tPvRmT2_T3_T4_T5_mT6_T7_P12ihipStream_tbENKUlT_T0_E_clISt17integral_constantIbLb0EES12_IbLb1EEEEDaSY_SZ_EUlSY_E_NS1_11comp_targetILNS1_3genE4ELNS1_11target_archE910ELNS1_3gpuE8ELNS1_3repE0EEENS1_30default_config_static_selectorELNS0_4arch9wavefront6targetE0EEEvT1_.private_seg_size, 0
	.set _ZN7rocprim17ROCPRIM_400000_NS6detail17trampoline_kernelINS0_14default_configENS1_27scan_by_key_config_selectorIj11FixedVectorIiLj8EEEEZZNS1_16scan_by_key_implILNS1_25lookback_scan_determinismE0ELb1ES3_N6thrust23THRUST_200600_302600_NS6detail15normal_iteratorINSB_10device_ptrIjEEEENSD_INSE_IS6_EEEESI_S6_NSB_4plusIvEENSB_8equal_toIvEES6_EE10hipError_tPvRmT2_T3_T4_T5_mT6_T7_P12ihipStream_tbENKUlT_T0_E_clISt17integral_constantIbLb0EES12_IbLb1EEEEDaSY_SZ_EUlSY_E_NS1_11comp_targetILNS1_3genE4ELNS1_11target_archE910ELNS1_3gpuE8ELNS1_3repE0EEENS1_30default_config_static_selectorELNS0_4arch9wavefront6targetE0EEEvT1_.uses_vcc, 0
	.set _ZN7rocprim17ROCPRIM_400000_NS6detail17trampoline_kernelINS0_14default_configENS1_27scan_by_key_config_selectorIj11FixedVectorIiLj8EEEEZZNS1_16scan_by_key_implILNS1_25lookback_scan_determinismE0ELb1ES3_N6thrust23THRUST_200600_302600_NS6detail15normal_iteratorINSB_10device_ptrIjEEEENSD_INSE_IS6_EEEESI_S6_NSB_4plusIvEENSB_8equal_toIvEES6_EE10hipError_tPvRmT2_T3_T4_T5_mT6_T7_P12ihipStream_tbENKUlT_T0_E_clISt17integral_constantIbLb0EES12_IbLb1EEEEDaSY_SZ_EUlSY_E_NS1_11comp_targetILNS1_3genE4ELNS1_11target_archE910ELNS1_3gpuE8ELNS1_3repE0EEENS1_30default_config_static_selectorELNS0_4arch9wavefront6targetE0EEEvT1_.uses_flat_scratch, 0
	.set _ZN7rocprim17ROCPRIM_400000_NS6detail17trampoline_kernelINS0_14default_configENS1_27scan_by_key_config_selectorIj11FixedVectorIiLj8EEEEZZNS1_16scan_by_key_implILNS1_25lookback_scan_determinismE0ELb1ES3_N6thrust23THRUST_200600_302600_NS6detail15normal_iteratorINSB_10device_ptrIjEEEENSD_INSE_IS6_EEEESI_S6_NSB_4plusIvEENSB_8equal_toIvEES6_EE10hipError_tPvRmT2_T3_T4_T5_mT6_T7_P12ihipStream_tbENKUlT_T0_E_clISt17integral_constantIbLb0EES12_IbLb1EEEEDaSY_SZ_EUlSY_E_NS1_11comp_targetILNS1_3genE4ELNS1_11target_archE910ELNS1_3gpuE8ELNS1_3repE0EEENS1_30default_config_static_selectorELNS0_4arch9wavefront6targetE0EEEvT1_.has_dyn_sized_stack, 0
	.set _ZN7rocprim17ROCPRIM_400000_NS6detail17trampoline_kernelINS0_14default_configENS1_27scan_by_key_config_selectorIj11FixedVectorIiLj8EEEEZZNS1_16scan_by_key_implILNS1_25lookback_scan_determinismE0ELb1ES3_N6thrust23THRUST_200600_302600_NS6detail15normal_iteratorINSB_10device_ptrIjEEEENSD_INSE_IS6_EEEESI_S6_NSB_4plusIvEENSB_8equal_toIvEES6_EE10hipError_tPvRmT2_T3_T4_T5_mT6_T7_P12ihipStream_tbENKUlT_T0_E_clISt17integral_constantIbLb0EES12_IbLb1EEEEDaSY_SZ_EUlSY_E_NS1_11comp_targetILNS1_3genE4ELNS1_11target_archE910ELNS1_3gpuE8ELNS1_3repE0EEENS1_30default_config_static_selectorELNS0_4arch9wavefront6targetE0EEEvT1_.has_recursion, 0
	.set _ZN7rocprim17ROCPRIM_400000_NS6detail17trampoline_kernelINS0_14default_configENS1_27scan_by_key_config_selectorIj11FixedVectorIiLj8EEEEZZNS1_16scan_by_key_implILNS1_25lookback_scan_determinismE0ELb1ES3_N6thrust23THRUST_200600_302600_NS6detail15normal_iteratorINSB_10device_ptrIjEEEENSD_INSE_IS6_EEEESI_S6_NSB_4plusIvEENSB_8equal_toIvEES6_EE10hipError_tPvRmT2_T3_T4_T5_mT6_T7_P12ihipStream_tbENKUlT_T0_E_clISt17integral_constantIbLb0EES12_IbLb1EEEEDaSY_SZ_EUlSY_E_NS1_11comp_targetILNS1_3genE4ELNS1_11target_archE910ELNS1_3gpuE8ELNS1_3repE0EEENS1_30default_config_static_selectorELNS0_4arch9wavefront6targetE0EEEvT1_.has_indirect_call, 0
	.section	.AMDGPU.csdata,"",@progbits
; Kernel info:
; codeLenInByte = 0
; TotalNumSgprs: 0
; NumVgprs: 0
; ScratchSize: 0
; MemoryBound: 0
; FloatMode: 240
; IeeeMode: 1
; LDSByteSize: 0 bytes/workgroup (compile time only)
; SGPRBlocks: 0
; VGPRBlocks: 0
; NumSGPRsForWavesPerEU: 1
; NumVGPRsForWavesPerEU: 1
; Occupancy: 16
; WaveLimiterHint : 0
; COMPUTE_PGM_RSRC2:SCRATCH_EN: 0
; COMPUTE_PGM_RSRC2:USER_SGPR: 6
; COMPUTE_PGM_RSRC2:TRAP_HANDLER: 0
; COMPUTE_PGM_RSRC2:TGID_X_EN: 1
; COMPUTE_PGM_RSRC2:TGID_Y_EN: 0
; COMPUTE_PGM_RSRC2:TGID_Z_EN: 0
; COMPUTE_PGM_RSRC2:TIDIG_COMP_CNT: 0
	.section	.text._ZN7rocprim17ROCPRIM_400000_NS6detail17trampoline_kernelINS0_14default_configENS1_27scan_by_key_config_selectorIj11FixedVectorIiLj8EEEEZZNS1_16scan_by_key_implILNS1_25lookback_scan_determinismE0ELb1ES3_N6thrust23THRUST_200600_302600_NS6detail15normal_iteratorINSB_10device_ptrIjEEEENSD_INSE_IS6_EEEESI_S6_NSB_4plusIvEENSB_8equal_toIvEES6_EE10hipError_tPvRmT2_T3_T4_T5_mT6_T7_P12ihipStream_tbENKUlT_T0_E_clISt17integral_constantIbLb0EES12_IbLb1EEEEDaSY_SZ_EUlSY_E_NS1_11comp_targetILNS1_3genE3ELNS1_11target_archE908ELNS1_3gpuE7ELNS1_3repE0EEENS1_30default_config_static_selectorELNS0_4arch9wavefront6targetE0EEEvT1_,"axG",@progbits,_ZN7rocprim17ROCPRIM_400000_NS6detail17trampoline_kernelINS0_14default_configENS1_27scan_by_key_config_selectorIj11FixedVectorIiLj8EEEEZZNS1_16scan_by_key_implILNS1_25lookback_scan_determinismE0ELb1ES3_N6thrust23THRUST_200600_302600_NS6detail15normal_iteratorINSB_10device_ptrIjEEEENSD_INSE_IS6_EEEESI_S6_NSB_4plusIvEENSB_8equal_toIvEES6_EE10hipError_tPvRmT2_T3_T4_T5_mT6_T7_P12ihipStream_tbENKUlT_T0_E_clISt17integral_constantIbLb0EES12_IbLb1EEEEDaSY_SZ_EUlSY_E_NS1_11comp_targetILNS1_3genE3ELNS1_11target_archE908ELNS1_3gpuE7ELNS1_3repE0EEENS1_30default_config_static_selectorELNS0_4arch9wavefront6targetE0EEEvT1_,comdat
	.protected	_ZN7rocprim17ROCPRIM_400000_NS6detail17trampoline_kernelINS0_14default_configENS1_27scan_by_key_config_selectorIj11FixedVectorIiLj8EEEEZZNS1_16scan_by_key_implILNS1_25lookback_scan_determinismE0ELb1ES3_N6thrust23THRUST_200600_302600_NS6detail15normal_iteratorINSB_10device_ptrIjEEEENSD_INSE_IS6_EEEESI_S6_NSB_4plusIvEENSB_8equal_toIvEES6_EE10hipError_tPvRmT2_T3_T4_T5_mT6_T7_P12ihipStream_tbENKUlT_T0_E_clISt17integral_constantIbLb0EES12_IbLb1EEEEDaSY_SZ_EUlSY_E_NS1_11comp_targetILNS1_3genE3ELNS1_11target_archE908ELNS1_3gpuE7ELNS1_3repE0EEENS1_30default_config_static_selectorELNS0_4arch9wavefront6targetE0EEEvT1_ ; -- Begin function _ZN7rocprim17ROCPRIM_400000_NS6detail17trampoline_kernelINS0_14default_configENS1_27scan_by_key_config_selectorIj11FixedVectorIiLj8EEEEZZNS1_16scan_by_key_implILNS1_25lookback_scan_determinismE0ELb1ES3_N6thrust23THRUST_200600_302600_NS6detail15normal_iteratorINSB_10device_ptrIjEEEENSD_INSE_IS6_EEEESI_S6_NSB_4plusIvEENSB_8equal_toIvEES6_EE10hipError_tPvRmT2_T3_T4_T5_mT6_T7_P12ihipStream_tbENKUlT_T0_E_clISt17integral_constantIbLb0EES12_IbLb1EEEEDaSY_SZ_EUlSY_E_NS1_11comp_targetILNS1_3genE3ELNS1_11target_archE908ELNS1_3gpuE7ELNS1_3repE0EEENS1_30default_config_static_selectorELNS0_4arch9wavefront6targetE0EEEvT1_
	.globl	_ZN7rocprim17ROCPRIM_400000_NS6detail17trampoline_kernelINS0_14default_configENS1_27scan_by_key_config_selectorIj11FixedVectorIiLj8EEEEZZNS1_16scan_by_key_implILNS1_25lookback_scan_determinismE0ELb1ES3_N6thrust23THRUST_200600_302600_NS6detail15normal_iteratorINSB_10device_ptrIjEEEENSD_INSE_IS6_EEEESI_S6_NSB_4plusIvEENSB_8equal_toIvEES6_EE10hipError_tPvRmT2_T3_T4_T5_mT6_T7_P12ihipStream_tbENKUlT_T0_E_clISt17integral_constantIbLb0EES12_IbLb1EEEEDaSY_SZ_EUlSY_E_NS1_11comp_targetILNS1_3genE3ELNS1_11target_archE908ELNS1_3gpuE7ELNS1_3repE0EEENS1_30default_config_static_selectorELNS0_4arch9wavefront6targetE0EEEvT1_
	.p2align	8
	.type	_ZN7rocprim17ROCPRIM_400000_NS6detail17trampoline_kernelINS0_14default_configENS1_27scan_by_key_config_selectorIj11FixedVectorIiLj8EEEEZZNS1_16scan_by_key_implILNS1_25lookback_scan_determinismE0ELb1ES3_N6thrust23THRUST_200600_302600_NS6detail15normal_iteratorINSB_10device_ptrIjEEEENSD_INSE_IS6_EEEESI_S6_NSB_4plusIvEENSB_8equal_toIvEES6_EE10hipError_tPvRmT2_T3_T4_T5_mT6_T7_P12ihipStream_tbENKUlT_T0_E_clISt17integral_constantIbLb0EES12_IbLb1EEEEDaSY_SZ_EUlSY_E_NS1_11comp_targetILNS1_3genE3ELNS1_11target_archE908ELNS1_3gpuE7ELNS1_3repE0EEENS1_30default_config_static_selectorELNS0_4arch9wavefront6targetE0EEEvT1_,@function
_ZN7rocprim17ROCPRIM_400000_NS6detail17trampoline_kernelINS0_14default_configENS1_27scan_by_key_config_selectorIj11FixedVectorIiLj8EEEEZZNS1_16scan_by_key_implILNS1_25lookback_scan_determinismE0ELb1ES3_N6thrust23THRUST_200600_302600_NS6detail15normal_iteratorINSB_10device_ptrIjEEEENSD_INSE_IS6_EEEESI_S6_NSB_4plusIvEENSB_8equal_toIvEES6_EE10hipError_tPvRmT2_T3_T4_T5_mT6_T7_P12ihipStream_tbENKUlT_T0_E_clISt17integral_constantIbLb0EES12_IbLb1EEEEDaSY_SZ_EUlSY_E_NS1_11comp_targetILNS1_3genE3ELNS1_11target_archE908ELNS1_3gpuE7ELNS1_3repE0EEENS1_30default_config_static_selectorELNS0_4arch9wavefront6targetE0EEEvT1_: ; @_ZN7rocprim17ROCPRIM_400000_NS6detail17trampoline_kernelINS0_14default_configENS1_27scan_by_key_config_selectorIj11FixedVectorIiLj8EEEEZZNS1_16scan_by_key_implILNS1_25lookback_scan_determinismE0ELb1ES3_N6thrust23THRUST_200600_302600_NS6detail15normal_iteratorINSB_10device_ptrIjEEEENSD_INSE_IS6_EEEESI_S6_NSB_4plusIvEENSB_8equal_toIvEES6_EE10hipError_tPvRmT2_T3_T4_T5_mT6_T7_P12ihipStream_tbENKUlT_T0_E_clISt17integral_constantIbLb0EES12_IbLb1EEEEDaSY_SZ_EUlSY_E_NS1_11comp_targetILNS1_3genE3ELNS1_11target_archE908ELNS1_3gpuE7ELNS1_3repE0EEENS1_30default_config_static_selectorELNS0_4arch9wavefront6targetE0EEEvT1_
; %bb.0:
	.section	.rodata,"a",@progbits
	.p2align	6, 0x0
	.amdhsa_kernel _ZN7rocprim17ROCPRIM_400000_NS6detail17trampoline_kernelINS0_14default_configENS1_27scan_by_key_config_selectorIj11FixedVectorIiLj8EEEEZZNS1_16scan_by_key_implILNS1_25lookback_scan_determinismE0ELb1ES3_N6thrust23THRUST_200600_302600_NS6detail15normal_iteratorINSB_10device_ptrIjEEEENSD_INSE_IS6_EEEESI_S6_NSB_4plusIvEENSB_8equal_toIvEES6_EE10hipError_tPvRmT2_T3_T4_T5_mT6_T7_P12ihipStream_tbENKUlT_T0_E_clISt17integral_constantIbLb0EES12_IbLb1EEEEDaSY_SZ_EUlSY_E_NS1_11comp_targetILNS1_3genE3ELNS1_11target_archE908ELNS1_3gpuE7ELNS1_3repE0EEENS1_30default_config_static_selectorELNS0_4arch9wavefront6targetE0EEEvT1_
		.amdhsa_group_segment_fixed_size 0
		.amdhsa_private_segment_fixed_size 0
		.amdhsa_kernarg_size 160
		.amdhsa_user_sgpr_count 6
		.amdhsa_user_sgpr_private_segment_buffer 1
		.amdhsa_user_sgpr_dispatch_ptr 0
		.amdhsa_user_sgpr_queue_ptr 0
		.amdhsa_user_sgpr_kernarg_segment_ptr 1
		.amdhsa_user_sgpr_dispatch_id 0
		.amdhsa_user_sgpr_flat_scratch_init 0
		.amdhsa_user_sgpr_private_segment_size 0
		.amdhsa_wavefront_size32 1
		.amdhsa_uses_dynamic_stack 0
		.amdhsa_system_sgpr_private_segment_wavefront_offset 0
		.amdhsa_system_sgpr_workgroup_id_x 1
		.amdhsa_system_sgpr_workgroup_id_y 0
		.amdhsa_system_sgpr_workgroup_id_z 0
		.amdhsa_system_sgpr_workgroup_info 0
		.amdhsa_system_vgpr_workitem_id 0
		.amdhsa_next_free_vgpr 1
		.amdhsa_next_free_sgpr 1
		.amdhsa_reserve_vcc 0
		.amdhsa_reserve_flat_scratch 0
		.amdhsa_float_round_mode_32 0
		.amdhsa_float_round_mode_16_64 0
		.amdhsa_float_denorm_mode_32 3
		.amdhsa_float_denorm_mode_16_64 3
		.amdhsa_dx10_clamp 1
		.amdhsa_ieee_mode 1
		.amdhsa_fp16_overflow 0
		.amdhsa_workgroup_processor_mode 1
		.amdhsa_memory_ordered 1
		.amdhsa_forward_progress 1
		.amdhsa_shared_vgpr_count 0
		.amdhsa_exception_fp_ieee_invalid_op 0
		.amdhsa_exception_fp_denorm_src 0
		.amdhsa_exception_fp_ieee_div_zero 0
		.amdhsa_exception_fp_ieee_overflow 0
		.amdhsa_exception_fp_ieee_underflow 0
		.amdhsa_exception_fp_ieee_inexact 0
		.amdhsa_exception_int_div_zero 0
	.end_amdhsa_kernel
	.section	.text._ZN7rocprim17ROCPRIM_400000_NS6detail17trampoline_kernelINS0_14default_configENS1_27scan_by_key_config_selectorIj11FixedVectorIiLj8EEEEZZNS1_16scan_by_key_implILNS1_25lookback_scan_determinismE0ELb1ES3_N6thrust23THRUST_200600_302600_NS6detail15normal_iteratorINSB_10device_ptrIjEEEENSD_INSE_IS6_EEEESI_S6_NSB_4plusIvEENSB_8equal_toIvEES6_EE10hipError_tPvRmT2_T3_T4_T5_mT6_T7_P12ihipStream_tbENKUlT_T0_E_clISt17integral_constantIbLb0EES12_IbLb1EEEEDaSY_SZ_EUlSY_E_NS1_11comp_targetILNS1_3genE3ELNS1_11target_archE908ELNS1_3gpuE7ELNS1_3repE0EEENS1_30default_config_static_selectorELNS0_4arch9wavefront6targetE0EEEvT1_,"axG",@progbits,_ZN7rocprim17ROCPRIM_400000_NS6detail17trampoline_kernelINS0_14default_configENS1_27scan_by_key_config_selectorIj11FixedVectorIiLj8EEEEZZNS1_16scan_by_key_implILNS1_25lookback_scan_determinismE0ELb1ES3_N6thrust23THRUST_200600_302600_NS6detail15normal_iteratorINSB_10device_ptrIjEEEENSD_INSE_IS6_EEEESI_S6_NSB_4plusIvEENSB_8equal_toIvEES6_EE10hipError_tPvRmT2_T3_T4_T5_mT6_T7_P12ihipStream_tbENKUlT_T0_E_clISt17integral_constantIbLb0EES12_IbLb1EEEEDaSY_SZ_EUlSY_E_NS1_11comp_targetILNS1_3genE3ELNS1_11target_archE908ELNS1_3gpuE7ELNS1_3repE0EEENS1_30default_config_static_selectorELNS0_4arch9wavefront6targetE0EEEvT1_,comdat
.Lfunc_end2188:
	.size	_ZN7rocprim17ROCPRIM_400000_NS6detail17trampoline_kernelINS0_14default_configENS1_27scan_by_key_config_selectorIj11FixedVectorIiLj8EEEEZZNS1_16scan_by_key_implILNS1_25lookback_scan_determinismE0ELb1ES3_N6thrust23THRUST_200600_302600_NS6detail15normal_iteratorINSB_10device_ptrIjEEEENSD_INSE_IS6_EEEESI_S6_NSB_4plusIvEENSB_8equal_toIvEES6_EE10hipError_tPvRmT2_T3_T4_T5_mT6_T7_P12ihipStream_tbENKUlT_T0_E_clISt17integral_constantIbLb0EES12_IbLb1EEEEDaSY_SZ_EUlSY_E_NS1_11comp_targetILNS1_3genE3ELNS1_11target_archE908ELNS1_3gpuE7ELNS1_3repE0EEENS1_30default_config_static_selectorELNS0_4arch9wavefront6targetE0EEEvT1_, .Lfunc_end2188-_ZN7rocprim17ROCPRIM_400000_NS6detail17trampoline_kernelINS0_14default_configENS1_27scan_by_key_config_selectorIj11FixedVectorIiLj8EEEEZZNS1_16scan_by_key_implILNS1_25lookback_scan_determinismE0ELb1ES3_N6thrust23THRUST_200600_302600_NS6detail15normal_iteratorINSB_10device_ptrIjEEEENSD_INSE_IS6_EEEESI_S6_NSB_4plusIvEENSB_8equal_toIvEES6_EE10hipError_tPvRmT2_T3_T4_T5_mT6_T7_P12ihipStream_tbENKUlT_T0_E_clISt17integral_constantIbLb0EES12_IbLb1EEEEDaSY_SZ_EUlSY_E_NS1_11comp_targetILNS1_3genE3ELNS1_11target_archE908ELNS1_3gpuE7ELNS1_3repE0EEENS1_30default_config_static_selectorELNS0_4arch9wavefront6targetE0EEEvT1_
                                        ; -- End function
	.set _ZN7rocprim17ROCPRIM_400000_NS6detail17trampoline_kernelINS0_14default_configENS1_27scan_by_key_config_selectorIj11FixedVectorIiLj8EEEEZZNS1_16scan_by_key_implILNS1_25lookback_scan_determinismE0ELb1ES3_N6thrust23THRUST_200600_302600_NS6detail15normal_iteratorINSB_10device_ptrIjEEEENSD_INSE_IS6_EEEESI_S6_NSB_4plusIvEENSB_8equal_toIvEES6_EE10hipError_tPvRmT2_T3_T4_T5_mT6_T7_P12ihipStream_tbENKUlT_T0_E_clISt17integral_constantIbLb0EES12_IbLb1EEEEDaSY_SZ_EUlSY_E_NS1_11comp_targetILNS1_3genE3ELNS1_11target_archE908ELNS1_3gpuE7ELNS1_3repE0EEENS1_30default_config_static_selectorELNS0_4arch9wavefront6targetE0EEEvT1_.num_vgpr, 0
	.set _ZN7rocprim17ROCPRIM_400000_NS6detail17trampoline_kernelINS0_14default_configENS1_27scan_by_key_config_selectorIj11FixedVectorIiLj8EEEEZZNS1_16scan_by_key_implILNS1_25lookback_scan_determinismE0ELb1ES3_N6thrust23THRUST_200600_302600_NS6detail15normal_iteratorINSB_10device_ptrIjEEEENSD_INSE_IS6_EEEESI_S6_NSB_4plusIvEENSB_8equal_toIvEES6_EE10hipError_tPvRmT2_T3_T4_T5_mT6_T7_P12ihipStream_tbENKUlT_T0_E_clISt17integral_constantIbLb0EES12_IbLb1EEEEDaSY_SZ_EUlSY_E_NS1_11comp_targetILNS1_3genE3ELNS1_11target_archE908ELNS1_3gpuE7ELNS1_3repE0EEENS1_30default_config_static_selectorELNS0_4arch9wavefront6targetE0EEEvT1_.num_agpr, 0
	.set _ZN7rocprim17ROCPRIM_400000_NS6detail17trampoline_kernelINS0_14default_configENS1_27scan_by_key_config_selectorIj11FixedVectorIiLj8EEEEZZNS1_16scan_by_key_implILNS1_25lookback_scan_determinismE0ELb1ES3_N6thrust23THRUST_200600_302600_NS6detail15normal_iteratorINSB_10device_ptrIjEEEENSD_INSE_IS6_EEEESI_S6_NSB_4plusIvEENSB_8equal_toIvEES6_EE10hipError_tPvRmT2_T3_T4_T5_mT6_T7_P12ihipStream_tbENKUlT_T0_E_clISt17integral_constantIbLb0EES12_IbLb1EEEEDaSY_SZ_EUlSY_E_NS1_11comp_targetILNS1_3genE3ELNS1_11target_archE908ELNS1_3gpuE7ELNS1_3repE0EEENS1_30default_config_static_selectorELNS0_4arch9wavefront6targetE0EEEvT1_.numbered_sgpr, 0
	.set _ZN7rocprim17ROCPRIM_400000_NS6detail17trampoline_kernelINS0_14default_configENS1_27scan_by_key_config_selectorIj11FixedVectorIiLj8EEEEZZNS1_16scan_by_key_implILNS1_25lookback_scan_determinismE0ELb1ES3_N6thrust23THRUST_200600_302600_NS6detail15normal_iteratorINSB_10device_ptrIjEEEENSD_INSE_IS6_EEEESI_S6_NSB_4plusIvEENSB_8equal_toIvEES6_EE10hipError_tPvRmT2_T3_T4_T5_mT6_T7_P12ihipStream_tbENKUlT_T0_E_clISt17integral_constantIbLb0EES12_IbLb1EEEEDaSY_SZ_EUlSY_E_NS1_11comp_targetILNS1_3genE3ELNS1_11target_archE908ELNS1_3gpuE7ELNS1_3repE0EEENS1_30default_config_static_selectorELNS0_4arch9wavefront6targetE0EEEvT1_.num_named_barrier, 0
	.set _ZN7rocprim17ROCPRIM_400000_NS6detail17trampoline_kernelINS0_14default_configENS1_27scan_by_key_config_selectorIj11FixedVectorIiLj8EEEEZZNS1_16scan_by_key_implILNS1_25lookback_scan_determinismE0ELb1ES3_N6thrust23THRUST_200600_302600_NS6detail15normal_iteratorINSB_10device_ptrIjEEEENSD_INSE_IS6_EEEESI_S6_NSB_4plusIvEENSB_8equal_toIvEES6_EE10hipError_tPvRmT2_T3_T4_T5_mT6_T7_P12ihipStream_tbENKUlT_T0_E_clISt17integral_constantIbLb0EES12_IbLb1EEEEDaSY_SZ_EUlSY_E_NS1_11comp_targetILNS1_3genE3ELNS1_11target_archE908ELNS1_3gpuE7ELNS1_3repE0EEENS1_30default_config_static_selectorELNS0_4arch9wavefront6targetE0EEEvT1_.private_seg_size, 0
	.set _ZN7rocprim17ROCPRIM_400000_NS6detail17trampoline_kernelINS0_14default_configENS1_27scan_by_key_config_selectorIj11FixedVectorIiLj8EEEEZZNS1_16scan_by_key_implILNS1_25lookback_scan_determinismE0ELb1ES3_N6thrust23THRUST_200600_302600_NS6detail15normal_iteratorINSB_10device_ptrIjEEEENSD_INSE_IS6_EEEESI_S6_NSB_4plusIvEENSB_8equal_toIvEES6_EE10hipError_tPvRmT2_T3_T4_T5_mT6_T7_P12ihipStream_tbENKUlT_T0_E_clISt17integral_constantIbLb0EES12_IbLb1EEEEDaSY_SZ_EUlSY_E_NS1_11comp_targetILNS1_3genE3ELNS1_11target_archE908ELNS1_3gpuE7ELNS1_3repE0EEENS1_30default_config_static_selectorELNS0_4arch9wavefront6targetE0EEEvT1_.uses_vcc, 0
	.set _ZN7rocprim17ROCPRIM_400000_NS6detail17trampoline_kernelINS0_14default_configENS1_27scan_by_key_config_selectorIj11FixedVectorIiLj8EEEEZZNS1_16scan_by_key_implILNS1_25lookback_scan_determinismE0ELb1ES3_N6thrust23THRUST_200600_302600_NS6detail15normal_iteratorINSB_10device_ptrIjEEEENSD_INSE_IS6_EEEESI_S6_NSB_4plusIvEENSB_8equal_toIvEES6_EE10hipError_tPvRmT2_T3_T4_T5_mT6_T7_P12ihipStream_tbENKUlT_T0_E_clISt17integral_constantIbLb0EES12_IbLb1EEEEDaSY_SZ_EUlSY_E_NS1_11comp_targetILNS1_3genE3ELNS1_11target_archE908ELNS1_3gpuE7ELNS1_3repE0EEENS1_30default_config_static_selectorELNS0_4arch9wavefront6targetE0EEEvT1_.uses_flat_scratch, 0
	.set _ZN7rocprim17ROCPRIM_400000_NS6detail17trampoline_kernelINS0_14default_configENS1_27scan_by_key_config_selectorIj11FixedVectorIiLj8EEEEZZNS1_16scan_by_key_implILNS1_25lookback_scan_determinismE0ELb1ES3_N6thrust23THRUST_200600_302600_NS6detail15normal_iteratorINSB_10device_ptrIjEEEENSD_INSE_IS6_EEEESI_S6_NSB_4plusIvEENSB_8equal_toIvEES6_EE10hipError_tPvRmT2_T3_T4_T5_mT6_T7_P12ihipStream_tbENKUlT_T0_E_clISt17integral_constantIbLb0EES12_IbLb1EEEEDaSY_SZ_EUlSY_E_NS1_11comp_targetILNS1_3genE3ELNS1_11target_archE908ELNS1_3gpuE7ELNS1_3repE0EEENS1_30default_config_static_selectorELNS0_4arch9wavefront6targetE0EEEvT1_.has_dyn_sized_stack, 0
	.set _ZN7rocprim17ROCPRIM_400000_NS6detail17trampoline_kernelINS0_14default_configENS1_27scan_by_key_config_selectorIj11FixedVectorIiLj8EEEEZZNS1_16scan_by_key_implILNS1_25lookback_scan_determinismE0ELb1ES3_N6thrust23THRUST_200600_302600_NS6detail15normal_iteratorINSB_10device_ptrIjEEEENSD_INSE_IS6_EEEESI_S6_NSB_4plusIvEENSB_8equal_toIvEES6_EE10hipError_tPvRmT2_T3_T4_T5_mT6_T7_P12ihipStream_tbENKUlT_T0_E_clISt17integral_constantIbLb0EES12_IbLb1EEEEDaSY_SZ_EUlSY_E_NS1_11comp_targetILNS1_3genE3ELNS1_11target_archE908ELNS1_3gpuE7ELNS1_3repE0EEENS1_30default_config_static_selectorELNS0_4arch9wavefront6targetE0EEEvT1_.has_recursion, 0
	.set _ZN7rocprim17ROCPRIM_400000_NS6detail17trampoline_kernelINS0_14default_configENS1_27scan_by_key_config_selectorIj11FixedVectorIiLj8EEEEZZNS1_16scan_by_key_implILNS1_25lookback_scan_determinismE0ELb1ES3_N6thrust23THRUST_200600_302600_NS6detail15normal_iteratorINSB_10device_ptrIjEEEENSD_INSE_IS6_EEEESI_S6_NSB_4plusIvEENSB_8equal_toIvEES6_EE10hipError_tPvRmT2_T3_T4_T5_mT6_T7_P12ihipStream_tbENKUlT_T0_E_clISt17integral_constantIbLb0EES12_IbLb1EEEEDaSY_SZ_EUlSY_E_NS1_11comp_targetILNS1_3genE3ELNS1_11target_archE908ELNS1_3gpuE7ELNS1_3repE0EEENS1_30default_config_static_selectorELNS0_4arch9wavefront6targetE0EEEvT1_.has_indirect_call, 0
	.section	.AMDGPU.csdata,"",@progbits
; Kernel info:
; codeLenInByte = 0
; TotalNumSgprs: 0
; NumVgprs: 0
; ScratchSize: 0
; MemoryBound: 0
; FloatMode: 240
; IeeeMode: 1
; LDSByteSize: 0 bytes/workgroup (compile time only)
; SGPRBlocks: 0
; VGPRBlocks: 0
; NumSGPRsForWavesPerEU: 1
; NumVGPRsForWavesPerEU: 1
; Occupancy: 16
; WaveLimiterHint : 0
; COMPUTE_PGM_RSRC2:SCRATCH_EN: 0
; COMPUTE_PGM_RSRC2:USER_SGPR: 6
; COMPUTE_PGM_RSRC2:TRAP_HANDLER: 0
; COMPUTE_PGM_RSRC2:TGID_X_EN: 1
; COMPUTE_PGM_RSRC2:TGID_Y_EN: 0
; COMPUTE_PGM_RSRC2:TGID_Z_EN: 0
; COMPUTE_PGM_RSRC2:TIDIG_COMP_CNT: 0
	.section	.text._ZN7rocprim17ROCPRIM_400000_NS6detail17trampoline_kernelINS0_14default_configENS1_27scan_by_key_config_selectorIj11FixedVectorIiLj8EEEEZZNS1_16scan_by_key_implILNS1_25lookback_scan_determinismE0ELb1ES3_N6thrust23THRUST_200600_302600_NS6detail15normal_iteratorINSB_10device_ptrIjEEEENSD_INSE_IS6_EEEESI_S6_NSB_4plusIvEENSB_8equal_toIvEES6_EE10hipError_tPvRmT2_T3_T4_T5_mT6_T7_P12ihipStream_tbENKUlT_T0_E_clISt17integral_constantIbLb0EES12_IbLb1EEEEDaSY_SZ_EUlSY_E_NS1_11comp_targetILNS1_3genE2ELNS1_11target_archE906ELNS1_3gpuE6ELNS1_3repE0EEENS1_30default_config_static_selectorELNS0_4arch9wavefront6targetE0EEEvT1_,"axG",@progbits,_ZN7rocprim17ROCPRIM_400000_NS6detail17trampoline_kernelINS0_14default_configENS1_27scan_by_key_config_selectorIj11FixedVectorIiLj8EEEEZZNS1_16scan_by_key_implILNS1_25lookback_scan_determinismE0ELb1ES3_N6thrust23THRUST_200600_302600_NS6detail15normal_iteratorINSB_10device_ptrIjEEEENSD_INSE_IS6_EEEESI_S6_NSB_4plusIvEENSB_8equal_toIvEES6_EE10hipError_tPvRmT2_T3_T4_T5_mT6_T7_P12ihipStream_tbENKUlT_T0_E_clISt17integral_constantIbLb0EES12_IbLb1EEEEDaSY_SZ_EUlSY_E_NS1_11comp_targetILNS1_3genE2ELNS1_11target_archE906ELNS1_3gpuE6ELNS1_3repE0EEENS1_30default_config_static_selectorELNS0_4arch9wavefront6targetE0EEEvT1_,comdat
	.protected	_ZN7rocprim17ROCPRIM_400000_NS6detail17trampoline_kernelINS0_14default_configENS1_27scan_by_key_config_selectorIj11FixedVectorIiLj8EEEEZZNS1_16scan_by_key_implILNS1_25lookback_scan_determinismE0ELb1ES3_N6thrust23THRUST_200600_302600_NS6detail15normal_iteratorINSB_10device_ptrIjEEEENSD_INSE_IS6_EEEESI_S6_NSB_4plusIvEENSB_8equal_toIvEES6_EE10hipError_tPvRmT2_T3_T4_T5_mT6_T7_P12ihipStream_tbENKUlT_T0_E_clISt17integral_constantIbLb0EES12_IbLb1EEEEDaSY_SZ_EUlSY_E_NS1_11comp_targetILNS1_3genE2ELNS1_11target_archE906ELNS1_3gpuE6ELNS1_3repE0EEENS1_30default_config_static_selectorELNS0_4arch9wavefront6targetE0EEEvT1_ ; -- Begin function _ZN7rocprim17ROCPRIM_400000_NS6detail17trampoline_kernelINS0_14default_configENS1_27scan_by_key_config_selectorIj11FixedVectorIiLj8EEEEZZNS1_16scan_by_key_implILNS1_25lookback_scan_determinismE0ELb1ES3_N6thrust23THRUST_200600_302600_NS6detail15normal_iteratorINSB_10device_ptrIjEEEENSD_INSE_IS6_EEEESI_S6_NSB_4plusIvEENSB_8equal_toIvEES6_EE10hipError_tPvRmT2_T3_T4_T5_mT6_T7_P12ihipStream_tbENKUlT_T0_E_clISt17integral_constantIbLb0EES12_IbLb1EEEEDaSY_SZ_EUlSY_E_NS1_11comp_targetILNS1_3genE2ELNS1_11target_archE906ELNS1_3gpuE6ELNS1_3repE0EEENS1_30default_config_static_selectorELNS0_4arch9wavefront6targetE0EEEvT1_
	.globl	_ZN7rocprim17ROCPRIM_400000_NS6detail17trampoline_kernelINS0_14default_configENS1_27scan_by_key_config_selectorIj11FixedVectorIiLj8EEEEZZNS1_16scan_by_key_implILNS1_25lookback_scan_determinismE0ELb1ES3_N6thrust23THRUST_200600_302600_NS6detail15normal_iteratorINSB_10device_ptrIjEEEENSD_INSE_IS6_EEEESI_S6_NSB_4plusIvEENSB_8equal_toIvEES6_EE10hipError_tPvRmT2_T3_T4_T5_mT6_T7_P12ihipStream_tbENKUlT_T0_E_clISt17integral_constantIbLb0EES12_IbLb1EEEEDaSY_SZ_EUlSY_E_NS1_11comp_targetILNS1_3genE2ELNS1_11target_archE906ELNS1_3gpuE6ELNS1_3repE0EEENS1_30default_config_static_selectorELNS0_4arch9wavefront6targetE0EEEvT1_
	.p2align	8
	.type	_ZN7rocprim17ROCPRIM_400000_NS6detail17trampoline_kernelINS0_14default_configENS1_27scan_by_key_config_selectorIj11FixedVectorIiLj8EEEEZZNS1_16scan_by_key_implILNS1_25lookback_scan_determinismE0ELb1ES3_N6thrust23THRUST_200600_302600_NS6detail15normal_iteratorINSB_10device_ptrIjEEEENSD_INSE_IS6_EEEESI_S6_NSB_4plusIvEENSB_8equal_toIvEES6_EE10hipError_tPvRmT2_T3_T4_T5_mT6_T7_P12ihipStream_tbENKUlT_T0_E_clISt17integral_constantIbLb0EES12_IbLb1EEEEDaSY_SZ_EUlSY_E_NS1_11comp_targetILNS1_3genE2ELNS1_11target_archE906ELNS1_3gpuE6ELNS1_3repE0EEENS1_30default_config_static_selectorELNS0_4arch9wavefront6targetE0EEEvT1_,@function
_ZN7rocprim17ROCPRIM_400000_NS6detail17trampoline_kernelINS0_14default_configENS1_27scan_by_key_config_selectorIj11FixedVectorIiLj8EEEEZZNS1_16scan_by_key_implILNS1_25lookback_scan_determinismE0ELb1ES3_N6thrust23THRUST_200600_302600_NS6detail15normal_iteratorINSB_10device_ptrIjEEEENSD_INSE_IS6_EEEESI_S6_NSB_4plusIvEENSB_8equal_toIvEES6_EE10hipError_tPvRmT2_T3_T4_T5_mT6_T7_P12ihipStream_tbENKUlT_T0_E_clISt17integral_constantIbLb0EES12_IbLb1EEEEDaSY_SZ_EUlSY_E_NS1_11comp_targetILNS1_3genE2ELNS1_11target_archE906ELNS1_3gpuE6ELNS1_3repE0EEENS1_30default_config_static_selectorELNS0_4arch9wavefront6targetE0EEEvT1_: ; @_ZN7rocprim17ROCPRIM_400000_NS6detail17trampoline_kernelINS0_14default_configENS1_27scan_by_key_config_selectorIj11FixedVectorIiLj8EEEEZZNS1_16scan_by_key_implILNS1_25lookback_scan_determinismE0ELb1ES3_N6thrust23THRUST_200600_302600_NS6detail15normal_iteratorINSB_10device_ptrIjEEEENSD_INSE_IS6_EEEESI_S6_NSB_4plusIvEENSB_8equal_toIvEES6_EE10hipError_tPvRmT2_T3_T4_T5_mT6_T7_P12ihipStream_tbENKUlT_T0_E_clISt17integral_constantIbLb0EES12_IbLb1EEEEDaSY_SZ_EUlSY_E_NS1_11comp_targetILNS1_3genE2ELNS1_11target_archE906ELNS1_3gpuE6ELNS1_3repE0EEENS1_30default_config_static_selectorELNS0_4arch9wavefront6targetE0EEEvT1_
; %bb.0:
	.section	.rodata,"a",@progbits
	.p2align	6, 0x0
	.amdhsa_kernel _ZN7rocprim17ROCPRIM_400000_NS6detail17trampoline_kernelINS0_14default_configENS1_27scan_by_key_config_selectorIj11FixedVectorIiLj8EEEEZZNS1_16scan_by_key_implILNS1_25lookback_scan_determinismE0ELb1ES3_N6thrust23THRUST_200600_302600_NS6detail15normal_iteratorINSB_10device_ptrIjEEEENSD_INSE_IS6_EEEESI_S6_NSB_4plusIvEENSB_8equal_toIvEES6_EE10hipError_tPvRmT2_T3_T4_T5_mT6_T7_P12ihipStream_tbENKUlT_T0_E_clISt17integral_constantIbLb0EES12_IbLb1EEEEDaSY_SZ_EUlSY_E_NS1_11comp_targetILNS1_3genE2ELNS1_11target_archE906ELNS1_3gpuE6ELNS1_3repE0EEENS1_30default_config_static_selectorELNS0_4arch9wavefront6targetE0EEEvT1_
		.amdhsa_group_segment_fixed_size 0
		.amdhsa_private_segment_fixed_size 0
		.amdhsa_kernarg_size 160
		.amdhsa_user_sgpr_count 6
		.amdhsa_user_sgpr_private_segment_buffer 1
		.amdhsa_user_sgpr_dispatch_ptr 0
		.amdhsa_user_sgpr_queue_ptr 0
		.amdhsa_user_sgpr_kernarg_segment_ptr 1
		.amdhsa_user_sgpr_dispatch_id 0
		.amdhsa_user_sgpr_flat_scratch_init 0
		.amdhsa_user_sgpr_private_segment_size 0
		.amdhsa_wavefront_size32 1
		.amdhsa_uses_dynamic_stack 0
		.amdhsa_system_sgpr_private_segment_wavefront_offset 0
		.amdhsa_system_sgpr_workgroup_id_x 1
		.amdhsa_system_sgpr_workgroup_id_y 0
		.amdhsa_system_sgpr_workgroup_id_z 0
		.amdhsa_system_sgpr_workgroup_info 0
		.amdhsa_system_vgpr_workitem_id 0
		.amdhsa_next_free_vgpr 1
		.amdhsa_next_free_sgpr 1
		.amdhsa_reserve_vcc 0
		.amdhsa_reserve_flat_scratch 0
		.amdhsa_float_round_mode_32 0
		.amdhsa_float_round_mode_16_64 0
		.amdhsa_float_denorm_mode_32 3
		.amdhsa_float_denorm_mode_16_64 3
		.amdhsa_dx10_clamp 1
		.amdhsa_ieee_mode 1
		.amdhsa_fp16_overflow 0
		.amdhsa_workgroup_processor_mode 1
		.amdhsa_memory_ordered 1
		.amdhsa_forward_progress 1
		.amdhsa_shared_vgpr_count 0
		.amdhsa_exception_fp_ieee_invalid_op 0
		.amdhsa_exception_fp_denorm_src 0
		.amdhsa_exception_fp_ieee_div_zero 0
		.amdhsa_exception_fp_ieee_overflow 0
		.amdhsa_exception_fp_ieee_underflow 0
		.amdhsa_exception_fp_ieee_inexact 0
		.amdhsa_exception_int_div_zero 0
	.end_amdhsa_kernel
	.section	.text._ZN7rocprim17ROCPRIM_400000_NS6detail17trampoline_kernelINS0_14default_configENS1_27scan_by_key_config_selectorIj11FixedVectorIiLj8EEEEZZNS1_16scan_by_key_implILNS1_25lookback_scan_determinismE0ELb1ES3_N6thrust23THRUST_200600_302600_NS6detail15normal_iteratorINSB_10device_ptrIjEEEENSD_INSE_IS6_EEEESI_S6_NSB_4plusIvEENSB_8equal_toIvEES6_EE10hipError_tPvRmT2_T3_T4_T5_mT6_T7_P12ihipStream_tbENKUlT_T0_E_clISt17integral_constantIbLb0EES12_IbLb1EEEEDaSY_SZ_EUlSY_E_NS1_11comp_targetILNS1_3genE2ELNS1_11target_archE906ELNS1_3gpuE6ELNS1_3repE0EEENS1_30default_config_static_selectorELNS0_4arch9wavefront6targetE0EEEvT1_,"axG",@progbits,_ZN7rocprim17ROCPRIM_400000_NS6detail17trampoline_kernelINS0_14default_configENS1_27scan_by_key_config_selectorIj11FixedVectorIiLj8EEEEZZNS1_16scan_by_key_implILNS1_25lookback_scan_determinismE0ELb1ES3_N6thrust23THRUST_200600_302600_NS6detail15normal_iteratorINSB_10device_ptrIjEEEENSD_INSE_IS6_EEEESI_S6_NSB_4plusIvEENSB_8equal_toIvEES6_EE10hipError_tPvRmT2_T3_T4_T5_mT6_T7_P12ihipStream_tbENKUlT_T0_E_clISt17integral_constantIbLb0EES12_IbLb1EEEEDaSY_SZ_EUlSY_E_NS1_11comp_targetILNS1_3genE2ELNS1_11target_archE906ELNS1_3gpuE6ELNS1_3repE0EEENS1_30default_config_static_selectorELNS0_4arch9wavefront6targetE0EEEvT1_,comdat
.Lfunc_end2189:
	.size	_ZN7rocprim17ROCPRIM_400000_NS6detail17trampoline_kernelINS0_14default_configENS1_27scan_by_key_config_selectorIj11FixedVectorIiLj8EEEEZZNS1_16scan_by_key_implILNS1_25lookback_scan_determinismE0ELb1ES3_N6thrust23THRUST_200600_302600_NS6detail15normal_iteratorINSB_10device_ptrIjEEEENSD_INSE_IS6_EEEESI_S6_NSB_4plusIvEENSB_8equal_toIvEES6_EE10hipError_tPvRmT2_T3_T4_T5_mT6_T7_P12ihipStream_tbENKUlT_T0_E_clISt17integral_constantIbLb0EES12_IbLb1EEEEDaSY_SZ_EUlSY_E_NS1_11comp_targetILNS1_3genE2ELNS1_11target_archE906ELNS1_3gpuE6ELNS1_3repE0EEENS1_30default_config_static_selectorELNS0_4arch9wavefront6targetE0EEEvT1_, .Lfunc_end2189-_ZN7rocprim17ROCPRIM_400000_NS6detail17trampoline_kernelINS0_14default_configENS1_27scan_by_key_config_selectorIj11FixedVectorIiLj8EEEEZZNS1_16scan_by_key_implILNS1_25lookback_scan_determinismE0ELb1ES3_N6thrust23THRUST_200600_302600_NS6detail15normal_iteratorINSB_10device_ptrIjEEEENSD_INSE_IS6_EEEESI_S6_NSB_4plusIvEENSB_8equal_toIvEES6_EE10hipError_tPvRmT2_T3_T4_T5_mT6_T7_P12ihipStream_tbENKUlT_T0_E_clISt17integral_constantIbLb0EES12_IbLb1EEEEDaSY_SZ_EUlSY_E_NS1_11comp_targetILNS1_3genE2ELNS1_11target_archE906ELNS1_3gpuE6ELNS1_3repE0EEENS1_30default_config_static_selectorELNS0_4arch9wavefront6targetE0EEEvT1_
                                        ; -- End function
	.set _ZN7rocprim17ROCPRIM_400000_NS6detail17trampoline_kernelINS0_14default_configENS1_27scan_by_key_config_selectorIj11FixedVectorIiLj8EEEEZZNS1_16scan_by_key_implILNS1_25lookback_scan_determinismE0ELb1ES3_N6thrust23THRUST_200600_302600_NS6detail15normal_iteratorINSB_10device_ptrIjEEEENSD_INSE_IS6_EEEESI_S6_NSB_4plusIvEENSB_8equal_toIvEES6_EE10hipError_tPvRmT2_T3_T4_T5_mT6_T7_P12ihipStream_tbENKUlT_T0_E_clISt17integral_constantIbLb0EES12_IbLb1EEEEDaSY_SZ_EUlSY_E_NS1_11comp_targetILNS1_3genE2ELNS1_11target_archE906ELNS1_3gpuE6ELNS1_3repE0EEENS1_30default_config_static_selectorELNS0_4arch9wavefront6targetE0EEEvT1_.num_vgpr, 0
	.set _ZN7rocprim17ROCPRIM_400000_NS6detail17trampoline_kernelINS0_14default_configENS1_27scan_by_key_config_selectorIj11FixedVectorIiLj8EEEEZZNS1_16scan_by_key_implILNS1_25lookback_scan_determinismE0ELb1ES3_N6thrust23THRUST_200600_302600_NS6detail15normal_iteratorINSB_10device_ptrIjEEEENSD_INSE_IS6_EEEESI_S6_NSB_4plusIvEENSB_8equal_toIvEES6_EE10hipError_tPvRmT2_T3_T4_T5_mT6_T7_P12ihipStream_tbENKUlT_T0_E_clISt17integral_constantIbLb0EES12_IbLb1EEEEDaSY_SZ_EUlSY_E_NS1_11comp_targetILNS1_3genE2ELNS1_11target_archE906ELNS1_3gpuE6ELNS1_3repE0EEENS1_30default_config_static_selectorELNS0_4arch9wavefront6targetE0EEEvT1_.num_agpr, 0
	.set _ZN7rocprim17ROCPRIM_400000_NS6detail17trampoline_kernelINS0_14default_configENS1_27scan_by_key_config_selectorIj11FixedVectorIiLj8EEEEZZNS1_16scan_by_key_implILNS1_25lookback_scan_determinismE0ELb1ES3_N6thrust23THRUST_200600_302600_NS6detail15normal_iteratorINSB_10device_ptrIjEEEENSD_INSE_IS6_EEEESI_S6_NSB_4plusIvEENSB_8equal_toIvEES6_EE10hipError_tPvRmT2_T3_T4_T5_mT6_T7_P12ihipStream_tbENKUlT_T0_E_clISt17integral_constantIbLb0EES12_IbLb1EEEEDaSY_SZ_EUlSY_E_NS1_11comp_targetILNS1_3genE2ELNS1_11target_archE906ELNS1_3gpuE6ELNS1_3repE0EEENS1_30default_config_static_selectorELNS0_4arch9wavefront6targetE0EEEvT1_.numbered_sgpr, 0
	.set _ZN7rocprim17ROCPRIM_400000_NS6detail17trampoline_kernelINS0_14default_configENS1_27scan_by_key_config_selectorIj11FixedVectorIiLj8EEEEZZNS1_16scan_by_key_implILNS1_25lookback_scan_determinismE0ELb1ES3_N6thrust23THRUST_200600_302600_NS6detail15normal_iteratorINSB_10device_ptrIjEEEENSD_INSE_IS6_EEEESI_S6_NSB_4plusIvEENSB_8equal_toIvEES6_EE10hipError_tPvRmT2_T3_T4_T5_mT6_T7_P12ihipStream_tbENKUlT_T0_E_clISt17integral_constantIbLb0EES12_IbLb1EEEEDaSY_SZ_EUlSY_E_NS1_11comp_targetILNS1_3genE2ELNS1_11target_archE906ELNS1_3gpuE6ELNS1_3repE0EEENS1_30default_config_static_selectorELNS0_4arch9wavefront6targetE0EEEvT1_.num_named_barrier, 0
	.set _ZN7rocprim17ROCPRIM_400000_NS6detail17trampoline_kernelINS0_14default_configENS1_27scan_by_key_config_selectorIj11FixedVectorIiLj8EEEEZZNS1_16scan_by_key_implILNS1_25lookback_scan_determinismE0ELb1ES3_N6thrust23THRUST_200600_302600_NS6detail15normal_iteratorINSB_10device_ptrIjEEEENSD_INSE_IS6_EEEESI_S6_NSB_4plusIvEENSB_8equal_toIvEES6_EE10hipError_tPvRmT2_T3_T4_T5_mT6_T7_P12ihipStream_tbENKUlT_T0_E_clISt17integral_constantIbLb0EES12_IbLb1EEEEDaSY_SZ_EUlSY_E_NS1_11comp_targetILNS1_3genE2ELNS1_11target_archE906ELNS1_3gpuE6ELNS1_3repE0EEENS1_30default_config_static_selectorELNS0_4arch9wavefront6targetE0EEEvT1_.private_seg_size, 0
	.set _ZN7rocprim17ROCPRIM_400000_NS6detail17trampoline_kernelINS0_14default_configENS1_27scan_by_key_config_selectorIj11FixedVectorIiLj8EEEEZZNS1_16scan_by_key_implILNS1_25lookback_scan_determinismE0ELb1ES3_N6thrust23THRUST_200600_302600_NS6detail15normal_iteratorINSB_10device_ptrIjEEEENSD_INSE_IS6_EEEESI_S6_NSB_4plusIvEENSB_8equal_toIvEES6_EE10hipError_tPvRmT2_T3_T4_T5_mT6_T7_P12ihipStream_tbENKUlT_T0_E_clISt17integral_constantIbLb0EES12_IbLb1EEEEDaSY_SZ_EUlSY_E_NS1_11comp_targetILNS1_3genE2ELNS1_11target_archE906ELNS1_3gpuE6ELNS1_3repE0EEENS1_30default_config_static_selectorELNS0_4arch9wavefront6targetE0EEEvT1_.uses_vcc, 0
	.set _ZN7rocprim17ROCPRIM_400000_NS6detail17trampoline_kernelINS0_14default_configENS1_27scan_by_key_config_selectorIj11FixedVectorIiLj8EEEEZZNS1_16scan_by_key_implILNS1_25lookback_scan_determinismE0ELb1ES3_N6thrust23THRUST_200600_302600_NS6detail15normal_iteratorINSB_10device_ptrIjEEEENSD_INSE_IS6_EEEESI_S6_NSB_4plusIvEENSB_8equal_toIvEES6_EE10hipError_tPvRmT2_T3_T4_T5_mT6_T7_P12ihipStream_tbENKUlT_T0_E_clISt17integral_constantIbLb0EES12_IbLb1EEEEDaSY_SZ_EUlSY_E_NS1_11comp_targetILNS1_3genE2ELNS1_11target_archE906ELNS1_3gpuE6ELNS1_3repE0EEENS1_30default_config_static_selectorELNS0_4arch9wavefront6targetE0EEEvT1_.uses_flat_scratch, 0
	.set _ZN7rocprim17ROCPRIM_400000_NS6detail17trampoline_kernelINS0_14default_configENS1_27scan_by_key_config_selectorIj11FixedVectorIiLj8EEEEZZNS1_16scan_by_key_implILNS1_25lookback_scan_determinismE0ELb1ES3_N6thrust23THRUST_200600_302600_NS6detail15normal_iteratorINSB_10device_ptrIjEEEENSD_INSE_IS6_EEEESI_S6_NSB_4plusIvEENSB_8equal_toIvEES6_EE10hipError_tPvRmT2_T3_T4_T5_mT6_T7_P12ihipStream_tbENKUlT_T0_E_clISt17integral_constantIbLb0EES12_IbLb1EEEEDaSY_SZ_EUlSY_E_NS1_11comp_targetILNS1_3genE2ELNS1_11target_archE906ELNS1_3gpuE6ELNS1_3repE0EEENS1_30default_config_static_selectorELNS0_4arch9wavefront6targetE0EEEvT1_.has_dyn_sized_stack, 0
	.set _ZN7rocprim17ROCPRIM_400000_NS6detail17trampoline_kernelINS0_14default_configENS1_27scan_by_key_config_selectorIj11FixedVectorIiLj8EEEEZZNS1_16scan_by_key_implILNS1_25lookback_scan_determinismE0ELb1ES3_N6thrust23THRUST_200600_302600_NS6detail15normal_iteratorINSB_10device_ptrIjEEEENSD_INSE_IS6_EEEESI_S6_NSB_4plusIvEENSB_8equal_toIvEES6_EE10hipError_tPvRmT2_T3_T4_T5_mT6_T7_P12ihipStream_tbENKUlT_T0_E_clISt17integral_constantIbLb0EES12_IbLb1EEEEDaSY_SZ_EUlSY_E_NS1_11comp_targetILNS1_3genE2ELNS1_11target_archE906ELNS1_3gpuE6ELNS1_3repE0EEENS1_30default_config_static_selectorELNS0_4arch9wavefront6targetE0EEEvT1_.has_recursion, 0
	.set _ZN7rocprim17ROCPRIM_400000_NS6detail17trampoline_kernelINS0_14default_configENS1_27scan_by_key_config_selectorIj11FixedVectorIiLj8EEEEZZNS1_16scan_by_key_implILNS1_25lookback_scan_determinismE0ELb1ES3_N6thrust23THRUST_200600_302600_NS6detail15normal_iteratorINSB_10device_ptrIjEEEENSD_INSE_IS6_EEEESI_S6_NSB_4plusIvEENSB_8equal_toIvEES6_EE10hipError_tPvRmT2_T3_T4_T5_mT6_T7_P12ihipStream_tbENKUlT_T0_E_clISt17integral_constantIbLb0EES12_IbLb1EEEEDaSY_SZ_EUlSY_E_NS1_11comp_targetILNS1_3genE2ELNS1_11target_archE906ELNS1_3gpuE6ELNS1_3repE0EEENS1_30default_config_static_selectorELNS0_4arch9wavefront6targetE0EEEvT1_.has_indirect_call, 0
	.section	.AMDGPU.csdata,"",@progbits
; Kernel info:
; codeLenInByte = 0
; TotalNumSgprs: 0
; NumVgprs: 0
; ScratchSize: 0
; MemoryBound: 0
; FloatMode: 240
; IeeeMode: 1
; LDSByteSize: 0 bytes/workgroup (compile time only)
; SGPRBlocks: 0
; VGPRBlocks: 0
; NumSGPRsForWavesPerEU: 1
; NumVGPRsForWavesPerEU: 1
; Occupancy: 16
; WaveLimiterHint : 0
; COMPUTE_PGM_RSRC2:SCRATCH_EN: 0
; COMPUTE_PGM_RSRC2:USER_SGPR: 6
; COMPUTE_PGM_RSRC2:TRAP_HANDLER: 0
; COMPUTE_PGM_RSRC2:TGID_X_EN: 1
; COMPUTE_PGM_RSRC2:TGID_Y_EN: 0
; COMPUTE_PGM_RSRC2:TGID_Z_EN: 0
; COMPUTE_PGM_RSRC2:TIDIG_COMP_CNT: 0
	.section	.text._ZN7rocprim17ROCPRIM_400000_NS6detail17trampoline_kernelINS0_14default_configENS1_27scan_by_key_config_selectorIj11FixedVectorIiLj8EEEEZZNS1_16scan_by_key_implILNS1_25lookback_scan_determinismE0ELb1ES3_N6thrust23THRUST_200600_302600_NS6detail15normal_iteratorINSB_10device_ptrIjEEEENSD_INSE_IS6_EEEESI_S6_NSB_4plusIvEENSB_8equal_toIvEES6_EE10hipError_tPvRmT2_T3_T4_T5_mT6_T7_P12ihipStream_tbENKUlT_T0_E_clISt17integral_constantIbLb0EES12_IbLb1EEEEDaSY_SZ_EUlSY_E_NS1_11comp_targetILNS1_3genE10ELNS1_11target_archE1200ELNS1_3gpuE4ELNS1_3repE0EEENS1_30default_config_static_selectorELNS0_4arch9wavefront6targetE0EEEvT1_,"axG",@progbits,_ZN7rocprim17ROCPRIM_400000_NS6detail17trampoline_kernelINS0_14default_configENS1_27scan_by_key_config_selectorIj11FixedVectorIiLj8EEEEZZNS1_16scan_by_key_implILNS1_25lookback_scan_determinismE0ELb1ES3_N6thrust23THRUST_200600_302600_NS6detail15normal_iteratorINSB_10device_ptrIjEEEENSD_INSE_IS6_EEEESI_S6_NSB_4plusIvEENSB_8equal_toIvEES6_EE10hipError_tPvRmT2_T3_T4_T5_mT6_T7_P12ihipStream_tbENKUlT_T0_E_clISt17integral_constantIbLb0EES12_IbLb1EEEEDaSY_SZ_EUlSY_E_NS1_11comp_targetILNS1_3genE10ELNS1_11target_archE1200ELNS1_3gpuE4ELNS1_3repE0EEENS1_30default_config_static_selectorELNS0_4arch9wavefront6targetE0EEEvT1_,comdat
	.protected	_ZN7rocprim17ROCPRIM_400000_NS6detail17trampoline_kernelINS0_14default_configENS1_27scan_by_key_config_selectorIj11FixedVectorIiLj8EEEEZZNS1_16scan_by_key_implILNS1_25lookback_scan_determinismE0ELb1ES3_N6thrust23THRUST_200600_302600_NS6detail15normal_iteratorINSB_10device_ptrIjEEEENSD_INSE_IS6_EEEESI_S6_NSB_4plusIvEENSB_8equal_toIvEES6_EE10hipError_tPvRmT2_T3_T4_T5_mT6_T7_P12ihipStream_tbENKUlT_T0_E_clISt17integral_constantIbLb0EES12_IbLb1EEEEDaSY_SZ_EUlSY_E_NS1_11comp_targetILNS1_3genE10ELNS1_11target_archE1200ELNS1_3gpuE4ELNS1_3repE0EEENS1_30default_config_static_selectorELNS0_4arch9wavefront6targetE0EEEvT1_ ; -- Begin function _ZN7rocprim17ROCPRIM_400000_NS6detail17trampoline_kernelINS0_14default_configENS1_27scan_by_key_config_selectorIj11FixedVectorIiLj8EEEEZZNS1_16scan_by_key_implILNS1_25lookback_scan_determinismE0ELb1ES3_N6thrust23THRUST_200600_302600_NS6detail15normal_iteratorINSB_10device_ptrIjEEEENSD_INSE_IS6_EEEESI_S6_NSB_4plusIvEENSB_8equal_toIvEES6_EE10hipError_tPvRmT2_T3_T4_T5_mT6_T7_P12ihipStream_tbENKUlT_T0_E_clISt17integral_constantIbLb0EES12_IbLb1EEEEDaSY_SZ_EUlSY_E_NS1_11comp_targetILNS1_3genE10ELNS1_11target_archE1200ELNS1_3gpuE4ELNS1_3repE0EEENS1_30default_config_static_selectorELNS0_4arch9wavefront6targetE0EEEvT1_
	.globl	_ZN7rocprim17ROCPRIM_400000_NS6detail17trampoline_kernelINS0_14default_configENS1_27scan_by_key_config_selectorIj11FixedVectorIiLj8EEEEZZNS1_16scan_by_key_implILNS1_25lookback_scan_determinismE0ELb1ES3_N6thrust23THRUST_200600_302600_NS6detail15normal_iteratorINSB_10device_ptrIjEEEENSD_INSE_IS6_EEEESI_S6_NSB_4plusIvEENSB_8equal_toIvEES6_EE10hipError_tPvRmT2_T3_T4_T5_mT6_T7_P12ihipStream_tbENKUlT_T0_E_clISt17integral_constantIbLb0EES12_IbLb1EEEEDaSY_SZ_EUlSY_E_NS1_11comp_targetILNS1_3genE10ELNS1_11target_archE1200ELNS1_3gpuE4ELNS1_3repE0EEENS1_30default_config_static_selectorELNS0_4arch9wavefront6targetE0EEEvT1_
	.p2align	8
	.type	_ZN7rocprim17ROCPRIM_400000_NS6detail17trampoline_kernelINS0_14default_configENS1_27scan_by_key_config_selectorIj11FixedVectorIiLj8EEEEZZNS1_16scan_by_key_implILNS1_25lookback_scan_determinismE0ELb1ES3_N6thrust23THRUST_200600_302600_NS6detail15normal_iteratorINSB_10device_ptrIjEEEENSD_INSE_IS6_EEEESI_S6_NSB_4plusIvEENSB_8equal_toIvEES6_EE10hipError_tPvRmT2_T3_T4_T5_mT6_T7_P12ihipStream_tbENKUlT_T0_E_clISt17integral_constantIbLb0EES12_IbLb1EEEEDaSY_SZ_EUlSY_E_NS1_11comp_targetILNS1_3genE10ELNS1_11target_archE1200ELNS1_3gpuE4ELNS1_3repE0EEENS1_30default_config_static_selectorELNS0_4arch9wavefront6targetE0EEEvT1_,@function
_ZN7rocprim17ROCPRIM_400000_NS6detail17trampoline_kernelINS0_14default_configENS1_27scan_by_key_config_selectorIj11FixedVectorIiLj8EEEEZZNS1_16scan_by_key_implILNS1_25lookback_scan_determinismE0ELb1ES3_N6thrust23THRUST_200600_302600_NS6detail15normal_iteratorINSB_10device_ptrIjEEEENSD_INSE_IS6_EEEESI_S6_NSB_4plusIvEENSB_8equal_toIvEES6_EE10hipError_tPvRmT2_T3_T4_T5_mT6_T7_P12ihipStream_tbENKUlT_T0_E_clISt17integral_constantIbLb0EES12_IbLb1EEEEDaSY_SZ_EUlSY_E_NS1_11comp_targetILNS1_3genE10ELNS1_11target_archE1200ELNS1_3gpuE4ELNS1_3repE0EEENS1_30default_config_static_selectorELNS0_4arch9wavefront6targetE0EEEvT1_: ; @_ZN7rocprim17ROCPRIM_400000_NS6detail17trampoline_kernelINS0_14default_configENS1_27scan_by_key_config_selectorIj11FixedVectorIiLj8EEEEZZNS1_16scan_by_key_implILNS1_25lookback_scan_determinismE0ELb1ES3_N6thrust23THRUST_200600_302600_NS6detail15normal_iteratorINSB_10device_ptrIjEEEENSD_INSE_IS6_EEEESI_S6_NSB_4plusIvEENSB_8equal_toIvEES6_EE10hipError_tPvRmT2_T3_T4_T5_mT6_T7_P12ihipStream_tbENKUlT_T0_E_clISt17integral_constantIbLb0EES12_IbLb1EEEEDaSY_SZ_EUlSY_E_NS1_11comp_targetILNS1_3genE10ELNS1_11target_archE1200ELNS1_3gpuE4ELNS1_3repE0EEENS1_30default_config_static_selectorELNS0_4arch9wavefront6targetE0EEEvT1_
; %bb.0:
	.section	.rodata,"a",@progbits
	.p2align	6, 0x0
	.amdhsa_kernel _ZN7rocprim17ROCPRIM_400000_NS6detail17trampoline_kernelINS0_14default_configENS1_27scan_by_key_config_selectorIj11FixedVectorIiLj8EEEEZZNS1_16scan_by_key_implILNS1_25lookback_scan_determinismE0ELb1ES3_N6thrust23THRUST_200600_302600_NS6detail15normal_iteratorINSB_10device_ptrIjEEEENSD_INSE_IS6_EEEESI_S6_NSB_4plusIvEENSB_8equal_toIvEES6_EE10hipError_tPvRmT2_T3_T4_T5_mT6_T7_P12ihipStream_tbENKUlT_T0_E_clISt17integral_constantIbLb0EES12_IbLb1EEEEDaSY_SZ_EUlSY_E_NS1_11comp_targetILNS1_3genE10ELNS1_11target_archE1200ELNS1_3gpuE4ELNS1_3repE0EEENS1_30default_config_static_selectorELNS0_4arch9wavefront6targetE0EEEvT1_
		.amdhsa_group_segment_fixed_size 0
		.amdhsa_private_segment_fixed_size 0
		.amdhsa_kernarg_size 160
		.amdhsa_user_sgpr_count 6
		.amdhsa_user_sgpr_private_segment_buffer 1
		.amdhsa_user_sgpr_dispatch_ptr 0
		.amdhsa_user_sgpr_queue_ptr 0
		.amdhsa_user_sgpr_kernarg_segment_ptr 1
		.amdhsa_user_sgpr_dispatch_id 0
		.amdhsa_user_sgpr_flat_scratch_init 0
		.amdhsa_user_sgpr_private_segment_size 0
		.amdhsa_wavefront_size32 1
		.amdhsa_uses_dynamic_stack 0
		.amdhsa_system_sgpr_private_segment_wavefront_offset 0
		.amdhsa_system_sgpr_workgroup_id_x 1
		.amdhsa_system_sgpr_workgroup_id_y 0
		.amdhsa_system_sgpr_workgroup_id_z 0
		.amdhsa_system_sgpr_workgroup_info 0
		.amdhsa_system_vgpr_workitem_id 0
		.amdhsa_next_free_vgpr 1
		.amdhsa_next_free_sgpr 1
		.amdhsa_reserve_vcc 0
		.amdhsa_reserve_flat_scratch 0
		.amdhsa_float_round_mode_32 0
		.amdhsa_float_round_mode_16_64 0
		.amdhsa_float_denorm_mode_32 3
		.amdhsa_float_denorm_mode_16_64 3
		.amdhsa_dx10_clamp 1
		.amdhsa_ieee_mode 1
		.amdhsa_fp16_overflow 0
		.amdhsa_workgroup_processor_mode 1
		.amdhsa_memory_ordered 1
		.amdhsa_forward_progress 1
		.amdhsa_shared_vgpr_count 0
		.amdhsa_exception_fp_ieee_invalid_op 0
		.amdhsa_exception_fp_denorm_src 0
		.amdhsa_exception_fp_ieee_div_zero 0
		.amdhsa_exception_fp_ieee_overflow 0
		.amdhsa_exception_fp_ieee_underflow 0
		.amdhsa_exception_fp_ieee_inexact 0
		.amdhsa_exception_int_div_zero 0
	.end_amdhsa_kernel
	.section	.text._ZN7rocprim17ROCPRIM_400000_NS6detail17trampoline_kernelINS0_14default_configENS1_27scan_by_key_config_selectorIj11FixedVectorIiLj8EEEEZZNS1_16scan_by_key_implILNS1_25lookback_scan_determinismE0ELb1ES3_N6thrust23THRUST_200600_302600_NS6detail15normal_iteratorINSB_10device_ptrIjEEEENSD_INSE_IS6_EEEESI_S6_NSB_4plusIvEENSB_8equal_toIvEES6_EE10hipError_tPvRmT2_T3_T4_T5_mT6_T7_P12ihipStream_tbENKUlT_T0_E_clISt17integral_constantIbLb0EES12_IbLb1EEEEDaSY_SZ_EUlSY_E_NS1_11comp_targetILNS1_3genE10ELNS1_11target_archE1200ELNS1_3gpuE4ELNS1_3repE0EEENS1_30default_config_static_selectorELNS0_4arch9wavefront6targetE0EEEvT1_,"axG",@progbits,_ZN7rocprim17ROCPRIM_400000_NS6detail17trampoline_kernelINS0_14default_configENS1_27scan_by_key_config_selectorIj11FixedVectorIiLj8EEEEZZNS1_16scan_by_key_implILNS1_25lookback_scan_determinismE0ELb1ES3_N6thrust23THRUST_200600_302600_NS6detail15normal_iteratorINSB_10device_ptrIjEEEENSD_INSE_IS6_EEEESI_S6_NSB_4plusIvEENSB_8equal_toIvEES6_EE10hipError_tPvRmT2_T3_T4_T5_mT6_T7_P12ihipStream_tbENKUlT_T0_E_clISt17integral_constantIbLb0EES12_IbLb1EEEEDaSY_SZ_EUlSY_E_NS1_11comp_targetILNS1_3genE10ELNS1_11target_archE1200ELNS1_3gpuE4ELNS1_3repE0EEENS1_30default_config_static_selectorELNS0_4arch9wavefront6targetE0EEEvT1_,comdat
.Lfunc_end2190:
	.size	_ZN7rocprim17ROCPRIM_400000_NS6detail17trampoline_kernelINS0_14default_configENS1_27scan_by_key_config_selectorIj11FixedVectorIiLj8EEEEZZNS1_16scan_by_key_implILNS1_25lookback_scan_determinismE0ELb1ES3_N6thrust23THRUST_200600_302600_NS6detail15normal_iteratorINSB_10device_ptrIjEEEENSD_INSE_IS6_EEEESI_S6_NSB_4plusIvEENSB_8equal_toIvEES6_EE10hipError_tPvRmT2_T3_T4_T5_mT6_T7_P12ihipStream_tbENKUlT_T0_E_clISt17integral_constantIbLb0EES12_IbLb1EEEEDaSY_SZ_EUlSY_E_NS1_11comp_targetILNS1_3genE10ELNS1_11target_archE1200ELNS1_3gpuE4ELNS1_3repE0EEENS1_30default_config_static_selectorELNS0_4arch9wavefront6targetE0EEEvT1_, .Lfunc_end2190-_ZN7rocprim17ROCPRIM_400000_NS6detail17trampoline_kernelINS0_14default_configENS1_27scan_by_key_config_selectorIj11FixedVectorIiLj8EEEEZZNS1_16scan_by_key_implILNS1_25lookback_scan_determinismE0ELb1ES3_N6thrust23THRUST_200600_302600_NS6detail15normal_iteratorINSB_10device_ptrIjEEEENSD_INSE_IS6_EEEESI_S6_NSB_4plusIvEENSB_8equal_toIvEES6_EE10hipError_tPvRmT2_T3_T4_T5_mT6_T7_P12ihipStream_tbENKUlT_T0_E_clISt17integral_constantIbLb0EES12_IbLb1EEEEDaSY_SZ_EUlSY_E_NS1_11comp_targetILNS1_3genE10ELNS1_11target_archE1200ELNS1_3gpuE4ELNS1_3repE0EEENS1_30default_config_static_selectorELNS0_4arch9wavefront6targetE0EEEvT1_
                                        ; -- End function
	.set _ZN7rocprim17ROCPRIM_400000_NS6detail17trampoline_kernelINS0_14default_configENS1_27scan_by_key_config_selectorIj11FixedVectorIiLj8EEEEZZNS1_16scan_by_key_implILNS1_25lookback_scan_determinismE0ELb1ES3_N6thrust23THRUST_200600_302600_NS6detail15normal_iteratorINSB_10device_ptrIjEEEENSD_INSE_IS6_EEEESI_S6_NSB_4plusIvEENSB_8equal_toIvEES6_EE10hipError_tPvRmT2_T3_T4_T5_mT6_T7_P12ihipStream_tbENKUlT_T0_E_clISt17integral_constantIbLb0EES12_IbLb1EEEEDaSY_SZ_EUlSY_E_NS1_11comp_targetILNS1_3genE10ELNS1_11target_archE1200ELNS1_3gpuE4ELNS1_3repE0EEENS1_30default_config_static_selectorELNS0_4arch9wavefront6targetE0EEEvT1_.num_vgpr, 0
	.set _ZN7rocprim17ROCPRIM_400000_NS6detail17trampoline_kernelINS0_14default_configENS1_27scan_by_key_config_selectorIj11FixedVectorIiLj8EEEEZZNS1_16scan_by_key_implILNS1_25lookback_scan_determinismE0ELb1ES3_N6thrust23THRUST_200600_302600_NS6detail15normal_iteratorINSB_10device_ptrIjEEEENSD_INSE_IS6_EEEESI_S6_NSB_4plusIvEENSB_8equal_toIvEES6_EE10hipError_tPvRmT2_T3_T4_T5_mT6_T7_P12ihipStream_tbENKUlT_T0_E_clISt17integral_constantIbLb0EES12_IbLb1EEEEDaSY_SZ_EUlSY_E_NS1_11comp_targetILNS1_3genE10ELNS1_11target_archE1200ELNS1_3gpuE4ELNS1_3repE0EEENS1_30default_config_static_selectorELNS0_4arch9wavefront6targetE0EEEvT1_.num_agpr, 0
	.set _ZN7rocprim17ROCPRIM_400000_NS6detail17trampoline_kernelINS0_14default_configENS1_27scan_by_key_config_selectorIj11FixedVectorIiLj8EEEEZZNS1_16scan_by_key_implILNS1_25lookback_scan_determinismE0ELb1ES3_N6thrust23THRUST_200600_302600_NS6detail15normal_iteratorINSB_10device_ptrIjEEEENSD_INSE_IS6_EEEESI_S6_NSB_4plusIvEENSB_8equal_toIvEES6_EE10hipError_tPvRmT2_T3_T4_T5_mT6_T7_P12ihipStream_tbENKUlT_T0_E_clISt17integral_constantIbLb0EES12_IbLb1EEEEDaSY_SZ_EUlSY_E_NS1_11comp_targetILNS1_3genE10ELNS1_11target_archE1200ELNS1_3gpuE4ELNS1_3repE0EEENS1_30default_config_static_selectorELNS0_4arch9wavefront6targetE0EEEvT1_.numbered_sgpr, 0
	.set _ZN7rocprim17ROCPRIM_400000_NS6detail17trampoline_kernelINS0_14default_configENS1_27scan_by_key_config_selectorIj11FixedVectorIiLj8EEEEZZNS1_16scan_by_key_implILNS1_25lookback_scan_determinismE0ELb1ES3_N6thrust23THRUST_200600_302600_NS6detail15normal_iteratorINSB_10device_ptrIjEEEENSD_INSE_IS6_EEEESI_S6_NSB_4plusIvEENSB_8equal_toIvEES6_EE10hipError_tPvRmT2_T3_T4_T5_mT6_T7_P12ihipStream_tbENKUlT_T0_E_clISt17integral_constantIbLb0EES12_IbLb1EEEEDaSY_SZ_EUlSY_E_NS1_11comp_targetILNS1_3genE10ELNS1_11target_archE1200ELNS1_3gpuE4ELNS1_3repE0EEENS1_30default_config_static_selectorELNS0_4arch9wavefront6targetE0EEEvT1_.num_named_barrier, 0
	.set _ZN7rocprim17ROCPRIM_400000_NS6detail17trampoline_kernelINS0_14default_configENS1_27scan_by_key_config_selectorIj11FixedVectorIiLj8EEEEZZNS1_16scan_by_key_implILNS1_25lookback_scan_determinismE0ELb1ES3_N6thrust23THRUST_200600_302600_NS6detail15normal_iteratorINSB_10device_ptrIjEEEENSD_INSE_IS6_EEEESI_S6_NSB_4plusIvEENSB_8equal_toIvEES6_EE10hipError_tPvRmT2_T3_T4_T5_mT6_T7_P12ihipStream_tbENKUlT_T0_E_clISt17integral_constantIbLb0EES12_IbLb1EEEEDaSY_SZ_EUlSY_E_NS1_11comp_targetILNS1_3genE10ELNS1_11target_archE1200ELNS1_3gpuE4ELNS1_3repE0EEENS1_30default_config_static_selectorELNS0_4arch9wavefront6targetE0EEEvT1_.private_seg_size, 0
	.set _ZN7rocprim17ROCPRIM_400000_NS6detail17trampoline_kernelINS0_14default_configENS1_27scan_by_key_config_selectorIj11FixedVectorIiLj8EEEEZZNS1_16scan_by_key_implILNS1_25lookback_scan_determinismE0ELb1ES3_N6thrust23THRUST_200600_302600_NS6detail15normal_iteratorINSB_10device_ptrIjEEEENSD_INSE_IS6_EEEESI_S6_NSB_4plusIvEENSB_8equal_toIvEES6_EE10hipError_tPvRmT2_T3_T4_T5_mT6_T7_P12ihipStream_tbENKUlT_T0_E_clISt17integral_constantIbLb0EES12_IbLb1EEEEDaSY_SZ_EUlSY_E_NS1_11comp_targetILNS1_3genE10ELNS1_11target_archE1200ELNS1_3gpuE4ELNS1_3repE0EEENS1_30default_config_static_selectorELNS0_4arch9wavefront6targetE0EEEvT1_.uses_vcc, 0
	.set _ZN7rocprim17ROCPRIM_400000_NS6detail17trampoline_kernelINS0_14default_configENS1_27scan_by_key_config_selectorIj11FixedVectorIiLj8EEEEZZNS1_16scan_by_key_implILNS1_25lookback_scan_determinismE0ELb1ES3_N6thrust23THRUST_200600_302600_NS6detail15normal_iteratorINSB_10device_ptrIjEEEENSD_INSE_IS6_EEEESI_S6_NSB_4plusIvEENSB_8equal_toIvEES6_EE10hipError_tPvRmT2_T3_T4_T5_mT6_T7_P12ihipStream_tbENKUlT_T0_E_clISt17integral_constantIbLb0EES12_IbLb1EEEEDaSY_SZ_EUlSY_E_NS1_11comp_targetILNS1_3genE10ELNS1_11target_archE1200ELNS1_3gpuE4ELNS1_3repE0EEENS1_30default_config_static_selectorELNS0_4arch9wavefront6targetE0EEEvT1_.uses_flat_scratch, 0
	.set _ZN7rocprim17ROCPRIM_400000_NS6detail17trampoline_kernelINS0_14default_configENS1_27scan_by_key_config_selectorIj11FixedVectorIiLj8EEEEZZNS1_16scan_by_key_implILNS1_25lookback_scan_determinismE0ELb1ES3_N6thrust23THRUST_200600_302600_NS6detail15normal_iteratorINSB_10device_ptrIjEEEENSD_INSE_IS6_EEEESI_S6_NSB_4plusIvEENSB_8equal_toIvEES6_EE10hipError_tPvRmT2_T3_T4_T5_mT6_T7_P12ihipStream_tbENKUlT_T0_E_clISt17integral_constantIbLb0EES12_IbLb1EEEEDaSY_SZ_EUlSY_E_NS1_11comp_targetILNS1_3genE10ELNS1_11target_archE1200ELNS1_3gpuE4ELNS1_3repE0EEENS1_30default_config_static_selectorELNS0_4arch9wavefront6targetE0EEEvT1_.has_dyn_sized_stack, 0
	.set _ZN7rocprim17ROCPRIM_400000_NS6detail17trampoline_kernelINS0_14default_configENS1_27scan_by_key_config_selectorIj11FixedVectorIiLj8EEEEZZNS1_16scan_by_key_implILNS1_25lookback_scan_determinismE0ELb1ES3_N6thrust23THRUST_200600_302600_NS6detail15normal_iteratorINSB_10device_ptrIjEEEENSD_INSE_IS6_EEEESI_S6_NSB_4plusIvEENSB_8equal_toIvEES6_EE10hipError_tPvRmT2_T3_T4_T5_mT6_T7_P12ihipStream_tbENKUlT_T0_E_clISt17integral_constantIbLb0EES12_IbLb1EEEEDaSY_SZ_EUlSY_E_NS1_11comp_targetILNS1_3genE10ELNS1_11target_archE1200ELNS1_3gpuE4ELNS1_3repE0EEENS1_30default_config_static_selectorELNS0_4arch9wavefront6targetE0EEEvT1_.has_recursion, 0
	.set _ZN7rocprim17ROCPRIM_400000_NS6detail17trampoline_kernelINS0_14default_configENS1_27scan_by_key_config_selectorIj11FixedVectorIiLj8EEEEZZNS1_16scan_by_key_implILNS1_25lookback_scan_determinismE0ELb1ES3_N6thrust23THRUST_200600_302600_NS6detail15normal_iteratorINSB_10device_ptrIjEEEENSD_INSE_IS6_EEEESI_S6_NSB_4plusIvEENSB_8equal_toIvEES6_EE10hipError_tPvRmT2_T3_T4_T5_mT6_T7_P12ihipStream_tbENKUlT_T0_E_clISt17integral_constantIbLb0EES12_IbLb1EEEEDaSY_SZ_EUlSY_E_NS1_11comp_targetILNS1_3genE10ELNS1_11target_archE1200ELNS1_3gpuE4ELNS1_3repE0EEENS1_30default_config_static_selectorELNS0_4arch9wavefront6targetE0EEEvT1_.has_indirect_call, 0
	.section	.AMDGPU.csdata,"",@progbits
; Kernel info:
; codeLenInByte = 0
; TotalNumSgprs: 0
; NumVgprs: 0
; ScratchSize: 0
; MemoryBound: 0
; FloatMode: 240
; IeeeMode: 1
; LDSByteSize: 0 bytes/workgroup (compile time only)
; SGPRBlocks: 0
; VGPRBlocks: 0
; NumSGPRsForWavesPerEU: 1
; NumVGPRsForWavesPerEU: 1
; Occupancy: 16
; WaveLimiterHint : 0
; COMPUTE_PGM_RSRC2:SCRATCH_EN: 0
; COMPUTE_PGM_RSRC2:USER_SGPR: 6
; COMPUTE_PGM_RSRC2:TRAP_HANDLER: 0
; COMPUTE_PGM_RSRC2:TGID_X_EN: 1
; COMPUTE_PGM_RSRC2:TGID_Y_EN: 0
; COMPUTE_PGM_RSRC2:TGID_Z_EN: 0
; COMPUTE_PGM_RSRC2:TIDIG_COMP_CNT: 0
	.section	.text._ZN7rocprim17ROCPRIM_400000_NS6detail17trampoline_kernelINS0_14default_configENS1_27scan_by_key_config_selectorIj11FixedVectorIiLj8EEEEZZNS1_16scan_by_key_implILNS1_25lookback_scan_determinismE0ELb1ES3_N6thrust23THRUST_200600_302600_NS6detail15normal_iteratorINSB_10device_ptrIjEEEENSD_INSE_IS6_EEEESI_S6_NSB_4plusIvEENSB_8equal_toIvEES6_EE10hipError_tPvRmT2_T3_T4_T5_mT6_T7_P12ihipStream_tbENKUlT_T0_E_clISt17integral_constantIbLb0EES12_IbLb1EEEEDaSY_SZ_EUlSY_E_NS1_11comp_targetILNS1_3genE9ELNS1_11target_archE1100ELNS1_3gpuE3ELNS1_3repE0EEENS1_30default_config_static_selectorELNS0_4arch9wavefront6targetE0EEEvT1_,"axG",@progbits,_ZN7rocprim17ROCPRIM_400000_NS6detail17trampoline_kernelINS0_14default_configENS1_27scan_by_key_config_selectorIj11FixedVectorIiLj8EEEEZZNS1_16scan_by_key_implILNS1_25lookback_scan_determinismE0ELb1ES3_N6thrust23THRUST_200600_302600_NS6detail15normal_iteratorINSB_10device_ptrIjEEEENSD_INSE_IS6_EEEESI_S6_NSB_4plusIvEENSB_8equal_toIvEES6_EE10hipError_tPvRmT2_T3_T4_T5_mT6_T7_P12ihipStream_tbENKUlT_T0_E_clISt17integral_constantIbLb0EES12_IbLb1EEEEDaSY_SZ_EUlSY_E_NS1_11comp_targetILNS1_3genE9ELNS1_11target_archE1100ELNS1_3gpuE3ELNS1_3repE0EEENS1_30default_config_static_selectorELNS0_4arch9wavefront6targetE0EEEvT1_,comdat
	.protected	_ZN7rocprim17ROCPRIM_400000_NS6detail17trampoline_kernelINS0_14default_configENS1_27scan_by_key_config_selectorIj11FixedVectorIiLj8EEEEZZNS1_16scan_by_key_implILNS1_25lookback_scan_determinismE0ELb1ES3_N6thrust23THRUST_200600_302600_NS6detail15normal_iteratorINSB_10device_ptrIjEEEENSD_INSE_IS6_EEEESI_S6_NSB_4plusIvEENSB_8equal_toIvEES6_EE10hipError_tPvRmT2_T3_T4_T5_mT6_T7_P12ihipStream_tbENKUlT_T0_E_clISt17integral_constantIbLb0EES12_IbLb1EEEEDaSY_SZ_EUlSY_E_NS1_11comp_targetILNS1_3genE9ELNS1_11target_archE1100ELNS1_3gpuE3ELNS1_3repE0EEENS1_30default_config_static_selectorELNS0_4arch9wavefront6targetE0EEEvT1_ ; -- Begin function _ZN7rocprim17ROCPRIM_400000_NS6detail17trampoline_kernelINS0_14default_configENS1_27scan_by_key_config_selectorIj11FixedVectorIiLj8EEEEZZNS1_16scan_by_key_implILNS1_25lookback_scan_determinismE0ELb1ES3_N6thrust23THRUST_200600_302600_NS6detail15normal_iteratorINSB_10device_ptrIjEEEENSD_INSE_IS6_EEEESI_S6_NSB_4plusIvEENSB_8equal_toIvEES6_EE10hipError_tPvRmT2_T3_T4_T5_mT6_T7_P12ihipStream_tbENKUlT_T0_E_clISt17integral_constantIbLb0EES12_IbLb1EEEEDaSY_SZ_EUlSY_E_NS1_11comp_targetILNS1_3genE9ELNS1_11target_archE1100ELNS1_3gpuE3ELNS1_3repE0EEENS1_30default_config_static_selectorELNS0_4arch9wavefront6targetE0EEEvT1_
	.globl	_ZN7rocprim17ROCPRIM_400000_NS6detail17trampoline_kernelINS0_14default_configENS1_27scan_by_key_config_selectorIj11FixedVectorIiLj8EEEEZZNS1_16scan_by_key_implILNS1_25lookback_scan_determinismE0ELb1ES3_N6thrust23THRUST_200600_302600_NS6detail15normal_iteratorINSB_10device_ptrIjEEEENSD_INSE_IS6_EEEESI_S6_NSB_4plusIvEENSB_8equal_toIvEES6_EE10hipError_tPvRmT2_T3_T4_T5_mT6_T7_P12ihipStream_tbENKUlT_T0_E_clISt17integral_constantIbLb0EES12_IbLb1EEEEDaSY_SZ_EUlSY_E_NS1_11comp_targetILNS1_3genE9ELNS1_11target_archE1100ELNS1_3gpuE3ELNS1_3repE0EEENS1_30default_config_static_selectorELNS0_4arch9wavefront6targetE0EEEvT1_
	.p2align	8
	.type	_ZN7rocprim17ROCPRIM_400000_NS6detail17trampoline_kernelINS0_14default_configENS1_27scan_by_key_config_selectorIj11FixedVectorIiLj8EEEEZZNS1_16scan_by_key_implILNS1_25lookback_scan_determinismE0ELb1ES3_N6thrust23THRUST_200600_302600_NS6detail15normal_iteratorINSB_10device_ptrIjEEEENSD_INSE_IS6_EEEESI_S6_NSB_4plusIvEENSB_8equal_toIvEES6_EE10hipError_tPvRmT2_T3_T4_T5_mT6_T7_P12ihipStream_tbENKUlT_T0_E_clISt17integral_constantIbLb0EES12_IbLb1EEEEDaSY_SZ_EUlSY_E_NS1_11comp_targetILNS1_3genE9ELNS1_11target_archE1100ELNS1_3gpuE3ELNS1_3repE0EEENS1_30default_config_static_selectorELNS0_4arch9wavefront6targetE0EEEvT1_,@function
_ZN7rocprim17ROCPRIM_400000_NS6detail17trampoline_kernelINS0_14default_configENS1_27scan_by_key_config_selectorIj11FixedVectorIiLj8EEEEZZNS1_16scan_by_key_implILNS1_25lookback_scan_determinismE0ELb1ES3_N6thrust23THRUST_200600_302600_NS6detail15normal_iteratorINSB_10device_ptrIjEEEENSD_INSE_IS6_EEEESI_S6_NSB_4plusIvEENSB_8equal_toIvEES6_EE10hipError_tPvRmT2_T3_T4_T5_mT6_T7_P12ihipStream_tbENKUlT_T0_E_clISt17integral_constantIbLb0EES12_IbLb1EEEEDaSY_SZ_EUlSY_E_NS1_11comp_targetILNS1_3genE9ELNS1_11target_archE1100ELNS1_3gpuE3ELNS1_3repE0EEENS1_30default_config_static_selectorELNS0_4arch9wavefront6targetE0EEEvT1_: ; @_ZN7rocprim17ROCPRIM_400000_NS6detail17trampoline_kernelINS0_14default_configENS1_27scan_by_key_config_selectorIj11FixedVectorIiLj8EEEEZZNS1_16scan_by_key_implILNS1_25lookback_scan_determinismE0ELb1ES3_N6thrust23THRUST_200600_302600_NS6detail15normal_iteratorINSB_10device_ptrIjEEEENSD_INSE_IS6_EEEESI_S6_NSB_4plusIvEENSB_8equal_toIvEES6_EE10hipError_tPvRmT2_T3_T4_T5_mT6_T7_P12ihipStream_tbENKUlT_T0_E_clISt17integral_constantIbLb0EES12_IbLb1EEEEDaSY_SZ_EUlSY_E_NS1_11comp_targetILNS1_3genE9ELNS1_11target_archE1100ELNS1_3gpuE3ELNS1_3repE0EEENS1_30default_config_static_selectorELNS0_4arch9wavefront6targetE0EEEvT1_
; %bb.0:
	.section	.rodata,"a",@progbits
	.p2align	6, 0x0
	.amdhsa_kernel _ZN7rocprim17ROCPRIM_400000_NS6detail17trampoline_kernelINS0_14default_configENS1_27scan_by_key_config_selectorIj11FixedVectorIiLj8EEEEZZNS1_16scan_by_key_implILNS1_25lookback_scan_determinismE0ELb1ES3_N6thrust23THRUST_200600_302600_NS6detail15normal_iteratorINSB_10device_ptrIjEEEENSD_INSE_IS6_EEEESI_S6_NSB_4plusIvEENSB_8equal_toIvEES6_EE10hipError_tPvRmT2_T3_T4_T5_mT6_T7_P12ihipStream_tbENKUlT_T0_E_clISt17integral_constantIbLb0EES12_IbLb1EEEEDaSY_SZ_EUlSY_E_NS1_11comp_targetILNS1_3genE9ELNS1_11target_archE1100ELNS1_3gpuE3ELNS1_3repE0EEENS1_30default_config_static_selectorELNS0_4arch9wavefront6targetE0EEEvT1_
		.amdhsa_group_segment_fixed_size 0
		.amdhsa_private_segment_fixed_size 0
		.amdhsa_kernarg_size 160
		.amdhsa_user_sgpr_count 6
		.amdhsa_user_sgpr_private_segment_buffer 1
		.amdhsa_user_sgpr_dispatch_ptr 0
		.amdhsa_user_sgpr_queue_ptr 0
		.amdhsa_user_sgpr_kernarg_segment_ptr 1
		.amdhsa_user_sgpr_dispatch_id 0
		.amdhsa_user_sgpr_flat_scratch_init 0
		.amdhsa_user_sgpr_private_segment_size 0
		.amdhsa_wavefront_size32 1
		.amdhsa_uses_dynamic_stack 0
		.amdhsa_system_sgpr_private_segment_wavefront_offset 0
		.amdhsa_system_sgpr_workgroup_id_x 1
		.amdhsa_system_sgpr_workgroup_id_y 0
		.amdhsa_system_sgpr_workgroup_id_z 0
		.amdhsa_system_sgpr_workgroup_info 0
		.amdhsa_system_vgpr_workitem_id 0
		.amdhsa_next_free_vgpr 1
		.amdhsa_next_free_sgpr 1
		.amdhsa_reserve_vcc 0
		.amdhsa_reserve_flat_scratch 0
		.amdhsa_float_round_mode_32 0
		.amdhsa_float_round_mode_16_64 0
		.amdhsa_float_denorm_mode_32 3
		.amdhsa_float_denorm_mode_16_64 3
		.amdhsa_dx10_clamp 1
		.amdhsa_ieee_mode 1
		.amdhsa_fp16_overflow 0
		.amdhsa_workgroup_processor_mode 1
		.amdhsa_memory_ordered 1
		.amdhsa_forward_progress 1
		.amdhsa_shared_vgpr_count 0
		.amdhsa_exception_fp_ieee_invalid_op 0
		.amdhsa_exception_fp_denorm_src 0
		.amdhsa_exception_fp_ieee_div_zero 0
		.amdhsa_exception_fp_ieee_overflow 0
		.amdhsa_exception_fp_ieee_underflow 0
		.amdhsa_exception_fp_ieee_inexact 0
		.amdhsa_exception_int_div_zero 0
	.end_amdhsa_kernel
	.section	.text._ZN7rocprim17ROCPRIM_400000_NS6detail17trampoline_kernelINS0_14default_configENS1_27scan_by_key_config_selectorIj11FixedVectorIiLj8EEEEZZNS1_16scan_by_key_implILNS1_25lookback_scan_determinismE0ELb1ES3_N6thrust23THRUST_200600_302600_NS6detail15normal_iteratorINSB_10device_ptrIjEEEENSD_INSE_IS6_EEEESI_S6_NSB_4plusIvEENSB_8equal_toIvEES6_EE10hipError_tPvRmT2_T3_T4_T5_mT6_T7_P12ihipStream_tbENKUlT_T0_E_clISt17integral_constantIbLb0EES12_IbLb1EEEEDaSY_SZ_EUlSY_E_NS1_11comp_targetILNS1_3genE9ELNS1_11target_archE1100ELNS1_3gpuE3ELNS1_3repE0EEENS1_30default_config_static_selectorELNS0_4arch9wavefront6targetE0EEEvT1_,"axG",@progbits,_ZN7rocprim17ROCPRIM_400000_NS6detail17trampoline_kernelINS0_14default_configENS1_27scan_by_key_config_selectorIj11FixedVectorIiLj8EEEEZZNS1_16scan_by_key_implILNS1_25lookback_scan_determinismE0ELb1ES3_N6thrust23THRUST_200600_302600_NS6detail15normal_iteratorINSB_10device_ptrIjEEEENSD_INSE_IS6_EEEESI_S6_NSB_4plusIvEENSB_8equal_toIvEES6_EE10hipError_tPvRmT2_T3_T4_T5_mT6_T7_P12ihipStream_tbENKUlT_T0_E_clISt17integral_constantIbLb0EES12_IbLb1EEEEDaSY_SZ_EUlSY_E_NS1_11comp_targetILNS1_3genE9ELNS1_11target_archE1100ELNS1_3gpuE3ELNS1_3repE0EEENS1_30default_config_static_selectorELNS0_4arch9wavefront6targetE0EEEvT1_,comdat
.Lfunc_end2191:
	.size	_ZN7rocprim17ROCPRIM_400000_NS6detail17trampoline_kernelINS0_14default_configENS1_27scan_by_key_config_selectorIj11FixedVectorIiLj8EEEEZZNS1_16scan_by_key_implILNS1_25lookback_scan_determinismE0ELb1ES3_N6thrust23THRUST_200600_302600_NS6detail15normal_iteratorINSB_10device_ptrIjEEEENSD_INSE_IS6_EEEESI_S6_NSB_4plusIvEENSB_8equal_toIvEES6_EE10hipError_tPvRmT2_T3_T4_T5_mT6_T7_P12ihipStream_tbENKUlT_T0_E_clISt17integral_constantIbLb0EES12_IbLb1EEEEDaSY_SZ_EUlSY_E_NS1_11comp_targetILNS1_3genE9ELNS1_11target_archE1100ELNS1_3gpuE3ELNS1_3repE0EEENS1_30default_config_static_selectorELNS0_4arch9wavefront6targetE0EEEvT1_, .Lfunc_end2191-_ZN7rocprim17ROCPRIM_400000_NS6detail17trampoline_kernelINS0_14default_configENS1_27scan_by_key_config_selectorIj11FixedVectorIiLj8EEEEZZNS1_16scan_by_key_implILNS1_25lookback_scan_determinismE0ELb1ES3_N6thrust23THRUST_200600_302600_NS6detail15normal_iteratorINSB_10device_ptrIjEEEENSD_INSE_IS6_EEEESI_S6_NSB_4plusIvEENSB_8equal_toIvEES6_EE10hipError_tPvRmT2_T3_T4_T5_mT6_T7_P12ihipStream_tbENKUlT_T0_E_clISt17integral_constantIbLb0EES12_IbLb1EEEEDaSY_SZ_EUlSY_E_NS1_11comp_targetILNS1_3genE9ELNS1_11target_archE1100ELNS1_3gpuE3ELNS1_3repE0EEENS1_30default_config_static_selectorELNS0_4arch9wavefront6targetE0EEEvT1_
                                        ; -- End function
	.set _ZN7rocprim17ROCPRIM_400000_NS6detail17trampoline_kernelINS0_14default_configENS1_27scan_by_key_config_selectorIj11FixedVectorIiLj8EEEEZZNS1_16scan_by_key_implILNS1_25lookback_scan_determinismE0ELb1ES3_N6thrust23THRUST_200600_302600_NS6detail15normal_iteratorINSB_10device_ptrIjEEEENSD_INSE_IS6_EEEESI_S6_NSB_4plusIvEENSB_8equal_toIvEES6_EE10hipError_tPvRmT2_T3_T4_T5_mT6_T7_P12ihipStream_tbENKUlT_T0_E_clISt17integral_constantIbLb0EES12_IbLb1EEEEDaSY_SZ_EUlSY_E_NS1_11comp_targetILNS1_3genE9ELNS1_11target_archE1100ELNS1_3gpuE3ELNS1_3repE0EEENS1_30default_config_static_selectorELNS0_4arch9wavefront6targetE0EEEvT1_.num_vgpr, 0
	.set _ZN7rocprim17ROCPRIM_400000_NS6detail17trampoline_kernelINS0_14default_configENS1_27scan_by_key_config_selectorIj11FixedVectorIiLj8EEEEZZNS1_16scan_by_key_implILNS1_25lookback_scan_determinismE0ELb1ES3_N6thrust23THRUST_200600_302600_NS6detail15normal_iteratorINSB_10device_ptrIjEEEENSD_INSE_IS6_EEEESI_S6_NSB_4plusIvEENSB_8equal_toIvEES6_EE10hipError_tPvRmT2_T3_T4_T5_mT6_T7_P12ihipStream_tbENKUlT_T0_E_clISt17integral_constantIbLb0EES12_IbLb1EEEEDaSY_SZ_EUlSY_E_NS1_11comp_targetILNS1_3genE9ELNS1_11target_archE1100ELNS1_3gpuE3ELNS1_3repE0EEENS1_30default_config_static_selectorELNS0_4arch9wavefront6targetE0EEEvT1_.num_agpr, 0
	.set _ZN7rocprim17ROCPRIM_400000_NS6detail17trampoline_kernelINS0_14default_configENS1_27scan_by_key_config_selectorIj11FixedVectorIiLj8EEEEZZNS1_16scan_by_key_implILNS1_25lookback_scan_determinismE0ELb1ES3_N6thrust23THRUST_200600_302600_NS6detail15normal_iteratorINSB_10device_ptrIjEEEENSD_INSE_IS6_EEEESI_S6_NSB_4plusIvEENSB_8equal_toIvEES6_EE10hipError_tPvRmT2_T3_T4_T5_mT6_T7_P12ihipStream_tbENKUlT_T0_E_clISt17integral_constantIbLb0EES12_IbLb1EEEEDaSY_SZ_EUlSY_E_NS1_11comp_targetILNS1_3genE9ELNS1_11target_archE1100ELNS1_3gpuE3ELNS1_3repE0EEENS1_30default_config_static_selectorELNS0_4arch9wavefront6targetE0EEEvT1_.numbered_sgpr, 0
	.set _ZN7rocprim17ROCPRIM_400000_NS6detail17trampoline_kernelINS0_14default_configENS1_27scan_by_key_config_selectorIj11FixedVectorIiLj8EEEEZZNS1_16scan_by_key_implILNS1_25lookback_scan_determinismE0ELb1ES3_N6thrust23THRUST_200600_302600_NS6detail15normal_iteratorINSB_10device_ptrIjEEEENSD_INSE_IS6_EEEESI_S6_NSB_4plusIvEENSB_8equal_toIvEES6_EE10hipError_tPvRmT2_T3_T4_T5_mT6_T7_P12ihipStream_tbENKUlT_T0_E_clISt17integral_constantIbLb0EES12_IbLb1EEEEDaSY_SZ_EUlSY_E_NS1_11comp_targetILNS1_3genE9ELNS1_11target_archE1100ELNS1_3gpuE3ELNS1_3repE0EEENS1_30default_config_static_selectorELNS0_4arch9wavefront6targetE0EEEvT1_.num_named_barrier, 0
	.set _ZN7rocprim17ROCPRIM_400000_NS6detail17trampoline_kernelINS0_14default_configENS1_27scan_by_key_config_selectorIj11FixedVectorIiLj8EEEEZZNS1_16scan_by_key_implILNS1_25lookback_scan_determinismE0ELb1ES3_N6thrust23THRUST_200600_302600_NS6detail15normal_iteratorINSB_10device_ptrIjEEEENSD_INSE_IS6_EEEESI_S6_NSB_4plusIvEENSB_8equal_toIvEES6_EE10hipError_tPvRmT2_T3_T4_T5_mT6_T7_P12ihipStream_tbENKUlT_T0_E_clISt17integral_constantIbLb0EES12_IbLb1EEEEDaSY_SZ_EUlSY_E_NS1_11comp_targetILNS1_3genE9ELNS1_11target_archE1100ELNS1_3gpuE3ELNS1_3repE0EEENS1_30default_config_static_selectorELNS0_4arch9wavefront6targetE0EEEvT1_.private_seg_size, 0
	.set _ZN7rocprim17ROCPRIM_400000_NS6detail17trampoline_kernelINS0_14default_configENS1_27scan_by_key_config_selectorIj11FixedVectorIiLj8EEEEZZNS1_16scan_by_key_implILNS1_25lookback_scan_determinismE0ELb1ES3_N6thrust23THRUST_200600_302600_NS6detail15normal_iteratorINSB_10device_ptrIjEEEENSD_INSE_IS6_EEEESI_S6_NSB_4plusIvEENSB_8equal_toIvEES6_EE10hipError_tPvRmT2_T3_T4_T5_mT6_T7_P12ihipStream_tbENKUlT_T0_E_clISt17integral_constantIbLb0EES12_IbLb1EEEEDaSY_SZ_EUlSY_E_NS1_11comp_targetILNS1_3genE9ELNS1_11target_archE1100ELNS1_3gpuE3ELNS1_3repE0EEENS1_30default_config_static_selectorELNS0_4arch9wavefront6targetE0EEEvT1_.uses_vcc, 0
	.set _ZN7rocprim17ROCPRIM_400000_NS6detail17trampoline_kernelINS0_14default_configENS1_27scan_by_key_config_selectorIj11FixedVectorIiLj8EEEEZZNS1_16scan_by_key_implILNS1_25lookback_scan_determinismE0ELb1ES3_N6thrust23THRUST_200600_302600_NS6detail15normal_iteratorINSB_10device_ptrIjEEEENSD_INSE_IS6_EEEESI_S6_NSB_4plusIvEENSB_8equal_toIvEES6_EE10hipError_tPvRmT2_T3_T4_T5_mT6_T7_P12ihipStream_tbENKUlT_T0_E_clISt17integral_constantIbLb0EES12_IbLb1EEEEDaSY_SZ_EUlSY_E_NS1_11comp_targetILNS1_3genE9ELNS1_11target_archE1100ELNS1_3gpuE3ELNS1_3repE0EEENS1_30default_config_static_selectorELNS0_4arch9wavefront6targetE0EEEvT1_.uses_flat_scratch, 0
	.set _ZN7rocprim17ROCPRIM_400000_NS6detail17trampoline_kernelINS0_14default_configENS1_27scan_by_key_config_selectorIj11FixedVectorIiLj8EEEEZZNS1_16scan_by_key_implILNS1_25lookback_scan_determinismE0ELb1ES3_N6thrust23THRUST_200600_302600_NS6detail15normal_iteratorINSB_10device_ptrIjEEEENSD_INSE_IS6_EEEESI_S6_NSB_4plusIvEENSB_8equal_toIvEES6_EE10hipError_tPvRmT2_T3_T4_T5_mT6_T7_P12ihipStream_tbENKUlT_T0_E_clISt17integral_constantIbLb0EES12_IbLb1EEEEDaSY_SZ_EUlSY_E_NS1_11comp_targetILNS1_3genE9ELNS1_11target_archE1100ELNS1_3gpuE3ELNS1_3repE0EEENS1_30default_config_static_selectorELNS0_4arch9wavefront6targetE0EEEvT1_.has_dyn_sized_stack, 0
	.set _ZN7rocprim17ROCPRIM_400000_NS6detail17trampoline_kernelINS0_14default_configENS1_27scan_by_key_config_selectorIj11FixedVectorIiLj8EEEEZZNS1_16scan_by_key_implILNS1_25lookback_scan_determinismE0ELb1ES3_N6thrust23THRUST_200600_302600_NS6detail15normal_iteratorINSB_10device_ptrIjEEEENSD_INSE_IS6_EEEESI_S6_NSB_4plusIvEENSB_8equal_toIvEES6_EE10hipError_tPvRmT2_T3_T4_T5_mT6_T7_P12ihipStream_tbENKUlT_T0_E_clISt17integral_constantIbLb0EES12_IbLb1EEEEDaSY_SZ_EUlSY_E_NS1_11comp_targetILNS1_3genE9ELNS1_11target_archE1100ELNS1_3gpuE3ELNS1_3repE0EEENS1_30default_config_static_selectorELNS0_4arch9wavefront6targetE0EEEvT1_.has_recursion, 0
	.set _ZN7rocprim17ROCPRIM_400000_NS6detail17trampoline_kernelINS0_14default_configENS1_27scan_by_key_config_selectorIj11FixedVectorIiLj8EEEEZZNS1_16scan_by_key_implILNS1_25lookback_scan_determinismE0ELb1ES3_N6thrust23THRUST_200600_302600_NS6detail15normal_iteratorINSB_10device_ptrIjEEEENSD_INSE_IS6_EEEESI_S6_NSB_4plusIvEENSB_8equal_toIvEES6_EE10hipError_tPvRmT2_T3_T4_T5_mT6_T7_P12ihipStream_tbENKUlT_T0_E_clISt17integral_constantIbLb0EES12_IbLb1EEEEDaSY_SZ_EUlSY_E_NS1_11comp_targetILNS1_3genE9ELNS1_11target_archE1100ELNS1_3gpuE3ELNS1_3repE0EEENS1_30default_config_static_selectorELNS0_4arch9wavefront6targetE0EEEvT1_.has_indirect_call, 0
	.section	.AMDGPU.csdata,"",@progbits
; Kernel info:
; codeLenInByte = 0
; TotalNumSgprs: 0
; NumVgprs: 0
; ScratchSize: 0
; MemoryBound: 0
; FloatMode: 240
; IeeeMode: 1
; LDSByteSize: 0 bytes/workgroup (compile time only)
; SGPRBlocks: 0
; VGPRBlocks: 0
; NumSGPRsForWavesPerEU: 1
; NumVGPRsForWavesPerEU: 1
; Occupancy: 16
; WaveLimiterHint : 0
; COMPUTE_PGM_RSRC2:SCRATCH_EN: 0
; COMPUTE_PGM_RSRC2:USER_SGPR: 6
; COMPUTE_PGM_RSRC2:TRAP_HANDLER: 0
; COMPUTE_PGM_RSRC2:TGID_X_EN: 1
; COMPUTE_PGM_RSRC2:TGID_Y_EN: 0
; COMPUTE_PGM_RSRC2:TGID_Z_EN: 0
; COMPUTE_PGM_RSRC2:TIDIG_COMP_CNT: 0
	.section	.text._ZN7rocprim17ROCPRIM_400000_NS6detail17trampoline_kernelINS0_14default_configENS1_27scan_by_key_config_selectorIj11FixedVectorIiLj8EEEEZZNS1_16scan_by_key_implILNS1_25lookback_scan_determinismE0ELb1ES3_N6thrust23THRUST_200600_302600_NS6detail15normal_iteratorINSB_10device_ptrIjEEEENSD_INSE_IS6_EEEESI_S6_NSB_4plusIvEENSB_8equal_toIvEES6_EE10hipError_tPvRmT2_T3_T4_T5_mT6_T7_P12ihipStream_tbENKUlT_T0_E_clISt17integral_constantIbLb0EES12_IbLb1EEEEDaSY_SZ_EUlSY_E_NS1_11comp_targetILNS1_3genE8ELNS1_11target_archE1030ELNS1_3gpuE2ELNS1_3repE0EEENS1_30default_config_static_selectorELNS0_4arch9wavefront6targetE0EEEvT1_,"axG",@progbits,_ZN7rocprim17ROCPRIM_400000_NS6detail17trampoline_kernelINS0_14default_configENS1_27scan_by_key_config_selectorIj11FixedVectorIiLj8EEEEZZNS1_16scan_by_key_implILNS1_25lookback_scan_determinismE0ELb1ES3_N6thrust23THRUST_200600_302600_NS6detail15normal_iteratorINSB_10device_ptrIjEEEENSD_INSE_IS6_EEEESI_S6_NSB_4plusIvEENSB_8equal_toIvEES6_EE10hipError_tPvRmT2_T3_T4_T5_mT6_T7_P12ihipStream_tbENKUlT_T0_E_clISt17integral_constantIbLb0EES12_IbLb1EEEEDaSY_SZ_EUlSY_E_NS1_11comp_targetILNS1_3genE8ELNS1_11target_archE1030ELNS1_3gpuE2ELNS1_3repE0EEENS1_30default_config_static_selectorELNS0_4arch9wavefront6targetE0EEEvT1_,comdat
	.protected	_ZN7rocprim17ROCPRIM_400000_NS6detail17trampoline_kernelINS0_14default_configENS1_27scan_by_key_config_selectorIj11FixedVectorIiLj8EEEEZZNS1_16scan_by_key_implILNS1_25lookback_scan_determinismE0ELb1ES3_N6thrust23THRUST_200600_302600_NS6detail15normal_iteratorINSB_10device_ptrIjEEEENSD_INSE_IS6_EEEESI_S6_NSB_4plusIvEENSB_8equal_toIvEES6_EE10hipError_tPvRmT2_T3_T4_T5_mT6_T7_P12ihipStream_tbENKUlT_T0_E_clISt17integral_constantIbLb0EES12_IbLb1EEEEDaSY_SZ_EUlSY_E_NS1_11comp_targetILNS1_3genE8ELNS1_11target_archE1030ELNS1_3gpuE2ELNS1_3repE0EEENS1_30default_config_static_selectorELNS0_4arch9wavefront6targetE0EEEvT1_ ; -- Begin function _ZN7rocprim17ROCPRIM_400000_NS6detail17trampoline_kernelINS0_14default_configENS1_27scan_by_key_config_selectorIj11FixedVectorIiLj8EEEEZZNS1_16scan_by_key_implILNS1_25lookback_scan_determinismE0ELb1ES3_N6thrust23THRUST_200600_302600_NS6detail15normal_iteratorINSB_10device_ptrIjEEEENSD_INSE_IS6_EEEESI_S6_NSB_4plusIvEENSB_8equal_toIvEES6_EE10hipError_tPvRmT2_T3_T4_T5_mT6_T7_P12ihipStream_tbENKUlT_T0_E_clISt17integral_constantIbLb0EES12_IbLb1EEEEDaSY_SZ_EUlSY_E_NS1_11comp_targetILNS1_3genE8ELNS1_11target_archE1030ELNS1_3gpuE2ELNS1_3repE0EEENS1_30default_config_static_selectorELNS0_4arch9wavefront6targetE0EEEvT1_
	.globl	_ZN7rocprim17ROCPRIM_400000_NS6detail17trampoline_kernelINS0_14default_configENS1_27scan_by_key_config_selectorIj11FixedVectorIiLj8EEEEZZNS1_16scan_by_key_implILNS1_25lookback_scan_determinismE0ELb1ES3_N6thrust23THRUST_200600_302600_NS6detail15normal_iteratorINSB_10device_ptrIjEEEENSD_INSE_IS6_EEEESI_S6_NSB_4plusIvEENSB_8equal_toIvEES6_EE10hipError_tPvRmT2_T3_T4_T5_mT6_T7_P12ihipStream_tbENKUlT_T0_E_clISt17integral_constantIbLb0EES12_IbLb1EEEEDaSY_SZ_EUlSY_E_NS1_11comp_targetILNS1_3genE8ELNS1_11target_archE1030ELNS1_3gpuE2ELNS1_3repE0EEENS1_30default_config_static_selectorELNS0_4arch9wavefront6targetE0EEEvT1_
	.p2align	8
	.type	_ZN7rocprim17ROCPRIM_400000_NS6detail17trampoline_kernelINS0_14default_configENS1_27scan_by_key_config_selectorIj11FixedVectorIiLj8EEEEZZNS1_16scan_by_key_implILNS1_25lookback_scan_determinismE0ELb1ES3_N6thrust23THRUST_200600_302600_NS6detail15normal_iteratorINSB_10device_ptrIjEEEENSD_INSE_IS6_EEEESI_S6_NSB_4plusIvEENSB_8equal_toIvEES6_EE10hipError_tPvRmT2_T3_T4_T5_mT6_T7_P12ihipStream_tbENKUlT_T0_E_clISt17integral_constantIbLb0EES12_IbLb1EEEEDaSY_SZ_EUlSY_E_NS1_11comp_targetILNS1_3genE8ELNS1_11target_archE1030ELNS1_3gpuE2ELNS1_3repE0EEENS1_30default_config_static_selectorELNS0_4arch9wavefront6targetE0EEEvT1_,@function
_ZN7rocprim17ROCPRIM_400000_NS6detail17trampoline_kernelINS0_14default_configENS1_27scan_by_key_config_selectorIj11FixedVectorIiLj8EEEEZZNS1_16scan_by_key_implILNS1_25lookback_scan_determinismE0ELb1ES3_N6thrust23THRUST_200600_302600_NS6detail15normal_iteratorINSB_10device_ptrIjEEEENSD_INSE_IS6_EEEESI_S6_NSB_4plusIvEENSB_8equal_toIvEES6_EE10hipError_tPvRmT2_T3_T4_T5_mT6_T7_P12ihipStream_tbENKUlT_T0_E_clISt17integral_constantIbLb0EES12_IbLb1EEEEDaSY_SZ_EUlSY_E_NS1_11comp_targetILNS1_3genE8ELNS1_11target_archE1030ELNS1_3gpuE2ELNS1_3repE0EEENS1_30default_config_static_selectorELNS0_4arch9wavefront6targetE0EEEvT1_: ; @_ZN7rocprim17ROCPRIM_400000_NS6detail17trampoline_kernelINS0_14default_configENS1_27scan_by_key_config_selectorIj11FixedVectorIiLj8EEEEZZNS1_16scan_by_key_implILNS1_25lookback_scan_determinismE0ELb1ES3_N6thrust23THRUST_200600_302600_NS6detail15normal_iteratorINSB_10device_ptrIjEEEENSD_INSE_IS6_EEEESI_S6_NSB_4plusIvEENSB_8equal_toIvEES6_EE10hipError_tPvRmT2_T3_T4_T5_mT6_T7_P12ihipStream_tbENKUlT_T0_E_clISt17integral_constantIbLb0EES12_IbLb1EEEEDaSY_SZ_EUlSY_E_NS1_11comp_targetILNS1_3genE8ELNS1_11target_archE1030ELNS1_3gpuE2ELNS1_3repE0EEENS1_30default_config_static_selectorELNS0_4arch9wavefront6targetE0EEEvT1_
; %bb.0:
	s_clause 0x1
	s_load_dwordx2 s[28:29], s[4:5], 0x68
	s_load_dwordx8 s[12:19], s[4:5], 0x48
	s_add_u32 s0, s0, s7
	v_cmp_ne_u32_e64 s7, 0, v0
	v_cmp_eq_u32_e64 s6, 0, v0
	s_addc_u32 s1, s1, 0
	s_and_saveexec_b32 s8, s6
	s_cbranch_execz .LBB2192_4
; %bb.1:
	s_mov_b32 s10, exec_lo
	s_mov_b32 s9, exec_lo
	v_mbcnt_lo_u32_b32 v1, s10, 0
                                        ; implicit-def: $vgpr2
	v_cmpx_eq_u32_e32 0, v1
	s_cbranch_execz .LBB2192_3
; %bb.2:
	s_load_dwordx2 s[20:21], s[4:5], 0x98
	s_bcnt1_i32_b32 s10, s10
	v_mov_b32_e32 v2, 0
	v_mov_b32_e32 v3, s10
	s_waitcnt lgkmcnt(0)
	global_atomic_add v2, v2, v3, s[20:21] glc
.LBB2192_3:
	s_or_b32 exec_lo, exec_lo, s9
	s_waitcnt vmcnt(0)
	v_readfirstlane_b32 s9, v2
	v_mov_b32_e32 v2, 0
	v_add_nc_u32_e32 v1, s9, v1
	ds_write_b32 v2, v1
.LBB2192_4:
	s_or_b32 exec_lo, exec_lo, s8
	v_mov_b32_e32 v1, 0
	s_clause 0x3
	s_load_dwordx8 s[20:27], s[4:5], 0x0
	s_load_dwordx8 s[36:43], s[4:5], 0x20
	s_load_dword s31, s[4:5], 0x70
	s_load_dwordx4 s[8:11], s[4:5], 0x78
	s_waitcnt lgkmcnt(0)
	s_barrier
	buffer_gl0_inv
	ds_read_b32 v2, v1
	s_mov_b32 s4, 0
	s_waitcnt lgkmcnt(0)
	s_barrier
	buffer_gl0_inv
	s_barrier
	buffer_gl0_inv
	buffer_store_dword v1, off, s[0:3], 0 offset:348
	buffer_store_dword v1, off, s[0:3], 0 offset:344
	buffer_store_dword v1, off, s[0:3], 0 offset:340
	buffer_store_dword v1, off, s[0:3], 0 offset:336
	buffer_store_dword v1, off, s[0:3], 0 offset:332
	buffer_store_dword v1, off, s[0:3], 0 offset:328
	buffer_store_dword v1, off, s[0:3], 0 offset:324
	buffer_store_dword v1, off, s[0:3], 0 offset:320
	buffer_store_dword v1, off, s[0:3], 0 offset:352
	v_readfirstlane_b32 s33, v2
.LBB2192_5:                             ; =>This Inner Loop Header: Depth=1
	v_add_nc_u32_e64 v2, 0x140, s4
	s_add_i32 s4, s4, 4
	s_cmp_lg_u32 s4, 32
	buffer_store_dword v1, v2, s[0:3], 0 offen
	s_cbranch_scc1 .LBB2192_5
; %bb.6:
	v_mov_b32_e32 v1, 0
	s_mov_b32 s4, 36
	s_movk_i32 s19, 0x164
	buffer_store_byte v1, off, s[0:3], 0 offset:352
	buffer_store_dword v1, off, s[0:3], 0 offset:368
	buffer_store_dword v1, off, s[0:3], 0 offset:364
	;; [unrolled: 1-line block ×9, first 2 shown]
.LBB2192_7:                             ; =>This Inner Loop Header: Depth=1
	v_add_nc_u32_e64 v2, 0x140, s4
	s_add_i32 s4, s4, 4
	s_cmpk_lg_i32 s4, 0x44
	buffer_store_dword v1, v2, s[0:3], 0 offen
	s_cbranch_scc1 .LBB2192_7
; %bb.8:
	v_mov_b32_e32 v1, 0
	s_movk_i32 s4, 0x48
	s_movk_i32 s30, 0x188
	buffer_store_byte v1, off, s[0:3], 0 offset:388
	buffer_store_dword v1, off, s[0:3], 0 offset:404
	buffer_store_dword v1, off, s[0:3], 0 offset:400
	;; [unrolled: 1-line block ×9, first 2 shown]
.LBB2192_9:                             ; =>This Inner Loop Header: Depth=1
	v_add_nc_u32_e64 v2, 0x140, s4
	s_add_i32 s4, s4, 4
	s_cmpk_lg_i32 s4, 0x68
	buffer_store_dword v1, v2, s[0:3], 0 offen
	s_cbranch_scc1 .LBB2192_9
; %bb.10:
	v_mov_b32_e32 v1, 0
	v_mov_b32_e32 v2, s36
	;; [unrolled: 1-line block ×5, first 2 shown]
	buffer_store_byte v1, off, s[0:3], 0 offset:424
	buffer_store_dword v2, off, s[0:3], 0 offset:128
	buffer_store_dword v3, off, s[0:3], 0 offset:132
	v_mov_b32_e32 v2, s39
	v_mov_b32_e32 v3, s40
	buffer_store_dword v4, off, s[0:3], 0 offset:136
	v_mov_b32_e32 v4, s41
	s_mov_b32 s4, 0
	buffer_store_dword v2, off, s[0:3], 0 offset:140
	v_mov_b32_e32 v2, s43
	buffer_store_dword v3, off, s[0:3], 0 offset:144
	buffer_store_dword v4, off, s[0:3], 0 offset:148
	;; [unrolled: 1-line block ×4, first 2 shown]
.LBB2192_11:                            ; =>This Inner Loop Header: Depth=1
	v_mov_b32_e32 v2, s4
	s_add_i32 s4, s4, 4
	s_cmp_lg_u32 s4, 32
	buffer_store_dword v1, v2, s[0:3], 0 offen
	s_cbranch_scc1 .LBB2192_11
; %bb.12:
	v_mov_b32_e32 v1, 0
	s_mov_b32 s4, 32
.LBB2192_13:                            ; =>This Inner Loop Header: Depth=1
	v_mov_b32_e32 v2, s4
	s_add_i32 s4, s4, 4
	s_cmp_lg_u32 s4, 64
	buffer_store_dword v1, v2, s[0:3], 0 offen
	s_cbranch_scc1 .LBB2192_13
; %bb.14:
	v_mov_b32_e32 v1, 0
	s_mov_b32 s4, 64
.LBB2192_15:                            ; =>This Inner Loop Header: Depth=1
	v_mov_b32_e32 v2, s4
	s_add_i32 s4, s4, 4
	s_cmpk_lg_i32 s4, 0x60
	buffer_store_dword v1, v2, s[0:3], 0 offen
	s_cbranch_scc1 .LBB2192_15
; %bb.16:
	s_lshl_b64 s[4:5], s[22:23], 2
	s_mov_b32 s34, 64
	s_add_u32 s44, s20, s4
	s_addc_u32 s45, s21, s5
	s_lshl_b64 s[20:21], s[22:23], 5
	s_mul_i32 s4, s33, 0x300
	s_add_u32 s46, s24, s20
	s_mov_b32 s5, 0
	s_addc_u32 s47, s25, s21
	s_mul_i32 s24, s29, s31
	s_mul_hi_u32 s25, s28, s31
	s_lshl_b64 s[22:23], s[4:5], 2
	s_add_i32 s48, s25, s24
	s_add_u32 s24, s44, s22
	s_addc_u32 s25, s45, s23
	s_lshl_b64 s[22:23], s[4:5], 5
	s_mul_i32 s4, s28, s31
	s_add_u32 s44, s46, s22
	s_addc_u32 s45, s47, s23
	s_add_u32 s46, s4, s33
	s_addc_u32 s47, s48, 0
	s_add_u32 s8, s8, -1
	s_addc_u32 s9, s9, -1
	s_mov_b32 s35, 32
	v_cmp_ge_u64_e64 s31, s[46:47], s[8:9]
	s_mul_i32 s9, s8, 0xfffffd00
	s_and_b32 vcc_lo, exec_lo, s31
	s_cbranch_vccz .LBB2192_34
; %bb.17:
	v_mov_b32_e32 v1, s24
	v_mov_b32_e32 v2, s25
	s_add_i32 s46, s9, s18
	v_cmp_gt_u32_e64 s5, s46, v0
	flat_load_dword v1, v[1:2]
	s_waitcnt vmcnt(0) lgkmcnt(0)
	v_mov_b32_e32 v2, v1
	s_and_saveexec_b32 s4, s5
	s_cbranch_execz .LBB2192_19
; %bb.18:
	v_lshlrev_b32_e32 v2, 2, v0
	v_add_co_u32 v2, s8, s24, v2
	v_add_co_ci_u32_e64 v3, null, s25, 0, s8
	flat_load_dword v2, v[2:3]
.LBB2192_19:
	s_or_b32 exec_lo, exec_lo, s4
	v_or_b32_e32 v4, 0x100, v0
	v_mov_b32_e32 v3, v1
	v_cmp_gt_u32_e64 s4, s46, v4
	s_and_saveexec_b32 s8, s4
	s_cbranch_execz .LBB2192_21
; %bb.20:
	v_lshlrev_b32_e32 v3, 2, v0
	v_add_co_u32 v5, s47, s24, v3
	v_add_co_ci_u32_e64 v6, null, s25, 0, s47
	flat_load_dword v3, v[5:6] offset:1024
.LBB2192_21:
	s_or_b32 exec_lo, exec_lo, s8
	v_or_b32_e32 v7, 0x200, v0
	v_cmp_gt_u32_e32 vcc_lo, s46, v7
	s_and_saveexec_b32 s8, vcc_lo
	s_cbranch_execz .LBB2192_23
; %bb.22:
	v_lshlrev_b32_e32 v1, 2, v7
	v_add_co_u32 v5, s47, s24, v1
	v_add_co_ci_u32_e64 v6, null, s25, 0, s47
	flat_load_dword v1, v[5:6]
.LBB2192_23:
	s_or_b32 exec_lo, exec_lo, s8
	v_mov_b32_e32 v8, s24
	v_lshlrev_b32_e32 v6, 2, v0
	v_mov_b32_e32 v9, s25
	s_mov_b32 s47, exec_lo
	s_waitcnt vmcnt(0) lgkmcnt(0)
	ds_write2st64_b32 v6, v2, v3 offset1:4
	ds_write_b32 v6, v1 offset:2048
	s_waitcnt lgkmcnt(0)
	s_waitcnt_vscnt null, 0x0
	s_barrier
	buffer_gl0_inv
	flat_load_dword v3, v[8:9]
	v_lshl_add_u32 v1, v0, 3, v6
	ds_read_b32 v5, v1
	ds_read2_b32 v[1:2], v1 offset0:1 offset1:2
	s_waitcnt lgkmcnt(1)
	ds_write_b32 v6, v5 offset:4096
	s_waitcnt vmcnt(0) lgkmcnt(0)
	s_barrier
	buffer_gl0_inv
	v_cmpx_ne_u32_e32 0xff, v0
; %bb.24:
	ds_read_b32 v3, v6 offset:4100
; %bb.25:
	s_or_b32 exec_lo, exec_lo, s47
	s_waitcnt lgkmcnt(0)
	s_barrier
	buffer_gl0_inv
	s_and_saveexec_b32 s8, s5
	s_cbranch_execnz .LBB2192_408
; %bb.26:
	s_or_b32 exec_lo, exec_lo, s8
	s_and_saveexec_b32 s5, s4
	s_cbranch_execnz .LBB2192_409
.LBB2192_27:
	s_or_b32 exec_lo, exec_lo, s5
	v_mul_u32_u24_e32 v4, 3, v0
	s_and_saveexec_b32 s4, vcc_lo
	s_cbranch_execz .LBB2192_29
.LBB2192_28:
	v_lshlrev_b32_e32 v7, 5, v7
	v_add_co_u32 v11, s5, s44, v7
	v_add_co_ci_u32_e64 v12, null, s45, 0, s5
	s_clause 0x1
	flat_load_dwordx4 v[7:10], v[11:12]
	flat_load_dwordx4 v[11:14], v[11:12] offset:16
	s_waitcnt vmcnt(1) lgkmcnt(1)
	buffer_store_dword v7, off, s[0:3], 0 offset:64
	buffer_store_dword v8, off, s[0:3], 0 offset:68
	;; [unrolled: 1-line block ×4, first 2 shown]
	s_waitcnt vmcnt(0) lgkmcnt(0)
	buffer_store_dword v11, off, s[0:3], 0 offset:80
	buffer_store_dword v12, off, s[0:3], 0 offset:84
	;; [unrolled: 1-line block ×4, first 2 shown]
.LBB2192_29:
	s_or_b32 exec_lo, exec_lo, s4
	v_mov_b32_e32 v31, s35
	s_clause 0x7
	buffer_load_dword v7, off, s[0:3], 0
	buffer_load_dword v8, off, s[0:3], 0 offset:4
	buffer_load_dword v9, off, s[0:3], 0 offset:8
	;; [unrolled: 1-line block ×7, first 2 shown]
	v_mov_b32_e32 v32, s34
	v_mad_u32_u24 v6, v0, 28, v6
	v_cmp_gt_u32_e32 vcc_lo, s46, v4
	s_clause 0xf
	buffer_load_dword v15, v31, s[0:3], 0 offen
	buffer_load_dword v16, v31, s[0:3], 0 offen offset:4
	buffer_load_dword v17, v31, s[0:3], 0 offen offset:8
	;; [unrolled: 1-line block ×7, first 2 shown]
	buffer_load_dword v23, v32, s[0:3], 0 offen
	buffer_load_dword v24, v32, s[0:3], 0 offen offset:4
	buffer_load_dword v25, v32, s[0:3], 0 offen offset:8
	;; [unrolled: 1-line block ×7, first 2 shown]
	s_mov_b32 s4, 0
	s_mov_b32 s5, 0
	v_lshl_add_u32 v33, v0, 6, v6
                                        ; implicit-def: $sgpr8
	s_waitcnt vmcnt(20)
	ds_write_b128 v6, v[7:10]
	s_waitcnt vmcnt(16)
	ds_write_b128 v6, v[11:14] offset:16
	s_waitcnt vmcnt(12)
	ds_write_b128 v6, v[15:18] offset:8192
	;; [unrolled: 2-line block ×5, first 2 shown]
	s_waitcnt lgkmcnt(0)
	s_waitcnt_vscnt null, 0x0
	s_barrier
	buffer_gl0_inv
	ds_read_b128 v[6:9], v33
	ds_read_b128 v[10:13], v33 offset:16
	ds_read_b128 v[14:17], v33 offset:32
	;; [unrolled: 1-line block ×5, first 2 shown]
	s_waitcnt lgkmcnt(5)
	buffer_store_dword v9, off, s[0:3], 0 offset:12
	buffer_store_dword v8, off, s[0:3], 0 offset:8
	;; [unrolled: 1-line block ×3, first 2 shown]
	buffer_store_dword v6, off, s[0:3], 0
	s_waitcnt lgkmcnt(4)
	buffer_store_dword v13, off, s[0:3], 0 offset:28
	buffer_store_dword v12, off, s[0:3], 0 offset:24
	;; [unrolled: 1-line block ×4, first 2 shown]
	s_waitcnt lgkmcnt(3)
	buffer_store_dword v17, v31, s[0:3], 0 offen offset:12
	buffer_store_dword v16, v31, s[0:3], 0 offen offset:8
	;; [unrolled: 1-line block ×3, first 2 shown]
	buffer_store_dword v14, v31, s[0:3], 0 offen
	s_waitcnt lgkmcnt(2)
	buffer_store_dword v21, v31, s[0:3], 0 offen offset:28
	buffer_store_dword v20, v31, s[0:3], 0 offen offset:24
	;; [unrolled: 1-line block ×4, first 2 shown]
	s_waitcnt lgkmcnt(1)
	buffer_store_dword v25, v32, s[0:3], 0 offen offset:12
	buffer_store_dword v24, v32, s[0:3], 0 offen offset:8
	;; [unrolled: 1-line block ×3, first 2 shown]
	buffer_store_dword v22, v32, s[0:3], 0 offen
	s_waitcnt lgkmcnt(0)
	buffer_store_dword v29, v32, s[0:3], 0 offen offset:28
	buffer_store_dword v28, v32, s[0:3], 0 offen offset:24
	;; [unrolled: 1-line block ×4, first 2 shown]
	s_and_saveexec_b32 s47, vcc_lo
	s_cbranch_execz .LBB2192_33
; %bb.30:
	v_mov_b32_e32 v6, 0x80
	v_cmp_ne_u32_e32 vcc_lo, v5, v1
	v_add_nc_u32_e32 v15, 1, v4
	s_mov_b32 s48, 0
	s_mov_b32 s5, exec_lo
                                        ; implicit-def: $sgpr8
	v_cndmask_b32_e32 v7, 0, v6, vcc_lo
	v_cndmask_b32_e64 v5, 0, 1, vcc_lo
	s_clause 0x7
	buffer_load_dword v8, v7, s[0:3], 0 offen offset:12
	buffer_load_dword v9, v7, s[0:3], 0 offen offset:8
	;; [unrolled: 1-line block ×3, first 2 shown]
	buffer_load_dword v11, v7, s[0:3], 0 offen
	buffer_load_dword v12, v7, s[0:3], 0 offen offset:28
	buffer_load_dword v13, v7, s[0:3], 0 offen offset:24
	;; [unrolled: 1-line block ×4, first 2 shown]
	s_waitcnt vmcnt(7)
	buffer_store_dword v8, off, s[0:3], 0 offset:332
	s_waitcnt vmcnt(6)
	buffer_store_dword v9, off, s[0:3], 0 offset:328
	;; [unrolled: 2-line block ×8, first 2 shown]
	buffer_store_byte v5, off, s[0:3], 0 offset:352
	v_cmpx_gt_u32_e64 s46, v15
	s_xor_b32 s5, exec_lo, s5
	s_cbranch_execz .LBB2192_32
; %bb.31:
	v_cmp_ne_u32_e32 vcc_lo, v1, v2
	v_add_nc_u32_e32 v4, 2, v4
	v_cmp_ne_u32_e64 s8, v2, v3
	v_cndmask_b32_e32 v5, s35, v6, vcc_lo
	v_cndmask_b32_e64 v1, 0, 1, vcc_lo
	v_cmp_gt_u32_e32 vcc_lo, s46, v4
	v_mov_b32_e32 v4, s19
	s_clause 0x7
	buffer_load_dword v6, v5, s[0:3], 0 offen offset:12
	buffer_load_dword v7, v5, s[0:3], 0 offen offset:8
	;; [unrolled: 1-line block ×3, first 2 shown]
	buffer_load_dword v9, v5, s[0:3], 0 offen
	buffer_load_dword v10, v5, s[0:3], 0 offen offset:28
	buffer_load_dword v11, v5, s[0:3], 0 offen offset:24
	;; [unrolled: 1-line block ×4, first 2 shown]
	s_waitcnt vmcnt(7)
	buffer_store_dword v6, v4, s[0:3], 0 offen offset:12
	s_waitcnt vmcnt(6)
	buffer_store_dword v7, v4, s[0:3], 0 offen offset:8
	;; [unrolled: 2-line block ×3, first 2 shown]
	s_waitcnt vmcnt(4)
	buffer_store_dword v9, v4, s[0:3], 0 offen
	s_waitcnt vmcnt(3)
	buffer_store_dword v10, v4, s[0:3], 0 offen offset:28
	s_waitcnt vmcnt(2)
	buffer_store_dword v11, v4, s[0:3], 0 offen offset:24
	;; [unrolled: 2-line block ×4, first 2 shown]
	buffer_store_byte v1, off, s[0:3], 0 offset:388
	s_and_b32 s48, vcc_lo, exec_lo
.LBB2192_32:
	s_or_b32 exec_lo, exec_lo, s5
	s_and_b32 s5, s48, exec_lo
.LBB2192_33:
	s_or_b32 exec_lo, exec_lo, s47
	s_and_b32 vcc_lo, exec_lo, s4
	s_cbranch_vccnz .LBB2192_35
	s_branch .LBB2192_38
.LBB2192_34:
                                        ; implicit-def: $sgpr8
	s_cbranch_execz .LBB2192_38
.LBB2192_35:
	v_lshlrev_b32_e32 v4, 2, v0
	v_add_co_u32 v1, s4, s24, v4
	v_add_co_ci_u32_e64 v2, null, s25, 0, s4
	v_add_co_u32 v5, vcc_lo, 0x800, v1
	v_add_co_ci_u32_e64 v6, null, 0, v2, vcc_lo
	s_clause 0x2
	flat_load_dword v3, v[1:2]
	flat_load_dword v7, v[1:2] offset:1024
	flat_load_dword v5, v[5:6]
	v_add_co_u32 v1, s4, 0x800, s24
	v_add_co_ci_u32_e64 v2, null, 0, s25, s4
	s_mov_b32 s4, exec_lo
	s_waitcnt vmcnt(1) lgkmcnt(1)
	ds_write2st64_b32 v4, v3, v7 offset1:4
	s_waitcnt vmcnt(0) lgkmcnt(1)
	ds_write_b32 v4, v5 offset:2048
	s_waitcnt lgkmcnt(0)
	s_waitcnt_vscnt null, 0x0
	s_barrier
	buffer_gl0_inv
	flat_load_dword v3, v[1:2] offset:1024
	v_lshl_add_u32 v1, v0, 3, v4
	ds_read_b32 v5, v1
	ds_read2_b32 v[1:2], v1 offset0:1 offset1:2
	s_waitcnt lgkmcnt(1)
	ds_write_b32 v4, v5 offset:4096
	s_waitcnt vmcnt(0) lgkmcnt(0)
	s_barrier
	buffer_gl0_inv
	v_cmpx_ne_u32_e32 0xff, v0
; %bb.36:
	ds_read_b32 v3, v4 offset:4100
; %bb.37:
	s_or_b32 exec_lo, exec_lo, s4
	v_lshlrev_b32_e32 v6, 5, v0
	s_waitcnt lgkmcnt(0)
	s_barrier
	buffer_gl0_inv
	v_mov_b32_e32 v31, s34
	v_add_co_u32 v14, s4, s44, v6
	v_add_co_ci_u32_e64 v15, null, s45, 0, s4
	v_mov_b32_e32 v30, s35
	v_add_co_u32 v16, vcc_lo, 0x2000, v14
	s_clause 0x1
	flat_load_dwordx4 v[6:9], v[14:15]
	flat_load_dwordx4 v[10:13], v[14:15] offset:16
	v_add_co_ci_u32_e64 v17, null, 0, v15, vcc_lo
	v_add_co_u32 v14, vcc_lo, 0x4000, v14
	v_add_co_ci_u32_e64 v15, null, 0, v15, vcc_lo
	v_mad_u32_u24 v4, v0, 28, v4
	v_cmp_ne_u32_e32 vcc_lo, v5, v1
	v_cmp_ne_u32_e64 s4, v1, v2
	v_cmp_ne_u32_e64 s8, v2, v3
	s_mov_b32 s5, -1
	v_lshl_add_u32 v32, v0, 6, v4
	v_cndmask_b32_e64 v1, 0, 1, vcc_lo
	v_mov_b32_e32 v2, s19
	s_waitcnt vmcnt(1) lgkmcnt(1)
	buffer_store_dword v6, off, s[0:3], 0
	buffer_store_dword v7, off, s[0:3], 0 offset:4
	buffer_store_dword v8, off, s[0:3], 0 offset:8
	;; [unrolled: 1-line block ×3, first 2 shown]
	s_waitcnt vmcnt(0) lgkmcnt(0)
	buffer_store_dword v10, off, s[0:3], 0 offset:16
	buffer_store_dword v11, off, s[0:3], 0 offset:20
	;; [unrolled: 1-line block ×4, first 2 shown]
	s_clause 0x1
	flat_load_dwordx4 v[6:9], v[16:17]
	flat_load_dwordx4 v[10:13], v[16:17] offset:16
	s_waitcnt vmcnt(1) lgkmcnt(1)
	buffer_store_dword v6, off, s[0:3], 0 offset:32
	buffer_store_dword v7, off, s[0:3], 0 offset:36
	;; [unrolled: 1-line block ×4, first 2 shown]
	s_waitcnt vmcnt(0) lgkmcnt(0)
	buffer_store_dword v10, off, s[0:3], 0 offset:48
	buffer_store_dword v11, off, s[0:3], 0 offset:52
	;; [unrolled: 1-line block ×4, first 2 shown]
	s_clause 0x1
	flat_load_dwordx4 v[6:9], v[14:15]
	flat_load_dwordx4 v[10:13], v[14:15] offset:16
	s_clause 0xf
	buffer_load_dword v14, off, s[0:3], 0
	buffer_load_dword v15, off, s[0:3], 0 offset:4
	buffer_load_dword v16, off, s[0:3], 0 offset:8
	;; [unrolled: 1-line block ×7, first 2 shown]
	buffer_load_dword v22, v30, s[0:3], 0 offen
	buffer_load_dword v23, v30, s[0:3], 0 offen offset:4
	buffer_load_dword v24, v30, s[0:3], 0 offen offset:8
	;; [unrolled: 1-line block ×7, first 2 shown]
	s_waitcnt vmcnt(17) lgkmcnt(1)
	buffer_store_dword v6, off, s[0:3], 0 offset:64
	buffer_store_dword v7, off, s[0:3], 0 offset:68
	;; [unrolled: 1-line block ×4, first 2 shown]
	s_waitcnt vmcnt(16) lgkmcnt(0)
	buffer_store_dword v10, off, s[0:3], 0 offset:80
	buffer_store_dword v11, off, s[0:3], 0 offset:84
	;; [unrolled: 1-line block ×4, first 2 shown]
	s_clause 0x7
	buffer_load_dword v6, v31, s[0:3], 0 offen
	buffer_load_dword v7, v31, s[0:3], 0 offen offset:4
	buffer_load_dword v8, v31, s[0:3], 0 offen offset:8
	buffer_load_dword v10, v31, s[0:3], 0 offen offset:16
	buffer_load_dword v11, v31, s[0:3], 0 offen offset:20
	buffer_load_dword v12, v31, s[0:3], 0 offen offset:24
	buffer_load_dword v13, v31, s[0:3], 0 offen offset:28
	buffer_load_dword v9, v31, s[0:3], 0 offen offset:12
	s_waitcnt vmcnt(20)
	ds_write_b128 v4, v[14:17]
	s_waitcnt vmcnt(16)
	ds_write_b128 v4, v[18:21] offset:16
	s_waitcnt vmcnt(8)
	ds_write_b128 v4, v[26:29] offset:8208
	ds_write_b128 v4, v[22:25] offset:8192
	s_waitcnt vmcnt(1)
	ds_write_b128 v4, v[10:13] offset:16400
	s_waitcnt vmcnt(0)
	ds_write_b128 v4, v[6:9] offset:16384
	s_waitcnt lgkmcnt(0)
	s_waitcnt_vscnt null, 0x0
	s_barrier
	buffer_gl0_inv
	ds_read_b128 v[6:9], v32
	ds_read_b128 v[10:13], v32 offset:16
	ds_read_b128 v[14:17], v32 offset:32
	;; [unrolled: 1-line block ×3, first 2 shown]
	v_mov_b32_e32 v4, 0x80
	v_cndmask_b32_e64 v22, 0, 1, s4
	s_waitcnt lgkmcnt(3)
	buffer_store_dword v9, off, s[0:3], 0 offset:12
	buffer_store_dword v8, off, s[0:3], 0 offset:8
	;; [unrolled: 1-line block ×3, first 2 shown]
	buffer_store_dword v6, off, s[0:3], 0
	s_waitcnt lgkmcnt(2)
	buffer_store_dword v13, off, s[0:3], 0 offset:28
	buffer_store_dword v12, off, s[0:3], 0 offset:24
	;; [unrolled: 1-line block ×4, first 2 shown]
	s_waitcnt lgkmcnt(1)
	buffer_store_dword v17, v30, s[0:3], 0 offen offset:12
	v_cndmask_b32_e32 v5, 0, v4, vcc_lo
	v_cndmask_b32_e64 v4, s35, v4, s4
	s_clause 0x7
	buffer_load_dword v12, v5, s[0:3], 0 offen
	buffer_load_dword v13, v5, s[0:3], 0 offen offset:4
	buffer_load_dword v17, v5, s[0:3], 0 offen offset:8
	;; [unrolled: 1-line block ×7, first 2 shown]
	buffer_store_dword v16, v30, s[0:3], 0 offen offset:8
	buffer_store_dword v15, v30, s[0:3], 0 offen offset:4
	buffer_store_dword v14, v30, s[0:3], 0 offen
	s_waitcnt lgkmcnt(0)
	buffer_store_dword v21, v30, s[0:3], 0 offen offset:28
	buffer_store_dword v20, v30, s[0:3], 0 offen offset:24
	;; [unrolled: 1-line block ×4, first 2 shown]
	s_clause 0x7
	buffer_load_dword v14, v4, s[0:3], 0 offen offset:28
	buffer_load_dword v15, v4, s[0:3], 0 offen offset:24
	;; [unrolled: 1-line block ×7, first 2 shown]
	buffer_load_dword v28, v4, s[0:3], 0 offen
	ds_read_b128 v[4:7], v32 offset:64
	ds_read_b128 v[8:11], v32 offset:80
	buffer_store_byte v1, off, s[0:3], 0 offset:352
	s_waitcnt lgkmcnt(1)
	buffer_store_dword v7, v31, s[0:3], 0 offen offset:12
	buffer_store_dword v6, v31, s[0:3], 0 offen offset:8
	;; [unrolled: 1-line block ×3, first 2 shown]
	buffer_store_dword v4, v31, s[0:3], 0 offen
	s_waitcnt lgkmcnt(0)
	buffer_store_dword v11, v31, s[0:3], 0 offen offset:28
	buffer_store_dword v10, v31, s[0:3], 0 offen offset:24
	;; [unrolled: 1-line block ×4, first 2 shown]
	s_waitcnt vmcnt(8)
	buffer_store_dword v27, off, s[0:3], 0 offset:348
	buffer_store_dword v26, off, s[0:3], 0 offset:344
	buffer_store_dword v25, off, s[0:3], 0 offset:340
	buffer_store_dword v24, off, s[0:3], 0 offset:336
	buffer_store_dword v23, off, s[0:3], 0 offset:332
	buffer_store_dword v17, off, s[0:3], 0 offset:328
	buffer_store_dword v13, off, s[0:3], 0 offset:324
	buffer_store_dword v12, off, s[0:3], 0 offset:320
	s_waitcnt vmcnt(7)
	buffer_store_dword v14, v2, s[0:3], 0 offen offset:28
	s_waitcnt vmcnt(6)
	buffer_store_dword v15, v2, s[0:3], 0 offen offset:24
	;; [unrolled: 2-line block ×7, first 2 shown]
	s_waitcnt vmcnt(0)
	buffer_store_dword v28, v2, s[0:3], 0 offen
	buffer_store_byte v22, off, s[0:3], 0 offset:388
.LBB2192_38:
	s_and_saveexec_b32 s4, s5
	s_cbranch_execz .LBB2192_40
; %bb.39:
	v_mov_b32_e32 v1, 0x80
	v_mov_b32_e32 v9, s30
	v_cndmask_b32_e64 v10, 0, 1, s8
	v_cndmask_b32_e64 v1, s34, v1, s8
	s_clause 0x7
	buffer_load_dword v2, v1, s[0:3], 0 offen offset:12
	buffer_load_dword v3, v1, s[0:3], 0 offen offset:8
	;; [unrolled: 1-line block ×3, first 2 shown]
	buffer_load_dword v5, v1, s[0:3], 0 offen
	buffer_load_dword v6, v1, s[0:3], 0 offen offset:28
	buffer_load_dword v7, v1, s[0:3], 0 offen offset:24
	;; [unrolled: 1-line block ×4, first 2 shown]
	s_waitcnt vmcnt(7)
	buffer_store_dword v2, v9, s[0:3], 0 offen offset:12
	s_waitcnt vmcnt(6)
	buffer_store_dword v3, v9, s[0:3], 0 offen offset:8
	;; [unrolled: 2-line block ×3, first 2 shown]
	s_waitcnt vmcnt(4)
	buffer_store_dword v5, v9, s[0:3], 0 offen
	s_waitcnt vmcnt(3)
	buffer_store_dword v6, v9, s[0:3], 0 offen offset:28
	s_waitcnt vmcnt(2)
	buffer_store_dword v7, v9, s[0:3], 0 offen offset:24
	;; [unrolled: 2-line block ×4, first 2 shown]
	buffer_store_byte v10, off, s[0:3], 0 offset:424
.LBB2192_40:
	s_or_b32 exec_lo, exec_lo, s4
	s_cmp_lg_u32 s33, 0
	s_waitcnt_vscnt null, 0x0
	s_barrier
	buffer_gl0_inv
	s_cbranch_scc0 .LBB2192_247
; %bb.41:
	s_clause 0x9
	buffer_load_dword v1, off, s[0:3], 0 offset:332
	buffer_load_dword v3, off, s[0:3], 0 offset:328
	;; [unrolled: 1-line block ×5, first 2 shown]
	buffer_load_ubyte v2, off, s[0:3], 0 offset:388
	buffer_load_dword v7, off, s[0:3], 0 offset:344
	buffer_load_dword v8, off, s[0:3], 0 offset:340
	;; [unrolled: 1-line block ×4, first 2 shown]
	s_mov_b32 s4, exec_lo
	s_waitcnt vmcnt(9)
	buffer_store_dword v1, off, s[0:3], 0 offset:284
	s_waitcnt vmcnt(8)
	buffer_store_dword v3, off, s[0:3], 0 offset:280
	;; [unrolled: 2-line block ×9, first 2 shown]
                                        ; implicit-def: $vgpr5
                                        ; implicit-def: $vgpr1
                                        ; implicit-def: $vgpr3
                                        ; implicit-def: $vgpr4
                                        ; implicit-def: $vgpr6
                                        ; implicit-def: $vgpr7
                                        ; implicit-def: $vgpr8
                                        ; implicit-def: $vgpr9
	v_cmpx_ne_u16_e32 0, v2
	s_xor_b32 s4, exec_lo, s4
	s_cbranch_execz .LBB2192_43
; %bb.42:
	s_clause 0x7
	buffer_load_dword v1, off, s[0:3], 0 offset:356
	buffer_load_dword v3, off, s[0:3], 0 offset:360
	;; [unrolled: 1-line block ×8, first 2 shown]
.LBB2192_43:
	s_andn2_saveexec_b32 s4, s4
	s_cbranch_execz .LBB2192_49
; %bb.44:
	s_waitcnt vmcnt(7)
	v_mov_b32_e32 v1, 0
	s_mov_b32 s5, 0
.LBB2192_45:                            ; =>This Inner Loop Header: Depth=1
	s_waitcnt vmcnt(6)
	v_mov_b32_e32 v3, s5
	s_add_i32 s5, s5, 4
	s_cmp_lg_u32 s5, 32
	buffer_store_dword v1, v3, s[0:3], 0 offen
	s_cbranch_scc1 .LBB2192_45
; %bb.46:
	s_mov_b32 s5, 0
	.p2align	6
.LBB2192_47:                            ; =>This Inner Loop Header: Depth=1
	v_add_nc_u32_e64 v1, 0x110, s5
	v_add_nc_u32_e64 v3, 0x140, s5
	s_waitcnt vmcnt(5)
	v_mov_b32_e32 v4, s5
	s_add_i32 s5, s5, 4
	s_clause 0x1
	buffer_load_dword v1, v1, s[0:3], 0 offen
	buffer_load_dword v3, v3, s[0:3], 0 offen offset:36
	s_cmp_lg_u32 s5, 32
	s_waitcnt vmcnt(0)
	v_add_nc_u32_e32 v1, v3, v1
	buffer_store_dword v1, v4, s[0:3], 0 offen
	s_cbranch_scc1 .LBB2192_47
; %bb.48:
	s_clause 0x7
	buffer_load_dword v1, off, s[0:3], 0
	buffer_load_dword v3, off, s[0:3], 0 offset:4
	buffer_load_dword v4, off, s[0:3], 0 offset:8
	buffer_load_dword v6, off, s[0:3], 0 offset:12
	buffer_load_dword v7, off, s[0:3], 0 offset:16
	buffer_load_dword v8, off, s[0:3], 0 offset:20
	buffer_load_dword v9, off, s[0:3], 0 offset:24
	buffer_load_dword v5, off, s[0:3], 0 offset:28
.LBB2192_49:
	s_or_b32 exec_lo, exec_lo, s4
	buffer_load_ubyte v11, off, s[0:3], 0 offset:424
	s_mov_b32 s4, exec_lo
	s_waitcnt vmcnt(8)
	buffer_store_dword v1, off, s[0:3], 0 offset:272
	s_waitcnt vmcnt(7)
	buffer_store_dword v3, off, s[0:3], 0 offset:276
	;; [unrolled: 2-line block ×8, first 2 shown]
                                        ; implicit-def: $vgpr9
                                        ; implicit-def: $vgpr1
                                        ; implicit-def: $vgpr3
                                        ; implicit-def: $vgpr4
                                        ; implicit-def: $vgpr5
                                        ; implicit-def: $vgpr6
                                        ; implicit-def: $vgpr7
                                        ; implicit-def: $vgpr8
	s_waitcnt vmcnt(0)
	v_cmpx_ne_u16_e32 0, v11
	s_xor_b32 s4, exec_lo, s4
	s_cbranch_execz .LBB2192_51
; %bb.50:
	s_clause 0x7
	buffer_load_dword v1, off, s[0:3], 0 offset:392
	buffer_load_dword v3, off, s[0:3], 0 offset:396
	;; [unrolled: 1-line block ×8, first 2 shown]
.LBB2192_51:
	s_andn2_saveexec_b32 s4, s4
	s_cbranch_execz .LBB2192_57
; %bb.52:
	s_waitcnt vmcnt(7)
	v_mov_b32_e32 v1, 0
	s_mov_b32 s5, 0
.LBB2192_53:                            ; =>This Inner Loop Header: Depth=1
	s_waitcnt vmcnt(6)
	v_mov_b32_e32 v3, s5
	s_add_i32 s5, s5, 4
	s_cmp_lg_u32 s5, 32
	buffer_store_dword v1, v3, s[0:3], 0 offen
	s_cbranch_scc1 .LBB2192_53
; %bb.54:
	s_mov_b32 s5, 0
	.p2align	6
.LBB2192_55:                            ; =>This Inner Loop Header: Depth=1
	v_add_nc_u32_e64 v1, 0x110, s5
	v_add_nc_u32_e64 v3, 0x140, s5
	s_waitcnt vmcnt(5)
	v_mov_b32_e32 v4, s5
	s_add_i32 s5, s5, 4
	s_clause 0x1
	buffer_load_dword v1, v1, s[0:3], 0 offen
	buffer_load_dword v3, v3, s[0:3], 0 offen offset:72
	s_cmp_lg_u32 s5, 32
	s_waitcnt vmcnt(0)
	v_add_nc_u32_e32 v1, v3, v1
	buffer_store_dword v1, v4, s[0:3], 0 offen
	s_cbranch_scc1 .LBB2192_55
; %bb.56:
	s_clause 0x7
	buffer_load_dword v1, off, s[0:3], 0
	buffer_load_dword v3, off, s[0:3], 0 offset:4
	buffer_load_dword v4, off, s[0:3], 0 offset:8
	;; [unrolled: 1-line block ×7, first 2 shown]
.LBB2192_57:
	s_or_b32 exec_lo, exec_lo, s4
	v_and_b32_e32 v10, 1, v10
	v_or_b32_e32 v2, v11, v2
	v_mbcnt_lo_u32_b32 v17, -1, 0
	s_waitcnt vmcnt(7)
	v_mov_b32_dpp v11, v1 row_shr:1 row_mask:0xf bank_mask:0xf
	s_waitcnt vmcnt(6)
	v_mov_b32_dpp v12, v3 row_shr:1 row_mask:0xf bank_mask:0xf
	v_cmp_eq_u32_e32 vcc_lo, 1, v10
	v_cmp_ne_u16_e64 s4, 0, v2
	s_waitcnt vmcnt(5)
	v_mov_b32_dpp v13, v4 row_shr:1 row_mask:0xf bank_mask:0xf
	s_waitcnt vmcnt(4)
	v_mov_b32_dpp v14, v5 row_shr:1 row_mask:0xf bank_mask:0xf
	;; [unrolled: 2-line block ×3, first 2 shown]
	v_and_b32_e32 v10, 15, v17
	s_or_b32 s4, s4, vcc_lo
	s_waitcnt vmcnt(2)
	v_mov_b32_dpp v16, v7 row_shr:1 row_mask:0xf bank_mask:0xf
	v_cndmask_b32_e64 v2, 0, 1, s4
	s_waitcnt vmcnt(1)
	v_mov_b32_dpp v18, v8 row_shr:1 row_mask:0xf bank_mask:0xf
	s_waitcnt vmcnt(0)
	v_mov_b32_dpp v19, v9 row_shr:1 row_mask:0xf bank_mask:0xf
	s_mov_b32 s4, exec_lo
	buffer_store_byte v2, off, s[0:3], 0 offset:304
	buffer_load_dword v2, off, s[0:3], 0 offset:304
	buffer_store_dword v1, off, s[0:3], 0 offset:272
	buffer_store_dword v3, off, s[0:3], 0 offset:276
	;; [unrolled: 1-line block ×8, first 2 shown]
	buffer_store_dword v11, off, s[0:3], 0
	buffer_store_dword v12, off, s[0:3], 0 offset:4
	buffer_store_dword v13, off, s[0:3], 0 offset:8
	;; [unrolled: 1-line block ×3, first 2 shown]
	s_waitcnt vmcnt(0)
	v_mov_b32_dpp v11, v2 row_shr:1 row_mask:0xf bank_mask:0xf
	buffer_store_dword v15, off, s[0:3], 0 offset:16
	buffer_store_dword v16, off, s[0:3], 0 offset:20
	buffer_store_dword v18, off, s[0:3], 0 offset:24
	buffer_store_dword v19, off, s[0:3], 0 offset:28
	buffer_store_dword v11, off, s[0:3], 0 offset:32
	v_cmpx_ne_u32_e32 0, v10
	s_xor_b32 s4, exec_lo, s4
	s_cbranch_execz .LBB2192_65
; %bb.58:
	v_mov_b32_e32 v12, 0
	v_cmp_eq_u16_sdwa s8, v2, v12 src0_sel:BYTE_0 src1_sel:DWORD
	s_and_saveexec_b32 s5, s8
	s_cbranch_execz .LBB2192_64
; %bb.59:
	s_mov_b32 s8, 0
.LBB2192_60:                            ; =>This Inner Loop Header: Depth=1
	v_add_nc_u32_e64 v1, 0x80, s8
	s_add_i32 s8, s8, 4
	s_cmp_lg_u32 s8, 32
	buffer_store_dword v12, v1, s[0:3], 0 offen
	s_cbranch_scc1 .LBB2192_60
; %bb.61:
	s_mov_b32 s8, 0
	.p2align	6
.LBB2192_62:                            ; =>This Inner Loop Header: Depth=1
	v_mov_b32_e32 v1, s8
	v_add_nc_u32_e64 v3, 0x110, s8
	v_add_nc_u32_e64 v4, 0x80, s8
	s_add_i32 s8, s8, 4
	s_clause 0x1
	buffer_load_dword v1, v1, s[0:3], 0 offen
	buffer_load_dword v3, v3, s[0:3], 0 offen
	s_cmp_lg_u32 s8, 32
	s_waitcnt vmcnt(0)
	v_add_nc_u32_e32 v1, v3, v1
	buffer_store_dword v1, v4, s[0:3], 0 offen
	s_cbranch_scc1 .LBB2192_62
; %bb.63:
	s_clause 0x7
	buffer_load_dword v1, off, s[0:3], 0 offset:128
	buffer_load_dword v3, off, s[0:3], 0 offset:132
	;; [unrolled: 1-line block ×8, first 2 shown]
.LBB2192_64:
	s_or_b32 exec_lo, exec_lo, s5
	v_or_b32_e32 v2, v11, v2
	v_and_b32_e32 v2, 1, v2
	buffer_store_byte v2, off, s[0:3], 0 offset:304
	buffer_load_dword v2, off, s[0:3], 0 offset:304
	s_waitcnt vmcnt(8)
	buffer_store_dword v1, off, s[0:3], 0 offset:272
	s_waitcnt vmcnt(7)
	buffer_store_dword v3, off, s[0:3], 0 offset:276
	;; [unrolled: 2-line block ×8, first 2 shown]
.LBB2192_65:
	s_or_b32 exec_lo, exec_lo, s4
	v_mov_b32_dpp v12, v1 row_shr:2 row_mask:0xf bank_mask:0xf
	s_waitcnt vmcnt(0)
	v_mov_b32_dpp v11, v2 row_shr:2 row_mask:0xf bank_mask:0xf
	v_mov_b32_dpp v13, v3 row_shr:2 row_mask:0xf bank_mask:0xf
	;; [unrolled: 1-line block ×4, first 2 shown]
	s_mov_b32 s5, exec_lo
	v_mov_b32_dpp v16, v6 row_shr:2 row_mask:0xf bank_mask:0xf
	v_mov_b32_dpp v18, v7 row_shr:2 row_mask:0xf bank_mask:0xf
	;; [unrolled: 1-line block ×4, first 2 shown]
	buffer_store_dword v12, off, s[0:3], 0
	buffer_store_dword v13, off, s[0:3], 0 offset:4
	buffer_store_dword v14, off, s[0:3], 0 offset:8
	;; [unrolled: 1-line block ×8, first 2 shown]
	v_cmpx_lt_u32_e32 1, v10
	s_cbranch_execz .LBB2192_72
; %bb.66:
	v_mov_b32_e32 v12, 0
	s_mov_b32 s8, 0
	v_cmp_eq_u16_sdwa s24, v2, v12 src0_sel:BYTE_0 src1_sel:DWORD
	s_and_saveexec_b32 s4, s24
	s_cbranch_execz .LBB2192_71
.LBB2192_67:                            ; =>This Inner Loop Header: Depth=1
	v_add_nc_u32_e64 v1, 0x80, s8
	s_add_i32 s8, s8, 4
	s_cmp_lg_u32 s8, 32
	buffer_store_dword v12, v1, s[0:3], 0 offen
	s_cbranch_scc1 .LBB2192_67
; %bb.68:
	s_mov_b32 s8, 0
	.p2align	6
.LBB2192_69:                            ; =>This Inner Loop Header: Depth=1
	v_mov_b32_e32 v1, s8
	v_add_nc_u32_e64 v3, 0x110, s8
	v_add_nc_u32_e64 v4, 0x80, s8
	s_add_i32 s8, s8, 4
	s_clause 0x1
	buffer_load_dword v1, v1, s[0:3], 0 offen
	buffer_load_dword v3, v3, s[0:3], 0 offen
	s_cmp_lg_u32 s8, 32
	s_waitcnt vmcnt(0)
	v_add_nc_u32_e32 v1, v3, v1
	buffer_store_dword v1, v4, s[0:3], 0 offen
	s_cbranch_scc1 .LBB2192_69
; %bb.70:
	s_clause 0x7
	buffer_load_dword v1, off, s[0:3], 0 offset:128
	buffer_load_dword v3, off, s[0:3], 0 offset:132
	;; [unrolled: 1-line block ×8, first 2 shown]
.LBB2192_71:
	s_or_b32 exec_lo, exec_lo, s4
	v_and_b32_e32 v2, 1, v2
	v_and_b32_e32 v11, 1, v11
	v_cmp_eq_u32_e32 vcc_lo, 1, v2
	v_cmp_eq_u32_e64 s4, 1, v11
	s_or_b32 s4, vcc_lo, s4
	v_cndmask_b32_e64 v2, 0, 1, s4
	buffer_store_byte v2, off, s[0:3], 0 offset:304
	buffer_load_dword v2, off, s[0:3], 0 offset:304
	s_waitcnt vmcnt(8)
	buffer_store_dword v1, off, s[0:3], 0 offset:272
	s_waitcnt vmcnt(7)
	buffer_store_dword v3, off, s[0:3], 0 offset:276
	;; [unrolled: 2-line block ×8, first 2 shown]
.LBB2192_72:
	s_or_b32 exec_lo, exec_lo, s5
	v_mov_b32_dpp v12, v1 row_shr:4 row_mask:0xf bank_mask:0xf
	s_waitcnt vmcnt(0)
	v_mov_b32_dpp v11, v2 row_shr:4 row_mask:0xf bank_mask:0xf
	v_mov_b32_dpp v13, v3 row_shr:4 row_mask:0xf bank_mask:0xf
	;; [unrolled: 1-line block ×4, first 2 shown]
	s_mov_b32 s5, exec_lo
	v_mov_b32_dpp v16, v6 row_shr:4 row_mask:0xf bank_mask:0xf
	v_mov_b32_dpp v18, v7 row_shr:4 row_mask:0xf bank_mask:0xf
	;; [unrolled: 1-line block ×4, first 2 shown]
	buffer_store_dword v12, off, s[0:3], 0
	buffer_store_dword v13, off, s[0:3], 0 offset:4
	buffer_store_dword v14, off, s[0:3], 0 offset:8
	;; [unrolled: 1-line block ×8, first 2 shown]
	v_cmpx_lt_u32_e32 3, v10
	s_cbranch_execz .LBB2192_79
; %bb.73:
	v_mov_b32_e32 v12, 0
	s_mov_b32 s8, 0
	v_cmp_eq_u16_sdwa s24, v2, v12 src0_sel:BYTE_0 src1_sel:DWORD
	s_and_saveexec_b32 s4, s24
	s_cbranch_execz .LBB2192_78
.LBB2192_74:                            ; =>This Inner Loop Header: Depth=1
	v_add_nc_u32_e64 v1, 0x80, s8
	s_add_i32 s8, s8, 4
	s_cmp_lg_u32 s8, 32
	buffer_store_dword v12, v1, s[0:3], 0 offen
	s_cbranch_scc1 .LBB2192_74
; %bb.75:
	s_mov_b32 s8, 0
	.p2align	6
.LBB2192_76:                            ; =>This Inner Loop Header: Depth=1
	v_mov_b32_e32 v1, s8
	v_add_nc_u32_e64 v3, 0x110, s8
	v_add_nc_u32_e64 v4, 0x80, s8
	s_add_i32 s8, s8, 4
	s_clause 0x1
	buffer_load_dword v1, v1, s[0:3], 0 offen
	buffer_load_dword v3, v3, s[0:3], 0 offen
	s_cmp_lg_u32 s8, 32
	s_waitcnt vmcnt(0)
	v_add_nc_u32_e32 v1, v3, v1
	buffer_store_dword v1, v4, s[0:3], 0 offen
	s_cbranch_scc1 .LBB2192_76
; %bb.77:
	s_clause 0x7
	buffer_load_dword v1, off, s[0:3], 0 offset:128
	buffer_load_dword v3, off, s[0:3], 0 offset:132
	;; [unrolled: 1-line block ×8, first 2 shown]
.LBB2192_78:
	s_or_b32 exec_lo, exec_lo, s4
	v_and_b32_e32 v2, 1, v2
	v_and_b32_e32 v11, 1, v11
	v_cmp_eq_u32_e32 vcc_lo, 1, v2
	v_cmp_eq_u32_e64 s4, 1, v11
	s_or_b32 s4, vcc_lo, s4
	v_cndmask_b32_e64 v2, 0, 1, s4
	buffer_store_byte v2, off, s[0:3], 0 offset:304
	buffer_load_dword v2, off, s[0:3], 0 offset:304
	s_waitcnt vmcnt(8)
	buffer_store_dword v1, off, s[0:3], 0 offset:272
	s_waitcnt vmcnt(7)
	buffer_store_dword v3, off, s[0:3], 0 offset:276
	;; [unrolled: 2-line block ×8, first 2 shown]
.LBB2192_79:
	s_or_b32 exec_lo, exec_lo, s5
	v_mov_b32_dpp v12, v1 row_shr:8 row_mask:0xf bank_mask:0xf
	s_waitcnt vmcnt(0)
	v_mov_b32_dpp v11, v2 row_shr:8 row_mask:0xf bank_mask:0xf
	v_mov_b32_dpp v13, v3 row_shr:8 row_mask:0xf bank_mask:0xf
	;; [unrolled: 1-line block ×4, first 2 shown]
	s_mov_b32 s5, exec_lo
	v_mov_b32_dpp v16, v6 row_shr:8 row_mask:0xf bank_mask:0xf
	v_mov_b32_dpp v18, v7 row_shr:8 row_mask:0xf bank_mask:0xf
	;; [unrolled: 1-line block ×4, first 2 shown]
	buffer_store_dword v12, off, s[0:3], 0
	buffer_store_dword v13, off, s[0:3], 0 offset:4
	buffer_store_dword v14, off, s[0:3], 0 offset:8
	buffer_store_dword v15, off, s[0:3], 0 offset:12
	buffer_store_dword v16, off, s[0:3], 0 offset:16
	buffer_store_dword v18, off, s[0:3], 0 offset:20
	buffer_store_dword v19, off, s[0:3], 0 offset:24
	buffer_store_dword v20, off, s[0:3], 0 offset:28
	buffer_store_dword v11, off, s[0:3], 0 offset:32
	v_cmpx_lt_u32_e32 7, v10
	s_cbranch_execz .LBB2192_86
; %bb.80:
	v_mov_b32_e32 v10, 0
	s_mov_b32 s8, 0
	v_cmp_eq_u16_sdwa s24, v2, v10 src0_sel:BYTE_0 src1_sel:DWORD
	s_and_saveexec_b32 s4, s24
	s_cbranch_execz .LBB2192_85
.LBB2192_81:                            ; =>This Inner Loop Header: Depth=1
	v_add_nc_u32_e64 v1, 0x80, s8
	s_add_i32 s8, s8, 4
	s_cmp_lg_u32 s8, 32
	buffer_store_dword v10, v1, s[0:3], 0 offen
	s_cbranch_scc1 .LBB2192_81
; %bb.82:
	s_mov_b32 s8, 0
	.p2align	6
.LBB2192_83:                            ; =>This Inner Loop Header: Depth=1
	v_mov_b32_e32 v1, s8
	v_add_nc_u32_e64 v3, 0x110, s8
	v_add_nc_u32_e64 v4, 0x80, s8
	s_add_i32 s8, s8, 4
	s_clause 0x1
	buffer_load_dword v1, v1, s[0:3], 0 offen
	buffer_load_dword v3, v3, s[0:3], 0 offen
	s_cmp_lg_u32 s8, 32
	s_waitcnt vmcnt(0)
	v_add_nc_u32_e32 v1, v3, v1
	buffer_store_dword v1, v4, s[0:3], 0 offen
	s_cbranch_scc1 .LBB2192_83
; %bb.84:
	s_clause 0x7
	buffer_load_dword v1, off, s[0:3], 0 offset:128
	buffer_load_dword v3, off, s[0:3], 0 offset:132
	;; [unrolled: 1-line block ×8, first 2 shown]
.LBB2192_85:
	s_or_b32 exec_lo, exec_lo, s4
	v_and_b32_e32 v2, 1, v2
	v_and_b32_e32 v10, 1, v11
	v_cmp_eq_u32_e32 vcc_lo, 1, v2
	v_cmp_eq_u32_e64 s4, 1, v10
	s_or_b32 s4, vcc_lo, s4
	v_cndmask_b32_e64 v2, 0, 1, s4
	buffer_store_byte v2, off, s[0:3], 0 offset:304
	buffer_load_dword v2, off, s[0:3], 0 offset:304
	s_waitcnt vmcnt(8)
	buffer_store_dword v1, off, s[0:3], 0 offset:272
	s_waitcnt vmcnt(7)
	buffer_store_dword v3, off, s[0:3], 0 offset:276
	;; [unrolled: 2-line block ×8, first 2 shown]
.LBB2192_86:
	s_or_b32 exec_lo, exec_lo, s5
	ds_swizzle_b32 v11, v1 offset:swizzle(BROADCAST,32,15)
	s_waitcnt vmcnt(0)
	ds_swizzle_b32 v10, v2 offset:swizzle(BROADCAST,32,15)
	ds_swizzle_b32 v12, v3 offset:swizzle(BROADCAST,32,15)
	;; [unrolled: 1-line block ×8, first 2 shown]
	v_and_b32_e32 v20, 16, v17
	s_mov_b32 s5, exec_lo
	s_waitcnt lgkmcnt(8)
	buffer_store_dword v11, off, s[0:3], 0
	s_waitcnt lgkmcnt(6)
	buffer_store_dword v12, off, s[0:3], 0 offset:4
	s_waitcnt lgkmcnt(5)
	buffer_store_dword v13, off, s[0:3], 0 offset:8
	;; [unrolled: 2-line block ×7, first 2 shown]
	buffer_store_dword v10, off, s[0:3], 0 offset:32
	v_cmpx_ne_u32_e32 0, v20
	s_cbranch_execz .LBB2192_93
; %bb.87:
	v_mov_b32_e32 v11, 0
	s_mov_b32 s8, 0
	v_cmp_eq_u16_sdwa s24, v2, v11 src0_sel:BYTE_0 src1_sel:DWORD
	s_and_saveexec_b32 s4, s24
	s_cbranch_execz .LBB2192_92
.LBB2192_88:                            ; =>This Inner Loop Header: Depth=1
	v_add_nc_u32_e64 v1, 0x80, s8
	s_add_i32 s8, s8, 4
	s_cmp_lg_u32 s8, 32
	buffer_store_dword v11, v1, s[0:3], 0 offen
	s_cbranch_scc1 .LBB2192_88
; %bb.89:
	s_mov_b32 s8, 0
	.p2align	6
.LBB2192_90:                            ; =>This Inner Loop Header: Depth=1
	v_mov_b32_e32 v1, s8
	v_add_nc_u32_e64 v3, 0x110, s8
	v_add_nc_u32_e64 v4, 0x80, s8
	s_add_i32 s8, s8, 4
	s_clause 0x1
	buffer_load_dword v1, v1, s[0:3], 0 offen
	buffer_load_dword v3, v3, s[0:3], 0 offen
	s_cmp_lg_u32 s8, 32
	s_waitcnt vmcnt(0)
	v_add_nc_u32_e32 v1, v3, v1
	buffer_store_dword v1, v4, s[0:3], 0 offen
	s_cbranch_scc1 .LBB2192_90
; %bb.91:
	s_clause 0x7
	buffer_load_dword v1, off, s[0:3], 0 offset:128
	buffer_load_dword v3, off, s[0:3], 0 offset:132
	;; [unrolled: 1-line block ×8, first 2 shown]
.LBB2192_92:
	s_or_b32 exec_lo, exec_lo, s4
	v_and_b32_e32 v2, 1, v2
	v_and_b32_e32 v10, 1, v10
	s_waitcnt vmcnt(7)
	buffer_store_dword v1, off, s[0:3], 0 offset:272
	s_waitcnt vmcnt(6)
	buffer_store_dword v3, off, s[0:3], 0 offset:276
	;; [unrolled: 2-line block ×3, first 2 shown]
	v_cmp_eq_u32_e32 vcc_lo, 1, v2
	v_cmp_eq_u32_e64 s4, 1, v10
	s_or_b32 s4, vcc_lo, s4
	v_cndmask_b32_e64 v2, 0, 1, s4
	s_waitcnt vmcnt(4)
	buffer_store_dword v5, off, s[0:3], 0 offset:284
	s_waitcnt vmcnt(3)
	buffer_store_dword v6, off, s[0:3], 0 offset:288
	;; [unrolled: 2-line block ×5, first 2 shown]
	buffer_store_byte v2, off, s[0:3], 0 offset:304
.LBB2192_93:
	s_or_b32 exec_lo, exec_lo, s5
	v_or_b32_e32 v11, 31, v0
	v_lshrrev_b32_e32 v10, 5, v0
	s_mov_b32 s4, exec_lo
	v_cmpx_eq_u32_e64 v0, v11
	s_cbranch_execz .LBB2192_95
; %bb.94:
	v_mul_u32_u24_e32 v11, 36, v10
	ds_write2_b32 v11, v1, v3 offset1:1
	ds_write2_b32 v11, v4, v5 offset0:2 offset1:3
	ds_write2_b32 v11, v6, v7 offset0:4 offset1:5
	;; [unrolled: 1-line block ×3, first 2 shown]
	ds_write_b8 v11, v2 offset:32
.LBB2192_95:
	s_or_b32 exec_lo, exec_lo, s4
	s_mov_b32 s5, exec_lo
	s_waitcnt lgkmcnt(0)
	s_waitcnt_vscnt null, 0x0
	s_barrier
	buffer_gl0_inv
	v_cmpx_gt_u32_e32 8, v0
	s_cbranch_execz .LBB2192_119
; %bb.96:
	v_mul_u32_u24_e32 v9, 36, v0
	v_and_b32_e32 v12, 7, v17
	ds_read_b32 v11, v9 offset:32
	ds_read2_b32 v[1:2], v9 offset0:2 offset1:3
	ds_read2_b32 v[5:6], v9 offset0:4 offset1:5
	ds_read2_b32 v[3:4], v9 offset1:1
	ds_read2_b32 v[7:8], v9 offset0:6 offset1:7
	v_cmp_ne_u32_e32 vcc_lo, 0, v12
	s_waitcnt lgkmcnt(4)
	buffer_store_dword v11, off, s[0:3], 0 offset:160
	s_waitcnt lgkmcnt(3)
	buffer_store_dword v1, off, s[0:3], 0 offset:136
	;; [unrolled: 2-line block ×3, first 2 shown]
	buffer_store_dword v3, off, s[0:3], 0 offset:128
	buffer_store_dword v2, off, s[0:3], 0 offset:140
	s_waitcnt lgkmcnt(0)
	buffer_store_dword v7, off, s[0:3], 0 offset:152
	buffer_store_dword v6, off, s[0:3], 0 offset:148
	buffer_store_dword v5, off, s[0:3], 0 offset:144
	buffer_store_dword v8, off, s[0:3], 0 offset:156
	v_mov_b32_dpp v14, v3 row_shr:1 row_mask:0xf bank_mask:0xf
	v_mov_b32_dpp v13, v11 row_shr:1 row_mask:0xf bank_mask:0xf
	;; [unrolled: 1-line block ×9, first 2 shown]
	buffer_store_dword v14, off, s[0:3], 0
	buffer_store_dword v15, off, s[0:3], 0 offset:4
	buffer_store_dword v16, off, s[0:3], 0 offset:8
	;; [unrolled: 1-line block ×8, first 2 shown]
	s_and_saveexec_b32 s4, vcc_lo
	s_cbranch_execz .LBB2192_104
; %bb.97:
	v_mov_b32_e32 v14, 0
	v_cmp_eq_u16_sdwa s24, v11, v14 src0_sel:BYTE_0 src1_sel:DWORD
	s_and_saveexec_b32 s8, s24
	s_cbranch_execz .LBB2192_103
; %bb.98:
	s_mov_b32 s24, 0
.LBB2192_99:                            ; =>This Inner Loop Header: Depth=1
	v_add_nc_u32_e64 v1, 0xa4, s24
	s_add_i32 s24, s24, 4
	s_cmp_lg_u32 s24, 32
	buffer_store_dword v14, v1, s[0:3], 0 offen
	s_cbranch_scc1 .LBB2192_99
; %bb.100:
	s_mov_b32 s24, 0
	.p2align	6
.LBB2192_101:                           ; =>This Inner Loop Header: Depth=1
	v_mov_b32_e32 v1, s24
	v_add_nc_u32_e64 v2, 0x80, s24
	v_add_nc_u32_e64 v3, 0xa4, s24
	s_add_i32 s24, s24, 4
	s_clause 0x1
	buffer_load_dword v1, v1, s[0:3], 0 offen
	buffer_load_dword v2, v2, s[0:3], 0 offen
	s_cmp_lg_u32 s24, 32
	s_waitcnt vmcnt(0)
	v_add_nc_u32_e32 v1, v2, v1
	buffer_store_dword v1, v3, s[0:3], 0 offen
	s_cbranch_scc1 .LBB2192_101
; %bb.102:
	s_clause 0x7
	buffer_load_dword v3, off, s[0:3], 0 offset:164
	buffer_load_dword v4, off, s[0:3], 0 offset:168
	;; [unrolled: 1-line block ×8, first 2 shown]
.LBB2192_103:
	s_or_b32 exec_lo, exec_lo, s8
	v_or_b32_e32 v11, v13, v11
	v_and_b32_e32 v11, 1, v11
	buffer_store_byte v11, off, s[0:3], 0 offset:160
	buffer_load_dword v11, off, s[0:3], 0 offset:160
	s_waitcnt vmcnt(8)
	buffer_store_dword v3, off, s[0:3], 0 offset:128
	s_waitcnt vmcnt(7)
	buffer_store_dword v4, off, s[0:3], 0 offset:132
	;; [unrolled: 2-line block ×8, first 2 shown]
.LBB2192_104:
	s_or_b32 exec_lo, exec_lo, s4
	v_mov_b32_dpp v14, v3 row_shr:2 row_mask:0xf bank_mask:0xf
	s_waitcnt vmcnt(0)
	v_mov_b32_dpp v13, v11 row_shr:2 row_mask:0xf bank_mask:0xf
	v_mov_b32_dpp v15, v4 row_shr:2 row_mask:0xf bank_mask:0xf
	;; [unrolled: 1-line block ×4, first 2 shown]
	s_mov_b32 s8, exec_lo
	v_mov_b32_dpp v19, v5 row_shr:2 row_mask:0xf bank_mask:0xf
	v_mov_b32_dpp v20, v6 row_shr:2 row_mask:0xf bank_mask:0xf
	;; [unrolled: 1-line block ×4, first 2 shown]
	buffer_store_dword v14, off, s[0:3], 0
	buffer_store_dword v15, off, s[0:3], 0 offset:4
	buffer_store_dword v16, off, s[0:3], 0 offset:8
	;; [unrolled: 1-line block ×8, first 2 shown]
	v_cmpx_lt_u32_e32 1, v12
	s_cbranch_execz .LBB2192_111
; %bb.105:
	v_mov_b32_e32 v14, 0
	s_mov_b32 s24, 0
	v_cmp_eq_u16_sdwa s25, v11, v14 src0_sel:BYTE_0 src1_sel:DWORD
	s_and_saveexec_b32 s4, s25
	s_cbranch_execz .LBB2192_110
.LBB2192_106:                           ; =>This Inner Loop Header: Depth=1
	v_add_nc_u32_e64 v1, 0xa4, s24
	s_add_i32 s24, s24, 4
	s_cmp_lg_u32 s24, 32
	buffer_store_dword v14, v1, s[0:3], 0 offen
	s_cbranch_scc1 .LBB2192_106
; %bb.107:
	s_mov_b32 s24, 0
	.p2align	6
.LBB2192_108:                           ; =>This Inner Loop Header: Depth=1
	v_mov_b32_e32 v1, s24
	v_add_nc_u32_e64 v2, 0x80, s24
	v_add_nc_u32_e64 v3, 0xa4, s24
	s_add_i32 s24, s24, 4
	s_clause 0x1
	buffer_load_dword v1, v1, s[0:3], 0 offen
	buffer_load_dword v2, v2, s[0:3], 0 offen
	s_cmp_lg_u32 s24, 32
	s_waitcnt vmcnt(0)
	v_add_nc_u32_e32 v1, v2, v1
	buffer_store_dword v1, v3, s[0:3], 0 offen
	s_cbranch_scc1 .LBB2192_108
; %bb.109:
	s_clause 0x7
	buffer_load_dword v3, off, s[0:3], 0 offset:164
	buffer_load_dword v4, off, s[0:3], 0 offset:168
	;; [unrolled: 1-line block ×8, first 2 shown]
.LBB2192_110:
	s_or_b32 exec_lo, exec_lo, s4
	v_and_b32_e32 v11, 1, v11
	v_and_b32_e32 v13, 1, v13
	v_cmp_eq_u32_e32 vcc_lo, 1, v11
	v_cmp_eq_u32_e64 s4, 1, v13
	s_or_b32 s4, vcc_lo, s4
	v_cndmask_b32_e64 v11, 0, 1, s4
	buffer_store_byte v11, off, s[0:3], 0 offset:160
	buffer_load_dword v11, off, s[0:3], 0 offset:160
	s_waitcnt vmcnt(8)
	buffer_store_dword v3, off, s[0:3], 0 offset:128
	s_waitcnt vmcnt(7)
	buffer_store_dword v4, off, s[0:3], 0 offset:132
	;; [unrolled: 2-line block ×8, first 2 shown]
.LBB2192_111:
	s_or_b32 exec_lo, exec_lo, s8
	v_mov_b32_dpp v14, v3 row_shr:4 row_mask:0xf bank_mask:0xf
	s_waitcnt vmcnt(0)
	v_mov_b32_dpp v13, v11 row_shr:4 row_mask:0xf bank_mask:0xf
	v_mov_b32_dpp v15, v4 row_shr:4 row_mask:0xf bank_mask:0xf
	;; [unrolled: 1-line block ×4, first 2 shown]
	s_mov_b32 s8, exec_lo
	v_mov_b32_dpp v19, v5 row_shr:4 row_mask:0xf bank_mask:0xf
	v_mov_b32_dpp v20, v6 row_shr:4 row_mask:0xf bank_mask:0xf
	;; [unrolled: 1-line block ×4, first 2 shown]
	buffer_store_dword v14, off, s[0:3], 0
	buffer_store_dword v15, off, s[0:3], 0 offset:4
	buffer_store_dword v16, off, s[0:3], 0 offset:8
	;; [unrolled: 1-line block ×8, first 2 shown]
	v_cmpx_lt_u32_e32 3, v12
	s_cbranch_execz .LBB2192_118
; %bb.112:
	v_mov_b32_e32 v12, 0
	s_mov_b32 s24, 0
	v_cmp_eq_u16_sdwa s25, v11, v12 src0_sel:BYTE_0 src1_sel:DWORD
	s_and_saveexec_b32 s4, s25
	s_cbranch_execz .LBB2192_117
.LBB2192_113:                           ; =>This Inner Loop Header: Depth=1
	v_add_nc_u32_e64 v1, 0xa4, s24
	s_add_i32 s24, s24, 4
	s_cmp_lg_u32 s24, 32
	buffer_store_dword v12, v1, s[0:3], 0 offen
	s_cbranch_scc1 .LBB2192_113
; %bb.114:
	s_mov_b32 s24, 0
	.p2align	6
.LBB2192_115:                           ; =>This Inner Loop Header: Depth=1
	v_mov_b32_e32 v1, s24
	v_add_nc_u32_e64 v2, 0x80, s24
	v_add_nc_u32_e64 v3, 0xa4, s24
	s_add_i32 s24, s24, 4
	s_clause 0x1
	buffer_load_dword v1, v1, s[0:3], 0 offen
	buffer_load_dword v2, v2, s[0:3], 0 offen
	s_cmp_lg_u32 s24, 32
	s_waitcnt vmcnt(0)
	v_add_nc_u32_e32 v1, v2, v1
	buffer_store_dword v1, v3, s[0:3], 0 offen
	s_cbranch_scc1 .LBB2192_115
; %bb.116:
	s_clause 0x7
	buffer_load_dword v3, off, s[0:3], 0 offset:164
	buffer_load_dword v4, off, s[0:3], 0 offset:168
	;; [unrolled: 1-line block ×8, first 2 shown]
.LBB2192_117:
	s_or_b32 exec_lo, exec_lo, s4
	v_and_b32_e32 v11, 1, v11
	v_and_b32_e32 v12, 1, v13
	s_waitcnt vmcnt(7)
	buffer_store_dword v3, off, s[0:3], 0 offset:128
	s_waitcnt vmcnt(6)
	buffer_store_dword v4, off, s[0:3], 0 offset:132
	s_waitcnt vmcnt(5)
	buffer_store_dword v1, off, s[0:3], 0 offset:136
	s_waitcnt vmcnt(4)
	buffer_store_dword v2, off, s[0:3], 0 offset:140
	s_waitcnt vmcnt(3)
	buffer_store_dword v5, off, s[0:3], 0 offset:144
	s_waitcnt vmcnt(2)
	buffer_store_dword v6, off, s[0:3], 0 offset:148
	s_waitcnt vmcnt(1)
	buffer_store_dword v7, off, s[0:3], 0 offset:152
	s_waitcnt vmcnt(0)
	buffer_store_dword v8, off, s[0:3], 0 offset:156
	v_cmp_eq_u32_e32 vcc_lo, 1, v11
	v_cmp_eq_u32_e64 s4, 1, v12
	s_or_b32 s4, vcc_lo, s4
	v_cndmask_b32_e64 v11, 0, 1, s4
.LBB2192_118:
	s_or_b32 exec_lo, exec_lo, s8
	s_clause 0x7
	buffer_load_dword v1, off, s[0:3], 0 offset:128
	buffer_load_dword v2, off, s[0:3], 0 offset:132
	buffer_load_dword v3, off, s[0:3], 0 offset:136
	buffer_load_dword v4, off, s[0:3], 0 offset:140
	buffer_load_dword v5, off, s[0:3], 0 offset:144
	buffer_load_dword v6, off, s[0:3], 0 offset:152
	buffer_load_dword v7, off, s[0:3], 0 offset:156
	buffer_load_dword v8, off, s[0:3], 0 offset:148
	s_waitcnt vmcnt(4)
	ds_write2_b32 v9, v3, v4 offset0:2 offset1:3
	ds_write2_b32 v9, v1, v2 offset1:1
	s_waitcnt vmcnt(1)
	ds_write2_b32 v9, v6, v7 offset0:6 offset1:7
	s_waitcnt vmcnt(0)
	ds_write2_b32 v9, v5, v8 offset0:4 offset1:5
	ds_write_b8 v9, v11 offset:32
.LBB2192_119:
	s_or_b32 exec_lo, exec_lo, s5
	v_mov_b32_e32 v1, 0
	s_mov_b32 s4, 0
	s_waitcnt lgkmcnt(0)
	s_waitcnt_vscnt null, 0x0
	s_barrier
	buffer_gl0_inv
	buffer_store_dword v1, off, s[0:3], 0 offset:28
	buffer_store_dword v1, off, s[0:3], 0 offset:24
	;; [unrolled: 1-line block ×7, first 2 shown]
	buffer_store_dword v1, off, s[0:3], 0
	buffer_store_dword v1, off, s[0:3], 0 offset:32
.LBB2192_120:                           ; =>This Inner Loop Header: Depth=1
	v_mov_b32_e32 v2, s4
	s_add_i32 s4, s4, 4
	s_cmp_lg_u32 s4, 32
	buffer_store_dword v1, v2, s[0:3], 0 offen
	s_cbranch_scc1 .LBB2192_120
; %bb.121:
	s_mov_b32 s5, exec_lo
	v_cmp_gt_u32_e32 vcc_lo, 32, v0
                                        ; implicit-def: $vgpr2
                                        ; implicit-def: $vgpr3
                                        ; implicit-def: $vgpr4
                                        ; implicit-def: $vgpr5
                                        ; implicit-def: $vgpr6
                                        ; implicit-def: $vgpr8
                                        ; implicit-def: $vgpr9
                                        ; implicit-def: $vgpr7
                                        ; implicit-def: $vgpr1
	v_cmpx_lt_u32_e32 31, v0
	s_xor_b32 s5, exec_lo, s5
	s_cbranch_execz .LBB2192_131
; %bb.122:
	buffer_load_ubyte v11, off, s[0:3], 0 offset:304
	v_mad_u32_u24 v1, v10, 36, 0xffffffdc
	v_mad_u32_u24 v10, v10, 36, -4
	ds_read2_b32 v[2:3], v1 offset0:2 offset1:3
	ds_read2_b32 v[4:5], v1 offset0:4 offset1:5
	ds_read2_b32 v[6:7], v1 offset1:1
	ds_read2_b32 v[8:9], v1 offset0:6 offset1:7
	ds_read_u8 v1, v10
	s_waitcnt lgkmcnt(4)
	buffer_store_dword v3, off, s[0:3], 0 offset:12
	buffer_store_dword v2, off, s[0:3], 0 offset:8
	s_waitcnt lgkmcnt(2)
	buffer_store_dword v7, off, s[0:3], 0 offset:4
	buffer_store_dword v6, off, s[0:3], 0
	s_waitcnt lgkmcnt(1)
	buffer_store_dword v9, off, s[0:3], 0 offset:28
	buffer_store_dword v8, off, s[0:3], 0 offset:24
	;; [unrolled: 1-line block ×4, first 2 shown]
                                        ; implicit-def: $vgpr7
                                        ; implicit-def: $vgpr2
                                        ; implicit-def: $vgpr3
                                        ; implicit-def: $vgpr4
                                        ; implicit-def: $vgpr5
                                        ; implicit-def: $vgpr6
                                        ; implicit-def: $vgpr8
                                        ; implicit-def: $vgpr9
	s_waitcnt vmcnt(0)
	v_cmp_ne_u16_e64 s4, 0, v11
	s_and_saveexec_b32 s8, s4
	s_xor_b32 s4, exec_lo, s8
	s_cbranch_execz .LBB2192_124
; %bb.123:
	s_clause 0x7
	buffer_load_dword v2, off, s[0:3], 0 offset:272
	buffer_load_dword v3, off, s[0:3], 0 offset:276
	;; [unrolled: 1-line block ×8, first 2 shown]
.LBB2192_124:
	s_andn2_saveexec_b32 s4, s4
	s_cbranch_execz .LBB2192_130
; %bb.125:
	s_waitcnt vmcnt(7)
	v_mov_b32_e32 v2, 0
	s_mov_b32 s8, 0
.LBB2192_126:                           ; =>This Inner Loop Header: Depth=1
	s_waitcnt vmcnt(6)
	v_add_nc_u32_e64 v3, 0x80, s8
	s_add_i32 s8, s8, 4
	s_cmp_lg_u32 s8, 32
	buffer_store_dword v2, v3, s[0:3], 0 offen
	s_cbranch_scc1 .LBB2192_126
; %bb.127:
	s_mov_b32 s8, 0
	.p2align	6
.LBB2192_128:                           ; =>This Inner Loop Header: Depth=1
	v_mov_b32_e32 v2, s8
	v_add_nc_u32_e64 v3, 0x110, s8
	s_waitcnt vmcnt(5)
	v_add_nc_u32_e64 v4, 0x80, s8
	s_add_i32 s8, s8, 4
	s_clause 0x1
	buffer_load_dword v2, v2, s[0:3], 0 offen
	buffer_load_dword v3, v3, s[0:3], 0 offen
	s_cmp_lg_u32 s8, 32
	s_waitcnt vmcnt(0)
	v_add_nc_u32_e32 v2, v3, v2
	buffer_store_dword v2, v4, s[0:3], 0 offen
	s_cbranch_scc1 .LBB2192_128
; %bb.129:
	s_clause 0x7
	buffer_load_dword v2, off, s[0:3], 0 offset:128
	buffer_load_dword v3, off, s[0:3], 0 offset:132
	;; [unrolled: 1-line block ×8, first 2 shown]
.LBB2192_130:
	s_or_b32 exec_lo, exec_lo, s4
	s_waitcnt lgkmcnt(0)
	v_or_b32_e32 v10, v11, v1
	buffer_store_byte v10, off, s[0:3], 0 offset:304
.LBB2192_131:
	s_andn2_saveexec_b32 s4, s5
	s_cbranch_execz .LBB2192_133
; %bb.132:
	s_clause 0x7
	buffer_load_dword v2, off, s[0:3], 0 offset:272
	buffer_load_dword v3, off, s[0:3], 0 offset:276
	;; [unrolled: 1-line block ×8, first 2 shown]
	v_mov_b32_e32 v1, 0
.LBB2192_133:
	s_or_b32 exec_lo, exec_lo, s4
	buffer_load_dword v10, off, s[0:3], 0 offset:304
	v_sub_co_u32 v11, s8, v17, 1
	v_cmp_gt_i32_e64 s4, 0, v11
	v_cndmask_b32_e64 v11, v11, v17, s4
	v_lshlrev_b32_e32 v11, 2, v11
	s_waitcnt vmcnt(8)
	ds_bpermute_b32 v2, v11, v2
	s_waitcnt vmcnt(7)
	ds_bpermute_b32 v3, v11, v3
	;; [unrolled: 2-line block ×9, first 2 shown]
	s_waitcnt lgkmcnt(8)
	buffer_store_dword v2, off, s[0:3], 0 offset:272
	s_waitcnt lgkmcnt(7)
	buffer_store_dword v3, off, s[0:3], 0 offset:276
	;; [unrolled: 2-line block ×8, first 2 shown]
	s_waitcnt lgkmcnt(0)
	buffer_store_byte v10, off, s[0:3], 0 offset:304
	s_and_saveexec_b32 s4, s8
	s_cbranch_execz .LBB2192_135
; %bb.134:
	s_clause 0x7
	buffer_load_dword v2, off, s[0:3], 0 offset:12
	buffer_load_dword v3, off, s[0:3], 0 offset:8
	;; [unrolled: 1-line block ×3, first 2 shown]
	buffer_load_dword v5, off, s[0:3], 0
	buffer_load_dword v6, off, s[0:3], 0 offset:28
	buffer_load_dword v7, off, s[0:3], 0 offset:24
	buffer_load_dword v8, off, s[0:3], 0 offset:20
	buffer_load_dword v9, off, s[0:3], 0 offset:16
	s_waitcnt vmcnt(7)
	buffer_store_dword v2, off, s[0:3], 0 offset:284
	s_waitcnt vmcnt(6)
	buffer_store_dword v3, off, s[0:3], 0 offset:280
	;; [unrolled: 2-line block ×8, first 2 shown]
	buffer_store_byte v1, off, s[0:3], 0 offset:304
.LBB2192_135:
	s_or_b32 exec_lo, exec_lo, s4
	s_and_saveexec_b32 s5, vcc_lo
	s_cbranch_execz .LBB2192_257
; %bb.136:
	v_mov_b32_e32 v9, 0
	ds_read2_b32 v[1:2], v9 offset0:63 offset1:64
	ds_read2_b32 v[3:4], v9 offset0:65 offset1:66
	;; [unrolled: 1-line block ×4, first 2 shown]
	ds_read_b32 v18, v9 offset:284
	s_waitcnt lgkmcnt(4)
	buffer_store_dword v1, off, s[0:3], 0 offset:236
	buffer_store_dword v2, off, s[0:3], 0 offset:240
	s_waitcnt lgkmcnt(3)
	buffer_store_dword v3, off, s[0:3], 0 offset:244
	buffer_store_dword v4, off, s[0:3], 0 offset:248
	s_waitcnt lgkmcnt(2)
	buffer_store_dword v5, off, s[0:3], 0 offset:252
	buffer_store_dword v6, off, s[0:3], 0 offset:256
	s_waitcnt lgkmcnt(1)
	buffer_store_dword v7, off, s[0:3], 0 offset:260
	buffer_store_dword v8, off, s[0:3], 0 offset:264
	s_waitcnt lgkmcnt(0)
	buffer_store_dword v18, off, s[0:3], 0 offset:268
	s_and_saveexec_b32 s4, s8
	s_cbranch_execz .LBB2192_138
; %bb.137:
	s_add_i32 s34, s33, 32
	v_mov_b32_e32 v10, 1
	s_mul_i32 s24, s34, 36
	v_mov_b32_e32 v11, s34
	s_mul_hi_u32 s25, s34, 36
	s_add_u32 s24, s12, s24
	s_addc_u32 s25, s13, s25
	global_store_dwordx4 v9, v[1:4], s[24:25]
	global_store_dwordx4 v9, v[5:8], s[24:25] offset:16
	global_store_byte v9, v18, s[24:25] offset:32
	s_waitcnt_vscnt null, 0x0
	buffer_gl1_inv
	buffer_gl0_inv
	global_store_byte v11, v10, s[16:17]
.LBB2192_138:
	s_or_b32 exec_lo, exec_lo, s4
	s_mov_b32 s4, 0
	buffer_store_dword v9, off, s[0:3], 0 offset:228
	buffer_store_dword v9, off, s[0:3], 0 offset:224
	;; [unrolled: 1-line block ×9, first 2 shown]
.LBB2192_139:                           ; =>This Inner Loop Header: Depth=1
	v_add_nc_u32_e64 v10, 0xc8, s4
	s_add_i32 s4, s4, 4
	s_cmp_lg_u32 s4, 32
	buffer_store_dword v9, v10, s[0:3], 0 offen
	s_cbranch_scc1 .LBB2192_139
; %bb.140:
	v_mov_b32_e32 v9, 0
	s_mov_b32 s4, 0
	buffer_store_byte v9, off, s[0:3], 0 offset:232
	buffer_store_dword v9, off, s[0:3], 0 offset:156
	buffer_store_dword v9, off, s[0:3], 0 offset:152
	;; [unrolled: 1-line block ×9, first 2 shown]
.LBB2192_141:                           ; =>This Inner Loop Header: Depth=1
	v_add_nc_u32_e64 v10, 0x80, s4
	s_add_i32 s4, s4, 4
	s_cmp_lg_u32 s4, 32
	buffer_store_dword v9, v10, s[0:3], 0 offen
	s_cbranch_scc1 .LBB2192_141
; %bb.142:
	v_xad_u32 v19, v17, -1, s33
	v_mov_b32_e32 v9, 0
	s_mov_b32 s4, exec_lo
	v_add_nc_u32_e32 v11, 32, v19
	buffer_store_byte v9, off, s[0:3], 0 offset:160
	global_load_ubyte v20, v11, s[16:17] glc dlc
	s_waitcnt vmcnt(0)
	v_cmpx_eq_u16_e32 0, v20
	s_cbranch_execz .LBB2192_146
; %bb.143:
	v_add_co_u32 v9, s24, s16, v11
	v_add_co_ci_u32_e64 v10, null, s17, 0, s24
	s_mov_b32 s24, 0
.LBB2192_144:                           ; =>This Inner Loop Header: Depth=1
	global_load_ubyte v20, v[9:10], off glc dlc
	s_waitcnt vmcnt(0)
	v_cmp_ne_u16_e32 vcc_lo, 0, v20
	s_or_b32 s24, vcc_lo, s24
	s_andn2_b32 exec_lo, exec_lo, s24
	s_cbranch_execnz .LBB2192_144
; %bb.145:
	s_or_b32 exec_lo, exec_lo, s24
.LBB2192_146:
	s_or_b32 exec_lo, exec_lo, s4
	v_mov_b32_e32 v9, s13
	v_mov_b32_e32 v12, s12
	v_cmp_eq_u16_e32 vcc_lo, 1, v20
	s_waitcnt_vscnt null, 0x0
	buffer_gl1_inv
	buffer_gl0_inv
	s_mov_b32 s4, 0
	v_cndmask_b32_e32 v10, s15, v9, vcc_lo
	v_cndmask_b32_e32 v9, s14, v12, vcc_lo
	v_mad_u64_u32 v[21:22], null, v11, 36, v[9:10]
	s_clause 0x2
	global_load_dwordx4 v[9:12], v[21:22], off
	global_load_dwordx4 v[13:16], v[21:22], off offset:16
	global_load_ubyte v22, v[21:22], off offset:32
	v_mov_b32_e32 v21, 0
	s_waitcnt vmcnt(2)
	buffer_store_dword v10, off, s[0:3], 0 offset:132
	buffer_store_dword v9, off, s[0:3], 0 offset:128
	;; [unrolled: 1-line block ×4, first 2 shown]
	s_waitcnt vmcnt(1)
	buffer_store_dword v15, off, s[0:3], 0 offset:152
	buffer_store_dword v14, off, s[0:3], 0 offset:148
	;; [unrolled: 1-line block ×4, first 2 shown]
	s_waitcnt vmcnt(0)
	buffer_store_byte v22, off, s[0:3], 0 offset:160
	buffer_store_dword v9, off, s[0:3], 0 offset:200
	buffer_store_dword v10, off, s[0:3], 0 offset:204
	;; [unrolled: 1-line block ×8, first 2 shown]
	buffer_store_byte v22, off, s[0:3], 0 offset:232
	buffer_store_dword v21, off, s[0:3], 0 offset:32
.LBB2192_147:                           ; =>This Inner Loop Header: Depth=1
	v_mov_b32_e32 v22, s4
	s_add_i32 s4, s4, 4
	s_cmp_lg_u32 s4, 32
	buffer_store_dword v21, v22, s[0:3], 0 offen
	s_cbranch_scc1 .LBB2192_147
; %bb.148:
	buffer_load_dword v31, off, s[0:3], 0 offset:232
	v_cmp_ne_u32_e32 vcc_lo, 31, v17
	v_lshlrev_b32_e64 v22, v17, -1
	s_mov_b32 s4, exec_lo
	v_add_co_ci_u32_e64 v21, null, 0, v17, vcc_lo
	v_cmp_eq_u16_e32 vcc_lo, 2, v20
	v_lshlrev_b32_e32 v21, 2, v21
	v_and_or_b32 v32, vcc_lo, v22, 0x80000000
	ds_bpermute_b32 v24, v21, v9
	ds_bpermute_b32 v25, v21, v10
	;; [unrolled: 1-line block ×8, first 2 shown]
	v_ffbl_b32_e32 v32, v32
	s_waitcnt lgkmcnt(7)
	buffer_store_dword v24, off, s[0:3], 0
	s_waitcnt lgkmcnt(6)
	buffer_store_dword v25, off, s[0:3], 0 offset:4
	s_waitcnt lgkmcnt(5)
	buffer_store_dword v26, off, s[0:3], 0 offset:8
	;; [unrolled: 2-line block ×7, first 2 shown]
	s_waitcnt vmcnt(0)
	ds_bpermute_b32 v23, v21, v31
	v_cmpx_lt_u32_e64 v17, v32
	s_cbranch_execz .LBB2192_156
; %bb.149:
	v_mov_b32_e32 v24, 0
	v_cmp_eq_u16_sdwa s25, v31, v24 src0_sel:BYTE_0 src1_sel:DWORD
	s_and_saveexec_b32 s24, s25
	s_cbranch_execz .LBB2192_155
; %bb.150:
	s_mov_b32 s25, 0
.LBB2192_151:                           ; =>This Inner Loop Header: Depth=1
	v_add_nc_u32_e64 v9, 0xa4, s25
	s_add_i32 s25, s25, 4
	s_cmp_lg_u32 s25, 32
	buffer_store_dword v24, v9, s[0:3], 0 offen
	s_cbranch_scc1 .LBB2192_151
; %bb.152:
	s_mov_b32 s25, 0
	.p2align	6
.LBB2192_153:                           ; =>This Inner Loop Header: Depth=1
	v_mov_b32_e32 v9, s25
	v_add_nc_u32_e64 v10, 0xc8, s25
	v_add_nc_u32_e64 v11, 0xa4, s25
	s_add_i32 s25, s25, 4
	s_clause 0x1
	buffer_load_dword v9, v9, s[0:3], 0 offen
	buffer_load_dword v10, v10, s[0:3], 0 offen
	s_cmp_lg_u32 s25, 32
	s_waitcnt vmcnt(0)
	v_add_nc_u32_e32 v9, v10, v9
	buffer_store_dword v9, v11, s[0:3], 0 offen
	s_cbranch_scc1 .LBB2192_153
; %bb.154:
	s_clause 0x7
	buffer_load_dword v9, off, s[0:3], 0 offset:164
	buffer_load_dword v10, off, s[0:3], 0 offset:168
	buffer_load_dword v11, off, s[0:3], 0 offset:172
	buffer_load_dword v12, off, s[0:3], 0 offset:176
	buffer_load_dword v13, off, s[0:3], 0 offset:180
	buffer_load_dword v14, off, s[0:3], 0 offset:184
	buffer_load_dword v15, off, s[0:3], 0 offset:188
	buffer_load_dword v16, off, s[0:3], 0 offset:192
.LBB2192_155:
	s_or_b32 exec_lo, exec_lo, s24
	s_waitcnt lgkmcnt(0)
	v_or_b32_e32 v23, v23, v31
	v_and_b32_e32 v23, 1, v23
	buffer_store_byte v23, off, s[0:3], 0 offset:232
	buffer_load_dword v31, off, s[0:3], 0 offset:232
	s_waitcnt vmcnt(8)
	buffer_store_dword v9, off, s[0:3], 0 offset:200
	s_waitcnt vmcnt(7)
	buffer_store_dword v10, off, s[0:3], 0 offset:204
	;; [unrolled: 2-line block ×8, first 2 shown]
.LBB2192_156:
	s_or_b32 exec_lo, exec_lo, s4
	v_cmp_gt_u32_e32 vcc_lo, 30, v17
	v_add_nc_u32_e32 v24, 2, v17
	s_mov_b32 s24, exec_lo
	s_waitcnt lgkmcnt(0)
	v_cndmask_b32_e64 v23, 0, 2, vcc_lo
	v_add_lshl_u32 v23, v23, v17, 2
	ds_bpermute_b32 v26, v23, v9
	s_waitcnt vmcnt(0)
	ds_bpermute_b32 v25, v23, v31
	ds_bpermute_b32 v27, v23, v10
	;; [unrolled: 1-line block ×8, first 2 shown]
	s_waitcnt lgkmcnt(8)
	buffer_store_dword v26, off, s[0:3], 0
	s_waitcnt lgkmcnt(6)
	buffer_store_dword v27, off, s[0:3], 0 offset:4
	s_waitcnt lgkmcnt(5)
	buffer_store_dword v28, off, s[0:3], 0 offset:8
	;; [unrolled: 2-line block ×7, first 2 shown]
	v_cmpx_le_u32_e64 v24, v32
	s_cbranch_execz .LBB2192_164
; %bb.157:
	v_mov_b32_e32 v26, 0
	v_cmp_eq_u16_sdwa s25, v31, v26 src0_sel:BYTE_0 src1_sel:DWORD
	s_and_saveexec_b32 s4, s25
	s_cbranch_execz .LBB2192_163
; %bb.158:
	s_mov_b32 s25, 0
.LBB2192_159:                           ; =>This Inner Loop Header: Depth=1
	v_add_nc_u32_e64 v9, 0xa4, s25
	s_add_i32 s25, s25, 4
	s_cmp_lg_u32 s25, 32
	buffer_store_dword v26, v9, s[0:3], 0 offen
	s_cbranch_scc1 .LBB2192_159
; %bb.160:
	s_mov_b32 s25, 0
	.p2align	6
.LBB2192_161:                           ; =>This Inner Loop Header: Depth=1
	v_mov_b32_e32 v9, s25
	v_add_nc_u32_e64 v10, 0xc8, s25
	v_add_nc_u32_e64 v11, 0xa4, s25
	s_add_i32 s25, s25, 4
	s_clause 0x1
	buffer_load_dword v9, v9, s[0:3], 0 offen
	buffer_load_dword v10, v10, s[0:3], 0 offen
	s_cmp_lg_u32 s25, 32
	s_waitcnt vmcnt(0)
	v_add_nc_u32_e32 v9, v10, v9
	buffer_store_dword v9, v11, s[0:3], 0 offen
	s_cbranch_scc1 .LBB2192_161
; %bb.162:
	s_clause 0x7
	buffer_load_dword v9, off, s[0:3], 0 offset:164
	buffer_load_dword v10, off, s[0:3], 0 offset:168
	;; [unrolled: 1-line block ×8, first 2 shown]
.LBB2192_163:
	s_or_b32 exec_lo, exec_lo, s4
	v_and_b32_e32 v26, 1, v31
	v_and_b32_e32 v25, 1, v25
	v_cmp_eq_u32_e32 vcc_lo, 1, v26
	v_cmp_eq_u32_e64 s4, 1, v25
	s_or_b32 s4, vcc_lo, s4
	v_cndmask_b32_e64 v25, 0, 1, s4
	buffer_store_byte v25, off, s[0:3], 0 offset:232
	buffer_load_dword v31, off, s[0:3], 0 offset:232
	s_waitcnt vmcnt(8)
	buffer_store_dword v9, off, s[0:3], 0 offset:200
	s_waitcnt vmcnt(7)
	buffer_store_dword v10, off, s[0:3], 0 offset:204
	;; [unrolled: 2-line block ×8, first 2 shown]
.LBB2192_164:
	s_or_b32 exec_lo, exec_lo, s24
	v_cmp_gt_u32_e32 vcc_lo, 28, v17
	v_add_nc_u32_e32 v26, 4, v17
	s_mov_b32 s24, exec_lo
	v_cndmask_b32_e64 v25, 0, 4, vcc_lo
	v_add_lshl_u32 v25, v25, v17, 2
	ds_bpermute_b32 v28, v25, v9
	s_waitcnt vmcnt(0)
	ds_bpermute_b32 v27, v25, v31
	ds_bpermute_b32 v29, v25, v10
	;; [unrolled: 1-line block ×8, first 2 shown]
	s_waitcnt lgkmcnt(8)
	buffer_store_dword v28, off, s[0:3], 0
	s_waitcnt lgkmcnt(6)
	buffer_store_dword v29, off, s[0:3], 0 offset:4
	s_waitcnt lgkmcnt(5)
	buffer_store_dword v30, off, s[0:3], 0 offset:8
	;; [unrolled: 2-line block ×7, first 2 shown]
	v_cmpx_le_u32_e64 v26, v32
	s_cbranch_execz .LBB2192_172
; %bb.165:
	v_mov_b32_e32 v28, 0
	v_cmp_eq_u16_sdwa s25, v31, v28 src0_sel:BYTE_0 src1_sel:DWORD
	s_and_saveexec_b32 s4, s25
	s_cbranch_execz .LBB2192_171
; %bb.166:
	s_mov_b32 s25, 0
.LBB2192_167:                           ; =>This Inner Loop Header: Depth=1
	v_add_nc_u32_e64 v9, 0xa4, s25
	s_add_i32 s25, s25, 4
	s_cmp_lg_u32 s25, 32
	buffer_store_dword v28, v9, s[0:3], 0 offen
	s_cbranch_scc1 .LBB2192_167
; %bb.168:
	s_mov_b32 s25, 0
	.p2align	6
.LBB2192_169:                           ; =>This Inner Loop Header: Depth=1
	v_mov_b32_e32 v9, s25
	v_add_nc_u32_e64 v10, 0xc8, s25
	v_add_nc_u32_e64 v11, 0xa4, s25
	s_add_i32 s25, s25, 4
	s_clause 0x1
	buffer_load_dword v9, v9, s[0:3], 0 offen
	buffer_load_dword v10, v10, s[0:3], 0 offen
	s_cmp_lg_u32 s25, 32
	s_waitcnt vmcnt(0)
	v_add_nc_u32_e32 v9, v10, v9
	buffer_store_dword v9, v11, s[0:3], 0 offen
	s_cbranch_scc1 .LBB2192_169
; %bb.170:
	s_clause 0x7
	buffer_load_dword v9, off, s[0:3], 0 offset:164
	buffer_load_dword v10, off, s[0:3], 0 offset:168
	;; [unrolled: 1-line block ×8, first 2 shown]
.LBB2192_171:
	s_or_b32 exec_lo, exec_lo, s4
	v_and_b32_e32 v28, 1, v31
	v_and_b32_e32 v27, 1, v27
	v_cmp_eq_u32_e32 vcc_lo, 1, v28
	v_cmp_eq_u32_e64 s4, 1, v27
	s_or_b32 s4, vcc_lo, s4
	v_cndmask_b32_e64 v27, 0, 1, s4
	buffer_store_byte v27, off, s[0:3], 0 offset:232
	buffer_load_dword v31, off, s[0:3], 0 offset:232
	s_waitcnt vmcnt(8)
	buffer_store_dword v9, off, s[0:3], 0 offset:200
	s_waitcnt vmcnt(7)
	buffer_store_dword v10, off, s[0:3], 0 offset:204
	;; [unrolled: 2-line block ×8, first 2 shown]
.LBB2192_172:
	s_or_b32 exec_lo, exec_lo, s24
	v_cmp_gt_u32_e32 vcc_lo, 24, v17
	v_add_nc_u32_e32 v28, 8, v17
	s_mov_b32 s24, exec_lo
	v_cndmask_b32_e64 v27, 0, 8, vcc_lo
	v_add_lshl_u32 v27, v27, v17, 2
	ds_bpermute_b32 v30, v27, v9
	s_waitcnt vmcnt(0)
	ds_bpermute_b32 v29, v27, v31
	ds_bpermute_b32 v33, v27, v10
	;; [unrolled: 1-line block ×8, first 2 shown]
	s_waitcnt lgkmcnt(8)
	buffer_store_dword v30, off, s[0:3], 0
	s_waitcnt lgkmcnt(6)
	buffer_store_dword v33, off, s[0:3], 0 offset:4
	s_waitcnt lgkmcnt(5)
	buffer_store_dword v34, off, s[0:3], 0 offset:8
	s_waitcnt lgkmcnt(4)
	buffer_store_dword v35, off, s[0:3], 0 offset:12
	s_waitcnt lgkmcnt(3)
	buffer_store_dword v36, off, s[0:3], 0 offset:16
	s_waitcnt lgkmcnt(2)
	buffer_store_dword v37, off, s[0:3], 0 offset:20
	s_waitcnt lgkmcnt(1)
	buffer_store_dword v38, off, s[0:3], 0 offset:24
	s_waitcnt lgkmcnt(0)
	buffer_store_dword v39, off, s[0:3], 0 offset:28
	v_cmpx_le_u32_e64 v28, v32
	s_cbranch_execz .LBB2192_180
; %bb.173:
	v_mov_b32_e32 v30, 0
	v_cmp_eq_u16_sdwa s25, v31, v30 src0_sel:BYTE_0 src1_sel:DWORD
	s_and_saveexec_b32 s4, s25
	s_cbranch_execz .LBB2192_179
; %bb.174:
	s_mov_b32 s25, 0
.LBB2192_175:                           ; =>This Inner Loop Header: Depth=1
	v_add_nc_u32_e64 v9, 0xa4, s25
	s_add_i32 s25, s25, 4
	s_cmp_lg_u32 s25, 32
	buffer_store_dword v30, v9, s[0:3], 0 offen
	s_cbranch_scc1 .LBB2192_175
; %bb.176:
	s_mov_b32 s25, 0
	.p2align	6
.LBB2192_177:                           ; =>This Inner Loop Header: Depth=1
	v_mov_b32_e32 v9, s25
	v_add_nc_u32_e64 v10, 0xc8, s25
	v_add_nc_u32_e64 v11, 0xa4, s25
	s_add_i32 s25, s25, 4
	s_clause 0x1
	buffer_load_dword v9, v9, s[0:3], 0 offen
	buffer_load_dword v10, v10, s[0:3], 0 offen
	s_cmp_lg_u32 s25, 32
	s_waitcnt vmcnt(0)
	v_add_nc_u32_e32 v9, v10, v9
	buffer_store_dword v9, v11, s[0:3], 0 offen
	s_cbranch_scc1 .LBB2192_177
; %bb.178:
	s_clause 0x7
	buffer_load_dword v9, off, s[0:3], 0 offset:164
	buffer_load_dword v10, off, s[0:3], 0 offset:168
	;; [unrolled: 1-line block ×8, first 2 shown]
.LBB2192_179:
	s_or_b32 exec_lo, exec_lo, s4
	v_and_b32_e32 v30, 1, v31
	v_and_b32_e32 v29, 1, v29
	v_cmp_eq_u32_e32 vcc_lo, 1, v30
	v_cmp_eq_u32_e64 s4, 1, v29
	s_or_b32 s4, vcc_lo, s4
	v_cndmask_b32_e64 v29, 0, 1, s4
	buffer_store_byte v29, off, s[0:3], 0 offset:232
	buffer_load_dword v31, off, s[0:3], 0 offset:232
	s_waitcnt vmcnt(8)
	buffer_store_dword v9, off, s[0:3], 0 offset:200
	s_waitcnt vmcnt(7)
	buffer_store_dword v10, off, s[0:3], 0 offset:204
	;; [unrolled: 2-line block ×8, first 2 shown]
.LBB2192_180:
	s_or_b32 exec_lo, exec_lo, s24
	v_lshl_or_b32 v29, v17, 2, 64
	v_add_nc_u32_e32 v30, 16, v17
	s_mov_b32 s24, exec_lo
	ds_bpermute_b32 v34, v29, v9
	s_waitcnt vmcnt(0)
	ds_bpermute_b32 v33, v29, v31
	ds_bpermute_b32 v35, v29, v10
	;; [unrolled: 1-line block ×8, first 2 shown]
	s_waitcnt lgkmcnt(8)
	buffer_store_dword v34, off, s[0:3], 0
	s_waitcnt lgkmcnt(6)
	buffer_store_dword v35, off, s[0:3], 0 offset:4
	s_waitcnt lgkmcnt(5)
	buffer_store_dword v36, off, s[0:3], 0 offset:8
	;; [unrolled: 2-line block ×7, first 2 shown]
	v_cmpx_le_u32_e64 v30, v32
	s_cbranch_execz .LBB2192_187
; %bb.181:
	v_mov_b32_e32 v32, 0
	s_mov_b32 s25, 0
	v_cmp_eq_u16_sdwa s34, v31, v32 src0_sel:BYTE_0 src1_sel:DWORD
	s_and_saveexec_b32 s4, s34
	s_cbranch_execz .LBB2192_186
.LBB2192_182:                           ; =>This Inner Loop Header: Depth=1
	v_add_nc_u32_e64 v9, 0xa4, s25
	s_add_i32 s25, s25, 4
	s_cmp_lg_u32 s25, 32
	buffer_store_dword v32, v9, s[0:3], 0 offen
	s_cbranch_scc1 .LBB2192_182
; %bb.183:
	s_mov_b32 s25, 0
	.p2align	6
.LBB2192_184:                           ; =>This Inner Loop Header: Depth=1
	v_mov_b32_e32 v9, s25
	v_add_nc_u32_e64 v10, 0xc8, s25
	v_add_nc_u32_e64 v11, 0xa4, s25
	s_add_i32 s25, s25, 4
	s_clause 0x1
	buffer_load_dword v9, v9, s[0:3], 0 offen
	buffer_load_dword v10, v10, s[0:3], 0 offen
	s_cmp_lg_u32 s25, 32
	s_waitcnt vmcnt(0)
	v_add_nc_u32_e32 v9, v10, v9
	buffer_store_dword v9, v11, s[0:3], 0 offen
	s_cbranch_scc1 .LBB2192_184
; %bb.185:
	s_clause 0x7
	buffer_load_dword v9, off, s[0:3], 0 offset:164
	buffer_load_dword v10, off, s[0:3], 0 offset:168
	;; [unrolled: 1-line block ×8, first 2 shown]
.LBB2192_186:
	s_or_b32 exec_lo, exec_lo, s4
	v_and_b32_e32 v31, 1, v31
	v_and_b32_e32 v32, 1, v33
	s_waitcnt vmcnt(7)
	buffer_store_dword v9, off, s[0:3], 0 offset:200
	s_waitcnt vmcnt(6)
	buffer_store_dword v10, off, s[0:3], 0 offset:204
	;; [unrolled: 2-line block ×3, first 2 shown]
	v_cmp_eq_u32_e32 vcc_lo, 1, v31
	v_cmp_eq_u32_e64 s4, 1, v32
	s_or_b32 s4, vcc_lo, s4
	v_cndmask_b32_e64 v9, 0, 1, s4
	s_waitcnt vmcnt(4)
	buffer_store_dword v12, off, s[0:3], 0 offset:212
	s_waitcnt vmcnt(3)
	buffer_store_dword v13, off, s[0:3], 0 offset:216
	;; [unrolled: 2-line block ×5, first 2 shown]
	buffer_store_byte v9, off, s[0:3], 0 offset:232
.LBB2192_187:
	s_or_b32 exec_lo, exec_lo, s24
	s_clause 0x8
	buffer_load_dword v9, off, s[0:3], 0 offset:212
	buffer_load_dword v10, off, s[0:3], 0 offset:208
	;; [unrolled: 1-line block ×9, first 2 shown]
	v_mov_b32_e32 v31, 0
	v_mov_b32_e32 v32, 2
	s_waitcnt vmcnt(8)
	buffer_store_dword v9, off, s[0:3], 0 offset:176
	s_waitcnt vmcnt(7)
	buffer_store_dword v10, off, s[0:3], 0 offset:172
	;; [unrolled: 2-line block ×9, first 2 shown]
	s_branch .LBB2192_191
.LBB2192_188:                           ;   in Loop: Header=BB2192_191 Depth=1
	s_clause 0x7
	buffer_load_dword v10, off, s[0:3], 0
	buffer_load_dword v11, off, s[0:3], 0 offset:4
	buffer_load_dword v13, off, s[0:3], 0 offset:8
	;; [unrolled: 1-line block ×7, first 2 shown]
.LBB2192_189:                           ;   in Loop: Header=BB2192_191 Depth=1
	s_or_b32 exec_lo, exec_lo, s24
	v_and_b32_e32 v9, 1, v9
	v_subrev_nc_u32_e32 v19, 32, v19
	s_waitcnt vmcnt(7)
	buffer_store_dword v10, off, s[0:3], 0 offset:164
	s_waitcnt vmcnt(6)
	buffer_store_dword v11, off, s[0:3], 0 offset:168
	;; [unrolled: 2-line block ×8, first 2 shown]
	v_cmp_eq_u32_e32 vcc_lo, 1, v9
	s_or_b32 s4, vcc_lo, s4
	v_cndmask_b32_e64 v9, 0, 1, s4
	s_mov_b32 s4, 0
	buffer_store_byte v9, off, s[0:3], 0 offset:196
.LBB2192_190:                           ;   in Loop: Header=BB2192_191 Depth=1
	s_and_b32 vcc_lo, exec_lo, s4
	s_cbranch_vccnz .LBB2192_248
.LBB2192_191:                           ; =>This Loop Header: Depth=1
                                        ;     Child Loop BB2192_193 Depth 2
                                        ;     Child Loop BB2192_196 Depth 2
	;; [unrolled: 1-line block ×15, first 2 shown]
	v_cmp_ne_u16_sdwa s4, v20, v32 src0_sel:BYTE_0 src1_sel:DWORD
                                        ; implicit-def: $vgpr20
	s_cmp_lg_u32 s4, exec_lo
	s_mov_b32 s4, -1
	s_cbranch_scc1 .LBB2192_190
; %bb.192:                              ;   in Loop: Header=BB2192_191 Depth=1
	s_mov_b32 s4, 0
	buffer_store_dword v31, off, s[0:3], 0 offset:156
	buffer_store_dword v31, off, s[0:3], 0 offset:152
	;; [unrolled: 1-line block ×9, first 2 shown]
.LBB2192_193:                           ;   Parent Loop BB2192_191 Depth=1
                                        ; =>  This Inner Loop Header: Depth=2
	v_add_nc_u32_e64 v9, 0x80, s4
	s_add_i32 s4, s4, 4
	s_cmp_lg_u32 s4, 32
	buffer_store_dword v31, v9, s[0:3], 0 offen
	s_cbranch_scc1 .LBB2192_193
; %bb.194:                              ;   in Loop: Header=BB2192_191 Depth=1
	buffer_store_byte v31, off, s[0:3], 0 offset:160
	global_load_ubyte v20, v19, s[16:17] glc dlc
	s_mov_b32 s4, exec_lo
	s_waitcnt vmcnt(0)
	v_cmpx_eq_u16_e32 0, v20
	s_cbranch_execz .LBB2192_198
; %bb.195:                              ;   in Loop: Header=BB2192_191 Depth=1
	v_add_co_u32 v9, s24, s16, v19
	v_add_co_ci_u32_e64 v10, null, s17, 0, s24
	s_mov_b32 s24, 0
.LBB2192_196:                           ;   Parent Loop BB2192_191 Depth=1
                                        ; =>  This Inner Loop Header: Depth=2
	global_load_ubyte v20, v[9:10], off glc dlc
	s_waitcnt vmcnt(0)
	v_cmp_ne_u16_e32 vcc_lo, 0, v20
	s_or_b32 s24, vcc_lo, s24
	s_andn2_b32 exec_lo, exec_lo, s24
	s_cbranch_execnz .LBB2192_196
; %bb.197:                              ;   in Loop: Header=BB2192_191 Depth=1
	s_or_b32 exec_lo, exec_lo, s24
.LBB2192_198:                           ;   in Loop: Header=BB2192_191 Depth=1
	s_or_b32 exec_lo, exec_lo, s4
	v_mov_b32_e32 v9, s13
	v_mov_b32_e32 v11, s12
	v_cmp_eq_u16_e32 vcc_lo, 1, v20
	s_waitcnt_vscnt null, 0x0
	buffer_gl1_inv
	buffer_gl0_inv
	s_mov_b32 s4, 0
	v_cndmask_b32_e32 v10, s15, v9, vcc_lo
	v_cndmask_b32_e32 v9, s14, v11, vcc_lo
	v_mad_u64_u32 v[33:34], null, v19, 36, v[9:10]
	s_clause 0x2
	global_load_dwordx4 v[9:12], v[33:34], off
	global_load_dwordx4 v[13:16], v[33:34], off offset:16
	global_load_ubyte v33, v[33:34], off offset:32
	s_waitcnt vmcnt(2)
	buffer_store_dword v10, off, s[0:3], 0 offset:132
	buffer_store_dword v9, off, s[0:3], 0 offset:128
	;; [unrolled: 1-line block ×4, first 2 shown]
	s_waitcnt vmcnt(1)
	buffer_store_dword v15, off, s[0:3], 0 offset:152
	buffer_store_dword v14, off, s[0:3], 0 offset:148
	;; [unrolled: 1-line block ×4, first 2 shown]
	s_waitcnt vmcnt(0)
	buffer_store_byte v33, off, s[0:3], 0 offset:160
	buffer_store_dword v9, off, s[0:3], 0 offset:200
	buffer_store_dword v10, off, s[0:3], 0 offset:204
	;; [unrolled: 1-line block ×8, first 2 shown]
	buffer_store_byte v33, off, s[0:3], 0 offset:232
	buffer_store_dword v31, off, s[0:3], 0 offset:32
.LBB2192_199:                           ;   Parent Loop BB2192_191 Depth=1
                                        ; =>  This Inner Loop Header: Depth=2
	v_mov_b32_e32 v33, s4
	s_add_i32 s4, s4, 4
	s_cmp_lg_u32 s4, 32
	buffer_store_dword v31, v33, s[0:3], 0 offen
	s_cbranch_scc1 .LBB2192_199
; %bb.200:                              ;   in Loop: Header=BB2192_191 Depth=1
	buffer_load_dword v34, off, s[0:3], 0 offset:232
	ds_bpermute_b32 v36, v21, v9
	ds_bpermute_b32 v37, v21, v10
	;; [unrolled: 1-line block ×5, first 2 shown]
	v_cmp_eq_u16_e32 vcc_lo, 2, v20
	ds_bpermute_b32 v41, v21, v14
	ds_bpermute_b32 v42, v21, v15
	;; [unrolled: 1-line block ×3, first 2 shown]
	s_mov_b32 s4, exec_lo
	v_and_or_b32 v33, vcc_lo, v22, 0x80000000
	s_waitcnt lgkmcnt(7)
	buffer_store_dword v36, off, s[0:3], 0
	s_waitcnt lgkmcnt(6)
	buffer_store_dword v37, off, s[0:3], 0 offset:4
	s_waitcnt lgkmcnt(5)
	buffer_store_dword v38, off, s[0:3], 0 offset:8
	;; [unrolled: 2-line block ×7, first 2 shown]
	v_ffbl_b32_e32 v33, v33
	s_waitcnt vmcnt(0)
	ds_bpermute_b32 v35, v21, v34
	v_cmpx_lt_u32_e64 v17, v33
	s_cbranch_execz .LBB2192_208
; %bb.201:                              ;   in Loop: Header=BB2192_191 Depth=1
	v_cmp_eq_u16_sdwa s25, v34, v31 src0_sel:BYTE_0 src1_sel:DWORD
	s_and_saveexec_b32 s24, s25
	s_cbranch_execz .LBB2192_207
; %bb.202:                              ;   in Loop: Header=BB2192_191 Depth=1
	s_mov_b32 s25, 0
.LBB2192_203:                           ;   Parent Loop BB2192_191 Depth=1
                                        ; =>  This Inner Loop Header: Depth=2
	v_add_nc_u32_e64 v9, 0x60, s25
	s_add_i32 s25, s25, 4
	s_cmp_lg_u32 s25, 32
	buffer_store_dword v31, v9, s[0:3], 0 offen
	s_cbranch_scc1 .LBB2192_203
; %bb.204:                              ;   in Loop: Header=BB2192_191 Depth=1
	s_mov_b32 s25, 0
	.p2align	6
.LBB2192_205:                           ;   Parent Loop BB2192_191 Depth=1
                                        ; =>  This Inner Loop Header: Depth=2
	v_mov_b32_e32 v9, s25
	v_add_nc_u32_e64 v10, 0xc8, s25
	v_add_nc_u32_e64 v11, 0x60, s25
	s_add_i32 s25, s25, 4
	s_clause 0x1
	buffer_load_dword v9, v9, s[0:3], 0 offen
	buffer_load_dword v10, v10, s[0:3], 0 offen
	s_cmp_lg_u32 s25, 32
	s_waitcnt vmcnt(0)
	v_add_nc_u32_e32 v9, v10, v9
	buffer_store_dword v9, v11, s[0:3], 0 offen
	s_cbranch_scc1 .LBB2192_205
; %bb.206:                              ;   in Loop: Header=BB2192_191 Depth=1
	s_clause 0x7
	buffer_load_dword v9, off, s[0:3], 0 offset:96
	buffer_load_dword v10, off, s[0:3], 0 offset:100
	;; [unrolled: 1-line block ×8, first 2 shown]
.LBB2192_207:                           ;   in Loop: Header=BB2192_191 Depth=1
	s_or_b32 exec_lo, exec_lo, s24
	s_waitcnt lgkmcnt(0)
	v_or_b32_e32 v34, v35, v34
	v_and_b32_e32 v34, 1, v34
	buffer_store_byte v34, off, s[0:3], 0 offset:232
	buffer_load_dword v34, off, s[0:3], 0 offset:232
	s_waitcnt vmcnt(8)
	buffer_store_dword v9, off, s[0:3], 0 offset:200
	s_waitcnt vmcnt(7)
	buffer_store_dword v10, off, s[0:3], 0 offset:204
	;; [unrolled: 2-line block ×8, first 2 shown]
.LBB2192_208:                           ;   in Loop: Header=BB2192_191 Depth=1
	s_or_b32 exec_lo, exec_lo, s4
	ds_bpermute_b32 v36, v23, v9
	s_waitcnt vmcnt(0) lgkmcnt(1)
	ds_bpermute_b32 v35, v23, v34
	ds_bpermute_b32 v37, v23, v10
	;; [unrolled: 1-line block ×8, first 2 shown]
	s_mov_b32 s24, exec_lo
	s_waitcnt lgkmcnt(8)
	buffer_store_dword v36, off, s[0:3], 0
	s_waitcnt lgkmcnt(6)
	buffer_store_dword v37, off, s[0:3], 0 offset:4
	s_waitcnt lgkmcnt(5)
	buffer_store_dword v38, off, s[0:3], 0 offset:8
	;; [unrolled: 2-line block ×7, first 2 shown]
	v_cmpx_le_u32_e64 v24, v33
	s_cbranch_execz .LBB2192_216
; %bb.209:                              ;   in Loop: Header=BB2192_191 Depth=1
	v_cmp_eq_u16_sdwa s25, v34, v31 src0_sel:BYTE_0 src1_sel:DWORD
	s_and_saveexec_b32 s4, s25
	s_cbranch_execz .LBB2192_215
; %bb.210:                              ;   in Loop: Header=BB2192_191 Depth=1
	s_mov_b32 s25, 0
.LBB2192_211:                           ;   Parent Loop BB2192_191 Depth=1
                                        ; =>  This Inner Loop Header: Depth=2
	v_add_nc_u32_e64 v9, 0x60, s25
	s_add_i32 s25, s25, 4
	s_cmp_lg_u32 s25, 32
	buffer_store_dword v31, v9, s[0:3], 0 offen
	s_cbranch_scc1 .LBB2192_211
; %bb.212:                              ;   in Loop: Header=BB2192_191 Depth=1
	s_mov_b32 s25, 0
	.p2align	6
.LBB2192_213:                           ;   Parent Loop BB2192_191 Depth=1
                                        ; =>  This Inner Loop Header: Depth=2
	v_mov_b32_e32 v9, s25
	v_add_nc_u32_e64 v10, 0xc8, s25
	v_add_nc_u32_e64 v11, 0x60, s25
	s_add_i32 s25, s25, 4
	s_clause 0x1
	buffer_load_dword v9, v9, s[0:3], 0 offen
	buffer_load_dword v10, v10, s[0:3], 0 offen
	s_cmp_lg_u32 s25, 32
	s_waitcnt vmcnt(0)
	v_add_nc_u32_e32 v9, v10, v9
	buffer_store_dword v9, v11, s[0:3], 0 offen
	s_cbranch_scc1 .LBB2192_213
; %bb.214:                              ;   in Loop: Header=BB2192_191 Depth=1
	s_clause 0x7
	buffer_load_dword v9, off, s[0:3], 0 offset:96
	buffer_load_dword v10, off, s[0:3], 0 offset:100
	;; [unrolled: 1-line block ×8, first 2 shown]
.LBB2192_215:                           ;   in Loop: Header=BB2192_191 Depth=1
	s_or_b32 exec_lo, exec_lo, s4
	v_and_b32_e32 v34, 1, v34
	v_and_b32_e32 v35, 1, v35
	v_cmp_eq_u32_e32 vcc_lo, 1, v34
	v_cmp_eq_u32_e64 s4, 1, v35
	s_or_b32 s4, vcc_lo, s4
	v_cndmask_b32_e64 v34, 0, 1, s4
	buffer_store_byte v34, off, s[0:3], 0 offset:232
	buffer_load_dword v34, off, s[0:3], 0 offset:232
	s_waitcnt vmcnt(8)
	buffer_store_dword v9, off, s[0:3], 0 offset:200
	s_waitcnt vmcnt(7)
	buffer_store_dword v10, off, s[0:3], 0 offset:204
	;; [unrolled: 2-line block ×8, first 2 shown]
.LBB2192_216:                           ;   in Loop: Header=BB2192_191 Depth=1
	s_or_b32 exec_lo, exec_lo, s24
	ds_bpermute_b32 v36, v25, v9
	s_waitcnt vmcnt(0)
	ds_bpermute_b32 v35, v25, v34
	ds_bpermute_b32 v37, v25, v10
	;; [unrolled: 1-line block ×8, first 2 shown]
	s_mov_b32 s24, exec_lo
	s_waitcnt lgkmcnt(8)
	buffer_store_dword v36, off, s[0:3], 0
	s_waitcnt lgkmcnt(6)
	buffer_store_dword v37, off, s[0:3], 0 offset:4
	s_waitcnt lgkmcnt(5)
	buffer_store_dword v38, off, s[0:3], 0 offset:8
	;; [unrolled: 2-line block ×7, first 2 shown]
	v_cmpx_le_u32_e64 v26, v33
	s_cbranch_execz .LBB2192_224
; %bb.217:                              ;   in Loop: Header=BB2192_191 Depth=1
	v_cmp_eq_u16_sdwa s25, v34, v31 src0_sel:BYTE_0 src1_sel:DWORD
	s_and_saveexec_b32 s4, s25
	s_cbranch_execz .LBB2192_223
; %bb.218:                              ;   in Loop: Header=BB2192_191 Depth=1
	s_mov_b32 s25, 0
.LBB2192_219:                           ;   Parent Loop BB2192_191 Depth=1
                                        ; =>  This Inner Loop Header: Depth=2
	v_add_nc_u32_e64 v9, 0x60, s25
	s_add_i32 s25, s25, 4
	s_cmp_lg_u32 s25, 32
	buffer_store_dword v31, v9, s[0:3], 0 offen
	s_cbranch_scc1 .LBB2192_219
; %bb.220:                              ;   in Loop: Header=BB2192_191 Depth=1
	s_mov_b32 s25, 0
	.p2align	6
.LBB2192_221:                           ;   Parent Loop BB2192_191 Depth=1
                                        ; =>  This Inner Loop Header: Depth=2
	v_mov_b32_e32 v9, s25
	v_add_nc_u32_e64 v10, 0xc8, s25
	v_add_nc_u32_e64 v11, 0x60, s25
	s_add_i32 s25, s25, 4
	s_clause 0x1
	buffer_load_dword v9, v9, s[0:3], 0 offen
	buffer_load_dword v10, v10, s[0:3], 0 offen
	s_cmp_lg_u32 s25, 32
	s_waitcnt vmcnt(0)
	v_add_nc_u32_e32 v9, v10, v9
	buffer_store_dword v9, v11, s[0:3], 0 offen
	s_cbranch_scc1 .LBB2192_221
; %bb.222:                              ;   in Loop: Header=BB2192_191 Depth=1
	s_clause 0x7
	buffer_load_dword v9, off, s[0:3], 0 offset:96
	buffer_load_dword v10, off, s[0:3], 0 offset:100
	;; [unrolled: 1-line block ×8, first 2 shown]
.LBB2192_223:                           ;   in Loop: Header=BB2192_191 Depth=1
	s_or_b32 exec_lo, exec_lo, s4
	v_and_b32_e32 v34, 1, v34
	v_and_b32_e32 v35, 1, v35
	v_cmp_eq_u32_e32 vcc_lo, 1, v34
	v_cmp_eq_u32_e64 s4, 1, v35
	s_or_b32 s4, vcc_lo, s4
	v_cndmask_b32_e64 v34, 0, 1, s4
	buffer_store_byte v34, off, s[0:3], 0 offset:232
	buffer_load_dword v34, off, s[0:3], 0 offset:232
	s_waitcnt vmcnt(8)
	buffer_store_dword v9, off, s[0:3], 0 offset:200
	s_waitcnt vmcnt(7)
	buffer_store_dword v10, off, s[0:3], 0 offset:204
	;; [unrolled: 2-line block ×8, first 2 shown]
.LBB2192_224:                           ;   in Loop: Header=BB2192_191 Depth=1
	s_or_b32 exec_lo, exec_lo, s24
	ds_bpermute_b32 v36, v27, v9
	s_waitcnt vmcnt(0)
	ds_bpermute_b32 v35, v27, v34
	ds_bpermute_b32 v37, v27, v10
	;; [unrolled: 1-line block ×8, first 2 shown]
	s_mov_b32 s24, exec_lo
	s_waitcnt lgkmcnt(8)
	buffer_store_dword v36, off, s[0:3], 0
	s_waitcnt lgkmcnt(6)
	buffer_store_dword v37, off, s[0:3], 0 offset:4
	s_waitcnt lgkmcnt(5)
	buffer_store_dword v38, off, s[0:3], 0 offset:8
	;; [unrolled: 2-line block ×7, first 2 shown]
	v_cmpx_le_u32_e64 v28, v33
	s_cbranch_execz .LBB2192_232
; %bb.225:                              ;   in Loop: Header=BB2192_191 Depth=1
	v_cmp_eq_u16_sdwa s25, v34, v31 src0_sel:BYTE_0 src1_sel:DWORD
	s_and_saveexec_b32 s4, s25
	s_cbranch_execz .LBB2192_231
; %bb.226:                              ;   in Loop: Header=BB2192_191 Depth=1
	s_mov_b32 s25, 0
.LBB2192_227:                           ;   Parent Loop BB2192_191 Depth=1
                                        ; =>  This Inner Loop Header: Depth=2
	v_add_nc_u32_e64 v9, 0x60, s25
	s_add_i32 s25, s25, 4
	s_cmp_lg_u32 s25, 32
	buffer_store_dword v31, v9, s[0:3], 0 offen
	s_cbranch_scc1 .LBB2192_227
; %bb.228:                              ;   in Loop: Header=BB2192_191 Depth=1
	s_mov_b32 s25, 0
	.p2align	6
.LBB2192_229:                           ;   Parent Loop BB2192_191 Depth=1
                                        ; =>  This Inner Loop Header: Depth=2
	v_mov_b32_e32 v9, s25
	v_add_nc_u32_e64 v10, 0xc8, s25
	v_add_nc_u32_e64 v11, 0x60, s25
	s_add_i32 s25, s25, 4
	s_clause 0x1
	buffer_load_dword v9, v9, s[0:3], 0 offen
	buffer_load_dword v10, v10, s[0:3], 0 offen
	s_cmp_lg_u32 s25, 32
	s_waitcnt vmcnt(0)
	v_add_nc_u32_e32 v9, v10, v9
	buffer_store_dword v9, v11, s[0:3], 0 offen
	s_cbranch_scc1 .LBB2192_229
; %bb.230:                              ;   in Loop: Header=BB2192_191 Depth=1
	s_clause 0x7
	buffer_load_dword v9, off, s[0:3], 0 offset:96
	buffer_load_dword v10, off, s[0:3], 0 offset:100
	;; [unrolled: 1-line block ×8, first 2 shown]
.LBB2192_231:                           ;   in Loop: Header=BB2192_191 Depth=1
	s_or_b32 exec_lo, exec_lo, s4
	v_and_b32_e32 v34, 1, v34
	v_and_b32_e32 v35, 1, v35
	v_cmp_eq_u32_e32 vcc_lo, 1, v34
	v_cmp_eq_u32_e64 s4, 1, v35
	s_or_b32 s4, vcc_lo, s4
	v_cndmask_b32_e64 v34, 0, 1, s4
	buffer_store_byte v34, off, s[0:3], 0 offset:232
	buffer_load_dword v34, off, s[0:3], 0 offset:232
	s_waitcnt vmcnt(8)
	buffer_store_dword v9, off, s[0:3], 0 offset:200
	s_waitcnt vmcnt(7)
	buffer_store_dword v10, off, s[0:3], 0 offset:204
	;; [unrolled: 2-line block ×8, first 2 shown]
.LBB2192_232:                           ;   in Loop: Header=BB2192_191 Depth=1
	s_or_b32 exec_lo, exec_lo, s24
	ds_bpermute_b32 v36, v29, v9
	s_waitcnt vmcnt(0)
	ds_bpermute_b32 v35, v29, v34
	ds_bpermute_b32 v37, v29, v10
	ds_bpermute_b32 v38, v29, v11
	ds_bpermute_b32 v39, v29, v12
	ds_bpermute_b32 v40, v29, v13
	ds_bpermute_b32 v41, v29, v14
	ds_bpermute_b32 v42, v29, v15
	ds_bpermute_b32 v43, v29, v16
	v_and_b32_e32 v44, 1, v34
	s_mov_b32 s24, exec_lo
	s_waitcnt lgkmcnt(8)
	buffer_store_dword v36, off, s[0:3], 0
	s_waitcnt lgkmcnt(6)
	buffer_store_dword v37, off, s[0:3], 0 offset:4
	s_waitcnt lgkmcnt(5)
	buffer_store_dword v38, off, s[0:3], 0 offset:8
	;; [unrolled: 2-line block ×7, first 2 shown]
	v_cmp_eq_u32_e64 s4, 1, v44
	v_cmpx_le_u32_e64 v30, v33
	s_cbranch_execz .LBB2192_240
; %bb.233:                              ;   in Loop: Header=BB2192_191 Depth=1
	v_cmp_eq_u16_sdwa s34, v34, v31 src0_sel:BYTE_0 src1_sel:DWORD
	s_and_saveexec_b32 s25, s34
	s_cbranch_execz .LBB2192_239
; %bb.234:                              ;   in Loop: Header=BB2192_191 Depth=1
	s_mov_b32 s34, 0
.LBB2192_235:                           ;   Parent Loop BB2192_191 Depth=1
                                        ; =>  This Inner Loop Header: Depth=2
	v_add_nc_u32_e64 v9, 0x60, s34
	s_add_i32 s34, s34, 4
	s_cmp_lg_u32 s34, 32
	buffer_store_dword v31, v9, s[0:3], 0 offen
	s_cbranch_scc1 .LBB2192_235
; %bb.236:                              ;   in Loop: Header=BB2192_191 Depth=1
	s_mov_b32 s34, 0
	.p2align	6
.LBB2192_237:                           ;   Parent Loop BB2192_191 Depth=1
                                        ; =>  This Inner Loop Header: Depth=2
	v_mov_b32_e32 v9, s34
	v_add_nc_u32_e64 v10, 0xc8, s34
	v_add_nc_u32_e64 v11, 0x60, s34
	s_add_i32 s34, s34, 4
	s_clause 0x1
	buffer_load_dword v9, v9, s[0:3], 0 offen
	buffer_load_dword v10, v10, s[0:3], 0 offen
	s_cmp_lg_u32 s34, 32
	s_waitcnt vmcnt(0)
	v_add_nc_u32_e32 v9, v10, v9
	buffer_store_dword v9, v11, s[0:3], 0 offen
	s_cbranch_scc1 .LBB2192_237
; %bb.238:                              ;   in Loop: Header=BB2192_191 Depth=1
	s_clause 0x7
	buffer_load_dword v9, off, s[0:3], 0 offset:96
	buffer_load_dword v10, off, s[0:3], 0 offset:100
	;; [unrolled: 1-line block ×8, first 2 shown]
.LBB2192_239:                           ;   in Loop: Header=BB2192_191 Depth=1
	s_or_b32 exec_lo, exec_lo, s25
	v_and_b32_e32 v33, 1, v35
	s_waitcnt vmcnt(7)
	buffer_store_dword v9, off, s[0:3], 0 offset:200
	s_waitcnt vmcnt(6)
	buffer_store_dword v10, off, s[0:3], 0 offset:204
	;; [unrolled: 2-line block ×8, first 2 shown]
	v_cmp_eq_u32_e32 vcc_lo, 1, v33
	s_or_b32 s25, s4, vcc_lo
	s_andn2_b32 s4, s4, exec_lo
	v_cndmask_b32_e64 v9, 0, 1, s25
	s_and_b32 s25, s25, exec_lo
	s_or_b32 s4, s4, s25
	buffer_store_byte v9, off, s[0:3], 0 offset:232
.LBB2192_240:                           ;   in Loop: Header=BB2192_191 Depth=1
	s_or_b32 exec_lo, exec_lo, s24
	buffer_load_ubyte v9, off, s[0:3], 0 offset:196
	s_mov_b32 s24, exec_lo
                                        ; implicit-def: $vgpr12
                                        ; implicit-def: $vgpr10
                                        ; implicit-def: $vgpr11
                                        ; implicit-def: $vgpr13
                                        ; implicit-def: $vgpr14
                                        ; implicit-def: $vgpr15
                                        ; implicit-def: $vgpr16
                                        ; implicit-def: $vgpr33
	s_waitcnt vmcnt(0)
	v_cmpx_ne_u16_e32 0, v9
	s_xor_b32 s24, exec_lo, s24
	s_cbranch_execz .LBB2192_242
; %bb.241:                              ;   in Loop: Header=BB2192_191 Depth=1
	s_clause 0x7
	buffer_load_dword v10, off, s[0:3], 0 offset:164
	buffer_load_dword v11, off, s[0:3], 0 offset:168
	;; [unrolled: 1-line block ×8, first 2 shown]
.LBB2192_242:                           ;   in Loop: Header=BB2192_191 Depth=1
	s_andn2_saveexec_b32 s24, s24
	s_cbranch_execz .LBB2192_189
; %bb.243:                              ;   in Loop: Header=BB2192_191 Depth=1
	s_mov_b32 s25, 0
.LBB2192_244:                           ;   Parent Loop BB2192_191 Depth=1
                                        ; =>  This Inner Loop Header: Depth=2
	s_waitcnt vmcnt(7)
	v_mov_b32_e32 v10, s25
	s_add_i32 s25, s25, 4
	s_cmp_lg_u32 s25, 32
	buffer_store_dword v31, v10, s[0:3], 0 offen
	s_cbranch_scc1 .LBB2192_244
; %bb.245:                              ;   in Loop: Header=BB2192_191 Depth=1
	s_mov_b32 s25, 0
	.p2align	6
.LBB2192_246:                           ;   Parent Loop BB2192_191 Depth=1
                                        ; =>  This Inner Loop Header: Depth=2
	v_add_nc_u32_e64 v10, 0xc8, s25
	s_waitcnt vmcnt(6)
	v_add_nc_u32_e64 v11, 0xa4, s25
	s_waitcnt vmcnt(0)
	v_mov_b32_e32 v12, s25
	s_add_i32 s25, s25, 4
	s_clause 0x1
	buffer_load_dword v10, v10, s[0:3], 0 offen
	buffer_load_dword v11, v11, s[0:3], 0 offen
	s_cmp_lg_u32 s25, 32
	s_waitcnt vmcnt(0)
	v_add_nc_u32_e32 v10, v11, v10
	buffer_store_dword v10, v12, s[0:3], 0 offen
	s_cbranch_scc1 .LBB2192_246
	s_branch .LBB2192_188
.LBB2192_247:
	s_cbranch_execnz .LBB2192_286
	s_branch .LBB2192_419
.LBB2192_248:
	s_clause 0x8
	buffer_load_dword v9, off, s[0:3], 0 offset:164
	buffer_load_dword v10, off, s[0:3], 0 offset:168
	;; [unrolled: 1-line block ×9, first 2 shown]
	s_waitcnt vmcnt(8)
	buffer_store_dword v9, off, s[0:3], 0
	s_waitcnt vmcnt(7)
	buffer_store_dword v10, off, s[0:3], 0 offset:4
	s_waitcnt vmcnt(6)
	buffer_store_dword v11, off, s[0:3], 0 offset:8
	;; [unrolled: 2-line block ×8, first 2 shown]
	s_and_saveexec_b32 s4, s8
	s_cbranch_execz .LBB2192_255
; %bb.249:
	v_mov_b32_e32 v19, 0
	v_cmp_ne_u32_sdwa s8, v18, v19 src0_sel:BYTE_0 src1_sel:DWORD
	s_and_b32 vcc_lo, exec_lo, s8
	s_mov_b32 s8, 0
	s_cbranch_vccnz .LBB2192_254
.LBB2192_250:                           ; =>This Inner Loop Header: Depth=1
	v_add_nc_u32_e64 v1, 0x80, s8
	s_add_i32 s8, s8, 4
	s_cmp_lg_u32 s8, 32
	buffer_store_dword v19, v1, s[0:3], 0 offen
	s_cbranch_scc1 .LBB2192_250
; %bb.251:
	s_mov_b32 s8, 0
	.p2align	6
.LBB2192_252:                           ; =>This Inner Loop Header: Depth=1
	v_mov_b32_e32 v1, s8
	v_add_nc_u32_e64 v2, 0xec, s8
	v_add_nc_u32_e64 v3, 0x80, s8
	s_add_i32 s8, s8, 4
	s_clause 0x1
	buffer_load_dword v1, v1, s[0:3], 0 offen
	buffer_load_dword v2, v2, s[0:3], 0 offen
	s_cmp_lg_u32 s8, 32
	s_waitcnt vmcnt(0)
	v_add_nc_u32_e32 v1, v2, v1
	buffer_store_dword v1, v3, s[0:3], 0 offen
	s_cbranch_scc1 .LBB2192_252
; %bb.253:
	s_clause 0x7
	buffer_load_dword v1, off, s[0:3], 0 offset:128
	buffer_load_dword v2, off, s[0:3], 0 offset:132
	;; [unrolled: 1-line block ×8, first 2 shown]
.LBB2192_254:
	v_or_b32_e32 v18, v18, v17
	s_add_i32 s8, s33, 32
	v_mov_b32_e32 v19, 0
	s_mul_i32 s12, s8, 36
	v_mov_b32_e32 v20, 2
	v_mov_b32_e32 v21, s8
	s_mul_hi_u32 s13, s8, 36
	v_and_b32_e32 v18, 1, v18
	s_add_u32 s12, s14, s12
	s_addc_u32 s13, s15, s13
	s_waitcnt vmcnt(4)
	global_store_dwordx4 v19, v[1:4], s[12:13]
	s_waitcnt vmcnt(0)
	global_store_dwordx4 v19, v[5:8], s[12:13] offset:16
	global_store_byte v19, v18, s[12:13] offset:32
	s_waitcnt_vscnt null, 0x0
	buffer_gl1_inv
	buffer_gl0_inv
	global_store_byte v21, v20, s[16:17]
.LBB2192_255:
	s_or_b32 exec_lo, exec_lo, s4
	s_and_b32 exec_lo, exec_lo, s6
	s_cbranch_execz .LBB2192_257
; %bb.256:
	v_mov_b32_e32 v1, 0
	ds_write2_b32 v1, v9, v10 offset0:63 offset1:64
	ds_write2_b32 v1, v11, v12 offset0:65 offset1:66
	;; [unrolled: 1-line block ×4, first 2 shown]
	ds_write_b8 v1, v17 offset:284
.LBB2192_257:
	s_or_b32 exec_lo, exec_lo, s5
	s_waitcnt lgkmcnt(0)
	s_waitcnt_vscnt null, 0x0
	s_barrier
	buffer_gl0_inv
	s_clause 0x8
	buffer_load_dword v1, off, s[0:3], 0 offset:332
	buffer_load_dword v11, off, s[0:3], 0 offset:328
	;; [unrolled: 1-line block ×9, first 2 shown]
	v_mov_b32_e32 v2, 0
	ds_read2_b32 v[3:4], v2 offset0:63 offset1:64
	ds_read2_b32 v[5:6], v2 offset0:65 offset1:66
	;; [unrolled: 1-line block ×4, first 2 shown]
	ds_read_b32 v2, v2 offset:284
	s_waitcnt lgkmcnt(4)
	buffer_store_dword v3, off, s[0:3], 0
	buffer_store_dword v4, off, s[0:3], 0 offset:4
	s_waitcnt lgkmcnt(3)
	buffer_store_dword v5, off, s[0:3], 0 offset:8
	buffer_store_dword v6, off, s[0:3], 0 offset:12
	s_waitcnt lgkmcnt(2)
	buffer_store_dword v7, off, s[0:3], 0 offset:16
	;; [unrolled: 3-line block ×4, first 2 shown]
	buffer_store_dword v6, off, s[0:3], 0 offset:176
	buffer_store_dword v5, off, s[0:3], 0 offset:172
	;; [unrolled: 1-line block ×8, first 2 shown]
	s_waitcnt vmcnt(8)
	buffer_store_dword v1, off, s[0:3], 0 offset:140
	s_waitcnt vmcnt(7)
	buffer_store_dword v11, off, s[0:3], 0 offset:136
	;; [unrolled: 2-line block ×9, first 2 shown]
	buffer_store_dword v2, off, s[0:3], 0 offset:196
                                        ; implicit-def: $vgpr1
	s_and_saveexec_b32 s4, s7
	s_xor_b32 s4, exec_lo, s4
	s_cbranch_execz .LBB2192_267
; %bb.258:
	buffer_load_ubyte v1, off, s[0:3], 0 offset:304
	s_mov_b32 s5, exec_lo
                                        ; implicit-def: $vgpr6
                                        ; implicit-def: $vgpr3
                                        ; implicit-def: $vgpr4
                                        ; implicit-def: $vgpr5
                                        ; implicit-def: $vgpr7
                                        ; implicit-def: $vgpr8
                                        ; implicit-def: $vgpr9
                                        ; implicit-def: $vgpr10
	s_waitcnt vmcnt(0)
	v_cmpx_ne_u16_e32 0, v1
	s_xor_b32 s5, exec_lo, s5
	s_cbranch_execz .LBB2192_260
; %bb.259:
	s_clause 0x7
	buffer_load_dword v3, off, s[0:3], 0 offset:272
	buffer_load_dword v4, off, s[0:3], 0 offset:276
	;; [unrolled: 1-line block ×8, first 2 shown]
.LBB2192_260:
	s_andn2_saveexec_b32 s5, s5
	s_cbranch_execz .LBB2192_266
; %bb.261:
	s_waitcnt vmcnt(7)
	v_mov_b32_e32 v3, 0
	s_mov_b32 s8, 0
.LBB2192_262:                           ; =>This Inner Loop Header: Depth=1
	s_waitcnt vmcnt(6)
	v_add_nc_u32_e64 v4, 0xc8, s8
	s_add_i32 s8, s8, 4
	s_cmp_lg_u32 s8, 32
	buffer_store_dword v3, v4, s[0:3], 0 offen
	s_cbranch_scc1 .LBB2192_262
; %bb.263:
	s_mov_b32 s8, 0
	.p2align	6
.LBB2192_264:                           ; =>This Inner Loop Header: Depth=1
	v_mov_b32_e32 v3, s8
	v_add_nc_u32_e64 v4, 0x110, s8
	s_waitcnt vmcnt(5)
	v_add_nc_u32_e64 v5, 0xc8, s8
	s_add_i32 s8, s8, 4
	s_clause 0x1
	buffer_load_dword v3, v3, s[0:3], 0 offen
	buffer_load_dword v4, v4, s[0:3], 0 offen
	s_cmp_lg_u32 s8, 32
	s_waitcnt vmcnt(0)
	v_add_nc_u32_e32 v3, v4, v3
	buffer_store_dword v3, v5, s[0:3], 0 offen
	s_cbranch_scc1 .LBB2192_264
; %bb.265:
	s_clause 0x7
	buffer_load_dword v3, off, s[0:3], 0 offset:200
	buffer_load_dword v4, off, s[0:3], 0 offset:204
	;; [unrolled: 1-line block ×8, first 2 shown]
.LBB2192_266:
	s_or_b32 exec_lo, exec_lo, s5
	v_or_b32_e32 v1, v1, v2
	s_waitcnt vmcnt(7)
	buffer_store_dword v3, off, s[0:3], 0 offset:164
	s_waitcnt vmcnt(6)
	buffer_store_dword v4, off, s[0:3], 0 offset:168
	;; [unrolled: 2-line block ×8, first 2 shown]
	v_and_b32_e32 v1, 1, v1
.LBB2192_267:
	s_andn2_saveexec_b32 s4, s4
	s_cbranch_execz .LBB2192_269
; %bb.268:
	buffer_load_ubyte v1, off, s[0:3], 0 offset:196
.LBB2192_269:
	s_or_b32 exec_lo, exec_lo, s4
	s_clause 0x8
	buffer_load_dword v3, off, s[0:3], 0 offset:176
	buffer_load_dword v4, off, s[0:3], 0 offset:172
	buffer_load_dword v5, off, s[0:3], 0 offset:168
	buffer_load_dword v6, off, s[0:3], 0 offset:164
	buffer_load_dword v7, off, s[0:3], 0 offset:192
	buffer_load_ubyte v2, off, s[0:3], 0 offset:160
	buffer_load_dword v8, off, s[0:3], 0 offset:188
	buffer_load_dword v9, off, s[0:3], 0 offset:184
	buffer_load_dword v10, off, s[0:3], 0 offset:180
	s_mov_b32 s4, exec_lo
                                        ; implicit-def: $vgpr11
	s_waitcnt vmcnt(8)
	buffer_store_dword v3, off, s[0:3], 0 offset:332
	s_waitcnt vmcnt(7)
	buffer_store_dword v4, off, s[0:3], 0 offset:328
	;; [unrolled: 2-line block ×8, first 2 shown]
	buffer_store_byte v1, off, s[0:3], 0 offset:352
                                        ; implicit-def: $vgpr4
                                        ; implicit-def: $vgpr7
                                        ; implicit-def: $vgpr8
                                        ; implicit-def: $vgpr9
                                        ; implicit-def: $vgpr10
                                        ; implicit-def: $vgpr5
                                        ; implicit-def: $vgpr6
	v_cmpx_ne_u16_e32 0, v2
	s_xor_b32 s4, exec_lo, s4
	s_cbranch_execz .LBB2192_271
; %bb.270:
	s_clause 0x7
	buffer_load_dword v7, off, s[0:3], 0 offset:128
	buffer_load_dword v8, off, s[0:3], 0 offset:132
	;; [unrolled: 1-line block ×8, first 2 shown]
.LBB2192_271:
	s_andn2_saveexec_b32 s4, s4
	s_cbranch_execz .LBB2192_277
; %bb.272:
	v_mov_b32_e32 v3, 0
	s_mov_b32 s5, 0
.LBB2192_273:                           ; =>This Inner Loop Header: Depth=1
	s_waitcnt vmcnt(0)
	v_add_nc_u32_e64 v4, 0xc8, s5
	s_add_i32 s5, s5, 4
	s_cmp_lg_u32 s5, 32
	buffer_store_dword v3, v4, s[0:3], 0 offen
	s_cbranch_scc1 .LBB2192_273
; %bb.274:
	s_mov_b32 s5, 0
	.p2align	6
.LBB2192_275:                           ; =>This Inner Loop Header: Depth=1
	v_add_nc_u32_e64 v3, 0xa4, s5
	v_add_nc_u32_e64 v4, 0x80, s5
	;; [unrolled: 1-line block ×3, first 2 shown]
	s_add_i32 s5, s5, 4
	s_clause 0x1
	buffer_load_dword v3, v3, s[0:3], 0 offen
	buffer_load_dword v4, v4, s[0:3], 0 offen
	s_cmp_lg_u32 s5, 32
	s_waitcnt vmcnt(0)
	v_add_nc_u32_e32 v3, v4, v3
	buffer_store_dword v3, v5, s[0:3], 0 offen
	s_cbranch_scc1 .LBB2192_275
; %bb.276:
	s_clause 0x7
	buffer_load_dword v7, off, s[0:3], 0 offset:200
	buffer_load_dword v8, off, s[0:3], 0 offset:204
	;; [unrolled: 1-line block ×8, first 2 shown]
.LBB2192_277:
	s_or_b32 exec_lo, exec_lo, s4
	v_mov_b32_e32 v12, s19
	v_or_b32_e32 v1, v2, v1
                                        ; implicit-def: $vgpr2
	s_clause 0x8
	buffer_load_dword v13, v12, s[0:3], 0 offen offset:12
	buffer_load_dword v14, v12, s[0:3], 0 offen offset:8
	buffer_load_dword v15, v12, s[0:3], 0 offen offset:4
	buffer_load_dword v16, v12, s[0:3], 0 offen
	buffer_load_dword v17, v12, s[0:3], 0 offen offset:28
	buffer_load_dword v18, v12, s[0:3], 0 offen offset:24
	;; [unrolled: 1-line block ×4, first 2 shown]
	buffer_load_ubyte v3, off, s[0:3], 0 offset:388
	v_and_b32_e32 v1, 1, v1
	s_waitcnt vmcnt(16)
	buffer_store_dword v7, off, s[0:3], 0 offset:164
	s_waitcnt vmcnt(15)
	buffer_store_dword v8, off, s[0:3], 0 offset:168
	;; [unrolled: 2-line block ×8, first 2 shown]
	buffer_store_dword v7, v12, s[0:3], 0 offen
	buffer_store_dword v8, v12, s[0:3], 0 offen offset:4
	buffer_store_dword v9, v12, s[0:3], 0 offen offset:8
	;; [unrolled: 1-line block ×4, first 2 shown]
                                        ; implicit-def: $vgpr8
                                        ; implicit-def: $vgpr7
                                        ; implicit-def: $vgpr9
	s_waitcnt vmcnt(8)
	buffer_store_dword v13, off, s[0:3], 0 offset:140
	s_waitcnt vmcnt(7)
	buffer_store_dword v14, off, s[0:3], 0 offset:136
	;; [unrolled: 2-line block ×8, first 2 shown]
	s_waitcnt vmcnt(0)
	v_cmp_ne_u16_e64 s4, 0, v3
	v_cmp_eq_u32_e32 vcc_lo, 1, v1
	buffer_store_dword v5, v12, s[0:3], 0 offen offset:20
	buffer_store_dword v6, v12, s[0:3], 0 offen offset:24
	;; [unrolled: 1-line block ×3, first 2 shown]
	buffer_store_byte v1, off, s[0:3], 0 offset:388
                                        ; implicit-def: $vgpr6
                                        ; implicit-def: $vgpr1
                                        ; implicit-def: $vgpr5
                                        ; implicit-def: $vgpr4
	s_and_saveexec_b32 s5, s4
	s_xor_b32 s4, exec_lo, s5
	s_cbranch_execz .LBB2192_279
; %bb.278:
	s_clause 0x7
	buffer_load_dword v1, off, s[0:3], 0 offset:128
	buffer_load_dword v2, off, s[0:3], 0 offset:132
	;; [unrolled: 1-line block ×8, first 2 shown]
.LBB2192_279:
	s_andn2_saveexec_b32 s4, s4
	s_cbranch_execz .LBB2192_285
; %bb.280:
	s_waitcnt vmcnt(7)
	v_mov_b32_e32 v1, 0
	s_mov_b32 s5, 0
.LBB2192_281:                           ; =>This Inner Loop Header: Depth=1
	s_waitcnt vmcnt(6)
	v_add_nc_u32_e64 v2, 0xc8, s5
	s_add_i32 s5, s5, 4
	s_cmp_lg_u32 s5, 32
	buffer_store_dword v1, v2, s[0:3], 0 offen
	s_cbranch_scc1 .LBB2192_281
; %bb.282:
	s_mov_b32 s5, 0
	.p2align	6
.LBB2192_283:                           ; =>This Inner Loop Header: Depth=1
	v_add_nc_u32_e64 v1, 0xa4, s5
	v_add_nc_u32_e64 v2, 0x80, s5
	s_waitcnt vmcnt(3)
	v_add_nc_u32_e64 v4, 0xc8, s5
	s_add_i32 s5, s5, 4
	s_clause 0x1
	buffer_load_dword v1, v1, s[0:3], 0 offen
	buffer_load_dword v2, v2, s[0:3], 0 offen
	s_cmp_lg_u32 s5, 32
	s_waitcnt vmcnt(0)
	v_add_nc_u32_e32 v1, v2, v1
	buffer_store_dword v1, v4, s[0:3], 0 offen
	s_cbranch_scc1 .LBB2192_283
; %bb.284:
	s_clause 0x7
	buffer_load_dword v1, off, s[0:3], 0 offset:200
	buffer_load_dword v2, off, s[0:3], 0 offset:204
	;; [unrolled: 1-line block ×8, first 2 shown]
.LBB2192_285:
	s_or_b32 exec_lo, exec_lo, s4
	v_and_b32_e32 v3, 1, v3
	v_mov_b32_e32 v10, s30
	s_waitcnt vmcnt(4)
	buffer_store_dword v8, v10, s[0:3], 0 offen offset:12
	buffer_store_dword v5, v10, s[0:3], 0 offen offset:8
	;; [unrolled: 1-line block ×3, first 2 shown]
	buffer_store_dword v1, v10, s[0:3], 0 offen
	v_cmp_eq_u32_e64 s4, 1, v3
	s_waitcnt vmcnt(0)
	buffer_store_dword v6, v10, s[0:3], 0 offen offset:28
	buffer_store_dword v9, v10, s[0:3], 0 offen offset:24
	;; [unrolled: 1-line block ×4, first 2 shown]
	s_or_b32 s4, s4, vcc_lo
	v_cndmask_b32_e64 v1, 0, 1, s4
	buffer_store_byte v1, off, s[0:3], 0 offset:424
	s_branch .LBB2192_419
.LBB2192_286:
	s_cmp_eq_u64 s[28:29], 0
	v_mov_b32_e32 v4, s43
	s_cselect_b32 s4, -1, 0
	s_cmp_eq_u64 s[10:11], 0
	v_mov_b32_e32 v3, s42
	s_cselect_b32 s5, -1, 0
	v_mov_b32_e32 v2, s41
	v_mov_b32_e32 v1, s40
	;; [unrolled: 1-line block ×6, first 2 shown]
	s_or_b32 s4, s4, s5
	s_and_b32 vcc_lo, exec_lo, s4
	s_cbranch_vccnz .LBB2192_288
; %bb.287:
	v_mov_b32_e32 v1, 0
	s_clause 0x1
	global_load_dwordx4 v[5:8], v1, s[10:11]
	global_load_dwordx4 v[1:4], v1, s[10:11] offset:16
.LBB2192_288:
	v_mov_b32_e32 v9, 0
	s_mov_b32 s4, 0
	buffer_store_dword v9, off, s[0:3], 0 offset:300
	buffer_store_dword v9, off, s[0:3], 0 offset:296
	;; [unrolled: 1-line block ×9, first 2 shown]
.LBB2192_289:                           ; =>This Inner Loop Header: Depth=1
	v_add_nc_u32_e64 v10, 0x110, s4
	s_add_i32 s4, s4, 4
	s_cmp_lg_u32 s4, 32
	buffer_store_dword v9, v10, s[0:3], 0 offen
	s_cbranch_scc1 .LBB2192_289
; %bb.290:
	s_clause 0x9
	buffer_load_dword v9, off, s[0:3], 0 offset:332
	buffer_load_dword v10, off, s[0:3], 0 offset:328
	buffer_load_dword v12, off, s[0:3], 0 offset:324
	buffer_load_dword v13, off, s[0:3], 0 offset:320
	buffer_load_dword v14, off, s[0:3], 0 offset:348
	buffer_load_ubyte v11, off, s[0:3], 0 offset:388
	buffer_load_dword v15, off, s[0:3], 0 offset:344
	buffer_load_dword v16, off, s[0:3], 0 offset:340
	;; [unrolled: 1-line block ×4, first 2 shown]
	s_mov_b32 s4, exec_lo
	v_mov_b32_e32 v19, 0
	s_waitcnt vmcnt(11)
	buffer_store_dword v5, off, s[0:3], 0 offset:236
	buffer_store_dword v6, off, s[0:3], 0 offset:240
	;; [unrolled: 1-line block ×4, first 2 shown]
	s_waitcnt vmcnt(10)
	buffer_store_dword v1, off, s[0:3], 0 offset:252
	buffer_store_dword v2, off, s[0:3], 0 offset:256
	;; [unrolled: 1-line block ×4, first 2 shown]
	buffer_store_byte v19, off, s[0:3], 0 offset:304
	buffer_store_byte v19, off, s[0:3], 0 offset:268
	s_waitcnt vmcnt(9)
	buffer_store_dword v9, off, s[0:3], 0 offset:212
	s_waitcnt vmcnt(8)
	buffer_store_dword v10, off, s[0:3], 0 offset:208
	s_waitcnt vmcnt(7)
	buffer_store_dword v12, off, s[0:3], 0 offset:204
	s_waitcnt vmcnt(6)
	buffer_store_dword v13, off, s[0:3], 0 offset:200
	s_waitcnt vmcnt(5)
	buffer_store_dword v14, off, s[0:3], 0 offset:228
	s_waitcnt vmcnt(3)
	buffer_store_dword v15, off, s[0:3], 0 offset:224
	s_waitcnt vmcnt(2)
	buffer_store_dword v16, off, s[0:3], 0 offset:220
	s_waitcnt vmcnt(1)
	buffer_store_dword v18, off, s[0:3], 0 offset:216
	s_waitcnt vmcnt(0)
	buffer_store_dword v17, off, s[0:3], 0 offset:232
                                        ; implicit-def: $vgpr13
                                        ; implicit-def: $vgpr9
                                        ; implicit-def: $vgpr10
                                        ; implicit-def: $vgpr12
                                        ; implicit-def: $vgpr14
                                        ; implicit-def: $vgpr15
                                        ; implicit-def: $vgpr16
                                        ; implicit-def: $vgpr18
	v_cmpx_ne_u16_e32 0, v11
	s_xor_b32 s4, exec_lo, s4
	s_cbranch_execz .LBB2192_292
; %bb.291:
	s_clause 0x7
	buffer_load_dword v9, off, s[0:3], 0 offset:356
	buffer_load_dword v10, off, s[0:3], 0 offset:360
	buffer_load_dword v12, off, s[0:3], 0 offset:364
	buffer_load_dword v14, off, s[0:3], 0 offset:368
	buffer_load_dword v15, off, s[0:3], 0 offset:372
	buffer_load_dword v16, off, s[0:3], 0 offset:376
	buffer_load_dword v18, off, s[0:3], 0 offset:380
	buffer_load_dword v13, off, s[0:3], 0 offset:384
.LBB2192_292:
	s_andn2_saveexec_b32 s4, s4
	s_cbranch_execz .LBB2192_298
; %bb.293:
	s_waitcnt vmcnt(7)
	v_mov_b32_e32 v9, 0
	s_mov_b32 s5, 0
.LBB2192_294:                           ; =>This Inner Loop Header: Depth=1
	s_waitcnt vmcnt(6)
	v_mov_b32_e32 v10, s5
	s_add_i32 s5, s5, 4
	s_cmp_lg_u32 s5, 32
	buffer_store_dword v9, v10, s[0:3], 0 offen
	s_cbranch_scc1 .LBB2192_294
; %bb.295:
	s_mov_b32 s5, 0
	.p2align	6
.LBB2192_296:                           ; =>This Inner Loop Header: Depth=1
	v_add_nc_u32_e64 v9, 0xc8, s5
	v_add_nc_u32_e64 v10, 0x140, s5
	s_waitcnt vmcnt(5)
	v_mov_b32_e32 v12, s5
	s_add_i32 s5, s5, 4
	s_clause 0x1
	buffer_load_dword v9, v9, s[0:3], 0 offen
	buffer_load_dword v10, v10, s[0:3], 0 offen offset:36
	s_cmp_lg_u32 s5, 32
	s_waitcnt vmcnt(0)
	v_add_nc_u32_e32 v9, v10, v9
	buffer_store_dword v9, v12, s[0:3], 0 offen
	s_cbranch_scc1 .LBB2192_296
; %bb.297:
	s_clause 0x7
	buffer_load_dword v9, off, s[0:3], 0
	buffer_load_dword v10, off, s[0:3], 0 offset:4
	buffer_load_dword v12, off, s[0:3], 0 offset:8
	;; [unrolled: 1-line block ×7, first 2 shown]
.LBB2192_298:
	s_or_b32 exec_lo, exec_lo, s4
	buffer_load_ubyte v19, off, s[0:3], 0 offset:424
	s_mov_b32 s4, exec_lo
	s_waitcnt vmcnt(8)
	buffer_store_dword v9, off, s[0:3], 0 offset:200
	s_waitcnt vmcnt(7)
	buffer_store_dword v10, off, s[0:3], 0 offset:204
	;; [unrolled: 2-line block ×8, first 2 shown]
                                        ; implicit-def: $vgpr18
                                        ; implicit-def: $vgpr9
                                        ; implicit-def: $vgpr10
                                        ; implicit-def: $vgpr12
                                        ; implicit-def: $vgpr13
                                        ; implicit-def: $vgpr14
                                        ; implicit-def: $vgpr15
                                        ; implicit-def: $vgpr16
	s_waitcnt vmcnt(0)
	v_cmpx_ne_u16_e32 0, v19
	s_xor_b32 s4, exec_lo, s4
	s_cbranch_execz .LBB2192_300
; %bb.299:
	s_clause 0x7
	buffer_load_dword v9, off, s[0:3], 0 offset:392
	buffer_load_dword v10, off, s[0:3], 0 offset:396
	;; [unrolled: 1-line block ×8, first 2 shown]
.LBB2192_300:
	s_andn2_saveexec_b32 s4, s4
	s_cbranch_execz .LBB2192_306
; %bb.301:
	s_waitcnt vmcnt(7)
	v_mov_b32_e32 v9, 0
	s_mov_b32 s5, 0
.LBB2192_302:                           ; =>This Inner Loop Header: Depth=1
	s_waitcnt vmcnt(6)
	v_mov_b32_e32 v10, s5
	s_add_i32 s5, s5, 4
	s_cmp_lg_u32 s5, 32
	buffer_store_dword v9, v10, s[0:3], 0 offen
	s_cbranch_scc1 .LBB2192_302
; %bb.303:
	s_mov_b32 s5, 0
	.p2align	6
.LBB2192_304:                           ; =>This Inner Loop Header: Depth=1
	v_add_nc_u32_e64 v9, 0xc8, s5
	v_add_nc_u32_e64 v10, 0x140, s5
	s_waitcnt vmcnt(5)
	v_mov_b32_e32 v12, s5
	s_add_i32 s5, s5, 4
	s_clause 0x1
	buffer_load_dword v9, v9, s[0:3], 0 offen
	buffer_load_dword v10, v10, s[0:3], 0 offen offset:72
	s_cmp_lg_u32 s5, 32
	s_waitcnt vmcnt(0)
	v_add_nc_u32_e32 v9, v10, v9
	buffer_store_dword v9, v12, s[0:3], 0 offen
	s_cbranch_scc1 .LBB2192_304
; %bb.305:
	s_clause 0x7
	buffer_load_dword v9, off, s[0:3], 0
	buffer_load_dword v10, off, s[0:3], 0 offset:4
	buffer_load_dword v12, off, s[0:3], 0 offset:8
	;; [unrolled: 1-line block ×7, first 2 shown]
.LBB2192_306:
	s_or_b32 exec_lo, exec_lo, s4
	v_and_b32_e32 v17, 1, v17
	v_or_b32_e32 v11, v19, v11
	v_mov_b32_e32 v21, 0
	s_waitcnt vmcnt(7)
	v_mov_b32_dpp v20, v9 row_shr:1 row_mask:0xf bank_mask:0xf
	s_waitcnt vmcnt(6)
	v_mov_b32_dpp v22, v10 row_shr:1 row_mask:0xf bank_mask:0xf
	v_cmp_eq_u32_e32 vcc_lo, 1, v17
	v_cmp_ne_u16_e64 s4, 0, v11
	v_mbcnt_lo_u32_b32 v17, -1, 0
	s_waitcnt vmcnt(5)
	v_mov_b32_dpp v23, v12 row_shr:1 row_mask:0xf bank_mask:0xf
	s_waitcnt vmcnt(4)
	v_mov_b32_dpp v24, v13 row_shr:1 row_mask:0xf bank_mask:0xf
	;; [unrolled: 2-line block ×3, first 2 shown]
	s_or_b32 s4, s4, vcc_lo
	v_and_b32_e32 v19, 15, v17
	v_cndmask_b32_e64 v11, 0, 1, s4
	s_waitcnt vmcnt(2)
	v_mov_b32_dpp v26, v15 row_shr:1 row_mask:0xf bank_mask:0xf
	s_waitcnt vmcnt(1)
	v_mov_b32_dpp v27, v16 row_shr:1 row_mask:0xf bank_mask:0xf
	;; [unrolled: 2-line block ×3, first 2 shown]
	s_mov_b32 s4, exec_lo
	buffer_store_byte v11, off, s[0:3], 0 offset:232
	buffer_load_dword v11, off, s[0:3], 0 offset:232
	buffer_store_dword v5, off, s[0:3], 0 offset:164
	buffer_store_dword v6, off, s[0:3], 0 offset:168
	;; [unrolled: 1-line block ×16, first 2 shown]
	buffer_store_byte v21, off, s[0:3], 0 offset:196
	buffer_store_dword v20, off, s[0:3], 0
	buffer_store_dword v22, off, s[0:3], 0 offset:4
	buffer_store_dword v23, off, s[0:3], 0 offset:8
	;; [unrolled: 1-line block ×3, first 2 shown]
	s_waitcnt vmcnt(0)
	v_mov_b32_dpp v20, v11 row_shr:1 row_mask:0xf bank_mask:0xf
	buffer_store_dword v25, off, s[0:3], 0 offset:16
	buffer_store_dword v26, off, s[0:3], 0 offset:20
	;; [unrolled: 1-line block ×5, first 2 shown]
	v_cmpx_ne_u32_e32 0, v19
	s_xor_b32 s4, exec_lo, s4
	s_cbranch_execz .LBB2192_314
; %bb.307:
	v_cmp_eq_u16_sdwa s8, v11, v21 src0_sel:BYTE_0 src1_sel:DWORD
	s_and_saveexec_b32 s5, s8
	s_cbranch_execz .LBB2192_313
; %bb.308:
	v_mov_b32_e32 v9, 0
	s_mov_b32 s8, 0
.LBB2192_309:                           ; =>This Inner Loop Header: Depth=1
	v_add_nc_u32_e64 v10, 0x80, s8
	s_add_i32 s8, s8, 4
	s_cmp_lg_u32 s8, 32
	buffer_store_dword v9, v10, s[0:3], 0 offen
	s_cbranch_scc1 .LBB2192_309
; %bb.310:
	s_mov_b32 s8, 0
	.p2align	6
.LBB2192_311:                           ; =>This Inner Loop Header: Depth=1
	v_mov_b32_e32 v9, s8
	v_add_nc_u32_e64 v10, 0xc8, s8
	v_add_nc_u32_e64 v12, 0x80, s8
	s_add_i32 s8, s8, 4
	s_clause 0x1
	buffer_load_dword v9, v9, s[0:3], 0 offen
	buffer_load_dword v10, v10, s[0:3], 0 offen
	s_cmp_lg_u32 s8, 32
	s_waitcnt vmcnt(0)
	v_add_nc_u32_e32 v9, v10, v9
	buffer_store_dword v9, v12, s[0:3], 0 offen
	s_cbranch_scc1 .LBB2192_311
; %bb.312:
	s_clause 0x7
	buffer_load_dword v9, off, s[0:3], 0 offset:128
	buffer_load_dword v10, off, s[0:3], 0 offset:132
	;; [unrolled: 1-line block ×8, first 2 shown]
.LBB2192_313:
	s_or_b32 exec_lo, exec_lo, s5
	v_or_b32_e32 v11, v20, v11
	v_and_b32_e32 v11, 1, v11
	buffer_store_byte v11, off, s[0:3], 0 offset:232
	buffer_load_dword v11, off, s[0:3], 0 offset:232
	s_waitcnt vmcnt(8)
	buffer_store_dword v9, off, s[0:3], 0 offset:200
	s_waitcnt vmcnt(7)
	buffer_store_dword v10, off, s[0:3], 0 offset:204
	;; [unrolled: 2-line block ×8, first 2 shown]
.LBB2192_314:
	s_or_b32 exec_lo, exec_lo, s4
	v_mov_b32_dpp v21, v9 row_shr:2 row_mask:0xf bank_mask:0xf
	s_waitcnt vmcnt(0)
	v_mov_b32_dpp v20, v11 row_shr:2 row_mask:0xf bank_mask:0xf
	v_mov_b32_dpp v22, v10 row_shr:2 row_mask:0xf bank_mask:0xf
	;; [unrolled: 1-line block ×4, first 2 shown]
	s_mov_b32 s5, exec_lo
	v_mov_b32_dpp v25, v14 row_shr:2 row_mask:0xf bank_mask:0xf
	v_mov_b32_dpp v26, v15 row_shr:2 row_mask:0xf bank_mask:0xf
	;; [unrolled: 1-line block ×4, first 2 shown]
	buffer_store_dword v21, off, s[0:3], 0
	buffer_store_dword v22, off, s[0:3], 0 offset:4
	buffer_store_dword v23, off, s[0:3], 0 offset:8
	;; [unrolled: 1-line block ×8, first 2 shown]
	v_cmpx_lt_u32_e32 1, v19
	s_cbranch_execz .LBB2192_321
; %bb.315:
	v_mov_b32_e32 v21, 0
	s_mov_b32 s8, 0
	v_cmp_eq_u16_sdwa s10, v11, v21 src0_sel:BYTE_0 src1_sel:DWORD
	s_and_saveexec_b32 s4, s10
	s_cbranch_execz .LBB2192_320
.LBB2192_316:                           ; =>This Inner Loop Header: Depth=1
	v_add_nc_u32_e64 v9, 0x80, s8
	s_add_i32 s8, s8, 4
	s_cmp_lg_u32 s8, 32
	buffer_store_dword v21, v9, s[0:3], 0 offen
	s_cbranch_scc1 .LBB2192_316
; %bb.317:
	s_mov_b32 s8, 0
	.p2align	6
.LBB2192_318:                           ; =>This Inner Loop Header: Depth=1
	v_mov_b32_e32 v9, s8
	v_add_nc_u32_e64 v10, 0xc8, s8
	v_add_nc_u32_e64 v12, 0x80, s8
	s_add_i32 s8, s8, 4
	s_clause 0x1
	buffer_load_dword v9, v9, s[0:3], 0 offen
	buffer_load_dword v10, v10, s[0:3], 0 offen
	s_cmp_lg_u32 s8, 32
	s_waitcnt vmcnt(0)
	v_add_nc_u32_e32 v9, v10, v9
	buffer_store_dword v9, v12, s[0:3], 0 offen
	s_cbranch_scc1 .LBB2192_318
; %bb.319:
	s_clause 0x7
	buffer_load_dword v9, off, s[0:3], 0 offset:128
	buffer_load_dword v10, off, s[0:3], 0 offset:132
	;; [unrolled: 1-line block ×8, first 2 shown]
.LBB2192_320:
	s_or_b32 exec_lo, exec_lo, s4
	v_and_b32_e32 v11, 1, v11
	v_and_b32_e32 v20, 1, v20
	v_cmp_eq_u32_e32 vcc_lo, 1, v11
	v_cmp_eq_u32_e64 s4, 1, v20
	s_or_b32 s4, vcc_lo, s4
	v_cndmask_b32_e64 v11, 0, 1, s4
	buffer_store_byte v11, off, s[0:3], 0 offset:232
	buffer_load_dword v11, off, s[0:3], 0 offset:232
	s_waitcnt vmcnt(8)
	buffer_store_dword v9, off, s[0:3], 0 offset:200
	s_waitcnt vmcnt(7)
	buffer_store_dword v10, off, s[0:3], 0 offset:204
	;; [unrolled: 2-line block ×8, first 2 shown]
.LBB2192_321:
	s_or_b32 exec_lo, exec_lo, s5
	v_mov_b32_dpp v21, v9 row_shr:4 row_mask:0xf bank_mask:0xf
	s_waitcnt vmcnt(0)
	v_mov_b32_dpp v20, v11 row_shr:4 row_mask:0xf bank_mask:0xf
	v_mov_b32_dpp v22, v10 row_shr:4 row_mask:0xf bank_mask:0xf
	;; [unrolled: 1-line block ×4, first 2 shown]
	s_mov_b32 s5, exec_lo
	v_mov_b32_dpp v25, v14 row_shr:4 row_mask:0xf bank_mask:0xf
	v_mov_b32_dpp v26, v15 row_shr:4 row_mask:0xf bank_mask:0xf
	;; [unrolled: 1-line block ×4, first 2 shown]
	buffer_store_dword v21, off, s[0:3], 0
	buffer_store_dword v22, off, s[0:3], 0 offset:4
	buffer_store_dword v23, off, s[0:3], 0 offset:8
	;; [unrolled: 1-line block ×8, first 2 shown]
	v_cmpx_lt_u32_e32 3, v19
	s_cbranch_execz .LBB2192_328
; %bb.322:
	v_mov_b32_e32 v21, 0
	s_mov_b32 s8, 0
	v_cmp_eq_u16_sdwa s10, v11, v21 src0_sel:BYTE_0 src1_sel:DWORD
	s_and_saveexec_b32 s4, s10
	s_cbranch_execz .LBB2192_327
.LBB2192_323:                           ; =>This Inner Loop Header: Depth=1
	v_add_nc_u32_e64 v9, 0x80, s8
	s_add_i32 s8, s8, 4
	s_cmp_lg_u32 s8, 32
	buffer_store_dword v21, v9, s[0:3], 0 offen
	s_cbranch_scc1 .LBB2192_323
; %bb.324:
	s_mov_b32 s8, 0
	.p2align	6
.LBB2192_325:                           ; =>This Inner Loop Header: Depth=1
	v_mov_b32_e32 v9, s8
	v_add_nc_u32_e64 v10, 0xc8, s8
	v_add_nc_u32_e64 v12, 0x80, s8
	s_add_i32 s8, s8, 4
	s_clause 0x1
	buffer_load_dword v9, v9, s[0:3], 0 offen
	buffer_load_dword v10, v10, s[0:3], 0 offen
	s_cmp_lg_u32 s8, 32
	s_waitcnt vmcnt(0)
	v_add_nc_u32_e32 v9, v10, v9
	buffer_store_dword v9, v12, s[0:3], 0 offen
	s_cbranch_scc1 .LBB2192_325
; %bb.326:
	s_clause 0x7
	buffer_load_dword v9, off, s[0:3], 0 offset:128
	buffer_load_dword v10, off, s[0:3], 0 offset:132
	;; [unrolled: 1-line block ×8, first 2 shown]
.LBB2192_327:
	s_or_b32 exec_lo, exec_lo, s4
	v_and_b32_e32 v11, 1, v11
	v_and_b32_e32 v20, 1, v20
	v_cmp_eq_u32_e32 vcc_lo, 1, v11
	v_cmp_eq_u32_e64 s4, 1, v20
	s_or_b32 s4, vcc_lo, s4
	v_cndmask_b32_e64 v11, 0, 1, s4
	buffer_store_byte v11, off, s[0:3], 0 offset:232
	buffer_load_dword v11, off, s[0:3], 0 offset:232
	s_waitcnt vmcnt(8)
	buffer_store_dword v9, off, s[0:3], 0 offset:200
	s_waitcnt vmcnt(7)
	buffer_store_dword v10, off, s[0:3], 0 offset:204
	;; [unrolled: 2-line block ×8, first 2 shown]
.LBB2192_328:
	s_or_b32 exec_lo, exec_lo, s5
	v_mov_b32_dpp v21, v9 row_shr:8 row_mask:0xf bank_mask:0xf
	s_waitcnt vmcnt(0)
	v_mov_b32_dpp v20, v11 row_shr:8 row_mask:0xf bank_mask:0xf
	v_mov_b32_dpp v22, v10 row_shr:8 row_mask:0xf bank_mask:0xf
	;; [unrolled: 1-line block ×4, first 2 shown]
	s_mov_b32 s5, exec_lo
	v_mov_b32_dpp v25, v14 row_shr:8 row_mask:0xf bank_mask:0xf
	v_mov_b32_dpp v26, v15 row_shr:8 row_mask:0xf bank_mask:0xf
	;; [unrolled: 1-line block ×4, first 2 shown]
	buffer_store_dword v21, off, s[0:3], 0
	buffer_store_dword v22, off, s[0:3], 0 offset:4
	buffer_store_dword v23, off, s[0:3], 0 offset:8
	;; [unrolled: 1-line block ×8, first 2 shown]
	v_cmpx_lt_u32_e32 7, v19
	s_cbranch_execz .LBB2192_335
; %bb.329:
	v_mov_b32_e32 v19, 0
	s_mov_b32 s8, 0
	v_cmp_eq_u16_sdwa s10, v11, v19 src0_sel:BYTE_0 src1_sel:DWORD
	s_and_saveexec_b32 s4, s10
	s_cbranch_execz .LBB2192_334
.LBB2192_330:                           ; =>This Inner Loop Header: Depth=1
	v_add_nc_u32_e64 v9, 0x80, s8
	s_add_i32 s8, s8, 4
	s_cmp_lg_u32 s8, 32
	buffer_store_dword v19, v9, s[0:3], 0 offen
	s_cbranch_scc1 .LBB2192_330
; %bb.331:
	s_mov_b32 s8, 0
	.p2align	6
.LBB2192_332:                           ; =>This Inner Loop Header: Depth=1
	v_mov_b32_e32 v9, s8
	v_add_nc_u32_e64 v10, 0xc8, s8
	v_add_nc_u32_e64 v12, 0x80, s8
	s_add_i32 s8, s8, 4
	s_clause 0x1
	buffer_load_dword v9, v9, s[0:3], 0 offen
	buffer_load_dword v10, v10, s[0:3], 0 offen
	s_cmp_lg_u32 s8, 32
	s_waitcnt vmcnt(0)
	v_add_nc_u32_e32 v9, v10, v9
	buffer_store_dword v9, v12, s[0:3], 0 offen
	s_cbranch_scc1 .LBB2192_332
; %bb.333:
	s_clause 0x7
	buffer_load_dword v9, off, s[0:3], 0 offset:128
	buffer_load_dword v10, off, s[0:3], 0 offset:132
	;; [unrolled: 1-line block ×8, first 2 shown]
.LBB2192_334:
	s_or_b32 exec_lo, exec_lo, s4
	v_and_b32_e32 v11, 1, v11
	v_and_b32_e32 v19, 1, v20
	v_cmp_eq_u32_e32 vcc_lo, 1, v11
	v_cmp_eq_u32_e64 s4, 1, v19
	s_or_b32 s4, vcc_lo, s4
	v_cndmask_b32_e64 v11, 0, 1, s4
	buffer_store_byte v11, off, s[0:3], 0 offset:232
	buffer_load_dword v11, off, s[0:3], 0 offset:232
	s_waitcnt vmcnt(8)
	buffer_store_dword v9, off, s[0:3], 0 offset:200
	s_waitcnt vmcnt(7)
	buffer_store_dword v10, off, s[0:3], 0 offset:204
	;; [unrolled: 2-line block ×8, first 2 shown]
.LBB2192_335:
	s_or_b32 exec_lo, exec_lo, s5
	ds_swizzle_b32 v20, v9 offset:swizzle(BROADCAST,32,15)
	s_waitcnt vmcnt(0)
	ds_swizzle_b32 v19, v11 offset:swizzle(BROADCAST,32,15)
	ds_swizzle_b32 v21, v10 offset:swizzle(BROADCAST,32,15)
	;; [unrolled: 1-line block ×8, first 2 shown]
	v_and_b32_e32 v28, 16, v17
	s_mov_b32 s5, exec_lo
	s_waitcnt lgkmcnt(8)
	buffer_store_dword v20, off, s[0:3], 0
	s_waitcnt lgkmcnt(6)
	buffer_store_dword v21, off, s[0:3], 0 offset:4
	s_waitcnt lgkmcnt(5)
	buffer_store_dword v22, off, s[0:3], 0 offset:8
	;; [unrolled: 2-line block ×7, first 2 shown]
	buffer_store_dword v19, off, s[0:3], 0 offset:32
	v_cmpx_ne_u32_e32 0, v28
	s_cbranch_execz .LBB2192_342
; %bb.336:
	v_mov_b32_e32 v20, 0
	s_mov_b32 s8, 0
	v_cmp_eq_u16_sdwa s10, v11, v20 src0_sel:BYTE_0 src1_sel:DWORD
	s_and_saveexec_b32 s4, s10
	s_cbranch_execz .LBB2192_341
.LBB2192_337:                           ; =>This Inner Loop Header: Depth=1
	v_add_nc_u32_e64 v9, 0x80, s8
	s_add_i32 s8, s8, 4
	s_cmp_lg_u32 s8, 32
	buffer_store_dword v20, v9, s[0:3], 0 offen
	s_cbranch_scc1 .LBB2192_337
; %bb.338:
	s_mov_b32 s8, 0
	.p2align	6
.LBB2192_339:                           ; =>This Inner Loop Header: Depth=1
	v_mov_b32_e32 v9, s8
	v_add_nc_u32_e64 v10, 0xc8, s8
	v_add_nc_u32_e64 v12, 0x80, s8
	s_add_i32 s8, s8, 4
	s_clause 0x1
	buffer_load_dword v9, v9, s[0:3], 0 offen
	buffer_load_dword v10, v10, s[0:3], 0 offen
	s_cmp_lg_u32 s8, 32
	s_waitcnt vmcnt(0)
	v_add_nc_u32_e32 v9, v10, v9
	buffer_store_dword v9, v12, s[0:3], 0 offen
	s_cbranch_scc1 .LBB2192_339
; %bb.340:
	s_clause 0x7
	buffer_load_dword v9, off, s[0:3], 0 offset:128
	buffer_load_dword v10, off, s[0:3], 0 offset:132
	buffer_load_dword v12, off, s[0:3], 0 offset:136
	buffer_load_dword v13, off, s[0:3], 0 offset:140
	buffer_load_dword v14, off, s[0:3], 0 offset:144
	buffer_load_dword v15, off, s[0:3], 0 offset:148
	buffer_load_dword v16, off, s[0:3], 0 offset:152
	buffer_load_dword v18, off, s[0:3], 0 offset:156
.LBB2192_341:
	s_or_b32 exec_lo, exec_lo, s4
	v_and_b32_e32 v11, 1, v11
	v_and_b32_e32 v19, 1, v19
	s_waitcnt vmcnt(7)
	buffer_store_dword v9, off, s[0:3], 0 offset:200
	s_waitcnt vmcnt(6)
	buffer_store_dword v10, off, s[0:3], 0 offset:204
	;; [unrolled: 2-line block ×3, first 2 shown]
	v_cmp_eq_u32_e32 vcc_lo, 1, v11
	v_cmp_eq_u32_e64 s4, 1, v19
	s_or_b32 s4, vcc_lo, s4
	v_cndmask_b32_e64 v11, 0, 1, s4
	s_waitcnt vmcnt(4)
	buffer_store_dword v13, off, s[0:3], 0 offset:212
	s_waitcnt vmcnt(3)
	buffer_store_dword v14, off, s[0:3], 0 offset:216
	;; [unrolled: 2-line block ×5, first 2 shown]
	buffer_store_byte v11, off, s[0:3], 0 offset:232
.LBB2192_342:
	s_or_b32 exec_lo, exec_lo, s5
	v_or_b32_e32 v20, 31, v0
	v_lshrrev_b32_e32 v19, 5, v0
	s_mov_b32 s4, exec_lo
	v_cmpx_eq_u32_e64 v0, v20
	s_cbranch_execz .LBB2192_344
; %bb.343:
	v_mul_u32_u24_e32 v20, 36, v19
	ds_write2_b32 v20, v9, v10 offset1:1
	ds_write2_b32 v20, v12, v13 offset0:2 offset1:3
	ds_write2_b32 v20, v14, v15 offset0:4 offset1:5
	;; [unrolled: 1-line block ×3, first 2 shown]
	ds_write_b8 v20, v11 offset:32
.LBB2192_344:
	s_or_b32 exec_lo, exec_lo, s4
	s_mov_b32 s5, exec_lo
	s_waitcnt lgkmcnt(0)
	s_waitcnt_vscnt null, 0x0
	s_barrier
	buffer_gl0_inv
	v_cmpx_gt_u32_e32 8, v0
	s_cbranch_execz .LBB2192_368
; %bb.345:
	v_mul_u32_u24_e32 v18, 36, v0
	v_and_b32_e32 v21, 7, v17
	ds_read_b32 v20, v18 offset:32
	ds_read2_b32 v[9:10], v18 offset0:2 offset1:3
	ds_read2_b32 v[13:14], v18 offset0:4 offset1:5
	ds_read2_b32 v[11:12], v18 offset1:1
	ds_read2_b32 v[15:16], v18 offset0:6 offset1:7
	v_cmp_ne_u32_e32 vcc_lo, 0, v21
	s_waitcnt lgkmcnt(4)
	buffer_store_dword v20, off, s[0:3], 0 offset:160
	s_waitcnt lgkmcnt(3)
	buffer_store_dword v9, off, s[0:3], 0 offset:136
	;; [unrolled: 2-line block ×3, first 2 shown]
	buffer_store_dword v11, off, s[0:3], 0 offset:128
	buffer_store_dword v10, off, s[0:3], 0 offset:140
	s_waitcnt lgkmcnt(0)
	buffer_store_dword v15, off, s[0:3], 0 offset:152
	buffer_store_dword v14, off, s[0:3], 0 offset:148
	;; [unrolled: 1-line block ×4, first 2 shown]
	v_mov_b32_dpp v23, v11 row_shr:1 row_mask:0xf bank_mask:0xf
	v_mov_b32_dpp v22, v20 row_shr:1 row_mask:0xf bank_mask:0xf
	;; [unrolled: 1-line block ×9, first 2 shown]
	buffer_store_dword v23, off, s[0:3], 0
	buffer_store_dword v24, off, s[0:3], 0 offset:4
	buffer_store_dword v25, off, s[0:3], 0 offset:8
	buffer_store_dword v26, off, s[0:3], 0 offset:12
	buffer_store_dword v27, off, s[0:3], 0 offset:16
	buffer_store_dword v28, off, s[0:3], 0 offset:20
	buffer_store_dword v29, off, s[0:3], 0 offset:24
	buffer_store_dword v30, off, s[0:3], 0 offset:28
	buffer_store_dword v22, off, s[0:3], 0 offset:32
	s_and_saveexec_b32 s4, vcc_lo
	s_cbranch_execz .LBB2192_353
; %bb.346:
	v_mov_b32_e32 v23, 0
	v_cmp_eq_u16_sdwa s10, v20, v23 src0_sel:BYTE_0 src1_sel:DWORD
	s_and_saveexec_b32 s8, s10
	s_cbranch_execz .LBB2192_352
; %bb.347:
	s_mov_b32 s10, 0
.LBB2192_348:                           ; =>This Inner Loop Header: Depth=1
	v_add_nc_u32_e64 v9, 0x60, s10
	s_add_i32 s10, s10, 4
	s_cmp_lg_u32 s10, 32
	buffer_store_dword v23, v9, s[0:3], 0 offen
	s_cbranch_scc1 .LBB2192_348
; %bb.349:
	s_mov_b32 s10, 0
	.p2align	6
.LBB2192_350:                           ; =>This Inner Loop Header: Depth=1
	v_mov_b32_e32 v9, s10
	v_add_nc_u32_e64 v10, 0x80, s10
	v_add_nc_u32_e64 v11, 0x60, s10
	s_add_i32 s10, s10, 4
	s_clause 0x1
	buffer_load_dword v9, v9, s[0:3], 0 offen
	buffer_load_dword v10, v10, s[0:3], 0 offen
	s_cmp_lg_u32 s10, 32
	s_waitcnt vmcnt(0)
	v_add_nc_u32_e32 v9, v10, v9
	buffer_store_dword v9, v11, s[0:3], 0 offen
	s_cbranch_scc1 .LBB2192_350
; %bb.351:
	s_clause 0x7
	buffer_load_dword v11, off, s[0:3], 0 offset:96
	buffer_load_dword v12, off, s[0:3], 0 offset:100
	;; [unrolled: 1-line block ×8, first 2 shown]
.LBB2192_352:
	s_or_b32 exec_lo, exec_lo, s8
	v_or_b32_e32 v20, v22, v20
	v_and_b32_e32 v20, 1, v20
	buffer_store_byte v20, off, s[0:3], 0 offset:160
	buffer_load_dword v20, off, s[0:3], 0 offset:160
	s_waitcnt vmcnt(8)
	buffer_store_dword v11, off, s[0:3], 0 offset:128
	s_waitcnt vmcnt(7)
	buffer_store_dword v12, off, s[0:3], 0 offset:132
	;; [unrolled: 2-line block ×8, first 2 shown]
.LBB2192_353:
	s_or_b32 exec_lo, exec_lo, s4
	v_mov_b32_dpp v23, v11 row_shr:2 row_mask:0xf bank_mask:0xf
	s_waitcnt vmcnt(0)
	v_mov_b32_dpp v22, v20 row_shr:2 row_mask:0xf bank_mask:0xf
	v_mov_b32_dpp v24, v12 row_shr:2 row_mask:0xf bank_mask:0xf
	;; [unrolled: 1-line block ×4, first 2 shown]
	s_mov_b32 s8, exec_lo
	v_mov_b32_dpp v27, v13 row_shr:2 row_mask:0xf bank_mask:0xf
	v_mov_b32_dpp v28, v14 row_shr:2 row_mask:0xf bank_mask:0xf
	;; [unrolled: 1-line block ×4, first 2 shown]
	buffer_store_dword v23, off, s[0:3], 0
	buffer_store_dword v24, off, s[0:3], 0 offset:4
	buffer_store_dword v25, off, s[0:3], 0 offset:8
	;; [unrolled: 1-line block ×8, first 2 shown]
	v_cmpx_lt_u32_e32 1, v21
	s_cbranch_execz .LBB2192_360
; %bb.354:
	v_mov_b32_e32 v23, 0
	s_mov_b32 s10, 0
	v_cmp_eq_u16_sdwa s11, v20, v23 src0_sel:BYTE_0 src1_sel:DWORD
	s_and_saveexec_b32 s4, s11
	s_cbranch_execz .LBB2192_359
.LBB2192_355:                           ; =>This Inner Loop Header: Depth=1
	v_add_nc_u32_e64 v9, 0x60, s10
	s_add_i32 s10, s10, 4
	s_cmp_lg_u32 s10, 32
	buffer_store_dword v23, v9, s[0:3], 0 offen
	s_cbranch_scc1 .LBB2192_355
; %bb.356:
	s_mov_b32 s10, 0
	.p2align	6
.LBB2192_357:                           ; =>This Inner Loop Header: Depth=1
	v_mov_b32_e32 v9, s10
	v_add_nc_u32_e64 v10, 0x80, s10
	v_add_nc_u32_e64 v11, 0x60, s10
	s_add_i32 s10, s10, 4
	s_clause 0x1
	buffer_load_dword v9, v9, s[0:3], 0 offen
	buffer_load_dword v10, v10, s[0:3], 0 offen
	s_cmp_lg_u32 s10, 32
	s_waitcnt vmcnt(0)
	v_add_nc_u32_e32 v9, v10, v9
	buffer_store_dword v9, v11, s[0:3], 0 offen
	s_cbranch_scc1 .LBB2192_357
; %bb.358:
	s_clause 0x7
	buffer_load_dword v11, off, s[0:3], 0 offset:96
	buffer_load_dword v12, off, s[0:3], 0 offset:100
	;; [unrolled: 1-line block ×8, first 2 shown]
.LBB2192_359:
	s_or_b32 exec_lo, exec_lo, s4
	v_and_b32_e32 v20, 1, v20
	v_and_b32_e32 v22, 1, v22
	v_cmp_eq_u32_e32 vcc_lo, 1, v20
	v_cmp_eq_u32_e64 s4, 1, v22
	s_or_b32 s4, vcc_lo, s4
	v_cndmask_b32_e64 v20, 0, 1, s4
	buffer_store_byte v20, off, s[0:3], 0 offset:160
	buffer_load_dword v20, off, s[0:3], 0 offset:160
	s_waitcnt vmcnt(8)
	buffer_store_dword v11, off, s[0:3], 0 offset:128
	s_waitcnt vmcnt(7)
	buffer_store_dword v12, off, s[0:3], 0 offset:132
	;; [unrolled: 2-line block ×8, first 2 shown]
.LBB2192_360:
	s_or_b32 exec_lo, exec_lo, s8
	v_mov_b32_dpp v23, v11 row_shr:4 row_mask:0xf bank_mask:0xf
	s_waitcnt vmcnt(0)
	v_mov_b32_dpp v22, v20 row_shr:4 row_mask:0xf bank_mask:0xf
	v_mov_b32_dpp v24, v12 row_shr:4 row_mask:0xf bank_mask:0xf
	;; [unrolled: 1-line block ×4, first 2 shown]
	s_mov_b32 s8, exec_lo
	v_mov_b32_dpp v27, v13 row_shr:4 row_mask:0xf bank_mask:0xf
	v_mov_b32_dpp v28, v14 row_shr:4 row_mask:0xf bank_mask:0xf
	;; [unrolled: 1-line block ×4, first 2 shown]
	buffer_store_dword v23, off, s[0:3], 0
	buffer_store_dword v24, off, s[0:3], 0 offset:4
	buffer_store_dword v25, off, s[0:3], 0 offset:8
	;; [unrolled: 1-line block ×8, first 2 shown]
	v_cmpx_lt_u32_e32 3, v21
	s_cbranch_execz .LBB2192_367
; %bb.361:
	v_mov_b32_e32 v21, 0
	s_mov_b32 s10, 0
	v_cmp_eq_u16_sdwa s11, v20, v21 src0_sel:BYTE_0 src1_sel:DWORD
	s_and_saveexec_b32 s4, s11
	s_cbranch_execz .LBB2192_366
.LBB2192_362:                           ; =>This Inner Loop Header: Depth=1
	v_add_nc_u32_e64 v9, 0x60, s10
	s_add_i32 s10, s10, 4
	s_cmp_lg_u32 s10, 32
	buffer_store_dword v21, v9, s[0:3], 0 offen
	s_cbranch_scc1 .LBB2192_362
; %bb.363:
	s_mov_b32 s10, 0
	.p2align	6
.LBB2192_364:                           ; =>This Inner Loop Header: Depth=1
	v_mov_b32_e32 v9, s10
	v_add_nc_u32_e64 v10, 0x80, s10
	v_add_nc_u32_e64 v11, 0x60, s10
	s_add_i32 s10, s10, 4
	s_clause 0x1
	buffer_load_dword v9, v9, s[0:3], 0 offen
	buffer_load_dword v10, v10, s[0:3], 0 offen
	s_cmp_lg_u32 s10, 32
	s_waitcnt vmcnt(0)
	v_add_nc_u32_e32 v9, v10, v9
	buffer_store_dword v9, v11, s[0:3], 0 offen
	s_cbranch_scc1 .LBB2192_364
; %bb.365:
	s_clause 0x7
	buffer_load_dword v11, off, s[0:3], 0 offset:96
	buffer_load_dword v12, off, s[0:3], 0 offset:100
	;; [unrolled: 1-line block ×8, first 2 shown]
.LBB2192_366:
	s_or_b32 exec_lo, exec_lo, s4
	v_and_b32_e32 v20, 1, v20
	v_and_b32_e32 v21, 1, v22
	s_waitcnt vmcnt(7)
	buffer_store_dword v11, off, s[0:3], 0 offset:128
	s_waitcnt vmcnt(6)
	buffer_store_dword v12, off, s[0:3], 0 offset:132
	;; [unrolled: 2-line block ×8, first 2 shown]
	v_cmp_eq_u32_e32 vcc_lo, 1, v20
	v_cmp_eq_u32_e64 s4, 1, v21
	s_or_b32 s4, vcc_lo, s4
	v_cndmask_b32_e64 v20, 0, 1, s4
.LBB2192_367:
	s_or_b32 exec_lo, exec_lo, s8
	s_clause 0x7
	buffer_load_dword v9, off, s[0:3], 0 offset:128
	buffer_load_dword v10, off, s[0:3], 0 offset:132
	;; [unrolled: 1-line block ×8, first 2 shown]
	s_waitcnt vmcnt(4)
	ds_write2_b32 v18, v11, v12 offset0:2 offset1:3
	ds_write2_b32 v18, v9, v10 offset1:1
	s_waitcnt vmcnt(1)
	ds_write2_b32 v18, v14, v15 offset0:6 offset1:7
	s_waitcnt vmcnt(0)
	ds_write2_b32 v18, v13, v16 offset0:4 offset1:5
	ds_write_b8 v18, v20 offset:32
.LBB2192_368:
	s_or_b32 exec_lo, exec_lo, s5
	s_waitcnt lgkmcnt(0)
	s_waitcnt_vscnt null, 0x0
	s_barrier
	buffer_gl0_inv
	s_clause 0x8
	buffer_load_dword v9, off, s[0:3], 0 offset:176
	buffer_load_dword v10, off, s[0:3], 0 offset:172
	;; [unrolled: 1-line block ×9, first 2 shown]
	s_mov_b32 s4, exec_lo
	s_waitcnt vmcnt(8)
	buffer_store_dword v9, off, s[0:3], 0 offset:12
	s_waitcnt vmcnt(7)
	buffer_store_dword v10, off, s[0:3], 0 offset:8
	;; [unrolled: 2-line block ×3, first 2 shown]
	s_waitcnt vmcnt(5)
	buffer_store_dword v12, off, s[0:3], 0
	s_waitcnt vmcnt(4)
	buffer_store_dword v13, off, s[0:3], 0 offset:28
	s_waitcnt vmcnt(3)
	buffer_store_dword v14, off, s[0:3], 0 offset:24
	;; [unrolled: 2-line block ×5, first 2 shown]
	v_cmpx_lt_u32_e32 31, v0
	s_cbranch_execz .LBB2192_378
; %bb.369:
	v_mad_u32_u24 v9, v19, 36, -4
	v_mad_u32_u24 v20, v19, 36, 0xffffffdc
	s_mov_b32 s5, exec_lo
                                        ; implicit-def: $vgpr12
                                        ; implicit-def: $vgpr13
                                        ; implicit-def: $vgpr15
	ds_read_u8 v18, v9
                                        ; implicit-def: $vgpr9
	s_waitcnt lgkmcnt(0)
	v_cmpx_ne_u16_e32 0, v18
	s_xor_b32 s5, exec_lo, s5
	s_cbranch_execz .LBB2192_371
; %bb.370:
	v_mul_u32_u24_e32 v9, 36, v19
	v_subrev_nc_u32_e32 v11, 28, v9
	v_subrev_nc_u32_e32 v12, 20, v9
	v_add_nc_u32_e32 v19, -12, v9
	ds_read2_b32 v[9:10], v20 offset1:1
	ds_read2_b32 v[13:14], v11 offset1:1
	;; [unrolled: 1-line block ×4, first 2 shown]
                                        ; implicit-def: $vgpr20
.LBB2192_371:
	s_andn2_saveexec_b32 s5, s5
	s_cbranch_execz .LBB2192_377
; %bb.372:
	s_waitcnt lgkmcnt(3)
	v_mov_b32_e32 v9, 0
	s_mov_b32 s8, 0
.LBB2192_373:                           ; =>This Inner Loop Header: Depth=1
	v_add_nc_u32_e64 v10, 0x80, s8
	s_add_i32 s8, s8, 4
	s_cmp_lg_u32 s8, 32
	buffer_store_dword v9, v10, s[0:3], 0 offen
	s_cbranch_scc1 .LBB2192_373
; %bb.374:
	s_mov_b32 s8, 0
	.p2align	6
.LBB2192_375:                           ; =>This Inner Loop Header: Depth=1
	v_add_nc_u32_e64 v9, 0xa4, s8
	v_add_nc_u32_e32 v10, s8, v20
	s_waitcnt lgkmcnt(0)
	v_add_nc_u32_e64 v11, 0x80, s8
	s_add_i32 s8, s8, 4
	s_cmp_lg_u32 s8, 32
	buffer_load_dword v9, v9, s[0:3], 0 offen
	ds_read_b32 v10, v10
	s_waitcnt vmcnt(0) lgkmcnt(0)
	v_add_nc_u32_e32 v9, v10, v9
	buffer_store_dword v9, v11, s[0:3], 0 offen
	s_cbranch_scc1 .LBB2192_375
; %bb.376:
	s_clause 0x7
	buffer_load_dword v9, off, s[0:3], 0 offset:128
	buffer_load_dword v10, off, s[0:3], 0 offset:132
	buffer_load_dword v13, off, s[0:3], 0 offset:136
	buffer_load_dword v14, off, s[0:3], 0 offset:140
	buffer_load_dword v15, off, s[0:3], 0 offset:144
	buffer_load_dword v16, off, s[0:3], 0 offset:148
	buffer_load_dword v11, off, s[0:3], 0 offset:152
	buffer_load_dword v12, off, s[0:3], 0 offset:156
.LBB2192_377:
	s_or_b32 exec_lo, exec_lo, s5
	buffer_load_ubyte v19, off, s[0:3], 0 offset:196
	s_waitcnt vmcnt(8) lgkmcnt(3)
	buffer_store_dword v9, off, s[0:3], 0
	s_waitcnt vmcnt(7)
	buffer_store_dword v10, off, s[0:3], 0 offset:4
	s_waitcnt vmcnt(6) lgkmcnt(2)
	buffer_store_dword v13, off, s[0:3], 0 offset:8
	s_waitcnt vmcnt(0)
	v_or_b32_e32 v18, v18, v19
	v_and_b32_e32 v9, 1, v18
	buffer_store_dword v14, off, s[0:3], 0 offset:12
	s_waitcnt lgkmcnt(1)
	buffer_store_dword v15, off, s[0:3], 0 offset:16
	buffer_store_dword v16, off, s[0:3], 0 offset:20
	s_waitcnt lgkmcnt(0)
	buffer_store_dword v11, off, s[0:3], 0 offset:24
	buffer_store_dword v12, off, s[0:3], 0 offset:28
	buffer_store_byte v9, off, s[0:3], 0 offset:32
.LBB2192_378:
	s_or_b32 exec_lo, exec_lo, s4
	buffer_load_ubyte v9, off, s[0:3], 0 offset:232
	s_mov_b32 s4, exec_lo
                                        ; implicit-def: $vgpr13
                                        ; implicit-def: $vgpr10
                                        ; implicit-def: $vgpr11
                                        ; implicit-def: $vgpr12
                                        ; implicit-def: $vgpr14
                                        ; implicit-def: $vgpr15
                                        ; implicit-def: $vgpr16
                                        ; implicit-def: $vgpr18
	s_waitcnt vmcnt(0)
	v_cmpx_ne_u16_e32 0, v9
	s_xor_b32 s4, exec_lo, s4
	s_cbranch_execz .LBB2192_380
; %bb.379:
	s_clause 0x7
	buffer_load_dword v10, off, s[0:3], 0 offset:200
	buffer_load_dword v11, off, s[0:3], 0 offset:204
	;; [unrolled: 1-line block ×8, first 2 shown]
.LBB2192_380:
	s_andn2_saveexec_b32 s4, s4
	s_cbranch_execz .LBB2192_386
; %bb.381:
	s_waitcnt vmcnt(7)
	v_mov_b32_e32 v10, 0
	s_mov_b32 s5, 0
.LBB2192_382:                           ; =>This Inner Loop Header: Depth=1
	s_waitcnt vmcnt(6)
	v_add_nc_u32_e64 v11, 0x80, s5
	s_add_i32 s5, s5, 4
	s_cmp_lg_u32 s5, 32
	buffer_store_dword v10, v11, s[0:3], 0 offen
	s_cbranch_scc1 .LBB2192_382
; %bb.383:
	s_mov_b32 s5, 0
	.p2align	6
.LBB2192_384:                           ; =>This Inner Loop Header: Depth=1
	v_mov_b32_e32 v10, s5
	v_add_nc_u32_e64 v11, 0xc8, s5
	s_waitcnt vmcnt(5)
	v_add_nc_u32_e64 v12, 0x80, s5
	s_add_i32 s5, s5, 4
	s_clause 0x1
	buffer_load_dword v10, v10, s[0:3], 0 offen
	buffer_load_dword v11, v11, s[0:3], 0 offen
	s_cmp_lg_u32 s5, 32
	s_waitcnt vmcnt(0)
	v_add_nc_u32_e32 v10, v11, v10
	buffer_store_dword v10, v12, s[0:3], 0 offen
	s_cbranch_scc1 .LBB2192_384
; %bb.385:
	s_clause 0x7
	buffer_load_dword v10, off, s[0:3], 0 offset:128
	buffer_load_dword v11, off, s[0:3], 0 offset:132
	;; [unrolled: 1-line block ×8, first 2 shown]
.LBB2192_386:
	s_or_b32 exec_lo, exec_lo, s4
	buffer_load_ubyte v19, off, s[0:3], 0 offset:32
	v_sub_co_u32 v20, s5, v17, 1
	v_cmp_gt_i32_e32 vcc_lo, 0, v20
	v_cndmask_b32_e32 v17, v20, v17, vcc_lo
	v_lshlrev_b32_e32 v17, 2, v17
	s_waitcnt vmcnt(8)
	ds_bpermute_b32 v10, v17, v10
	s_waitcnt vmcnt(7)
	ds_bpermute_b32 v11, v17, v11
	;; [unrolled: 2-line block ×8, first 2 shown]
	s_waitcnt vmcnt(0)
	v_or_b32_e32 v9, v9, v19
	v_and_b32_e32 v9, 1, v9
	buffer_store_byte v9, off, s[0:3], 0 offset:232
	buffer_load_dword v9, off, s[0:3], 0 offset:232
	s_waitcnt lgkmcnt(7)
	buffer_store_dword v10, off, s[0:3], 0 offset:200
	s_waitcnt lgkmcnt(6)
	buffer_store_dword v11, off, s[0:3], 0 offset:204
	;; [unrolled: 2-line block ×8, first 2 shown]
	s_waitcnt vmcnt(0)
	ds_bpermute_b32 v9, v17, v9
	s_and_saveexec_b32 s4, s5
	s_cbranch_execz .LBB2192_388
; %bb.387:
	s_clause 0x7
	buffer_load_dword v10, off, s[0:3], 0 offset:12
	buffer_load_dword v11, off, s[0:3], 0 offset:8
	;; [unrolled: 1-line block ×3, first 2 shown]
	buffer_load_dword v13, off, s[0:3], 0
	buffer_load_dword v14, off, s[0:3], 0 offset:28
	buffer_load_dword v15, off, s[0:3], 0 offset:24
	;; [unrolled: 1-line block ×4, first 2 shown]
	s_waitcnt lgkmcnt(0)
	v_mov_b32_e32 v9, v19
	s_waitcnt vmcnt(7)
	buffer_store_dword v10, off, s[0:3], 0 offset:212
	s_waitcnt vmcnt(6)
	buffer_store_dword v11, off, s[0:3], 0 offset:208
	;; [unrolled: 2-line block ×8, first 2 shown]
.LBB2192_388:
	s_or_b32 exec_lo, exec_lo, s4
	s_clause 0x8
	buffer_load_dword v10, off, s[0:3], 0 offset:332
	buffer_load_dword v11, off, s[0:3], 0 offset:328
	;; [unrolled: 1-line block ×9, first 2 shown]
	buffer_store_dword v5, off, s[0:3], 0 offset:128
	buffer_store_dword v6, off, s[0:3], 0 offset:132
	;; [unrolled: 1-line block ×8, first 2 shown]
	v_mov_b32_e32 v1, 0
	s_waitcnt vmcnt(8)
	buffer_store_dword v10, off, s[0:3], 0 offset:12
	s_waitcnt vmcnt(7)
	buffer_store_dword v11, off, s[0:3], 0 offset:8
	;; [unrolled: 2-line block ×3, first 2 shown]
	s_waitcnt vmcnt(5)
	buffer_store_dword v13, off, s[0:3], 0
	s_waitcnt vmcnt(4)
	buffer_store_dword v14, off, s[0:3], 0 offset:28
	s_waitcnt vmcnt(3)
	buffer_store_dword v15, off, s[0:3], 0 offset:24
	;; [unrolled: 2-line block ×5, first 2 shown]
	buffer_store_byte v1, off, s[0:3], 0 offset:160
	s_and_saveexec_b32 s4, s7
	s_cbranch_execz .LBB2192_390
; %bb.389:
	s_clause 0x7
	buffer_load_dword v2, off, s[0:3], 0 offset:212
	buffer_load_dword v3, off, s[0:3], 0 offset:208
	;; [unrolled: 1-line block ×8, first 2 shown]
	s_waitcnt lgkmcnt(0)
	v_mov_b32_e32 v1, v9
	s_waitcnt vmcnt(7)
	buffer_store_dword v2, off, s[0:3], 0 offset:140
	s_waitcnt vmcnt(6)
	buffer_store_dword v3, off, s[0:3], 0 offset:136
	s_waitcnt vmcnt(5)
	buffer_store_dword v4, off, s[0:3], 0 offset:132
	s_waitcnt vmcnt(4)
	buffer_store_dword v5, off, s[0:3], 0 offset:128
	s_waitcnt vmcnt(3)
	buffer_store_dword v6, off, s[0:3], 0 offset:156
	s_waitcnt vmcnt(2)
	buffer_store_dword v7, off, s[0:3], 0 offset:152
	s_waitcnt vmcnt(1)
	buffer_store_dword v8, off, s[0:3], 0 offset:148
	s_waitcnt vmcnt(0)
	buffer_store_dword v10, off, s[0:3], 0 offset:144
.LBB2192_390:
	s_or_b32 exec_lo, exec_lo, s4
	s_clause 0x6
	buffer_load_dword v2, off, s[0:3], 0 offset:140
	buffer_load_dword v4, off, s[0:3], 0 offset:136
	;; [unrolled: 1-line block ×5, first 2 shown]
	buffer_load_ubyte v3, off, s[0:3], 0 offset:32
	buffer_load_dword v8, off, s[0:3], 0 offset:152
	s_waitcnt lgkmcnt(0)
	s_clause 0x1
	buffer_load_dword v9, off, s[0:3], 0 offset:148
	buffer_load_dword v10, off, s[0:3], 0 offset:144
	s_mov_b32 s4, exec_lo
                                        ; implicit-def: $vgpr11
	s_waitcnt vmcnt(8)
	buffer_store_dword v2, off, s[0:3], 0 offset:332
	s_waitcnt vmcnt(7)
	buffer_store_dword v4, off, s[0:3], 0 offset:328
	;; [unrolled: 2-line block ×8, first 2 shown]
	buffer_store_byte v1, off, s[0:3], 0 offset:352
                                        ; implicit-def: $vgpr4
                                        ; implicit-def: $vgpr7
                                        ; implicit-def: $vgpr8
                                        ; implicit-def: $vgpr9
                                        ; implicit-def: $vgpr10
                                        ; implicit-def: $vgpr5
                                        ; implicit-def: $vgpr6
	v_cmpx_ne_u16_e32 0, v3
	s_xor_b32 s4, exec_lo, s4
	s_cbranch_execz .LBB2192_392
; %bb.391:
	s_clause 0x7
	buffer_load_dword v7, off, s[0:3], 0
	buffer_load_dword v8, off, s[0:3], 0 offset:4
	buffer_load_dword v9, off, s[0:3], 0 offset:8
	;; [unrolled: 1-line block ×7, first 2 shown]
.LBB2192_392:
	s_andn2_saveexec_b32 s4, s4
	s_cbranch_execz .LBB2192_398
; %bb.393:
	v_mov_b32_e32 v2, 0
	s_mov_b32 s5, 0
.LBB2192_394:                           ; =>This Inner Loop Header: Depth=1
	s_waitcnt vmcnt(0)
	v_add_nc_u32_e64 v4, 0xa4, s5
	s_add_i32 s5, s5, 4
	s_cmp_lg_u32 s5, 32
	buffer_store_dword v2, v4, s[0:3], 0 offen
	s_cbranch_scc1 .LBB2192_394
; %bb.395:
	s_mov_b32 s5, 0
	.p2align	6
.LBB2192_396:                           ; =>This Inner Loop Header: Depth=1
	v_add_nc_u32_e64 v2, 0x80, s5
	v_mov_b32_e32 v4, s5
	v_add_nc_u32_e64 v5, 0xa4, s5
	s_add_i32 s5, s5, 4
	s_clause 0x1
	buffer_load_dword v2, v2, s[0:3], 0 offen
	buffer_load_dword v4, v4, s[0:3], 0 offen
	s_cmp_lg_u32 s5, 32
	s_waitcnt vmcnt(0)
	v_add_nc_u32_e32 v2, v4, v2
	buffer_store_dword v2, v5, s[0:3], 0 offen
	s_cbranch_scc1 .LBB2192_396
; %bb.397:
	s_clause 0x7
	buffer_load_dword v7, off, s[0:3], 0 offset:164
	buffer_load_dword v8, off, s[0:3], 0 offset:168
	;; [unrolled: 1-line block ×8, first 2 shown]
.LBB2192_398:
	s_or_b32 exec_lo, exec_lo, s4
	v_mov_b32_e32 v12, s19
	v_or_b32_e32 v1, v3, v1
                                        ; implicit-def: $vgpr3
	s_clause 0x8
	buffer_load_dword v13, v12, s[0:3], 0 offen offset:12
	buffer_load_dword v14, v12, s[0:3], 0 offen offset:8
	;; [unrolled: 1-line block ×3, first 2 shown]
	buffer_load_dword v16, v12, s[0:3], 0 offen
	buffer_load_dword v17, v12, s[0:3], 0 offen offset:28
	buffer_load_dword v18, v12, s[0:3], 0 offen offset:24
	;; [unrolled: 1-line block ×4, first 2 shown]
	buffer_load_ubyte v2, off, s[0:3], 0 offset:388
	v_and_b32_e32 v1, 1, v1
	s_waitcnt vmcnt(16)
	buffer_store_dword v7, off, s[0:3], 0 offset:128
	s_waitcnt vmcnt(15)
	buffer_store_dword v8, off, s[0:3], 0 offset:132
	;; [unrolled: 2-line block ×8, first 2 shown]
	buffer_store_dword v7, v12, s[0:3], 0 offen
	buffer_store_dword v8, v12, s[0:3], 0 offen offset:4
	buffer_store_dword v9, v12, s[0:3], 0 offen offset:8
	;; [unrolled: 1-line block ×4, first 2 shown]
                                        ; implicit-def: $vgpr8
                                        ; implicit-def: $vgpr7
                                        ; implicit-def: $vgpr10
	s_waitcnt vmcnt(8)
	buffer_store_dword v13, off, s[0:3], 0 offset:12
	s_waitcnt vmcnt(7)
	buffer_store_dword v14, off, s[0:3], 0 offset:8
	s_waitcnt vmcnt(6)
	buffer_store_dword v15, off, s[0:3], 0 offset:4
	s_waitcnt vmcnt(5)
	buffer_store_dword v16, off, s[0:3], 0
	s_waitcnt vmcnt(4)
	buffer_store_dword v17, off, s[0:3], 0 offset:28
	s_waitcnt vmcnt(3)
	buffer_store_dword v18, off, s[0:3], 0 offset:24
	;; [unrolled: 2-line block ×4, first 2 shown]
	s_waitcnt vmcnt(0)
	v_cmp_ne_u16_e64 s4, 0, v2
	v_cmp_eq_u32_e32 vcc_lo, 1, v1
	buffer_store_dword v5, v12, s[0:3], 0 offen offset:20
	buffer_store_dword v6, v12, s[0:3], 0 offen offset:24
	;; [unrolled: 1-line block ×3, first 2 shown]
	buffer_store_byte v1, off, s[0:3], 0 offset:388
                                        ; implicit-def: $vgpr6
                                        ; implicit-def: $vgpr1
                                        ; implicit-def: $vgpr5
                                        ; implicit-def: $vgpr4
	s_and_saveexec_b32 s5, s4
	s_xor_b32 s4, exec_lo, s5
	s_cbranch_execz .LBB2192_400
; %bb.399:
	s_clause 0x7
	buffer_load_dword v1, off, s[0:3], 0
	buffer_load_dword v3, off, s[0:3], 0 offset:4
	buffer_load_dword v5, off, s[0:3], 0 offset:8
	;; [unrolled: 1-line block ×7, first 2 shown]
.LBB2192_400:
	s_andn2_saveexec_b32 s4, s4
	s_cbranch_execz .LBB2192_406
; %bb.401:
	s_waitcnt vmcnt(7)
	v_mov_b32_e32 v1, 0
	s_mov_b32 s5, 0
.LBB2192_402:                           ; =>This Inner Loop Header: Depth=1
	s_waitcnt vmcnt(6)
	v_add_nc_u32_e64 v3, 0xa4, s5
	s_add_i32 s5, s5, 4
	s_cmp_lg_u32 s5, 32
	buffer_store_dword v1, v3, s[0:3], 0 offen
	s_cbranch_scc1 .LBB2192_402
; %bb.403:
	s_mov_b32 s5, 0
	.p2align	6
.LBB2192_404:                           ; =>This Inner Loop Header: Depth=1
	v_add_nc_u32_e64 v1, 0x80, s5
	v_mov_b32_e32 v3, s5
	s_waitcnt vmcnt(3)
	v_add_nc_u32_e64 v4, 0xa4, s5
	s_add_i32 s5, s5, 4
	s_clause 0x1
	buffer_load_dword v1, v1, s[0:3], 0 offen
	buffer_load_dword v3, v3, s[0:3], 0 offen
	s_cmp_lg_u32 s5, 32
	s_waitcnt vmcnt(0)
	v_add_nc_u32_e32 v1, v3, v1
	buffer_store_dword v1, v4, s[0:3], 0 offen
	s_cbranch_scc1 .LBB2192_404
; %bb.405:
	s_clause 0x7
	buffer_load_dword v1, off, s[0:3], 0 offset:164
	buffer_load_dword v3, off, s[0:3], 0 offset:168
	;; [unrolled: 1-line block ×8, first 2 shown]
.LBB2192_406:
	s_or_b32 exec_lo, exec_lo, s4
	v_mov_b32_e32 v19, 0
	v_and_b32_e32 v2, 1, v2
	v_mov_b32_e32 v20, s30
	ds_read2_b32 v[11:12], v19 offset0:69 offset1:70
	ds_read2_b32 v[13:14], v19 offset0:67 offset1:68
	ds_read_u8 v9, v19 offset:284
	ds_read2_b32 v[15:16], v19 offset0:65 offset1:66
	ds_read2_b32 v[17:18], v19 offset0:63 offset1:64
	v_cmp_eq_u32_e64 s4, 1, v2
	s_waitcnt vmcnt(4)
	buffer_store_dword v8, v20, s[0:3], 0 offen offset:12
	buffer_store_dword v5, v20, s[0:3], 0 offen offset:8
	;; [unrolled: 1-line block ×3, first 2 shown]
	buffer_store_dword v1, v20, s[0:3], 0 offen
	s_or_b32 s4, s4, vcc_lo
	v_cndmask_b32_e64 v1, 0, 1, s4
	s_waitcnt vmcnt(0)
	buffer_store_dword v6, v20, s[0:3], 0 offen offset:28
	buffer_store_dword v10, v20, s[0:3], 0 offen offset:24
	;; [unrolled: 1-line block ×4, first 2 shown]
	buffer_store_byte v1, off, s[0:3], 0 offset:424
	s_waitcnt lgkmcnt(4)
	buffer_store_dword v12, off, s[0:3], 0 offset:300
	buffer_store_dword v11, off, s[0:3], 0 offset:296
	s_waitcnt lgkmcnt(3)
	buffer_store_dword v14, off, s[0:3], 0 offset:292
	s_waitcnt lgkmcnt(2)
	v_cmp_ne_u32_sdwa s4, v9, v19 src0_sel:WORD_0 src1_sel:DWORD
	buffer_store_dword v13, off, s[0:3], 0 offset:288
	s_waitcnt lgkmcnt(1)
	buffer_store_dword v16, off, s[0:3], 0 offset:284
	buffer_store_dword v15, off, s[0:3], 0 offset:280
	s_waitcnt lgkmcnt(0)
	buffer_store_dword v18, off, s[0:3], 0 offset:276
	buffer_store_dword v17, off, s[0:3], 0 offset:272
	s_and_b32 vcc_lo, exec_lo, s4
	s_mov_b32 s4, 0
	s_cbranch_vccz .LBB2192_410
; %bb.407:
	s_clause 0x7
	buffer_load_dword v1, off, s[0:3], 0 offset:272
	buffer_load_dword v2, off, s[0:3], 0 offset:276
	;; [unrolled: 1-line block ×8, first 2 shown]
	s_andn2_b32 vcc_lo, exec_lo, s4
	s_cbranch_vccz .LBB2192_411
	s_branch .LBB2192_416
.LBB2192_408:
	v_lshlrev_b32_e32 v8, 5, v0
	v_add_co_u32 v12, s5, s44, v8
	v_add_co_ci_u32_e64 v13, null, s45, 0, s5
	s_clause 0x1
	flat_load_dwordx4 v[8:11], v[12:13]
	flat_load_dwordx4 v[12:15], v[12:13] offset:16
	s_waitcnt vmcnt(1) lgkmcnt(1)
	buffer_store_dword v8, off, s[0:3], 0
	buffer_store_dword v9, off, s[0:3], 0 offset:4
	buffer_store_dword v10, off, s[0:3], 0 offset:8
	buffer_store_dword v11, off, s[0:3], 0 offset:12
	s_waitcnt vmcnt(0) lgkmcnt(0)
	buffer_store_dword v12, off, s[0:3], 0 offset:16
	buffer_store_dword v13, off, s[0:3], 0 offset:20
	;; [unrolled: 1-line block ×4, first 2 shown]
	s_or_b32 exec_lo, exec_lo, s8
	s_and_saveexec_b32 s5, s4
	s_cbranch_execz .LBB2192_27
.LBB2192_409:
	v_lshlrev_b32_e32 v4, 5, v4
	v_add_co_u32 v12, s4, s44, v4
	v_add_co_ci_u32_e64 v13, null, s45, 0, s4
	s_clause 0x1
	flat_load_dwordx4 v[8:11], v[12:13]
	flat_load_dwordx4 v[12:15], v[12:13] offset:16
	s_waitcnt vmcnt(1) lgkmcnt(1)
	buffer_store_dword v8, off, s[0:3], 0 offset:32
	buffer_store_dword v9, off, s[0:3], 0 offset:36
	;; [unrolled: 1-line block ×4, first 2 shown]
	s_waitcnt vmcnt(0) lgkmcnt(0)
	buffer_store_dword v12, off, s[0:3], 0 offset:48
	buffer_store_dword v13, off, s[0:3], 0 offset:52
	;; [unrolled: 1-line block ×4, first 2 shown]
	s_or_b32 exec_lo, exec_lo, s5
	v_mul_u32_u24_e32 v4, 3, v0
	s_and_saveexec_b32 s4, vcc_lo
	s_cbranch_execnz .LBB2192_28
	s_branch .LBB2192_29
.LBB2192_410:
                                        ; implicit-def: $vgpr8
                                        ; implicit-def: $vgpr1
.LBB2192_411:
	s_waitcnt vmcnt(7)
	v_mov_b32_e32 v1, 0
	s_mov_b32 s4, 0
.LBB2192_412:                           ; =>This Inner Loop Header: Depth=1
	s_waitcnt vmcnt(6)
	v_mov_b32_e32 v2, s4
	s_add_i32 s4, s4, 4
	s_cmp_lg_u32 s4, 32
	buffer_store_dword v1, v2, s[0:3], 0 offen
	s_cbranch_scc1 .LBB2192_412
; %bb.413:
	s_mov_b32 s4, 0
	.p2align	6
.LBB2192_414:                           ; =>This Inner Loop Header: Depth=1
	v_add_nc_u32_e64 v1, 0xec, s4
	v_add_nc_u32_e64 v2, 0x110, s4
	s_waitcnt vmcnt(5)
	v_mov_b32_e32 v3, s4
	s_add_i32 s4, s4, 4
	s_clause 0x1
	buffer_load_dword v1, v1, s[0:3], 0 offen
	buffer_load_dword v2, v2, s[0:3], 0 offen
	s_cmp_lg_u32 s4, 32
	s_waitcnt vmcnt(0)
	v_add_nc_u32_e32 v1, v2, v1
	buffer_store_dword v1, v3, s[0:3], 0 offen
	s_cbranch_scc1 .LBB2192_414
; %bb.415:
	s_clause 0x7
	buffer_load_dword v1, off, s[0:3], 0
	buffer_load_dword v2, off, s[0:3], 0 offset:4
	buffer_load_dword v3, off, s[0:3], 0 offset:8
	;; [unrolled: 1-line block ×7, first 2 shown]
.LBB2192_416:
	s_waitcnt vmcnt(7)
	buffer_store_dword v1, off, s[0:3], 0 offset:272
	s_waitcnt vmcnt(6)
	buffer_store_dword v2, off, s[0:3], 0 offset:276
	;; [unrolled: 2-line block ×8, first 2 shown]
	buffer_store_byte v9, off, s[0:3], 0 offset:304
	s_and_saveexec_b32 s4, s6
	s_cbranch_execz .LBB2192_418
; %bb.417:
	v_mov_b32_e32 v10, 0
	v_mov_b32_e32 v11, 2
	global_store_dwordx4 v10, v[1:4], s[14:15] offset:1152
	global_store_dwordx4 v10, v[5:8], s[14:15] offset:1168
	global_store_byte v10, v9, s[14:15] offset:1184
	s_waitcnt_vscnt null, 0x0
	buffer_gl1_inv
	buffer_gl0_inv
	global_store_byte v10, v11, s[16:17] offset:32
.LBB2192_418:
	s_or_b32 exec_lo, exec_lo, s4
.LBB2192_419:
	v_mov_b32_e32 v1, 0
	s_mov_b32 s4, 0
.LBB2192_420:                           ; =>This Inner Loop Header: Depth=1
	v_mov_b32_e32 v2, s4
	s_add_i32 s4, s4, 4
	s_cmp_lg_u32 s4, 32
	buffer_store_dword v1, v2, s[0:3], 0 offen
	s_cbranch_scc1 .LBB2192_420
; %bb.421:
	v_mov_b32_e32 v1, 0
	s_mov_b32 s4, 32
.LBB2192_422:                           ; =>This Inner Loop Header: Depth=1
	v_mov_b32_e32 v2, s4
	s_add_i32 s4, s4, 4
	s_cmp_lg_u32 s4, 64
	buffer_store_dword v1, v2, s[0:3], 0 offen
	s_cbranch_scc1 .LBB2192_422
; %bb.423:
	v_mov_b32_e32 v1, 0
	s_mov_b32 s4, 64
.LBB2192_424:                           ; =>This Inner Loop Header: Depth=1
	v_mov_b32_e32 v2, s4
	s_add_i32 s4, s4, 4
	s_cmpk_lg_i32 s4, 0x60
	buffer_store_dword v1, v2, s[0:3], 0 offen
	s_cbranch_scc1 .LBB2192_424
; %bb.425:
	s_add_u32 s4, s26, s20
	s_addc_u32 s5, s27, s21
	s_add_u32 s4, s4, s22
	s_mov_b32 s6, 64
	s_mov_b32 s7, 32
	s_addc_u32 s5, s5, s23
	s_and_b32 vcc_lo, exec_lo, s31
	s_cbranch_vccz .LBB2192_435
; %bb.426:
	v_mul_u32_u24_e32 v1, 3, v0
	s_add_i32 s9, s9, s18
	s_mov_b32 s8, exec_lo
	v_cmpx_gt_u32_e64 s9, v1
	s_cbranch_execz .LBB2192_430
; %bb.427:
	s_clause 0x7
	buffer_load_dword v2, off, s[0:3], 0 offset:332
	buffer_load_dword v3, off, s[0:3], 0 offset:328
	;; [unrolled: 1-line block ×8, first 2 shown]
	v_add_nc_u32_e32 v10, 1, v1
	s_waitcnt vmcnt(7)
	buffer_store_dword v2, off, s[0:3], 0 offset:12
	s_waitcnt vmcnt(6)
	buffer_store_dword v3, off, s[0:3], 0 offset:8
	;; [unrolled: 2-line block ×3, first 2 shown]
	s_waitcnt vmcnt(4)
	buffer_store_dword v5, off, s[0:3], 0
	s_waitcnt vmcnt(3)
	buffer_store_dword v6, off, s[0:3], 0 offset:28
	s_waitcnt vmcnt(2)
	buffer_store_dword v7, off, s[0:3], 0 offset:24
	;; [unrolled: 2-line block ×4, first 2 shown]
	v_cmp_gt_u32_e32 vcc_lo, s9, v10
	s_and_b32 exec_lo, exec_lo, vcc_lo
	s_cbranch_execz .LBB2192_430
; %bb.428:
	v_mov_b32_e32 v2, s19
	v_add_nc_u32_e32 v10, 2, v1
	v_mov_b32_e32 v11, s7
	s_clause 0x7
	buffer_load_dword v3, v2, s[0:3], 0 offen offset:12
	buffer_load_dword v4, v2, s[0:3], 0 offen offset:8
	;; [unrolled: 1-line block ×3, first 2 shown]
	buffer_load_dword v6, v2, s[0:3], 0 offen
	buffer_load_dword v7, v2, s[0:3], 0 offen offset:28
	buffer_load_dword v8, v2, s[0:3], 0 offen offset:24
	;; [unrolled: 1-line block ×4, first 2 shown]
	v_cmp_gt_u32_e32 vcc_lo, s9, v10
	s_waitcnt vmcnt(7)
	buffer_store_dword v3, v11, s[0:3], 0 offen offset:12
	s_waitcnt vmcnt(6)
	buffer_store_dword v4, v11, s[0:3], 0 offen offset:8
	;; [unrolled: 2-line block ×3, first 2 shown]
	s_waitcnt vmcnt(4)
	buffer_store_dword v6, v11, s[0:3], 0 offen
	s_waitcnt vmcnt(3)
	buffer_store_dword v7, v11, s[0:3], 0 offen offset:28
	s_waitcnt vmcnt(2)
	buffer_store_dword v8, v11, s[0:3], 0 offen offset:24
	;; [unrolled: 2-line block ×4, first 2 shown]
	s_and_b32 exec_lo, exec_lo, vcc_lo
	s_cbranch_execz .LBB2192_430
; %bb.429:
	v_mov_b32_e32 v2, s30
	v_mov_b32_e32 v10, s6
	s_clause 0x7
	buffer_load_dword v3, v2, s[0:3], 0 offen offset:12
	buffer_load_dword v4, v2, s[0:3], 0 offen offset:8
	;; [unrolled: 1-line block ×3, first 2 shown]
	buffer_load_dword v6, v2, s[0:3], 0 offen
	buffer_load_dword v7, v2, s[0:3], 0 offen offset:28
	buffer_load_dword v8, v2, s[0:3], 0 offen offset:24
	;; [unrolled: 1-line block ×4, first 2 shown]
	s_waitcnt vmcnt(7)
	buffer_store_dword v3, v10, s[0:3], 0 offen offset:12
	s_waitcnt vmcnt(6)
	buffer_store_dword v4, v10, s[0:3], 0 offen offset:8
	;; [unrolled: 2-line block ×3, first 2 shown]
	s_waitcnt vmcnt(4)
	buffer_store_dword v6, v10, s[0:3], 0 offen
	s_waitcnt vmcnt(3)
	buffer_store_dword v7, v10, s[0:3], 0 offen offset:28
	s_waitcnt vmcnt(2)
	buffer_store_dword v8, v10, s[0:3], 0 offen offset:24
	;; [unrolled: 2-line block ×4, first 2 shown]
.LBB2192_430:
	s_or_b32 exec_lo, exec_lo, s8
	v_mov_b32_e32 v28, s7
	s_waitcnt_vscnt null, 0x0
	s_barrier
	buffer_gl0_inv
	s_clause 0x7
	buffer_load_dword v4, off, s[0:3], 0
	buffer_load_dword v5, off, s[0:3], 0 offset:4
	buffer_load_dword v6, off, s[0:3], 0 offset:8
	;; [unrolled: 1-line block ×7, first 2 shown]
	v_mov_b32_e32 v29, s6
	s_clause 0xf
	buffer_load_dword v12, v28, s[0:3], 0 offen
	buffer_load_dword v13, v28, s[0:3], 0 offen offset:4
	buffer_load_dword v14, v28, s[0:3], 0 offen offset:8
	;; [unrolled: 1-line block ×7, first 2 shown]
	buffer_load_dword v20, v29, s[0:3], 0 offen
	buffer_load_dword v21, v29, s[0:3], 0 offen offset:4
	buffer_load_dword v22, v29, s[0:3], 0 offen offset:8
	;; [unrolled: 1-line block ×7, first 2 shown]
	v_lshlrev_b32_e32 v1, 5, v1
	v_lshlrev_b32_e32 v2, 6, v0
	s_waitcnt vmcnt(20)
	ds_write_b128 v1, v[4:7]
	s_waitcnt vmcnt(16)
	ds_write_b128 v1, v[8:11] offset:16
	s_waitcnt vmcnt(12)
	ds_write_b128 v1, v[12:15] offset:32
	s_waitcnt vmcnt(8)
	ds_write_b128 v1, v[16:19] offset:48
	s_waitcnt vmcnt(4)
	ds_write_b128 v1, v[20:23] offset:64
	s_waitcnt vmcnt(0)
	ds_write_b128 v1, v[24:27] offset:80
	v_sub_nc_u32_e32 v3, v1, v2
	s_waitcnt lgkmcnt(0)
	s_barrier
	buffer_gl0_inv
	ds_read_b128 v[4:7], v3 offset:8192
	ds_read_b128 v[8:11], v3 offset:8208
	;; [unrolled: 1-line block ×3, first 2 shown]
	v_lshlrev_b32_e32 v1, 5, v0
	ds_read_b128 v[16:19], v3 offset:16400
	s_waitcnt lgkmcnt(3)
	buffer_store_dword v7, v28, s[0:3], 0 offen offset:12
	buffer_store_dword v6, v28, s[0:3], 0 offen offset:8
	;; [unrolled: 1-line block ×3, first 2 shown]
	buffer_store_dword v4, v28, s[0:3], 0 offen
	s_waitcnt lgkmcnt(2)
	buffer_store_dword v11, v28, s[0:3], 0 offen offset:28
	buffer_store_dword v10, v28, s[0:3], 0 offen offset:24
	;; [unrolled: 1-line block ×4, first 2 shown]
	s_waitcnt lgkmcnt(1)
	buffer_store_dword v15, v29, s[0:3], 0 offen offset:12
	buffer_store_dword v14, v29, s[0:3], 0 offen offset:8
	buffer_store_dword v13, v29, s[0:3], 0 offen offset:4
	buffer_store_dword v12, v29, s[0:3], 0 offen
	s_waitcnt lgkmcnt(0)
	buffer_store_dword v19, v29, s[0:3], 0 offen offset:28
	buffer_store_dword v18, v29, s[0:3], 0 offen offset:24
	;; [unrolled: 1-line block ×4, first 2 shown]
	v_add_co_u32 v1, s8, s4, v1
	v_add_co_ci_u32_e64 v2, null, s5, 0, s8
	s_mov_b32 s8, exec_lo
	v_cmpx_gt_u32_e64 s9, v0
	s_cbranch_execz .LBB2192_432
; %bb.431:
	ds_read2_b32 v[5:6], v3 offset0:2 offset1:3
	ds_read2_b32 v[7:8], v3 offset0:4 offset1:5
	;; [unrolled: 1-line block ×3, first 2 shown]
	ds_read2_b32 v[3:4], v3 offset1:1
	s_waitcnt lgkmcnt(0)
	flat_store_dwordx4 v[1:2], v[3:6]
	flat_store_dwordx4 v[1:2], v[7:10] offset:16
.LBB2192_432:
	s_or_b32 exec_lo, exec_lo, s8
	v_or_b32_e32 v3, 0x100, v0
	s_mov_b32 s8, exec_lo
	v_cmpx_gt_u32_e64 s9, v3
	s_cbranch_execz .LBB2192_434
; %bb.433:
	v_mov_b32_e32 v6, s7
	v_add_co_u32 v1, vcc_lo, 0x2000, v1
	v_add_co_ci_u32_e64 v2, null, 0, v2, vcc_lo
	s_clause 0x7
	buffer_load_dword v3, v6, s[0:3], 0 offen
	buffer_load_dword v4, v6, s[0:3], 0 offen offset:4
	buffer_load_dword v5, v6, s[0:3], 0 offen offset:8
	;; [unrolled: 1-line block ×7, first 2 shown]
	s_waitcnt vmcnt(1)
	flat_store_dwordx4 v[1:2], v[7:10] offset:16
	s_waitcnt vmcnt(0)
	flat_store_dwordx4 v[1:2], v[3:6]
.LBB2192_434:
	s_or_b32 exec_lo, exec_lo, s8
	v_or_b32_e32 v1, 0x200, v0
	v_cmp_gt_u32_e64 s8, s9, v1
	s_branch .LBB2192_437
.LBB2192_435:
	s_mov_b32 s8, 0
	s_cbranch_execz .LBB2192_437
; %bb.436:
	v_mov_b32_e32 v1, s19
	v_mov_b32_e32 v10, s30
	s_clause 0x7
	buffer_load_dword v2, off, s[0:3], 0 offset:328
	buffer_load_dword v3, off, s[0:3], 0 offset:332
	;; [unrolled: 1-line block ×8, first 2 shown]
	v_mov_b32_e32 v29, s7
	v_mov_b32_e32 v30, s6
	s_clause 0xf
	buffer_load_dword v11, v1, s[0:3], 0 offen offset:12
	buffer_load_dword v12, v1, s[0:3], 0 offen offset:8
	;; [unrolled: 1-line block ×3, first 2 shown]
	buffer_load_dword v14, v1, s[0:3], 0 offen
	buffer_load_dword v15, v1, s[0:3], 0 offen offset:28
	buffer_load_dword v16, v1, s[0:3], 0 offen offset:24
	buffer_load_dword v17, v1, s[0:3], 0 offen offset:20
	buffer_load_dword v1, v1, s[0:3], 0 offen offset:16
	buffer_load_dword v18, v10, s[0:3], 0 offen offset:12
	buffer_load_dword v19, v10, s[0:3], 0 offen offset:8
	buffer_load_dword v20, v10, s[0:3], 0 offen offset:4
	buffer_load_dword v21, v10, s[0:3], 0 offen
	buffer_load_dword v22, v10, s[0:3], 0 offen offset:28
	buffer_load_dword v23, v10, s[0:3], 0 offen offset:24
	;; [unrolled: 1-line block ×4, first 2 shown]
	v_mul_u32_u24_e32 v25, 0x60, v0
	v_lshlrev_b32_e32 v26, 6, v0
	s_or_b32 s8, s8, exec_lo
	s_waitcnt vmcnt(22)
	buffer_store_dword v3, off, s[0:3], 0 offset:12
	buffer_store_dword v2, off, s[0:3], 0 offset:8
	s_waitcnt vmcnt(20)
	buffer_store_dword v5, off, s[0:3], 0 offset:4
	buffer_store_dword v4, off, s[0:3], 0
	s_waitcnt vmcnt(18)
	buffer_store_dword v7, off, s[0:3], 0 offset:28
	buffer_store_dword v6, off, s[0:3], 0 offset:24
	s_waitcnt vmcnt(16)
	buffer_store_dword v9, off, s[0:3], 0 offset:20
	buffer_store_dword v8, off, s[0:3], 0 offset:16
	s_waitcnt vmcnt(15)
	buffer_store_dword v11, v29, s[0:3], 0 offen offset:12
	s_waitcnt vmcnt(14)
	buffer_store_dword v12, v29, s[0:3], 0 offen offset:8
	;; [unrolled: 2-line block ×3, first 2 shown]
	s_waitcnt vmcnt(12)
	buffer_store_dword v14, v29, s[0:3], 0 offen
	s_waitcnt vmcnt(11)
	buffer_store_dword v15, v29, s[0:3], 0 offen offset:28
	s_waitcnt vmcnt(10)
	buffer_store_dword v16, v29, s[0:3], 0 offen offset:24
	;; [unrolled: 2-line block ×7, first 2 shown]
	s_waitcnt vmcnt(4)
	buffer_store_dword v21, v30, s[0:3], 0 offen
	s_waitcnt vmcnt(3)
	buffer_store_dword v22, v30, s[0:3], 0 offen offset:28
	s_waitcnt vmcnt(2)
	buffer_store_dword v23, v30, s[0:3], 0 offen offset:24
	;; [unrolled: 2-line block ×4, first 2 shown]
	s_waitcnt lgkmcnt(0)
	s_waitcnt_vscnt null, 0x0
	s_barrier
	buffer_gl0_inv
	s_clause 0x17
	buffer_load_dword v1, off, s[0:3], 0
	buffer_load_dword v2, off, s[0:3], 0 offset:4
	buffer_load_dword v3, off, s[0:3], 0 offset:8
	;; [unrolled: 1-line block ×7, first 2 shown]
	buffer_load_dword v9, v29, s[0:3], 0 offen
	buffer_load_dword v10, v29, s[0:3], 0 offen offset:4
	buffer_load_dword v11, v29, s[0:3], 0 offen offset:8
	;; [unrolled: 1-line block ×7, first 2 shown]
	buffer_load_dword v17, v30, s[0:3], 0 offen
	buffer_load_dword v18, v30, s[0:3], 0 offen offset:4
	buffer_load_dword v19, v30, s[0:3], 0 offen offset:8
	;; [unrolled: 1-line block ×7, first 2 shown]
	v_sub_nc_u32_e32 v27, v25, v26
	s_waitcnt vmcnt(20)
	ds_write_b128 v25, v[1:4]
	s_waitcnt vmcnt(16)
	ds_write_b128 v25, v[5:8] offset:16
	s_waitcnt vmcnt(12)
	ds_write_b128 v25, v[9:12] offset:32
	;; [unrolled: 2-line block ×5, first 2 shown]
	v_lshlrev_b32_e32 v13, 5, v0
	s_waitcnt lgkmcnt(0)
	s_barrier
	buffer_gl0_inv
	ds_read_b128 v[1:4], v27 offset:8192
	ds_read_b128 v[5:8], v27 offset:8208
	;; [unrolled: 1-line block ×3, first 2 shown]
	v_add_co_u32 v25, s7, s4, v13
	ds_read_b128 v[13:16], v27 offset:16400
	ds_read2_b32 v[19:20], v27 offset0:6 offset1:7
	ds_read2_b32 v[17:18], v27 offset0:4 offset1:5
	ds_read2_b32 v[21:22], v27 offset1:1
	ds_read2_b32 v[23:24], v27 offset0:2 offset1:3
	v_add_co_ci_u32_e64 v26, null, s5, 0, s7
	v_add_co_u32 v27, vcc_lo, 0x2000, v25
	s_waitcnt lgkmcnt(7)
	buffer_store_dword v4, v29, s[0:3], 0 offen offset:12
	buffer_store_dword v3, v29, s[0:3], 0 offen offset:8
	;; [unrolled: 1-line block ×3, first 2 shown]
	buffer_store_dword v1, v29, s[0:3], 0 offen
	s_waitcnt lgkmcnt(6)
	buffer_store_dword v8, v29, s[0:3], 0 offen offset:28
	buffer_store_dword v7, v29, s[0:3], 0 offen offset:24
	;; [unrolled: 1-line block ×4, first 2 shown]
	s_waitcnt lgkmcnt(5)
	buffer_store_dword v12, v30, s[0:3], 0 offen offset:12
	buffer_store_dword v11, v30, s[0:3], 0 offen offset:8
	;; [unrolled: 1-line block ×3, first 2 shown]
	buffer_store_dword v9, v30, s[0:3], 0 offen
	s_waitcnt lgkmcnt(4)
	buffer_store_dword v16, v30, s[0:3], 0 offen offset:28
	buffer_store_dword v15, v30, s[0:3], 0 offen offset:24
	;; [unrolled: 1-line block ×4, first 2 shown]
	v_add_co_ci_u32_e64 v28, null, 0, v26, vcc_lo
	s_waitcnt lgkmcnt(2)
	flat_store_dwordx4 v[25:26], v[17:20] offset:16
	s_waitcnt lgkmcnt(1)
	flat_store_dwordx4 v[25:26], v[21:24]
	flat_store_dwordx4 v[27:28], v[1:4]
	flat_store_dwordx4 v[27:28], v[5:8] offset:16
.LBB2192_437:
	s_and_saveexec_b32 s7, s8
	s_cbranch_execnz .LBB2192_439
; %bb.438:
	s_endpgm
.LBB2192_439:
	v_mov_b32_e32 v4, s6
	v_lshlrev_b32_e32 v0, 5, v0
	s_clause 0x7
	buffer_load_dword v1, v4, s[0:3], 0 offen
	buffer_load_dword v2, v4, s[0:3], 0 offen offset:4
	buffer_load_dword v3, v4, s[0:3], 0 offen offset:8
	;; [unrolled: 1-line block ×7, first 2 shown]
	v_add_co_u32 v0, s4, s4, v0
	v_add_co_ci_u32_e64 v10, null, s5, 0, s4
	v_add_co_u32 v9, vcc_lo, 0x4000, v0
	v_add_co_ci_u32_e64 v10, null, 0, v10, vcc_lo
	s_waitcnt vmcnt(1)
	flat_store_dwordx4 v[9:10], v[5:8] offset:16
	s_waitcnt vmcnt(0)
	flat_store_dwordx4 v[9:10], v[1:4]
	s_endpgm
	.section	.rodata,"a",@progbits
	.p2align	6, 0x0
	.amdhsa_kernel _ZN7rocprim17ROCPRIM_400000_NS6detail17trampoline_kernelINS0_14default_configENS1_27scan_by_key_config_selectorIj11FixedVectorIiLj8EEEEZZNS1_16scan_by_key_implILNS1_25lookback_scan_determinismE0ELb1ES3_N6thrust23THRUST_200600_302600_NS6detail15normal_iteratorINSB_10device_ptrIjEEEENSD_INSE_IS6_EEEESI_S6_NSB_4plusIvEENSB_8equal_toIvEES6_EE10hipError_tPvRmT2_T3_T4_T5_mT6_T7_P12ihipStream_tbENKUlT_T0_E_clISt17integral_constantIbLb0EES12_IbLb1EEEEDaSY_SZ_EUlSY_E_NS1_11comp_targetILNS1_3genE8ELNS1_11target_archE1030ELNS1_3gpuE2ELNS1_3repE0EEENS1_30default_config_static_selectorELNS0_4arch9wavefront6targetE0EEEvT1_
		.amdhsa_group_segment_fixed_size 24576
		.amdhsa_private_segment_fixed_size 432
		.amdhsa_kernarg_size 160
		.amdhsa_user_sgpr_count 6
		.amdhsa_user_sgpr_private_segment_buffer 1
		.amdhsa_user_sgpr_dispatch_ptr 0
		.amdhsa_user_sgpr_queue_ptr 0
		.amdhsa_user_sgpr_kernarg_segment_ptr 1
		.amdhsa_user_sgpr_dispatch_id 0
		.amdhsa_user_sgpr_flat_scratch_init 0
		.amdhsa_user_sgpr_private_segment_size 0
		.amdhsa_wavefront_size32 1
		.amdhsa_uses_dynamic_stack 0
		.amdhsa_system_sgpr_private_segment_wavefront_offset 1
		.amdhsa_system_sgpr_workgroup_id_x 1
		.amdhsa_system_sgpr_workgroup_id_y 0
		.amdhsa_system_sgpr_workgroup_id_z 0
		.amdhsa_system_sgpr_workgroup_info 0
		.amdhsa_system_vgpr_workitem_id 0
		.amdhsa_next_free_vgpr 81
		.amdhsa_next_free_sgpr 49
		.amdhsa_reserve_vcc 1
		.amdhsa_reserve_flat_scratch 1
		.amdhsa_float_round_mode_32 0
		.amdhsa_float_round_mode_16_64 0
		.amdhsa_float_denorm_mode_32 3
		.amdhsa_float_denorm_mode_16_64 3
		.amdhsa_dx10_clamp 1
		.amdhsa_ieee_mode 1
		.amdhsa_fp16_overflow 0
		.amdhsa_workgroup_processor_mode 1
		.amdhsa_memory_ordered 1
		.amdhsa_forward_progress 1
		.amdhsa_shared_vgpr_count 0
		.amdhsa_exception_fp_ieee_invalid_op 0
		.amdhsa_exception_fp_denorm_src 0
		.amdhsa_exception_fp_ieee_div_zero 0
		.amdhsa_exception_fp_ieee_overflow 0
		.amdhsa_exception_fp_ieee_underflow 0
		.amdhsa_exception_fp_ieee_inexact 0
		.amdhsa_exception_int_div_zero 0
	.end_amdhsa_kernel
	.section	.text._ZN7rocprim17ROCPRIM_400000_NS6detail17trampoline_kernelINS0_14default_configENS1_27scan_by_key_config_selectorIj11FixedVectorIiLj8EEEEZZNS1_16scan_by_key_implILNS1_25lookback_scan_determinismE0ELb1ES3_N6thrust23THRUST_200600_302600_NS6detail15normal_iteratorINSB_10device_ptrIjEEEENSD_INSE_IS6_EEEESI_S6_NSB_4plusIvEENSB_8equal_toIvEES6_EE10hipError_tPvRmT2_T3_T4_T5_mT6_T7_P12ihipStream_tbENKUlT_T0_E_clISt17integral_constantIbLb0EES12_IbLb1EEEEDaSY_SZ_EUlSY_E_NS1_11comp_targetILNS1_3genE8ELNS1_11target_archE1030ELNS1_3gpuE2ELNS1_3repE0EEENS1_30default_config_static_selectorELNS0_4arch9wavefront6targetE0EEEvT1_,"axG",@progbits,_ZN7rocprim17ROCPRIM_400000_NS6detail17trampoline_kernelINS0_14default_configENS1_27scan_by_key_config_selectorIj11FixedVectorIiLj8EEEEZZNS1_16scan_by_key_implILNS1_25lookback_scan_determinismE0ELb1ES3_N6thrust23THRUST_200600_302600_NS6detail15normal_iteratorINSB_10device_ptrIjEEEENSD_INSE_IS6_EEEESI_S6_NSB_4plusIvEENSB_8equal_toIvEES6_EE10hipError_tPvRmT2_T3_T4_T5_mT6_T7_P12ihipStream_tbENKUlT_T0_E_clISt17integral_constantIbLb0EES12_IbLb1EEEEDaSY_SZ_EUlSY_E_NS1_11comp_targetILNS1_3genE8ELNS1_11target_archE1030ELNS1_3gpuE2ELNS1_3repE0EEENS1_30default_config_static_selectorELNS0_4arch9wavefront6targetE0EEEvT1_,comdat
.Lfunc_end2192:
	.size	_ZN7rocprim17ROCPRIM_400000_NS6detail17trampoline_kernelINS0_14default_configENS1_27scan_by_key_config_selectorIj11FixedVectorIiLj8EEEEZZNS1_16scan_by_key_implILNS1_25lookback_scan_determinismE0ELb1ES3_N6thrust23THRUST_200600_302600_NS6detail15normal_iteratorINSB_10device_ptrIjEEEENSD_INSE_IS6_EEEESI_S6_NSB_4plusIvEENSB_8equal_toIvEES6_EE10hipError_tPvRmT2_T3_T4_T5_mT6_T7_P12ihipStream_tbENKUlT_T0_E_clISt17integral_constantIbLb0EES12_IbLb1EEEEDaSY_SZ_EUlSY_E_NS1_11comp_targetILNS1_3genE8ELNS1_11target_archE1030ELNS1_3gpuE2ELNS1_3repE0EEENS1_30default_config_static_selectorELNS0_4arch9wavefront6targetE0EEEvT1_, .Lfunc_end2192-_ZN7rocprim17ROCPRIM_400000_NS6detail17trampoline_kernelINS0_14default_configENS1_27scan_by_key_config_selectorIj11FixedVectorIiLj8EEEEZZNS1_16scan_by_key_implILNS1_25lookback_scan_determinismE0ELb1ES3_N6thrust23THRUST_200600_302600_NS6detail15normal_iteratorINSB_10device_ptrIjEEEENSD_INSE_IS6_EEEESI_S6_NSB_4plusIvEENSB_8equal_toIvEES6_EE10hipError_tPvRmT2_T3_T4_T5_mT6_T7_P12ihipStream_tbENKUlT_T0_E_clISt17integral_constantIbLb0EES12_IbLb1EEEEDaSY_SZ_EUlSY_E_NS1_11comp_targetILNS1_3genE8ELNS1_11target_archE1030ELNS1_3gpuE2ELNS1_3repE0EEENS1_30default_config_static_selectorELNS0_4arch9wavefront6targetE0EEEvT1_
                                        ; -- End function
	.set _ZN7rocprim17ROCPRIM_400000_NS6detail17trampoline_kernelINS0_14default_configENS1_27scan_by_key_config_selectorIj11FixedVectorIiLj8EEEEZZNS1_16scan_by_key_implILNS1_25lookback_scan_determinismE0ELb1ES3_N6thrust23THRUST_200600_302600_NS6detail15normal_iteratorINSB_10device_ptrIjEEEENSD_INSE_IS6_EEEESI_S6_NSB_4plusIvEENSB_8equal_toIvEES6_EE10hipError_tPvRmT2_T3_T4_T5_mT6_T7_P12ihipStream_tbENKUlT_T0_E_clISt17integral_constantIbLb0EES12_IbLb1EEEEDaSY_SZ_EUlSY_E_NS1_11comp_targetILNS1_3genE8ELNS1_11target_archE1030ELNS1_3gpuE2ELNS1_3repE0EEENS1_30default_config_static_selectorELNS0_4arch9wavefront6targetE0EEEvT1_.num_vgpr, 45
	.set _ZN7rocprim17ROCPRIM_400000_NS6detail17trampoline_kernelINS0_14default_configENS1_27scan_by_key_config_selectorIj11FixedVectorIiLj8EEEEZZNS1_16scan_by_key_implILNS1_25lookback_scan_determinismE0ELb1ES3_N6thrust23THRUST_200600_302600_NS6detail15normal_iteratorINSB_10device_ptrIjEEEENSD_INSE_IS6_EEEESI_S6_NSB_4plusIvEENSB_8equal_toIvEES6_EE10hipError_tPvRmT2_T3_T4_T5_mT6_T7_P12ihipStream_tbENKUlT_T0_E_clISt17integral_constantIbLb0EES12_IbLb1EEEEDaSY_SZ_EUlSY_E_NS1_11comp_targetILNS1_3genE8ELNS1_11target_archE1030ELNS1_3gpuE2ELNS1_3repE0EEENS1_30default_config_static_selectorELNS0_4arch9wavefront6targetE0EEEvT1_.num_agpr, 0
	.set _ZN7rocprim17ROCPRIM_400000_NS6detail17trampoline_kernelINS0_14default_configENS1_27scan_by_key_config_selectorIj11FixedVectorIiLj8EEEEZZNS1_16scan_by_key_implILNS1_25lookback_scan_determinismE0ELb1ES3_N6thrust23THRUST_200600_302600_NS6detail15normal_iteratorINSB_10device_ptrIjEEEENSD_INSE_IS6_EEEESI_S6_NSB_4plusIvEENSB_8equal_toIvEES6_EE10hipError_tPvRmT2_T3_T4_T5_mT6_T7_P12ihipStream_tbENKUlT_T0_E_clISt17integral_constantIbLb0EES12_IbLb1EEEEDaSY_SZ_EUlSY_E_NS1_11comp_targetILNS1_3genE8ELNS1_11target_archE1030ELNS1_3gpuE2ELNS1_3repE0EEENS1_30default_config_static_selectorELNS0_4arch9wavefront6targetE0EEEvT1_.numbered_sgpr, 49
	.set _ZN7rocprim17ROCPRIM_400000_NS6detail17trampoline_kernelINS0_14default_configENS1_27scan_by_key_config_selectorIj11FixedVectorIiLj8EEEEZZNS1_16scan_by_key_implILNS1_25lookback_scan_determinismE0ELb1ES3_N6thrust23THRUST_200600_302600_NS6detail15normal_iteratorINSB_10device_ptrIjEEEENSD_INSE_IS6_EEEESI_S6_NSB_4plusIvEENSB_8equal_toIvEES6_EE10hipError_tPvRmT2_T3_T4_T5_mT6_T7_P12ihipStream_tbENKUlT_T0_E_clISt17integral_constantIbLb0EES12_IbLb1EEEEDaSY_SZ_EUlSY_E_NS1_11comp_targetILNS1_3genE8ELNS1_11target_archE1030ELNS1_3gpuE2ELNS1_3repE0EEENS1_30default_config_static_selectorELNS0_4arch9wavefront6targetE0EEEvT1_.num_named_barrier, 0
	.set _ZN7rocprim17ROCPRIM_400000_NS6detail17trampoline_kernelINS0_14default_configENS1_27scan_by_key_config_selectorIj11FixedVectorIiLj8EEEEZZNS1_16scan_by_key_implILNS1_25lookback_scan_determinismE0ELb1ES3_N6thrust23THRUST_200600_302600_NS6detail15normal_iteratorINSB_10device_ptrIjEEEENSD_INSE_IS6_EEEESI_S6_NSB_4plusIvEENSB_8equal_toIvEES6_EE10hipError_tPvRmT2_T3_T4_T5_mT6_T7_P12ihipStream_tbENKUlT_T0_E_clISt17integral_constantIbLb0EES12_IbLb1EEEEDaSY_SZ_EUlSY_E_NS1_11comp_targetILNS1_3genE8ELNS1_11target_archE1030ELNS1_3gpuE2ELNS1_3repE0EEENS1_30default_config_static_selectorELNS0_4arch9wavefront6targetE0EEEvT1_.private_seg_size, 432
	.set _ZN7rocprim17ROCPRIM_400000_NS6detail17trampoline_kernelINS0_14default_configENS1_27scan_by_key_config_selectorIj11FixedVectorIiLj8EEEEZZNS1_16scan_by_key_implILNS1_25lookback_scan_determinismE0ELb1ES3_N6thrust23THRUST_200600_302600_NS6detail15normal_iteratorINSB_10device_ptrIjEEEENSD_INSE_IS6_EEEESI_S6_NSB_4plusIvEENSB_8equal_toIvEES6_EE10hipError_tPvRmT2_T3_T4_T5_mT6_T7_P12ihipStream_tbENKUlT_T0_E_clISt17integral_constantIbLb0EES12_IbLb1EEEEDaSY_SZ_EUlSY_E_NS1_11comp_targetILNS1_3genE8ELNS1_11target_archE1030ELNS1_3gpuE2ELNS1_3repE0EEENS1_30default_config_static_selectorELNS0_4arch9wavefront6targetE0EEEvT1_.uses_vcc, 1
	.set _ZN7rocprim17ROCPRIM_400000_NS6detail17trampoline_kernelINS0_14default_configENS1_27scan_by_key_config_selectorIj11FixedVectorIiLj8EEEEZZNS1_16scan_by_key_implILNS1_25lookback_scan_determinismE0ELb1ES3_N6thrust23THRUST_200600_302600_NS6detail15normal_iteratorINSB_10device_ptrIjEEEENSD_INSE_IS6_EEEESI_S6_NSB_4plusIvEENSB_8equal_toIvEES6_EE10hipError_tPvRmT2_T3_T4_T5_mT6_T7_P12ihipStream_tbENKUlT_T0_E_clISt17integral_constantIbLb0EES12_IbLb1EEEEDaSY_SZ_EUlSY_E_NS1_11comp_targetILNS1_3genE8ELNS1_11target_archE1030ELNS1_3gpuE2ELNS1_3repE0EEENS1_30default_config_static_selectorELNS0_4arch9wavefront6targetE0EEEvT1_.uses_flat_scratch, 1
	.set _ZN7rocprim17ROCPRIM_400000_NS6detail17trampoline_kernelINS0_14default_configENS1_27scan_by_key_config_selectorIj11FixedVectorIiLj8EEEEZZNS1_16scan_by_key_implILNS1_25lookback_scan_determinismE0ELb1ES3_N6thrust23THRUST_200600_302600_NS6detail15normal_iteratorINSB_10device_ptrIjEEEENSD_INSE_IS6_EEEESI_S6_NSB_4plusIvEENSB_8equal_toIvEES6_EE10hipError_tPvRmT2_T3_T4_T5_mT6_T7_P12ihipStream_tbENKUlT_T0_E_clISt17integral_constantIbLb0EES12_IbLb1EEEEDaSY_SZ_EUlSY_E_NS1_11comp_targetILNS1_3genE8ELNS1_11target_archE1030ELNS1_3gpuE2ELNS1_3repE0EEENS1_30default_config_static_selectorELNS0_4arch9wavefront6targetE0EEEvT1_.has_dyn_sized_stack, 0
	.set _ZN7rocprim17ROCPRIM_400000_NS6detail17trampoline_kernelINS0_14default_configENS1_27scan_by_key_config_selectorIj11FixedVectorIiLj8EEEEZZNS1_16scan_by_key_implILNS1_25lookback_scan_determinismE0ELb1ES3_N6thrust23THRUST_200600_302600_NS6detail15normal_iteratorINSB_10device_ptrIjEEEENSD_INSE_IS6_EEEESI_S6_NSB_4plusIvEENSB_8equal_toIvEES6_EE10hipError_tPvRmT2_T3_T4_T5_mT6_T7_P12ihipStream_tbENKUlT_T0_E_clISt17integral_constantIbLb0EES12_IbLb1EEEEDaSY_SZ_EUlSY_E_NS1_11comp_targetILNS1_3genE8ELNS1_11target_archE1030ELNS1_3gpuE2ELNS1_3repE0EEENS1_30default_config_static_selectorELNS0_4arch9wavefront6targetE0EEEvT1_.has_recursion, 0
	.set _ZN7rocprim17ROCPRIM_400000_NS6detail17trampoline_kernelINS0_14default_configENS1_27scan_by_key_config_selectorIj11FixedVectorIiLj8EEEEZZNS1_16scan_by_key_implILNS1_25lookback_scan_determinismE0ELb1ES3_N6thrust23THRUST_200600_302600_NS6detail15normal_iteratorINSB_10device_ptrIjEEEENSD_INSE_IS6_EEEESI_S6_NSB_4plusIvEENSB_8equal_toIvEES6_EE10hipError_tPvRmT2_T3_T4_T5_mT6_T7_P12ihipStream_tbENKUlT_T0_E_clISt17integral_constantIbLb0EES12_IbLb1EEEEDaSY_SZ_EUlSY_E_NS1_11comp_targetILNS1_3genE8ELNS1_11target_archE1030ELNS1_3gpuE2ELNS1_3repE0EEENS1_30default_config_static_selectorELNS0_4arch9wavefront6targetE0EEEvT1_.has_indirect_call, 0
	.section	.AMDGPU.csdata,"",@progbits
; Kernel info:
; codeLenInByte = 34972
; TotalNumSgprs: 51
; NumVgprs: 45
; ScratchSize: 432
; MemoryBound: 1
; FloatMode: 240
; IeeeMode: 1
; LDSByteSize: 24576 bytes/workgroup (compile time only)
; SGPRBlocks: 0
; VGPRBlocks: 10
; NumSGPRsForWavesPerEU: 51
; NumVGPRsForWavesPerEU: 81
; Occupancy: 10
; WaveLimiterHint : 1
; COMPUTE_PGM_RSRC2:SCRATCH_EN: 1
; COMPUTE_PGM_RSRC2:USER_SGPR: 6
; COMPUTE_PGM_RSRC2:TRAP_HANDLER: 0
; COMPUTE_PGM_RSRC2:TGID_X_EN: 1
; COMPUTE_PGM_RSRC2:TGID_Y_EN: 0
; COMPUTE_PGM_RSRC2:TGID_Z_EN: 0
; COMPUTE_PGM_RSRC2:TIDIG_COMP_CNT: 0
	.section	.text._ZN7rocprim17ROCPRIM_400000_NS6detail30init_device_scan_by_key_kernelINS1_19lookback_scan_stateINS0_5tupleIJibEEELb0ELb1EEEN6thrust23THRUST_200600_302600_NS10device_ptrIiEEjNS1_16block_id_wrapperIjLb0EEEEEvT_jjPNSD_10value_typeET0_PNSt15iterator_traitsISG_E10value_typeEmT1_T2_,"axG",@progbits,_ZN7rocprim17ROCPRIM_400000_NS6detail30init_device_scan_by_key_kernelINS1_19lookback_scan_stateINS0_5tupleIJibEEELb0ELb1EEEN6thrust23THRUST_200600_302600_NS10device_ptrIiEEjNS1_16block_id_wrapperIjLb0EEEEEvT_jjPNSD_10value_typeET0_PNSt15iterator_traitsISG_E10value_typeEmT1_T2_,comdat
	.protected	_ZN7rocprim17ROCPRIM_400000_NS6detail30init_device_scan_by_key_kernelINS1_19lookback_scan_stateINS0_5tupleIJibEEELb0ELb1EEEN6thrust23THRUST_200600_302600_NS10device_ptrIiEEjNS1_16block_id_wrapperIjLb0EEEEEvT_jjPNSD_10value_typeET0_PNSt15iterator_traitsISG_E10value_typeEmT1_T2_ ; -- Begin function _ZN7rocprim17ROCPRIM_400000_NS6detail30init_device_scan_by_key_kernelINS1_19lookback_scan_stateINS0_5tupleIJibEEELb0ELb1EEEN6thrust23THRUST_200600_302600_NS10device_ptrIiEEjNS1_16block_id_wrapperIjLb0EEEEEvT_jjPNSD_10value_typeET0_PNSt15iterator_traitsISG_E10value_typeEmT1_T2_
	.globl	_ZN7rocprim17ROCPRIM_400000_NS6detail30init_device_scan_by_key_kernelINS1_19lookback_scan_stateINS0_5tupleIJibEEELb0ELb1EEEN6thrust23THRUST_200600_302600_NS10device_ptrIiEEjNS1_16block_id_wrapperIjLb0EEEEEvT_jjPNSD_10value_typeET0_PNSt15iterator_traitsISG_E10value_typeEmT1_T2_
	.p2align	8
	.type	_ZN7rocprim17ROCPRIM_400000_NS6detail30init_device_scan_by_key_kernelINS1_19lookback_scan_stateINS0_5tupleIJibEEELb0ELb1EEEN6thrust23THRUST_200600_302600_NS10device_ptrIiEEjNS1_16block_id_wrapperIjLb0EEEEEvT_jjPNSD_10value_typeET0_PNSt15iterator_traitsISG_E10value_typeEmT1_T2_,@function
_ZN7rocprim17ROCPRIM_400000_NS6detail30init_device_scan_by_key_kernelINS1_19lookback_scan_stateINS0_5tupleIJibEEELb0ELb1EEEN6thrust23THRUST_200600_302600_NS10device_ptrIiEEjNS1_16block_id_wrapperIjLb0EEEEEvT_jjPNSD_10value_typeET0_PNSt15iterator_traitsISG_E10value_typeEmT1_T2_: ; @_ZN7rocprim17ROCPRIM_400000_NS6detail30init_device_scan_by_key_kernelINS1_19lookback_scan_stateINS0_5tupleIJibEEELb0ELb1EEEN6thrust23THRUST_200600_302600_NS10device_ptrIiEEjNS1_16block_id_wrapperIjLb0EEEEEvT_jjPNSD_10value_typeET0_PNSt15iterator_traitsISG_E10value_typeEmT1_T2_
; %bb.0:
	s_clause 0x2
	s_load_dword s0, s[4:5], 0x44
	s_load_dwordx8 s[8:15], s[4:5], 0x0
	s_load_dword s7, s[4:5], 0x38
	s_waitcnt lgkmcnt(0)
	s_and_b32 s16, s0, 0xffff
	s_cmp_eq_u64 s[12:13], 0
	v_mad_u64_u32 v[4:5], null, s6, s16, v[0:1]
	s_cbranch_scc1 .LBB2193_8
; %bb.1:
	s_cmp_lt_u32 s11, s10
	s_mov_b32 s1, 0
	s_cselect_b32 s0, s11, 0
	s_mov_b32 s2, exec_lo
	v_cmpx_eq_u32_e64 s0, v4
	s_cbranch_execz .LBB2193_7
; %bb.2:
	s_add_i32 s0, s11, 32
	v_mov_b32_e32 v6, 0
	s_lshl_b64 s[0:1], s[0:1], 4
	s_mov_b32 s3, exec_lo
	s_add_u32 s0, s8, s0
	s_addc_u32 s1, s9, s1
	v_mov_b32_e32 v0, s0
	v_mov_b32_e32 v1, s1
	;;#ASMSTART
	global_load_dwordx4 v[0:3], v[0:1] off glc dlc	
s_waitcnt vmcnt(0)
	;;#ASMEND
	v_and_b32_e32 v5, 0xff, v2
	v_cmpx_eq_u64_e32 0, v[5:6]
	s_cbranch_execz .LBB2193_6
; %bb.3:
	v_mov_b32_e32 v8, s1
	v_mov_b32_e32 v7, s0
	s_mov_b32 s0, 0
.LBB2193_4:                             ; =>This Inner Loop Header: Depth=1
	;;#ASMSTART
	global_load_dwordx4 v[0:3], v[7:8] off glc dlc	
s_waitcnt vmcnt(0)
	;;#ASMEND
	v_and_b32_e32 v5, 0xff, v2
	v_cmp_ne_u64_e32 vcc_lo, 0, v[5:6]
	s_or_b32 s0, vcc_lo, s0
	s_andn2_b32 exec_lo, exec_lo, s0
	s_cbranch_execnz .LBB2193_4
; %bb.5:
	s_or_b32 exec_lo, exec_lo, s0
.LBB2193_6:
	s_or_b32 exec_lo, exec_lo, s3
	v_mov_b32_e32 v2, 0
	global_store_dword v2, v0, s[12:13]
	global_store_byte v2, v1, s[12:13] offset:4
.LBB2193_7:
	s_or_b32 exec_lo, exec_lo, s2
.LBB2193_8:
	s_mov_b32 s0, exec_lo
	v_cmpx_gt_u32_e64 s10, v4
	s_cbranch_execz .LBB2193_10
; %bb.9:
	v_add_nc_u32_e32 v0, 32, v4
	v_mov_b32_e32 v1, 0
	v_lshlrev_b64 v[5:6], 4, v[0:1]
	v_mov_b32_e32 v0, v1
	v_mov_b32_e32 v2, v1
	;; [unrolled: 1-line block ×3, first 2 shown]
	v_add_co_u32 v5, vcc_lo, s8, v5
	v_add_co_ci_u32_e64 v6, null, s9, v6, vcc_lo
	global_store_dwordx4 v[5:6], v[0:3], off
.LBB2193_10:
	s_or_b32 exec_lo, exec_lo, s0
	v_mov_b32_e32 v5, 0
	s_mov_b32 s0, exec_lo
	v_cmpx_gt_u32_e32 32, v4
	s_cbranch_execz .LBB2193_12
; %bb.11:
	v_lshlrev_b64 v[6:7], 4, v[4:5]
	v_mov_b32_e32 v2, 0xff
	v_mov_b32_e32 v0, v5
	;; [unrolled: 1-line block ×4, first 2 shown]
	v_add_co_u32 v6, vcc_lo, s8, v6
	v_add_co_ci_u32_e64 v7, null, s9, v7, vcc_lo
	global_store_dwordx4 v[6:7], v[0:3], off
.LBB2193_12:
	s_or_b32 exec_lo, exec_lo, s0
	s_load_dwordx2 s[2:3], s[4:5], 0x28
	s_mov_b32 s0, exec_lo
	s_waitcnt lgkmcnt(0)
	v_cmpx_gt_u64_e64 s[2:3], v[4:5]
	s_cbranch_execz .LBB2193_15
; %bb.13:
	s_clause 0x1
	s_load_dword s6, s[4:5], 0x30
	s_load_dwordx2 s[8:9], s[4:5], 0x20
	s_mov_b32 s1, 0
	v_lshlrev_b64 v[2:3], 2, v[4:5]
	s_mul_i32 s4, s7, s16
	s_waitcnt lgkmcnt(0)
	v_mad_u64_u32 v[0:1], null, s6, v4, 0
	s_add_i32 s0, s6, -1
	s_mul_hi_u32 s7, s6, s4
	s_lshl_b64 s[10:11], s[0:1], 2
	s_mul_i32 s6, s6, s4
	s_add_u32 s0, s14, s10
	s_addc_u32 s5, s15, s11
	v_lshlrev_b64 v[0:1], 2, v[0:1]
	s_lshl_b64 s[6:7], s[6:7], 2
	v_add_co_u32 v0, vcc_lo, s0, v0
	v_add_co_ci_u32_e64 v1, null, s5, v1, vcc_lo
	v_add_co_u32 v2, vcc_lo, s8, v2
	v_add_co_ci_u32_e64 v3, null, s9, v3, vcc_lo
	s_mov_b32 s5, s1
	s_lshl_b64 s[8:9], s[4:5], 2
	.p2align	6
.LBB2193_14:                            ; =>This Inner Loop Header: Depth=1
	global_load_dword v6, v[0:1], off
	v_add_co_u32 v4, vcc_lo, v4, s4
	v_add_co_ci_u32_e64 v5, null, 0, v5, vcc_lo
	v_add_co_u32 v0, vcc_lo, v0, s6
	v_add_co_ci_u32_e64 v1, null, s7, v1, vcc_lo
	v_cmp_le_u64_e32 vcc_lo, s[2:3], v[4:5]
	s_or_b32 s1, vcc_lo, s1
	s_waitcnt vmcnt(0)
	global_store_dword v[2:3], v6, off
	v_add_co_u32 v2, s0, v2, s8
	v_add_co_ci_u32_e64 v3, null, s9, v3, s0
	s_andn2_b32 exec_lo, exec_lo, s1
	s_cbranch_execnz .LBB2193_14
.LBB2193_15:
	s_endpgm
	.section	.rodata,"a",@progbits
	.p2align	6, 0x0
	.amdhsa_kernel _ZN7rocprim17ROCPRIM_400000_NS6detail30init_device_scan_by_key_kernelINS1_19lookback_scan_stateINS0_5tupleIJibEEELb0ELb1EEEN6thrust23THRUST_200600_302600_NS10device_ptrIiEEjNS1_16block_id_wrapperIjLb0EEEEEvT_jjPNSD_10value_typeET0_PNSt15iterator_traitsISG_E10value_typeEmT1_T2_
		.amdhsa_group_segment_fixed_size 0
		.amdhsa_private_segment_fixed_size 0
		.amdhsa_kernarg_size 312
		.amdhsa_user_sgpr_count 6
		.amdhsa_user_sgpr_private_segment_buffer 1
		.amdhsa_user_sgpr_dispatch_ptr 0
		.amdhsa_user_sgpr_queue_ptr 0
		.amdhsa_user_sgpr_kernarg_segment_ptr 1
		.amdhsa_user_sgpr_dispatch_id 0
		.amdhsa_user_sgpr_flat_scratch_init 0
		.amdhsa_user_sgpr_private_segment_size 0
		.amdhsa_wavefront_size32 1
		.amdhsa_uses_dynamic_stack 0
		.amdhsa_system_sgpr_private_segment_wavefront_offset 0
		.amdhsa_system_sgpr_workgroup_id_x 1
		.amdhsa_system_sgpr_workgroup_id_y 0
		.amdhsa_system_sgpr_workgroup_id_z 0
		.amdhsa_system_sgpr_workgroup_info 0
		.amdhsa_system_vgpr_workitem_id 0
		.amdhsa_next_free_vgpr 9
		.amdhsa_next_free_sgpr 17
		.amdhsa_reserve_vcc 1
		.amdhsa_reserve_flat_scratch 0
		.amdhsa_float_round_mode_32 0
		.amdhsa_float_round_mode_16_64 0
		.amdhsa_float_denorm_mode_32 3
		.amdhsa_float_denorm_mode_16_64 3
		.amdhsa_dx10_clamp 1
		.amdhsa_ieee_mode 1
		.amdhsa_fp16_overflow 0
		.amdhsa_workgroup_processor_mode 1
		.amdhsa_memory_ordered 1
		.amdhsa_forward_progress 1
		.amdhsa_shared_vgpr_count 0
		.amdhsa_exception_fp_ieee_invalid_op 0
		.amdhsa_exception_fp_denorm_src 0
		.amdhsa_exception_fp_ieee_div_zero 0
		.amdhsa_exception_fp_ieee_overflow 0
		.amdhsa_exception_fp_ieee_underflow 0
		.amdhsa_exception_fp_ieee_inexact 0
		.amdhsa_exception_int_div_zero 0
	.end_amdhsa_kernel
	.section	.text._ZN7rocprim17ROCPRIM_400000_NS6detail30init_device_scan_by_key_kernelINS1_19lookback_scan_stateINS0_5tupleIJibEEELb0ELb1EEEN6thrust23THRUST_200600_302600_NS10device_ptrIiEEjNS1_16block_id_wrapperIjLb0EEEEEvT_jjPNSD_10value_typeET0_PNSt15iterator_traitsISG_E10value_typeEmT1_T2_,"axG",@progbits,_ZN7rocprim17ROCPRIM_400000_NS6detail30init_device_scan_by_key_kernelINS1_19lookback_scan_stateINS0_5tupleIJibEEELb0ELb1EEEN6thrust23THRUST_200600_302600_NS10device_ptrIiEEjNS1_16block_id_wrapperIjLb0EEEEEvT_jjPNSD_10value_typeET0_PNSt15iterator_traitsISG_E10value_typeEmT1_T2_,comdat
.Lfunc_end2193:
	.size	_ZN7rocprim17ROCPRIM_400000_NS6detail30init_device_scan_by_key_kernelINS1_19lookback_scan_stateINS0_5tupleIJibEEELb0ELb1EEEN6thrust23THRUST_200600_302600_NS10device_ptrIiEEjNS1_16block_id_wrapperIjLb0EEEEEvT_jjPNSD_10value_typeET0_PNSt15iterator_traitsISG_E10value_typeEmT1_T2_, .Lfunc_end2193-_ZN7rocprim17ROCPRIM_400000_NS6detail30init_device_scan_by_key_kernelINS1_19lookback_scan_stateINS0_5tupleIJibEEELb0ELb1EEEN6thrust23THRUST_200600_302600_NS10device_ptrIiEEjNS1_16block_id_wrapperIjLb0EEEEEvT_jjPNSD_10value_typeET0_PNSt15iterator_traitsISG_E10value_typeEmT1_T2_
                                        ; -- End function
	.set _ZN7rocprim17ROCPRIM_400000_NS6detail30init_device_scan_by_key_kernelINS1_19lookback_scan_stateINS0_5tupleIJibEEELb0ELb1EEEN6thrust23THRUST_200600_302600_NS10device_ptrIiEEjNS1_16block_id_wrapperIjLb0EEEEEvT_jjPNSD_10value_typeET0_PNSt15iterator_traitsISG_E10value_typeEmT1_T2_.num_vgpr, 9
	.set _ZN7rocprim17ROCPRIM_400000_NS6detail30init_device_scan_by_key_kernelINS1_19lookback_scan_stateINS0_5tupleIJibEEELb0ELb1EEEN6thrust23THRUST_200600_302600_NS10device_ptrIiEEjNS1_16block_id_wrapperIjLb0EEEEEvT_jjPNSD_10value_typeET0_PNSt15iterator_traitsISG_E10value_typeEmT1_T2_.num_agpr, 0
	.set _ZN7rocprim17ROCPRIM_400000_NS6detail30init_device_scan_by_key_kernelINS1_19lookback_scan_stateINS0_5tupleIJibEEELb0ELb1EEEN6thrust23THRUST_200600_302600_NS10device_ptrIiEEjNS1_16block_id_wrapperIjLb0EEEEEvT_jjPNSD_10value_typeET0_PNSt15iterator_traitsISG_E10value_typeEmT1_T2_.numbered_sgpr, 17
	.set _ZN7rocprim17ROCPRIM_400000_NS6detail30init_device_scan_by_key_kernelINS1_19lookback_scan_stateINS0_5tupleIJibEEELb0ELb1EEEN6thrust23THRUST_200600_302600_NS10device_ptrIiEEjNS1_16block_id_wrapperIjLb0EEEEEvT_jjPNSD_10value_typeET0_PNSt15iterator_traitsISG_E10value_typeEmT1_T2_.num_named_barrier, 0
	.set _ZN7rocprim17ROCPRIM_400000_NS6detail30init_device_scan_by_key_kernelINS1_19lookback_scan_stateINS0_5tupleIJibEEELb0ELb1EEEN6thrust23THRUST_200600_302600_NS10device_ptrIiEEjNS1_16block_id_wrapperIjLb0EEEEEvT_jjPNSD_10value_typeET0_PNSt15iterator_traitsISG_E10value_typeEmT1_T2_.private_seg_size, 0
	.set _ZN7rocprim17ROCPRIM_400000_NS6detail30init_device_scan_by_key_kernelINS1_19lookback_scan_stateINS0_5tupleIJibEEELb0ELb1EEEN6thrust23THRUST_200600_302600_NS10device_ptrIiEEjNS1_16block_id_wrapperIjLb0EEEEEvT_jjPNSD_10value_typeET0_PNSt15iterator_traitsISG_E10value_typeEmT1_T2_.uses_vcc, 1
	.set _ZN7rocprim17ROCPRIM_400000_NS6detail30init_device_scan_by_key_kernelINS1_19lookback_scan_stateINS0_5tupleIJibEEELb0ELb1EEEN6thrust23THRUST_200600_302600_NS10device_ptrIiEEjNS1_16block_id_wrapperIjLb0EEEEEvT_jjPNSD_10value_typeET0_PNSt15iterator_traitsISG_E10value_typeEmT1_T2_.uses_flat_scratch, 0
	.set _ZN7rocprim17ROCPRIM_400000_NS6detail30init_device_scan_by_key_kernelINS1_19lookback_scan_stateINS0_5tupleIJibEEELb0ELb1EEEN6thrust23THRUST_200600_302600_NS10device_ptrIiEEjNS1_16block_id_wrapperIjLb0EEEEEvT_jjPNSD_10value_typeET0_PNSt15iterator_traitsISG_E10value_typeEmT1_T2_.has_dyn_sized_stack, 0
	.set _ZN7rocprim17ROCPRIM_400000_NS6detail30init_device_scan_by_key_kernelINS1_19lookback_scan_stateINS0_5tupleIJibEEELb0ELb1EEEN6thrust23THRUST_200600_302600_NS10device_ptrIiEEjNS1_16block_id_wrapperIjLb0EEEEEvT_jjPNSD_10value_typeET0_PNSt15iterator_traitsISG_E10value_typeEmT1_T2_.has_recursion, 0
	.set _ZN7rocprim17ROCPRIM_400000_NS6detail30init_device_scan_by_key_kernelINS1_19lookback_scan_stateINS0_5tupleIJibEEELb0ELb1EEEN6thrust23THRUST_200600_302600_NS10device_ptrIiEEjNS1_16block_id_wrapperIjLb0EEEEEvT_jjPNSD_10value_typeET0_PNSt15iterator_traitsISG_E10value_typeEmT1_T2_.has_indirect_call, 0
	.section	.AMDGPU.csdata,"",@progbits
; Kernel info:
; codeLenInByte = 664
; TotalNumSgprs: 19
; NumVgprs: 9
; ScratchSize: 0
; MemoryBound: 0
; FloatMode: 240
; IeeeMode: 1
; LDSByteSize: 0 bytes/workgroup (compile time only)
; SGPRBlocks: 0
; VGPRBlocks: 1
; NumSGPRsForWavesPerEU: 19
; NumVGPRsForWavesPerEU: 9
; Occupancy: 16
; WaveLimiterHint : 0
; COMPUTE_PGM_RSRC2:SCRATCH_EN: 0
; COMPUTE_PGM_RSRC2:USER_SGPR: 6
; COMPUTE_PGM_RSRC2:TRAP_HANDLER: 0
; COMPUTE_PGM_RSRC2:TGID_X_EN: 1
; COMPUTE_PGM_RSRC2:TGID_Y_EN: 0
; COMPUTE_PGM_RSRC2:TGID_Z_EN: 0
; COMPUTE_PGM_RSRC2:TIDIG_COMP_CNT: 0
	.section	.text._ZN7rocprim17ROCPRIM_400000_NS6detail17trampoline_kernelINS0_14default_configENS1_27scan_by_key_config_selectorIiiEEZZNS1_16scan_by_key_implILNS1_25lookback_scan_determinismE0ELb0ES3_N6thrust23THRUST_200600_302600_NS10device_ptrIiEESB_SB_iNS9_4plusIvEENS9_8equal_toIvEEiEE10hipError_tPvRmT2_T3_T4_T5_mT6_T7_P12ihipStream_tbENKUlT_T0_E_clISt17integral_constantIbLb0EESW_EEDaSR_SS_EUlSR_E_NS1_11comp_targetILNS1_3genE0ELNS1_11target_archE4294967295ELNS1_3gpuE0ELNS1_3repE0EEENS1_30default_config_static_selectorELNS0_4arch9wavefront6targetE0EEEvT1_,"axG",@progbits,_ZN7rocprim17ROCPRIM_400000_NS6detail17trampoline_kernelINS0_14default_configENS1_27scan_by_key_config_selectorIiiEEZZNS1_16scan_by_key_implILNS1_25lookback_scan_determinismE0ELb0ES3_N6thrust23THRUST_200600_302600_NS10device_ptrIiEESB_SB_iNS9_4plusIvEENS9_8equal_toIvEEiEE10hipError_tPvRmT2_T3_T4_T5_mT6_T7_P12ihipStream_tbENKUlT_T0_E_clISt17integral_constantIbLb0EESW_EEDaSR_SS_EUlSR_E_NS1_11comp_targetILNS1_3genE0ELNS1_11target_archE4294967295ELNS1_3gpuE0ELNS1_3repE0EEENS1_30default_config_static_selectorELNS0_4arch9wavefront6targetE0EEEvT1_,comdat
	.protected	_ZN7rocprim17ROCPRIM_400000_NS6detail17trampoline_kernelINS0_14default_configENS1_27scan_by_key_config_selectorIiiEEZZNS1_16scan_by_key_implILNS1_25lookback_scan_determinismE0ELb0ES3_N6thrust23THRUST_200600_302600_NS10device_ptrIiEESB_SB_iNS9_4plusIvEENS9_8equal_toIvEEiEE10hipError_tPvRmT2_T3_T4_T5_mT6_T7_P12ihipStream_tbENKUlT_T0_E_clISt17integral_constantIbLb0EESW_EEDaSR_SS_EUlSR_E_NS1_11comp_targetILNS1_3genE0ELNS1_11target_archE4294967295ELNS1_3gpuE0ELNS1_3repE0EEENS1_30default_config_static_selectorELNS0_4arch9wavefront6targetE0EEEvT1_ ; -- Begin function _ZN7rocprim17ROCPRIM_400000_NS6detail17trampoline_kernelINS0_14default_configENS1_27scan_by_key_config_selectorIiiEEZZNS1_16scan_by_key_implILNS1_25lookback_scan_determinismE0ELb0ES3_N6thrust23THRUST_200600_302600_NS10device_ptrIiEESB_SB_iNS9_4plusIvEENS9_8equal_toIvEEiEE10hipError_tPvRmT2_T3_T4_T5_mT6_T7_P12ihipStream_tbENKUlT_T0_E_clISt17integral_constantIbLb0EESW_EEDaSR_SS_EUlSR_E_NS1_11comp_targetILNS1_3genE0ELNS1_11target_archE4294967295ELNS1_3gpuE0ELNS1_3repE0EEENS1_30default_config_static_selectorELNS0_4arch9wavefront6targetE0EEEvT1_
	.globl	_ZN7rocprim17ROCPRIM_400000_NS6detail17trampoline_kernelINS0_14default_configENS1_27scan_by_key_config_selectorIiiEEZZNS1_16scan_by_key_implILNS1_25lookback_scan_determinismE0ELb0ES3_N6thrust23THRUST_200600_302600_NS10device_ptrIiEESB_SB_iNS9_4plusIvEENS9_8equal_toIvEEiEE10hipError_tPvRmT2_T3_T4_T5_mT6_T7_P12ihipStream_tbENKUlT_T0_E_clISt17integral_constantIbLb0EESW_EEDaSR_SS_EUlSR_E_NS1_11comp_targetILNS1_3genE0ELNS1_11target_archE4294967295ELNS1_3gpuE0ELNS1_3repE0EEENS1_30default_config_static_selectorELNS0_4arch9wavefront6targetE0EEEvT1_
	.p2align	8
	.type	_ZN7rocprim17ROCPRIM_400000_NS6detail17trampoline_kernelINS0_14default_configENS1_27scan_by_key_config_selectorIiiEEZZNS1_16scan_by_key_implILNS1_25lookback_scan_determinismE0ELb0ES3_N6thrust23THRUST_200600_302600_NS10device_ptrIiEESB_SB_iNS9_4plusIvEENS9_8equal_toIvEEiEE10hipError_tPvRmT2_T3_T4_T5_mT6_T7_P12ihipStream_tbENKUlT_T0_E_clISt17integral_constantIbLb0EESW_EEDaSR_SS_EUlSR_E_NS1_11comp_targetILNS1_3genE0ELNS1_11target_archE4294967295ELNS1_3gpuE0ELNS1_3repE0EEENS1_30default_config_static_selectorELNS0_4arch9wavefront6targetE0EEEvT1_,@function
_ZN7rocprim17ROCPRIM_400000_NS6detail17trampoline_kernelINS0_14default_configENS1_27scan_by_key_config_selectorIiiEEZZNS1_16scan_by_key_implILNS1_25lookback_scan_determinismE0ELb0ES3_N6thrust23THRUST_200600_302600_NS10device_ptrIiEESB_SB_iNS9_4plusIvEENS9_8equal_toIvEEiEE10hipError_tPvRmT2_T3_T4_T5_mT6_T7_P12ihipStream_tbENKUlT_T0_E_clISt17integral_constantIbLb0EESW_EEDaSR_SS_EUlSR_E_NS1_11comp_targetILNS1_3genE0ELNS1_11target_archE4294967295ELNS1_3gpuE0ELNS1_3repE0EEENS1_30default_config_static_selectorELNS0_4arch9wavefront6targetE0EEEvT1_: ; @_ZN7rocprim17ROCPRIM_400000_NS6detail17trampoline_kernelINS0_14default_configENS1_27scan_by_key_config_selectorIiiEEZZNS1_16scan_by_key_implILNS1_25lookback_scan_determinismE0ELb0ES3_N6thrust23THRUST_200600_302600_NS10device_ptrIiEESB_SB_iNS9_4plusIvEENS9_8equal_toIvEEiEE10hipError_tPvRmT2_T3_T4_T5_mT6_T7_P12ihipStream_tbENKUlT_T0_E_clISt17integral_constantIbLb0EESW_EEDaSR_SS_EUlSR_E_NS1_11comp_targetILNS1_3genE0ELNS1_11target_archE4294967295ELNS1_3gpuE0ELNS1_3repE0EEENS1_30default_config_static_selectorELNS0_4arch9wavefront6targetE0EEEvT1_
; %bb.0:
	.section	.rodata,"a",@progbits
	.p2align	6, 0x0
	.amdhsa_kernel _ZN7rocprim17ROCPRIM_400000_NS6detail17trampoline_kernelINS0_14default_configENS1_27scan_by_key_config_selectorIiiEEZZNS1_16scan_by_key_implILNS1_25lookback_scan_determinismE0ELb0ES3_N6thrust23THRUST_200600_302600_NS10device_ptrIiEESB_SB_iNS9_4plusIvEENS9_8equal_toIvEEiEE10hipError_tPvRmT2_T3_T4_T5_mT6_T7_P12ihipStream_tbENKUlT_T0_E_clISt17integral_constantIbLb0EESW_EEDaSR_SS_EUlSR_E_NS1_11comp_targetILNS1_3genE0ELNS1_11target_archE4294967295ELNS1_3gpuE0ELNS1_3repE0EEENS1_30default_config_static_selectorELNS0_4arch9wavefront6targetE0EEEvT1_
		.amdhsa_group_segment_fixed_size 0
		.amdhsa_private_segment_fixed_size 0
		.amdhsa_kernarg_size 112
		.amdhsa_user_sgpr_count 6
		.amdhsa_user_sgpr_private_segment_buffer 1
		.amdhsa_user_sgpr_dispatch_ptr 0
		.amdhsa_user_sgpr_queue_ptr 0
		.amdhsa_user_sgpr_kernarg_segment_ptr 1
		.amdhsa_user_sgpr_dispatch_id 0
		.amdhsa_user_sgpr_flat_scratch_init 0
		.amdhsa_user_sgpr_private_segment_size 0
		.amdhsa_wavefront_size32 1
		.amdhsa_uses_dynamic_stack 0
		.amdhsa_system_sgpr_private_segment_wavefront_offset 0
		.amdhsa_system_sgpr_workgroup_id_x 1
		.amdhsa_system_sgpr_workgroup_id_y 0
		.amdhsa_system_sgpr_workgroup_id_z 0
		.amdhsa_system_sgpr_workgroup_info 0
		.amdhsa_system_vgpr_workitem_id 0
		.amdhsa_next_free_vgpr 1
		.amdhsa_next_free_sgpr 1
		.amdhsa_reserve_vcc 0
		.amdhsa_reserve_flat_scratch 0
		.amdhsa_float_round_mode_32 0
		.amdhsa_float_round_mode_16_64 0
		.amdhsa_float_denorm_mode_32 3
		.amdhsa_float_denorm_mode_16_64 3
		.amdhsa_dx10_clamp 1
		.amdhsa_ieee_mode 1
		.amdhsa_fp16_overflow 0
		.amdhsa_workgroup_processor_mode 1
		.amdhsa_memory_ordered 1
		.amdhsa_forward_progress 1
		.amdhsa_shared_vgpr_count 0
		.amdhsa_exception_fp_ieee_invalid_op 0
		.amdhsa_exception_fp_denorm_src 0
		.amdhsa_exception_fp_ieee_div_zero 0
		.amdhsa_exception_fp_ieee_overflow 0
		.amdhsa_exception_fp_ieee_underflow 0
		.amdhsa_exception_fp_ieee_inexact 0
		.amdhsa_exception_int_div_zero 0
	.end_amdhsa_kernel
	.section	.text._ZN7rocprim17ROCPRIM_400000_NS6detail17trampoline_kernelINS0_14default_configENS1_27scan_by_key_config_selectorIiiEEZZNS1_16scan_by_key_implILNS1_25lookback_scan_determinismE0ELb0ES3_N6thrust23THRUST_200600_302600_NS10device_ptrIiEESB_SB_iNS9_4plusIvEENS9_8equal_toIvEEiEE10hipError_tPvRmT2_T3_T4_T5_mT6_T7_P12ihipStream_tbENKUlT_T0_E_clISt17integral_constantIbLb0EESW_EEDaSR_SS_EUlSR_E_NS1_11comp_targetILNS1_3genE0ELNS1_11target_archE4294967295ELNS1_3gpuE0ELNS1_3repE0EEENS1_30default_config_static_selectorELNS0_4arch9wavefront6targetE0EEEvT1_,"axG",@progbits,_ZN7rocprim17ROCPRIM_400000_NS6detail17trampoline_kernelINS0_14default_configENS1_27scan_by_key_config_selectorIiiEEZZNS1_16scan_by_key_implILNS1_25lookback_scan_determinismE0ELb0ES3_N6thrust23THRUST_200600_302600_NS10device_ptrIiEESB_SB_iNS9_4plusIvEENS9_8equal_toIvEEiEE10hipError_tPvRmT2_T3_T4_T5_mT6_T7_P12ihipStream_tbENKUlT_T0_E_clISt17integral_constantIbLb0EESW_EEDaSR_SS_EUlSR_E_NS1_11comp_targetILNS1_3genE0ELNS1_11target_archE4294967295ELNS1_3gpuE0ELNS1_3repE0EEENS1_30default_config_static_selectorELNS0_4arch9wavefront6targetE0EEEvT1_,comdat
.Lfunc_end2194:
	.size	_ZN7rocprim17ROCPRIM_400000_NS6detail17trampoline_kernelINS0_14default_configENS1_27scan_by_key_config_selectorIiiEEZZNS1_16scan_by_key_implILNS1_25lookback_scan_determinismE0ELb0ES3_N6thrust23THRUST_200600_302600_NS10device_ptrIiEESB_SB_iNS9_4plusIvEENS9_8equal_toIvEEiEE10hipError_tPvRmT2_T3_T4_T5_mT6_T7_P12ihipStream_tbENKUlT_T0_E_clISt17integral_constantIbLb0EESW_EEDaSR_SS_EUlSR_E_NS1_11comp_targetILNS1_3genE0ELNS1_11target_archE4294967295ELNS1_3gpuE0ELNS1_3repE0EEENS1_30default_config_static_selectorELNS0_4arch9wavefront6targetE0EEEvT1_, .Lfunc_end2194-_ZN7rocprim17ROCPRIM_400000_NS6detail17trampoline_kernelINS0_14default_configENS1_27scan_by_key_config_selectorIiiEEZZNS1_16scan_by_key_implILNS1_25lookback_scan_determinismE0ELb0ES3_N6thrust23THRUST_200600_302600_NS10device_ptrIiEESB_SB_iNS9_4plusIvEENS9_8equal_toIvEEiEE10hipError_tPvRmT2_T3_T4_T5_mT6_T7_P12ihipStream_tbENKUlT_T0_E_clISt17integral_constantIbLb0EESW_EEDaSR_SS_EUlSR_E_NS1_11comp_targetILNS1_3genE0ELNS1_11target_archE4294967295ELNS1_3gpuE0ELNS1_3repE0EEENS1_30default_config_static_selectorELNS0_4arch9wavefront6targetE0EEEvT1_
                                        ; -- End function
	.set _ZN7rocprim17ROCPRIM_400000_NS6detail17trampoline_kernelINS0_14default_configENS1_27scan_by_key_config_selectorIiiEEZZNS1_16scan_by_key_implILNS1_25lookback_scan_determinismE0ELb0ES3_N6thrust23THRUST_200600_302600_NS10device_ptrIiEESB_SB_iNS9_4plusIvEENS9_8equal_toIvEEiEE10hipError_tPvRmT2_T3_T4_T5_mT6_T7_P12ihipStream_tbENKUlT_T0_E_clISt17integral_constantIbLb0EESW_EEDaSR_SS_EUlSR_E_NS1_11comp_targetILNS1_3genE0ELNS1_11target_archE4294967295ELNS1_3gpuE0ELNS1_3repE0EEENS1_30default_config_static_selectorELNS0_4arch9wavefront6targetE0EEEvT1_.num_vgpr, 0
	.set _ZN7rocprim17ROCPRIM_400000_NS6detail17trampoline_kernelINS0_14default_configENS1_27scan_by_key_config_selectorIiiEEZZNS1_16scan_by_key_implILNS1_25lookback_scan_determinismE0ELb0ES3_N6thrust23THRUST_200600_302600_NS10device_ptrIiEESB_SB_iNS9_4plusIvEENS9_8equal_toIvEEiEE10hipError_tPvRmT2_T3_T4_T5_mT6_T7_P12ihipStream_tbENKUlT_T0_E_clISt17integral_constantIbLb0EESW_EEDaSR_SS_EUlSR_E_NS1_11comp_targetILNS1_3genE0ELNS1_11target_archE4294967295ELNS1_3gpuE0ELNS1_3repE0EEENS1_30default_config_static_selectorELNS0_4arch9wavefront6targetE0EEEvT1_.num_agpr, 0
	.set _ZN7rocprim17ROCPRIM_400000_NS6detail17trampoline_kernelINS0_14default_configENS1_27scan_by_key_config_selectorIiiEEZZNS1_16scan_by_key_implILNS1_25lookback_scan_determinismE0ELb0ES3_N6thrust23THRUST_200600_302600_NS10device_ptrIiEESB_SB_iNS9_4plusIvEENS9_8equal_toIvEEiEE10hipError_tPvRmT2_T3_T4_T5_mT6_T7_P12ihipStream_tbENKUlT_T0_E_clISt17integral_constantIbLb0EESW_EEDaSR_SS_EUlSR_E_NS1_11comp_targetILNS1_3genE0ELNS1_11target_archE4294967295ELNS1_3gpuE0ELNS1_3repE0EEENS1_30default_config_static_selectorELNS0_4arch9wavefront6targetE0EEEvT1_.numbered_sgpr, 0
	.set _ZN7rocprim17ROCPRIM_400000_NS6detail17trampoline_kernelINS0_14default_configENS1_27scan_by_key_config_selectorIiiEEZZNS1_16scan_by_key_implILNS1_25lookback_scan_determinismE0ELb0ES3_N6thrust23THRUST_200600_302600_NS10device_ptrIiEESB_SB_iNS9_4plusIvEENS9_8equal_toIvEEiEE10hipError_tPvRmT2_T3_T4_T5_mT6_T7_P12ihipStream_tbENKUlT_T0_E_clISt17integral_constantIbLb0EESW_EEDaSR_SS_EUlSR_E_NS1_11comp_targetILNS1_3genE0ELNS1_11target_archE4294967295ELNS1_3gpuE0ELNS1_3repE0EEENS1_30default_config_static_selectorELNS0_4arch9wavefront6targetE0EEEvT1_.num_named_barrier, 0
	.set _ZN7rocprim17ROCPRIM_400000_NS6detail17trampoline_kernelINS0_14default_configENS1_27scan_by_key_config_selectorIiiEEZZNS1_16scan_by_key_implILNS1_25lookback_scan_determinismE0ELb0ES3_N6thrust23THRUST_200600_302600_NS10device_ptrIiEESB_SB_iNS9_4plusIvEENS9_8equal_toIvEEiEE10hipError_tPvRmT2_T3_T4_T5_mT6_T7_P12ihipStream_tbENKUlT_T0_E_clISt17integral_constantIbLb0EESW_EEDaSR_SS_EUlSR_E_NS1_11comp_targetILNS1_3genE0ELNS1_11target_archE4294967295ELNS1_3gpuE0ELNS1_3repE0EEENS1_30default_config_static_selectorELNS0_4arch9wavefront6targetE0EEEvT1_.private_seg_size, 0
	.set _ZN7rocprim17ROCPRIM_400000_NS6detail17trampoline_kernelINS0_14default_configENS1_27scan_by_key_config_selectorIiiEEZZNS1_16scan_by_key_implILNS1_25lookback_scan_determinismE0ELb0ES3_N6thrust23THRUST_200600_302600_NS10device_ptrIiEESB_SB_iNS9_4plusIvEENS9_8equal_toIvEEiEE10hipError_tPvRmT2_T3_T4_T5_mT6_T7_P12ihipStream_tbENKUlT_T0_E_clISt17integral_constantIbLb0EESW_EEDaSR_SS_EUlSR_E_NS1_11comp_targetILNS1_3genE0ELNS1_11target_archE4294967295ELNS1_3gpuE0ELNS1_3repE0EEENS1_30default_config_static_selectorELNS0_4arch9wavefront6targetE0EEEvT1_.uses_vcc, 0
	.set _ZN7rocprim17ROCPRIM_400000_NS6detail17trampoline_kernelINS0_14default_configENS1_27scan_by_key_config_selectorIiiEEZZNS1_16scan_by_key_implILNS1_25lookback_scan_determinismE0ELb0ES3_N6thrust23THRUST_200600_302600_NS10device_ptrIiEESB_SB_iNS9_4plusIvEENS9_8equal_toIvEEiEE10hipError_tPvRmT2_T3_T4_T5_mT6_T7_P12ihipStream_tbENKUlT_T0_E_clISt17integral_constantIbLb0EESW_EEDaSR_SS_EUlSR_E_NS1_11comp_targetILNS1_3genE0ELNS1_11target_archE4294967295ELNS1_3gpuE0ELNS1_3repE0EEENS1_30default_config_static_selectorELNS0_4arch9wavefront6targetE0EEEvT1_.uses_flat_scratch, 0
	.set _ZN7rocprim17ROCPRIM_400000_NS6detail17trampoline_kernelINS0_14default_configENS1_27scan_by_key_config_selectorIiiEEZZNS1_16scan_by_key_implILNS1_25lookback_scan_determinismE0ELb0ES3_N6thrust23THRUST_200600_302600_NS10device_ptrIiEESB_SB_iNS9_4plusIvEENS9_8equal_toIvEEiEE10hipError_tPvRmT2_T3_T4_T5_mT6_T7_P12ihipStream_tbENKUlT_T0_E_clISt17integral_constantIbLb0EESW_EEDaSR_SS_EUlSR_E_NS1_11comp_targetILNS1_3genE0ELNS1_11target_archE4294967295ELNS1_3gpuE0ELNS1_3repE0EEENS1_30default_config_static_selectorELNS0_4arch9wavefront6targetE0EEEvT1_.has_dyn_sized_stack, 0
	.set _ZN7rocprim17ROCPRIM_400000_NS6detail17trampoline_kernelINS0_14default_configENS1_27scan_by_key_config_selectorIiiEEZZNS1_16scan_by_key_implILNS1_25lookback_scan_determinismE0ELb0ES3_N6thrust23THRUST_200600_302600_NS10device_ptrIiEESB_SB_iNS9_4plusIvEENS9_8equal_toIvEEiEE10hipError_tPvRmT2_T3_T4_T5_mT6_T7_P12ihipStream_tbENKUlT_T0_E_clISt17integral_constantIbLb0EESW_EEDaSR_SS_EUlSR_E_NS1_11comp_targetILNS1_3genE0ELNS1_11target_archE4294967295ELNS1_3gpuE0ELNS1_3repE0EEENS1_30default_config_static_selectorELNS0_4arch9wavefront6targetE0EEEvT1_.has_recursion, 0
	.set _ZN7rocprim17ROCPRIM_400000_NS6detail17trampoline_kernelINS0_14default_configENS1_27scan_by_key_config_selectorIiiEEZZNS1_16scan_by_key_implILNS1_25lookback_scan_determinismE0ELb0ES3_N6thrust23THRUST_200600_302600_NS10device_ptrIiEESB_SB_iNS9_4plusIvEENS9_8equal_toIvEEiEE10hipError_tPvRmT2_T3_T4_T5_mT6_T7_P12ihipStream_tbENKUlT_T0_E_clISt17integral_constantIbLb0EESW_EEDaSR_SS_EUlSR_E_NS1_11comp_targetILNS1_3genE0ELNS1_11target_archE4294967295ELNS1_3gpuE0ELNS1_3repE0EEENS1_30default_config_static_selectorELNS0_4arch9wavefront6targetE0EEEvT1_.has_indirect_call, 0
	.section	.AMDGPU.csdata,"",@progbits
; Kernel info:
; codeLenInByte = 0
; TotalNumSgprs: 0
; NumVgprs: 0
; ScratchSize: 0
; MemoryBound: 0
; FloatMode: 240
; IeeeMode: 1
; LDSByteSize: 0 bytes/workgroup (compile time only)
; SGPRBlocks: 0
; VGPRBlocks: 0
; NumSGPRsForWavesPerEU: 1
; NumVGPRsForWavesPerEU: 1
; Occupancy: 16
; WaveLimiterHint : 0
; COMPUTE_PGM_RSRC2:SCRATCH_EN: 0
; COMPUTE_PGM_RSRC2:USER_SGPR: 6
; COMPUTE_PGM_RSRC2:TRAP_HANDLER: 0
; COMPUTE_PGM_RSRC2:TGID_X_EN: 1
; COMPUTE_PGM_RSRC2:TGID_Y_EN: 0
; COMPUTE_PGM_RSRC2:TGID_Z_EN: 0
; COMPUTE_PGM_RSRC2:TIDIG_COMP_CNT: 0
	.section	.text._ZN7rocprim17ROCPRIM_400000_NS6detail17trampoline_kernelINS0_14default_configENS1_27scan_by_key_config_selectorIiiEEZZNS1_16scan_by_key_implILNS1_25lookback_scan_determinismE0ELb0ES3_N6thrust23THRUST_200600_302600_NS10device_ptrIiEESB_SB_iNS9_4plusIvEENS9_8equal_toIvEEiEE10hipError_tPvRmT2_T3_T4_T5_mT6_T7_P12ihipStream_tbENKUlT_T0_E_clISt17integral_constantIbLb0EESW_EEDaSR_SS_EUlSR_E_NS1_11comp_targetILNS1_3genE10ELNS1_11target_archE1201ELNS1_3gpuE5ELNS1_3repE0EEENS1_30default_config_static_selectorELNS0_4arch9wavefront6targetE0EEEvT1_,"axG",@progbits,_ZN7rocprim17ROCPRIM_400000_NS6detail17trampoline_kernelINS0_14default_configENS1_27scan_by_key_config_selectorIiiEEZZNS1_16scan_by_key_implILNS1_25lookback_scan_determinismE0ELb0ES3_N6thrust23THRUST_200600_302600_NS10device_ptrIiEESB_SB_iNS9_4plusIvEENS9_8equal_toIvEEiEE10hipError_tPvRmT2_T3_T4_T5_mT6_T7_P12ihipStream_tbENKUlT_T0_E_clISt17integral_constantIbLb0EESW_EEDaSR_SS_EUlSR_E_NS1_11comp_targetILNS1_3genE10ELNS1_11target_archE1201ELNS1_3gpuE5ELNS1_3repE0EEENS1_30default_config_static_selectorELNS0_4arch9wavefront6targetE0EEEvT1_,comdat
	.protected	_ZN7rocprim17ROCPRIM_400000_NS6detail17trampoline_kernelINS0_14default_configENS1_27scan_by_key_config_selectorIiiEEZZNS1_16scan_by_key_implILNS1_25lookback_scan_determinismE0ELb0ES3_N6thrust23THRUST_200600_302600_NS10device_ptrIiEESB_SB_iNS9_4plusIvEENS9_8equal_toIvEEiEE10hipError_tPvRmT2_T3_T4_T5_mT6_T7_P12ihipStream_tbENKUlT_T0_E_clISt17integral_constantIbLb0EESW_EEDaSR_SS_EUlSR_E_NS1_11comp_targetILNS1_3genE10ELNS1_11target_archE1201ELNS1_3gpuE5ELNS1_3repE0EEENS1_30default_config_static_selectorELNS0_4arch9wavefront6targetE0EEEvT1_ ; -- Begin function _ZN7rocprim17ROCPRIM_400000_NS6detail17trampoline_kernelINS0_14default_configENS1_27scan_by_key_config_selectorIiiEEZZNS1_16scan_by_key_implILNS1_25lookback_scan_determinismE0ELb0ES3_N6thrust23THRUST_200600_302600_NS10device_ptrIiEESB_SB_iNS9_4plusIvEENS9_8equal_toIvEEiEE10hipError_tPvRmT2_T3_T4_T5_mT6_T7_P12ihipStream_tbENKUlT_T0_E_clISt17integral_constantIbLb0EESW_EEDaSR_SS_EUlSR_E_NS1_11comp_targetILNS1_3genE10ELNS1_11target_archE1201ELNS1_3gpuE5ELNS1_3repE0EEENS1_30default_config_static_selectorELNS0_4arch9wavefront6targetE0EEEvT1_
	.globl	_ZN7rocprim17ROCPRIM_400000_NS6detail17trampoline_kernelINS0_14default_configENS1_27scan_by_key_config_selectorIiiEEZZNS1_16scan_by_key_implILNS1_25lookback_scan_determinismE0ELb0ES3_N6thrust23THRUST_200600_302600_NS10device_ptrIiEESB_SB_iNS9_4plusIvEENS9_8equal_toIvEEiEE10hipError_tPvRmT2_T3_T4_T5_mT6_T7_P12ihipStream_tbENKUlT_T0_E_clISt17integral_constantIbLb0EESW_EEDaSR_SS_EUlSR_E_NS1_11comp_targetILNS1_3genE10ELNS1_11target_archE1201ELNS1_3gpuE5ELNS1_3repE0EEENS1_30default_config_static_selectorELNS0_4arch9wavefront6targetE0EEEvT1_
	.p2align	8
	.type	_ZN7rocprim17ROCPRIM_400000_NS6detail17trampoline_kernelINS0_14default_configENS1_27scan_by_key_config_selectorIiiEEZZNS1_16scan_by_key_implILNS1_25lookback_scan_determinismE0ELb0ES3_N6thrust23THRUST_200600_302600_NS10device_ptrIiEESB_SB_iNS9_4plusIvEENS9_8equal_toIvEEiEE10hipError_tPvRmT2_T3_T4_T5_mT6_T7_P12ihipStream_tbENKUlT_T0_E_clISt17integral_constantIbLb0EESW_EEDaSR_SS_EUlSR_E_NS1_11comp_targetILNS1_3genE10ELNS1_11target_archE1201ELNS1_3gpuE5ELNS1_3repE0EEENS1_30default_config_static_selectorELNS0_4arch9wavefront6targetE0EEEvT1_,@function
_ZN7rocprim17ROCPRIM_400000_NS6detail17trampoline_kernelINS0_14default_configENS1_27scan_by_key_config_selectorIiiEEZZNS1_16scan_by_key_implILNS1_25lookback_scan_determinismE0ELb0ES3_N6thrust23THRUST_200600_302600_NS10device_ptrIiEESB_SB_iNS9_4plusIvEENS9_8equal_toIvEEiEE10hipError_tPvRmT2_T3_T4_T5_mT6_T7_P12ihipStream_tbENKUlT_T0_E_clISt17integral_constantIbLb0EESW_EEDaSR_SS_EUlSR_E_NS1_11comp_targetILNS1_3genE10ELNS1_11target_archE1201ELNS1_3gpuE5ELNS1_3repE0EEENS1_30default_config_static_selectorELNS0_4arch9wavefront6targetE0EEEvT1_: ; @_ZN7rocprim17ROCPRIM_400000_NS6detail17trampoline_kernelINS0_14default_configENS1_27scan_by_key_config_selectorIiiEEZZNS1_16scan_by_key_implILNS1_25lookback_scan_determinismE0ELb0ES3_N6thrust23THRUST_200600_302600_NS10device_ptrIiEESB_SB_iNS9_4plusIvEENS9_8equal_toIvEEiEE10hipError_tPvRmT2_T3_T4_T5_mT6_T7_P12ihipStream_tbENKUlT_T0_E_clISt17integral_constantIbLb0EESW_EEDaSR_SS_EUlSR_E_NS1_11comp_targetILNS1_3genE10ELNS1_11target_archE1201ELNS1_3gpuE5ELNS1_3repE0EEENS1_30default_config_static_selectorELNS0_4arch9wavefront6targetE0EEEvT1_
; %bb.0:
	.section	.rodata,"a",@progbits
	.p2align	6, 0x0
	.amdhsa_kernel _ZN7rocprim17ROCPRIM_400000_NS6detail17trampoline_kernelINS0_14default_configENS1_27scan_by_key_config_selectorIiiEEZZNS1_16scan_by_key_implILNS1_25lookback_scan_determinismE0ELb0ES3_N6thrust23THRUST_200600_302600_NS10device_ptrIiEESB_SB_iNS9_4plusIvEENS9_8equal_toIvEEiEE10hipError_tPvRmT2_T3_T4_T5_mT6_T7_P12ihipStream_tbENKUlT_T0_E_clISt17integral_constantIbLb0EESW_EEDaSR_SS_EUlSR_E_NS1_11comp_targetILNS1_3genE10ELNS1_11target_archE1201ELNS1_3gpuE5ELNS1_3repE0EEENS1_30default_config_static_selectorELNS0_4arch9wavefront6targetE0EEEvT1_
		.amdhsa_group_segment_fixed_size 0
		.amdhsa_private_segment_fixed_size 0
		.amdhsa_kernarg_size 112
		.amdhsa_user_sgpr_count 6
		.amdhsa_user_sgpr_private_segment_buffer 1
		.amdhsa_user_sgpr_dispatch_ptr 0
		.amdhsa_user_sgpr_queue_ptr 0
		.amdhsa_user_sgpr_kernarg_segment_ptr 1
		.amdhsa_user_sgpr_dispatch_id 0
		.amdhsa_user_sgpr_flat_scratch_init 0
		.amdhsa_user_sgpr_private_segment_size 0
		.amdhsa_wavefront_size32 1
		.amdhsa_uses_dynamic_stack 0
		.amdhsa_system_sgpr_private_segment_wavefront_offset 0
		.amdhsa_system_sgpr_workgroup_id_x 1
		.amdhsa_system_sgpr_workgroup_id_y 0
		.amdhsa_system_sgpr_workgroup_id_z 0
		.amdhsa_system_sgpr_workgroup_info 0
		.amdhsa_system_vgpr_workitem_id 0
		.amdhsa_next_free_vgpr 1
		.amdhsa_next_free_sgpr 1
		.amdhsa_reserve_vcc 0
		.amdhsa_reserve_flat_scratch 0
		.amdhsa_float_round_mode_32 0
		.amdhsa_float_round_mode_16_64 0
		.amdhsa_float_denorm_mode_32 3
		.amdhsa_float_denorm_mode_16_64 3
		.amdhsa_dx10_clamp 1
		.amdhsa_ieee_mode 1
		.amdhsa_fp16_overflow 0
		.amdhsa_workgroup_processor_mode 1
		.amdhsa_memory_ordered 1
		.amdhsa_forward_progress 1
		.amdhsa_shared_vgpr_count 0
		.amdhsa_exception_fp_ieee_invalid_op 0
		.amdhsa_exception_fp_denorm_src 0
		.amdhsa_exception_fp_ieee_div_zero 0
		.amdhsa_exception_fp_ieee_overflow 0
		.amdhsa_exception_fp_ieee_underflow 0
		.amdhsa_exception_fp_ieee_inexact 0
		.amdhsa_exception_int_div_zero 0
	.end_amdhsa_kernel
	.section	.text._ZN7rocprim17ROCPRIM_400000_NS6detail17trampoline_kernelINS0_14default_configENS1_27scan_by_key_config_selectorIiiEEZZNS1_16scan_by_key_implILNS1_25lookback_scan_determinismE0ELb0ES3_N6thrust23THRUST_200600_302600_NS10device_ptrIiEESB_SB_iNS9_4plusIvEENS9_8equal_toIvEEiEE10hipError_tPvRmT2_T3_T4_T5_mT6_T7_P12ihipStream_tbENKUlT_T0_E_clISt17integral_constantIbLb0EESW_EEDaSR_SS_EUlSR_E_NS1_11comp_targetILNS1_3genE10ELNS1_11target_archE1201ELNS1_3gpuE5ELNS1_3repE0EEENS1_30default_config_static_selectorELNS0_4arch9wavefront6targetE0EEEvT1_,"axG",@progbits,_ZN7rocprim17ROCPRIM_400000_NS6detail17trampoline_kernelINS0_14default_configENS1_27scan_by_key_config_selectorIiiEEZZNS1_16scan_by_key_implILNS1_25lookback_scan_determinismE0ELb0ES3_N6thrust23THRUST_200600_302600_NS10device_ptrIiEESB_SB_iNS9_4plusIvEENS9_8equal_toIvEEiEE10hipError_tPvRmT2_T3_T4_T5_mT6_T7_P12ihipStream_tbENKUlT_T0_E_clISt17integral_constantIbLb0EESW_EEDaSR_SS_EUlSR_E_NS1_11comp_targetILNS1_3genE10ELNS1_11target_archE1201ELNS1_3gpuE5ELNS1_3repE0EEENS1_30default_config_static_selectorELNS0_4arch9wavefront6targetE0EEEvT1_,comdat
.Lfunc_end2195:
	.size	_ZN7rocprim17ROCPRIM_400000_NS6detail17trampoline_kernelINS0_14default_configENS1_27scan_by_key_config_selectorIiiEEZZNS1_16scan_by_key_implILNS1_25lookback_scan_determinismE0ELb0ES3_N6thrust23THRUST_200600_302600_NS10device_ptrIiEESB_SB_iNS9_4plusIvEENS9_8equal_toIvEEiEE10hipError_tPvRmT2_T3_T4_T5_mT6_T7_P12ihipStream_tbENKUlT_T0_E_clISt17integral_constantIbLb0EESW_EEDaSR_SS_EUlSR_E_NS1_11comp_targetILNS1_3genE10ELNS1_11target_archE1201ELNS1_3gpuE5ELNS1_3repE0EEENS1_30default_config_static_selectorELNS0_4arch9wavefront6targetE0EEEvT1_, .Lfunc_end2195-_ZN7rocprim17ROCPRIM_400000_NS6detail17trampoline_kernelINS0_14default_configENS1_27scan_by_key_config_selectorIiiEEZZNS1_16scan_by_key_implILNS1_25lookback_scan_determinismE0ELb0ES3_N6thrust23THRUST_200600_302600_NS10device_ptrIiEESB_SB_iNS9_4plusIvEENS9_8equal_toIvEEiEE10hipError_tPvRmT2_T3_T4_T5_mT6_T7_P12ihipStream_tbENKUlT_T0_E_clISt17integral_constantIbLb0EESW_EEDaSR_SS_EUlSR_E_NS1_11comp_targetILNS1_3genE10ELNS1_11target_archE1201ELNS1_3gpuE5ELNS1_3repE0EEENS1_30default_config_static_selectorELNS0_4arch9wavefront6targetE0EEEvT1_
                                        ; -- End function
	.set _ZN7rocprim17ROCPRIM_400000_NS6detail17trampoline_kernelINS0_14default_configENS1_27scan_by_key_config_selectorIiiEEZZNS1_16scan_by_key_implILNS1_25lookback_scan_determinismE0ELb0ES3_N6thrust23THRUST_200600_302600_NS10device_ptrIiEESB_SB_iNS9_4plusIvEENS9_8equal_toIvEEiEE10hipError_tPvRmT2_T3_T4_T5_mT6_T7_P12ihipStream_tbENKUlT_T0_E_clISt17integral_constantIbLb0EESW_EEDaSR_SS_EUlSR_E_NS1_11comp_targetILNS1_3genE10ELNS1_11target_archE1201ELNS1_3gpuE5ELNS1_3repE0EEENS1_30default_config_static_selectorELNS0_4arch9wavefront6targetE0EEEvT1_.num_vgpr, 0
	.set _ZN7rocprim17ROCPRIM_400000_NS6detail17trampoline_kernelINS0_14default_configENS1_27scan_by_key_config_selectorIiiEEZZNS1_16scan_by_key_implILNS1_25lookback_scan_determinismE0ELb0ES3_N6thrust23THRUST_200600_302600_NS10device_ptrIiEESB_SB_iNS9_4plusIvEENS9_8equal_toIvEEiEE10hipError_tPvRmT2_T3_T4_T5_mT6_T7_P12ihipStream_tbENKUlT_T0_E_clISt17integral_constantIbLb0EESW_EEDaSR_SS_EUlSR_E_NS1_11comp_targetILNS1_3genE10ELNS1_11target_archE1201ELNS1_3gpuE5ELNS1_3repE0EEENS1_30default_config_static_selectorELNS0_4arch9wavefront6targetE0EEEvT1_.num_agpr, 0
	.set _ZN7rocprim17ROCPRIM_400000_NS6detail17trampoline_kernelINS0_14default_configENS1_27scan_by_key_config_selectorIiiEEZZNS1_16scan_by_key_implILNS1_25lookback_scan_determinismE0ELb0ES3_N6thrust23THRUST_200600_302600_NS10device_ptrIiEESB_SB_iNS9_4plusIvEENS9_8equal_toIvEEiEE10hipError_tPvRmT2_T3_T4_T5_mT6_T7_P12ihipStream_tbENKUlT_T0_E_clISt17integral_constantIbLb0EESW_EEDaSR_SS_EUlSR_E_NS1_11comp_targetILNS1_3genE10ELNS1_11target_archE1201ELNS1_3gpuE5ELNS1_3repE0EEENS1_30default_config_static_selectorELNS0_4arch9wavefront6targetE0EEEvT1_.numbered_sgpr, 0
	.set _ZN7rocprim17ROCPRIM_400000_NS6detail17trampoline_kernelINS0_14default_configENS1_27scan_by_key_config_selectorIiiEEZZNS1_16scan_by_key_implILNS1_25lookback_scan_determinismE0ELb0ES3_N6thrust23THRUST_200600_302600_NS10device_ptrIiEESB_SB_iNS9_4plusIvEENS9_8equal_toIvEEiEE10hipError_tPvRmT2_T3_T4_T5_mT6_T7_P12ihipStream_tbENKUlT_T0_E_clISt17integral_constantIbLb0EESW_EEDaSR_SS_EUlSR_E_NS1_11comp_targetILNS1_3genE10ELNS1_11target_archE1201ELNS1_3gpuE5ELNS1_3repE0EEENS1_30default_config_static_selectorELNS0_4arch9wavefront6targetE0EEEvT1_.num_named_barrier, 0
	.set _ZN7rocprim17ROCPRIM_400000_NS6detail17trampoline_kernelINS0_14default_configENS1_27scan_by_key_config_selectorIiiEEZZNS1_16scan_by_key_implILNS1_25lookback_scan_determinismE0ELb0ES3_N6thrust23THRUST_200600_302600_NS10device_ptrIiEESB_SB_iNS9_4plusIvEENS9_8equal_toIvEEiEE10hipError_tPvRmT2_T3_T4_T5_mT6_T7_P12ihipStream_tbENKUlT_T0_E_clISt17integral_constantIbLb0EESW_EEDaSR_SS_EUlSR_E_NS1_11comp_targetILNS1_3genE10ELNS1_11target_archE1201ELNS1_3gpuE5ELNS1_3repE0EEENS1_30default_config_static_selectorELNS0_4arch9wavefront6targetE0EEEvT1_.private_seg_size, 0
	.set _ZN7rocprim17ROCPRIM_400000_NS6detail17trampoline_kernelINS0_14default_configENS1_27scan_by_key_config_selectorIiiEEZZNS1_16scan_by_key_implILNS1_25lookback_scan_determinismE0ELb0ES3_N6thrust23THRUST_200600_302600_NS10device_ptrIiEESB_SB_iNS9_4plusIvEENS9_8equal_toIvEEiEE10hipError_tPvRmT2_T3_T4_T5_mT6_T7_P12ihipStream_tbENKUlT_T0_E_clISt17integral_constantIbLb0EESW_EEDaSR_SS_EUlSR_E_NS1_11comp_targetILNS1_3genE10ELNS1_11target_archE1201ELNS1_3gpuE5ELNS1_3repE0EEENS1_30default_config_static_selectorELNS0_4arch9wavefront6targetE0EEEvT1_.uses_vcc, 0
	.set _ZN7rocprim17ROCPRIM_400000_NS6detail17trampoline_kernelINS0_14default_configENS1_27scan_by_key_config_selectorIiiEEZZNS1_16scan_by_key_implILNS1_25lookback_scan_determinismE0ELb0ES3_N6thrust23THRUST_200600_302600_NS10device_ptrIiEESB_SB_iNS9_4plusIvEENS9_8equal_toIvEEiEE10hipError_tPvRmT2_T3_T4_T5_mT6_T7_P12ihipStream_tbENKUlT_T0_E_clISt17integral_constantIbLb0EESW_EEDaSR_SS_EUlSR_E_NS1_11comp_targetILNS1_3genE10ELNS1_11target_archE1201ELNS1_3gpuE5ELNS1_3repE0EEENS1_30default_config_static_selectorELNS0_4arch9wavefront6targetE0EEEvT1_.uses_flat_scratch, 0
	.set _ZN7rocprim17ROCPRIM_400000_NS6detail17trampoline_kernelINS0_14default_configENS1_27scan_by_key_config_selectorIiiEEZZNS1_16scan_by_key_implILNS1_25lookback_scan_determinismE0ELb0ES3_N6thrust23THRUST_200600_302600_NS10device_ptrIiEESB_SB_iNS9_4plusIvEENS9_8equal_toIvEEiEE10hipError_tPvRmT2_T3_T4_T5_mT6_T7_P12ihipStream_tbENKUlT_T0_E_clISt17integral_constantIbLb0EESW_EEDaSR_SS_EUlSR_E_NS1_11comp_targetILNS1_3genE10ELNS1_11target_archE1201ELNS1_3gpuE5ELNS1_3repE0EEENS1_30default_config_static_selectorELNS0_4arch9wavefront6targetE0EEEvT1_.has_dyn_sized_stack, 0
	.set _ZN7rocprim17ROCPRIM_400000_NS6detail17trampoline_kernelINS0_14default_configENS1_27scan_by_key_config_selectorIiiEEZZNS1_16scan_by_key_implILNS1_25lookback_scan_determinismE0ELb0ES3_N6thrust23THRUST_200600_302600_NS10device_ptrIiEESB_SB_iNS9_4plusIvEENS9_8equal_toIvEEiEE10hipError_tPvRmT2_T3_T4_T5_mT6_T7_P12ihipStream_tbENKUlT_T0_E_clISt17integral_constantIbLb0EESW_EEDaSR_SS_EUlSR_E_NS1_11comp_targetILNS1_3genE10ELNS1_11target_archE1201ELNS1_3gpuE5ELNS1_3repE0EEENS1_30default_config_static_selectorELNS0_4arch9wavefront6targetE0EEEvT1_.has_recursion, 0
	.set _ZN7rocprim17ROCPRIM_400000_NS6detail17trampoline_kernelINS0_14default_configENS1_27scan_by_key_config_selectorIiiEEZZNS1_16scan_by_key_implILNS1_25lookback_scan_determinismE0ELb0ES3_N6thrust23THRUST_200600_302600_NS10device_ptrIiEESB_SB_iNS9_4plusIvEENS9_8equal_toIvEEiEE10hipError_tPvRmT2_T3_T4_T5_mT6_T7_P12ihipStream_tbENKUlT_T0_E_clISt17integral_constantIbLb0EESW_EEDaSR_SS_EUlSR_E_NS1_11comp_targetILNS1_3genE10ELNS1_11target_archE1201ELNS1_3gpuE5ELNS1_3repE0EEENS1_30default_config_static_selectorELNS0_4arch9wavefront6targetE0EEEvT1_.has_indirect_call, 0
	.section	.AMDGPU.csdata,"",@progbits
; Kernel info:
; codeLenInByte = 0
; TotalNumSgprs: 0
; NumVgprs: 0
; ScratchSize: 0
; MemoryBound: 0
; FloatMode: 240
; IeeeMode: 1
; LDSByteSize: 0 bytes/workgroup (compile time only)
; SGPRBlocks: 0
; VGPRBlocks: 0
; NumSGPRsForWavesPerEU: 1
; NumVGPRsForWavesPerEU: 1
; Occupancy: 16
; WaveLimiterHint : 0
; COMPUTE_PGM_RSRC2:SCRATCH_EN: 0
; COMPUTE_PGM_RSRC2:USER_SGPR: 6
; COMPUTE_PGM_RSRC2:TRAP_HANDLER: 0
; COMPUTE_PGM_RSRC2:TGID_X_EN: 1
; COMPUTE_PGM_RSRC2:TGID_Y_EN: 0
; COMPUTE_PGM_RSRC2:TGID_Z_EN: 0
; COMPUTE_PGM_RSRC2:TIDIG_COMP_CNT: 0
	.section	.text._ZN7rocprim17ROCPRIM_400000_NS6detail17trampoline_kernelINS0_14default_configENS1_27scan_by_key_config_selectorIiiEEZZNS1_16scan_by_key_implILNS1_25lookback_scan_determinismE0ELb0ES3_N6thrust23THRUST_200600_302600_NS10device_ptrIiEESB_SB_iNS9_4plusIvEENS9_8equal_toIvEEiEE10hipError_tPvRmT2_T3_T4_T5_mT6_T7_P12ihipStream_tbENKUlT_T0_E_clISt17integral_constantIbLb0EESW_EEDaSR_SS_EUlSR_E_NS1_11comp_targetILNS1_3genE5ELNS1_11target_archE942ELNS1_3gpuE9ELNS1_3repE0EEENS1_30default_config_static_selectorELNS0_4arch9wavefront6targetE0EEEvT1_,"axG",@progbits,_ZN7rocprim17ROCPRIM_400000_NS6detail17trampoline_kernelINS0_14default_configENS1_27scan_by_key_config_selectorIiiEEZZNS1_16scan_by_key_implILNS1_25lookback_scan_determinismE0ELb0ES3_N6thrust23THRUST_200600_302600_NS10device_ptrIiEESB_SB_iNS9_4plusIvEENS9_8equal_toIvEEiEE10hipError_tPvRmT2_T3_T4_T5_mT6_T7_P12ihipStream_tbENKUlT_T0_E_clISt17integral_constantIbLb0EESW_EEDaSR_SS_EUlSR_E_NS1_11comp_targetILNS1_3genE5ELNS1_11target_archE942ELNS1_3gpuE9ELNS1_3repE0EEENS1_30default_config_static_selectorELNS0_4arch9wavefront6targetE0EEEvT1_,comdat
	.protected	_ZN7rocprim17ROCPRIM_400000_NS6detail17trampoline_kernelINS0_14default_configENS1_27scan_by_key_config_selectorIiiEEZZNS1_16scan_by_key_implILNS1_25lookback_scan_determinismE0ELb0ES3_N6thrust23THRUST_200600_302600_NS10device_ptrIiEESB_SB_iNS9_4plusIvEENS9_8equal_toIvEEiEE10hipError_tPvRmT2_T3_T4_T5_mT6_T7_P12ihipStream_tbENKUlT_T0_E_clISt17integral_constantIbLb0EESW_EEDaSR_SS_EUlSR_E_NS1_11comp_targetILNS1_3genE5ELNS1_11target_archE942ELNS1_3gpuE9ELNS1_3repE0EEENS1_30default_config_static_selectorELNS0_4arch9wavefront6targetE0EEEvT1_ ; -- Begin function _ZN7rocprim17ROCPRIM_400000_NS6detail17trampoline_kernelINS0_14default_configENS1_27scan_by_key_config_selectorIiiEEZZNS1_16scan_by_key_implILNS1_25lookback_scan_determinismE0ELb0ES3_N6thrust23THRUST_200600_302600_NS10device_ptrIiEESB_SB_iNS9_4plusIvEENS9_8equal_toIvEEiEE10hipError_tPvRmT2_T3_T4_T5_mT6_T7_P12ihipStream_tbENKUlT_T0_E_clISt17integral_constantIbLb0EESW_EEDaSR_SS_EUlSR_E_NS1_11comp_targetILNS1_3genE5ELNS1_11target_archE942ELNS1_3gpuE9ELNS1_3repE0EEENS1_30default_config_static_selectorELNS0_4arch9wavefront6targetE0EEEvT1_
	.globl	_ZN7rocprim17ROCPRIM_400000_NS6detail17trampoline_kernelINS0_14default_configENS1_27scan_by_key_config_selectorIiiEEZZNS1_16scan_by_key_implILNS1_25lookback_scan_determinismE0ELb0ES3_N6thrust23THRUST_200600_302600_NS10device_ptrIiEESB_SB_iNS9_4plusIvEENS9_8equal_toIvEEiEE10hipError_tPvRmT2_T3_T4_T5_mT6_T7_P12ihipStream_tbENKUlT_T0_E_clISt17integral_constantIbLb0EESW_EEDaSR_SS_EUlSR_E_NS1_11comp_targetILNS1_3genE5ELNS1_11target_archE942ELNS1_3gpuE9ELNS1_3repE0EEENS1_30default_config_static_selectorELNS0_4arch9wavefront6targetE0EEEvT1_
	.p2align	8
	.type	_ZN7rocprim17ROCPRIM_400000_NS6detail17trampoline_kernelINS0_14default_configENS1_27scan_by_key_config_selectorIiiEEZZNS1_16scan_by_key_implILNS1_25lookback_scan_determinismE0ELb0ES3_N6thrust23THRUST_200600_302600_NS10device_ptrIiEESB_SB_iNS9_4plusIvEENS9_8equal_toIvEEiEE10hipError_tPvRmT2_T3_T4_T5_mT6_T7_P12ihipStream_tbENKUlT_T0_E_clISt17integral_constantIbLb0EESW_EEDaSR_SS_EUlSR_E_NS1_11comp_targetILNS1_3genE5ELNS1_11target_archE942ELNS1_3gpuE9ELNS1_3repE0EEENS1_30default_config_static_selectorELNS0_4arch9wavefront6targetE0EEEvT1_,@function
_ZN7rocprim17ROCPRIM_400000_NS6detail17trampoline_kernelINS0_14default_configENS1_27scan_by_key_config_selectorIiiEEZZNS1_16scan_by_key_implILNS1_25lookback_scan_determinismE0ELb0ES3_N6thrust23THRUST_200600_302600_NS10device_ptrIiEESB_SB_iNS9_4plusIvEENS9_8equal_toIvEEiEE10hipError_tPvRmT2_T3_T4_T5_mT6_T7_P12ihipStream_tbENKUlT_T0_E_clISt17integral_constantIbLb0EESW_EEDaSR_SS_EUlSR_E_NS1_11comp_targetILNS1_3genE5ELNS1_11target_archE942ELNS1_3gpuE9ELNS1_3repE0EEENS1_30default_config_static_selectorELNS0_4arch9wavefront6targetE0EEEvT1_: ; @_ZN7rocprim17ROCPRIM_400000_NS6detail17trampoline_kernelINS0_14default_configENS1_27scan_by_key_config_selectorIiiEEZZNS1_16scan_by_key_implILNS1_25lookback_scan_determinismE0ELb0ES3_N6thrust23THRUST_200600_302600_NS10device_ptrIiEESB_SB_iNS9_4plusIvEENS9_8equal_toIvEEiEE10hipError_tPvRmT2_T3_T4_T5_mT6_T7_P12ihipStream_tbENKUlT_T0_E_clISt17integral_constantIbLb0EESW_EEDaSR_SS_EUlSR_E_NS1_11comp_targetILNS1_3genE5ELNS1_11target_archE942ELNS1_3gpuE9ELNS1_3repE0EEENS1_30default_config_static_selectorELNS0_4arch9wavefront6targetE0EEEvT1_
; %bb.0:
	.section	.rodata,"a",@progbits
	.p2align	6, 0x0
	.amdhsa_kernel _ZN7rocprim17ROCPRIM_400000_NS6detail17trampoline_kernelINS0_14default_configENS1_27scan_by_key_config_selectorIiiEEZZNS1_16scan_by_key_implILNS1_25lookback_scan_determinismE0ELb0ES3_N6thrust23THRUST_200600_302600_NS10device_ptrIiEESB_SB_iNS9_4plusIvEENS9_8equal_toIvEEiEE10hipError_tPvRmT2_T3_T4_T5_mT6_T7_P12ihipStream_tbENKUlT_T0_E_clISt17integral_constantIbLb0EESW_EEDaSR_SS_EUlSR_E_NS1_11comp_targetILNS1_3genE5ELNS1_11target_archE942ELNS1_3gpuE9ELNS1_3repE0EEENS1_30default_config_static_selectorELNS0_4arch9wavefront6targetE0EEEvT1_
		.amdhsa_group_segment_fixed_size 0
		.amdhsa_private_segment_fixed_size 0
		.amdhsa_kernarg_size 112
		.amdhsa_user_sgpr_count 6
		.amdhsa_user_sgpr_private_segment_buffer 1
		.amdhsa_user_sgpr_dispatch_ptr 0
		.amdhsa_user_sgpr_queue_ptr 0
		.amdhsa_user_sgpr_kernarg_segment_ptr 1
		.amdhsa_user_sgpr_dispatch_id 0
		.amdhsa_user_sgpr_flat_scratch_init 0
		.amdhsa_user_sgpr_private_segment_size 0
		.amdhsa_wavefront_size32 1
		.amdhsa_uses_dynamic_stack 0
		.amdhsa_system_sgpr_private_segment_wavefront_offset 0
		.amdhsa_system_sgpr_workgroup_id_x 1
		.amdhsa_system_sgpr_workgroup_id_y 0
		.amdhsa_system_sgpr_workgroup_id_z 0
		.amdhsa_system_sgpr_workgroup_info 0
		.amdhsa_system_vgpr_workitem_id 0
		.amdhsa_next_free_vgpr 1
		.amdhsa_next_free_sgpr 1
		.amdhsa_reserve_vcc 0
		.amdhsa_reserve_flat_scratch 0
		.amdhsa_float_round_mode_32 0
		.amdhsa_float_round_mode_16_64 0
		.amdhsa_float_denorm_mode_32 3
		.amdhsa_float_denorm_mode_16_64 3
		.amdhsa_dx10_clamp 1
		.amdhsa_ieee_mode 1
		.amdhsa_fp16_overflow 0
		.amdhsa_workgroup_processor_mode 1
		.amdhsa_memory_ordered 1
		.amdhsa_forward_progress 1
		.amdhsa_shared_vgpr_count 0
		.amdhsa_exception_fp_ieee_invalid_op 0
		.amdhsa_exception_fp_denorm_src 0
		.amdhsa_exception_fp_ieee_div_zero 0
		.amdhsa_exception_fp_ieee_overflow 0
		.amdhsa_exception_fp_ieee_underflow 0
		.amdhsa_exception_fp_ieee_inexact 0
		.amdhsa_exception_int_div_zero 0
	.end_amdhsa_kernel
	.section	.text._ZN7rocprim17ROCPRIM_400000_NS6detail17trampoline_kernelINS0_14default_configENS1_27scan_by_key_config_selectorIiiEEZZNS1_16scan_by_key_implILNS1_25lookback_scan_determinismE0ELb0ES3_N6thrust23THRUST_200600_302600_NS10device_ptrIiEESB_SB_iNS9_4plusIvEENS9_8equal_toIvEEiEE10hipError_tPvRmT2_T3_T4_T5_mT6_T7_P12ihipStream_tbENKUlT_T0_E_clISt17integral_constantIbLb0EESW_EEDaSR_SS_EUlSR_E_NS1_11comp_targetILNS1_3genE5ELNS1_11target_archE942ELNS1_3gpuE9ELNS1_3repE0EEENS1_30default_config_static_selectorELNS0_4arch9wavefront6targetE0EEEvT1_,"axG",@progbits,_ZN7rocprim17ROCPRIM_400000_NS6detail17trampoline_kernelINS0_14default_configENS1_27scan_by_key_config_selectorIiiEEZZNS1_16scan_by_key_implILNS1_25lookback_scan_determinismE0ELb0ES3_N6thrust23THRUST_200600_302600_NS10device_ptrIiEESB_SB_iNS9_4plusIvEENS9_8equal_toIvEEiEE10hipError_tPvRmT2_T3_T4_T5_mT6_T7_P12ihipStream_tbENKUlT_T0_E_clISt17integral_constantIbLb0EESW_EEDaSR_SS_EUlSR_E_NS1_11comp_targetILNS1_3genE5ELNS1_11target_archE942ELNS1_3gpuE9ELNS1_3repE0EEENS1_30default_config_static_selectorELNS0_4arch9wavefront6targetE0EEEvT1_,comdat
.Lfunc_end2196:
	.size	_ZN7rocprim17ROCPRIM_400000_NS6detail17trampoline_kernelINS0_14default_configENS1_27scan_by_key_config_selectorIiiEEZZNS1_16scan_by_key_implILNS1_25lookback_scan_determinismE0ELb0ES3_N6thrust23THRUST_200600_302600_NS10device_ptrIiEESB_SB_iNS9_4plusIvEENS9_8equal_toIvEEiEE10hipError_tPvRmT2_T3_T4_T5_mT6_T7_P12ihipStream_tbENKUlT_T0_E_clISt17integral_constantIbLb0EESW_EEDaSR_SS_EUlSR_E_NS1_11comp_targetILNS1_3genE5ELNS1_11target_archE942ELNS1_3gpuE9ELNS1_3repE0EEENS1_30default_config_static_selectorELNS0_4arch9wavefront6targetE0EEEvT1_, .Lfunc_end2196-_ZN7rocprim17ROCPRIM_400000_NS6detail17trampoline_kernelINS0_14default_configENS1_27scan_by_key_config_selectorIiiEEZZNS1_16scan_by_key_implILNS1_25lookback_scan_determinismE0ELb0ES3_N6thrust23THRUST_200600_302600_NS10device_ptrIiEESB_SB_iNS9_4plusIvEENS9_8equal_toIvEEiEE10hipError_tPvRmT2_T3_T4_T5_mT6_T7_P12ihipStream_tbENKUlT_T0_E_clISt17integral_constantIbLb0EESW_EEDaSR_SS_EUlSR_E_NS1_11comp_targetILNS1_3genE5ELNS1_11target_archE942ELNS1_3gpuE9ELNS1_3repE0EEENS1_30default_config_static_selectorELNS0_4arch9wavefront6targetE0EEEvT1_
                                        ; -- End function
	.set _ZN7rocprim17ROCPRIM_400000_NS6detail17trampoline_kernelINS0_14default_configENS1_27scan_by_key_config_selectorIiiEEZZNS1_16scan_by_key_implILNS1_25lookback_scan_determinismE0ELb0ES3_N6thrust23THRUST_200600_302600_NS10device_ptrIiEESB_SB_iNS9_4plusIvEENS9_8equal_toIvEEiEE10hipError_tPvRmT2_T3_T4_T5_mT6_T7_P12ihipStream_tbENKUlT_T0_E_clISt17integral_constantIbLb0EESW_EEDaSR_SS_EUlSR_E_NS1_11comp_targetILNS1_3genE5ELNS1_11target_archE942ELNS1_3gpuE9ELNS1_3repE0EEENS1_30default_config_static_selectorELNS0_4arch9wavefront6targetE0EEEvT1_.num_vgpr, 0
	.set _ZN7rocprim17ROCPRIM_400000_NS6detail17trampoline_kernelINS0_14default_configENS1_27scan_by_key_config_selectorIiiEEZZNS1_16scan_by_key_implILNS1_25lookback_scan_determinismE0ELb0ES3_N6thrust23THRUST_200600_302600_NS10device_ptrIiEESB_SB_iNS9_4plusIvEENS9_8equal_toIvEEiEE10hipError_tPvRmT2_T3_T4_T5_mT6_T7_P12ihipStream_tbENKUlT_T0_E_clISt17integral_constantIbLb0EESW_EEDaSR_SS_EUlSR_E_NS1_11comp_targetILNS1_3genE5ELNS1_11target_archE942ELNS1_3gpuE9ELNS1_3repE0EEENS1_30default_config_static_selectorELNS0_4arch9wavefront6targetE0EEEvT1_.num_agpr, 0
	.set _ZN7rocprim17ROCPRIM_400000_NS6detail17trampoline_kernelINS0_14default_configENS1_27scan_by_key_config_selectorIiiEEZZNS1_16scan_by_key_implILNS1_25lookback_scan_determinismE0ELb0ES3_N6thrust23THRUST_200600_302600_NS10device_ptrIiEESB_SB_iNS9_4plusIvEENS9_8equal_toIvEEiEE10hipError_tPvRmT2_T3_T4_T5_mT6_T7_P12ihipStream_tbENKUlT_T0_E_clISt17integral_constantIbLb0EESW_EEDaSR_SS_EUlSR_E_NS1_11comp_targetILNS1_3genE5ELNS1_11target_archE942ELNS1_3gpuE9ELNS1_3repE0EEENS1_30default_config_static_selectorELNS0_4arch9wavefront6targetE0EEEvT1_.numbered_sgpr, 0
	.set _ZN7rocprim17ROCPRIM_400000_NS6detail17trampoline_kernelINS0_14default_configENS1_27scan_by_key_config_selectorIiiEEZZNS1_16scan_by_key_implILNS1_25lookback_scan_determinismE0ELb0ES3_N6thrust23THRUST_200600_302600_NS10device_ptrIiEESB_SB_iNS9_4plusIvEENS9_8equal_toIvEEiEE10hipError_tPvRmT2_T3_T4_T5_mT6_T7_P12ihipStream_tbENKUlT_T0_E_clISt17integral_constantIbLb0EESW_EEDaSR_SS_EUlSR_E_NS1_11comp_targetILNS1_3genE5ELNS1_11target_archE942ELNS1_3gpuE9ELNS1_3repE0EEENS1_30default_config_static_selectorELNS0_4arch9wavefront6targetE0EEEvT1_.num_named_barrier, 0
	.set _ZN7rocprim17ROCPRIM_400000_NS6detail17trampoline_kernelINS0_14default_configENS1_27scan_by_key_config_selectorIiiEEZZNS1_16scan_by_key_implILNS1_25lookback_scan_determinismE0ELb0ES3_N6thrust23THRUST_200600_302600_NS10device_ptrIiEESB_SB_iNS9_4plusIvEENS9_8equal_toIvEEiEE10hipError_tPvRmT2_T3_T4_T5_mT6_T7_P12ihipStream_tbENKUlT_T0_E_clISt17integral_constantIbLb0EESW_EEDaSR_SS_EUlSR_E_NS1_11comp_targetILNS1_3genE5ELNS1_11target_archE942ELNS1_3gpuE9ELNS1_3repE0EEENS1_30default_config_static_selectorELNS0_4arch9wavefront6targetE0EEEvT1_.private_seg_size, 0
	.set _ZN7rocprim17ROCPRIM_400000_NS6detail17trampoline_kernelINS0_14default_configENS1_27scan_by_key_config_selectorIiiEEZZNS1_16scan_by_key_implILNS1_25lookback_scan_determinismE0ELb0ES3_N6thrust23THRUST_200600_302600_NS10device_ptrIiEESB_SB_iNS9_4plusIvEENS9_8equal_toIvEEiEE10hipError_tPvRmT2_T3_T4_T5_mT6_T7_P12ihipStream_tbENKUlT_T0_E_clISt17integral_constantIbLb0EESW_EEDaSR_SS_EUlSR_E_NS1_11comp_targetILNS1_3genE5ELNS1_11target_archE942ELNS1_3gpuE9ELNS1_3repE0EEENS1_30default_config_static_selectorELNS0_4arch9wavefront6targetE0EEEvT1_.uses_vcc, 0
	.set _ZN7rocprim17ROCPRIM_400000_NS6detail17trampoline_kernelINS0_14default_configENS1_27scan_by_key_config_selectorIiiEEZZNS1_16scan_by_key_implILNS1_25lookback_scan_determinismE0ELb0ES3_N6thrust23THRUST_200600_302600_NS10device_ptrIiEESB_SB_iNS9_4plusIvEENS9_8equal_toIvEEiEE10hipError_tPvRmT2_T3_T4_T5_mT6_T7_P12ihipStream_tbENKUlT_T0_E_clISt17integral_constantIbLb0EESW_EEDaSR_SS_EUlSR_E_NS1_11comp_targetILNS1_3genE5ELNS1_11target_archE942ELNS1_3gpuE9ELNS1_3repE0EEENS1_30default_config_static_selectorELNS0_4arch9wavefront6targetE0EEEvT1_.uses_flat_scratch, 0
	.set _ZN7rocprim17ROCPRIM_400000_NS6detail17trampoline_kernelINS0_14default_configENS1_27scan_by_key_config_selectorIiiEEZZNS1_16scan_by_key_implILNS1_25lookback_scan_determinismE0ELb0ES3_N6thrust23THRUST_200600_302600_NS10device_ptrIiEESB_SB_iNS9_4plusIvEENS9_8equal_toIvEEiEE10hipError_tPvRmT2_T3_T4_T5_mT6_T7_P12ihipStream_tbENKUlT_T0_E_clISt17integral_constantIbLb0EESW_EEDaSR_SS_EUlSR_E_NS1_11comp_targetILNS1_3genE5ELNS1_11target_archE942ELNS1_3gpuE9ELNS1_3repE0EEENS1_30default_config_static_selectorELNS0_4arch9wavefront6targetE0EEEvT1_.has_dyn_sized_stack, 0
	.set _ZN7rocprim17ROCPRIM_400000_NS6detail17trampoline_kernelINS0_14default_configENS1_27scan_by_key_config_selectorIiiEEZZNS1_16scan_by_key_implILNS1_25lookback_scan_determinismE0ELb0ES3_N6thrust23THRUST_200600_302600_NS10device_ptrIiEESB_SB_iNS9_4plusIvEENS9_8equal_toIvEEiEE10hipError_tPvRmT2_T3_T4_T5_mT6_T7_P12ihipStream_tbENKUlT_T0_E_clISt17integral_constantIbLb0EESW_EEDaSR_SS_EUlSR_E_NS1_11comp_targetILNS1_3genE5ELNS1_11target_archE942ELNS1_3gpuE9ELNS1_3repE0EEENS1_30default_config_static_selectorELNS0_4arch9wavefront6targetE0EEEvT1_.has_recursion, 0
	.set _ZN7rocprim17ROCPRIM_400000_NS6detail17trampoline_kernelINS0_14default_configENS1_27scan_by_key_config_selectorIiiEEZZNS1_16scan_by_key_implILNS1_25lookback_scan_determinismE0ELb0ES3_N6thrust23THRUST_200600_302600_NS10device_ptrIiEESB_SB_iNS9_4plusIvEENS9_8equal_toIvEEiEE10hipError_tPvRmT2_T3_T4_T5_mT6_T7_P12ihipStream_tbENKUlT_T0_E_clISt17integral_constantIbLb0EESW_EEDaSR_SS_EUlSR_E_NS1_11comp_targetILNS1_3genE5ELNS1_11target_archE942ELNS1_3gpuE9ELNS1_3repE0EEENS1_30default_config_static_selectorELNS0_4arch9wavefront6targetE0EEEvT1_.has_indirect_call, 0
	.section	.AMDGPU.csdata,"",@progbits
; Kernel info:
; codeLenInByte = 0
; TotalNumSgprs: 0
; NumVgprs: 0
; ScratchSize: 0
; MemoryBound: 0
; FloatMode: 240
; IeeeMode: 1
; LDSByteSize: 0 bytes/workgroup (compile time only)
; SGPRBlocks: 0
; VGPRBlocks: 0
; NumSGPRsForWavesPerEU: 1
; NumVGPRsForWavesPerEU: 1
; Occupancy: 16
; WaveLimiterHint : 0
; COMPUTE_PGM_RSRC2:SCRATCH_EN: 0
; COMPUTE_PGM_RSRC2:USER_SGPR: 6
; COMPUTE_PGM_RSRC2:TRAP_HANDLER: 0
; COMPUTE_PGM_RSRC2:TGID_X_EN: 1
; COMPUTE_PGM_RSRC2:TGID_Y_EN: 0
; COMPUTE_PGM_RSRC2:TGID_Z_EN: 0
; COMPUTE_PGM_RSRC2:TIDIG_COMP_CNT: 0
	.section	.text._ZN7rocprim17ROCPRIM_400000_NS6detail17trampoline_kernelINS0_14default_configENS1_27scan_by_key_config_selectorIiiEEZZNS1_16scan_by_key_implILNS1_25lookback_scan_determinismE0ELb0ES3_N6thrust23THRUST_200600_302600_NS10device_ptrIiEESB_SB_iNS9_4plusIvEENS9_8equal_toIvEEiEE10hipError_tPvRmT2_T3_T4_T5_mT6_T7_P12ihipStream_tbENKUlT_T0_E_clISt17integral_constantIbLb0EESW_EEDaSR_SS_EUlSR_E_NS1_11comp_targetILNS1_3genE4ELNS1_11target_archE910ELNS1_3gpuE8ELNS1_3repE0EEENS1_30default_config_static_selectorELNS0_4arch9wavefront6targetE0EEEvT1_,"axG",@progbits,_ZN7rocprim17ROCPRIM_400000_NS6detail17trampoline_kernelINS0_14default_configENS1_27scan_by_key_config_selectorIiiEEZZNS1_16scan_by_key_implILNS1_25lookback_scan_determinismE0ELb0ES3_N6thrust23THRUST_200600_302600_NS10device_ptrIiEESB_SB_iNS9_4plusIvEENS9_8equal_toIvEEiEE10hipError_tPvRmT2_T3_T4_T5_mT6_T7_P12ihipStream_tbENKUlT_T0_E_clISt17integral_constantIbLb0EESW_EEDaSR_SS_EUlSR_E_NS1_11comp_targetILNS1_3genE4ELNS1_11target_archE910ELNS1_3gpuE8ELNS1_3repE0EEENS1_30default_config_static_selectorELNS0_4arch9wavefront6targetE0EEEvT1_,comdat
	.protected	_ZN7rocprim17ROCPRIM_400000_NS6detail17trampoline_kernelINS0_14default_configENS1_27scan_by_key_config_selectorIiiEEZZNS1_16scan_by_key_implILNS1_25lookback_scan_determinismE0ELb0ES3_N6thrust23THRUST_200600_302600_NS10device_ptrIiEESB_SB_iNS9_4plusIvEENS9_8equal_toIvEEiEE10hipError_tPvRmT2_T3_T4_T5_mT6_T7_P12ihipStream_tbENKUlT_T0_E_clISt17integral_constantIbLb0EESW_EEDaSR_SS_EUlSR_E_NS1_11comp_targetILNS1_3genE4ELNS1_11target_archE910ELNS1_3gpuE8ELNS1_3repE0EEENS1_30default_config_static_selectorELNS0_4arch9wavefront6targetE0EEEvT1_ ; -- Begin function _ZN7rocprim17ROCPRIM_400000_NS6detail17trampoline_kernelINS0_14default_configENS1_27scan_by_key_config_selectorIiiEEZZNS1_16scan_by_key_implILNS1_25lookback_scan_determinismE0ELb0ES3_N6thrust23THRUST_200600_302600_NS10device_ptrIiEESB_SB_iNS9_4plusIvEENS9_8equal_toIvEEiEE10hipError_tPvRmT2_T3_T4_T5_mT6_T7_P12ihipStream_tbENKUlT_T0_E_clISt17integral_constantIbLb0EESW_EEDaSR_SS_EUlSR_E_NS1_11comp_targetILNS1_3genE4ELNS1_11target_archE910ELNS1_3gpuE8ELNS1_3repE0EEENS1_30default_config_static_selectorELNS0_4arch9wavefront6targetE0EEEvT1_
	.globl	_ZN7rocprim17ROCPRIM_400000_NS6detail17trampoline_kernelINS0_14default_configENS1_27scan_by_key_config_selectorIiiEEZZNS1_16scan_by_key_implILNS1_25lookback_scan_determinismE0ELb0ES3_N6thrust23THRUST_200600_302600_NS10device_ptrIiEESB_SB_iNS9_4plusIvEENS9_8equal_toIvEEiEE10hipError_tPvRmT2_T3_T4_T5_mT6_T7_P12ihipStream_tbENKUlT_T0_E_clISt17integral_constantIbLb0EESW_EEDaSR_SS_EUlSR_E_NS1_11comp_targetILNS1_3genE4ELNS1_11target_archE910ELNS1_3gpuE8ELNS1_3repE0EEENS1_30default_config_static_selectorELNS0_4arch9wavefront6targetE0EEEvT1_
	.p2align	8
	.type	_ZN7rocprim17ROCPRIM_400000_NS6detail17trampoline_kernelINS0_14default_configENS1_27scan_by_key_config_selectorIiiEEZZNS1_16scan_by_key_implILNS1_25lookback_scan_determinismE0ELb0ES3_N6thrust23THRUST_200600_302600_NS10device_ptrIiEESB_SB_iNS9_4plusIvEENS9_8equal_toIvEEiEE10hipError_tPvRmT2_T3_T4_T5_mT6_T7_P12ihipStream_tbENKUlT_T0_E_clISt17integral_constantIbLb0EESW_EEDaSR_SS_EUlSR_E_NS1_11comp_targetILNS1_3genE4ELNS1_11target_archE910ELNS1_3gpuE8ELNS1_3repE0EEENS1_30default_config_static_selectorELNS0_4arch9wavefront6targetE0EEEvT1_,@function
_ZN7rocprim17ROCPRIM_400000_NS6detail17trampoline_kernelINS0_14default_configENS1_27scan_by_key_config_selectorIiiEEZZNS1_16scan_by_key_implILNS1_25lookback_scan_determinismE0ELb0ES3_N6thrust23THRUST_200600_302600_NS10device_ptrIiEESB_SB_iNS9_4plusIvEENS9_8equal_toIvEEiEE10hipError_tPvRmT2_T3_T4_T5_mT6_T7_P12ihipStream_tbENKUlT_T0_E_clISt17integral_constantIbLb0EESW_EEDaSR_SS_EUlSR_E_NS1_11comp_targetILNS1_3genE4ELNS1_11target_archE910ELNS1_3gpuE8ELNS1_3repE0EEENS1_30default_config_static_selectorELNS0_4arch9wavefront6targetE0EEEvT1_: ; @_ZN7rocprim17ROCPRIM_400000_NS6detail17trampoline_kernelINS0_14default_configENS1_27scan_by_key_config_selectorIiiEEZZNS1_16scan_by_key_implILNS1_25lookback_scan_determinismE0ELb0ES3_N6thrust23THRUST_200600_302600_NS10device_ptrIiEESB_SB_iNS9_4plusIvEENS9_8equal_toIvEEiEE10hipError_tPvRmT2_T3_T4_T5_mT6_T7_P12ihipStream_tbENKUlT_T0_E_clISt17integral_constantIbLb0EESW_EEDaSR_SS_EUlSR_E_NS1_11comp_targetILNS1_3genE4ELNS1_11target_archE910ELNS1_3gpuE8ELNS1_3repE0EEENS1_30default_config_static_selectorELNS0_4arch9wavefront6targetE0EEEvT1_
; %bb.0:
	.section	.rodata,"a",@progbits
	.p2align	6, 0x0
	.amdhsa_kernel _ZN7rocprim17ROCPRIM_400000_NS6detail17trampoline_kernelINS0_14default_configENS1_27scan_by_key_config_selectorIiiEEZZNS1_16scan_by_key_implILNS1_25lookback_scan_determinismE0ELb0ES3_N6thrust23THRUST_200600_302600_NS10device_ptrIiEESB_SB_iNS9_4plusIvEENS9_8equal_toIvEEiEE10hipError_tPvRmT2_T3_T4_T5_mT6_T7_P12ihipStream_tbENKUlT_T0_E_clISt17integral_constantIbLb0EESW_EEDaSR_SS_EUlSR_E_NS1_11comp_targetILNS1_3genE4ELNS1_11target_archE910ELNS1_3gpuE8ELNS1_3repE0EEENS1_30default_config_static_selectorELNS0_4arch9wavefront6targetE0EEEvT1_
		.amdhsa_group_segment_fixed_size 0
		.amdhsa_private_segment_fixed_size 0
		.amdhsa_kernarg_size 112
		.amdhsa_user_sgpr_count 6
		.amdhsa_user_sgpr_private_segment_buffer 1
		.amdhsa_user_sgpr_dispatch_ptr 0
		.amdhsa_user_sgpr_queue_ptr 0
		.amdhsa_user_sgpr_kernarg_segment_ptr 1
		.amdhsa_user_sgpr_dispatch_id 0
		.amdhsa_user_sgpr_flat_scratch_init 0
		.amdhsa_user_sgpr_private_segment_size 0
		.amdhsa_wavefront_size32 1
		.amdhsa_uses_dynamic_stack 0
		.amdhsa_system_sgpr_private_segment_wavefront_offset 0
		.amdhsa_system_sgpr_workgroup_id_x 1
		.amdhsa_system_sgpr_workgroup_id_y 0
		.amdhsa_system_sgpr_workgroup_id_z 0
		.amdhsa_system_sgpr_workgroup_info 0
		.amdhsa_system_vgpr_workitem_id 0
		.amdhsa_next_free_vgpr 1
		.amdhsa_next_free_sgpr 1
		.amdhsa_reserve_vcc 0
		.amdhsa_reserve_flat_scratch 0
		.amdhsa_float_round_mode_32 0
		.amdhsa_float_round_mode_16_64 0
		.amdhsa_float_denorm_mode_32 3
		.amdhsa_float_denorm_mode_16_64 3
		.amdhsa_dx10_clamp 1
		.amdhsa_ieee_mode 1
		.amdhsa_fp16_overflow 0
		.amdhsa_workgroup_processor_mode 1
		.amdhsa_memory_ordered 1
		.amdhsa_forward_progress 1
		.amdhsa_shared_vgpr_count 0
		.amdhsa_exception_fp_ieee_invalid_op 0
		.amdhsa_exception_fp_denorm_src 0
		.amdhsa_exception_fp_ieee_div_zero 0
		.amdhsa_exception_fp_ieee_overflow 0
		.amdhsa_exception_fp_ieee_underflow 0
		.amdhsa_exception_fp_ieee_inexact 0
		.amdhsa_exception_int_div_zero 0
	.end_amdhsa_kernel
	.section	.text._ZN7rocprim17ROCPRIM_400000_NS6detail17trampoline_kernelINS0_14default_configENS1_27scan_by_key_config_selectorIiiEEZZNS1_16scan_by_key_implILNS1_25lookback_scan_determinismE0ELb0ES3_N6thrust23THRUST_200600_302600_NS10device_ptrIiEESB_SB_iNS9_4plusIvEENS9_8equal_toIvEEiEE10hipError_tPvRmT2_T3_T4_T5_mT6_T7_P12ihipStream_tbENKUlT_T0_E_clISt17integral_constantIbLb0EESW_EEDaSR_SS_EUlSR_E_NS1_11comp_targetILNS1_3genE4ELNS1_11target_archE910ELNS1_3gpuE8ELNS1_3repE0EEENS1_30default_config_static_selectorELNS0_4arch9wavefront6targetE0EEEvT1_,"axG",@progbits,_ZN7rocprim17ROCPRIM_400000_NS6detail17trampoline_kernelINS0_14default_configENS1_27scan_by_key_config_selectorIiiEEZZNS1_16scan_by_key_implILNS1_25lookback_scan_determinismE0ELb0ES3_N6thrust23THRUST_200600_302600_NS10device_ptrIiEESB_SB_iNS9_4plusIvEENS9_8equal_toIvEEiEE10hipError_tPvRmT2_T3_T4_T5_mT6_T7_P12ihipStream_tbENKUlT_T0_E_clISt17integral_constantIbLb0EESW_EEDaSR_SS_EUlSR_E_NS1_11comp_targetILNS1_3genE4ELNS1_11target_archE910ELNS1_3gpuE8ELNS1_3repE0EEENS1_30default_config_static_selectorELNS0_4arch9wavefront6targetE0EEEvT1_,comdat
.Lfunc_end2197:
	.size	_ZN7rocprim17ROCPRIM_400000_NS6detail17trampoline_kernelINS0_14default_configENS1_27scan_by_key_config_selectorIiiEEZZNS1_16scan_by_key_implILNS1_25lookback_scan_determinismE0ELb0ES3_N6thrust23THRUST_200600_302600_NS10device_ptrIiEESB_SB_iNS9_4plusIvEENS9_8equal_toIvEEiEE10hipError_tPvRmT2_T3_T4_T5_mT6_T7_P12ihipStream_tbENKUlT_T0_E_clISt17integral_constantIbLb0EESW_EEDaSR_SS_EUlSR_E_NS1_11comp_targetILNS1_3genE4ELNS1_11target_archE910ELNS1_3gpuE8ELNS1_3repE0EEENS1_30default_config_static_selectorELNS0_4arch9wavefront6targetE0EEEvT1_, .Lfunc_end2197-_ZN7rocprim17ROCPRIM_400000_NS6detail17trampoline_kernelINS0_14default_configENS1_27scan_by_key_config_selectorIiiEEZZNS1_16scan_by_key_implILNS1_25lookback_scan_determinismE0ELb0ES3_N6thrust23THRUST_200600_302600_NS10device_ptrIiEESB_SB_iNS9_4plusIvEENS9_8equal_toIvEEiEE10hipError_tPvRmT2_T3_T4_T5_mT6_T7_P12ihipStream_tbENKUlT_T0_E_clISt17integral_constantIbLb0EESW_EEDaSR_SS_EUlSR_E_NS1_11comp_targetILNS1_3genE4ELNS1_11target_archE910ELNS1_3gpuE8ELNS1_3repE0EEENS1_30default_config_static_selectorELNS0_4arch9wavefront6targetE0EEEvT1_
                                        ; -- End function
	.set _ZN7rocprim17ROCPRIM_400000_NS6detail17trampoline_kernelINS0_14default_configENS1_27scan_by_key_config_selectorIiiEEZZNS1_16scan_by_key_implILNS1_25lookback_scan_determinismE0ELb0ES3_N6thrust23THRUST_200600_302600_NS10device_ptrIiEESB_SB_iNS9_4plusIvEENS9_8equal_toIvEEiEE10hipError_tPvRmT2_T3_T4_T5_mT6_T7_P12ihipStream_tbENKUlT_T0_E_clISt17integral_constantIbLb0EESW_EEDaSR_SS_EUlSR_E_NS1_11comp_targetILNS1_3genE4ELNS1_11target_archE910ELNS1_3gpuE8ELNS1_3repE0EEENS1_30default_config_static_selectorELNS0_4arch9wavefront6targetE0EEEvT1_.num_vgpr, 0
	.set _ZN7rocprim17ROCPRIM_400000_NS6detail17trampoline_kernelINS0_14default_configENS1_27scan_by_key_config_selectorIiiEEZZNS1_16scan_by_key_implILNS1_25lookback_scan_determinismE0ELb0ES3_N6thrust23THRUST_200600_302600_NS10device_ptrIiEESB_SB_iNS9_4plusIvEENS9_8equal_toIvEEiEE10hipError_tPvRmT2_T3_T4_T5_mT6_T7_P12ihipStream_tbENKUlT_T0_E_clISt17integral_constantIbLb0EESW_EEDaSR_SS_EUlSR_E_NS1_11comp_targetILNS1_3genE4ELNS1_11target_archE910ELNS1_3gpuE8ELNS1_3repE0EEENS1_30default_config_static_selectorELNS0_4arch9wavefront6targetE0EEEvT1_.num_agpr, 0
	.set _ZN7rocprim17ROCPRIM_400000_NS6detail17trampoline_kernelINS0_14default_configENS1_27scan_by_key_config_selectorIiiEEZZNS1_16scan_by_key_implILNS1_25lookback_scan_determinismE0ELb0ES3_N6thrust23THRUST_200600_302600_NS10device_ptrIiEESB_SB_iNS9_4plusIvEENS9_8equal_toIvEEiEE10hipError_tPvRmT2_T3_T4_T5_mT6_T7_P12ihipStream_tbENKUlT_T0_E_clISt17integral_constantIbLb0EESW_EEDaSR_SS_EUlSR_E_NS1_11comp_targetILNS1_3genE4ELNS1_11target_archE910ELNS1_3gpuE8ELNS1_3repE0EEENS1_30default_config_static_selectorELNS0_4arch9wavefront6targetE0EEEvT1_.numbered_sgpr, 0
	.set _ZN7rocprim17ROCPRIM_400000_NS6detail17trampoline_kernelINS0_14default_configENS1_27scan_by_key_config_selectorIiiEEZZNS1_16scan_by_key_implILNS1_25lookback_scan_determinismE0ELb0ES3_N6thrust23THRUST_200600_302600_NS10device_ptrIiEESB_SB_iNS9_4plusIvEENS9_8equal_toIvEEiEE10hipError_tPvRmT2_T3_T4_T5_mT6_T7_P12ihipStream_tbENKUlT_T0_E_clISt17integral_constantIbLb0EESW_EEDaSR_SS_EUlSR_E_NS1_11comp_targetILNS1_3genE4ELNS1_11target_archE910ELNS1_3gpuE8ELNS1_3repE0EEENS1_30default_config_static_selectorELNS0_4arch9wavefront6targetE0EEEvT1_.num_named_barrier, 0
	.set _ZN7rocprim17ROCPRIM_400000_NS6detail17trampoline_kernelINS0_14default_configENS1_27scan_by_key_config_selectorIiiEEZZNS1_16scan_by_key_implILNS1_25lookback_scan_determinismE0ELb0ES3_N6thrust23THRUST_200600_302600_NS10device_ptrIiEESB_SB_iNS9_4plusIvEENS9_8equal_toIvEEiEE10hipError_tPvRmT2_T3_T4_T5_mT6_T7_P12ihipStream_tbENKUlT_T0_E_clISt17integral_constantIbLb0EESW_EEDaSR_SS_EUlSR_E_NS1_11comp_targetILNS1_3genE4ELNS1_11target_archE910ELNS1_3gpuE8ELNS1_3repE0EEENS1_30default_config_static_selectorELNS0_4arch9wavefront6targetE0EEEvT1_.private_seg_size, 0
	.set _ZN7rocprim17ROCPRIM_400000_NS6detail17trampoline_kernelINS0_14default_configENS1_27scan_by_key_config_selectorIiiEEZZNS1_16scan_by_key_implILNS1_25lookback_scan_determinismE0ELb0ES3_N6thrust23THRUST_200600_302600_NS10device_ptrIiEESB_SB_iNS9_4plusIvEENS9_8equal_toIvEEiEE10hipError_tPvRmT2_T3_T4_T5_mT6_T7_P12ihipStream_tbENKUlT_T0_E_clISt17integral_constantIbLb0EESW_EEDaSR_SS_EUlSR_E_NS1_11comp_targetILNS1_3genE4ELNS1_11target_archE910ELNS1_3gpuE8ELNS1_3repE0EEENS1_30default_config_static_selectorELNS0_4arch9wavefront6targetE0EEEvT1_.uses_vcc, 0
	.set _ZN7rocprim17ROCPRIM_400000_NS6detail17trampoline_kernelINS0_14default_configENS1_27scan_by_key_config_selectorIiiEEZZNS1_16scan_by_key_implILNS1_25lookback_scan_determinismE0ELb0ES3_N6thrust23THRUST_200600_302600_NS10device_ptrIiEESB_SB_iNS9_4plusIvEENS9_8equal_toIvEEiEE10hipError_tPvRmT2_T3_T4_T5_mT6_T7_P12ihipStream_tbENKUlT_T0_E_clISt17integral_constantIbLb0EESW_EEDaSR_SS_EUlSR_E_NS1_11comp_targetILNS1_3genE4ELNS1_11target_archE910ELNS1_3gpuE8ELNS1_3repE0EEENS1_30default_config_static_selectorELNS0_4arch9wavefront6targetE0EEEvT1_.uses_flat_scratch, 0
	.set _ZN7rocprim17ROCPRIM_400000_NS6detail17trampoline_kernelINS0_14default_configENS1_27scan_by_key_config_selectorIiiEEZZNS1_16scan_by_key_implILNS1_25lookback_scan_determinismE0ELb0ES3_N6thrust23THRUST_200600_302600_NS10device_ptrIiEESB_SB_iNS9_4plusIvEENS9_8equal_toIvEEiEE10hipError_tPvRmT2_T3_T4_T5_mT6_T7_P12ihipStream_tbENKUlT_T0_E_clISt17integral_constantIbLb0EESW_EEDaSR_SS_EUlSR_E_NS1_11comp_targetILNS1_3genE4ELNS1_11target_archE910ELNS1_3gpuE8ELNS1_3repE0EEENS1_30default_config_static_selectorELNS0_4arch9wavefront6targetE0EEEvT1_.has_dyn_sized_stack, 0
	.set _ZN7rocprim17ROCPRIM_400000_NS6detail17trampoline_kernelINS0_14default_configENS1_27scan_by_key_config_selectorIiiEEZZNS1_16scan_by_key_implILNS1_25lookback_scan_determinismE0ELb0ES3_N6thrust23THRUST_200600_302600_NS10device_ptrIiEESB_SB_iNS9_4plusIvEENS9_8equal_toIvEEiEE10hipError_tPvRmT2_T3_T4_T5_mT6_T7_P12ihipStream_tbENKUlT_T0_E_clISt17integral_constantIbLb0EESW_EEDaSR_SS_EUlSR_E_NS1_11comp_targetILNS1_3genE4ELNS1_11target_archE910ELNS1_3gpuE8ELNS1_3repE0EEENS1_30default_config_static_selectorELNS0_4arch9wavefront6targetE0EEEvT1_.has_recursion, 0
	.set _ZN7rocprim17ROCPRIM_400000_NS6detail17trampoline_kernelINS0_14default_configENS1_27scan_by_key_config_selectorIiiEEZZNS1_16scan_by_key_implILNS1_25lookback_scan_determinismE0ELb0ES3_N6thrust23THRUST_200600_302600_NS10device_ptrIiEESB_SB_iNS9_4plusIvEENS9_8equal_toIvEEiEE10hipError_tPvRmT2_T3_T4_T5_mT6_T7_P12ihipStream_tbENKUlT_T0_E_clISt17integral_constantIbLb0EESW_EEDaSR_SS_EUlSR_E_NS1_11comp_targetILNS1_3genE4ELNS1_11target_archE910ELNS1_3gpuE8ELNS1_3repE0EEENS1_30default_config_static_selectorELNS0_4arch9wavefront6targetE0EEEvT1_.has_indirect_call, 0
	.section	.AMDGPU.csdata,"",@progbits
; Kernel info:
; codeLenInByte = 0
; TotalNumSgprs: 0
; NumVgprs: 0
; ScratchSize: 0
; MemoryBound: 0
; FloatMode: 240
; IeeeMode: 1
; LDSByteSize: 0 bytes/workgroup (compile time only)
; SGPRBlocks: 0
; VGPRBlocks: 0
; NumSGPRsForWavesPerEU: 1
; NumVGPRsForWavesPerEU: 1
; Occupancy: 16
; WaveLimiterHint : 0
; COMPUTE_PGM_RSRC2:SCRATCH_EN: 0
; COMPUTE_PGM_RSRC2:USER_SGPR: 6
; COMPUTE_PGM_RSRC2:TRAP_HANDLER: 0
; COMPUTE_PGM_RSRC2:TGID_X_EN: 1
; COMPUTE_PGM_RSRC2:TGID_Y_EN: 0
; COMPUTE_PGM_RSRC2:TGID_Z_EN: 0
; COMPUTE_PGM_RSRC2:TIDIG_COMP_CNT: 0
	.section	.text._ZN7rocprim17ROCPRIM_400000_NS6detail17trampoline_kernelINS0_14default_configENS1_27scan_by_key_config_selectorIiiEEZZNS1_16scan_by_key_implILNS1_25lookback_scan_determinismE0ELb0ES3_N6thrust23THRUST_200600_302600_NS10device_ptrIiEESB_SB_iNS9_4plusIvEENS9_8equal_toIvEEiEE10hipError_tPvRmT2_T3_T4_T5_mT6_T7_P12ihipStream_tbENKUlT_T0_E_clISt17integral_constantIbLb0EESW_EEDaSR_SS_EUlSR_E_NS1_11comp_targetILNS1_3genE3ELNS1_11target_archE908ELNS1_3gpuE7ELNS1_3repE0EEENS1_30default_config_static_selectorELNS0_4arch9wavefront6targetE0EEEvT1_,"axG",@progbits,_ZN7rocprim17ROCPRIM_400000_NS6detail17trampoline_kernelINS0_14default_configENS1_27scan_by_key_config_selectorIiiEEZZNS1_16scan_by_key_implILNS1_25lookback_scan_determinismE0ELb0ES3_N6thrust23THRUST_200600_302600_NS10device_ptrIiEESB_SB_iNS9_4plusIvEENS9_8equal_toIvEEiEE10hipError_tPvRmT2_T3_T4_T5_mT6_T7_P12ihipStream_tbENKUlT_T0_E_clISt17integral_constantIbLb0EESW_EEDaSR_SS_EUlSR_E_NS1_11comp_targetILNS1_3genE3ELNS1_11target_archE908ELNS1_3gpuE7ELNS1_3repE0EEENS1_30default_config_static_selectorELNS0_4arch9wavefront6targetE0EEEvT1_,comdat
	.protected	_ZN7rocprim17ROCPRIM_400000_NS6detail17trampoline_kernelINS0_14default_configENS1_27scan_by_key_config_selectorIiiEEZZNS1_16scan_by_key_implILNS1_25lookback_scan_determinismE0ELb0ES3_N6thrust23THRUST_200600_302600_NS10device_ptrIiEESB_SB_iNS9_4plusIvEENS9_8equal_toIvEEiEE10hipError_tPvRmT2_T3_T4_T5_mT6_T7_P12ihipStream_tbENKUlT_T0_E_clISt17integral_constantIbLb0EESW_EEDaSR_SS_EUlSR_E_NS1_11comp_targetILNS1_3genE3ELNS1_11target_archE908ELNS1_3gpuE7ELNS1_3repE0EEENS1_30default_config_static_selectorELNS0_4arch9wavefront6targetE0EEEvT1_ ; -- Begin function _ZN7rocprim17ROCPRIM_400000_NS6detail17trampoline_kernelINS0_14default_configENS1_27scan_by_key_config_selectorIiiEEZZNS1_16scan_by_key_implILNS1_25lookback_scan_determinismE0ELb0ES3_N6thrust23THRUST_200600_302600_NS10device_ptrIiEESB_SB_iNS9_4plusIvEENS9_8equal_toIvEEiEE10hipError_tPvRmT2_T3_T4_T5_mT6_T7_P12ihipStream_tbENKUlT_T0_E_clISt17integral_constantIbLb0EESW_EEDaSR_SS_EUlSR_E_NS1_11comp_targetILNS1_3genE3ELNS1_11target_archE908ELNS1_3gpuE7ELNS1_3repE0EEENS1_30default_config_static_selectorELNS0_4arch9wavefront6targetE0EEEvT1_
	.globl	_ZN7rocprim17ROCPRIM_400000_NS6detail17trampoline_kernelINS0_14default_configENS1_27scan_by_key_config_selectorIiiEEZZNS1_16scan_by_key_implILNS1_25lookback_scan_determinismE0ELb0ES3_N6thrust23THRUST_200600_302600_NS10device_ptrIiEESB_SB_iNS9_4plusIvEENS9_8equal_toIvEEiEE10hipError_tPvRmT2_T3_T4_T5_mT6_T7_P12ihipStream_tbENKUlT_T0_E_clISt17integral_constantIbLb0EESW_EEDaSR_SS_EUlSR_E_NS1_11comp_targetILNS1_3genE3ELNS1_11target_archE908ELNS1_3gpuE7ELNS1_3repE0EEENS1_30default_config_static_selectorELNS0_4arch9wavefront6targetE0EEEvT1_
	.p2align	8
	.type	_ZN7rocprim17ROCPRIM_400000_NS6detail17trampoline_kernelINS0_14default_configENS1_27scan_by_key_config_selectorIiiEEZZNS1_16scan_by_key_implILNS1_25lookback_scan_determinismE0ELb0ES3_N6thrust23THRUST_200600_302600_NS10device_ptrIiEESB_SB_iNS9_4plusIvEENS9_8equal_toIvEEiEE10hipError_tPvRmT2_T3_T4_T5_mT6_T7_P12ihipStream_tbENKUlT_T0_E_clISt17integral_constantIbLb0EESW_EEDaSR_SS_EUlSR_E_NS1_11comp_targetILNS1_3genE3ELNS1_11target_archE908ELNS1_3gpuE7ELNS1_3repE0EEENS1_30default_config_static_selectorELNS0_4arch9wavefront6targetE0EEEvT1_,@function
_ZN7rocprim17ROCPRIM_400000_NS6detail17trampoline_kernelINS0_14default_configENS1_27scan_by_key_config_selectorIiiEEZZNS1_16scan_by_key_implILNS1_25lookback_scan_determinismE0ELb0ES3_N6thrust23THRUST_200600_302600_NS10device_ptrIiEESB_SB_iNS9_4plusIvEENS9_8equal_toIvEEiEE10hipError_tPvRmT2_T3_T4_T5_mT6_T7_P12ihipStream_tbENKUlT_T0_E_clISt17integral_constantIbLb0EESW_EEDaSR_SS_EUlSR_E_NS1_11comp_targetILNS1_3genE3ELNS1_11target_archE908ELNS1_3gpuE7ELNS1_3repE0EEENS1_30default_config_static_selectorELNS0_4arch9wavefront6targetE0EEEvT1_: ; @_ZN7rocprim17ROCPRIM_400000_NS6detail17trampoline_kernelINS0_14default_configENS1_27scan_by_key_config_selectorIiiEEZZNS1_16scan_by_key_implILNS1_25lookback_scan_determinismE0ELb0ES3_N6thrust23THRUST_200600_302600_NS10device_ptrIiEESB_SB_iNS9_4plusIvEENS9_8equal_toIvEEiEE10hipError_tPvRmT2_T3_T4_T5_mT6_T7_P12ihipStream_tbENKUlT_T0_E_clISt17integral_constantIbLb0EESW_EEDaSR_SS_EUlSR_E_NS1_11comp_targetILNS1_3genE3ELNS1_11target_archE908ELNS1_3gpuE7ELNS1_3repE0EEENS1_30default_config_static_selectorELNS0_4arch9wavefront6targetE0EEEvT1_
; %bb.0:
	.section	.rodata,"a",@progbits
	.p2align	6, 0x0
	.amdhsa_kernel _ZN7rocprim17ROCPRIM_400000_NS6detail17trampoline_kernelINS0_14default_configENS1_27scan_by_key_config_selectorIiiEEZZNS1_16scan_by_key_implILNS1_25lookback_scan_determinismE0ELb0ES3_N6thrust23THRUST_200600_302600_NS10device_ptrIiEESB_SB_iNS9_4plusIvEENS9_8equal_toIvEEiEE10hipError_tPvRmT2_T3_T4_T5_mT6_T7_P12ihipStream_tbENKUlT_T0_E_clISt17integral_constantIbLb0EESW_EEDaSR_SS_EUlSR_E_NS1_11comp_targetILNS1_3genE3ELNS1_11target_archE908ELNS1_3gpuE7ELNS1_3repE0EEENS1_30default_config_static_selectorELNS0_4arch9wavefront6targetE0EEEvT1_
		.amdhsa_group_segment_fixed_size 0
		.amdhsa_private_segment_fixed_size 0
		.amdhsa_kernarg_size 112
		.amdhsa_user_sgpr_count 6
		.amdhsa_user_sgpr_private_segment_buffer 1
		.amdhsa_user_sgpr_dispatch_ptr 0
		.amdhsa_user_sgpr_queue_ptr 0
		.amdhsa_user_sgpr_kernarg_segment_ptr 1
		.amdhsa_user_sgpr_dispatch_id 0
		.amdhsa_user_sgpr_flat_scratch_init 0
		.amdhsa_user_sgpr_private_segment_size 0
		.amdhsa_wavefront_size32 1
		.amdhsa_uses_dynamic_stack 0
		.amdhsa_system_sgpr_private_segment_wavefront_offset 0
		.amdhsa_system_sgpr_workgroup_id_x 1
		.amdhsa_system_sgpr_workgroup_id_y 0
		.amdhsa_system_sgpr_workgroup_id_z 0
		.amdhsa_system_sgpr_workgroup_info 0
		.amdhsa_system_vgpr_workitem_id 0
		.amdhsa_next_free_vgpr 1
		.amdhsa_next_free_sgpr 1
		.amdhsa_reserve_vcc 0
		.amdhsa_reserve_flat_scratch 0
		.amdhsa_float_round_mode_32 0
		.amdhsa_float_round_mode_16_64 0
		.amdhsa_float_denorm_mode_32 3
		.amdhsa_float_denorm_mode_16_64 3
		.amdhsa_dx10_clamp 1
		.amdhsa_ieee_mode 1
		.amdhsa_fp16_overflow 0
		.amdhsa_workgroup_processor_mode 1
		.amdhsa_memory_ordered 1
		.amdhsa_forward_progress 1
		.amdhsa_shared_vgpr_count 0
		.amdhsa_exception_fp_ieee_invalid_op 0
		.amdhsa_exception_fp_denorm_src 0
		.amdhsa_exception_fp_ieee_div_zero 0
		.amdhsa_exception_fp_ieee_overflow 0
		.amdhsa_exception_fp_ieee_underflow 0
		.amdhsa_exception_fp_ieee_inexact 0
		.amdhsa_exception_int_div_zero 0
	.end_amdhsa_kernel
	.section	.text._ZN7rocprim17ROCPRIM_400000_NS6detail17trampoline_kernelINS0_14default_configENS1_27scan_by_key_config_selectorIiiEEZZNS1_16scan_by_key_implILNS1_25lookback_scan_determinismE0ELb0ES3_N6thrust23THRUST_200600_302600_NS10device_ptrIiEESB_SB_iNS9_4plusIvEENS9_8equal_toIvEEiEE10hipError_tPvRmT2_T3_T4_T5_mT6_T7_P12ihipStream_tbENKUlT_T0_E_clISt17integral_constantIbLb0EESW_EEDaSR_SS_EUlSR_E_NS1_11comp_targetILNS1_3genE3ELNS1_11target_archE908ELNS1_3gpuE7ELNS1_3repE0EEENS1_30default_config_static_selectorELNS0_4arch9wavefront6targetE0EEEvT1_,"axG",@progbits,_ZN7rocprim17ROCPRIM_400000_NS6detail17trampoline_kernelINS0_14default_configENS1_27scan_by_key_config_selectorIiiEEZZNS1_16scan_by_key_implILNS1_25lookback_scan_determinismE0ELb0ES3_N6thrust23THRUST_200600_302600_NS10device_ptrIiEESB_SB_iNS9_4plusIvEENS9_8equal_toIvEEiEE10hipError_tPvRmT2_T3_T4_T5_mT6_T7_P12ihipStream_tbENKUlT_T0_E_clISt17integral_constantIbLb0EESW_EEDaSR_SS_EUlSR_E_NS1_11comp_targetILNS1_3genE3ELNS1_11target_archE908ELNS1_3gpuE7ELNS1_3repE0EEENS1_30default_config_static_selectorELNS0_4arch9wavefront6targetE0EEEvT1_,comdat
.Lfunc_end2198:
	.size	_ZN7rocprim17ROCPRIM_400000_NS6detail17trampoline_kernelINS0_14default_configENS1_27scan_by_key_config_selectorIiiEEZZNS1_16scan_by_key_implILNS1_25lookback_scan_determinismE0ELb0ES3_N6thrust23THRUST_200600_302600_NS10device_ptrIiEESB_SB_iNS9_4plusIvEENS9_8equal_toIvEEiEE10hipError_tPvRmT2_T3_T4_T5_mT6_T7_P12ihipStream_tbENKUlT_T0_E_clISt17integral_constantIbLb0EESW_EEDaSR_SS_EUlSR_E_NS1_11comp_targetILNS1_3genE3ELNS1_11target_archE908ELNS1_3gpuE7ELNS1_3repE0EEENS1_30default_config_static_selectorELNS0_4arch9wavefront6targetE0EEEvT1_, .Lfunc_end2198-_ZN7rocprim17ROCPRIM_400000_NS6detail17trampoline_kernelINS0_14default_configENS1_27scan_by_key_config_selectorIiiEEZZNS1_16scan_by_key_implILNS1_25lookback_scan_determinismE0ELb0ES3_N6thrust23THRUST_200600_302600_NS10device_ptrIiEESB_SB_iNS9_4plusIvEENS9_8equal_toIvEEiEE10hipError_tPvRmT2_T3_T4_T5_mT6_T7_P12ihipStream_tbENKUlT_T0_E_clISt17integral_constantIbLb0EESW_EEDaSR_SS_EUlSR_E_NS1_11comp_targetILNS1_3genE3ELNS1_11target_archE908ELNS1_3gpuE7ELNS1_3repE0EEENS1_30default_config_static_selectorELNS0_4arch9wavefront6targetE0EEEvT1_
                                        ; -- End function
	.set _ZN7rocprim17ROCPRIM_400000_NS6detail17trampoline_kernelINS0_14default_configENS1_27scan_by_key_config_selectorIiiEEZZNS1_16scan_by_key_implILNS1_25lookback_scan_determinismE0ELb0ES3_N6thrust23THRUST_200600_302600_NS10device_ptrIiEESB_SB_iNS9_4plusIvEENS9_8equal_toIvEEiEE10hipError_tPvRmT2_T3_T4_T5_mT6_T7_P12ihipStream_tbENKUlT_T0_E_clISt17integral_constantIbLb0EESW_EEDaSR_SS_EUlSR_E_NS1_11comp_targetILNS1_3genE3ELNS1_11target_archE908ELNS1_3gpuE7ELNS1_3repE0EEENS1_30default_config_static_selectorELNS0_4arch9wavefront6targetE0EEEvT1_.num_vgpr, 0
	.set _ZN7rocprim17ROCPRIM_400000_NS6detail17trampoline_kernelINS0_14default_configENS1_27scan_by_key_config_selectorIiiEEZZNS1_16scan_by_key_implILNS1_25lookback_scan_determinismE0ELb0ES3_N6thrust23THRUST_200600_302600_NS10device_ptrIiEESB_SB_iNS9_4plusIvEENS9_8equal_toIvEEiEE10hipError_tPvRmT2_T3_T4_T5_mT6_T7_P12ihipStream_tbENKUlT_T0_E_clISt17integral_constantIbLb0EESW_EEDaSR_SS_EUlSR_E_NS1_11comp_targetILNS1_3genE3ELNS1_11target_archE908ELNS1_3gpuE7ELNS1_3repE0EEENS1_30default_config_static_selectorELNS0_4arch9wavefront6targetE0EEEvT1_.num_agpr, 0
	.set _ZN7rocprim17ROCPRIM_400000_NS6detail17trampoline_kernelINS0_14default_configENS1_27scan_by_key_config_selectorIiiEEZZNS1_16scan_by_key_implILNS1_25lookback_scan_determinismE0ELb0ES3_N6thrust23THRUST_200600_302600_NS10device_ptrIiEESB_SB_iNS9_4plusIvEENS9_8equal_toIvEEiEE10hipError_tPvRmT2_T3_T4_T5_mT6_T7_P12ihipStream_tbENKUlT_T0_E_clISt17integral_constantIbLb0EESW_EEDaSR_SS_EUlSR_E_NS1_11comp_targetILNS1_3genE3ELNS1_11target_archE908ELNS1_3gpuE7ELNS1_3repE0EEENS1_30default_config_static_selectorELNS0_4arch9wavefront6targetE0EEEvT1_.numbered_sgpr, 0
	.set _ZN7rocprim17ROCPRIM_400000_NS6detail17trampoline_kernelINS0_14default_configENS1_27scan_by_key_config_selectorIiiEEZZNS1_16scan_by_key_implILNS1_25lookback_scan_determinismE0ELb0ES3_N6thrust23THRUST_200600_302600_NS10device_ptrIiEESB_SB_iNS9_4plusIvEENS9_8equal_toIvEEiEE10hipError_tPvRmT2_T3_T4_T5_mT6_T7_P12ihipStream_tbENKUlT_T0_E_clISt17integral_constantIbLb0EESW_EEDaSR_SS_EUlSR_E_NS1_11comp_targetILNS1_3genE3ELNS1_11target_archE908ELNS1_3gpuE7ELNS1_3repE0EEENS1_30default_config_static_selectorELNS0_4arch9wavefront6targetE0EEEvT1_.num_named_barrier, 0
	.set _ZN7rocprim17ROCPRIM_400000_NS6detail17trampoline_kernelINS0_14default_configENS1_27scan_by_key_config_selectorIiiEEZZNS1_16scan_by_key_implILNS1_25lookback_scan_determinismE0ELb0ES3_N6thrust23THRUST_200600_302600_NS10device_ptrIiEESB_SB_iNS9_4plusIvEENS9_8equal_toIvEEiEE10hipError_tPvRmT2_T3_T4_T5_mT6_T7_P12ihipStream_tbENKUlT_T0_E_clISt17integral_constantIbLb0EESW_EEDaSR_SS_EUlSR_E_NS1_11comp_targetILNS1_3genE3ELNS1_11target_archE908ELNS1_3gpuE7ELNS1_3repE0EEENS1_30default_config_static_selectorELNS0_4arch9wavefront6targetE0EEEvT1_.private_seg_size, 0
	.set _ZN7rocprim17ROCPRIM_400000_NS6detail17trampoline_kernelINS0_14default_configENS1_27scan_by_key_config_selectorIiiEEZZNS1_16scan_by_key_implILNS1_25lookback_scan_determinismE0ELb0ES3_N6thrust23THRUST_200600_302600_NS10device_ptrIiEESB_SB_iNS9_4plusIvEENS9_8equal_toIvEEiEE10hipError_tPvRmT2_T3_T4_T5_mT6_T7_P12ihipStream_tbENKUlT_T0_E_clISt17integral_constantIbLb0EESW_EEDaSR_SS_EUlSR_E_NS1_11comp_targetILNS1_3genE3ELNS1_11target_archE908ELNS1_3gpuE7ELNS1_3repE0EEENS1_30default_config_static_selectorELNS0_4arch9wavefront6targetE0EEEvT1_.uses_vcc, 0
	.set _ZN7rocprim17ROCPRIM_400000_NS6detail17trampoline_kernelINS0_14default_configENS1_27scan_by_key_config_selectorIiiEEZZNS1_16scan_by_key_implILNS1_25lookback_scan_determinismE0ELb0ES3_N6thrust23THRUST_200600_302600_NS10device_ptrIiEESB_SB_iNS9_4plusIvEENS9_8equal_toIvEEiEE10hipError_tPvRmT2_T3_T4_T5_mT6_T7_P12ihipStream_tbENKUlT_T0_E_clISt17integral_constantIbLb0EESW_EEDaSR_SS_EUlSR_E_NS1_11comp_targetILNS1_3genE3ELNS1_11target_archE908ELNS1_3gpuE7ELNS1_3repE0EEENS1_30default_config_static_selectorELNS0_4arch9wavefront6targetE0EEEvT1_.uses_flat_scratch, 0
	.set _ZN7rocprim17ROCPRIM_400000_NS6detail17trampoline_kernelINS0_14default_configENS1_27scan_by_key_config_selectorIiiEEZZNS1_16scan_by_key_implILNS1_25lookback_scan_determinismE0ELb0ES3_N6thrust23THRUST_200600_302600_NS10device_ptrIiEESB_SB_iNS9_4plusIvEENS9_8equal_toIvEEiEE10hipError_tPvRmT2_T3_T4_T5_mT6_T7_P12ihipStream_tbENKUlT_T0_E_clISt17integral_constantIbLb0EESW_EEDaSR_SS_EUlSR_E_NS1_11comp_targetILNS1_3genE3ELNS1_11target_archE908ELNS1_3gpuE7ELNS1_3repE0EEENS1_30default_config_static_selectorELNS0_4arch9wavefront6targetE0EEEvT1_.has_dyn_sized_stack, 0
	.set _ZN7rocprim17ROCPRIM_400000_NS6detail17trampoline_kernelINS0_14default_configENS1_27scan_by_key_config_selectorIiiEEZZNS1_16scan_by_key_implILNS1_25lookback_scan_determinismE0ELb0ES3_N6thrust23THRUST_200600_302600_NS10device_ptrIiEESB_SB_iNS9_4plusIvEENS9_8equal_toIvEEiEE10hipError_tPvRmT2_T3_T4_T5_mT6_T7_P12ihipStream_tbENKUlT_T0_E_clISt17integral_constantIbLb0EESW_EEDaSR_SS_EUlSR_E_NS1_11comp_targetILNS1_3genE3ELNS1_11target_archE908ELNS1_3gpuE7ELNS1_3repE0EEENS1_30default_config_static_selectorELNS0_4arch9wavefront6targetE0EEEvT1_.has_recursion, 0
	.set _ZN7rocprim17ROCPRIM_400000_NS6detail17trampoline_kernelINS0_14default_configENS1_27scan_by_key_config_selectorIiiEEZZNS1_16scan_by_key_implILNS1_25lookback_scan_determinismE0ELb0ES3_N6thrust23THRUST_200600_302600_NS10device_ptrIiEESB_SB_iNS9_4plusIvEENS9_8equal_toIvEEiEE10hipError_tPvRmT2_T3_T4_T5_mT6_T7_P12ihipStream_tbENKUlT_T0_E_clISt17integral_constantIbLb0EESW_EEDaSR_SS_EUlSR_E_NS1_11comp_targetILNS1_3genE3ELNS1_11target_archE908ELNS1_3gpuE7ELNS1_3repE0EEENS1_30default_config_static_selectorELNS0_4arch9wavefront6targetE0EEEvT1_.has_indirect_call, 0
	.section	.AMDGPU.csdata,"",@progbits
; Kernel info:
; codeLenInByte = 0
; TotalNumSgprs: 0
; NumVgprs: 0
; ScratchSize: 0
; MemoryBound: 0
; FloatMode: 240
; IeeeMode: 1
; LDSByteSize: 0 bytes/workgroup (compile time only)
; SGPRBlocks: 0
; VGPRBlocks: 0
; NumSGPRsForWavesPerEU: 1
; NumVGPRsForWavesPerEU: 1
; Occupancy: 16
; WaveLimiterHint : 0
; COMPUTE_PGM_RSRC2:SCRATCH_EN: 0
; COMPUTE_PGM_RSRC2:USER_SGPR: 6
; COMPUTE_PGM_RSRC2:TRAP_HANDLER: 0
; COMPUTE_PGM_RSRC2:TGID_X_EN: 1
; COMPUTE_PGM_RSRC2:TGID_Y_EN: 0
; COMPUTE_PGM_RSRC2:TGID_Z_EN: 0
; COMPUTE_PGM_RSRC2:TIDIG_COMP_CNT: 0
	.section	.text._ZN7rocprim17ROCPRIM_400000_NS6detail17trampoline_kernelINS0_14default_configENS1_27scan_by_key_config_selectorIiiEEZZNS1_16scan_by_key_implILNS1_25lookback_scan_determinismE0ELb0ES3_N6thrust23THRUST_200600_302600_NS10device_ptrIiEESB_SB_iNS9_4plusIvEENS9_8equal_toIvEEiEE10hipError_tPvRmT2_T3_T4_T5_mT6_T7_P12ihipStream_tbENKUlT_T0_E_clISt17integral_constantIbLb0EESW_EEDaSR_SS_EUlSR_E_NS1_11comp_targetILNS1_3genE2ELNS1_11target_archE906ELNS1_3gpuE6ELNS1_3repE0EEENS1_30default_config_static_selectorELNS0_4arch9wavefront6targetE0EEEvT1_,"axG",@progbits,_ZN7rocprim17ROCPRIM_400000_NS6detail17trampoline_kernelINS0_14default_configENS1_27scan_by_key_config_selectorIiiEEZZNS1_16scan_by_key_implILNS1_25lookback_scan_determinismE0ELb0ES3_N6thrust23THRUST_200600_302600_NS10device_ptrIiEESB_SB_iNS9_4plusIvEENS9_8equal_toIvEEiEE10hipError_tPvRmT2_T3_T4_T5_mT6_T7_P12ihipStream_tbENKUlT_T0_E_clISt17integral_constantIbLb0EESW_EEDaSR_SS_EUlSR_E_NS1_11comp_targetILNS1_3genE2ELNS1_11target_archE906ELNS1_3gpuE6ELNS1_3repE0EEENS1_30default_config_static_selectorELNS0_4arch9wavefront6targetE0EEEvT1_,comdat
	.protected	_ZN7rocprim17ROCPRIM_400000_NS6detail17trampoline_kernelINS0_14default_configENS1_27scan_by_key_config_selectorIiiEEZZNS1_16scan_by_key_implILNS1_25lookback_scan_determinismE0ELb0ES3_N6thrust23THRUST_200600_302600_NS10device_ptrIiEESB_SB_iNS9_4plusIvEENS9_8equal_toIvEEiEE10hipError_tPvRmT2_T3_T4_T5_mT6_T7_P12ihipStream_tbENKUlT_T0_E_clISt17integral_constantIbLb0EESW_EEDaSR_SS_EUlSR_E_NS1_11comp_targetILNS1_3genE2ELNS1_11target_archE906ELNS1_3gpuE6ELNS1_3repE0EEENS1_30default_config_static_selectorELNS0_4arch9wavefront6targetE0EEEvT1_ ; -- Begin function _ZN7rocprim17ROCPRIM_400000_NS6detail17trampoline_kernelINS0_14default_configENS1_27scan_by_key_config_selectorIiiEEZZNS1_16scan_by_key_implILNS1_25lookback_scan_determinismE0ELb0ES3_N6thrust23THRUST_200600_302600_NS10device_ptrIiEESB_SB_iNS9_4plusIvEENS9_8equal_toIvEEiEE10hipError_tPvRmT2_T3_T4_T5_mT6_T7_P12ihipStream_tbENKUlT_T0_E_clISt17integral_constantIbLb0EESW_EEDaSR_SS_EUlSR_E_NS1_11comp_targetILNS1_3genE2ELNS1_11target_archE906ELNS1_3gpuE6ELNS1_3repE0EEENS1_30default_config_static_selectorELNS0_4arch9wavefront6targetE0EEEvT1_
	.globl	_ZN7rocprim17ROCPRIM_400000_NS6detail17trampoline_kernelINS0_14default_configENS1_27scan_by_key_config_selectorIiiEEZZNS1_16scan_by_key_implILNS1_25lookback_scan_determinismE0ELb0ES3_N6thrust23THRUST_200600_302600_NS10device_ptrIiEESB_SB_iNS9_4plusIvEENS9_8equal_toIvEEiEE10hipError_tPvRmT2_T3_T4_T5_mT6_T7_P12ihipStream_tbENKUlT_T0_E_clISt17integral_constantIbLb0EESW_EEDaSR_SS_EUlSR_E_NS1_11comp_targetILNS1_3genE2ELNS1_11target_archE906ELNS1_3gpuE6ELNS1_3repE0EEENS1_30default_config_static_selectorELNS0_4arch9wavefront6targetE0EEEvT1_
	.p2align	8
	.type	_ZN7rocprim17ROCPRIM_400000_NS6detail17trampoline_kernelINS0_14default_configENS1_27scan_by_key_config_selectorIiiEEZZNS1_16scan_by_key_implILNS1_25lookback_scan_determinismE0ELb0ES3_N6thrust23THRUST_200600_302600_NS10device_ptrIiEESB_SB_iNS9_4plusIvEENS9_8equal_toIvEEiEE10hipError_tPvRmT2_T3_T4_T5_mT6_T7_P12ihipStream_tbENKUlT_T0_E_clISt17integral_constantIbLb0EESW_EEDaSR_SS_EUlSR_E_NS1_11comp_targetILNS1_3genE2ELNS1_11target_archE906ELNS1_3gpuE6ELNS1_3repE0EEENS1_30default_config_static_selectorELNS0_4arch9wavefront6targetE0EEEvT1_,@function
_ZN7rocprim17ROCPRIM_400000_NS6detail17trampoline_kernelINS0_14default_configENS1_27scan_by_key_config_selectorIiiEEZZNS1_16scan_by_key_implILNS1_25lookback_scan_determinismE0ELb0ES3_N6thrust23THRUST_200600_302600_NS10device_ptrIiEESB_SB_iNS9_4plusIvEENS9_8equal_toIvEEiEE10hipError_tPvRmT2_T3_T4_T5_mT6_T7_P12ihipStream_tbENKUlT_T0_E_clISt17integral_constantIbLb0EESW_EEDaSR_SS_EUlSR_E_NS1_11comp_targetILNS1_3genE2ELNS1_11target_archE906ELNS1_3gpuE6ELNS1_3repE0EEENS1_30default_config_static_selectorELNS0_4arch9wavefront6targetE0EEEvT1_: ; @_ZN7rocprim17ROCPRIM_400000_NS6detail17trampoline_kernelINS0_14default_configENS1_27scan_by_key_config_selectorIiiEEZZNS1_16scan_by_key_implILNS1_25lookback_scan_determinismE0ELb0ES3_N6thrust23THRUST_200600_302600_NS10device_ptrIiEESB_SB_iNS9_4plusIvEENS9_8equal_toIvEEiEE10hipError_tPvRmT2_T3_T4_T5_mT6_T7_P12ihipStream_tbENKUlT_T0_E_clISt17integral_constantIbLb0EESW_EEDaSR_SS_EUlSR_E_NS1_11comp_targetILNS1_3genE2ELNS1_11target_archE906ELNS1_3gpuE6ELNS1_3repE0EEENS1_30default_config_static_selectorELNS0_4arch9wavefront6targetE0EEEvT1_
; %bb.0:
	.section	.rodata,"a",@progbits
	.p2align	6, 0x0
	.amdhsa_kernel _ZN7rocprim17ROCPRIM_400000_NS6detail17trampoline_kernelINS0_14default_configENS1_27scan_by_key_config_selectorIiiEEZZNS1_16scan_by_key_implILNS1_25lookback_scan_determinismE0ELb0ES3_N6thrust23THRUST_200600_302600_NS10device_ptrIiEESB_SB_iNS9_4plusIvEENS9_8equal_toIvEEiEE10hipError_tPvRmT2_T3_T4_T5_mT6_T7_P12ihipStream_tbENKUlT_T0_E_clISt17integral_constantIbLb0EESW_EEDaSR_SS_EUlSR_E_NS1_11comp_targetILNS1_3genE2ELNS1_11target_archE906ELNS1_3gpuE6ELNS1_3repE0EEENS1_30default_config_static_selectorELNS0_4arch9wavefront6targetE0EEEvT1_
		.amdhsa_group_segment_fixed_size 0
		.amdhsa_private_segment_fixed_size 0
		.amdhsa_kernarg_size 112
		.amdhsa_user_sgpr_count 6
		.amdhsa_user_sgpr_private_segment_buffer 1
		.amdhsa_user_sgpr_dispatch_ptr 0
		.amdhsa_user_sgpr_queue_ptr 0
		.amdhsa_user_sgpr_kernarg_segment_ptr 1
		.amdhsa_user_sgpr_dispatch_id 0
		.amdhsa_user_sgpr_flat_scratch_init 0
		.amdhsa_user_sgpr_private_segment_size 0
		.amdhsa_wavefront_size32 1
		.amdhsa_uses_dynamic_stack 0
		.amdhsa_system_sgpr_private_segment_wavefront_offset 0
		.amdhsa_system_sgpr_workgroup_id_x 1
		.amdhsa_system_sgpr_workgroup_id_y 0
		.amdhsa_system_sgpr_workgroup_id_z 0
		.amdhsa_system_sgpr_workgroup_info 0
		.amdhsa_system_vgpr_workitem_id 0
		.amdhsa_next_free_vgpr 1
		.amdhsa_next_free_sgpr 1
		.amdhsa_reserve_vcc 0
		.amdhsa_reserve_flat_scratch 0
		.amdhsa_float_round_mode_32 0
		.amdhsa_float_round_mode_16_64 0
		.amdhsa_float_denorm_mode_32 3
		.amdhsa_float_denorm_mode_16_64 3
		.amdhsa_dx10_clamp 1
		.amdhsa_ieee_mode 1
		.amdhsa_fp16_overflow 0
		.amdhsa_workgroup_processor_mode 1
		.amdhsa_memory_ordered 1
		.amdhsa_forward_progress 1
		.amdhsa_shared_vgpr_count 0
		.amdhsa_exception_fp_ieee_invalid_op 0
		.amdhsa_exception_fp_denorm_src 0
		.amdhsa_exception_fp_ieee_div_zero 0
		.amdhsa_exception_fp_ieee_overflow 0
		.amdhsa_exception_fp_ieee_underflow 0
		.amdhsa_exception_fp_ieee_inexact 0
		.amdhsa_exception_int_div_zero 0
	.end_amdhsa_kernel
	.section	.text._ZN7rocprim17ROCPRIM_400000_NS6detail17trampoline_kernelINS0_14default_configENS1_27scan_by_key_config_selectorIiiEEZZNS1_16scan_by_key_implILNS1_25lookback_scan_determinismE0ELb0ES3_N6thrust23THRUST_200600_302600_NS10device_ptrIiEESB_SB_iNS9_4plusIvEENS9_8equal_toIvEEiEE10hipError_tPvRmT2_T3_T4_T5_mT6_T7_P12ihipStream_tbENKUlT_T0_E_clISt17integral_constantIbLb0EESW_EEDaSR_SS_EUlSR_E_NS1_11comp_targetILNS1_3genE2ELNS1_11target_archE906ELNS1_3gpuE6ELNS1_3repE0EEENS1_30default_config_static_selectorELNS0_4arch9wavefront6targetE0EEEvT1_,"axG",@progbits,_ZN7rocprim17ROCPRIM_400000_NS6detail17trampoline_kernelINS0_14default_configENS1_27scan_by_key_config_selectorIiiEEZZNS1_16scan_by_key_implILNS1_25lookback_scan_determinismE0ELb0ES3_N6thrust23THRUST_200600_302600_NS10device_ptrIiEESB_SB_iNS9_4plusIvEENS9_8equal_toIvEEiEE10hipError_tPvRmT2_T3_T4_T5_mT6_T7_P12ihipStream_tbENKUlT_T0_E_clISt17integral_constantIbLb0EESW_EEDaSR_SS_EUlSR_E_NS1_11comp_targetILNS1_3genE2ELNS1_11target_archE906ELNS1_3gpuE6ELNS1_3repE0EEENS1_30default_config_static_selectorELNS0_4arch9wavefront6targetE0EEEvT1_,comdat
.Lfunc_end2199:
	.size	_ZN7rocprim17ROCPRIM_400000_NS6detail17trampoline_kernelINS0_14default_configENS1_27scan_by_key_config_selectorIiiEEZZNS1_16scan_by_key_implILNS1_25lookback_scan_determinismE0ELb0ES3_N6thrust23THRUST_200600_302600_NS10device_ptrIiEESB_SB_iNS9_4plusIvEENS9_8equal_toIvEEiEE10hipError_tPvRmT2_T3_T4_T5_mT6_T7_P12ihipStream_tbENKUlT_T0_E_clISt17integral_constantIbLb0EESW_EEDaSR_SS_EUlSR_E_NS1_11comp_targetILNS1_3genE2ELNS1_11target_archE906ELNS1_3gpuE6ELNS1_3repE0EEENS1_30default_config_static_selectorELNS0_4arch9wavefront6targetE0EEEvT1_, .Lfunc_end2199-_ZN7rocprim17ROCPRIM_400000_NS6detail17trampoline_kernelINS0_14default_configENS1_27scan_by_key_config_selectorIiiEEZZNS1_16scan_by_key_implILNS1_25lookback_scan_determinismE0ELb0ES3_N6thrust23THRUST_200600_302600_NS10device_ptrIiEESB_SB_iNS9_4plusIvEENS9_8equal_toIvEEiEE10hipError_tPvRmT2_T3_T4_T5_mT6_T7_P12ihipStream_tbENKUlT_T0_E_clISt17integral_constantIbLb0EESW_EEDaSR_SS_EUlSR_E_NS1_11comp_targetILNS1_3genE2ELNS1_11target_archE906ELNS1_3gpuE6ELNS1_3repE0EEENS1_30default_config_static_selectorELNS0_4arch9wavefront6targetE0EEEvT1_
                                        ; -- End function
	.set _ZN7rocprim17ROCPRIM_400000_NS6detail17trampoline_kernelINS0_14default_configENS1_27scan_by_key_config_selectorIiiEEZZNS1_16scan_by_key_implILNS1_25lookback_scan_determinismE0ELb0ES3_N6thrust23THRUST_200600_302600_NS10device_ptrIiEESB_SB_iNS9_4plusIvEENS9_8equal_toIvEEiEE10hipError_tPvRmT2_T3_T4_T5_mT6_T7_P12ihipStream_tbENKUlT_T0_E_clISt17integral_constantIbLb0EESW_EEDaSR_SS_EUlSR_E_NS1_11comp_targetILNS1_3genE2ELNS1_11target_archE906ELNS1_3gpuE6ELNS1_3repE0EEENS1_30default_config_static_selectorELNS0_4arch9wavefront6targetE0EEEvT1_.num_vgpr, 0
	.set _ZN7rocprim17ROCPRIM_400000_NS6detail17trampoline_kernelINS0_14default_configENS1_27scan_by_key_config_selectorIiiEEZZNS1_16scan_by_key_implILNS1_25lookback_scan_determinismE0ELb0ES3_N6thrust23THRUST_200600_302600_NS10device_ptrIiEESB_SB_iNS9_4plusIvEENS9_8equal_toIvEEiEE10hipError_tPvRmT2_T3_T4_T5_mT6_T7_P12ihipStream_tbENKUlT_T0_E_clISt17integral_constantIbLb0EESW_EEDaSR_SS_EUlSR_E_NS1_11comp_targetILNS1_3genE2ELNS1_11target_archE906ELNS1_3gpuE6ELNS1_3repE0EEENS1_30default_config_static_selectorELNS0_4arch9wavefront6targetE0EEEvT1_.num_agpr, 0
	.set _ZN7rocprim17ROCPRIM_400000_NS6detail17trampoline_kernelINS0_14default_configENS1_27scan_by_key_config_selectorIiiEEZZNS1_16scan_by_key_implILNS1_25lookback_scan_determinismE0ELb0ES3_N6thrust23THRUST_200600_302600_NS10device_ptrIiEESB_SB_iNS9_4plusIvEENS9_8equal_toIvEEiEE10hipError_tPvRmT2_T3_T4_T5_mT6_T7_P12ihipStream_tbENKUlT_T0_E_clISt17integral_constantIbLb0EESW_EEDaSR_SS_EUlSR_E_NS1_11comp_targetILNS1_3genE2ELNS1_11target_archE906ELNS1_3gpuE6ELNS1_3repE0EEENS1_30default_config_static_selectorELNS0_4arch9wavefront6targetE0EEEvT1_.numbered_sgpr, 0
	.set _ZN7rocprim17ROCPRIM_400000_NS6detail17trampoline_kernelINS0_14default_configENS1_27scan_by_key_config_selectorIiiEEZZNS1_16scan_by_key_implILNS1_25lookback_scan_determinismE0ELb0ES3_N6thrust23THRUST_200600_302600_NS10device_ptrIiEESB_SB_iNS9_4plusIvEENS9_8equal_toIvEEiEE10hipError_tPvRmT2_T3_T4_T5_mT6_T7_P12ihipStream_tbENKUlT_T0_E_clISt17integral_constantIbLb0EESW_EEDaSR_SS_EUlSR_E_NS1_11comp_targetILNS1_3genE2ELNS1_11target_archE906ELNS1_3gpuE6ELNS1_3repE0EEENS1_30default_config_static_selectorELNS0_4arch9wavefront6targetE0EEEvT1_.num_named_barrier, 0
	.set _ZN7rocprim17ROCPRIM_400000_NS6detail17trampoline_kernelINS0_14default_configENS1_27scan_by_key_config_selectorIiiEEZZNS1_16scan_by_key_implILNS1_25lookback_scan_determinismE0ELb0ES3_N6thrust23THRUST_200600_302600_NS10device_ptrIiEESB_SB_iNS9_4plusIvEENS9_8equal_toIvEEiEE10hipError_tPvRmT2_T3_T4_T5_mT6_T7_P12ihipStream_tbENKUlT_T0_E_clISt17integral_constantIbLb0EESW_EEDaSR_SS_EUlSR_E_NS1_11comp_targetILNS1_3genE2ELNS1_11target_archE906ELNS1_3gpuE6ELNS1_3repE0EEENS1_30default_config_static_selectorELNS0_4arch9wavefront6targetE0EEEvT1_.private_seg_size, 0
	.set _ZN7rocprim17ROCPRIM_400000_NS6detail17trampoline_kernelINS0_14default_configENS1_27scan_by_key_config_selectorIiiEEZZNS1_16scan_by_key_implILNS1_25lookback_scan_determinismE0ELb0ES3_N6thrust23THRUST_200600_302600_NS10device_ptrIiEESB_SB_iNS9_4plusIvEENS9_8equal_toIvEEiEE10hipError_tPvRmT2_T3_T4_T5_mT6_T7_P12ihipStream_tbENKUlT_T0_E_clISt17integral_constantIbLb0EESW_EEDaSR_SS_EUlSR_E_NS1_11comp_targetILNS1_3genE2ELNS1_11target_archE906ELNS1_3gpuE6ELNS1_3repE0EEENS1_30default_config_static_selectorELNS0_4arch9wavefront6targetE0EEEvT1_.uses_vcc, 0
	.set _ZN7rocprim17ROCPRIM_400000_NS6detail17trampoline_kernelINS0_14default_configENS1_27scan_by_key_config_selectorIiiEEZZNS1_16scan_by_key_implILNS1_25lookback_scan_determinismE0ELb0ES3_N6thrust23THRUST_200600_302600_NS10device_ptrIiEESB_SB_iNS9_4plusIvEENS9_8equal_toIvEEiEE10hipError_tPvRmT2_T3_T4_T5_mT6_T7_P12ihipStream_tbENKUlT_T0_E_clISt17integral_constantIbLb0EESW_EEDaSR_SS_EUlSR_E_NS1_11comp_targetILNS1_3genE2ELNS1_11target_archE906ELNS1_3gpuE6ELNS1_3repE0EEENS1_30default_config_static_selectorELNS0_4arch9wavefront6targetE0EEEvT1_.uses_flat_scratch, 0
	.set _ZN7rocprim17ROCPRIM_400000_NS6detail17trampoline_kernelINS0_14default_configENS1_27scan_by_key_config_selectorIiiEEZZNS1_16scan_by_key_implILNS1_25lookback_scan_determinismE0ELb0ES3_N6thrust23THRUST_200600_302600_NS10device_ptrIiEESB_SB_iNS9_4plusIvEENS9_8equal_toIvEEiEE10hipError_tPvRmT2_T3_T4_T5_mT6_T7_P12ihipStream_tbENKUlT_T0_E_clISt17integral_constantIbLb0EESW_EEDaSR_SS_EUlSR_E_NS1_11comp_targetILNS1_3genE2ELNS1_11target_archE906ELNS1_3gpuE6ELNS1_3repE0EEENS1_30default_config_static_selectorELNS0_4arch9wavefront6targetE0EEEvT1_.has_dyn_sized_stack, 0
	.set _ZN7rocprim17ROCPRIM_400000_NS6detail17trampoline_kernelINS0_14default_configENS1_27scan_by_key_config_selectorIiiEEZZNS1_16scan_by_key_implILNS1_25lookback_scan_determinismE0ELb0ES3_N6thrust23THRUST_200600_302600_NS10device_ptrIiEESB_SB_iNS9_4plusIvEENS9_8equal_toIvEEiEE10hipError_tPvRmT2_T3_T4_T5_mT6_T7_P12ihipStream_tbENKUlT_T0_E_clISt17integral_constantIbLb0EESW_EEDaSR_SS_EUlSR_E_NS1_11comp_targetILNS1_3genE2ELNS1_11target_archE906ELNS1_3gpuE6ELNS1_3repE0EEENS1_30default_config_static_selectorELNS0_4arch9wavefront6targetE0EEEvT1_.has_recursion, 0
	.set _ZN7rocprim17ROCPRIM_400000_NS6detail17trampoline_kernelINS0_14default_configENS1_27scan_by_key_config_selectorIiiEEZZNS1_16scan_by_key_implILNS1_25lookback_scan_determinismE0ELb0ES3_N6thrust23THRUST_200600_302600_NS10device_ptrIiEESB_SB_iNS9_4plusIvEENS9_8equal_toIvEEiEE10hipError_tPvRmT2_T3_T4_T5_mT6_T7_P12ihipStream_tbENKUlT_T0_E_clISt17integral_constantIbLb0EESW_EEDaSR_SS_EUlSR_E_NS1_11comp_targetILNS1_3genE2ELNS1_11target_archE906ELNS1_3gpuE6ELNS1_3repE0EEENS1_30default_config_static_selectorELNS0_4arch9wavefront6targetE0EEEvT1_.has_indirect_call, 0
	.section	.AMDGPU.csdata,"",@progbits
; Kernel info:
; codeLenInByte = 0
; TotalNumSgprs: 0
; NumVgprs: 0
; ScratchSize: 0
; MemoryBound: 0
; FloatMode: 240
; IeeeMode: 1
; LDSByteSize: 0 bytes/workgroup (compile time only)
; SGPRBlocks: 0
; VGPRBlocks: 0
; NumSGPRsForWavesPerEU: 1
; NumVGPRsForWavesPerEU: 1
; Occupancy: 16
; WaveLimiterHint : 0
; COMPUTE_PGM_RSRC2:SCRATCH_EN: 0
; COMPUTE_PGM_RSRC2:USER_SGPR: 6
; COMPUTE_PGM_RSRC2:TRAP_HANDLER: 0
; COMPUTE_PGM_RSRC2:TGID_X_EN: 1
; COMPUTE_PGM_RSRC2:TGID_Y_EN: 0
; COMPUTE_PGM_RSRC2:TGID_Z_EN: 0
; COMPUTE_PGM_RSRC2:TIDIG_COMP_CNT: 0
	.section	.text._ZN7rocprim17ROCPRIM_400000_NS6detail17trampoline_kernelINS0_14default_configENS1_27scan_by_key_config_selectorIiiEEZZNS1_16scan_by_key_implILNS1_25lookback_scan_determinismE0ELb0ES3_N6thrust23THRUST_200600_302600_NS10device_ptrIiEESB_SB_iNS9_4plusIvEENS9_8equal_toIvEEiEE10hipError_tPvRmT2_T3_T4_T5_mT6_T7_P12ihipStream_tbENKUlT_T0_E_clISt17integral_constantIbLb0EESW_EEDaSR_SS_EUlSR_E_NS1_11comp_targetILNS1_3genE10ELNS1_11target_archE1200ELNS1_3gpuE4ELNS1_3repE0EEENS1_30default_config_static_selectorELNS0_4arch9wavefront6targetE0EEEvT1_,"axG",@progbits,_ZN7rocprim17ROCPRIM_400000_NS6detail17trampoline_kernelINS0_14default_configENS1_27scan_by_key_config_selectorIiiEEZZNS1_16scan_by_key_implILNS1_25lookback_scan_determinismE0ELb0ES3_N6thrust23THRUST_200600_302600_NS10device_ptrIiEESB_SB_iNS9_4plusIvEENS9_8equal_toIvEEiEE10hipError_tPvRmT2_T3_T4_T5_mT6_T7_P12ihipStream_tbENKUlT_T0_E_clISt17integral_constantIbLb0EESW_EEDaSR_SS_EUlSR_E_NS1_11comp_targetILNS1_3genE10ELNS1_11target_archE1200ELNS1_3gpuE4ELNS1_3repE0EEENS1_30default_config_static_selectorELNS0_4arch9wavefront6targetE0EEEvT1_,comdat
	.protected	_ZN7rocprim17ROCPRIM_400000_NS6detail17trampoline_kernelINS0_14default_configENS1_27scan_by_key_config_selectorIiiEEZZNS1_16scan_by_key_implILNS1_25lookback_scan_determinismE0ELb0ES3_N6thrust23THRUST_200600_302600_NS10device_ptrIiEESB_SB_iNS9_4plusIvEENS9_8equal_toIvEEiEE10hipError_tPvRmT2_T3_T4_T5_mT6_T7_P12ihipStream_tbENKUlT_T0_E_clISt17integral_constantIbLb0EESW_EEDaSR_SS_EUlSR_E_NS1_11comp_targetILNS1_3genE10ELNS1_11target_archE1200ELNS1_3gpuE4ELNS1_3repE0EEENS1_30default_config_static_selectorELNS0_4arch9wavefront6targetE0EEEvT1_ ; -- Begin function _ZN7rocprim17ROCPRIM_400000_NS6detail17trampoline_kernelINS0_14default_configENS1_27scan_by_key_config_selectorIiiEEZZNS1_16scan_by_key_implILNS1_25lookback_scan_determinismE0ELb0ES3_N6thrust23THRUST_200600_302600_NS10device_ptrIiEESB_SB_iNS9_4plusIvEENS9_8equal_toIvEEiEE10hipError_tPvRmT2_T3_T4_T5_mT6_T7_P12ihipStream_tbENKUlT_T0_E_clISt17integral_constantIbLb0EESW_EEDaSR_SS_EUlSR_E_NS1_11comp_targetILNS1_3genE10ELNS1_11target_archE1200ELNS1_3gpuE4ELNS1_3repE0EEENS1_30default_config_static_selectorELNS0_4arch9wavefront6targetE0EEEvT1_
	.globl	_ZN7rocprim17ROCPRIM_400000_NS6detail17trampoline_kernelINS0_14default_configENS1_27scan_by_key_config_selectorIiiEEZZNS1_16scan_by_key_implILNS1_25lookback_scan_determinismE0ELb0ES3_N6thrust23THRUST_200600_302600_NS10device_ptrIiEESB_SB_iNS9_4plusIvEENS9_8equal_toIvEEiEE10hipError_tPvRmT2_T3_T4_T5_mT6_T7_P12ihipStream_tbENKUlT_T0_E_clISt17integral_constantIbLb0EESW_EEDaSR_SS_EUlSR_E_NS1_11comp_targetILNS1_3genE10ELNS1_11target_archE1200ELNS1_3gpuE4ELNS1_3repE0EEENS1_30default_config_static_selectorELNS0_4arch9wavefront6targetE0EEEvT1_
	.p2align	8
	.type	_ZN7rocprim17ROCPRIM_400000_NS6detail17trampoline_kernelINS0_14default_configENS1_27scan_by_key_config_selectorIiiEEZZNS1_16scan_by_key_implILNS1_25lookback_scan_determinismE0ELb0ES3_N6thrust23THRUST_200600_302600_NS10device_ptrIiEESB_SB_iNS9_4plusIvEENS9_8equal_toIvEEiEE10hipError_tPvRmT2_T3_T4_T5_mT6_T7_P12ihipStream_tbENKUlT_T0_E_clISt17integral_constantIbLb0EESW_EEDaSR_SS_EUlSR_E_NS1_11comp_targetILNS1_3genE10ELNS1_11target_archE1200ELNS1_3gpuE4ELNS1_3repE0EEENS1_30default_config_static_selectorELNS0_4arch9wavefront6targetE0EEEvT1_,@function
_ZN7rocprim17ROCPRIM_400000_NS6detail17trampoline_kernelINS0_14default_configENS1_27scan_by_key_config_selectorIiiEEZZNS1_16scan_by_key_implILNS1_25lookback_scan_determinismE0ELb0ES3_N6thrust23THRUST_200600_302600_NS10device_ptrIiEESB_SB_iNS9_4plusIvEENS9_8equal_toIvEEiEE10hipError_tPvRmT2_T3_T4_T5_mT6_T7_P12ihipStream_tbENKUlT_T0_E_clISt17integral_constantIbLb0EESW_EEDaSR_SS_EUlSR_E_NS1_11comp_targetILNS1_3genE10ELNS1_11target_archE1200ELNS1_3gpuE4ELNS1_3repE0EEENS1_30default_config_static_selectorELNS0_4arch9wavefront6targetE0EEEvT1_: ; @_ZN7rocprim17ROCPRIM_400000_NS6detail17trampoline_kernelINS0_14default_configENS1_27scan_by_key_config_selectorIiiEEZZNS1_16scan_by_key_implILNS1_25lookback_scan_determinismE0ELb0ES3_N6thrust23THRUST_200600_302600_NS10device_ptrIiEESB_SB_iNS9_4plusIvEENS9_8equal_toIvEEiEE10hipError_tPvRmT2_T3_T4_T5_mT6_T7_P12ihipStream_tbENKUlT_T0_E_clISt17integral_constantIbLb0EESW_EEDaSR_SS_EUlSR_E_NS1_11comp_targetILNS1_3genE10ELNS1_11target_archE1200ELNS1_3gpuE4ELNS1_3repE0EEENS1_30default_config_static_selectorELNS0_4arch9wavefront6targetE0EEEvT1_
; %bb.0:
	.section	.rodata,"a",@progbits
	.p2align	6, 0x0
	.amdhsa_kernel _ZN7rocprim17ROCPRIM_400000_NS6detail17trampoline_kernelINS0_14default_configENS1_27scan_by_key_config_selectorIiiEEZZNS1_16scan_by_key_implILNS1_25lookback_scan_determinismE0ELb0ES3_N6thrust23THRUST_200600_302600_NS10device_ptrIiEESB_SB_iNS9_4plusIvEENS9_8equal_toIvEEiEE10hipError_tPvRmT2_T3_T4_T5_mT6_T7_P12ihipStream_tbENKUlT_T0_E_clISt17integral_constantIbLb0EESW_EEDaSR_SS_EUlSR_E_NS1_11comp_targetILNS1_3genE10ELNS1_11target_archE1200ELNS1_3gpuE4ELNS1_3repE0EEENS1_30default_config_static_selectorELNS0_4arch9wavefront6targetE0EEEvT1_
		.amdhsa_group_segment_fixed_size 0
		.amdhsa_private_segment_fixed_size 0
		.amdhsa_kernarg_size 112
		.amdhsa_user_sgpr_count 6
		.amdhsa_user_sgpr_private_segment_buffer 1
		.amdhsa_user_sgpr_dispatch_ptr 0
		.amdhsa_user_sgpr_queue_ptr 0
		.amdhsa_user_sgpr_kernarg_segment_ptr 1
		.amdhsa_user_sgpr_dispatch_id 0
		.amdhsa_user_sgpr_flat_scratch_init 0
		.amdhsa_user_sgpr_private_segment_size 0
		.amdhsa_wavefront_size32 1
		.amdhsa_uses_dynamic_stack 0
		.amdhsa_system_sgpr_private_segment_wavefront_offset 0
		.amdhsa_system_sgpr_workgroup_id_x 1
		.amdhsa_system_sgpr_workgroup_id_y 0
		.amdhsa_system_sgpr_workgroup_id_z 0
		.amdhsa_system_sgpr_workgroup_info 0
		.amdhsa_system_vgpr_workitem_id 0
		.amdhsa_next_free_vgpr 1
		.amdhsa_next_free_sgpr 1
		.amdhsa_reserve_vcc 0
		.amdhsa_reserve_flat_scratch 0
		.amdhsa_float_round_mode_32 0
		.amdhsa_float_round_mode_16_64 0
		.amdhsa_float_denorm_mode_32 3
		.amdhsa_float_denorm_mode_16_64 3
		.amdhsa_dx10_clamp 1
		.amdhsa_ieee_mode 1
		.amdhsa_fp16_overflow 0
		.amdhsa_workgroup_processor_mode 1
		.amdhsa_memory_ordered 1
		.amdhsa_forward_progress 1
		.amdhsa_shared_vgpr_count 0
		.amdhsa_exception_fp_ieee_invalid_op 0
		.amdhsa_exception_fp_denorm_src 0
		.amdhsa_exception_fp_ieee_div_zero 0
		.amdhsa_exception_fp_ieee_overflow 0
		.amdhsa_exception_fp_ieee_underflow 0
		.amdhsa_exception_fp_ieee_inexact 0
		.amdhsa_exception_int_div_zero 0
	.end_amdhsa_kernel
	.section	.text._ZN7rocprim17ROCPRIM_400000_NS6detail17trampoline_kernelINS0_14default_configENS1_27scan_by_key_config_selectorIiiEEZZNS1_16scan_by_key_implILNS1_25lookback_scan_determinismE0ELb0ES3_N6thrust23THRUST_200600_302600_NS10device_ptrIiEESB_SB_iNS9_4plusIvEENS9_8equal_toIvEEiEE10hipError_tPvRmT2_T3_T4_T5_mT6_T7_P12ihipStream_tbENKUlT_T0_E_clISt17integral_constantIbLb0EESW_EEDaSR_SS_EUlSR_E_NS1_11comp_targetILNS1_3genE10ELNS1_11target_archE1200ELNS1_3gpuE4ELNS1_3repE0EEENS1_30default_config_static_selectorELNS0_4arch9wavefront6targetE0EEEvT1_,"axG",@progbits,_ZN7rocprim17ROCPRIM_400000_NS6detail17trampoline_kernelINS0_14default_configENS1_27scan_by_key_config_selectorIiiEEZZNS1_16scan_by_key_implILNS1_25lookback_scan_determinismE0ELb0ES3_N6thrust23THRUST_200600_302600_NS10device_ptrIiEESB_SB_iNS9_4plusIvEENS9_8equal_toIvEEiEE10hipError_tPvRmT2_T3_T4_T5_mT6_T7_P12ihipStream_tbENKUlT_T0_E_clISt17integral_constantIbLb0EESW_EEDaSR_SS_EUlSR_E_NS1_11comp_targetILNS1_3genE10ELNS1_11target_archE1200ELNS1_3gpuE4ELNS1_3repE0EEENS1_30default_config_static_selectorELNS0_4arch9wavefront6targetE0EEEvT1_,comdat
.Lfunc_end2200:
	.size	_ZN7rocprim17ROCPRIM_400000_NS6detail17trampoline_kernelINS0_14default_configENS1_27scan_by_key_config_selectorIiiEEZZNS1_16scan_by_key_implILNS1_25lookback_scan_determinismE0ELb0ES3_N6thrust23THRUST_200600_302600_NS10device_ptrIiEESB_SB_iNS9_4plusIvEENS9_8equal_toIvEEiEE10hipError_tPvRmT2_T3_T4_T5_mT6_T7_P12ihipStream_tbENKUlT_T0_E_clISt17integral_constantIbLb0EESW_EEDaSR_SS_EUlSR_E_NS1_11comp_targetILNS1_3genE10ELNS1_11target_archE1200ELNS1_3gpuE4ELNS1_3repE0EEENS1_30default_config_static_selectorELNS0_4arch9wavefront6targetE0EEEvT1_, .Lfunc_end2200-_ZN7rocprim17ROCPRIM_400000_NS6detail17trampoline_kernelINS0_14default_configENS1_27scan_by_key_config_selectorIiiEEZZNS1_16scan_by_key_implILNS1_25lookback_scan_determinismE0ELb0ES3_N6thrust23THRUST_200600_302600_NS10device_ptrIiEESB_SB_iNS9_4plusIvEENS9_8equal_toIvEEiEE10hipError_tPvRmT2_T3_T4_T5_mT6_T7_P12ihipStream_tbENKUlT_T0_E_clISt17integral_constantIbLb0EESW_EEDaSR_SS_EUlSR_E_NS1_11comp_targetILNS1_3genE10ELNS1_11target_archE1200ELNS1_3gpuE4ELNS1_3repE0EEENS1_30default_config_static_selectorELNS0_4arch9wavefront6targetE0EEEvT1_
                                        ; -- End function
	.set _ZN7rocprim17ROCPRIM_400000_NS6detail17trampoline_kernelINS0_14default_configENS1_27scan_by_key_config_selectorIiiEEZZNS1_16scan_by_key_implILNS1_25lookback_scan_determinismE0ELb0ES3_N6thrust23THRUST_200600_302600_NS10device_ptrIiEESB_SB_iNS9_4plusIvEENS9_8equal_toIvEEiEE10hipError_tPvRmT2_T3_T4_T5_mT6_T7_P12ihipStream_tbENKUlT_T0_E_clISt17integral_constantIbLb0EESW_EEDaSR_SS_EUlSR_E_NS1_11comp_targetILNS1_3genE10ELNS1_11target_archE1200ELNS1_3gpuE4ELNS1_3repE0EEENS1_30default_config_static_selectorELNS0_4arch9wavefront6targetE0EEEvT1_.num_vgpr, 0
	.set _ZN7rocprim17ROCPRIM_400000_NS6detail17trampoline_kernelINS0_14default_configENS1_27scan_by_key_config_selectorIiiEEZZNS1_16scan_by_key_implILNS1_25lookback_scan_determinismE0ELb0ES3_N6thrust23THRUST_200600_302600_NS10device_ptrIiEESB_SB_iNS9_4plusIvEENS9_8equal_toIvEEiEE10hipError_tPvRmT2_T3_T4_T5_mT6_T7_P12ihipStream_tbENKUlT_T0_E_clISt17integral_constantIbLb0EESW_EEDaSR_SS_EUlSR_E_NS1_11comp_targetILNS1_3genE10ELNS1_11target_archE1200ELNS1_3gpuE4ELNS1_3repE0EEENS1_30default_config_static_selectorELNS0_4arch9wavefront6targetE0EEEvT1_.num_agpr, 0
	.set _ZN7rocprim17ROCPRIM_400000_NS6detail17trampoline_kernelINS0_14default_configENS1_27scan_by_key_config_selectorIiiEEZZNS1_16scan_by_key_implILNS1_25lookback_scan_determinismE0ELb0ES3_N6thrust23THRUST_200600_302600_NS10device_ptrIiEESB_SB_iNS9_4plusIvEENS9_8equal_toIvEEiEE10hipError_tPvRmT2_T3_T4_T5_mT6_T7_P12ihipStream_tbENKUlT_T0_E_clISt17integral_constantIbLb0EESW_EEDaSR_SS_EUlSR_E_NS1_11comp_targetILNS1_3genE10ELNS1_11target_archE1200ELNS1_3gpuE4ELNS1_3repE0EEENS1_30default_config_static_selectorELNS0_4arch9wavefront6targetE0EEEvT1_.numbered_sgpr, 0
	.set _ZN7rocprim17ROCPRIM_400000_NS6detail17trampoline_kernelINS0_14default_configENS1_27scan_by_key_config_selectorIiiEEZZNS1_16scan_by_key_implILNS1_25lookback_scan_determinismE0ELb0ES3_N6thrust23THRUST_200600_302600_NS10device_ptrIiEESB_SB_iNS9_4plusIvEENS9_8equal_toIvEEiEE10hipError_tPvRmT2_T3_T4_T5_mT6_T7_P12ihipStream_tbENKUlT_T0_E_clISt17integral_constantIbLb0EESW_EEDaSR_SS_EUlSR_E_NS1_11comp_targetILNS1_3genE10ELNS1_11target_archE1200ELNS1_3gpuE4ELNS1_3repE0EEENS1_30default_config_static_selectorELNS0_4arch9wavefront6targetE0EEEvT1_.num_named_barrier, 0
	.set _ZN7rocprim17ROCPRIM_400000_NS6detail17trampoline_kernelINS0_14default_configENS1_27scan_by_key_config_selectorIiiEEZZNS1_16scan_by_key_implILNS1_25lookback_scan_determinismE0ELb0ES3_N6thrust23THRUST_200600_302600_NS10device_ptrIiEESB_SB_iNS9_4plusIvEENS9_8equal_toIvEEiEE10hipError_tPvRmT2_T3_T4_T5_mT6_T7_P12ihipStream_tbENKUlT_T0_E_clISt17integral_constantIbLb0EESW_EEDaSR_SS_EUlSR_E_NS1_11comp_targetILNS1_3genE10ELNS1_11target_archE1200ELNS1_3gpuE4ELNS1_3repE0EEENS1_30default_config_static_selectorELNS0_4arch9wavefront6targetE0EEEvT1_.private_seg_size, 0
	.set _ZN7rocprim17ROCPRIM_400000_NS6detail17trampoline_kernelINS0_14default_configENS1_27scan_by_key_config_selectorIiiEEZZNS1_16scan_by_key_implILNS1_25lookback_scan_determinismE0ELb0ES3_N6thrust23THRUST_200600_302600_NS10device_ptrIiEESB_SB_iNS9_4plusIvEENS9_8equal_toIvEEiEE10hipError_tPvRmT2_T3_T4_T5_mT6_T7_P12ihipStream_tbENKUlT_T0_E_clISt17integral_constantIbLb0EESW_EEDaSR_SS_EUlSR_E_NS1_11comp_targetILNS1_3genE10ELNS1_11target_archE1200ELNS1_3gpuE4ELNS1_3repE0EEENS1_30default_config_static_selectorELNS0_4arch9wavefront6targetE0EEEvT1_.uses_vcc, 0
	.set _ZN7rocprim17ROCPRIM_400000_NS6detail17trampoline_kernelINS0_14default_configENS1_27scan_by_key_config_selectorIiiEEZZNS1_16scan_by_key_implILNS1_25lookback_scan_determinismE0ELb0ES3_N6thrust23THRUST_200600_302600_NS10device_ptrIiEESB_SB_iNS9_4plusIvEENS9_8equal_toIvEEiEE10hipError_tPvRmT2_T3_T4_T5_mT6_T7_P12ihipStream_tbENKUlT_T0_E_clISt17integral_constantIbLb0EESW_EEDaSR_SS_EUlSR_E_NS1_11comp_targetILNS1_3genE10ELNS1_11target_archE1200ELNS1_3gpuE4ELNS1_3repE0EEENS1_30default_config_static_selectorELNS0_4arch9wavefront6targetE0EEEvT1_.uses_flat_scratch, 0
	.set _ZN7rocprim17ROCPRIM_400000_NS6detail17trampoline_kernelINS0_14default_configENS1_27scan_by_key_config_selectorIiiEEZZNS1_16scan_by_key_implILNS1_25lookback_scan_determinismE0ELb0ES3_N6thrust23THRUST_200600_302600_NS10device_ptrIiEESB_SB_iNS9_4plusIvEENS9_8equal_toIvEEiEE10hipError_tPvRmT2_T3_T4_T5_mT6_T7_P12ihipStream_tbENKUlT_T0_E_clISt17integral_constantIbLb0EESW_EEDaSR_SS_EUlSR_E_NS1_11comp_targetILNS1_3genE10ELNS1_11target_archE1200ELNS1_3gpuE4ELNS1_3repE0EEENS1_30default_config_static_selectorELNS0_4arch9wavefront6targetE0EEEvT1_.has_dyn_sized_stack, 0
	.set _ZN7rocprim17ROCPRIM_400000_NS6detail17trampoline_kernelINS0_14default_configENS1_27scan_by_key_config_selectorIiiEEZZNS1_16scan_by_key_implILNS1_25lookback_scan_determinismE0ELb0ES3_N6thrust23THRUST_200600_302600_NS10device_ptrIiEESB_SB_iNS9_4plusIvEENS9_8equal_toIvEEiEE10hipError_tPvRmT2_T3_T4_T5_mT6_T7_P12ihipStream_tbENKUlT_T0_E_clISt17integral_constantIbLb0EESW_EEDaSR_SS_EUlSR_E_NS1_11comp_targetILNS1_3genE10ELNS1_11target_archE1200ELNS1_3gpuE4ELNS1_3repE0EEENS1_30default_config_static_selectorELNS0_4arch9wavefront6targetE0EEEvT1_.has_recursion, 0
	.set _ZN7rocprim17ROCPRIM_400000_NS6detail17trampoline_kernelINS0_14default_configENS1_27scan_by_key_config_selectorIiiEEZZNS1_16scan_by_key_implILNS1_25lookback_scan_determinismE0ELb0ES3_N6thrust23THRUST_200600_302600_NS10device_ptrIiEESB_SB_iNS9_4plusIvEENS9_8equal_toIvEEiEE10hipError_tPvRmT2_T3_T4_T5_mT6_T7_P12ihipStream_tbENKUlT_T0_E_clISt17integral_constantIbLb0EESW_EEDaSR_SS_EUlSR_E_NS1_11comp_targetILNS1_3genE10ELNS1_11target_archE1200ELNS1_3gpuE4ELNS1_3repE0EEENS1_30default_config_static_selectorELNS0_4arch9wavefront6targetE0EEEvT1_.has_indirect_call, 0
	.section	.AMDGPU.csdata,"",@progbits
; Kernel info:
; codeLenInByte = 0
; TotalNumSgprs: 0
; NumVgprs: 0
; ScratchSize: 0
; MemoryBound: 0
; FloatMode: 240
; IeeeMode: 1
; LDSByteSize: 0 bytes/workgroup (compile time only)
; SGPRBlocks: 0
; VGPRBlocks: 0
; NumSGPRsForWavesPerEU: 1
; NumVGPRsForWavesPerEU: 1
; Occupancy: 16
; WaveLimiterHint : 0
; COMPUTE_PGM_RSRC2:SCRATCH_EN: 0
; COMPUTE_PGM_RSRC2:USER_SGPR: 6
; COMPUTE_PGM_RSRC2:TRAP_HANDLER: 0
; COMPUTE_PGM_RSRC2:TGID_X_EN: 1
; COMPUTE_PGM_RSRC2:TGID_Y_EN: 0
; COMPUTE_PGM_RSRC2:TGID_Z_EN: 0
; COMPUTE_PGM_RSRC2:TIDIG_COMP_CNT: 0
	.section	.text._ZN7rocprim17ROCPRIM_400000_NS6detail17trampoline_kernelINS0_14default_configENS1_27scan_by_key_config_selectorIiiEEZZNS1_16scan_by_key_implILNS1_25lookback_scan_determinismE0ELb0ES3_N6thrust23THRUST_200600_302600_NS10device_ptrIiEESB_SB_iNS9_4plusIvEENS9_8equal_toIvEEiEE10hipError_tPvRmT2_T3_T4_T5_mT6_T7_P12ihipStream_tbENKUlT_T0_E_clISt17integral_constantIbLb0EESW_EEDaSR_SS_EUlSR_E_NS1_11comp_targetILNS1_3genE9ELNS1_11target_archE1100ELNS1_3gpuE3ELNS1_3repE0EEENS1_30default_config_static_selectorELNS0_4arch9wavefront6targetE0EEEvT1_,"axG",@progbits,_ZN7rocprim17ROCPRIM_400000_NS6detail17trampoline_kernelINS0_14default_configENS1_27scan_by_key_config_selectorIiiEEZZNS1_16scan_by_key_implILNS1_25lookback_scan_determinismE0ELb0ES3_N6thrust23THRUST_200600_302600_NS10device_ptrIiEESB_SB_iNS9_4plusIvEENS9_8equal_toIvEEiEE10hipError_tPvRmT2_T3_T4_T5_mT6_T7_P12ihipStream_tbENKUlT_T0_E_clISt17integral_constantIbLb0EESW_EEDaSR_SS_EUlSR_E_NS1_11comp_targetILNS1_3genE9ELNS1_11target_archE1100ELNS1_3gpuE3ELNS1_3repE0EEENS1_30default_config_static_selectorELNS0_4arch9wavefront6targetE0EEEvT1_,comdat
	.protected	_ZN7rocprim17ROCPRIM_400000_NS6detail17trampoline_kernelINS0_14default_configENS1_27scan_by_key_config_selectorIiiEEZZNS1_16scan_by_key_implILNS1_25lookback_scan_determinismE0ELb0ES3_N6thrust23THRUST_200600_302600_NS10device_ptrIiEESB_SB_iNS9_4plusIvEENS9_8equal_toIvEEiEE10hipError_tPvRmT2_T3_T4_T5_mT6_T7_P12ihipStream_tbENKUlT_T0_E_clISt17integral_constantIbLb0EESW_EEDaSR_SS_EUlSR_E_NS1_11comp_targetILNS1_3genE9ELNS1_11target_archE1100ELNS1_3gpuE3ELNS1_3repE0EEENS1_30default_config_static_selectorELNS0_4arch9wavefront6targetE0EEEvT1_ ; -- Begin function _ZN7rocprim17ROCPRIM_400000_NS6detail17trampoline_kernelINS0_14default_configENS1_27scan_by_key_config_selectorIiiEEZZNS1_16scan_by_key_implILNS1_25lookback_scan_determinismE0ELb0ES3_N6thrust23THRUST_200600_302600_NS10device_ptrIiEESB_SB_iNS9_4plusIvEENS9_8equal_toIvEEiEE10hipError_tPvRmT2_T3_T4_T5_mT6_T7_P12ihipStream_tbENKUlT_T0_E_clISt17integral_constantIbLb0EESW_EEDaSR_SS_EUlSR_E_NS1_11comp_targetILNS1_3genE9ELNS1_11target_archE1100ELNS1_3gpuE3ELNS1_3repE0EEENS1_30default_config_static_selectorELNS0_4arch9wavefront6targetE0EEEvT1_
	.globl	_ZN7rocprim17ROCPRIM_400000_NS6detail17trampoline_kernelINS0_14default_configENS1_27scan_by_key_config_selectorIiiEEZZNS1_16scan_by_key_implILNS1_25lookback_scan_determinismE0ELb0ES3_N6thrust23THRUST_200600_302600_NS10device_ptrIiEESB_SB_iNS9_4plusIvEENS9_8equal_toIvEEiEE10hipError_tPvRmT2_T3_T4_T5_mT6_T7_P12ihipStream_tbENKUlT_T0_E_clISt17integral_constantIbLb0EESW_EEDaSR_SS_EUlSR_E_NS1_11comp_targetILNS1_3genE9ELNS1_11target_archE1100ELNS1_3gpuE3ELNS1_3repE0EEENS1_30default_config_static_selectorELNS0_4arch9wavefront6targetE0EEEvT1_
	.p2align	8
	.type	_ZN7rocprim17ROCPRIM_400000_NS6detail17trampoline_kernelINS0_14default_configENS1_27scan_by_key_config_selectorIiiEEZZNS1_16scan_by_key_implILNS1_25lookback_scan_determinismE0ELb0ES3_N6thrust23THRUST_200600_302600_NS10device_ptrIiEESB_SB_iNS9_4plusIvEENS9_8equal_toIvEEiEE10hipError_tPvRmT2_T3_T4_T5_mT6_T7_P12ihipStream_tbENKUlT_T0_E_clISt17integral_constantIbLb0EESW_EEDaSR_SS_EUlSR_E_NS1_11comp_targetILNS1_3genE9ELNS1_11target_archE1100ELNS1_3gpuE3ELNS1_3repE0EEENS1_30default_config_static_selectorELNS0_4arch9wavefront6targetE0EEEvT1_,@function
_ZN7rocprim17ROCPRIM_400000_NS6detail17trampoline_kernelINS0_14default_configENS1_27scan_by_key_config_selectorIiiEEZZNS1_16scan_by_key_implILNS1_25lookback_scan_determinismE0ELb0ES3_N6thrust23THRUST_200600_302600_NS10device_ptrIiEESB_SB_iNS9_4plusIvEENS9_8equal_toIvEEiEE10hipError_tPvRmT2_T3_T4_T5_mT6_T7_P12ihipStream_tbENKUlT_T0_E_clISt17integral_constantIbLb0EESW_EEDaSR_SS_EUlSR_E_NS1_11comp_targetILNS1_3genE9ELNS1_11target_archE1100ELNS1_3gpuE3ELNS1_3repE0EEENS1_30default_config_static_selectorELNS0_4arch9wavefront6targetE0EEEvT1_: ; @_ZN7rocprim17ROCPRIM_400000_NS6detail17trampoline_kernelINS0_14default_configENS1_27scan_by_key_config_selectorIiiEEZZNS1_16scan_by_key_implILNS1_25lookback_scan_determinismE0ELb0ES3_N6thrust23THRUST_200600_302600_NS10device_ptrIiEESB_SB_iNS9_4plusIvEENS9_8equal_toIvEEiEE10hipError_tPvRmT2_T3_T4_T5_mT6_T7_P12ihipStream_tbENKUlT_T0_E_clISt17integral_constantIbLb0EESW_EEDaSR_SS_EUlSR_E_NS1_11comp_targetILNS1_3genE9ELNS1_11target_archE1100ELNS1_3gpuE3ELNS1_3repE0EEENS1_30default_config_static_selectorELNS0_4arch9wavefront6targetE0EEEvT1_
; %bb.0:
	.section	.rodata,"a",@progbits
	.p2align	6, 0x0
	.amdhsa_kernel _ZN7rocprim17ROCPRIM_400000_NS6detail17trampoline_kernelINS0_14default_configENS1_27scan_by_key_config_selectorIiiEEZZNS1_16scan_by_key_implILNS1_25lookback_scan_determinismE0ELb0ES3_N6thrust23THRUST_200600_302600_NS10device_ptrIiEESB_SB_iNS9_4plusIvEENS9_8equal_toIvEEiEE10hipError_tPvRmT2_T3_T4_T5_mT6_T7_P12ihipStream_tbENKUlT_T0_E_clISt17integral_constantIbLb0EESW_EEDaSR_SS_EUlSR_E_NS1_11comp_targetILNS1_3genE9ELNS1_11target_archE1100ELNS1_3gpuE3ELNS1_3repE0EEENS1_30default_config_static_selectorELNS0_4arch9wavefront6targetE0EEEvT1_
		.amdhsa_group_segment_fixed_size 0
		.amdhsa_private_segment_fixed_size 0
		.amdhsa_kernarg_size 112
		.amdhsa_user_sgpr_count 6
		.amdhsa_user_sgpr_private_segment_buffer 1
		.amdhsa_user_sgpr_dispatch_ptr 0
		.amdhsa_user_sgpr_queue_ptr 0
		.amdhsa_user_sgpr_kernarg_segment_ptr 1
		.amdhsa_user_sgpr_dispatch_id 0
		.amdhsa_user_sgpr_flat_scratch_init 0
		.amdhsa_user_sgpr_private_segment_size 0
		.amdhsa_wavefront_size32 1
		.amdhsa_uses_dynamic_stack 0
		.amdhsa_system_sgpr_private_segment_wavefront_offset 0
		.amdhsa_system_sgpr_workgroup_id_x 1
		.amdhsa_system_sgpr_workgroup_id_y 0
		.amdhsa_system_sgpr_workgroup_id_z 0
		.amdhsa_system_sgpr_workgroup_info 0
		.amdhsa_system_vgpr_workitem_id 0
		.amdhsa_next_free_vgpr 1
		.amdhsa_next_free_sgpr 1
		.amdhsa_reserve_vcc 0
		.amdhsa_reserve_flat_scratch 0
		.amdhsa_float_round_mode_32 0
		.amdhsa_float_round_mode_16_64 0
		.amdhsa_float_denorm_mode_32 3
		.amdhsa_float_denorm_mode_16_64 3
		.amdhsa_dx10_clamp 1
		.amdhsa_ieee_mode 1
		.amdhsa_fp16_overflow 0
		.amdhsa_workgroup_processor_mode 1
		.amdhsa_memory_ordered 1
		.amdhsa_forward_progress 1
		.amdhsa_shared_vgpr_count 0
		.amdhsa_exception_fp_ieee_invalid_op 0
		.amdhsa_exception_fp_denorm_src 0
		.amdhsa_exception_fp_ieee_div_zero 0
		.amdhsa_exception_fp_ieee_overflow 0
		.amdhsa_exception_fp_ieee_underflow 0
		.amdhsa_exception_fp_ieee_inexact 0
		.amdhsa_exception_int_div_zero 0
	.end_amdhsa_kernel
	.section	.text._ZN7rocprim17ROCPRIM_400000_NS6detail17trampoline_kernelINS0_14default_configENS1_27scan_by_key_config_selectorIiiEEZZNS1_16scan_by_key_implILNS1_25lookback_scan_determinismE0ELb0ES3_N6thrust23THRUST_200600_302600_NS10device_ptrIiEESB_SB_iNS9_4plusIvEENS9_8equal_toIvEEiEE10hipError_tPvRmT2_T3_T4_T5_mT6_T7_P12ihipStream_tbENKUlT_T0_E_clISt17integral_constantIbLb0EESW_EEDaSR_SS_EUlSR_E_NS1_11comp_targetILNS1_3genE9ELNS1_11target_archE1100ELNS1_3gpuE3ELNS1_3repE0EEENS1_30default_config_static_selectorELNS0_4arch9wavefront6targetE0EEEvT1_,"axG",@progbits,_ZN7rocprim17ROCPRIM_400000_NS6detail17trampoline_kernelINS0_14default_configENS1_27scan_by_key_config_selectorIiiEEZZNS1_16scan_by_key_implILNS1_25lookback_scan_determinismE0ELb0ES3_N6thrust23THRUST_200600_302600_NS10device_ptrIiEESB_SB_iNS9_4plusIvEENS9_8equal_toIvEEiEE10hipError_tPvRmT2_T3_T4_T5_mT6_T7_P12ihipStream_tbENKUlT_T0_E_clISt17integral_constantIbLb0EESW_EEDaSR_SS_EUlSR_E_NS1_11comp_targetILNS1_3genE9ELNS1_11target_archE1100ELNS1_3gpuE3ELNS1_3repE0EEENS1_30default_config_static_selectorELNS0_4arch9wavefront6targetE0EEEvT1_,comdat
.Lfunc_end2201:
	.size	_ZN7rocprim17ROCPRIM_400000_NS6detail17trampoline_kernelINS0_14default_configENS1_27scan_by_key_config_selectorIiiEEZZNS1_16scan_by_key_implILNS1_25lookback_scan_determinismE0ELb0ES3_N6thrust23THRUST_200600_302600_NS10device_ptrIiEESB_SB_iNS9_4plusIvEENS9_8equal_toIvEEiEE10hipError_tPvRmT2_T3_T4_T5_mT6_T7_P12ihipStream_tbENKUlT_T0_E_clISt17integral_constantIbLb0EESW_EEDaSR_SS_EUlSR_E_NS1_11comp_targetILNS1_3genE9ELNS1_11target_archE1100ELNS1_3gpuE3ELNS1_3repE0EEENS1_30default_config_static_selectorELNS0_4arch9wavefront6targetE0EEEvT1_, .Lfunc_end2201-_ZN7rocprim17ROCPRIM_400000_NS6detail17trampoline_kernelINS0_14default_configENS1_27scan_by_key_config_selectorIiiEEZZNS1_16scan_by_key_implILNS1_25lookback_scan_determinismE0ELb0ES3_N6thrust23THRUST_200600_302600_NS10device_ptrIiEESB_SB_iNS9_4plusIvEENS9_8equal_toIvEEiEE10hipError_tPvRmT2_T3_T4_T5_mT6_T7_P12ihipStream_tbENKUlT_T0_E_clISt17integral_constantIbLb0EESW_EEDaSR_SS_EUlSR_E_NS1_11comp_targetILNS1_3genE9ELNS1_11target_archE1100ELNS1_3gpuE3ELNS1_3repE0EEENS1_30default_config_static_selectorELNS0_4arch9wavefront6targetE0EEEvT1_
                                        ; -- End function
	.set _ZN7rocprim17ROCPRIM_400000_NS6detail17trampoline_kernelINS0_14default_configENS1_27scan_by_key_config_selectorIiiEEZZNS1_16scan_by_key_implILNS1_25lookback_scan_determinismE0ELb0ES3_N6thrust23THRUST_200600_302600_NS10device_ptrIiEESB_SB_iNS9_4plusIvEENS9_8equal_toIvEEiEE10hipError_tPvRmT2_T3_T4_T5_mT6_T7_P12ihipStream_tbENKUlT_T0_E_clISt17integral_constantIbLb0EESW_EEDaSR_SS_EUlSR_E_NS1_11comp_targetILNS1_3genE9ELNS1_11target_archE1100ELNS1_3gpuE3ELNS1_3repE0EEENS1_30default_config_static_selectorELNS0_4arch9wavefront6targetE0EEEvT1_.num_vgpr, 0
	.set _ZN7rocprim17ROCPRIM_400000_NS6detail17trampoline_kernelINS0_14default_configENS1_27scan_by_key_config_selectorIiiEEZZNS1_16scan_by_key_implILNS1_25lookback_scan_determinismE0ELb0ES3_N6thrust23THRUST_200600_302600_NS10device_ptrIiEESB_SB_iNS9_4plusIvEENS9_8equal_toIvEEiEE10hipError_tPvRmT2_T3_T4_T5_mT6_T7_P12ihipStream_tbENKUlT_T0_E_clISt17integral_constantIbLb0EESW_EEDaSR_SS_EUlSR_E_NS1_11comp_targetILNS1_3genE9ELNS1_11target_archE1100ELNS1_3gpuE3ELNS1_3repE0EEENS1_30default_config_static_selectorELNS0_4arch9wavefront6targetE0EEEvT1_.num_agpr, 0
	.set _ZN7rocprim17ROCPRIM_400000_NS6detail17trampoline_kernelINS0_14default_configENS1_27scan_by_key_config_selectorIiiEEZZNS1_16scan_by_key_implILNS1_25lookback_scan_determinismE0ELb0ES3_N6thrust23THRUST_200600_302600_NS10device_ptrIiEESB_SB_iNS9_4plusIvEENS9_8equal_toIvEEiEE10hipError_tPvRmT2_T3_T4_T5_mT6_T7_P12ihipStream_tbENKUlT_T0_E_clISt17integral_constantIbLb0EESW_EEDaSR_SS_EUlSR_E_NS1_11comp_targetILNS1_3genE9ELNS1_11target_archE1100ELNS1_3gpuE3ELNS1_3repE0EEENS1_30default_config_static_selectorELNS0_4arch9wavefront6targetE0EEEvT1_.numbered_sgpr, 0
	.set _ZN7rocprim17ROCPRIM_400000_NS6detail17trampoline_kernelINS0_14default_configENS1_27scan_by_key_config_selectorIiiEEZZNS1_16scan_by_key_implILNS1_25lookback_scan_determinismE0ELb0ES3_N6thrust23THRUST_200600_302600_NS10device_ptrIiEESB_SB_iNS9_4plusIvEENS9_8equal_toIvEEiEE10hipError_tPvRmT2_T3_T4_T5_mT6_T7_P12ihipStream_tbENKUlT_T0_E_clISt17integral_constantIbLb0EESW_EEDaSR_SS_EUlSR_E_NS1_11comp_targetILNS1_3genE9ELNS1_11target_archE1100ELNS1_3gpuE3ELNS1_3repE0EEENS1_30default_config_static_selectorELNS0_4arch9wavefront6targetE0EEEvT1_.num_named_barrier, 0
	.set _ZN7rocprim17ROCPRIM_400000_NS6detail17trampoline_kernelINS0_14default_configENS1_27scan_by_key_config_selectorIiiEEZZNS1_16scan_by_key_implILNS1_25lookback_scan_determinismE0ELb0ES3_N6thrust23THRUST_200600_302600_NS10device_ptrIiEESB_SB_iNS9_4plusIvEENS9_8equal_toIvEEiEE10hipError_tPvRmT2_T3_T4_T5_mT6_T7_P12ihipStream_tbENKUlT_T0_E_clISt17integral_constantIbLb0EESW_EEDaSR_SS_EUlSR_E_NS1_11comp_targetILNS1_3genE9ELNS1_11target_archE1100ELNS1_3gpuE3ELNS1_3repE0EEENS1_30default_config_static_selectorELNS0_4arch9wavefront6targetE0EEEvT1_.private_seg_size, 0
	.set _ZN7rocprim17ROCPRIM_400000_NS6detail17trampoline_kernelINS0_14default_configENS1_27scan_by_key_config_selectorIiiEEZZNS1_16scan_by_key_implILNS1_25lookback_scan_determinismE0ELb0ES3_N6thrust23THRUST_200600_302600_NS10device_ptrIiEESB_SB_iNS9_4plusIvEENS9_8equal_toIvEEiEE10hipError_tPvRmT2_T3_T4_T5_mT6_T7_P12ihipStream_tbENKUlT_T0_E_clISt17integral_constantIbLb0EESW_EEDaSR_SS_EUlSR_E_NS1_11comp_targetILNS1_3genE9ELNS1_11target_archE1100ELNS1_3gpuE3ELNS1_3repE0EEENS1_30default_config_static_selectorELNS0_4arch9wavefront6targetE0EEEvT1_.uses_vcc, 0
	.set _ZN7rocprim17ROCPRIM_400000_NS6detail17trampoline_kernelINS0_14default_configENS1_27scan_by_key_config_selectorIiiEEZZNS1_16scan_by_key_implILNS1_25lookback_scan_determinismE0ELb0ES3_N6thrust23THRUST_200600_302600_NS10device_ptrIiEESB_SB_iNS9_4plusIvEENS9_8equal_toIvEEiEE10hipError_tPvRmT2_T3_T4_T5_mT6_T7_P12ihipStream_tbENKUlT_T0_E_clISt17integral_constantIbLb0EESW_EEDaSR_SS_EUlSR_E_NS1_11comp_targetILNS1_3genE9ELNS1_11target_archE1100ELNS1_3gpuE3ELNS1_3repE0EEENS1_30default_config_static_selectorELNS0_4arch9wavefront6targetE0EEEvT1_.uses_flat_scratch, 0
	.set _ZN7rocprim17ROCPRIM_400000_NS6detail17trampoline_kernelINS0_14default_configENS1_27scan_by_key_config_selectorIiiEEZZNS1_16scan_by_key_implILNS1_25lookback_scan_determinismE0ELb0ES3_N6thrust23THRUST_200600_302600_NS10device_ptrIiEESB_SB_iNS9_4plusIvEENS9_8equal_toIvEEiEE10hipError_tPvRmT2_T3_T4_T5_mT6_T7_P12ihipStream_tbENKUlT_T0_E_clISt17integral_constantIbLb0EESW_EEDaSR_SS_EUlSR_E_NS1_11comp_targetILNS1_3genE9ELNS1_11target_archE1100ELNS1_3gpuE3ELNS1_3repE0EEENS1_30default_config_static_selectorELNS0_4arch9wavefront6targetE0EEEvT1_.has_dyn_sized_stack, 0
	.set _ZN7rocprim17ROCPRIM_400000_NS6detail17trampoline_kernelINS0_14default_configENS1_27scan_by_key_config_selectorIiiEEZZNS1_16scan_by_key_implILNS1_25lookback_scan_determinismE0ELb0ES3_N6thrust23THRUST_200600_302600_NS10device_ptrIiEESB_SB_iNS9_4plusIvEENS9_8equal_toIvEEiEE10hipError_tPvRmT2_T3_T4_T5_mT6_T7_P12ihipStream_tbENKUlT_T0_E_clISt17integral_constantIbLb0EESW_EEDaSR_SS_EUlSR_E_NS1_11comp_targetILNS1_3genE9ELNS1_11target_archE1100ELNS1_3gpuE3ELNS1_3repE0EEENS1_30default_config_static_selectorELNS0_4arch9wavefront6targetE0EEEvT1_.has_recursion, 0
	.set _ZN7rocprim17ROCPRIM_400000_NS6detail17trampoline_kernelINS0_14default_configENS1_27scan_by_key_config_selectorIiiEEZZNS1_16scan_by_key_implILNS1_25lookback_scan_determinismE0ELb0ES3_N6thrust23THRUST_200600_302600_NS10device_ptrIiEESB_SB_iNS9_4plusIvEENS9_8equal_toIvEEiEE10hipError_tPvRmT2_T3_T4_T5_mT6_T7_P12ihipStream_tbENKUlT_T0_E_clISt17integral_constantIbLb0EESW_EEDaSR_SS_EUlSR_E_NS1_11comp_targetILNS1_3genE9ELNS1_11target_archE1100ELNS1_3gpuE3ELNS1_3repE0EEENS1_30default_config_static_selectorELNS0_4arch9wavefront6targetE0EEEvT1_.has_indirect_call, 0
	.section	.AMDGPU.csdata,"",@progbits
; Kernel info:
; codeLenInByte = 0
; TotalNumSgprs: 0
; NumVgprs: 0
; ScratchSize: 0
; MemoryBound: 0
; FloatMode: 240
; IeeeMode: 1
; LDSByteSize: 0 bytes/workgroup (compile time only)
; SGPRBlocks: 0
; VGPRBlocks: 0
; NumSGPRsForWavesPerEU: 1
; NumVGPRsForWavesPerEU: 1
; Occupancy: 16
; WaveLimiterHint : 0
; COMPUTE_PGM_RSRC2:SCRATCH_EN: 0
; COMPUTE_PGM_RSRC2:USER_SGPR: 6
; COMPUTE_PGM_RSRC2:TRAP_HANDLER: 0
; COMPUTE_PGM_RSRC2:TGID_X_EN: 1
; COMPUTE_PGM_RSRC2:TGID_Y_EN: 0
; COMPUTE_PGM_RSRC2:TGID_Z_EN: 0
; COMPUTE_PGM_RSRC2:TIDIG_COMP_CNT: 0
	.section	.text._ZN7rocprim17ROCPRIM_400000_NS6detail17trampoline_kernelINS0_14default_configENS1_27scan_by_key_config_selectorIiiEEZZNS1_16scan_by_key_implILNS1_25lookback_scan_determinismE0ELb0ES3_N6thrust23THRUST_200600_302600_NS10device_ptrIiEESB_SB_iNS9_4plusIvEENS9_8equal_toIvEEiEE10hipError_tPvRmT2_T3_T4_T5_mT6_T7_P12ihipStream_tbENKUlT_T0_E_clISt17integral_constantIbLb0EESW_EEDaSR_SS_EUlSR_E_NS1_11comp_targetILNS1_3genE8ELNS1_11target_archE1030ELNS1_3gpuE2ELNS1_3repE0EEENS1_30default_config_static_selectorELNS0_4arch9wavefront6targetE0EEEvT1_,"axG",@progbits,_ZN7rocprim17ROCPRIM_400000_NS6detail17trampoline_kernelINS0_14default_configENS1_27scan_by_key_config_selectorIiiEEZZNS1_16scan_by_key_implILNS1_25lookback_scan_determinismE0ELb0ES3_N6thrust23THRUST_200600_302600_NS10device_ptrIiEESB_SB_iNS9_4plusIvEENS9_8equal_toIvEEiEE10hipError_tPvRmT2_T3_T4_T5_mT6_T7_P12ihipStream_tbENKUlT_T0_E_clISt17integral_constantIbLb0EESW_EEDaSR_SS_EUlSR_E_NS1_11comp_targetILNS1_3genE8ELNS1_11target_archE1030ELNS1_3gpuE2ELNS1_3repE0EEENS1_30default_config_static_selectorELNS0_4arch9wavefront6targetE0EEEvT1_,comdat
	.protected	_ZN7rocprim17ROCPRIM_400000_NS6detail17trampoline_kernelINS0_14default_configENS1_27scan_by_key_config_selectorIiiEEZZNS1_16scan_by_key_implILNS1_25lookback_scan_determinismE0ELb0ES3_N6thrust23THRUST_200600_302600_NS10device_ptrIiEESB_SB_iNS9_4plusIvEENS9_8equal_toIvEEiEE10hipError_tPvRmT2_T3_T4_T5_mT6_T7_P12ihipStream_tbENKUlT_T0_E_clISt17integral_constantIbLb0EESW_EEDaSR_SS_EUlSR_E_NS1_11comp_targetILNS1_3genE8ELNS1_11target_archE1030ELNS1_3gpuE2ELNS1_3repE0EEENS1_30default_config_static_selectorELNS0_4arch9wavefront6targetE0EEEvT1_ ; -- Begin function _ZN7rocprim17ROCPRIM_400000_NS6detail17trampoline_kernelINS0_14default_configENS1_27scan_by_key_config_selectorIiiEEZZNS1_16scan_by_key_implILNS1_25lookback_scan_determinismE0ELb0ES3_N6thrust23THRUST_200600_302600_NS10device_ptrIiEESB_SB_iNS9_4plusIvEENS9_8equal_toIvEEiEE10hipError_tPvRmT2_T3_T4_T5_mT6_T7_P12ihipStream_tbENKUlT_T0_E_clISt17integral_constantIbLb0EESW_EEDaSR_SS_EUlSR_E_NS1_11comp_targetILNS1_3genE8ELNS1_11target_archE1030ELNS1_3gpuE2ELNS1_3repE0EEENS1_30default_config_static_selectorELNS0_4arch9wavefront6targetE0EEEvT1_
	.globl	_ZN7rocprim17ROCPRIM_400000_NS6detail17trampoline_kernelINS0_14default_configENS1_27scan_by_key_config_selectorIiiEEZZNS1_16scan_by_key_implILNS1_25lookback_scan_determinismE0ELb0ES3_N6thrust23THRUST_200600_302600_NS10device_ptrIiEESB_SB_iNS9_4plusIvEENS9_8equal_toIvEEiEE10hipError_tPvRmT2_T3_T4_T5_mT6_T7_P12ihipStream_tbENKUlT_T0_E_clISt17integral_constantIbLb0EESW_EEDaSR_SS_EUlSR_E_NS1_11comp_targetILNS1_3genE8ELNS1_11target_archE1030ELNS1_3gpuE2ELNS1_3repE0EEENS1_30default_config_static_selectorELNS0_4arch9wavefront6targetE0EEEvT1_
	.p2align	8
	.type	_ZN7rocprim17ROCPRIM_400000_NS6detail17trampoline_kernelINS0_14default_configENS1_27scan_by_key_config_selectorIiiEEZZNS1_16scan_by_key_implILNS1_25lookback_scan_determinismE0ELb0ES3_N6thrust23THRUST_200600_302600_NS10device_ptrIiEESB_SB_iNS9_4plusIvEENS9_8equal_toIvEEiEE10hipError_tPvRmT2_T3_T4_T5_mT6_T7_P12ihipStream_tbENKUlT_T0_E_clISt17integral_constantIbLb0EESW_EEDaSR_SS_EUlSR_E_NS1_11comp_targetILNS1_3genE8ELNS1_11target_archE1030ELNS1_3gpuE2ELNS1_3repE0EEENS1_30default_config_static_selectorELNS0_4arch9wavefront6targetE0EEEvT1_,@function
_ZN7rocprim17ROCPRIM_400000_NS6detail17trampoline_kernelINS0_14default_configENS1_27scan_by_key_config_selectorIiiEEZZNS1_16scan_by_key_implILNS1_25lookback_scan_determinismE0ELb0ES3_N6thrust23THRUST_200600_302600_NS10device_ptrIiEESB_SB_iNS9_4plusIvEENS9_8equal_toIvEEiEE10hipError_tPvRmT2_T3_T4_T5_mT6_T7_P12ihipStream_tbENKUlT_T0_E_clISt17integral_constantIbLb0EESW_EEDaSR_SS_EUlSR_E_NS1_11comp_targetILNS1_3genE8ELNS1_11target_archE1030ELNS1_3gpuE2ELNS1_3repE0EEENS1_30default_config_static_selectorELNS0_4arch9wavefront6targetE0EEEvT1_: ; @_ZN7rocprim17ROCPRIM_400000_NS6detail17trampoline_kernelINS0_14default_configENS1_27scan_by_key_config_selectorIiiEEZZNS1_16scan_by_key_implILNS1_25lookback_scan_determinismE0ELb0ES3_N6thrust23THRUST_200600_302600_NS10device_ptrIiEESB_SB_iNS9_4plusIvEENS9_8equal_toIvEEiEE10hipError_tPvRmT2_T3_T4_T5_mT6_T7_P12ihipStream_tbENKUlT_T0_E_clISt17integral_constantIbLb0EESW_EEDaSR_SS_EUlSR_E_NS1_11comp_targetILNS1_3genE8ELNS1_11target_archE1030ELNS1_3gpuE2ELNS1_3repE0EEENS1_30default_config_static_selectorELNS0_4arch9wavefront6targetE0EEEvT1_
; %bb.0:
	s_clause 0x4
	s_load_dwordx8 s[8:15], s[4:5], 0x0
	s_load_dwordx2 s[28:29], s[4:5], 0x38
	s_load_dword s2, s[4:5], 0x40
	s_load_dwordx8 s[16:23], s[4:5], 0x48
	s_load_dwordx4 s[24:27], s[4:5], 0x28
	s_mov_b32 s1, 0
	s_waitcnt lgkmcnt(0)
	s_barrier
	buffer_gl0_inv
	s_lshl_b64 s[10:11], s[10:11], 2
	s_add_u32 s4, s8, s10
	s_mul_i32 s0, s29, s2
	s_mul_hi_u32 s3, s28, s2
	s_addc_u32 s5, s9, s11
	s_add_u32 s7, s12, s10
	s_addc_u32 s12, s13, s11
	s_add_i32 s13, s3, s0
	s_cmp_lg_u64 s[20:21], 0
	s_mul_i32 s0, s6, 0x300
	s_cselect_b32 s27, -1, 0
	s_lshl_b64 s[8:9], s[0:1], 2
	s_mul_i32 s0, s28, s2
	s_add_u32 s4, s4, s8
	s_addc_u32 s5, s5, s9
	s_add_u32 s3, s7, s8
	s_addc_u32 s21, s12, s9
	;; [unrolled: 2-line block ×3, first 2 shown]
	s_add_u32 s16, s16, -1
	s_addc_u32 s17, s17, -1
	s_mul_i32 s20, s16, 0xfffffd00
	v_cmp_ge_u64_e64 s7, s[12:13], s[16:17]
	s_and_b32 vcc_lo, exec_lo, s7
	s_cbranch_vccz .LBB2202_22
; %bb.1:
	v_mov_b32_e32 v1, s4
	v_mov_b32_e32 v2, s5
	s_add_i32 s30, s20, s26
	v_cmp_gt_u32_e64 s0, s30, v0
	flat_load_dword v2, v[1:2]
	s_waitcnt vmcnt(0) lgkmcnt(0)
	v_mov_b32_e32 v3, v2
	s_and_saveexec_b32 s1, s0
	s_cbranch_execz .LBB2202_3
; %bb.2:
	v_lshlrev_b32_e32 v1, 2, v0
	v_add_co_u32 v3, s2, s4, v1
	v_add_co_ci_u32_e64 v4, null, s5, 0, s2
	flat_load_dword v3, v[3:4]
.LBB2202_3:
	s_or_b32 exec_lo, exec_lo, s1
	v_or_b32_e32 v1, 0x100, v0
	v_mov_b32_e32 v4, v2
	v_cmp_gt_u32_e64 s1, s30, v1
	s_and_saveexec_b32 s2, s1
	s_cbranch_execz .LBB2202_5
; %bb.4:
	v_lshlrev_b32_e32 v1, 2, v0
	v_add_co_u32 v4, s16, s4, v1
	v_add_co_ci_u32_e64 v5, null, s5, 0, s16
	flat_load_dword v4, v[4:5] offset:1024
.LBB2202_5:
	s_or_b32 exec_lo, exec_lo, s2
	v_or_b32_e32 v1, 0x200, v0
	v_cmp_gt_u32_e64 s2, s30, v1
	v_lshlrev_b32_e32 v8, 2, v1
	s_and_saveexec_b32 s16, s2
	s_cbranch_execz .LBB2202_7
; %bb.6:
	v_add_co_u32 v1, s17, s4, v8
	v_add_co_ci_u32_e64 v2, null, s5, 0, s17
	flat_load_dword v2, v[1:2]
.LBB2202_7:
	s_or_b32 exec_lo, exec_lo, s16
	v_lshlrev_b32_e32 v9, 2, v0
	v_lshlrev_b32_e32 v1, 3, v0
	s_cmp_eq_u64 s[12:13], 0
	s_mov_b64 s[16:17], s[4:5]
	s_waitcnt vmcnt(0) lgkmcnt(0)
	ds_write2st64_b32 v9, v3, v4 offset1:4
	v_add_nc_u32_e32 v7, v9, v1
	ds_write_b32 v9, v2 offset:2048
	s_waitcnt lgkmcnt(0)
	s_barrier
	buffer_gl0_inv
	ds_read2_b32 v[4:5], v7 offset1:1
	ds_read_b32 v6, v7 offset:8
	s_cbranch_scc1 .LBB2202_11
; %bb.8:
	s_andn2_b32 vcc_lo, exec_lo, s27
	s_cbranch_vccnz .LBB2202_101
; %bb.9:
	s_lshl_b64 s[16:17], s[12:13], 2
	s_add_u32 s16, s22, s16
	s_addc_u32 s17, s23, s17
	s_add_u32 s16, s16, -4
	s_addc_u32 s17, s17, -1
	s_cbranch_execnz .LBB2202_11
.LBB2202_10:
	s_add_u32 s16, s4, -4
	s_addc_u32 s17, s5, -1
.LBB2202_11:
	v_mov_b32_e32 v2, s16
	v_mov_b32_e32 v3, s17
	s_mov_b32 s16, exec_lo
	flat_load_dword v13, v[2:3]
	v_sub_nc_u32_e32 v2, v7, v1
	s_waitcnt lgkmcnt(1)
	ds_write_b32 v2, v6 offset:3072
	s_waitcnt vmcnt(0) lgkmcnt(0)
	s_barrier
	buffer_gl0_inv
	v_cmpx_ne_u32_e32 0, v0
; %bb.12:
	v_sub_nc_u32_e32 v1, 0, v1
	v_add_nc_u32_e32 v1, v7, v1
	ds_read_b32 v13, v1 offset:3068
; %bb.13:
	s_or_b32 exec_lo, exec_lo, s16
	v_mov_b32_e32 v1, 0
	s_waitcnt lgkmcnt(0)
	s_barrier
	buffer_gl0_inv
	v_mov_b32_e32 v2, v1
	v_mov_b32_e32 v3, v1
	s_and_saveexec_b32 s16, s0
	s_cbranch_execnz .LBB2202_99
; %bb.14:
	s_or_b32 exec_lo, exec_lo, s16
	s_and_saveexec_b32 s0, s1
	s_cbranch_execnz .LBB2202_100
.LBB2202_15:
	s_or_b32 exec_lo, exec_lo, s0
	s_and_saveexec_b32 s0, s2
	s_cbranch_execz .LBB2202_17
.LBB2202_16:
	v_add_co_u32 v10, s1, s3, v8
	v_add_co_ci_u32_e64 v11, null, s21, 0, s1
	flat_load_dword v3, v[10:11]
.LBB2202_17:
	s_or_b32 exec_lo, exec_lo, s0
	s_waitcnt vmcnt(0) lgkmcnt(0)
	ds_write2st64_b32 v9, v1, v2 offset1:4
	ds_write_b32 v9, v3 offset:2048
	v_mov_b32_e32 v9, 0
	v_mov_b32_e32 v11, 0
	v_mul_u32_u24_e32 v8, 3, v0
	v_mov_b32_e32 v10, 0
	v_mov_b32_e32 v12, 0
	s_mov_b32 s16, 0
	s_mov_b32 s1, 0
	s_mov_b32 s17, exec_lo
	s_waitcnt lgkmcnt(0)
	s_barrier
	buffer_gl0_inv
                                        ; implicit-def: $sgpr2
                                        ; implicit-def: $vgpr2
	v_cmpx_gt_u32_e64 s30, v8
	s_cbranch_execz .LBB2202_21
; %bb.18:
	ds_read_b32 v9, v7
	v_cmp_ne_u32_e32 vcc_lo, v13, v4
	v_mov_b32_e32 v11, 0
	v_add_nc_u32_e32 v1, 1, v8
	v_mov_b32_e32 v12, 0
	s_mov_b32 s0, 0
	v_cndmask_b32_e64 v10, 0, 1, vcc_lo
	s_mov_b32 s1, exec_lo
                                        ; implicit-def: $sgpr2
                                        ; implicit-def: $vgpr2
	v_cmpx_gt_u32_e64 s30, v1
	s_xor_b32 s1, exec_lo, s1
	s_cbranch_execz .LBB2202_20
; %bb.19:
	ds_read2_b32 v[1:2], v7 offset0:1 offset1:2
	v_add_nc_u32_e32 v3, 2, v8
	v_cmp_ne_u32_e64 s0, v4, v5
	v_cmp_ne_u32_e64 s2, v5, v6
	v_cmp_gt_u32_e32 vcc_lo, s30, v3
	v_cndmask_b32_e64 v12, 0, 1, s0
	s_and_b32 s0, vcc_lo, exec_lo
	s_waitcnt lgkmcnt(0)
	v_mov_b32_e32 v11, v1
.LBB2202_20:
	s_or_b32 exec_lo, exec_lo, s1
	s_and_b32 s1, s0, exec_lo
.LBB2202_21:
	s_or_b32 exec_lo, exec_lo, s17
	v_lshlrev_b32_e32 v18, 2, v0
	v_lshlrev_b32_e32 v19, 3, v0
	s_and_b32 vcc_lo, exec_lo, s16
	s_cbranch_vccnz .LBB2202_23
	s_branch .LBB2202_31
.LBB2202_22:
                                        ; implicit-def: $sgpr2
                                        ; implicit-def: $vgpr2
                                        ; implicit-def: $vgpr9_vgpr10
                                        ; implicit-def: $vgpr11_vgpr12
	v_lshlrev_b32_e32 v18, 2, v0
	v_lshlrev_b32_e32 v19, 3, v0
	s_cbranch_execz .LBB2202_31
.LBB2202_23:
	v_add_co_u32 v1, s0, s4, v18
	v_add_co_ci_u32_e64 v2, null, s5, 0, s0
	s_cmp_eq_u64 s[12:13], 0
	v_add_co_u32 v3, vcc_lo, 0x800, v1
	v_add_co_ci_u32_e64 v4, null, 0, v2, vcc_lo
	s_clause 0x2
	flat_load_dword v5, v[1:2]
	flat_load_dword v2, v[1:2] offset:1024
	flat_load_dword v3, v[3:4]
	v_add_nc_u32_e32 v1, v18, v19
	s_waitcnt vmcnt(1) lgkmcnt(1)
	ds_write2st64_b32 v18, v5, v2 offset1:4
	s_waitcnt vmcnt(0) lgkmcnt(1)
	ds_write_b32 v18, v3 offset:2048
	s_waitcnt lgkmcnt(0)
	s_barrier
	buffer_gl0_inv
	ds_read2_b32 v[3:4], v1 offset1:1
	ds_read_b32 v5, v1 offset:8
	s_cbranch_scc1 .LBB2202_28
; %bb.24:
	s_andn2_b32 vcc_lo, exec_lo, s27
	s_cbranch_vccnz .LBB2202_102
; %bb.25:
	s_lshl_b64 s[0:1], s[12:13], 2
	s_add_u32 s0, s22, s0
	s_addc_u32 s1, s23, s1
	s_add_u32 s0, s0, -4
	s_addc_u32 s1, s1, -1
	s_cbranch_execnz .LBB2202_27
.LBB2202_26:
	s_add_u32 s0, s4, -4
	s_addc_u32 s1, s5, -1
.LBB2202_27:
	s_mov_b64 s[4:5], s[0:1]
.LBB2202_28:
	v_mov_b32_e32 v7, s5
	v_mov_b32_e32 v6, s4
	v_sub_nc_u32_e32 v2, v1, v19
	s_mov_b32 s0, exec_lo
	flat_load_dword v6, v[6:7]
	s_waitcnt lgkmcnt(1)
	ds_write_b32 v2, v5 offset:3072
	s_waitcnt vmcnt(0) lgkmcnt(0)
	s_barrier
	buffer_gl0_inv
	v_cmpx_ne_u32_e32 0, v0
; %bb.29:
	v_sub_nc_u32_e32 v2, 0, v19
	v_add_nc_u32_e32 v2, v1, v2
	ds_read_b32 v6, v2 offset:3068
; %bb.30:
	s_or_b32 exec_lo, exec_lo, s0
	v_add_co_u32 v7, s0, s3, v18
	v_add_co_ci_u32_e64 v8, null, s21, 0, s0
	s_waitcnt lgkmcnt(0)
	v_add_co_u32 v9, vcc_lo, 0x800, v7
	v_add_co_ci_u32_e64 v10, null, 0, v8, vcc_lo
	s_barrier
	buffer_gl0_inv
	s_clause 0x2
	flat_load_dword v2, v[7:8]
	flat_load_dword v7, v[7:8] offset:1024
	flat_load_dword v8, v[9:10]
	v_cmp_ne_u32_e32 vcc_lo, v6, v3
	v_cmp_ne_u32_e64 s2, v4, v5
	s_mov_b32 s1, -1
	s_waitcnt vmcnt(1) lgkmcnt(1)
	ds_write2st64_b32 v18, v2, v7 offset1:4
	s_waitcnt vmcnt(0) lgkmcnt(1)
	ds_write_b32 v18, v8 offset:2048
	s_waitcnt lgkmcnt(0)
	s_barrier
	buffer_gl0_inv
	ds_read2_b32 v[7:8], v1 offset1:1
	ds_read_b32 v2, v1 offset:8
	v_cndmask_b32_e64 v10, 0, 1, vcc_lo
	v_cmp_ne_u32_e32 vcc_lo, v3, v4
	v_cndmask_b32_e64 v12, 0, 1, vcc_lo
	s_waitcnt lgkmcnt(1)
	v_mov_b32_e32 v9, v7
	v_mov_b32_e32 v11, v8
.LBB2202_31:
	v_mov_b32_e32 v13, 0
	v_mov_b32_e32 v14, 0
	s_and_saveexec_b32 s0, s1
	s_cbranch_execz .LBB2202_33
; %bb.32:
	v_cndmask_b32_e64 v14, 0, 1, s2
	s_waitcnt lgkmcnt(0)
	v_mov_b32_e32 v13, v2
.LBB2202_33:
	s_or_b32 exec_lo, exec_lo, s0
	v_or_b32_e32 v23, v12, v14
	v_mbcnt_lo_u32_b32 v20, -1, 0
	v_lshrrev_b32_e32 v21, 5, v0
	v_or_b32_e32 v22, 31, v0
	s_cmp_lg_u32 s6, 0
	s_mov_b32 s2, 0
	s_waitcnt lgkmcnt(0)
	s_barrier
	buffer_gl0_inv
	s_cbranch_scc0 .LBB2202_59
; %bb.34:
	v_and_b32_e32 v2, 0xff, v23
	v_mov_b32_e32 v1, 0
	s_mov_b32 s3, 1
	v_and_b32_e32 v8, 15, v20
	v_cmp_gt_u64_e64 s0, s[2:3], v[11:12]
	v_cmp_gt_u64_e64 s1, s[2:3], v[13:14]
	v_cmp_eq_u64_e32 vcc_lo, 0, v[1:2]
	v_cndmask_b32_e64 v3, 0, v9, s0
	v_cndmask_b32_e32 v2, 1, v10, vcc_lo
	v_add_nc_u32_e32 v3, v3, v11
	v_and_b32_e32 v4, 0xff, v2
	v_and_b32_e32 v6, 1, v2
	v_cndmask_b32_e64 v3, 0, v3, s1
	v_mov_b32_dpp v5, v4 row_shr:1 row_mask:0xf bank_mask:0xf
	v_cmp_eq_u32_e32 vcc_lo, 1, v6
	v_add_nc_u32_e32 v3, v3, v13
	v_and_b32_e32 v5, 1, v5
	v_mov_b32_dpp v7, v3 row_shr:1 row_mask:0xf bank_mask:0xf
	v_cndmask_b32_e64 v5, v5, 1, vcc_lo
	v_cmp_eq_u16_e32 vcc_lo, 0, v4
	v_cndmask_b32_e32 v6, 0, v7, vcc_lo
	v_cmp_eq_u32_e32 vcc_lo, 0, v8
	v_cndmask_b32_e32 v4, v5, v4, vcc_lo
	v_cndmask_b32_e32 v2, v5, v2, vcc_lo
	v_cndmask_b32_e64 v6, v6, 0, vcc_lo
	v_mov_b32_dpp v5, v4 row_shr:2 row_mask:0xf bank_mask:0xf
	v_and_b32_e32 v7, 1, v2
	v_add_nc_u32_e32 v3, v6, v3
	v_cmp_eq_u16_sdwa s2, v2, v1 src0_sel:BYTE_0 src1_sel:DWORD
	v_and_b32_e32 v5, 1, v5
	v_cmp_eq_u32_e32 vcc_lo, 1, v7
	v_cndmask_b32_e64 v5, v5, 1, vcc_lo
	v_cmp_lt_u32_e32 vcc_lo, 1, v8
	v_cndmask_b32_e32 v7, v2, v5, vcc_lo
	v_cndmask_b32_e32 v4, v4, v5, vcc_lo
	v_mov_b32_dpp v2, v3 row_shr:2 row_mask:0xf bank_mask:0xf
	s_and_b32 vcc_lo, vcc_lo, s2
	v_and_b32_e32 v6, 1, v7
	v_mov_b32_dpp v5, v4 row_shr:4 row_mask:0xf bank_mask:0xf
	v_cndmask_b32_e32 v2, 0, v2, vcc_lo
	v_cmp_eq_u16_sdwa s2, v7, v1 src0_sel:BYTE_0 src1_sel:DWORD
	v_cmp_eq_u32_e32 vcc_lo, 1, v6
	v_and_b32_e32 v5, 1, v5
	v_add_nc_u32_e32 v2, v2, v3
	v_cndmask_b32_e64 v5, v5, 1, vcc_lo
	v_cmp_lt_u32_e32 vcc_lo, 3, v8
	v_cndmask_b32_e32 v3, v7, v5, vcc_lo
	v_cndmask_b32_e32 v4, v4, v5, vcc_lo
	v_mov_b32_dpp v5, v2 row_shr:4 row_mask:0xf bank_mask:0xf
	s_and_b32 vcc_lo, vcc_lo, s2
	v_and_b32_e32 v7, 1, v3
	v_mov_b32_dpp v6, v4 row_shr:8 row_mask:0xf bank_mask:0xf
	v_cndmask_b32_e32 v5, 0, v5, vcc_lo
	v_cmp_eq_u16_sdwa s2, v3, v1 src0_sel:BYTE_0 src1_sel:DWORD
	v_cmp_eq_u32_e32 vcc_lo, 1, v7
	v_and_b32_e32 v6, 1, v6
	v_add_nc_u32_e32 v2, v5, v2
	v_bfe_i32 v7, v20, 4, 1
	v_cndmask_b32_e64 v5, v6, 1, vcc_lo
	v_cmp_lt_u32_e32 vcc_lo, 7, v8
	v_mov_b32_dpp v6, v2 row_shr:8 row_mask:0xf bank_mask:0xf
	s_and_b32 s2, vcc_lo, s2
	v_cndmask_b32_e32 v4, v4, v5, vcc_lo
	v_cndmask_b32_e64 v6, 0, v6, s2
	v_cndmask_b32_e32 v3, v3, v5, vcc_lo
	ds_swizzle_b32 v5, v4 offset:swizzle(BROADCAST,32,15)
	v_add_nc_u32_e32 v2, v6, v2
	v_and_b32_e32 v8, 1, v3
	v_cmp_eq_u16_sdwa vcc_lo, v3, v1 src0_sel:BYTE_0 src1_sel:DWORD
	v_and_b32_e32 v3, 16, v20
	ds_swizzle_b32 v6, v2 offset:swizzle(BROADCAST,32,15)
	v_cmp_eq_u32_e64 s2, 0, v3
	s_waitcnt lgkmcnt(1)
	v_and_b32_e32 v5, 1, v5
	s_waitcnt lgkmcnt(0)
	v_cndmask_b32_e32 v1, 0, v6, vcc_lo
	v_cmp_eq_u32_e32 vcc_lo, 1, v8
	v_and_b32_e32 v1, v7, v1
	v_cndmask_b32_e64 v5, v5, 1, vcc_lo
	v_add_nc_u32_e32 v3, v1, v2
	v_cndmask_b32_e64 v4, v5, v4, s2
	v_lshlrev_b32_e32 v5, 3, v21
	s_mov_b32 s2, exec_lo
	v_cmpx_eq_u32_e64 v0, v22
	s_cbranch_execz .LBB2202_36
; %bb.35:
	ds_write_b32 v5, v3
	ds_write_b8 v5, v4 offset:4
.LBB2202_36:
	s_or_b32 exec_lo, exec_lo, s2
	s_mov_b32 s2, exec_lo
	s_waitcnt lgkmcnt(0)
	s_barrier
	buffer_gl0_inv
	v_cmpx_gt_u32_e32 8, v0
	s_cbranch_execz .LBB2202_42
; %bb.37:
	ds_read_b64 v[1:2], v19
	v_and_b32_e32 v6, 7, v20
	s_mov_b32 s3, exec_lo
	s_waitcnt lgkmcnt(0)
	v_and_b32_e32 v7, 0xffffff00, v2
	v_mov_b32_dpp v15, v1 row_shr:1 row_mask:0xf bank_mask:0xf
	v_mov_b32_dpp v16, v2 row_shr:1 row_mask:0xf bank_mask:0xf
	v_mov_b32_e32 v8, v2
	v_cmpx_ne_u32_e32 0, v6
	s_cbranch_execz .LBB2202_39
; %bb.38:
	v_mov_b32_e32 v8, 0
	v_and_b32_e32 v17, 1, v2
	v_and_b32_e32 v16, 1, v16
	v_cmp_eq_u16_sdwa vcc_lo, v2, v8 src0_sel:BYTE_0 src1_sel:DWORD
	v_cndmask_b32_e32 v2, 0, v15, vcc_lo
	v_cmp_eq_u32_e32 vcc_lo, 1, v17
	v_add_nc_u32_e32 v1, v2, v1
	v_cndmask_b32_e64 v15, v16, 1, vcc_lo
	v_or_b32_sdwa v8, v7, v15 dst_sel:DWORD dst_unused:UNUSED_PAD src0_sel:DWORD src1_sel:WORD_0
	v_mov_b32_e32 v2, v15
.LBB2202_39:
	s_or_b32 exec_lo, exec_lo, s3
	v_mov_b32_dpp v15, v1 row_shr:2 row_mask:0xf bank_mask:0xf
	v_mov_b32_dpp v16, v8 row_shr:2 row_mask:0xf bank_mask:0xf
	s_mov_b32 s3, exec_lo
	v_cmpx_lt_u32_e32 1, v6
	s_cbranch_execz .LBB2202_41
; %bb.40:
	v_mov_b32_e32 v8, 0
	v_and_b32_e32 v17, 1, v2
	v_and_b32_e32 v16, 1, v16
	v_cmp_eq_u16_sdwa vcc_lo, v2, v8 src0_sel:BYTE_0 src1_sel:DWORD
	v_cndmask_b32_e32 v2, 0, v15, vcc_lo
	v_cmp_eq_u32_e32 vcc_lo, 1, v17
	v_add_nc_u32_e32 v1, v2, v1
	v_cndmask_b32_e64 v15, v16, 1, vcc_lo
	v_or_b32_sdwa v8, v7, v15 dst_sel:DWORD dst_unused:UNUSED_PAD src0_sel:DWORD src1_sel:WORD_0
	v_mov_b32_e32 v2, v15
.LBB2202_41:
	s_or_b32 exec_lo, exec_lo, s3
	v_mov_b32_dpp v7, v8 row_shr:4 row_mask:0xf bank_mask:0xf
	v_and_b32_e32 v15, 1, v2
	v_mov_b32_e32 v8, 0
	v_and_b32_e32 v7, 1, v7
	v_cmp_eq_u32_e32 vcc_lo, 1, v15
	v_cmp_eq_u16_sdwa s3, v2, v8 src0_sel:BYTE_0 src1_sel:DWORD
	v_cndmask_b32_e64 v7, v7, 1, vcc_lo
	v_cmp_lt_u32_e32 vcc_lo, 3, v6
	v_mov_b32_dpp v6, v1 row_shr:4 row_mask:0xf bank_mask:0xf
	v_cndmask_b32_e32 v2, v2, v7, vcc_lo
	s_and_b32 vcc_lo, vcc_lo, s3
	v_cndmask_b32_e32 v6, 0, v6, vcc_lo
	v_add_nc_u32_e32 v1, v6, v1
	ds_write_b32 v19, v1
	ds_write_b8 v19, v2 offset:4
.LBB2202_42:
	s_or_b32 exec_lo, exec_lo, s2
	v_mov_b32_e32 v24, 0
	v_mov_b32_e32 v25, 0
	s_mov_b32 s3, exec_lo
	v_cmp_gt_u32_e32 vcc_lo, 32, v0
	s_waitcnt lgkmcnt(0)
	s_barrier
	buffer_gl0_inv
	v_cmpx_lt_u32_e32 31, v0
	s_cbranch_execz .LBB2202_44
; %bb.43:
	v_add_nc_u32_e32 v1, -8, v5
	v_cmp_eq_u32_e64 s2, 0, v4
	v_and_b32_e32 v2, 1, v4
	ds_read_b32 v24, v1
	v_add_nc_u32_e32 v1, -4, v5
	ds_read_u8 v25, v1
	s_waitcnt lgkmcnt(1)
	v_cndmask_b32_e64 v1, 0, v24, s2
	v_cmp_eq_u32_e64 s2, 1, v2
	v_add_nc_u32_e32 v3, v1, v3
	s_waitcnt lgkmcnt(0)
	v_cndmask_b32_e64 v4, v25, 1, s2
.LBB2202_44:
	s_or_b32 exec_lo, exec_lo, s3
	v_sub_co_u32 v1, s2, v20, 1
	v_cmp_gt_i32_e64 s3, 0, v1
	v_cndmask_b32_e64 v1, v1, v20, s3
	v_lshlrev_b32_e32 v1, 2, v1
	ds_bpermute_b32 v26, v1, v3
	ds_bpermute_b32 v27, v1, v4
	s_and_saveexec_b32 s12, vcc_lo
	s_cbranch_execz .LBB2202_64
; %bb.45:
	v_mov_b32_e32 v4, 0
	ds_read_b64 v[1:2], v4 offset:56
	s_and_saveexec_b32 s3, s2
	s_cbranch_execz .LBB2202_47
; %bb.46:
	s_add_i32 s4, s6, 32
	s_mov_b32 s5, 0
	v_mov_b32_e32 v3, 1
	s_lshl_b64 s[4:5], s[4:5], 4
	s_add_u32 s4, s24, s4
	s_addc_u32 s5, s25, s5
	v_mov_b32_e32 v6, s5
	v_mov_b32_e32 v5, s4
	s_waitcnt lgkmcnt(0)
	;;#ASMSTART
	global_store_dwordx4 v[5:6], v[1:4] off	
s_waitcnt vmcnt(0)
	;;#ASMEND
.LBB2202_47:
	s_or_b32 exec_lo, exec_lo, s3
	v_xad_u32 v15, v20, -1, s6
	s_mov_b32 s4, 0
	v_add_nc_u32_e32 v3, 32, v15
	v_lshlrev_b64 v[5:6], 4, v[3:4]
	v_add_co_u32 v16, vcc_lo, s24, v5
	v_add_co_ci_u32_e64 v17, null, s25, v6, vcc_lo
	;;#ASMSTART
	global_load_dwordx4 v[5:8], v[16:17] off glc dlc	
s_waitcnt vmcnt(0)
	;;#ASMEND
	v_and_b32_e32 v6, 0xff, v6
	v_cmp_eq_u16_sdwa s5, v7, v4 src0_sel:BYTE_0 src1_sel:DWORD
	s_and_saveexec_b32 s3, s5
	s_cbranch_execz .LBB2202_51
; %bb.48:
	v_mov_b32_e32 v3, 0
.LBB2202_49:                            ; =>This Inner Loop Header: Depth=1
	;;#ASMSTART
	global_load_dwordx4 v[5:8], v[16:17] off glc dlc	
s_waitcnt vmcnt(0)
	;;#ASMEND
	v_cmp_ne_u16_sdwa s5, v7, v3 src0_sel:BYTE_0 src1_sel:DWORD
	s_or_b32 s4, s5, s4
	s_andn2_b32 exec_lo, exec_lo, s4
	s_cbranch_execnz .LBB2202_49
; %bb.50:
	s_or_b32 exec_lo, exec_lo, s4
	v_and_b32_e32 v6, 0xff, v6
.LBB2202_51:
	s_or_b32 exec_lo, exec_lo, s3
	v_cmp_ne_u32_e32 vcc_lo, 31, v20
	v_mov_b32_e32 v28, 2
	v_lshlrev_b32_e64 v29, v20, -1
	v_and_b32_e32 v8, 1, v6
	s_mov_b32 s4, 0
	v_add_co_ci_u32_e64 v3, null, 0, v20, vcc_lo
	v_cmp_eq_u16_sdwa s3, v7, v28 src0_sel:BYTE_0 src1_sel:DWORD
	v_cmp_eq_u32_e32 vcc_lo, 1, v8
	s_mov_b32 s5, 1
	v_lshlrev_b32_e32 v17, 2, v3
	v_add_nc_u32_e32 v37, 8, v20
	v_and_or_b32 v4, s3, v29, 0x80000000
	v_cmp_gt_u64_e64 s3, s[4:5], v[5:6]
	v_lshl_or_b32 v38, v20, 2, 64
	ds_bpermute_b32 v3, v17, v6
	ds_bpermute_b32 v16, v17, v5
	v_ffbl_b32_e32 v4, v4
	v_add_nc_u32_e32 v39, 16, v20
	s_waitcnt lgkmcnt(1)
	v_and_b32_e32 v3, 1, v3
	v_cndmask_b32_e64 v3, v3, 1, vcc_lo
	v_cmp_gt_u32_e32 vcc_lo, 30, v20
	v_and_b32_e32 v31, 0xffff, v3
	v_cndmask_b32_e64 v8, 0, 2, vcc_lo
	v_cmp_lt_u32_e32 vcc_lo, v20, v4
	v_add_lshl_u32 v30, v8, v20, 2
	v_cndmask_b32_e32 v8, v6, v31, vcc_lo
	v_cndmask_b32_e32 v3, v6, v3, vcc_lo
	s_and_b32 vcc_lo, vcc_lo, s3
	s_waitcnt lgkmcnt(0)
	v_cndmask_b32_e32 v6, 0, v16, vcc_lo
	ds_bpermute_b32 v31, v30, v8
	v_and_b32_e32 v16, 1, v3
	v_add_nc_u32_e32 v5, v6, v5
	v_cmp_eq_u32_e32 vcc_lo, 1, v16
	v_mov_b32_e32 v16, 0
	ds_bpermute_b32 v6, v30, v5
	v_cmp_eq_u16_sdwa s3, v3, v16 src0_sel:BYTE_0 src1_sel:DWORD
	s_waitcnt lgkmcnt(1)
	v_and_b32_e32 v32, 1, v31
	v_add_nc_u32_e32 v31, 2, v20
	v_cndmask_b32_e64 v33, v32, 1, vcc_lo
	v_cmp_gt_u32_e32 vcc_lo, 28, v20
	v_and_b32_e32 v34, 0xffff, v33
	v_cndmask_b32_e64 v32, 0, 4, vcc_lo
	v_cmp_gt_u32_e32 vcc_lo, v31, v4
	v_add_lshl_u32 v32, v32, v20, 2
	v_cndmask_b32_e32 v8, v34, v8, vcc_lo
	v_cndmask_b32_e32 v35, v33, v3, vcc_lo
	s_waitcnt lgkmcnt(0)
	v_cndmask_b32_e64 v3, 0, v6, s3
	v_add_nc_u32_e32 v33, 4, v20
	ds_bpermute_b32 v6, v32, v8
	v_and_b32_e32 v34, 1, v35
	v_cndmask_b32_e64 v3, v3, 0, vcc_lo
	v_cmp_eq_u16_sdwa s3, v35, v16 src0_sel:BYTE_0 src1_sel:DWORD
	v_cmp_eq_u32_e32 vcc_lo, 1, v34
	v_add_nc_u32_e32 v3, v3, v5
	ds_bpermute_b32 v5, v32, v3
	s_waitcnt lgkmcnt(1)
	v_and_b32_e32 v6, 1, v6
	v_cndmask_b32_e64 v6, v6, 1, vcc_lo
	v_cmp_gt_u32_e32 vcc_lo, 24, v20
	v_and_b32_e32 v36, 0xffff, v6
	v_cndmask_b32_e64 v34, 0, 8, vcc_lo
	v_cmp_gt_u32_e32 vcc_lo, v33, v4
	s_waitcnt lgkmcnt(0)
	v_cndmask_b32_e64 v5, 0, v5, s3
	v_add_lshl_u32 v34, v34, v20, 2
	v_cndmask_b32_e32 v8, v36, v8, vcc_lo
	v_cndmask_b32_e32 v6, v6, v35, vcc_lo
	v_cndmask_b32_e64 v5, v5, 0, vcc_lo
	ds_bpermute_b32 v35, v34, v8
	v_and_b32_e32 v36, 1, v6
	v_add_nc_u32_e32 v3, v5, v3
	v_cmp_eq_u32_e32 vcc_lo, 1, v36
	ds_bpermute_b32 v5, v34, v3
	s_waitcnt lgkmcnt(1)
	v_and_b32_e32 v35, 1, v35
	v_cndmask_b32_e64 v35, v35, 1, vcc_lo
	v_cmp_eq_u16_sdwa vcc_lo, v6, v16 src0_sel:BYTE_0 src1_sel:DWORD
	v_and_b32_e32 v36, 0xffff, v35
	s_waitcnt lgkmcnt(0)
	v_cndmask_b32_e32 v5, 0, v5, vcc_lo
	v_cmp_gt_u32_e32 vcc_lo, v37, v4
	v_cndmask_b32_e64 v5, v5, 0, vcc_lo
	v_cndmask_b32_e32 v8, v36, v8, vcc_lo
	v_cndmask_b32_e32 v6, v35, v6, vcc_lo
	v_add_nc_u32_e32 v3, v5, v3
	ds_bpermute_b32 v5, v38, v8
	v_and_b32_e32 v35, 1, v6
	v_cmp_eq_u16_sdwa vcc_lo, v6, v16 src0_sel:BYTE_0 src1_sel:DWORD
	ds_bpermute_b32 v8, v38, v3
	s_waitcnt lgkmcnt(1)
	v_and_b32_e32 v5, 1, v5
	s_waitcnt lgkmcnt(0)
	v_cndmask_b32_e32 v8, 0, v8, vcc_lo
	v_cmp_eq_u32_e32 vcc_lo, 1, v35
	v_cndmask_b32_e64 v5, v5, 1, vcc_lo
	v_cmp_gt_u32_e32 vcc_lo, v39, v4
	v_cndmask_b32_e32 v4, v5, v6, vcc_lo
	v_cndmask_b32_e64 v5, v8, 0, vcc_lo
	v_add_nc_u32_e32 v3, v5, v3
	s_branch .LBB2202_55
.LBB2202_52:                            ;   in Loop: Header=BB2202_55 Depth=1
	s_or_b32 exec_lo, exec_lo, s13
	v_and_b32_e32 v6, 0xff, v6
.LBB2202_53:                            ;   in Loop: Header=BB2202_55 Depth=1
	s_or_b32 exec_lo, exec_lo, s3
	ds_bpermute_b32 v3, v17, v6
	v_cmp_eq_u16_sdwa s3, v7, v28 src0_sel:BYTE_0 src1_sel:DWORD
	v_and_b32_e32 v4, 1, v6
	v_subrev_nc_u32_e32 v15, 32, v15
	v_and_or_b32 v8, s3, v29, 0x80000000
	v_cmp_eq_u32_e32 vcc_lo, 1, v4
	v_cmp_gt_u64_e64 s3, s[4:5], v[5:6]
	v_ffbl_b32_e32 v4, v8
	ds_bpermute_b32 v8, v17, v5
	s_waitcnt lgkmcnt(1)
	v_and_b32_e32 v3, 1, v3
	v_cndmask_b32_e64 v3, v3, 1, vcc_lo
	v_cmp_lt_u32_e32 vcc_lo, v20, v4
	v_and_b32_e32 v40, 0xffff, v3
	v_cndmask_b32_e32 v3, v6, v3, vcc_lo
	v_cndmask_b32_e32 v40, v6, v40, vcc_lo
	s_and_b32 vcc_lo, vcc_lo, s3
	v_cmp_eq_u16_sdwa s3, v3, v16 src0_sel:BYTE_0 src1_sel:DWORD
	s_waitcnt lgkmcnt(0)
	v_cndmask_b32_e32 v6, 0, v8, vcc_lo
	v_and_b32_e32 v8, 1, v3
	ds_bpermute_b32 v41, v30, v40
	v_add_nc_u32_e32 v5, v6, v5
	v_cmp_eq_u32_e32 vcc_lo, 1, v8
	ds_bpermute_b32 v6, v30, v5
	s_waitcnt lgkmcnt(1)
	v_and_b32_e32 v41, 1, v41
	v_cndmask_b32_e64 v8, v41, 1, vcc_lo
	v_cmp_gt_u32_e32 vcc_lo, v31, v4
	v_and_b32_e32 v41, 0xffff, v8
	v_cndmask_b32_e32 v8, v8, v3, vcc_lo
	s_waitcnt lgkmcnt(0)
	v_cndmask_b32_e64 v3, 0, v6, s3
	v_cndmask_b32_e32 v40, v41, v40, vcc_lo
	v_and_b32_e32 v41, 1, v8
	v_cndmask_b32_e64 v3, v3, 0, vcc_lo
	v_cmp_eq_u16_sdwa s3, v8, v16 src0_sel:BYTE_0 src1_sel:DWORD
	ds_bpermute_b32 v6, v32, v40
	v_cmp_eq_u32_e32 vcc_lo, 1, v41
	v_add_nc_u32_e32 v3, v3, v5
	ds_bpermute_b32 v5, v32, v3
	s_waitcnt lgkmcnt(1)
	v_and_b32_e32 v6, 1, v6
	v_cndmask_b32_e64 v6, v6, 1, vcc_lo
	v_cmp_gt_u32_e32 vcc_lo, v33, v4
	s_waitcnt lgkmcnt(0)
	v_cndmask_b32_e64 v5, 0, v5, s3
	s_mov_b32 s3, 0
	v_and_b32_e32 v41, 0xffff, v6
	v_cndmask_b32_e32 v6, v6, v8, vcc_lo
	v_cndmask_b32_e64 v5, v5, 0, vcc_lo
	v_cndmask_b32_e32 v8, v41, v40, vcc_lo
	v_and_b32_e32 v41, 1, v6
	v_add_nc_u32_e32 v3, v5, v3
	ds_bpermute_b32 v40, v34, v8
	v_cmp_eq_u32_e32 vcc_lo, 1, v41
	ds_bpermute_b32 v5, v34, v3
	s_waitcnt lgkmcnt(1)
	v_and_b32_e32 v40, 1, v40
	v_cndmask_b32_e64 v40, v40, 1, vcc_lo
	v_cmp_eq_u16_sdwa vcc_lo, v6, v16 src0_sel:BYTE_0 src1_sel:DWORD
	v_and_b32_e32 v41, 0xffff, v40
	s_waitcnt lgkmcnt(0)
	v_cndmask_b32_e32 v5, 0, v5, vcc_lo
	v_cmp_gt_u32_e32 vcc_lo, v37, v4
	v_cndmask_b32_e64 v5, v5, 0, vcc_lo
	v_cndmask_b32_e32 v8, v41, v8, vcc_lo
	v_cndmask_b32_e32 v6, v40, v6, vcc_lo
	v_add_nc_u32_e32 v3, v5, v3
	ds_bpermute_b32 v5, v38, v8
	v_and_b32_e32 v40, 1, v6
	ds_bpermute_b32 v8, v38, v3
	v_cmp_eq_u32_e32 vcc_lo, 1, v40
	s_waitcnt lgkmcnt(1)
	v_cndmask_b32_e64 v5, v5, 1, vcc_lo
	v_cmp_eq_u16_sdwa vcc_lo, v6, v16 src0_sel:BYTE_0 src1_sel:DWORD
	s_waitcnt lgkmcnt(0)
	v_cndmask_b32_e32 v8, 0, v8, vcc_lo
	v_cmp_gt_u32_e32 vcc_lo, v39, v4
	v_cndmask_b32_e32 v4, v5, v6, vcc_lo
	v_cndmask_b32_e64 v5, v8, 0, vcc_lo
	v_cmp_eq_u16_sdwa vcc_lo, v35, v16 src0_sel:BYTE_0 src1_sel:DWORD
	v_and_b32_e32 v4, 1, v4
	v_add_nc_u32_e32 v3, v5, v3
	v_and_b32_e32 v5, 1, v35
	v_cndmask_b32_e32 v3, 0, v3, vcc_lo
	v_cmp_eq_u32_e32 vcc_lo, 1, v5
	v_add_nc_u32_e32 v3, v3, v36
	v_cndmask_b32_e64 v4, v4, 1, vcc_lo
.LBB2202_54:                            ;   in Loop: Header=BB2202_55 Depth=1
	s_and_b32 vcc_lo, exec_lo, s3
	s_cbranch_vccnz .LBB2202_60
.LBB2202_55:                            ; =>This Loop Header: Depth=1
                                        ;     Child Loop BB2202_58 Depth 2
	v_cmp_ne_u16_sdwa s3, v7, v28 src0_sel:BYTE_0 src1_sel:DWORD
	v_mov_b32_e32 v35, v4
	v_mov_b32_e32 v36, v3
                                        ; implicit-def: $vgpr4
                                        ; implicit-def: $vgpr3
                                        ; implicit-def: $vgpr7
	s_cmp_lg_u32 s3, exec_lo
	s_mov_b32 s3, -1
	s_cbranch_scc1 .LBB2202_54
; %bb.56:                               ;   in Loop: Header=BB2202_55 Depth=1
	v_lshlrev_b64 v[3:4], 4, v[15:16]
	v_add_co_u32 v3, vcc_lo, s24, v3
	v_add_co_ci_u32_e64 v4, null, s25, v4, vcc_lo
	;;#ASMSTART
	global_load_dwordx4 v[5:8], v[3:4] off glc dlc	
s_waitcnt vmcnt(0)
	;;#ASMEND
	v_and_b32_e32 v6, 0xff, v6
	v_cmp_eq_u16_sdwa s13, v7, v16 src0_sel:BYTE_0 src1_sel:DWORD
	s_and_saveexec_b32 s3, s13
	s_cbranch_execz .LBB2202_53
; %bb.57:                               ;   in Loop: Header=BB2202_55 Depth=1
	s_mov_b32 s13, 0
.LBB2202_58:                            ;   Parent Loop BB2202_55 Depth=1
                                        ; =>  This Inner Loop Header: Depth=2
	;;#ASMSTART
	global_load_dwordx4 v[5:8], v[3:4] off glc dlc	
s_waitcnt vmcnt(0)
	;;#ASMEND
	v_cmp_ne_u16_sdwa s16, v7, v16 src0_sel:BYTE_0 src1_sel:DWORD
	s_or_b32 s13, s16, s13
	s_andn2_b32 exec_lo, exec_lo, s13
	s_cbranch_execnz .LBB2202_58
	s_branch .LBB2202_52
.LBB2202_59:
                                        ; implicit-def: $vgpr7
                                        ; implicit-def: $vgpr5
                                        ; implicit-def: $vgpr6
	s_cbranch_execnz .LBB2202_65
	s_branch .LBB2202_82
.LBB2202_60:
	s_and_saveexec_b32 s3, s2
	s_cbranch_execz .LBB2202_62
; %bb.61:
	v_mov_b32_e32 v4, 0
	v_and_b32_e32 v3, 1, v2
	s_mov_b32 s5, 0
	s_add_i32 s4, s6, 32
	v_and_b32_e32 v5, 1, v35
	v_cmp_eq_u32_sdwa vcc_lo, v2, v4 src0_sel:BYTE_0 src1_sel:DWORD
	s_lshl_b64 s[4:5], s[4:5], 4
	s_add_u32 s4, s24, s4
	s_addc_u32 s5, s25, s5
	v_cndmask_b32_e32 v2, 0, v36, vcc_lo
	v_cmp_eq_u32_e32 vcc_lo, 1, v3
	v_mov_b32_e32 v3, 2
	v_add_nc_u32_e32 v1, v2, v1
	v_cndmask_b32_e64 v2, v5, 1, vcc_lo
	v_mov_b32_e32 v6, s5
	v_mov_b32_e32 v5, s4
	;;#ASMSTART
	global_store_dwordx4 v[5:6], v[1:4] off	
s_waitcnt vmcnt(0)
	;;#ASMEND
.LBB2202_62:
	s_or_b32 exec_lo, exec_lo, s3
	v_cmp_eq_u32_e32 vcc_lo, 0, v0
	s_and_b32 exec_lo, exec_lo, vcc_lo
	s_cbranch_execz .LBB2202_64
; %bb.63:
	v_mov_b32_e32 v1, 0
	ds_write_b32 v1, v36 offset:56
	ds_write_b8 v1, v35 offset:60
.LBB2202_64:
	s_or_b32 exec_lo, exec_lo, s12
	s_waitcnt lgkmcnt(0)
	v_cndmask_b32_e64 v2, v27, v25, s2
	v_and_b32_e32 v4, 1, v10
	v_mov_b32_e32 v1, 0
	v_cndmask_b32_e64 v5, v26, v24, s2
	s_mov_b32 s2, 0
	v_and_b32_e32 v2, 1, v2
	v_cmp_eq_u32_e32 vcc_lo, 1, v4
	s_mov_b32 s3, 1
	s_barrier
	buffer_gl0_inv
	v_cndmask_b32_e64 v2, v2, 1, vcc_lo
	v_cmp_gt_u64_e32 vcc_lo, s[2:3], v[9:10]
	ds_read_b32 v3, v1 offset:56
	v_cndmask_b32_e32 v4, 0, v5, vcc_lo
	v_cmp_eq_u32_e32 vcc_lo, 0, v0
	v_cndmask_b32_e32 v2, v2, v10, vcc_lo
	v_cndmask_b32_e64 v4, v4, 0, vcc_lo
	v_cmp_eq_u16_sdwa vcc_lo, v2, v1 src0_sel:BYTE_0 src1_sel:DWORD
	s_waitcnt lgkmcnt(0)
	v_cndmask_b32_e32 v1, 0, v3, vcc_lo
	v_add3_u32 v7, v4, v9, v1
	v_cndmask_b32_e64 v1, 0, v7, s0
	v_add_nc_u32_e32 v5, v1, v11
	v_cndmask_b32_e64 v1, 0, v5, s1
	v_add_nc_u32_e32 v6, v1, v13
	s_branch .LBB2202_82
.LBB2202_65:
	s_cmp_lg_u64 s[28:29], 0
	v_cmp_eq_u32_e32 vcc_lo, 0, v0
	s_cselect_b32 s1, -1, 0
	s_cmp_lg_u64 s[18:19], 0
	v_cmp_ne_u32_e64 s0, 0, v0
	s_cselect_b32 s2, -1, 0
	s_mov_b32 s4, 0
	s_and_b32 s1, s1, s2
	s_and_b32 s1, vcc_lo, s1
	s_and_saveexec_b32 s2, s1
	s_cbranch_execz .LBB2202_67
; %bb.66:
	v_mov_b32_e32 v1, 0
	s_mov_b32 s5, 1
	s_clause 0x1
	global_load_dword v2, v1, s[18:19]
	global_load_ubyte v3, v1, s[18:19] offset:4
	v_cmp_gt_u64_e64 s1, s[4:5], v[9:10]
	s_waitcnt vmcnt(1)
	v_cndmask_b32_e64 v4, 0, v2, s1
	v_and_b32_e32 v2, 1, v10
	s_waitcnt vmcnt(0)
	v_and_b32_e32 v3, 1, v3
	v_add_nc_u32_e32 v9, v4, v9
	v_cmp_eq_u64_e64 s1, 0, v[1:2]
	v_cndmask_b32_e64 v10, 1, v3, s1
.LBB2202_67:
	s_or_b32 exec_lo, exec_lo, s2
	v_and_b32_e32 v2, 0xff, v23
	v_mov_b32_e32 v1, 0
	s_mov_b32 s5, 1
	v_and_b32_e32 v7, 15, v20
	v_cmp_eq_u64_e64 s1, 0, v[1:2]
	v_cmp_eq_u32_e64 s3, 0, v7
	v_cndmask_b32_e64 v2, 1, v10, s1
	v_cmp_gt_u64_e64 s1, s[4:5], v[11:12]
	v_and_b32_e32 v3, 0xff, v2
	v_and_b32_e32 v6, 1, v2
	v_cndmask_b32_e64 v5, 0, v9, s1
	v_mov_b32_dpp v4, v3 row_shr:1 row_mask:0xf bank_mask:0xf
	v_cmp_eq_u32_e64 s2, 1, v6
	v_add_nc_u32_e32 v5, v5, v11
	v_and_b32_e32 v4, 1, v4
	v_cndmask_b32_e64 v4, v4, 1, s2
	v_cmp_gt_u64_e64 s2, s[4:5], v[13:14]
	v_cmp_eq_u16_e64 s4, 0, v3
	v_cndmask_b32_e64 v8, v4, v3, s3
	v_cndmask_b32_e64 v2, v4, v2, s3
	;; [unrolled: 1-line block ×3, first 2 shown]
	v_mov_b32_dpp v4, v8 row_shr:2 row_mask:0xf bank_mask:0xf
	v_and_b32_e32 v14, 1, v2
	v_add_nc_u32_e32 v6, v6, v13
	v_and_b32_e32 v4, 1, v4
	v_mov_b32_dpp v12, v6 row_shr:1 row_mask:0xf bank_mask:0xf
	v_cndmask_b32_e64 v3, 0, v12, s4
	v_cmp_eq_u32_e64 s4, 1, v14
	v_cndmask_b32_e64 v3, v3, 0, s3
	v_cndmask_b32_e64 v4, v4, 1, s4
	v_cmp_lt_u32_e64 s4, 1, v7
	v_cmp_eq_u16_sdwa s3, v2, v1 src0_sel:BYTE_0 src1_sel:DWORD
	v_add_nc_u32_e32 v3, v3, v6
	v_cndmask_b32_e64 v12, v2, v4, s4
	v_cndmask_b32_e64 v4, v8, v4, s4
	s_and_b32 s3, s4, s3
	v_mov_b32_dpp v2, v3 row_shr:2 row_mask:0xf bank_mask:0xf
	v_and_b32_e32 v14, 1, v12
	v_mov_b32_dpp v8, v4 row_shr:4 row_mask:0xf bank_mask:0xf
	v_cmp_eq_u16_sdwa s4, v12, v1 src0_sel:BYTE_0 src1_sel:DWORD
	v_cndmask_b32_e64 v2, 0, v2, s3
	v_cmp_eq_u32_e64 s3, 1, v14
	v_and_b32_e32 v8, 1, v8
	v_add_nc_u32_e32 v2, v2, v3
	v_cndmask_b32_e64 v8, v8, 1, s3
	v_cmp_lt_u32_e64 s3, 3, v7
	v_cndmask_b32_e64 v3, v12, v8, s3
	v_cndmask_b32_e64 v4, v4, v8, s3
	v_mov_b32_dpp v8, v2 row_shr:4 row_mask:0xf bank_mask:0xf
	s_and_b32 s3, s3, s4
	v_and_b32_e32 v14, 1, v3
	v_mov_b32_dpp v12, v4 row_shr:8 row_mask:0xf bank_mask:0xf
	v_cndmask_b32_e64 v8, 0, v8, s3
	v_cmp_eq_u16_sdwa s4, v3, v1 src0_sel:BYTE_0 src1_sel:DWORD
	v_cmp_eq_u32_e64 s3, 1, v14
	v_and_b32_e32 v12, 1, v12
	v_add_nc_u32_e32 v2, v8, v2
	v_cndmask_b32_e64 v8, v12, 1, s3
	v_cmp_lt_u32_e64 s3, 7, v7
	v_mov_b32_dpp v7, v2 row_shr:8 row_mask:0xf bank_mask:0xf
	v_bfe_i32 v12, v20, 4, 1
	s_and_b32 s4, s3, s4
	v_cndmask_b32_e64 v4, v4, v8, s3
	v_cndmask_b32_e64 v7, 0, v7, s4
	;; [unrolled: 1-line block ×3, first 2 shown]
	s_mov_b32 s4, exec_lo
	v_add_nc_u32_e32 v2, v7, v2
	ds_swizzle_b32 v7, v4 offset:swizzle(BROADCAST,32,15)
	v_and_b32_e32 v14, 1, v3
	v_cmp_eq_u16_sdwa s3, v3, v1 src0_sel:BYTE_0 src1_sel:DWORD
	v_and_b32_e32 v3, 16, v20
	ds_swizzle_b32 v8, v2 offset:swizzle(BROADCAST,32,15)
	s_waitcnt lgkmcnt(1)
	v_and_b32_e32 v7, 1, v7
	s_waitcnt lgkmcnt(0)
	v_cndmask_b32_e64 v1, 0, v8, s3
	v_cmp_eq_u32_e64 s3, 1, v14
	v_and_b32_e32 v1, v12, v1
	v_cndmask_b32_e64 v7, v7, 1, s3
	v_cmp_eq_u32_e64 s3, 0, v3
	v_add_nc_u32_e32 v3, v1, v2
	v_cndmask_b32_e64 v4, v7, v4, s3
	v_cmpx_eq_u32_e64 v0, v22
	s_cbranch_execz .LBB2202_69
; %bb.68:
	v_lshlrev_b32_e32 v1, 3, v21
	ds_write_b32 v1, v3
	ds_write_b8 v1, v4 offset:4
.LBB2202_69:
	s_or_b32 exec_lo, exec_lo, s4
	s_mov_b32 s4, exec_lo
	s_waitcnt lgkmcnt(0)
	s_barrier
	buffer_gl0_inv
	v_cmpx_gt_u32_e32 8, v0
	s_cbranch_execz .LBB2202_75
; %bb.70:
	ds_read_b64 v[1:2], v19
	v_and_b32_e32 v7, 7, v20
	s_mov_b32 s5, exec_lo
	s_waitcnt lgkmcnt(0)
	v_and_b32_e32 v8, 0xffffff00, v2
	v_mov_b32_dpp v14, v1 row_shr:1 row_mask:0xf bank_mask:0xf
	v_mov_b32_dpp v15, v2 row_shr:1 row_mask:0xf bank_mask:0xf
	v_mov_b32_e32 v12, v2
	v_cmpx_ne_u32_e32 0, v7
	s_cbranch_execz .LBB2202_72
; %bb.71:
	v_mov_b32_e32 v12, 0
	v_and_b32_e32 v16, 1, v2
	v_and_b32_e32 v15, 1, v15
	v_cmp_eq_u16_sdwa s3, v2, v12 src0_sel:BYTE_0 src1_sel:DWORD
	v_cndmask_b32_e64 v2, 0, v14, s3
	v_cmp_eq_u32_e64 s3, 1, v16
	v_add_nc_u32_e32 v1, v2, v1
	v_cndmask_b32_e64 v14, v15, 1, s3
	v_or_b32_sdwa v12, v8, v14 dst_sel:DWORD dst_unused:UNUSED_PAD src0_sel:DWORD src1_sel:WORD_0
	v_mov_b32_e32 v2, v14
.LBB2202_72:
	s_or_b32 exec_lo, exec_lo, s5
	v_mov_b32_dpp v14, v1 row_shr:2 row_mask:0xf bank_mask:0xf
	v_mov_b32_dpp v15, v12 row_shr:2 row_mask:0xf bank_mask:0xf
	s_mov_b32 s5, exec_lo
	v_cmpx_lt_u32_e32 1, v7
	s_cbranch_execz .LBB2202_74
; %bb.73:
	v_mov_b32_e32 v12, 0
	v_and_b32_e32 v16, 1, v2
	v_and_b32_e32 v15, 1, v15
	v_cmp_eq_u16_sdwa s3, v2, v12 src0_sel:BYTE_0 src1_sel:DWORD
	v_cndmask_b32_e64 v2, 0, v14, s3
	v_cmp_eq_u32_e64 s3, 1, v16
	v_add_nc_u32_e32 v1, v2, v1
	v_cndmask_b32_e64 v14, v15, 1, s3
	v_or_b32_sdwa v12, v8, v14 dst_sel:DWORD dst_unused:UNUSED_PAD src0_sel:DWORD src1_sel:WORD_0
	v_mov_b32_e32 v2, v14
.LBB2202_74:
	s_or_b32 exec_lo, exec_lo, s5
	v_mov_b32_dpp v8, v12 row_shr:4 row_mask:0xf bank_mask:0xf
	v_and_b32_e32 v14, 1, v2
	v_mov_b32_e32 v12, 0
	v_and_b32_e32 v8, 1, v8
	v_cmp_eq_u32_e64 s3, 1, v14
	v_cmp_eq_u16_sdwa s5, v2, v12 src0_sel:BYTE_0 src1_sel:DWORD
	v_cndmask_b32_e64 v8, v8, 1, s3
	v_cmp_lt_u32_e64 s3, 3, v7
	v_mov_b32_dpp v7, v1 row_shr:4 row_mask:0xf bank_mask:0xf
	v_cndmask_b32_e64 v2, v2, v8, s3
	s_and_b32 s3, s3, s5
	v_cndmask_b32_e64 v7, 0, v7, s3
	v_add_nc_u32_e32 v1, v7, v1
	ds_write_b32 v19, v1
	ds_write_b8 v19, v2 offset:4
.LBB2202_75:
	s_or_b32 exec_lo, exec_lo, s4
	v_mov_b32_e32 v1, 0
	s_mov_b32 s4, exec_lo
	s_waitcnt lgkmcnt(0)
	s_barrier
	buffer_gl0_inv
	v_cmpx_lt_u32_e32 31, v0
	s_cbranch_execz .LBB2202_77
; %bb.76:
	v_lshl_add_u32 v1, v21, 3, -8
	v_cmp_eq_u32_e64 s3, 0, v4
	ds_read_b32 v1, v1
	s_waitcnt lgkmcnt(0)
	v_cndmask_b32_e64 v2, 0, v1, s3
	v_add_nc_u32_e32 v3, v2, v3
.LBB2202_77:
	s_or_b32 exec_lo, exec_lo, s4
	v_add_nc_u32_e32 v2, -1, v20
	s_mov_b32 s4, 0
	v_cmp_gt_i32_e64 s3, 0, v2
	v_cndmask_b32_e64 v2, v2, v20, s3
	v_lshlrev_b32_e32 v2, 2, v2
	ds_bpermute_b32 v2, v2, v3
	s_and_saveexec_b32 s3, s0
	s_cbranch_execz .LBB2202_79
; %bb.78:
	v_cmp_eq_u32_e64 s0, 0, v20
	s_mov_b32 s5, 1
	;;#ASMSTART
	;;#ASMEND
	s_waitcnt lgkmcnt(0)
	v_cndmask_b32_e64 v1, v2, v1, s0
	v_cmp_gt_u64_e64 s0, s[4:5], v[9:10]
	v_cndmask_b32_e64 v1, 0, v1, s0
	v_add_nc_u32_e32 v9, v1, v9
	v_cndmask_b32_e64 v1, 0, v9, s1
	v_add_nc_u32_e32 v5, v1, v11
	;; [unrolled: 2-line block ×3, first 2 shown]
.LBB2202_79:
	s_or_b32 exec_lo, exec_lo, s3
	s_and_saveexec_b32 s0, vcc_lo
	s_cbranch_execz .LBB2202_81
; %bb.80:
	v_mov_b32_e32 v4, 0
	s_add_u32 s2, s24, 0x200
	s_addc_u32 s3, s25, 0
	v_mov_b32_e32 v3, 2
	v_mov_b32_e32 v8, s3
	ds_read_b32 v1, v4 offset:56
	s_waitcnt lgkmcnt(1)
	ds_read_u8 v2, v4 offset:60
	v_mov_b32_e32 v7, s2
	s_waitcnt lgkmcnt(0)
	;;#ASMSTART
	global_store_dwordx4 v[7:8], v[1:4] off	
s_waitcnt vmcnt(0)
	;;#ASMEND
.LBB2202_81:
	s_or_b32 exec_lo, exec_lo, s0
	v_mov_b32_e32 v7, v9
.LBB2202_82:
	s_add_u32 s0, s14, s10
	v_mov_b32_e32 v3, 0
	s_addc_u32 s1, s15, s11
	s_add_u32 s0, s0, s8
	s_addc_u32 s1, s1, s9
	s_and_b32 vcc_lo, exec_lo, s7
	s_cbranch_vccz .LBB2202_94
; %bb.83:
	v_mul_u32_u24_e32 v1, 3, v0
	v_mov_b32_e32 v4, 0
	s_waitcnt lgkmcnt(0)
	v_mov_b32_e32 v2, 0
	s_add_i32 s20, s20, s26
	s_mov_b32 s2, exec_lo
	v_cmpx_gt_u32_e64 s20, v1
	s_cbranch_execz .LBB2202_89
; %bb.84:
	v_add_nc_u32_e32 v3, 1, v1
	v_mov_b32_e32 v2, 0
	v_mov_b32_e32 v4, 0
	s_mov_b32 s3, exec_lo
	v_cmpx_gt_u32_e64 s20, v3
	s_cbranch_execz .LBB2202_88
; %bb.85:
	v_add_nc_u32_e32 v2, 2, v1
	v_cmp_gt_u32_e32 vcc_lo, s20, v2
	v_mov_b32_e32 v2, 0
	s_and_saveexec_b32 s4, vcc_lo
; %bb.86:
	v_mov_b32_e32 v2, v6
; %bb.87:
	s_or_b32 exec_lo, exec_lo, s4
	v_mov_b32_e32 v4, v5
.LBB2202_88:
	s_or_b32 exec_lo, exec_lo, s3
	v_mov_b32_e32 v3, v7
.LBB2202_89:
	s_or_b32 exec_lo, exec_lo, s2
	v_lshlrev_b32_e32 v8, 2, v1
	s_barrier
	buffer_gl0_inv
	v_sub_nc_u32_e32 v1, v8, v19
	ds_write2_b32 v8, v3, v4 offset1:1
	ds_write_b32 v8, v2 offset:8
	s_waitcnt lgkmcnt(0)
	s_barrier
	buffer_gl0_inv
	ds_read2st64_b32 v[1:2], v1 offset0:4 offset1:8
	v_add_co_u32 v3, s2, s0, v18
	v_add_co_ci_u32_e64 v4, null, s1, 0, s2
	s_mov_b32 s2, exec_lo
	v_cmpx_gt_u32_e64 s20, v0
	s_cbranch_execz .LBB2202_91
; %bb.90:
	v_sub_nc_u32_e32 v9, 0, v19
	v_add_nc_u32_e32 v8, v8, v9
	ds_read_b32 v8, v8
	s_waitcnt lgkmcnt(0)
	flat_store_dword v[3:4], v8
.LBB2202_91:
	s_or_b32 exec_lo, exec_lo, s2
	v_or_b32_e32 v8, 0x100, v0
	s_mov_b32 s2, exec_lo
	v_cmpx_gt_u32_e64 s20, v8
	s_cbranch_execz .LBB2202_93
; %bb.92:
	s_waitcnt lgkmcnt(0)
	flat_store_dword v[3:4], v1 offset:1024
.LBB2202_93:
	s_or_b32 exec_lo, exec_lo, s2
	s_waitcnt lgkmcnt(0)
	v_or_b32_e32 v1, 0x200, v0
	v_cmp_gt_u32_e64 s2, s20, v1
	s_branch .LBB2202_96
.LBB2202_94:
	s_mov_b32 s2, 0
                                        ; implicit-def: $vgpr2
	s_cbranch_execz .LBB2202_96
; %bb.95:
	v_mul_u32_u24_e32 v1, 12, v0
	s_waitcnt lgkmcnt(0)
	s_waitcnt_vscnt null, 0x0
	s_barrier
	buffer_gl0_inv
	s_or_b32 s2, s2, exec_lo
	v_sub_nc_u32_e32 v2, v1, v19
	ds_write2_b32 v1, v7, v5 offset1:1
	ds_write_b32 v1, v6 offset:8
	s_waitcnt lgkmcnt(0)
	s_barrier
	buffer_gl0_inv
	ds_read2st64_b32 v[3:4], v2 offset1:4
	ds_read_b32 v2, v2 offset:2048
	v_add_co_u32 v5, s3, s0, v18
	v_add_co_ci_u32_e64 v6, null, s1, 0, s3
	s_waitcnt lgkmcnt(1)
	flat_store_dword v[5:6], v3
	flat_store_dword v[5:6], v4 offset:1024
.LBB2202_96:
	s_and_saveexec_b32 s3, s2
	s_cbranch_execnz .LBB2202_98
; %bb.97:
	s_endpgm
.LBB2202_98:
	v_lshlrev_b32_e32 v0, 2, v0
	v_add_co_u32 v0, s0, s0, v0
	v_add_co_ci_u32_e64 v1, null, s1, 0, s0
	v_add_co_u32 v0, vcc_lo, 0x800, v0
	v_add_co_ci_u32_e64 v1, null, 0, v1, vcc_lo
	s_waitcnt lgkmcnt(0)
	flat_store_dword v[0:1], v2
	s_endpgm
.LBB2202_99:
	v_add_co_u32 v2, s0, s3, v9
	v_add_co_ci_u32_e64 v3, null, s21, 0, s0
	v_mov_b32_e32 v11, v1
	v_mov_b32_e32 v12, v1
	flat_load_dword v10, v[2:3]
	s_waitcnt vmcnt(0) lgkmcnt(0)
	v_mov_b32_e32 v1, v10
	v_mov_b32_e32 v2, v11
	;; [unrolled: 1-line block ×3, first 2 shown]
	s_or_b32 exec_lo, exec_lo, s16
	s_and_saveexec_b32 s0, s1
	s_cbranch_execz .LBB2202_15
.LBB2202_100:
	v_add_co_u32 v10, s1, s3, v9
	v_add_co_ci_u32_e64 v11, null, s21, 0, s1
	flat_load_dword v2, v[10:11] offset:1024
	s_or_b32 exec_lo, exec_lo, s0
	s_and_saveexec_b32 s0, s2
	s_cbranch_execnz .LBB2202_16
	s_branch .LBB2202_17
.LBB2202_101:
                                        ; implicit-def: $sgpr16_sgpr17
	s_branch .LBB2202_10
.LBB2202_102:
                                        ; implicit-def: $sgpr0_sgpr1
	s_branch .LBB2202_26
	.section	.rodata,"a",@progbits
	.p2align	6, 0x0
	.amdhsa_kernel _ZN7rocprim17ROCPRIM_400000_NS6detail17trampoline_kernelINS0_14default_configENS1_27scan_by_key_config_selectorIiiEEZZNS1_16scan_by_key_implILNS1_25lookback_scan_determinismE0ELb0ES3_N6thrust23THRUST_200600_302600_NS10device_ptrIiEESB_SB_iNS9_4plusIvEENS9_8equal_toIvEEiEE10hipError_tPvRmT2_T3_T4_T5_mT6_T7_P12ihipStream_tbENKUlT_T0_E_clISt17integral_constantIbLb0EESW_EEDaSR_SS_EUlSR_E_NS1_11comp_targetILNS1_3genE8ELNS1_11target_archE1030ELNS1_3gpuE2ELNS1_3repE0EEENS1_30default_config_static_selectorELNS0_4arch9wavefront6targetE0EEEvT1_
		.amdhsa_group_segment_fixed_size 5120
		.amdhsa_private_segment_fixed_size 0
		.amdhsa_kernarg_size 112
		.amdhsa_user_sgpr_count 6
		.amdhsa_user_sgpr_private_segment_buffer 1
		.amdhsa_user_sgpr_dispatch_ptr 0
		.amdhsa_user_sgpr_queue_ptr 0
		.amdhsa_user_sgpr_kernarg_segment_ptr 1
		.amdhsa_user_sgpr_dispatch_id 0
		.amdhsa_user_sgpr_flat_scratch_init 0
		.amdhsa_user_sgpr_private_segment_size 0
		.amdhsa_wavefront_size32 1
		.amdhsa_uses_dynamic_stack 0
		.amdhsa_system_sgpr_private_segment_wavefront_offset 0
		.amdhsa_system_sgpr_workgroup_id_x 1
		.amdhsa_system_sgpr_workgroup_id_y 0
		.amdhsa_system_sgpr_workgroup_id_z 0
		.amdhsa_system_sgpr_workgroup_info 0
		.amdhsa_system_vgpr_workitem_id 0
		.amdhsa_next_free_vgpr 42
		.amdhsa_next_free_sgpr 31
		.amdhsa_reserve_vcc 1
		.amdhsa_reserve_flat_scratch 1
		.amdhsa_float_round_mode_32 0
		.amdhsa_float_round_mode_16_64 0
		.amdhsa_float_denorm_mode_32 3
		.amdhsa_float_denorm_mode_16_64 3
		.amdhsa_dx10_clamp 1
		.amdhsa_ieee_mode 1
		.amdhsa_fp16_overflow 0
		.amdhsa_workgroup_processor_mode 1
		.amdhsa_memory_ordered 1
		.amdhsa_forward_progress 1
		.amdhsa_shared_vgpr_count 0
		.amdhsa_exception_fp_ieee_invalid_op 0
		.amdhsa_exception_fp_denorm_src 0
		.amdhsa_exception_fp_ieee_div_zero 0
		.amdhsa_exception_fp_ieee_overflow 0
		.amdhsa_exception_fp_ieee_underflow 0
		.amdhsa_exception_fp_ieee_inexact 0
		.amdhsa_exception_int_div_zero 0
	.end_amdhsa_kernel
	.section	.text._ZN7rocprim17ROCPRIM_400000_NS6detail17trampoline_kernelINS0_14default_configENS1_27scan_by_key_config_selectorIiiEEZZNS1_16scan_by_key_implILNS1_25lookback_scan_determinismE0ELb0ES3_N6thrust23THRUST_200600_302600_NS10device_ptrIiEESB_SB_iNS9_4plusIvEENS9_8equal_toIvEEiEE10hipError_tPvRmT2_T3_T4_T5_mT6_T7_P12ihipStream_tbENKUlT_T0_E_clISt17integral_constantIbLb0EESW_EEDaSR_SS_EUlSR_E_NS1_11comp_targetILNS1_3genE8ELNS1_11target_archE1030ELNS1_3gpuE2ELNS1_3repE0EEENS1_30default_config_static_selectorELNS0_4arch9wavefront6targetE0EEEvT1_,"axG",@progbits,_ZN7rocprim17ROCPRIM_400000_NS6detail17trampoline_kernelINS0_14default_configENS1_27scan_by_key_config_selectorIiiEEZZNS1_16scan_by_key_implILNS1_25lookback_scan_determinismE0ELb0ES3_N6thrust23THRUST_200600_302600_NS10device_ptrIiEESB_SB_iNS9_4plusIvEENS9_8equal_toIvEEiEE10hipError_tPvRmT2_T3_T4_T5_mT6_T7_P12ihipStream_tbENKUlT_T0_E_clISt17integral_constantIbLb0EESW_EEDaSR_SS_EUlSR_E_NS1_11comp_targetILNS1_3genE8ELNS1_11target_archE1030ELNS1_3gpuE2ELNS1_3repE0EEENS1_30default_config_static_selectorELNS0_4arch9wavefront6targetE0EEEvT1_,comdat
.Lfunc_end2202:
	.size	_ZN7rocprim17ROCPRIM_400000_NS6detail17trampoline_kernelINS0_14default_configENS1_27scan_by_key_config_selectorIiiEEZZNS1_16scan_by_key_implILNS1_25lookback_scan_determinismE0ELb0ES3_N6thrust23THRUST_200600_302600_NS10device_ptrIiEESB_SB_iNS9_4plusIvEENS9_8equal_toIvEEiEE10hipError_tPvRmT2_T3_T4_T5_mT6_T7_P12ihipStream_tbENKUlT_T0_E_clISt17integral_constantIbLb0EESW_EEDaSR_SS_EUlSR_E_NS1_11comp_targetILNS1_3genE8ELNS1_11target_archE1030ELNS1_3gpuE2ELNS1_3repE0EEENS1_30default_config_static_selectorELNS0_4arch9wavefront6targetE0EEEvT1_, .Lfunc_end2202-_ZN7rocprim17ROCPRIM_400000_NS6detail17trampoline_kernelINS0_14default_configENS1_27scan_by_key_config_selectorIiiEEZZNS1_16scan_by_key_implILNS1_25lookback_scan_determinismE0ELb0ES3_N6thrust23THRUST_200600_302600_NS10device_ptrIiEESB_SB_iNS9_4plusIvEENS9_8equal_toIvEEiEE10hipError_tPvRmT2_T3_T4_T5_mT6_T7_P12ihipStream_tbENKUlT_T0_E_clISt17integral_constantIbLb0EESW_EEDaSR_SS_EUlSR_E_NS1_11comp_targetILNS1_3genE8ELNS1_11target_archE1030ELNS1_3gpuE2ELNS1_3repE0EEENS1_30default_config_static_selectorELNS0_4arch9wavefront6targetE0EEEvT1_
                                        ; -- End function
	.set _ZN7rocprim17ROCPRIM_400000_NS6detail17trampoline_kernelINS0_14default_configENS1_27scan_by_key_config_selectorIiiEEZZNS1_16scan_by_key_implILNS1_25lookback_scan_determinismE0ELb0ES3_N6thrust23THRUST_200600_302600_NS10device_ptrIiEESB_SB_iNS9_4plusIvEENS9_8equal_toIvEEiEE10hipError_tPvRmT2_T3_T4_T5_mT6_T7_P12ihipStream_tbENKUlT_T0_E_clISt17integral_constantIbLb0EESW_EEDaSR_SS_EUlSR_E_NS1_11comp_targetILNS1_3genE8ELNS1_11target_archE1030ELNS1_3gpuE2ELNS1_3repE0EEENS1_30default_config_static_selectorELNS0_4arch9wavefront6targetE0EEEvT1_.num_vgpr, 42
	.set _ZN7rocprim17ROCPRIM_400000_NS6detail17trampoline_kernelINS0_14default_configENS1_27scan_by_key_config_selectorIiiEEZZNS1_16scan_by_key_implILNS1_25lookback_scan_determinismE0ELb0ES3_N6thrust23THRUST_200600_302600_NS10device_ptrIiEESB_SB_iNS9_4plusIvEENS9_8equal_toIvEEiEE10hipError_tPvRmT2_T3_T4_T5_mT6_T7_P12ihipStream_tbENKUlT_T0_E_clISt17integral_constantIbLb0EESW_EEDaSR_SS_EUlSR_E_NS1_11comp_targetILNS1_3genE8ELNS1_11target_archE1030ELNS1_3gpuE2ELNS1_3repE0EEENS1_30default_config_static_selectorELNS0_4arch9wavefront6targetE0EEEvT1_.num_agpr, 0
	.set _ZN7rocprim17ROCPRIM_400000_NS6detail17trampoline_kernelINS0_14default_configENS1_27scan_by_key_config_selectorIiiEEZZNS1_16scan_by_key_implILNS1_25lookback_scan_determinismE0ELb0ES3_N6thrust23THRUST_200600_302600_NS10device_ptrIiEESB_SB_iNS9_4plusIvEENS9_8equal_toIvEEiEE10hipError_tPvRmT2_T3_T4_T5_mT6_T7_P12ihipStream_tbENKUlT_T0_E_clISt17integral_constantIbLb0EESW_EEDaSR_SS_EUlSR_E_NS1_11comp_targetILNS1_3genE8ELNS1_11target_archE1030ELNS1_3gpuE2ELNS1_3repE0EEENS1_30default_config_static_selectorELNS0_4arch9wavefront6targetE0EEEvT1_.numbered_sgpr, 31
	.set _ZN7rocprim17ROCPRIM_400000_NS6detail17trampoline_kernelINS0_14default_configENS1_27scan_by_key_config_selectorIiiEEZZNS1_16scan_by_key_implILNS1_25lookback_scan_determinismE0ELb0ES3_N6thrust23THRUST_200600_302600_NS10device_ptrIiEESB_SB_iNS9_4plusIvEENS9_8equal_toIvEEiEE10hipError_tPvRmT2_T3_T4_T5_mT6_T7_P12ihipStream_tbENKUlT_T0_E_clISt17integral_constantIbLb0EESW_EEDaSR_SS_EUlSR_E_NS1_11comp_targetILNS1_3genE8ELNS1_11target_archE1030ELNS1_3gpuE2ELNS1_3repE0EEENS1_30default_config_static_selectorELNS0_4arch9wavefront6targetE0EEEvT1_.num_named_barrier, 0
	.set _ZN7rocprim17ROCPRIM_400000_NS6detail17trampoline_kernelINS0_14default_configENS1_27scan_by_key_config_selectorIiiEEZZNS1_16scan_by_key_implILNS1_25lookback_scan_determinismE0ELb0ES3_N6thrust23THRUST_200600_302600_NS10device_ptrIiEESB_SB_iNS9_4plusIvEENS9_8equal_toIvEEiEE10hipError_tPvRmT2_T3_T4_T5_mT6_T7_P12ihipStream_tbENKUlT_T0_E_clISt17integral_constantIbLb0EESW_EEDaSR_SS_EUlSR_E_NS1_11comp_targetILNS1_3genE8ELNS1_11target_archE1030ELNS1_3gpuE2ELNS1_3repE0EEENS1_30default_config_static_selectorELNS0_4arch9wavefront6targetE0EEEvT1_.private_seg_size, 0
	.set _ZN7rocprim17ROCPRIM_400000_NS6detail17trampoline_kernelINS0_14default_configENS1_27scan_by_key_config_selectorIiiEEZZNS1_16scan_by_key_implILNS1_25lookback_scan_determinismE0ELb0ES3_N6thrust23THRUST_200600_302600_NS10device_ptrIiEESB_SB_iNS9_4plusIvEENS9_8equal_toIvEEiEE10hipError_tPvRmT2_T3_T4_T5_mT6_T7_P12ihipStream_tbENKUlT_T0_E_clISt17integral_constantIbLb0EESW_EEDaSR_SS_EUlSR_E_NS1_11comp_targetILNS1_3genE8ELNS1_11target_archE1030ELNS1_3gpuE2ELNS1_3repE0EEENS1_30default_config_static_selectorELNS0_4arch9wavefront6targetE0EEEvT1_.uses_vcc, 1
	.set _ZN7rocprim17ROCPRIM_400000_NS6detail17trampoline_kernelINS0_14default_configENS1_27scan_by_key_config_selectorIiiEEZZNS1_16scan_by_key_implILNS1_25lookback_scan_determinismE0ELb0ES3_N6thrust23THRUST_200600_302600_NS10device_ptrIiEESB_SB_iNS9_4plusIvEENS9_8equal_toIvEEiEE10hipError_tPvRmT2_T3_T4_T5_mT6_T7_P12ihipStream_tbENKUlT_T0_E_clISt17integral_constantIbLb0EESW_EEDaSR_SS_EUlSR_E_NS1_11comp_targetILNS1_3genE8ELNS1_11target_archE1030ELNS1_3gpuE2ELNS1_3repE0EEENS1_30default_config_static_selectorELNS0_4arch9wavefront6targetE0EEEvT1_.uses_flat_scratch, 1
	.set _ZN7rocprim17ROCPRIM_400000_NS6detail17trampoline_kernelINS0_14default_configENS1_27scan_by_key_config_selectorIiiEEZZNS1_16scan_by_key_implILNS1_25lookback_scan_determinismE0ELb0ES3_N6thrust23THRUST_200600_302600_NS10device_ptrIiEESB_SB_iNS9_4plusIvEENS9_8equal_toIvEEiEE10hipError_tPvRmT2_T3_T4_T5_mT6_T7_P12ihipStream_tbENKUlT_T0_E_clISt17integral_constantIbLb0EESW_EEDaSR_SS_EUlSR_E_NS1_11comp_targetILNS1_3genE8ELNS1_11target_archE1030ELNS1_3gpuE2ELNS1_3repE0EEENS1_30default_config_static_selectorELNS0_4arch9wavefront6targetE0EEEvT1_.has_dyn_sized_stack, 0
	.set _ZN7rocprim17ROCPRIM_400000_NS6detail17trampoline_kernelINS0_14default_configENS1_27scan_by_key_config_selectorIiiEEZZNS1_16scan_by_key_implILNS1_25lookback_scan_determinismE0ELb0ES3_N6thrust23THRUST_200600_302600_NS10device_ptrIiEESB_SB_iNS9_4plusIvEENS9_8equal_toIvEEiEE10hipError_tPvRmT2_T3_T4_T5_mT6_T7_P12ihipStream_tbENKUlT_T0_E_clISt17integral_constantIbLb0EESW_EEDaSR_SS_EUlSR_E_NS1_11comp_targetILNS1_3genE8ELNS1_11target_archE1030ELNS1_3gpuE2ELNS1_3repE0EEENS1_30default_config_static_selectorELNS0_4arch9wavefront6targetE0EEEvT1_.has_recursion, 0
	.set _ZN7rocprim17ROCPRIM_400000_NS6detail17trampoline_kernelINS0_14default_configENS1_27scan_by_key_config_selectorIiiEEZZNS1_16scan_by_key_implILNS1_25lookback_scan_determinismE0ELb0ES3_N6thrust23THRUST_200600_302600_NS10device_ptrIiEESB_SB_iNS9_4plusIvEENS9_8equal_toIvEEiEE10hipError_tPvRmT2_T3_T4_T5_mT6_T7_P12ihipStream_tbENKUlT_T0_E_clISt17integral_constantIbLb0EESW_EEDaSR_SS_EUlSR_E_NS1_11comp_targetILNS1_3genE8ELNS1_11target_archE1030ELNS1_3gpuE2ELNS1_3repE0EEENS1_30default_config_static_selectorELNS0_4arch9wavefront6targetE0EEEvT1_.has_indirect_call, 0
	.section	.AMDGPU.csdata,"",@progbits
; Kernel info:
; codeLenInByte = 6228
; TotalNumSgprs: 33
; NumVgprs: 42
; ScratchSize: 0
; MemoryBound: 0
; FloatMode: 240
; IeeeMode: 1
; LDSByteSize: 5120 bytes/workgroup (compile time only)
; SGPRBlocks: 0
; VGPRBlocks: 5
; NumSGPRsForWavesPerEU: 33
; NumVGPRsForWavesPerEU: 42
; Occupancy: 16
; WaveLimiterHint : 1
; COMPUTE_PGM_RSRC2:SCRATCH_EN: 0
; COMPUTE_PGM_RSRC2:USER_SGPR: 6
; COMPUTE_PGM_RSRC2:TRAP_HANDLER: 0
; COMPUTE_PGM_RSRC2:TGID_X_EN: 1
; COMPUTE_PGM_RSRC2:TGID_Y_EN: 0
; COMPUTE_PGM_RSRC2:TGID_Z_EN: 0
; COMPUTE_PGM_RSRC2:TIDIG_COMP_CNT: 0
	.section	.text._ZN7rocprim17ROCPRIM_400000_NS6detail30init_device_scan_by_key_kernelINS1_19lookback_scan_stateINS0_5tupleIJibEEELb1ELb1EEEN6thrust23THRUST_200600_302600_NS10device_ptrIiEEjNS1_16block_id_wrapperIjLb1EEEEEvT_jjPNSD_10value_typeET0_PNSt15iterator_traitsISG_E10value_typeEmT1_T2_,"axG",@progbits,_ZN7rocprim17ROCPRIM_400000_NS6detail30init_device_scan_by_key_kernelINS1_19lookback_scan_stateINS0_5tupleIJibEEELb1ELb1EEEN6thrust23THRUST_200600_302600_NS10device_ptrIiEEjNS1_16block_id_wrapperIjLb1EEEEEvT_jjPNSD_10value_typeET0_PNSt15iterator_traitsISG_E10value_typeEmT1_T2_,comdat
	.protected	_ZN7rocprim17ROCPRIM_400000_NS6detail30init_device_scan_by_key_kernelINS1_19lookback_scan_stateINS0_5tupleIJibEEELb1ELb1EEEN6thrust23THRUST_200600_302600_NS10device_ptrIiEEjNS1_16block_id_wrapperIjLb1EEEEEvT_jjPNSD_10value_typeET0_PNSt15iterator_traitsISG_E10value_typeEmT1_T2_ ; -- Begin function _ZN7rocprim17ROCPRIM_400000_NS6detail30init_device_scan_by_key_kernelINS1_19lookback_scan_stateINS0_5tupleIJibEEELb1ELb1EEEN6thrust23THRUST_200600_302600_NS10device_ptrIiEEjNS1_16block_id_wrapperIjLb1EEEEEvT_jjPNSD_10value_typeET0_PNSt15iterator_traitsISG_E10value_typeEmT1_T2_
	.globl	_ZN7rocprim17ROCPRIM_400000_NS6detail30init_device_scan_by_key_kernelINS1_19lookback_scan_stateINS0_5tupleIJibEEELb1ELb1EEEN6thrust23THRUST_200600_302600_NS10device_ptrIiEEjNS1_16block_id_wrapperIjLb1EEEEEvT_jjPNSD_10value_typeET0_PNSt15iterator_traitsISG_E10value_typeEmT1_T2_
	.p2align	8
	.type	_ZN7rocprim17ROCPRIM_400000_NS6detail30init_device_scan_by_key_kernelINS1_19lookback_scan_stateINS0_5tupleIJibEEELb1ELb1EEEN6thrust23THRUST_200600_302600_NS10device_ptrIiEEjNS1_16block_id_wrapperIjLb1EEEEEvT_jjPNSD_10value_typeET0_PNSt15iterator_traitsISG_E10value_typeEmT1_T2_,@function
_ZN7rocprim17ROCPRIM_400000_NS6detail30init_device_scan_by_key_kernelINS1_19lookback_scan_stateINS0_5tupleIJibEEELb1ELb1EEEN6thrust23THRUST_200600_302600_NS10device_ptrIiEEjNS1_16block_id_wrapperIjLb1EEEEEvT_jjPNSD_10value_typeET0_PNSt15iterator_traitsISG_E10value_typeEmT1_T2_: ; @_ZN7rocprim17ROCPRIM_400000_NS6detail30init_device_scan_by_key_kernelINS1_19lookback_scan_stateINS0_5tupleIJibEEELb1ELb1EEEN6thrust23THRUST_200600_302600_NS10device_ptrIiEEjNS1_16block_id_wrapperIjLb1EEEEEvT_jjPNSD_10value_typeET0_PNSt15iterator_traitsISG_E10value_typeEmT1_T2_
; %bb.0:
	s_clause 0x2
	s_load_dword s0, s[4:5], 0x4c
	s_load_dwordx8 s[8:15], s[4:5], 0x0
	s_load_dword s7, s[4:5], 0x40
	s_waitcnt lgkmcnt(0)
	s_and_b32 s16, s0, 0xffff
	s_cmp_eq_u64 s[12:13], 0
	v_mad_u64_u32 v[4:5], null, s6, s16, v[0:1]
	s_cbranch_scc1 .LBB2203_10
; %bb.1:
	s_cmp_lt_u32 s11, s10
	s_mov_b32 s1, 0
	s_cselect_b32 s0, s11, 0
	s_mov_b32 s2, exec_lo
	v_cmpx_eq_u32_e64 s0, v4
	s_cbranch_execz .LBB2203_9
; %bb.2:
	s_add_i32 s0, s11, 32
	v_mov_b32_e32 v6, 0
	s_lshl_b64 s[0:1], s[0:1], 4
	s_mov_b32 s3, exec_lo
	s_add_u32 s0, s8, s0
	s_addc_u32 s1, s9, s1
	v_mov_b32_e32 v0, s0
	v_mov_b32_e32 v1, s1
	;;#ASMSTART
	global_load_dwordx4 v[0:3], v[0:1] off glc dlc	
s_waitcnt vmcnt(0)
	;;#ASMEND
	v_and_b32_e32 v5, 0xff, v2
	v_cmpx_eq_u64_e32 0, v[5:6]
	s_cbranch_execz .LBB2203_8
; %bb.3:
	v_mov_b32_e32 v8, s1
	v_mov_b32_e32 v7, s0
	s_mov_b32 s1, 1
	s_mov_b32 s0, 0
	.p2align	6
.LBB2203_4:                             ; =>This Loop Header: Depth=1
                                        ;     Child Loop BB2203_5 Depth 2
	s_mov_b32 s6, s1
.LBB2203_5:                             ;   Parent Loop BB2203_4 Depth=1
                                        ; =>  This Inner Loop Header: Depth=2
	s_add_i32 s6, s6, -1
	s_sleep 1
	s_cmp_eq_u32 s6, 0
	s_cbranch_scc0 .LBB2203_5
; %bb.6:                                ;   in Loop: Header=BB2203_4 Depth=1
	;;#ASMSTART
	global_load_dwordx4 v[0:3], v[7:8] off glc dlc	
s_waitcnt vmcnt(0)
	;;#ASMEND
	v_and_b32_e32 v5, 0xff, v2
	s_cmp_lt_u32 s1, 32
	s_cselect_b32 s6, -1, 0
	v_cmp_ne_u64_e32 vcc_lo, 0, v[5:6]
	s_cmp_lg_u32 s6, 0
	s_addc_u32 s1, s1, 0
	s_or_b32 s0, vcc_lo, s0
	s_andn2_b32 exec_lo, exec_lo, s0
	s_cbranch_execnz .LBB2203_4
; %bb.7:
	s_or_b32 exec_lo, exec_lo, s0
.LBB2203_8:
	s_or_b32 exec_lo, exec_lo, s3
	v_mov_b32_e32 v2, 0
	global_store_dword v2, v0, s[12:13]
	global_store_byte v2, v1, s[12:13] offset:4
.LBB2203_9:
	s_or_b32 exec_lo, exec_lo, s2
.LBB2203_10:
	s_mov_b32 s0, exec_lo
	v_cmpx_eq_u32_e32 0, v4
	s_cbranch_execz .LBB2203_12
; %bb.11:
	s_load_dwordx2 s[2:3], s[4:5], 0x38
	v_mov_b32_e32 v0, 0
	s_waitcnt lgkmcnt(0)
	global_store_dword v0, v0, s[2:3]
.LBB2203_12:
	s_or_b32 exec_lo, exec_lo, s0
	s_mov_b32 s0, exec_lo
	v_cmpx_gt_u32_e64 s10, v4
	s_cbranch_execz .LBB2203_14
; %bb.13:
	v_add_nc_u32_e32 v0, 32, v4
	v_mov_b32_e32 v1, 0
	v_lshlrev_b64 v[5:6], 4, v[0:1]
	v_mov_b32_e32 v0, v1
	v_mov_b32_e32 v2, v1
	;; [unrolled: 1-line block ×3, first 2 shown]
	v_add_co_u32 v5, vcc_lo, s8, v5
	v_add_co_ci_u32_e64 v6, null, s9, v6, vcc_lo
	global_store_dwordx4 v[5:6], v[0:3], off
.LBB2203_14:
	s_or_b32 exec_lo, exec_lo, s0
	v_mov_b32_e32 v5, 0
	s_mov_b32 s0, exec_lo
	v_cmpx_gt_u32_e32 32, v4
	s_cbranch_execz .LBB2203_16
; %bb.15:
	v_lshlrev_b64 v[6:7], 4, v[4:5]
	v_mov_b32_e32 v2, 0xff
	v_mov_b32_e32 v0, v5
	;; [unrolled: 1-line block ×4, first 2 shown]
	v_add_co_u32 v6, vcc_lo, s8, v6
	v_add_co_ci_u32_e64 v7, null, s9, v7, vcc_lo
	global_store_dwordx4 v[6:7], v[0:3], off
.LBB2203_16:
	s_or_b32 exec_lo, exec_lo, s0
	s_load_dwordx2 s[2:3], s[4:5], 0x28
	s_mov_b32 s0, exec_lo
	s_waitcnt lgkmcnt(0)
	v_cmpx_gt_u64_e64 s[2:3], v[4:5]
	s_cbranch_execz .LBB2203_19
; %bb.17:
	s_clause 0x1
	s_load_dword s6, s[4:5], 0x30
	s_load_dwordx2 s[8:9], s[4:5], 0x20
	s_mov_b32 s1, 0
	v_lshlrev_b64 v[2:3], 2, v[4:5]
	s_mul_i32 s4, s7, s16
	s_waitcnt lgkmcnt(0)
	v_mad_u64_u32 v[0:1], null, s6, v4, 0
	s_add_i32 s0, s6, -1
	s_mul_hi_u32 s7, s6, s4
	s_lshl_b64 s[10:11], s[0:1], 2
	s_mul_i32 s6, s6, s4
	s_add_u32 s0, s14, s10
	s_addc_u32 s5, s15, s11
	v_lshlrev_b64 v[0:1], 2, v[0:1]
	s_lshl_b64 s[6:7], s[6:7], 2
	v_add_co_u32 v0, vcc_lo, s0, v0
	v_add_co_ci_u32_e64 v1, null, s5, v1, vcc_lo
	v_add_co_u32 v2, vcc_lo, s8, v2
	v_add_co_ci_u32_e64 v3, null, s9, v3, vcc_lo
	s_mov_b32 s5, s1
	s_lshl_b64 s[8:9], s[4:5], 2
	.p2align	6
.LBB2203_18:                            ; =>This Inner Loop Header: Depth=1
	global_load_dword v6, v[0:1], off
	v_add_co_u32 v4, vcc_lo, v4, s4
	v_add_co_ci_u32_e64 v5, null, 0, v5, vcc_lo
	v_add_co_u32 v0, vcc_lo, v0, s6
	v_add_co_ci_u32_e64 v1, null, s7, v1, vcc_lo
	v_cmp_le_u64_e32 vcc_lo, s[2:3], v[4:5]
	s_or_b32 s1, vcc_lo, s1
	s_waitcnt vmcnt(0)
	global_store_dword v[2:3], v6, off
	v_add_co_u32 v2, s0, v2, s8
	v_add_co_ci_u32_e64 v3, null, s9, v3, s0
	s_andn2_b32 exec_lo, exec_lo, s1
	s_cbranch_execnz .LBB2203_18
.LBB2203_19:
	s_endpgm
	.section	.rodata,"a",@progbits
	.p2align	6, 0x0
	.amdhsa_kernel _ZN7rocprim17ROCPRIM_400000_NS6detail30init_device_scan_by_key_kernelINS1_19lookback_scan_stateINS0_5tupleIJibEEELb1ELb1EEEN6thrust23THRUST_200600_302600_NS10device_ptrIiEEjNS1_16block_id_wrapperIjLb1EEEEEvT_jjPNSD_10value_typeET0_PNSt15iterator_traitsISG_E10value_typeEmT1_T2_
		.amdhsa_group_segment_fixed_size 0
		.amdhsa_private_segment_fixed_size 0
		.amdhsa_kernarg_size 320
		.amdhsa_user_sgpr_count 6
		.amdhsa_user_sgpr_private_segment_buffer 1
		.amdhsa_user_sgpr_dispatch_ptr 0
		.amdhsa_user_sgpr_queue_ptr 0
		.amdhsa_user_sgpr_kernarg_segment_ptr 1
		.amdhsa_user_sgpr_dispatch_id 0
		.amdhsa_user_sgpr_flat_scratch_init 0
		.amdhsa_user_sgpr_private_segment_size 0
		.amdhsa_wavefront_size32 1
		.amdhsa_uses_dynamic_stack 0
		.amdhsa_system_sgpr_private_segment_wavefront_offset 0
		.amdhsa_system_sgpr_workgroup_id_x 1
		.amdhsa_system_sgpr_workgroup_id_y 0
		.amdhsa_system_sgpr_workgroup_id_z 0
		.amdhsa_system_sgpr_workgroup_info 0
		.amdhsa_system_vgpr_workitem_id 0
		.amdhsa_next_free_vgpr 9
		.amdhsa_next_free_sgpr 17
		.amdhsa_reserve_vcc 1
		.amdhsa_reserve_flat_scratch 0
		.amdhsa_float_round_mode_32 0
		.amdhsa_float_round_mode_16_64 0
		.amdhsa_float_denorm_mode_32 3
		.amdhsa_float_denorm_mode_16_64 3
		.amdhsa_dx10_clamp 1
		.amdhsa_ieee_mode 1
		.amdhsa_fp16_overflow 0
		.amdhsa_workgroup_processor_mode 1
		.amdhsa_memory_ordered 1
		.amdhsa_forward_progress 1
		.amdhsa_shared_vgpr_count 0
		.amdhsa_exception_fp_ieee_invalid_op 0
		.amdhsa_exception_fp_denorm_src 0
		.amdhsa_exception_fp_ieee_div_zero 0
		.amdhsa_exception_fp_ieee_overflow 0
		.amdhsa_exception_fp_ieee_underflow 0
		.amdhsa_exception_fp_ieee_inexact 0
		.amdhsa_exception_int_div_zero 0
	.end_amdhsa_kernel
	.section	.text._ZN7rocprim17ROCPRIM_400000_NS6detail30init_device_scan_by_key_kernelINS1_19lookback_scan_stateINS0_5tupleIJibEEELb1ELb1EEEN6thrust23THRUST_200600_302600_NS10device_ptrIiEEjNS1_16block_id_wrapperIjLb1EEEEEvT_jjPNSD_10value_typeET0_PNSt15iterator_traitsISG_E10value_typeEmT1_T2_,"axG",@progbits,_ZN7rocprim17ROCPRIM_400000_NS6detail30init_device_scan_by_key_kernelINS1_19lookback_scan_stateINS0_5tupleIJibEEELb1ELb1EEEN6thrust23THRUST_200600_302600_NS10device_ptrIiEEjNS1_16block_id_wrapperIjLb1EEEEEvT_jjPNSD_10value_typeET0_PNSt15iterator_traitsISG_E10value_typeEmT1_T2_,comdat
.Lfunc_end2203:
	.size	_ZN7rocprim17ROCPRIM_400000_NS6detail30init_device_scan_by_key_kernelINS1_19lookback_scan_stateINS0_5tupleIJibEEELb1ELb1EEEN6thrust23THRUST_200600_302600_NS10device_ptrIiEEjNS1_16block_id_wrapperIjLb1EEEEEvT_jjPNSD_10value_typeET0_PNSt15iterator_traitsISG_E10value_typeEmT1_T2_, .Lfunc_end2203-_ZN7rocprim17ROCPRIM_400000_NS6detail30init_device_scan_by_key_kernelINS1_19lookback_scan_stateINS0_5tupleIJibEEELb1ELb1EEEN6thrust23THRUST_200600_302600_NS10device_ptrIiEEjNS1_16block_id_wrapperIjLb1EEEEEvT_jjPNSD_10value_typeET0_PNSt15iterator_traitsISG_E10value_typeEmT1_T2_
                                        ; -- End function
	.set _ZN7rocprim17ROCPRIM_400000_NS6detail30init_device_scan_by_key_kernelINS1_19lookback_scan_stateINS0_5tupleIJibEEELb1ELb1EEEN6thrust23THRUST_200600_302600_NS10device_ptrIiEEjNS1_16block_id_wrapperIjLb1EEEEEvT_jjPNSD_10value_typeET0_PNSt15iterator_traitsISG_E10value_typeEmT1_T2_.num_vgpr, 9
	.set _ZN7rocprim17ROCPRIM_400000_NS6detail30init_device_scan_by_key_kernelINS1_19lookback_scan_stateINS0_5tupleIJibEEELb1ELb1EEEN6thrust23THRUST_200600_302600_NS10device_ptrIiEEjNS1_16block_id_wrapperIjLb1EEEEEvT_jjPNSD_10value_typeET0_PNSt15iterator_traitsISG_E10value_typeEmT1_T2_.num_agpr, 0
	.set _ZN7rocprim17ROCPRIM_400000_NS6detail30init_device_scan_by_key_kernelINS1_19lookback_scan_stateINS0_5tupleIJibEEELb1ELb1EEEN6thrust23THRUST_200600_302600_NS10device_ptrIiEEjNS1_16block_id_wrapperIjLb1EEEEEvT_jjPNSD_10value_typeET0_PNSt15iterator_traitsISG_E10value_typeEmT1_T2_.numbered_sgpr, 17
	.set _ZN7rocprim17ROCPRIM_400000_NS6detail30init_device_scan_by_key_kernelINS1_19lookback_scan_stateINS0_5tupleIJibEEELb1ELb1EEEN6thrust23THRUST_200600_302600_NS10device_ptrIiEEjNS1_16block_id_wrapperIjLb1EEEEEvT_jjPNSD_10value_typeET0_PNSt15iterator_traitsISG_E10value_typeEmT1_T2_.num_named_barrier, 0
	.set _ZN7rocprim17ROCPRIM_400000_NS6detail30init_device_scan_by_key_kernelINS1_19lookback_scan_stateINS0_5tupleIJibEEELb1ELb1EEEN6thrust23THRUST_200600_302600_NS10device_ptrIiEEjNS1_16block_id_wrapperIjLb1EEEEEvT_jjPNSD_10value_typeET0_PNSt15iterator_traitsISG_E10value_typeEmT1_T2_.private_seg_size, 0
	.set _ZN7rocprim17ROCPRIM_400000_NS6detail30init_device_scan_by_key_kernelINS1_19lookback_scan_stateINS0_5tupleIJibEEELb1ELb1EEEN6thrust23THRUST_200600_302600_NS10device_ptrIiEEjNS1_16block_id_wrapperIjLb1EEEEEvT_jjPNSD_10value_typeET0_PNSt15iterator_traitsISG_E10value_typeEmT1_T2_.uses_vcc, 1
	.set _ZN7rocprim17ROCPRIM_400000_NS6detail30init_device_scan_by_key_kernelINS1_19lookback_scan_stateINS0_5tupleIJibEEELb1ELb1EEEN6thrust23THRUST_200600_302600_NS10device_ptrIiEEjNS1_16block_id_wrapperIjLb1EEEEEvT_jjPNSD_10value_typeET0_PNSt15iterator_traitsISG_E10value_typeEmT1_T2_.uses_flat_scratch, 0
	.set _ZN7rocprim17ROCPRIM_400000_NS6detail30init_device_scan_by_key_kernelINS1_19lookback_scan_stateINS0_5tupleIJibEEELb1ELb1EEEN6thrust23THRUST_200600_302600_NS10device_ptrIiEEjNS1_16block_id_wrapperIjLb1EEEEEvT_jjPNSD_10value_typeET0_PNSt15iterator_traitsISG_E10value_typeEmT1_T2_.has_dyn_sized_stack, 0
	.set _ZN7rocprim17ROCPRIM_400000_NS6detail30init_device_scan_by_key_kernelINS1_19lookback_scan_stateINS0_5tupleIJibEEELb1ELb1EEEN6thrust23THRUST_200600_302600_NS10device_ptrIiEEjNS1_16block_id_wrapperIjLb1EEEEEvT_jjPNSD_10value_typeET0_PNSt15iterator_traitsISG_E10value_typeEmT1_T2_.has_recursion, 0
	.set _ZN7rocprim17ROCPRIM_400000_NS6detail30init_device_scan_by_key_kernelINS1_19lookback_scan_stateINS0_5tupleIJibEEELb1ELb1EEEN6thrust23THRUST_200600_302600_NS10device_ptrIiEEjNS1_16block_id_wrapperIjLb1EEEEEvT_jjPNSD_10value_typeET0_PNSt15iterator_traitsISG_E10value_typeEmT1_T2_.has_indirect_call, 0
	.section	.AMDGPU.csdata,"",@progbits
; Kernel info:
; codeLenInByte = 792
; TotalNumSgprs: 19
; NumVgprs: 9
; ScratchSize: 0
; MemoryBound: 0
; FloatMode: 240
; IeeeMode: 1
; LDSByteSize: 0 bytes/workgroup (compile time only)
; SGPRBlocks: 0
; VGPRBlocks: 1
; NumSGPRsForWavesPerEU: 19
; NumVGPRsForWavesPerEU: 9
; Occupancy: 16
; WaveLimiterHint : 0
; COMPUTE_PGM_RSRC2:SCRATCH_EN: 0
; COMPUTE_PGM_RSRC2:USER_SGPR: 6
; COMPUTE_PGM_RSRC2:TRAP_HANDLER: 0
; COMPUTE_PGM_RSRC2:TGID_X_EN: 1
; COMPUTE_PGM_RSRC2:TGID_Y_EN: 0
; COMPUTE_PGM_RSRC2:TGID_Z_EN: 0
; COMPUTE_PGM_RSRC2:TIDIG_COMP_CNT: 0
	.section	.text._ZN7rocprim17ROCPRIM_400000_NS6detail17trampoline_kernelINS0_14default_configENS1_27scan_by_key_config_selectorIiiEEZZNS1_16scan_by_key_implILNS1_25lookback_scan_determinismE0ELb0ES3_N6thrust23THRUST_200600_302600_NS10device_ptrIiEESB_SB_iNS9_4plusIvEENS9_8equal_toIvEEiEE10hipError_tPvRmT2_T3_T4_T5_mT6_T7_P12ihipStream_tbENKUlT_T0_E_clISt17integral_constantIbLb1EESW_EEDaSR_SS_EUlSR_E_NS1_11comp_targetILNS1_3genE0ELNS1_11target_archE4294967295ELNS1_3gpuE0ELNS1_3repE0EEENS1_30default_config_static_selectorELNS0_4arch9wavefront6targetE0EEEvT1_,"axG",@progbits,_ZN7rocprim17ROCPRIM_400000_NS6detail17trampoline_kernelINS0_14default_configENS1_27scan_by_key_config_selectorIiiEEZZNS1_16scan_by_key_implILNS1_25lookback_scan_determinismE0ELb0ES3_N6thrust23THRUST_200600_302600_NS10device_ptrIiEESB_SB_iNS9_4plusIvEENS9_8equal_toIvEEiEE10hipError_tPvRmT2_T3_T4_T5_mT6_T7_P12ihipStream_tbENKUlT_T0_E_clISt17integral_constantIbLb1EESW_EEDaSR_SS_EUlSR_E_NS1_11comp_targetILNS1_3genE0ELNS1_11target_archE4294967295ELNS1_3gpuE0ELNS1_3repE0EEENS1_30default_config_static_selectorELNS0_4arch9wavefront6targetE0EEEvT1_,comdat
	.protected	_ZN7rocprim17ROCPRIM_400000_NS6detail17trampoline_kernelINS0_14default_configENS1_27scan_by_key_config_selectorIiiEEZZNS1_16scan_by_key_implILNS1_25lookback_scan_determinismE0ELb0ES3_N6thrust23THRUST_200600_302600_NS10device_ptrIiEESB_SB_iNS9_4plusIvEENS9_8equal_toIvEEiEE10hipError_tPvRmT2_T3_T4_T5_mT6_T7_P12ihipStream_tbENKUlT_T0_E_clISt17integral_constantIbLb1EESW_EEDaSR_SS_EUlSR_E_NS1_11comp_targetILNS1_3genE0ELNS1_11target_archE4294967295ELNS1_3gpuE0ELNS1_3repE0EEENS1_30default_config_static_selectorELNS0_4arch9wavefront6targetE0EEEvT1_ ; -- Begin function _ZN7rocprim17ROCPRIM_400000_NS6detail17trampoline_kernelINS0_14default_configENS1_27scan_by_key_config_selectorIiiEEZZNS1_16scan_by_key_implILNS1_25lookback_scan_determinismE0ELb0ES3_N6thrust23THRUST_200600_302600_NS10device_ptrIiEESB_SB_iNS9_4plusIvEENS9_8equal_toIvEEiEE10hipError_tPvRmT2_T3_T4_T5_mT6_T7_P12ihipStream_tbENKUlT_T0_E_clISt17integral_constantIbLb1EESW_EEDaSR_SS_EUlSR_E_NS1_11comp_targetILNS1_3genE0ELNS1_11target_archE4294967295ELNS1_3gpuE0ELNS1_3repE0EEENS1_30default_config_static_selectorELNS0_4arch9wavefront6targetE0EEEvT1_
	.globl	_ZN7rocprim17ROCPRIM_400000_NS6detail17trampoline_kernelINS0_14default_configENS1_27scan_by_key_config_selectorIiiEEZZNS1_16scan_by_key_implILNS1_25lookback_scan_determinismE0ELb0ES3_N6thrust23THRUST_200600_302600_NS10device_ptrIiEESB_SB_iNS9_4plusIvEENS9_8equal_toIvEEiEE10hipError_tPvRmT2_T3_T4_T5_mT6_T7_P12ihipStream_tbENKUlT_T0_E_clISt17integral_constantIbLb1EESW_EEDaSR_SS_EUlSR_E_NS1_11comp_targetILNS1_3genE0ELNS1_11target_archE4294967295ELNS1_3gpuE0ELNS1_3repE0EEENS1_30default_config_static_selectorELNS0_4arch9wavefront6targetE0EEEvT1_
	.p2align	8
	.type	_ZN7rocprim17ROCPRIM_400000_NS6detail17trampoline_kernelINS0_14default_configENS1_27scan_by_key_config_selectorIiiEEZZNS1_16scan_by_key_implILNS1_25lookback_scan_determinismE0ELb0ES3_N6thrust23THRUST_200600_302600_NS10device_ptrIiEESB_SB_iNS9_4plusIvEENS9_8equal_toIvEEiEE10hipError_tPvRmT2_T3_T4_T5_mT6_T7_P12ihipStream_tbENKUlT_T0_E_clISt17integral_constantIbLb1EESW_EEDaSR_SS_EUlSR_E_NS1_11comp_targetILNS1_3genE0ELNS1_11target_archE4294967295ELNS1_3gpuE0ELNS1_3repE0EEENS1_30default_config_static_selectorELNS0_4arch9wavefront6targetE0EEEvT1_,@function
_ZN7rocprim17ROCPRIM_400000_NS6detail17trampoline_kernelINS0_14default_configENS1_27scan_by_key_config_selectorIiiEEZZNS1_16scan_by_key_implILNS1_25lookback_scan_determinismE0ELb0ES3_N6thrust23THRUST_200600_302600_NS10device_ptrIiEESB_SB_iNS9_4plusIvEENS9_8equal_toIvEEiEE10hipError_tPvRmT2_T3_T4_T5_mT6_T7_P12ihipStream_tbENKUlT_T0_E_clISt17integral_constantIbLb1EESW_EEDaSR_SS_EUlSR_E_NS1_11comp_targetILNS1_3genE0ELNS1_11target_archE4294967295ELNS1_3gpuE0ELNS1_3repE0EEENS1_30default_config_static_selectorELNS0_4arch9wavefront6targetE0EEEvT1_: ; @_ZN7rocprim17ROCPRIM_400000_NS6detail17trampoline_kernelINS0_14default_configENS1_27scan_by_key_config_selectorIiiEEZZNS1_16scan_by_key_implILNS1_25lookback_scan_determinismE0ELb0ES3_N6thrust23THRUST_200600_302600_NS10device_ptrIiEESB_SB_iNS9_4plusIvEENS9_8equal_toIvEEiEE10hipError_tPvRmT2_T3_T4_T5_mT6_T7_P12ihipStream_tbENKUlT_T0_E_clISt17integral_constantIbLb1EESW_EEDaSR_SS_EUlSR_E_NS1_11comp_targetILNS1_3genE0ELNS1_11target_archE4294967295ELNS1_3gpuE0ELNS1_3repE0EEENS1_30default_config_static_selectorELNS0_4arch9wavefront6targetE0EEEvT1_
; %bb.0:
	.section	.rodata,"a",@progbits
	.p2align	6, 0x0
	.amdhsa_kernel _ZN7rocprim17ROCPRIM_400000_NS6detail17trampoline_kernelINS0_14default_configENS1_27scan_by_key_config_selectorIiiEEZZNS1_16scan_by_key_implILNS1_25lookback_scan_determinismE0ELb0ES3_N6thrust23THRUST_200600_302600_NS10device_ptrIiEESB_SB_iNS9_4plusIvEENS9_8equal_toIvEEiEE10hipError_tPvRmT2_T3_T4_T5_mT6_T7_P12ihipStream_tbENKUlT_T0_E_clISt17integral_constantIbLb1EESW_EEDaSR_SS_EUlSR_E_NS1_11comp_targetILNS1_3genE0ELNS1_11target_archE4294967295ELNS1_3gpuE0ELNS1_3repE0EEENS1_30default_config_static_selectorELNS0_4arch9wavefront6targetE0EEEvT1_
		.amdhsa_group_segment_fixed_size 0
		.amdhsa_private_segment_fixed_size 0
		.amdhsa_kernarg_size 112
		.amdhsa_user_sgpr_count 6
		.amdhsa_user_sgpr_private_segment_buffer 1
		.amdhsa_user_sgpr_dispatch_ptr 0
		.amdhsa_user_sgpr_queue_ptr 0
		.amdhsa_user_sgpr_kernarg_segment_ptr 1
		.amdhsa_user_sgpr_dispatch_id 0
		.amdhsa_user_sgpr_flat_scratch_init 0
		.amdhsa_user_sgpr_private_segment_size 0
		.amdhsa_wavefront_size32 1
		.amdhsa_uses_dynamic_stack 0
		.amdhsa_system_sgpr_private_segment_wavefront_offset 0
		.amdhsa_system_sgpr_workgroup_id_x 1
		.amdhsa_system_sgpr_workgroup_id_y 0
		.amdhsa_system_sgpr_workgroup_id_z 0
		.amdhsa_system_sgpr_workgroup_info 0
		.amdhsa_system_vgpr_workitem_id 0
		.amdhsa_next_free_vgpr 1
		.amdhsa_next_free_sgpr 1
		.amdhsa_reserve_vcc 0
		.amdhsa_reserve_flat_scratch 0
		.amdhsa_float_round_mode_32 0
		.amdhsa_float_round_mode_16_64 0
		.amdhsa_float_denorm_mode_32 3
		.amdhsa_float_denorm_mode_16_64 3
		.amdhsa_dx10_clamp 1
		.amdhsa_ieee_mode 1
		.amdhsa_fp16_overflow 0
		.amdhsa_workgroup_processor_mode 1
		.amdhsa_memory_ordered 1
		.amdhsa_forward_progress 1
		.amdhsa_shared_vgpr_count 0
		.amdhsa_exception_fp_ieee_invalid_op 0
		.amdhsa_exception_fp_denorm_src 0
		.amdhsa_exception_fp_ieee_div_zero 0
		.amdhsa_exception_fp_ieee_overflow 0
		.amdhsa_exception_fp_ieee_underflow 0
		.amdhsa_exception_fp_ieee_inexact 0
		.amdhsa_exception_int_div_zero 0
	.end_amdhsa_kernel
	.section	.text._ZN7rocprim17ROCPRIM_400000_NS6detail17trampoline_kernelINS0_14default_configENS1_27scan_by_key_config_selectorIiiEEZZNS1_16scan_by_key_implILNS1_25lookback_scan_determinismE0ELb0ES3_N6thrust23THRUST_200600_302600_NS10device_ptrIiEESB_SB_iNS9_4plusIvEENS9_8equal_toIvEEiEE10hipError_tPvRmT2_T3_T4_T5_mT6_T7_P12ihipStream_tbENKUlT_T0_E_clISt17integral_constantIbLb1EESW_EEDaSR_SS_EUlSR_E_NS1_11comp_targetILNS1_3genE0ELNS1_11target_archE4294967295ELNS1_3gpuE0ELNS1_3repE0EEENS1_30default_config_static_selectorELNS0_4arch9wavefront6targetE0EEEvT1_,"axG",@progbits,_ZN7rocprim17ROCPRIM_400000_NS6detail17trampoline_kernelINS0_14default_configENS1_27scan_by_key_config_selectorIiiEEZZNS1_16scan_by_key_implILNS1_25lookback_scan_determinismE0ELb0ES3_N6thrust23THRUST_200600_302600_NS10device_ptrIiEESB_SB_iNS9_4plusIvEENS9_8equal_toIvEEiEE10hipError_tPvRmT2_T3_T4_T5_mT6_T7_P12ihipStream_tbENKUlT_T0_E_clISt17integral_constantIbLb1EESW_EEDaSR_SS_EUlSR_E_NS1_11comp_targetILNS1_3genE0ELNS1_11target_archE4294967295ELNS1_3gpuE0ELNS1_3repE0EEENS1_30default_config_static_selectorELNS0_4arch9wavefront6targetE0EEEvT1_,comdat
.Lfunc_end2204:
	.size	_ZN7rocprim17ROCPRIM_400000_NS6detail17trampoline_kernelINS0_14default_configENS1_27scan_by_key_config_selectorIiiEEZZNS1_16scan_by_key_implILNS1_25lookback_scan_determinismE0ELb0ES3_N6thrust23THRUST_200600_302600_NS10device_ptrIiEESB_SB_iNS9_4plusIvEENS9_8equal_toIvEEiEE10hipError_tPvRmT2_T3_T4_T5_mT6_T7_P12ihipStream_tbENKUlT_T0_E_clISt17integral_constantIbLb1EESW_EEDaSR_SS_EUlSR_E_NS1_11comp_targetILNS1_3genE0ELNS1_11target_archE4294967295ELNS1_3gpuE0ELNS1_3repE0EEENS1_30default_config_static_selectorELNS0_4arch9wavefront6targetE0EEEvT1_, .Lfunc_end2204-_ZN7rocprim17ROCPRIM_400000_NS6detail17trampoline_kernelINS0_14default_configENS1_27scan_by_key_config_selectorIiiEEZZNS1_16scan_by_key_implILNS1_25lookback_scan_determinismE0ELb0ES3_N6thrust23THRUST_200600_302600_NS10device_ptrIiEESB_SB_iNS9_4plusIvEENS9_8equal_toIvEEiEE10hipError_tPvRmT2_T3_T4_T5_mT6_T7_P12ihipStream_tbENKUlT_T0_E_clISt17integral_constantIbLb1EESW_EEDaSR_SS_EUlSR_E_NS1_11comp_targetILNS1_3genE0ELNS1_11target_archE4294967295ELNS1_3gpuE0ELNS1_3repE0EEENS1_30default_config_static_selectorELNS0_4arch9wavefront6targetE0EEEvT1_
                                        ; -- End function
	.set _ZN7rocprim17ROCPRIM_400000_NS6detail17trampoline_kernelINS0_14default_configENS1_27scan_by_key_config_selectorIiiEEZZNS1_16scan_by_key_implILNS1_25lookback_scan_determinismE0ELb0ES3_N6thrust23THRUST_200600_302600_NS10device_ptrIiEESB_SB_iNS9_4plusIvEENS9_8equal_toIvEEiEE10hipError_tPvRmT2_T3_T4_T5_mT6_T7_P12ihipStream_tbENKUlT_T0_E_clISt17integral_constantIbLb1EESW_EEDaSR_SS_EUlSR_E_NS1_11comp_targetILNS1_3genE0ELNS1_11target_archE4294967295ELNS1_3gpuE0ELNS1_3repE0EEENS1_30default_config_static_selectorELNS0_4arch9wavefront6targetE0EEEvT1_.num_vgpr, 0
	.set _ZN7rocprim17ROCPRIM_400000_NS6detail17trampoline_kernelINS0_14default_configENS1_27scan_by_key_config_selectorIiiEEZZNS1_16scan_by_key_implILNS1_25lookback_scan_determinismE0ELb0ES3_N6thrust23THRUST_200600_302600_NS10device_ptrIiEESB_SB_iNS9_4plusIvEENS9_8equal_toIvEEiEE10hipError_tPvRmT2_T3_T4_T5_mT6_T7_P12ihipStream_tbENKUlT_T0_E_clISt17integral_constantIbLb1EESW_EEDaSR_SS_EUlSR_E_NS1_11comp_targetILNS1_3genE0ELNS1_11target_archE4294967295ELNS1_3gpuE0ELNS1_3repE0EEENS1_30default_config_static_selectorELNS0_4arch9wavefront6targetE0EEEvT1_.num_agpr, 0
	.set _ZN7rocprim17ROCPRIM_400000_NS6detail17trampoline_kernelINS0_14default_configENS1_27scan_by_key_config_selectorIiiEEZZNS1_16scan_by_key_implILNS1_25lookback_scan_determinismE0ELb0ES3_N6thrust23THRUST_200600_302600_NS10device_ptrIiEESB_SB_iNS9_4plusIvEENS9_8equal_toIvEEiEE10hipError_tPvRmT2_T3_T4_T5_mT6_T7_P12ihipStream_tbENKUlT_T0_E_clISt17integral_constantIbLb1EESW_EEDaSR_SS_EUlSR_E_NS1_11comp_targetILNS1_3genE0ELNS1_11target_archE4294967295ELNS1_3gpuE0ELNS1_3repE0EEENS1_30default_config_static_selectorELNS0_4arch9wavefront6targetE0EEEvT1_.numbered_sgpr, 0
	.set _ZN7rocprim17ROCPRIM_400000_NS6detail17trampoline_kernelINS0_14default_configENS1_27scan_by_key_config_selectorIiiEEZZNS1_16scan_by_key_implILNS1_25lookback_scan_determinismE0ELb0ES3_N6thrust23THRUST_200600_302600_NS10device_ptrIiEESB_SB_iNS9_4plusIvEENS9_8equal_toIvEEiEE10hipError_tPvRmT2_T3_T4_T5_mT6_T7_P12ihipStream_tbENKUlT_T0_E_clISt17integral_constantIbLb1EESW_EEDaSR_SS_EUlSR_E_NS1_11comp_targetILNS1_3genE0ELNS1_11target_archE4294967295ELNS1_3gpuE0ELNS1_3repE0EEENS1_30default_config_static_selectorELNS0_4arch9wavefront6targetE0EEEvT1_.num_named_barrier, 0
	.set _ZN7rocprim17ROCPRIM_400000_NS6detail17trampoline_kernelINS0_14default_configENS1_27scan_by_key_config_selectorIiiEEZZNS1_16scan_by_key_implILNS1_25lookback_scan_determinismE0ELb0ES3_N6thrust23THRUST_200600_302600_NS10device_ptrIiEESB_SB_iNS9_4plusIvEENS9_8equal_toIvEEiEE10hipError_tPvRmT2_T3_T4_T5_mT6_T7_P12ihipStream_tbENKUlT_T0_E_clISt17integral_constantIbLb1EESW_EEDaSR_SS_EUlSR_E_NS1_11comp_targetILNS1_3genE0ELNS1_11target_archE4294967295ELNS1_3gpuE0ELNS1_3repE0EEENS1_30default_config_static_selectorELNS0_4arch9wavefront6targetE0EEEvT1_.private_seg_size, 0
	.set _ZN7rocprim17ROCPRIM_400000_NS6detail17trampoline_kernelINS0_14default_configENS1_27scan_by_key_config_selectorIiiEEZZNS1_16scan_by_key_implILNS1_25lookback_scan_determinismE0ELb0ES3_N6thrust23THRUST_200600_302600_NS10device_ptrIiEESB_SB_iNS9_4plusIvEENS9_8equal_toIvEEiEE10hipError_tPvRmT2_T3_T4_T5_mT6_T7_P12ihipStream_tbENKUlT_T0_E_clISt17integral_constantIbLb1EESW_EEDaSR_SS_EUlSR_E_NS1_11comp_targetILNS1_3genE0ELNS1_11target_archE4294967295ELNS1_3gpuE0ELNS1_3repE0EEENS1_30default_config_static_selectorELNS0_4arch9wavefront6targetE0EEEvT1_.uses_vcc, 0
	.set _ZN7rocprim17ROCPRIM_400000_NS6detail17trampoline_kernelINS0_14default_configENS1_27scan_by_key_config_selectorIiiEEZZNS1_16scan_by_key_implILNS1_25lookback_scan_determinismE0ELb0ES3_N6thrust23THRUST_200600_302600_NS10device_ptrIiEESB_SB_iNS9_4plusIvEENS9_8equal_toIvEEiEE10hipError_tPvRmT2_T3_T4_T5_mT6_T7_P12ihipStream_tbENKUlT_T0_E_clISt17integral_constantIbLb1EESW_EEDaSR_SS_EUlSR_E_NS1_11comp_targetILNS1_3genE0ELNS1_11target_archE4294967295ELNS1_3gpuE0ELNS1_3repE0EEENS1_30default_config_static_selectorELNS0_4arch9wavefront6targetE0EEEvT1_.uses_flat_scratch, 0
	.set _ZN7rocprim17ROCPRIM_400000_NS6detail17trampoline_kernelINS0_14default_configENS1_27scan_by_key_config_selectorIiiEEZZNS1_16scan_by_key_implILNS1_25lookback_scan_determinismE0ELb0ES3_N6thrust23THRUST_200600_302600_NS10device_ptrIiEESB_SB_iNS9_4plusIvEENS9_8equal_toIvEEiEE10hipError_tPvRmT2_T3_T4_T5_mT6_T7_P12ihipStream_tbENKUlT_T0_E_clISt17integral_constantIbLb1EESW_EEDaSR_SS_EUlSR_E_NS1_11comp_targetILNS1_3genE0ELNS1_11target_archE4294967295ELNS1_3gpuE0ELNS1_3repE0EEENS1_30default_config_static_selectorELNS0_4arch9wavefront6targetE0EEEvT1_.has_dyn_sized_stack, 0
	.set _ZN7rocprim17ROCPRIM_400000_NS6detail17trampoline_kernelINS0_14default_configENS1_27scan_by_key_config_selectorIiiEEZZNS1_16scan_by_key_implILNS1_25lookback_scan_determinismE0ELb0ES3_N6thrust23THRUST_200600_302600_NS10device_ptrIiEESB_SB_iNS9_4plusIvEENS9_8equal_toIvEEiEE10hipError_tPvRmT2_T3_T4_T5_mT6_T7_P12ihipStream_tbENKUlT_T0_E_clISt17integral_constantIbLb1EESW_EEDaSR_SS_EUlSR_E_NS1_11comp_targetILNS1_3genE0ELNS1_11target_archE4294967295ELNS1_3gpuE0ELNS1_3repE0EEENS1_30default_config_static_selectorELNS0_4arch9wavefront6targetE0EEEvT1_.has_recursion, 0
	.set _ZN7rocprim17ROCPRIM_400000_NS6detail17trampoline_kernelINS0_14default_configENS1_27scan_by_key_config_selectorIiiEEZZNS1_16scan_by_key_implILNS1_25lookback_scan_determinismE0ELb0ES3_N6thrust23THRUST_200600_302600_NS10device_ptrIiEESB_SB_iNS9_4plusIvEENS9_8equal_toIvEEiEE10hipError_tPvRmT2_T3_T4_T5_mT6_T7_P12ihipStream_tbENKUlT_T0_E_clISt17integral_constantIbLb1EESW_EEDaSR_SS_EUlSR_E_NS1_11comp_targetILNS1_3genE0ELNS1_11target_archE4294967295ELNS1_3gpuE0ELNS1_3repE0EEENS1_30default_config_static_selectorELNS0_4arch9wavefront6targetE0EEEvT1_.has_indirect_call, 0
	.section	.AMDGPU.csdata,"",@progbits
; Kernel info:
; codeLenInByte = 0
; TotalNumSgprs: 0
; NumVgprs: 0
; ScratchSize: 0
; MemoryBound: 0
; FloatMode: 240
; IeeeMode: 1
; LDSByteSize: 0 bytes/workgroup (compile time only)
; SGPRBlocks: 0
; VGPRBlocks: 0
; NumSGPRsForWavesPerEU: 1
; NumVGPRsForWavesPerEU: 1
; Occupancy: 16
; WaveLimiterHint : 0
; COMPUTE_PGM_RSRC2:SCRATCH_EN: 0
; COMPUTE_PGM_RSRC2:USER_SGPR: 6
; COMPUTE_PGM_RSRC2:TRAP_HANDLER: 0
; COMPUTE_PGM_RSRC2:TGID_X_EN: 1
; COMPUTE_PGM_RSRC2:TGID_Y_EN: 0
; COMPUTE_PGM_RSRC2:TGID_Z_EN: 0
; COMPUTE_PGM_RSRC2:TIDIG_COMP_CNT: 0
	.section	.text._ZN7rocprim17ROCPRIM_400000_NS6detail17trampoline_kernelINS0_14default_configENS1_27scan_by_key_config_selectorIiiEEZZNS1_16scan_by_key_implILNS1_25lookback_scan_determinismE0ELb0ES3_N6thrust23THRUST_200600_302600_NS10device_ptrIiEESB_SB_iNS9_4plusIvEENS9_8equal_toIvEEiEE10hipError_tPvRmT2_T3_T4_T5_mT6_T7_P12ihipStream_tbENKUlT_T0_E_clISt17integral_constantIbLb1EESW_EEDaSR_SS_EUlSR_E_NS1_11comp_targetILNS1_3genE10ELNS1_11target_archE1201ELNS1_3gpuE5ELNS1_3repE0EEENS1_30default_config_static_selectorELNS0_4arch9wavefront6targetE0EEEvT1_,"axG",@progbits,_ZN7rocprim17ROCPRIM_400000_NS6detail17trampoline_kernelINS0_14default_configENS1_27scan_by_key_config_selectorIiiEEZZNS1_16scan_by_key_implILNS1_25lookback_scan_determinismE0ELb0ES3_N6thrust23THRUST_200600_302600_NS10device_ptrIiEESB_SB_iNS9_4plusIvEENS9_8equal_toIvEEiEE10hipError_tPvRmT2_T3_T4_T5_mT6_T7_P12ihipStream_tbENKUlT_T0_E_clISt17integral_constantIbLb1EESW_EEDaSR_SS_EUlSR_E_NS1_11comp_targetILNS1_3genE10ELNS1_11target_archE1201ELNS1_3gpuE5ELNS1_3repE0EEENS1_30default_config_static_selectorELNS0_4arch9wavefront6targetE0EEEvT1_,comdat
	.protected	_ZN7rocprim17ROCPRIM_400000_NS6detail17trampoline_kernelINS0_14default_configENS1_27scan_by_key_config_selectorIiiEEZZNS1_16scan_by_key_implILNS1_25lookback_scan_determinismE0ELb0ES3_N6thrust23THRUST_200600_302600_NS10device_ptrIiEESB_SB_iNS9_4plusIvEENS9_8equal_toIvEEiEE10hipError_tPvRmT2_T3_T4_T5_mT6_T7_P12ihipStream_tbENKUlT_T0_E_clISt17integral_constantIbLb1EESW_EEDaSR_SS_EUlSR_E_NS1_11comp_targetILNS1_3genE10ELNS1_11target_archE1201ELNS1_3gpuE5ELNS1_3repE0EEENS1_30default_config_static_selectorELNS0_4arch9wavefront6targetE0EEEvT1_ ; -- Begin function _ZN7rocprim17ROCPRIM_400000_NS6detail17trampoline_kernelINS0_14default_configENS1_27scan_by_key_config_selectorIiiEEZZNS1_16scan_by_key_implILNS1_25lookback_scan_determinismE0ELb0ES3_N6thrust23THRUST_200600_302600_NS10device_ptrIiEESB_SB_iNS9_4plusIvEENS9_8equal_toIvEEiEE10hipError_tPvRmT2_T3_T4_T5_mT6_T7_P12ihipStream_tbENKUlT_T0_E_clISt17integral_constantIbLb1EESW_EEDaSR_SS_EUlSR_E_NS1_11comp_targetILNS1_3genE10ELNS1_11target_archE1201ELNS1_3gpuE5ELNS1_3repE0EEENS1_30default_config_static_selectorELNS0_4arch9wavefront6targetE0EEEvT1_
	.globl	_ZN7rocprim17ROCPRIM_400000_NS6detail17trampoline_kernelINS0_14default_configENS1_27scan_by_key_config_selectorIiiEEZZNS1_16scan_by_key_implILNS1_25lookback_scan_determinismE0ELb0ES3_N6thrust23THRUST_200600_302600_NS10device_ptrIiEESB_SB_iNS9_4plusIvEENS9_8equal_toIvEEiEE10hipError_tPvRmT2_T3_T4_T5_mT6_T7_P12ihipStream_tbENKUlT_T0_E_clISt17integral_constantIbLb1EESW_EEDaSR_SS_EUlSR_E_NS1_11comp_targetILNS1_3genE10ELNS1_11target_archE1201ELNS1_3gpuE5ELNS1_3repE0EEENS1_30default_config_static_selectorELNS0_4arch9wavefront6targetE0EEEvT1_
	.p2align	8
	.type	_ZN7rocprim17ROCPRIM_400000_NS6detail17trampoline_kernelINS0_14default_configENS1_27scan_by_key_config_selectorIiiEEZZNS1_16scan_by_key_implILNS1_25lookback_scan_determinismE0ELb0ES3_N6thrust23THRUST_200600_302600_NS10device_ptrIiEESB_SB_iNS9_4plusIvEENS9_8equal_toIvEEiEE10hipError_tPvRmT2_T3_T4_T5_mT6_T7_P12ihipStream_tbENKUlT_T0_E_clISt17integral_constantIbLb1EESW_EEDaSR_SS_EUlSR_E_NS1_11comp_targetILNS1_3genE10ELNS1_11target_archE1201ELNS1_3gpuE5ELNS1_3repE0EEENS1_30default_config_static_selectorELNS0_4arch9wavefront6targetE0EEEvT1_,@function
_ZN7rocprim17ROCPRIM_400000_NS6detail17trampoline_kernelINS0_14default_configENS1_27scan_by_key_config_selectorIiiEEZZNS1_16scan_by_key_implILNS1_25lookback_scan_determinismE0ELb0ES3_N6thrust23THRUST_200600_302600_NS10device_ptrIiEESB_SB_iNS9_4plusIvEENS9_8equal_toIvEEiEE10hipError_tPvRmT2_T3_T4_T5_mT6_T7_P12ihipStream_tbENKUlT_T0_E_clISt17integral_constantIbLb1EESW_EEDaSR_SS_EUlSR_E_NS1_11comp_targetILNS1_3genE10ELNS1_11target_archE1201ELNS1_3gpuE5ELNS1_3repE0EEENS1_30default_config_static_selectorELNS0_4arch9wavefront6targetE0EEEvT1_: ; @_ZN7rocprim17ROCPRIM_400000_NS6detail17trampoline_kernelINS0_14default_configENS1_27scan_by_key_config_selectorIiiEEZZNS1_16scan_by_key_implILNS1_25lookback_scan_determinismE0ELb0ES3_N6thrust23THRUST_200600_302600_NS10device_ptrIiEESB_SB_iNS9_4plusIvEENS9_8equal_toIvEEiEE10hipError_tPvRmT2_T3_T4_T5_mT6_T7_P12ihipStream_tbENKUlT_T0_E_clISt17integral_constantIbLb1EESW_EEDaSR_SS_EUlSR_E_NS1_11comp_targetILNS1_3genE10ELNS1_11target_archE1201ELNS1_3gpuE5ELNS1_3repE0EEENS1_30default_config_static_selectorELNS0_4arch9wavefront6targetE0EEEvT1_
; %bb.0:
	.section	.rodata,"a",@progbits
	.p2align	6, 0x0
	.amdhsa_kernel _ZN7rocprim17ROCPRIM_400000_NS6detail17trampoline_kernelINS0_14default_configENS1_27scan_by_key_config_selectorIiiEEZZNS1_16scan_by_key_implILNS1_25lookback_scan_determinismE0ELb0ES3_N6thrust23THRUST_200600_302600_NS10device_ptrIiEESB_SB_iNS9_4plusIvEENS9_8equal_toIvEEiEE10hipError_tPvRmT2_T3_T4_T5_mT6_T7_P12ihipStream_tbENKUlT_T0_E_clISt17integral_constantIbLb1EESW_EEDaSR_SS_EUlSR_E_NS1_11comp_targetILNS1_3genE10ELNS1_11target_archE1201ELNS1_3gpuE5ELNS1_3repE0EEENS1_30default_config_static_selectorELNS0_4arch9wavefront6targetE0EEEvT1_
		.amdhsa_group_segment_fixed_size 0
		.amdhsa_private_segment_fixed_size 0
		.amdhsa_kernarg_size 112
		.amdhsa_user_sgpr_count 6
		.amdhsa_user_sgpr_private_segment_buffer 1
		.amdhsa_user_sgpr_dispatch_ptr 0
		.amdhsa_user_sgpr_queue_ptr 0
		.amdhsa_user_sgpr_kernarg_segment_ptr 1
		.amdhsa_user_sgpr_dispatch_id 0
		.amdhsa_user_sgpr_flat_scratch_init 0
		.amdhsa_user_sgpr_private_segment_size 0
		.amdhsa_wavefront_size32 1
		.amdhsa_uses_dynamic_stack 0
		.amdhsa_system_sgpr_private_segment_wavefront_offset 0
		.amdhsa_system_sgpr_workgroup_id_x 1
		.amdhsa_system_sgpr_workgroup_id_y 0
		.amdhsa_system_sgpr_workgroup_id_z 0
		.amdhsa_system_sgpr_workgroup_info 0
		.amdhsa_system_vgpr_workitem_id 0
		.amdhsa_next_free_vgpr 1
		.amdhsa_next_free_sgpr 1
		.amdhsa_reserve_vcc 0
		.amdhsa_reserve_flat_scratch 0
		.amdhsa_float_round_mode_32 0
		.amdhsa_float_round_mode_16_64 0
		.amdhsa_float_denorm_mode_32 3
		.amdhsa_float_denorm_mode_16_64 3
		.amdhsa_dx10_clamp 1
		.amdhsa_ieee_mode 1
		.amdhsa_fp16_overflow 0
		.amdhsa_workgroup_processor_mode 1
		.amdhsa_memory_ordered 1
		.amdhsa_forward_progress 1
		.amdhsa_shared_vgpr_count 0
		.amdhsa_exception_fp_ieee_invalid_op 0
		.amdhsa_exception_fp_denorm_src 0
		.amdhsa_exception_fp_ieee_div_zero 0
		.amdhsa_exception_fp_ieee_overflow 0
		.amdhsa_exception_fp_ieee_underflow 0
		.amdhsa_exception_fp_ieee_inexact 0
		.amdhsa_exception_int_div_zero 0
	.end_amdhsa_kernel
	.section	.text._ZN7rocprim17ROCPRIM_400000_NS6detail17trampoline_kernelINS0_14default_configENS1_27scan_by_key_config_selectorIiiEEZZNS1_16scan_by_key_implILNS1_25lookback_scan_determinismE0ELb0ES3_N6thrust23THRUST_200600_302600_NS10device_ptrIiEESB_SB_iNS9_4plusIvEENS9_8equal_toIvEEiEE10hipError_tPvRmT2_T3_T4_T5_mT6_T7_P12ihipStream_tbENKUlT_T0_E_clISt17integral_constantIbLb1EESW_EEDaSR_SS_EUlSR_E_NS1_11comp_targetILNS1_3genE10ELNS1_11target_archE1201ELNS1_3gpuE5ELNS1_3repE0EEENS1_30default_config_static_selectorELNS0_4arch9wavefront6targetE0EEEvT1_,"axG",@progbits,_ZN7rocprim17ROCPRIM_400000_NS6detail17trampoline_kernelINS0_14default_configENS1_27scan_by_key_config_selectorIiiEEZZNS1_16scan_by_key_implILNS1_25lookback_scan_determinismE0ELb0ES3_N6thrust23THRUST_200600_302600_NS10device_ptrIiEESB_SB_iNS9_4plusIvEENS9_8equal_toIvEEiEE10hipError_tPvRmT2_T3_T4_T5_mT6_T7_P12ihipStream_tbENKUlT_T0_E_clISt17integral_constantIbLb1EESW_EEDaSR_SS_EUlSR_E_NS1_11comp_targetILNS1_3genE10ELNS1_11target_archE1201ELNS1_3gpuE5ELNS1_3repE0EEENS1_30default_config_static_selectorELNS0_4arch9wavefront6targetE0EEEvT1_,comdat
.Lfunc_end2205:
	.size	_ZN7rocprim17ROCPRIM_400000_NS6detail17trampoline_kernelINS0_14default_configENS1_27scan_by_key_config_selectorIiiEEZZNS1_16scan_by_key_implILNS1_25lookback_scan_determinismE0ELb0ES3_N6thrust23THRUST_200600_302600_NS10device_ptrIiEESB_SB_iNS9_4plusIvEENS9_8equal_toIvEEiEE10hipError_tPvRmT2_T3_T4_T5_mT6_T7_P12ihipStream_tbENKUlT_T0_E_clISt17integral_constantIbLb1EESW_EEDaSR_SS_EUlSR_E_NS1_11comp_targetILNS1_3genE10ELNS1_11target_archE1201ELNS1_3gpuE5ELNS1_3repE0EEENS1_30default_config_static_selectorELNS0_4arch9wavefront6targetE0EEEvT1_, .Lfunc_end2205-_ZN7rocprim17ROCPRIM_400000_NS6detail17trampoline_kernelINS0_14default_configENS1_27scan_by_key_config_selectorIiiEEZZNS1_16scan_by_key_implILNS1_25lookback_scan_determinismE0ELb0ES3_N6thrust23THRUST_200600_302600_NS10device_ptrIiEESB_SB_iNS9_4plusIvEENS9_8equal_toIvEEiEE10hipError_tPvRmT2_T3_T4_T5_mT6_T7_P12ihipStream_tbENKUlT_T0_E_clISt17integral_constantIbLb1EESW_EEDaSR_SS_EUlSR_E_NS1_11comp_targetILNS1_3genE10ELNS1_11target_archE1201ELNS1_3gpuE5ELNS1_3repE0EEENS1_30default_config_static_selectorELNS0_4arch9wavefront6targetE0EEEvT1_
                                        ; -- End function
	.set _ZN7rocprim17ROCPRIM_400000_NS6detail17trampoline_kernelINS0_14default_configENS1_27scan_by_key_config_selectorIiiEEZZNS1_16scan_by_key_implILNS1_25lookback_scan_determinismE0ELb0ES3_N6thrust23THRUST_200600_302600_NS10device_ptrIiEESB_SB_iNS9_4plusIvEENS9_8equal_toIvEEiEE10hipError_tPvRmT2_T3_T4_T5_mT6_T7_P12ihipStream_tbENKUlT_T0_E_clISt17integral_constantIbLb1EESW_EEDaSR_SS_EUlSR_E_NS1_11comp_targetILNS1_3genE10ELNS1_11target_archE1201ELNS1_3gpuE5ELNS1_3repE0EEENS1_30default_config_static_selectorELNS0_4arch9wavefront6targetE0EEEvT1_.num_vgpr, 0
	.set _ZN7rocprim17ROCPRIM_400000_NS6detail17trampoline_kernelINS0_14default_configENS1_27scan_by_key_config_selectorIiiEEZZNS1_16scan_by_key_implILNS1_25lookback_scan_determinismE0ELb0ES3_N6thrust23THRUST_200600_302600_NS10device_ptrIiEESB_SB_iNS9_4plusIvEENS9_8equal_toIvEEiEE10hipError_tPvRmT2_T3_T4_T5_mT6_T7_P12ihipStream_tbENKUlT_T0_E_clISt17integral_constantIbLb1EESW_EEDaSR_SS_EUlSR_E_NS1_11comp_targetILNS1_3genE10ELNS1_11target_archE1201ELNS1_3gpuE5ELNS1_3repE0EEENS1_30default_config_static_selectorELNS0_4arch9wavefront6targetE0EEEvT1_.num_agpr, 0
	.set _ZN7rocprim17ROCPRIM_400000_NS6detail17trampoline_kernelINS0_14default_configENS1_27scan_by_key_config_selectorIiiEEZZNS1_16scan_by_key_implILNS1_25lookback_scan_determinismE0ELb0ES3_N6thrust23THRUST_200600_302600_NS10device_ptrIiEESB_SB_iNS9_4plusIvEENS9_8equal_toIvEEiEE10hipError_tPvRmT2_T3_T4_T5_mT6_T7_P12ihipStream_tbENKUlT_T0_E_clISt17integral_constantIbLb1EESW_EEDaSR_SS_EUlSR_E_NS1_11comp_targetILNS1_3genE10ELNS1_11target_archE1201ELNS1_3gpuE5ELNS1_3repE0EEENS1_30default_config_static_selectorELNS0_4arch9wavefront6targetE0EEEvT1_.numbered_sgpr, 0
	.set _ZN7rocprim17ROCPRIM_400000_NS6detail17trampoline_kernelINS0_14default_configENS1_27scan_by_key_config_selectorIiiEEZZNS1_16scan_by_key_implILNS1_25lookback_scan_determinismE0ELb0ES3_N6thrust23THRUST_200600_302600_NS10device_ptrIiEESB_SB_iNS9_4plusIvEENS9_8equal_toIvEEiEE10hipError_tPvRmT2_T3_T4_T5_mT6_T7_P12ihipStream_tbENKUlT_T0_E_clISt17integral_constantIbLb1EESW_EEDaSR_SS_EUlSR_E_NS1_11comp_targetILNS1_3genE10ELNS1_11target_archE1201ELNS1_3gpuE5ELNS1_3repE0EEENS1_30default_config_static_selectorELNS0_4arch9wavefront6targetE0EEEvT1_.num_named_barrier, 0
	.set _ZN7rocprim17ROCPRIM_400000_NS6detail17trampoline_kernelINS0_14default_configENS1_27scan_by_key_config_selectorIiiEEZZNS1_16scan_by_key_implILNS1_25lookback_scan_determinismE0ELb0ES3_N6thrust23THRUST_200600_302600_NS10device_ptrIiEESB_SB_iNS9_4plusIvEENS9_8equal_toIvEEiEE10hipError_tPvRmT2_T3_T4_T5_mT6_T7_P12ihipStream_tbENKUlT_T0_E_clISt17integral_constantIbLb1EESW_EEDaSR_SS_EUlSR_E_NS1_11comp_targetILNS1_3genE10ELNS1_11target_archE1201ELNS1_3gpuE5ELNS1_3repE0EEENS1_30default_config_static_selectorELNS0_4arch9wavefront6targetE0EEEvT1_.private_seg_size, 0
	.set _ZN7rocprim17ROCPRIM_400000_NS6detail17trampoline_kernelINS0_14default_configENS1_27scan_by_key_config_selectorIiiEEZZNS1_16scan_by_key_implILNS1_25lookback_scan_determinismE0ELb0ES3_N6thrust23THRUST_200600_302600_NS10device_ptrIiEESB_SB_iNS9_4plusIvEENS9_8equal_toIvEEiEE10hipError_tPvRmT2_T3_T4_T5_mT6_T7_P12ihipStream_tbENKUlT_T0_E_clISt17integral_constantIbLb1EESW_EEDaSR_SS_EUlSR_E_NS1_11comp_targetILNS1_3genE10ELNS1_11target_archE1201ELNS1_3gpuE5ELNS1_3repE0EEENS1_30default_config_static_selectorELNS0_4arch9wavefront6targetE0EEEvT1_.uses_vcc, 0
	.set _ZN7rocprim17ROCPRIM_400000_NS6detail17trampoline_kernelINS0_14default_configENS1_27scan_by_key_config_selectorIiiEEZZNS1_16scan_by_key_implILNS1_25lookback_scan_determinismE0ELb0ES3_N6thrust23THRUST_200600_302600_NS10device_ptrIiEESB_SB_iNS9_4plusIvEENS9_8equal_toIvEEiEE10hipError_tPvRmT2_T3_T4_T5_mT6_T7_P12ihipStream_tbENKUlT_T0_E_clISt17integral_constantIbLb1EESW_EEDaSR_SS_EUlSR_E_NS1_11comp_targetILNS1_3genE10ELNS1_11target_archE1201ELNS1_3gpuE5ELNS1_3repE0EEENS1_30default_config_static_selectorELNS0_4arch9wavefront6targetE0EEEvT1_.uses_flat_scratch, 0
	.set _ZN7rocprim17ROCPRIM_400000_NS6detail17trampoline_kernelINS0_14default_configENS1_27scan_by_key_config_selectorIiiEEZZNS1_16scan_by_key_implILNS1_25lookback_scan_determinismE0ELb0ES3_N6thrust23THRUST_200600_302600_NS10device_ptrIiEESB_SB_iNS9_4plusIvEENS9_8equal_toIvEEiEE10hipError_tPvRmT2_T3_T4_T5_mT6_T7_P12ihipStream_tbENKUlT_T0_E_clISt17integral_constantIbLb1EESW_EEDaSR_SS_EUlSR_E_NS1_11comp_targetILNS1_3genE10ELNS1_11target_archE1201ELNS1_3gpuE5ELNS1_3repE0EEENS1_30default_config_static_selectorELNS0_4arch9wavefront6targetE0EEEvT1_.has_dyn_sized_stack, 0
	.set _ZN7rocprim17ROCPRIM_400000_NS6detail17trampoline_kernelINS0_14default_configENS1_27scan_by_key_config_selectorIiiEEZZNS1_16scan_by_key_implILNS1_25lookback_scan_determinismE0ELb0ES3_N6thrust23THRUST_200600_302600_NS10device_ptrIiEESB_SB_iNS9_4plusIvEENS9_8equal_toIvEEiEE10hipError_tPvRmT2_T3_T4_T5_mT6_T7_P12ihipStream_tbENKUlT_T0_E_clISt17integral_constantIbLb1EESW_EEDaSR_SS_EUlSR_E_NS1_11comp_targetILNS1_3genE10ELNS1_11target_archE1201ELNS1_3gpuE5ELNS1_3repE0EEENS1_30default_config_static_selectorELNS0_4arch9wavefront6targetE0EEEvT1_.has_recursion, 0
	.set _ZN7rocprim17ROCPRIM_400000_NS6detail17trampoline_kernelINS0_14default_configENS1_27scan_by_key_config_selectorIiiEEZZNS1_16scan_by_key_implILNS1_25lookback_scan_determinismE0ELb0ES3_N6thrust23THRUST_200600_302600_NS10device_ptrIiEESB_SB_iNS9_4plusIvEENS9_8equal_toIvEEiEE10hipError_tPvRmT2_T3_T4_T5_mT6_T7_P12ihipStream_tbENKUlT_T0_E_clISt17integral_constantIbLb1EESW_EEDaSR_SS_EUlSR_E_NS1_11comp_targetILNS1_3genE10ELNS1_11target_archE1201ELNS1_3gpuE5ELNS1_3repE0EEENS1_30default_config_static_selectorELNS0_4arch9wavefront6targetE0EEEvT1_.has_indirect_call, 0
	.section	.AMDGPU.csdata,"",@progbits
; Kernel info:
; codeLenInByte = 0
; TotalNumSgprs: 0
; NumVgprs: 0
; ScratchSize: 0
; MemoryBound: 0
; FloatMode: 240
; IeeeMode: 1
; LDSByteSize: 0 bytes/workgroup (compile time only)
; SGPRBlocks: 0
; VGPRBlocks: 0
; NumSGPRsForWavesPerEU: 1
; NumVGPRsForWavesPerEU: 1
; Occupancy: 16
; WaveLimiterHint : 0
; COMPUTE_PGM_RSRC2:SCRATCH_EN: 0
; COMPUTE_PGM_RSRC2:USER_SGPR: 6
; COMPUTE_PGM_RSRC2:TRAP_HANDLER: 0
; COMPUTE_PGM_RSRC2:TGID_X_EN: 1
; COMPUTE_PGM_RSRC2:TGID_Y_EN: 0
; COMPUTE_PGM_RSRC2:TGID_Z_EN: 0
; COMPUTE_PGM_RSRC2:TIDIG_COMP_CNT: 0
	.section	.text._ZN7rocprim17ROCPRIM_400000_NS6detail17trampoline_kernelINS0_14default_configENS1_27scan_by_key_config_selectorIiiEEZZNS1_16scan_by_key_implILNS1_25lookback_scan_determinismE0ELb0ES3_N6thrust23THRUST_200600_302600_NS10device_ptrIiEESB_SB_iNS9_4plusIvEENS9_8equal_toIvEEiEE10hipError_tPvRmT2_T3_T4_T5_mT6_T7_P12ihipStream_tbENKUlT_T0_E_clISt17integral_constantIbLb1EESW_EEDaSR_SS_EUlSR_E_NS1_11comp_targetILNS1_3genE5ELNS1_11target_archE942ELNS1_3gpuE9ELNS1_3repE0EEENS1_30default_config_static_selectorELNS0_4arch9wavefront6targetE0EEEvT1_,"axG",@progbits,_ZN7rocprim17ROCPRIM_400000_NS6detail17trampoline_kernelINS0_14default_configENS1_27scan_by_key_config_selectorIiiEEZZNS1_16scan_by_key_implILNS1_25lookback_scan_determinismE0ELb0ES3_N6thrust23THRUST_200600_302600_NS10device_ptrIiEESB_SB_iNS9_4plusIvEENS9_8equal_toIvEEiEE10hipError_tPvRmT2_T3_T4_T5_mT6_T7_P12ihipStream_tbENKUlT_T0_E_clISt17integral_constantIbLb1EESW_EEDaSR_SS_EUlSR_E_NS1_11comp_targetILNS1_3genE5ELNS1_11target_archE942ELNS1_3gpuE9ELNS1_3repE0EEENS1_30default_config_static_selectorELNS0_4arch9wavefront6targetE0EEEvT1_,comdat
	.protected	_ZN7rocprim17ROCPRIM_400000_NS6detail17trampoline_kernelINS0_14default_configENS1_27scan_by_key_config_selectorIiiEEZZNS1_16scan_by_key_implILNS1_25lookback_scan_determinismE0ELb0ES3_N6thrust23THRUST_200600_302600_NS10device_ptrIiEESB_SB_iNS9_4plusIvEENS9_8equal_toIvEEiEE10hipError_tPvRmT2_T3_T4_T5_mT6_T7_P12ihipStream_tbENKUlT_T0_E_clISt17integral_constantIbLb1EESW_EEDaSR_SS_EUlSR_E_NS1_11comp_targetILNS1_3genE5ELNS1_11target_archE942ELNS1_3gpuE9ELNS1_3repE0EEENS1_30default_config_static_selectorELNS0_4arch9wavefront6targetE0EEEvT1_ ; -- Begin function _ZN7rocprim17ROCPRIM_400000_NS6detail17trampoline_kernelINS0_14default_configENS1_27scan_by_key_config_selectorIiiEEZZNS1_16scan_by_key_implILNS1_25lookback_scan_determinismE0ELb0ES3_N6thrust23THRUST_200600_302600_NS10device_ptrIiEESB_SB_iNS9_4plusIvEENS9_8equal_toIvEEiEE10hipError_tPvRmT2_T3_T4_T5_mT6_T7_P12ihipStream_tbENKUlT_T0_E_clISt17integral_constantIbLb1EESW_EEDaSR_SS_EUlSR_E_NS1_11comp_targetILNS1_3genE5ELNS1_11target_archE942ELNS1_3gpuE9ELNS1_3repE0EEENS1_30default_config_static_selectorELNS0_4arch9wavefront6targetE0EEEvT1_
	.globl	_ZN7rocprim17ROCPRIM_400000_NS6detail17trampoline_kernelINS0_14default_configENS1_27scan_by_key_config_selectorIiiEEZZNS1_16scan_by_key_implILNS1_25lookback_scan_determinismE0ELb0ES3_N6thrust23THRUST_200600_302600_NS10device_ptrIiEESB_SB_iNS9_4plusIvEENS9_8equal_toIvEEiEE10hipError_tPvRmT2_T3_T4_T5_mT6_T7_P12ihipStream_tbENKUlT_T0_E_clISt17integral_constantIbLb1EESW_EEDaSR_SS_EUlSR_E_NS1_11comp_targetILNS1_3genE5ELNS1_11target_archE942ELNS1_3gpuE9ELNS1_3repE0EEENS1_30default_config_static_selectorELNS0_4arch9wavefront6targetE0EEEvT1_
	.p2align	8
	.type	_ZN7rocprim17ROCPRIM_400000_NS6detail17trampoline_kernelINS0_14default_configENS1_27scan_by_key_config_selectorIiiEEZZNS1_16scan_by_key_implILNS1_25lookback_scan_determinismE0ELb0ES3_N6thrust23THRUST_200600_302600_NS10device_ptrIiEESB_SB_iNS9_4plusIvEENS9_8equal_toIvEEiEE10hipError_tPvRmT2_T3_T4_T5_mT6_T7_P12ihipStream_tbENKUlT_T0_E_clISt17integral_constantIbLb1EESW_EEDaSR_SS_EUlSR_E_NS1_11comp_targetILNS1_3genE5ELNS1_11target_archE942ELNS1_3gpuE9ELNS1_3repE0EEENS1_30default_config_static_selectorELNS0_4arch9wavefront6targetE0EEEvT1_,@function
_ZN7rocprim17ROCPRIM_400000_NS6detail17trampoline_kernelINS0_14default_configENS1_27scan_by_key_config_selectorIiiEEZZNS1_16scan_by_key_implILNS1_25lookback_scan_determinismE0ELb0ES3_N6thrust23THRUST_200600_302600_NS10device_ptrIiEESB_SB_iNS9_4plusIvEENS9_8equal_toIvEEiEE10hipError_tPvRmT2_T3_T4_T5_mT6_T7_P12ihipStream_tbENKUlT_T0_E_clISt17integral_constantIbLb1EESW_EEDaSR_SS_EUlSR_E_NS1_11comp_targetILNS1_3genE5ELNS1_11target_archE942ELNS1_3gpuE9ELNS1_3repE0EEENS1_30default_config_static_selectorELNS0_4arch9wavefront6targetE0EEEvT1_: ; @_ZN7rocprim17ROCPRIM_400000_NS6detail17trampoline_kernelINS0_14default_configENS1_27scan_by_key_config_selectorIiiEEZZNS1_16scan_by_key_implILNS1_25lookback_scan_determinismE0ELb0ES3_N6thrust23THRUST_200600_302600_NS10device_ptrIiEESB_SB_iNS9_4plusIvEENS9_8equal_toIvEEiEE10hipError_tPvRmT2_T3_T4_T5_mT6_T7_P12ihipStream_tbENKUlT_T0_E_clISt17integral_constantIbLb1EESW_EEDaSR_SS_EUlSR_E_NS1_11comp_targetILNS1_3genE5ELNS1_11target_archE942ELNS1_3gpuE9ELNS1_3repE0EEENS1_30default_config_static_selectorELNS0_4arch9wavefront6targetE0EEEvT1_
; %bb.0:
	.section	.rodata,"a",@progbits
	.p2align	6, 0x0
	.amdhsa_kernel _ZN7rocprim17ROCPRIM_400000_NS6detail17trampoline_kernelINS0_14default_configENS1_27scan_by_key_config_selectorIiiEEZZNS1_16scan_by_key_implILNS1_25lookback_scan_determinismE0ELb0ES3_N6thrust23THRUST_200600_302600_NS10device_ptrIiEESB_SB_iNS9_4plusIvEENS9_8equal_toIvEEiEE10hipError_tPvRmT2_T3_T4_T5_mT6_T7_P12ihipStream_tbENKUlT_T0_E_clISt17integral_constantIbLb1EESW_EEDaSR_SS_EUlSR_E_NS1_11comp_targetILNS1_3genE5ELNS1_11target_archE942ELNS1_3gpuE9ELNS1_3repE0EEENS1_30default_config_static_selectorELNS0_4arch9wavefront6targetE0EEEvT1_
		.amdhsa_group_segment_fixed_size 0
		.amdhsa_private_segment_fixed_size 0
		.amdhsa_kernarg_size 112
		.amdhsa_user_sgpr_count 6
		.amdhsa_user_sgpr_private_segment_buffer 1
		.amdhsa_user_sgpr_dispatch_ptr 0
		.amdhsa_user_sgpr_queue_ptr 0
		.amdhsa_user_sgpr_kernarg_segment_ptr 1
		.amdhsa_user_sgpr_dispatch_id 0
		.amdhsa_user_sgpr_flat_scratch_init 0
		.amdhsa_user_sgpr_private_segment_size 0
		.amdhsa_wavefront_size32 1
		.amdhsa_uses_dynamic_stack 0
		.amdhsa_system_sgpr_private_segment_wavefront_offset 0
		.amdhsa_system_sgpr_workgroup_id_x 1
		.amdhsa_system_sgpr_workgroup_id_y 0
		.amdhsa_system_sgpr_workgroup_id_z 0
		.amdhsa_system_sgpr_workgroup_info 0
		.amdhsa_system_vgpr_workitem_id 0
		.amdhsa_next_free_vgpr 1
		.amdhsa_next_free_sgpr 1
		.amdhsa_reserve_vcc 0
		.amdhsa_reserve_flat_scratch 0
		.amdhsa_float_round_mode_32 0
		.amdhsa_float_round_mode_16_64 0
		.amdhsa_float_denorm_mode_32 3
		.amdhsa_float_denorm_mode_16_64 3
		.amdhsa_dx10_clamp 1
		.amdhsa_ieee_mode 1
		.amdhsa_fp16_overflow 0
		.amdhsa_workgroup_processor_mode 1
		.amdhsa_memory_ordered 1
		.amdhsa_forward_progress 1
		.amdhsa_shared_vgpr_count 0
		.amdhsa_exception_fp_ieee_invalid_op 0
		.amdhsa_exception_fp_denorm_src 0
		.amdhsa_exception_fp_ieee_div_zero 0
		.amdhsa_exception_fp_ieee_overflow 0
		.amdhsa_exception_fp_ieee_underflow 0
		.amdhsa_exception_fp_ieee_inexact 0
		.amdhsa_exception_int_div_zero 0
	.end_amdhsa_kernel
	.section	.text._ZN7rocprim17ROCPRIM_400000_NS6detail17trampoline_kernelINS0_14default_configENS1_27scan_by_key_config_selectorIiiEEZZNS1_16scan_by_key_implILNS1_25lookback_scan_determinismE0ELb0ES3_N6thrust23THRUST_200600_302600_NS10device_ptrIiEESB_SB_iNS9_4plusIvEENS9_8equal_toIvEEiEE10hipError_tPvRmT2_T3_T4_T5_mT6_T7_P12ihipStream_tbENKUlT_T0_E_clISt17integral_constantIbLb1EESW_EEDaSR_SS_EUlSR_E_NS1_11comp_targetILNS1_3genE5ELNS1_11target_archE942ELNS1_3gpuE9ELNS1_3repE0EEENS1_30default_config_static_selectorELNS0_4arch9wavefront6targetE0EEEvT1_,"axG",@progbits,_ZN7rocprim17ROCPRIM_400000_NS6detail17trampoline_kernelINS0_14default_configENS1_27scan_by_key_config_selectorIiiEEZZNS1_16scan_by_key_implILNS1_25lookback_scan_determinismE0ELb0ES3_N6thrust23THRUST_200600_302600_NS10device_ptrIiEESB_SB_iNS9_4plusIvEENS9_8equal_toIvEEiEE10hipError_tPvRmT2_T3_T4_T5_mT6_T7_P12ihipStream_tbENKUlT_T0_E_clISt17integral_constantIbLb1EESW_EEDaSR_SS_EUlSR_E_NS1_11comp_targetILNS1_3genE5ELNS1_11target_archE942ELNS1_3gpuE9ELNS1_3repE0EEENS1_30default_config_static_selectorELNS0_4arch9wavefront6targetE0EEEvT1_,comdat
.Lfunc_end2206:
	.size	_ZN7rocprim17ROCPRIM_400000_NS6detail17trampoline_kernelINS0_14default_configENS1_27scan_by_key_config_selectorIiiEEZZNS1_16scan_by_key_implILNS1_25lookback_scan_determinismE0ELb0ES3_N6thrust23THRUST_200600_302600_NS10device_ptrIiEESB_SB_iNS9_4plusIvEENS9_8equal_toIvEEiEE10hipError_tPvRmT2_T3_T4_T5_mT6_T7_P12ihipStream_tbENKUlT_T0_E_clISt17integral_constantIbLb1EESW_EEDaSR_SS_EUlSR_E_NS1_11comp_targetILNS1_3genE5ELNS1_11target_archE942ELNS1_3gpuE9ELNS1_3repE0EEENS1_30default_config_static_selectorELNS0_4arch9wavefront6targetE0EEEvT1_, .Lfunc_end2206-_ZN7rocprim17ROCPRIM_400000_NS6detail17trampoline_kernelINS0_14default_configENS1_27scan_by_key_config_selectorIiiEEZZNS1_16scan_by_key_implILNS1_25lookback_scan_determinismE0ELb0ES3_N6thrust23THRUST_200600_302600_NS10device_ptrIiEESB_SB_iNS9_4plusIvEENS9_8equal_toIvEEiEE10hipError_tPvRmT2_T3_T4_T5_mT6_T7_P12ihipStream_tbENKUlT_T0_E_clISt17integral_constantIbLb1EESW_EEDaSR_SS_EUlSR_E_NS1_11comp_targetILNS1_3genE5ELNS1_11target_archE942ELNS1_3gpuE9ELNS1_3repE0EEENS1_30default_config_static_selectorELNS0_4arch9wavefront6targetE0EEEvT1_
                                        ; -- End function
	.set _ZN7rocprim17ROCPRIM_400000_NS6detail17trampoline_kernelINS0_14default_configENS1_27scan_by_key_config_selectorIiiEEZZNS1_16scan_by_key_implILNS1_25lookback_scan_determinismE0ELb0ES3_N6thrust23THRUST_200600_302600_NS10device_ptrIiEESB_SB_iNS9_4plusIvEENS9_8equal_toIvEEiEE10hipError_tPvRmT2_T3_T4_T5_mT6_T7_P12ihipStream_tbENKUlT_T0_E_clISt17integral_constantIbLb1EESW_EEDaSR_SS_EUlSR_E_NS1_11comp_targetILNS1_3genE5ELNS1_11target_archE942ELNS1_3gpuE9ELNS1_3repE0EEENS1_30default_config_static_selectorELNS0_4arch9wavefront6targetE0EEEvT1_.num_vgpr, 0
	.set _ZN7rocprim17ROCPRIM_400000_NS6detail17trampoline_kernelINS0_14default_configENS1_27scan_by_key_config_selectorIiiEEZZNS1_16scan_by_key_implILNS1_25lookback_scan_determinismE0ELb0ES3_N6thrust23THRUST_200600_302600_NS10device_ptrIiEESB_SB_iNS9_4plusIvEENS9_8equal_toIvEEiEE10hipError_tPvRmT2_T3_T4_T5_mT6_T7_P12ihipStream_tbENKUlT_T0_E_clISt17integral_constantIbLb1EESW_EEDaSR_SS_EUlSR_E_NS1_11comp_targetILNS1_3genE5ELNS1_11target_archE942ELNS1_3gpuE9ELNS1_3repE0EEENS1_30default_config_static_selectorELNS0_4arch9wavefront6targetE0EEEvT1_.num_agpr, 0
	.set _ZN7rocprim17ROCPRIM_400000_NS6detail17trampoline_kernelINS0_14default_configENS1_27scan_by_key_config_selectorIiiEEZZNS1_16scan_by_key_implILNS1_25lookback_scan_determinismE0ELb0ES3_N6thrust23THRUST_200600_302600_NS10device_ptrIiEESB_SB_iNS9_4plusIvEENS9_8equal_toIvEEiEE10hipError_tPvRmT2_T3_T4_T5_mT6_T7_P12ihipStream_tbENKUlT_T0_E_clISt17integral_constantIbLb1EESW_EEDaSR_SS_EUlSR_E_NS1_11comp_targetILNS1_3genE5ELNS1_11target_archE942ELNS1_3gpuE9ELNS1_3repE0EEENS1_30default_config_static_selectorELNS0_4arch9wavefront6targetE0EEEvT1_.numbered_sgpr, 0
	.set _ZN7rocprim17ROCPRIM_400000_NS6detail17trampoline_kernelINS0_14default_configENS1_27scan_by_key_config_selectorIiiEEZZNS1_16scan_by_key_implILNS1_25lookback_scan_determinismE0ELb0ES3_N6thrust23THRUST_200600_302600_NS10device_ptrIiEESB_SB_iNS9_4plusIvEENS9_8equal_toIvEEiEE10hipError_tPvRmT2_T3_T4_T5_mT6_T7_P12ihipStream_tbENKUlT_T0_E_clISt17integral_constantIbLb1EESW_EEDaSR_SS_EUlSR_E_NS1_11comp_targetILNS1_3genE5ELNS1_11target_archE942ELNS1_3gpuE9ELNS1_3repE0EEENS1_30default_config_static_selectorELNS0_4arch9wavefront6targetE0EEEvT1_.num_named_barrier, 0
	.set _ZN7rocprim17ROCPRIM_400000_NS6detail17trampoline_kernelINS0_14default_configENS1_27scan_by_key_config_selectorIiiEEZZNS1_16scan_by_key_implILNS1_25lookback_scan_determinismE0ELb0ES3_N6thrust23THRUST_200600_302600_NS10device_ptrIiEESB_SB_iNS9_4plusIvEENS9_8equal_toIvEEiEE10hipError_tPvRmT2_T3_T4_T5_mT6_T7_P12ihipStream_tbENKUlT_T0_E_clISt17integral_constantIbLb1EESW_EEDaSR_SS_EUlSR_E_NS1_11comp_targetILNS1_3genE5ELNS1_11target_archE942ELNS1_3gpuE9ELNS1_3repE0EEENS1_30default_config_static_selectorELNS0_4arch9wavefront6targetE0EEEvT1_.private_seg_size, 0
	.set _ZN7rocprim17ROCPRIM_400000_NS6detail17trampoline_kernelINS0_14default_configENS1_27scan_by_key_config_selectorIiiEEZZNS1_16scan_by_key_implILNS1_25lookback_scan_determinismE0ELb0ES3_N6thrust23THRUST_200600_302600_NS10device_ptrIiEESB_SB_iNS9_4plusIvEENS9_8equal_toIvEEiEE10hipError_tPvRmT2_T3_T4_T5_mT6_T7_P12ihipStream_tbENKUlT_T0_E_clISt17integral_constantIbLb1EESW_EEDaSR_SS_EUlSR_E_NS1_11comp_targetILNS1_3genE5ELNS1_11target_archE942ELNS1_3gpuE9ELNS1_3repE0EEENS1_30default_config_static_selectorELNS0_4arch9wavefront6targetE0EEEvT1_.uses_vcc, 0
	.set _ZN7rocprim17ROCPRIM_400000_NS6detail17trampoline_kernelINS0_14default_configENS1_27scan_by_key_config_selectorIiiEEZZNS1_16scan_by_key_implILNS1_25lookback_scan_determinismE0ELb0ES3_N6thrust23THRUST_200600_302600_NS10device_ptrIiEESB_SB_iNS9_4plusIvEENS9_8equal_toIvEEiEE10hipError_tPvRmT2_T3_T4_T5_mT6_T7_P12ihipStream_tbENKUlT_T0_E_clISt17integral_constantIbLb1EESW_EEDaSR_SS_EUlSR_E_NS1_11comp_targetILNS1_3genE5ELNS1_11target_archE942ELNS1_3gpuE9ELNS1_3repE0EEENS1_30default_config_static_selectorELNS0_4arch9wavefront6targetE0EEEvT1_.uses_flat_scratch, 0
	.set _ZN7rocprim17ROCPRIM_400000_NS6detail17trampoline_kernelINS0_14default_configENS1_27scan_by_key_config_selectorIiiEEZZNS1_16scan_by_key_implILNS1_25lookback_scan_determinismE0ELb0ES3_N6thrust23THRUST_200600_302600_NS10device_ptrIiEESB_SB_iNS9_4plusIvEENS9_8equal_toIvEEiEE10hipError_tPvRmT2_T3_T4_T5_mT6_T7_P12ihipStream_tbENKUlT_T0_E_clISt17integral_constantIbLb1EESW_EEDaSR_SS_EUlSR_E_NS1_11comp_targetILNS1_3genE5ELNS1_11target_archE942ELNS1_3gpuE9ELNS1_3repE0EEENS1_30default_config_static_selectorELNS0_4arch9wavefront6targetE0EEEvT1_.has_dyn_sized_stack, 0
	.set _ZN7rocprim17ROCPRIM_400000_NS6detail17trampoline_kernelINS0_14default_configENS1_27scan_by_key_config_selectorIiiEEZZNS1_16scan_by_key_implILNS1_25lookback_scan_determinismE0ELb0ES3_N6thrust23THRUST_200600_302600_NS10device_ptrIiEESB_SB_iNS9_4plusIvEENS9_8equal_toIvEEiEE10hipError_tPvRmT2_T3_T4_T5_mT6_T7_P12ihipStream_tbENKUlT_T0_E_clISt17integral_constantIbLb1EESW_EEDaSR_SS_EUlSR_E_NS1_11comp_targetILNS1_3genE5ELNS1_11target_archE942ELNS1_3gpuE9ELNS1_3repE0EEENS1_30default_config_static_selectorELNS0_4arch9wavefront6targetE0EEEvT1_.has_recursion, 0
	.set _ZN7rocprim17ROCPRIM_400000_NS6detail17trampoline_kernelINS0_14default_configENS1_27scan_by_key_config_selectorIiiEEZZNS1_16scan_by_key_implILNS1_25lookback_scan_determinismE0ELb0ES3_N6thrust23THRUST_200600_302600_NS10device_ptrIiEESB_SB_iNS9_4plusIvEENS9_8equal_toIvEEiEE10hipError_tPvRmT2_T3_T4_T5_mT6_T7_P12ihipStream_tbENKUlT_T0_E_clISt17integral_constantIbLb1EESW_EEDaSR_SS_EUlSR_E_NS1_11comp_targetILNS1_3genE5ELNS1_11target_archE942ELNS1_3gpuE9ELNS1_3repE0EEENS1_30default_config_static_selectorELNS0_4arch9wavefront6targetE0EEEvT1_.has_indirect_call, 0
	.section	.AMDGPU.csdata,"",@progbits
; Kernel info:
; codeLenInByte = 0
; TotalNumSgprs: 0
; NumVgprs: 0
; ScratchSize: 0
; MemoryBound: 0
; FloatMode: 240
; IeeeMode: 1
; LDSByteSize: 0 bytes/workgroup (compile time only)
; SGPRBlocks: 0
; VGPRBlocks: 0
; NumSGPRsForWavesPerEU: 1
; NumVGPRsForWavesPerEU: 1
; Occupancy: 16
; WaveLimiterHint : 0
; COMPUTE_PGM_RSRC2:SCRATCH_EN: 0
; COMPUTE_PGM_RSRC2:USER_SGPR: 6
; COMPUTE_PGM_RSRC2:TRAP_HANDLER: 0
; COMPUTE_PGM_RSRC2:TGID_X_EN: 1
; COMPUTE_PGM_RSRC2:TGID_Y_EN: 0
; COMPUTE_PGM_RSRC2:TGID_Z_EN: 0
; COMPUTE_PGM_RSRC2:TIDIG_COMP_CNT: 0
	.section	.text._ZN7rocprim17ROCPRIM_400000_NS6detail17trampoline_kernelINS0_14default_configENS1_27scan_by_key_config_selectorIiiEEZZNS1_16scan_by_key_implILNS1_25lookback_scan_determinismE0ELb0ES3_N6thrust23THRUST_200600_302600_NS10device_ptrIiEESB_SB_iNS9_4plusIvEENS9_8equal_toIvEEiEE10hipError_tPvRmT2_T3_T4_T5_mT6_T7_P12ihipStream_tbENKUlT_T0_E_clISt17integral_constantIbLb1EESW_EEDaSR_SS_EUlSR_E_NS1_11comp_targetILNS1_3genE4ELNS1_11target_archE910ELNS1_3gpuE8ELNS1_3repE0EEENS1_30default_config_static_selectorELNS0_4arch9wavefront6targetE0EEEvT1_,"axG",@progbits,_ZN7rocprim17ROCPRIM_400000_NS6detail17trampoline_kernelINS0_14default_configENS1_27scan_by_key_config_selectorIiiEEZZNS1_16scan_by_key_implILNS1_25lookback_scan_determinismE0ELb0ES3_N6thrust23THRUST_200600_302600_NS10device_ptrIiEESB_SB_iNS9_4plusIvEENS9_8equal_toIvEEiEE10hipError_tPvRmT2_T3_T4_T5_mT6_T7_P12ihipStream_tbENKUlT_T0_E_clISt17integral_constantIbLb1EESW_EEDaSR_SS_EUlSR_E_NS1_11comp_targetILNS1_3genE4ELNS1_11target_archE910ELNS1_3gpuE8ELNS1_3repE0EEENS1_30default_config_static_selectorELNS0_4arch9wavefront6targetE0EEEvT1_,comdat
	.protected	_ZN7rocprim17ROCPRIM_400000_NS6detail17trampoline_kernelINS0_14default_configENS1_27scan_by_key_config_selectorIiiEEZZNS1_16scan_by_key_implILNS1_25lookback_scan_determinismE0ELb0ES3_N6thrust23THRUST_200600_302600_NS10device_ptrIiEESB_SB_iNS9_4plusIvEENS9_8equal_toIvEEiEE10hipError_tPvRmT2_T3_T4_T5_mT6_T7_P12ihipStream_tbENKUlT_T0_E_clISt17integral_constantIbLb1EESW_EEDaSR_SS_EUlSR_E_NS1_11comp_targetILNS1_3genE4ELNS1_11target_archE910ELNS1_3gpuE8ELNS1_3repE0EEENS1_30default_config_static_selectorELNS0_4arch9wavefront6targetE0EEEvT1_ ; -- Begin function _ZN7rocprim17ROCPRIM_400000_NS6detail17trampoline_kernelINS0_14default_configENS1_27scan_by_key_config_selectorIiiEEZZNS1_16scan_by_key_implILNS1_25lookback_scan_determinismE0ELb0ES3_N6thrust23THRUST_200600_302600_NS10device_ptrIiEESB_SB_iNS9_4plusIvEENS9_8equal_toIvEEiEE10hipError_tPvRmT2_T3_T4_T5_mT6_T7_P12ihipStream_tbENKUlT_T0_E_clISt17integral_constantIbLb1EESW_EEDaSR_SS_EUlSR_E_NS1_11comp_targetILNS1_3genE4ELNS1_11target_archE910ELNS1_3gpuE8ELNS1_3repE0EEENS1_30default_config_static_selectorELNS0_4arch9wavefront6targetE0EEEvT1_
	.globl	_ZN7rocprim17ROCPRIM_400000_NS6detail17trampoline_kernelINS0_14default_configENS1_27scan_by_key_config_selectorIiiEEZZNS1_16scan_by_key_implILNS1_25lookback_scan_determinismE0ELb0ES3_N6thrust23THRUST_200600_302600_NS10device_ptrIiEESB_SB_iNS9_4plusIvEENS9_8equal_toIvEEiEE10hipError_tPvRmT2_T3_T4_T5_mT6_T7_P12ihipStream_tbENKUlT_T0_E_clISt17integral_constantIbLb1EESW_EEDaSR_SS_EUlSR_E_NS1_11comp_targetILNS1_3genE4ELNS1_11target_archE910ELNS1_3gpuE8ELNS1_3repE0EEENS1_30default_config_static_selectorELNS0_4arch9wavefront6targetE0EEEvT1_
	.p2align	8
	.type	_ZN7rocprim17ROCPRIM_400000_NS6detail17trampoline_kernelINS0_14default_configENS1_27scan_by_key_config_selectorIiiEEZZNS1_16scan_by_key_implILNS1_25lookback_scan_determinismE0ELb0ES3_N6thrust23THRUST_200600_302600_NS10device_ptrIiEESB_SB_iNS9_4plusIvEENS9_8equal_toIvEEiEE10hipError_tPvRmT2_T3_T4_T5_mT6_T7_P12ihipStream_tbENKUlT_T0_E_clISt17integral_constantIbLb1EESW_EEDaSR_SS_EUlSR_E_NS1_11comp_targetILNS1_3genE4ELNS1_11target_archE910ELNS1_3gpuE8ELNS1_3repE0EEENS1_30default_config_static_selectorELNS0_4arch9wavefront6targetE0EEEvT1_,@function
_ZN7rocprim17ROCPRIM_400000_NS6detail17trampoline_kernelINS0_14default_configENS1_27scan_by_key_config_selectorIiiEEZZNS1_16scan_by_key_implILNS1_25lookback_scan_determinismE0ELb0ES3_N6thrust23THRUST_200600_302600_NS10device_ptrIiEESB_SB_iNS9_4plusIvEENS9_8equal_toIvEEiEE10hipError_tPvRmT2_T3_T4_T5_mT6_T7_P12ihipStream_tbENKUlT_T0_E_clISt17integral_constantIbLb1EESW_EEDaSR_SS_EUlSR_E_NS1_11comp_targetILNS1_3genE4ELNS1_11target_archE910ELNS1_3gpuE8ELNS1_3repE0EEENS1_30default_config_static_selectorELNS0_4arch9wavefront6targetE0EEEvT1_: ; @_ZN7rocprim17ROCPRIM_400000_NS6detail17trampoline_kernelINS0_14default_configENS1_27scan_by_key_config_selectorIiiEEZZNS1_16scan_by_key_implILNS1_25lookback_scan_determinismE0ELb0ES3_N6thrust23THRUST_200600_302600_NS10device_ptrIiEESB_SB_iNS9_4plusIvEENS9_8equal_toIvEEiEE10hipError_tPvRmT2_T3_T4_T5_mT6_T7_P12ihipStream_tbENKUlT_T0_E_clISt17integral_constantIbLb1EESW_EEDaSR_SS_EUlSR_E_NS1_11comp_targetILNS1_3genE4ELNS1_11target_archE910ELNS1_3gpuE8ELNS1_3repE0EEENS1_30default_config_static_selectorELNS0_4arch9wavefront6targetE0EEEvT1_
; %bb.0:
	.section	.rodata,"a",@progbits
	.p2align	6, 0x0
	.amdhsa_kernel _ZN7rocprim17ROCPRIM_400000_NS6detail17trampoline_kernelINS0_14default_configENS1_27scan_by_key_config_selectorIiiEEZZNS1_16scan_by_key_implILNS1_25lookback_scan_determinismE0ELb0ES3_N6thrust23THRUST_200600_302600_NS10device_ptrIiEESB_SB_iNS9_4plusIvEENS9_8equal_toIvEEiEE10hipError_tPvRmT2_T3_T4_T5_mT6_T7_P12ihipStream_tbENKUlT_T0_E_clISt17integral_constantIbLb1EESW_EEDaSR_SS_EUlSR_E_NS1_11comp_targetILNS1_3genE4ELNS1_11target_archE910ELNS1_3gpuE8ELNS1_3repE0EEENS1_30default_config_static_selectorELNS0_4arch9wavefront6targetE0EEEvT1_
		.amdhsa_group_segment_fixed_size 0
		.amdhsa_private_segment_fixed_size 0
		.amdhsa_kernarg_size 112
		.amdhsa_user_sgpr_count 6
		.amdhsa_user_sgpr_private_segment_buffer 1
		.amdhsa_user_sgpr_dispatch_ptr 0
		.amdhsa_user_sgpr_queue_ptr 0
		.amdhsa_user_sgpr_kernarg_segment_ptr 1
		.amdhsa_user_sgpr_dispatch_id 0
		.amdhsa_user_sgpr_flat_scratch_init 0
		.amdhsa_user_sgpr_private_segment_size 0
		.amdhsa_wavefront_size32 1
		.amdhsa_uses_dynamic_stack 0
		.amdhsa_system_sgpr_private_segment_wavefront_offset 0
		.amdhsa_system_sgpr_workgroup_id_x 1
		.amdhsa_system_sgpr_workgroup_id_y 0
		.amdhsa_system_sgpr_workgroup_id_z 0
		.amdhsa_system_sgpr_workgroup_info 0
		.amdhsa_system_vgpr_workitem_id 0
		.amdhsa_next_free_vgpr 1
		.amdhsa_next_free_sgpr 1
		.amdhsa_reserve_vcc 0
		.amdhsa_reserve_flat_scratch 0
		.amdhsa_float_round_mode_32 0
		.amdhsa_float_round_mode_16_64 0
		.amdhsa_float_denorm_mode_32 3
		.amdhsa_float_denorm_mode_16_64 3
		.amdhsa_dx10_clamp 1
		.amdhsa_ieee_mode 1
		.amdhsa_fp16_overflow 0
		.amdhsa_workgroup_processor_mode 1
		.amdhsa_memory_ordered 1
		.amdhsa_forward_progress 1
		.amdhsa_shared_vgpr_count 0
		.amdhsa_exception_fp_ieee_invalid_op 0
		.amdhsa_exception_fp_denorm_src 0
		.amdhsa_exception_fp_ieee_div_zero 0
		.amdhsa_exception_fp_ieee_overflow 0
		.amdhsa_exception_fp_ieee_underflow 0
		.amdhsa_exception_fp_ieee_inexact 0
		.amdhsa_exception_int_div_zero 0
	.end_amdhsa_kernel
	.section	.text._ZN7rocprim17ROCPRIM_400000_NS6detail17trampoline_kernelINS0_14default_configENS1_27scan_by_key_config_selectorIiiEEZZNS1_16scan_by_key_implILNS1_25lookback_scan_determinismE0ELb0ES3_N6thrust23THRUST_200600_302600_NS10device_ptrIiEESB_SB_iNS9_4plusIvEENS9_8equal_toIvEEiEE10hipError_tPvRmT2_T3_T4_T5_mT6_T7_P12ihipStream_tbENKUlT_T0_E_clISt17integral_constantIbLb1EESW_EEDaSR_SS_EUlSR_E_NS1_11comp_targetILNS1_3genE4ELNS1_11target_archE910ELNS1_3gpuE8ELNS1_3repE0EEENS1_30default_config_static_selectorELNS0_4arch9wavefront6targetE0EEEvT1_,"axG",@progbits,_ZN7rocprim17ROCPRIM_400000_NS6detail17trampoline_kernelINS0_14default_configENS1_27scan_by_key_config_selectorIiiEEZZNS1_16scan_by_key_implILNS1_25lookback_scan_determinismE0ELb0ES3_N6thrust23THRUST_200600_302600_NS10device_ptrIiEESB_SB_iNS9_4plusIvEENS9_8equal_toIvEEiEE10hipError_tPvRmT2_T3_T4_T5_mT6_T7_P12ihipStream_tbENKUlT_T0_E_clISt17integral_constantIbLb1EESW_EEDaSR_SS_EUlSR_E_NS1_11comp_targetILNS1_3genE4ELNS1_11target_archE910ELNS1_3gpuE8ELNS1_3repE0EEENS1_30default_config_static_selectorELNS0_4arch9wavefront6targetE0EEEvT1_,comdat
.Lfunc_end2207:
	.size	_ZN7rocprim17ROCPRIM_400000_NS6detail17trampoline_kernelINS0_14default_configENS1_27scan_by_key_config_selectorIiiEEZZNS1_16scan_by_key_implILNS1_25lookback_scan_determinismE0ELb0ES3_N6thrust23THRUST_200600_302600_NS10device_ptrIiEESB_SB_iNS9_4plusIvEENS9_8equal_toIvEEiEE10hipError_tPvRmT2_T3_T4_T5_mT6_T7_P12ihipStream_tbENKUlT_T0_E_clISt17integral_constantIbLb1EESW_EEDaSR_SS_EUlSR_E_NS1_11comp_targetILNS1_3genE4ELNS1_11target_archE910ELNS1_3gpuE8ELNS1_3repE0EEENS1_30default_config_static_selectorELNS0_4arch9wavefront6targetE0EEEvT1_, .Lfunc_end2207-_ZN7rocprim17ROCPRIM_400000_NS6detail17trampoline_kernelINS0_14default_configENS1_27scan_by_key_config_selectorIiiEEZZNS1_16scan_by_key_implILNS1_25lookback_scan_determinismE0ELb0ES3_N6thrust23THRUST_200600_302600_NS10device_ptrIiEESB_SB_iNS9_4plusIvEENS9_8equal_toIvEEiEE10hipError_tPvRmT2_T3_T4_T5_mT6_T7_P12ihipStream_tbENKUlT_T0_E_clISt17integral_constantIbLb1EESW_EEDaSR_SS_EUlSR_E_NS1_11comp_targetILNS1_3genE4ELNS1_11target_archE910ELNS1_3gpuE8ELNS1_3repE0EEENS1_30default_config_static_selectorELNS0_4arch9wavefront6targetE0EEEvT1_
                                        ; -- End function
	.set _ZN7rocprim17ROCPRIM_400000_NS6detail17trampoline_kernelINS0_14default_configENS1_27scan_by_key_config_selectorIiiEEZZNS1_16scan_by_key_implILNS1_25lookback_scan_determinismE0ELb0ES3_N6thrust23THRUST_200600_302600_NS10device_ptrIiEESB_SB_iNS9_4plusIvEENS9_8equal_toIvEEiEE10hipError_tPvRmT2_T3_T4_T5_mT6_T7_P12ihipStream_tbENKUlT_T0_E_clISt17integral_constantIbLb1EESW_EEDaSR_SS_EUlSR_E_NS1_11comp_targetILNS1_3genE4ELNS1_11target_archE910ELNS1_3gpuE8ELNS1_3repE0EEENS1_30default_config_static_selectorELNS0_4arch9wavefront6targetE0EEEvT1_.num_vgpr, 0
	.set _ZN7rocprim17ROCPRIM_400000_NS6detail17trampoline_kernelINS0_14default_configENS1_27scan_by_key_config_selectorIiiEEZZNS1_16scan_by_key_implILNS1_25lookback_scan_determinismE0ELb0ES3_N6thrust23THRUST_200600_302600_NS10device_ptrIiEESB_SB_iNS9_4plusIvEENS9_8equal_toIvEEiEE10hipError_tPvRmT2_T3_T4_T5_mT6_T7_P12ihipStream_tbENKUlT_T0_E_clISt17integral_constantIbLb1EESW_EEDaSR_SS_EUlSR_E_NS1_11comp_targetILNS1_3genE4ELNS1_11target_archE910ELNS1_3gpuE8ELNS1_3repE0EEENS1_30default_config_static_selectorELNS0_4arch9wavefront6targetE0EEEvT1_.num_agpr, 0
	.set _ZN7rocprim17ROCPRIM_400000_NS6detail17trampoline_kernelINS0_14default_configENS1_27scan_by_key_config_selectorIiiEEZZNS1_16scan_by_key_implILNS1_25lookback_scan_determinismE0ELb0ES3_N6thrust23THRUST_200600_302600_NS10device_ptrIiEESB_SB_iNS9_4plusIvEENS9_8equal_toIvEEiEE10hipError_tPvRmT2_T3_T4_T5_mT6_T7_P12ihipStream_tbENKUlT_T0_E_clISt17integral_constantIbLb1EESW_EEDaSR_SS_EUlSR_E_NS1_11comp_targetILNS1_3genE4ELNS1_11target_archE910ELNS1_3gpuE8ELNS1_3repE0EEENS1_30default_config_static_selectorELNS0_4arch9wavefront6targetE0EEEvT1_.numbered_sgpr, 0
	.set _ZN7rocprim17ROCPRIM_400000_NS6detail17trampoline_kernelINS0_14default_configENS1_27scan_by_key_config_selectorIiiEEZZNS1_16scan_by_key_implILNS1_25lookback_scan_determinismE0ELb0ES3_N6thrust23THRUST_200600_302600_NS10device_ptrIiEESB_SB_iNS9_4plusIvEENS9_8equal_toIvEEiEE10hipError_tPvRmT2_T3_T4_T5_mT6_T7_P12ihipStream_tbENKUlT_T0_E_clISt17integral_constantIbLb1EESW_EEDaSR_SS_EUlSR_E_NS1_11comp_targetILNS1_3genE4ELNS1_11target_archE910ELNS1_3gpuE8ELNS1_3repE0EEENS1_30default_config_static_selectorELNS0_4arch9wavefront6targetE0EEEvT1_.num_named_barrier, 0
	.set _ZN7rocprim17ROCPRIM_400000_NS6detail17trampoline_kernelINS0_14default_configENS1_27scan_by_key_config_selectorIiiEEZZNS1_16scan_by_key_implILNS1_25lookback_scan_determinismE0ELb0ES3_N6thrust23THRUST_200600_302600_NS10device_ptrIiEESB_SB_iNS9_4plusIvEENS9_8equal_toIvEEiEE10hipError_tPvRmT2_T3_T4_T5_mT6_T7_P12ihipStream_tbENKUlT_T0_E_clISt17integral_constantIbLb1EESW_EEDaSR_SS_EUlSR_E_NS1_11comp_targetILNS1_3genE4ELNS1_11target_archE910ELNS1_3gpuE8ELNS1_3repE0EEENS1_30default_config_static_selectorELNS0_4arch9wavefront6targetE0EEEvT1_.private_seg_size, 0
	.set _ZN7rocprim17ROCPRIM_400000_NS6detail17trampoline_kernelINS0_14default_configENS1_27scan_by_key_config_selectorIiiEEZZNS1_16scan_by_key_implILNS1_25lookback_scan_determinismE0ELb0ES3_N6thrust23THRUST_200600_302600_NS10device_ptrIiEESB_SB_iNS9_4plusIvEENS9_8equal_toIvEEiEE10hipError_tPvRmT2_T3_T4_T5_mT6_T7_P12ihipStream_tbENKUlT_T0_E_clISt17integral_constantIbLb1EESW_EEDaSR_SS_EUlSR_E_NS1_11comp_targetILNS1_3genE4ELNS1_11target_archE910ELNS1_3gpuE8ELNS1_3repE0EEENS1_30default_config_static_selectorELNS0_4arch9wavefront6targetE0EEEvT1_.uses_vcc, 0
	.set _ZN7rocprim17ROCPRIM_400000_NS6detail17trampoline_kernelINS0_14default_configENS1_27scan_by_key_config_selectorIiiEEZZNS1_16scan_by_key_implILNS1_25lookback_scan_determinismE0ELb0ES3_N6thrust23THRUST_200600_302600_NS10device_ptrIiEESB_SB_iNS9_4plusIvEENS9_8equal_toIvEEiEE10hipError_tPvRmT2_T3_T4_T5_mT6_T7_P12ihipStream_tbENKUlT_T0_E_clISt17integral_constantIbLb1EESW_EEDaSR_SS_EUlSR_E_NS1_11comp_targetILNS1_3genE4ELNS1_11target_archE910ELNS1_3gpuE8ELNS1_3repE0EEENS1_30default_config_static_selectorELNS0_4arch9wavefront6targetE0EEEvT1_.uses_flat_scratch, 0
	.set _ZN7rocprim17ROCPRIM_400000_NS6detail17trampoline_kernelINS0_14default_configENS1_27scan_by_key_config_selectorIiiEEZZNS1_16scan_by_key_implILNS1_25lookback_scan_determinismE0ELb0ES3_N6thrust23THRUST_200600_302600_NS10device_ptrIiEESB_SB_iNS9_4plusIvEENS9_8equal_toIvEEiEE10hipError_tPvRmT2_T3_T4_T5_mT6_T7_P12ihipStream_tbENKUlT_T0_E_clISt17integral_constantIbLb1EESW_EEDaSR_SS_EUlSR_E_NS1_11comp_targetILNS1_3genE4ELNS1_11target_archE910ELNS1_3gpuE8ELNS1_3repE0EEENS1_30default_config_static_selectorELNS0_4arch9wavefront6targetE0EEEvT1_.has_dyn_sized_stack, 0
	.set _ZN7rocprim17ROCPRIM_400000_NS6detail17trampoline_kernelINS0_14default_configENS1_27scan_by_key_config_selectorIiiEEZZNS1_16scan_by_key_implILNS1_25lookback_scan_determinismE0ELb0ES3_N6thrust23THRUST_200600_302600_NS10device_ptrIiEESB_SB_iNS9_4plusIvEENS9_8equal_toIvEEiEE10hipError_tPvRmT2_T3_T4_T5_mT6_T7_P12ihipStream_tbENKUlT_T0_E_clISt17integral_constantIbLb1EESW_EEDaSR_SS_EUlSR_E_NS1_11comp_targetILNS1_3genE4ELNS1_11target_archE910ELNS1_3gpuE8ELNS1_3repE0EEENS1_30default_config_static_selectorELNS0_4arch9wavefront6targetE0EEEvT1_.has_recursion, 0
	.set _ZN7rocprim17ROCPRIM_400000_NS6detail17trampoline_kernelINS0_14default_configENS1_27scan_by_key_config_selectorIiiEEZZNS1_16scan_by_key_implILNS1_25lookback_scan_determinismE0ELb0ES3_N6thrust23THRUST_200600_302600_NS10device_ptrIiEESB_SB_iNS9_4plusIvEENS9_8equal_toIvEEiEE10hipError_tPvRmT2_T3_T4_T5_mT6_T7_P12ihipStream_tbENKUlT_T0_E_clISt17integral_constantIbLb1EESW_EEDaSR_SS_EUlSR_E_NS1_11comp_targetILNS1_3genE4ELNS1_11target_archE910ELNS1_3gpuE8ELNS1_3repE0EEENS1_30default_config_static_selectorELNS0_4arch9wavefront6targetE0EEEvT1_.has_indirect_call, 0
	.section	.AMDGPU.csdata,"",@progbits
; Kernel info:
; codeLenInByte = 0
; TotalNumSgprs: 0
; NumVgprs: 0
; ScratchSize: 0
; MemoryBound: 0
; FloatMode: 240
; IeeeMode: 1
; LDSByteSize: 0 bytes/workgroup (compile time only)
; SGPRBlocks: 0
; VGPRBlocks: 0
; NumSGPRsForWavesPerEU: 1
; NumVGPRsForWavesPerEU: 1
; Occupancy: 16
; WaveLimiterHint : 0
; COMPUTE_PGM_RSRC2:SCRATCH_EN: 0
; COMPUTE_PGM_RSRC2:USER_SGPR: 6
; COMPUTE_PGM_RSRC2:TRAP_HANDLER: 0
; COMPUTE_PGM_RSRC2:TGID_X_EN: 1
; COMPUTE_PGM_RSRC2:TGID_Y_EN: 0
; COMPUTE_PGM_RSRC2:TGID_Z_EN: 0
; COMPUTE_PGM_RSRC2:TIDIG_COMP_CNT: 0
	.section	.text._ZN7rocprim17ROCPRIM_400000_NS6detail17trampoline_kernelINS0_14default_configENS1_27scan_by_key_config_selectorIiiEEZZNS1_16scan_by_key_implILNS1_25lookback_scan_determinismE0ELb0ES3_N6thrust23THRUST_200600_302600_NS10device_ptrIiEESB_SB_iNS9_4plusIvEENS9_8equal_toIvEEiEE10hipError_tPvRmT2_T3_T4_T5_mT6_T7_P12ihipStream_tbENKUlT_T0_E_clISt17integral_constantIbLb1EESW_EEDaSR_SS_EUlSR_E_NS1_11comp_targetILNS1_3genE3ELNS1_11target_archE908ELNS1_3gpuE7ELNS1_3repE0EEENS1_30default_config_static_selectorELNS0_4arch9wavefront6targetE0EEEvT1_,"axG",@progbits,_ZN7rocprim17ROCPRIM_400000_NS6detail17trampoline_kernelINS0_14default_configENS1_27scan_by_key_config_selectorIiiEEZZNS1_16scan_by_key_implILNS1_25lookback_scan_determinismE0ELb0ES3_N6thrust23THRUST_200600_302600_NS10device_ptrIiEESB_SB_iNS9_4plusIvEENS9_8equal_toIvEEiEE10hipError_tPvRmT2_T3_T4_T5_mT6_T7_P12ihipStream_tbENKUlT_T0_E_clISt17integral_constantIbLb1EESW_EEDaSR_SS_EUlSR_E_NS1_11comp_targetILNS1_3genE3ELNS1_11target_archE908ELNS1_3gpuE7ELNS1_3repE0EEENS1_30default_config_static_selectorELNS0_4arch9wavefront6targetE0EEEvT1_,comdat
	.protected	_ZN7rocprim17ROCPRIM_400000_NS6detail17trampoline_kernelINS0_14default_configENS1_27scan_by_key_config_selectorIiiEEZZNS1_16scan_by_key_implILNS1_25lookback_scan_determinismE0ELb0ES3_N6thrust23THRUST_200600_302600_NS10device_ptrIiEESB_SB_iNS9_4plusIvEENS9_8equal_toIvEEiEE10hipError_tPvRmT2_T3_T4_T5_mT6_T7_P12ihipStream_tbENKUlT_T0_E_clISt17integral_constantIbLb1EESW_EEDaSR_SS_EUlSR_E_NS1_11comp_targetILNS1_3genE3ELNS1_11target_archE908ELNS1_3gpuE7ELNS1_3repE0EEENS1_30default_config_static_selectorELNS0_4arch9wavefront6targetE0EEEvT1_ ; -- Begin function _ZN7rocprim17ROCPRIM_400000_NS6detail17trampoline_kernelINS0_14default_configENS1_27scan_by_key_config_selectorIiiEEZZNS1_16scan_by_key_implILNS1_25lookback_scan_determinismE0ELb0ES3_N6thrust23THRUST_200600_302600_NS10device_ptrIiEESB_SB_iNS9_4plusIvEENS9_8equal_toIvEEiEE10hipError_tPvRmT2_T3_T4_T5_mT6_T7_P12ihipStream_tbENKUlT_T0_E_clISt17integral_constantIbLb1EESW_EEDaSR_SS_EUlSR_E_NS1_11comp_targetILNS1_3genE3ELNS1_11target_archE908ELNS1_3gpuE7ELNS1_3repE0EEENS1_30default_config_static_selectorELNS0_4arch9wavefront6targetE0EEEvT1_
	.globl	_ZN7rocprim17ROCPRIM_400000_NS6detail17trampoline_kernelINS0_14default_configENS1_27scan_by_key_config_selectorIiiEEZZNS1_16scan_by_key_implILNS1_25lookback_scan_determinismE0ELb0ES3_N6thrust23THRUST_200600_302600_NS10device_ptrIiEESB_SB_iNS9_4plusIvEENS9_8equal_toIvEEiEE10hipError_tPvRmT2_T3_T4_T5_mT6_T7_P12ihipStream_tbENKUlT_T0_E_clISt17integral_constantIbLb1EESW_EEDaSR_SS_EUlSR_E_NS1_11comp_targetILNS1_3genE3ELNS1_11target_archE908ELNS1_3gpuE7ELNS1_3repE0EEENS1_30default_config_static_selectorELNS0_4arch9wavefront6targetE0EEEvT1_
	.p2align	8
	.type	_ZN7rocprim17ROCPRIM_400000_NS6detail17trampoline_kernelINS0_14default_configENS1_27scan_by_key_config_selectorIiiEEZZNS1_16scan_by_key_implILNS1_25lookback_scan_determinismE0ELb0ES3_N6thrust23THRUST_200600_302600_NS10device_ptrIiEESB_SB_iNS9_4plusIvEENS9_8equal_toIvEEiEE10hipError_tPvRmT2_T3_T4_T5_mT6_T7_P12ihipStream_tbENKUlT_T0_E_clISt17integral_constantIbLb1EESW_EEDaSR_SS_EUlSR_E_NS1_11comp_targetILNS1_3genE3ELNS1_11target_archE908ELNS1_3gpuE7ELNS1_3repE0EEENS1_30default_config_static_selectorELNS0_4arch9wavefront6targetE0EEEvT1_,@function
_ZN7rocprim17ROCPRIM_400000_NS6detail17trampoline_kernelINS0_14default_configENS1_27scan_by_key_config_selectorIiiEEZZNS1_16scan_by_key_implILNS1_25lookback_scan_determinismE0ELb0ES3_N6thrust23THRUST_200600_302600_NS10device_ptrIiEESB_SB_iNS9_4plusIvEENS9_8equal_toIvEEiEE10hipError_tPvRmT2_T3_T4_T5_mT6_T7_P12ihipStream_tbENKUlT_T0_E_clISt17integral_constantIbLb1EESW_EEDaSR_SS_EUlSR_E_NS1_11comp_targetILNS1_3genE3ELNS1_11target_archE908ELNS1_3gpuE7ELNS1_3repE0EEENS1_30default_config_static_selectorELNS0_4arch9wavefront6targetE0EEEvT1_: ; @_ZN7rocprim17ROCPRIM_400000_NS6detail17trampoline_kernelINS0_14default_configENS1_27scan_by_key_config_selectorIiiEEZZNS1_16scan_by_key_implILNS1_25lookback_scan_determinismE0ELb0ES3_N6thrust23THRUST_200600_302600_NS10device_ptrIiEESB_SB_iNS9_4plusIvEENS9_8equal_toIvEEiEE10hipError_tPvRmT2_T3_T4_T5_mT6_T7_P12ihipStream_tbENKUlT_T0_E_clISt17integral_constantIbLb1EESW_EEDaSR_SS_EUlSR_E_NS1_11comp_targetILNS1_3genE3ELNS1_11target_archE908ELNS1_3gpuE7ELNS1_3repE0EEENS1_30default_config_static_selectorELNS0_4arch9wavefront6targetE0EEEvT1_
; %bb.0:
	.section	.rodata,"a",@progbits
	.p2align	6, 0x0
	.amdhsa_kernel _ZN7rocprim17ROCPRIM_400000_NS6detail17trampoline_kernelINS0_14default_configENS1_27scan_by_key_config_selectorIiiEEZZNS1_16scan_by_key_implILNS1_25lookback_scan_determinismE0ELb0ES3_N6thrust23THRUST_200600_302600_NS10device_ptrIiEESB_SB_iNS9_4plusIvEENS9_8equal_toIvEEiEE10hipError_tPvRmT2_T3_T4_T5_mT6_T7_P12ihipStream_tbENKUlT_T0_E_clISt17integral_constantIbLb1EESW_EEDaSR_SS_EUlSR_E_NS1_11comp_targetILNS1_3genE3ELNS1_11target_archE908ELNS1_3gpuE7ELNS1_3repE0EEENS1_30default_config_static_selectorELNS0_4arch9wavefront6targetE0EEEvT1_
		.amdhsa_group_segment_fixed_size 0
		.amdhsa_private_segment_fixed_size 0
		.amdhsa_kernarg_size 112
		.amdhsa_user_sgpr_count 6
		.amdhsa_user_sgpr_private_segment_buffer 1
		.amdhsa_user_sgpr_dispatch_ptr 0
		.amdhsa_user_sgpr_queue_ptr 0
		.amdhsa_user_sgpr_kernarg_segment_ptr 1
		.amdhsa_user_sgpr_dispatch_id 0
		.amdhsa_user_sgpr_flat_scratch_init 0
		.amdhsa_user_sgpr_private_segment_size 0
		.amdhsa_wavefront_size32 1
		.amdhsa_uses_dynamic_stack 0
		.amdhsa_system_sgpr_private_segment_wavefront_offset 0
		.amdhsa_system_sgpr_workgroup_id_x 1
		.amdhsa_system_sgpr_workgroup_id_y 0
		.amdhsa_system_sgpr_workgroup_id_z 0
		.amdhsa_system_sgpr_workgroup_info 0
		.amdhsa_system_vgpr_workitem_id 0
		.amdhsa_next_free_vgpr 1
		.amdhsa_next_free_sgpr 1
		.amdhsa_reserve_vcc 0
		.amdhsa_reserve_flat_scratch 0
		.amdhsa_float_round_mode_32 0
		.amdhsa_float_round_mode_16_64 0
		.amdhsa_float_denorm_mode_32 3
		.amdhsa_float_denorm_mode_16_64 3
		.amdhsa_dx10_clamp 1
		.amdhsa_ieee_mode 1
		.amdhsa_fp16_overflow 0
		.amdhsa_workgroup_processor_mode 1
		.amdhsa_memory_ordered 1
		.amdhsa_forward_progress 1
		.amdhsa_shared_vgpr_count 0
		.amdhsa_exception_fp_ieee_invalid_op 0
		.amdhsa_exception_fp_denorm_src 0
		.amdhsa_exception_fp_ieee_div_zero 0
		.amdhsa_exception_fp_ieee_overflow 0
		.amdhsa_exception_fp_ieee_underflow 0
		.amdhsa_exception_fp_ieee_inexact 0
		.amdhsa_exception_int_div_zero 0
	.end_amdhsa_kernel
	.section	.text._ZN7rocprim17ROCPRIM_400000_NS6detail17trampoline_kernelINS0_14default_configENS1_27scan_by_key_config_selectorIiiEEZZNS1_16scan_by_key_implILNS1_25lookback_scan_determinismE0ELb0ES3_N6thrust23THRUST_200600_302600_NS10device_ptrIiEESB_SB_iNS9_4plusIvEENS9_8equal_toIvEEiEE10hipError_tPvRmT2_T3_T4_T5_mT6_T7_P12ihipStream_tbENKUlT_T0_E_clISt17integral_constantIbLb1EESW_EEDaSR_SS_EUlSR_E_NS1_11comp_targetILNS1_3genE3ELNS1_11target_archE908ELNS1_3gpuE7ELNS1_3repE0EEENS1_30default_config_static_selectorELNS0_4arch9wavefront6targetE0EEEvT1_,"axG",@progbits,_ZN7rocprim17ROCPRIM_400000_NS6detail17trampoline_kernelINS0_14default_configENS1_27scan_by_key_config_selectorIiiEEZZNS1_16scan_by_key_implILNS1_25lookback_scan_determinismE0ELb0ES3_N6thrust23THRUST_200600_302600_NS10device_ptrIiEESB_SB_iNS9_4plusIvEENS9_8equal_toIvEEiEE10hipError_tPvRmT2_T3_T4_T5_mT6_T7_P12ihipStream_tbENKUlT_T0_E_clISt17integral_constantIbLb1EESW_EEDaSR_SS_EUlSR_E_NS1_11comp_targetILNS1_3genE3ELNS1_11target_archE908ELNS1_3gpuE7ELNS1_3repE0EEENS1_30default_config_static_selectorELNS0_4arch9wavefront6targetE0EEEvT1_,comdat
.Lfunc_end2208:
	.size	_ZN7rocprim17ROCPRIM_400000_NS6detail17trampoline_kernelINS0_14default_configENS1_27scan_by_key_config_selectorIiiEEZZNS1_16scan_by_key_implILNS1_25lookback_scan_determinismE0ELb0ES3_N6thrust23THRUST_200600_302600_NS10device_ptrIiEESB_SB_iNS9_4plusIvEENS9_8equal_toIvEEiEE10hipError_tPvRmT2_T3_T4_T5_mT6_T7_P12ihipStream_tbENKUlT_T0_E_clISt17integral_constantIbLb1EESW_EEDaSR_SS_EUlSR_E_NS1_11comp_targetILNS1_3genE3ELNS1_11target_archE908ELNS1_3gpuE7ELNS1_3repE0EEENS1_30default_config_static_selectorELNS0_4arch9wavefront6targetE0EEEvT1_, .Lfunc_end2208-_ZN7rocprim17ROCPRIM_400000_NS6detail17trampoline_kernelINS0_14default_configENS1_27scan_by_key_config_selectorIiiEEZZNS1_16scan_by_key_implILNS1_25lookback_scan_determinismE0ELb0ES3_N6thrust23THRUST_200600_302600_NS10device_ptrIiEESB_SB_iNS9_4plusIvEENS9_8equal_toIvEEiEE10hipError_tPvRmT2_T3_T4_T5_mT6_T7_P12ihipStream_tbENKUlT_T0_E_clISt17integral_constantIbLb1EESW_EEDaSR_SS_EUlSR_E_NS1_11comp_targetILNS1_3genE3ELNS1_11target_archE908ELNS1_3gpuE7ELNS1_3repE0EEENS1_30default_config_static_selectorELNS0_4arch9wavefront6targetE0EEEvT1_
                                        ; -- End function
	.set _ZN7rocprim17ROCPRIM_400000_NS6detail17trampoline_kernelINS0_14default_configENS1_27scan_by_key_config_selectorIiiEEZZNS1_16scan_by_key_implILNS1_25lookback_scan_determinismE0ELb0ES3_N6thrust23THRUST_200600_302600_NS10device_ptrIiEESB_SB_iNS9_4plusIvEENS9_8equal_toIvEEiEE10hipError_tPvRmT2_T3_T4_T5_mT6_T7_P12ihipStream_tbENKUlT_T0_E_clISt17integral_constantIbLb1EESW_EEDaSR_SS_EUlSR_E_NS1_11comp_targetILNS1_3genE3ELNS1_11target_archE908ELNS1_3gpuE7ELNS1_3repE0EEENS1_30default_config_static_selectorELNS0_4arch9wavefront6targetE0EEEvT1_.num_vgpr, 0
	.set _ZN7rocprim17ROCPRIM_400000_NS6detail17trampoline_kernelINS0_14default_configENS1_27scan_by_key_config_selectorIiiEEZZNS1_16scan_by_key_implILNS1_25lookback_scan_determinismE0ELb0ES3_N6thrust23THRUST_200600_302600_NS10device_ptrIiEESB_SB_iNS9_4plusIvEENS9_8equal_toIvEEiEE10hipError_tPvRmT2_T3_T4_T5_mT6_T7_P12ihipStream_tbENKUlT_T0_E_clISt17integral_constantIbLb1EESW_EEDaSR_SS_EUlSR_E_NS1_11comp_targetILNS1_3genE3ELNS1_11target_archE908ELNS1_3gpuE7ELNS1_3repE0EEENS1_30default_config_static_selectorELNS0_4arch9wavefront6targetE0EEEvT1_.num_agpr, 0
	.set _ZN7rocprim17ROCPRIM_400000_NS6detail17trampoline_kernelINS0_14default_configENS1_27scan_by_key_config_selectorIiiEEZZNS1_16scan_by_key_implILNS1_25lookback_scan_determinismE0ELb0ES3_N6thrust23THRUST_200600_302600_NS10device_ptrIiEESB_SB_iNS9_4plusIvEENS9_8equal_toIvEEiEE10hipError_tPvRmT2_T3_T4_T5_mT6_T7_P12ihipStream_tbENKUlT_T0_E_clISt17integral_constantIbLb1EESW_EEDaSR_SS_EUlSR_E_NS1_11comp_targetILNS1_3genE3ELNS1_11target_archE908ELNS1_3gpuE7ELNS1_3repE0EEENS1_30default_config_static_selectorELNS0_4arch9wavefront6targetE0EEEvT1_.numbered_sgpr, 0
	.set _ZN7rocprim17ROCPRIM_400000_NS6detail17trampoline_kernelINS0_14default_configENS1_27scan_by_key_config_selectorIiiEEZZNS1_16scan_by_key_implILNS1_25lookback_scan_determinismE0ELb0ES3_N6thrust23THRUST_200600_302600_NS10device_ptrIiEESB_SB_iNS9_4plusIvEENS9_8equal_toIvEEiEE10hipError_tPvRmT2_T3_T4_T5_mT6_T7_P12ihipStream_tbENKUlT_T0_E_clISt17integral_constantIbLb1EESW_EEDaSR_SS_EUlSR_E_NS1_11comp_targetILNS1_3genE3ELNS1_11target_archE908ELNS1_3gpuE7ELNS1_3repE0EEENS1_30default_config_static_selectorELNS0_4arch9wavefront6targetE0EEEvT1_.num_named_barrier, 0
	.set _ZN7rocprim17ROCPRIM_400000_NS6detail17trampoline_kernelINS0_14default_configENS1_27scan_by_key_config_selectorIiiEEZZNS1_16scan_by_key_implILNS1_25lookback_scan_determinismE0ELb0ES3_N6thrust23THRUST_200600_302600_NS10device_ptrIiEESB_SB_iNS9_4plusIvEENS9_8equal_toIvEEiEE10hipError_tPvRmT2_T3_T4_T5_mT6_T7_P12ihipStream_tbENKUlT_T0_E_clISt17integral_constantIbLb1EESW_EEDaSR_SS_EUlSR_E_NS1_11comp_targetILNS1_3genE3ELNS1_11target_archE908ELNS1_3gpuE7ELNS1_3repE0EEENS1_30default_config_static_selectorELNS0_4arch9wavefront6targetE0EEEvT1_.private_seg_size, 0
	.set _ZN7rocprim17ROCPRIM_400000_NS6detail17trampoline_kernelINS0_14default_configENS1_27scan_by_key_config_selectorIiiEEZZNS1_16scan_by_key_implILNS1_25lookback_scan_determinismE0ELb0ES3_N6thrust23THRUST_200600_302600_NS10device_ptrIiEESB_SB_iNS9_4plusIvEENS9_8equal_toIvEEiEE10hipError_tPvRmT2_T3_T4_T5_mT6_T7_P12ihipStream_tbENKUlT_T0_E_clISt17integral_constantIbLb1EESW_EEDaSR_SS_EUlSR_E_NS1_11comp_targetILNS1_3genE3ELNS1_11target_archE908ELNS1_3gpuE7ELNS1_3repE0EEENS1_30default_config_static_selectorELNS0_4arch9wavefront6targetE0EEEvT1_.uses_vcc, 0
	.set _ZN7rocprim17ROCPRIM_400000_NS6detail17trampoline_kernelINS0_14default_configENS1_27scan_by_key_config_selectorIiiEEZZNS1_16scan_by_key_implILNS1_25lookback_scan_determinismE0ELb0ES3_N6thrust23THRUST_200600_302600_NS10device_ptrIiEESB_SB_iNS9_4plusIvEENS9_8equal_toIvEEiEE10hipError_tPvRmT2_T3_T4_T5_mT6_T7_P12ihipStream_tbENKUlT_T0_E_clISt17integral_constantIbLb1EESW_EEDaSR_SS_EUlSR_E_NS1_11comp_targetILNS1_3genE3ELNS1_11target_archE908ELNS1_3gpuE7ELNS1_3repE0EEENS1_30default_config_static_selectorELNS0_4arch9wavefront6targetE0EEEvT1_.uses_flat_scratch, 0
	.set _ZN7rocprim17ROCPRIM_400000_NS6detail17trampoline_kernelINS0_14default_configENS1_27scan_by_key_config_selectorIiiEEZZNS1_16scan_by_key_implILNS1_25lookback_scan_determinismE0ELb0ES3_N6thrust23THRUST_200600_302600_NS10device_ptrIiEESB_SB_iNS9_4plusIvEENS9_8equal_toIvEEiEE10hipError_tPvRmT2_T3_T4_T5_mT6_T7_P12ihipStream_tbENKUlT_T0_E_clISt17integral_constantIbLb1EESW_EEDaSR_SS_EUlSR_E_NS1_11comp_targetILNS1_3genE3ELNS1_11target_archE908ELNS1_3gpuE7ELNS1_3repE0EEENS1_30default_config_static_selectorELNS0_4arch9wavefront6targetE0EEEvT1_.has_dyn_sized_stack, 0
	.set _ZN7rocprim17ROCPRIM_400000_NS6detail17trampoline_kernelINS0_14default_configENS1_27scan_by_key_config_selectorIiiEEZZNS1_16scan_by_key_implILNS1_25lookback_scan_determinismE0ELb0ES3_N6thrust23THRUST_200600_302600_NS10device_ptrIiEESB_SB_iNS9_4plusIvEENS9_8equal_toIvEEiEE10hipError_tPvRmT2_T3_T4_T5_mT6_T7_P12ihipStream_tbENKUlT_T0_E_clISt17integral_constantIbLb1EESW_EEDaSR_SS_EUlSR_E_NS1_11comp_targetILNS1_3genE3ELNS1_11target_archE908ELNS1_3gpuE7ELNS1_3repE0EEENS1_30default_config_static_selectorELNS0_4arch9wavefront6targetE0EEEvT1_.has_recursion, 0
	.set _ZN7rocprim17ROCPRIM_400000_NS6detail17trampoline_kernelINS0_14default_configENS1_27scan_by_key_config_selectorIiiEEZZNS1_16scan_by_key_implILNS1_25lookback_scan_determinismE0ELb0ES3_N6thrust23THRUST_200600_302600_NS10device_ptrIiEESB_SB_iNS9_4plusIvEENS9_8equal_toIvEEiEE10hipError_tPvRmT2_T3_T4_T5_mT6_T7_P12ihipStream_tbENKUlT_T0_E_clISt17integral_constantIbLb1EESW_EEDaSR_SS_EUlSR_E_NS1_11comp_targetILNS1_3genE3ELNS1_11target_archE908ELNS1_3gpuE7ELNS1_3repE0EEENS1_30default_config_static_selectorELNS0_4arch9wavefront6targetE0EEEvT1_.has_indirect_call, 0
	.section	.AMDGPU.csdata,"",@progbits
; Kernel info:
; codeLenInByte = 0
; TotalNumSgprs: 0
; NumVgprs: 0
; ScratchSize: 0
; MemoryBound: 0
; FloatMode: 240
; IeeeMode: 1
; LDSByteSize: 0 bytes/workgroup (compile time only)
; SGPRBlocks: 0
; VGPRBlocks: 0
; NumSGPRsForWavesPerEU: 1
; NumVGPRsForWavesPerEU: 1
; Occupancy: 16
; WaveLimiterHint : 0
; COMPUTE_PGM_RSRC2:SCRATCH_EN: 0
; COMPUTE_PGM_RSRC2:USER_SGPR: 6
; COMPUTE_PGM_RSRC2:TRAP_HANDLER: 0
; COMPUTE_PGM_RSRC2:TGID_X_EN: 1
; COMPUTE_PGM_RSRC2:TGID_Y_EN: 0
; COMPUTE_PGM_RSRC2:TGID_Z_EN: 0
; COMPUTE_PGM_RSRC2:TIDIG_COMP_CNT: 0
	.section	.text._ZN7rocprim17ROCPRIM_400000_NS6detail17trampoline_kernelINS0_14default_configENS1_27scan_by_key_config_selectorIiiEEZZNS1_16scan_by_key_implILNS1_25lookback_scan_determinismE0ELb0ES3_N6thrust23THRUST_200600_302600_NS10device_ptrIiEESB_SB_iNS9_4plusIvEENS9_8equal_toIvEEiEE10hipError_tPvRmT2_T3_T4_T5_mT6_T7_P12ihipStream_tbENKUlT_T0_E_clISt17integral_constantIbLb1EESW_EEDaSR_SS_EUlSR_E_NS1_11comp_targetILNS1_3genE2ELNS1_11target_archE906ELNS1_3gpuE6ELNS1_3repE0EEENS1_30default_config_static_selectorELNS0_4arch9wavefront6targetE0EEEvT1_,"axG",@progbits,_ZN7rocprim17ROCPRIM_400000_NS6detail17trampoline_kernelINS0_14default_configENS1_27scan_by_key_config_selectorIiiEEZZNS1_16scan_by_key_implILNS1_25lookback_scan_determinismE0ELb0ES3_N6thrust23THRUST_200600_302600_NS10device_ptrIiEESB_SB_iNS9_4plusIvEENS9_8equal_toIvEEiEE10hipError_tPvRmT2_T3_T4_T5_mT6_T7_P12ihipStream_tbENKUlT_T0_E_clISt17integral_constantIbLb1EESW_EEDaSR_SS_EUlSR_E_NS1_11comp_targetILNS1_3genE2ELNS1_11target_archE906ELNS1_3gpuE6ELNS1_3repE0EEENS1_30default_config_static_selectorELNS0_4arch9wavefront6targetE0EEEvT1_,comdat
	.protected	_ZN7rocprim17ROCPRIM_400000_NS6detail17trampoline_kernelINS0_14default_configENS1_27scan_by_key_config_selectorIiiEEZZNS1_16scan_by_key_implILNS1_25lookback_scan_determinismE0ELb0ES3_N6thrust23THRUST_200600_302600_NS10device_ptrIiEESB_SB_iNS9_4plusIvEENS9_8equal_toIvEEiEE10hipError_tPvRmT2_T3_T4_T5_mT6_T7_P12ihipStream_tbENKUlT_T0_E_clISt17integral_constantIbLb1EESW_EEDaSR_SS_EUlSR_E_NS1_11comp_targetILNS1_3genE2ELNS1_11target_archE906ELNS1_3gpuE6ELNS1_3repE0EEENS1_30default_config_static_selectorELNS0_4arch9wavefront6targetE0EEEvT1_ ; -- Begin function _ZN7rocprim17ROCPRIM_400000_NS6detail17trampoline_kernelINS0_14default_configENS1_27scan_by_key_config_selectorIiiEEZZNS1_16scan_by_key_implILNS1_25lookback_scan_determinismE0ELb0ES3_N6thrust23THRUST_200600_302600_NS10device_ptrIiEESB_SB_iNS9_4plusIvEENS9_8equal_toIvEEiEE10hipError_tPvRmT2_T3_T4_T5_mT6_T7_P12ihipStream_tbENKUlT_T0_E_clISt17integral_constantIbLb1EESW_EEDaSR_SS_EUlSR_E_NS1_11comp_targetILNS1_3genE2ELNS1_11target_archE906ELNS1_3gpuE6ELNS1_3repE0EEENS1_30default_config_static_selectorELNS0_4arch9wavefront6targetE0EEEvT1_
	.globl	_ZN7rocprim17ROCPRIM_400000_NS6detail17trampoline_kernelINS0_14default_configENS1_27scan_by_key_config_selectorIiiEEZZNS1_16scan_by_key_implILNS1_25lookback_scan_determinismE0ELb0ES3_N6thrust23THRUST_200600_302600_NS10device_ptrIiEESB_SB_iNS9_4plusIvEENS9_8equal_toIvEEiEE10hipError_tPvRmT2_T3_T4_T5_mT6_T7_P12ihipStream_tbENKUlT_T0_E_clISt17integral_constantIbLb1EESW_EEDaSR_SS_EUlSR_E_NS1_11comp_targetILNS1_3genE2ELNS1_11target_archE906ELNS1_3gpuE6ELNS1_3repE0EEENS1_30default_config_static_selectorELNS0_4arch9wavefront6targetE0EEEvT1_
	.p2align	8
	.type	_ZN7rocprim17ROCPRIM_400000_NS6detail17trampoline_kernelINS0_14default_configENS1_27scan_by_key_config_selectorIiiEEZZNS1_16scan_by_key_implILNS1_25lookback_scan_determinismE0ELb0ES3_N6thrust23THRUST_200600_302600_NS10device_ptrIiEESB_SB_iNS9_4plusIvEENS9_8equal_toIvEEiEE10hipError_tPvRmT2_T3_T4_T5_mT6_T7_P12ihipStream_tbENKUlT_T0_E_clISt17integral_constantIbLb1EESW_EEDaSR_SS_EUlSR_E_NS1_11comp_targetILNS1_3genE2ELNS1_11target_archE906ELNS1_3gpuE6ELNS1_3repE0EEENS1_30default_config_static_selectorELNS0_4arch9wavefront6targetE0EEEvT1_,@function
_ZN7rocprim17ROCPRIM_400000_NS6detail17trampoline_kernelINS0_14default_configENS1_27scan_by_key_config_selectorIiiEEZZNS1_16scan_by_key_implILNS1_25lookback_scan_determinismE0ELb0ES3_N6thrust23THRUST_200600_302600_NS10device_ptrIiEESB_SB_iNS9_4plusIvEENS9_8equal_toIvEEiEE10hipError_tPvRmT2_T3_T4_T5_mT6_T7_P12ihipStream_tbENKUlT_T0_E_clISt17integral_constantIbLb1EESW_EEDaSR_SS_EUlSR_E_NS1_11comp_targetILNS1_3genE2ELNS1_11target_archE906ELNS1_3gpuE6ELNS1_3repE0EEENS1_30default_config_static_selectorELNS0_4arch9wavefront6targetE0EEEvT1_: ; @_ZN7rocprim17ROCPRIM_400000_NS6detail17trampoline_kernelINS0_14default_configENS1_27scan_by_key_config_selectorIiiEEZZNS1_16scan_by_key_implILNS1_25lookback_scan_determinismE0ELb0ES3_N6thrust23THRUST_200600_302600_NS10device_ptrIiEESB_SB_iNS9_4plusIvEENS9_8equal_toIvEEiEE10hipError_tPvRmT2_T3_T4_T5_mT6_T7_P12ihipStream_tbENKUlT_T0_E_clISt17integral_constantIbLb1EESW_EEDaSR_SS_EUlSR_E_NS1_11comp_targetILNS1_3genE2ELNS1_11target_archE906ELNS1_3gpuE6ELNS1_3repE0EEENS1_30default_config_static_selectorELNS0_4arch9wavefront6targetE0EEEvT1_
; %bb.0:
	.section	.rodata,"a",@progbits
	.p2align	6, 0x0
	.amdhsa_kernel _ZN7rocprim17ROCPRIM_400000_NS6detail17trampoline_kernelINS0_14default_configENS1_27scan_by_key_config_selectorIiiEEZZNS1_16scan_by_key_implILNS1_25lookback_scan_determinismE0ELb0ES3_N6thrust23THRUST_200600_302600_NS10device_ptrIiEESB_SB_iNS9_4plusIvEENS9_8equal_toIvEEiEE10hipError_tPvRmT2_T3_T4_T5_mT6_T7_P12ihipStream_tbENKUlT_T0_E_clISt17integral_constantIbLb1EESW_EEDaSR_SS_EUlSR_E_NS1_11comp_targetILNS1_3genE2ELNS1_11target_archE906ELNS1_3gpuE6ELNS1_3repE0EEENS1_30default_config_static_selectorELNS0_4arch9wavefront6targetE0EEEvT1_
		.amdhsa_group_segment_fixed_size 0
		.amdhsa_private_segment_fixed_size 0
		.amdhsa_kernarg_size 112
		.amdhsa_user_sgpr_count 6
		.amdhsa_user_sgpr_private_segment_buffer 1
		.amdhsa_user_sgpr_dispatch_ptr 0
		.amdhsa_user_sgpr_queue_ptr 0
		.amdhsa_user_sgpr_kernarg_segment_ptr 1
		.amdhsa_user_sgpr_dispatch_id 0
		.amdhsa_user_sgpr_flat_scratch_init 0
		.amdhsa_user_sgpr_private_segment_size 0
		.amdhsa_wavefront_size32 1
		.amdhsa_uses_dynamic_stack 0
		.amdhsa_system_sgpr_private_segment_wavefront_offset 0
		.amdhsa_system_sgpr_workgroup_id_x 1
		.amdhsa_system_sgpr_workgroup_id_y 0
		.amdhsa_system_sgpr_workgroup_id_z 0
		.amdhsa_system_sgpr_workgroup_info 0
		.amdhsa_system_vgpr_workitem_id 0
		.amdhsa_next_free_vgpr 1
		.amdhsa_next_free_sgpr 1
		.amdhsa_reserve_vcc 0
		.amdhsa_reserve_flat_scratch 0
		.amdhsa_float_round_mode_32 0
		.amdhsa_float_round_mode_16_64 0
		.amdhsa_float_denorm_mode_32 3
		.amdhsa_float_denorm_mode_16_64 3
		.amdhsa_dx10_clamp 1
		.amdhsa_ieee_mode 1
		.amdhsa_fp16_overflow 0
		.amdhsa_workgroup_processor_mode 1
		.amdhsa_memory_ordered 1
		.amdhsa_forward_progress 1
		.amdhsa_shared_vgpr_count 0
		.amdhsa_exception_fp_ieee_invalid_op 0
		.amdhsa_exception_fp_denorm_src 0
		.amdhsa_exception_fp_ieee_div_zero 0
		.amdhsa_exception_fp_ieee_overflow 0
		.amdhsa_exception_fp_ieee_underflow 0
		.amdhsa_exception_fp_ieee_inexact 0
		.amdhsa_exception_int_div_zero 0
	.end_amdhsa_kernel
	.section	.text._ZN7rocprim17ROCPRIM_400000_NS6detail17trampoline_kernelINS0_14default_configENS1_27scan_by_key_config_selectorIiiEEZZNS1_16scan_by_key_implILNS1_25lookback_scan_determinismE0ELb0ES3_N6thrust23THRUST_200600_302600_NS10device_ptrIiEESB_SB_iNS9_4plusIvEENS9_8equal_toIvEEiEE10hipError_tPvRmT2_T3_T4_T5_mT6_T7_P12ihipStream_tbENKUlT_T0_E_clISt17integral_constantIbLb1EESW_EEDaSR_SS_EUlSR_E_NS1_11comp_targetILNS1_3genE2ELNS1_11target_archE906ELNS1_3gpuE6ELNS1_3repE0EEENS1_30default_config_static_selectorELNS0_4arch9wavefront6targetE0EEEvT1_,"axG",@progbits,_ZN7rocprim17ROCPRIM_400000_NS6detail17trampoline_kernelINS0_14default_configENS1_27scan_by_key_config_selectorIiiEEZZNS1_16scan_by_key_implILNS1_25lookback_scan_determinismE0ELb0ES3_N6thrust23THRUST_200600_302600_NS10device_ptrIiEESB_SB_iNS9_4plusIvEENS9_8equal_toIvEEiEE10hipError_tPvRmT2_T3_T4_T5_mT6_T7_P12ihipStream_tbENKUlT_T0_E_clISt17integral_constantIbLb1EESW_EEDaSR_SS_EUlSR_E_NS1_11comp_targetILNS1_3genE2ELNS1_11target_archE906ELNS1_3gpuE6ELNS1_3repE0EEENS1_30default_config_static_selectorELNS0_4arch9wavefront6targetE0EEEvT1_,comdat
.Lfunc_end2209:
	.size	_ZN7rocprim17ROCPRIM_400000_NS6detail17trampoline_kernelINS0_14default_configENS1_27scan_by_key_config_selectorIiiEEZZNS1_16scan_by_key_implILNS1_25lookback_scan_determinismE0ELb0ES3_N6thrust23THRUST_200600_302600_NS10device_ptrIiEESB_SB_iNS9_4plusIvEENS9_8equal_toIvEEiEE10hipError_tPvRmT2_T3_T4_T5_mT6_T7_P12ihipStream_tbENKUlT_T0_E_clISt17integral_constantIbLb1EESW_EEDaSR_SS_EUlSR_E_NS1_11comp_targetILNS1_3genE2ELNS1_11target_archE906ELNS1_3gpuE6ELNS1_3repE0EEENS1_30default_config_static_selectorELNS0_4arch9wavefront6targetE0EEEvT1_, .Lfunc_end2209-_ZN7rocprim17ROCPRIM_400000_NS6detail17trampoline_kernelINS0_14default_configENS1_27scan_by_key_config_selectorIiiEEZZNS1_16scan_by_key_implILNS1_25lookback_scan_determinismE0ELb0ES3_N6thrust23THRUST_200600_302600_NS10device_ptrIiEESB_SB_iNS9_4plusIvEENS9_8equal_toIvEEiEE10hipError_tPvRmT2_T3_T4_T5_mT6_T7_P12ihipStream_tbENKUlT_T0_E_clISt17integral_constantIbLb1EESW_EEDaSR_SS_EUlSR_E_NS1_11comp_targetILNS1_3genE2ELNS1_11target_archE906ELNS1_3gpuE6ELNS1_3repE0EEENS1_30default_config_static_selectorELNS0_4arch9wavefront6targetE0EEEvT1_
                                        ; -- End function
	.set _ZN7rocprim17ROCPRIM_400000_NS6detail17trampoline_kernelINS0_14default_configENS1_27scan_by_key_config_selectorIiiEEZZNS1_16scan_by_key_implILNS1_25lookback_scan_determinismE0ELb0ES3_N6thrust23THRUST_200600_302600_NS10device_ptrIiEESB_SB_iNS9_4plusIvEENS9_8equal_toIvEEiEE10hipError_tPvRmT2_T3_T4_T5_mT6_T7_P12ihipStream_tbENKUlT_T0_E_clISt17integral_constantIbLb1EESW_EEDaSR_SS_EUlSR_E_NS1_11comp_targetILNS1_3genE2ELNS1_11target_archE906ELNS1_3gpuE6ELNS1_3repE0EEENS1_30default_config_static_selectorELNS0_4arch9wavefront6targetE0EEEvT1_.num_vgpr, 0
	.set _ZN7rocprim17ROCPRIM_400000_NS6detail17trampoline_kernelINS0_14default_configENS1_27scan_by_key_config_selectorIiiEEZZNS1_16scan_by_key_implILNS1_25lookback_scan_determinismE0ELb0ES3_N6thrust23THRUST_200600_302600_NS10device_ptrIiEESB_SB_iNS9_4plusIvEENS9_8equal_toIvEEiEE10hipError_tPvRmT2_T3_T4_T5_mT6_T7_P12ihipStream_tbENKUlT_T0_E_clISt17integral_constantIbLb1EESW_EEDaSR_SS_EUlSR_E_NS1_11comp_targetILNS1_3genE2ELNS1_11target_archE906ELNS1_3gpuE6ELNS1_3repE0EEENS1_30default_config_static_selectorELNS0_4arch9wavefront6targetE0EEEvT1_.num_agpr, 0
	.set _ZN7rocprim17ROCPRIM_400000_NS6detail17trampoline_kernelINS0_14default_configENS1_27scan_by_key_config_selectorIiiEEZZNS1_16scan_by_key_implILNS1_25lookback_scan_determinismE0ELb0ES3_N6thrust23THRUST_200600_302600_NS10device_ptrIiEESB_SB_iNS9_4plusIvEENS9_8equal_toIvEEiEE10hipError_tPvRmT2_T3_T4_T5_mT6_T7_P12ihipStream_tbENKUlT_T0_E_clISt17integral_constantIbLb1EESW_EEDaSR_SS_EUlSR_E_NS1_11comp_targetILNS1_3genE2ELNS1_11target_archE906ELNS1_3gpuE6ELNS1_3repE0EEENS1_30default_config_static_selectorELNS0_4arch9wavefront6targetE0EEEvT1_.numbered_sgpr, 0
	.set _ZN7rocprim17ROCPRIM_400000_NS6detail17trampoline_kernelINS0_14default_configENS1_27scan_by_key_config_selectorIiiEEZZNS1_16scan_by_key_implILNS1_25lookback_scan_determinismE0ELb0ES3_N6thrust23THRUST_200600_302600_NS10device_ptrIiEESB_SB_iNS9_4plusIvEENS9_8equal_toIvEEiEE10hipError_tPvRmT2_T3_T4_T5_mT6_T7_P12ihipStream_tbENKUlT_T0_E_clISt17integral_constantIbLb1EESW_EEDaSR_SS_EUlSR_E_NS1_11comp_targetILNS1_3genE2ELNS1_11target_archE906ELNS1_3gpuE6ELNS1_3repE0EEENS1_30default_config_static_selectorELNS0_4arch9wavefront6targetE0EEEvT1_.num_named_barrier, 0
	.set _ZN7rocprim17ROCPRIM_400000_NS6detail17trampoline_kernelINS0_14default_configENS1_27scan_by_key_config_selectorIiiEEZZNS1_16scan_by_key_implILNS1_25lookback_scan_determinismE0ELb0ES3_N6thrust23THRUST_200600_302600_NS10device_ptrIiEESB_SB_iNS9_4plusIvEENS9_8equal_toIvEEiEE10hipError_tPvRmT2_T3_T4_T5_mT6_T7_P12ihipStream_tbENKUlT_T0_E_clISt17integral_constantIbLb1EESW_EEDaSR_SS_EUlSR_E_NS1_11comp_targetILNS1_3genE2ELNS1_11target_archE906ELNS1_3gpuE6ELNS1_3repE0EEENS1_30default_config_static_selectorELNS0_4arch9wavefront6targetE0EEEvT1_.private_seg_size, 0
	.set _ZN7rocprim17ROCPRIM_400000_NS6detail17trampoline_kernelINS0_14default_configENS1_27scan_by_key_config_selectorIiiEEZZNS1_16scan_by_key_implILNS1_25lookback_scan_determinismE0ELb0ES3_N6thrust23THRUST_200600_302600_NS10device_ptrIiEESB_SB_iNS9_4plusIvEENS9_8equal_toIvEEiEE10hipError_tPvRmT2_T3_T4_T5_mT6_T7_P12ihipStream_tbENKUlT_T0_E_clISt17integral_constantIbLb1EESW_EEDaSR_SS_EUlSR_E_NS1_11comp_targetILNS1_3genE2ELNS1_11target_archE906ELNS1_3gpuE6ELNS1_3repE0EEENS1_30default_config_static_selectorELNS0_4arch9wavefront6targetE0EEEvT1_.uses_vcc, 0
	.set _ZN7rocprim17ROCPRIM_400000_NS6detail17trampoline_kernelINS0_14default_configENS1_27scan_by_key_config_selectorIiiEEZZNS1_16scan_by_key_implILNS1_25lookback_scan_determinismE0ELb0ES3_N6thrust23THRUST_200600_302600_NS10device_ptrIiEESB_SB_iNS9_4plusIvEENS9_8equal_toIvEEiEE10hipError_tPvRmT2_T3_T4_T5_mT6_T7_P12ihipStream_tbENKUlT_T0_E_clISt17integral_constantIbLb1EESW_EEDaSR_SS_EUlSR_E_NS1_11comp_targetILNS1_3genE2ELNS1_11target_archE906ELNS1_3gpuE6ELNS1_3repE0EEENS1_30default_config_static_selectorELNS0_4arch9wavefront6targetE0EEEvT1_.uses_flat_scratch, 0
	.set _ZN7rocprim17ROCPRIM_400000_NS6detail17trampoline_kernelINS0_14default_configENS1_27scan_by_key_config_selectorIiiEEZZNS1_16scan_by_key_implILNS1_25lookback_scan_determinismE0ELb0ES3_N6thrust23THRUST_200600_302600_NS10device_ptrIiEESB_SB_iNS9_4plusIvEENS9_8equal_toIvEEiEE10hipError_tPvRmT2_T3_T4_T5_mT6_T7_P12ihipStream_tbENKUlT_T0_E_clISt17integral_constantIbLb1EESW_EEDaSR_SS_EUlSR_E_NS1_11comp_targetILNS1_3genE2ELNS1_11target_archE906ELNS1_3gpuE6ELNS1_3repE0EEENS1_30default_config_static_selectorELNS0_4arch9wavefront6targetE0EEEvT1_.has_dyn_sized_stack, 0
	.set _ZN7rocprim17ROCPRIM_400000_NS6detail17trampoline_kernelINS0_14default_configENS1_27scan_by_key_config_selectorIiiEEZZNS1_16scan_by_key_implILNS1_25lookback_scan_determinismE0ELb0ES3_N6thrust23THRUST_200600_302600_NS10device_ptrIiEESB_SB_iNS9_4plusIvEENS9_8equal_toIvEEiEE10hipError_tPvRmT2_T3_T4_T5_mT6_T7_P12ihipStream_tbENKUlT_T0_E_clISt17integral_constantIbLb1EESW_EEDaSR_SS_EUlSR_E_NS1_11comp_targetILNS1_3genE2ELNS1_11target_archE906ELNS1_3gpuE6ELNS1_3repE0EEENS1_30default_config_static_selectorELNS0_4arch9wavefront6targetE0EEEvT1_.has_recursion, 0
	.set _ZN7rocprim17ROCPRIM_400000_NS6detail17trampoline_kernelINS0_14default_configENS1_27scan_by_key_config_selectorIiiEEZZNS1_16scan_by_key_implILNS1_25lookback_scan_determinismE0ELb0ES3_N6thrust23THRUST_200600_302600_NS10device_ptrIiEESB_SB_iNS9_4plusIvEENS9_8equal_toIvEEiEE10hipError_tPvRmT2_T3_T4_T5_mT6_T7_P12ihipStream_tbENKUlT_T0_E_clISt17integral_constantIbLb1EESW_EEDaSR_SS_EUlSR_E_NS1_11comp_targetILNS1_3genE2ELNS1_11target_archE906ELNS1_3gpuE6ELNS1_3repE0EEENS1_30default_config_static_selectorELNS0_4arch9wavefront6targetE0EEEvT1_.has_indirect_call, 0
	.section	.AMDGPU.csdata,"",@progbits
; Kernel info:
; codeLenInByte = 0
; TotalNumSgprs: 0
; NumVgprs: 0
; ScratchSize: 0
; MemoryBound: 0
; FloatMode: 240
; IeeeMode: 1
; LDSByteSize: 0 bytes/workgroup (compile time only)
; SGPRBlocks: 0
; VGPRBlocks: 0
; NumSGPRsForWavesPerEU: 1
; NumVGPRsForWavesPerEU: 1
; Occupancy: 16
; WaveLimiterHint : 0
; COMPUTE_PGM_RSRC2:SCRATCH_EN: 0
; COMPUTE_PGM_RSRC2:USER_SGPR: 6
; COMPUTE_PGM_RSRC2:TRAP_HANDLER: 0
; COMPUTE_PGM_RSRC2:TGID_X_EN: 1
; COMPUTE_PGM_RSRC2:TGID_Y_EN: 0
; COMPUTE_PGM_RSRC2:TGID_Z_EN: 0
; COMPUTE_PGM_RSRC2:TIDIG_COMP_CNT: 0
	.section	.text._ZN7rocprim17ROCPRIM_400000_NS6detail17trampoline_kernelINS0_14default_configENS1_27scan_by_key_config_selectorIiiEEZZNS1_16scan_by_key_implILNS1_25lookback_scan_determinismE0ELb0ES3_N6thrust23THRUST_200600_302600_NS10device_ptrIiEESB_SB_iNS9_4plusIvEENS9_8equal_toIvEEiEE10hipError_tPvRmT2_T3_T4_T5_mT6_T7_P12ihipStream_tbENKUlT_T0_E_clISt17integral_constantIbLb1EESW_EEDaSR_SS_EUlSR_E_NS1_11comp_targetILNS1_3genE10ELNS1_11target_archE1200ELNS1_3gpuE4ELNS1_3repE0EEENS1_30default_config_static_selectorELNS0_4arch9wavefront6targetE0EEEvT1_,"axG",@progbits,_ZN7rocprim17ROCPRIM_400000_NS6detail17trampoline_kernelINS0_14default_configENS1_27scan_by_key_config_selectorIiiEEZZNS1_16scan_by_key_implILNS1_25lookback_scan_determinismE0ELb0ES3_N6thrust23THRUST_200600_302600_NS10device_ptrIiEESB_SB_iNS9_4plusIvEENS9_8equal_toIvEEiEE10hipError_tPvRmT2_T3_T4_T5_mT6_T7_P12ihipStream_tbENKUlT_T0_E_clISt17integral_constantIbLb1EESW_EEDaSR_SS_EUlSR_E_NS1_11comp_targetILNS1_3genE10ELNS1_11target_archE1200ELNS1_3gpuE4ELNS1_3repE0EEENS1_30default_config_static_selectorELNS0_4arch9wavefront6targetE0EEEvT1_,comdat
	.protected	_ZN7rocprim17ROCPRIM_400000_NS6detail17trampoline_kernelINS0_14default_configENS1_27scan_by_key_config_selectorIiiEEZZNS1_16scan_by_key_implILNS1_25lookback_scan_determinismE0ELb0ES3_N6thrust23THRUST_200600_302600_NS10device_ptrIiEESB_SB_iNS9_4plusIvEENS9_8equal_toIvEEiEE10hipError_tPvRmT2_T3_T4_T5_mT6_T7_P12ihipStream_tbENKUlT_T0_E_clISt17integral_constantIbLb1EESW_EEDaSR_SS_EUlSR_E_NS1_11comp_targetILNS1_3genE10ELNS1_11target_archE1200ELNS1_3gpuE4ELNS1_3repE0EEENS1_30default_config_static_selectorELNS0_4arch9wavefront6targetE0EEEvT1_ ; -- Begin function _ZN7rocprim17ROCPRIM_400000_NS6detail17trampoline_kernelINS0_14default_configENS1_27scan_by_key_config_selectorIiiEEZZNS1_16scan_by_key_implILNS1_25lookback_scan_determinismE0ELb0ES3_N6thrust23THRUST_200600_302600_NS10device_ptrIiEESB_SB_iNS9_4plusIvEENS9_8equal_toIvEEiEE10hipError_tPvRmT2_T3_T4_T5_mT6_T7_P12ihipStream_tbENKUlT_T0_E_clISt17integral_constantIbLb1EESW_EEDaSR_SS_EUlSR_E_NS1_11comp_targetILNS1_3genE10ELNS1_11target_archE1200ELNS1_3gpuE4ELNS1_3repE0EEENS1_30default_config_static_selectorELNS0_4arch9wavefront6targetE0EEEvT1_
	.globl	_ZN7rocprim17ROCPRIM_400000_NS6detail17trampoline_kernelINS0_14default_configENS1_27scan_by_key_config_selectorIiiEEZZNS1_16scan_by_key_implILNS1_25lookback_scan_determinismE0ELb0ES3_N6thrust23THRUST_200600_302600_NS10device_ptrIiEESB_SB_iNS9_4plusIvEENS9_8equal_toIvEEiEE10hipError_tPvRmT2_T3_T4_T5_mT6_T7_P12ihipStream_tbENKUlT_T0_E_clISt17integral_constantIbLb1EESW_EEDaSR_SS_EUlSR_E_NS1_11comp_targetILNS1_3genE10ELNS1_11target_archE1200ELNS1_3gpuE4ELNS1_3repE0EEENS1_30default_config_static_selectorELNS0_4arch9wavefront6targetE0EEEvT1_
	.p2align	8
	.type	_ZN7rocprim17ROCPRIM_400000_NS6detail17trampoline_kernelINS0_14default_configENS1_27scan_by_key_config_selectorIiiEEZZNS1_16scan_by_key_implILNS1_25lookback_scan_determinismE0ELb0ES3_N6thrust23THRUST_200600_302600_NS10device_ptrIiEESB_SB_iNS9_4plusIvEENS9_8equal_toIvEEiEE10hipError_tPvRmT2_T3_T4_T5_mT6_T7_P12ihipStream_tbENKUlT_T0_E_clISt17integral_constantIbLb1EESW_EEDaSR_SS_EUlSR_E_NS1_11comp_targetILNS1_3genE10ELNS1_11target_archE1200ELNS1_3gpuE4ELNS1_3repE0EEENS1_30default_config_static_selectorELNS0_4arch9wavefront6targetE0EEEvT1_,@function
_ZN7rocprim17ROCPRIM_400000_NS6detail17trampoline_kernelINS0_14default_configENS1_27scan_by_key_config_selectorIiiEEZZNS1_16scan_by_key_implILNS1_25lookback_scan_determinismE0ELb0ES3_N6thrust23THRUST_200600_302600_NS10device_ptrIiEESB_SB_iNS9_4plusIvEENS9_8equal_toIvEEiEE10hipError_tPvRmT2_T3_T4_T5_mT6_T7_P12ihipStream_tbENKUlT_T0_E_clISt17integral_constantIbLb1EESW_EEDaSR_SS_EUlSR_E_NS1_11comp_targetILNS1_3genE10ELNS1_11target_archE1200ELNS1_3gpuE4ELNS1_3repE0EEENS1_30default_config_static_selectorELNS0_4arch9wavefront6targetE0EEEvT1_: ; @_ZN7rocprim17ROCPRIM_400000_NS6detail17trampoline_kernelINS0_14default_configENS1_27scan_by_key_config_selectorIiiEEZZNS1_16scan_by_key_implILNS1_25lookback_scan_determinismE0ELb0ES3_N6thrust23THRUST_200600_302600_NS10device_ptrIiEESB_SB_iNS9_4plusIvEENS9_8equal_toIvEEiEE10hipError_tPvRmT2_T3_T4_T5_mT6_T7_P12ihipStream_tbENKUlT_T0_E_clISt17integral_constantIbLb1EESW_EEDaSR_SS_EUlSR_E_NS1_11comp_targetILNS1_3genE10ELNS1_11target_archE1200ELNS1_3gpuE4ELNS1_3repE0EEENS1_30default_config_static_selectorELNS0_4arch9wavefront6targetE0EEEvT1_
; %bb.0:
	.section	.rodata,"a",@progbits
	.p2align	6, 0x0
	.amdhsa_kernel _ZN7rocprim17ROCPRIM_400000_NS6detail17trampoline_kernelINS0_14default_configENS1_27scan_by_key_config_selectorIiiEEZZNS1_16scan_by_key_implILNS1_25lookback_scan_determinismE0ELb0ES3_N6thrust23THRUST_200600_302600_NS10device_ptrIiEESB_SB_iNS9_4plusIvEENS9_8equal_toIvEEiEE10hipError_tPvRmT2_T3_T4_T5_mT6_T7_P12ihipStream_tbENKUlT_T0_E_clISt17integral_constantIbLb1EESW_EEDaSR_SS_EUlSR_E_NS1_11comp_targetILNS1_3genE10ELNS1_11target_archE1200ELNS1_3gpuE4ELNS1_3repE0EEENS1_30default_config_static_selectorELNS0_4arch9wavefront6targetE0EEEvT1_
		.amdhsa_group_segment_fixed_size 0
		.amdhsa_private_segment_fixed_size 0
		.amdhsa_kernarg_size 112
		.amdhsa_user_sgpr_count 6
		.amdhsa_user_sgpr_private_segment_buffer 1
		.amdhsa_user_sgpr_dispatch_ptr 0
		.amdhsa_user_sgpr_queue_ptr 0
		.amdhsa_user_sgpr_kernarg_segment_ptr 1
		.amdhsa_user_sgpr_dispatch_id 0
		.amdhsa_user_sgpr_flat_scratch_init 0
		.amdhsa_user_sgpr_private_segment_size 0
		.amdhsa_wavefront_size32 1
		.amdhsa_uses_dynamic_stack 0
		.amdhsa_system_sgpr_private_segment_wavefront_offset 0
		.amdhsa_system_sgpr_workgroup_id_x 1
		.amdhsa_system_sgpr_workgroup_id_y 0
		.amdhsa_system_sgpr_workgroup_id_z 0
		.amdhsa_system_sgpr_workgroup_info 0
		.amdhsa_system_vgpr_workitem_id 0
		.amdhsa_next_free_vgpr 1
		.amdhsa_next_free_sgpr 1
		.amdhsa_reserve_vcc 0
		.amdhsa_reserve_flat_scratch 0
		.amdhsa_float_round_mode_32 0
		.amdhsa_float_round_mode_16_64 0
		.amdhsa_float_denorm_mode_32 3
		.amdhsa_float_denorm_mode_16_64 3
		.amdhsa_dx10_clamp 1
		.amdhsa_ieee_mode 1
		.amdhsa_fp16_overflow 0
		.amdhsa_workgroup_processor_mode 1
		.amdhsa_memory_ordered 1
		.amdhsa_forward_progress 1
		.amdhsa_shared_vgpr_count 0
		.amdhsa_exception_fp_ieee_invalid_op 0
		.amdhsa_exception_fp_denorm_src 0
		.amdhsa_exception_fp_ieee_div_zero 0
		.amdhsa_exception_fp_ieee_overflow 0
		.amdhsa_exception_fp_ieee_underflow 0
		.amdhsa_exception_fp_ieee_inexact 0
		.amdhsa_exception_int_div_zero 0
	.end_amdhsa_kernel
	.section	.text._ZN7rocprim17ROCPRIM_400000_NS6detail17trampoline_kernelINS0_14default_configENS1_27scan_by_key_config_selectorIiiEEZZNS1_16scan_by_key_implILNS1_25lookback_scan_determinismE0ELb0ES3_N6thrust23THRUST_200600_302600_NS10device_ptrIiEESB_SB_iNS9_4plusIvEENS9_8equal_toIvEEiEE10hipError_tPvRmT2_T3_T4_T5_mT6_T7_P12ihipStream_tbENKUlT_T0_E_clISt17integral_constantIbLb1EESW_EEDaSR_SS_EUlSR_E_NS1_11comp_targetILNS1_3genE10ELNS1_11target_archE1200ELNS1_3gpuE4ELNS1_3repE0EEENS1_30default_config_static_selectorELNS0_4arch9wavefront6targetE0EEEvT1_,"axG",@progbits,_ZN7rocprim17ROCPRIM_400000_NS6detail17trampoline_kernelINS0_14default_configENS1_27scan_by_key_config_selectorIiiEEZZNS1_16scan_by_key_implILNS1_25lookback_scan_determinismE0ELb0ES3_N6thrust23THRUST_200600_302600_NS10device_ptrIiEESB_SB_iNS9_4plusIvEENS9_8equal_toIvEEiEE10hipError_tPvRmT2_T3_T4_T5_mT6_T7_P12ihipStream_tbENKUlT_T0_E_clISt17integral_constantIbLb1EESW_EEDaSR_SS_EUlSR_E_NS1_11comp_targetILNS1_3genE10ELNS1_11target_archE1200ELNS1_3gpuE4ELNS1_3repE0EEENS1_30default_config_static_selectorELNS0_4arch9wavefront6targetE0EEEvT1_,comdat
.Lfunc_end2210:
	.size	_ZN7rocprim17ROCPRIM_400000_NS6detail17trampoline_kernelINS0_14default_configENS1_27scan_by_key_config_selectorIiiEEZZNS1_16scan_by_key_implILNS1_25lookback_scan_determinismE0ELb0ES3_N6thrust23THRUST_200600_302600_NS10device_ptrIiEESB_SB_iNS9_4plusIvEENS9_8equal_toIvEEiEE10hipError_tPvRmT2_T3_T4_T5_mT6_T7_P12ihipStream_tbENKUlT_T0_E_clISt17integral_constantIbLb1EESW_EEDaSR_SS_EUlSR_E_NS1_11comp_targetILNS1_3genE10ELNS1_11target_archE1200ELNS1_3gpuE4ELNS1_3repE0EEENS1_30default_config_static_selectorELNS0_4arch9wavefront6targetE0EEEvT1_, .Lfunc_end2210-_ZN7rocprim17ROCPRIM_400000_NS6detail17trampoline_kernelINS0_14default_configENS1_27scan_by_key_config_selectorIiiEEZZNS1_16scan_by_key_implILNS1_25lookback_scan_determinismE0ELb0ES3_N6thrust23THRUST_200600_302600_NS10device_ptrIiEESB_SB_iNS9_4plusIvEENS9_8equal_toIvEEiEE10hipError_tPvRmT2_T3_T4_T5_mT6_T7_P12ihipStream_tbENKUlT_T0_E_clISt17integral_constantIbLb1EESW_EEDaSR_SS_EUlSR_E_NS1_11comp_targetILNS1_3genE10ELNS1_11target_archE1200ELNS1_3gpuE4ELNS1_3repE0EEENS1_30default_config_static_selectorELNS0_4arch9wavefront6targetE0EEEvT1_
                                        ; -- End function
	.set _ZN7rocprim17ROCPRIM_400000_NS6detail17trampoline_kernelINS0_14default_configENS1_27scan_by_key_config_selectorIiiEEZZNS1_16scan_by_key_implILNS1_25lookback_scan_determinismE0ELb0ES3_N6thrust23THRUST_200600_302600_NS10device_ptrIiEESB_SB_iNS9_4plusIvEENS9_8equal_toIvEEiEE10hipError_tPvRmT2_T3_T4_T5_mT6_T7_P12ihipStream_tbENKUlT_T0_E_clISt17integral_constantIbLb1EESW_EEDaSR_SS_EUlSR_E_NS1_11comp_targetILNS1_3genE10ELNS1_11target_archE1200ELNS1_3gpuE4ELNS1_3repE0EEENS1_30default_config_static_selectorELNS0_4arch9wavefront6targetE0EEEvT1_.num_vgpr, 0
	.set _ZN7rocprim17ROCPRIM_400000_NS6detail17trampoline_kernelINS0_14default_configENS1_27scan_by_key_config_selectorIiiEEZZNS1_16scan_by_key_implILNS1_25lookback_scan_determinismE0ELb0ES3_N6thrust23THRUST_200600_302600_NS10device_ptrIiEESB_SB_iNS9_4plusIvEENS9_8equal_toIvEEiEE10hipError_tPvRmT2_T3_T4_T5_mT6_T7_P12ihipStream_tbENKUlT_T0_E_clISt17integral_constantIbLb1EESW_EEDaSR_SS_EUlSR_E_NS1_11comp_targetILNS1_3genE10ELNS1_11target_archE1200ELNS1_3gpuE4ELNS1_3repE0EEENS1_30default_config_static_selectorELNS0_4arch9wavefront6targetE0EEEvT1_.num_agpr, 0
	.set _ZN7rocprim17ROCPRIM_400000_NS6detail17trampoline_kernelINS0_14default_configENS1_27scan_by_key_config_selectorIiiEEZZNS1_16scan_by_key_implILNS1_25lookback_scan_determinismE0ELb0ES3_N6thrust23THRUST_200600_302600_NS10device_ptrIiEESB_SB_iNS9_4plusIvEENS9_8equal_toIvEEiEE10hipError_tPvRmT2_T3_T4_T5_mT6_T7_P12ihipStream_tbENKUlT_T0_E_clISt17integral_constantIbLb1EESW_EEDaSR_SS_EUlSR_E_NS1_11comp_targetILNS1_3genE10ELNS1_11target_archE1200ELNS1_3gpuE4ELNS1_3repE0EEENS1_30default_config_static_selectorELNS0_4arch9wavefront6targetE0EEEvT1_.numbered_sgpr, 0
	.set _ZN7rocprim17ROCPRIM_400000_NS6detail17trampoline_kernelINS0_14default_configENS1_27scan_by_key_config_selectorIiiEEZZNS1_16scan_by_key_implILNS1_25lookback_scan_determinismE0ELb0ES3_N6thrust23THRUST_200600_302600_NS10device_ptrIiEESB_SB_iNS9_4plusIvEENS9_8equal_toIvEEiEE10hipError_tPvRmT2_T3_T4_T5_mT6_T7_P12ihipStream_tbENKUlT_T0_E_clISt17integral_constantIbLb1EESW_EEDaSR_SS_EUlSR_E_NS1_11comp_targetILNS1_3genE10ELNS1_11target_archE1200ELNS1_3gpuE4ELNS1_3repE0EEENS1_30default_config_static_selectorELNS0_4arch9wavefront6targetE0EEEvT1_.num_named_barrier, 0
	.set _ZN7rocprim17ROCPRIM_400000_NS6detail17trampoline_kernelINS0_14default_configENS1_27scan_by_key_config_selectorIiiEEZZNS1_16scan_by_key_implILNS1_25lookback_scan_determinismE0ELb0ES3_N6thrust23THRUST_200600_302600_NS10device_ptrIiEESB_SB_iNS9_4plusIvEENS9_8equal_toIvEEiEE10hipError_tPvRmT2_T3_T4_T5_mT6_T7_P12ihipStream_tbENKUlT_T0_E_clISt17integral_constantIbLb1EESW_EEDaSR_SS_EUlSR_E_NS1_11comp_targetILNS1_3genE10ELNS1_11target_archE1200ELNS1_3gpuE4ELNS1_3repE0EEENS1_30default_config_static_selectorELNS0_4arch9wavefront6targetE0EEEvT1_.private_seg_size, 0
	.set _ZN7rocprim17ROCPRIM_400000_NS6detail17trampoline_kernelINS0_14default_configENS1_27scan_by_key_config_selectorIiiEEZZNS1_16scan_by_key_implILNS1_25lookback_scan_determinismE0ELb0ES3_N6thrust23THRUST_200600_302600_NS10device_ptrIiEESB_SB_iNS9_4plusIvEENS9_8equal_toIvEEiEE10hipError_tPvRmT2_T3_T4_T5_mT6_T7_P12ihipStream_tbENKUlT_T0_E_clISt17integral_constantIbLb1EESW_EEDaSR_SS_EUlSR_E_NS1_11comp_targetILNS1_3genE10ELNS1_11target_archE1200ELNS1_3gpuE4ELNS1_3repE0EEENS1_30default_config_static_selectorELNS0_4arch9wavefront6targetE0EEEvT1_.uses_vcc, 0
	.set _ZN7rocprim17ROCPRIM_400000_NS6detail17trampoline_kernelINS0_14default_configENS1_27scan_by_key_config_selectorIiiEEZZNS1_16scan_by_key_implILNS1_25lookback_scan_determinismE0ELb0ES3_N6thrust23THRUST_200600_302600_NS10device_ptrIiEESB_SB_iNS9_4plusIvEENS9_8equal_toIvEEiEE10hipError_tPvRmT2_T3_T4_T5_mT6_T7_P12ihipStream_tbENKUlT_T0_E_clISt17integral_constantIbLb1EESW_EEDaSR_SS_EUlSR_E_NS1_11comp_targetILNS1_3genE10ELNS1_11target_archE1200ELNS1_3gpuE4ELNS1_3repE0EEENS1_30default_config_static_selectorELNS0_4arch9wavefront6targetE0EEEvT1_.uses_flat_scratch, 0
	.set _ZN7rocprim17ROCPRIM_400000_NS6detail17trampoline_kernelINS0_14default_configENS1_27scan_by_key_config_selectorIiiEEZZNS1_16scan_by_key_implILNS1_25lookback_scan_determinismE0ELb0ES3_N6thrust23THRUST_200600_302600_NS10device_ptrIiEESB_SB_iNS9_4plusIvEENS9_8equal_toIvEEiEE10hipError_tPvRmT2_T3_T4_T5_mT6_T7_P12ihipStream_tbENKUlT_T0_E_clISt17integral_constantIbLb1EESW_EEDaSR_SS_EUlSR_E_NS1_11comp_targetILNS1_3genE10ELNS1_11target_archE1200ELNS1_3gpuE4ELNS1_3repE0EEENS1_30default_config_static_selectorELNS0_4arch9wavefront6targetE0EEEvT1_.has_dyn_sized_stack, 0
	.set _ZN7rocprim17ROCPRIM_400000_NS6detail17trampoline_kernelINS0_14default_configENS1_27scan_by_key_config_selectorIiiEEZZNS1_16scan_by_key_implILNS1_25lookback_scan_determinismE0ELb0ES3_N6thrust23THRUST_200600_302600_NS10device_ptrIiEESB_SB_iNS9_4plusIvEENS9_8equal_toIvEEiEE10hipError_tPvRmT2_T3_T4_T5_mT6_T7_P12ihipStream_tbENKUlT_T0_E_clISt17integral_constantIbLb1EESW_EEDaSR_SS_EUlSR_E_NS1_11comp_targetILNS1_3genE10ELNS1_11target_archE1200ELNS1_3gpuE4ELNS1_3repE0EEENS1_30default_config_static_selectorELNS0_4arch9wavefront6targetE0EEEvT1_.has_recursion, 0
	.set _ZN7rocprim17ROCPRIM_400000_NS6detail17trampoline_kernelINS0_14default_configENS1_27scan_by_key_config_selectorIiiEEZZNS1_16scan_by_key_implILNS1_25lookback_scan_determinismE0ELb0ES3_N6thrust23THRUST_200600_302600_NS10device_ptrIiEESB_SB_iNS9_4plusIvEENS9_8equal_toIvEEiEE10hipError_tPvRmT2_T3_T4_T5_mT6_T7_P12ihipStream_tbENKUlT_T0_E_clISt17integral_constantIbLb1EESW_EEDaSR_SS_EUlSR_E_NS1_11comp_targetILNS1_3genE10ELNS1_11target_archE1200ELNS1_3gpuE4ELNS1_3repE0EEENS1_30default_config_static_selectorELNS0_4arch9wavefront6targetE0EEEvT1_.has_indirect_call, 0
	.section	.AMDGPU.csdata,"",@progbits
; Kernel info:
; codeLenInByte = 0
; TotalNumSgprs: 0
; NumVgprs: 0
; ScratchSize: 0
; MemoryBound: 0
; FloatMode: 240
; IeeeMode: 1
; LDSByteSize: 0 bytes/workgroup (compile time only)
; SGPRBlocks: 0
; VGPRBlocks: 0
; NumSGPRsForWavesPerEU: 1
; NumVGPRsForWavesPerEU: 1
; Occupancy: 16
; WaveLimiterHint : 0
; COMPUTE_PGM_RSRC2:SCRATCH_EN: 0
; COMPUTE_PGM_RSRC2:USER_SGPR: 6
; COMPUTE_PGM_RSRC2:TRAP_HANDLER: 0
; COMPUTE_PGM_RSRC2:TGID_X_EN: 1
; COMPUTE_PGM_RSRC2:TGID_Y_EN: 0
; COMPUTE_PGM_RSRC2:TGID_Z_EN: 0
; COMPUTE_PGM_RSRC2:TIDIG_COMP_CNT: 0
	.section	.text._ZN7rocprim17ROCPRIM_400000_NS6detail17trampoline_kernelINS0_14default_configENS1_27scan_by_key_config_selectorIiiEEZZNS1_16scan_by_key_implILNS1_25lookback_scan_determinismE0ELb0ES3_N6thrust23THRUST_200600_302600_NS10device_ptrIiEESB_SB_iNS9_4plusIvEENS9_8equal_toIvEEiEE10hipError_tPvRmT2_T3_T4_T5_mT6_T7_P12ihipStream_tbENKUlT_T0_E_clISt17integral_constantIbLb1EESW_EEDaSR_SS_EUlSR_E_NS1_11comp_targetILNS1_3genE9ELNS1_11target_archE1100ELNS1_3gpuE3ELNS1_3repE0EEENS1_30default_config_static_selectorELNS0_4arch9wavefront6targetE0EEEvT1_,"axG",@progbits,_ZN7rocprim17ROCPRIM_400000_NS6detail17trampoline_kernelINS0_14default_configENS1_27scan_by_key_config_selectorIiiEEZZNS1_16scan_by_key_implILNS1_25lookback_scan_determinismE0ELb0ES3_N6thrust23THRUST_200600_302600_NS10device_ptrIiEESB_SB_iNS9_4plusIvEENS9_8equal_toIvEEiEE10hipError_tPvRmT2_T3_T4_T5_mT6_T7_P12ihipStream_tbENKUlT_T0_E_clISt17integral_constantIbLb1EESW_EEDaSR_SS_EUlSR_E_NS1_11comp_targetILNS1_3genE9ELNS1_11target_archE1100ELNS1_3gpuE3ELNS1_3repE0EEENS1_30default_config_static_selectorELNS0_4arch9wavefront6targetE0EEEvT1_,comdat
	.protected	_ZN7rocprim17ROCPRIM_400000_NS6detail17trampoline_kernelINS0_14default_configENS1_27scan_by_key_config_selectorIiiEEZZNS1_16scan_by_key_implILNS1_25lookback_scan_determinismE0ELb0ES3_N6thrust23THRUST_200600_302600_NS10device_ptrIiEESB_SB_iNS9_4plusIvEENS9_8equal_toIvEEiEE10hipError_tPvRmT2_T3_T4_T5_mT6_T7_P12ihipStream_tbENKUlT_T0_E_clISt17integral_constantIbLb1EESW_EEDaSR_SS_EUlSR_E_NS1_11comp_targetILNS1_3genE9ELNS1_11target_archE1100ELNS1_3gpuE3ELNS1_3repE0EEENS1_30default_config_static_selectorELNS0_4arch9wavefront6targetE0EEEvT1_ ; -- Begin function _ZN7rocprim17ROCPRIM_400000_NS6detail17trampoline_kernelINS0_14default_configENS1_27scan_by_key_config_selectorIiiEEZZNS1_16scan_by_key_implILNS1_25lookback_scan_determinismE0ELb0ES3_N6thrust23THRUST_200600_302600_NS10device_ptrIiEESB_SB_iNS9_4plusIvEENS9_8equal_toIvEEiEE10hipError_tPvRmT2_T3_T4_T5_mT6_T7_P12ihipStream_tbENKUlT_T0_E_clISt17integral_constantIbLb1EESW_EEDaSR_SS_EUlSR_E_NS1_11comp_targetILNS1_3genE9ELNS1_11target_archE1100ELNS1_3gpuE3ELNS1_3repE0EEENS1_30default_config_static_selectorELNS0_4arch9wavefront6targetE0EEEvT1_
	.globl	_ZN7rocprim17ROCPRIM_400000_NS6detail17trampoline_kernelINS0_14default_configENS1_27scan_by_key_config_selectorIiiEEZZNS1_16scan_by_key_implILNS1_25lookback_scan_determinismE0ELb0ES3_N6thrust23THRUST_200600_302600_NS10device_ptrIiEESB_SB_iNS9_4plusIvEENS9_8equal_toIvEEiEE10hipError_tPvRmT2_T3_T4_T5_mT6_T7_P12ihipStream_tbENKUlT_T0_E_clISt17integral_constantIbLb1EESW_EEDaSR_SS_EUlSR_E_NS1_11comp_targetILNS1_3genE9ELNS1_11target_archE1100ELNS1_3gpuE3ELNS1_3repE0EEENS1_30default_config_static_selectorELNS0_4arch9wavefront6targetE0EEEvT1_
	.p2align	8
	.type	_ZN7rocprim17ROCPRIM_400000_NS6detail17trampoline_kernelINS0_14default_configENS1_27scan_by_key_config_selectorIiiEEZZNS1_16scan_by_key_implILNS1_25lookback_scan_determinismE0ELb0ES3_N6thrust23THRUST_200600_302600_NS10device_ptrIiEESB_SB_iNS9_4plusIvEENS9_8equal_toIvEEiEE10hipError_tPvRmT2_T3_T4_T5_mT6_T7_P12ihipStream_tbENKUlT_T0_E_clISt17integral_constantIbLb1EESW_EEDaSR_SS_EUlSR_E_NS1_11comp_targetILNS1_3genE9ELNS1_11target_archE1100ELNS1_3gpuE3ELNS1_3repE0EEENS1_30default_config_static_selectorELNS0_4arch9wavefront6targetE0EEEvT1_,@function
_ZN7rocprim17ROCPRIM_400000_NS6detail17trampoline_kernelINS0_14default_configENS1_27scan_by_key_config_selectorIiiEEZZNS1_16scan_by_key_implILNS1_25lookback_scan_determinismE0ELb0ES3_N6thrust23THRUST_200600_302600_NS10device_ptrIiEESB_SB_iNS9_4plusIvEENS9_8equal_toIvEEiEE10hipError_tPvRmT2_T3_T4_T5_mT6_T7_P12ihipStream_tbENKUlT_T0_E_clISt17integral_constantIbLb1EESW_EEDaSR_SS_EUlSR_E_NS1_11comp_targetILNS1_3genE9ELNS1_11target_archE1100ELNS1_3gpuE3ELNS1_3repE0EEENS1_30default_config_static_selectorELNS0_4arch9wavefront6targetE0EEEvT1_: ; @_ZN7rocprim17ROCPRIM_400000_NS6detail17trampoline_kernelINS0_14default_configENS1_27scan_by_key_config_selectorIiiEEZZNS1_16scan_by_key_implILNS1_25lookback_scan_determinismE0ELb0ES3_N6thrust23THRUST_200600_302600_NS10device_ptrIiEESB_SB_iNS9_4plusIvEENS9_8equal_toIvEEiEE10hipError_tPvRmT2_T3_T4_T5_mT6_T7_P12ihipStream_tbENKUlT_T0_E_clISt17integral_constantIbLb1EESW_EEDaSR_SS_EUlSR_E_NS1_11comp_targetILNS1_3genE9ELNS1_11target_archE1100ELNS1_3gpuE3ELNS1_3repE0EEENS1_30default_config_static_selectorELNS0_4arch9wavefront6targetE0EEEvT1_
; %bb.0:
	.section	.rodata,"a",@progbits
	.p2align	6, 0x0
	.amdhsa_kernel _ZN7rocprim17ROCPRIM_400000_NS6detail17trampoline_kernelINS0_14default_configENS1_27scan_by_key_config_selectorIiiEEZZNS1_16scan_by_key_implILNS1_25lookback_scan_determinismE0ELb0ES3_N6thrust23THRUST_200600_302600_NS10device_ptrIiEESB_SB_iNS9_4plusIvEENS9_8equal_toIvEEiEE10hipError_tPvRmT2_T3_T4_T5_mT6_T7_P12ihipStream_tbENKUlT_T0_E_clISt17integral_constantIbLb1EESW_EEDaSR_SS_EUlSR_E_NS1_11comp_targetILNS1_3genE9ELNS1_11target_archE1100ELNS1_3gpuE3ELNS1_3repE0EEENS1_30default_config_static_selectorELNS0_4arch9wavefront6targetE0EEEvT1_
		.amdhsa_group_segment_fixed_size 0
		.amdhsa_private_segment_fixed_size 0
		.amdhsa_kernarg_size 112
		.amdhsa_user_sgpr_count 6
		.amdhsa_user_sgpr_private_segment_buffer 1
		.amdhsa_user_sgpr_dispatch_ptr 0
		.amdhsa_user_sgpr_queue_ptr 0
		.amdhsa_user_sgpr_kernarg_segment_ptr 1
		.amdhsa_user_sgpr_dispatch_id 0
		.amdhsa_user_sgpr_flat_scratch_init 0
		.amdhsa_user_sgpr_private_segment_size 0
		.amdhsa_wavefront_size32 1
		.amdhsa_uses_dynamic_stack 0
		.amdhsa_system_sgpr_private_segment_wavefront_offset 0
		.amdhsa_system_sgpr_workgroup_id_x 1
		.amdhsa_system_sgpr_workgroup_id_y 0
		.amdhsa_system_sgpr_workgroup_id_z 0
		.amdhsa_system_sgpr_workgroup_info 0
		.amdhsa_system_vgpr_workitem_id 0
		.amdhsa_next_free_vgpr 1
		.amdhsa_next_free_sgpr 1
		.amdhsa_reserve_vcc 0
		.amdhsa_reserve_flat_scratch 0
		.amdhsa_float_round_mode_32 0
		.amdhsa_float_round_mode_16_64 0
		.amdhsa_float_denorm_mode_32 3
		.amdhsa_float_denorm_mode_16_64 3
		.amdhsa_dx10_clamp 1
		.amdhsa_ieee_mode 1
		.amdhsa_fp16_overflow 0
		.amdhsa_workgroup_processor_mode 1
		.amdhsa_memory_ordered 1
		.amdhsa_forward_progress 1
		.amdhsa_shared_vgpr_count 0
		.amdhsa_exception_fp_ieee_invalid_op 0
		.amdhsa_exception_fp_denorm_src 0
		.amdhsa_exception_fp_ieee_div_zero 0
		.amdhsa_exception_fp_ieee_overflow 0
		.amdhsa_exception_fp_ieee_underflow 0
		.amdhsa_exception_fp_ieee_inexact 0
		.amdhsa_exception_int_div_zero 0
	.end_amdhsa_kernel
	.section	.text._ZN7rocprim17ROCPRIM_400000_NS6detail17trampoline_kernelINS0_14default_configENS1_27scan_by_key_config_selectorIiiEEZZNS1_16scan_by_key_implILNS1_25lookback_scan_determinismE0ELb0ES3_N6thrust23THRUST_200600_302600_NS10device_ptrIiEESB_SB_iNS9_4plusIvEENS9_8equal_toIvEEiEE10hipError_tPvRmT2_T3_T4_T5_mT6_T7_P12ihipStream_tbENKUlT_T0_E_clISt17integral_constantIbLb1EESW_EEDaSR_SS_EUlSR_E_NS1_11comp_targetILNS1_3genE9ELNS1_11target_archE1100ELNS1_3gpuE3ELNS1_3repE0EEENS1_30default_config_static_selectorELNS0_4arch9wavefront6targetE0EEEvT1_,"axG",@progbits,_ZN7rocprim17ROCPRIM_400000_NS6detail17trampoline_kernelINS0_14default_configENS1_27scan_by_key_config_selectorIiiEEZZNS1_16scan_by_key_implILNS1_25lookback_scan_determinismE0ELb0ES3_N6thrust23THRUST_200600_302600_NS10device_ptrIiEESB_SB_iNS9_4plusIvEENS9_8equal_toIvEEiEE10hipError_tPvRmT2_T3_T4_T5_mT6_T7_P12ihipStream_tbENKUlT_T0_E_clISt17integral_constantIbLb1EESW_EEDaSR_SS_EUlSR_E_NS1_11comp_targetILNS1_3genE9ELNS1_11target_archE1100ELNS1_3gpuE3ELNS1_3repE0EEENS1_30default_config_static_selectorELNS0_4arch9wavefront6targetE0EEEvT1_,comdat
.Lfunc_end2211:
	.size	_ZN7rocprim17ROCPRIM_400000_NS6detail17trampoline_kernelINS0_14default_configENS1_27scan_by_key_config_selectorIiiEEZZNS1_16scan_by_key_implILNS1_25lookback_scan_determinismE0ELb0ES3_N6thrust23THRUST_200600_302600_NS10device_ptrIiEESB_SB_iNS9_4plusIvEENS9_8equal_toIvEEiEE10hipError_tPvRmT2_T3_T4_T5_mT6_T7_P12ihipStream_tbENKUlT_T0_E_clISt17integral_constantIbLb1EESW_EEDaSR_SS_EUlSR_E_NS1_11comp_targetILNS1_3genE9ELNS1_11target_archE1100ELNS1_3gpuE3ELNS1_3repE0EEENS1_30default_config_static_selectorELNS0_4arch9wavefront6targetE0EEEvT1_, .Lfunc_end2211-_ZN7rocprim17ROCPRIM_400000_NS6detail17trampoline_kernelINS0_14default_configENS1_27scan_by_key_config_selectorIiiEEZZNS1_16scan_by_key_implILNS1_25lookback_scan_determinismE0ELb0ES3_N6thrust23THRUST_200600_302600_NS10device_ptrIiEESB_SB_iNS9_4plusIvEENS9_8equal_toIvEEiEE10hipError_tPvRmT2_T3_T4_T5_mT6_T7_P12ihipStream_tbENKUlT_T0_E_clISt17integral_constantIbLb1EESW_EEDaSR_SS_EUlSR_E_NS1_11comp_targetILNS1_3genE9ELNS1_11target_archE1100ELNS1_3gpuE3ELNS1_3repE0EEENS1_30default_config_static_selectorELNS0_4arch9wavefront6targetE0EEEvT1_
                                        ; -- End function
	.set _ZN7rocprim17ROCPRIM_400000_NS6detail17trampoline_kernelINS0_14default_configENS1_27scan_by_key_config_selectorIiiEEZZNS1_16scan_by_key_implILNS1_25lookback_scan_determinismE0ELb0ES3_N6thrust23THRUST_200600_302600_NS10device_ptrIiEESB_SB_iNS9_4plusIvEENS9_8equal_toIvEEiEE10hipError_tPvRmT2_T3_T4_T5_mT6_T7_P12ihipStream_tbENKUlT_T0_E_clISt17integral_constantIbLb1EESW_EEDaSR_SS_EUlSR_E_NS1_11comp_targetILNS1_3genE9ELNS1_11target_archE1100ELNS1_3gpuE3ELNS1_3repE0EEENS1_30default_config_static_selectorELNS0_4arch9wavefront6targetE0EEEvT1_.num_vgpr, 0
	.set _ZN7rocprim17ROCPRIM_400000_NS6detail17trampoline_kernelINS0_14default_configENS1_27scan_by_key_config_selectorIiiEEZZNS1_16scan_by_key_implILNS1_25lookback_scan_determinismE0ELb0ES3_N6thrust23THRUST_200600_302600_NS10device_ptrIiEESB_SB_iNS9_4plusIvEENS9_8equal_toIvEEiEE10hipError_tPvRmT2_T3_T4_T5_mT6_T7_P12ihipStream_tbENKUlT_T0_E_clISt17integral_constantIbLb1EESW_EEDaSR_SS_EUlSR_E_NS1_11comp_targetILNS1_3genE9ELNS1_11target_archE1100ELNS1_3gpuE3ELNS1_3repE0EEENS1_30default_config_static_selectorELNS0_4arch9wavefront6targetE0EEEvT1_.num_agpr, 0
	.set _ZN7rocprim17ROCPRIM_400000_NS6detail17trampoline_kernelINS0_14default_configENS1_27scan_by_key_config_selectorIiiEEZZNS1_16scan_by_key_implILNS1_25lookback_scan_determinismE0ELb0ES3_N6thrust23THRUST_200600_302600_NS10device_ptrIiEESB_SB_iNS9_4plusIvEENS9_8equal_toIvEEiEE10hipError_tPvRmT2_T3_T4_T5_mT6_T7_P12ihipStream_tbENKUlT_T0_E_clISt17integral_constantIbLb1EESW_EEDaSR_SS_EUlSR_E_NS1_11comp_targetILNS1_3genE9ELNS1_11target_archE1100ELNS1_3gpuE3ELNS1_3repE0EEENS1_30default_config_static_selectorELNS0_4arch9wavefront6targetE0EEEvT1_.numbered_sgpr, 0
	.set _ZN7rocprim17ROCPRIM_400000_NS6detail17trampoline_kernelINS0_14default_configENS1_27scan_by_key_config_selectorIiiEEZZNS1_16scan_by_key_implILNS1_25lookback_scan_determinismE0ELb0ES3_N6thrust23THRUST_200600_302600_NS10device_ptrIiEESB_SB_iNS9_4plusIvEENS9_8equal_toIvEEiEE10hipError_tPvRmT2_T3_T4_T5_mT6_T7_P12ihipStream_tbENKUlT_T0_E_clISt17integral_constantIbLb1EESW_EEDaSR_SS_EUlSR_E_NS1_11comp_targetILNS1_3genE9ELNS1_11target_archE1100ELNS1_3gpuE3ELNS1_3repE0EEENS1_30default_config_static_selectorELNS0_4arch9wavefront6targetE0EEEvT1_.num_named_barrier, 0
	.set _ZN7rocprim17ROCPRIM_400000_NS6detail17trampoline_kernelINS0_14default_configENS1_27scan_by_key_config_selectorIiiEEZZNS1_16scan_by_key_implILNS1_25lookback_scan_determinismE0ELb0ES3_N6thrust23THRUST_200600_302600_NS10device_ptrIiEESB_SB_iNS9_4plusIvEENS9_8equal_toIvEEiEE10hipError_tPvRmT2_T3_T4_T5_mT6_T7_P12ihipStream_tbENKUlT_T0_E_clISt17integral_constantIbLb1EESW_EEDaSR_SS_EUlSR_E_NS1_11comp_targetILNS1_3genE9ELNS1_11target_archE1100ELNS1_3gpuE3ELNS1_3repE0EEENS1_30default_config_static_selectorELNS0_4arch9wavefront6targetE0EEEvT1_.private_seg_size, 0
	.set _ZN7rocprim17ROCPRIM_400000_NS6detail17trampoline_kernelINS0_14default_configENS1_27scan_by_key_config_selectorIiiEEZZNS1_16scan_by_key_implILNS1_25lookback_scan_determinismE0ELb0ES3_N6thrust23THRUST_200600_302600_NS10device_ptrIiEESB_SB_iNS9_4plusIvEENS9_8equal_toIvEEiEE10hipError_tPvRmT2_T3_T4_T5_mT6_T7_P12ihipStream_tbENKUlT_T0_E_clISt17integral_constantIbLb1EESW_EEDaSR_SS_EUlSR_E_NS1_11comp_targetILNS1_3genE9ELNS1_11target_archE1100ELNS1_3gpuE3ELNS1_3repE0EEENS1_30default_config_static_selectorELNS0_4arch9wavefront6targetE0EEEvT1_.uses_vcc, 0
	.set _ZN7rocprim17ROCPRIM_400000_NS6detail17trampoline_kernelINS0_14default_configENS1_27scan_by_key_config_selectorIiiEEZZNS1_16scan_by_key_implILNS1_25lookback_scan_determinismE0ELb0ES3_N6thrust23THRUST_200600_302600_NS10device_ptrIiEESB_SB_iNS9_4plusIvEENS9_8equal_toIvEEiEE10hipError_tPvRmT2_T3_T4_T5_mT6_T7_P12ihipStream_tbENKUlT_T0_E_clISt17integral_constantIbLb1EESW_EEDaSR_SS_EUlSR_E_NS1_11comp_targetILNS1_3genE9ELNS1_11target_archE1100ELNS1_3gpuE3ELNS1_3repE0EEENS1_30default_config_static_selectorELNS0_4arch9wavefront6targetE0EEEvT1_.uses_flat_scratch, 0
	.set _ZN7rocprim17ROCPRIM_400000_NS6detail17trampoline_kernelINS0_14default_configENS1_27scan_by_key_config_selectorIiiEEZZNS1_16scan_by_key_implILNS1_25lookback_scan_determinismE0ELb0ES3_N6thrust23THRUST_200600_302600_NS10device_ptrIiEESB_SB_iNS9_4plusIvEENS9_8equal_toIvEEiEE10hipError_tPvRmT2_T3_T4_T5_mT6_T7_P12ihipStream_tbENKUlT_T0_E_clISt17integral_constantIbLb1EESW_EEDaSR_SS_EUlSR_E_NS1_11comp_targetILNS1_3genE9ELNS1_11target_archE1100ELNS1_3gpuE3ELNS1_3repE0EEENS1_30default_config_static_selectorELNS0_4arch9wavefront6targetE0EEEvT1_.has_dyn_sized_stack, 0
	.set _ZN7rocprim17ROCPRIM_400000_NS6detail17trampoline_kernelINS0_14default_configENS1_27scan_by_key_config_selectorIiiEEZZNS1_16scan_by_key_implILNS1_25lookback_scan_determinismE0ELb0ES3_N6thrust23THRUST_200600_302600_NS10device_ptrIiEESB_SB_iNS9_4plusIvEENS9_8equal_toIvEEiEE10hipError_tPvRmT2_T3_T4_T5_mT6_T7_P12ihipStream_tbENKUlT_T0_E_clISt17integral_constantIbLb1EESW_EEDaSR_SS_EUlSR_E_NS1_11comp_targetILNS1_3genE9ELNS1_11target_archE1100ELNS1_3gpuE3ELNS1_3repE0EEENS1_30default_config_static_selectorELNS0_4arch9wavefront6targetE0EEEvT1_.has_recursion, 0
	.set _ZN7rocprim17ROCPRIM_400000_NS6detail17trampoline_kernelINS0_14default_configENS1_27scan_by_key_config_selectorIiiEEZZNS1_16scan_by_key_implILNS1_25lookback_scan_determinismE0ELb0ES3_N6thrust23THRUST_200600_302600_NS10device_ptrIiEESB_SB_iNS9_4plusIvEENS9_8equal_toIvEEiEE10hipError_tPvRmT2_T3_T4_T5_mT6_T7_P12ihipStream_tbENKUlT_T0_E_clISt17integral_constantIbLb1EESW_EEDaSR_SS_EUlSR_E_NS1_11comp_targetILNS1_3genE9ELNS1_11target_archE1100ELNS1_3gpuE3ELNS1_3repE0EEENS1_30default_config_static_selectorELNS0_4arch9wavefront6targetE0EEEvT1_.has_indirect_call, 0
	.section	.AMDGPU.csdata,"",@progbits
; Kernel info:
; codeLenInByte = 0
; TotalNumSgprs: 0
; NumVgprs: 0
; ScratchSize: 0
; MemoryBound: 0
; FloatMode: 240
; IeeeMode: 1
; LDSByteSize: 0 bytes/workgroup (compile time only)
; SGPRBlocks: 0
; VGPRBlocks: 0
; NumSGPRsForWavesPerEU: 1
; NumVGPRsForWavesPerEU: 1
; Occupancy: 16
; WaveLimiterHint : 0
; COMPUTE_PGM_RSRC2:SCRATCH_EN: 0
; COMPUTE_PGM_RSRC2:USER_SGPR: 6
; COMPUTE_PGM_RSRC2:TRAP_HANDLER: 0
; COMPUTE_PGM_RSRC2:TGID_X_EN: 1
; COMPUTE_PGM_RSRC2:TGID_Y_EN: 0
; COMPUTE_PGM_RSRC2:TGID_Z_EN: 0
; COMPUTE_PGM_RSRC2:TIDIG_COMP_CNT: 0
	.section	.text._ZN7rocprim17ROCPRIM_400000_NS6detail17trampoline_kernelINS0_14default_configENS1_27scan_by_key_config_selectorIiiEEZZNS1_16scan_by_key_implILNS1_25lookback_scan_determinismE0ELb0ES3_N6thrust23THRUST_200600_302600_NS10device_ptrIiEESB_SB_iNS9_4plusIvEENS9_8equal_toIvEEiEE10hipError_tPvRmT2_T3_T4_T5_mT6_T7_P12ihipStream_tbENKUlT_T0_E_clISt17integral_constantIbLb1EESW_EEDaSR_SS_EUlSR_E_NS1_11comp_targetILNS1_3genE8ELNS1_11target_archE1030ELNS1_3gpuE2ELNS1_3repE0EEENS1_30default_config_static_selectorELNS0_4arch9wavefront6targetE0EEEvT1_,"axG",@progbits,_ZN7rocprim17ROCPRIM_400000_NS6detail17trampoline_kernelINS0_14default_configENS1_27scan_by_key_config_selectorIiiEEZZNS1_16scan_by_key_implILNS1_25lookback_scan_determinismE0ELb0ES3_N6thrust23THRUST_200600_302600_NS10device_ptrIiEESB_SB_iNS9_4plusIvEENS9_8equal_toIvEEiEE10hipError_tPvRmT2_T3_T4_T5_mT6_T7_P12ihipStream_tbENKUlT_T0_E_clISt17integral_constantIbLb1EESW_EEDaSR_SS_EUlSR_E_NS1_11comp_targetILNS1_3genE8ELNS1_11target_archE1030ELNS1_3gpuE2ELNS1_3repE0EEENS1_30default_config_static_selectorELNS0_4arch9wavefront6targetE0EEEvT1_,comdat
	.protected	_ZN7rocprim17ROCPRIM_400000_NS6detail17trampoline_kernelINS0_14default_configENS1_27scan_by_key_config_selectorIiiEEZZNS1_16scan_by_key_implILNS1_25lookback_scan_determinismE0ELb0ES3_N6thrust23THRUST_200600_302600_NS10device_ptrIiEESB_SB_iNS9_4plusIvEENS9_8equal_toIvEEiEE10hipError_tPvRmT2_T3_T4_T5_mT6_T7_P12ihipStream_tbENKUlT_T0_E_clISt17integral_constantIbLb1EESW_EEDaSR_SS_EUlSR_E_NS1_11comp_targetILNS1_3genE8ELNS1_11target_archE1030ELNS1_3gpuE2ELNS1_3repE0EEENS1_30default_config_static_selectorELNS0_4arch9wavefront6targetE0EEEvT1_ ; -- Begin function _ZN7rocprim17ROCPRIM_400000_NS6detail17trampoline_kernelINS0_14default_configENS1_27scan_by_key_config_selectorIiiEEZZNS1_16scan_by_key_implILNS1_25lookback_scan_determinismE0ELb0ES3_N6thrust23THRUST_200600_302600_NS10device_ptrIiEESB_SB_iNS9_4plusIvEENS9_8equal_toIvEEiEE10hipError_tPvRmT2_T3_T4_T5_mT6_T7_P12ihipStream_tbENKUlT_T0_E_clISt17integral_constantIbLb1EESW_EEDaSR_SS_EUlSR_E_NS1_11comp_targetILNS1_3genE8ELNS1_11target_archE1030ELNS1_3gpuE2ELNS1_3repE0EEENS1_30default_config_static_selectorELNS0_4arch9wavefront6targetE0EEEvT1_
	.globl	_ZN7rocprim17ROCPRIM_400000_NS6detail17trampoline_kernelINS0_14default_configENS1_27scan_by_key_config_selectorIiiEEZZNS1_16scan_by_key_implILNS1_25lookback_scan_determinismE0ELb0ES3_N6thrust23THRUST_200600_302600_NS10device_ptrIiEESB_SB_iNS9_4plusIvEENS9_8equal_toIvEEiEE10hipError_tPvRmT2_T3_T4_T5_mT6_T7_P12ihipStream_tbENKUlT_T0_E_clISt17integral_constantIbLb1EESW_EEDaSR_SS_EUlSR_E_NS1_11comp_targetILNS1_3genE8ELNS1_11target_archE1030ELNS1_3gpuE2ELNS1_3repE0EEENS1_30default_config_static_selectorELNS0_4arch9wavefront6targetE0EEEvT1_
	.p2align	8
	.type	_ZN7rocprim17ROCPRIM_400000_NS6detail17trampoline_kernelINS0_14default_configENS1_27scan_by_key_config_selectorIiiEEZZNS1_16scan_by_key_implILNS1_25lookback_scan_determinismE0ELb0ES3_N6thrust23THRUST_200600_302600_NS10device_ptrIiEESB_SB_iNS9_4plusIvEENS9_8equal_toIvEEiEE10hipError_tPvRmT2_T3_T4_T5_mT6_T7_P12ihipStream_tbENKUlT_T0_E_clISt17integral_constantIbLb1EESW_EEDaSR_SS_EUlSR_E_NS1_11comp_targetILNS1_3genE8ELNS1_11target_archE1030ELNS1_3gpuE2ELNS1_3repE0EEENS1_30default_config_static_selectorELNS0_4arch9wavefront6targetE0EEEvT1_,@function
_ZN7rocprim17ROCPRIM_400000_NS6detail17trampoline_kernelINS0_14default_configENS1_27scan_by_key_config_selectorIiiEEZZNS1_16scan_by_key_implILNS1_25lookback_scan_determinismE0ELb0ES3_N6thrust23THRUST_200600_302600_NS10device_ptrIiEESB_SB_iNS9_4plusIvEENS9_8equal_toIvEEiEE10hipError_tPvRmT2_T3_T4_T5_mT6_T7_P12ihipStream_tbENKUlT_T0_E_clISt17integral_constantIbLb1EESW_EEDaSR_SS_EUlSR_E_NS1_11comp_targetILNS1_3genE8ELNS1_11target_archE1030ELNS1_3gpuE2ELNS1_3repE0EEENS1_30default_config_static_selectorELNS0_4arch9wavefront6targetE0EEEvT1_: ; @_ZN7rocprim17ROCPRIM_400000_NS6detail17trampoline_kernelINS0_14default_configENS1_27scan_by_key_config_selectorIiiEEZZNS1_16scan_by_key_implILNS1_25lookback_scan_determinismE0ELb0ES3_N6thrust23THRUST_200600_302600_NS10device_ptrIiEESB_SB_iNS9_4plusIvEENS9_8equal_toIvEEiEE10hipError_tPvRmT2_T3_T4_T5_mT6_T7_P12ihipStream_tbENKUlT_T0_E_clISt17integral_constantIbLb1EESW_EEDaSR_SS_EUlSR_E_NS1_11comp_targetILNS1_3genE8ELNS1_11target_archE1030ELNS1_3gpuE2ELNS1_3repE0EEENS1_30default_config_static_selectorELNS0_4arch9wavefront6targetE0EEEvT1_
; %bb.0:
	s_endpgm
	.section	.rodata,"a",@progbits
	.p2align	6, 0x0
	.amdhsa_kernel _ZN7rocprim17ROCPRIM_400000_NS6detail17trampoline_kernelINS0_14default_configENS1_27scan_by_key_config_selectorIiiEEZZNS1_16scan_by_key_implILNS1_25lookback_scan_determinismE0ELb0ES3_N6thrust23THRUST_200600_302600_NS10device_ptrIiEESB_SB_iNS9_4plusIvEENS9_8equal_toIvEEiEE10hipError_tPvRmT2_T3_T4_T5_mT6_T7_P12ihipStream_tbENKUlT_T0_E_clISt17integral_constantIbLb1EESW_EEDaSR_SS_EUlSR_E_NS1_11comp_targetILNS1_3genE8ELNS1_11target_archE1030ELNS1_3gpuE2ELNS1_3repE0EEENS1_30default_config_static_selectorELNS0_4arch9wavefront6targetE0EEEvT1_
		.amdhsa_group_segment_fixed_size 0
		.amdhsa_private_segment_fixed_size 0
		.amdhsa_kernarg_size 112
		.amdhsa_user_sgpr_count 6
		.amdhsa_user_sgpr_private_segment_buffer 1
		.amdhsa_user_sgpr_dispatch_ptr 0
		.amdhsa_user_sgpr_queue_ptr 0
		.amdhsa_user_sgpr_kernarg_segment_ptr 1
		.amdhsa_user_sgpr_dispatch_id 0
		.amdhsa_user_sgpr_flat_scratch_init 0
		.amdhsa_user_sgpr_private_segment_size 0
		.amdhsa_wavefront_size32 1
		.amdhsa_uses_dynamic_stack 0
		.amdhsa_system_sgpr_private_segment_wavefront_offset 0
		.amdhsa_system_sgpr_workgroup_id_x 1
		.amdhsa_system_sgpr_workgroup_id_y 0
		.amdhsa_system_sgpr_workgroup_id_z 0
		.amdhsa_system_sgpr_workgroup_info 0
		.amdhsa_system_vgpr_workitem_id 0
		.amdhsa_next_free_vgpr 1
		.amdhsa_next_free_sgpr 1
		.amdhsa_reserve_vcc 0
		.amdhsa_reserve_flat_scratch 0
		.amdhsa_float_round_mode_32 0
		.amdhsa_float_round_mode_16_64 0
		.amdhsa_float_denorm_mode_32 3
		.amdhsa_float_denorm_mode_16_64 3
		.amdhsa_dx10_clamp 1
		.amdhsa_ieee_mode 1
		.amdhsa_fp16_overflow 0
		.amdhsa_workgroup_processor_mode 1
		.amdhsa_memory_ordered 1
		.amdhsa_forward_progress 1
		.amdhsa_shared_vgpr_count 0
		.amdhsa_exception_fp_ieee_invalid_op 0
		.amdhsa_exception_fp_denorm_src 0
		.amdhsa_exception_fp_ieee_div_zero 0
		.amdhsa_exception_fp_ieee_overflow 0
		.amdhsa_exception_fp_ieee_underflow 0
		.amdhsa_exception_fp_ieee_inexact 0
		.amdhsa_exception_int_div_zero 0
	.end_amdhsa_kernel
	.section	.text._ZN7rocprim17ROCPRIM_400000_NS6detail17trampoline_kernelINS0_14default_configENS1_27scan_by_key_config_selectorIiiEEZZNS1_16scan_by_key_implILNS1_25lookback_scan_determinismE0ELb0ES3_N6thrust23THRUST_200600_302600_NS10device_ptrIiEESB_SB_iNS9_4plusIvEENS9_8equal_toIvEEiEE10hipError_tPvRmT2_T3_T4_T5_mT6_T7_P12ihipStream_tbENKUlT_T0_E_clISt17integral_constantIbLb1EESW_EEDaSR_SS_EUlSR_E_NS1_11comp_targetILNS1_3genE8ELNS1_11target_archE1030ELNS1_3gpuE2ELNS1_3repE0EEENS1_30default_config_static_selectorELNS0_4arch9wavefront6targetE0EEEvT1_,"axG",@progbits,_ZN7rocprim17ROCPRIM_400000_NS6detail17trampoline_kernelINS0_14default_configENS1_27scan_by_key_config_selectorIiiEEZZNS1_16scan_by_key_implILNS1_25lookback_scan_determinismE0ELb0ES3_N6thrust23THRUST_200600_302600_NS10device_ptrIiEESB_SB_iNS9_4plusIvEENS9_8equal_toIvEEiEE10hipError_tPvRmT2_T3_T4_T5_mT6_T7_P12ihipStream_tbENKUlT_T0_E_clISt17integral_constantIbLb1EESW_EEDaSR_SS_EUlSR_E_NS1_11comp_targetILNS1_3genE8ELNS1_11target_archE1030ELNS1_3gpuE2ELNS1_3repE0EEENS1_30default_config_static_selectorELNS0_4arch9wavefront6targetE0EEEvT1_,comdat
.Lfunc_end2212:
	.size	_ZN7rocprim17ROCPRIM_400000_NS6detail17trampoline_kernelINS0_14default_configENS1_27scan_by_key_config_selectorIiiEEZZNS1_16scan_by_key_implILNS1_25lookback_scan_determinismE0ELb0ES3_N6thrust23THRUST_200600_302600_NS10device_ptrIiEESB_SB_iNS9_4plusIvEENS9_8equal_toIvEEiEE10hipError_tPvRmT2_T3_T4_T5_mT6_T7_P12ihipStream_tbENKUlT_T0_E_clISt17integral_constantIbLb1EESW_EEDaSR_SS_EUlSR_E_NS1_11comp_targetILNS1_3genE8ELNS1_11target_archE1030ELNS1_3gpuE2ELNS1_3repE0EEENS1_30default_config_static_selectorELNS0_4arch9wavefront6targetE0EEEvT1_, .Lfunc_end2212-_ZN7rocprim17ROCPRIM_400000_NS6detail17trampoline_kernelINS0_14default_configENS1_27scan_by_key_config_selectorIiiEEZZNS1_16scan_by_key_implILNS1_25lookback_scan_determinismE0ELb0ES3_N6thrust23THRUST_200600_302600_NS10device_ptrIiEESB_SB_iNS9_4plusIvEENS9_8equal_toIvEEiEE10hipError_tPvRmT2_T3_T4_T5_mT6_T7_P12ihipStream_tbENKUlT_T0_E_clISt17integral_constantIbLb1EESW_EEDaSR_SS_EUlSR_E_NS1_11comp_targetILNS1_3genE8ELNS1_11target_archE1030ELNS1_3gpuE2ELNS1_3repE0EEENS1_30default_config_static_selectorELNS0_4arch9wavefront6targetE0EEEvT1_
                                        ; -- End function
	.set _ZN7rocprim17ROCPRIM_400000_NS6detail17trampoline_kernelINS0_14default_configENS1_27scan_by_key_config_selectorIiiEEZZNS1_16scan_by_key_implILNS1_25lookback_scan_determinismE0ELb0ES3_N6thrust23THRUST_200600_302600_NS10device_ptrIiEESB_SB_iNS9_4plusIvEENS9_8equal_toIvEEiEE10hipError_tPvRmT2_T3_T4_T5_mT6_T7_P12ihipStream_tbENKUlT_T0_E_clISt17integral_constantIbLb1EESW_EEDaSR_SS_EUlSR_E_NS1_11comp_targetILNS1_3genE8ELNS1_11target_archE1030ELNS1_3gpuE2ELNS1_3repE0EEENS1_30default_config_static_selectorELNS0_4arch9wavefront6targetE0EEEvT1_.num_vgpr, 0
	.set _ZN7rocprim17ROCPRIM_400000_NS6detail17trampoline_kernelINS0_14default_configENS1_27scan_by_key_config_selectorIiiEEZZNS1_16scan_by_key_implILNS1_25lookback_scan_determinismE0ELb0ES3_N6thrust23THRUST_200600_302600_NS10device_ptrIiEESB_SB_iNS9_4plusIvEENS9_8equal_toIvEEiEE10hipError_tPvRmT2_T3_T4_T5_mT6_T7_P12ihipStream_tbENKUlT_T0_E_clISt17integral_constantIbLb1EESW_EEDaSR_SS_EUlSR_E_NS1_11comp_targetILNS1_3genE8ELNS1_11target_archE1030ELNS1_3gpuE2ELNS1_3repE0EEENS1_30default_config_static_selectorELNS0_4arch9wavefront6targetE0EEEvT1_.num_agpr, 0
	.set _ZN7rocprim17ROCPRIM_400000_NS6detail17trampoline_kernelINS0_14default_configENS1_27scan_by_key_config_selectorIiiEEZZNS1_16scan_by_key_implILNS1_25lookback_scan_determinismE0ELb0ES3_N6thrust23THRUST_200600_302600_NS10device_ptrIiEESB_SB_iNS9_4plusIvEENS9_8equal_toIvEEiEE10hipError_tPvRmT2_T3_T4_T5_mT6_T7_P12ihipStream_tbENKUlT_T0_E_clISt17integral_constantIbLb1EESW_EEDaSR_SS_EUlSR_E_NS1_11comp_targetILNS1_3genE8ELNS1_11target_archE1030ELNS1_3gpuE2ELNS1_3repE0EEENS1_30default_config_static_selectorELNS0_4arch9wavefront6targetE0EEEvT1_.numbered_sgpr, 0
	.set _ZN7rocprim17ROCPRIM_400000_NS6detail17trampoline_kernelINS0_14default_configENS1_27scan_by_key_config_selectorIiiEEZZNS1_16scan_by_key_implILNS1_25lookback_scan_determinismE0ELb0ES3_N6thrust23THRUST_200600_302600_NS10device_ptrIiEESB_SB_iNS9_4plusIvEENS9_8equal_toIvEEiEE10hipError_tPvRmT2_T3_T4_T5_mT6_T7_P12ihipStream_tbENKUlT_T0_E_clISt17integral_constantIbLb1EESW_EEDaSR_SS_EUlSR_E_NS1_11comp_targetILNS1_3genE8ELNS1_11target_archE1030ELNS1_3gpuE2ELNS1_3repE0EEENS1_30default_config_static_selectorELNS0_4arch9wavefront6targetE0EEEvT1_.num_named_barrier, 0
	.set _ZN7rocprim17ROCPRIM_400000_NS6detail17trampoline_kernelINS0_14default_configENS1_27scan_by_key_config_selectorIiiEEZZNS1_16scan_by_key_implILNS1_25lookback_scan_determinismE0ELb0ES3_N6thrust23THRUST_200600_302600_NS10device_ptrIiEESB_SB_iNS9_4plusIvEENS9_8equal_toIvEEiEE10hipError_tPvRmT2_T3_T4_T5_mT6_T7_P12ihipStream_tbENKUlT_T0_E_clISt17integral_constantIbLb1EESW_EEDaSR_SS_EUlSR_E_NS1_11comp_targetILNS1_3genE8ELNS1_11target_archE1030ELNS1_3gpuE2ELNS1_3repE0EEENS1_30default_config_static_selectorELNS0_4arch9wavefront6targetE0EEEvT1_.private_seg_size, 0
	.set _ZN7rocprim17ROCPRIM_400000_NS6detail17trampoline_kernelINS0_14default_configENS1_27scan_by_key_config_selectorIiiEEZZNS1_16scan_by_key_implILNS1_25lookback_scan_determinismE0ELb0ES3_N6thrust23THRUST_200600_302600_NS10device_ptrIiEESB_SB_iNS9_4plusIvEENS9_8equal_toIvEEiEE10hipError_tPvRmT2_T3_T4_T5_mT6_T7_P12ihipStream_tbENKUlT_T0_E_clISt17integral_constantIbLb1EESW_EEDaSR_SS_EUlSR_E_NS1_11comp_targetILNS1_3genE8ELNS1_11target_archE1030ELNS1_3gpuE2ELNS1_3repE0EEENS1_30default_config_static_selectorELNS0_4arch9wavefront6targetE0EEEvT1_.uses_vcc, 0
	.set _ZN7rocprim17ROCPRIM_400000_NS6detail17trampoline_kernelINS0_14default_configENS1_27scan_by_key_config_selectorIiiEEZZNS1_16scan_by_key_implILNS1_25lookback_scan_determinismE0ELb0ES3_N6thrust23THRUST_200600_302600_NS10device_ptrIiEESB_SB_iNS9_4plusIvEENS9_8equal_toIvEEiEE10hipError_tPvRmT2_T3_T4_T5_mT6_T7_P12ihipStream_tbENKUlT_T0_E_clISt17integral_constantIbLb1EESW_EEDaSR_SS_EUlSR_E_NS1_11comp_targetILNS1_3genE8ELNS1_11target_archE1030ELNS1_3gpuE2ELNS1_3repE0EEENS1_30default_config_static_selectorELNS0_4arch9wavefront6targetE0EEEvT1_.uses_flat_scratch, 0
	.set _ZN7rocprim17ROCPRIM_400000_NS6detail17trampoline_kernelINS0_14default_configENS1_27scan_by_key_config_selectorIiiEEZZNS1_16scan_by_key_implILNS1_25lookback_scan_determinismE0ELb0ES3_N6thrust23THRUST_200600_302600_NS10device_ptrIiEESB_SB_iNS9_4plusIvEENS9_8equal_toIvEEiEE10hipError_tPvRmT2_T3_T4_T5_mT6_T7_P12ihipStream_tbENKUlT_T0_E_clISt17integral_constantIbLb1EESW_EEDaSR_SS_EUlSR_E_NS1_11comp_targetILNS1_3genE8ELNS1_11target_archE1030ELNS1_3gpuE2ELNS1_3repE0EEENS1_30default_config_static_selectorELNS0_4arch9wavefront6targetE0EEEvT1_.has_dyn_sized_stack, 0
	.set _ZN7rocprim17ROCPRIM_400000_NS6detail17trampoline_kernelINS0_14default_configENS1_27scan_by_key_config_selectorIiiEEZZNS1_16scan_by_key_implILNS1_25lookback_scan_determinismE0ELb0ES3_N6thrust23THRUST_200600_302600_NS10device_ptrIiEESB_SB_iNS9_4plusIvEENS9_8equal_toIvEEiEE10hipError_tPvRmT2_T3_T4_T5_mT6_T7_P12ihipStream_tbENKUlT_T0_E_clISt17integral_constantIbLb1EESW_EEDaSR_SS_EUlSR_E_NS1_11comp_targetILNS1_3genE8ELNS1_11target_archE1030ELNS1_3gpuE2ELNS1_3repE0EEENS1_30default_config_static_selectorELNS0_4arch9wavefront6targetE0EEEvT1_.has_recursion, 0
	.set _ZN7rocprim17ROCPRIM_400000_NS6detail17trampoline_kernelINS0_14default_configENS1_27scan_by_key_config_selectorIiiEEZZNS1_16scan_by_key_implILNS1_25lookback_scan_determinismE0ELb0ES3_N6thrust23THRUST_200600_302600_NS10device_ptrIiEESB_SB_iNS9_4plusIvEENS9_8equal_toIvEEiEE10hipError_tPvRmT2_T3_T4_T5_mT6_T7_P12ihipStream_tbENKUlT_T0_E_clISt17integral_constantIbLb1EESW_EEDaSR_SS_EUlSR_E_NS1_11comp_targetILNS1_3genE8ELNS1_11target_archE1030ELNS1_3gpuE2ELNS1_3repE0EEENS1_30default_config_static_selectorELNS0_4arch9wavefront6targetE0EEEvT1_.has_indirect_call, 0
	.section	.AMDGPU.csdata,"",@progbits
; Kernel info:
; codeLenInByte = 4
; TotalNumSgprs: 0
; NumVgprs: 0
; ScratchSize: 0
; MemoryBound: 0
; FloatMode: 240
; IeeeMode: 1
; LDSByteSize: 0 bytes/workgroup (compile time only)
; SGPRBlocks: 0
; VGPRBlocks: 0
; NumSGPRsForWavesPerEU: 1
; NumVGPRsForWavesPerEU: 1
; Occupancy: 16
; WaveLimiterHint : 0
; COMPUTE_PGM_RSRC2:SCRATCH_EN: 0
; COMPUTE_PGM_RSRC2:USER_SGPR: 6
; COMPUTE_PGM_RSRC2:TRAP_HANDLER: 0
; COMPUTE_PGM_RSRC2:TGID_X_EN: 1
; COMPUTE_PGM_RSRC2:TGID_Y_EN: 0
; COMPUTE_PGM_RSRC2:TGID_Z_EN: 0
; COMPUTE_PGM_RSRC2:TIDIG_COMP_CNT: 0
	.section	.text._ZN7rocprim17ROCPRIM_400000_NS6detail30init_device_scan_by_key_kernelINS1_19lookback_scan_stateINS0_5tupleIJibEEELb1ELb1EEEN6thrust23THRUST_200600_302600_NS10device_ptrIiEEjNS1_16block_id_wrapperIjLb0EEEEEvT_jjPNSD_10value_typeET0_PNSt15iterator_traitsISG_E10value_typeEmT1_T2_,"axG",@progbits,_ZN7rocprim17ROCPRIM_400000_NS6detail30init_device_scan_by_key_kernelINS1_19lookback_scan_stateINS0_5tupleIJibEEELb1ELb1EEEN6thrust23THRUST_200600_302600_NS10device_ptrIiEEjNS1_16block_id_wrapperIjLb0EEEEEvT_jjPNSD_10value_typeET0_PNSt15iterator_traitsISG_E10value_typeEmT1_T2_,comdat
	.protected	_ZN7rocprim17ROCPRIM_400000_NS6detail30init_device_scan_by_key_kernelINS1_19lookback_scan_stateINS0_5tupleIJibEEELb1ELb1EEEN6thrust23THRUST_200600_302600_NS10device_ptrIiEEjNS1_16block_id_wrapperIjLb0EEEEEvT_jjPNSD_10value_typeET0_PNSt15iterator_traitsISG_E10value_typeEmT1_T2_ ; -- Begin function _ZN7rocprim17ROCPRIM_400000_NS6detail30init_device_scan_by_key_kernelINS1_19lookback_scan_stateINS0_5tupleIJibEEELb1ELb1EEEN6thrust23THRUST_200600_302600_NS10device_ptrIiEEjNS1_16block_id_wrapperIjLb0EEEEEvT_jjPNSD_10value_typeET0_PNSt15iterator_traitsISG_E10value_typeEmT1_T2_
	.globl	_ZN7rocprim17ROCPRIM_400000_NS6detail30init_device_scan_by_key_kernelINS1_19lookback_scan_stateINS0_5tupleIJibEEELb1ELb1EEEN6thrust23THRUST_200600_302600_NS10device_ptrIiEEjNS1_16block_id_wrapperIjLb0EEEEEvT_jjPNSD_10value_typeET0_PNSt15iterator_traitsISG_E10value_typeEmT1_T2_
	.p2align	8
	.type	_ZN7rocprim17ROCPRIM_400000_NS6detail30init_device_scan_by_key_kernelINS1_19lookback_scan_stateINS0_5tupleIJibEEELb1ELb1EEEN6thrust23THRUST_200600_302600_NS10device_ptrIiEEjNS1_16block_id_wrapperIjLb0EEEEEvT_jjPNSD_10value_typeET0_PNSt15iterator_traitsISG_E10value_typeEmT1_T2_,@function
_ZN7rocprim17ROCPRIM_400000_NS6detail30init_device_scan_by_key_kernelINS1_19lookback_scan_stateINS0_5tupleIJibEEELb1ELb1EEEN6thrust23THRUST_200600_302600_NS10device_ptrIiEEjNS1_16block_id_wrapperIjLb0EEEEEvT_jjPNSD_10value_typeET0_PNSt15iterator_traitsISG_E10value_typeEmT1_T2_: ; @_ZN7rocprim17ROCPRIM_400000_NS6detail30init_device_scan_by_key_kernelINS1_19lookback_scan_stateINS0_5tupleIJibEEELb1ELb1EEEN6thrust23THRUST_200600_302600_NS10device_ptrIiEEjNS1_16block_id_wrapperIjLb0EEEEEvT_jjPNSD_10value_typeET0_PNSt15iterator_traitsISG_E10value_typeEmT1_T2_
; %bb.0:
	s_clause 0x2
	s_load_dword s0, s[4:5], 0x44
	s_load_dwordx8 s[8:15], s[4:5], 0x0
	s_load_dword s7, s[4:5], 0x38
	s_waitcnt lgkmcnt(0)
	s_and_b32 s16, s0, 0xffff
	s_cmp_eq_u64 s[12:13], 0
	v_mad_u64_u32 v[4:5], null, s6, s16, v[0:1]
	s_cbranch_scc1 .LBB2213_10
; %bb.1:
	s_cmp_lt_u32 s11, s10
	s_mov_b32 s1, 0
	s_cselect_b32 s0, s11, 0
	s_mov_b32 s2, exec_lo
	v_cmpx_eq_u32_e64 s0, v4
	s_cbranch_execz .LBB2213_9
; %bb.2:
	s_add_i32 s0, s11, 32
	v_mov_b32_e32 v6, 0
	s_lshl_b64 s[0:1], s[0:1], 4
	s_mov_b32 s3, exec_lo
	s_add_u32 s0, s8, s0
	s_addc_u32 s1, s9, s1
	v_mov_b32_e32 v0, s0
	v_mov_b32_e32 v1, s1
	;;#ASMSTART
	global_load_dwordx4 v[0:3], v[0:1] off glc dlc	
s_waitcnt vmcnt(0)
	;;#ASMEND
	v_and_b32_e32 v5, 0xff, v2
	v_cmpx_eq_u64_e32 0, v[5:6]
	s_cbranch_execz .LBB2213_8
; %bb.3:
	v_mov_b32_e32 v8, s1
	v_mov_b32_e32 v7, s0
	s_mov_b32 s1, 1
	s_mov_b32 s0, 0
	.p2align	6
.LBB2213_4:                             ; =>This Loop Header: Depth=1
                                        ;     Child Loop BB2213_5 Depth 2
	s_mov_b32 s6, s1
.LBB2213_5:                             ;   Parent Loop BB2213_4 Depth=1
                                        ; =>  This Inner Loop Header: Depth=2
	s_add_i32 s6, s6, -1
	s_sleep 1
	s_cmp_eq_u32 s6, 0
	s_cbranch_scc0 .LBB2213_5
; %bb.6:                                ;   in Loop: Header=BB2213_4 Depth=1
	;;#ASMSTART
	global_load_dwordx4 v[0:3], v[7:8] off glc dlc	
s_waitcnt vmcnt(0)
	;;#ASMEND
	v_and_b32_e32 v5, 0xff, v2
	s_cmp_lt_u32 s1, 32
	s_cselect_b32 s6, -1, 0
	v_cmp_ne_u64_e32 vcc_lo, 0, v[5:6]
	s_cmp_lg_u32 s6, 0
	s_addc_u32 s1, s1, 0
	s_or_b32 s0, vcc_lo, s0
	s_andn2_b32 exec_lo, exec_lo, s0
	s_cbranch_execnz .LBB2213_4
; %bb.7:
	s_or_b32 exec_lo, exec_lo, s0
.LBB2213_8:
	s_or_b32 exec_lo, exec_lo, s3
	v_mov_b32_e32 v2, 0
	global_store_dword v2, v0, s[12:13]
	global_store_byte v2, v1, s[12:13] offset:4
.LBB2213_9:
	s_or_b32 exec_lo, exec_lo, s2
.LBB2213_10:
	s_mov_b32 s0, exec_lo
	v_cmpx_gt_u32_e64 s10, v4
	s_cbranch_execz .LBB2213_12
; %bb.11:
	v_add_nc_u32_e32 v0, 32, v4
	v_mov_b32_e32 v1, 0
	v_lshlrev_b64 v[5:6], 4, v[0:1]
	v_mov_b32_e32 v0, v1
	v_mov_b32_e32 v2, v1
	;; [unrolled: 1-line block ×3, first 2 shown]
	v_add_co_u32 v5, vcc_lo, s8, v5
	v_add_co_ci_u32_e64 v6, null, s9, v6, vcc_lo
	global_store_dwordx4 v[5:6], v[0:3], off
.LBB2213_12:
	s_or_b32 exec_lo, exec_lo, s0
	v_mov_b32_e32 v5, 0
	s_mov_b32 s0, exec_lo
	v_cmpx_gt_u32_e32 32, v4
	s_cbranch_execz .LBB2213_14
; %bb.13:
	v_lshlrev_b64 v[6:7], 4, v[4:5]
	v_mov_b32_e32 v2, 0xff
	v_mov_b32_e32 v0, v5
	;; [unrolled: 1-line block ×4, first 2 shown]
	v_add_co_u32 v6, vcc_lo, s8, v6
	v_add_co_ci_u32_e64 v7, null, s9, v7, vcc_lo
	global_store_dwordx4 v[6:7], v[0:3], off
.LBB2213_14:
	s_or_b32 exec_lo, exec_lo, s0
	s_load_dwordx2 s[2:3], s[4:5], 0x28
	s_mov_b32 s0, exec_lo
	s_waitcnt lgkmcnt(0)
	v_cmpx_gt_u64_e64 s[2:3], v[4:5]
	s_cbranch_execz .LBB2213_17
; %bb.15:
	s_clause 0x1
	s_load_dword s6, s[4:5], 0x30
	s_load_dwordx2 s[8:9], s[4:5], 0x20
	s_mov_b32 s1, 0
	v_lshlrev_b64 v[2:3], 2, v[4:5]
	s_mul_i32 s4, s7, s16
	s_waitcnt lgkmcnt(0)
	v_mad_u64_u32 v[0:1], null, s6, v4, 0
	s_add_i32 s0, s6, -1
	s_mul_hi_u32 s7, s6, s4
	s_lshl_b64 s[10:11], s[0:1], 2
	s_mul_i32 s6, s6, s4
	s_add_u32 s0, s14, s10
	s_addc_u32 s5, s15, s11
	v_lshlrev_b64 v[0:1], 2, v[0:1]
	s_lshl_b64 s[6:7], s[6:7], 2
	v_add_co_u32 v0, vcc_lo, s0, v0
	v_add_co_ci_u32_e64 v1, null, s5, v1, vcc_lo
	v_add_co_u32 v2, vcc_lo, s8, v2
	v_add_co_ci_u32_e64 v3, null, s9, v3, vcc_lo
	s_mov_b32 s5, s1
	s_lshl_b64 s[8:9], s[4:5], 2
	.p2align	6
.LBB2213_16:                            ; =>This Inner Loop Header: Depth=1
	global_load_dword v6, v[0:1], off
	v_add_co_u32 v4, vcc_lo, v4, s4
	v_add_co_ci_u32_e64 v5, null, 0, v5, vcc_lo
	v_add_co_u32 v0, vcc_lo, v0, s6
	v_add_co_ci_u32_e64 v1, null, s7, v1, vcc_lo
	v_cmp_le_u64_e32 vcc_lo, s[2:3], v[4:5]
	s_or_b32 s1, vcc_lo, s1
	s_waitcnt vmcnt(0)
	global_store_dword v[2:3], v6, off
	v_add_co_u32 v2, s0, v2, s8
	v_add_co_ci_u32_e64 v3, null, s9, v3, s0
	s_andn2_b32 exec_lo, exec_lo, s1
	s_cbranch_execnz .LBB2213_16
.LBB2213_17:
	s_endpgm
	.section	.rodata,"a",@progbits
	.p2align	6, 0x0
	.amdhsa_kernel _ZN7rocprim17ROCPRIM_400000_NS6detail30init_device_scan_by_key_kernelINS1_19lookback_scan_stateINS0_5tupleIJibEEELb1ELb1EEEN6thrust23THRUST_200600_302600_NS10device_ptrIiEEjNS1_16block_id_wrapperIjLb0EEEEEvT_jjPNSD_10value_typeET0_PNSt15iterator_traitsISG_E10value_typeEmT1_T2_
		.amdhsa_group_segment_fixed_size 0
		.amdhsa_private_segment_fixed_size 0
		.amdhsa_kernarg_size 312
		.amdhsa_user_sgpr_count 6
		.amdhsa_user_sgpr_private_segment_buffer 1
		.amdhsa_user_sgpr_dispatch_ptr 0
		.amdhsa_user_sgpr_queue_ptr 0
		.amdhsa_user_sgpr_kernarg_segment_ptr 1
		.amdhsa_user_sgpr_dispatch_id 0
		.amdhsa_user_sgpr_flat_scratch_init 0
		.amdhsa_user_sgpr_private_segment_size 0
		.amdhsa_wavefront_size32 1
		.amdhsa_uses_dynamic_stack 0
		.amdhsa_system_sgpr_private_segment_wavefront_offset 0
		.amdhsa_system_sgpr_workgroup_id_x 1
		.amdhsa_system_sgpr_workgroup_id_y 0
		.amdhsa_system_sgpr_workgroup_id_z 0
		.amdhsa_system_sgpr_workgroup_info 0
		.amdhsa_system_vgpr_workitem_id 0
		.amdhsa_next_free_vgpr 9
		.amdhsa_next_free_sgpr 17
		.amdhsa_reserve_vcc 1
		.amdhsa_reserve_flat_scratch 0
		.amdhsa_float_round_mode_32 0
		.amdhsa_float_round_mode_16_64 0
		.amdhsa_float_denorm_mode_32 3
		.amdhsa_float_denorm_mode_16_64 3
		.amdhsa_dx10_clamp 1
		.amdhsa_ieee_mode 1
		.amdhsa_fp16_overflow 0
		.amdhsa_workgroup_processor_mode 1
		.amdhsa_memory_ordered 1
		.amdhsa_forward_progress 1
		.amdhsa_shared_vgpr_count 0
		.amdhsa_exception_fp_ieee_invalid_op 0
		.amdhsa_exception_fp_denorm_src 0
		.amdhsa_exception_fp_ieee_div_zero 0
		.amdhsa_exception_fp_ieee_overflow 0
		.amdhsa_exception_fp_ieee_underflow 0
		.amdhsa_exception_fp_ieee_inexact 0
		.amdhsa_exception_int_div_zero 0
	.end_amdhsa_kernel
	.section	.text._ZN7rocprim17ROCPRIM_400000_NS6detail30init_device_scan_by_key_kernelINS1_19lookback_scan_stateINS0_5tupleIJibEEELb1ELb1EEEN6thrust23THRUST_200600_302600_NS10device_ptrIiEEjNS1_16block_id_wrapperIjLb0EEEEEvT_jjPNSD_10value_typeET0_PNSt15iterator_traitsISG_E10value_typeEmT1_T2_,"axG",@progbits,_ZN7rocprim17ROCPRIM_400000_NS6detail30init_device_scan_by_key_kernelINS1_19lookback_scan_stateINS0_5tupleIJibEEELb1ELb1EEEN6thrust23THRUST_200600_302600_NS10device_ptrIiEEjNS1_16block_id_wrapperIjLb0EEEEEvT_jjPNSD_10value_typeET0_PNSt15iterator_traitsISG_E10value_typeEmT1_T2_,comdat
.Lfunc_end2213:
	.size	_ZN7rocprim17ROCPRIM_400000_NS6detail30init_device_scan_by_key_kernelINS1_19lookback_scan_stateINS0_5tupleIJibEEELb1ELb1EEEN6thrust23THRUST_200600_302600_NS10device_ptrIiEEjNS1_16block_id_wrapperIjLb0EEEEEvT_jjPNSD_10value_typeET0_PNSt15iterator_traitsISG_E10value_typeEmT1_T2_, .Lfunc_end2213-_ZN7rocprim17ROCPRIM_400000_NS6detail30init_device_scan_by_key_kernelINS1_19lookback_scan_stateINS0_5tupleIJibEEELb1ELb1EEEN6thrust23THRUST_200600_302600_NS10device_ptrIiEEjNS1_16block_id_wrapperIjLb0EEEEEvT_jjPNSD_10value_typeET0_PNSt15iterator_traitsISG_E10value_typeEmT1_T2_
                                        ; -- End function
	.set _ZN7rocprim17ROCPRIM_400000_NS6detail30init_device_scan_by_key_kernelINS1_19lookback_scan_stateINS0_5tupleIJibEEELb1ELb1EEEN6thrust23THRUST_200600_302600_NS10device_ptrIiEEjNS1_16block_id_wrapperIjLb0EEEEEvT_jjPNSD_10value_typeET0_PNSt15iterator_traitsISG_E10value_typeEmT1_T2_.num_vgpr, 9
	.set _ZN7rocprim17ROCPRIM_400000_NS6detail30init_device_scan_by_key_kernelINS1_19lookback_scan_stateINS0_5tupleIJibEEELb1ELb1EEEN6thrust23THRUST_200600_302600_NS10device_ptrIiEEjNS1_16block_id_wrapperIjLb0EEEEEvT_jjPNSD_10value_typeET0_PNSt15iterator_traitsISG_E10value_typeEmT1_T2_.num_agpr, 0
	.set _ZN7rocprim17ROCPRIM_400000_NS6detail30init_device_scan_by_key_kernelINS1_19lookback_scan_stateINS0_5tupleIJibEEELb1ELb1EEEN6thrust23THRUST_200600_302600_NS10device_ptrIiEEjNS1_16block_id_wrapperIjLb0EEEEEvT_jjPNSD_10value_typeET0_PNSt15iterator_traitsISG_E10value_typeEmT1_T2_.numbered_sgpr, 17
	.set _ZN7rocprim17ROCPRIM_400000_NS6detail30init_device_scan_by_key_kernelINS1_19lookback_scan_stateINS0_5tupleIJibEEELb1ELb1EEEN6thrust23THRUST_200600_302600_NS10device_ptrIiEEjNS1_16block_id_wrapperIjLb0EEEEEvT_jjPNSD_10value_typeET0_PNSt15iterator_traitsISG_E10value_typeEmT1_T2_.num_named_barrier, 0
	.set _ZN7rocprim17ROCPRIM_400000_NS6detail30init_device_scan_by_key_kernelINS1_19lookback_scan_stateINS0_5tupleIJibEEELb1ELb1EEEN6thrust23THRUST_200600_302600_NS10device_ptrIiEEjNS1_16block_id_wrapperIjLb0EEEEEvT_jjPNSD_10value_typeET0_PNSt15iterator_traitsISG_E10value_typeEmT1_T2_.private_seg_size, 0
	.set _ZN7rocprim17ROCPRIM_400000_NS6detail30init_device_scan_by_key_kernelINS1_19lookback_scan_stateINS0_5tupleIJibEEELb1ELb1EEEN6thrust23THRUST_200600_302600_NS10device_ptrIiEEjNS1_16block_id_wrapperIjLb0EEEEEvT_jjPNSD_10value_typeET0_PNSt15iterator_traitsISG_E10value_typeEmT1_T2_.uses_vcc, 1
	.set _ZN7rocprim17ROCPRIM_400000_NS6detail30init_device_scan_by_key_kernelINS1_19lookback_scan_stateINS0_5tupleIJibEEELb1ELb1EEEN6thrust23THRUST_200600_302600_NS10device_ptrIiEEjNS1_16block_id_wrapperIjLb0EEEEEvT_jjPNSD_10value_typeET0_PNSt15iterator_traitsISG_E10value_typeEmT1_T2_.uses_flat_scratch, 0
	.set _ZN7rocprim17ROCPRIM_400000_NS6detail30init_device_scan_by_key_kernelINS1_19lookback_scan_stateINS0_5tupleIJibEEELb1ELb1EEEN6thrust23THRUST_200600_302600_NS10device_ptrIiEEjNS1_16block_id_wrapperIjLb0EEEEEvT_jjPNSD_10value_typeET0_PNSt15iterator_traitsISG_E10value_typeEmT1_T2_.has_dyn_sized_stack, 0
	.set _ZN7rocprim17ROCPRIM_400000_NS6detail30init_device_scan_by_key_kernelINS1_19lookback_scan_stateINS0_5tupleIJibEEELb1ELb1EEEN6thrust23THRUST_200600_302600_NS10device_ptrIiEEjNS1_16block_id_wrapperIjLb0EEEEEvT_jjPNSD_10value_typeET0_PNSt15iterator_traitsISG_E10value_typeEmT1_T2_.has_recursion, 0
	.set _ZN7rocprim17ROCPRIM_400000_NS6detail30init_device_scan_by_key_kernelINS1_19lookback_scan_stateINS0_5tupleIJibEEELb1ELb1EEEN6thrust23THRUST_200600_302600_NS10device_ptrIiEEjNS1_16block_id_wrapperIjLb0EEEEEvT_jjPNSD_10value_typeET0_PNSt15iterator_traitsISG_E10value_typeEmT1_T2_.has_indirect_call, 0
	.section	.AMDGPU.csdata,"",@progbits
; Kernel info:
; codeLenInByte = 728
; TotalNumSgprs: 19
; NumVgprs: 9
; ScratchSize: 0
; MemoryBound: 0
; FloatMode: 240
; IeeeMode: 1
; LDSByteSize: 0 bytes/workgroup (compile time only)
; SGPRBlocks: 0
; VGPRBlocks: 1
; NumSGPRsForWavesPerEU: 19
; NumVGPRsForWavesPerEU: 9
; Occupancy: 16
; WaveLimiterHint : 0
; COMPUTE_PGM_RSRC2:SCRATCH_EN: 0
; COMPUTE_PGM_RSRC2:USER_SGPR: 6
; COMPUTE_PGM_RSRC2:TRAP_HANDLER: 0
; COMPUTE_PGM_RSRC2:TGID_X_EN: 1
; COMPUTE_PGM_RSRC2:TGID_Y_EN: 0
; COMPUTE_PGM_RSRC2:TGID_Z_EN: 0
; COMPUTE_PGM_RSRC2:TIDIG_COMP_CNT: 0
	.section	.text._ZN7rocprim17ROCPRIM_400000_NS6detail17trampoline_kernelINS0_14default_configENS1_27scan_by_key_config_selectorIiiEEZZNS1_16scan_by_key_implILNS1_25lookback_scan_determinismE0ELb0ES3_N6thrust23THRUST_200600_302600_NS10device_ptrIiEESB_SB_iNS9_4plusIvEENS9_8equal_toIvEEiEE10hipError_tPvRmT2_T3_T4_T5_mT6_T7_P12ihipStream_tbENKUlT_T0_E_clISt17integral_constantIbLb1EESV_IbLb0EEEEDaSR_SS_EUlSR_E_NS1_11comp_targetILNS1_3genE0ELNS1_11target_archE4294967295ELNS1_3gpuE0ELNS1_3repE0EEENS1_30default_config_static_selectorELNS0_4arch9wavefront6targetE0EEEvT1_,"axG",@progbits,_ZN7rocprim17ROCPRIM_400000_NS6detail17trampoline_kernelINS0_14default_configENS1_27scan_by_key_config_selectorIiiEEZZNS1_16scan_by_key_implILNS1_25lookback_scan_determinismE0ELb0ES3_N6thrust23THRUST_200600_302600_NS10device_ptrIiEESB_SB_iNS9_4plusIvEENS9_8equal_toIvEEiEE10hipError_tPvRmT2_T3_T4_T5_mT6_T7_P12ihipStream_tbENKUlT_T0_E_clISt17integral_constantIbLb1EESV_IbLb0EEEEDaSR_SS_EUlSR_E_NS1_11comp_targetILNS1_3genE0ELNS1_11target_archE4294967295ELNS1_3gpuE0ELNS1_3repE0EEENS1_30default_config_static_selectorELNS0_4arch9wavefront6targetE0EEEvT1_,comdat
	.protected	_ZN7rocprim17ROCPRIM_400000_NS6detail17trampoline_kernelINS0_14default_configENS1_27scan_by_key_config_selectorIiiEEZZNS1_16scan_by_key_implILNS1_25lookback_scan_determinismE0ELb0ES3_N6thrust23THRUST_200600_302600_NS10device_ptrIiEESB_SB_iNS9_4plusIvEENS9_8equal_toIvEEiEE10hipError_tPvRmT2_T3_T4_T5_mT6_T7_P12ihipStream_tbENKUlT_T0_E_clISt17integral_constantIbLb1EESV_IbLb0EEEEDaSR_SS_EUlSR_E_NS1_11comp_targetILNS1_3genE0ELNS1_11target_archE4294967295ELNS1_3gpuE0ELNS1_3repE0EEENS1_30default_config_static_selectorELNS0_4arch9wavefront6targetE0EEEvT1_ ; -- Begin function _ZN7rocprim17ROCPRIM_400000_NS6detail17trampoline_kernelINS0_14default_configENS1_27scan_by_key_config_selectorIiiEEZZNS1_16scan_by_key_implILNS1_25lookback_scan_determinismE0ELb0ES3_N6thrust23THRUST_200600_302600_NS10device_ptrIiEESB_SB_iNS9_4plusIvEENS9_8equal_toIvEEiEE10hipError_tPvRmT2_T3_T4_T5_mT6_T7_P12ihipStream_tbENKUlT_T0_E_clISt17integral_constantIbLb1EESV_IbLb0EEEEDaSR_SS_EUlSR_E_NS1_11comp_targetILNS1_3genE0ELNS1_11target_archE4294967295ELNS1_3gpuE0ELNS1_3repE0EEENS1_30default_config_static_selectorELNS0_4arch9wavefront6targetE0EEEvT1_
	.globl	_ZN7rocprim17ROCPRIM_400000_NS6detail17trampoline_kernelINS0_14default_configENS1_27scan_by_key_config_selectorIiiEEZZNS1_16scan_by_key_implILNS1_25lookback_scan_determinismE0ELb0ES3_N6thrust23THRUST_200600_302600_NS10device_ptrIiEESB_SB_iNS9_4plusIvEENS9_8equal_toIvEEiEE10hipError_tPvRmT2_T3_T4_T5_mT6_T7_P12ihipStream_tbENKUlT_T0_E_clISt17integral_constantIbLb1EESV_IbLb0EEEEDaSR_SS_EUlSR_E_NS1_11comp_targetILNS1_3genE0ELNS1_11target_archE4294967295ELNS1_3gpuE0ELNS1_3repE0EEENS1_30default_config_static_selectorELNS0_4arch9wavefront6targetE0EEEvT1_
	.p2align	8
	.type	_ZN7rocprim17ROCPRIM_400000_NS6detail17trampoline_kernelINS0_14default_configENS1_27scan_by_key_config_selectorIiiEEZZNS1_16scan_by_key_implILNS1_25lookback_scan_determinismE0ELb0ES3_N6thrust23THRUST_200600_302600_NS10device_ptrIiEESB_SB_iNS9_4plusIvEENS9_8equal_toIvEEiEE10hipError_tPvRmT2_T3_T4_T5_mT6_T7_P12ihipStream_tbENKUlT_T0_E_clISt17integral_constantIbLb1EESV_IbLb0EEEEDaSR_SS_EUlSR_E_NS1_11comp_targetILNS1_3genE0ELNS1_11target_archE4294967295ELNS1_3gpuE0ELNS1_3repE0EEENS1_30default_config_static_selectorELNS0_4arch9wavefront6targetE0EEEvT1_,@function
_ZN7rocprim17ROCPRIM_400000_NS6detail17trampoline_kernelINS0_14default_configENS1_27scan_by_key_config_selectorIiiEEZZNS1_16scan_by_key_implILNS1_25lookback_scan_determinismE0ELb0ES3_N6thrust23THRUST_200600_302600_NS10device_ptrIiEESB_SB_iNS9_4plusIvEENS9_8equal_toIvEEiEE10hipError_tPvRmT2_T3_T4_T5_mT6_T7_P12ihipStream_tbENKUlT_T0_E_clISt17integral_constantIbLb1EESV_IbLb0EEEEDaSR_SS_EUlSR_E_NS1_11comp_targetILNS1_3genE0ELNS1_11target_archE4294967295ELNS1_3gpuE0ELNS1_3repE0EEENS1_30default_config_static_selectorELNS0_4arch9wavefront6targetE0EEEvT1_: ; @_ZN7rocprim17ROCPRIM_400000_NS6detail17trampoline_kernelINS0_14default_configENS1_27scan_by_key_config_selectorIiiEEZZNS1_16scan_by_key_implILNS1_25lookback_scan_determinismE0ELb0ES3_N6thrust23THRUST_200600_302600_NS10device_ptrIiEESB_SB_iNS9_4plusIvEENS9_8equal_toIvEEiEE10hipError_tPvRmT2_T3_T4_T5_mT6_T7_P12ihipStream_tbENKUlT_T0_E_clISt17integral_constantIbLb1EESV_IbLb0EEEEDaSR_SS_EUlSR_E_NS1_11comp_targetILNS1_3genE0ELNS1_11target_archE4294967295ELNS1_3gpuE0ELNS1_3repE0EEENS1_30default_config_static_selectorELNS0_4arch9wavefront6targetE0EEEvT1_
; %bb.0:
	.section	.rodata,"a",@progbits
	.p2align	6, 0x0
	.amdhsa_kernel _ZN7rocprim17ROCPRIM_400000_NS6detail17trampoline_kernelINS0_14default_configENS1_27scan_by_key_config_selectorIiiEEZZNS1_16scan_by_key_implILNS1_25lookback_scan_determinismE0ELb0ES3_N6thrust23THRUST_200600_302600_NS10device_ptrIiEESB_SB_iNS9_4plusIvEENS9_8equal_toIvEEiEE10hipError_tPvRmT2_T3_T4_T5_mT6_T7_P12ihipStream_tbENKUlT_T0_E_clISt17integral_constantIbLb1EESV_IbLb0EEEEDaSR_SS_EUlSR_E_NS1_11comp_targetILNS1_3genE0ELNS1_11target_archE4294967295ELNS1_3gpuE0ELNS1_3repE0EEENS1_30default_config_static_selectorELNS0_4arch9wavefront6targetE0EEEvT1_
		.amdhsa_group_segment_fixed_size 0
		.amdhsa_private_segment_fixed_size 0
		.amdhsa_kernarg_size 112
		.amdhsa_user_sgpr_count 6
		.amdhsa_user_sgpr_private_segment_buffer 1
		.amdhsa_user_sgpr_dispatch_ptr 0
		.amdhsa_user_sgpr_queue_ptr 0
		.amdhsa_user_sgpr_kernarg_segment_ptr 1
		.amdhsa_user_sgpr_dispatch_id 0
		.amdhsa_user_sgpr_flat_scratch_init 0
		.amdhsa_user_sgpr_private_segment_size 0
		.amdhsa_wavefront_size32 1
		.amdhsa_uses_dynamic_stack 0
		.amdhsa_system_sgpr_private_segment_wavefront_offset 0
		.amdhsa_system_sgpr_workgroup_id_x 1
		.amdhsa_system_sgpr_workgroup_id_y 0
		.amdhsa_system_sgpr_workgroup_id_z 0
		.amdhsa_system_sgpr_workgroup_info 0
		.amdhsa_system_vgpr_workitem_id 0
		.amdhsa_next_free_vgpr 1
		.amdhsa_next_free_sgpr 1
		.amdhsa_reserve_vcc 0
		.amdhsa_reserve_flat_scratch 0
		.amdhsa_float_round_mode_32 0
		.amdhsa_float_round_mode_16_64 0
		.amdhsa_float_denorm_mode_32 3
		.amdhsa_float_denorm_mode_16_64 3
		.amdhsa_dx10_clamp 1
		.amdhsa_ieee_mode 1
		.amdhsa_fp16_overflow 0
		.amdhsa_workgroup_processor_mode 1
		.amdhsa_memory_ordered 1
		.amdhsa_forward_progress 1
		.amdhsa_shared_vgpr_count 0
		.amdhsa_exception_fp_ieee_invalid_op 0
		.amdhsa_exception_fp_denorm_src 0
		.amdhsa_exception_fp_ieee_div_zero 0
		.amdhsa_exception_fp_ieee_overflow 0
		.amdhsa_exception_fp_ieee_underflow 0
		.amdhsa_exception_fp_ieee_inexact 0
		.amdhsa_exception_int_div_zero 0
	.end_amdhsa_kernel
	.section	.text._ZN7rocprim17ROCPRIM_400000_NS6detail17trampoline_kernelINS0_14default_configENS1_27scan_by_key_config_selectorIiiEEZZNS1_16scan_by_key_implILNS1_25lookback_scan_determinismE0ELb0ES3_N6thrust23THRUST_200600_302600_NS10device_ptrIiEESB_SB_iNS9_4plusIvEENS9_8equal_toIvEEiEE10hipError_tPvRmT2_T3_T4_T5_mT6_T7_P12ihipStream_tbENKUlT_T0_E_clISt17integral_constantIbLb1EESV_IbLb0EEEEDaSR_SS_EUlSR_E_NS1_11comp_targetILNS1_3genE0ELNS1_11target_archE4294967295ELNS1_3gpuE0ELNS1_3repE0EEENS1_30default_config_static_selectorELNS0_4arch9wavefront6targetE0EEEvT1_,"axG",@progbits,_ZN7rocprim17ROCPRIM_400000_NS6detail17trampoline_kernelINS0_14default_configENS1_27scan_by_key_config_selectorIiiEEZZNS1_16scan_by_key_implILNS1_25lookback_scan_determinismE0ELb0ES3_N6thrust23THRUST_200600_302600_NS10device_ptrIiEESB_SB_iNS9_4plusIvEENS9_8equal_toIvEEiEE10hipError_tPvRmT2_T3_T4_T5_mT6_T7_P12ihipStream_tbENKUlT_T0_E_clISt17integral_constantIbLb1EESV_IbLb0EEEEDaSR_SS_EUlSR_E_NS1_11comp_targetILNS1_3genE0ELNS1_11target_archE4294967295ELNS1_3gpuE0ELNS1_3repE0EEENS1_30default_config_static_selectorELNS0_4arch9wavefront6targetE0EEEvT1_,comdat
.Lfunc_end2214:
	.size	_ZN7rocprim17ROCPRIM_400000_NS6detail17trampoline_kernelINS0_14default_configENS1_27scan_by_key_config_selectorIiiEEZZNS1_16scan_by_key_implILNS1_25lookback_scan_determinismE0ELb0ES3_N6thrust23THRUST_200600_302600_NS10device_ptrIiEESB_SB_iNS9_4plusIvEENS9_8equal_toIvEEiEE10hipError_tPvRmT2_T3_T4_T5_mT6_T7_P12ihipStream_tbENKUlT_T0_E_clISt17integral_constantIbLb1EESV_IbLb0EEEEDaSR_SS_EUlSR_E_NS1_11comp_targetILNS1_3genE0ELNS1_11target_archE4294967295ELNS1_3gpuE0ELNS1_3repE0EEENS1_30default_config_static_selectorELNS0_4arch9wavefront6targetE0EEEvT1_, .Lfunc_end2214-_ZN7rocprim17ROCPRIM_400000_NS6detail17trampoline_kernelINS0_14default_configENS1_27scan_by_key_config_selectorIiiEEZZNS1_16scan_by_key_implILNS1_25lookback_scan_determinismE0ELb0ES3_N6thrust23THRUST_200600_302600_NS10device_ptrIiEESB_SB_iNS9_4plusIvEENS9_8equal_toIvEEiEE10hipError_tPvRmT2_T3_T4_T5_mT6_T7_P12ihipStream_tbENKUlT_T0_E_clISt17integral_constantIbLb1EESV_IbLb0EEEEDaSR_SS_EUlSR_E_NS1_11comp_targetILNS1_3genE0ELNS1_11target_archE4294967295ELNS1_3gpuE0ELNS1_3repE0EEENS1_30default_config_static_selectorELNS0_4arch9wavefront6targetE0EEEvT1_
                                        ; -- End function
	.set _ZN7rocprim17ROCPRIM_400000_NS6detail17trampoline_kernelINS0_14default_configENS1_27scan_by_key_config_selectorIiiEEZZNS1_16scan_by_key_implILNS1_25lookback_scan_determinismE0ELb0ES3_N6thrust23THRUST_200600_302600_NS10device_ptrIiEESB_SB_iNS9_4plusIvEENS9_8equal_toIvEEiEE10hipError_tPvRmT2_T3_T4_T5_mT6_T7_P12ihipStream_tbENKUlT_T0_E_clISt17integral_constantIbLb1EESV_IbLb0EEEEDaSR_SS_EUlSR_E_NS1_11comp_targetILNS1_3genE0ELNS1_11target_archE4294967295ELNS1_3gpuE0ELNS1_3repE0EEENS1_30default_config_static_selectorELNS0_4arch9wavefront6targetE0EEEvT1_.num_vgpr, 0
	.set _ZN7rocprim17ROCPRIM_400000_NS6detail17trampoline_kernelINS0_14default_configENS1_27scan_by_key_config_selectorIiiEEZZNS1_16scan_by_key_implILNS1_25lookback_scan_determinismE0ELb0ES3_N6thrust23THRUST_200600_302600_NS10device_ptrIiEESB_SB_iNS9_4plusIvEENS9_8equal_toIvEEiEE10hipError_tPvRmT2_T3_T4_T5_mT6_T7_P12ihipStream_tbENKUlT_T0_E_clISt17integral_constantIbLb1EESV_IbLb0EEEEDaSR_SS_EUlSR_E_NS1_11comp_targetILNS1_3genE0ELNS1_11target_archE4294967295ELNS1_3gpuE0ELNS1_3repE0EEENS1_30default_config_static_selectorELNS0_4arch9wavefront6targetE0EEEvT1_.num_agpr, 0
	.set _ZN7rocprim17ROCPRIM_400000_NS6detail17trampoline_kernelINS0_14default_configENS1_27scan_by_key_config_selectorIiiEEZZNS1_16scan_by_key_implILNS1_25lookback_scan_determinismE0ELb0ES3_N6thrust23THRUST_200600_302600_NS10device_ptrIiEESB_SB_iNS9_4plusIvEENS9_8equal_toIvEEiEE10hipError_tPvRmT2_T3_T4_T5_mT6_T7_P12ihipStream_tbENKUlT_T0_E_clISt17integral_constantIbLb1EESV_IbLb0EEEEDaSR_SS_EUlSR_E_NS1_11comp_targetILNS1_3genE0ELNS1_11target_archE4294967295ELNS1_3gpuE0ELNS1_3repE0EEENS1_30default_config_static_selectorELNS0_4arch9wavefront6targetE0EEEvT1_.numbered_sgpr, 0
	.set _ZN7rocprim17ROCPRIM_400000_NS6detail17trampoline_kernelINS0_14default_configENS1_27scan_by_key_config_selectorIiiEEZZNS1_16scan_by_key_implILNS1_25lookback_scan_determinismE0ELb0ES3_N6thrust23THRUST_200600_302600_NS10device_ptrIiEESB_SB_iNS9_4plusIvEENS9_8equal_toIvEEiEE10hipError_tPvRmT2_T3_T4_T5_mT6_T7_P12ihipStream_tbENKUlT_T0_E_clISt17integral_constantIbLb1EESV_IbLb0EEEEDaSR_SS_EUlSR_E_NS1_11comp_targetILNS1_3genE0ELNS1_11target_archE4294967295ELNS1_3gpuE0ELNS1_3repE0EEENS1_30default_config_static_selectorELNS0_4arch9wavefront6targetE0EEEvT1_.num_named_barrier, 0
	.set _ZN7rocprim17ROCPRIM_400000_NS6detail17trampoline_kernelINS0_14default_configENS1_27scan_by_key_config_selectorIiiEEZZNS1_16scan_by_key_implILNS1_25lookback_scan_determinismE0ELb0ES3_N6thrust23THRUST_200600_302600_NS10device_ptrIiEESB_SB_iNS9_4plusIvEENS9_8equal_toIvEEiEE10hipError_tPvRmT2_T3_T4_T5_mT6_T7_P12ihipStream_tbENKUlT_T0_E_clISt17integral_constantIbLb1EESV_IbLb0EEEEDaSR_SS_EUlSR_E_NS1_11comp_targetILNS1_3genE0ELNS1_11target_archE4294967295ELNS1_3gpuE0ELNS1_3repE0EEENS1_30default_config_static_selectorELNS0_4arch9wavefront6targetE0EEEvT1_.private_seg_size, 0
	.set _ZN7rocprim17ROCPRIM_400000_NS6detail17trampoline_kernelINS0_14default_configENS1_27scan_by_key_config_selectorIiiEEZZNS1_16scan_by_key_implILNS1_25lookback_scan_determinismE0ELb0ES3_N6thrust23THRUST_200600_302600_NS10device_ptrIiEESB_SB_iNS9_4plusIvEENS9_8equal_toIvEEiEE10hipError_tPvRmT2_T3_T4_T5_mT6_T7_P12ihipStream_tbENKUlT_T0_E_clISt17integral_constantIbLb1EESV_IbLb0EEEEDaSR_SS_EUlSR_E_NS1_11comp_targetILNS1_3genE0ELNS1_11target_archE4294967295ELNS1_3gpuE0ELNS1_3repE0EEENS1_30default_config_static_selectorELNS0_4arch9wavefront6targetE0EEEvT1_.uses_vcc, 0
	.set _ZN7rocprim17ROCPRIM_400000_NS6detail17trampoline_kernelINS0_14default_configENS1_27scan_by_key_config_selectorIiiEEZZNS1_16scan_by_key_implILNS1_25lookback_scan_determinismE0ELb0ES3_N6thrust23THRUST_200600_302600_NS10device_ptrIiEESB_SB_iNS9_4plusIvEENS9_8equal_toIvEEiEE10hipError_tPvRmT2_T3_T4_T5_mT6_T7_P12ihipStream_tbENKUlT_T0_E_clISt17integral_constantIbLb1EESV_IbLb0EEEEDaSR_SS_EUlSR_E_NS1_11comp_targetILNS1_3genE0ELNS1_11target_archE4294967295ELNS1_3gpuE0ELNS1_3repE0EEENS1_30default_config_static_selectorELNS0_4arch9wavefront6targetE0EEEvT1_.uses_flat_scratch, 0
	.set _ZN7rocprim17ROCPRIM_400000_NS6detail17trampoline_kernelINS0_14default_configENS1_27scan_by_key_config_selectorIiiEEZZNS1_16scan_by_key_implILNS1_25lookback_scan_determinismE0ELb0ES3_N6thrust23THRUST_200600_302600_NS10device_ptrIiEESB_SB_iNS9_4plusIvEENS9_8equal_toIvEEiEE10hipError_tPvRmT2_T3_T4_T5_mT6_T7_P12ihipStream_tbENKUlT_T0_E_clISt17integral_constantIbLb1EESV_IbLb0EEEEDaSR_SS_EUlSR_E_NS1_11comp_targetILNS1_3genE0ELNS1_11target_archE4294967295ELNS1_3gpuE0ELNS1_3repE0EEENS1_30default_config_static_selectorELNS0_4arch9wavefront6targetE0EEEvT1_.has_dyn_sized_stack, 0
	.set _ZN7rocprim17ROCPRIM_400000_NS6detail17trampoline_kernelINS0_14default_configENS1_27scan_by_key_config_selectorIiiEEZZNS1_16scan_by_key_implILNS1_25lookback_scan_determinismE0ELb0ES3_N6thrust23THRUST_200600_302600_NS10device_ptrIiEESB_SB_iNS9_4plusIvEENS9_8equal_toIvEEiEE10hipError_tPvRmT2_T3_T4_T5_mT6_T7_P12ihipStream_tbENKUlT_T0_E_clISt17integral_constantIbLb1EESV_IbLb0EEEEDaSR_SS_EUlSR_E_NS1_11comp_targetILNS1_3genE0ELNS1_11target_archE4294967295ELNS1_3gpuE0ELNS1_3repE0EEENS1_30default_config_static_selectorELNS0_4arch9wavefront6targetE0EEEvT1_.has_recursion, 0
	.set _ZN7rocprim17ROCPRIM_400000_NS6detail17trampoline_kernelINS0_14default_configENS1_27scan_by_key_config_selectorIiiEEZZNS1_16scan_by_key_implILNS1_25lookback_scan_determinismE0ELb0ES3_N6thrust23THRUST_200600_302600_NS10device_ptrIiEESB_SB_iNS9_4plusIvEENS9_8equal_toIvEEiEE10hipError_tPvRmT2_T3_T4_T5_mT6_T7_P12ihipStream_tbENKUlT_T0_E_clISt17integral_constantIbLb1EESV_IbLb0EEEEDaSR_SS_EUlSR_E_NS1_11comp_targetILNS1_3genE0ELNS1_11target_archE4294967295ELNS1_3gpuE0ELNS1_3repE0EEENS1_30default_config_static_selectorELNS0_4arch9wavefront6targetE0EEEvT1_.has_indirect_call, 0
	.section	.AMDGPU.csdata,"",@progbits
; Kernel info:
; codeLenInByte = 0
; TotalNumSgprs: 0
; NumVgprs: 0
; ScratchSize: 0
; MemoryBound: 0
; FloatMode: 240
; IeeeMode: 1
; LDSByteSize: 0 bytes/workgroup (compile time only)
; SGPRBlocks: 0
; VGPRBlocks: 0
; NumSGPRsForWavesPerEU: 1
; NumVGPRsForWavesPerEU: 1
; Occupancy: 16
; WaveLimiterHint : 0
; COMPUTE_PGM_RSRC2:SCRATCH_EN: 0
; COMPUTE_PGM_RSRC2:USER_SGPR: 6
; COMPUTE_PGM_RSRC2:TRAP_HANDLER: 0
; COMPUTE_PGM_RSRC2:TGID_X_EN: 1
; COMPUTE_PGM_RSRC2:TGID_Y_EN: 0
; COMPUTE_PGM_RSRC2:TGID_Z_EN: 0
; COMPUTE_PGM_RSRC2:TIDIG_COMP_CNT: 0
	.section	.text._ZN7rocprim17ROCPRIM_400000_NS6detail17trampoline_kernelINS0_14default_configENS1_27scan_by_key_config_selectorIiiEEZZNS1_16scan_by_key_implILNS1_25lookback_scan_determinismE0ELb0ES3_N6thrust23THRUST_200600_302600_NS10device_ptrIiEESB_SB_iNS9_4plusIvEENS9_8equal_toIvEEiEE10hipError_tPvRmT2_T3_T4_T5_mT6_T7_P12ihipStream_tbENKUlT_T0_E_clISt17integral_constantIbLb1EESV_IbLb0EEEEDaSR_SS_EUlSR_E_NS1_11comp_targetILNS1_3genE10ELNS1_11target_archE1201ELNS1_3gpuE5ELNS1_3repE0EEENS1_30default_config_static_selectorELNS0_4arch9wavefront6targetE0EEEvT1_,"axG",@progbits,_ZN7rocprim17ROCPRIM_400000_NS6detail17trampoline_kernelINS0_14default_configENS1_27scan_by_key_config_selectorIiiEEZZNS1_16scan_by_key_implILNS1_25lookback_scan_determinismE0ELb0ES3_N6thrust23THRUST_200600_302600_NS10device_ptrIiEESB_SB_iNS9_4plusIvEENS9_8equal_toIvEEiEE10hipError_tPvRmT2_T3_T4_T5_mT6_T7_P12ihipStream_tbENKUlT_T0_E_clISt17integral_constantIbLb1EESV_IbLb0EEEEDaSR_SS_EUlSR_E_NS1_11comp_targetILNS1_3genE10ELNS1_11target_archE1201ELNS1_3gpuE5ELNS1_3repE0EEENS1_30default_config_static_selectorELNS0_4arch9wavefront6targetE0EEEvT1_,comdat
	.protected	_ZN7rocprim17ROCPRIM_400000_NS6detail17trampoline_kernelINS0_14default_configENS1_27scan_by_key_config_selectorIiiEEZZNS1_16scan_by_key_implILNS1_25lookback_scan_determinismE0ELb0ES3_N6thrust23THRUST_200600_302600_NS10device_ptrIiEESB_SB_iNS9_4plusIvEENS9_8equal_toIvEEiEE10hipError_tPvRmT2_T3_T4_T5_mT6_T7_P12ihipStream_tbENKUlT_T0_E_clISt17integral_constantIbLb1EESV_IbLb0EEEEDaSR_SS_EUlSR_E_NS1_11comp_targetILNS1_3genE10ELNS1_11target_archE1201ELNS1_3gpuE5ELNS1_3repE0EEENS1_30default_config_static_selectorELNS0_4arch9wavefront6targetE0EEEvT1_ ; -- Begin function _ZN7rocprim17ROCPRIM_400000_NS6detail17trampoline_kernelINS0_14default_configENS1_27scan_by_key_config_selectorIiiEEZZNS1_16scan_by_key_implILNS1_25lookback_scan_determinismE0ELb0ES3_N6thrust23THRUST_200600_302600_NS10device_ptrIiEESB_SB_iNS9_4plusIvEENS9_8equal_toIvEEiEE10hipError_tPvRmT2_T3_T4_T5_mT6_T7_P12ihipStream_tbENKUlT_T0_E_clISt17integral_constantIbLb1EESV_IbLb0EEEEDaSR_SS_EUlSR_E_NS1_11comp_targetILNS1_3genE10ELNS1_11target_archE1201ELNS1_3gpuE5ELNS1_3repE0EEENS1_30default_config_static_selectorELNS0_4arch9wavefront6targetE0EEEvT1_
	.globl	_ZN7rocprim17ROCPRIM_400000_NS6detail17trampoline_kernelINS0_14default_configENS1_27scan_by_key_config_selectorIiiEEZZNS1_16scan_by_key_implILNS1_25lookback_scan_determinismE0ELb0ES3_N6thrust23THRUST_200600_302600_NS10device_ptrIiEESB_SB_iNS9_4plusIvEENS9_8equal_toIvEEiEE10hipError_tPvRmT2_T3_T4_T5_mT6_T7_P12ihipStream_tbENKUlT_T0_E_clISt17integral_constantIbLb1EESV_IbLb0EEEEDaSR_SS_EUlSR_E_NS1_11comp_targetILNS1_3genE10ELNS1_11target_archE1201ELNS1_3gpuE5ELNS1_3repE0EEENS1_30default_config_static_selectorELNS0_4arch9wavefront6targetE0EEEvT1_
	.p2align	8
	.type	_ZN7rocprim17ROCPRIM_400000_NS6detail17trampoline_kernelINS0_14default_configENS1_27scan_by_key_config_selectorIiiEEZZNS1_16scan_by_key_implILNS1_25lookback_scan_determinismE0ELb0ES3_N6thrust23THRUST_200600_302600_NS10device_ptrIiEESB_SB_iNS9_4plusIvEENS9_8equal_toIvEEiEE10hipError_tPvRmT2_T3_T4_T5_mT6_T7_P12ihipStream_tbENKUlT_T0_E_clISt17integral_constantIbLb1EESV_IbLb0EEEEDaSR_SS_EUlSR_E_NS1_11comp_targetILNS1_3genE10ELNS1_11target_archE1201ELNS1_3gpuE5ELNS1_3repE0EEENS1_30default_config_static_selectorELNS0_4arch9wavefront6targetE0EEEvT1_,@function
_ZN7rocprim17ROCPRIM_400000_NS6detail17trampoline_kernelINS0_14default_configENS1_27scan_by_key_config_selectorIiiEEZZNS1_16scan_by_key_implILNS1_25lookback_scan_determinismE0ELb0ES3_N6thrust23THRUST_200600_302600_NS10device_ptrIiEESB_SB_iNS9_4plusIvEENS9_8equal_toIvEEiEE10hipError_tPvRmT2_T3_T4_T5_mT6_T7_P12ihipStream_tbENKUlT_T0_E_clISt17integral_constantIbLb1EESV_IbLb0EEEEDaSR_SS_EUlSR_E_NS1_11comp_targetILNS1_3genE10ELNS1_11target_archE1201ELNS1_3gpuE5ELNS1_3repE0EEENS1_30default_config_static_selectorELNS0_4arch9wavefront6targetE0EEEvT1_: ; @_ZN7rocprim17ROCPRIM_400000_NS6detail17trampoline_kernelINS0_14default_configENS1_27scan_by_key_config_selectorIiiEEZZNS1_16scan_by_key_implILNS1_25lookback_scan_determinismE0ELb0ES3_N6thrust23THRUST_200600_302600_NS10device_ptrIiEESB_SB_iNS9_4plusIvEENS9_8equal_toIvEEiEE10hipError_tPvRmT2_T3_T4_T5_mT6_T7_P12ihipStream_tbENKUlT_T0_E_clISt17integral_constantIbLb1EESV_IbLb0EEEEDaSR_SS_EUlSR_E_NS1_11comp_targetILNS1_3genE10ELNS1_11target_archE1201ELNS1_3gpuE5ELNS1_3repE0EEENS1_30default_config_static_selectorELNS0_4arch9wavefront6targetE0EEEvT1_
; %bb.0:
	.section	.rodata,"a",@progbits
	.p2align	6, 0x0
	.amdhsa_kernel _ZN7rocprim17ROCPRIM_400000_NS6detail17trampoline_kernelINS0_14default_configENS1_27scan_by_key_config_selectorIiiEEZZNS1_16scan_by_key_implILNS1_25lookback_scan_determinismE0ELb0ES3_N6thrust23THRUST_200600_302600_NS10device_ptrIiEESB_SB_iNS9_4plusIvEENS9_8equal_toIvEEiEE10hipError_tPvRmT2_T3_T4_T5_mT6_T7_P12ihipStream_tbENKUlT_T0_E_clISt17integral_constantIbLb1EESV_IbLb0EEEEDaSR_SS_EUlSR_E_NS1_11comp_targetILNS1_3genE10ELNS1_11target_archE1201ELNS1_3gpuE5ELNS1_3repE0EEENS1_30default_config_static_selectorELNS0_4arch9wavefront6targetE0EEEvT1_
		.amdhsa_group_segment_fixed_size 0
		.amdhsa_private_segment_fixed_size 0
		.amdhsa_kernarg_size 112
		.amdhsa_user_sgpr_count 6
		.amdhsa_user_sgpr_private_segment_buffer 1
		.amdhsa_user_sgpr_dispatch_ptr 0
		.amdhsa_user_sgpr_queue_ptr 0
		.amdhsa_user_sgpr_kernarg_segment_ptr 1
		.amdhsa_user_sgpr_dispatch_id 0
		.amdhsa_user_sgpr_flat_scratch_init 0
		.amdhsa_user_sgpr_private_segment_size 0
		.amdhsa_wavefront_size32 1
		.amdhsa_uses_dynamic_stack 0
		.amdhsa_system_sgpr_private_segment_wavefront_offset 0
		.amdhsa_system_sgpr_workgroup_id_x 1
		.amdhsa_system_sgpr_workgroup_id_y 0
		.amdhsa_system_sgpr_workgroup_id_z 0
		.amdhsa_system_sgpr_workgroup_info 0
		.amdhsa_system_vgpr_workitem_id 0
		.amdhsa_next_free_vgpr 1
		.amdhsa_next_free_sgpr 1
		.amdhsa_reserve_vcc 0
		.amdhsa_reserve_flat_scratch 0
		.amdhsa_float_round_mode_32 0
		.amdhsa_float_round_mode_16_64 0
		.amdhsa_float_denorm_mode_32 3
		.amdhsa_float_denorm_mode_16_64 3
		.amdhsa_dx10_clamp 1
		.amdhsa_ieee_mode 1
		.amdhsa_fp16_overflow 0
		.amdhsa_workgroup_processor_mode 1
		.amdhsa_memory_ordered 1
		.amdhsa_forward_progress 1
		.amdhsa_shared_vgpr_count 0
		.amdhsa_exception_fp_ieee_invalid_op 0
		.amdhsa_exception_fp_denorm_src 0
		.amdhsa_exception_fp_ieee_div_zero 0
		.amdhsa_exception_fp_ieee_overflow 0
		.amdhsa_exception_fp_ieee_underflow 0
		.amdhsa_exception_fp_ieee_inexact 0
		.amdhsa_exception_int_div_zero 0
	.end_amdhsa_kernel
	.section	.text._ZN7rocprim17ROCPRIM_400000_NS6detail17trampoline_kernelINS0_14default_configENS1_27scan_by_key_config_selectorIiiEEZZNS1_16scan_by_key_implILNS1_25lookback_scan_determinismE0ELb0ES3_N6thrust23THRUST_200600_302600_NS10device_ptrIiEESB_SB_iNS9_4plusIvEENS9_8equal_toIvEEiEE10hipError_tPvRmT2_T3_T4_T5_mT6_T7_P12ihipStream_tbENKUlT_T0_E_clISt17integral_constantIbLb1EESV_IbLb0EEEEDaSR_SS_EUlSR_E_NS1_11comp_targetILNS1_3genE10ELNS1_11target_archE1201ELNS1_3gpuE5ELNS1_3repE0EEENS1_30default_config_static_selectorELNS0_4arch9wavefront6targetE0EEEvT1_,"axG",@progbits,_ZN7rocprim17ROCPRIM_400000_NS6detail17trampoline_kernelINS0_14default_configENS1_27scan_by_key_config_selectorIiiEEZZNS1_16scan_by_key_implILNS1_25lookback_scan_determinismE0ELb0ES3_N6thrust23THRUST_200600_302600_NS10device_ptrIiEESB_SB_iNS9_4plusIvEENS9_8equal_toIvEEiEE10hipError_tPvRmT2_T3_T4_T5_mT6_T7_P12ihipStream_tbENKUlT_T0_E_clISt17integral_constantIbLb1EESV_IbLb0EEEEDaSR_SS_EUlSR_E_NS1_11comp_targetILNS1_3genE10ELNS1_11target_archE1201ELNS1_3gpuE5ELNS1_3repE0EEENS1_30default_config_static_selectorELNS0_4arch9wavefront6targetE0EEEvT1_,comdat
.Lfunc_end2215:
	.size	_ZN7rocprim17ROCPRIM_400000_NS6detail17trampoline_kernelINS0_14default_configENS1_27scan_by_key_config_selectorIiiEEZZNS1_16scan_by_key_implILNS1_25lookback_scan_determinismE0ELb0ES3_N6thrust23THRUST_200600_302600_NS10device_ptrIiEESB_SB_iNS9_4plusIvEENS9_8equal_toIvEEiEE10hipError_tPvRmT2_T3_T4_T5_mT6_T7_P12ihipStream_tbENKUlT_T0_E_clISt17integral_constantIbLb1EESV_IbLb0EEEEDaSR_SS_EUlSR_E_NS1_11comp_targetILNS1_3genE10ELNS1_11target_archE1201ELNS1_3gpuE5ELNS1_3repE0EEENS1_30default_config_static_selectorELNS0_4arch9wavefront6targetE0EEEvT1_, .Lfunc_end2215-_ZN7rocprim17ROCPRIM_400000_NS6detail17trampoline_kernelINS0_14default_configENS1_27scan_by_key_config_selectorIiiEEZZNS1_16scan_by_key_implILNS1_25lookback_scan_determinismE0ELb0ES3_N6thrust23THRUST_200600_302600_NS10device_ptrIiEESB_SB_iNS9_4plusIvEENS9_8equal_toIvEEiEE10hipError_tPvRmT2_T3_T4_T5_mT6_T7_P12ihipStream_tbENKUlT_T0_E_clISt17integral_constantIbLb1EESV_IbLb0EEEEDaSR_SS_EUlSR_E_NS1_11comp_targetILNS1_3genE10ELNS1_11target_archE1201ELNS1_3gpuE5ELNS1_3repE0EEENS1_30default_config_static_selectorELNS0_4arch9wavefront6targetE0EEEvT1_
                                        ; -- End function
	.set _ZN7rocprim17ROCPRIM_400000_NS6detail17trampoline_kernelINS0_14default_configENS1_27scan_by_key_config_selectorIiiEEZZNS1_16scan_by_key_implILNS1_25lookback_scan_determinismE0ELb0ES3_N6thrust23THRUST_200600_302600_NS10device_ptrIiEESB_SB_iNS9_4plusIvEENS9_8equal_toIvEEiEE10hipError_tPvRmT2_T3_T4_T5_mT6_T7_P12ihipStream_tbENKUlT_T0_E_clISt17integral_constantIbLb1EESV_IbLb0EEEEDaSR_SS_EUlSR_E_NS1_11comp_targetILNS1_3genE10ELNS1_11target_archE1201ELNS1_3gpuE5ELNS1_3repE0EEENS1_30default_config_static_selectorELNS0_4arch9wavefront6targetE0EEEvT1_.num_vgpr, 0
	.set _ZN7rocprim17ROCPRIM_400000_NS6detail17trampoline_kernelINS0_14default_configENS1_27scan_by_key_config_selectorIiiEEZZNS1_16scan_by_key_implILNS1_25lookback_scan_determinismE0ELb0ES3_N6thrust23THRUST_200600_302600_NS10device_ptrIiEESB_SB_iNS9_4plusIvEENS9_8equal_toIvEEiEE10hipError_tPvRmT2_T3_T4_T5_mT6_T7_P12ihipStream_tbENKUlT_T0_E_clISt17integral_constantIbLb1EESV_IbLb0EEEEDaSR_SS_EUlSR_E_NS1_11comp_targetILNS1_3genE10ELNS1_11target_archE1201ELNS1_3gpuE5ELNS1_3repE0EEENS1_30default_config_static_selectorELNS0_4arch9wavefront6targetE0EEEvT1_.num_agpr, 0
	.set _ZN7rocprim17ROCPRIM_400000_NS6detail17trampoline_kernelINS0_14default_configENS1_27scan_by_key_config_selectorIiiEEZZNS1_16scan_by_key_implILNS1_25lookback_scan_determinismE0ELb0ES3_N6thrust23THRUST_200600_302600_NS10device_ptrIiEESB_SB_iNS9_4plusIvEENS9_8equal_toIvEEiEE10hipError_tPvRmT2_T3_T4_T5_mT6_T7_P12ihipStream_tbENKUlT_T0_E_clISt17integral_constantIbLb1EESV_IbLb0EEEEDaSR_SS_EUlSR_E_NS1_11comp_targetILNS1_3genE10ELNS1_11target_archE1201ELNS1_3gpuE5ELNS1_3repE0EEENS1_30default_config_static_selectorELNS0_4arch9wavefront6targetE0EEEvT1_.numbered_sgpr, 0
	.set _ZN7rocprim17ROCPRIM_400000_NS6detail17trampoline_kernelINS0_14default_configENS1_27scan_by_key_config_selectorIiiEEZZNS1_16scan_by_key_implILNS1_25lookback_scan_determinismE0ELb0ES3_N6thrust23THRUST_200600_302600_NS10device_ptrIiEESB_SB_iNS9_4plusIvEENS9_8equal_toIvEEiEE10hipError_tPvRmT2_T3_T4_T5_mT6_T7_P12ihipStream_tbENKUlT_T0_E_clISt17integral_constantIbLb1EESV_IbLb0EEEEDaSR_SS_EUlSR_E_NS1_11comp_targetILNS1_3genE10ELNS1_11target_archE1201ELNS1_3gpuE5ELNS1_3repE0EEENS1_30default_config_static_selectorELNS0_4arch9wavefront6targetE0EEEvT1_.num_named_barrier, 0
	.set _ZN7rocprim17ROCPRIM_400000_NS6detail17trampoline_kernelINS0_14default_configENS1_27scan_by_key_config_selectorIiiEEZZNS1_16scan_by_key_implILNS1_25lookback_scan_determinismE0ELb0ES3_N6thrust23THRUST_200600_302600_NS10device_ptrIiEESB_SB_iNS9_4plusIvEENS9_8equal_toIvEEiEE10hipError_tPvRmT2_T3_T4_T5_mT6_T7_P12ihipStream_tbENKUlT_T0_E_clISt17integral_constantIbLb1EESV_IbLb0EEEEDaSR_SS_EUlSR_E_NS1_11comp_targetILNS1_3genE10ELNS1_11target_archE1201ELNS1_3gpuE5ELNS1_3repE0EEENS1_30default_config_static_selectorELNS0_4arch9wavefront6targetE0EEEvT1_.private_seg_size, 0
	.set _ZN7rocprim17ROCPRIM_400000_NS6detail17trampoline_kernelINS0_14default_configENS1_27scan_by_key_config_selectorIiiEEZZNS1_16scan_by_key_implILNS1_25lookback_scan_determinismE0ELb0ES3_N6thrust23THRUST_200600_302600_NS10device_ptrIiEESB_SB_iNS9_4plusIvEENS9_8equal_toIvEEiEE10hipError_tPvRmT2_T3_T4_T5_mT6_T7_P12ihipStream_tbENKUlT_T0_E_clISt17integral_constantIbLb1EESV_IbLb0EEEEDaSR_SS_EUlSR_E_NS1_11comp_targetILNS1_3genE10ELNS1_11target_archE1201ELNS1_3gpuE5ELNS1_3repE0EEENS1_30default_config_static_selectorELNS0_4arch9wavefront6targetE0EEEvT1_.uses_vcc, 0
	.set _ZN7rocprim17ROCPRIM_400000_NS6detail17trampoline_kernelINS0_14default_configENS1_27scan_by_key_config_selectorIiiEEZZNS1_16scan_by_key_implILNS1_25lookback_scan_determinismE0ELb0ES3_N6thrust23THRUST_200600_302600_NS10device_ptrIiEESB_SB_iNS9_4plusIvEENS9_8equal_toIvEEiEE10hipError_tPvRmT2_T3_T4_T5_mT6_T7_P12ihipStream_tbENKUlT_T0_E_clISt17integral_constantIbLb1EESV_IbLb0EEEEDaSR_SS_EUlSR_E_NS1_11comp_targetILNS1_3genE10ELNS1_11target_archE1201ELNS1_3gpuE5ELNS1_3repE0EEENS1_30default_config_static_selectorELNS0_4arch9wavefront6targetE0EEEvT1_.uses_flat_scratch, 0
	.set _ZN7rocprim17ROCPRIM_400000_NS6detail17trampoline_kernelINS0_14default_configENS1_27scan_by_key_config_selectorIiiEEZZNS1_16scan_by_key_implILNS1_25lookback_scan_determinismE0ELb0ES3_N6thrust23THRUST_200600_302600_NS10device_ptrIiEESB_SB_iNS9_4plusIvEENS9_8equal_toIvEEiEE10hipError_tPvRmT2_T3_T4_T5_mT6_T7_P12ihipStream_tbENKUlT_T0_E_clISt17integral_constantIbLb1EESV_IbLb0EEEEDaSR_SS_EUlSR_E_NS1_11comp_targetILNS1_3genE10ELNS1_11target_archE1201ELNS1_3gpuE5ELNS1_3repE0EEENS1_30default_config_static_selectorELNS0_4arch9wavefront6targetE0EEEvT1_.has_dyn_sized_stack, 0
	.set _ZN7rocprim17ROCPRIM_400000_NS6detail17trampoline_kernelINS0_14default_configENS1_27scan_by_key_config_selectorIiiEEZZNS1_16scan_by_key_implILNS1_25lookback_scan_determinismE0ELb0ES3_N6thrust23THRUST_200600_302600_NS10device_ptrIiEESB_SB_iNS9_4plusIvEENS9_8equal_toIvEEiEE10hipError_tPvRmT2_T3_T4_T5_mT6_T7_P12ihipStream_tbENKUlT_T0_E_clISt17integral_constantIbLb1EESV_IbLb0EEEEDaSR_SS_EUlSR_E_NS1_11comp_targetILNS1_3genE10ELNS1_11target_archE1201ELNS1_3gpuE5ELNS1_3repE0EEENS1_30default_config_static_selectorELNS0_4arch9wavefront6targetE0EEEvT1_.has_recursion, 0
	.set _ZN7rocprim17ROCPRIM_400000_NS6detail17trampoline_kernelINS0_14default_configENS1_27scan_by_key_config_selectorIiiEEZZNS1_16scan_by_key_implILNS1_25lookback_scan_determinismE0ELb0ES3_N6thrust23THRUST_200600_302600_NS10device_ptrIiEESB_SB_iNS9_4plusIvEENS9_8equal_toIvEEiEE10hipError_tPvRmT2_T3_T4_T5_mT6_T7_P12ihipStream_tbENKUlT_T0_E_clISt17integral_constantIbLb1EESV_IbLb0EEEEDaSR_SS_EUlSR_E_NS1_11comp_targetILNS1_3genE10ELNS1_11target_archE1201ELNS1_3gpuE5ELNS1_3repE0EEENS1_30default_config_static_selectorELNS0_4arch9wavefront6targetE0EEEvT1_.has_indirect_call, 0
	.section	.AMDGPU.csdata,"",@progbits
; Kernel info:
; codeLenInByte = 0
; TotalNumSgprs: 0
; NumVgprs: 0
; ScratchSize: 0
; MemoryBound: 0
; FloatMode: 240
; IeeeMode: 1
; LDSByteSize: 0 bytes/workgroup (compile time only)
; SGPRBlocks: 0
; VGPRBlocks: 0
; NumSGPRsForWavesPerEU: 1
; NumVGPRsForWavesPerEU: 1
; Occupancy: 16
; WaveLimiterHint : 0
; COMPUTE_PGM_RSRC2:SCRATCH_EN: 0
; COMPUTE_PGM_RSRC2:USER_SGPR: 6
; COMPUTE_PGM_RSRC2:TRAP_HANDLER: 0
; COMPUTE_PGM_RSRC2:TGID_X_EN: 1
; COMPUTE_PGM_RSRC2:TGID_Y_EN: 0
; COMPUTE_PGM_RSRC2:TGID_Z_EN: 0
; COMPUTE_PGM_RSRC2:TIDIG_COMP_CNT: 0
	.section	.text._ZN7rocprim17ROCPRIM_400000_NS6detail17trampoline_kernelINS0_14default_configENS1_27scan_by_key_config_selectorIiiEEZZNS1_16scan_by_key_implILNS1_25lookback_scan_determinismE0ELb0ES3_N6thrust23THRUST_200600_302600_NS10device_ptrIiEESB_SB_iNS9_4plusIvEENS9_8equal_toIvEEiEE10hipError_tPvRmT2_T3_T4_T5_mT6_T7_P12ihipStream_tbENKUlT_T0_E_clISt17integral_constantIbLb1EESV_IbLb0EEEEDaSR_SS_EUlSR_E_NS1_11comp_targetILNS1_3genE5ELNS1_11target_archE942ELNS1_3gpuE9ELNS1_3repE0EEENS1_30default_config_static_selectorELNS0_4arch9wavefront6targetE0EEEvT1_,"axG",@progbits,_ZN7rocprim17ROCPRIM_400000_NS6detail17trampoline_kernelINS0_14default_configENS1_27scan_by_key_config_selectorIiiEEZZNS1_16scan_by_key_implILNS1_25lookback_scan_determinismE0ELb0ES3_N6thrust23THRUST_200600_302600_NS10device_ptrIiEESB_SB_iNS9_4plusIvEENS9_8equal_toIvEEiEE10hipError_tPvRmT2_T3_T4_T5_mT6_T7_P12ihipStream_tbENKUlT_T0_E_clISt17integral_constantIbLb1EESV_IbLb0EEEEDaSR_SS_EUlSR_E_NS1_11comp_targetILNS1_3genE5ELNS1_11target_archE942ELNS1_3gpuE9ELNS1_3repE0EEENS1_30default_config_static_selectorELNS0_4arch9wavefront6targetE0EEEvT1_,comdat
	.protected	_ZN7rocprim17ROCPRIM_400000_NS6detail17trampoline_kernelINS0_14default_configENS1_27scan_by_key_config_selectorIiiEEZZNS1_16scan_by_key_implILNS1_25lookback_scan_determinismE0ELb0ES3_N6thrust23THRUST_200600_302600_NS10device_ptrIiEESB_SB_iNS9_4plusIvEENS9_8equal_toIvEEiEE10hipError_tPvRmT2_T3_T4_T5_mT6_T7_P12ihipStream_tbENKUlT_T0_E_clISt17integral_constantIbLb1EESV_IbLb0EEEEDaSR_SS_EUlSR_E_NS1_11comp_targetILNS1_3genE5ELNS1_11target_archE942ELNS1_3gpuE9ELNS1_3repE0EEENS1_30default_config_static_selectorELNS0_4arch9wavefront6targetE0EEEvT1_ ; -- Begin function _ZN7rocprim17ROCPRIM_400000_NS6detail17trampoline_kernelINS0_14default_configENS1_27scan_by_key_config_selectorIiiEEZZNS1_16scan_by_key_implILNS1_25lookback_scan_determinismE0ELb0ES3_N6thrust23THRUST_200600_302600_NS10device_ptrIiEESB_SB_iNS9_4plusIvEENS9_8equal_toIvEEiEE10hipError_tPvRmT2_T3_T4_T5_mT6_T7_P12ihipStream_tbENKUlT_T0_E_clISt17integral_constantIbLb1EESV_IbLb0EEEEDaSR_SS_EUlSR_E_NS1_11comp_targetILNS1_3genE5ELNS1_11target_archE942ELNS1_3gpuE9ELNS1_3repE0EEENS1_30default_config_static_selectorELNS0_4arch9wavefront6targetE0EEEvT1_
	.globl	_ZN7rocprim17ROCPRIM_400000_NS6detail17trampoline_kernelINS0_14default_configENS1_27scan_by_key_config_selectorIiiEEZZNS1_16scan_by_key_implILNS1_25lookback_scan_determinismE0ELb0ES3_N6thrust23THRUST_200600_302600_NS10device_ptrIiEESB_SB_iNS9_4plusIvEENS9_8equal_toIvEEiEE10hipError_tPvRmT2_T3_T4_T5_mT6_T7_P12ihipStream_tbENKUlT_T0_E_clISt17integral_constantIbLb1EESV_IbLb0EEEEDaSR_SS_EUlSR_E_NS1_11comp_targetILNS1_3genE5ELNS1_11target_archE942ELNS1_3gpuE9ELNS1_3repE0EEENS1_30default_config_static_selectorELNS0_4arch9wavefront6targetE0EEEvT1_
	.p2align	8
	.type	_ZN7rocprim17ROCPRIM_400000_NS6detail17trampoline_kernelINS0_14default_configENS1_27scan_by_key_config_selectorIiiEEZZNS1_16scan_by_key_implILNS1_25lookback_scan_determinismE0ELb0ES3_N6thrust23THRUST_200600_302600_NS10device_ptrIiEESB_SB_iNS9_4plusIvEENS9_8equal_toIvEEiEE10hipError_tPvRmT2_T3_T4_T5_mT6_T7_P12ihipStream_tbENKUlT_T0_E_clISt17integral_constantIbLb1EESV_IbLb0EEEEDaSR_SS_EUlSR_E_NS1_11comp_targetILNS1_3genE5ELNS1_11target_archE942ELNS1_3gpuE9ELNS1_3repE0EEENS1_30default_config_static_selectorELNS0_4arch9wavefront6targetE0EEEvT1_,@function
_ZN7rocprim17ROCPRIM_400000_NS6detail17trampoline_kernelINS0_14default_configENS1_27scan_by_key_config_selectorIiiEEZZNS1_16scan_by_key_implILNS1_25lookback_scan_determinismE0ELb0ES3_N6thrust23THRUST_200600_302600_NS10device_ptrIiEESB_SB_iNS9_4plusIvEENS9_8equal_toIvEEiEE10hipError_tPvRmT2_T3_T4_T5_mT6_T7_P12ihipStream_tbENKUlT_T0_E_clISt17integral_constantIbLb1EESV_IbLb0EEEEDaSR_SS_EUlSR_E_NS1_11comp_targetILNS1_3genE5ELNS1_11target_archE942ELNS1_3gpuE9ELNS1_3repE0EEENS1_30default_config_static_selectorELNS0_4arch9wavefront6targetE0EEEvT1_: ; @_ZN7rocprim17ROCPRIM_400000_NS6detail17trampoline_kernelINS0_14default_configENS1_27scan_by_key_config_selectorIiiEEZZNS1_16scan_by_key_implILNS1_25lookback_scan_determinismE0ELb0ES3_N6thrust23THRUST_200600_302600_NS10device_ptrIiEESB_SB_iNS9_4plusIvEENS9_8equal_toIvEEiEE10hipError_tPvRmT2_T3_T4_T5_mT6_T7_P12ihipStream_tbENKUlT_T0_E_clISt17integral_constantIbLb1EESV_IbLb0EEEEDaSR_SS_EUlSR_E_NS1_11comp_targetILNS1_3genE5ELNS1_11target_archE942ELNS1_3gpuE9ELNS1_3repE0EEENS1_30default_config_static_selectorELNS0_4arch9wavefront6targetE0EEEvT1_
; %bb.0:
	.section	.rodata,"a",@progbits
	.p2align	6, 0x0
	.amdhsa_kernel _ZN7rocprim17ROCPRIM_400000_NS6detail17trampoline_kernelINS0_14default_configENS1_27scan_by_key_config_selectorIiiEEZZNS1_16scan_by_key_implILNS1_25lookback_scan_determinismE0ELb0ES3_N6thrust23THRUST_200600_302600_NS10device_ptrIiEESB_SB_iNS9_4plusIvEENS9_8equal_toIvEEiEE10hipError_tPvRmT2_T3_T4_T5_mT6_T7_P12ihipStream_tbENKUlT_T0_E_clISt17integral_constantIbLb1EESV_IbLb0EEEEDaSR_SS_EUlSR_E_NS1_11comp_targetILNS1_3genE5ELNS1_11target_archE942ELNS1_3gpuE9ELNS1_3repE0EEENS1_30default_config_static_selectorELNS0_4arch9wavefront6targetE0EEEvT1_
		.amdhsa_group_segment_fixed_size 0
		.amdhsa_private_segment_fixed_size 0
		.amdhsa_kernarg_size 112
		.amdhsa_user_sgpr_count 6
		.amdhsa_user_sgpr_private_segment_buffer 1
		.amdhsa_user_sgpr_dispatch_ptr 0
		.amdhsa_user_sgpr_queue_ptr 0
		.amdhsa_user_sgpr_kernarg_segment_ptr 1
		.amdhsa_user_sgpr_dispatch_id 0
		.amdhsa_user_sgpr_flat_scratch_init 0
		.amdhsa_user_sgpr_private_segment_size 0
		.amdhsa_wavefront_size32 1
		.amdhsa_uses_dynamic_stack 0
		.amdhsa_system_sgpr_private_segment_wavefront_offset 0
		.amdhsa_system_sgpr_workgroup_id_x 1
		.amdhsa_system_sgpr_workgroup_id_y 0
		.amdhsa_system_sgpr_workgroup_id_z 0
		.amdhsa_system_sgpr_workgroup_info 0
		.amdhsa_system_vgpr_workitem_id 0
		.amdhsa_next_free_vgpr 1
		.amdhsa_next_free_sgpr 1
		.amdhsa_reserve_vcc 0
		.amdhsa_reserve_flat_scratch 0
		.amdhsa_float_round_mode_32 0
		.amdhsa_float_round_mode_16_64 0
		.amdhsa_float_denorm_mode_32 3
		.amdhsa_float_denorm_mode_16_64 3
		.amdhsa_dx10_clamp 1
		.amdhsa_ieee_mode 1
		.amdhsa_fp16_overflow 0
		.amdhsa_workgroup_processor_mode 1
		.amdhsa_memory_ordered 1
		.amdhsa_forward_progress 1
		.amdhsa_shared_vgpr_count 0
		.amdhsa_exception_fp_ieee_invalid_op 0
		.amdhsa_exception_fp_denorm_src 0
		.amdhsa_exception_fp_ieee_div_zero 0
		.amdhsa_exception_fp_ieee_overflow 0
		.amdhsa_exception_fp_ieee_underflow 0
		.amdhsa_exception_fp_ieee_inexact 0
		.amdhsa_exception_int_div_zero 0
	.end_amdhsa_kernel
	.section	.text._ZN7rocprim17ROCPRIM_400000_NS6detail17trampoline_kernelINS0_14default_configENS1_27scan_by_key_config_selectorIiiEEZZNS1_16scan_by_key_implILNS1_25lookback_scan_determinismE0ELb0ES3_N6thrust23THRUST_200600_302600_NS10device_ptrIiEESB_SB_iNS9_4plusIvEENS9_8equal_toIvEEiEE10hipError_tPvRmT2_T3_T4_T5_mT6_T7_P12ihipStream_tbENKUlT_T0_E_clISt17integral_constantIbLb1EESV_IbLb0EEEEDaSR_SS_EUlSR_E_NS1_11comp_targetILNS1_3genE5ELNS1_11target_archE942ELNS1_3gpuE9ELNS1_3repE0EEENS1_30default_config_static_selectorELNS0_4arch9wavefront6targetE0EEEvT1_,"axG",@progbits,_ZN7rocprim17ROCPRIM_400000_NS6detail17trampoline_kernelINS0_14default_configENS1_27scan_by_key_config_selectorIiiEEZZNS1_16scan_by_key_implILNS1_25lookback_scan_determinismE0ELb0ES3_N6thrust23THRUST_200600_302600_NS10device_ptrIiEESB_SB_iNS9_4plusIvEENS9_8equal_toIvEEiEE10hipError_tPvRmT2_T3_T4_T5_mT6_T7_P12ihipStream_tbENKUlT_T0_E_clISt17integral_constantIbLb1EESV_IbLb0EEEEDaSR_SS_EUlSR_E_NS1_11comp_targetILNS1_3genE5ELNS1_11target_archE942ELNS1_3gpuE9ELNS1_3repE0EEENS1_30default_config_static_selectorELNS0_4arch9wavefront6targetE0EEEvT1_,comdat
.Lfunc_end2216:
	.size	_ZN7rocprim17ROCPRIM_400000_NS6detail17trampoline_kernelINS0_14default_configENS1_27scan_by_key_config_selectorIiiEEZZNS1_16scan_by_key_implILNS1_25lookback_scan_determinismE0ELb0ES3_N6thrust23THRUST_200600_302600_NS10device_ptrIiEESB_SB_iNS9_4plusIvEENS9_8equal_toIvEEiEE10hipError_tPvRmT2_T3_T4_T5_mT6_T7_P12ihipStream_tbENKUlT_T0_E_clISt17integral_constantIbLb1EESV_IbLb0EEEEDaSR_SS_EUlSR_E_NS1_11comp_targetILNS1_3genE5ELNS1_11target_archE942ELNS1_3gpuE9ELNS1_3repE0EEENS1_30default_config_static_selectorELNS0_4arch9wavefront6targetE0EEEvT1_, .Lfunc_end2216-_ZN7rocprim17ROCPRIM_400000_NS6detail17trampoline_kernelINS0_14default_configENS1_27scan_by_key_config_selectorIiiEEZZNS1_16scan_by_key_implILNS1_25lookback_scan_determinismE0ELb0ES3_N6thrust23THRUST_200600_302600_NS10device_ptrIiEESB_SB_iNS9_4plusIvEENS9_8equal_toIvEEiEE10hipError_tPvRmT2_T3_T4_T5_mT6_T7_P12ihipStream_tbENKUlT_T0_E_clISt17integral_constantIbLb1EESV_IbLb0EEEEDaSR_SS_EUlSR_E_NS1_11comp_targetILNS1_3genE5ELNS1_11target_archE942ELNS1_3gpuE9ELNS1_3repE0EEENS1_30default_config_static_selectorELNS0_4arch9wavefront6targetE0EEEvT1_
                                        ; -- End function
	.set _ZN7rocprim17ROCPRIM_400000_NS6detail17trampoline_kernelINS0_14default_configENS1_27scan_by_key_config_selectorIiiEEZZNS1_16scan_by_key_implILNS1_25lookback_scan_determinismE0ELb0ES3_N6thrust23THRUST_200600_302600_NS10device_ptrIiEESB_SB_iNS9_4plusIvEENS9_8equal_toIvEEiEE10hipError_tPvRmT2_T3_T4_T5_mT6_T7_P12ihipStream_tbENKUlT_T0_E_clISt17integral_constantIbLb1EESV_IbLb0EEEEDaSR_SS_EUlSR_E_NS1_11comp_targetILNS1_3genE5ELNS1_11target_archE942ELNS1_3gpuE9ELNS1_3repE0EEENS1_30default_config_static_selectorELNS0_4arch9wavefront6targetE0EEEvT1_.num_vgpr, 0
	.set _ZN7rocprim17ROCPRIM_400000_NS6detail17trampoline_kernelINS0_14default_configENS1_27scan_by_key_config_selectorIiiEEZZNS1_16scan_by_key_implILNS1_25lookback_scan_determinismE0ELb0ES3_N6thrust23THRUST_200600_302600_NS10device_ptrIiEESB_SB_iNS9_4plusIvEENS9_8equal_toIvEEiEE10hipError_tPvRmT2_T3_T4_T5_mT6_T7_P12ihipStream_tbENKUlT_T0_E_clISt17integral_constantIbLb1EESV_IbLb0EEEEDaSR_SS_EUlSR_E_NS1_11comp_targetILNS1_3genE5ELNS1_11target_archE942ELNS1_3gpuE9ELNS1_3repE0EEENS1_30default_config_static_selectorELNS0_4arch9wavefront6targetE0EEEvT1_.num_agpr, 0
	.set _ZN7rocprim17ROCPRIM_400000_NS6detail17trampoline_kernelINS0_14default_configENS1_27scan_by_key_config_selectorIiiEEZZNS1_16scan_by_key_implILNS1_25lookback_scan_determinismE0ELb0ES3_N6thrust23THRUST_200600_302600_NS10device_ptrIiEESB_SB_iNS9_4plusIvEENS9_8equal_toIvEEiEE10hipError_tPvRmT2_T3_T4_T5_mT6_T7_P12ihipStream_tbENKUlT_T0_E_clISt17integral_constantIbLb1EESV_IbLb0EEEEDaSR_SS_EUlSR_E_NS1_11comp_targetILNS1_3genE5ELNS1_11target_archE942ELNS1_3gpuE9ELNS1_3repE0EEENS1_30default_config_static_selectorELNS0_4arch9wavefront6targetE0EEEvT1_.numbered_sgpr, 0
	.set _ZN7rocprim17ROCPRIM_400000_NS6detail17trampoline_kernelINS0_14default_configENS1_27scan_by_key_config_selectorIiiEEZZNS1_16scan_by_key_implILNS1_25lookback_scan_determinismE0ELb0ES3_N6thrust23THRUST_200600_302600_NS10device_ptrIiEESB_SB_iNS9_4plusIvEENS9_8equal_toIvEEiEE10hipError_tPvRmT2_T3_T4_T5_mT6_T7_P12ihipStream_tbENKUlT_T0_E_clISt17integral_constantIbLb1EESV_IbLb0EEEEDaSR_SS_EUlSR_E_NS1_11comp_targetILNS1_3genE5ELNS1_11target_archE942ELNS1_3gpuE9ELNS1_3repE0EEENS1_30default_config_static_selectorELNS0_4arch9wavefront6targetE0EEEvT1_.num_named_barrier, 0
	.set _ZN7rocprim17ROCPRIM_400000_NS6detail17trampoline_kernelINS0_14default_configENS1_27scan_by_key_config_selectorIiiEEZZNS1_16scan_by_key_implILNS1_25lookback_scan_determinismE0ELb0ES3_N6thrust23THRUST_200600_302600_NS10device_ptrIiEESB_SB_iNS9_4plusIvEENS9_8equal_toIvEEiEE10hipError_tPvRmT2_T3_T4_T5_mT6_T7_P12ihipStream_tbENKUlT_T0_E_clISt17integral_constantIbLb1EESV_IbLb0EEEEDaSR_SS_EUlSR_E_NS1_11comp_targetILNS1_3genE5ELNS1_11target_archE942ELNS1_3gpuE9ELNS1_3repE0EEENS1_30default_config_static_selectorELNS0_4arch9wavefront6targetE0EEEvT1_.private_seg_size, 0
	.set _ZN7rocprim17ROCPRIM_400000_NS6detail17trampoline_kernelINS0_14default_configENS1_27scan_by_key_config_selectorIiiEEZZNS1_16scan_by_key_implILNS1_25lookback_scan_determinismE0ELb0ES3_N6thrust23THRUST_200600_302600_NS10device_ptrIiEESB_SB_iNS9_4plusIvEENS9_8equal_toIvEEiEE10hipError_tPvRmT2_T3_T4_T5_mT6_T7_P12ihipStream_tbENKUlT_T0_E_clISt17integral_constantIbLb1EESV_IbLb0EEEEDaSR_SS_EUlSR_E_NS1_11comp_targetILNS1_3genE5ELNS1_11target_archE942ELNS1_3gpuE9ELNS1_3repE0EEENS1_30default_config_static_selectorELNS0_4arch9wavefront6targetE0EEEvT1_.uses_vcc, 0
	.set _ZN7rocprim17ROCPRIM_400000_NS6detail17trampoline_kernelINS0_14default_configENS1_27scan_by_key_config_selectorIiiEEZZNS1_16scan_by_key_implILNS1_25lookback_scan_determinismE0ELb0ES3_N6thrust23THRUST_200600_302600_NS10device_ptrIiEESB_SB_iNS9_4plusIvEENS9_8equal_toIvEEiEE10hipError_tPvRmT2_T3_T4_T5_mT6_T7_P12ihipStream_tbENKUlT_T0_E_clISt17integral_constantIbLb1EESV_IbLb0EEEEDaSR_SS_EUlSR_E_NS1_11comp_targetILNS1_3genE5ELNS1_11target_archE942ELNS1_3gpuE9ELNS1_3repE0EEENS1_30default_config_static_selectorELNS0_4arch9wavefront6targetE0EEEvT1_.uses_flat_scratch, 0
	.set _ZN7rocprim17ROCPRIM_400000_NS6detail17trampoline_kernelINS0_14default_configENS1_27scan_by_key_config_selectorIiiEEZZNS1_16scan_by_key_implILNS1_25lookback_scan_determinismE0ELb0ES3_N6thrust23THRUST_200600_302600_NS10device_ptrIiEESB_SB_iNS9_4plusIvEENS9_8equal_toIvEEiEE10hipError_tPvRmT2_T3_T4_T5_mT6_T7_P12ihipStream_tbENKUlT_T0_E_clISt17integral_constantIbLb1EESV_IbLb0EEEEDaSR_SS_EUlSR_E_NS1_11comp_targetILNS1_3genE5ELNS1_11target_archE942ELNS1_3gpuE9ELNS1_3repE0EEENS1_30default_config_static_selectorELNS0_4arch9wavefront6targetE0EEEvT1_.has_dyn_sized_stack, 0
	.set _ZN7rocprim17ROCPRIM_400000_NS6detail17trampoline_kernelINS0_14default_configENS1_27scan_by_key_config_selectorIiiEEZZNS1_16scan_by_key_implILNS1_25lookback_scan_determinismE0ELb0ES3_N6thrust23THRUST_200600_302600_NS10device_ptrIiEESB_SB_iNS9_4plusIvEENS9_8equal_toIvEEiEE10hipError_tPvRmT2_T3_T4_T5_mT6_T7_P12ihipStream_tbENKUlT_T0_E_clISt17integral_constantIbLb1EESV_IbLb0EEEEDaSR_SS_EUlSR_E_NS1_11comp_targetILNS1_3genE5ELNS1_11target_archE942ELNS1_3gpuE9ELNS1_3repE0EEENS1_30default_config_static_selectorELNS0_4arch9wavefront6targetE0EEEvT1_.has_recursion, 0
	.set _ZN7rocprim17ROCPRIM_400000_NS6detail17trampoline_kernelINS0_14default_configENS1_27scan_by_key_config_selectorIiiEEZZNS1_16scan_by_key_implILNS1_25lookback_scan_determinismE0ELb0ES3_N6thrust23THRUST_200600_302600_NS10device_ptrIiEESB_SB_iNS9_4plusIvEENS9_8equal_toIvEEiEE10hipError_tPvRmT2_T3_T4_T5_mT6_T7_P12ihipStream_tbENKUlT_T0_E_clISt17integral_constantIbLb1EESV_IbLb0EEEEDaSR_SS_EUlSR_E_NS1_11comp_targetILNS1_3genE5ELNS1_11target_archE942ELNS1_3gpuE9ELNS1_3repE0EEENS1_30default_config_static_selectorELNS0_4arch9wavefront6targetE0EEEvT1_.has_indirect_call, 0
	.section	.AMDGPU.csdata,"",@progbits
; Kernel info:
; codeLenInByte = 0
; TotalNumSgprs: 0
; NumVgprs: 0
; ScratchSize: 0
; MemoryBound: 0
; FloatMode: 240
; IeeeMode: 1
; LDSByteSize: 0 bytes/workgroup (compile time only)
; SGPRBlocks: 0
; VGPRBlocks: 0
; NumSGPRsForWavesPerEU: 1
; NumVGPRsForWavesPerEU: 1
; Occupancy: 16
; WaveLimiterHint : 0
; COMPUTE_PGM_RSRC2:SCRATCH_EN: 0
; COMPUTE_PGM_RSRC2:USER_SGPR: 6
; COMPUTE_PGM_RSRC2:TRAP_HANDLER: 0
; COMPUTE_PGM_RSRC2:TGID_X_EN: 1
; COMPUTE_PGM_RSRC2:TGID_Y_EN: 0
; COMPUTE_PGM_RSRC2:TGID_Z_EN: 0
; COMPUTE_PGM_RSRC2:TIDIG_COMP_CNT: 0
	.section	.text._ZN7rocprim17ROCPRIM_400000_NS6detail17trampoline_kernelINS0_14default_configENS1_27scan_by_key_config_selectorIiiEEZZNS1_16scan_by_key_implILNS1_25lookback_scan_determinismE0ELb0ES3_N6thrust23THRUST_200600_302600_NS10device_ptrIiEESB_SB_iNS9_4plusIvEENS9_8equal_toIvEEiEE10hipError_tPvRmT2_T3_T4_T5_mT6_T7_P12ihipStream_tbENKUlT_T0_E_clISt17integral_constantIbLb1EESV_IbLb0EEEEDaSR_SS_EUlSR_E_NS1_11comp_targetILNS1_3genE4ELNS1_11target_archE910ELNS1_3gpuE8ELNS1_3repE0EEENS1_30default_config_static_selectorELNS0_4arch9wavefront6targetE0EEEvT1_,"axG",@progbits,_ZN7rocprim17ROCPRIM_400000_NS6detail17trampoline_kernelINS0_14default_configENS1_27scan_by_key_config_selectorIiiEEZZNS1_16scan_by_key_implILNS1_25lookback_scan_determinismE0ELb0ES3_N6thrust23THRUST_200600_302600_NS10device_ptrIiEESB_SB_iNS9_4plusIvEENS9_8equal_toIvEEiEE10hipError_tPvRmT2_T3_T4_T5_mT6_T7_P12ihipStream_tbENKUlT_T0_E_clISt17integral_constantIbLb1EESV_IbLb0EEEEDaSR_SS_EUlSR_E_NS1_11comp_targetILNS1_3genE4ELNS1_11target_archE910ELNS1_3gpuE8ELNS1_3repE0EEENS1_30default_config_static_selectorELNS0_4arch9wavefront6targetE0EEEvT1_,comdat
	.protected	_ZN7rocprim17ROCPRIM_400000_NS6detail17trampoline_kernelINS0_14default_configENS1_27scan_by_key_config_selectorIiiEEZZNS1_16scan_by_key_implILNS1_25lookback_scan_determinismE0ELb0ES3_N6thrust23THRUST_200600_302600_NS10device_ptrIiEESB_SB_iNS9_4plusIvEENS9_8equal_toIvEEiEE10hipError_tPvRmT2_T3_T4_T5_mT6_T7_P12ihipStream_tbENKUlT_T0_E_clISt17integral_constantIbLb1EESV_IbLb0EEEEDaSR_SS_EUlSR_E_NS1_11comp_targetILNS1_3genE4ELNS1_11target_archE910ELNS1_3gpuE8ELNS1_3repE0EEENS1_30default_config_static_selectorELNS0_4arch9wavefront6targetE0EEEvT1_ ; -- Begin function _ZN7rocprim17ROCPRIM_400000_NS6detail17trampoline_kernelINS0_14default_configENS1_27scan_by_key_config_selectorIiiEEZZNS1_16scan_by_key_implILNS1_25lookback_scan_determinismE0ELb0ES3_N6thrust23THRUST_200600_302600_NS10device_ptrIiEESB_SB_iNS9_4plusIvEENS9_8equal_toIvEEiEE10hipError_tPvRmT2_T3_T4_T5_mT6_T7_P12ihipStream_tbENKUlT_T0_E_clISt17integral_constantIbLb1EESV_IbLb0EEEEDaSR_SS_EUlSR_E_NS1_11comp_targetILNS1_3genE4ELNS1_11target_archE910ELNS1_3gpuE8ELNS1_3repE0EEENS1_30default_config_static_selectorELNS0_4arch9wavefront6targetE0EEEvT1_
	.globl	_ZN7rocprim17ROCPRIM_400000_NS6detail17trampoline_kernelINS0_14default_configENS1_27scan_by_key_config_selectorIiiEEZZNS1_16scan_by_key_implILNS1_25lookback_scan_determinismE0ELb0ES3_N6thrust23THRUST_200600_302600_NS10device_ptrIiEESB_SB_iNS9_4plusIvEENS9_8equal_toIvEEiEE10hipError_tPvRmT2_T3_T4_T5_mT6_T7_P12ihipStream_tbENKUlT_T0_E_clISt17integral_constantIbLb1EESV_IbLb0EEEEDaSR_SS_EUlSR_E_NS1_11comp_targetILNS1_3genE4ELNS1_11target_archE910ELNS1_3gpuE8ELNS1_3repE0EEENS1_30default_config_static_selectorELNS0_4arch9wavefront6targetE0EEEvT1_
	.p2align	8
	.type	_ZN7rocprim17ROCPRIM_400000_NS6detail17trampoline_kernelINS0_14default_configENS1_27scan_by_key_config_selectorIiiEEZZNS1_16scan_by_key_implILNS1_25lookback_scan_determinismE0ELb0ES3_N6thrust23THRUST_200600_302600_NS10device_ptrIiEESB_SB_iNS9_4plusIvEENS9_8equal_toIvEEiEE10hipError_tPvRmT2_T3_T4_T5_mT6_T7_P12ihipStream_tbENKUlT_T0_E_clISt17integral_constantIbLb1EESV_IbLb0EEEEDaSR_SS_EUlSR_E_NS1_11comp_targetILNS1_3genE4ELNS1_11target_archE910ELNS1_3gpuE8ELNS1_3repE0EEENS1_30default_config_static_selectorELNS0_4arch9wavefront6targetE0EEEvT1_,@function
_ZN7rocprim17ROCPRIM_400000_NS6detail17trampoline_kernelINS0_14default_configENS1_27scan_by_key_config_selectorIiiEEZZNS1_16scan_by_key_implILNS1_25lookback_scan_determinismE0ELb0ES3_N6thrust23THRUST_200600_302600_NS10device_ptrIiEESB_SB_iNS9_4plusIvEENS9_8equal_toIvEEiEE10hipError_tPvRmT2_T3_T4_T5_mT6_T7_P12ihipStream_tbENKUlT_T0_E_clISt17integral_constantIbLb1EESV_IbLb0EEEEDaSR_SS_EUlSR_E_NS1_11comp_targetILNS1_3genE4ELNS1_11target_archE910ELNS1_3gpuE8ELNS1_3repE0EEENS1_30default_config_static_selectorELNS0_4arch9wavefront6targetE0EEEvT1_: ; @_ZN7rocprim17ROCPRIM_400000_NS6detail17trampoline_kernelINS0_14default_configENS1_27scan_by_key_config_selectorIiiEEZZNS1_16scan_by_key_implILNS1_25lookback_scan_determinismE0ELb0ES3_N6thrust23THRUST_200600_302600_NS10device_ptrIiEESB_SB_iNS9_4plusIvEENS9_8equal_toIvEEiEE10hipError_tPvRmT2_T3_T4_T5_mT6_T7_P12ihipStream_tbENKUlT_T0_E_clISt17integral_constantIbLb1EESV_IbLb0EEEEDaSR_SS_EUlSR_E_NS1_11comp_targetILNS1_3genE4ELNS1_11target_archE910ELNS1_3gpuE8ELNS1_3repE0EEENS1_30default_config_static_selectorELNS0_4arch9wavefront6targetE0EEEvT1_
; %bb.0:
	.section	.rodata,"a",@progbits
	.p2align	6, 0x0
	.amdhsa_kernel _ZN7rocprim17ROCPRIM_400000_NS6detail17trampoline_kernelINS0_14default_configENS1_27scan_by_key_config_selectorIiiEEZZNS1_16scan_by_key_implILNS1_25lookback_scan_determinismE0ELb0ES3_N6thrust23THRUST_200600_302600_NS10device_ptrIiEESB_SB_iNS9_4plusIvEENS9_8equal_toIvEEiEE10hipError_tPvRmT2_T3_T4_T5_mT6_T7_P12ihipStream_tbENKUlT_T0_E_clISt17integral_constantIbLb1EESV_IbLb0EEEEDaSR_SS_EUlSR_E_NS1_11comp_targetILNS1_3genE4ELNS1_11target_archE910ELNS1_3gpuE8ELNS1_3repE0EEENS1_30default_config_static_selectorELNS0_4arch9wavefront6targetE0EEEvT1_
		.amdhsa_group_segment_fixed_size 0
		.amdhsa_private_segment_fixed_size 0
		.amdhsa_kernarg_size 112
		.amdhsa_user_sgpr_count 6
		.amdhsa_user_sgpr_private_segment_buffer 1
		.amdhsa_user_sgpr_dispatch_ptr 0
		.amdhsa_user_sgpr_queue_ptr 0
		.amdhsa_user_sgpr_kernarg_segment_ptr 1
		.amdhsa_user_sgpr_dispatch_id 0
		.amdhsa_user_sgpr_flat_scratch_init 0
		.amdhsa_user_sgpr_private_segment_size 0
		.amdhsa_wavefront_size32 1
		.amdhsa_uses_dynamic_stack 0
		.amdhsa_system_sgpr_private_segment_wavefront_offset 0
		.amdhsa_system_sgpr_workgroup_id_x 1
		.amdhsa_system_sgpr_workgroup_id_y 0
		.amdhsa_system_sgpr_workgroup_id_z 0
		.amdhsa_system_sgpr_workgroup_info 0
		.amdhsa_system_vgpr_workitem_id 0
		.amdhsa_next_free_vgpr 1
		.amdhsa_next_free_sgpr 1
		.amdhsa_reserve_vcc 0
		.amdhsa_reserve_flat_scratch 0
		.amdhsa_float_round_mode_32 0
		.amdhsa_float_round_mode_16_64 0
		.amdhsa_float_denorm_mode_32 3
		.amdhsa_float_denorm_mode_16_64 3
		.amdhsa_dx10_clamp 1
		.amdhsa_ieee_mode 1
		.amdhsa_fp16_overflow 0
		.amdhsa_workgroup_processor_mode 1
		.amdhsa_memory_ordered 1
		.amdhsa_forward_progress 1
		.amdhsa_shared_vgpr_count 0
		.amdhsa_exception_fp_ieee_invalid_op 0
		.amdhsa_exception_fp_denorm_src 0
		.amdhsa_exception_fp_ieee_div_zero 0
		.amdhsa_exception_fp_ieee_overflow 0
		.amdhsa_exception_fp_ieee_underflow 0
		.amdhsa_exception_fp_ieee_inexact 0
		.amdhsa_exception_int_div_zero 0
	.end_amdhsa_kernel
	.section	.text._ZN7rocprim17ROCPRIM_400000_NS6detail17trampoline_kernelINS0_14default_configENS1_27scan_by_key_config_selectorIiiEEZZNS1_16scan_by_key_implILNS1_25lookback_scan_determinismE0ELb0ES3_N6thrust23THRUST_200600_302600_NS10device_ptrIiEESB_SB_iNS9_4plusIvEENS9_8equal_toIvEEiEE10hipError_tPvRmT2_T3_T4_T5_mT6_T7_P12ihipStream_tbENKUlT_T0_E_clISt17integral_constantIbLb1EESV_IbLb0EEEEDaSR_SS_EUlSR_E_NS1_11comp_targetILNS1_3genE4ELNS1_11target_archE910ELNS1_3gpuE8ELNS1_3repE0EEENS1_30default_config_static_selectorELNS0_4arch9wavefront6targetE0EEEvT1_,"axG",@progbits,_ZN7rocprim17ROCPRIM_400000_NS6detail17trampoline_kernelINS0_14default_configENS1_27scan_by_key_config_selectorIiiEEZZNS1_16scan_by_key_implILNS1_25lookback_scan_determinismE0ELb0ES3_N6thrust23THRUST_200600_302600_NS10device_ptrIiEESB_SB_iNS9_4plusIvEENS9_8equal_toIvEEiEE10hipError_tPvRmT2_T3_T4_T5_mT6_T7_P12ihipStream_tbENKUlT_T0_E_clISt17integral_constantIbLb1EESV_IbLb0EEEEDaSR_SS_EUlSR_E_NS1_11comp_targetILNS1_3genE4ELNS1_11target_archE910ELNS1_3gpuE8ELNS1_3repE0EEENS1_30default_config_static_selectorELNS0_4arch9wavefront6targetE0EEEvT1_,comdat
.Lfunc_end2217:
	.size	_ZN7rocprim17ROCPRIM_400000_NS6detail17trampoline_kernelINS0_14default_configENS1_27scan_by_key_config_selectorIiiEEZZNS1_16scan_by_key_implILNS1_25lookback_scan_determinismE0ELb0ES3_N6thrust23THRUST_200600_302600_NS10device_ptrIiEESB_SB_iNS9_4plusIvEENS9_8equal_toIvEEiEE10hipError_tPvRmT2_T3_T4_T5_mT6_T7_P12ihipStream_tbENKUlT_T0_E_clISt17integral_constantIbLb1EESV_IbLb0EEEEDaSR_SS_EUlSR_E_NS1_11comp_targetILNS1_3genE4ELNS1_11target_archE910ELNS1_3gpuE8ELNS1_3repE0EEENS1_30default_config_static_selectorELNS0_4arch9wavefront6targetE0EEEvT1_, .Lfunc_end2217-_ZN7rocprim17ROCPRIM_400000_NS6detail17trampoline_kernelINS0_14default_configENS1_27scan_by_key_config_selectorIiiEEZZNS1_16scan_by_key_implILNS1_25lookback_scan_determinismE0ELb0ES3_N6thrust23THRUST_200600_302600_NS10device_ptrIiEESB_SB_iNS9_4plusIvEENS9_8equal_toIvEEiEE10hipError_tPvRmT2_T3_T4_T5_mT6_T7_P12ihipStream_tbENKUlT_T0_E_clISt17integral_constantIbLb1EESV_IbLb0EEEEDaSR_SS_EUlSR_E_NS1_11comp_targetILNS1_3genE4ELNS1_11target_archE910ELNS1_3gpuE8ELNS1_3repE0EEENS1_30default_config_static_selectorELNS0_4arch9wavefront6targetE0EEEvT1_
                                        ; -- End function
	.set _ZN7rocprim17ROCPRIM_400000_NS6detail17trampoline_kernelINS0_14default_configENS1_27scan_by_key_config_selectorIiiEEZZNS1_16scan_by_key_implILNS1_25lookback_scan_determinismE0ELb0ES3_N6thrust23THRUST_200600_302600_NS10device_ptrIiEESB_SB_iNS9_4plusIvEENS9_8equal_toIvEEiEE10hipError_tPvRmT2_T3_T4_T5_mT6_T7_P12ihipStream_tbENKUlT_T0_E_clISt17integral_constantIbLb1EESV_IbLb0EEEEDaSR_SS_EUlSR_E_NS1_11comp_targetILNS1_3genE4ELNS1_11target_archE910ELNS1_3gpuE8ELNS1_3repE0EEENS1_30default_config_static_selectorELNS0_4arch9wavefront6targetE0EEEvT1_.num_vgpr, 0
	.set _ZN7rocprim17ROCPRIM_400000_NS6detail17trampoline_kernelINS0_14default_configENS1_27scan_by_key_config_selectorIiiEEZZNS1_16scan_by_key_implILNS1_25lookback_scan_determinismE0ELb0ES3_N6thrust23THRUST_200600_302600_NS10device_ptrIiEESB_SB_iNS9_4plusIvEENS9_8equal_toIvEEiEE10hipError_tPvRmT2_T3_T4_T5_mT6_T7_P12ihipStream_tbENKUlT_T0_E_clISt17integral_constantIbLb1EESV_IbLb0EEEEDaSR_SS_EUlSR_E_NS1_11comp_targetILNS1_3genE4ELNS1_11target_archE910ELNS1_3gpuE8ELNS1_3repE0EEENS1_30default_config_static_selectorELNS0_4arch9wavefront6targetE0EEEvT1_.num_agpr, 0
	.set _ZN7rocprim17ROCPRIM_400000_NS6detail17trampoline_kernelINS0_14default_configENS1_27scan_by_key_config_selectorIiiEEZZNS1_16scan_by_key_implILNS1_25lookback_scan_determinismE0ELb0ES3_N6thrust23THRUST_200600_302600_NS10device_ptrIiEESB_SB_iNS9_4plusIvEENS9_8equal_toIvEEiEE10hipError_tPvRmT2_T3_T4_T5_mT6_T7_P12ihipStream_tbENKUlT_T0_E_clISt17integral_constantIbLb1EESV_IbLb0EEEEDaSR_SS_EUlSR_E_NS1_11comp_targetILNS1_3genE4ELNS1_11target_archE910ELNS1_3gpuE8ELNS1_3repE0EEENS1_30default_config_static_selectorELNS0_4arch9wavefront6targetE0EEEvT1_.numbered_sgpr, 0
	.set _ZN7rocprim17ROCPRIM_400000_NS6detail17trampoline_kernelINS0_14default_configENS1_27scan_by_key_config_selectorIiiEEZZNS1_16scan_by_key_implILNS1_25lookback_scan_determinismE0ELb0ES3_N6thrust23THRUST_200600_302600_NS10device_ptrIiEESB_SB_iNS9_4plusIvEENS9_8equal_toIvEEiEE10hipError_tPvRmT2_T3_T4_T5_mT6_T7_P12ihipStream_tbENKUlT_T0_E_clISt17integral_constantIbLb1EESV_IbLb0EEEEDaSR_SS_EUlSR_E_NS1_11comp_targetILNS1_3genE4ELNS1_11target_archE910ELNS1_3gpuE8ELNS1_3repE0EEENS1_30default_config_static_selectorELNS0_4arch9wavefront6targetE0EEEvT1_.num_named_barrier, 0
	.set _ZN7rocprim17ROCPRIM_400000_NS6detail17trampoline_kernelINS0_14default_configENS1_27scan_by_key_config_selectorIiiEEZZNS1_16scan_by_key_implILNS1_25lookback_scan_determinismE0ELb0ES3_N6thrust23THRUST_200600_302600_NS10device_ptrIiEESB_SB_iNS9_4plusIvEENS9_8equal_toIvEEiEE10hipError_tPvRmT2_T3_T4_T5_mT6_T7_P12ihipStream_tbENKUlT_T0_E_clISt17integral_constantIbLb1EESV_IbLb0EEEEDaSR_SS_EUlSR_E_NS1_11comp_targetILNS1_3genE4ELNS1_11target_archE910ELNS1_3gpuE8ELNS1_3repE0EEENS1_30default_config_static_selectorELNS0_4arch9wavefront6targetE0EEEvT1_.private_seg_size, 0
	.set _ZN7rocprim17ROCPRIM_400000_NS6detail17trampoline_kernelINS0_14default_configENS1_27scan_by_key_config_selectorIiiEEZZNS1_16scan_by_key_implILNS1_25lookback_scan_determinismE0ELb0ES3_N6thrust23THRUST_200600_302600_NS10device_ptrIiEESB_SB_iNS9_4plusIvEENS9_8equal_toIvEEiEE10hipError_tPvRmT2_T3_T4_T5_mT6_T7_P12ihipStream_tbENKUlT_T0_E_clISt17integral_constantIbLb1EESV_IbLb0EEEEDaSR_SS_EUlSR_E_NS1_11comp_targetILNS1_3genE4ELNS1_11target_archE910ELNS1_3gpuE8ELNS1_3repE0EEENS1_30default_config_static_selectorELNS0_4arch9wavefront6targetE0EEEvT1_.uses_vcc, 0
	.set _ZN7rocprim17ROCPRIM_400000_NS6detail17trampoline_kernelINS0_14default_configENS1_27scan_by_key_config_selectorIiiEEZZNS1_16scan_by_key_implILNS1_25lookback_scan_determinismE0ELb0ES3_N6thrust23THRUST_200600_302600_NS10device_ptrIiEESB_SB_iNS9_4plusIvEENS9_8equal_toIvEEiEE10hipError_tPvRmT2_T3_T4_T5_mT6_T7_P12ihipStream_tbENKUlT_T0_E_clISt17integral_constantIbLb1EESV_IbLb0EEEEDaSR_SS_EUlSR_E_NS1_11comp_targetILNS1_3genE4ELNS1_11target_archE910ELNS1_3gpuE8ELNS1_3repE0EEENS1_30default_config_static_selectorELNS0_4arch9wavefront6targetE0EEEvT1_.uses_flat_scratch, 0
	.set _ZN7rocprim17ROCPRIM_400000_NS6detail17trampoline_kernelINS0_14default_configENS1_27scan_by_key_config_selectorIiiEEZZNS1_16scan_by_key_implILNS1_25lookback_scan_determinismE0ELb0ES3_N6thrust23THRUST_200600_302600_NS10device_ptrIiEESB_SB_iNS9_4plusIvEENS9_8equal_toIvEEiEE10hipError_tPvRmT2_T3_T4_T5_mT6_T7_P12ihipStream_tbENKUlT_T0_E_clISt17integral_constantIbLb1EESV_IbLb0EEEEDaSR_SS_EUlSR_E_NS1_11comp_targetILNS1_3genE4ELNS1_11target_archE910ELNS1_3gpuE8ELNS1_3repE0EEENS1_30default_config_static_selectorELNS0_4arch9wavefront6targetE0EEEvT1_.has_dyn_sized_stack, 0
	.set _ZN7rocprim17ROCPRIM_400000_NS6detail17trampoline_kernelINS0_14default_configENS1_27scan_by_key_config_selectorIiiEEZZNS1_16scan_by_key_implILNS1_25lookback_scan_determinismE0ELb0ES3_N6thrust23THRUST_200600_302600_NS10device_ptrIiEESB_SB_iNS9_4plusIvEENS9_8equal_toIvEEiEE10hipError_tPvRmT2_T3_T4_T5_mT6_T7_P12ihipStream_tbENKUlT_T0_E_clISt17integral_constantIbLb1EESV_IbLb0EEEEDaSR_SS_EUlSR_E_NS1_11comp_targetILNS1_3genE4ELNS1_11target_archE910ELNS1_3gpuE8ELNS1_3repE0EEENS1_30default_config_static_selectorELNS0_4arch9wavefront6targetE0EEEvT1_.has_recursion, 0
	.set _ZN7rocprim17ROCPRIM_400000_NS6detail17trampoline_kernelINS0_14default_configENS1_27scan_by_key_config_selectorIiiEEZZNS1_16scan_by_key_implILNS1_25lookback_scan_determinismE0ELb0ES3_N6thrust23THRUST_200600_302600_NS10device_ptrIiEESB_SB_iNS9_4plusIvEENS9_8equal_toIvEEiEE10hipError_tPvRmT2_T3_T4_T5_mT6_T7_P12ihipStream_tbENKUlT_T0_E_clISt17integral_constantIbLb1EESV_IbLb0EEEEDaSR_SS_EUlSR_E_NS1_11comp_targetILNS1_3genE4ELNS1_11target_archE910ELNS1_3gpuE8ELNS1_3repE0EEENS1_30default_config_static_selectorELNS0_4arch9wavefront6targetE0EEEvT1_.has_indirect_call, 0
	.section	.AMDGPU.csdata,"",@progbits
; Kernel info:
; codeLenInByte = 0
; TotalNumSgprs: 0
; NumVgprs: 0
; ScratchSize: 0
; MemoryBound: 0
; FloatMode: 240
; IeeeMode: 1
; LDSByteSize: 0 bytes/workgroup (compile time only)
; SGPRBlocks: 0
; VGPRBlocks: 0
; NumSGPRsForWavesPerEU: 1
; NumVGPRsForWavesPerEU: 1
; Occupancy: 16
; WaveLimiterHint : 0
; COMPUTE_PGM_RSRC2:SCRATCH_EN: 0
; COMPUTE_PGM_RSRC2:USER_SGPR: 6
; COMPUTE_PGM_RSRC2:TRAP_HANDLER: 0
; COMPUTE_PGM_RSRC2:TGID_X_EN: 1
; COMPUTE_PGM_RSRC2:TGID_Y_EN: 0
; COMPUTE_PGM_RSRC2:TGID_Z_EN: 0
; COMPUTE_PGM_RSRC2:TIDIG_COMP_CNT: 0
	.section	.text._ZN7rocprim17ROCPRIM_400000_NS6detail17trampoline_kernelINS0_14default_configENS1_27scan_by_key_config_selectorIiiEEZZNS1_16scan_by_key_implILNS1_25lookback_scan_determinismE0ELb0ES3_N6thrust23THRUST_200600_302600_NS10device_ptrIiEESB_SB_iNS9_4plusIvEENS9_8equal_toIvEEiEE10hipError_tPvRmT2_T3_T4_T5_mT6_T7_P12ihipStream_tbENKUlT_T0_E_clISt17integral_constantIbLb1EESV_IbLb0EEEEDaSR_SS_EUlSR_E_NS1_11comp_targetILNS1_3genE3ELNS1_11target_archE908ELNS1_3gpuE7ELNS1_3repE0EEENS1_30default_config_static_selectorELNS0_4arch9wavefront6targetE0EEEvT1_,"axG",@progbits,_ZN7rocprim17ROCPRIM_400000_NS6detail17trampoline_kernelINS0_14default_configENS1_27scan_by_key_config_selectorIiiEEZZNS1_16scan_by_key_implILNS1_25lookback_scan_determinismE0ELb0ES3_N6thrust23THRUST_200600_302600_NS10device_ptrIiEESB_SB_iNS9_4plusIvEENS9_8equal_toIvEEiEE10hipError_tPvRmT2_T3_T4_T5_mT6_T7_P12ihipStream_tbENKUlT_T0_E_clISt17integral_constantIbLb1EESV_IbLb0EEEEDaSR_SS_EUlSR_E_NS1_11comp_targetILNS1_3genE3ELNS1_11target_archE908ELNS1_3gpuE7ELNS1_3repE0EEENS1_30default_config_static_selectorELNS0_4arch9wavefront6targetE0EEEvT1_,comdat
	.protected	_ZN7rocprim17ROCPRIM_400000_NS6detail17trampoline_kernelINS0_14default_configENS1_27scan_by_key_config_selectorIiiEEZZNS1_16scan_by_key_implILNS1_25lookback_scan_determinismE0ELb0ES3_N6thrust23THRUST_200600_302600_NS10device_ptrIiEESB_SB_iNS9_4plusIvEENS9_8equal_toIvEEiEE10hipError_tPvRmT2_T3_T4_T5_mT6_T7_P12ihipStream_tbENKUlT_T0_E_clISt17integral_constantIbLb1EESV_IbLb0EEEEDaSR_SS_EUlSR_E_NS1_11comp_targetILNS1_3genE3ELNS1_11target_archE908ELNS1_3gpuE7ELNS1_3repE0EEENS1_30default_config_static_selectorELNS0_4arch9wavefront6targetE0EEEvT1_ ; -- Begin function _ZN7rocprim17ROCPRIM_400000_NS6detail17trampoline_kernelINS0_14default_configENS1_27scan_by_key_config_selectorIiiEEZZNS1_16scan_by_key_implILNS1_25lookback_scan_determinismE0ELb0ES3_N6thrust23THRUST_200600_302600_NS10device_ptrIiEESB_SB_iNS9_4plusIvEENS9_8equal_toIvEEiEE10hipError_tPvRmT2_T3_T4_T5_mT6_T7_P12ihipStream_tbENKUlT_T0_E_clISt17integral_constantIbLb1EESV_IbLb0EEEEDaSR_SS_EUlSR_E_NS1_11comp_targetILNS1_3genE3ELNS1_11target_archE908ELNS1_3gpuE7ELNS1_3repE0EEENS1_30default_config_static_selectorELNS0_4arch9wavefront6targetE0EEEvT1_
	.globl	_ZN7rocprim17ROCPRIM_400000_NS6detail17trampoline_kernelINS0_14default_configENS1_27scan_by_key_config_selectorIiiEEZZNS1_16scan_by_key_implILNS1_25lookback_scan_determinismE0ELb0ES3_N6thrust23THRUST_200600_302600_NS10device_ptrIiEESB_SB_iNS9_4plusIvEENS9_8equal_toIvEEiEE10hipError_tPvRmT2_T3_T4_T5_mT6_T7_P12ihipStream_tbENKUlT_T0_E_clISt17integral_constantIbLb1EESV_IbLb0EEEEDaSR_SS_EUlSR_E_NS1_11comp_targetILNS1_3genE3ELNS1_11target_archE908ELNS1_3gpuE7ELNS1_3repE0EEENS1_30default_config_static_selectorELNS0_4arch9wavefront6targetE0EEEvT1_
	.p2align	8
	.type	_ZN7rocprim17ROCPRIM_400000_NS6detail17trampoline_kernelINS0_14default_configENS1_27scan_by_key_config_selectorIiiEEZZNS1_16scan_by_key_implILNS1_25lookback_scan_determinismE0ELb0ES3_N6thrust23THRUST_200600_302600_NS10device_ptrIiEESB_SB_iNS9_4plusIvEENS9_8equal_toIvEEiEE10hipError_tPvRmT2_T3_T4_T5_mT6_T7_P12ihipStream_tbENKUlT_T0_E_clISt17integral_constantIbLb1EESV_IbLb0EEEEDaSR_SS_EUlSR_E_NS1_11comp_targetILNS1_3genE3ELNS1_11target_archE908ELNS1_3gpuE7ELNS1_3repE0EEENS1_30default_config_static_selectorELNS0_4arch9wavefront6targetE0EEEvT1_,@function
_ZN7rocprim17ROCPRIM_400000_NS6detail17trampoline_kernelINS0_14default_configENS1_27scan_by_key_config_selectorIiiEEZZNS1_16scan_by_key_implILNS1_25lookback_scan_determinismE0ELb0ES3_N6thrust23THRUST_200600_302600_NS10device_ptrIiEESB_SB_iNS9_4plusIvEENS9_8equal_toIvEEiEE10hipError_tPvRmT2_T3_T4_T5_mT6_T7_P12ihipStream_tbENKUlT_T0_E_clISt17integral_constantIbLb1EESV_IbLb0EEEEDaSR_SS_EUlSR_E_NS1_11comp_targetILNS1_3genE3ELNS1_11target_archE908ELNS1_3gpuE7ELNS1_3repE0EEENS1_30default_config_static_selectorELNS0_4arch9wavefront6targetE0EEEvT1_: ; @_ZN7rocprim17ROCPRIM_400000_NS6detail17trampoline_kernelINS0_14default_configENS1_27scan_by_key_config_selectorIiiEEZZNS1_16scan_by_key_implILNS1_25lookback_scan_determinismE0ELb0ES3_N6thrust23THRUST_200600_302600_NS10device_ptrIiEESB_SB_iNS9_4plusIvEENS9_8equal_toIvEEiEE10hipError_tPvRmT2_T3_T4_T5_mT6_T7_P12ihipStream_tbENKUlT_T0_E_clISt17integral_constantIbLb1EESV_IbLb0EEEEDaSR_SS_EUlSR_E_NS1_11comp_targetILNS1_3genE3ELNS1_11target_archE908ELNS1_3gpuE7ELNS1_3repE0EEENS1_30default_config_static_selectorELNS0_4arch9wavefront6targetE0EEEvT1_
; %bb.0:
	.section	.rodata,"a",@progbits
	.p2align	6, 0x0
	.amdhsa_kernel _ZN7rocprim17ROCPRIM_400000_NS6detail17trampoline_kernelINS0_14default_configENS1_27scan_by_key_config_selectorIiiEEZZNS1_16scan_by_key_implILNS1_25lookback_scan_determinismE0ELb0ES3_N6thrust23THRUST_200600_302600_NS10device_ptrIiEESB_SB_iNS9_4plusIvEENS9_8equal_toIvEEiEE10hipError_tPvRmT2_T3_T4_T5_mT6_T7_P12ihipStream_tbENKUlT_T0_E_clISt17integral_constantIbLb1EESV_IbLb0EEEEDaSR_SS_EUlSR_E_NS1_11comp_targetILNS1_3genE3ELNS1_11target_archE908ELNS1_3gpuE7ELNS1_3repE0EEENS1_30default_config_static_selectorELNS0_4arch9wavefront6targetE0EEEvT1_
		.amdhsa_group_segment_fixed_size 0
		.amdhsa_private_segment_fixed_size 0
		.amdhsa_kernarg_size 112
		.amdhsa_user_sgpr_count 6
		.amdhsa_user_sgpr_private_segment_buffer 1
		.amdhsa_user_sgpr_dispatch_ptr 0
		.amdhsa_user_sgpr_queue_ptr 0
		.amdhsa_user_sgpr_kernarg_segment_ptr 1
		.amdhsa_user_sgpr_dispatch_id 0
		.amdhsa_user_sgpr_flat_scratch_init 0
		.amdhsa_user_sgpr_private_segment_size 0
		.amdhsa_wavefront_size32 1
		.amdhsa_uses_dynamic_stack 0
		.amdhsa_system_sgpr_private_segment_wavefront_offset 0
		.amdhsa_system_sgpr_workgroup_id_x 1
		.amdhsa_system_sgpr_workgroup_id_y 0
		.amdhsa_system_sgpr_workgroup_id_z 0
		.amdhsa_system_sgpr_workgroup_info 0
		.amdhsa_system_vgpr_workitem_id 0
		.amdhsa_next_free_vgpr 1
		.amdhsa_next_free_sgpr 1
		.amdhsa_reserve_vcc 0
		.amdhsa_reserve_flat_scratch 0
		.amdhsa_float_round_mode_32 0
		.amdhsa_float_round_mode_16_64 0
		.amdhsa_float_denorm_mode_32 3
		.amdhsa_float_denorm_mode_16_64 3
		.amdhsa_dx10_clamp 1
		.amdhsa_ieee_mode 1
		.amdhsa_fp16_overflow 0
		.amdhsa_workgroup_processor_mode 1
		.amdhsa_memory_ordered 1
		.amdhsa_forward_progress 1
		.amdhsa_shared_vgpr_count 0
		.amdhsa_exception_fp_ieee_invalid_op 0
		.amdhsa_exception_fp_denorm_src 0
		.amdhsa_exception_fp_ieee_div_zero 0
		.amdhsa_exception_fp_ieee_overflow 0
		.amdhsa_exception_fp_ieee_underflow 0
		.amdhsa_exception_fp_ieee_inexact 0
		.amdhsa_exception_int_div_zero 0
	.end_amdhsa_kernel
	.section	.text._ZN7rocprim17ROCPRIM_400000_NS6detail17trampoline_kernelINS0_14default_configENS1_27scan_by_key_config_selectorIiiEEZZNS1_16scan_by_key_implILNS1_25lookback_scan_determinismE0ELb0ES3_N6thrust23THRUST_200600_302600_NS10device_ptrIiEESB_SB_iNS9_4plusIvEENS9_8equal_toIvEEiEE10hipError_tPvRmT2_T3_T4_T5_mT6_T7_P12ihipStream_tbENKUlT_T0_E_clISt17integral_constantIbLb1EESV_IbLb0EEEEDaSR_SS_EUlSR_E_NS1_11comp_targetILNS1_3genE3ELNS1_11target_archE908ELNS1_3gpuE7ELNS1_3repE0EEENS1_30default_config_static_selectorELNS0_4arch9wavefront6targetE0EEEvT1_,"axG",@progbits,_ZN7rocprim17ROCPRIM_400000_NS6detail17trampoline_kernelINS0_14default_configENS1_27scan_by_key_config_selectorIiiEEZZNS1_16scan_by_key_implILNS1_25lookback_scan_determinismE0ELb0ES3_N6thrust23THRUST_200600_302600_NS10device_ptrIiEESB_SB_iNS9_4plusIvEENS9_8equal_toIvEEiEE10hipError_tPvRmT2_T3_T4_T5_mT6_T7_P12ihipStream_tbENKUlT_T0_E_clISt17integral_constantIbLb1EESV_IbLb0EEEEDaSR_SS_EUlSR_E_NS1_11comp_targetILNS1_3genE3ELNS1_11target_archE908ELNS1_3gpuE7ELNS1_3repE0EEENS1_30default_config_static_selectorELNS0_4arch9wavefront6targetE0EEEvT1_,comdat
.Lfunc_end2218:
	.size	_ZN7rocprim17ROCPRIM_400000_NS6detail17trampoline_kernelINS0_14default_configENS1_27scan_by_key_config_selectorIiiEEZZNS1_16scan_by_key_implILNS1_25lookback_scan_determinismE0ELb0ES3_N6thrust23THRUST_200600_302600_NS10device_ptrIiEESB_SB_iNS9_4plusIvEENS9_8equal_toIvEEiEE10hipError_tPvRmT2_T3_T4_T5_mT6_T7_P12ihipStream_tbENKUlT_T0_E_clISt17integral_constantIbLb1EESV_IbLb0EEEEDaSR_SS_EUlSR_E_NS1_11comp_targetILNS1_3genE3ELNS1_11target_archE908ELNS1_3gpuE7ELNS1_3repE0EEENS1_30default_config_static_selectorELNS0_4arch9wavefront6targetE0EEEvT1_, .Lfunc_end2218-_ZN7rocprim17ROCPRIM_400000_NS6detail17trampoline_kernelINS0_14default_configENS1_27scan_by_key_config_selectorIiiEEZZNS1_16scan_by_key_implILNS1_25lookback_scan_determinismE0ELb0ES3_N6thrust23THRUST_200600_302600_NS10device_ptrIiEESB_SB_iNS9_4plusIvEENS9_8equal_toIvEEiEE10hipError_tPvRmT2_T3_T4_T5_mT6_T7_P12ihipStream_tbENKUlT_T0_E_clISt17integral_constantIbLb1EESV_IbLb0EEEEDaSR_SS_EUlSR_E_NS1_11comp_targetILNS1_3genE3ELNS1_11target_archE908ELNS1_3gpuE7ELNS1_3repE0EEENS1_30default_config_static_selectorELNS0_4arch9wavefront6targetE0EEEvT1_
                                        ; -- End function
	.set _ZN7rocprim17ROCPRIM_400000_NS6detail17trampoline_kernelINS0_14default_configENS1_27scan_by_key_config_selectorIiiEEZZNS1_16scan_by_key_implILNS1_25lookback_scan_determinismE0ELb0ES3_N6thrust23THRUST_200600_302600_NS10device_ptrIiEESB_SB_iNS9_4plusIvEENS9_8equal_toIvEEiEE10hipError_tPvRmT2_T3_T4_T5_mT6_T7_P12ihipStream_tbENKUlT_T0_E_clISt17integral_constantIbLb1EESV_IbLb0EEEEDaSR_SS_EUlSR_E_NS1_11comp_targetILNS1_3genE3ELNS1_11target_archE908ELNS1_3gpuE7ELNS1_3repE0EEENS1_30default_config_static_selectorELNS0_4arch9wavefront6targetE0EEEvT1_.num_vgpr, 0
	.set _ZN7rocprim17ROCPRIM_400000_NS6detail17trampoline_kernelINS0_14default_configENS1_27scan_by_key_config_selectorIiiEEZZNS1_16scan_by_key_implILNS1_25lookback_scan_determinismE0ELb0ES3_N6thrust23THRUST_200600_302600_NS10device_ptrIiEESB_SB_iNS9_4plusIvEENS9_8equal_toIvEEiEE10hipError_tPvRmT2_T3_T4_T5_mT6_T7_P12ihipStream_tbENKUlT_T0_E_clISt17integral_constantIbLb1EESV_IbLb0EEEEDaSR_SS_EUlSR_E_NS1_11comp_targetILNS1_3genE3ELNS1_11target_archE908ELNS1_3gpuE7ELNS1_3repE0EEENS1_30default_config_static_selectorELNS0_4arch9wavefront6targetE0EEEvT1_.num_agpr, 0
	.set _ZN7rocprim17ROCPRIM_400000_NS6detail17trampoline_kernelINS0_14default_configENS1_27scan_by_key_config_selectorIiiEEZZNS1_16scan_by_key_implILNS1_25lookback_scan_determinismE0ELb0ES3_N6thrust23THRUST_200600_302600_NS10device_ptrIiEESB_SB_iNS9_4plusIvEENS9_8equal_toIvEEiEE10hipError_tPvRmT2_T3_T4_T5_mT6_T7_P12ihipStream_tbENKUlT_T0_E_clISt17integral_constantIbLb1EESV_IbLb0EEEEDaSR_SS_EUlSR_E_NS1_11comp_targetILNS1_3genE3ELNS1_11target_archE908ELNS1_3gpuE7ELNS1_3repE0EEENS1_30default_config_static_selectorELNS0_4arch9wavefront6targetE0EEEvT1_.numbered_sgpr, 0
	.set _ZN7rocprim17ROCPRIM_400000_NS6detail17trampoline_kernelINS0_14default_configENS1_27scan_by_key_config_selectorIiiEEZZNS1_16scan_by_key_implILNS1_25lookback_scan_determinismE0ELb0ES3_N6thrust23THRUST_200600_302600_NS10device_ptrIiEESB_SB_iNS9_4plusIvEENS9_8equal_toIvEEiEE10hipError_tPvRmT2_T3_T4_T5_mT6_T7_P12ihipStream_tbENKUlT_T0_E_clISt17integral_constantIbLb1EESV_IbLb0EEEEDaSR_SS_EUlSR_E_NS1_11comp_targetILNS1_3genE3ELNS1_11target_archE908ELNS1_3gpuE7ELNS1_3repE0EEENS1_30default_config_static_selectorELNS0_4arch9wavefront6targetE0EEEvT1_.num_named_barrier, 0
	.set _ZN7rocprim17ROCPRIM_400000_NS6detail17trampoline_kernelINS0_14default_configENS1_27scan_by_key_config_selectorIiiEEZZNS1_16scan_by_key_implILNS1_25lookback_scan_determinismE0ELb0ES3_N6thrust23THRUST_200600_302600_NS10device_ptrIiEESB_SB_iNS9_4plusIvEENS9_8equal_toIvEEiEE10hipError_tPvRmT2_T3_T4_T5_mT6_T7_P12ihipStream_tbENKUlT_T0_E_clISt17integral_constantIbLb1EESV_IbLb0EEEEDaSR_SS_EUlSR_E_NS1_11comp_targetILNS1_3genE3ELNS1_11target_archE908ELNS1_3gpuE7ELNS1_3repE0EEENS1_30default_config_static_selectorELNS0_4arch9wavefront6targetE0EEEvT1_.private_seg_size, 0
	.set _ZN7rocprim17ROCPRIM_400000_NS6detail17trampoline_kernelINS0_14default_configENS1_27scan_by_key_config_selectorIiiEEZZNS1_16scan_by_key_implILNS1_25lookback_scan_determinismE0ELb0ES3_N6thrust23THRUST_200600_302600_NS10device_ptrIiEESB_SB_iNS9_4plusIvEENS9_8equal_toIvEEiEE10hipError_tPvRmT2_T3_T4_T5_mT6_T7_P12ihipStream_tbENKUlT_T0_E_clISt17integral_constantIbLb1EESV_IbLb0EEEEDaSR_SS_EUlSR_E_NS1_11comp_targetILNS1_3genE3ELNS1_11target_archE908ELNS1_3gpuE7ELNS1_3repE0EEENS1_30default_config_static_selectorELNS0_4arch9wavefront6targetE0EEEvT1_.uses_vcc, 0
	.set _ZN7rocprim17ROCPRIM_400000_NS6detail17trampoline_kernelINS0_14default_configENS1_27scan_by_key_config_selectorIiiEEZZNS1_16scan_by_key_implILNS1_25lookback_scan_determinismE0ELb0ES3_N6thrust23THRUST_200600_302600_NS10device_ptrIiEESB_SB_iNS9_4plusIvEENS9_8equal_toIvEEiEE10hipError_tPvRmT2_T3_T4_T5_mT6_T7_P12ihipStream_tbENKUlT_T0_E_clISt17integral_constantIbLb1EESV_IbLb0EEEEDaSR_SS_EUlSR_E_NS1_11comp_targetILNS1_3genE3ELNS1_11target_archE908ELNS1_3gpuE7ELNS1_3repE0EEENS1_30default_config_static_selectorELNS0_4arch9wavefront6targetE0EEEvT1_.uses_flat_scratch, 0
	.set _ZN7rocprim17ROCPRIM_400000_NS6detail17trampoline_kernelINS0_14default_configENS1_27scan_by_key_config_selectorIiiEEZZNS1_16scan_by_key_implILNS1_25lookback_scan_determinismE0ELb0ES3_N6thrust23THRUST_200600_302600_NS10device_ptrIiEESB_SB_iNS9_4plusIvEENS9_8equal_toIvEEiEE10hipError_tPvRmT2_T3_T4_T5_mT6_T7_P12ihipStream_tbENKUlT_T0_E_clISt17integral_constantIbLb1EESV_IbLb0EEEEDaSR_SS_EUlSR_E_NS1_11comp_targetILNS1_3genE3ELNS1_11target_archE908ELNS1_3gpuE7ELNS1_3repE0EEENS1_30default_config_static_selectorELNS0_4arch9wavefront6targetE0EEEvT1_.has_dyn_sized_stack, 0
	.set _ZN7rocprim17ROCPRIM_400000_NS6detail17trampoline_kernelINS0_14default_configENS1_27scan_by_key_config_selectorIiiEEZZNS1_16scan_by_key_implILNS1_25lookback_scan_determinismE0ELb0ES3_N6thrust23THRUST_200600_302600_NS10device_ptrIiEESB_SB_iNS9_4plusIvEENS9_8equal_toIvEEiEE10hipError_tPvRmT2_T3_T4_T5_mT6_T7_P12ihipStream_tbENKUlT_T0_E_clISt17integral_constantIbLb1EESV_IbLb0EEEEDaSR_SS_EUlSR_E_NS1_11comp_targetILNS1_3genE3ELNS1_11target_archE908ELNS1_3gpuE7ELNS1_3repE0EEENS1_30default_config_static_selectorELNS0_4arch9wavefront6targetE0EEEvT1_.has_recursion, 0
	.set _ZN7rocprim17ROCPRIM_400000_NS6detail17trampoline_kernelINS0_14default_configENS1_27scan_by_key_config_selectorIiiEEZZNS1_16scan_by_key_implILNS1_25lookback_scan_determinismE0ELb0ES3_N6thrust23THRUST_200600_302600_NS10device_ptrIiEESB_SB_iNS9_4plusIvEENS9_8equal_toIvEEiEE10hipError_tPvRmT2_T3_T4_T5_mT6_T7_P12ihipStream_tbENKUlT_T0_E_clISt17integral_constantIbLb1EESV_IbLb0EEEEDaSR_SS_EUlSR_E_NS1_11comp_targetILNS1_3genE3ELNS1_11target_archE908ELNS1_3gpuE7ELNS1_3repE0EEENS1_30default_config_static_selectorELNS0_4arch9wavefront6targetE0EEEvT1_.has_indirect_call, 0
	.section	.AMDGPU.csdata,"",@progbits
; Kernel info:
; codeLenInByte = 0
; TotalNumSgprs: 0
; NumVgprs: 0
; ScratchSize: 0
; MemoryBound: 0
; FloatMode: 240
; IeeeMode: 1
; LDSByteSize: 0 bytes/workgroup (compile time only)
; SGPRBlocks: 0
; VGPRBlocks: 0
; NumSGPRsForWavesPerEU: 1
; NumVGPRsForWavesPerEU: 1
; Occupancy: 16
; WaveLimiterHint : 0
; COMPUTE_PGM_RSRC2:SCRATCH_EN: 0
; COMPUTE_PGM_RSRC2:USER_SGPR: 6
; COMPUTE_PGM_RSRC2:TRAP_HANDLER: 0
; COMPUTE_PGM_RSRC2:TGID_X_EN: 1
; COMPUTE_PGM_RSRC2:TGID_Y_EN: 0
; COMPUTE_PGM_RSRC2:TGID_Z_EN: 0
; COMPUTE_PGM_RSRC2:TIDIG_COMP_CNT: 0
	.section	.text._ZN7rocprim17ROCPRIM_400000_NS6detail17trampoline_kernelINS0_14default_configENS1_27scan_by_key_config_selectorIiiEEZZNS1_16scan_by_key_implILNS1_25lookback_scan_determinismE0ELb0ES3_N6thrust23THRUST_200600_302600_NS10device_ptrIiEESB_SB_iNS9_4plusIvEENS9_8equal_toIvEEiEE10hipError_tPvRmT2_T3_T4_T5_mT6_T7_P12ihipStream_tbENKUlT_T0_E_clISt17integral_constantIbLb1EESV_IbLb0EEEEDaSR_SS_EUlSR_E_NS1_11comp_targetILNS1_3genE2ELNS1_11target_archE906ELNS1_3gpuE6ELNS1_3repE0EEENS1_30default_config_static_selectorELNS0_4arch9wavefront6targetE0EEEvT1_,"axG",@progbits,_ZN7rocprim17ROCPRIM_400000_NS6detail17trampoline_kernelINS0_14default_configENS1_27scan_by_key_config_selectorIiiEEZZNS1_16scan_by_key_implILNS1_25lookback_scan_determinismE0ELb0ES3_N6thrust23THRUST_200600_302600_NS10device_ptrIiEESB_SB_iNS9_4plusIvEENS9_8equal_toIvEEiEE10hipError_tPvRmT2_T3_T4_T5_mT6_T7_P12ihipStream_tbENKUlT_T0_E_clISt17integral_constantIbLb1EESV_IbLb0EEEEDaSR_SS_EUlSR_E_NS1_11comp_targetILNS1_3genE2ELNS1_11target_archE906ELNS1_3gpuE6ELNS1_3repE0EEENS1_30default_config_static_selectorELNS0_4arch9wavefront6targetE0EEEvT1_,comdat
	.protected	_ZN7rocprim17ROCPRIM_400000_NS6detail17trampoline_kernelINS0_14default_configENS1_27scan_by_key_config_selectorIiiEEZZNS1_16scan_by_key_implILNS1_25lookback_scan_determinismE0ELb0ES3_N6thrust23THRUST_200600_302600_NS10device_ptrIiEESB_SB_iNS9_4plusIvEENS9_8equal_toIvEEiEE10hipError_tPvRmT2_T3_T4_T5_mT6_T7_P12ihipStream_tbENKUlT_T0_E_clISt17integral_constantIbLb1EESV_IbLb0EEEEDaSR_SS_EUlSR_E_NS1_11comp_targetILNS1_3genE2ELNS1_11target_archE906ELNS1_3gpuE6ELNS1_3repE0EEENS1_30default_config_static_selectorELNS0_4arch9wavefront6targetE0EEEvT1_ ; -- Begin function _ZN7rocprim17ROCPRIM_400000_NS6detail17trampoline_kernelINS0_14default_configENS1_27scan_by_key_config_selectorIiiEEZZNS1_16scan_by_key_implILNS1_25lookback_scan_determinismE0ELb0ES3_N6thrust23THRUST_200600_302600_NS10device_ptrIiEESB_SB_iNS9_4plusIvEENS9_8equal_toIvEEiEE10hipError_tPvRmT2_T3_T4_T5_mT6_T7_P12ihipStream_tbENKUlT_T0_E_clISt17integral_constantIbLb1EESV_IbLb0EEEEDaSR_SS_EUlSR_E_NS1_11comp_targetILNS1_3genE2ELNS1_11target_archE906ELNS1_3gpuE6ELNS1_3repE0EEENS1_30default_config_static_selectorELNS0_4arch9wavefront6targetE0EEEvT1_
	.globl	_ZN7rocprim17ROCPRIM_400000_NS6detail17trampoline_kernelINS0_14default_configENS1_27scan_by_key_config_selectorIiiEEZZNS1_16scan_by_key_implILNS1_25lookback_scan_determinismE0ELb0ES3_N6thrust23THRUST_200600_302600_NS10device_ptrIiEESB_SB_iNS9_4plusIvEENS9_8equal_toIvEEiEE10hipError_tPvRmT2_T3_T4_T5_mT6_T7_P12ihipStream_tbENKUlT_T0_E_clISt17integral_constantIbLb1EESV_IbLb0EEEEDaSR_SS_EUlSR_E_NS1_11comp_targetILNS1_3genE2ELNS1_11target_archE906ELNS1_3gpuE6ELNS1_3repE0EEENS1_30default_config_static_selectorELNS0_4arch9wavefront6targetE0EEEvT1_
	.p2align	8
	.type	_ZN7rocprim17ROCPRIM_400000_NS6detail17trampoline_kernelINS0_14default_configENS1_27scan_by_key_config_selectorIiiEEZZNS1_16scan_by_key_implILNS1_25lookback_scan_determinismE0ELb0ES3_N6thrust23THRUST_200600_302600_NS10device_ptrIiEESB_SB_iNS9_4plusIvEENS9_8equal_toIvEEiEE10hipError_tPvRmT2_T3_T4_T5_mT6_T7_P12ihipStream_tbENKUlT_T0_E_clISt17integral_constantIbLb1EESV_IbLb0EEEEDaSR_SS_EUlSR_E_NS1_11comp_targetILNS1_3genE2ELNS1_11target_archE906ELNS1_3gpuE6ELNS1_3repE0EEENS1_30default_config_static_selectorELNS0_4arch9wavefront6targetE0EEEvT1_,@function
_ZN7rocprim17ROCPRIM_400000_NS6detail17trampoline_kernelINS0_14default_configENS1_27scan_by_key_config_selectorIiiEEZZNS1_16scan_by_key_implILNS1_25lookback_scan_determinismE0ELb0ES3_N6thrust23THRUST_200600_302600_NS10device_ptrIiEESB_SB_iNS9_4plusIvEENS9_8equal_toIvEEiEE10hipError_tPvRmT2_T3_T4_T5_mT6_T7_P12ihipStream_tbENKUlT_T0_E_clISt17integral_constantIbLb1EESV_IbLb0EEEEDaSR_SS_EUlSR_E_NS1_11comp_targetILNS1_3genE2ELNS1_11target_archE906ELNS1_3gpuE6ELNS1_3repE0EEENS1_30default_config_static_selectorELNS0_4arch9wavefront6targetE0EEEvT1_: ; @_ZN7rocprim17ROCPRIM_400000_NS6detail17trampoline_kernelINS0_14default_configENS1_27scan_by_key_config_selectorIiiEEZZNS1_16scan_by_key_implILNS1_25lookback_scan_determinismE0ELb0ES3_N6thrust23THRUST_200600_302600_NS10device_ptrIiEESB_SB_iNS9_4plusIvEENS9_8equal_toIvEEiEE10hipError_tPvRmT2_T3_T4_T5_mT6_T7_P12ihipStream_tbENKUlT_T0_E_clISt17integral_constantIbLb1EESV_IbLb0EEEEDaSR_SS_EUlSR_E_NS1_11comp_targetILNS1_3genE2ELNS1_11target_archE906ELNS1_3gpuE6ELNS1_3repE0EEENS1_30default_config_static_selectorELNS0_4arch9wavefront6targetE0EEEvT1_
; %bb.0:
	.section	.rodata,"a",@progbits
	.p2align	6, 0x0
	.amdhsa_kernel _ZN7rocprim17ROCPRIM_400000_NS6detail17trampoline_kernelINS0_14default_configENS1_27scan_by_key_config_selectorIiiEEZZNS1_16scan_by_key_implILNS1_25lookback_scan_determinismE0ELb0ES3_N6thrust23THRUST_200600_302600_NS10device_ptrIiEESB_SB_iNS9_4plusIvEENS9_8equal_toIvEEiEE10hipError_tPvRmT2_T3_T4_T5_mT6_T7_P12ihipStream_tbENKUlT_T0_E_clISt17integral_constantIbLb1EESV_IbLb0EEEEDaSR_SS_EUlSR_E_NS1_11comp_targetILNS1_3genE2ELNS1_11target_archE906ELNS1_3gpuE6ELNS1_3repE0EEENS1_30default_config_static_selectorELNS0_4arch9wavefront6targetE0EEEvT1_
		.amdhsa_group_segment_fixed_size 0
		.amdhsa_private_segment_fixed_size 0
		.amdhsa_kernarg_size 112
		.amdhsa_user_sgpr_count 6
		.amdhsa_user_sgpr_private_segment_buffer 1
		.amdhsa_user_sgpr_dispatch_ptr 0
		.amdhsa_user_sgpr_queue_ptr 0
		.amdhsa_user_sgpr_kernarg_segment_ptr 1
		.amdhsa_user_sgpr_dispatch_id 0
		.amdhsa_user_sgpr_flat_scratch_init 0
		.amdhsa_user_sgpr_private_segment_size 0
		.amdhsa_wavefront_size32 1
		.amdhsa_uses_dynamic_stack 0
		.amdhsa_system_sgpr_private_segment_wavefront_offset 0
		.amdhsa_system_sgpr_workgroup_id_x 1
		.amdhsa_system_sgpr_workgroup_id_y 0
		.amdhsa_system_sgpr_workgroup_id_z 0
		.amdhsa_system_sgpr_workgroup_info 0
		.amdhsa_system_vgpr_workitem_id 0
		.amdhsa_next_free_vgpr 1
		.amdhsa_next_free_sgpr 1
		.amdhsa_reserve_vcc 0
		.amdhsa_reserve_flat_scratch 0
		.amdhsa_float_round_mode_32 0
		.amdhsa_float_round_mode_16_64 0
		.amdhsa_float_denorm_mode_32 3
		.amdhsa_float_denorm_mode_16_64 3
		.amdhsa_dx10_clamp 1
		.amdhsa_ieee_mode 1
		.amdhsa_fp16_overflow 0
		.amdhsa_workgroup_processor_mode 1
		.amdhsa_memory_ordered 1
		.amdhsa_forward_progress 1
		.amdhsa_shared_vgpr_count 0
		.amdhsa_exception_fp_ieee_invalid_op 0
		.amdhsa_exception_fp_denorm_src 0
		.amdhsa_exception_fp_ieee_div_zero 0
		.amdhsa_exception_fp_ieee_overflow 0
		.amdhsa_exception_fp_ieee_underflow 0
		.amdhsa_exception_fp_ieee_inexact 0
		.amdhsa_exception_int_div_zero 0
	.end_amdhsa_kernel
	.section	.text._ZN7rocprim17ROCPRIM_400000_NS6detail17trampoline_kernelINS0_14default_configENS1_27scan_by_key_config_selectorIiiEEZZNS1_16scan_by_key_implILNS1_25lookback_scan_determinismE0ELb0ES3_N6thrust23THRUST_200600_302600_NS10device_ptrIiEESB_SB_iNS9_4plusIvEENS9_8equal_toIvEEiEE10hipError_tPvRmT2_T3_T4_T5_mT6_T7_P12ihipStream_tbENKUlT_T0_E_clISt17integral_constantIbLb1EESV_IbLb0EEEEDaSR_SS_EUlSR_E_NS1_11comp_targetILNS1_3genE2ELNS1_11target_archE906ELNS1_3gpuE6ELNS1_3repE0EEENS1_30default_config_static_selectorELNS0_4arch9wavefront6targetE0EEEvT1_,"axG",@progbits,_ZN7rocprim17ROCPRIM_400000_NS6detail17trampoline_kernelINS0_14default_configENS1_27scan_by_key_config_selectorIiiEEZZNS1_16scan_by_key_implILNS1_25lookback_scan_determinismE0ELb0ES3_N6thrust23THRUST_200600_302600_NS10device_ptrIiEESB_SB_iNS9_4plusIvEENS9_8equal_toIvEEiEE10hipError_tPvRmT2_T3_T4_T5_mT6_T7_P12ihipStream_tbENKUlT_T0_E_clISt17integral_constantIbLb1EESV_IbLb0EEEEDaSR_SS_EUlSR_E_NS1_11comp_targetILNS1_3genE2ELNS1_11target_archE906ELNS1_3gpuE6ELNS1_3repE0EEENS1_30default_config_static_selectorELNS0_4arch9wavefront6targetE0EEEvT1_,comdat
.Lfunc_end2219:
	.size	_ZN7rocprim17ROCPRIM_400000_NS6detail17trampoline_kernelINS0_14default_configENS1_27scan_by_key_config_selectorIiiEEZZNS1_16scan_by_key_implILNS1_25lookback_scan_determinismE0ELb0ES3_N6thrust23THRUST_200600_302600_NS10device_ptrIiEESB_SB_iNS9_4plusIvEENS9_8equal_toIvEEiEE10hipError_tPvRmT2_T3_T4_T5_mT6_T7_P12ihipStream_tbENKUlT_T0_E_clISt17integral_constantIbLb1EESV_IbLb0EEEEDaSR_SS_EUlSR_E_NS1_11comp_targetILNS1_3genE2ELNS1_11target_archE906ELNS1_3gpuE6ELNS1_3repE0EEENS1_30default_config_static_selectorELNS0_4arch9wavefront6targetE0EEEvT1_, .Lfunc_end2219-_ZN7rocprim17ROCPRIM_400000_NS6detail17trampoline_kernelINS0_14default_configENS1_27scan_by_key_config_selectorIiiEEZZNS1_16scan_by_key_implILNS1_25lookback_scan_determinismE0ELb0ES3_N6thrust23THRUST_200600_302600_NS10device_ptrIiEESB_SB_iNS9_4plusIvEENS9_8equal_toIvEEiEE10hipError_tPvRmT2_T3_T4_T5_mT6_T7_P12ihipStream_tbENKUlT_T0_E_clISt17integral_constantIbLb1EESV_IbLb0EEEEDaSR_SS_EUlSR_E_NS1_11comp_targetILNS1_3genE2ELNS1_11target_archE906ELNS1_3gpuE6ELNS1_3repE0EEENS1_30default_config_static_selectorELNS0_4arch9wavefront6targetE0EEEvT1_
                                        ; -- End function
	.set _ZN7rocprim17ROCPRIM_400000_NS6detail17trampoline_kernelINS0_14default_configENS1_27scan_by_key_config_selectorIiiEEZZNS1_16scan_by_key_implILNS1_25lookback_scan_determinismE0ELb0ES3_N6thrust23THRUST_200600_302600_NS10device_ptrIiEESB_SB_iNS9_4plusIvEENS9_8equal_toIvEEiEE10hipError_tPvRmT2_T3_T4_T5_mT6_T7_P12ihipStream_tbENKUlT_T0_E_clISt17integral_constantIbLb1EESV_IbLb0EEEEDaSR_SS_EUlSR_E_NS1_11comp_targetILNS1_3genE2ELNS1_11target_archE906ELNS1_3gpuE6ELNS1_3repE0EEENS1_30default_config_static_selectorELNS0_4arch9wavefront6targetE0EEEvT1_.num_vgpr, 0
	.set _ZN7rocprim17ROCPRIM_400000_NS6detail17trampoline_kernelINS0_14default_configENS1_27scan_by_key_config_selectorIiiEEZZNS1_16scan_by_key_implILNS1_25lookback_scan_determinismE0ELb0ES3_N6thrust23THRUST_200600_302600_NS10device_ptrIiEESB_SB_iNS9_4plusIvEENS9_8equal_toIvEEiEE10hipError_tPvRmT2_T3_T4_T5_mT6_T7_P12ihipStream_tbENKUlT_T0_E_clISt17integral_constantIbLb1EESV_IbLb0EEEEDaSR_SS_EUlSR_E_NS1_11comp_targetILNS1_3genE2ELNS1_11target_archE906ELNS1_3gpuE6ELNS1_3repE0EEENS1_30default_config_static_selectorELNS0_4arch9wavefront6targetE0EEEvT1_.num_agpr, 0
	.set _ZN7rocprim17ROCPRIM_400000_NS6detail17trampoline_kernelINS0_14default_configENS1_27scan_by_key_config_selectorIiiEEZZNS1_16scan_by_key_implILNS1_25lookback_scan_determinismE0ELb0ES3_N6thrust23THRUST_200600_302600_NS10device_ptrIiEESB_SB_iNS9_4plusIvEENS9_8equal_toIvEEiEE10hipError_tPvRmT2_T3_T4_T5_mT6_T7_P12ihipStream_tbENKUlT_T0_E_clISt17integral_constantIbLb1EESV_IbLb0EEEEDaSR_SS_EUlSR_E_NS1_11comp_targetILNS1_3genE2ELNS1_11target_archE906ELNS1_3gpuE6ELNS1_3repE0EEENS1_30default_config_static_selectorELNS0_4arch9wavefront6targetE0EEEvT1_.numbered_sgpr, 0
	.set _ZN7rocprim17ROCPRIM_400000_NS6detail17trampoline_kernelINS0_14default_configENS1_27scan_by_key_config_selectorIiiEEZZNS1_16scan_by_key_implILNS1_25lookback_scan_determinismE0ELb0ES3_N6thrust23THRUST_200600_302600_NS10device_ptrIiEESB_SB_iNS9_4plusIvEENS9_8equal_toIvEEiEE10hipError_tPvRmT2_T3_T4_T5_mT6_T7_P12ihipStream_tbENKUlT_T0_E_clISt17integral_constantIbLb1EESV_IbLb0EEEEDaSR_SS_EUlSR_E_NS1_11comp_targetILNS1_3genE2ELNS1_11target_archE906ELNS1_3gpuE6ELNS1_3repE0EEENS1_30default_config_static_selectorELNS0_4arch9wavefront6targetE0EEEvT1_.num_named_barrier, 0
	.set _ZN7rocprim17ROCPRIM_400000_NS6detail17trampoline_kernelINS0_14default_configENS1_27scan_by_key_config_selectorIiiEEZZNS1_16scan_by_key_implILNS1_25lookback_scan_determinismE0ELb0ES3_N6thrust23THRUST_200600_302600_NS10device_ptrIiEESB_SB_iNS9_4plusIvEENS9_8equal_toIvEEiEE10hipError_tPvRmT2_T3_T4_T5_mT6_T7_P12ihipStream_tbENKUlT_T0_E_clISt17integral_constantIbLb1EESV_IbLb0EEEEDaSR_SS_EUlSR_E_NS1_11comp_targetILNS1_3genE2ELNS1_11target_archE906ELNS1_3gpuE6ELNS1_3repE0EEENS1_30default_config_static_selectorELNS0_4arch9wavefront6targetE0EEEvT1_.private_seg_size, 0
	.set _ZN7rocprim17ROCPRIM_400000_NS6detail17trampoline_kernelINS0_14default_configENS1_27scan_by_key_config_selectorIiiEEZZNS1_16scan_by_key_implILNS1_25lookback_scan_determinismE0ELb0ES3_N6thrust23THRUST_200600_302600_NS10device_ptrIiEESB_SB_iNS9_4plusIvEENS9_8equal_toIvEEiEE10hipError_tPvRmT2_T3_T4_T5_mT6_T7_P12ihipStream_tbENKUlT_T0_E_clISt17integral_constantIbLb1EESV_IbLb0EEEEDaSR_SS_EUlSR_E_NS1_11comp_targetILNS1_3genE2ELNS1_11target_archE906ELNS1_3gpuE6ELNS1_3repE0EEENS1_30default_config_static_selectorELNS0_4arch9wavefront6targetE0EEEvT1_.uses_vcc, 0
	.set _ZN7rocprim17ROCPRIM_400000_NS6detail17trampoline_kernelINS0_14default_configENS1_27scan_by_key_config_selectorIiiEEZZNS1_16scan_by_key_implILNS1_25lookback_scan_determinismE0ELb0ES3_N6thrust23THRUST_200600_302600_NS10device_ptrIiEESB_SB_iNS9_4plusIvEENS9_8equal_toIvEEiEE10hipError_tPvRmT2_T3_T4_T5_mT6_T7_P12ihipStream_tbENKUlT_T0_E_clISt17integral_constantIbLb1EESV_IbLb0EEEEDaSR_SS_EUlSR_E_NS1_11comp_targetILNS1_3genE2ELNS1_11target_archE906ELNS1_3gpuE6ELNS1_3repE0EEENS1_30default_config_static_selectorELNS0_4arch9wavefront6targetE0EEEvT1_.uses_flat_scratch, 0
	.set _ZN7rocprim17ROCPRIM_400000_NS6detail17trampoline_kernelINS0_14default_configENS1_27scan_by_key_config_selectorIiiEEZZNS1_16scan_by_key_implILNS1_25lookback_scan_determinismE0ELb0ES3_N6thrust23THRUST_200600_302600_NS10device_ptrIiEESB_SB_iNS9_4plusIvEENS9_8equal_toIvEEiEE10hipError_tPvRmT2_T3_T4_T5_mT6_T7_P12ihipStream_tbENKUlT_T0_E_clISt17integral_constantIbLb1EESV_IbLb0EEEEDaSR_SS_EUlSR_E_NS1_11comp_targetILNS1_3genE2ELNS1_11target_archE906ELNS1_3gpuE6ELNS1_3repE0EEENS1_30default_config_static_selectorELNS0_4arch9wavefront6targetE0EEEvT1_.has_dyn_sized_stack, 0
	.set _ZN7rocprim17ROCPRIM_400000_NS6detail17trampoline_kernelINS0_14default_configENS1_27scan_by_key_config_selectorIiiEEZZNS1_16scan_by_key_implILNS1_25lookback_scan_determinismE0ELb0ES3_N6thrust23THRUST_200600_302600_NS10device_ptrIiEESB_SB_iNS9_4plusIvEENS9_8equal_toIvEEiEE10hipError_tPvRmT2_T3_T4_T5_mT6_T7_P12ihipStream_tbENKUlT_T0_E_clISt17integral_constantIbLb1EESV_IbLb0EEEEDaSR_SS_EUlSR_E_NS1_11comp_targetILNS1_3genE2ELNS1_11target_archE906ELNS1_3gpuE6ELNS1_3repE0EEENS1_30default_config_static_selectorELNS0_4arch9wavefront6targetE0EEEvT1_.has_recursion, 0
	.set _ZN7rocprim17ROCPRIM_400000_NS6detail17trampoline_kernelINS0_14default_configENS1_27scan_by_key_config_selectorIiiEEZZNS1_16scan_by_key_implILNS1_25lookback_scan_determinismE0ELb0ES3_N6thrust23THRUST_200600_302600_NS10device_ptrIiEESB_SB_iNS9_4plusIvEENS9_8equal_toIvEEiEE10hipError_tPvRmT2_T3_T4_T5_mT6_T7_P12ihipStream_tbENKUlT_T0_E_clISt17integral_constantIbLb1EESV_IbLb0EEEEDaSR_SS_EUlSR_E_NS1_11comp_targetILNS1_3genE2ELNS1_11target_archE906ELNS1_3gpuE6ELNS1_3repE0EEENS1_30default_config_static_selectorELNS0_4arch9wavefront6targetE0EEEvT1_.has_indirect_call, 0
	.section	.AMDGPU.csdata,"",@progbits
; Kernel info:
; codeLenInByte = 0
; TotalNumSgprs: 0
; NumVgprs: 0
; ScratchSize: 0
; MemoryBound: 0
; FloatMode: 240
; IeeeMode: 1
; LDSByteSize: 0 bytes/workgroup (compile time only)
; SGPRBlocks: 0
; VGPRBlocks: 0
; NumSGPRsForWavesPerEU: 1
; NumVGPRsForWavesPerEU: 1
; Occupancy: 16
; WaveLimiterHint : 0
; COMPUTE_PGM_RSRC2:SCRATCH_EN: 0
; COMPUTE_PGM_RSRC2:USER_SGPR: 6
; COMPUTE_PGM_RSRC2:TRAP_HANDLER: 0
; COMPUTE_PGM_RSRC2:TGID_X_EN: 1
; COMPUTE_PGM_RSRC2:TGID_Y_EN: 0
; COMPUTE_PGM_RSRC2:TGID_Z_EN: 0
; COMPUTE_PGM_RSRC2:TIDIG_COMP_CNT: 0
	.section	.text._ZN7rocprim17ROCPRIM_400000_NS6detail17trampoline_kernelINS0_14default_configENS1_27scan_by_key_config_selectorIiiEEZZNS1_16scan_by_key_implILNS1_25lookback_scan_determinismE0ELb0ES3_N6thrust23THRUST_200600_302600_NS10device_ptrIiEESB_SB_iNS9_4plusIvEENS9_8equal_toIvEEiEE10hipError_tPvRmT2_T3_T4_T5_mT6_T7_P12ihipStream_tbENKUlT_T0_E_clISt17integral_constantIbLb1EESV_IbLb0EEEEDaSR_SS_EUlSR_E_NS1_11comp_targetILNS1_3genE10ELNS1_11target_archE1200ELNS1_3gpuE4ELNS1_3repE0EEENS1_30default_config_static_selectorELNS0_4arch9wavefront6targetE0EEEvT1_,"axG",@progbits,_ZN7rocprim17ROCPRIM_400000_NS6detail17trampoline_kernelINS0_14default_configENS1_27scan_by_key_config_selectorIiiEEZZNS1_16scan_by_key_implILNS1_25lookback_scan_determinismE0ELb0ES3_N6thrust23THRUST_200600_302600_NS10device_ptrIiEESB_SB_iNS9_4plusIvEENS9_8equal_toIvEEiEE10hipError_tPvRmT2_T3_T4_T5_mT6_T7_P12ihipStream_tbENKUlT_T0_E_clISt17integral_constantIbLb1EESV_IbLb0EEEEDaSR_SS_EUlSR_E_NS1_11comp_targetILNS1_3genE10ELNS1_11target_archE1200ELNS1_3gpuE4ELNS1_3repE0EEENS1_30default_config_static_selectorELNS0_4arch9wavefront6targetE0EEEvT1_,comdat
	.protected	_ZN7rocprim17ROCPRIM_400000_NS6detail17trampoline_kernelINS0_14default_configENS1_27scan_by_key_config_selectorIiiEEZZNS1_16scan_by_key_implILNS1_25lookback_scan_determinismE0ELb0ES3_N6thrust23THRUST_200600_302600_NS10device_ptrIiEESB_SB_iNS9_4plusIvEENS9_8equal_toIvEEiEE10hipError_tPvRmT2_T3_T4_T5_mT6_T7_P12ihipStream_tbENKUlT_T0_E_clISt17integral_constantIbLb1EESV_IbLb0EEEEDaSR_SS_EUlSR_E_NS1_11comp_targetILNS1_3genE10ELNS1_11target_archE1200ELNS1_3gpuE4ELNS1_3repE0EEENS1_30default_config_static_selectorELNS0_4arch9wavefront6targetE0EEEvT1_ ; -- Begin function _ZN7rocprim17ROCPRIM_400000_NS6detail17trampoline_kernelINS0_14default_configENS1_27scan_by_key_config_selectorIiiEEZZNS1_16scan_by_key_implILNS1_25lookback_scan_determinismE0ELb0ES3_N6thrust23THRUST_200600_302600_NS10device_ptrIiEESB_SB_iNS9_4plusIvEENS9_8equal_toIvEEiEE10hipError_tPvRmT2_T3_T4_T5_mT6_T7_P12ihipStream_tbENKUlT_T0_E_clISt17integral_constantIbLb1EESV_IbLb0EEEEDaSR_SS_EUlSR_E_NS1_11comp_targetILNS1_3genE10ELNS1_11target_archE1200ELNS1_3gpuE4ELNS1_3repE0EEENS1_30default_config_static_selectorELNS0_4arch9wavefront6targetE0EEEvT1_
	.globl	_ZN7rocprim17ROCPRIM_400000_NS6detail17trampoline_kernelINS0_14default_configENS1_27scan_by_key_config_selectorIiiEEZZNS1_16scan_by_key_implILNS1_25lookback_scan_determinismE0ELb0ES3_N6thrust23THRUST_200600_302600_NS10device_ptrIiEESB_SB_iNS9_4plusIvEENS9_8equal_toIvEEiEE10hipError_tPvRmT2_T3_T4_T5_mT6_T7_P12ihipStream_tbENKUlT_T0_E_clISt17integral_constantIbLb1EESV_IbLb0EEEEDaSR_SS_EUlSR_E_NS1_11comp_targetILNS1_3genE10ELNS1_11target_archE1200ELNS1_3gpuE4ELNS1_3repE0EEENS1_30default_config_static_selectorELNS0_4arch9wavefront6targetE0EEEvT1_
	.p2align	8
	.type	_ZN7rocprim17ROCPRIM_400000_NS6detail17trampoline_kernelINS0_14default_configENS1_27scan_by_key_config_selectorIiiEEZZNS1_16scan_by_key_implILNS1_25lookback_scan_determinismE0ELb0ES3_N6thrust23THRUST_200600_302600_NS10device_ptrIiEESB_SB_iNS9_4plusIvEENS9_8equal_toIvEEiEE10hipError_tPvRmT2_T3_T4_T5_mT6_T7_P12ihipStream_tbENKUlT_T0_E_clISt17integral_constantIbLb1EESV_IbLb0EEEEDaSR_SS_EUlSR_E_NS1_11comp_targetILNS1_3genE10ELNS1_11target_archE1200ELNS1_3gpuE4ELNS1_3repE0EEENS1_30default_config_static_selectorELNS0_4arch9wavefront6targetE0EEEvT1_,@function
_ZN7rocprim17ROCPRIM_400000_NS6detail17trampoline_kernelINS0_14default_configENS1_27scan_by_key_config_selectorIiiEEZZNS1_16scan_by_key_implILNS1_25lookback_scan_determinismE0ELb0ES3_N6thrust23THRUST_200600_302600_NS10device_ptrIiEESB_SB_iNS9_4plusIvEENS9_8equal_toIvEEiEE10hipError_tPvRmT2_T3_T4_T5_mT6_T7_P12ihipStream_tbENKUlT_T0_E_clISt17integral_constantIbLb1EESV_IbLb0EEEEDaSR_SS_EUlSR_E_NS1_11comp_targetILNS1_3genE10ELNS1_11target_archE1200ELNS1_3gpuE4ELNS1_3repE0EEENS1_30default_config_static_selectorELNS0_4arch9wavefront6targetE0EEEvT1_: ; @_ZN7rocprim17ROCPRIM_400000_NS6detail17trampoline_kernelINS0_14default_configENS1_27scan_by_key_config_selectorIiiEEZZNS1_16scan_by_key_implILNS1_25lookback_scan_determinismE0ELb0ES3_N6thrust23THRUST_200600_302600_NS10device_ptrIiEESB_SB_iNS9_4plusIvEENS9_8equal_toIvEEiEE10hipError_tPvRmT2_T3_T4_T5_mT6_T7_P12ihipStream_tbENKUlT_T0_E_clISt17integral_constantIbLb1EESV_IbLb0EEEEDaSR_SS_EUlSR_E_NS1_11comp_targetILNS1_3genE10ELNS1_11target_archE1200ELNS1_3gpuE4ELNS1_3repE0EEENS1_30default_config_static_selectorELNS0_4arch9wavefront6targetE0EEEvT1_
; %bb.0:
	.section	.rodata,"a",@progbits
	.p2align	6, 0x0
	.amdhsa_kernel _ZN7rocprim17ROCPRIM_400000_NS6detail17trampoline_kernelINS0_14default_configENS1_27scan_by_key_config_selectorIiiEEZZNS1_16scan_by_key_implILNS1_25lookback_scan_determinismE0ELb0ES3_N6thrust23THRUST_200600_302600_NS10device_ptrIiEESB_SB_iNS9_4plusIvEENS9_8equal_toIvEEiEE10hipError_tPvRmT2_T3_T4_T5_mT6_T7_P12ihipStream_tbENKUlT_T0_E_clISt17integral_constantIbLb1EESV_IbLb0EEEEDaSR_SS_EUlSR_E_NS1_11comp_targetILNS1_3genE10ELNS1_11target_archE1200ELNS1_3gpuE4ELNS1_3repE0EEENS1_30default_config_static_selectorELNS0_4arch9wavefront6targetE0EEEvT1_
		.amdhsa_group_segment_fixed_size 0
		.amdhsa_private_segment_fixed_size 0
		.amdhsa_kernarg_size 112
		.amdhsa_user_sgpr_count 6
		.amdhsa_user_sgpr_private_segment_buffer 1
		.amdhsa_user_sgpr_dispatch_ptr 0
		.amdhsa_user_sgpr_queue_ptr 0
		.amdhsa_user_sgpr_kernarg_segment_ptr 1
		.amdhsa_user_sgpr_dispatch_id 0
		.amdhsa_user_sgpr_flat_scratch_init 0
		.amdhsa_user_sgpr_private_segment_size 0
		.amdhsa_wavefront_size32 1
		.amdhsa_uses_dynamic_stack 0
		.amdhsa_system_sgpr_private_segment_wavefront_offset 0
		.amdhsa_system_sgpr_workgroup_id_x 1
		.amdhsa_system_sgpr_workgroup_id_y 0
		.amdhsa_system_sgpr_workgroup_id_z 0
		.amdhsa_system_sgpr_workgroup_info 0
		.amdhsa_system_vgpr_workitem_id 0
		.amdhsa_next_free_vgpr 1
		.amdhsa_next_free_sgpr 1
		.amdhsa_reserve_vcc 0
		.amdhsa_reserve_flat_scratch 0
		.amdhsa_float_round_mode_32 0
		.amdhsa_float_round_mode_16_64 0
		.amdhsa_float_denorm_mode_32 3
		.amdhsa_float_denorm_mode_16_64 3
		.amdhsa_dx10_clamp 1
		.amdhsa_ieee_mode 1
		.amdhsa_fp16_overflow 0
		.amdhsa_workgroup_processor_mode 1
		.amdhsa_memory_ordered 1
		.amdhsa_forward_progress 1
		.amdhsa_shared_vgpr_count 0
		.amdhsa_exception_fp_ieee_invalid_op 0
		.amdhsa_exception_fp_denorm_src 0
		.amdhsa_exception_fp_ieee_div_zero 0
		.amdhsa_exception_fp_ieee_overflow 0
		.amdhsa_exception_fp_ieee_underflow 0
		.amdhsa_exception_fp_ieee_inexact 0
		.amdhsa_exception_int_div_zero 0
	.end_amdhsa_kernel
	.section	.text._ZN7rocprim17ROCPRIM_400000_NS6detail17trampoline_kernelINS0_14default_configENS1_27scan_by_key_config_selectorIiiEEZZNS1_16scan_by_key_implILNS1_25lookback_scan_determinismE0ELb0ES3_N6thrust23THRUST_200600_302600_NS10device_ptrIiEESB_SB_iNS9_4plusIvEENS9_8equal_toIvEEiEE10hipError_tPvRmT2_T3_T4_T5_mT6_T7_P12ihipStream_tbENKUlT_T0_E_clISt17integral_constantIbLb1EESV_IbLb0EEEEDaSR_SS_EUlSR_E_NS1_11comp_targetILNS1_3genE10ELNS1_11target_archE1200ELNS1_3gpuE4ELNS1_3repE0EEENS1_30default_config_static_selectorELNS0_4arch9wavefront6targetE0EEEvT1_,"axG",@progbits,_ZN7rocprim17ROCPRIM_400000_NS6detail17trampoline_kernelINS0_14default_configENS1_27scan_by_key_config_selectorIiiEEZZNS1_16scan_by_key_implILNS1_25lookback_scan_determinismE0ELb0ES3_N6thrust23THRUST_200600_302600_NS10device_ptrIiEESB_SB_iNS9_4plusIvEENS9_8equal_toIvEEiEE10hipError_tPvRmT2_T3_T4_T5_mT6_T7_P12ihipStream_tbENKUlT_T0_E_clISt17integral_constantIbLb1EESV_IbLb0EEEEDaSR_SS_EUlSR_E_NS1_11comp_targetILNS1_3genE10ELNS1_11target_archE1200ELNS1_3gpuE4ELNS1_3repE0EEENS1_30default_config_static_selectorELNS0_4arch9wavefront6targetE0EEEvT1_,comdat
.Lfunc_end2220:
	.size	_ZN7rocprim17ROCPRIM_400000_NS6detail17trampoline_kernelINS0_14default_configENS1_27scan_by_key_config_selectorIiiEEZZNS1_16scan_by_key_implILNS1_25lookback_scan_determinismE0ELb0ES3_N6thrust23THRUST_200600_302600_NS10device_ptrIiEESB_SB_iNS9_4plusIvEENS9_8equal_toIvEEiEE10hipError_tPvRmT2_T3_T4_T5_mT6_T7_P12ihipStream_tbENKUlT_T0_E_clISt17integral_constantIbLb1EESV_IbLb0EEEEDaSR_SS_EUlSR_E_NS1_11comp_targetILNS1_3genE10ELNS1_11target_archE1200ELNS1_3gpuE4ELNS1_3repE0EEENS1_30default_config_static_selectorELNS0_4arch9wavefront6targetE0EEEvT1_, .Lfunc_end2220-_ZN7rocprim17ROCPRIM_400000_NS6detail17trampoline_kernelINS0_14default_configENS1_27scan_by_key_config_selectorIiiEEZZNS1_16scan_by_key_implILNS1_25lookback_scan_determinismE0ELb0ES3_N6thrust23THRUST_200600_302600_NS10device_ptrIiEESB_SB_iNS9_4plusIvEENS9_8equal_toIvEEiEE10hipError_tPvRmT2_T3_T4_T5_mT6_T7_P12ihipStream_tbENKUlT_T0_E_clISt17integral_constantIbLb1EESV_IbLb0EEEEDaSR_SS_EUlSR_E_NS1_11comp_targetILNS1_3genE10ELNS1_11target_archE1200ELNS1_3gpuE4ELNS1_3repE0EEENS1_30default_config_static_selectorELNS0_4arch9wavefront6targetE0EEEvT1_
                                        ; -- End function
	.set _ZN7rocprim17ROCPRIM_400000_NS6detail17trampoline_kernelINS0_14default_configENS1_27scan_by_key_config_selectorIiiEEZZNS1_16scan_by_key_implILNS1_25lookback_scan_determinismE0ELb0ES3_N6thrust23THRUST_200600_302600_NS10device_ptrIiEESB_SB_iNS9_4plusIvEENS9_8equal_toIvEEiEE10hipError_tPvRmT2_T3_T4_T5_mT6_T7_P12ihipStream_tbENKUlT_T0_E_clISt17integral_constantIbLb1EESV_IbLb0EEEEDaSR_SS_EUlSR_E_NS1_11comp_targetILNS1_3genE10ELNS1_11target_archE1200ELNS1_3gpuE4ELNS1_3repE0EEENS1_30default_config_static_selectorELNS0_4arch9wavefront6targetE0EEEvT1_.num_vgpr, 0
	.set _ZN7rocprim17ROCPRIM_400000_NS6detail17trampoline_kernelINS0_14default_configENS1_27scan_by_key_config_selectorIiiEEZZNS1_16scan_by_key_implILNS1_25lookback_scan_determinismE0ELb0ES3_N6thrust23THRUST_200600_302600_NS10device_ptrIiEESB_SB_iNS9_4plusIvEENS9_8equal_toIvEEiEE10hipError_tPvRmT2_T3_T4_T5_mT6_T7_P12ihipStream_tbENKUlT_T0_E_clISt17integral_constantIbLb1EESV_IbLb0EEEEDaSR_SS_EUlSR_E_NS1_11comp_targetILNS1_3genE10ELNS1_11target_archE1200ELNS1_3gpuE4ELNS1_3repE0EEENS1_30default_config_static_selectorELNS0_4arch9wavefront6targetE0EEEvT1_.num_agpr, 0
	.set _ZN7rocprim17ROCPRIM_400000_NS6detail17trampoline_kernelINS0_14default_configENS1_27scan_by_key_config_selectorIiiEEZZNS1_16scan_by_key_implILNS1_25lookback_scan_determinismE0ELb0ES3_N6thrust23THRUST_200600_302600_NS10device_ptrIiEESB_SB_iNS9_4plusIvEENS9_8equal_toIvEEiEE10hipError_tPvRmT2_T3_T4_T5_mT6_T7_P12ihipStream_tbENKUlT_T0_E_clISt17integral_constantIbLb1EESV_IbLb0EEEEDaSR_SS_EUlSR_E_NS1_11comp_targetILNS1_3genE10ELNS1_11target_archE1200ELNS1_3gpuE4ELNS1_3repE0EEENS1_30default_config_static_selectorELNS0_4arch9wavefront6targetE0EEEvT1_.numbered_sgpr, 0
	.set _ZN7rocprim17ROCPRIM_400000_NS6detail17trampoline_kernelINS0_14default_configENS1_27scan_by_key_config_selectorIiiEEZZNS1_16scan_by_key_implILNS1_25lookback_scan_determinismE0ELb0ES3_N6thrust23THRUST_200600_302600_NS10device_ptrIiEESB_SB_iNS9_4plusIvEENS9_8equal_toIvEEiEE10hipError_tPvRmT2_T3_T4_T5_mT6_T7_P12ihipStream_tbENKUlT_T0_E_clISt17integral_constantIbLb1EESV_IbLb0EEEEDaSR_SS_EUlSR_E_NS1_11comp_targetILNS1_3genE10ELNS1_11target_archE1200ELNS1_3gpuE4ELNS1_3repE0EEENS1_30default_config_static_selectorELNS0_4arch9wavefront6targetE0EEEvT1_.num_named_barrier, 0
	.set _ZN7rocprim17ROCPRIM_400000_NS6detail17trampoline_kernelINS0_14default_configENS1_27scan_by_key_config_selectorIiiEEZZNS1_16scan_by_key_implILNS1_25lookback_scan_determinismE0ELb0ES3_N6thrust23THRUST_200600_302600_NS10device_ptrIiEESB_SB_iNS9_4plusIvEENS9_8equal_toIvEEiEE10hipError_tPvRmT2_T3_T4_T5_mT6_T7_P12ihipStream_tbENKUlT_T0_E_clISt17integral_constantIbLb1EESV_IbLb0EEEEDaSR_SS_EUlSR_E_NS1_11comp_targetILNS1_3genE10ELNS1_11target_archE1200ELNS1_3gpuE4ELNS1_3repE0EEENS1_30default_config_static_selectorELNS0_4arch9wavefront6targetE0EEEvT1_.private_seg_size, 0
	.set _ZN7rocprim17ROCPRIM_400000_NS6detail17trampoline_kernelINS0_14default_configENS1_27scan_by_key_config_selectorIiiEEZZNS1_16scan_by_key_implILNS1_25lookback_scan_determinismE0ELb0ES3_N6thrust23THRUST_200600_302600_NS10device_ptrIiEESB_SB_iNS9_4plusIvEENS9_8equal_toIvEEiEE10hipError_tPvRmT2_T3_T4_T5_mT6_T7_P12ihipStream_tbENKUlT_T0_E_clISt17integral_constantIbLb1EESV_IbLb0EEEEDaSR_SS_EUlSR_E_NS1_11comp_targetILNS1_3genE10ELNS1_11target_archE1200ELNS1_3gpuE4ELNS1_3repE0EEENS1_30default_config_static_selectorELNS0_4arch9wavefront6targetE0EEEvT1_.uses_vcc, 0
	.set _ZN7rocprim17ROCPRIM_400000_NS6detail17trampoline_kernelINS0_14default_configENS1_27scan_by_key_config_selectorIiiEEZZNS1_16scan_by_key_implILNS1_25lookback_scan_determinismE0ELb0ES3_N6thrust23THRUST_200600_302600_NS10device_ptrIiEESB_SB_iNS9_4plusIvEENS9_8equal_toIvEEiEE10hipError_tPvRmT2_T3_T4_T5_mT6_T7_P12ihipStream_tbENKUlT_T0_E_clISt17integral_constantIbLb1EESV_IbLb0EEEEDaSR_SS_EUlSR_E_NS1_11comp_targetILNS1_3genE10ELNS1_11target_archE1200ELNS1_3gpuE4ELNS1_3repE0EEENS1_30default_config_static_selectorELNS0_4arch9wavefront6targetE0EEEvT1_.uses_flat_scratch, 0
	.set _ZN7rocprim17ROCPRIM_400000_NS6detail17trampoline_kernelINS0_14default_configENS1_27scan_by_key_config_selectorIiiEEZZNS1_16scan_by_key_implILNS1_25lookback_scan_determinismE0ELb0ES3_N6thrust23THRUST_200600_302600_NS10device_ptrIiEESB_SB_iNS9_4plusIvEENS9_8equal_toIvEEiEE10hipError_tPvRmT2_T3_T4_T5_mT6_T7_P12ihipStream_tbENKUlT_T0_E_clISt17integral_constantIbLb1EESV_IbLb0EEEEDaSR_SS_EUlSR_E_NS1_11comp_targetILNS1_3genE10ELNS1_11target_archE1200ELNS1_3gpuE4ELNS1_3repE0EEENS1_30default_config_static_selectorELNS0_4arch9wavefront6targetE0EEEvT1_.has_dyn_sized_stack, 0
	.set _ZN7rocprim17ROCPRIM_400000_NS6detail17trampoline_kernelINS0_14default_configENS1_27scan_by_key_config_selectorIiiEEZZNS1_16scan_by_key_implILNS1_25lookback_scan_determinismE0ELb0ES3_N6thrust23THRUST_200600_302600_NS10device_ptrIiEESB_SB_iNS9_4plusIvEENS9_8equal_toIvEEiEE10hipError_tPvRmT2_T3_T4_T5_mT6_T7_P12ihipStream_tbENKUlT_T0_E_clISt17integral_constantIbLb1EESV_IbLb0EEEEDaSR_SS_EUlSR_E_NS1_11comp_targetILNS1_3genE10ELNS1_11target_archE1200ELNS1_3gpuE4ELNS1_3repE0EEENS1_30default_config_static_selectorELNS0_4arch9wavefront6targetE0EEEvT1_.has_recursion, 0
	.set _ZN7rocprim17ROCPRIM_400000_NS6detail17trampoline_kernelINS0_14default_configENS1_27scan_by_key_config_selectorIiiEEZZNS1_16scan_by_key_implILNS1_25lookback_scan_determinismE0ELb0ES3_N6thrust23THRUST_200600_302600_NS10device_ptrIiEESB_SB_iNS9_4plusIvEENS9_8equal_toIvEEiEE10hipError_tPvRmT2_T3_T4_T5_mT6_T7_P12ihipStream_tbENKUlT_T0_E_clISt17integral_constantIbLb1EESV_IbLb0EEEEDaSR_SS_EUlSR_E_NS1_11comp_targetILNS1_3genE10ELNS1_11target_archE1200ELNS1_3gpuE4ELNS1_3repE0EEENS1_30default_config_static_selectorELNS0_4arch9wavefront6targetE0EEEvT1_.has_indirect_call, 0
	.section	.AMDGPU.csdata,"",@progbits
; Kernel info:
; codeLenInByte = 0
; TotalNumSgprs: 0
; NumVgprs: 0
; ScratchSize: 0
; MemoryBound: 0
; FloatMode: 240
; IeeeMode: 1
; LDSByteSize: 0 bytes/workgroup (compile time only)
; SGPRBlocks: 0
; VGPRBlocks: 0
; NumSGPRsForWavesPerEU: 1
; NumVGPRsForWavesPerEU: 1
; Occupancy: 16
; WaveLimiterHint : 0
; COMPUTE_PGM_RSRC2:SCRATCH_EN: 0
; COMPUTE_PGM_RSRC2:USER_SGPR: 6
; COMPUTE_PGM_RSRC2:TRAP_HANDLER: 0
; COMPUTE_PGM_RSRC2:TGID_X_EN: 1
; COMPUTE_PGM_RSRC2:TGID_Y_EN: 0
; COMPUTE_PGM_RSRC2:TGID_Z_EN: 0
; COMPUTE_PGM_RSRC2:TIDIG_COMP_CNT: 0
	.section	.text._ZN7rocprim17ROCPRIM_400000_NS6detail17trampoline_kernelINS0_14default_configENS1_27scan_by_key_config_selectorIiiEEZZNS1_16scan_by_key_implILNS1_25lookback_scan_determinismE0ELb0ES3_N6thrust23THRUST_200600_302600_NS10device_ptrIiEESB_SB_iNS9_4plusIvEENS9_8equal_toIvEEiEE10hipError_tPvRmT2_T3_T4_T5_mT6_T7_P12ihipStream_tbENKUlT_T0_E_clISt17integral_constantIbLb1EESV_IbLb0EEEEDaSR_SS_EUlSR_E_NS1_11comp_targetILNS1_3genE9ELNS1_11target_archE1100ELNS1_3gpuE3ELNS1_3repE0EEENS1_30default_config_static_selectorELNS0_4arch9wavefront6targetE0EEEvT1_,"axG",@progbits,_ZN7rocprim17ROCPRIM_400000_NS6detail17trampoline_kernelINS0_14default_configENS1_27scan_by_key_config_selectorIiiEEZZNS1_16scan_by_key_implILNS1_25lookback_scan_determinismE0ELb0ES3_N6thrust23THRUST_200600_302600_NS10device_ptrIiEESB_SB_iNS9_4plusIvEENS9_8equal_toIvEEiEE10hipError_tPvRmT2_T3_T4_T5_mT6_T7_P12ihipStream_tbENKUlT_T0_E_clISt17integral_constantIbLb1EESV_IbLb0EEEEDaSR_SS_EUlSR_E_NS1_11comp_targetILNS1_3genE9ELNS1_11target_archE1100ELNS1_3gpuE3ELNS1_3repE0EEENS1_30default_config_static_selectorELNS0_4arch9wavefront6targetE0EEEvT1_,comdat
	.protected	_ZN7rocprim17ROCPRIM_400000_NS6detail17trampoline_kernelINS0_14default_configENS1_27scan_by_key_config_selectorIiiEEZZNS1_16scan_by_key_implILNS1_25lookback_scan_determinismE0ELb0ES3_N6thrust23THRUST_200600_302600_NS10device_ptrIiEESB_SB_iNS9_4plusIvEENS9_8equal_toIvEEiEE10hipError_tPvRmT2_T3_T4_T5_mT6_T7_P12ihipStream_tbENKUlT_T0_E_clISt17integral_constantIbLb1EESV_IbLb0EEEEDaSR_SS_EUlSR_E_NS1_11comp_targetILNS1_3genE9ELNS1_11target_archE1100ELNS1_3gpuE3ELNS1_3repE0EEENS1_30default_config_static_selectorELNS0_4arch9wavefront6targetE0EEEvT1_ ; -- Begin function _ZN7rocprim17ROCPRIM_400000_NS6detail17trampoline_kernelINS0_14default_configENS1_27scan_by_key_config_selectorIiiEEZZNS1_16scan_by_key_implILNS1_25lookback_scan_determinismE0ELb0ES3_N6thrust23THRUST_200600_302600_NS10device_ptrIiEESB_SB_iNS9_4plusIvEENS9_8equal_toIvEEiEE10hipError_tPvRmT2_T3_T4_T5_mT6_T7_P12ihipStream_tbENKUlT_T0_E_clISt17integral_constantIbLb1EESV_IbLb0EEEEDaSR_SS_EUlSR_E_NS1_11comp_targetILNS1_3genE9ELNS1_11target_archE1100ELNS1_3gpuE3ELNS1_3repE0EEENS1_30default_config_static_selectorELNS0_4arch9wavefront6targetE0EEEvT1_
	.globl	_ZN7rocprim17ROCPRIM_400000_NS6detail17trampoline_kernelINS0_14default_configENS1_27scan_by_key_config_selectorIiiEEZZNS1_16scan_by_key_implILNS1_25lookback_scan_determinismE0ELb0ES3_N6thrust23THRUST_200600_302600_NS10device_ptrIiEESB_SB_iNS9_4plusIvEENS9_8equal_toIvEEiEE10hipError_tPvRmT2_T3_T4_T5_mT6_T7_P12ihipStream_tbENKUlT_T0_E_clISt17integral_constantIbLb1EESV_IbLb0EEEEDaSR_SS_EUlSR_E_NS1_11comp_targetILNS1_3genE9ELNS1_11target_archE1100ELNS1_3gpuE3ELNS1_3repE0EEENS1_30default_config_static_selectorELNS0_4arch9wavefront6targetE0EEEvT1_
	.p2align	8
	.type	_ZN7rocprim17ROCPRIM_400000_NS6detail17trampoline_kernelINS0_14default_configENS1_27scan_by_key_config_selectorIiiEEZZNS1_16scan_by_key_implILNS1_25lookback_scan_determinismE0ELb0ES3_N6thrust23THRUST_200600_302600_NS10device_ptrIiEESB_SB_iNS9_4plusIvEENS9_8equal_toIvEEiEE10hipError_tPvRmT2_T3_T4_T5_mT6_T7_P12ihipStream_tbENKUlT_T0_E_clISt17integral_constantIbLb1EESV_IbLb0EEEEDaSR_SS_EUlSR_E_NS1_11comp_targetILNS1_3genE9ELNS1_11target_archE1100ELNS1_3gpuE3ELNS1_3repE0EEENS1_30default_config_static_selectorELNS0_4arch9wavefront6targetE0EEEvT1_,@function
_ZN7rocprim17ROCPRIM_400000_NS6detail17trampoline_kernelINS0_14default_configENS1_27scan_by_key_config_selectorIiiEEZZNS1_16scan_by_key_implILNS1_25lookback_scan_determinismE0ELb0ES3_N6thrust23THRUST_200600_302600_NS10device_ptrIiEESB_SB_iNS9_4plusIvEENS9_8equal_toIvEEiEE10hipError_tPvRmT2_T3_T4_T5_mT6_T7_P12ihipStream_tbENKUlT_T0_E_clISt17integral_constantIbLb1EESV_IbLb0EEEEDaSR_SS_EUlSR_E_NS1_11comp_targetILNS1_3genE9ELNS1_11target_archE1100ELNS1_3gpuE3ELNS1_3repE0EEENS1_30default_config_static_selectorELNS0_4arch9wavefront6targetE0EEEvT1_: ; @_ZN7rocprim17ROCPRIM_400000_NS6detail17trampoline_kernelINS0_14default_configENS1_27scan_by_key_config_selectorIiiEEZZNS1_16scan_by_key_implILNS1_25lookback_scan_determinismE0ELb0ES3_N6thrust23THRUST_200600_302600_NS10device_ptrIiEESB_SB_iNS9_4plusIvEENS9_8equal_toIvEEiEE10hipError_tPvRmT2_T3_T4_T5_mT6_T7_P12ihipStream_tbENKUlT_T0_E_clISt17integral_constantIbLb1EESV_IbLb0EEEEDaSR_SS_EUlSR_E_NS1_11comp_targetILNS1_3genE9ELNS1_11target_archE1100ELNS1_3gpuE3ELNS1_3repE0EEENS1_30default_config_static_selectorELNS0_4arch9wavefront6targetE0EEEvT1_
; %bb.0:
	.section	.rodata,"a",@progbits
	.p2align	6, 0x0
	.amdhsa_kernel _ZN7rocprim17ROCPRIM_400000_NS6detail17trampoline_kernelINS0_14default_configENS1_27scan_by_key_config_selectorIiiEEZZNS1_16scan_by_key_implILNS1_25lookback_scan_determinismE0ELb0ES3_N6thrust23THRUST_200600_302600_NS10device_ptrIiEESB_SB_iNS9_4plusIvEENS9_8equal_toIvEEiEE10hipError_tPvRmT2_T3_T4_T5_mT6_T7_P12ihipStream_tbENKUlT_T0_E_clISt17integral_constantIbLb1EESV_IbLb0EEEEDaSR_SS_EUlSR_E_NS1_11comp_targetILNS1_3genE9ELNS1_11target_archE1100ELNS1_3gpuE3ELNS1_3repE0EEENS1_30default_config_static_selectorELNS0_4arch9wavefront6targetE0EEEvT1_
		.amdhsa_group_segment_fixed_size 0
		.amdhsa_private_segment_fixed_size 0
		.amdhsa_kernarg_size 112
		.amdhsa_user_sgpr_count 6
		.amdhsa_user_sgpr_private_segment_buffer 1
		.amdhsa_user_sgpr_dispatch_ptr 0
		.amdhsa_user_sgpr_queue_ptr 0
		.amdhsa_user_sgpr_kernarg_segment_ptr 1
		.amdhsa_user_sgpr_dispatch_id 0
		.amdhsa_user_sgpr_flat_scratch_init 0
		.amdhsa_user_sgpr_private_segment_size 0
		.amdhsa_wavefront_size32 1
		.amdhsa_uses_dynamic_stack 0
		.amdhsa_system_sgpr_private_segment_wavefront_offset 0
		.amdhsa_system_sgpr_workgroup_id_x 1
		.amdhsa_system_sgpr_workgroup_id_y 0
		.amdhsa_system_sgpr_workgroup_id_z 0
		.amdhsa_system_sgpr_workgroup_info 0
		.amdhsa_system_vgpr_workitem_id 0
		.amdhsa_next_free_vgpr 1
		.amdhsa_next_free_sgpr 1
		.amdhsa_reserve_vcc 0
		.amdhsa_reserve_flat_scratch 0
		.amdhsa_float_round_mode_32 0
		.amdhsa_float_round_mode_16_64 0
		.amdhsa_float_denorm_mode_32 3
		.amdhsa_float_denorm_mode_16_64 3
		.amdhsa_dx10_clamp 1
		.amdhsa_ieee_mode 1
		.amdhsa_fp16_overflow 0
		.amdhsa_workgroup_processor_mode 1
		.amdhsa_memory_ordered 1
		.amdhsa_forward_progress 1
		.amdhsa_shared_vgpr_count 0
		.amdhsa_exception_fp_ieee_invalid_op 0
		.amdhsa_exception_fp_denorm_src 0
		.amdhsa_exception_fp_ieee_div_zero 0
		.amdhsa_exception_fp_ieee_overflow 0
		.amdhsa_exception_fp_ieee_underflow 0
		.amdhsa_exception_fp_ieee_inexact 0
		.amdhsa_exception_int_div_zero 0
	.end_amdhsa_kernel
	.section	.text._ZN7rocprim17ROCPRIM_400000_NS6detail17trampoline_kernelINS0_14default_configENS1_27scan_by_key_config_selectorIiiEEZZNS1_16scan_by_key_implILNS1_25lookback_scan_determinismE0ELb0ES3_N6thrust23THRUST_200600_302600_NS10device_ptrIiEESB_SB_iNS9_4plusIvEENS9_8equal_toIvEEiEE10hipError_tPvRmT2_T3_T4_T5_mT6_T7_P12ihipStream_tbENKUlT_T0_E_clISt17integral_constantIbLb1EESV_IbLb0EEEEDaSR_SS_EUlSR_E_NS1_11comp_targetILNS1_3genE9ELNS1_11target_archE1100ELNS1_3gpuE3ELNS1_3repE0EEENS1_30default_config_static_selectorELNS0_4arch9wavefront6targetE0EEEvT1_,"axG",@progbits,_ZN7rocprim17ROCPRIM_400000_NS6detail17trampoline_kernelINS0_14default_configENS1_27scan_by_key_config_selectorIiiEEZZNS1_16scan_by_key_implILNS1_25lookback_scan_determinismE0ELb0ES3_N6thrust23THRUST_200600_302600_NS10device_ptrIiEESB_SB_iNS9_4plusIvEENS9_8equal_toIvEEiEE10hipError_tPvRmT2_T3_T4_T5_mT6_T7_P12ihipStream_tbENKUlT_T0_E_clISt17integral_constantIbLb1EESV_IbLb0EEEEDaSR_SS_EUlSR_E_NS1_11comp_targetILNS1_3genE9ELNS1_11target_archE1100ELNS1_3gpuE3ELNS1_3repE0EEENS1_30default_config_static_selectorELNS0_4arch9wavefront6targetE0EEEvT1_,comdat
.Lfunc_end2221:
	.size	_ZN7rocprim17ROCPRIM_400000_NS6detail17trampoline_kernelINS0_14default_configENS1_27scan_by_key_config_selectorIiiEEZZNS1_16scan_by_key_implILNS1_25lookback_scan_determinismE0ELb0ES3_N6thrust23THRUST_200600_302600_NS10device_ptrIiEESB_SB_iNS9_4plusIvEENS9_8equal_toIvEEiEE10hipError_tPvRmT2_T3_T4_T5_mT6_T7_P12ihipStream_tbENKUlT_T0_E_clISt17integral_constantIbLb1EESV_IbLb0EEEEDaSR_SS_EUlSR_E_NS1_11comp_targetILNS1_3genE9ELNS1_11target_archE1100ELNS1_3gpuE3ELNS1_3repE0EEENS1_30default_config_static_selectorELNS0_4arch9wavefront6targetE0EEEvT1_, .Lfunc_end2221-_ZN7rocprim17ROCPRIM_400000_NS6detail17trampoline_kernelINS0_14default_configENS1_27scan_by_key_config_selectorIiiEEZZNS1_16scan_by_key_implILNS1_25lookback_scan_determinismE0ELb0ES3_N6thrust23THRUST_200600_302600_NS10device_ptrIiEESB_SB_iNS9_4plusIvEENS9_8equal_toIvEEiEE10hipError_tPvRmT2_T3_T4_T5_mT6_T7_P12ihipStream_tbENKUlT_T0_E_clISt17integral_constantIbLb1EESV_IbLb0EEEEDaSR_SS_EUlSR_E_NS1_11comp_targetILNS1_3genE9ELNS1_11target_archE1100ELNS1_3gpuE3ELNS1_3repE0EEENS1_30default_config_static_selectorELNS0_4arch9wavefront6targetE0EEEvT1_
                                        ; -- End function
	.set _ZN7rocprim17ROCPRIM_400000_NS6detail17trampoline_kernelINS0_14default_configENS1_27scan_by_key_config_selectorIiiEEZZNS1_16scan_by_key_implILNS1_25lookback_scan_determinismE0ELb0ES3_N6thrust23THRUST_200600_302600_NS10device_ptrIiEESB_SB_iNS9_4plusIvEENS9_8equal_toIvEEiEE10hipError_tPvRmT2_T3_T4_T5_mT6_T7_P12ihipStream_tbENKUlT_T0_E_clISt17integral_constantIbLb1EESV_IbLb0EEEEDaSR_SS_EUlSR_E_NS1_11comp_targetILNS1_3genE9ELNS1_11target_archE1100ELNS1_3gpuE3ELNS1_3repE0EEENS1_30default_config_static_selectorELNS0_4arch9wavefront6targetE0EEEvT1_.num_vgpr, 0
	.set _ZN7rocprim17ROCPRIM_400000_NS6detail17trampoline_kernelINS0_14default_configENS1_27scan_by_key_config_selectorIiiEEZZNS1_16scan_by_key_implILNS1_25lookback_scan_determinismE0ELb0ES3_N6thrust23THRUST_200600_302600_NS10device_ptrIiEESB_SB_iNS9_4plusIvEENS9_8equal_toIvEEiEE10hipError_tPvRmT2_T3_T4_T5_mT6_T7_P12ihipStream_tbENKUlT_T0_E_clISt17integral_constantIbLb1EESV_IbLb0EEEEDaSR_SS_EUlSR_E_NS1_11comp_targetILNS1_3genE9ELNS1_11target_archE1100ELNS1_3gpuE3ELNS1_3repE0EEENS1_30default_config_static_selectorELNS0_4arch9wavefront6targetE0EEEvT1_.num_agpr, 0
	.set _ZN7rocprim17ROCPRIM_400000_NS6detail17trampoline_kernelINS0_14default_configENS1_27scan_by_key_config_selectorIiiEEZZNS1_16scan_by_key_implILNS1_25lookback_scan_determinismE0ELb0ES3_N6thrust23THRUST_200600_302600_NS10device_ptrIiEESB_SB_iNS9_4plusIvEENS9_8equal_toIvEEiEE10hipError_tPvRmT2_T3_T4_T5_mT6_T7_P12ihipStream_tbENKUlT_T0_E_clISt17integral_constantIbLb1EESV_IbLb0EEEEDaSR_SS_EUlSR_E_NS1_11comp_targetILNS1_3genE9ELNS1_11target_archE1100ELNS1_3gpuE3ELNS1_3repE0EEENS1_30default_config_static_selectorELNS0_4arch9wavefront6targetE0EEEvT1_.numbered_sgpr, 0
	.set _ZN7rocprim17ROCPRIM_400000_NS6detail17trampoline_kernelINS0_14default_configENS1_27scan_by_key_config_selectorIiiEEZZNS1_16scan_by_key_implILNS1_25lookback_scan_determinismE0ELb0ES3_N6thrust23THRUST_200600_302600_NS10device_ptrIiEESB_SB_iNS9_4plusIvEENS9_8equal_toIvEEiEE10hipError_tPvRmT2_T3_T4_T5_mT6_T7_P12ihipStream_tbENKUlT_T0_E_clISt17integral_constantIbLb1EESV_IbLb0EEEEDaSR_SS_EUlSR_E_NS1_11comp_targetILNS1_3genE9ELNS1_11target_archE1100ELNS1_3gpuE3ELNS1_3repE0EEENS1_30default_config_static_selectorELNS0_4arch9wavefront6targetE0EEEvT1_.num_named_barrier, 0
	.set _ZN7rocprim17ROCPRIM_400000_NS6detail17trampoline_kernelINS0_14default_configENS1_27scan_by_key_config_selectorIiiEEZZNS1_16scan_by_key_implILNS1_25lookback_scan_determinismE0ELb0ES3_N6thrust23THRUST_200600_302600_NS10device_ptrIiEESB_SB_iNS9_4plusIvEENS9_8equal_toIvEEiEE10hipError_tPvRmT2_T3_T4_T5_mT6_T7_P12ihipStream_tbENKUlT_T0_E_clISt17integral_constantIbLb1EESV_IbLb0EEEEDaSR_SS_EUlSR_E_NS1_11comp_targetILNS1_3genE9ELNS1_11target_archE1100ELNS1_3gpuE3ELNS1_3repE0EEENS1_30default_config_static_selectorELNS0_4arch9wavefront6targetE0EEEvT1_.private_seg_size, 0
	.set _ZN7rocprim17ROCPRIM_400000_NS6detail17trampoline_kernelINS0_14default_configENS1_27scan_by_key_config_selectorIiiEEZZNS1_16scan_by_key_implILNS1_25lookback_scan_determinismE0ELb0ES3_N6thrust23THRUST_200600_302600_NS10device_ptrIiEESB_SB_iNS9_4plusIvEENS9_8equal_toIvEEiEE10hipError_tPvRmT2_T3_T4_T5_mT6_T7_P12ihipStream_tbENKUlT_T0_E_clISt17integral_constantIbLb1EESV_IbLb0EEEEDaSR_SS_EUlSR_E_NS1_11comp_targetILNS1_3genE9ELNS1_11target_archE1100ELNS1_3gpuE3ELNS1_3repE0EEENS1_30default_config_static_selectorELNS0_4arch9wavefront6targetE0EEEvT1_.uses_vcc, 0
	.set _ZN7rocprim17ROCPRIM_400000_NS6detail17trampoline_kernelINS0_14default_configENS1_27scan_by_key_config_selectorIiiEEZZNS1_16scan_by_key_implILNS1_25lookback_scan_determinismE0ELb0ES3_N6thrust23THRUST_200600_302600_NS10device_ptrIiEESB_SB_iNS9_4plusIvEENS9_8equal_toIvEEiEE10hipError_tPvRmT2_T3_T4_T5_mT6_T7_P12ihipStream_tbENKUlT_T0_E_clISt17integral_constantIbLb1EESV_IbLb0EEEEDaSR_SS_EUlSR_E_NS1_11comp_targetILNS1_3genE9ELNS1_11target_archE1100ELNS1_3gpuE3ELNS1_3repE0EEENS1_30default_config_static_selectorELNS0_4arch9wavefront6targetE0EEEvT1_.uses_flat_scratch, 0
	.set _ZN7rocprim17ROCPRIM_400000_NS6detail17trampoline_kernelINS0_14default_configENS1_27scan_by_key_config_selectorIiiEEZZNS1_16scan_by_key_implILNS1_25lookback_scan_determinismE0ELb0ES3_N6thrust23THRUST_200600_302600_NS10device_ptrIiEESB_SB_iNS9_4plusIvEENS9_8equal_toIvEEiEE10hipError_tPvRmT2_T3_T4_T5_mT6_T7_P12ihipStream_tbENKUlT_T0_E_clISt17integral_constantIbLb1EESV_IbLb0EEEEDaSR_SS_EUlSR_E_NS1_11comp_targetILNS1_3genE9ELNS1_11target_archE1100ELNS1_3gpuE3ELNS1_3repE0EEENS1_30default_config_static_selectorELNS0_4arch9wavefront6targetE0EEEvT1_.has_dyn_sized_stack, 0
	.set _ZN7rocprim17ROCPRIM_400000_NS6detail17trampoline_kernelINS0_14default_configENS1_27scan_by_key_config_selectorIiiEEZZNS1_16scan_by_key_implILNS1_25lookback_scan_determinismE0ELb0ES3_N6thrust23THRUST_200600_302600_NS10device_ptrIiEESB_SB_iNS9_4plusIvEENS9_8equal_toIvEEiEE10hipError_tPvRmT2_T3_T4_T5_mT6_T7_P12ihipStream_tbENKUlT_T0_E_clISt17integral_constantIbLb1EESV_IbLb0EEEEDaSR_SS_EUlSR_E_NS1_11comp_targetILNS1_3genE9ELNS1_11target_archE1100ELNS1_3gpuE3ELNS1_3repE0EEENS1_30default_config_static_selectorELNS0_4arch9wavefront6targetE0EEEvT1_.has_recursion, 0
	.set _ZN7rocprim17ROCPRIM_400000_NS6detail17trampoline_kernelINS0_14default_configENS1_27scan_by_key_config_selectorIiiEEZZNS1_16scan_by_key_implILNS1_25lookback_scan_determinismE0ELb0ES3_N6thrust23THRUST_200600_302600_NS10device_ptrIiEESB_SB_iNS9_4plusIvEENS9_8equal_toIvEEiEE10hipError_tPvRmT2_T3_T4_T5_mT6_T7_P12ihipStream_tbENKUlT_T0_E_clISt17integral_constantIbLb1EESV_IbLb0EEEEDaSR_SS_EUlSR_E_NS1_11comp_targetILNS1_3genE9ELNS1_11target_archE1100ELNS1_3gpuE3ELNS1_3repE0EEENS1_30default_config_static_selectorELNS0_4arch9wavefront6targetE0EEEvT1_.has_indirect_call, 0
	.section	.AMDGPU.csdata,"",@progbits
; Kernel info:
; codeLenInByte = 0
; TotalNumSgprs: 0
; NumVgprs: 0
; ScratchSize: 0
; MemoryBound: 0
; FloatMode: 240
; IeeeMode: 1
; LDSByteSize: 0 bytes/workgroup (compile time only)
; SGPRBlocks: 0
; VGPRBlocks: 0
; NumSGPRsForWavesPerEU: 1
; NumVGPRsForWavesPerEU: 1
; Occupancy: 16
; WaveLimiterHint : 0
; COMPUTE_PGM_RSRC2:SCRATCH_EN: 0
; COMPUTE_PGM_RSRC2:USER_SGPR: 6
; COMPUTE_PGM_RSRC2:TRAP_HANDLER: 0
; COMPUTE_PGM_RSRC2:TGID_X_EN: 1
; COMPUTE_PGM_RSRC2:TGID_Y_EN: 0
; COMPUTE_PGM_RSRC2:TGID_Z_EN: 0
; COMPUTE_PGM_RSRC2:TIDIG_COMP_CNT: 0
	.section	.text._ZN7rocprim17ROCPRIM_400000_NS6detail17trampoline_kernelINS0_14default_configENS1_27scan_by_key_config_selectorIiiEEZZNS1_16scan_by_key_implILNS1_25lookback_scan_determinismE0ELb0ES3_N6thrust23THRUST_200600_302600_NS10device_ptrIiEESB_SB_iNS9_4plusIvEENS9_8equal_toIvEEiEE10hipError_tPvRmT2_T3_T4_T5_mT6_T7_P12ihipStream_tbENKUlT_T0_E_clISt17integral_constantIbLb1EESV_IbLb0EEEEDaSR_SS_EUlSR_E_NS1_11comp_targetILNS1_3genE8ELNS1_11target_archE1030ELNS1_3gpuE2ELNS1_3repE0EEENS1_30default_config_static_selectorELNS0_4arch9wavefront6targetE0EEEvT1_,"axG",@progbits,_ZN7rocprim17ROCPRIM_400000_NS6detail17trampoline_kernelINS0_14default_configENS1_27scan_by_key_config_selectorIiiEEZZNS1_16scan_by_key_implILNS1_25lookback_scan_determinismE0ELb0ES3_N6thrust23THRUST_200600_302600_NS10device_ptrIiEESB_SB_iNS9_4plusIvEENS9_8equal_toIvEEiEE10hipError_tPvRmT2_T3_T4_T5_mT6_T7_P12ihipStream_tbENKUlT_T0_E_clISt17integral_constantIbLb1EESV_IbLb0EEEEDaSR_SS_EUlSR_E_NS1_11comp_targetILNS1_3genE8ELNS1_11target_archE1030ELNS1_3gpuE2ELNS1_3repE0EEENS1_30default_config_static_selectorELNS0_4arch9wavefront6targetE0EEEvT1_,comdat
	.protected	_ZN7rocprim17ROCPRIM_400000_NS6detail17trampoline_kernelINS0_14default_configENS1_27scan_by_key_config_selectorIiiEEZZNS1_16scan_by_key_implILNS1_25lookback_scan_determinismE0ELb0ES3_N6thrust23THRUST_200600_302600_NS10device_ptrIiEESB_SB_iNS9_4plusIvEENS9_8equal_toIvEEiEE10hipError_tPvRmT2_T3_T4_T5_mT6_T7_P12ihipStream_tbENKUlT_T0_E_clISt17integral_constantIbLb1EESV_IbLb0EEEEDaSR_SS_EUlSR_E_NS1_11comp_targetILNS1_3genE8ELNS1_11target_archE1030ELNS1_3gpuE2ELNS1_3repE0EEENS1_30default_config_static_selectorELNS0_4arch9wavefront6targetE0EEEvT1_ ; -- Begin function _ZN7rocprim17ROCPRIM_400000_NS6detail17trampoline_kernelINS0_14default_configENS1_27scan_by_key_config_selectorIiiEEZZNS1_16scan_by_key_implILNS1_25lookback_scan_determinismE0ELb0ES3_N6thrust23THRUST_200600_302600_NS10device_ptrIiEESB_SB_iNS9_4plusIvEENS9_8equal_toIvEEiEE10hipError_tPvRmT2_T3_T4_T5_mT6_T7_P12ihipStream_tbENKUlT_T0_E_clISt17integral_constantIbLb1EESV_IbLb0EEEEDaSR_SS_EUlSR_E_NS1_11comp_targetILNS1_3genE8ELNS1_11target_archE1030ELNS1_3gpuE2ELNS1_3repE0EEENS1_30default_config_static_selectorELNS0_4arch9wavefront6targetE0EEEvT1_
	.globl	_ZN7rocprim17ROCPRIM_400000_NS6detail17trampoline_kernelINS0_14default_configENS1_27scan_by_key_config_selectorIiiEEZZNS1_16scan_by_key_implILNS1_25lookback_scan_determinismE0ELb0ES3_N6thrust23THRUST_200600_302600_NS10device_ptrIiEESB_SB_iNS9_4plusIvEENS9_8equal_toIvEEiEE10hipError_tPvRmT2_T3_T4_T5_mT6_T7_P12ihipStream_tbENKUlT_T0_E_clISt17integral_constantIbLb1EESV_IbLb0EEEEDaSR_SS_EUlSR_E_NS1_11comp_targetILNS1_3genE8ELNS1_11target_archE1030ELNS1_3gpuE2ELNS1_3repE0EEENS1_30default_config_static_selectorELNS0_4arch9wavefront6targetE0EEEvT1_
	.p2align	8
	.type	_ZN7rocprim17ROCPRIM_400000_NS6detail17trampoline_kernelINS0_14default_configENS1_27scan_by_key_config_selectorIiiEEZZNS1_16scan_by_key_implILNS1_25lookback_scan_determinismE0ELb0ES3_N6thrust23THRUST_200600_302600_NS10device_ptrIiEESB_SB_iNS9_4plusIvEENS9_8equal_toIvEEiEE10hipError_tPvRmT2_T3_T4_T5_mT6_T7_P12ihipStream_tbENKUlT_T0_E_clISt17integral_constantIbLb1EESV_IbLb0EEEEDaSR_SS_EUlSR_E_NS1_11comp_targetILNS1_3genE8ELNS1_11target_archE1030ELNS1_3gpuE2ELNS1_3repE0EEENS1_30default_config_static_selectorELNS0_4arch9wavefront6targetE0EEEvT1_,@function
_ZN7rocprim17ROCPRIM_400000_NS6detail17trampoline_kernelINS0_14default_configENS1_27scan_by_key_config_selectorIiiEEZZNS1_16scan_by_key_implILNS1_25lookback_scan_determinismE0ELb0ES3_N6thrust23THRUST_200600_302600_NS10device_ptrIiEESB_SB_iNS9_4plusIvEENS9_8equal_toIvEEiEE10hipError_tPvRmT2_T3_T4_T5_mT6_T7_P12ihipStream_tbENKUlT_T0_E_clISt17integral_constantIbLb1EESV_IbLb0EEEEDaSR_SS_EUlSR_E_NS1_11comp_targetILNS1_3genE8ELNS1_11target_archE1030ELNS1_3gpuE2ELNS1_3repE0EEENS1_30default_config_static_selectorELNS0_4arch9wavefront6targetE0EEEvT1_: ; @_ZN7rocprim17ROCPRIM_400000_NS6detail17trampoline_kernelINS0_14default_configENS1_27scan_by_key_config_selectorIiiEEZZNS1_16scan_by_key_implILNS1_25lookback_scan_determinismE0ELb0ES3_N6thrust23THRUST_200600_302600_NS10device_ptrIiEESB_SB_iNS9_4plusIvEENS9_8equal_toIvEEiEE10hipError_tPvRmT2_T3_T4_T5_mT6_T7_P12ihipStream_tbENKUlT_T0_E_clISt17integral_constantIbLb1EESV_IbLb0EEEEDaSR_SS_EUlSR_E_NS1_11comp_targetILNS1_3genE8ELNS1_11target_archE1030ELNS1_3gpuE2ELNS1_3repE0EEENS1_30default_config_static_selectorELNS0_4arch9wavefront6targetE0EEEvT1_
; %bb.0:
	s_endpgm
	.section	.rodata,"a",@progbits
	.p2align	6, 0x0
	.amdhsa_kernel _ZN7rocprim17ROCPRIM_400000_NS6detail17trampoline_kernelINS0_14default_configENS1_27scan_by_key_config_selectorIiiEEZZNS1_16scan_by_key_implILNS1_25lookback_scan_determinismE0ELb0ES3_N6thrust23THRUST_200600_302600_NS10device_ptrIiEESB_SB_iNS9_4plusIvEENS9_8equal_toIvEEiEE10hipError_tPvRmT2_T3_T4_T5_mT6_T7_P12ihipStream_tbENKUlT_T0_E_clISt17integral_constantIbLb1EESV_IbLb0EEEEDaSR_SS_EUlSR_E_NS1_11comp_targetILNS1_3genE8ELNS1_11target_archE1030ELNS1_3gpuE2ELNS1_3repE0EEENS1_30default_config_static_selectorELNS0_4arch9wavefront6targetE0EEEvT1_
		.amdhsa_group_segment_fixed_size 0
		.amdhsa_private_segment_fixed_size 0
		.amdhsa_kernarg_size 112
		.amdhsa_user_sgpr_count 6
		.amdhsa_user_sgpr_private_segment_buffer 1
		.amdhsa_user_sgpr_dispatch_ptr 0
		.amdhsa_user_sgpr_queue_ptr 0
		.amdhsa_user_sgpr_kernarg_segment_ptr 1
		.amdhsa_user_sgpr_dispatch_id 0
		.amdhsa_user_sgpr_flat_scratch_init 0
		.amdhsa_user_sgpr_private_segment_size 0
		.amdhsa_wavefront_size32 1
		.amdhsa_uses_dynamic_stack 0
		.amdhsa_system_sgpr_private_segment_wavefront_offset 0
		.amdhsa_system_sgpr_workgroup_id_x 1
		.amdhsa_system_sgpr_workgroup_id_y 0
		.amdhsa_system_sgpr_workgroup_id_z 0
		.amdhsa_system_sgpr_workgroup_info 0
		.amdhsa_system_vgpr_workitem_id 0
		.amdhsa_next_free_vgpr 1
		.amdhsa_next_free_sgpr 1
		.amdhsa_reserve_vcc 0
		.amdhsa_reserve_flat_scratch 0
		.amdhsa_float_round_mode_32 0
		.amdhsa_float_round_mode_16_64 0
		.amdhsa_float_denorm_mode_32 3
		.amdhsa_float_denorm_mode_16_64 3
		.amdhsa_dx10_clamp 1
		.amdhsa_ieee_mode 1
		.amdhsa_fp16_overflow 0
		.amdhsa_workgroup_processor_mode 1
		.amdhsa_memory_ordered 1
		.amdhsa_forward_progress 1
		.amdhsa_shared_vgpr_count 0
		.amdhsa_exception_fp_ieee_invalid_op 0
		.amdhsa_exception_fp_denorm_src 0
		.amdhsa_exception_fp_ieee_div_zero 0
		.amdhsa_exception_fp_ieee_overflow 0
		.amdhsa_exception_fp_ieee_underflow 0
		.amdhsa_exception_fp_ieee_inexact 0
		.amdhsa_exception_int_div_zero 0
	.end_amdhsa_kernel
	.section	.text._ZN7rocprim17ROCPRIM_400000_NS6detail17trampoline_kernelINS0_14default_configENS1_27scan_by_key_config_selectorIiiEEZZNS1_16scan_by_key_implILNS1_25lookback_scan_determinismE0ELb0ES3_N6thrust23THRUST_200600_302600_NS10device_ptrIiEESB_SB_iNS9_4plusIvEENS9_8equal_toIvEEiEE10hipError_tPvRmT2_T3_T4_T5_mT6_T7_P12ihipStream_tbENKUlT_T0_E_clISt17integral_constantIbLb1EESV_IbLb0EEEEDaSR_SS_EUlSR_E_NS1_11comp_targetILNS1_3genE8ELNS1_11target_archE1030ELNS1_3gpuE2ELNS1_3repE0EEENS1_30default_config_static_selectorELNS0_4arch9wavefront6targetE0EEEvT1_,"axG",@progbits,_ZN7rocprim17ROCPRIM_400000_NS6detail17trampoline_kernelINS0_14default_configENS1_27scan_by_key_config_selectorIiiEEZZNS1_16scan_by_key_implILNS1_25lookback_scan_determinismE0ELb0ES3_N6thrust23THRUST_200600_302600_NS10device_ptrIiEESB_SB_iNS9_4plusIvEENS9_8equal_toIvEEiEE10hipError_tPvRmT2_T3_T4_T5_mT6_T7_P12ihipStream_tbENKUlT_T0_E_clISt17integral_constantIbLb1EESV_IbLb0EEEEDaSR_SS_EUlSR_E_NS1_11comp_targetILNS1_3genE8ELNS1_11target_archE1030ELNS1_3gpuE2ELNS1_3repE0EEENS1_30default_config_static_selectorELNS0_4arch9wavefront6targetE0EEEvT1_,comdat
.Lfunc_end2222:
	.size	_ZN7rocprim17ROCPRIM_400000_NS6detail17trampoline_kernelINS0_14default_configENS1_27scan_by_key_config_selectorIiiEEZZNS1_16scan_by_key_implILNS1_25lookback_scan_determinismE0ELb0ES3_N6thrust23THRUST_200600_302600_NS10device_ptrIiEESB_SB_iNS9_4plusIvEENS9_8equal_toIvEEiEE10hipError_tPvRmT2_T3_T4_T5_mT6_T7_P12ihipStream_tbENKUlT_T0_E_clISt17integral_constantIbLb1EESV_IbLb0EEEEDaSR_SS_EUlSR_E_NS1_11comp_targetILNS1_3genE8ELNS1_11target_archE1030ELNS1_3gpuE2ELNS1_3repE0EEENS1_30default_config_static_selectorELNS0_4arch9wavefront6targetE0EEEvT1_, .Lfunc_end2222-_ZN7rocprim17ROCPRIM_400000_NS6detail17trampoline_kernelINS0_14default_configENS1_27scan_by_key_config_selectorIiiEEZZNS1_16scan_by_key_implILNS1_25lookback_scan_determinismE0ELb0ES3_N6thrust23THRUST_200600_302600_NS10device_ptrIiEESB_SB_iNS9_4plusIvEENS9_8equal_toIvEEiEE10hipError_tPvRmT2_T3_T4_T5_mT6_T7_P12ihipStream_tbENKUlT_T0_E_clISt17integral_constantIbLb1EESV_IbLb0EEEEDaSR_SS_EUlSR_E_NS1_11comp_targetILNS1_3genE8ELNS1_11target_archE1030ELNS1_3gpuE2ELNS1_3repE0EEENS1_30default_config_static_selectorELNS0_4arch9wavefront6targetE0EEEvT1_
                                        ; -- End function
	.set _ZN7rocprim17ROCPRIM_400000_NS6detail17trampoline_kernelINS0_14default_configENS1_27scan_by_key_config_selectorIiiEEZZNS1_16scan_by_key_implILNS1_25lookback_scan_determinismE0ELb0ES3_N6thrust23THRUST_200600_302600_NS10device_ptrIiEESB_SB_iNS9_4plusIvEENS9_8equal_toIvEEiEE10hipError_tPvRmT2_T3_T4_T5_mT6_T7_P12ihipStream_tbENKUlT_T0_E_clISt17integral_constantIbLb1EESV_IbLb0EEEEDaSR_SS_EUlSR_E_NS1_11comp_targetILNS1_3genE8ELNS1_11target_archE1030ELNS1_3gpuE2ELNS1_3repE0EEENS1_30default_config_static_selectorELNS0_4arch9wavefront6targetE0EEEvT1_.num_vgpr, 0
	.set _ZN7rocprim17ROCPRIM_400000_NS6detail17trampoline_kernelINS0_14default_configENS1_27scan_by_key_config_selectorIiiEEZZNS1_16scan_by_key_implILNS1_25lookback_scan_determinismE0ELb0ES3_N6thrust23THRUST_200600_302600_NS10device_ptrIiEESB_SB_iNS9_4plusIvEENS9_8equal_toIvEEiEE10hipError_tPvRmT2_T3_T4_T5_mT6_T7_P12ihipStream_tbENKUlT_T0_E_clISt17integral_constantIbLb1EESV_IbLb0EEEEDaSR_SS_EUlSR_E_NS1_11comp_targetILNS1_3genE8ELNS1_11target_archE1030ELNS1_3gpuE2ELNS1_3repE0EEENS1_30default_config_static_selectorELNS0_4arch9wavefront6targetE0EEEvT1_.num_agpr, 0
	.set _ZN7rocprim17ROCPRIM_400000_NS6detail17trampoline_kernelINS0_14default_configENS1_27scan_by_key_config_selectorIiiEEZZNS1_16scan_by_key_implILNS1_25lookback_scan_determinismE0ELb0ES3_N6thrust23THRUST_200600_302600_NS10device_ptrIiEESB_SB_iNS9_4plusIvEENS9_8equal_toIvEEiEE10hipError_tPvRmT2_T3_T4_T5_mT6_T7_P12ihipStream_tbENKUlT_T0_E_clISt17integral_constantIbLb1EESV_IbLb0EEEEDaSR_SS_EUlSR_E_NS1_11comp_targetILNS1_3genE8ELNS1_11target_archE1030ELNS1_3gpuE2ELNS1_3repE0EEENS1_30default_config_static_selectorELNS0_4arch9wavefront6targetE0EEEvT1_.numbered_sgpr, 0
	.set _ZN7rocprim17ROCPRIM_400000_NS6detail17trampoline_kernelINS0_14default_configENS1_27scan_by_key_config_selectorIiiEEZZNS1_16scan_by_key_implILNS1_25lookback_scan_determinismE0ELb0ES3_N6thrust23THRUST_200600_302600_NS10device_ptrIiEESB_SB_iNS9_4plusIvEENS9_8equal_toIvEEiEE10hipError_tPvRmT2_T3_T4_T5_mT6_T7_P12ihipStream_tbENKUlT_T0_E_clISt17integral_constantIbLb1EESV_IbLb0EEEEDaSR_SS_EUlSR_E_NS1_11comp_targetILNS1_3genE8ELNS1_11target_archE1030ELNS1_3gpuE2ELNS1_3repE0EEENS1_30default_config_static_selectorELNS0_4arch9wavefront6targetE0EEEvT1_.num_named_barrier, 0
	.set _ZN7rocprim17ROCPRIM_400000_NS6detail17trampoline_kernelINS0_14default_configENS1_27scan_by_key_config_selectorIiiEEZZNS1_16scan_by_key_implILNS1_25lookback_scan_determinismE0ELb0ES3_N6thrust23THRUST_200600_302600_NS10device_ptrIiEESB_SB_iNS9_4plusIvEENS9_8equal_toIvEEiEE10hipError_tPvRmT2_T3_T4_T5_mT6_T7_P12ihipStream_tbENKUlT_T0_E_clISt17integral_constantIbLb1EESV_IbLb0EEEEDaSR_SS_EUlSR_E_NS1_11comp_targetILNS1_3genE8ELNS1_11target_archE1030ELNS1_3gpuE2ELNS1_3repE0EEENS1_30default_config_static_selectorELNS0_4arch9wavefront6targetE0EEEvT1_.private_seg_size, 0
	.set _ZN7rocprim17ROCPRIM_400000_NS6detail17trampoline_kernelINS0_14default_configENS1_27scan_by_key_config_selectorIiiEEZZNS1_16scan_by_key_implILNS1_25lookback_scan_determinismE0ELb0ES3_N6thrust23THRUST_200600_302600_NS10device_ptrIiEESB_SB_iNS9_4plusIvEENS9_8equal_toIvEEiEE10hipError_tPvRmT2_T3_T4_T5_mT6_T7_P12ihipStream_tbENKUlT_T0_E_clISt17integral_constantIbLb1EESV_IbLb0EEEEDaSR_SS_EUlSR_E_NS1_11comp_targetILNS1_3genE8ELNS1_11target_archE1030ELNS1_3gpuE2ELNS1_3repE0EEENS1_30default_config_static_selectorELNS0_4arch9wavefront6targetE0EEEvT1_.uses_vcc, 0
	.set _ZN7rocprim17ROCPRIM_400000_NS6detail17trampoline_kernelINS0_14default_configENS1_27scan_by_key_config_selectorIiiEEZZNS1_16scan_by_key_implILNS1_25lookback_scan_determinismE0ELb0ES3_N6thrust23THRUST_200600_302600_NS10device_ptrIiEESB_SB_iNS9_4plusIvEENS9_8equal_toIvEEiEE10hipError_tPvRmT2_T3_T4_T5_mT6_T7_P12ihipStream_tbENKUlT_T0_E_clISt17integral_constantIbLb1EESV_IbLb0EEEEDaSR_SS_EUlSR_E_NS1_11comp_targetILNS1_3genE8ELNS1_11target_archE1030ELNS1_3gpuE2ELNS1_3repE0EEENS1_30default_config_static_selectorELNS0_4arch9wavefront6targetE0EEEvT1_.uses_flat_scratch, 0
	.set _ZN7rocprim17ROCPRIM_400000_NS6detail17trampoline_kernelINS0_14default_configENS1_27scan_by_key_config_selectorIiiEEZZNS1_16scan_by_key_implILNS1_25lookback_scan_determinismE0ELb0ES3_N6thrust23THRUST_200600_302600_NS10device_ptrIiEESB_SB_iNS9_4plusIvEENS9_8equal_toIvEEiEE10hipError_tPvRmT2_T3_T4_T5_mT6_T7_P12ihipStream_tbENKUlT_T0_E_clISt17integral_constantIbLb1EESV_IbLb0EEEEDaSR_SS_EUlSR_E_NS1_11comp_targetILNS1_3genE8ELNS1_11target_archE1030ELNS1_3gpuE2ELNS1_3repE0EEENS1_30default_config_static_selectorELNS0_4arch9wavefront6targetE0EEEvT1_.has_dyn_sized_stack, 0
	.set _ZN7rocprim17ROCPRIM_400000_NS6detail17trampoline_kernelINS0_14default_configENS1_27scan_by_key_config_selectorIiiEEZZNS1_16scan_by_key_implILNS1_25lookback_scan_determinismE0ELb0ES3_N6thrust23THRUST_200600_302600_NS10device_ptrIiEESB_SB_iNS9_4plusIvEENS9_8equal_toIvEEiEE10hipError_tPvRmT2_T3_T4_T5_mT6_T7_P12ihipStream_tbENKUlT_T0_E_clISt17integral_constantIbLb1EESV_IbLb0EEEEDaSR_SS_EUlSR_E_NS1_11comp_targetILNS1_3genE8ELNS1_11target_archE1030ELNS1_3gpuE2ELNS1_3repE0EEENS1_30default_config_static_selectorELNS0_4arch9wavefront6targetE0EEEvT1_.has_recursion, 0
	.set _ZN7rocprim17ROCPRIM_400000_NS6detail17trampoline_kernelINS0_14default_configENS1_27scan_by_key_config_selectorIiiEEZZNS1_16scan_by_key_implILNS1_25lookback_scan_determinismE0ELb0ES3_N6thrust23THRUST_200600_302600_NS10device_ptrIiEESB_SB_iNS9_4plusIvEENS9_8equal_toIvEEiEE10hipError_tPvRmT2_T3_T4_T5_mT6_T7_P12ihipStream_tbENKUlT_T0_E_clISt17integral_constantIbLb1EESV_IbLb0EEEEDaSR_SS_EUlSR_E_NS1_11comp_targetILNS1_3genE8ELNS1_11target_archE1030ELNS1_3gpuE2ELNS1_3repE0EEENS1_30default_config_static_selectorELNS0_4arch9wavefront6targetE0EEEvT1_.has_indirect_call, 0
	.section	.AMDGPU.csdata,"",@progbits
; Kernel info:
; codeLenInByte = 4
; TotalNumSgprs: 0
; NumVgprs: 0
; ScratchSize: 0
; MemoryBound: 0
; FloatMode: 240
; IeeeMode: 1
; LDSByteSize: 0 bytes/workgroup (compile time only)
; SGPRBlocks: 0
; VGPRBlocks: 0
; NumSGPRsForWavesPerEU: 1
; NumVGPRsForWavesPerEU: 1
; Occupancy: 16
; WaveLimiterHint : 0
; COMPUTE_PGM_RSRC2:SCRATCH_EN: 0
; COMPUTE_PGM_RSRC2:USER_SGPR: 6
; COMPUTE_PGM_RSRC2:TRAP_HANDLER: 0
; COMPUTE_PGM_RSRC2:TGID_X_EN: 1
; COMPUTE_PGM_RSRC2:TGID_Y_EN: 0
; COMPUTE_PGM_RSRC2:TGID_Z_EN: 0
; COMPUTE_PGM_RSRC2:TIDIG_COMP_CNT: 0
	.section	.text._ZN7rocprim17ROCPRIM_400000_NS6detail30init_device_scan_by_key_kernelINS1_19lookback_scan_stateINS0_5tupleIJibEEELb0ELb1EEEN6thrust23THRUST_200600_302600_NS10device_ptrIiEEjNS1_16block_id_wrapperIjLb1EEEEEvT_jjPNSD_10value_typeET0_PNSt15iterator_traitsISG_E10value_typeEmT1_T2_,"axG",@progbits,_ZN7rocprim17ROCPRIM_400000_NS6detail30init_device_scan_by_key_kernelINS1_19lookback_scan_stateINS0_5tupleIJibEEELb0ELb1EEEN6thrust23THRUST_200600_302600_NS10device_ptrIiEEjNS1_16block_id_wrapperIjLb1EEEEEvT_jjPNSD_10value_typeET0_PNSt15iterator_traitsISG_E10value_typeEmT1_T2_,comdat
	.protected	_ZN7rocprim17ROCPRIM_400000_NS6detail30init_device_scan_by_key_kernelINS1_19lookback_scan_stateINS0_5tupleIJibEEELb0ELb1EEEN6thrust23THRUST_200600_302600_NS10device_ptrIiEEjNS1_16block_id_wrapperIjLb1EEEEEvT_jjPNSD_10value_typeET0_PNSt15iterator_traitsISG_E10value_typeEmT1_T2_ ; -- Begin function _ZN7rocprim17ROCPRIM_400000_NS6detail30init_device_scan_by_key_kernelINS1_19lookback_scan_stateINS0_5tupleIJibEEELb0ELb1EEEN6thrust23THRUST_200600_302600_NS10device_ptrIiEEjNS1_16block_id_wrapperIjLb1EEEEEvT_jjPNSD_10value_typeET0_PNSt15iterator_traitsISG_E10value_typeEmT1_T2_
	.globl	_ZN7rocprim17ROCPRIM_400000_NS6detail30init_device_scan_by_key_kernelINS1_19lookback_scan_stateINS0_5tupleIJibEEELb0ELb1EEEN6thrust23THRUST_200600_302600_NS10device_ptrIiEEjNS1_16block_id_wrapperIjLb1EEEEEvT_jjPNSD_10value_typeET0_PNSt15iterator_traitsISG_E10value_typeEmT1_T2_
	.p2align	8
	.type	_ZN7rocprim17ROCPRIM_400000_NS6detail30init_device_scan_by_key_kernelINS1_19lookback_scan_stateINS0_5tupleIJibEEELb0ELb1EEEN6thrust23THRUST_200600_302600_NS10device_ptrIiEEjNS1_16block_id_wrapperIjLb1EEEEEvT_jjPNSD_10value_typeET0_PNSt15iterator_traitsISG_E10value_typeEmT1_T2_,@function
_ZN7rocprim17ROCPRIM_400000_NS6detail30init_device_scan_by_key_kernelINS1_19lookback_scan_stateINS0_5tupleIJibEEELb0ELb1EEEN6thrust23THRUST_200600_302600_NS10device_ptrIiEEjNS1_16block_id_wrapperIjLb1EEEEEvT_jjPNSD_10value_typeET0_PNSt15iterator_traitsISG_E10value_typeEmT1_T2_: ; @_ZN7rocprim17ROCPRIM_400000_NS6detail30init_device_scan_by_key_kernelINS1_19lookback_scan_stateINS0_5tupleIJibEEELb0ELb1EEEN6thrust23THRUST_200600_302600_NS10device_ptrIiEEjNS1_16block_id_wrapperIjLb1EEEEEvT_jjPNSD_10value_typeET0_PNSt15iterator_traitsISG_E10value_typeEmT1_T2_
; %bb.0:
	s_clause 0x2
	s_load_dword s0, s[4:5], 0x4c
	s_load_dwordx8 s[8:15], s[4:5], 0x0
	s_load_dword s7, s[4:5], 0x40
	s_waitcnt lgkmcnt(0)
	s_and_b32 s16, s0, 0xffff
	s_cmp_eq_u64 s[12:13], 0
	v_mad_u64_u32 v[4:5], null, s6, s16, v[0:1]
	s_cbranch_scc1 .LBB2223_8
; %bb.1:
	s_cmp_lt_u32 s11, s10
	s_mov_b32 s1, 0
	s_cselect_b32 s0, s11, 0
	s_mov_b32 s2, exec_lo
	v_cmpx_eq_u32_e64 s0, v4
	s_cbranch_execz .LBB2223_7
; %bb.2:
	s_add_i32 s0, s11, 32
	v_mov_b32_e32 v6, 0
	s_lshl_b64 s[0:1], s[0:1], 4
	s_mov_b32 s3, exec_lo
	s_add_u32 s0, s8, s0
	s_addc_u32 s1, s9, s1
	v_mov_b32_e32 v0, s0
	v_mov_b32_e32 v1, s1
	;;#ASMSTART
	global_load_dwordx4 v[0:3], v[0:1] off glc dlc	
s_waitcnt vmcnt(0)
	;;#ASMEND
	v_and_b32_e32 v5, 0xff, v2
	v_cmpx_eq_u64_e32 0, v[5:6]
	s_cbranch_execz .LBB2223_6
; %bb.3:
	v_mov_b32_e32 v8, s1
	v_mov_b32_e32 v7, s0
	s_mov_b32 s0, 0
.LBB2223_4:                             ; =>This Inner Loop Header: Depth=1
	;;#ASMSTART
	global_load_dwordx4 v[0:3], v[7:8] off glc dlc	
s_waitcnt vmcnt(0)
	;;#ASMEND
	v_and_b32_e32 v5, 0xff, v2
	v_cmp_ne_u64_e32 vcc_lo, 0, v[5:6]
	s_or_b32 s0, vcc_lo, s0
	s_andn2_b32 exec_lo, exec_lo, s0
	s_cbranch_execnz .LBB2223_4
; %bb.5:
	s_or_b32 exec_lo, exec_lo, s0
.LBB2223_6:
	s_or_b32 exec_lo, exec_lo, s3
	v_mov_b32_e32 v2, 0
	global_store_dword v2, v0, s[12:13]
	global_store_byte v2, v1, s[12:13] offset:4
.LBB2223_7:
	s_or_b32 exec_lo, exec_lo, s2
.LBB2223_8:
	s_mov_b32 s0, exec_lo
	v_cmpx_eq_u32_e32 0, v4
	s_cbranch_execz .LBB2223_10
; %bb.9:
	s_load_dwordx2 s[2:3], s[4:5], 0x38
	v_mov_b32_e32 v0, 0
	s_waitcnt lgkmcnt(0)
	global_store_dword v0, v0, s[2:3]
.LBB2223_10:
	s_or_b32 exec_lo, exec_lo, s0
	s_mov_b32 s0, exec_lo
	v_cmpx_gt_u32_e64 s10, v4
	s_cbranch_execz .LBB2223_12
; %bb.11:
	v_add_nc_u32_e32 v0, 32, v4
	v_mov_b32_e32 v1, 0
	v_lshlrev_b64 v[5:6], 4, v[0:1]
	v_mov_b32_e32 v0, v1
	v_mov_b32_e32 v2, v1
	v_mov_b32_e32 v3, v1
	v_add_co_u32 v5, vcc_lo, s8, v5
	v_add_co_ci_u32_e64 v6, null, s9, v6, vcc_lo
	global_store_dwordx4 v[5:6], v[0:3], off
.LBB2223_12:
	s_or_b32 exec_lo, exec_lo, s0
	v_mov_b32_e32 v5, 0
	s_mov_b32 s0, exec_lo
	v_cmpx_gt_u32_e32 32, v4
	s_cbranch_execz .LBB2223_14
; %bb.13:
	v_lshlrev_b64 v[6:7], 4, v[4:5]
	v_mov_b32_e32 v2, 0xff
	v_mov_b32_e32 v0, v5
	;; [unrolled: 1-line block ×4, first 2 shown]
	v_add_co_u32 v6, vcc_lo, s8, v6
	v_add_co_ci_u32_e64 v7, null, s9, v7, vcc_lo
	global_store_dwordx4 v[6:7], v[0:3], off
.LBB2223_14:
	s_or_b32 exec_lo, exec_lo, s0
	s_load_dwordx2 s[2:3], s[4:5], 0x28
	s_mov_b32 s0, exec_lo
	s_waitcnt lgkmcnt(0)
	v_cmpx_gt_u64_e64 s[2:3], v[4:5]
	s_cbranch_execz .LBB2223_17
; %bb.15:
	s_clause 0x1
	s_load_dword s6, s[4:5], 0x30
	s_load_dwordx2 s[8:9], s[4:5], 0x20
	s_mov_b32 s1, 0
	v_lshlrev_b64 v[2:3], 2, v[4:5]
	s_mul_i32 s4, s7, s16
	s_waitcnt lgkmcnt(0)
	v_mad_u64_u32 v[0:1], null, s6, v4, 0
	s_add_i32 s0, s6, -1
	s_mul_hi_u32 s7, s6, s4
	s_lshl_b64 s[10:11], s[0:1], 2
	s_mul_i32 s6, s6, s4
	s_add_u32 s0, s14, s10
	s_addc_u32 s5, s15, s11
	v_lshlrev_b64 v[0:1], 2, v[0:1]
	s_lshl_b64 s[6:7], s[6:7], 2
	v_add_co_u32 v0, vcc_lo, s0, v0
	v_add_co_ci_u32_e64 v1, null, s5, v1, vcc_lo
	v_add_co_u32 v2, vcc_lo, s8, v2
	v_add_co_ci_u32_e64 v3, null, s9, v3, vcc_lo
	s_mov_b32 s5, s1
	s_lshl_b64 s[8:9], s[4:5], 2
	.p2align	6
.LBB2223_16:                            ; =>This Inner Loop Header: Depth=1
	global_load_dword v6, v[0:1], off
	v_add_co_u32 v4, vcc_lo, v4, s4
	v_add_co_ci_u32_e64 v5, null, 0, v5, vcc_lo
	v_add_co_u32 v0, vcc_lo, v0, s6
	v_add_co_ci_u32_e64 v1, null, s7, v1, vcc_lo
	v_cmp_le_u64_e32 vcc_lo, s[2:3], v[4:5]
	s_or_b32 s1, vcc_lo, s1
	s_waitcnt vmcnt(0)
	global_store_dword v[2:3], v6, off
	v_add_co_u32 v2, s0, v2, s8
	v_add_co_ci_u32_e64 v3, null, s9, v3, s0
	s_andn2_b32 exec_lo, exec_lo, s1
	s_cbranch_execnz .LBB2223_16
.LBB2223_17:
	s_endpgm
	.section	.rodata,"a",@progbits
	.p2align	6, 0x0
	.amdhsa_kernel _ZN7rocprim17ROCPRIM_400000_NS6detail30init_device_scan_by_key_kernelINS1_19lookback_scan_stateINS0_5tupleIJibEEELb0ELb1EEEN6thrust23THRUST_200600_302600_NS10device_ptrIiEEjNS1_16block_id_wrapperIjLb1EEEEEvT_jjPNSD_10value_typeET0_PNSt15iterator_traitsISG_E10value_typeEmT1_T2_
		.amdhsa_group_segment_fixed_size 0
		.amdhsa_private_segment_fixed_size 0
		.amdhsa_kernarg_size 320
		.amdhsa_user_sgpr_count 6
		.amdhsa_user_sgpr_private_segment_buffer 1
		.amdhsa_user_sgpr_dispatch_ptr 0
		.amdhsa_user_sgpr_queue_ptr 0
		.amdhsa_user_sgpr_kernarg_segment_ptr 1
		.amdhsa_user_sgpr_dispatch_id 0
		.amdhsa_user_sgpr_flat_scratch_init 0
		.amdhsa_user_sgpr_private_segment_size 0
		.amdhsa_wavefront_size32 1
		.amdhsa_uses_dynamic_stack 0
		.amdhsa_system_sgpr_private_segment_wavefront_offset 0
		.amdhsa_system_sgpr_workgroup_id_x 1
		.amdhsa_system_sgpr_workgroup_id_y 0
		.amdhsa_system_sgpr_workgroup_id_z 0
		.amdhsa_system_sgpr_workgroup_info 0
		.amdhsa_system_vgpr_workitem_id 0
		.amdhsa_next_free_vgpr 9
		.amdhsa_next_free_sgpr 17
		.amdhsa_reserve_vcc 1
		.amdhsa_reserve_flat_scratch 0
		.amdhsa_float_round_mode_32 0
		.amdhsa_float_round_mode_16_64 0
		.amdhsa_float_denorm_mode_32 3
		.amdhsa_float_denorm_mode_16_64 3
		.amdhsa_dx10_clamp 1
		.amdhsa_ieee_mode 1
		.amdhsa_fp16_overflow 0
		.amdhsa_workgroup_processor_mode 1
		.amdhsa_memory_ordered 1
		.amdhsa_forward_progress 1
		.amdhsa_shared_vgpr_count 0
		.amdhsa_exception_fp_ieee_invalid_op 0
		.amdhsa_exception_fp_denorm_src 0
		.amdhsa_exception_fp_ieee_div_zero 0
		.amdhsa_exception_fp_ieee_overflow 0
		.amdhsa_exception_fp_ieee_underflow 0
		.amdhsa_exception_fp_ieee_inexact 0
		.amdhsa_exception_int_div_zero 0
	.end_amdhsa_kernel
	.section	.text._ZN7rocprim17ROCPRIM_400000_NS6detail30init_device_scan_by_key_kernelINS1_19lookback_scan_stateINS0_5tupleIJibEEELb0ELb1EEEN6thrust23THRUST_200600_302600_NS10device_ptrIiEEjNS1_16block_id_wrapperIjLb1EEEEEvT_jjPNSD_10value_typeET0_PNSt15iterator_traitsISG_E10value_typeEmT1_T2_,"axG",@progbits,_ZN7rocprim17ROCPRIM_400000_NS6detail30init_device_scan_by_key_kernelINS1_19lookback_scan_stateINS0_5tupleIJibEEELb0ELb1EEEN6thrust23THRUST_200600_302600_NS10device_ptrIiEEjNS1_16block_id_wrapperIjLb1EEEEEvT_jjPNSD_10value_typeET0_PNSt15iterator_traitsISG_E10value_typeEmT1_T2_,comdat
.Lfunc_end2223:
	.size	_ZN7rocprim17ROCPRIM_400000_NS6detail30init_device_scan_by_key_kernelINS1_19lookback_scan_stateINS0_5tupleIJibEEELb0ELb1EEEN6thrust23THRUST_200600_302600_NS10device_ptrIiEEjNS1_16block_id_wrapperIjLb1EEEEEvT_jjPNSD_10value_typeET0_PNSt15iterator_traitsISG_E10value_typeEmT1_T2_, .Lfunc_end2223-_ZN7rocprim17ROCPRIM_400000_NS6detail30init_device_scan_by_key_kernelINS1_19lookback_scan_stateINS0_5tupleIJibEEELb0ELb1EEEN6thrust23THRUST_200600_302600_NS10device_ptrIiEEjNS1_16block_id_wrapperIjLb1EEEEEvT_jjPNSD_10value_typeET0_PNSt15iterator_traitsISG_E10value_typeEmT1_T2_
                                        ; -- End function
	.set _ZN7rocprim17ROCPRIM_400000_NS6detail30init_device_scan_by_key_kernelINS1_19lookback_scan_stateINS0_5tupleIJibEEELb0ELb1EEEN6thrust23THRUST_200600_302600_NS10device_ptrIiEEjNS1_16block_id_wrapperIjLb1EEEEEvT_jjPNSD_10value_typeET0_PNSt15iterator_traitsISG_E10value_typeEmT1_T2_.num_vgpr, 9
	.set _ZN7rocprim17ROCPRIM_400000_NS6detail30init_device_scan_by_key_kernelINS1_19lookback_scan_stateINS0_5tupleIJibEEELb0ELb1EEEN6thrust23THRUST_200600_302600_NS10device_ptrIiEEjNS1_16block_id_wrapperIjLb1EEEEEvT_jjPNSD_10value_typeET0_PNSt15iterator_traitsISG_E10value_typeEmT1_T2_.num_agpr, 0
	.set _ZN7rocprim17ROCPRIM_400000_NS6detail30init_device_scan_by_key_kernelINS1_19lookback_scan_stateINS0_5tupleIJibEEELb0ELb1EEEN6thrust23THRUST_200600_302600_NS10device_ptrIiEEjNS1_16block_id_wrapperIjLb1EEEEEvT_jjPNSD_10value_typeET0_PNSt15iterator_traitsISG_E10value_typeEmT1_T2_.numbered_sgpr, 17
	.set _ZN7rocprim17ROCPRIM_400000_NS6detail30init_device_scan_by_key_kernelINS1_19lookback_scan_stateINS0_5tupleIJibEEELb0ELb1EEEN6thrust23THRUST_200600_302600_NS10device_ptrIiEEjNS1_16block_id_wrapperIjLb1EEEEEvT_jjPNSD_10value_typeET0_PNSt15iterator_traitsISG_E10value_typeEmT1_T2_.num_named_barrier, 0
	.set _ZN7rocprim17ROCPRIM_400000_NS6detail30init_device_scan_by_key_kernelINS1_19lookback_scan_stateINS0_5tupleIJibEEELb0ELb1EEEN6thrust23THRUST_200600_302600_NS10device_ptrIiEEjNS1_16block_id_wrapperIjLb1EEEEEvT_jjPNSD_10value_typeET0_PNSt15iterator_traitsISG_E10value_typeEmT1_T2_.private_seg_size, 0
	.set _ZN7rocprim17ROCPRIM_400000_NS6detail30init_device_scan_by_key_kernelINS1_19lookback_scan_stateINS0_5tupleIJibEEELb0ELb1EEEN6thrust23THRUST_200600_302600_NS10device_ptrIiEEjNS1_16block_id_wrapperIjLb1EEEEEvT_jjPNSD_10value_typeET0_PNSt15iterator_traitsISG_E10value_typeEmT1_T2_.uses_vcc, 1
	.set _ZN7rocprim17ROCPRIM_400000_NS6detail30init_device_scan_by_key_kernelINS1_19lookback_scan_stateINS0_5tupleIJibEEELb0ELb1EEEN6thrust23THRUST_200600_302600_NS10device_ptrIiEEjNS1_16block_id_wrapperIjLb1EEEEEvT_jjPNSD_10value_typeET0_PNSt15iterator_traitsISG_E10value_typeEmT1_T2_.uses_flat_scratch, 0
	.set _ZN7rocprim17ROCPRIM_400000_NS6detail30init_device_scan_by_key_kernelINS1_19lookback_scan_stateINS0_5tupleIJibEEELb0ELb1EEEN6thrust23THRUST_200600_302600_NS10device_ptrIiEEjNS1_16block_id_wrapperIjLb1EEEEEvT_jjPNSD_10value_typeET0_PNSt15iterator_traitsISG_E10value_typeEmT1_T2_.has_dyn_sized_stack, 0
	.set _ZN7rocprim17ROCPRIM_400000_NS6detail30init_device_scan_by_key_kernelINS1_19lookback_scan_stateINS0_5tupleIJibEEELb0ELb1EEEN6thrust23THRUST_200600_302600_NS10device_ptrIiEEjNS1_16block_id_wrapperIjLb1EEEEEvT_jjPNSD_10value_typeET0_PNSt15iterator_traitsISG_E10value_typeEmT1_T2_.has_recursion, 0
	.set _ZN7rocprim17ROCPRIM_400000_NS6detail30init_device_scan_by_key_kernelINS1_19lookback_scan_stateINS0_5tupleIJibEEELb0ELb1EEEN6thrust23THRUST_200600_302600_NS10device_ptrIiEEjNS1_16block_id_wrapperIjLb1EEEEEvT_jjPNSD_10value_typeET0_PNSt15iterator_traitsISG_E10value_typeEmT1_T2_.has_indirect_call, 0
	.section	.AMDGPU.csdata,"",@progbits
; Kernel info:
; codeLenInByte = 728
; TotalNumSgprs: 19
; NumVgprs: 9
; ScratchSize: 0
; MemoryBound: 0
; FloatMode: 240
; IeeeMode: 1
; LDSByteSize: 0 bytes/workgroup (compile time only)
; SGPRBlocks: 0
; VGPRBlocks: 1
; NumSGPRsForWavesPerEU: 19
; NumVGPRsForWavesPerEU: 9
; Occupancy: 16
; WaveLimiterHint : 0
; COMPUTE_PGM_RSRC2:SCRATCH_EN: 0
; COMPUTE_PGM_RSRC2:USER_SGPR: 6
; COMPUTE_PGM_RSRC2:TRAP_HANDLER: 0
; COMPUTE_PGM_RSRC2:TGID_X_EN: 1
; COMPUTE_PGM_RSRC2:TGID_Y_EN: 0
; COMPUTE_PGM_RSRC2:TGID_Z_EN: 0
; COMPUTE_PGM_RSRC2:TIDIG_COMP_CNT: 0
	.section	.text._ZN7rocprim17ROCPRIM_400000_NS6detail17trampoline_kernelINS0_14default_configENS1_27scan_by_key_config_selectorIiiEEZZNS1_16scan_by_key_implILNS1_25lookback_scan_determinismE0ELb0ES3_N6thrust23THRUST_200600_302600_NS10device_ptrIiEESB_SB_iNS9_4plusIvEENS9_8equal_toIvEEiEE10hipError_tPvRmT2_T3_T4_T5_mT6_T7_P12ihipStream_tbENKUlT_T0_E_clISt17integral_constantIbLb0EESV_IbLb1EEEEDaSR_SS_EUlSR_E_NS1_11comp_targetILNS1_3genE0ELNS1_11target_archE4294967295ELNS1_3gpuE0ELNS1_3repE0EEENS1_30default_config_static_selectorELNS0_4arch9wavefront6targetE0EEEvT1_,"axG",@progbits,_ZN7rocprim17ROCPRIM_400000_NS6detail17trampoline_kernelINS0_14default_configENS1_27scan_by_key_config_selectorIiiEEZZNS1_16scan_by_key_implILNS1_25lookback_scan_determinismE0ELb0ES3_N6thrust23THRUST_200600_302600_NS10device_ptrIiEESB_SB_iNS9_4plusIvEENS9_8equal_toIvEEiEE10hipError_tPvRmT2_T3_T4_T5_mT6_T7_P12ihipStream_tbENKUlT_T0_E_clISt17integral_constantIbLb0EESV_IbLb1EEEEDaSR_SS_EUlSR_E_NS1_11comp_targetILNS1_3genE0ELNS1_11target_archE4294967295ELNS1_3gpuE0ELNS1_3repE0EEENS1_30default_config_static_selectorELNS0_4arch9wavefront6targetE0EEEvT1_,comdat
	.protected	_ZN7rocprim17ROCPRIM_400000_NS6detail17trampoline_kernelINS0_14default_configENS1_27scan_by_key_config_selectorIiiEEZZNS1_16scan_by_key_implILNS1_25lookback_scan_determinismE0ELb0ES3_N6thrust23THRUST_200600_302600_NS10device_ptrIiEESB_SB_iNS9_4plusIvEENS9_8equal_toIvEEiEE10hipError_tPvRmT2_T3_T4_T5_mT6_T7_P12ihipStream_tbENKUlT_T0_E_clISt17integral_constantIbLb0EESV_IbLb1EEEEDaSR_SS_EUlSR_E_NS1_11comp_targetILNS1_3genE0ELNS1_11target_archE4294967295ELNS1_3gpuE0ELNS1_3repE0EEENS1_30default_config_static_selectorELNS0_4arch9wavefront6targetE0EEEvT1_ ; -- Begin function _ZN7rocprim17ROCPRIM_400000_NS6detail17trampoline_kernelINS0_14default_configENS1_27scan_by_key_config_selectorIiiEEZZNS1_16scan_by_key_implILNS1_25lookback_scan_determinismE0ELb0ES3_N6thrust23THRUST_200600_302600_NS10device_ptrIiEESB_SB_iNS9_4plusIvEENS9_8equal_toIvEEiEE10hipError_tPvRmT2_T3_T4_T5_mT6_T7_P12ihipStream_tbENKUlT_T0_E_clISt17integral_constantIbLb0EESV_IbLb1EEEEDaSR_SS_EUlSR_E_NS1_11comp_targetILNS1_3genE0ELNS1_11target_archE4294967295ELNS1_3gpuE0ELNS1_3repE0EEENS1_30default_config_static_selectorELNS0_4arch9wavefront6targetE0EEEvT1_
	.globl	_ZN7rocprim17ROCPRIM_400000_NS6detail17trampoline_kernelINS0_14default_configENS1_27scan_by_key_config_selectorIiiEEZZNS1_16scan_by_key_implILNS1_25lookback_scan_determinismE0ELb0ES3_N6thrust23THRUST_200600_302600_NS10device_ptrIiEESB_SB_iNS9_4plusIvEENS9_8equal_toIvEEiEE10hipError_tPvRmT2_T3_T4_T5_mT6_T7_P12ihipStream_tbENKUlT_T0_E_clISt17integral_constantIbLb0EESV_IbLb1EEEEDaSR_SS_EUlSR_E_NS1_11comp_targetILNS1_3genE0ELNS1_11target_archE4294967295ELNS1_3gpuE0ELNS1_3repE0EEENS1_30default_config_static_selectorELNS0_4arch9wavefront6targetE0EEEvT1_
	.p2align	8
	.type	_ZN7rocprim17ROCPRIM_400000_NS6detail17trampoline_kernelINS0_14default_configENS1_27scan_by_key_config_selectorIiiEEZZNS1_16scan_by_key_implILNS1_25lookback_scan_determinismE0ELb0ES3_N6thrust23THRUST_200600_302600_NS10device_ptrIiEESB_SB_iNS9_4plusIvEENS9_8equal_toIvEEiEE10hipError_tPvRmT2_T3_T4_T5_mT6_T7_P12ihipStream_tbENKUlT_T0_E_clISt17integral_constantIbLb0EESV_IbLb1EEEEDaSR_SS_EUlSR_E_NS1_11comp_targetILNS1_3genE0ELNS1_11target_archE4294967295ELNS1_3gpuE0ELNS1_3repE0EEENS1_30default_config_static_selectorELNS0_4arch9wavefront6targetE0EEEvT1_,@function
_ZN7rocprim17ROCPRIM_400000_NS6detail17trampoline_kernelINS0_14default_configENS1_27scan_by_key_config_selectorIiiEEZZNS1_16scan_by_key_implILNS1_25lookback_scan_determinismE0ELb0ES3_N6thrust23THRUST_200600_302600_NS10device_ptrIiEESB_SB_iNS9_4plusIvEENS9_8equal_toIvEEiEE10hipError_tPvRmT2_T3_T4_T5_mT6_T7_P12ihipStream_tbENKUlT_T0_E_clISt17integral_constantIbLb0EESV_IbLb1EEEEDaSR_SS_EUlSR_E_NS1_11comp_targetILNS1_3genE0ELNS1_11target_archE4294967295ELNS1_3gpuE0ELNS1_3repE0EEENS1_30default_config_static_selectorELNS0_4arch9wavefront6targetE0EEEvT1_: ; @_ZN7rocprim17ROCPRIM_400000_NS6detail17trampoline_kernelINS0_14default_configENS1_27scan_by_key_config_selectorIiiEEZZNS1_16scan_by_key_implILNS1_25lookback_scan_determinismE0ELb0ES3_N6thrust23THRUST_200600_302600_NS10device_ptrIiEESB_SB_iNS9_4plusIvEENS9_8equal_toIvEEiEE10hipError_tPvRmT2_T3_T4_T5_mT6_T7_P12ihipStream_tbENKUlT_T0_E_clISt17integral_constantIbLb0EESV_IbLb1EEEEDaSR_SS_EUlSR_E_NS1_11comp_targetILNS1_3genE0ELNS1_11target_archE4294967295ELNS1_3gpuE0ELNS1_3repE0EEENS1_30default_config_static_selectorELNS0_4arch9wavefront6targetE0EEEvT1_
; %bb.0:
	.section	.rodata,"a",@progbits
	.p2align	6, 0x0
	.amdhsa_kernel _ZN7rocprim17ROCPRIM_400000_NS6detail17trampoline_kernelINS0_14default_configENS1_27scan_by_key_config_selectorIiiEEZZNS1_16scan_by_key_implILNS1_25lookback_scan_determinismE0ELb0ES3_N6thrust23THRUST_200600_302600_NS10device_ptrIiEESB_SB_iNS9_4plusIvEENS9_8equal_toIvEEiEE10hipError_tPvRmT2_T3_T4_T5_mT6_T7_P12ihipStream_tbENKUlT_T0_E_clISt17integral_constantIbLb0EESV_IbLb1EEEEDaSR_SS_EUlSR_E_NS1_11comp_targetILNS1_3genE0ELNS1_11target_archE4294967295ELNS1_3gpuE0ELNS1_3repE0EEENS1_30default_config_static_selectorELNS0_4arch9wavefront6targetE0EEEvT1_
		.amdhsa_group_segment_fixed_size 0
		.amdhsa_private_segment_fixed_size 0
		.amdhsa_kernarg_size 112
		.amdhsa_user_sgpr_count 6
		.amdhsa_user_sgpr_private_segment_buffer 1
		.amdhsa_user_sgpr_dispatch_ptr 0
		.amdhsa_user_sgpr_queue_ptr 0
		.amdhsa_user_sgpr_kernarg_segment_ptr 1
		.amdhsa_user_sgpr_dispatch_id 0
		.amdhsa_user_sgpr_flat_scratch_init 0
		.amdhsa_user_sgpr_private_segment_size 0
		.amdhsa_wavefront_size32 1
		.amdhsa_uses_dynamic_stack 0
		.amdhsa_system_sgpr_private_segment_wavefront_offset 0
		.amdhsa_system_sgpr_workgroup_id_x 1
		.amdhsa_system_sgpr_workgroup_id_y 0
		.amdhsa_system_sgpr_workgroup_id_z 0
		.amdhsa_system_sgpr_workgroup_info 0
		.amdhsa_system_vgpr_workitem_id 0
		.amdhsa_next_free_vgpr 1
		.amdhsa_next_free_sgpr 1
		.amdhsa_reserve_vcc 0
		.amdhsa_reserve_flat_scratch 0
		.amdhsa_float_round_mode_32 0
		.amdhsa_float_round_mode_16_64 0
		.amdhsa_float_denorm_mode_32 3
		.amdhsa_float_denorm_mode_16_64 3
		.amdhsa_dx10_clamp 1
		.amdhsa_ieee_mode 1
		.amdhsa_fp16_overflow 0
		.amdhsa_workgroup_processor_mode 1
		.amdhsa_memory_ordered 1
		.amdhsa_forward_progress 1
		.amdhsa_shared_vgpr_count 0
		.amdhsa_exception_fp_ieee_invalid_op 0
		.amdhsa_exception_fp_denorm_src 0
		.amdhsa_exception_fp_ieee_div_zero 0
		.amdhsa_exception_fp_ieee_overflow 0
		.amdhsa_exception_fp_ieee_underflow 0
		.amdhsa_exception_fp_ieee_inexact 0
		.amdhsa_exception_int_div_zero 0
	.end_amdhsa_kernel
	.section	.text._ZN7rocprim17ROCPRIM_400000_NS6detail17trampoline_kernelINS0_14default_configENS1_27scan_by_key_config_selectorIiiEEZZNS1_16scan_by_key_implILNS1_25lookback_scan_determinismE0ELb0ES3_N6thrust23THRUST_200600_302600_NS10device_ptrIiEESB_SB_iNS9_4plusIvEENS9_8equal_toIvEEiEE10hipError_tPvRmT2_T3_T4_T5_mT6_T7_P12ihipStream_tbENKUlT_T0_E_clISt17integral_constantIbLb0EESV_IbLb1EEEEDaSR_SS_EUlSR_E_NS1_11comp_targetILNS1_3genE0ELNS1_11target_archE4294967295ELNS1_3gpuE0ELNS1_3repE0EEENS1_30default_config_static_selectorELNS0_4arch9wavefront6targetE0EEEvT1_,"axG",@progbits,_ZN7rocprim17ROCPRIM_400000_NS6detail17trampoline_kernelINS0_14default_configENS1_27scan_by_key_config_selectorIiiEEZZNS1_16scan_by_key_implILNS1_25lookback_scan_determinismE0ELb0ES3_N6thrust23THRUST_200600_302600_NS10device_ptrIiEESB_SB_iNS9_4plusIvEENS9_8equal_toIvEEiEE10hipError_tPvRmT2_T3_T4_T5_mT6_T7_P12ihipStream_tbENKUlT_T0_E_clISt17integral_constantIbLb0EESV_IbLb1EEEEDaSR_SS_EUlSR_E_NS1_11comp_targetILNS1_3genE0ELNS1_11target_archE4294967295ELNS1_3gpuE0ELNS1_3repE0EEENS1_30default_config_static_selectorELNS0_4arch9wavefront6targetE0EEEvT1_,comdat
.Lfunc_end2224:
	.size	_ZN7rocprim17ROCPRIM_400000_NS6detail17trampoline_kernelINS0_14default_configENS1_27scan_by_key_config_selectorIiiEEZZNS1_16scan_by_key_implILNS1_25lookback_scan_determinismE0ELb0ES3_N6thrust23THRUST_200600_302600_NS10device_ptrIiEESB_SB_iNS9_4plusIvEENS9_8equal_toIvEEiEE10hipError_tPvRmT2_T3_T4_T5_mT6_T7_P12ihipStream_tbENKUlT_T0_E_clISt17integral_constantIbLb0EESV_IbLb1EEEEDaSR_SS_EUlSR_E_NS1_11comp_targetILNS1_3genE0ELNS1_11target_archE4294967295ELNS1_3gpuE0ELNS1_3repE0EEENS1_30default_config_static_selectorELNS0_4arch9wavefront6targetE0EEEvT1_, .Lfunc_end2224-_ZN7rocprim17ROCPRIM_400000_NS6detail17trampoline_kernelINS0_14default_configENS1_27scan_by_key_config_selectorIiiEEZZNS1_16scan_by_key_implILNS1_25lookback_scan_determinismE0ELb0ES3_N6thrust23THRUST_200600_302600_NS10device_ptrIiEESB_SB_iNS9_4plusIvEENS9_8equal_toIvEEiEE10hipError_tPvRmT2_T3_T4_T5_mT6_T7_P12ihipStream_tbENKUlT_T0_E_clISt17integral_constantIbLb0EESV_IbLb1EEEEDaSR_SS_EUlSR_E_NS1_11comp_targetILNS1_3genE0ELNS1_11target_archE4294967295ELNS1_3gpuE0ELNS1_3repE0EEENS1_30default_config_static_selectorELNS0_4arch9wavefront6targetE0EEEvT1_
                                        ; -- End function
	.set _ZN7rocprim17ROCPRIM_400000_NS6detail17trampoline_kernelINS0_14default_configENS1_27scan_by_key_config_selectorIiiEEZZNS1_16scan_by_key_implILNS1_25lookback_scan_determinismE0ELb0ES3_N6thrust23THRUST_200600_302600_NS10device_ptrIiEESB_SB_iNS9_4plusIvEENS9_8equal_toIvEEiEE10hipError_tPvRmT2_T3_T4_T5_mT6_T7_P12ihipStream_tbENKUlT_T0_E_clISt17integral_constantIbLb0EESV_IbLb1EEEEDaSR_SS_EUlSR_E_NS1_11comp_targetILNS1_3genE0ELNS1_11target_archE4294967295ELNS1_3gpuE0ELNS1_3repE0EEENS1_30default_config_static_selectorELNS0_4arch9wavefront6targetE0EEEvT1_.num_vgpr, 0
	.set _ZN7rocprim17ROCPRIM_400000_NS6detail17trampoline_kernelINS0_14default_configENS1_27scan_by_key_config_selectorIiiEEZZNS1_16scan_by_key_implILNS1_25lookback_scan_determinismE0ELb0ES3_N6thrust23THRUST_200600_302600_NS10device_ptrIiEESB_SB_iNS9_4plusIvEENS9_8equal_toIvEEiEE10hipError_tPvRmT2_T3_T4_T5_mT6_T7_P12ihipStream_tbENKUlT_T0_E_clISt17integral_constantIbLb0EESV_IbLb1EEEEDaSR_SS_EUlSR_E_NS1_11comp_targetILNS1_3genE0ELNS1_11target_archE4294967295ELNS1_3gpuE0ELNS1_3repE0EEENS1_30default_config_static_selectorELNS0_4arch9wavefront6targetE0EEEvT1_.num_agpr, 0
	.set _ZN7rocprim17ROCPRIM_400000_NS6detail17trampoline_kernelINS0_14default_configENS1_27scan_by_key_config_selectorIiiEEZZNS1_16scan_by_key_implILNS1_25lookback_scan_determinismE0ELb0ES3_N6thrust23THRUST_200600_302600_NS10device_ptrIiEESB_SB_iNS9_4plusIvEENS9_8equal_toIvEEiEE10hipError_tPvRmT2_T3_T4_T5_mT6_T7_P12ihipStream_tbENKUlT_T0_E_clISt17integral_constantIbLb0EESV_IbLb1EEEEDaSR_SS_EUlSR_E_NS1_11comp_targetILNS1_3genE0ELNS1_11target_archE4294967295ELNS1_3gpuE0ELNS1_3repE0EEENS1_30default_config_static_selectorELNS0_4arch9wavefront6targetE0EEEvT1_.numbered_sgpr, 0
	.set _ZN7rocprim17ROCPRIM_400000_NS6detail17trampoline_kernelINS0_14default_configENS1_27scan_by_key_config_selectorIiiEEZZNS1_16scan_by_key_implILNS1_25lookback_scan_determinismE0ELb0ES3_N6thrust23THRUST_200600_302600_NS10device_ptrIiEESB_SB_iNS9_4plusIvEENS9_8equal_toIvEEiEE10hipError_tPvRmT2_T3_T4_T5_mT6_T7_P12ihipStream_tbENKUlT_T0_E_clISt17integral_constantIbLb0EESV_IbLb1EEEEDaSR_SS_EUlSR_E_NS1_11comp_targetILNS1_3genE0ELNS1_11target_archE4294967295ELNS1_3gpuE0ELNS1_3repE0EEENS1_30default_config_static_selectorELNS0_4arch9wavefront6targetE0EEEvT1_.num_named_barrier, 0
	.set _ZN7rocprim17ROCPRIM_400000_NS6detail17trampoline_kernelINS0_14default_configENS1_27scan_by_key_config_selectorIiiEEZZNS1_16scan_by_key_implILNS1_25lookback_scan_determinismE0ELb0ES3_N6thrust23THRUST_200600_302600_NS10device_ptrIiEESB_SB_iNS9_4plusIvEENS9_8equal_toIvEEiEE10hipError_tPvRmT2_T3_T4_T5_mT6_T7_P12ihipStream_tbENKUlT_T0_E_clISt17integral_constantIbLb0EESV_IbLb1EEEEDaSR_SS_EUlSR_E_NS1_11comp_targetILNS1_3genE0ELNS1_11target_archE4294967295ELNS1_3gpuE0ELNS1_3repE0EEENS1_30default_config_static_selectorELNS0_4arch9wavefront6targetE0EEEvT1_.private_seg_size, 0
	.set _ZN7rocprim17ROCPRIM_400000_NS6detail17trampoline_kernelINS0_14default_configENS1_27scan_by_key_config_selectorIiiEEZZNS1_16scan_by_key_implILNS1_25lookback_scan_determinismE0ELb0ES3_N6thrust23THRUST_200600_302600_NS10device_ptrIiEESB_SB_iNS9_4plusIvEENS9_8equal_toIvEEiEE10hipError_tPvRmT2_T3_T4_T5_mT6_T7_P12ihipStream_tbENKUlT_T0_E_clISt17integral_constantIbLb0EESV_IbLb1EEEEDaSR_SS_EUlSR_E_NS1_11comp_targetILNS1_3genE0ELNS1_11target_archE4294967295ELNS1_3gpuE0ELNS1_3repE0EEENS1_30default_config_static_selectorELNS0_4arch9wavefront6targetE0EEEvT1_.uses_vcc, 0
	.set _ZN7rocprim17ROCPRIM_400000_NS6detail17trampoline_kernelINS0_14default_configENS1_27scan_by_key_config_selectorIiiEEZZNS1_16scan_by_key_implILNS1_25lookback_scan_determinismE0ELb0ES3_N6thrust23THRUST_200600_302600_NS10device_ptrIiEESB_SB_iNS9_4plusIvEENS9_8equal_toIvEEiEE10hipError_tPvRmT2_T3_T4_T5_mT6_T7_P12ihipStream_tbENKUlT_T0_E_clISt17integral_constantIbLb0EESV_IbLb1EEEEDaSR_SS_EUlSR_E_NS1_11comp_targetILNS1_3genE0ELNS1_11target_archE4294967295ELNS1_3gpuE0ELNS1_3repE0EEENS1_30default_config_static_selectorELNS0_4arch9wavefront6targetE0EEEvT1_.uses_flat_scratch, 0
	.set _ZN7rocprim17ROCPRIM_400000_NS6detail17trampoline_kernelINS0_14default_configENS1_27scan_by_key_config_selectorIiiEEZZNS1_16scan_by_key_implILNS1_25lookback_scan_determinismE0ELb0ES3_N6thrust23THRUST_200600_302600_NS10device_ptrIiEESB_SB_iNS9_4plusIvEENS9_8equal_toIvEEiEE10hipError_tPvRmT2_T3_T4_T5_mT6_T7_P12ihipStream_tbENKUlT_T0_E_clISt17integral_constantIbLb0EESV_IbLb1EEEEDaSR_SS_EUlSR_E_NS1_11comp_targetILNS1_3genE0ELNS1_11target_archE4294967295ELNS1_3gpuE0ELNS1_3repE0EEENS1_30default_config_static_selectorELNS0_4arch9wavefront6targetE0EEEvT1_.has_dyn_sized_stack, 0
	.set _ZN7rocprim17ROCPRIM_400000_NS6detail17trampoline_kernelINS0_14default_configENS1_27scan_by_key_config_selectorIiiEEZZNS1_16scan_by_key_implILNS1_25lookback_scan_determinismE0ELb0ES3_N6thrust23THRUST_200600_302600_NS10device_ptrIiEESB_SB_iNS9_4plusIvEENS9_8equal_toIvEEiEE10hipError_tPvRmT2_T3_T4_T5_mT6_T7_P12ihipStream_tbENKUlT_T0_E_clISt17integral_constantIbLb0EESV_IbLb1EEEEDaSR_SS_EUlSR_E_NS1_11comp_targetILNS1_3genE0ELNS1_11target_archE4294967295ELNS1_3gpuE0ELNS1_3repE0EEENS1_30default_config_static_selectorELNS0_4arch9wavefront6targetE0EEEvT1_.has_recursion, 0
	.set _ZN7rocprim17ROCPRIM_400000_NS6detail17trampoline_kernelINS0_14default_configENS1_27scan_by_key_config_selectorIiiEEZZNS1_16scan_by_key_implILNS1_25lookback_scan_determinismE0ELb0ES3_N6thrust23THRUST_200600_302600_NS10device_ptrIiEESB_SB_iNS9_4plusIvEENS9_8equal_toIvEEiEE10hipError_tPvRmT2_T3_T4_T5_mT6_T7_P12ihipStream_tbENKUlT_T0_E_clISt17integral_constantIbLb0EESV_IbLb1EEEEDaSR_SS_EUlSR_E_NS1_11comp_targetILNS1_3genE0ELNS1_11target_archE4294967295ELNS1_3gpuE0ELNS1_3repE0EEENS1_30default_config_static_selectorELNS0_4arch9wavefront6targetE0EEEvT1_.has_indirect_call, 0
	.section	.AMDGPU.csdata,"",@progbits
; Kernel info:
; codeLenInByte = 0
; TotalNumSgprs: 0
; NumVgprs: 0
; ScratchSize: 0
; MemoryBound: 0
; FloatMode: 240
; IeeeMode: 1
; LDSByteSize: 0 bytes/workgroup (compile time only)
; SGPRBlocks: 0
; VGPRBlocks: 0
; NumSGPRsForWavesPerEU: 1
; NumVGPRsForWavesPerEU: 1
; Occupancy: 16
; WaveLimiterHint : 0
; COMPUTE_PGM_RSRC2:SCRATCH_EN: 0
; COMPUTE_PGM_RSRC2:USER_SGPR: 6
; COMPUTE_PGM_RSRC2:TRAP_HANDLER: 0
; COMPUTE_PGM_RSRC2:TGID_X_EN: 1
; COMPUTE_PGM_RSRC2:TGID_Y_EN: 0
; COMPUTE_PGM_RSRC2:TGID_Z_EN: 0
; COMPUTE_PGM_RSRC2:TIDIG_COMP_CNT: 0
	.section	.text._ZN7rocprim17ROCPRIM_400000_NS6detail17trampoline_kernelINS0_14default_configENS1_27scan_by_key_config_selectorIiiEEZZNS1_16scan_by_key_implILNS1_25lookback_scan_determinismE0ELb0ES3_N6thrust23THRUST_200600_302600_NS10device_ptrIiEESB_SB_iNS9_4plusIvEENS9_8equal_toIvEEiEE10hipError_tPvRmT2_T3_T4_T5_mT6_T7_P12ihipStream_tbENKUlT_T0_E_clISt17integral_constantIbLb0EESV_IbLb1EEEEDaSR_SS_EUlSR_E_NS1_11comp_targetILNS1_3genE10ELNS1_11target_archE1201ELNS1_3gpuE5ELNS1_3repE0EEENS1_30default_config_static_selectorELNS0_4arch9wavefront6targetE0EEEvT1_,"axG",@progbits,_ZN7rocprim17ROCPRIM_400000_NS6detail17trampoline_kernelINS0_14default_configENS1_27scan_by_key_config_selectorIiiEEZZNS1_16scan_by_key_implILNS1_25lookback_scan_determinismE0ELb0ES3_N6thrust23THRUST_200600_302600_NS10device_ptrIiEESB_SB_iNS9_4plusIvEENS9_8equal_toIvEEiEE10hipError_tPvRmT2_T3_T4_T5_mT6_T7_P12ihipStream_tbENKUlT_T0_E_clISt17integral_constantIbLb0EESV_IbLb1EEEEDaSR_SS_EUlSR_E_NS1_11comp_targetILNS1_3genE10ELNS1_11target_archE1201ELNS1_3gpuE5ELNS1_3repE0EEENS1_30default_config_static_selectorELNS0_4arch9wavefront6targetE0EEEvT1_,comdat
	.protected	_ZN7rocprim17ROCPRIM_400000_NS6detail17trampoline_kernelINS0_14default_configENS1_27scan_by_key_config_selectorIiiEEZZNS1_16scan_by_key_implILNS1_25lookback_scan_determinismE0ELb0ES3_N6thrust23THRUST_200600_302600_NS10device_ptrIiEESB_SB_iNS9_4plusIvEENS9_8equal_toIvEEiEE10hipError_tPvRmT2_T3_T4_T5_mT6_T7_P12ihipStream_tbENKUlT_T0_E_clISt17integral_constantIbLb0EESV_IbLb1EEEEDaSR_SS_EUlSR_E_NS1_11comp_targetILNS1_3genE10ELNS1_11target_archE1201ELNS1_3gpuE5ELNS1_3repE0EEENS1_30default_config_static_selectorELNS0_4arch9wavefront6targetE0EEEvT1_ ; -- Begin function _ZN7rocprim17ROCPRIM_400000_NS6detail17trampoline_kernelINS0_14default_configENS1_27scan_by_key_config_selectorIiiEEZZNS1_16scan_by_key_implILNS1_25lookback_scan_determinismE0ELb0ES3_N6thrust23THRUST_200600_302600_NS10device_ptrIiEESB_SB_iNS9_4plusIvEENS9_8equal_toIvEEiEE10hipError_tPvRmT2_T3_T4_T5_mT6_T7_P12ihipStream_tbENKUlT_T0_E_clISt17integral_constantIbLb0EESV_IbLb1EEEEDaSR_SS_EUlSR_E_NS1_11comp_targetILNS1_3genE10ELNS1_11target_archE1201ELNS1_3gpuE5ELNS1_3repE0EEENS1_30default_config_static_selectorELNS0_4arch9wavefront6targetE0EEEvT1_
	.globl	_ZN7rocprim17ROCPRIM_400000_NS6detail17trampoline_kernelINS0_14default_configENS1_27scan_by_key_config_selectorIiiEEZZNS1_16scan_by_key_implILNS1_25lookback_scan_determinismE0ELb0ES3_N6thrust23THRUST_200600_302600_NS10device_ptrIiEESB_SB_iNS9_4plusIvEENS9_8equal_toIvEEiEE10hipError_tPvRmT2_T3_T4_T5_mT6_T7_P12ihipStream_tbENKUlT_T0_E_clISt17integral_constantIbLb0EESV_IbLb1EEEEDaSR_SS_EUlSR_E_NS1_11comp_targetILNS1_3genE10ELNS1_11target_archE1201ELNS1_3gpuE5ELNS1_3repE0EEENS1_30default_config_static_selectorELNS0_4arch9wavefront6targetE0EEEvT1_
	.p2align	8
	.type	_ZN7rocprim17ROCPRIM_400000_NS6detail17trampoline_kernelINS0_14default_configENS1_27scan_by_key_config_selectorIiiEEZZNS1_16scan_by_key_implILNS1_25lookback_scan_determinismE0ELb0ES3_N6thrust23THRUST_200600_302600_NS10device_ptrIiEESB_SB_iNS9_4plusIvEENS9_8equal_toIvEEiEE10hipError_tPvRmT2_T3_T4_T5_mT6_T7_P12ihipStream_tbENKUlT_T0_E_clISt17integral_constantIbLb0EESV_IbLb1EEEEDaSR_SS_EUlSR_E_NS1_11comp_targetILNS1_3genE10ELNS1_11target_archE1201ELNS1_3gpuE5ELNS1_3repE0EEENS1_30default_config_static_selectorELNS0_4arch9wavefront6targetE0EEEvT1_,@function
_ZN7rocprim17ROCPRIM_400000_NS6detail17trampoline_kernelINS0_14default_configENS1_27scan_by_key_config_selectorIiiEEZZNS1_16scan_by_key_implILNS1_25lookback_scan_determinismE0ELb0ES3_N6thrust23THRUST_200600_302600_NS10device_ptrIiEESB_SB_iNS9_4plusIvEENS9_8equal_toIvEEiEE10hipError_tPvRmT2_T3_T4_T5_mT6_T7_P12ihipStream_tbENKUlT_T0_E_clISt17integral_constantIbLb0EESV_IbLb1EEEEDaSR_SS_EUlSR_E_NS1_11comp_targetILNS1_3genE10ELNS1_11target_archE1201ELNS1_3gpuE5ELNS1_3repE0EEENS1_30default_config_static_selectorELNS0_4arch9wavefront6targetE0EEEvT1_: ; @_ZN7rocprim17ROCPRIM_400000_NS6detail17trampoline_kernelINS0_14default_configENS1_27scan_by_key_config_selectorIiiEEZZNS1_16scan_by_key_implILNS1_25lookback_scan_determinismE0ELb0ES3_N6thrust23THRUST_200600_302600_NS10device_ptrIiEESB_SB_iNS9_4plusIvEENS9_8equal_toIvEEiEE10hipError_tPvRmT2_T3_T4_T5_mT6_T7_P12ihipStream_tbENKUlT_T0_E_clISt17integral_constantIbLb0EESV_IbLb1EEEEDaSR_SS_EUlSR_E_NS1_11comp_targetILNS1_3genE10ELNS1_11target_archE1201ELNS1_3gpuE5ELNS1_3repE0EEENS1_30default_config_static_selectorELNS0_4arch9wavefront6targetE0EEEvT1_
; %bb.0:
	.section	.rodata,"a",@progbits
	.p2align	6, 0x0
	.amdhsa_kernel _ZN7rocprim17ROCPRIM_400000_NS6detail17trampoline_kernelINS0_14default_configENS1_27scan_by_key_config_selectorIiiEEZZNS1_16scan_by_key_implILNS1_25lookback_scan_determinismE0ELb0ES3_N6thrust23THRUST_200600_302600_NS10device_ptrIiEESB_SB_iNS9_4plusIvEENS9_8equal_toIvEEiEE10hipError_tPvRmT2_T3_T4_T5_mT6_T7_P12ihipStream_tbENKUlT_T0_E_clISt17integral_constantIbLb0EESV_IbLb1EEEEDaSR_SS_EUlSR_E_NS1_11comp_targetILNS1_3genE10ELNS1_11target_archE1201ELNS1_3gpuE5ELNS1_3repE0EEENS1_30default_config_static_selectorELNS0_4arch9wavefront6targetE0EEEvT1_
		.amdhsa_group_segment_fixed_size 0
		.amdhsa_private_segment_fixed_size 0
		.amdhsa_kernarg_size 112
		.amdhsa_user_sgpr_count 6
		.amdhsa_user_sgpr_private_segment_buffer 1
		.amdhsa_user_sgpr_dispatch_ptr 0
		.amdhsa_user_sgpr_queue_ptr 0
		.amdhsa_user_sgpr_kernarg_segment_ptr 1
		.amdhsa_user_sgpr_dispatch_id 0
		.amdhsa_user_sgpr_flat_scratch_init 0
		.amdhsa_user_sgpr_private_segment_size 0
		.amdhsa_wavefront_size32 1
		.amdhsa_uses_dynamic_stack 0
		.amdhsa_system_sgpr_private_segment_wavefront_offset 0
		.amdhsa_system_sgpr_workgroup_id_x 1
		.amdhsa_system_sgpr_workgroup_id_y 0
		.amdhsa_system_sgpr_workgroup_id_z 0
		.amdhsa_system_sgpr_workgroup_info 0
		.amdhsa_system_vgpr_workitem_id 0
		.amdhsa_next_free_vgpr 1
		.amdhsa_next_free_sgpr 1
		.amdhsa_reserve_vcc 0
		.amdhsa_reserve_flat_scratch 0
		.amdhsa_float_round_mode_32 0
		.amdhsa_float_round_mode_16_64 0
		.amdhsa_float_denorm_mode_32 3
		.amdhsa_float_denorm_mode_16_64 3
		.amdhsa_dx10_clamp 1
		.amdhsa_ieee_mode 1
		.amdhsa_fp16_overflow 0
		.amdhsa_workgroup_processor_mode 1
		.amdhsa_memory_ordered 1
		.amdhsa_forward_progress 1
		.amdhsa_shared_vgpr_count 0
		.amdhsa_exception_fp_ieee_invalid_op 0
		.amdhsa_exception_fp_denorm_src 0
		.amdhsa_exception_fp_ieee_div_zero 0
		.amdhsa_exception_fp_ieee_overflow 0
		.amdhsa_exception_fp_ieee_underflow 0
		.amdhsa_exception_fp_ieee_inexact 0
		.amdhsa_exception_int_div_zero 0
	.end_amdhsa_kernel
	.section	.text._ZN7rocprim17ROCPRIM_400000_NS6detail17trampoline_kernelINS0_14default_configENS1_27scan_by_key_config_selectorIiiEEZZNS1_16scan_by_key_implILNS1_25lookback_scan_determinismE0ELb0ES3_N6thrust23THRUST_200600_302600_NS10device_ptrIiEESB_SB_iNS9_4plusIvEENS9_8equal_toIvEEiEE10hipError_tPvRmT2_T3_T4_T5_mT6_T7_P12ihipStream_tbENKUlT_T0_E_clISt17integral_constantIbLb0EESV_IbLb1EEEEDaSR_SS_EUlSR_E_NS1_11comp_targetILNS1_3genE10ELNS1_11target_archE1201ELNS1_3gpuE5ELNS1_3repE0EEENS1_30default_config_static_selectorELNS0_4arch9wavefront6targetE0EEEvT1_,"axG",@progbits,_ZN7rocprim17ROCPRIM_400000_NS6detail17trampoline_kernelINS0_14default_configENS1_27scan_by_key_config_selectorIiiEEZZNS1_16scan_by_key_implILNS1_25lookback_scan_determinismE0ELb0ES3_N6thrust23THRUST_200600_302600_NS10device_ptrIiEESB_SB_iNS9_4plusIvEENS9_8equal_toIvEEiEE10hipError_tPvRmT2_T3_T4_T5_mT6_T7_P12ihipStream_tbENKUlT_T0_E_clISt17integral_constantIbLb0EESV_IbLb1EEEEDaSR_SS_EUlSR_E_NS1_11comp_targetILNS1_3genE10ELNS1_11target_archE1201ELNS1_3gpuE5ELNS1_3repE0EEENS1_30default_config_static_selectorELNS0_4arch9wavefront6targetE0EEEvT1_,comdat
.Lfunc_end2225:
	.size	_ZN7rocprim17ROCPRIM_400000_NS6detail17trampoline_kernelINS0_14default_configENS1_27scan_by_key_config_selectorIiiEEZZNS1_16scan_by_key_implILNS1_25lookback_scan_determinismE0ELb0ES3_N6thrust23THRUST_200600_302600_NS10device_ptrIiEESB_SB_iNS9_4plusIvEENS9_8equal_toIvEEiEE10hipError_tPvRmT2_T3_T4_T5_mT6_T7_P12ihipStream_tbENKUlT_T0_E_clISt17integral_constantIbLb0EESV_IbLb1EEEEDaSR_SS_EUlSR_E_NS1_11comp_targetILNS1_3genE10ELNS1_11target_archE1201ELNS1_3gpuE5ELNS1_3repE0EEENS1_30default_config_static_selectorELNS0_4arch9wavefront6targetE0EEEvT1_, .Lfunc_end2225-_ZN7rocprim17ROCPRIM_400000_NS6detail17trampoline_kernelINS0_14default_configENS1_27scan_by_key_config_selectorIiiEEZZNS1_16scan_by_key_implILNS1_25lookback_scan_determinismE0ELb0ES3_N6thrust23THRUST_200600_302600_NS10device_ptrIiEESB_SB_iNS9_4plusIvEENS9_8equal_toIvEEiEE10hipError_tPvRmT2_T3_T4_T5_mT6_T7_P12ihipStream_tbENKUlT_T0_E_clISt17integral_constantIbLb0EESV_IbLb1EEEEDaSR_SS_EUlSR_E_NS1_11comp_targetILNS1_3genE10ELNS1_11target_archE1201ELNS1_3gpuE5ELNS1_3repE0EEENS1_30default_config_static_selectorELNS0_4arch9wavefront6targetE0EEEvT1_
                                        ; -- End function
	.set _ZN7rocprim17ROCPRIM_400000_NS6detail17trampoline_kernelINS0_14default_configENS1_27scan_by_key_config_selectorIiiEEZZNS1_16scan_by_key_implILNS1_25lookback_scan_determinismE0ELb0ES3_N6thrust23THRUST_200600_302600_NS10device_ptrIiEESB_SB_iNS9_4plusIvEENS9_8equal_toIvEEiEE10hipError_tPvRmT2_T3_T4_T5_mT6_T7_P12ihipStream_tbENKUlT_T0_E_clISt17integral_constantIbLb0EESV_IbLb1EEEEDaSR_SS_EUlSR_E_NS1_11comp_targetILNS1_3genE10ELNS1_11target_archE1201ELNS1_3gpuE5ELNS1_3repE0EEENS1_30default_config_static_selectorELNS0_4arch9wavefront6targetE0EEEvT1_.num_vgpr, 0
	.set _ZN7rocprim17ROCPRIM_400000_NS6detail17trampoline_kernelINS0_14default_configENS1_27scan_by_key_config_selectorIiiEEZZNS1_16scan_by_key_implILNS1_25lookback_scan_determinismE0ELb0ES3_N6thrust23THRUST_200600_302600_NS10device_ptrIiEESB_SB_iNS9_4plusIvEENS9_8equal_toIvEEiEE10hipError_tPvRmT2_T3_T4_T5_mT6_T7_P12ihipStream_tbENKUlT_T0_E_clISt17integral_constantIbLb0EESV_IbLb1EEEEDaSR_SS_EUlSR_E_NS1_11comp_targetILNS1_3genE10ELNS1_11target_archE1201ELNS1_3gpuE5ELNS1_3repE0EEENS1_30default_config_static_selectorELNS0_4arch9wavefront6targetE0EEEvT1_.num_agpr, 0
	.set _ZN7rocprim17ROCPRIM_400000_NS6detail17trampoline_kernelINS0_14default_configENS1_27scan_by_key_config_selectorIiiEEZZNS1_16scan_by_key_implILNS1_25lookback_scan_determinismE0ELb0ES3_N6thrust23THRUST_200600_302600_NS10device_ptrIiEESB_SB_iNS9_4plusIvEENS9_8equal_toIvEEiEE10hipError_tPvRmT2_T3_T4_T5_mT6_T7_P12ihipStream_tbENKUlT_T0_E_clISt17integral_constantIbLb0EESV_IbLb1EEEEDaSR_SS_EUlSR_E_NS1_11comp_targetILNS1_3genE10ELNS1_11target_archE1201ELNS1_3gpuE5ELNS1_3repE0EEENS1_30default_config_static_selectorELNS0_4arch9wavefront6targetE0EEEvT1_.numbered_sgpr, 0
	.set _ZN7rocprim17ROCPRIM_400000_NS6detail17trampoline_kernelINS0_14default_configENS1_27scan_by_key_config_selectorIiiEEZZNS1_16scan_by_key_implILNS1_25lookback_scan_determinismE0ELb0ES3_N6thrust23THRUST_200600_302600_NS10device_ptrIiEESB_SB_iNS9_4plusIvEENS9_8equal_toIvEEiEE10hipError_tPvRmT2_T3_T4_T5_mT6_T7_P12ihipStream_tbENKUlT_T0_E_clISt17integral_constantIbLb0EESV_IbLb1EEEEDaSR_SS_EUlSR_E_NS1_11comp_targetILNS1_3genE10ELNS1_11target_archE1201ELNS1_3gpuE5ELNS1_3repE0EEENS1_30default_config_static_selectorELNS0_4arch9wavefront6targetE0EEEvT1_.num_named_barrier, 0
	.set _ZN7rocprim17ROCPRIM_400000_NS6detail17trampoline_kernelINS0_14default_configENS1_27scan_by_key_config_selectorIiiEEZZNS1_16scan_by_key_implILNS1_25lookback_scan_determinismE0ELb0ES3_N6thrust23THRUST_200600_302600_NS10device_ptrIiEESB_SB_iNS9_4plusIvEENS9_8equal_toIvEEiEE10hipError_tPvRmT2_T3_T4_T5_mT6_T7_P12ihipStream_tbENKUlT_T0_E_clISt17integral_constantIbLb0EESV_IbLb1EEEEDaSR_SS_EUlSR_E_NS1_11comp_targetILNS1_3genE10ELNS1_11target_archE1201ELNS1_3gpuE5ELNS1_3repE0EEENS1_30default_config_static_selectorELNS0_4arch9wavefront6targetE0EEEvT1_.private_seg_size, 0
	.set _ZN7rocprim17ROCPRIM_400000_NS6detail17trampoline_kernelINS0_14default_configENS1_27scan_by_key_config_selectorIiiEEZZNS1_16scan_by_key_implILNS1_25lookback_scan_determinismE0ELb0ES3_N6thrust23THRUST_200600_302600_NS10device_ptrIiEESB_SB_iNS9_4plusIvEENS9_8equal_toIvEEiEE10hipError_tPvRmT2_T3_T4_T5_mT6_T7_P12ihipStream_tbENKUlT_T0_E_clISt17integral_constantIbLb0EESV_IbLb1EEEEDaSR_SS_EUlSR_E_NS1_11comp_targetILNS1_3genE10ELNS1_11target_archE1201ELNS1_3gpuE5ELNS1_3repE0EEENS1_30default_config_static_selectorELNS0_4arch9wavefront6targetE0EEEvT1_.uses_vcc, 0
	.set _ZN7rocprim17ROCPRIM_400000_NS6detail17trampoline_kernelINS0_14default_configENS1_27scan_by_key_config_selectorIiiEEZZNS1_16scan_by_key_implILNS1_25lookback_scan_determinismE0ELb0ES3_N6thrust23THRUST_200600_302600_NS10device_ptrIiEESB_SB_iNS9_4plusIvEENS9_8equal_toIvEEiEE10hipError_tPvRmT2_T3_T4_T5_mT6_T7_P12ihipStream_tbENKUlT_T0_E_clISt17integral_constantIbLb0EESV_IbLb1EEEEDaSR_SS_EUlSR_E_NS1_11comp_targetILNS1_3genE10ELNS1_11target_archE1201ELNS1_3gpuE5ELNS1_3repE0EEENS1_30default_config_static_selectorELNS0_4arch9wavefront6targetE0EEEvT1_.uses_flat_scratch, 0
	.set _ZN7rocprim17ROCPRIM_400000_NS6detail17trampoline_kernelINS0_14default_configENS1_27scan_by_key_config_selectorIiiEEZZNS1_16scan_by_key_implILNS1_25lookback_scan_determinismE0ELb0ES3_N6thrust23THRUST_200600_302600_NS10device_ptrIiEESB_SB_iNS9_4plusIvEENS9_8equal_toIvEEiEE10hipError_tPvRmT2_T3_T4_T5_mT6_T7_P12ihipStream_tbENKUlT_T0_E_clISt17integral_constantIbLb0EESV_IbLb1EEEEDaSR_SS_EUlSR_E_NS1_11comp_targetILNS1_3genE10ELNS1_11target_archE1201ELNS1_3gpuE5ELNS1_3repE0EEENS1_30default_config_static_selectorELNS0_4arch9wavefront6targetE0EEEvT1_.has_dyn_sized_stack, 0
	.set _ZN7rocprim17ROCPRIM_400000_NS6detail17trampoline_kernelINS0_14default_configENS1_27scan_by_key_config_selectorIiiEEZZNS1_16scan_by_key_implILNS1_25lookback_scan_determinismE0ELb0ES3_N6thrust23THRUST_200600_302600_NS10device_ptrIiEESB_SB_iNS9_4plusIvEENS9_8equal_toIvEEiEE10hipError_tPvRmT2_T3_T4_T5_mT6_T7_P12ihipStream_tbENKUlT_T0_E_clISt17integral_constantIbLb0EESV_IbLb1EEEEDaSR_SS_EUlSR_E_NS1_11comp_targetILNS1_3genE10ELNS1_11target_archE1201ELNS1_3gpuE5ELNS1_3repE0EEENS1_30default_config_static_selectorELNS0_4arch9wavefront6targetE0EEEvT1_.has_recursion, 0
	.set _ZN7rocprim17ROCPRIM_400000_NS6detail17trampoline_kernelINS0_14default_configENS1_27scan_by_key_config_selectorIiiEEZZNS1_16scan_by_key_implILNS1_25lookback_scan_determinismE0ELb0ES3_N6thrust23THRUST_200600_302600_NS10device_ptrIiEESB_SB_iNS9_4plusIvEENS9_8equal_toIvEEiEE10hipError_tPvRmT2_T3_T4_T5_mT6_T7_P12ihipStream_tbENKUlT_T0_E_clISt17integral_constantIbLb0EESV_IbLb1EEEEDaSR_SS_EUlSR_E_NS1_11comp_targetILNS1_3genE10ELNS1_11target_archE1201ELNS1_3gpuE5ELNS1_3repE0EEENS1_30default_config_static_selectorELNS0_4arch9wavefront6targetE0EEEvT1_.has_indirect_call, 0
	.section	.AMDGPU.csdata,"",@progbits
; Kernel info:
; codeLenInByte = 0
; TotalNumSgprs: 0
; NumVgprs: 0
; ScratchSize: 0
; MemoryBound: 0
; FloatMode: 240
; IeeeMode: 1
; LDSByteSize: 0 bytes/workgroup (compile time only)
; SGPRBlocks: 0
; VGPRBlocks: 0
; NumSGPRsForWavesPerEU: 1
; NumVGPRsForWavesPerEU: 1
; Occupancy: 16
; WaveLimiterHint : 0
; COMPUTE_PGM_RSRC2:SCRATCH_EN: 0
; COMPUTE_PGM_RSRC2:USER_SGPR: 6
; COMPUTE_PGM_RSRC2:TRAP_HANDLER: 0
; COMPUTE_PGM_RSRC2:TGID_X_EN: 1
; COMPUTE_PGM_RSRC2:TGID_Y_EN: 0
; COMPUTE_PGM_RSRC2:TGID_Z_EN: 0
; COMPUTE_PGM_RSRC2:TIDIG_COMP_CNT: 0
	.section	.text._ZN7rocprim17ROCPRIM_400000_NS6detail17trampoline_kernelINS0_14default_configENS1_27scan_by_key_config_selectorIiiEEZZNS1_16scan_by_key_implILNS1_25lookback_scan_determinismE0ELb0ES3_N6thrust23THRUST_200600_302600_NS10device_ptrIiEESB_SB_iNS9_4plusIvEENS9_8equal_toIvEEiEE10hipError_tPvRmT2_T3_T4_T5_mT6_T7_P12ihipStream_tbENKUlT_T0_E_clISt17integral_constantIbLb0EESV_IbLb1EEEEDaSR_SS_EUlSR_E_NS1_11comp_targetILNS1_3genE5ELNS1_11target_archE942ELNS1_3gpuE9ELNS1_3repE0EEENS1_30default_config_static_selectorELNS0_4arch9wavefront6targetE0EEEvT1_,"axG",@progbits,_ZN7rocprim17ROCPRIM_400000_NS6detail17trampoline_kernelINS0_14default_configENS1_27scan_by_key_config_selectorIiiEEZZNS1_16scan_by_key_implILNS1_25lookback_scan_determinismE0ELb0ES3_N6thrust23THRUST_200600_302600_NS10device_ptrIiEESB_SB_iNS9_4plusIvEENS9_8equal_toIvEEiEE10hipError_tPvRmT2_T3_T4_T5_mT6_T7_P12ihipStream_tbENKUlT_T0_E_clISt17integral_constantIbLb0EESV_IbLb1EEEEDaSR_SS_EUlSR_E_NS1_11comp_targetILNS1_3genE5ELNS1_11target_archE942ELNS1_3gpuE9ELNS1_3repE0EEENS1_30default_config_static_selectorELNS0_4arch9wavefront6targetE0EEEvT1_,comdat
	.protected	_ZN7rocprim17ROCPRIM_400000_NS6detail17trampoline_kernelINS0_14default_configENS1_27scan_by_key_config_selectorIiiEEZZNS1_16scan_by_key_implILNS1_25lookback_scan_determinismE0ELb0ES3_N6thrust23THRUST_200600_302600_NS10device_ptrIiEESB_SB_iNS9_4plusIvEENS9_8equal_toIvEEiEE10hipError_tPvRmT2_T3_T4_T5_mT6_T7_P12ihipStream_tbENKUlT_T0_E_clISt17integral_constantIbLb0EESV_IbLb1EEEEDaSR_SS_EUlSR_E_NS1_11comp_targetILNS1_3genE5ELNS1_11target_archE942ELNS1_3gpuE9ELNS1_3repE0EEENS1_30default_config_static_selectorELNS0_4arch9wavefront6targetE0EEEvT1_ ; -- Begin function _ZN7rocprim17ROCPRIM_400000_NS6detail17trampoline_kernelINS0_14default_configENS1_27scan_by_key_config_selectorIiiEEZZNS1_16scan_by_key_implILNS1_25lookback_scan_determinismE0ELb0ES3_N6thrust23THRUST_200600_302600_NS10device_ptrIiEESB_SB_iNS9_4plusIvEENS9_8equal_toIvEEiEE10hipError_tPvRmT2_T3_T4_T5_mT6_T7_P12ihipStream_tbENKUlT_T0_E_clISt17integral_constantIbLb0EESV_IbLb1EEEEDaSR_SS_EUlSR_E_NS1_11comp_targetILNS1_3genE5ELNS1_11target_archE942ELNS1_3gpuE9ELNS1_3repE0EEENS1_30default_config_static_selectorELNS0_4arch9wavefront6targetE0EEEvT1_
	.globl	_ZN7rocprim17ROCPRIM_400000_NS6detail17trampoline_kernelINS0_14default_configENS1_27scan_by_key_config_selectorIiiEEZZNS1_16scan_by_key_implILNS1_25lookback_scan_determinismE0ELb0ES3_N6thrust23THRUST_200600_302600_NS10device_ptrIiEESB_SB_iNS9_4plusIvEENS9_8equal_toIvEEiEE10hipError_tPvRmT2_T3_T4_T5_mT6_T7_P12ihipStream_tbENKUlT_T0_E_clISt17integral_constantIbLb0EESV_IbLb1EEEEDaSR_SS_EUlSR_E_NS1_11comp_targetILNS1_3genE5ELNS1_11target_archE942ELNS1_3gpuE9ELNS1_3repE0EEENS1_30default_config_static_selectorELNS0_4arch9wavefront6targetE0EEEvT1_
	.p2align	8
	.type	_ZN7rocprim17ROCPRIM_400000_NS6detail17trampoline_kernelINS0_14default_configENS1_27scan_by_key_config_selectorIiiEEZZNS1_16scan_by_key_implILNS1_25lookback_scan_determinismE0ELb0ES3_N6thrust23THRUST_200600_302600_NS10device_ptrIiEESB_SB_iNS9_4plusIvEENS9_8equal_toIvEEiEE10hipError_tPvRmT2_T3_T4_T5_mT6_T7_P12ihipStream_tbENKUlT_T0_E_clISt17integral_constantIbLb0EESV_IbLb1EEEEDaSR_SS_EUlSR_E_NS1_11comp_targetILNS1_3genE5ELNS1_11target_archE942ELNS1_3gpuE9ELNS1_3repE0EEENS1_30default_config_static_selectorELNS0_4arch9wavefront6targetE0EEEvT1_,@function
_ZN7rocprim17ROCPRIM_400000_NS6detail17trampoline_kernelINS0_14default_configENS1_27scan_by_key_config_selectorIiiEEZZNS1_16scan_by_key_implILNS1_25lookback_scan_determinismE0ELb0ES3_N6thrust23THRUST_200600_302600_NS10device_ptrIiEESB_SB_iNS9_4plusIvEENS9_8equal_toIvEEiEE10hipError_tPvRmT2_T3_T4_T5_mT6_T7_P12ihipStream_tbENKUlT_T0_E_clISt17integral_constantIbLb0EESV_IbLb1EEEEDaSR_SS_EUlSR_E_NS1_11comp_targetILNS1_3genE5ELNS1_11target_archE942ELNS1_3gpuE9ELNS1_3repE0EEENS1_30default_config_static_selectorELNS0_4arch9wavefront6targetE0EEEvT1_: ; @_ZN7rocprim17ROCPRIM_400000_NS6detail17trampoline_kernelINS0_14default_configENS1_27scan_by_key_config_selectorIiiEEZZNS1_16scan_by_key_implILNS1_25lookback_scan_determinismE0ELb0ES3_N6thrust23THRUST_200600_302600_NS10device_ptrIiEESB_SB_iNS9_4plusIvEENS9_8equal_toIvEEiEE10hipError_tPvRmT2_T3_T4_T5_mT6_T7_P12ihipStream_tbENKUlT_T0_E_clISt17integral_constantIbLb0EESV_IbLb1EEEEDaSR_SS_EUlSR_E_NS1_11comp_targetILNS1_3genE5ELNS1_11target_archE942ELNS1_3gpuE9ELNS1_3repE0EEENS1_30default_config_static_selectorELNS0_4arch9wavefront6targetE0EEEvT1_
; %bb.0:
	.section	.rodata,"a",@progbits
	.p2align	6, 0x0
	.amdhsa_kernel _ZN7rocprim17ROCPRIM_400000_NS6detail17trampoline_kernelINS0_14default_configENS1_27scan_by_key_config_selectorIiiEEZZNS1_16scan_by_key_implILNS1_25lookback_scan_determinismE0ELb0ES3_N6thrust23THRUST_200600_302600_NS10device_ptrIiEESB_SB_iNS9_4plusIvEENS9_8equal_toIvEEiEE10hipError_tPvRmT2_T3_T4_T5_mT6_T7_P12ihipStream_tbENKUlT_T0_E_clISt17integral_constantIbLb0EESV_IbLb1EEEEDaSR_SS_EUlSR_E_NS1_11comp_targetILNS1_3genE5ELNS1_11target_archE942ELNS1_3gpuE9ELNS1_3repE0EEENS1_30default_config_static_selectorELNS0_4arch9wavefront6targetE0EEEvT1_
		.amdhsa_group_segment_fixed_size 0
		.amdhsa_private_segment_fixed_size 0
		.amdhsa_kernarg_size 112
		.amdhsa_user_sgpr_count 6
		.amdhsa_user_sgpr_private_segment_buffer 1
		.amdhsa_user_sgpr_dispatch_ptr 0
		.amdhsa_user_sgpr_queue_ptr 0
		.amdhsa_user_sgpr_kernarg_segment_ptr 1
		.amdhsa_user_sgpr_dispatch_id 0
		.amdhsa_user_sgpr_flat_scratch_init 0
		.amdhsa_user_sgpr_private_segment_size 0
		.amdhsa_wavefront_size32 1
		.amdhsa_uses_dynamic_stack 0
		.amdhsa_system_sgpr_private_segment_wavefront_offset 0
		.amdhsa_system_sgpr_workgroup_id_x 1
		.amdhsa_system_sgpr_workgroup_id_y 0
		.amdhsa_system_sgpr_workgroup_id_z 0
		.amdhsa_system_sgpr_workgroup_info 0
		.amdhsa_system_vgpr_workitem_id 0
		.amdhsa_next_free_vgpr 1
		.amdhsa_next_free_sgpr 1
		.amdhsa_reserve_vcc 0
		.amdhsa_reserve_flat_scratch 0
		.amdhsa_float_round_mode_32 0
		.amdhsa_float_round_mode_16_64 0
		.amdhsa_float_denorm_mode_32 3
		.amdhsa_float_denorm_mode_16_64 3
		.amdhsa_dx10_clamp 1
		.amdhsa_ieee_mode 1
		.amdhsa_fp16_overflow 0
		.amdhsa_workgroup_processor_mode 1
		.amdhsa_memory_ordered 1
		.amdhsa_forward_progress 1
		.amdhsa_shared_vgpr_count 0
		.amdhsa_exception_fp_ieee_invalid_op 0
		.amdhsa_exception_fp_denorm_src 0
		.amdhsa_exception_fp_ieee_div_zero 0
		.amdhsa_exception_fp_ieee_overflow 0
		.amdhsa_exception_fp_ieee_underflow 0
		.amdhsa_exception_fp_ieee_inexact 0
		.amdhsa_exception_int_div_zero 0
	.end_amdhsa_kernel
	.section	.text._ZN7rocprim17ROCPRIM_400000_NS6detail17trampoline_kernelINS0_14default_configENS1_27scan_by_key_config_selectorIiiEEZZNS1_16scan_by_key_implILNS1_25lookback_scan_determinismE0ELb0ES3_N6thrust23THRUST_200600_302600_NS10device_ptrIiEESB_SB_iNS9_4plusIvEENS9_8equal_toIvEEiEE10hipError_tPvRmT2_T3_T4_T5_mT6_T7_P12ihipStream_tbENKUlT_T0_E_clISt17integral_constantIbLb0EESV_IbLb1EEEEDaSR_SS_EUlSR_E_NS1_11comp_targetILNS1_3genE5ELNS1_11target_archE942ELNS1_3gpuE9ELNS1_3repE0EEENS1_30default_config_static_selectorELNS0_4arch9wavefront6targetE0EEEvT1_,"axG",@progbits,_ZN7rocprim17ROCPRIM_400000_NS6detail17trampoline_kernelINS0_14default_configENS1_27scan_by_key_config_selectorIiiEEZZNS1_16scan_by_key_implILNS1_25lookback_scan_determinismE0ELb0ES3_N6thrust23THRUST_200600_302600_NS10device_ptrIiEESB_SB_iNS9_4plusIvEENS9_8equal_toIvEEiEE10hipError_tPvRmT2_T3_T4_T5_mT6_T7_P12ihipStream_tbENKUlT_T0_E_clISt17integral_constantIbLb0EESV_IbLb1EEEEDaSR_SS_EUlSR_E_NS1_11comp_targetILNS1_3genE5ELNS1_11target_archE942ELNS1_3gpuE9ELNS1_3repE0EEENS1_30default_config_static_selectorELNS0_4arch9wavefront6targetE0EEEvT1_,comdat
.Lfunc_end2226:
	.size	_ZN7rocprim17ROCPRIM_400000_NS6detail17trampoline_kernelINS0_14default_configENS1_27scan_by_key_config_selectorIiiEEZZNS1_16scan_by_key_implILNS1_25lookback_scan_determinismE0ELb0ES3_N6thrust23THRUST_200600_302600_NS10device_ptrIiEESB_SB_iNS9_4plusIvEENS9_8equal_toIvEEiEE10hipError_tPvRmT2_T3_T4_T5_mT6_T7_P12ihipStream_tbENKUlT_T0_E_clISt17integral_constantIbLb0EESV_IbLb1EEEEDaSR_SS_EUlSR_E_NS1_11comp_targetILNS1_3genE5ELNS1_11target_archE942ELNS1_3gpuE9ELNS1_3repE0EEENS1_30default_config_static_selectorELNS0_4arch9wavefront6targetE0EEEvT1_, .Lfunc_end2226-_ZN7rocprim17ROCPRIM_400000_NS6detail17trampoline_kernelINS0_14default_configENS1_27scan_by_key_config_selectorIiiEEZZNS1_16scan_by_key_implILNS1_25lookback_scan_determinismE0ELb0ES3_N6thrust23THRUST_200600_302600_NS10device_ptrIiEESB_SB_iNS9_4plusIvEENS9_8equal_toIvEEiEE10hipError_tPvRmT2_T3_T4_T5_mT6_T7_P12ihipStream_tbENKUlT_T0_E_clISt17integral_constantIbLb0EESV_IbLb1EEEEDaSR_SS_EUlSR_E_NS1_11comp_targetILNS1_3genE5ELNS1_11target_archE942ELNS1_3gpuE9ELNS1_3repE0EEENS1_30default_config_static_selectorELNS0_4arch9wavefront6targetE0EEEvT1_
                                        ; -- End function
	.set _ZN7rocprim17ROCPRIM_400000_NS6detail17trampoline_kernelINS0_14default_configENS1_27scan_by_key_config_selectorIiiEEZZNS1_16scan_by_key_implILNS1_25lookback_scan_determinismE0ELb0ES3_N6thrust23THRUST_200600_302600_NS10device_ptrIiEESB_SB_iNS9_4plusIvEENS9_8equal_toIvEEiEE10hipError_tPvRmT2_T3_T4_T5_mT6_T7_P12ihipStream_tbENKUlT_T0_E_clISt17integral_constantIbLb0EESV_IbLb1EEEEDaSR_SS_EUlSR_E_NS1_11comp_targetILNS1_3genE5ELNS1_11target_archE942ELNS1_3gpuE9ELNS1_3repE0EEENS1_30default_config_static_selectorELNS0_4arch9wavefront6targetE0EEEvT1_.num_vgpr, 0
	.set _ZN7rocprim17ROCPRIM_400000_NS6detail17trampoline_kernelINS0_14default_configENS1_27scan_by_key_config_selectorIiiEEZZNS1_16scan_by_key_implILNS1_25lookback_scan_determinismE0ELb0ES3_N6thrust23THRUST_200600_302600_NS10device_ptrIiEESB_SB_iNS9_4plusIvEENS9_8equal_toIvEEiEE10hipError_tPvRmT2_T3_T4_T5_mT6_T7_P12ihipStream_tbENKUlT_T0_E_clISt17integral_constantIbLb0EESV_IbLb1EEEEDaSR_SS_EUlSR_E_NS1_11comp_targetILNS1_3genE5ELNS1_11target_archE942ELNS1_3gpuE9ELNS1_3repE0EEENS1_30default_config_static_selectorELNS0_4arch9wavefront6targetE0EEEvT1_.num_agpr, 0
	.set _ZN7rocprim17ROCPRIM_400000_NS6detail17trampoline_kernelINS0_14default_configENS1_27scan_by_key_config_selectorIiiEEZZNS1_16scan_by_key_implILNS1_25lookback_scan_determinismE0ELb0ES3_N6thrust23THRUST_200600_302600_NS10device_ptrIiEESB_SB_iNS9_4plusIvEENS9_8equal_toIvEEiEE10hipError_tPvRmT2_T3_T4_T5_mT6_T7_P12ihipStream_tbENKUlT_T0_E_clISt17integral_constantIbLb0EESV_IbLb1EEEEDaSR_SS_EUlSR_E_NS1_11comp_targetILNS1_3genE5ELNS1_11target_archE942ELNS1_3gpuE9ELNS1_3repE0EEENS1_30default_config_static_selectorELNS0_4arch9wavefront6targetE0EEEvT1_.numbered_sgpr, 0
	.set _ZN7rocprim17ROCPRIM_400000_NS6detail17trampoline_kernelINS0_14default_configENS1_27scan_by_key_config_selectorIiiEEZZNS1_16scan_by_key_implILNS1_25lookback_scan_determinismE0ELb0ES3_N6thrust23THRUST_200600_302600_NS10device_ptrIiEESB_SB_iNS9_4plusIvEENS9_8equal_toIvEEiEE10hipError_tPvRmT2_T3_T4_T5_mT6_T7_P12ihipStream_tbENKUlT_T0_E_clISt17integral_constantIbLb0EESV_IbLb1EEEEDaSR_SS_EUlSR_E_NS1_11comp_targetILNS1_3genE5ELNS1_11target_archE942ELNS1_3gpuE9ELNS1_3repE0EEENS1_30default_config_static_selectorELNS0_4arch9wavefront6targetE0EEEvT1_.num_named_barrier, 0
	.set _ZN7rocprim17ROCPRIM_400000_NS6detail17trampoline_kernelINS0_14default_configENS1_27scan_by_key_config_selectorIiiEEZZNS1_16scan_by_key_implILNS1_25lookback_scan_determinismE0ELb0ES3_N6thrust23THRUST_200600_302600_NS10device_ptrIiEESB_SB_iNS9_4plusIvEENS9_8equal_toIvEEiEE10hipError_tPvRmT2_T3_T4_T5_mT6_T7_P12ihipStream_tbENKUlT_T0_E_clISt17integral_constantIbLb0EESV_IbLb1EEEEDaSR_SS_EUlSR_E_NS1_11comp_targetILNS1_3genE5ELNS1_11target_archE942ELNS1_3gpuE9ELNS1_3repE0EEENS1_30default_config_static_selectorELNS0_4arch9wavefront6targetE0EEEvT1_.private_seg_size, 0
	.set _ZN7rocprim17ROCPRIM_400000_NS6detail17trampoline_kernelINS0_14default_configENS1_27scan_by_key_config_selectorIiiEEZZNS1_16scan_by_key_implILNS1_25lookback_scan_determinismE0ELb0ES3_N6thrust23THRUST_200600_302600_NS10device_ptrIiEESB_SB_iNS9_4plusIvEENS9_8equal_toIvEEiEE10hipError_tPvRmT2_T3_T4_T5_mT6_T7_P12ihipStream_tbENKUlT_T0_E_clISt17integral_constantIbLb0EESV_IbLb1EEEEDaSR_SS_EUlSR_E_NS1_11comp_targetILNS1_3genE5ELNS1_11target_archE942ELNS1_3gpuE9ELNS1_3repE0EEENS1_30default_config_static_selectorELNS0_4arch9wavefront6targetE0EEEvT1_.uses_vcc, 0
	.set _ZN7rocprim17ROCPRIM_400000_NS6detail17trampoline_kernelINS0_14default_configENS1_27scan_by_key_config_selectorIiiEEZZNS1_16scan_by_key_implILNS1_25lookback_scan_determinismE0ELb0ES3_N6thrust23THRUST_200600_302600_NS10device_ptrIiEESB_SB_iNS9_4plusIvEENS9_8equal_toIvEEiEE10hipError_tPvRmT2_T3_T4_T5_mT6_T7_P12ihipStream_tbENKUlT_T0_E_clISt17integral_constantIbLb0EESV_IbLb1EEEEDaSR_SS_EUlSR_E_NS1_11comp_targetILNS1_3genE5ELNS1_11target_archE942ELNS1_3gpuE9ELNS1_3repE0EEENS1_30default_config_static_selectorELNS0_4arch9wavefront6targetE0EEEvT1_.uses_flat_scratch, 0
	.set _ZN7rocprim17ROCPRIM_400000_NS6detail17trampoline_kernelINS0_14default_configENS1_27scan_by_key_config_selectorIiiEEZZNS1_16scan_by_key_implILNS1_25lookback_scan_determinismE0ELb0ES3_N6thrust23THRUST_200600_302600_NS10device_ptrIiEESB_SB_iNS9_4plusIvEENS9_8equal_toIvEEiEE10hipError_tPvRmT2_T3_T4_T5_mT6_T7_P12ihipStream_tbENKUlT_T0_E_clISt17integral_constantIbLb0EESV_IbLb1EEEEDaSR_SS_EUlSR_E_NS1_11comp_targetILNS1_3genE5ELNS1_11target_archE942ELNS1_3gpuE9ELNS1_3repE0EEENS1_30default_config_static_selectorELNS0_4arch9wavefront6targetE0EEEvT1_.has_dyn_sized_stack, 0
	.set _ZN7rocprim17ROCPRIM_400000_NS6detail17trampoline_kernelINS0_14default_configENS1_27scan_by_key_config_selectorIiiEEZZNS1_16scan_by_key_implILNS1_25lookback_scan_determinismE0ELb0ES3_N6thrust23THRUST_200600_302600_NS10device_ptrIiEESB_SB_iNS9_4plusIvEENS9_8equal_toIvEEiEE10hipError_tPvRmT2_T3_T4_T5_mT6_T7_P12ihipStream_tbENKUlT_T0_E_clISt17integral_constantIbLb0EESV_IbLb1EEEEDaSR_SS_EUlSR_E_NS1_11comp_targetILNS1_3genE5ELNS1_11target_archE942ELNS1_3gpuE9ELNS1_3repE0EEENS1_30default_config_static_selectorELNS0_4arch9wavefront6targetE0EEEvT1_.has_recursion, 0
	.set _ZN7rocprim17ROCPRIM_400000_NS6detail17trampoline_kernelINS0_14default_configENS1_27scan_by_key_config_selectorIiiEEZZNS1_16scan_by_key_implILNS1_25lookback_scan_determinismE0ELb0ES3_N6thrust23THRUST_200600_302600_NS10device_ptrIiEESB_SB_iNS9_4plusIvEENS9_8equal_toIvEEiEE10hipError_tPvRmT2_T3_T4_T5_mT6_T7_P12ihipStream_tbENKUlT_T0_E_clISt17integral_constantIbLb0EESV_IbLb1EEEEDaSR_SS_EUlSR_E_NS1_11comp_targetILNS1_3genE5ELNS1_11target_archE942ELNS1_3gpuE9ELNS1_3repE0EEENS1_30default_config_static_selectorELNS0_4arch9wavefront6targetE0EEEvT1_.has_indirect_call, 0
	.section	.AMDGPU.csdata,"",@progbits
; Kernel info:
; codeLenInByte = 0
; TotalNumSgprs: 0
; NumVgprs: 0
; ScratchSize: 0
; MemoryBound: 0
; FloatMode: 240
; IeeeMode: 1
; LDSByteSize: 0 bytes/workgroup (compile time only)
; SGPRBlocks: 0
; VGPRBlocks: 0
; NumSGPRsForWavesPerEU: 1
; NumVGPRsForWavesPerEU: 1
; Occupancy: 16
; WaveLimiterHint : 0
; COMPUTE_PGM_RSRC2:SCRATCH_EN: 0
; COMPUTE_PGM_RSRC2:USER_SGPR: 6
; COMPUTE_PGM_RSRC2:TRAP_HANDLER: 0
; COMPUTE_PGM_RSRC2:TGID_X_EN: 1
; COMPUTE_PGM_RSRC2:TGID_Y_EN: 0
; COMPUTE_PGM_RSRC2:TGID_Z_EN: 0
; COMPUTE_PGM_RSRC2:TIDIG_COMP_CNT: 0
	.section	.text._ZN7rocprim17ROCPRIM_400000_NS6detail17trampoline_kernelINS0_14default_configENS1_27scan_by_key_config_selectorIiiEEZZNS1_16scan_by_key_implILNS1_25lookback_scan_determinismE0ELb0ES3_N6thrust23THRUST_200600_302600_NS10device_ptrIiEESB_SB_iNS9_4plusIvEENS9_8equal_toIvEEiEE10hipError_tPvRmT2_T3_T4_T5_mT6_T7_P12ihipStream_tbENKUlT_T0_E_clISt17integral_constantIbLb0EESV_IbLb1EEEEDaSR_SS_EUlSR_E_NS1_11comp_targetILNS1_3genE4ELNS1_11target_archE910ELNS1_3gpuE8ELNS1_3repE0EEENS1_30default_config_static_selectorELNS0_4arch9wavefront6targetE0EEEvT1_,"axG",@progbits,_ZN7rocprim17ROCPRIM_400000_NS6detail17trampoline_kernelINS0_14default_configENS1_27scan_by_key_config_selectorIiiEEZZNS1_16scan_by_key_implILNS1_25lookback_scan_determinismE0ELb0ES3_N6thrust23THRUST_200600_302600_NS10device_ptrIiEESB_SB_iNS9_4plusIvEENS9_8equal_toIvEEiEE10hipError_tPvRmT2_T3_T4_T5_mT6_T7_P12ihipStream_tbENKUlT_T0_E_clISt17integral_constantIbLb0EESV_IbLb1EEEEDaSR_SS_EUlSR_E_NS1_11comp_targetILNS1_3genE4ELNS1_11target_archE910ELNS1_3gpuE8ELNS1_3repE0EEENS1_30default_config_static_selectorELNS0_4arch9wavefront6targetE0EEEvT1_,comdat
	.protected	_ZN7rocprim17ROCPRIM_400000_NS6detail17trampoline_kernelINS0_14default_configENS1_27scan_by_key_config_selectorIiiEEZZNS1_16scan_by_key_implILNS1_25lookback_scan_determinismE0ELb0ES3_N6thrust23THRUST_200600_302600_NS10device_ptrIiEESB_SB_iNS9_4plusIvEENS9_8equal_toIvEEiEE10hipError_tPvRmT2_T3_T4_T5_mT6_T7_P12ihipStream_tbENKUlT_T0_E_clISt17integral_constantIbLb0EESV_IbLb1EEEEDaSR_SS_EUlSR_E_NS1_11comp_targetILNS1_3genE4ELNS1_11target_archE910ELNS1_3gpuE8ELNS1_3repE0EEENS1_30default_config_static_selectorELNS0_4arch9wavefront6targetE0EEEvT1_ ; -- Begin function _ZN7rocprim17ROCPRIM_400000_NS6detail17trampoline_kernelINS0_14default_configENS1_27scan_by_key_config_selectorIiiEEZZNS1_16scan_by_key_implILNS1_25lookback_scan_determinismE0ELb0ES3_N6thrust23THRUST_200600_302600_NS10device_ptrIiEESB_SB_iNS9_4plusIvEENS9_8equal_toIvEEiEE10hipError_tPvRmT2_T3_T4_T5_mT6_T7_P12ihipStream_tbENKUlT_T0_E_clISt17integral_constantIbLb0EESV_IbLb1EEEEDaSR_SS_EUlSR_E_NS1_11comp_targetILNS1_3genE4ELNS1_11target_archE910ELNS1_3gpuE8ELNS1_3repE0EEENS1_30default_config_static_selectorELNS0_4arch9wavefront6targetE0EEEvT1_
	.globl	_ZN7rocprim17ROCPRIM_400000_NS6detail17trampoline_kernelINS0_14default_configENS1_27scan_by_key_config_selectorIiiEEZZNS1_16scan_by_key_implILNS1_25lookback_scan_determinismE0ELb0ES3_N6thrust23THRUST_200600_302600_NS10device_ptrIiEESB_SB_iNS9_4plusIvEENS9_8equal_toIvEEiEE10hipError_tPvRmT2_T3_T4_T5_mT6_T7_P12ihipStream_tbENKUlT_T0_E_clISt17integral_constantIbLb0EESV_IbLb1EEEEDaSR_SS_EUlSR_E_NS1_11comp_targetILNS1_3genE4ELNS1_11target_archE910ELNS1_3gpuE8ELNS1_3repE0EEENS1_30default_config_static_selectorELNS0_4arch9wavefront6targetE0EEEvT1_
	.p2align	8
	.type	_ZN7rocprim17ROCPRIM_400000_NS6detail17trampoline_kernelINS0_14default_configENS1_27scan_by_key_config_selectorIiiEEZZNS1_16scan_by_key_implILNS1_25lookback_scan_determinismE0ELb0ES3_N6thrust23THRUST_200600_302600_NS10device_ptrIiEESB_SB_iNS9_4plusIvEENS9_8equal_toIvEEiEE10hipError_tPvRmT2_T3_T4_T5_mT6_T7_P12ihipStream_tbENKUlT_T0_E_clISt17integral_constantIbLb0EESV_IbLb1EEEEDaSR_SS_EUlSR_E_NS1_11comp_targetILNS1_3genE4ELNS1_11target_archE910ELNS1_3gpuE8ELNS1_3repE0EEENS1_30default_config_static_selectorELNS0_4arch9wavefront6targetE0EEEvT1_,@function
_ZN7rocprim17ROCPRIM_400000_NS6detail17trampoline_kernelINS0_14default_configENS1_27scan_by_key_config_selectorIiiEEZZNS1_16scan_by_key_implILNS1_25lookback_scan_determinismE0ELb0ES3_N6thrust23THRUST_200600_302600_NS10device_ptrIiEESB_SB_iNS9_4plusIvEENS9_8equal_toIvEEiEE10hipError_tPvRmT2_T3_T4_T5_mT6_T7_P12ihipStream_tbENKUlT_T0_E_clISt17integral_constantIbLb0EESV_IbLb1EEEEDaSR_SS_EUlSR_E_NS1_11comp_targetILNS1_3genE4ELNS1_11target_archE910ELNS1_3gpuE8ELNS1_3repE0EEENS1_30default_config_static_selectorELNS0_4arch9wavefront6targetE0EEEvT1_: ; @_ZN7rocprim17ROCPRIM_400000_NS6detail17trampoline_kernelINS0_14default_configENS1_27scan_by_key_config_selectorIiiEEZZNS1_16scan_by_key_implILNS1_25lookback_scan_determinismE0ELb0ES3_N6thrust23THRUST_200600_302600_NS10device_ptrIiEESB_SB_iNS9_4plusIvEENS9_8equal_toIvEEiEE10hipError_tPvRmT2_T3_T4_T5_mT6_T7_P12ihipStream_tbENKUlT_T0_E_clISt17integral_constantIbLb0EESV_IbLb1EEEEDaSR_SS_EUlSR_E_NS1_11comp_targetILNS1_3genE4ELNS1_11target_archE910ELNS1_3gpuE8ELNS1_3repE0EEENS1_30default_config_static_selectorELNS0_4arch9wavefront6targetE0EEEvT1_
; %bb.0:
	.section	.rodata,"a",@progbits
	.p2align	6, 0x0
	.amdhsa_kernel _ZN7rocprim17ROCPRIM_400000_NS6detail17trampoline_kernelINS0_14default_configENS1_27scan_by_key_config_selectorIiiEEZZNS1_16scan_by_key_implILNS1_25lookback_scan_determinismE0ELb0ES3_N6thrust23THRUST_200600_302600_NS10device_ptrIiEESB_SB_iNS9_4plusIvEENS9_8equal_toIvEEiEE10hipError_tPvRmT2_T3_T4_T5_mT6_T7_P12ihipStream_tbENKUlT_T0_E_clISt17integral_constantIbLb0EESV_IbLb1EEEEDaSR_SS_EUlSR_E_NS1_11comp_targetILNS1_3genE4ELNS1_11target_archE910ELNS1_3gpuE8ELNS1_3repE0EEENS1_30default_config_static_selectorELNS0_4arch9wavefront6targetE0EEEvT1_
		.amdhsa_group_segment_fixed_size 0
		.amdhsa_private_segment_fixed_size 0
		.amdhsa_kernarg_size 112
		.amdhsa_user_sgpr_count 6
		.amdhsa_user_sgpr_private_segment_buffer 1
		.amdhsa_user_sgpr_dispatch_ptr 0
		.amdhsa_user_sgpr_queue_ptr 0
		.amdhsa_user_sgpr_kernarg_segment_ptr 1
		.amdhsa_user_sgpr_dispatch_id 0
		.amdhsa_user_sgpr_flat_scratch_init 0
		.amdhsa_user_sgpr_private_segment_size 0
		.amdhsa_wavefront_size32 1
		.amdhsa_uses_dynamic_stack 0
		.amdhsa_system_sgpr_private_segment_wavefront_offset 0
		.amdhsa_system_sgpr_workgroup_id_x 1
		.amdhsa_system_sgpr_workgroup_id_y 0
		.amdhsa_system_sgpr_workgroup_id_z 0
		.amdhsa_system_sgpr_workgroup_info 0
		.amdhsa_system_vgpr_workitem_id 0
		.amdhsa_next_free_vgpr 1
		.amdhsa_next_free_sgpr 1
		.amdhsa_reserve_vcc 0
		.amdhsa_reserve_flat_scratch 0
		.amdhsa_float_round_mode_32 0
		.amdhsa_float_round_mode_16_64 0
		.amdhsa_float_denorm_mode_32 3
		.amdhsa_float_denorm_mode_16_64 3
		.amdhsa_dx10_clamp 1
		.amdhsa_ieee_mode 1
		.amdhsa_fp16_overflow 0
		.amdhsa_workgroup_processor_mode 1
		.amdhsa_memory_ordered 1
		.amdhsa_forward_progress 1
		.amdhsa_shared_vgpr_count 0
		.amdhsa_exception_fp_ieee_invalid_op 0
		.amdhsa_exception_fp_denorm_src 0
		.amdhsa_exception_fp_ieee_div_zero 0
		.amdhsa_exception_fp_ieee_overflow 0
		.amdhsa_exception_fp_ieee_underflow 0
		.amdhsa_exception_fp_ieee_inexact 0
		.amdhsa_exception_int_div_zero 0
	.end_amdhsa_kernel
	.section	.text._ZN7rocprim17ROCPRIM_400000_NS6detail17trampoline_kernelINS0_14default_configENS1_27scan_by_key_config_selectorIiiEEZZNS1_16scan_by_key_implILNS1_25lookback_scan_determinismE0ELb0ES3_N6thrust23THRUST_200600_302600_NS10device_ptrIiEESB_SB_iNS9_4plusIvEENS9_8equal_toIvEEiEE10hipError_tPvRmT2_T3_T4_T5_mT6_T7_P12ihipStream_tbENKUlT_T0_E_clISt17integral_constantIbLb0EESV_IbLb1EEEEDaSR_SS_EUlSR_E_NS1_11comp_targetILNS1_3genE4ELNS1_11target_archE910ELNS1_3gpuE8ELNS1_3repE0EEENS1_30default_config_static_selectorELNS0_4arch9wavefront6targetE0EEEvT1_,"axG",@progbits,_ZN7rocprim17ROCPRIM_400000_NS6detail17trampoline_kernelINS0_14default_configENS1_27scan_by_key_config_selectorIiiEEZZNS1_16scan_by_key_implILNS1_25lookback_scan_determinismE0ELb0ES3_N6thrust23THRUST_200600_302600_NS10device_ptrIiEESB_SB_iNS9_4plusIvEENS9_8equal_toIvEEiEE10hipError_tPvRmT2_T3_T4_T5_mT6_T7_P12ihipStream_tbENKUlT_T0_E_clISt17integral_constantIbLb0EESV_IbLb1EEEEDaSR_SS_EUlSR_E_NS1_11comp_targetILNS1_3genE4ELNS1_11target_archE910ELNS1_3gpuE8ELNS1_3repE0EEENS1_30default_config_static_selectorELNS0_4arch9wavefront6targetE0EEEvT1_,comdat
.Lfunc_end2227:
	.size	_ZN7rocprim17ROCPRIM_400000_NS6detail17trampoline_kernelINS0_14default_configENS1_27scan_by_key_config_selectorIiiEEZZNS1_16scan_by_key_implILNS1_25lookback_scan_determinismE0ELb0ES3_N6thrust23THRUST_200600_302600_NS10device_ptrIiEESB_SB_iNS9_4plusIvEENS9_8equal_toIvEEiEE10hipError_tPvRmT2_T3_T4_T5_mT6_T7_P12ihipStream_tbENKUlT_T0_E_clISt17integral_constantIbLb0EESV_IbLb1EEEEDaSR_SS_EUlSR_E_NS1_11comp_targetILNS1_3genE4ELNS1_11target_archE910ELNS1_3gpuE8ELNS1_3repE0EEENS1_30default_config_static_selectorELNS0_4arch9wavefront6targetE0EEEvT1_, .Lfunc_end2227-_ZN7rocprim17ROCPRIM_400000_NS6detail17trampoline_kernelINS0_14default_configENS1_27scan_by_key_config_selectorIiiEEZZNS1_16scan_by_key_implILNS1_25lookback_scan_determinismE0ELb0ES3_N6thrust23THRUST_200600_302600_NS10device_ptrIiEESB_SB_iNS9_4plusIvEENS9_8equal_toIvEEiEE10hipError_tPvRmT2_T3_T4_T5_mT6_T7_P12ihipStream_tbENKUlT_T0_E_clISt17integral_constantIbLb0EESV_IbLb1EEEEDaSR_SS_EUlSR_E_NS1_11comp_targetILNS1_3genE4ELNS1_11target_archE910ELNS1_3gpuE8ELNS1_3repE0EEENS1_30default_config_static_selectorELNS0_4arch9wavefront6targetE0EEEvT1_
                                        ; -- End function
	.set _ZN7rocprim17ROCPRIM_400000_NS6detail17trampoline_kernelINS0_14default_configENS1_27scan_by_key_config_selectorIiiEEZZNS1_16scan_by_key_implILNS1_25lookback_scan_determinismE0ELb0ES3_N6thrust23THRUST_200600_302600_NS10device_ptrIiEESB_SB_iNS9_4plusIvEENS9_8equal_toIvEEiEE10hipError_tPvRmT2_T3_T4_T5_mT6_T7_P12ihipStream_tbENKUlT_T0_E_clISt17integral_constantIbLb0EESV_IbLb1EEEEDaSR_SS_EUlSR_E_NS1_11comp_targetILNS1_3genE4ELNS1_11target_archE910ELNS1_3gpuE8ELNS1_3repE0EEENS1_30default_config_static_selectorELNS0_4arch9wavefront6targetE0EEEvT1_.num_vgpr, 0
	.set _ZN7rocprim17ROCPRIM_400000_NS6detail17trampoline_kernelINS0_14default_configENS1_27scan_by_key_config_selectorIiiEEZZNS1_16scan_by_key_implILNS1_25lookback_scan_determinismE0ELb0ES3_N6thrust23THRUST_200600_302600_NS10device_ptrIiEESB_SB_iNS9_4plusIvEENS9_8equal_toIvEEiEE10hipError_tPvRmT2_T3_T4_T5_mT6_T7_P12ihipStream_tbENKUlT_T0_E_clISt17integral_constantIbLb0EESV_IbLb1EEEEDaSR_SS_EUlSR_E_NS1_11comp_targetILNS1_3genE4ELNS1_11target_archE910ELNS1_3gpuE8ELNS1_3repE0EEENS1_30default_config_static_selectorELNS0_4arch9wavefront6targetE0EEEvT1_.num_agpr, 0
	.set _ZN7rocprim17ROCPRIM_400000_NS6detail17trampoline_kernelINS0_14default_configENS1_27scan_by_key_config_selectorIiiEEZZNS1_16scan_by_key_implILNS1_25lookback_scan_determinismE0ELb0ES3_N6thrust23THRUST_200600_302600_NS10device_ptrIiEESB_SB_iNS9_4plusIvEENS9_8equal_toIvEEiEE10hipError_tPvRmT2_T3_T4_T5_mT6_T7_P12ihipStream_tbENKUlT_T0_E_clISt17integral_constantIbLb0EESV_IbLb1EEEEDaSR_SS_EUlSR_E_NS1_11comp_targetILNS1_3genE4ELNS1_11target_archE910ELNS1_3gpuE8ELNS1_3repE0EEENS1_30default_config_static_selectorELNS0_4arch9wavefront6targetE0EEEvT1_.numbered_sgpr, 0
	.set _ZN7rocprim17ROCPRIM_400000_NS6detail17trampoline_kernelINS0_14default_configENS1_27scan_by_key_config_selectorIiiEEZZNS1_16scan_by_key_implILNS1_25lookback_scan_determinismE0ELb0ES3_N6thrust23THRUST_200600_302600_NS10device_ptrIiEESB_SB_iNS9_4plusIvEENS9_8equal_toIvEEiEE10hipError_tPvRmT2_T3_T4_T5_mT6_T7_P12ihipStream_tbENKUlT_T0_E_clISt17integral_constantIbLb0EESV_IbLb1EEEEDaSR_SS_EUlSR_E_NS1_11comp_targetILNS1_3genE4ELNS1_11target_archE910ELNS1_3gpuE8ELNS1_3repE0EEENS1_30default_config_static_selectorELNS0_4arch9wavefront6targetE0EEEvT1_.num_named_barrier, 0
	.set _ZN7rocprim17ROCPRIM_400000_NS6detail17trampoline_kernelINS0_14default_configENS1_27scan_by_key_config_selectorIiiEEZZNS1_16scan_by_key_implILNS1_25lookback_scan_determinismE0ELb0ES3_N6thrust23THRUST_200600_302600_NS10device_ptrIiEESB_SB_iNS9_4plusIvEENS9_8equal_toIvEEiEE10hipError_tPvRmT2_T3_T4_T5_mT6_T7_P12ihipStream_tbENKUlT_T0_E_clISt17integral_constantIbLb0EESV_IbLb1EEEEDaSR_SS_EUlSR_E_NS1_11comp_targetILNS1_3genE4ELNS1_11target_archE910ELNS1_3gpuE8ELNS1_3repE0EEENS1_30default_config_static_selectorELNS0_4arch9wavefront6targetE0EEEvT1_.private_seg_size, 0
	.set _ZN7rocprim17ROCPRIM_400000_NS6detail17trampoline_kernelINS0_14default_configENS1_27scan_by_key_config_selectorIiiEEZZNS1_16scan_by_key_implILNS1_25lookback_scan_determinismE0ELb0ES3_N6thrust23THRUST_200600_302600_NS10device_ptrIiEESB_SB_iNS9_4plusIvEENS9_8equal_toIvEEiEE10hipError_tPvRmT2_T3_T4_T5_mT6_T7_P12ihipStream_tbENKUlT_T0_E_clISt17integral_constantIbLb0EESV_IbLb1EEEEDaSR_SS_EUlSR_E_NS1_11comp_targetILNS1_3genE4ELNS1_11target_archE910ELNS1_3gpuE8ELNS1_3repE0EEENS1_30default_config_static_selectorELNS0_4arch9wavefront6targetE0EEEvT1_.uses_vcc, 0
	.set _ZN7rocprim17ROCPRIM_400000_NS6detail17trampoline_kernelINS0_14default_configENS1_27scan_by_key_config_selectorIiiEEZZNS1_16scan_by_key_implILNS1_25lookback_scan_determinismE0ELb0ES3_N6thrust23THRUST_200600_302600_NS10device_ptrIiEESB_SB_iNS9_4plusIvEENS9_8equal_toIvEEiEE10hipError_tPvRmT2_T3_T4_T5_mT6_T7_P12ihipStream_tbENKUlT_T0_E_clISt17integral_constantIbLb0EESV_IbLb1EEEEDaSR_SS_EUlSR_E_NS1_11comp_targetILNS1_3genE4ELNS1_11target_archE910ELNS1_3gpuE8ELNS1_3repE0EEENS1_30default_config_static_selectorELNS0_4arch9wavefront6targetE0EEEvT1_.uses_flat_scratch, 0
	.set _ZN7rocprim17ROCPRIM_400000_NS6detail17trampoline_kernelINS0_14default_configENS1_27scan_by_key_config_selectorIiiEEZZNS1_16scan_by_key_implILNS1_25lookback_scan_determinismE0ELb0ES3_N6thrust23THRUST_200600_302600_NS10device_ptrIiEESB_SB_iNS9_4plusIvEENS9_8equal_toIvEEiEE10hipError_tPvRmT2_T3_T4_T5_mT6_T7_P12ihipStream_tbENKUlT_T0_E_clISt17integral_constantIbLb0EESV_IbLb1EEEEDaSR_SS_EUlSR_E_NS1_11comp_targetILNS1_3genE4ELNS1_11target_archE910ELNS1_3gpuE8ELNS1_3repE0EEENS1_30default_config_static_selectorELNS0_4arch9wavefront6targetE0EEEvT1_.has_dyn_sized_stack, 0
	.set _ZN7rocprim17ROCPRIM_400000_NS6detail17trampoline_kernelINS0_14default_configENS1_27scan_by_key_config_selectorIiiEEZZNS1_16scan_by_key_implILNS1_25lookback_scan_determinismE0ELb0ES3_N6thrust23THRUST_200600_302600_NS10device_ptrIiEESB_SB_iNS9_4plusIvEENS9_8equal_toIvEEiEE10hipError_tPvRmT2_T3_T4_T5_mT6_T7_P12ihipStream_tbENKUlT_T0_E_clISt17integral_constantIbLb0EESV_IbLb1EEEEDaSR_SS_EUlSR_E_NS1_11comp_targetILNS1_3genE4ELNS1_11target_archE910ELNS1_3gpuE8ELNS1_3repE0EEENS1_30default_config_static_selectorELNS0_4arch9wavefront6targetE0EEEvT1_.has_recursion, 0
	.set _ZN7rocprim17ROCPRIM_400000_NS6detail17trampoline_kernelINS0_14default_configENS1_27scan_by_key_config_selectorIiiEEZZNS1_16scan_by_key_implILNS1_25lookback_scan_determinismE0ELb0ES3_N6thrust23THRUST_200600_302600_NS10device_ptrIiEESB_SB_iNS9_4plusIvEENS9_8equal_toIvEEiEE10hipError_tPvRmT2_T3_T4_T5_mT6_T7_P12ihipStream_tbENKUlT_T0_E_clISt17integral_constantIbLb0EESV_IbLb1EEEEDaSR_SS_EUlSR_E_NS1_11comp_targetILNS1_3genE4ELNS1_11target_archE910ELNS1_3gpuE8ELNS1_3repE0EEENS1_30default_config_static_selectorELNS0_4arch9wavefront6targetE0EEEvT1_.has_indirect_call, 0
	.section	.AMDGPU.csdata,"",@progbits
; Kernel info:
; codeLenInByte = 0
; TotalNumSgprs: 0
; NumVgprs: 0
; ScratchSize: 0
; MemoryBound: 0
; FloatMode: 240
; IeeeMode: 1
; LDSByteSize: 0 bytes/workgroup (compile time only)
; SGPRBlocks: 0
; VGPRBlocks: 0
; NumSGPRsForWavesPerEU: 1
; NumVGPRsForWavesPerEU: 1
; Occupancy: 16
; WaveLimiterHint : 0
; COMPUTE_PGM_RSRC2:SCRATCH_EN: 0
; COMPUTE_PGM_RSRC2:USER_SGPR: 6
; COMPUTE_PGM_RSRC2:TRAP_HANDLER: 0
; COMPUTE_PGM_RSRC2:TGID_X_EN: 1
; COMPUTE_PGM_RSRC2:TGID_Y_EN: 0
; COMPUTE_PGM_RSRC2:TGID_Z_EN: 0
; COMPUTE_PGM_RSRC2:TIDIG_COMP_CNT: 0
	.section	.text._ZN7rocprim17ROCPRIM_400000_NS6detail17trampoline_kernelINS0_14default_configENS1_27scan_by_key_config_selectorIiiEEZZNS1_16scan_by_key_implILNS1_25lookback_scan_determinismE0ELb0ES3_N6thrust23THRUST_200600_302600_NS10device_ptrIiEESB_SB_iNS9_4plusIvEENS9_8equal_toIvEEiEE10hipError_tPvRmT2_T3_T4_T5_mT6_T7_P12ihipStream_tbENKUlT_T0_E_clISt17integral_constantIbLb0EESV_IbLb1EEEEDaSR_SS_EUlSR_E_NS1_11comp_targetILNS1_3genE3ELNS1_11target_archE908ELNS1_3gpuE7ELNS1_3repE0EEENS1_30default_config_static_selectorELNS0_4arch9wavefront6targetE0EEEvT1_,"axG",@progbits,_ZN7rocprim17ROCPRIM_400000_NS6detail17trampoline_kernelINS0_14default_configENS1_27scan_by_key_config_selectorIiiEEZZNS1_16scan_by_key_implILNS1_25lookback_scan_determinismE0ELb0ES3_N6thrust23THRUST_200600_302600_NS10device_ptrIiEESB_SB_iNS9_4plusIvEENS9_8equal_toIvEEiEE10hipError_tPvRmT2_T3_T4_T5_mT6_T7_P12ihipStream_tbENKUlT_T0_E_clISt17integral_constantIbLb0EESV_IbLb1EEEEDaSR_SS_EUlSR_E_NS1_11comp_targetILNS1_3genE3ELNS1_11target_archE908ELNS1_3gpuE7ELNS1_3repE0EEENS1_30default_config_static_selectorELNS0_4arch9wavefront6targetE0EEEvT1_,comdat
	.protected	_ZN7rocprim17ROCPRIM_400000_NS6detail17trampoline_kernelINS0_14default_configENS1_27scan_by_key_config_selectorIiiEEZZNS1_16scan_by_key_implILNS1_25lookback_scan_determinismE0ELb0ES3_N6thrust23THRUST_200600_302600_NS10device_ptrIiEESB_SB_iNS9_4plusIvEENS9_8equal_toIvEEiEE10hipError_tPvRmT2_T3_T4_T5_mT6_T7_P12ihipStream_tbENKUlT_T0_E_clISt17integral_constantIbLb0EESV_IbLb1EEEEDaSR_SS_EUlSR_E_NS1_11comp_targetILNS1_3genE3ELNS1_11target_archE908ELNS1_3gpuE7ELNS1_3repE0EEENS1_30default_config_static_selectorELNS0_4arch9wavefront6targetE0EEEvT1_ ; -- Begin function _ZN7rocprim17ROCPRIM_400000_NS6detail17trampoline_kernelINS0_14default_configENS1_27scan_by_key_config_selectorIiiEEZZNS1_16scan_by_key_implILNS1_25lookback_scan_determinismE0ELb0ES3_N6thrust23THRUST_200600_302600_NS10device_ptrIiEESB_SB_iNS9_4plusIvEENS9_8equal_toIvEEiEE10hipError_tPvRmT2_T3_T4_T5_mT6_T7_P12ihipStream_tbENKUlT_T0_E_clISt17integral_constantIbLb0EESV_IbLb1EEEEDaSR_SS_EUlSR_E_NS1_11comp_targetILNS1_3genE3ELNS1_11target_archE908ELNS1_3gpuE7ELNS1_3repE0EEENS1_30default_config_static_selectorELNS0_4arch9wavefront6targetE0EEEvT1_
	.globl	_ZN7rocprim17ROCPRIM_400000_NS6detail17trampoline_kernelINS0_14default_configENS1_27scan_by_key_config_selectorIiiEEZZNS1_16scan_by_key_implILNS1_25lookback_scan_determinismE0ELb0ES3_N6thrust23THRUST_200600_302600_NS10device_ptrIiEESB_SB_iNS9_4plusIvEENS9_8equal_toIvEEiEE10hipError_tPvRmT2_T3_T4_T5_mT6_T7_P12ihipStream_tbENKUlT_T0_E_clISt17integral_constantIbLb0EESV_IbLb1EEEEDaSR_SS_EUlSR_E_NS1_11comp_targetILNS1_3genE3ELNS1_11target_archE908ELNS1_3gpuE7ELNS1_3repE0EEENS1_30default_config_static_selectorELNS0_4arch9wavefront6targetE0EEEvT1_
	.p2align	8
	.type	_ZN7rocprim17ROCPRIM_400000_NS6detail17trampoline_kernelINS0_14default_configENS1_27scan_by_key_config_selectorIiiEEZZNS1_16scan_by_key_implILNS1_25lookback_scan_determinismE0ELb0ES3_N6thrust23THRUST_200600_302600_NS10device_ptrIiEESB_SB_iNS9_4plusIvEENS9_8equal_toIvEEiEE10hipError_tPvRmT2_T3_T4_T5_mT6_T7_P12ihipStream_tbENKUlT_T0_E_clISt17integral_constantIbLb0EESV_IbLb1EEEEDaSR_SS_EUlSR_E_NS1_11comp_targetILNS1_3genE3ELNS1_11target_archE908ELNS1_3gpuE7ELNS1_3repE0EEENS1_30default_config_static_selectorELNS0_4arch9wavefront6targetE0EEEvT1_,@function
_ZN7rocprim17ROCPRIM_400000_NS6detail17trampoline_kernelINS0_14default_configENS1_27scan_by_key_config_selectorIiiEEZZNS1_16scan_by_key_implILNS1_25lookback_scan_determinismE0ELb0ES3_N6thrust23THRUST_200600_302600_NS10device_ptrIiEESB_SB_iNS9_4plusIvEENS9_8equal_toIvEEiEE10hipError_tPvRmT2_T3_T4_T5_mT6_T7_P12ihipStream_tbENKUlT_T0_E_clISt17integral_constantIbLb0EESV_IbLb1EEEEDaSR_SS_EUlSR_E_NS1_11comp_targetILNS1_3genE3ELNS1_11target_archE908ELNS1_3gpuE7ELNS1_3repE0EEENS1_30default_config_static_selectorELNS0_4arch9wavefront6targetE0EEEvT1_: ; @_ZN7rocprim17ROCPRIM_400000_NS6detail17trampoline_kernelINS0_14default_configENS1_27scan_by_key_config_selectorIiiEEZZNS1_16scan_by_key_implILNS1_25lookback_scan_determinismE0ELb0ES3_N6thrust23THRUST_200600_302600_NS10device_ptrIiEESB_SB_iNS9_4plusIvEENS9_8equal_toIvEEiEE10hipError_tPvRmT2_T3_T4_T5_mT6_T7_P12ihipStream_tbENKUlT_T0_E_clISt17integral_constantIbLb0EESV_IbLb1EEEEDaSR_SS_EUlSR_E_NS1_11comp_targetILNS1_3genE3ELNS1_11target_archE908ELNS1_3gpuE7ELNS1_3repE0EEENS1_30default_config_static_selectorELNS0_4arch9wavefront6targetE0EEEvT1_
; %bb.0:
	.section	.rodata,"a",@progbits
	.p2align	6, 0x0
	.amdhsa_kernel _ZN7rocprim17ROCPRIM_400000_NS6detail17trampoline_kernelINS0_14default_configENS1_27scan_by_key_config_selectorIiiEEZZNS1_16scan_by_key_implILNS1_25lookback_scan_determinismE0ELb0ES3_N6thrust23THRUST_200600_302600_NS10device_ptrIiEESB_SB_iNS9_4plusIvEENS9_8equal_toIvEEiEE10hipError_tPvRmT2_T3_T4_T5_mT6_T7_P12ihipStream_tbENKUlT_T0_E_clISt17integral_constantIbLb0EESV_IbLb1EEEEDaSR_SS_EUlSR_E_NS1_11comp_targetILNS1_3genE3ELNS1_11target_archE908ELNS1_3gpuE7ELNS1_3repE0EEENS1_30default_config_static_selectorELNS0_4arch9wavefront6targetE0EEEvT1_
		.amdhsa_group_segment_fixed_size 0
		.amdhsa_private_segment_fixed_size 0
		.amdhsa_kernarg_size 112
		.amdhsa_user_sgpr_count 6
		.amdhsa_user_sgpr_private_segment_buffer 1
		.amdhsa_user_sgpr_dispatch_ptr 0
		.amdhsa_user_sgpr_queue_ptr 0
		.amdhsa_user_sgpr_kernarg_segment_ptr 1
		.amdhsa_user_sgpr_dispatch_id 0
		.amdhsa_user_sgpr_flat_scratch_init 0
		.amdhsa_user_sgpr_private_segment_size 0
		.amdhsa_wavefront_size32 1
		.amdhsa_uses_dynamic_stack 0
		.amdhsa_system_sgpr_private_segment_wavefront_offset 0
		.amdhsa_system_sgpr_workgroup_id_x 1
		.amdhsa_system_sgpr_workgroup_id_y 0
		.amdhsa_system_sgpr_workgroup_id_z 0
		.amdhsa_system_sgpr_workgroup_info 0
		.amdhsa_system_vgpr_workitem_id 0
		.amdhsa_next_free_vgpr 1
		.amdhsa_next_free_sgpr 1
		.amdhsa_reserve_vcc 0
		.amdhsa_reserve_flat_scratch 0
		.amdhsa_float_round_mode_32 0
		.amdhsa_float_round_mode_16_64 0
		.amdhsa_float_denorm_mode_32 3
		.amdhsa_float_denorm_mode_16_64 3
		.amdhsa_dx10_clamp 1
		.amdhsa_ieee_mode 1
		.amdhsa_fp16_overflow 0
		.amdhsa_workgroup_processor_mode 1
		.amdhsa_memory_ordered 1
		.amdhsa_forward_progress 1
		.amdhsa_shared_vgpr_count 0
		.amdhsa_exception_fp_ieee_invalid_op 0
		.amdhsa_exception_fp_denorm_src 0
		.amdhsa_exception_fp_ieee_div_zero 0
		.amdhsa_exception_fp_ieee_overflow 0
		.amdhsa_exception_fp_ieee_underflow 0
		.amdhsa_exception_fp_ieee_inexact 0
		.amdhsa_exception_int_div_zero 0
	.end_amdhsa_kernel
	.section	.text._ZN7rocprim17ROCPRIM_400000_NS6detail17trampoline_kernelINS0_14default_configENS1_27scan_by_key_config_selectorIiiEEZZNS1_16scan_by_key_implILNS1_25lookback_scan_determinismE0ELb0ES3_N6thrust23THRUST_200600_302600_NS10device_ptrIiEESB_SB_iNS9_4plusIvEENS9_8equal_toIvEEiEE10hipError_tPvRmT2_T3_T4_T5_mT6_T7_P12ihipStream_tbENKUlT_T0_E_clISt17integral_constantIbLb0EESV_IbLb1EEEEDaSR_SS_EUlSR_E_NS1_11comp_targetILNS1_3genE3ELNS1_11target_archE908ELNS1_3gpuE7ELNS1_3repE0EEENS1_30default_config_static_selectorELNS0_4arch9wavefront6targetE0EEEvT1_,"axG",@progbits,_ZN7rocprim17ROCPRIM_400000_NS6detail17trampoline_kernelINS0_14default_configENS1_27scan_by_key_config_selectorIiiEEZZNS1_16scan_by_key_implILNS1_25lookback_scan_determinismE0ELb0ES3_N6thrust23THRUST_200600_302600_NS10device_ptrIiEESB_SB_iNS9_4plusIvEENS9_8equal_toIvEEiEE10hipError_tPvRmT2_T3_T4_T5_mT6_T7_P12ihipStream_tbENKUlT_T0_E_clISt17integral_constantIbLb0EESV_IbLb1EEEEDaSR_SS_EUlSR_E_NS1_11comp_targetILNS1_3genE3ELNS1_11target_archE908ELNS1_3gpuE7ELNS1_3repE0EEENS1_30default_config_static_selectorELNS0_4arch9wavefront6targetE0EEEvT1_,comdat
.Lfunc_end2228:
	.size	_ZN7rocprim17ROCPRIM_400000_NS6detail17trampoline_kernelINS0_14default_configENS1_27scan_by_key_config_selectorIiiEEZZNS1_16scan_by_key_implILNS1_25lookback_scan_determinismE0ELb0ES3_N6thrust23THRUST_200600_302600_NS10device_ptrIiEESB_SB_iNS9_4plusIvEENS9_8equal_toIvEEiEE10hipError_tPvRmT2_T3_T4_T5_mT6_T7_P12ihipStream_tbENKUlT_T0_E_clISt17integral_constantIbLb0EESV_IbLb1EEEEDaSR_SS_EUlSR_E_NS1_11comp_targetILNS1_3genE3ELNS1_11target_archE908ELNS1_3gpuE7ELNS1_3repE0EEENS1_30default_config_static_selectorELNS0_4arch9wavefront6targetE0EEEvT1_, .Lfunc_end2228-_ZN7rocprim17ROCPRIM_400000_NS6detail17trampoline_kernelINS0_14default_configENS1_27scan_by_key_config_selectorIiiEEZZNS1_16scan_by_key_implILNS1_25lookback_scan_determinismE0ELb0ES3_N6thrust23THRUST_200600_302600_NS10device_ptrIiEESB_SB_iNS9_4plusIvEENS9_8equal_toIvEEiEE10hipError_tPvRmT2_T3_T4_T5_mT6_T7_P12ihipStream_tbENKUlT_T0_E_clISt17integral_constantIbLb0EESV_IbLb1EEEEDaSR_SS_EUlSR_E_NS1_11comp_targetILNS1_3genE3ELNS1_11target_archE908ELNS1_3gpuE7ELNS1_3repE0EEENS1_30default_config_static_selectorELNS0_4arch9wavefront6targetE0EEEvT1_
                                        ; -- End function
	.set _ZN7rocprim17ROCPRIM_400000_NS6detail17trampoline_kernelINS0_14default_configENS1_27scan_by_key_config_selectorIiiEEZZNS1_16scan_by_key_implILNS1_25lookback_scan_determinismE0ELb0ES3_N6thrust23THRUST_200600_302600_NS10device_ptrIiEESB_SB_iNS9_4plusIvEENS9_8equal_toIvEEiEE10hipError_tPvRmT2_T3_T4_T5_mT6_T7_P12ihipStream_tbENKUlT_T0_E_clISt17integral_constantIbLb0EESV_IbLb1EEEEDaSR_SS_EUlSR_E_NS1_11comp_targetILNS1_3genE3ELNS1_11target_archE908ELNS1_3gpuE7ELNS1_3repE0EEENS1_30default_config_static_selectorELNS0_4arch9wavefront6targetE0EEEvT1_.num_vgpr, 0
	.set _ZN7rocprim17ROCPRIM_400000_NS6detail17trampoline_kernelINS0_14default_configENS1_27scan_by_key_config_selectorIiiEEZZNS1_16scan_by_key_implILNS1_25lookback_scan_determinismE0ELb0ES3_N6thrust23THRUST_200600_302600_NS10device_ptrIiEESB_SB_iNS9_4plusIvEENS9_8equal_toIvEEiEE10hipError_tPvRmT2_T3_T4_T5_mT6_T7_P12ihipStream_tbENKUlT_T0_E_clISt17integral_constantIbLb0EESV_IbLb1EEEEDaSR_SS_EUlSR_E_NS1_11comp_targetILNS1_3genE3ELNS1_11target_archE908ELNS1_3gpuE7ELNS1_3repE0EEENS1_30default_config_static_selectorELNS0_4arch9wavefront6targetE0EEEvT1_.num_agpr, 0
	.set _ZN7rocprim17ROCPRIM_400000_NS6detail17trampoline_kernelINS0_14default_configENS1_27scan_by_key_config_selectorIiiEEZZNS1_16scan_by_key_implILNS1_25lookback_scan_determinismE0ELb0ES3_N6thrust23THRUST_200600_302600_NS10device_ptrIiEESB_SB_iNS9_4plusIvEENS9_8equal_toIvEEiEE10hipError_tPvRmT2_T3_T4_T5_mT6_T7_P12ihipStream_tbENKUlT_T0_E_clISt17integral_constantIbLb0EESV_IbLb1EEEEDaSR_SS_EUlSR_E_NS1_11comp_targetILNS1_3genE3ELNS1_11target_archE908ELNS1_3gpuE7ELNS1_3repE0EEENS1_30default_config_static_selectorELNS0_4arch9wavefront6targetE0EEEvT1_.numbered_sgpr, 0
	.set _ZN7rocprim17ROCPRIM_400000_NS6detail17trampoline_kernelINS0_14default_configENS1_27scan_by_key_config_selectorIiiEEZZNS1_16scan_by_key_implILNS1_25lookback_scan_determinismE0ELb0ES3_N6thrust23THRUST_200600_302600_NS10device_ptrIiEESB_SB_iNS9_4plusIvEENS9_8equal_toIvEEiEE10hipError_tPvRmT2_T3_T4_T5_mT6_T7_P12ihipStream_tbENKUlT_T0_E_clISt17integral_constantIbLb0EESV_IbLb1EEEEDaSR_SS_EUlSR_E_NS1_11comp_targetILNS1_3genE3ELNS1_11target_archE908ELNS1_3gpuE7ELNS1_3repE0EEENS1_30default_config_static_selectorELNS0_4arch9wavefront6targetE0EEEvT1_.num_named_barrier, 0
	.set _ZN7rocprim17ROCPRIM_400000_NS6detail17trampoline_kernelINS0_14default_configENS1_27scan_by_key_config_selectorIiiEEZZNS1_16scan_by_key_implILNS1_25lookback_scan_determinismE0ELb0ES3_N6thrust23THRUST_200600_302600_NS10device_ptrIiEESB_SB_iNS9_4plusIvEENS9_8equal_toIvEEiEE10hipError_tPvRmT2_T3_T4_T5_mT6_T7_P12ihipStream_tbENKUlT_T0_E_clISt17integral_constantIbLb0EESV_IbLb1EEEEDaSR_SS_EUlSR_E_NS1_11comp_targetILNS1_3genE3ELNS1_11target_archE908ELNS1_3gpuE7ELNS1_3repE0EEENS1_30default_config_static_selectorELNS0_4arch9wavefront6targetE0EEEvT1_.private_seg_size, 0
	.set _ZN7rocprim17ROCPRIM_400000_NS6detail17trampoline_kernelINS0_14default_configENS1_27scan_by_key_config_selectorIiiEEZZNS1_16scan_by_key_implILNS1_25lookback_scan_determinismE0ELb0ES3_N6thrust23THRUST_200600_302600_NS10device_ptrIiEESB_SB_iNS9_4plusIvEENS9_8equal_toIvEEiEE10hipError_tPvRmT2_T3_T4_T5_mT6_T7_P12ihipStream_tbENKUlT_T0_E_clISt17integral_constantIbLb0EESV_IbLb1EEEEDaSR_SS_EUlSR_E_NS1_11comp_targetILNS1_3genE3ELNS1_11target_archE908ELNS1_3gpuE7ELNS1_3repE0EEENS1_30default_config_static_selectorELNS0_4arch9wavefront6targetE0EEEvT1_.uses_vcc, 0
	.set _ZN7rocprim17ROCPRIM_400000_NS6detail17trampoline_kernelINS0_14default_configENS1_27scan_by_key_config_selectorIiiEEZZNS1_16scan_by_key_implILNS1_25lookback_scan_determinismE0ELb0ES3_N6thrust23THRUST_200600_302600_NS10device_ptrIiEESB_SB_iNS9_4plusIvEENS9_8equal_toIvEEiEE10hipError_tPvRmT2_T3_T4_T5_mT6_T7_P12ihipStream_tbENKUlT_T0_E_clISt17integral_constantIbLb0EESV_IbLb1EEEEDaSR_SS_EUlSR_E_NS1_11comp_targetILNS1_3genE3ELNS1_11target_archE908ELNS1_3gpuE7ELNS1_3repE0EEENS1_30default_config_static_selectorELNS0_4arch9wavefront6targetE0EEEvT1_.uses_flat_scratch, 0
	.set _ZN7rocprim17ROCPRIM_400000_NS6detail17trampoline_kernelINS0_14default_configENS1_27scan_by_key_config_selectorIiiEEZZNS1_16scan_by_key_implILNS1_25lookback_scan_determinismE0ELb0ES3_N6thrust23THRUST_200600_302600_NS10device_ptrIiEESB_SB_iNS9_4plusIvEENS9_8equal_toIvEEiEE10hipError_tPvRmT2_T3_T4_T5_mT6_T7_P12ihipStream_tbENKUlT_T0_E_clISt17integral_constantIbLb0EESV_IbLb1EEEEDaSR_SS_EUlSR_E_NS1_11comp_targetILNS1_3genE3ELNS1_11target_archE908ELNS1_3gpuE7ELNS1_3repE0EEENS1_30default_config_static_selectorELNS0_4arch9wavefront6targetE0EEEvT1_.has_dyn_sized_stack, 0
	.set _ZN7rocprim17ROCPRIM_400000_NS6detail17trampoline_kernelINS0_14default_configENS1_27scan_by_key_config_selectorIiiEEZZNS1_16scan_by_key_implILNS1_25lookback_scan_determinismE0ELb0ES3_N6thrust23THRUST_200600_302600_NS10device_ptrIiEESB_SB_iNS9_4plusIvEENS9_8equal_toIvEEiEE10hipError_tPvRmT2_T3_T4_T5_mT6_T7_P12ihipStream_tbENKUlT_T0_E_clISt17integral_constantIbLb0EESV_IbLb1EEEEDaSR_SS_EUlSR_E_NS1_11comp_targetILNS1_3genE3ELNS1_11target_archE908ELNS1_3gpuE7ELNS1_3repE0EEENS1_30default_config_static_selectorELNS0_4arch9wavefront6targetE0EEEvT1_.has_recursion, 0
	.set _ZN7rocprim17ROCPRIM_400000_NS6detail17trampoline_kernelINS0_14default_configENS1_27scan_by_key_config_selectorIiiEEZZNS1_16scan_by_key_implILNS1_25lookback_scan_determinismE0ELb0ES3_N6thrust23THRUST_200600_302600_NS10device_ptrIiEESB_SB_iNS9_4plusIvEENS9_8equal_toIvEEiEE10hipError_tPvRmT2_T3_T4_T5_mT6_T7_P12ihipStream_tbENKUlT_T0_E_clISt17integral_constantIbLb0EESV_IbLb1EEEEDaSR_SS_EUlSR_E_NS1_11comp_targetILNS1_3genE3ELNS1_11target_archE908ELNS1_3gpuE7ELNS1_3repE0EEENS1_30default_config_static_selectorELNS0_4arch9wavefront6targetE0EEEvT1_.has_indirect_call, 0
	.section	.AMDGPU.csdata,"",@progbits
; Kernel info:
; codeLenInByte = 0
; TotalNumSgprs: 0
; NumVgprs: 0
; ScratchSize: 0
; MemoryBound: 0
; FloatMode: 240
; IeeeMode: 1
; LDSByteSize: 0 bytes/workgroup (compile time only)
; SGPRBlocks: 0
; VGPRBlocks: 0
; NumSGPRsForWavesPerEU: 1
; NumVGPRsForWavesPerEU: 1
; Occupancy: 16
; WaveLimiterHint : 0
; COMPUTE_PGM_RSRC2:SCRATCH_EN: 0
; COMPUTE_PGM_RSRC2:USER_SGPR: 6
; COMPUTE_PGM_RSRC2:TRAP_HANDLER: 0
; COMPUTE_PGM_RSRC2:TGID_X_EN: 1
; COMPUTE_PGM_RSRC2:TGID_Y_EN: 0
; COMPUTE_PGM_RSRC2:TGID_Z_EN: 0
; COMPUTE_PGM_RSRC2:TIDIG_COMP_CNT: 0
	.section	.text._ZN7rocprim17ROCPRIM_400000_NS6detail17trampoline_kernelINS0_14default_configENS1_27scan_by_key_config_selectorIiiEEZZNS1_16scan_by_key_implILNS1_25lookback_scan_determinismE0ELb0ES3_N6thrust23THRUST_200600_302600_NS10device_ptrIiEESB_SB_iNS9_4plusIvEENS9_8equal_toIvEEiEE10hipError_tPvRmT2_T3_T4_T5_mT6_T7_P12ihipStream_tbENKUlT_T0_E_clISt17integral_constantIbLb0EESV_IbLb1EEEEDaSR_SS_EUlSR_E_NS1_11comp_targetILNS1_3genE2ELNS1_11target_archE906ELNS1_3gpuE6ELNS1_3repE0EEENS1_30default_config_static_selectorELNS0_4arch9wavefront6targetE0EEEvT1_,"axG",@progbits,_ZN7rocprim17ROCPRIM_400000_NS6detail17trampoline_kernelINS0_14default_configENS1_27scan_by_key_config_selectorIiiEEZZNS1_16scan_by_key_implILNS1_25lookback_scan_determinismE0ELb0ES3_N6thrust23THRUST_200600_302600_NS10device_ptrIiEESB_SB_iNS9_4plusIvEENS9_8equal_toIvEEiEE10hipError_tPvRmT2_T3_T4_T5_mT6_T7_P12ihipStream_tbENKUlT_T0_E_clISt17integral_constantIbLb0EESV_IbLb1EEEEDaSR_SS_EUlSR_E_NS1_11comp_targetILNS1_3genE2ELNS1_11target_archE906ELNS1_3gpuE6ELNS1_3repE0EEENS1_30default_config_static_selectorELNS0_4arch9wavefront6targetE0EEEvT1_,comdat
	.protected	_ZN7rocprim17ROCPRIM_400000_NS6detail17trampoline_kernelINS0_14default_configENS1_27scan_by_key_config_selectorIiiEEZZNS1_16scan_by_key_implILNS1_25lookback_scan_determinismE0ELb0ES3_N6thrust23THRUST_200600_302600_NS10device_ptrIiEESB_SB_iNS9_4plusIvEENS9_8equal_toIvEEiEE10hipError_tPvRmT2_T3_T4_T5_mT6_T7_P12ihipStream_tbENKUlT_T0_E_clISt17integral_constantIbLb0EESV_IbLb1EEEEDaSR_SS_EUlSR_E_NS1_11comp_targetILNS1_3genE2ELNS1_11target_archE906ELNS1_3gpuE6ELNS1_3repE0EEENS1_30default_config_static_selectorELNS0_4arch9wavefront6targetE0EEEvT1_ ; -- Begin function _ZN7rocprim17ROCPRIM_400000_NS6detail17trampoline_kernelINS0_14default_configENS1_27scan_by_key_config_selectorIiiEEZZNS1_16scan_by_key_implILNS1_25lookback_scan_determinismE0ELb0ES3_N6thrust23THRUST_200600_302600_NS10device_ptrIiEESB_SB_iNS9_4plusIvEENS9_8equal_toIvEEiEE10hipError_tPvRmT2_T3_T4_T5_mT6_T7_P12ihipStream_tbENKUlT_T0_E_clISt17integral_constantIbLb0EESV_IbLb1EEEEDaSR_SS_EUlSR_E_NS1_11comp_targetILNS1_3genE2ELNS1_11target_archE906ELNS1_3gpuE6ELNS1_3repE0EEENS1_30default_config_static_selectorELNS0_4arch9wavefront6targetE0EEEvT1_
	.globl	_ZN7rocprim17ROCPRIM_400000_NS6detail17trampoline_kernelINS0_14default_configENS1_27scan_by_key_config_selectorIiiEEZZNS1_16scan_by_key_implILNS1_25lookback_scan_determinismE0ELb0ES3_N6thrust23THRUST_200600_302600_NS10device_ptrIiEESB_SB_iNS9_4plusIvEENS9_8equal_toIvEEiEE10hipError_tPvRmT2_T3_T4_T5_mT6_T7_P12ihipStream_tbENKUlT_T0_E_clISt17integral_constantIbLb0EESV_IbLb1EEEEDaSR_SS_EUlSR_E_NS1_11comp_targetILNS1_3genE2ELNS1_11target_archE906ELNS1_3gpuE6ELNS1_3repE0EEENS1_30default_config_static_selectorELNS0_4arch9wavefront6targetE0EEEvT1_
	.p2align	8
	.type	_ZN7rocprim17ROCPRIM_400000_NS6detail17trampoline_kernelINS0_14default_configENS1_27scan_by_key_config_selectorIiiEEZZNS1_16scan_by_key_implILNS1_25lookback_scan_determinismE0ELb0ES3_N6thrust23THRUST_200600_302600_NS10device_ptrIiEESB_SB_iNS9_4plusIvEENS9_8equal_toIvEEiEE10hipError_tPvRmT2_T3_T4_T5_mT6_T7_P12ihipStream_tbENKUlT_T0_E_clISt17integral_constantIbLb0EESV_IbLb1EEEEDaSR_SS_EUlSR_E_NS1_11comp_targetILNS1_3genE2ELNS1_11target_archE906ELNS1_3gpuE6ELNS1_3repE0EEENS1_30default_config_static_selectorELNS0_4arch9wavefront6targetE0EEEvT1_,@function
_ZN7rocprim17ROCPRIM_400000_NS6detail17trampoline_kernelINS0_14default_configENS1_27scan_by_key_config_selectorIiiEEZZNS1_16scan_by_key_implILNS1_25lookback_scan_determinismE0ELb0ES3_N6thrust23THRUST_200600_302600_NS10device_ptrIiEESB_SB_iNS9_4plusIvEENS9_8equal_toIvEEiEE10hipError_tPvRmT2_T3_T4_T5_mT6_T7_P12ihipStream_tbENKUlT_T0_E_clISt17integral_constantIbLb0EESV_IbLb1EEEEDaSR_SS_EUlSR_E_NS1_11comp_targetILNS1_3genE2ELNS1_11target_archE906ELNS1_3gpuE6ELNS1_3repE0EEENS1_30default_config_static_selectorELNS0_4arch9wavefront6targetE0EEEvT1_: ; @_ZN7rocprim17ROCPRIM_400000_NS6detail17trampoline_kernelINS0_14default_configENS1_27scan_by_key_config_selectorIiiEEZZNS1_16scan_by_key_implILNS1_25lookback_scan_determinismE0ELb0ES3_N6thrust23THRUST_200600_302600_NS10device_ptrIiEESB_SB_iNS9_4plusIvEENS9_8equal_toIvEEiEE10hipError_tPvRmT2_T3_T4_T5_mT6_T7_P12ihipStream_tbENKUlT_T0_E_clISt17integral_constantIbLb0EESV_IbLb1EEEEDaSR_SS_EUlSR_E_NS1_11comp_targetILNS1_3genE2ELNS1_11target_archE906ELNS1_3gpuE6ELNS1_3repE0EEENS1_30default_config_static_selectorELNS0_4arch9wavefront6targetE0EEEvT1_
; %bb.0:
	.section	.rodata,"a",@progbits
	.p2align	6, 0x0
	.amdhsa_kernel _ZN7rocprim17ROCPRIM_400000_NS6detail17trampoline_kernelINS0_14default_configENS1_27scan_by_key_config_selectorIiiEEZZNS1_16scan_by_key_implILNS1_25lookback_scan_determinismE0ELb0ES3_N6thrust23THRUST_200600_302600_NS10device_ptrIiEESB_SB_iNS9_4plusIvEENS9_8equal_toIvEEiEE10hipError_tPvRmT2_T3_T4_T5_mT6_T7_P12ihipStream_tbENKUlT_T0_E_clISt17integral_constantIbLb0EESV_IbLb1EEEEDaSR_SS_EUlSR_E_NS1_11comp_targetILNS1_3genE2ELNS1_11target_archE906ELNS1_3gpuE6ELNS1_3repE0EEENS1_30default_config_static_selectorELNS0_4arch9wavefront6targetE0EEEvT1_
		.amdhsa_group_segment_fixed_size 0
		.amdhsa_private_segment_fixed_size 0
		.amdhsa_kernarg_size 112
		.amdhsa_user_sgpr_count 6
		.amdhsa_user_sgpr_private_segment_buffer 1
		.amdhsa_user_sgpr_dispatch_ptr 0
		.amdhsa_user_sgpr_queue_ptr 0
		.amdhsa_user_sgpr_kernarg_segment_ptr 1
		.amdhsa_user_sgpr_dispatch_id 0
		.amdhsa_user_sgpr_flat_scratch_init 0
		.amdhsa_user_sgpr_private_segment_size 0
		.amdhsa_wavefront_size32 1
		.amdhsa_uses_dynamic_stack 0
		.amdhsa_system_sgpr_private_segment_wavefront_offset 0
		.amdhsa_system_sgpr_workgroup_id_x 1
		.amdhsa_system_sgpr_workgroup_id_y 0
		.amdhsa_system_sgpr_workgroup_id_z 0
		.amdhsa_system_sgpr_workgroup_info 0
		.amdhsa_system_vgpr_workitem_id 0
		.amdhsa_next_free_vgpr 1
		.amdhsa_next_free_sgpr 1
		.amdhsa_reserve_vcc 0
		.amdhsa_reserve_flat_scratch 0
		.amdhsa_float_round_mode_32 0
		.amdhsa_float_round_mode_16_64 0
		.amdhsa_float_denorm_mode_32 3
		.amdhsa_float_denorm_mode_16_64 3
		.amdhsa_dx10_clamp 1
		.amdhsa_ieee_mode 1
		.amdhsa_fp16_overflow 0
		.amdhsa_workgroup_processor_mode 1
		.amdhsa_memory_ordered 1
		.amdhsa_forward_progress 1
		.amdhsa_shared_vgpr_count 0
		.amdhsa_exception_fp_ieee_invalid_op 0
		.amdhsa_exception_fp_denorm_src 0
		.amdhsa_exception_fp_ieee_div_zero 0
		.amdhsa_exception_fp_ieee_overflow 0
		.amdhsa_exception_fp_ieee_underflow 0
		.amdhsa_exception_fp_ieee_inexact 0
		.amdhsa_exception_int_div_zero 0
	.end_amdhsa_kernel
	.section	.text._ZN7rocprim17ROCPRIM_400000_NS6detail17trampoline_kernelINS0_14default_configENS1_27scan_by_key_config_selectorIiiEEZZNS1_16scan_by_key_implILNS1_25lookback_scan_determinismE0ELb0ES3_N6thrust23THRUST_200600_302600_NS10device_ptrIiEESB_SB_iNS9_4plusIvEENS9_8equal_toIvEEiEE10hipError_tPvRmT2_T3_T4_T5_mT6_T7_P12ihipStream_tbENKUlT_T0_E_clISt17integral_constantIbLb0EESV_IbLb1EEEEDaSR_SS_EUlSR_E_NS1_11comp_targetILNS1_3genE2ELNS1_11target_archE906ELNS1_3gpuE6ELNS1_3repE0EEENS1_30default_config_static_selectorELNS0_4arch9wavefront6targetE0EEEvT1_,"axG",@progbits,_ZN7rocprim17ROCPRIM_400000_NS6detail17trampoline_kernelINS0_14default_configENS1_27scan_by_key_config_selectorIiiEEZZNS1_16scan_by_key_implILNS1_25lookback_scan_determinismE0ELb0ES3_N6thrust23THRUST_200600_302600_NS10device_ptrIiEESB_SB_iNS9_4plusIvEENS9_8equal_toIvEEiEE10hipError_tPvRmT2_T3_T4_T5_mT6_T7_P12ihipStream_tbENKUlT_T0_E_clISt17integral_constantIbLb0EESV_IbLb1EEEEDaSR_SS_EUlSR_E_NS1_11comp_targetILNS1_3genE2ELNS1_11target_archE906ELNS1_3gpuE6ELNS1_3repE0EEENS1_30default_config_static_selectorELNS0_4arch9wavefront6targetE0EEEvT1_,comdat
.Lfunc_end2229:
	.size	_ZN7rocprim17ROCPRIM_400000_NS6detail17trampoline_kernelINS0_14default_configENS1_27scan_by_key_config_selectorIiiEEZZNS1_16scan_by_key_implILNS1_25lookback_scan_determinismE0ELb0ES3_N6thrust23THRUST_200600_302600_NS10device_ptrIiEESB_SB_iNS9_4plusIvEENS9_8equal_toIvEEiEE10hipError_tPvRmT2_T3_T4_T5_mT6_T7_P12ihipStream_tbENKUlT_T0_E_clISt17integral_constantIbLb0EESV_IbLb1EEEEDaSR_SS_EUlSR_E_NS1_11comp_targetILNS1_3genE2ELNS1_11target_archE906ELNS1_3gpuE6ELNS1_3repE0EEENS1_30default_config_static_selectorELNS0_4arch9wavefront6targetE0EEEvT1_, .Lfunc_end2229-_ZN7rocprim17ROCPRIM_400000_NS6detail17trampoline_kernelINS0_14default_configENS1_27scan_by_key_config_selectorIiiEEZZNS1_16scan_by_key_implILNS1_25lookback_scan_determinismE0ELb0ES3_N6thrust23THRUST_200600_302600_NS10device_ptrIiEESB_SB_iNS9_4plusIvEENS9_8equal_toIvEEiEE10hipError_tPvRmT2_T3_T4_T5_mT6_T7_P12ihipStream_tbENKUlT_T0_E_clISt17integral_constantIbLb0EESV_IbLb1EEEEDaSR_SS_EUlSR_E_NS1_11comp_targetILNS1_3genE2ELNS1_11target_archE906ELNS1_3gpuE6ELNS1_3repE0EEENS1_30default_config_static_selectorELNS0_4arch9wavefront6targetE0EEEvT1_
                                        ; -- End function
	.set _ZN7rocprim17ROCPRIM_400000_NS6detail17trampoline_kernelINS0_14default_configENS1_27scan_by_key_config_selectorIiiEEZZNS1_16scan_by_key_implILNS1_25lookback_scan_determinismE0ELb0ES3_N6thrust23THRUST_200600_302600_NS10device_ptrIiEESB_SB_iNS9_4plusIvEENS9_8equal_toIvEEiEE10hipError_tPvRmT2_T3_T4_T5_mT6_T7_P12ihipStream_tbENKUlT_T0_E_clISt17integral_constantIbLb0EESV_IbLb1EEEEDaSR_SS_EUlSR_E_NS1_11comp_targetILNS1_3genE2ELNS1_11target_archE906ELNS1_3gpuE6ELNS1_3repE0EEENS1_30default_config_static_selectorELNS0_4arch9wavefront6targetE0EEEvT1_.num_vgpr, 0
	.set _ZN7rocprim17ROCPRIM_400000_NS6detail17trampoline_kernelINS0_14default_configENS1_27scan_by_key_config_selectorIiiEEZZNS1_16scan_by_key_implILNS1_25lookback_scan_determinismE0ELb0ES3_N6thrust23THRUST_200600_302600_NS10device_ptrIiEESB_SB_iNS9_4plusIvEENS9_8equal_toIvEEiEE10hipError_tPvRmT2_T3_T4_T5_mT6_T7_P12ihipStream_tbENKUlT_T0_E_clISt17integral_constantIbLb0EESV_IbLb1EEEEDaSR_SS_EUlSR_E_NS1_11comp_targetILNS1_3genE2ELNS1_11target_archE906ELNS1_3gpuE6ELNS1_3repE0EEENS1_30default_config_static_selectorELNS0_4arch9wavefront6targetE0EEEvT1_.num_agpr, 0
	.set _ZN7rocprim17ROCPRIM_400000_NS6detail17trampoline_kernelINS0_14default_configENS1_27scan_by_key_config_selectorIiiEEZZNS1_16scan_by_key_implILNS1_25lookback_scan_determinismE0ELb0ES3_N6thrust23THRUST_200600_302600_NS10device_ptrIiEESB_SB_iNS9_4plusIvEENS9_8equal_toIvEEiEE10hipError_tPvRmT2_T3_T4_T5_mT6_T7_P12ihipStream_tbENKUlT_T0_E_clISt17integral_constantIbLb0EESV_IbLb1EEEEDaSR_SS_EUlSR_E_NS1_11comp_targetILNS1_3genE2ELNS1_11target_archE906ELNS1_3gpuE6ELNS1_3repE0EEENS1_30default_config_static_selectorELNS0_4arch9wavefront6targetE0EEEvT1_.numbered_sgpr, 0
	.set _ZN7rocprim17ROCPRIM_400000_NS6detail17trampoline_kernelINS0_14default_configENS1_27scan_by_key_config_selectorIiiEEZZNS1_16scan_by_key_implILNS1_25lookback_scan_determinismE0ELb0ES3_N6thrust23THRUST_200600_302600_NS10device_ptrIiEESB_SB_iNS9_4plusIvEENS9_8equal_toIvEEiEE10hipError_tPvRmT2_T3_T4_T5_mT6_T7_P12ihipStream_tbENKUlT_T0_E_clISt17integral_constantIbLb0EESV_IbLb1EEEEDaSR_SS_EUlSR_E_NS1_11comp_targetILNS1_3genE2ELNS1_11target_archE906ELNS1_3gpuE6ELNS1_3repE0EEENS1_30default_config_static_selectorELNS0_4arch9wavefront6targetE0EEEvT1_.num_named_barrier, 0
	.set _ZN7rocprim17ROCPRIM_400000_NS6detail17trampoline_kernelINS0_14default_configENS1_27scan_by_key_config_selectorIiiEEZZNS1_16scan_by_key_implILNS1_25lookback_scan_determinismE0ELb0ES3_N6thrust23THRUST_200600_302600_NS10device_ptrIiEESB_SB_iNS9_4plusIvEENS9_8equal_toIvEEiEE10hipError_tPvRmT2_T3_T4_T5_mT6_T7_P12ihipStream_tbENKUlT_T0_E_clISt17integral_constantIbLb0EESV_IbLb1EEEEDaSR_SS_EUlSR_E_NS1_11comp_targetILNS1_3genE2ELNS1_11target_archE906ELNS1_3gpuE6ELNS1_3repE0EEENS1_30default_config_static_selectorELNS0_4arch9wavefront6targetE0EEEvT1_.private_seg_size, 0
	.set _ZN7rocprim17ROCPRIM_400000_NS6detail17trampoline_kernelINS0_14default_configENS1_27scan_by_key_config_selectorIiiEEZZNS1_16scan_by_key_implILNS1_25lookback_scan_determinismE0ELb0ES3_N6thrust23THRUST_200600_302600_NS10device_ptrIiEESB_SB_iNS9_4plusIvEENS9_8equal_toIvEEiEE10hipError_tPvRmT2_T3_T4_T5_mT6_T7_P12ihipStream_tbENKUlT_T0_E_clISt17integral_constantIbLb0EESV_IbLb1EEEEDaSR_SS_EUlSR_E_NS1_11comp_targetILNS1_3genE2ELNS1_11target_archE906ELNS1_3gpuE6ELNS1_3repE0EEENS1_30default_config_static_selectorELNS0_4arch9wavefront6targetE0EEEvT1_.uses_vcc, 0
	.set _ZN7rocprim17ROCPRIM_400000_NS6detail17trampoline_kernelINS0_14default_configENS1_27scan_by_key_config_selectorIiiEEZZNS1_16scan_by_key_implILNS1_25lookback_scan_determinismE0ELb0ES3_N6thrust23THRUST_200600_302600_NS10device_ptrIiEESB_SB_iNS9_4plusIvEENS9_8equal_toIvEEiEE10hipError_tPvRmT2_T3_T4_T5_mT6_T7_P12ihipStream_tbENKUlT_T0_E_clISt17integral_constantIbLb0EESV_IbLb1EEEEDaSR_SS_EUlSR_E_NS1_11comp_targetILNS1_3genE2ELNS1_11target_archE906ELNS1_3gpuE6ELNS1_3repE0EEENS1_30default_config_static_selectorELNS0_4arch9wavefront6targetE0EEEvT1_.uses_flat_scratch, 0
	.set _ZN7rocprim17ROCPRIM_400000_NS6detail17trampoline_kernelINS0_14default_configENS1_27scan_by_key_config_selectorIiiEEZZNS1_16scan_by_key_implILNS1_25lookback_scan_determinismE0ELb0ES3_N6thrust23THRUST_200600_302600_NS10device_ptrIiEESB_SB_iNS9_4plusIvEENS9_8equal_toIvEEiEE10hipError_tPvRmT2_T3_T4_T5_mT6_T7_P12ihipStream_tbENKUlT_T0_E_clISt17integral_constantIbLb0EESV_IbLb1EEEEDaSR_SS_EUlSR_E_NS1_11comp_targetILNS1_3genE2ELNS1_11target_archE906ELNS1_3gpuE6ELNS1_3repE0EEENS1_30default_config_static_selectorELNS0_4arch9wavefront6targetE0EEEvT1_.has_dyn_sized_stack, 0
	.set _ZN7rocprim17ROCPRIM_400000_NS6detail17trampoline_kernelINS0_14default_configENS1_27scan_by_key_config_selectorIiiEEZZNS1_16scan_by_key_implILNS1_25lookback_scan_determinismE0ELb0ES3_N6thrust23THRUST_200600_302600_NS10device_ptrIiEESB_SB_iNS9_4plusIvEENS9_8equal_toIvEEiEE10hipError_tPvRmT2_T3_T4_T5_mT6_T7_P12ihipStream_tbENKUlT_T0_E_clISt17integral_constantIbLb0EESV_IbLb1EEEEDaSR_SS_EUlSR_E_NS1_11comp_targetILNS1_3genE2ELNS1_11target_archE906ELNS1_3gpuE6ELNS1_3repE0EEENS1_30default_config_static_selectorELNS0_4arch9wavefront6targetE0EEEvT1_.has_recursion, 0
	.set _ZN7rocprim17ROCPRIM_400000_NS6detail17trampoline_kernelINS0_14default_configENS1_27scan_by_key_config_selectorIiiEEZZNS1_16scan_by_key_implILNS1_25lookback_scan_determinismE0ELb0ES3_N6thrust23THRUST_200600_302600_NS10device_ptrIiEESB_SB_iNS9_4plusIvEENS9_8equal_toIvEEiEE10hipError_tPvRmT2_T3_T4_T5_mT6_T7_P12ihipStream_tbENKUlT_T0_E_clISt17integral_constantIbLb0EESV_IbLb1EEEEDaSR_SS_EUlSR_E_NS1_11comp_targetILNS1_3genE2ELNS1_11target_archE906ELNS1_3gpuE6ELNS1_3repE0EEENS1_30default_config_static_selectorELNS0_4arch9wavefront6targetE0EEEvT1_.has_indirect_call, 0
	.section	.AMDGPU.csdata,"",@progbits
; Kernel info:
; codeLenInByte = 0
; TotalNumSgprs: 0
; NumVgprs: 0
; ScratchSize: 0
; MemoryBound: 0
; FloatMode: 240
; IeeeMode: 1
; LDSByteSize: 0 bytes/workgroup (compile time only)
; SGPRBlocks: 0
; VGPRBlocks: 0
; NumSGPRsForWavesPerEU: 1
; NumVGPRsForWavesPerEU: 1
; Occupancy: 16
; WaveLimiterHint : 0
; COMPUTE_PGM_RSRC2:SCRATCH_EN: 0
; COMPUTE_PGM_RSRC2:USER_SGPR: 6
; COMPUTE_PGM_RSRC2:TRAP_HANDLER: 0
; COMPUTE_PGM_RSRC2:TGID_X_EN: 1
; COMPUTE_PGM_RSRC2:TGID_Y_EN: 0
; COMPUTE_PGM_RSRC2:TGID_Z_EN: 0
; COMPUTE_PGM_RSRC2:TIDIG_COMP_CNT: 0
	.section	.text._ZN7rocprim17ROCPRIM_400000_NS6detail17trampoline_kernelINS0_14default_configENS1_27scan_by_key_config_selectorIiiEEZZNS1_16scan_by_key_implILNS1_25lookback_scan_determinismE0ELb0ES3_N6thrust23THRUST_200600_302600_NS10device_ptrIiEESB_SB_iNS9_4plusIvEENS9_8equal_toIvEEiEE10hipError_tPvRmT2_T3_T4_T5_mT6_T7_P12ihipStream_tbENKUlT_T0_E_clISt17integral_constantIbLb0EESV_IbLb1EEEEDaSR_SS_EUlSR_E_NS1_11comp_targetILNS1_3genE10ELNS1_11target_archE1200ELNS1_3gpuE4ELNS1_3repE0EEENS1_30default_config_static_selectorELNS0_4arch9wavefront6targetE0EEEvT1_,"axG",@progbits,_ZN7rocprim17ROCPRIM_400000_NS6detail17trampoline_kernelINS0_14default_configENS1_27scan_by_key_config_selectorIiiEEZZNS1_16scan_by_key_implILNS1_25lookback_scan_determinismE0ELb0ES3_N6thrust23THRUST_200600_302600_NS10device_ptrIiEESB_SB_iNS9_4plusIvEENS9_8equal_toIvEEiEE10hipError_tPvRmT2_T3_T4_T5_mT6_T7_P12ihipStream_tbENKUlT_T0_E_clISt17integral_constantIbLb0EESV_IbLb1EEEEDaSR_SS_EUlSR_E_NS1_11comp_targetILNS1_3genE10ELNS1_11target_archE1200ELNS1_3gpuE4ELNS1_3repE0EEENS1_30default_config_static_selectorELNS0_4arch9wavefront6targetE0EEEvT1_,comdat
	.protected	_ZN7rocprim17ROCPRIM_400000_NS6detail17trampoline_kernelINS0_14default_configENS1_27scan_by_key_config_selectorIiiEEZZNS1_16scan_by_key_implILNS1_25lookback_scan_determinismE0ELb0ES3_N6thrust23THRUST_200600_302600_NS10device_ptrIiEESB_SB_iNS9_4plusIvEENS9_8equal_toIvEEiEE10hipError_tPvRmT2_T3_T4_T5_mT6_T7_P12ihipStream_tbENKUlT_T0_E_clISt17integral_constantIbLb0EESV_IbLb1EEEEDaSR_SS_EUlSR_E_NS1_11comp_targetILNS1_3genE10ELNS1_11target_archE1200ELNS1_3gpuE4ELNS1_3repE0EEENS1_30default_config_static_selectorELNS0_4arch9wavefront6targetE0EEEvT1_ ; -- Begin function _ZN7rocprim17ROCPRIM_400000_NS6detail17trampoline_kernelINS0_14default_configENS1_27scan_by_key_config_selectorIiiEEZZNS1_16scan_by_key_implILNS1_25lookback_scan_determinismE0ELb0ES3_N6thrust23THRUST_200600_302600_NS10device_ptrIiEESB_SB_iNS9_4plusIvEENS9_8equal_toIvEEiEE10hipError_tPvRmT2_T3_T4_T5_mT6_T7_P12ihipStream_tbENKUlT_T0_E_clISt17integral_constantIbLb0EESV_IbLb1EEEEDaSR_SS_EUlSR_E_NS1_11comp_targetILNS1_3genE10ELNS1_11target_archE1200ELNS1_3gpuE4ELNS1_3repE0EEENS1_30default_config_static_selectorELNS0_4arch9wavefront6targetE0EEEvT1_
	.globl	_ZN7rocprim17ROCPRIM_400000_NS6detail17trampoline_kernelINS0_14default_configENS1_27scan_by_key_config_selectorIiiEEZZNS1_16scan_by_key_implILNS1_25lookback_scan_determinismE0ELb0ES3_N6thrust23THRUST_200600_302600_NS10device_ptrIiEESB_SB_iNS9_4plusIvEENS9_8equal_toIvEEiEE10hipError_tPvRmT2_T3_T4_T5_mT6_T7_P12ihipStream_tbENKUlT_T0_E_clISt17integral_constantIbLb0EESV_IbLb1EEEEDaSR_SS_EUlSR_E_NS1_11comp_targetILNS1_3genE10ELNS1_11target_archE1200ELNS1_3gpuE4ELNS1_3repE0EEENS1_30default_config_static_selectorELNS0_4arch9wavefront6targetE0EEEvT1_
	.p2align	8
	.type	_ZN7rocprim17ROCPRIM_400000_NS6detail17trampoline_kernelINS0_14default_configENS1_27scan_by_key_config_selectorIiiEEZZNS1_16scan_by_key_implILNS1_25lookback_scan_determinismE0ELb0ES3_N6thrust23THRUST_200600_302600_NS10device_ptrIiEESB_SB_iNS9_4plusIvEENS9_8equal_toIvEEiEE10hipError_tPvRmT2_T3_T4_T5_mT6_T7_P12ihipStream_tbENKUlT_T0_E_clISt17integral_constantIbLb0EESV_IbLb1EEEEDaSR_SS_EUlSR_E_NS1_11comp_targetILNS1_3genE10ELNS1_11target_archE1200ELNS1_3gpuE4ELNS1_3repE0EEENS1_30default_config_static_selectorELNS0_4arch9wavefront6targetE0EEEvT1_,@function
_ZN7rocprim17ROCPRIM_400000_NS6detail17trampoline_kernelINS0_14default_configENS1_27scan_by_key_config_selectorIiiEEZZNS1_16scan_by_key_implILNS1_25lookback_scan_determinismE0ELb0ES3_N6thrust23THRUST_200600_302600_NS10device_ptrIiEESB_SB_iNS9_4plusIvEENS9_8equal_toIvEEiEE10hipError_tPvRmT2_T3_T4_T5_mT6_T7_P12ihipStream_tbENKUlT_T0_E_clISt17integral_constantIbLb0EESV_IbLb1EEEEDaSR_SS_EUlSR_E_NS1_11comp_targetILNS1_3genE10ELNS1_11target_archE1200ELNS1_3gpuE4ELNS1_3repE0EEENS1_30default_config_static_selectorELNS0_4arch9wavefront6targetE0EEEvT1_: ; @_ZN7rocprim17ROCPRIM_400000_NS6detail17trampoline_kernelINS0_14default_configENS1_27scan_by_key_config_selectorIiiEEZZNS1_16scan_by_key_implILNS1_25lookback_scan_determinismE0ELb0ES3_N6thrust23THRUST_200600_302600_NS10device_ptrIiEESB_SB_iNS9_4plusIvEENS9_8equal_toIvEEiEE10hipError_tPvRmT2_T3_T4_T5_mT6_T7_P12ihipStream_tbENKUlT_T0_E_clISt17integral_constantIbLb0EESV_IbLb1EEEEDaSR_SS_EUlSR_E_NS1_11comp_targetILNS1_3genE10ELNS1_11target_archE1200ELNS1_3gpuE4ELNS1_3repE0EEENS1_30default_config_static_selectorELNS0_4arch9wavefront6targetE0EEEvT1_
; %bb.0:
	.section	.rodata,"a",@progbits
	.p2align	6, 0x0
	.amdhsa_kernel _ZN7rocprim17ROCPRIM_400000_NS6detail17trampoline_kernelINS0_14default_configENS1_27scan_by_key_config_selectorIiiEEZZNS1_16scan_by_key_implILNS1_25lookback_scan_determinismE0ELb0ES3_N6thrust23THRUST_200600_302600_NS10device_ptrIiEESB_SB_iNS9_4plusIvEENS9_8equal_toIvEEiEE10hipError_tPvRmT2_T3_T4_T5_mT6_T7_P12ihipStream_tbENKUlT_T0_E_clISt17integral_constantIbLb0EESV_IbLb1EEEEDaSR_SS_EUlSR_E_NS1_11comp_targetILNS1_3genE10ELNS1_11target_archE1200ELNS1_3gpuE4ELNS1_3repE0EEENS1_30default_config_static_selectorELNS0_4arch9wavefront6targetE0EEEvT1_
		.amdhsa_group_segment_fixed_size 0
		.amdhsa_private_segment_fixed_size 0
		.amdhsa_kernarg_size 112
		.amdhsa_user_sgpr_count 6
		.amdhsa_user_sgpr_private_segment_buffer 1
		.amdhsa_user_sgpr_dispatch_ptr 0
		.amdhsa_user_sgpr_queue_ptr 0
		.amdhsa_user_sgpr_kernarg_segment_ptr 1
		.amdhsa_user_sgpr_dispatch_id 0
		.amdhsa_user_sgpr_flat_scratch_init 0
		.amdhsa_user_sgpr_private_segment_size 0
		.amdhsa_wavefront_size32 1
		.amdhsa_uses_dynamic_stack 0
		.amdhsa_system_sgpr_private_segment_wavefront_offset 0
		.amdhsa_system_sgpr_workgroup_id_x 1
		.amdhsa_system_sgpr_workgroup_id_y 0
		.amdhsa_system_sgpr_workgroup_id_z 0
		.amdhsa_system_sgpr_workgroup_info 0
		.amdhsa_system_vgpr_workitem_id 0
		.amdhsa_next_free_vgpr 1
		.amdhsa_next_free_sgpr 1
		.amdhsa_reserve_vcc 0
		.amdhsa_reserve_flat_scratch 0
		.amdhsa_float_round_mode_32 0
		.amdhsa_float_round_mode_16_64 0
		.amdhsa_float_denorm_mode_32 3
		.amdhsa_float_denorm_mode_16_64 3
		.amdhsa_dx10_clamp 1
		.amdhsa_ieee_mode 1
		.amdhsa_fp16_overflow 0
		.amdhsa_workgroup_processor_mode 1
		.amdhsa_memory_ordered 1
		.amdhsa_forward_progress 1
		.amdhsa_shared_vgpr_count 0
		.amdhsa_exception_fp_ieee_invalid_op 0
		.amdhsa_exception_fp_denorm_src 0
		.amdhsa_exception_fp_ieee_div_zero 0
		.amdhsa_exception_fp_ieee_overflow 0
		.amdhsa_exception_fp_ieee_underflow 0
		.amdhsa_exception_fp_ieee_inexact 0
		.amdhsa_exception_int_div_zero 0
	.end_amdhsa_kernel
	.section	.text._ZN7rocprim17ROCPRIM_400000_NS6detail17trampoline_kernelINS0_14default_configENS1_27scan_by_key_config_selectorIiiEEZZNS1_16scan_by_key_implILNS1_25lookback_scan_determinismE0ELb0ES3_N6thrust23THRUST_200600_302600_NS10device_ptrIiEESB_SB_iNS9_4plusIvEENS9_8equal_toIvEEiEE10hipError_tPvRmT2_T3_T4_T5_mT6_T7_P12ihipStream_tbENKUlT_T0_E_clISt17integral_constantIbLb0EESV_IbLb1EEEEDaSR_SS_EUlSR_E_NS1_11comp_targetILNS1_3genE10ELNS1_11target_archE1200ELNS1_3gpuE4ELNS1_3repE0EEENS1_30default_config_static_selectorELNS0_4arch9wavefront6targetE0EEEvT1_,"axG",@progbits,_ZN7rocprim17ROCPRIM_400000_NS6detail17trampoline_kernelINS0_14default_configENS1_27scan_by_key_config_selectorIiiEEZZNS1_16scan_by_key_implILNS1_25lookback_scan_determinismE0ELb0ES3_N6thrust23THRUST_200600_302600_NS10device_ptrIiEESB_SB_iNS9_4plusIvEENS9_8equal_toIvEEiEE10hipError_tPvRmT2_T3_T4_T5_mT6_T7_P12ihipStream_tbENKUlT_T0_E_clISt17integral_constantIbLb0EESV_IbLb1EEEEDaSR_SS_EUlSR_E_NS1_11comp_targetILNS1_3genE10ELNS1_11target_archE1200ELNS1_3gpuE4ELNS1_3repE0EEENS1_30default_config_static_selectorELNS0_4arch9wavefront6targetE0EEEvT1_,comdat
.Lfunc_end2230:
	.size	_ZN7rocprim17ROCPRIM_400000_NS6detail17trampoline_kernelINS0_14default_configENS1_27scan_by_key_config_selectorIiiEEZZNS1_16scan_by_key_implILNS1_25lookback_scan_determinismE0ELb0ES3_N6thrust23THRUST_200600_302600_NS10device_ptrIiEESB_SB_iNS9_4plusIvEENS9_8equal_toIvEEiEE10hipError_tPvRmT2_T3_T4_T5_mT6_T7_P12ihipStream_tbENKUlT_T0_E_clISt17integral_constantIbLb0EESV_IbLb1EEEEDaSR_SS_EUlSR_E_NS1_11comp_targetILNS1_3genE10ELNS1_11target_archE1200ELNS1_3gpuE4ELNS1_3repE0EEENS1_30default_config_static_selectorELNS0_4arch9wavefront6targetE0EEEvT1_, .Lfunc_end2230-_ZN7rocprim17ROCPRIM_400000_NS6detail17trampoline_kernelINS0_14default_configENS1_27scan_by_key_config_selectorIiiEEZZNS1_16scan_by_key_implILNS1_25lookback_scan_determinismE0ELb0ES3_N6thrust23THRUST_200600_302600_NS10device_ptrIiEESB_SB_iNS9_4plusIvEENS9_8equal_toIvEEiEE10hipError_tPvRmT2_T3_T4_T5_mT6_T7_P12ihipStream_tbENKUlT_T0_E_clISt17integral_constantIbLb0EESV_IbLb1EEEEDaSR_SS_EUlSR_E_NS1_11comp_targetILNS1_3genE10ELNS1_11target_archE1200ELNS1_3gpuE4ELNS1_3repE0EEENS1_30default_config_static_selectorELNS0_4arch9wavefront6targetE0EEEvT1_
                                        ; -- End function
	.set _ZN7rocprim17ROCPRIM_400000_NS6detail17trampoline_kernelINS0_14default_configENS1_27scan_by_key_config_selectorIiiEEZZNS1_16scan_by_key_implILNS1_25lookback_scan_determinismE0ELb0ES3_N6thrust23THRUST_200600_302600_NS10device_ptrIiEESB_SB_iNS9_4plusIvEENS9_8equal_toIvEEiEE10hipError_tPvRmT2_T3_T4_T5_mT6_T7_P12ihipStream_tbENKUlT_T0_E_clISt17integral_constantIbLb0EESV_IbLb1EEEEDaSR_SS_EUlSR_E_NS1_11comp_targetILNS1_3genE10ELNS1_11target_archE1200ELNS1_3gpuE4ELNS1_3repE0EEENS1_30default_config_static_selectorELNS0_4arch9wavefront6targetE0EEEvT1_.num_vgpr, 0
	.set _ZN7rocprim17ROCPRIM_400000_NS6detail17trampoline_kernelINS0_14default_configENS1_27scan_by_key_config_selectorIiiEEZZNS1_16scan_by_key_implILNS1_25lookback_scan_determinismE0ELb0ES3_N6thrust23THRUST_200600_302600_NS10device_ptrIiEESB_SB_iNS9_4plusIvEENS9_8equal_toIvEEiEE10hipError_tPvRmT2_T3_T4_T5_mT6_T7_P12ihipStream_tbENKUlT_T0_E_clISt17integral_constantIbLb0EESV_IbLb1EEEEDaSR_SS_EUlSR_E_NS1_11comp_targetILNS1_3genE10ELNS1_11target_archE1200ELNS1_3gpuE4ELNS1_3repE0EEENS1_30default_config_static_selectorELNS0_4arch9wavefront6targetE0EEEvT1_.num_agpr, 0
	.set _ZN7rocprim17ROCPRIM_400000_NS6detail17trampoline_kernelINS0_14default_configENS1_27scan_by_key_config_selectorIiiEEZZNS1_16scan_by_key_implILNS1_25lookback_scan_determinismE0ELb0ES3_N6thrust23THRUST_200600_302600_NS10device_ptrIiEESB_SB_iNS9_4plusIvEENS9_8equal_toIvEEiEE10hipError_tPvRmT2_T3_T4_T5_mT6_T7_P12ihipStream_tbENKUlT_T0_E_clISt17integral_constantIbLb0EESV_IbLb1EEEEDaSR_SS_EUlSR_E_NS1_11comp_targetILNS1_3genE10ELNS1_11target_archE1200ELNS1_3gpuE4ELNS1_3repE0EEENS1_30default_config_static_selectorELNS0_4arch9wavefront6targetE0EEEvT1_.numbered_sgpr, 0
	.set _ZN7rocprim17ROCPRIM_400000_NS6detail17trampoline_kernelINS0_14default_configENS1_27scan_by_key_config_selectorIiiEEZZNS1_16scan_by_key_implILNS1_25lookback_scan_determinismE0ELb0ES3_N6thrust23THRUST_200600_302600_NS10device_ptrIiEESB_SB_iNS9_4plusIvEENS9_8equal_toIvEEiEE10hipError_tPvRmT2_T3_T4_T5_mT6_T7_P12ihipStream_tbENKUlT_T0_E_clISt17integral_constantIbLb0EESV_IbLb1EEEEDaSR_SS_EUlSR_E_NS1_11comp_targetILNS1_3genE10ELNS1_11target_archE1200ELNS1_3gpuE4ELNS1_3repE0EEENS1_30default_config_static_selectorELNS0_4arch9wavefront6targetE0EEEvT1_.num_named_barrier, 0
	.set _ZN7rocprim17ROCPRIM_400000_NS6detail17trampoline_kernelINS0_14default_configENS1_27scan_by_key_config_selectorIiiEEZZNS1_16scan_by_key_implILNS1_25lookback_scan_determinismE0ELb0ES3_N6thrust23THRUST_200600_302600_NS10device_ptrIiEESB_SB_iNS9_4plusIvEENS9_8equal_toIvEEiEE10hipError_tPvRmT2_T3_T4_T5_mT6_T7_P12ihipStream_tbENKUlT_T0_E_clISt17integral_constantIbLb0EESV_IbLb1EEEEDaSR_SS_EUlSR_E_NS1_11comp_targetILNS1_3genE10ELNS1_11target_archE1200ELNS1_3gpuE4ELNS1_3repE0EEENS1_30default_config_static_selectorELNS0_4arch9wavefront6targetE0EEEvT1_.private_seg_size, 0
	.set _ZN7rocprim17ROCPRIM_400000_NS6detail17trampoline_kernelINS0_14default_configENS1_27scan_by_key_config_selectorIiiEEZZNS1_16scan_by_key_implILNS1_25lookback_scan_determinismE0ELb0ES3_N6thrust23THRUST_200600_302600_NS10device_ptrIiEESB_SB_iNS9_4plusIvEENS9_8equal_toIvEEiEE10hipError_tPvRmT2_T3_T4_T5_mT6_T7_P12ihipStream_tbENKUlT_T0_E_clISt17integral_constantIbLb0EESV_IbLb1EEEEDaSR_SS_EUlSR_E_NS1_11comp_targetILNS1_3genE10ELNS1_11target_archE1200ELNS1_3gpuE4ELNS1_3repE0EEENS1_30default_config_static_selectorELNS0_4arch9wavefront6targetE0EEEvT1_.uses_vcc, 0
	.set _ZN7rocprim17ROCPRIM_400000_NS6detail17trampoline_kernelINS0_14default_configENS1_27scan_by_key_config_selectorIiiEEZZNS1_16scan_by_key_implILNS1_25lookback_scan_determinismE0ELb0ES3_N6thrust23THRUST_200600_302600_NS10device_ptrIiEESB_SB_iNS9_4plusIvEENS9_8equal_toIvEEiEE10hipError_tPvRmT2_T3_T4_T5_mT6_T7_P12ihipStream_tbENKUlT_T0_E_clISt17integral_constantIbLb0EESV_IbLb1EEEEDaSR_SS_EUlSR_E_NS1_11comp_targetILNS1_3genE10ELNS1_11target_archE1200ELNS1_3gpuE4ELNS1_3repE0EEENS1_30default_config_static_selectorELNS0_4arch9wavefront6targetE0EEEvT1_.uses_flat_scratch, 0
	.set _ZN7rocprim17ROCPRIM_400000_NS6detail17trampoline_kernelINS0_14default_configENS1_27scan_by_key_config_selectorIiiEEZZNS1_16scan_by_key_implILNS1_25lookback_scan_determinismE0ELb0ES3_N6thrust23THRUST_200600_302600_NS10device_ptrIiEESB_SB_iNS9_4plusIvEENS9_8equal_toIvEEiEE10hipError_tPvRmT2_T3_T4_T5_mT6_T7_P12ihipStream_tbENKUlT_T0_E_clISt17integral_constantIbLb0EESV_IbLb1EEEEDaSR_SS_EUlSR_E_NS1_11comp_targetILNS1_3genE10ELNS1_11target_archE1200ELNS1_3gpuE4ELNS1_3repE0EEENS1_30default_config_static_selectorELNS0_4arch9wavefront6targetE0EEEvT1_.has_dyn_sized_stack, 0
	.set _ZN7rocprim17ROCPRIM_400000_NS6detail17trampoline_kernelINS0_14default_configENS1_27scan_by_key_config_selectorIiiEEZZNS1_16scan_by_key_implILNS1_25lookback_scan_determinismE0ELb0ES3_N6thrust23THRUST_200600_302600_NS10device_ptrIiEESB_SB_iNS9_4plusIvEENS9_8equal_toIvEEiEE10hipError_tPvRmT2_T3_T4_T5_mT6_T7_P12ihipStream_tbENKUlT_T0_E_clISt17integral_constantIbLb0EESV_IbLb1EEEEDaSR_SS_EUlSR_E_NS1_11comp_targetILNS1_3genE10ELNS1_11target_archE1200ELNS1_3gpuE4ELNS1_3repE0EEENS1_30default_config_static_selectorELNS0_4arch9wavefront6targetE0EEEvT1_.has_recursion, 0
	.set _ZN7rocprim17ROCPRIM_400000_NS6detail17trampoline_kernelINS0_14default_configENS1_27scan_by_key_config_selectorIiiEEZZNS1_16scan_by_key_implILNS1_25lookback_scan_determinismE0ELb0ES3_N6thrust23THRUST_200600_302600_NS10device_ptrIiEESB_SB_iNS9_4plusIvEENS9_8equal_toIvEEiEE10hipError_tPvRmT2_T3_T4_T5_mT6_T7_P12ihipStream_tbENKUlT_T0_E_clISt17integral_constantIbLb0EESV_IbLb1EEEEDaSR_SS_EUlSR_E_NS1_11comp_targetILNS1_3genE10ELNS1_11target_archE1200ELNS1_3gpuE4ELNS1_3repE0EEENS1_30default_config_static_selectorELNS0_4arch9wavefront6targetE0EEEvT1_.has_indirect_call, 0
	.section	.AMDGPU.csdata,"",@progbits
; Kernel info:
; codeLenInByte = 0
; TotalNumSgprs: 0
; NumVgprs: 0
; ScratchSize: 0
; MemoryBound: 0
; FloatMode: 240
; IeeeMode: 1
; LDSByteSize: 0 bytes/workgroup (compile time only)
; SGPRBlocks: 0
; VGPRBlocks: 0
; NumSGPRsForWavesPerEU: 1
; NumVGPRsForWavesPerEU: 1
; Occupancy: 16
; WaveLimiterHint : 0
; COMPUTE_PGM_RSRC2:SCRATCH_EN: 0
; COMPUTE_PGM_RSRC2:USER_SGPR: 6
; COMPUTE_PGM_RSRC2:TRAP_HANDLER: 0
; COMPUTE_PGM_RSRC2:TGID_X_EN: 1
; COMPUTE_PGM_RSRC2:TGID_Y_EN: 0
; COMPUTE_PGM_RSRC2:TGID_Z_EN: 0
; COMPUTE_PGM_RSRC2:TIDIG_COMP_CNT: 0
	.section	.text._ZN7rocprim17ROCPRIM_400000_NS6detail17trampoline_kernelINS0_14default_configENS1_27scan_by_key_config_selectorIiiEEZZNS1_16scan_by_key_implILNS1_25lookback_scan_determinismE0ELb0ES3_N6thrust23THRUST_200600_302600_NS10device_ptrIiEESB_SB_iNS9_4plusIvEENS9_8equal_toIvEEiEE10hipError_tPvRmT2_T3_T4_T5_mT6_T7_P12ihipStream_tbENKUlT_T0_E_clISt17integral_constantIbLb0EESV_IbLb1EEEEDaSR_SS_EUlSR_E_NS1_11comp_targetILNS1_3genE9ELNS1_11target_archE1100ELNS1_3gpuE3ELNS1_3repE0EEENS1_30default_config_static_selectorELNS0_4arch9wavefront6targetE0EEEvT1_,"axG",@progbits,_ZN7rocprim17ROCPRIM_400000_NS6detail17trampoline_kernelINS0_14default_configENS1_27scan_by_key_config_selectorIiiEEZZNS1_16scan_by_key_implILNS1_25lookback_scan_determinismE0ELb0ES3_N6thrust23THRUST_200600_302600_NS10device_ptrIiEESB_SB_iNS9_4plusIvEENS9_8equal_toIvEEiEE10hipError_tPvRmT2_T3_T4_T5_mT6_T7_P12ihipStream_tbENKUlT_T0_E_clISt17integral_constantIbLb0EESV_IbLb1EEEEDaSR_SS_EUlSR_E_NS1_11comp_targetILNS1_3genE9ELNS1_11target_archE1100ELNS1_3gpuE3ELNS1_3repE0EEENS1_30default_config_static_selectorELNS0_4arch9wavefront6targetE0EEEvT1_,comdat
	.protected	_ZN7rocprim17ROCPRIM_400000_NS6detail17trampoline_kernelINS0_14default_configENS1_27scan_by_key_config_selectorIiiEEZZNS1_16scan_by_key_implILNS1_25lookback_scan_determinismE0ELb0ES3_N6thrust23THRUST_200600_302600_NS10device_ptrIiEESB_SB_iNS9_4plusIvEENS9_8equal_toIvEEiEE10hipError_tPvRmT2_T3_T4_T5_mT6_T7_P12ihipStream_tbENKUlT_T0_E_clISt17integral_constantIbLb0EESV_IbLb1EEEEDaSR_SS_EUlSR_E_NS1_11comp_targetILNS1_3genE9ELNS1_11target_archE1100ELNS1_3gpuE3ELNS1_3repE0EEENS1_30default_config_static_selectorELNS0_4arch9wavefront6targetE0EEEvT1_ ; -- Begin function _ZN7rocprim17ROCPRIM_400000_NS6detail17trampoline_kernelINS0_14default_configENS1_27scan_by_key_config_selectorIiiEEZZNS1_16scan_by_key_implILNS1_25lookback_scan_determinismE0ELb0ES3_N6thrust23THRUST_200600_302600_NS10device_ptrIiEESB_SB_iNS9_4plusIvEENS9_8equal_toIvEEiEE10hipError_tPvRmT2_T3_T4_T5_mT6_T7_P12ihipStream_tbENKUlT_T0_E_clISt17integral_constantIbLb0EESV_IbLb1EEEEDaSR_SS_EUlSR_E_NS1_11comp_targetILNS1_3genE9ELNS1_11target_archE1100ELNS1_3gpuE3ELNS1_3repE0EEENS1_30default_config_static_selectorELNS0_4arch9wavefront6targetE0EEEvT1_
	.globl	_ZN7rocprim17ROCPRIM_400000_NS6detail17trampoline_kernelINS0_14default_configENS1_27scan_by_key_config_selectorIiiEEZZNS1_16scan_by_key_implILNS1_25lookback_scan_determinismE0ELb0ES3_N6thrust23THRUST_200600_302600_NS10device_ptrIiEESB_SB_iNS9_4plusIvEENS9_8equal_toIvEEiEE10hipError_tPvRmT2_T3_T4_T5_mT6_T7_P12ihipStream_tbENKUlT_T0_E_clISt17integral_constantIbLb0EESV_IbLb1EEEEDaSR_SS_EUlSR_E_NS1_11comp_targetILNS1_3genE9ELNS1_11target_archE1100ELNS1_3gpuE3ELNS1_3repE0EEENS1_30default_config_static_selectorELNS0_4arch9wavefront6targetE0EEEvT1_
	.p2align	8
	.type	_ZN7rocprim17ROCPRIM_400000_NS6detail17trampoline_kernelINS0_14default_configENS1_27scan_by_key_config_selectorIiiEEZZNS1_16scan_by_key_implILNS1_25lookback_scan_determinismE0ELb0ES3_N6thrust23THRUST_200600_302600_NS10device_ptrIiEESB_SB_iNS9_4plusIvEENS9_8equal_toIvEEiEE10hipError_tPvRmT2_T3_T4_T5_mT6_T7_P12ihipStream_tbENKUlT_T0_E_clISt17integral_constantIbLb0EESV_IbLb1EEEEDaSR_SS_EUlSR_E_NS1_11comp_targetILNS1_3genE9ELNS1_11target_archE1100ELNS1_3gpuE3ELNS1_3repE0EEENS1_30default_config_static_selectorELNS0_4arch9wavefront6targetE0EEEvT1_,@function
_ZN7rocprim17ROCPRIM_400000_NS6detail17trampoline_kernelINS0_14default_configENS1_27scan_by_key_config_selectorIiiEEZZNS1_16scan_by_key_implILNS1_25lookback_scan_determinismE0ELb0ES3_N6thrust23THRUST_200600_302600_NS10device_ptrIiEESB_SB_iNS9_4plusIvEENS9_8equal_toIvEEiEE10hipError_tPvRmT2_T3_T4_T5_mT6_T7_P12ihipStream_tbENKUlT_T0_E_clISt17integral_constantIbLb0EESV_IbLb1EEEEDaSR_SS_EUlSR_E_NS1_11comp_targetILNS1_3genE9ELNS1_11target_archE1100ELNS1_3gpuE3ELNS1_3repE0EEENS1_30default_config_static_selectorELNS0_4arch9wavefront6targetE0EEEvT1_: ; @_ZN7rocprim17ROCPRIM_400000_NS6detail17trampoline_kernelINS0_14default_configENS1_27scan_by_key_config_selectorIiiEEZZNS1_16scan_by_key_implILNS1_25lookback_scan_determinismE0ELb0ES3_N6thrust23THRUST_200600_302600_NS10device_ptrIiEESB_SB_iNS9_4plusIvEENS9_8equal_toIvEEiEE10hipError_tPvRmT2_T3_T4_T5_mT6_T7_P12ihipStream_tbENKUlT_T0_E_clISt17integral_constantIbLb0EESV_IbLb1EEEEDaSR_SS_EUlSR_E_NS1_11comp_targetILNS1_3genE9ELNS1_11target_archE1100ELNS1_3gpuE3ELNS1_3repE0EEENS1_30default_config_static_selectorELNS0_4arch9wavefront6targetE0EEEvT1_
; %bb.0:
	.section	.rodata,"a",@progbits
	.p2align	6, 0x0
	.amdhsa_kernel _ZN7rocprim17ROCPRIM_400000_NS6detail17trampoline_kernelINS0_14default_configENS1_27scan_by_key_config_selectorIiiEEZZNS1_16scan_by_key_implILNS1_25lookback_scan_determinismE0ELb0ES3_N6thrust23THRUST_200600_302600_NS10device_ptrIiEESB_SB_iNS9_4plusIvEENS9_8equal_toIvEEiEE10hipError_tPvRmT2_T3_T4_T5_mT6_T7_P12ihipStream_tbENKUlT_T0_E_clISt17integral_constantIbLb0EESV_IbLb1EEEEDaSR_SS_EUlSR_E_NS1_11comp_targetILNS1_3genE9ELNS1_11target_archE1100ELNS1_3gpuE3ELNS1_3repE0EEENS1_30default_config_static_selectorELNS0_4arch9wavefront6targetE0EEEvT1_
		.amdhsa_group_segment_fixed_size 0
		.amdhsa_private_segment_fixed_size 0
		.amdhsa_kernarg_size 112
		.amdhsa_user_sgpr_count 6
		.amdhsa_user_sgpr_private_segment_buffer 1
		.amdhsa_user_sgpr_dispatch_ptr 0
		.amdhsa_user_sgpr_queue_ptr 0
		.amdhsa_user_sgpr_kernarg_segment_ptr 1
		.amdhsa_user_sgpr_dispatch_id 0
		.amdhsa_user_sgpr_flat_scratch_init 0
		.amdhsa_user_sgpr_private_segment_size 0
		.amdhsa_wavefront_size32 1
		.amdhsa_uses_dynamic_stack 0
		.amdhsa_system_sgpr_private_segment_wavefront_offset 0
		.amdhsa_system_sgpr_workgroup_id_x 1
		.amdhsa_system_sgpr_workgroup_id_y 0
		.amdhsa_system_sgpr_workgroup_id_z 0
		.amdhsa_system_sgpr_workgroup_info 0
		.amdhsa_system_vgpr_workitem_id 0
		.amdhsa_next_free_vgpr 1
		.amdhsa_next_free_sgpr 1
		.amdhsa_reserve_vcc 0
		.amdhsa_reserve_flat_scratch 0
		.amdhsa_float_round_mode_32 0
		.amdhsa_float_round_mode_16_64 0
		.amdhsa_float_denorm_mode_32 3
		.amdhsa_float_denorm_mode_16_64 3
		.amdhsa_dx10_clamp 1
		.amdhsa_ieee_mode 1
		.amdhsa_fp16_overflow 0
		.amdhsa_workgroup_processor_mode 1
		.amdhsa_memory_ordered 1
		.amdhsa_forward_progress 1
		.amdhsa_shared_vgpr_count 0
		.amdhsa_exception_fp_ieee_invalid_op 0
		.amdhsa_exception_fp_denorm_src 0
		.amdhsa_exception_fp_ieee_div_zero 0
		.amdhsa_exception_fp_ieee_overflow 0
		.amdhsa_exception_fp_ieee_underflow 0
		.amdhsa_exception_fp_ieee_inexact 0
		.amdhsa_exception_int_div_zero 0
	.end_amdhsa_kernel
	.section	.text._ZN7rocprim17ROCPRIM_400000_NS6detail17trampoline_kernelINS0_14default_configENS1_27scan_by_key_config_selectorIiiEEZZNS1_16scan_by_key_implILNS1_25lookback_scan_determinismE0ELb0ES3_N6thrust23THRUST_200600_302600_NS10device_ptrIiEESB_SB_iNS9_4plusIvEENS9_8equal_toIvEEiEE10hipError_tPvRmT2_T3_T4_T5_mT6_T7_P12ihipStream_tbENKUlT_T0_E_clISt17integral_constantIbLb0EESV_IbLb1EEEEDaSR_SS_EUlSR_E_NS1_11comp_targetILNS1_3genE9ELNS1_11target_archE1100ELNS1_3gpuE3ELNS1_3repE0EEENS1_30default_config_static_selectorELNS0_4arch9wavefront6targetE0EEEvT1_,"axG",@progbits,_ZN7rocprim17ROCPRIM_400000_NS6detail17trampoline_kernelINS0_14default_configENS1_27scan_by_key_config_selectorIiiEEZZNS1_16scan_by_key_implILNS1_25lookback_scan_determinismE0ELb0ES3_N6thrust23THRUST_200600_302600_NS10device_ptrIiEESB_SB_iNS9_4plusIvEENS9_8equal_toIvEEiEE10hipError_tPvRmT2_T3_T4_T5_mT6_T7_P12ihipStream_tbENKUlT_T0_E_clISt17integral_constantIbLb0EESV_IbLb1EEEEDaSR_SS_EUlSR_E_NS1_11comp_targetILNS1_3genE9ELNS1_11target_archE1100ELNS1_3gpuE3ELNS1_3repE0EEENS1_30default_config_static_selectorELNS0_4arch9wavefront6targetE0EEEvT1_,comdat
.Lfunc_end2231:
	.size	_ZN7rocprim17ROCPRIM_400000_NS6detail17trampoline_kernelINS0_14default_configENS1_27scan_by_key_config_selectorIiiEEZZNS1_16scan_by_key_implILNS1_25lookback_scan_determinismE0ELb0ES3_N6thrust23THRUST_200600_302600_NS10device_ptrIiEESB_SB_iNS9_4plusIvEENS9_8equal_toIvEEiEE10hipError_tPvRmT2_T3_T4_T5_mT6_T7_P12ihipStream_tbENKUlT_T0_E_clISt17integral_constantIbLb0EESV_IbLb1EEEEDaSR_SS_EUlSR_E_NS1_11comp_targetILNS1_3genE9ELNS1_11target_archE1100ELNS1_3gpuE3ELNS1_3repE0EEENS1_30default_config_static_selectorELNS0_4arch9wavefront6targetE0EEEvT1_, .Lfunc_end2231-_ZN7rocprim17ROCPRIM_400000_NS6detail17trampoline_kernelINS0_14default_configENS1_27scan_by_key_config_selectorIiiEEZZNS1_16scan_by_key_implILNS1_25lookback_scan_determinismE0ELb0ES3_N6thrust23THRUST_200600_302600_NS10device_ptrIiEESB_SB_iNS9_4plusIvEENS9_8equal_toIvEEiEE10hipError_tPvRmT2_T3_T4_T5_mT6_T7_P12ihipStream_tbENKUlT_T0_E_clISt17integral_constantIbLb0EESV_IbLb1EEEEDaSR_SS_EUlSR_E_NS1_11comp_targetILNS1_3genE9ELNS1_11target_archE1100ELNS1_3gpuE3ELNS1_3repE0EEENS1_30default_config_static_selectorELNS0_4arch9wavefront6targetE0EEEvT1_
                                        ; -- End function
	.set _ZN7rocprim17ROCPRIM_400000_NS6detail17trampoline_kernelINS0_14default_configENS1_27scan_by_key_config_selectorIiiEEZZNS1_16scan_by_key_implILNS1_25lookback_scan_determinismE0ELb0ES3_N6thrust23THRUST_200600_302600_NS10device_ptrIiEESB_SB_iNS9_4plusIvEENS9_8equal_toIvEEiEE10hipError_tPvRmT2_T3_T4_T5_mT6_T7_P12ihipStream_tbENKUlT_T0_E_clISt17integral_constantIbLb0EESV_IbLb1EEEEDaSR_SS_EUlSR_E_NS1_11comp_targetILNS1_3genE9ELNS1_11target_archE1100ELNS1_3gpuE3ELNS1_3repE0EEENS1_30default_config_static_selectorELNS0_4arch9wavefront6targetE0EEEvT1_.num_vgpr, 0
	.set _ZN7rocprim17ROCPRIM_400000_NS6detail17trampoline_kernelINS0_14default_configENS1_27scan_by_key_config_selectorIiiEEZZNS1_16scan_by_key_implILNS1_25lookback_scan_determinismE0ELb0ES3_N6thrust23THRUST_200600_302600_NS10device_ptrIiEESB_SB_iNS9_4plusIvEENS9_8equal_toIvEEiEE10hipError_tPvRmT2_T3_T4_T5_mT6_T7_P12ihipStream_tbENKUlT_T0_E_clISt17integral_constantIbLb0EESV_IbLb1EEEEDaSR_SS_EUlSR_E_NS1_11comp_targetILNS1_3genE9ELNS1_11target_archE1100ELNS1_3gpuE3ELNS1_3repE0EEENS1_30default_config_static_selectorELNS0_4arch9wavefront6targetE0EEEvT1_.num_agpr, 0
	.set _ZN7rocprim17ROCPRIM_400000_NS6detail17trampoline_kernelINS0_14default_configENS1_27scan_by_key_config_selectorIiiEEZZNS1_16scan_by_key_implILNS1_25lookback_scan_determinismE0ELb0ES3_N6thrust23THRUST_200600_302600_NS10device_ptrIiEESB_SB_iNS9_4plusIvEENS9_8equal_toIvEEiEE10hipError_tPvRmT2_T3_T4_T5_mT6_T7_P12ihipStream_tbENKUlT_T0_E_clISt17integral_constantIbLb0EESV_IbLb1EEEEDaSR_SS_EUlSR_E_NS1_11comp_targetILNS1_3genE9ELNS1_11target_archE1100ELNS1_3gpuE3ELNS1_3repE0EEENS1_30default_config_static_selectorELNS0_4arch9wavefront6targetE0EEEvT1_.numbered_sgpr, 0
	.set _ZN7rocprim17ROCPRIM_400000_NS6detail17trampoline_kernelINS0_14default_configENS1_27scan_by_key_config_selectorIiiEEZZNS1_16scan_by_key_implILNS1_25lookback_scan_determinismE0ELb0ES3_N6thrust23THRUST_200600_302600_NS10device_ptrIiEESB_SB_iNS9_4plusIvEENS9_8equal_toIvEEiEE10hipError_tPvRmT2_T3_T4_T5_mT6_T7_P12ihipStream_tbENKUlT_T0_E_clISt17integral_constantIbLb0EESV_IbLb1EEEEDaSR_SS_EUlSR_E_NS1_11comp_targetILNS1_3genE9ELNS1_11target_archE1100ELNS1_3gpuE3ELNS1_3repE0EEENS1_30default_config_static_selectorELNS0_4arch9wavefront6targetE0EEEvT1_.num_named_barrier, 0
	.set _ZN7rocprim17ROCPRIM_400000_NS6detail17trampoline_kernelINS0_14default_configENS1_27scan_by_key_config_selectorIiiEEZZNS1_16scan_by_key_implILNS1_25lookback_scan_determinismE0ELb0ES3_N6thrust23THRUST_200600_302600_NS10device_ptrIiEESB_SB_iNS9_4plusIvEENS9_8equal_toIvEEiEE10hipError_tPvRmT2_T3_T4_T5_mT6_T7_P12ihipStream_tbENKUlT_T0_E_clISt17integral_constantIbLb0EESV_IbLb1EEEEDaSR_SS_EUlSR_E_NS1_11comp_targetILNS1_3genE9ELNS1_11target_archE1100ELNS1_3gpuE3ELNS1_3repE0EEENS1_30default_config_static_selectorELNS0_4arch9wavefront6targetE0EEEvT1_.private_seg_size, 0
	.set _ZN7rocprim17ROCPRIM_400000_NS6detail17trampoline_kernelINS0_14default_configENS1_27scan_by_key_config_selectorIiiEEZZNS1_16scan_by_key_implILNS1_25lookback_scan_determinismE0ELb0ES3_N6thrust23THRUST_200600_302600_NS10device_ptrIiEESB_SB_iNS9_4plusIvEENS9_8equal_toIvEEiEE10hipError_tPvRmT2_T3_T4_T5_mT6_T7_P12ihipStream_tbENKUlT_T0_E_clISt17integral_constantIbLb0EESV_IbLb1EEEEDaSR_SS_EUlSR_E_NS1_11comp_targetILNS1_3genE9ELNS1_11target_archE1100ELNS1_3gpuE3ELNS1_3repE0EEENS1_30default_config_static_selectorELNS0_4arch9wavefront6targetE0EEEvT1_.uses_vcc, 0
	.set _ZN7rocprim17ROCPRIM_400000_NS6detail17trampoline_kernelINS0_14default_configENS1_27scan_by_key_config_selectorIiiEEZZNS1_16scan_by_key_implILNS1_25lookback_scan_determinismE0ELb0ES3_N6thrust23THRUST_200600_302600_NS10device_ptrIiEESB_SB_iNS9_4plusIvEENS9_8equal_toIvEEiEE10hipError_tPvRmT2_T3_T4_T5_mT6_T7_P12ihipStream_tbENKUlT_T0_E_clISt17integral_constantIbLb0EESV_IbLb1EEEEDaSR_SS_EUlSR_E_NS1_11comp_targetILNS1_3genE9ELNS1_11target_archE1100ELNS1_3gpuE3ELNS1_3repE0EEENS1_30default_config_static_selectorELNS0_4arch9wavefront6targetE0EEEvT1_.uses_flat_scratch, 0
	.set _ZN7rocprim17ROCPRIM_400000_NS6detail17trampoline_kernelINS0_14default_configENS1_27scan_by_key_config_selectorIiiEEZZNS1_16scan_by_key_implILNS1_25lookback_scan_determinismE0ELb0ES3_N6thrust23THRUST_200600_302600_NS10device_ptrIiEESB_SB_iNS9_4plusIvEENS9_8equal_toIvEEiEE10hipError_tPvRmT2_T3_T4_T5_mT6_T7_P12ihipStream_tbENKUlT_T0_E_clISt17integral_constantIbLb0EESV_IbLb1EEEEDaSR_SS_EUlSR_E_NS1_11comp_targetILNS1_3genE9ELNS1_11target_archE1100ELNS1_3gpuE3ELNS1_3repE0EEENS1_30default_config_static_selectorELNS0_4arch9wavefront6targetE0EEEvT1_.has_dyn_sized_stack, 0
	.set _ZN7rocprim17ROCPRIM_400000_NS6detail17trampoline_kernelINS0_14default_configENS1_27scan_by_key_config_selectorIiiEEZZNS1_16scan_by_key_implILNS1_25lookback_scan_determinismE0ELb0ES3_N6thrust23THRUST_200600_302600_NS10device_ptrIiEESB_SB_iNS9_4plusIvEENS9_8equal_toIvEEiEE10hipError_tPvRmT2_T3_T4_T5_mT6_T7_P12ihipStream_tbENKUlT_T0_E_clISt17integral_constantIbLb0EESV_IbLb1EEEEDaSR_SS_EUlSR_E_NS1_11comp_targetILNS1_3genE9ELNS1_11target_archE1100ELNS1_3gpuE3ELNS1_3repE0EEENS1_30default_config_static_selectorELNS0_4arch9wavefront6targetE0EEEvT1_.has_recursion, 0
	.set _ZN7rocprim17ROCPRIM_400000_NS6detail17trampoline_kernelINS0_14default_configENS1_27scan_by_key_config_selectorIiiEEZZNS1_16scan_by_key_implILNS1_25lookback_scan_determinismE0ELb0ES3_N6thrust23THRUST_200600_302600_NS10device_ptrIiEESB_SB_iNS9_4plusIvEENS9_8equal_toIvEEiEE10hipError_tPvRmT2_T3_T4_T5_mT6_T7_P12ihipStream_tbENKUlT_T0_E_clISt17integral_constantIbLb0EESV_IbLb1EEEEDaSR_SS_EUlSR_E_NS1_11comp_targetILNS1_3genE9ELNS1_11target_archE1100ELNS1_3gpuE3ELNS1_3repE0EEENS1_30default_config_static_selectorELNS0_4arch9wavefront6targetE0EEEvT1_.has_indirect_call, 0
	.section	.AMDGPU.csdata,"",@progbits
; Kernel info:
; codeLenInByte = 0
; TotalNumSgprs: 0
; NumVgprs: 0
; ScratchSize: 0
; MemoryBound: 0
; FloatMode: 240
; IeeeMode: 1
; LDSByteSize: 0 bytes/workgroup (compile time only)
; SGPRBlocks: 0
; VGPRBlocks: 0
; NumSGPRsForWavesPerEU: 1
; NumVGPRsForWavesPerEU: 1
; Occupancy: 16
; WaveLimiterHint : 0
; COMPUTE_PGM_RSRC2:SCRATCH_EN: 0
; COMPUTE_PGM_RSRC2:USER_SGPR: 6
; COMPUTE_PGM_RSRC2:TRAP_HANDLER: 0
; COMPUTE_PGM_RSRC2:TGID_X_EN: 1
; COMPUTE_PGM_RSRC2:TGID_Y_EN: 0
; COMPUTE_PGM_RSRC2:TGID_Z_EN: 0
; COMPUTE_PGM_RSRC2:TIDIG_COMP_CNT: 0
	.section	.text._ZN7rocprim17ROCPRIM_400000_NS6detail17trampoline_kernelINS0_14default_configENS1_27scan_by_key_config_selectorIiiEEZZNS1_16scan_by_key_implILNS1_25lookback_scan_determinismE0ELb0ES3_N6thrust23THRUST_200600_302600_NS10device_ptrIiEESB_SB_iNS9_4plusIvEENS9_8equal_toIvEEiEE10hipError_tPvRmT2_T3_T4_T5_mT6_T7_P12ihipStream_tbENKUlT_T0_E_clISt17integral_constantIbLb0EESV_IbLb1EEEEDaSR_SS_EUlSR_E_NS1_11comp_targetILNS1_3genE8ELNS1_11target_archE1030ELNS1_3gpuE2ELNS1_3repE0EEENS1_30default_config_static_selectorELNS0_4arch9wavefront6targetE0EEEvT1_,"axG",@progbits,_ZN7rocprim17ROCPRIM_400000_NS6detail17trampoline_kernelINS0_14default_configENS1_27scan_by_key_config_selectorIiiEEZZNS1_16scan_by_key_implILNS1_25lookback_scan_determinismE0ELb0ES3_N6thrust23THRUST_200600_302600_NS10device_ptrIiEESB_SB_iNS9_4plusIvEENS9_8equal_toIvEEiEE10hipError_tPvRmT2_T3_T4_T5_mT6_T7_P12ihipStream_tbENKUlT_T0_E_clISt17integral_constantIbLb0EESV_IbLb1EEEEDaSR_SS_EUlSR_E_NS1_11comp_targetILNS1_3genE8ELNS1_11target_archE1030ELNS1_3gpuE2ELNS1_3repE0EEENS1_30default_config_static_selectorELNS0_4arch9wavefront6targetE0EEEvT1_,comdat
	.protected	_ZN7rocprim17ROCPRIM_400000_NS6detail17trampoline_kernelINS0_14default_configENS1_27scan_by_key_config_selectorIiiEEZZNS1_16scan_by_key_implILNS1_25lookback_scan_determinismE0ELb0ES3_N6thrust23THRUST_200600_302600_NS10device_ptrIiEESB_SB_iNS9_4plusIvEENS9_8equal_toIvEEiEE10hipError_tPvRmT2_T3_T4_T5_mT6_T7_P12ihipStream_tbENKUlT_T0_E_clISt17integral_constantIbLb0EESV_IbLb1EEEEDaSR_SS_EUlSR_E_NS1_11comp_targetILNS1_3genE8ELNS1_11target_archE1030ELNS1_3gpuE2ELNS1_3repE0EEENS1_30default_config_static_selectorELNS0_4arch9wavefront6targetE0EEEvT1_ ; -- Begin function _ZN7rocprim17ROCPRIM_400000_NS6detail17trampoline_kernelINS0_14default_configENS1_27scan_by_key_config_selectorIiiEEZZNS1_16scan_by_key_implILNS1_25lookback_scan_determinismE0ELb0ES3_N6thrust23THRUST_200600_302600_NS10device_ptrIiEESB_SB_iNS9_4plusIvEENS9_8equal_toIvEEiEE10hipError_tPvRmT2_T3_T4_T5_mT6_T7_P12ihipStream_tbENKUlT_T0_E_clISt17integral_constantIbLb0EESV_IbLb1EEEEDaSR_SS_EUlSR_E_NS1_11comp_targetILNS1_3genE8ELNS1_11target_archE1030ELNS1_3gpuE2ELNS1_3repE0EEENS1_30default_config_static_selectorELNS0_4arch9wavefront6targetE0EEEvT1_
	.globl	_ZN7rocprim17ROCPRIM_400000_NS6detail17trampoline_kernelINS0_14default_configENS1_27scan_by_key_config_selectorIiiEEZZNS1_16scan_by_key_implILNS1_25lookback_scan_determinismE0ELb0ES3_N6thrust23THRUST_200600_302600_NS10device_ptrIiEESB_SB_iNS9_4plusIvEENS9_8equal_toIvEEiEE10hipError_tPvRmT2_T3_T4_T5_mT6_T7_P12ihipStream_tbENKUlT_T0_E_clISt17integral_constantIbLb0EESV_IbLb1EEEEDaSR_SS_EUlSR_E_NS1_11comp_targetILNS1_3genE8ELNS1_11target_archE1030ELNS1_3gpuE2ELNS1_3repE0EEENS1_30default_config_static_selectorELNS0_4arch9wavefront6targetE0EEEvT1_
	.p2align	8
	.type	_ZN7rocprim17ROCPRIM_400000_NS6detail17trampoline_kernelINS0_14default_configENS1_27scan_by_key_config_selectorIiiEEZZNS1_16scan_by_key_implILNS1_25lookback_scan_determinismE0ELb0ES3_N6thrust23THRUST_200600_302600_NS10device_ptrIiEESB_SB_iNS9_4plusIvEENS9_8equal_toIvEEiEE10hipError_tPvRmT2_T3_T4_T5_mT6_T7_P12ihipStream_tbENKUlT_T0_E_clISt17integral_constantIbLb0EESV_IbLb1EEEEDaSR_SS_EUlSR_E_NS1_11comp_targetILNS1_3genE8ELNS1_11target_archE1030ELNS1_3gpuE2ELNS1_3repE0EEENS1_30default_config_static_selectorELNS0_4arch9wavefront6targetE0EEEvT1_,@function
_ZN7rocprim17ROCPRIM_400000_NS6detail17trampoline_kernelINS0_14default_configENS1_27scan_by_key_config_selectorIiiEEZZNS1_16scan_by_key_implILNS1_25lookback_scan_determinismE0ELb0ES3_N6thrust23THRUST_200600_302600_NS10device_ptrIiEESB_SB_iNS9_4plusIvEENS9_8equal_toIvEEiEE10hipError_tPvRmT2_T3_T4_T5_mT6_T7_P12ihipStream_tbENKUlT_T0_E_clISt17integral_constantIbLb0EESV_IbLb1EEEEDaSR_SS_EUlSR_E_NS1_11comp_targetILNS1_3genE8ELNS1_11target_archE1030ELNS1_3gpuE2ELNS1_3repE0EEENS1_30default_config_static_selectorELNS0_4arch9wavefront6targetE0EEEvT1_: ; @_ZN7rocprim17ROCPRIM_400000_NS6detail17trampoline_kernelINS0_14default_configENS1_27scan_by_key_config_selectorIiiEEZZNS1_16scan_by_key_implILNS1_25lookback_scan_determinismE0ELb0ES3_N6thrust23THRUST_200600_302600_NS10device_ptrIiEESB_SB_iNS9_4plusIvEENS9_8equal_toIvEEiEE10hipError_tPvRmT2_T3_T4_T5_mT6_T7_P12ihipStream_tbENKUlT_T0_E_clISt17integral_constantIbLb0EESV_IbLb1EEEEDaSR_SS_EUlSR_E_NS1_11comp_targetILNS1_3genE8ELNS1_11target_archE1030ELNS1_3gpuE2ELNS1_3repE0EEENS1_30default_config_static_selectorELNS0_4arch9wavefront6targetE0EEEvT1_
; %bb.0:
	s_clause 0x1
	s_load_dwordx4 s[24:27], s[4:5], 0x28
	s_load_dwordx2 s[28:29], s[4:5], 0x38
	v_cmp_ne_u32_e64 s1, 0, v0
	v_cmp_eq_u32_e64 s0, 0, v0
	s_and_saveexec_b32 s2, s0
	s_cbranch_execz .LBB2232_4
; %bb.1:
	s_mov_b32 s6, exec_lo
	s_mov_b32 s3, exec_lo
	v_mbcnt_lo_u32_b32 v1, s6, 0
                                        ; implicit-def: $vgpr2
	v_cmpx_eq_u32_e32 0, v1
	s_cbranch_execz .LBB2232_3
; %bb.2:
	s_load_dwordx2 s[8:9], s[4:5], 0x68
	s_bcnt1_i32_b32 s6, s6
	v_mov_b32_e32 v2, 0
	v_mov_b32_e32 v3, s6
	s_waitcnt lgkmcnt(0)
	global_atomic_add v2, v2, v3, s[8:9] glc
.LBB2232_3:
	s_or_b32 exec_lo, exec_lo, s3
	s_waitcnt vmcnt(0)
	v_readfirstlane_b32 s3, v2
	v_mov_b32_e32 v2, 0
	v_add_nc_u32_e32 v1, s3, v1
	ds_write_b32 v2, v1
.LBB2232_4:
	s_or_b32 exec_lo, exec_lo, s2
	v_mov_b32_e32 v1, 0
	s_clause 0x2
	s_load_dwordx8 s[8:15], s[4:5], 0x0
	s_load_dword s30, s[4:5], 0x40
	s_load_dwordx8 s[16:23], s[4:5], 0x48
	s_waitcnt lgkmcnt(0)
	s_barrier
	buffer_gl0_inv
	ds_read_b32 v1, v1
	s_waitcnt lgkmcnt(0)
	s_barrier
	buffer_gl0_inv
	s_barrier
	buffer_gl0_inv
	s_lshl_b64 s[6:7], s[10:11], 2
	s_mul_i32 s2, s29, s30
	s_add_u32 s4, s8, s6
	s_addc_u32 s5, s9, s7
	s_mul_hi_u32 s3, s28, s30
	s_add_u32 s12, s12, s6
	v_readfirstlane_b32 s27, v1
	s_addc_u32 s13, s13, s7
	s_add_i32 s33, s3, s2
	s_cmp_lg_u64 s[20:21], 0
	s_mov_b32 s3, 0
	s_mul_i32 s2, s27, 0x300
	s_cselect_b32 s31, -1, 0
	s_lshl_b64 s[8:9], s[2:3], 2
	s_mul_i32 s2, s28, s30
	s_add_u32 s10, s4, s8
	s_addc_u32 s11, s5, s9
	s_add_u32 s5, s12, s8
	s_addc_u32 s30, s13, s9
	;; [unrolled: 2-line block ×3, first 2 shown]
	s_add_u32 s16, s16, -1
	s_addc_u32 s17, s17, -1
	s_mul_i32 s21, s16, 0xfffffd00
	v_cmp_ge_u64_e64 s20, s[12:13], s[16:17]
	s_and_b32 vcc_lo, exec_lo, s20
	s_cbranch_vccz .LBB2232_26
; %bb.5:
	v_mov_b32_e32 v1, s10
	v_mov_b32_e32 v2, s11
	s_add_i32 s33, s21, s26
	v_cmp_gt_u32_e64 s2, s33, v0
	flat_load_dword v2, v[1:2]
	s_waitcnt vmcnt(0) lgkmcnt(0)
	v_mov_b32_e32 v3, v2
	s_and_saveexec_b32 s3, s2
	s_cbranch_execz .LBB2232_7
; %bb.6:
	v_lshlrev_b32_e32 v1, 2, v0
	v_add_co_u32 v3, s4, s10, v1
	v_add_co_ci_u32_e64 v4, null, s11, 0, s4
	flat_load_dword v3, v[3:4]
.LBB2232_7:
	s_or_b32 exec_lo, exec_lo, s3
	v_or_b32_e32 v1, 0x100, v0
	v_mov_b32_e32 v4, v2
	v_cmp_gt_u32_e64 s3, s33, v1
	s_and_saveexec_b32 s4, s3
	s_cbranch_execz .LBB2232_9
; %bb.8:
	v_lshlrev_b32_e32 v1, 2, v0
	v_add_co_u32 v4, s16, s10, v1
	v_add_co_ci_u32_e64 v5, null, s11, 0, s16
	flat_load_dword v4, v[4:5] offset:1024
.LBB2232_9:
	s_or_b32 exec_lo, exec_lo, s4
	v_or_b32_e32 v1, 0x200, v0
	v_cmp_gt_u32_e64 s4, s33, v1
	v_lshlrev_b32_e32 v8, 2, v1
	s_and_saveexec_b32 s16, s4
	s_cbranch_execz .LBB2232_11
; %bb.10:
	v_add_co_u32 v1, s17, s10, v8
	v_add_co_ci_u32_e64 v2, null, s11, 0, s17
	flat_load_dword v2, v[1:2]
.LBB2232_11:
	s_or_b32 exec_lo, exec_lo, s16
	v_lshlrev_b32_e32 v9, 2, v0
	v_lshlrev_b32_e32 v1, 3, v0
	s_cmp_eq_u64 s[12:13], 0
	s_mov_b64 s[16:17], s[10:11]
	s_waitcnt vmcnt(0) lgkmcnt(0)
	ds_write2st64_b32 v9, v3, v4 offset1:4
	v_add_nc_u32_e32 v7, v9, v1
	ds_write_b32 v9, v2 offset:2048
	s_waitcnt lgkmcnt(0)
	s_barrier
	buffer_gl0_inv
	ds_read2_b32 v[4:5], v7 offset1:1
	ds_read_b32 v6, v7 offset:8
	s_cbranch_scc1 .LBB2232_15
; %bb.12:
	s_andn2_b32 vcc_lo, exec_lo, s31
	s_cbranch_vccnz .LBB2232_105
; %bb.13:
	s_lshl_b64 s[16:17], s[12:13], 2
	s_add_u32 s16, s22, s16
	s_addc_u32 s17, s23, s17
	s_add_u32 s16, s16, -4
	s_addc_u32 s17, s17, -1
	s_cbranch_execnz .LBB2232_15
.LBB2232_14:
	s_add_u32 s16, s10, -4
	s_addc_u32 s17, s11, -1
.LBB2232_15:
	v_mov_b32_e32 v2, s16
	v_mov_b32_e32 v3, s17
	flat_load_dword v13, v[2:3]
	v_sub_nc_u32_e32 v2, v7, v1
	s_waitcnt lgkmcnt(1)
	ds_write_b32 v2, v6 offset:3072
	s_waitcnt vmcnt(0) lgkmcnt(0)
	s_barrier
	buffer_gl0_inv
	s_and_saveexec_b32 s16, s1
; %bb.16:
	v_sub_nc_u32_e32 v1, 0, v1
	v_add_nc_u32_e32 v1, v7, v1
	ds_read_b32 v13, v1 offset:3068
; %bb.17:
	s_or_b32 exec_lo, exec_lo, s16
	v_mov_b32_e32 v1, 0
	s_waitcnt lgkmcnt(0)
	s_barrier
	buffer_gl0_inv
	v_mov_b32_e32 v2, v1
	v_mov_b32_e32 v3, v1
	s_and_saveexec_b32 s16, s2
	s_cbranch_execnz .LBB2232_103
; %bb.18:
	s_or_b32 exec_lo, exec_lo, s16
	s_and_saveexec_b32 s2, s3
	s_cbranch_execnz .LBB2232_104
.LBB2232_19:
	s_or_b32 exec_lo, exec_lo, s2
	s_and_saveexec_b32 s2, s4
	s_cbranch_execz .LBB2232_21
.LBB2232_20:
	v_add_co_u32 v10, s3, s5, v8
	v_add_co_ci_u32_e64 v11, null, s30, 0, s3
	flat_load_dword v3, v[10:11]
.LBB2232_21:
	s_or_b32 exec_lo, exec_lo, s2
	s_waitcnt vmcnt(0) lgkmcnt(0)
	ds_write2st64_b32 v9, v1, v2 offset1:4
	ds_write_b32 v9, v3 offset:2048
	v_mov_b32_e32 v9, 0
	v_mov_b32_e32 v11, 0
	v_mul_u32_u24_e32 v8, 3, v0
	v_mov_b32_e32 v10, 0
	v_mov_b32_e32 v12, 0
	s_mov_b32 s16, 0
	s_mov_b32 s3, 0
	s_mov_b32 s17, exec_lo
	s_waitcnt lgkmcnt(0)
	s_barrier
	buffer_gl0_inv
                                        ; implicit-def: $sgpr4
                                        ; implicit-def: $vgpr2
	v_cmpx_gt_u32_e64 s33, v8
	s_cbranch_execz .LBB2232_25
; %bb.22:
	ds_read_b32 v9, v7
	v_cmp_ne_u32_e32 vcc_lo, v13, v4
	v_mov_b32_e32 v11, 0
	v_add_nc_u32_e32 v1, 1, v8
	v_mov_b32_e32 v12, 0
	s_mov_b32 s2, 0
	v_cndmask_b32_e64 v10, 0, 1, vcc_lo
	s_mov_b32 s3, exec_lo
                                        ; implicit-def: $sgpr4
                                        ; implicit-def: $vgpr2
	v_cmpx_gt_u32_e64 s33, v1
	s_xor_b32 s3, exec_lo, s3
	s_cbranch_execz .LBB2232_24
; %bb.23:
	ds_read2_b32 v[1:2], v7 offset0:1 offset1:2
	v_add_nc_u32_e32 v3, 2, v8
	v_cmp_ne_u32_e64 s2, v4, v5
	v_cmp_ne_u32_e64 s4, v5, v6
	v_cmp_gt_u32_e32 vcc_lo, s33, v3
	v_cndmask_b32_e64 v12, 0, 1, s2
	s_and_b32 s2, vcc_lo, exec_lo
	s_waitcnt lgkmcnt(0)
	v_mov_b32_e32 v11, v1
.LBB2232_24:
	s_or_b32 exec_lo, exec_lo, s3
	s_and_b32 s3, s2, exec_lo
.LBB2232_25:
	s_or_b32 exec_lo, exec_lo, s17
	v_lshlrev_b32_e32 v18, 2, v0
	v_lshlrev_b32_e32 v19, 3, v0
	s_and_b32 vcc_lo, exec_lo, s16
	s_cbranch_vccnz .LBB2232_27
	s_branch .LBB2232_35
.LBB2232_26:
                                        ; implicit-def: $sgpr4
                                        ; implicit-def: $vgpr2
                                        ; implicit-def: $vgpr9_vgpr10
                                        ; implicit-def: $vgpr11_vgpr12
	v_lshlrev_b32_e32 v18, 2, v0
	v_lshlrev_b32_e32 v19, 3, v0
	s_cbranch_execz .LBB2232_35
.LBB2232_27:
	v_add_co_u32 v1, s2, s10, v18
	v_add_co_ci_u32_e64 v2, null, s11, 0, s2
	s_cmp_eq_u64 s[12:13], 0
	v_add_co_u32 v3, vcc_lo, 0x800, v1
	v_add_co_ci_u32_e64 v4, null, 0, v2, vcc_lo
	s_clause 0x2
	flat_load_dword v5, v[1:2]
	flat_load_dword v2, v[1:2] offset:1024
	flat_load_dword v3, v[3:4]
	v_add_nc_u32_e32 v1, v18, v19
	s_waitcnt vmcnt(1) lgkmcnt(1)
	ds_write2st64_b32 v18, v5, v2 offset1:4
	s_waitcnt vmcnt(0) lgkmcnt(1)
	ds_write_b32 v18, v3 offset:2048
	s_waitcnt lgkmcnt(0)
	s_barrier
	buffer_gl0_inv
	ds_read2_b32 v[3:4], v1 offset1:1
	ds_read_b32 v5, v1 offset:8
	s_cbranch_scc1 .LBB2232_32
; %bb.28:
	s_andn2_b32 vcc_lo, exec_lo, s31
	s_cbranch_vccnz .LBB2232_106
; %bb.29:
	s_lshl_b64 s[2:3], s[12:13], 2
	s_add_u32 s2, s22, s2
	s_addc_u32 s3, s23, s3
	s_add_u32 s2, s2, -4
	s_addc_u32 s3, s3, -1
	s_cbranch_execnz .LBB2232_31
.LBB2232_30:
	s_add_u32 s2, s10, -4
	s_addc_u32 s3, s11, -1
.LBB2232_31:
	s_mov_b64 s[10:11], s[2:3]
.LBB2232_32:
	v_mov_b32_e32 v6, s10
	v_mov_b32_e32 v7, s11
	v_sub_nc_u32_e32 v2, v1, v19
	flat_load_dword v6, v[6:7]
	s_waitcnt lgkmcnt(1)
	ds_write_b32 v2, v5 offset:3072
	s_waitcnt vmcnt(0) lgkmcnt(0)
	s_barrier
	buffer_gl0_inv
	s_and_saveexec_b32 s2, s1
; %bb.33:
	v_sub_nc_u32_e32 v2, 0, v19
	v_add_nc_u32_e32 v2, v1, v2
	ds_read_b32 v6, v2 offset:3068
; %bb.34:
	s_or_b32 exec_lo, exec_lo, s2
	v_add_co_u32 v7, s2, s5, v18
	v_add_co_ci_u32_e64 v8, null, s30, 0, s2
	s_waitcnt lgkmcnt(0)
	v_add_co_u32 v9, vcc_lo, 0x800, v7
	v_add_co_ci_u32_e64 v10, null, 0, v8, vcc_lo
	s_barrier
	buffer_gl0_inv
	s_clause 0x2
	flat_load_dword v2, v[7:8]
	flat_load_dword v7, v[7:8] offset:1024
	flat_load_dword v8, v[9:10]
	v_cmp_ne_u32_e32 vcc_lo, v6, v3
	v_cmp_ne_u32_e64 s4, v4, v5
	s_mov_b32 s3, -1
	s_waitcnt vmcnt(1) lgkmcnt(1)
	ds_write2st64_b32 v18, v2, v7 offset1:4
	s_waitcnt vmcnt(0) lgkmcnt(1)
	ds_write_b32 v18, v8 offset:2048
	s_waitcnt lgkmcnt(0)
	s_barrier
	buffer_gl0_inv
	ds_read2_b32 v[7:8], v1 offset1:1
	ds_read_b32 v2, v1 offset:8
	v_cndmask_b32_e64 v10, 0, 1, vcc_lo
	v_cmp_ne_u32_e32 vcc_lo, v3, v4
	v_cndmask_b32_e64 v12, 0, 1, vcc_lo
	s_waitcnt lgkmcnt(1)
	v_mov_b32_e32 v9, v7
	v_mov_b32_e32 v11, v8
.LBB2232_35:
	v_mov_b32_e32 v13, 0
	v_mov_b32_e32 v14, 0
	s_and_saveexec_b32 s2, s3
	s_cbranch_execz .LBB2232_37
; %bb.36:
	v_cndmask_b32_e64 v14, 0, 1, s4
	s_waitcnt lgkmcnt(0)
	v_mov_b32_e32 v13, v2
.LBB2232_37:
	s_or_b32 exec_lo, exec_lo, s2
	v_or_b32_e32 v23, v12, v14
	v_mbcnt_lo_u32_b32 v20, -1, 0
	v_lshrrev_b32_e32 v21, 5, v0
	v_or_b32_e32 v22, 31, v0
	s_cmp_lg_u32 s27, 0
	s_mov_b32 s4, 0
	s_waitcnt lgkmcnt(0)
	s_barrier
	buffer_gl0_inv
	s_cbranch_scc0 .LBB2232_63
; %bb.38:
	v_and_b32_e32 v2, 0xff, v23
	v_mov_b32_e32 v1, 0
	s_mov_b32 s5, 1
	v_and_b32_e32 v8, 15, v20
	v_cmp_gt_u64_e64 s2, s[4:5], v[11:12]
	v_cmp_gt_u64_e64 s3, s[4:5], v[13:14]
	v_cmp_eq_u64_e32 vcc_lo, 0, v[1:2]
	v_cndmask_b32_e64 v3, 0, v9, s2
	v_cndmask_b32_e32 v2, 1, v10, vcc_lo
	v_add_nc_u32_e32 v3, v3, v11
	v_and_b32_e32 v4, 0xff, v2
	v_and_b32_e32 v6, 1, v2
	v_cndmask_b32_e64 v3, 0, v3, s3
	v_mov_b32_dpp v5, v4 row_shr:1 row_mask:0xf bank_mask:0xf
	v_cmp_eq_u32_e32 vcc_lo, 1, v6
	v_add_nc_u32_e32 v3, v3, v13
	v_and_b32_e32 v5, 1, v5
	v_mov_b32_dpp v7, v3 row_shr:1 row_mask:0xf bank_mask:0xf
	v_cndmask_b32_e64 v5, v5, 1, vcc_lo
	v_cmp_eq_u16_e32 vcc_lo, 0, v4
	v_cndmask_b32_e32 v6, 0, v7, vcc_lo
	v_cmp_eq_u32_e32 vcc_lo, 0, v8
	v_cndmask_b32_e32 v4, v5, v4, vcc_lo
	v_cndmask_b32_e32 v2, v5, v2, vcc_lo
	v_cndmask_b32_e64 v6, v6, 0, vcc_lo
	v_mov_b32_dpp v5, v4 row_shr:2 row_mask:0xf bank_mask:0xf
	v_and_b32_e32 v7, 1, v2
	v_add_nc_u32_e32 v3, v6, v3
	v_cmp_eq_u16_sdwa s4, v2, v1 src0_sel:BYTE_0 src1_sel:DWORD
	v_and_b32_e32 v5, 1, v5
	v_cmp_eq_u32_e32 vcc_lo, 1, v7
	v_cndmask_b32_e64 v5, v5, 1, vcc_lo
	v_cmp_lt_u32_e32 vcc_lo, 1, v8
	v_cndmask_b32_e32 v7, v2, v5, vcc_lo
	v_cndmask_b32_e32 v4, v4, v5, vcc_lo
	v_mov_b32_dpp v2, v3 row_shr:2 row_mask:0xf bank_mask:0xf
	s_and_b32 vcc_lo, vcc_lo, s4
	v_and_b32_e32 v6, 1, v7
	v_mov_b32_dpp v5, v4 row_shr:4 row_mask:0xf bank_mask:0xf
	v_cndmask_b32_e32 v2, 0, v2, vcc_lo
	v_cmp_eq_u16_sdwa s4, v7, v1 src0_sel:BYTE_0 src1_sel:DWORD
	v_cmp_eq_u32_e32 vcc_lo, 1, v6
	v_and_b32_e32 v5, 1, v5
	v_add_nc_u32_e32 v2, v2, v3
	v_cndmask_b32_e64 v5, v5, 1, vcc_lo
	v_cmp_lt_u32_e32 vcc_lo, 3, v8
	v_cndmask_b32_e32 v3, v7, v5, vcc_lo
	v_cndmask_b32_e32 v4, v4, v5, vcc_lo
	v_mov_b32_dpp v5, v2 row_shr:4 row_mask:0xf bank_mask:0xf
	s_and_b32 vcc_lo, vcc_lo, s4
	v_and_b32_e32 v7, 1, v3
	v_mov_b32_dpp v6, v4 row_shr:8 row_mask:0xf bank_mask:0xf
	v_cndmask_b32_e32 v5, 0, v5, vcc_lo
	v_cmp_eq_u16_sdwa s4, v3, v1 src0_sel:BYTE_0 src1_sel:DWORD
	v_cmp_eq_u32_e32 vcc_lo, 1, v7
	v_and_b32_e32 v6, 1, v6
	v_add_nc_u32_e32 v2, v5, v2
	v_bfe_i32 v7, v20, 4, 1
	v_cndmask_b32_e64 v5, v6, 1, vcc_lo
	v_cmp_lt_u32_e32 vcc_lo, 7, v8
	v_mov_b32_dpp v6, v2 row_shr:8 row_mask:0xf bank_mask:0xf
	s_and_b32 s4, vcc_lo, s4
	v_cndmask_b32_e32 v4, v4, v5, vcc_lo
	v_cndmask_b32_e64 v6, 0, v6, s4
	v_cndmask_b32_e32 v3, v3, v5, vcc_lo
	ds_swizzle_b32 v5, v4 offset:swizzle(BROADCAST,32,15)
	v_add_nc_u32_e32 v2, v6, v2
	v_and_b32_e32 v8, 1, v3
	v_cmp_eq_u16_sdwa vcc_lo, v3, v1 src0_sel:BYTE_0 src1_sel:DWORD
	v_and_b32_e32 v3, 16, v20
	ds_swizzle_b32 v6, v2 offset:swizzle(BROADCAST,32,15)
	v_cmp_eq_u32_e64 s4, 0, v3
	s_waitcnt lgkmcnt(1)
	v_and_b32_e32 v5, 1, v5
	s_waitcnt lgkmcnt(0)
	v_cndmask_b32_e32 v1, 0, v6, vcc_lo
	v_cmp_eq_u32_e32 vcc_lo, 1, v8
	v_and_b32_e32 v1, v7, v1
	v_cndmask_b32_e64 v5, v5, 1, vcc_lo
	v_add_nc_u32_e32 v3, v1, v2
	v_cndmask_b32_e64 v4, v5, v4, s4
	v_lshlrev_b32_e32 v5, 3, v21
	s_mov_b32 s4, exec_lo
	v_cmpx_eq_u32_e64 v0, v22
	s_cbranch_execz .LBB2232_40
; %bb.39:
	ds_write_b32 v5, v3
	ds_write_b8 v5, v4 offset:4
.LBB2232_40:
	s_or_b32 exec_lo, exec_lo, s4
	s_mov_b32 s4, exec_lo
	s_waitcnt lgkmcnt(0)
	s_barrier
	buffer_gl0_inv
	v_cmpx_gt_u32_e32 8, v0
	s_cbranch_execz .LBB2232_46
; %bb.41:
	ds_read_b64 v[1:2], v19
	v_and_b32_e32 v6, 7, v20
	s_mov_b32 s5, exec_lo
	s_waitcnt lgkmcnt(0)
	v_and_b32_e32 v7, 0xffffff00, v2
	v_mov_b32_dpp v15, v1 row_shr:1 row_mask:0xf bank_mask:0xf
	v_mov_b32_dpp v16, v2 row_shr:1 row_mask:0xf bank_mask:0xf
	v_mov_b32_e32 v8, v2
	v_cmpx_ne_u32_e32 0, v6
	s_cbranch_execz .LBB2232_43
; %bb.42:
	v_mov_b32_e32 v8, 0
	v_and_b32_e32 v17, 1, v2
	v_and_b32_e32 v16, 1, v16
	v_cmp_eq_u16_sdwa vcc_lo, v2, v8 src0_sel:BYTE_0 src1_sel:DWORD
	v_cndmask_b32_e32 v2, 0, v15, vcc_lo
	v_cmp_eq_u32_e32 vcc_lo, 1, v17
	v_add_nc_u32_e32 v1, v2, v1
	v_cndmask_b32_e64 v15, v16, 1, vcc_lo
	v_or_b32_sdwa v8, v7, v15 dst_sel:DWORD dst_unused:UNUSED_PAD src0_sel:DWORD src1_sel:WORD_0
	v_mov_b32_e32 v2, v15
.LBB2232_43:
	s_or_b32 exec_lo, exec_lo, s5
	v_mov_b32_dpp v15, v1 row_shr:2 row_mask:0xf bank_mask:0xf
	v_mov_b32_dpp v16, v8 row_shr:2 row_mask:0xf bank_mask:0xf
	s_mov_b32 s5, exec_lo
	v_cmpx_lt_u32_e32 1, v6
	s_cbranch_execz .LBB2232_45
; %bb.44:
	v_mov_b32_e32 v8, 0
	v_and_b32_e32 v17, 1, v2
	v_and_b32_e32 v16, 1, v16
	v_cmp_eq_u16_sdwa vcc_lo, v2, v8 src0_sel:BYTE_0 src1_sel:DWORD
	v_cndmask_b32_e32 v2, 0, v15, vcc_lo
	v_cmp_eq_u32_e32 vcc_lo, 1, v17
	v_add_nc_u32_e32 v1, v2, v1
	v_cndmask_b32_e64 v15, v16, 1, vcc_lo
	v_or_b32_sdwa v8, v7, v15 dst_sel:DWORD dst_unused:UNUSED_PAD src0_sel:DWORD src1_sel:WORD_0
	v_mov_b32_e32 v2, v15
.LBB2232_45:
	s_or_b32 exec_lo, exec_lo, s5
	v_mov_b32_dpp v7, v8 row_shr:4 row_mask:0xf bank_mask:0xf
	v_and_b32_e32 v15, 1, v2
	v_mov_b32_e32 v8, 0
	v_and_b32_e32 v7, 1, v7
	v_cmp_eq_u32_e32 vcc_lo, 1, v15
	v_cmp_eq_u16_sdwa s5, v2, v8 src0_sel:BYTE_0 src1_sel:DWORD
	v_cndmask_b32_e64 v7, v7, 1, vcc_lo
	v_cmp_lt_u32_e32 vcc_lo, 3, v6
	v_mov_b32_dpp v6, v1 row_shr:4 row_mask:0xf bank_mask:0xf
	v_cndmask_b32_e32 v2, v2, v7, vcc_lo
	s_and_b32 vcc_lo, vcc_lo, s5
	v_cndmask_b32_e32 v6, 0, v6, vcc_lo
	v_add_nc_u32_e32 v1, v6, v1
	ds_write_b32 v19, v1
	ds_write_b8 v19, v2 offset:4
.LBB2232_46:
	s_or_b32 exec_lo, exec_lo, s4
	v_mov_b32_e32 v24, 0
	v_mov_b32_e32 v25, 0
	s_mov_b32 s5, exec_lo
	v_cmp_gt_u32_e32 vcc_lo, 32, v0
	s_waitcnt lgkmcnt(0)
	s_barrier
	buffer_gl0_inv
	v_cmpx_lt_u32_e32 31, v0
	s_cbranch_execz .LBB2232_48
; %bb.47:
	v_add_nc_u32_e32 v1, -8, v5
	v_cmp_eq_u32_e64 s4, 0, v4
	v_and_b32_e32 v2, 1, v4
	ds_read_b32 v24, v1
	v_add_nc_u32_e32 v1, -4, v5
	ds_read_u8 v25, v1
	s_waitcnt lgkmcnt(1)
	v_cndmask_b32_e64 v1, 0, v24, s4
	v_cmp_eq_u32_e64 s4, 1, v2
	v_add_nc_u32_e32 v3, v1, v3
	s_waitcnt lgkmcnt(0)
	v_cndmask_b32_e64 v4, v25, 1, s4
.LBB2232_48:
	s_or_b32 exec_lo, exec_lo, s5
	v_sub_co_u32 v1, s4, v20, 1
	v_cmp_gt_i32_e64 s5, 0, v1
	v_cndmask_b32_e64 v1, v1, v20, s5
	v_lshlrev_b32_e32 v1, 2, v1
	ds_bpermute_b32 v26, v1, v3
	ds_bpermute_b32 v27, v1, v4
	s_and_saveexec_b32 s12, vcc_lo
	s_cbranch_execz .LBB2232_68
; %bb.49:
	v_mov_b32_e32 v4, 0
	ds_read_b64 v[1:2], v4 offset:56
	s_and_saveexec_b32 s5, s4
	s_cbranch_execz .LBB2232_51
; %bb.50:
	s_add_i32 s10, s27, 32
	s_mov_b32 s11, 0
	v_mov_b32_e32 v3, 1
	s_lshl_b64 s[10:11], s[10:11], 4
	s_add_u32 s10, s24, s10
	s_addc_u32 s11, s25, s11
	v_mov_b32_e32 v5, s10
	v_mov_b32_e32 v6, s11
	s_waitcnt lgkmcnt(0)
	;;#ASMSTART
	global_store_dwordx4 v[5:6], v[1:4] off	
s_waitcnt vmcnt(0)
	;;#ASMEND
.LBB2232_51:
	s_or_b32 exec_lo, exec_lo, s5
	v_xad_u32 v15, v20, -1, s27
	s_mov_b32 s10, 0
	v_add_nc_u32_e32 v3, 32, v15
	v_lshlrev_b64 v[5:6], 4, v[3:4]
	v_add_co_u32 v16, vcc_lo, s24, v5
	v_add_co_ci_u32_e64 v17, null, s25, v6, vcc_lo
	;;#ASMSTART
	global_load_dwordx4 v[5:8], v[16:17] off glc dlc	
s_waitcnt vmcnt(0)
	;;#ASMEND
	v_and_b32_e32 v6, 0xff, v6
	v_cmp_eq_u16_sdwa s11, v7, v4 src0_sel:BYTE_0 src1_sel:DWORD
	s_and_saveexec_b32 s5, s11
	s_cbranch_execz .LBB2232_55
; %bb.52:
	v_mov_b32_e32 v3, 0
.LBB2232_53:                            ; =>This Inner Loop Header: Depth=1
	;;#ASMSTART
	global_load_dwordx4 v[5:8], v[16:17] off glc dlc	
s_waitcnt vmcnt(0)
	;;#ASMEND
	v_cmp_ne_u16_sdwa s11, v7, v3 src0_sel:BYTE_0 src1_sel:DWORD
	s_or_b32 s10, s11, s10
	s_andn2_b32 exec_lo, exec_lo, s10
	s_cbranch_execnz .LBB2232_53
; %bb.54:
	s_or_b32 exec_lo, exec_lo, s10
	v_and_b32_e32 v6, 0xff, v6
.LBB2232_55:
	s_or_b32 exec_lo, exec_lo, s5
	v_cmp_ne_u32_e32 vcc_lo, 31, v20
	v_mov_b32_e32 v28, 2
	v_lshlrev_b32_e64 v29, v20, -1
	v_and_b32_e32 v8, 1, v6
	s_mov_b32 s10, 0
	v_add_co_ci_u32_e64 v3, null, 0, v20, vcc_lo
	v_cmp_eq_u16_sdwa s5, v7, v28 src0_sel:BYTE_0 src1_sel:DWORD
	v_cmp_eq_u32_e32 vcc_lo, 1, v8
	s_mov_b32 s11, 1
	v_lshlrev_b32_e32 v17, 2, v3
	v_add_nc_u32_e32 v37, 8, v20
	v_and_or_b32 v4, s5, v29, 0x80000000
	v_cmp_gt_u64_e64 s5, s[10:11], v[5:6]
	v_lshl_or_b32 v38, v20, 2, 64
	ds_bpermute_b32 v3, v17, v6
	ds_bpermute_b32 v16, v17, v5
	v_ffbl_b32_e32 v4, v4
	v_add_nc_u32_e32 v39, 16, v20
	s_waitcnt lgkmcnt(1)
	v_and_b32_e32 v3, 1, v3
	v_cndmask_b32_e64 v3, v3, 1, vcc_lo
	v_cmp_gt_u32_e32 vcc_lo, 30, v20
	v_and_b32_e32 v31, 0xffff, v3
	v_cndmask_b32_e64 v8, 0, 2, vcc_lo
	v_cmp_lt_u32_e32 vcc_lo, v20, v4
	v_add_lshl_u32 v30, v8, v20, 2
	v_cndmask_b32_e32 v8, v6, v31, vcc_lo
	v_cndmask_b32_e32 v3, v6, v3, vcc_lo
	s_and_b32 vcc_lo, vcc_lo, s5
	s_waitcnt lgkmcnt(0)
	v_cndmask_b32_e32 v6, 0, v16, vcc_lo
	ds_bpermute_b32 v31, v30, v8
	v_and_b32_e32 v16, 1, v3
	v_add_nc_u32_e32 v5, v6, v5
	v_cmp_eq_u32_e32 vcc_lo, 1, v16
	v_mov_b32_e32 v16, 0
	ds_bpermute_b32 v6, v30, v5
	v_cmp_eq_u16_sdwa s5, v3, v16 src0_sel:BYTE_0 src1_sel:DWORD
	s_waitcnt lgkmcnt(1)
	v_and_b32_e32 v32, 1, v31
	v_add_nc_u32_e32 v31, 2, v20
	v_cndmask_b32_e64 v33, v32, 1, vcc_lo
	v_cmp_gt_u32_e32 vcc_lo, 28, v20
	v_and_b32_e32 v34, 0xffff, v33
	v_cndmask_b32_e64 v32, 0, 4, vcc_lo
	v_cmp_gt_u32_e32 vcc_lo, v31, v4
	v_add_lshl_u32 v32, v32, v20, 2
	v_cndmask_b32_e32 v8, v34, v8, vcc_lo
	v_cndmask_b32_e32 v35, v33, v3, vcc_lo
	s_waitcnt lgkmcnt(0)
	v_cndmask_b32_e64 v3, 0, v6, s5
	v_add_nc_u32_e32 v33, 4, v20
	ds_bpermute_b32 v6, v32, v8
	v_and_b32_e32 v34, 1, v35
	v_cndmask_b32_e64 v3, v3, 0, vcc_lo
	v_cmp_eq_u16_sdwa s5, v35, v16 src0_sel:BYTE_0 src1_sel:DWORD
	v_cmp_eq_u32_e32 vcc_lo, 1, v34
	v_add_nc_u32_e32 v3, v3, v5
	ds_bpermute_b32 v5, v32, v3
	s_waitcnt lgkmcnt(1)
	v_and_b32_e32 v6, 1, v6
	v_cndmask_b32_e64 v6, v6, 1, vcc_lo
	v_cmp_gt_u32_e32 vcc_lo, 24, v20
	v_and_b32_e32 v36, 0xffff, v6
	v_cndmask_b32_e64 v34, 0, 8, vcc_lo
	v_cmp_gt_u32_e32 vcc_lo, v33, v4
	s_waitcnt lgkmcnt(0)
	v_cndmask_b32_e64 v5, 0, v5, s5
	v_add_lshl_u32 v34, v34, v20, 2
	v_cndmask_b32_e32 v8, v36, v8, vcc_lo
	v_cndmask_b32_e32 v6, v6, v35, vcc_lo
	v_cndmask_b32_e64 v5, v5, 0, vcc_lo
	ds_bpermute_b32 v35, v34, v8
	v_and_b32_e32 v36, 1, v6
	v_add_nc_u32_e32 v3, v5, v3
	v_cmp_eq_u32_e32 vcc_lo, 1, v36
	ds_bpermute_b32 v5, v34, v3
	s_waitcnt lgkmcnt(1)
	v_and_b32_e32 v35, 1, v35
	v_cndmask_b32_e64 v35, v35, 1, vcc_lo
	v_cmp_eq_u16_sdwa vcc_lo, v6, v16 src0_sel:BYTE_0 src1_sel:DWORD
	v_and_b32_e32 v36, 0xffff, v35
	s_waitcnt lgkmcnt(0)
	v_cndmask_b32_e32 v5, 0, v5, vcc_lo
	v_cmp_gt_u32_e32 vcc_lo, v37, v4
	v_cndmask_b32_e64 v5, v5, 0, vcc_lo
	v_cndmask_b32_e32 v8, v36, v8, vcc_lo
	v_cndmask_b32_e32 v6, v35, v6, vcc_lo
	v_add_nc_u32_e32 v3, v5, v3
	ds_bpermute_b32 v5, v38, v8
	v_and_b32_e32 v35, 1, v6
	v_cmp_eq_u16_sdwa vcc_lo, v6, v16 src0_sel:BYTE_0 src1_sel:DWORD
	ds_bpermute_b32 v8, v38, v3
	s_waitcnt lgkmcnt(1)
	v_and_b32_e32 v5, 1, v5
	s_waitcnt lgkmcnt(0)
	v_cndmask_b32_e32 v8, 0, v8, vcc_lo
	v_cmp_eq_u32_e32 vcc_lo, 1, v35
	v_cndmask_b32_e64 v5, v5, 1, vcc_lo
	v_cmp_gt_u32_e32 vcc_lo, v39, v4
	v_cndmask_b32_e32 v4, v5, v6, vcc_lo
	v_cndmask_b32_e64 v5, v8, 0, vcc_lo
	v_add_nc_u32_e32 v3, v5, v3
	s_branch .LBB2232_59
.LBB2232_56:                            ;   in Loop: Header=BB2232_59 Depth=1
	s_or_b32 exec_lo, exec_lo, s13
	v_and_b32_e32 v6, 0xff, v6
.LBB2232_57:                            ;   in Loop: Header=BB2232_59 Depth=1
	s_or_b32 exec_lo, exec_lo, s5
	ds_bpermute_b32 v3, v17, v6
	v_cmp_eq_u16_sdwa s5, v7, v28 src0_sel:BYTE_0 src1_sel:DWORD
	v_and_b32_e32 v4, 1, v6
	v_subrev_nc_u32_e32 v15, 32, v15
	v_and_or_b32 v8, s5, v29, 0x80000000
	v_cmp_eq_u32_e32 vcc_lo, 1, v4
	v_cmp_gt_u64_e64 s5, s[10:11], v[5:6]
	v_ffbl_b32_e32 v4, v8
	ds_bpermute_b32 v8, v17, v5
	s_waitcnt lgkmcnt(1)
	v_and_b32_e32 v3, 1, v3
	v_cndmask_b32_e64 v3, v3, 1, vcc_lo
	v_cmp_lt_u32_e32 vcc_lo, v20, v4
	v_and_b32_e32 v40, 0xffff, v3
	v_cndmask_b32_e32 v3, v6, v3, vcc_lo
	v_cndmask_b32_e32 v40, v6, v40, vcc_lo
	s_and_b32 vcc_lo, vcc_lo, s5
	v_cmp_eq_u16_sdwa s5, v3, v16 src0_sel:BYTE_0 src1_sel:DWORD
	s_waitcnt lgkmcnt(0)
	v_cndmask_b32_e32 v6, 0, v8, vcc_lo
	v_and_b32_e32 v8, 1, v3
	ds_bpermute_b32 v41, v30, v40
	v_add_nc_u32_e32 v5, v6, v5
	v_cmp_eq_u32_e32 vcc_lo, 1, v8
	ds_bpermute_b32 v6, v30, v5
	s_waitcnt lgkmcnt(1)
	v_and_b32_e32 v41, 1, v41
	v_cndmask_b32_e64 v8, v41, 1, vcc_lo
	v_cmp_gt_u32_e32 vcc_lo, v31, v4
	v_and_b32_e32 v41, 0xffff, v8
	v_cndmask_b32_e32 v8, v8, v3, vcc_lo
	s_waitcnt lgkmcnt(0)
	v_cndmask_b32_e64 v3, 0, v6, s5
	v_cndmask_b32_e32 v40, v41, v40, vcc_lo
	v_and_b32_e32 v41, 1, v8
	v_cndmask_b32_e64 v3, v3, 0, vcc_lo
	v_cmp_eq_u16_sdwa s5, v8, v16 src0_sel:BYTE_0 src1_sel:DWORD
	ds_bpermute_b32 v6, v32, v40
	v_cmp_eq_u32_e32 vcc_lo, 1, v41
	v_add_nc_u32_e32 v3, v3, v5
	ds_bpermute_b32 v5, v32, v3
	s_waitcnt lgkmcnt(1)
	v_and_b32_e32 v6, 1, v6
	v_cndmask_b32_e64 v6, v6, 1, vcc_lo
	v_cmp_gt_u32_e32 vcc_lo, v33, v4
	s_waitcnt lgkmcnt(0)
	v_cndmask_b32_e64 v5, 0, v5, s5
	s_mov_b32 s5, 0
	v_and_b32_e32 v41, 0xffff, v6
	v_cndmask_b32_e32 v6, v6, v8, vcc_lo
	v_cndmask_b32_e64 v5, v5, 0, vcc_lo
	v_cndmask_b32_e32 v8, v41, v40, vcc_lo
	v_and_b32_e32 v41, 1, v6
	v_add_nc_u32_e32 v3, v5, v3
	ds_bpermute_b32 v40, v34, v8
	v_cmp_eq_u32_e32 vcc_lo, 1, v41
	ds_bpermute_b32 v5, v34, v3
	s_waitcnt lgkmcnt(1)
	v_and_b32_e32 v40, 1, v40
	v_cndmask_b32_e64 v40, v40, 1, vcc_lo
	v_cmp_eq_u16_sdwa vcc_lo, v6, v16 src0_sel:BYTE_0 src1_sel:DWORD
	v_and_b32_e32 v41, 0xffff, v40
	s_waitcnt lgkmcnt(0)
	v_cndmask_b32_e32 v5, 0, v5, vcc_lo
	v_cmp_gt_u32_e32 vcc_lo, v37, v4
	v_cndmask_b32_e64 v5, v5, 0, vcc_lo
	v_cndmask_b32_e32 v8, v41, v8, vcc_lo
	v_cndmask_b32_e32 v6, v40, v6, vcc_lo
	v_add_nc_u32_e32 v3, v5, v3
	ds_bpermute_b32 v5, v38, v8
	v_and_b32_e32 v40, 1, v6
	ds_bpermute_b32 v8, v38, v3
	v_cmp_eq_u32_e32 vcc_lo, 1, v40
	s_waitcnt lgkmcnt(1)
	v_cndmask_b32_e64 v5, v5, 1, vcc_lo
	v_cmp_eq_u16_sdwa vcc_lo, v6, v16 src0_sel:BYTE_0 src1_sel:DWORD
	s_waitcnt lgkmcnt(0)
	v_cndmask_b32_e32 v8, 0, v8, vcc_lo
	v_cmp_gt_u32_e32 vcc_lo, v39, v4
	v_cndmask_b32_e32 v4, v5, v6, vcc_lo
	v_cndmask_b32_e64 v5, v8, 0, vcc_lo
	v_cmp_eq_u16_sdwa vcc_lo, v35, v16 src0_sel:BYTE_0 src1_sel:DWORD
	v_and_b32_e32 v4, 1, v4
	v_add_nc_u32_e32 v3, v5, v3
	v_and_b32_e32 v5, 1, v35
	v_cndmask_b32_e32 v3, 0, v3, vcc_lo
	v_cmp_eq_u32_e32 vcc_lo, 1, v5
	v_add_nc_u32_e32 v3, v3, v36
	v_cndmask_b32_e64 v4, v4, 1, vcc_lo
.LBB2232_58:                            ;   in Loop: Header=BB2232_59 Depth=1
	s_and_b32 vcc_lo, exec_lo, s5
	s_cbranch_vccnz .LBB2232_64
.LBB2232_59:                            ; =>This Loop Header: Depth=1
                                        ;     Child Loop BB2232_62 Depth 2
	v_cmp_ne_u16_sdwa s5, v7, v28 src0_sel:BYTE_0 src1_sel:DWORD
	v_mov_b32_e32 v35, v4
	v_mov_b32_e32 v36, v3
                                        ; implicit-def: $vgpr4
                                        ; implicit-def: $vgpr3
                                        ; implicit-def: $vgpr7
	s_cmp_lg_u32 s5, exec_lo
	s_mov_b32 s5, -1
	s_cbranch_scc1 .LBB2232_58
; %bb.60:                               ;   in Loop: Header=BB2232_59 Depth=1
	v_lshlrev_b64 v[3:4], 4, v[15:16]
	v_add_co_u32 v3, vcc_lo, s24, v3
	v_add_co_ci_u32_e64 v4, null, s25, v4, vcc_lo
	;;#ASMSTART
	global_load_dwordx4 v[5:8], v[3:4] off glc dlc	
s_waitcnt vmcnt(0)
	;;#ASMEND
	v_and_b32_e32 v6, 0xff, v6
	v_cmp_eq_u16_sdwa s13, v7, v16 src0_sel:BYTE_0 src1_sel:DWORD
	s_and_saveexec_b32 s5, s13
	s_cbranch_execz .LBB2232_57
; %bb.61:                               ;   in Loop: Header=BB2232_59 Depth=1
	s_mov_b32 s13, 0
.LBB2232_62:                            ;   Parent Loop BB2232_59 Depth=1
                                        ; =>  This Inner Loop Header: Depth=2
	;;#ASMSTART
	global_load_dwordx4 v[5:8], v[3:4] off glc dlc	
s_waitcnt vmcnt(0)
	;;#ASMEND
	v_cmp_ne_u16_sdwa s16, v7, v16 src0_sel:BYTE_0 src1_sel:DWORD
	s_or_b32 s13, s16, s13
	s_andn2_b32 exec_lo, exec_lo, s13
	s_cbranch_execnz .LBB2232_62
	s_branch .LBB2232_56
.LBB2232_63:
                                        ; implicit-def: $vgpr7
                                        ; implicit-def: $vgpr5
                                        ; implicit-def: $vgpr6
	s_cbranch_execnz .LBB2232_69
	s_branch .LBB2232_86
.LBB2232_64:
	s_and_saveexec_b32 s5, s4
	s_cbranch_execz .LBB2232_66
; %bb.65:
	v_mov_b32_e32 v4, 0
	v_and_b32_e32 v3, 1, v2
	s_mov_b32 s11, 0
	s_add_i32 s10, s27, 32
	v_and_b32_e32 v5, 1, v35
	v_cmp_eq_u32_sdwa vcc_lo, v2, v4 src0_sel:BYTE_0 src1_sel:DWORD
	s_lshl_b64 s[10:11], s[10:11], 4
	s_add_u32 s10, s24, s10
	s_addc_u32 s11, s25, s11
	v_cndmask_b32_e32 v2, 0, v36, vcc_lo
	v_cmp_eq_u32_e32 vcc_lo, 1, v3
	v_mov_b32_e32 v3, 2
	v_add_nc_u32_e32 v1, v2, v1
	v_cndmask_b32_e64 v2, v5, 1, vcc_lo
	v_mov_b32_e32 v5, s10
	v_mov_b32_e32 v6, s11
	;;#ASMSTART
	global_store_dwordx4 v[5:6], v[1:4] off	
s_waitcnt vmcnt(0)
	;;#ASMEND
.LBB2232_66:
	s_or_b32 exec_lo, exec_lo, s5
	s_and_b32 exec_lo, exec_lo, s0
	s_cbranch_execz .LBB2232_68
; %bb.67:
	v_mov_b32_e32 v1, 0
	ds_write_b32 v1, v36 offset:56
	ds_write_b8 v1, v35 offset:60
.LBB2232_68:
	s_or_b32 exec_lo, exec_lo, s12
	v_mov_b32_e32 v1, 0
	s_waitcnt lgkmcnt(0)
	v_cndmask_b32_e64 v2, v27, v25, s4
	v_and_b32_e32 v4, 1, v10
	s_barrier
	buffer_gl0_inv
	ds_read_b32 v3, v1 offset:56
	v_and_b32_e32 v2, 1, v2
	v_cmp_eq_u32_e32 vcc_lo, 1, v4
	v_cndmask_b32_e64 v5, v26, v24, s4
	s_mov_b32 s5, 1
	s_mov_b32 s4, 0
	v_cndmask_b32_e64 v2, v2, 1, vcc_lo
	v_cmp_gt_u64_e32 vcc_lo, s[4:5], v[9:10]
	v_cndmask_b32_e64 v2, v2, v10, s0
	v_cndmask_b32_e32 v4, 0, v5, vcc_lo
	v_cmp_eq_u16_sdwa vcc_lo, v2, v1 src0_sel:BYTE_0 src1_sel:DWORD
	v_cndmask_b32_e64 v4, v4, 0, s0
	s_waitcnt lgkmcnt(0)
	v_cndmask_b32_e32 v1, 0, v3, vcc_lo
	v_add3_u32 v7, v4, v9, v1
	v_cndmask_b32_e64 v1, 0, v7, s2
	v_add_nc_u32_e32 v5, v1, v11
	v_cndmask_b32_e64 v1, 0, v5, s3
	v_add_nc_u32_e32 v6, v1, v13
	s_branch .LBB2232_86
.LBB2232_69:
	s_cmp_lg_u64 s[28:29], 0
	s_cselect_b32 s2, -1, 0
	s_cmp_lg_u64 s[18:19], 0
	s_cselect_b32 s3, -1, 0
	s_and_b32 s2, s2, s3
	s_and_b32 s3, s0, s2
	s_and_saveexec_b32 s2, s3
	s_cbranch_execz .LBB2232_71
; %bb.70:
	v_mov_b32_e32 v1, 0
	s_mov_b32 s4, 0
	s_mov_b32 s5, 1
	s_clause 0x1
	global_load_dword v2, v1, s[18:19]
	global_load_ubyte v3, v1, s[18:19] offset:4
	v_cmp_gt_u64_e32 vcc_lo, s[4:5], v[9:10]
	s_waitcnt vmcnt(1)
	v_cndmask_b32_e32 v4, 0, v2, vcc_lo
	v_and_b32_e32 v2, 1, v10
	s_waitcnt vmcnt(0)
	v_and_b32_e32 v3, 1, v3
	v_add_nc_u32_e32 v9, v4, v9
	v_cmp_eq_u64_e32 vcc_lo, 0, v[1:2]
	v_cndmask_b32_e32 v10, 1, v3, vcc_lo
.LBB2232_71:
	s_or_b32 exec_lo, exec_lo, s2
	v_and_b32_e32 v2, 0xff, v23
	v_mov_b32_e32 v1, 0
	s_mov_b32 s4, 0
	s_mov_b32 s5, 1
	v_and_b32_e32 v7, 15, v20
	v_cmp_eq_u64_e32 vcc_lo, 0, v[1:2]
	v_cmp_eq_u32_e64 s3, 0, v7
	v_cndmask_b32_e32 v2, 1, v10, vcc_lo
	v_cmp_gt_u64_e32 vcc_lo, s[4:5], v[11:12]
	v_and_b32_e32 v3, 0xff, v2
	v_and_b32_e32 v6, 1, v2
	v_cndmask_b32_e32 v5, 0, v9, vcc_lo
	v_mov_b32_dpp v4, v3 row_shr:1 row_mask:0xf bank_mask:0xf
	v_cmp_eq_u32_e64 s2, 1, v6
	v_add_nc_u32_e32 v5, v5, v11
	v_and_b32_e32 v4, 1, v4
	v_cndmask_b32_e64 v4, v4, 1, s2
	v_cmp_gt_u64_e64 s2, s[4:5], v[13:14]
	v_cmp_eq_u16_e64 s4, 0, v3
	v_cndmask_b32_e64 v8, v4, v3, s3
	v_cndmask_b32_e64 v2, v4, v2, s3
	;; [unrolled: 1-line block ×3, first 2 shown]
	v_mov_b32_dpp v4, v8 row_shr:2 row_mask:0xf bank_mask:0xf
	v_and_b32_e32 v14, 1, v2
	v_add_nc_u32_e32 v6, v6, v13
	v_and_b32_e32 v4, 1, v4
	v_mov_b32_dpp v12, v6 row_shr:1 row_mask:0xf bank_mask:0xf
	v_cndmask_b32_e64 v3, 0, v12, s4
	v_cmp_eq_u32_e64 s4, 1, v14
	v_cndmask_b32_e64 v3, v3, 0, s3
	v_cndmask_b32_e64 v4, v4, 1, s4
	v_cmp_lt_u32_e64 s4, 1, v7
	v_cmp_eq_u16_sdwa s3, v2, v1 src0_sel:BYTE_0 src1_sel:DWORD
	v_add_nc_u32_e32 v3, v3, v6
	v_cndmask_b32_e64 v12, v2, v4, s4
	v_cndmask_b32_e64 v4, v8, v4, s4
	s_and_b32 s3, s4, s3
	v_mov_b32_dpp v2, v3 row_shr:2 row_mask:0xf bank_mask:0xf
	v_and_b32_e32 v14, 1, v12
	v_mov_b32_dpp v8, v4 row_shr:4 row_mask:0xf bank_mask:0xf
	v_cmp_eq_u16_sdwa s4, v12, v1 src0_sel:BYTE_0 src1_sel:DWORD
	v_cndmask_b32_e64 v2, 0, v2, s3
	v_cmp_eq_u32_e64 s3, 1, v14
	v_and_b32_e32 v8, 1, v8
	v_add_nc_u32_e32 v2, v2, v3
	v_cndmask_b32_e64 v8, v8, 1, s3
	v_cmp_lt_u32_e64 s3, 3, v7
	v_cndmask_b32_e64 v3, v12, v8, s3
	v_cndmask_b32_e64 v4, v4, v8, s3
	v_mov_b32_dpp v8, v2 row_shr:4 row_mask:0xf bank_mask:0xf
	s_and_b32 s3, s3, s4
	v_and_b32_e32 v14, 1, v3
	v_mov_b32_dpp v12, v4 row_shr:8 row_mask:0xf bank_mask:0xf
	v_cndmask_b32_e64 v8, 0, v8, s3
	v_cmp_eq_u16_sdwa s4, v3, v1 src0_sel:BYTE_0 src1_sel:DWORD
	v_cmp_eq_u32_e64 s3, 1, v14
	v_and_b32_e32 v12, 1, v12
	v_add_nc_u32_e32 v2, v8, v2
	v_cndmask_b32_e64 v8, v12, 1, s3
	v_cmp_lt_u32_e64 s3, 7, v7
	v_mov_b32_dpp v7, v2 row_shr:8 row_mask:0xf bank_mask:0xf
	v_bfe_i32 v12, v20, 4, 1
	s_and_b32 s4, s3, s4
	v_cndmask_b32_e64 v4, v4, v8, s3
	v_cndmask_b32_e64 v7, 0, v7, s4
	;; [unrolled: 1-line block ×3, first 2 shown]
	s_mov_b32 s4, exec_lo
	v_add_nc_u32_e32 v2, v7, v2
	ds_swizzle_b32 v7, v4 offset:swizzle(BROADCAST,32,15)
	v_and_b32_e32 v14, 1, v3
	v_cmp_eq_u16_sdwa s3, v3, v1 src0_sel:BYTE_0 src1_sel:DWORD
	v_and_b32_e32 v3, 16, v20
	ds_swizzle_b32 v8, v2 offset:swizzle(BROADCAST,32,15)
	s_waitcnt lgkmcnt(1)
	v_and_b32_e32 v7, 1, v7
	s_waitcnt lgkmcnt(0)
	v_cndmask_b32_e64 v1, 0, v8, s3
	v_cmp_eq_u32_e64 s3, 1, v14
	v_and_b32_e32 v1, v12, v1
	v_cndmask_b32_e64 v7, v7, 1, s3
	v_cmp_eq_u32_e64 s3, 0, v3
	v_add_nc_u32_e32 v3, v1, v2
	v_cndmask_b32_e64 v4, v7, v4, s3
	v_cmpx_eq_u32_e64 v0, v22
	s_cbranch_execz .LBB2232_73
; %bb.72:
	v_lshlrev_b32_e32 v1, 3, v21
	ds_write_b32 v1, v3
	ds_write_b8 v1, v4 offset:4
.LBB2232_73:
	s_or_b32 exec_lo, exec_lo, s4
	s_mov_b32 s4, exec_lo
	s_waitcnt lgkmcnt(0)
	s_barrier
	buffer_gl0_inv
	v_cmpx_gt_u32_e32 8, v0
	s_cbranch_execz .LBB2232_79
; %bb.74:
	ds_read_b64 v[1:2], v19
	v_and_b32_e32 v7, 7, v20
	s_mov_b32 s5, exec_lo
	s_waitcnt lgkmcnt(0)
	v_and_b32_e32 v8, 0xffffff00, v2
	v_mov_b32_dpp v14, v1 row_shr:1 row_mask:0xf bank_mask:0xf
	v_mov_b32_dpp v15, v2 row_shr:1 row_mask:0xf bank_mask:0xf
	v_mov_b32_e32 v12, v2
	v_cmpx_ne_u32_e32 0, v7
	s_cbranch_execz .LBB2232_76
; %bb.75:
	v_mov_b32_e32 v12, 0
	v_and_b32_e32 v16, 1, v2
	v_and_b32_e32 v15, 1, v15
	v_cmp_eq_u16_sdwa s3, v2, v12 src0_sel:BYTE_0 src1_sel:DWORD
	v_cndmask_b32_e64 v2, 0, v14, s3
	v_cmp_eq_u32_e64 s3, 1, v16
	v_add_nc_u32_e32 v1, v2, v1
	v_cndmask_b32_e64 v14, v15, 1, s3
	v_or_b32_sdwa v12, v8, v14 dst_sel:DWORD dst_unused:UNUSED_PAD src0_sel:DWORD src1_sel:WORD_0
	v_mov_b32_e32 v2, v14
.LBB2232_76:
	s_or_b32 exec_lo, exec_lo, s5
	v_mov_b32_dpp v14, v1 row_shr:2 row_mask:0xf bank_mask:0xf
	v_mov_b32_dpp v15, v12 row_shr:2 row_mask:0xf bank_mask:0xf
	s_mov_b32 s5, exec_lo
	v_cmpx_lt_u32_e32 1, v7
	s_cbranch_execz .LBB2232_78
; %bb.77:
	v_mov_b32_e32 v12, 0
	v_and_b32_e32 v16, 1, v2
	v_and_b32_e32 v15, 1, v15
	v_cmp_eq_u16_sdwa s3, v2, v12 src0_sel:BYTE_0 src1_sel:DWORD
	v_cndmask_b32_e64 v2, 0, v14, s3
	v_cmp_eq_u32_e64 s3, 1, v16
	v_add_nc_u32_e32 v1, v2, v1
	v_cndmask_b32_e64 v14, v15, 1, s3
	v_or_b32_sdwa v12, v8, v14 dst_sel:DWORD dst_unused:UNUSED_PAD src0_sel:DWORD src1_sel:WORD_0
	v_mov_b32_e32 v2, v14
.LBB2232_78:
	s_or_b32 exec_lo, exec_lo, s5
	v_mov_b32_dpp v8, v12 row_shr:4 row_mask:0xf bank_mask:0xf
	v_and_b32_e32 v14, 1, v2
	v_mov_b32_e32 v12, 0
	v_and_b32_e32 v8, 1, v8
	v_cmp_eq_u32_e64 s3, 1, v14
	v_cmp_eq_u16_sdwa s5, v2, v12 src0_sel:BYTE_0 src1_sel:DWORD
	v_cndmask_b32_e64 v8, v8, 1, s3
	v_cmp_lt_u32_e64 s3, 3, v7
	v_mov_b32_dpp v7, v1 row_shr:4 row_mask:0xf bank_mask:0xf
	v_cndmask_b32_e64 v2, v2, v8, s3
	s_and_b32 s3, s3, s5
	v_cndmask_b32_e64 v7, 0, v7, s3
	v_add_nc_u32_e32 v1, v7, v1
	ds_write_b32 v19, v1
	ds_write_b8 v19, v2 offset:4
.LBB2232_79:
	s_or_b32 exec_lo, exec_lo, s4
	v_mov_b32_e32 v1, 0
	s_mov_b32 s4, exec_lo
	s_waitcnt lgkmcnt(0)
	s_barrier
	buffer_gl0_inv
	v_cmpx_lt_u32_e32 31, v0
	s_cbranch_execz .LBB2232_81
; %bb.80:
	v_lshl_add_u32 v1, v21, 3, -8
	v_cmp_eq_u32_e64 s3, 0, v4
	ds_read_b32 v1, v1
	s_waitcnt lgkmcnt(0)
	v_cndmask_b32_e64 v2, 0, v1, s3
	v_add_nc_u32_e32 v3, v2, v3
.LBB2232_81:
	s_or_b32 exec_lo, exec_lo, s4
	v_add_nc_u32_e32 v2, -1, v20
	s_mov_b32 s4, 0
	v_cmp_gt_i32_e64 s3, 0, v2
	v_cndmask_b32_e64 v2, v2, v20, s3
	v_lshlrev_b32_e32 v2, 2, v2
	ds_bpermute_b32 v2, v2, v3
	s_and_saveexec_b32 s3, s1
	s_cbranch_execz .LBB2232_83
; %bb.82:
	v_cmp_eq_u32_e64 s1, 0, v20
	s_mov_b32 s5, 1
	;;#ASMSTART
	;;#ASMEND
	s_waitcnt lgkmcnt(0)
	v_cndmask_b32_e64 v1, v2, v1, s1
	v_cmp_gt_u64_e64 s1, s[4:5], v[9:10]
	v_cndmask_b32_e64 v1, 0, v1, s1
	v_add_nc_u32_e32 v9, v1, v9
	v_cndmask_b32_e32 v1, 0, v9, vcc_lo
	v_add_nc_u32_e32 v5, v1, v11
	v_cndmask_b32_e64 v1, 0, v5, s2
	v_add_nc_u32_e32 v6, v1, v13
.LBB2232_83:
	s_or_b32 exec_lo, exec_lo, s3
	s_and_saveexec_b32 s1, s0
	s_cbranch_execz .LBB2232_85
; %bb.84:
	v_mov_b32_e32 v4, 0
	s_add_u32 s2, s24, 0x200
	s_addc_u32 s3, s25, 0
	v_mov_b32_e32 v3, 2
	v_mov_b32_e32 v8, s3
	ds_read_b32 v1, v4 offset:56
	s_waitcnt lgkmcnt(1)
	ds_read_u8 v2, v4 offset:60
	v_mov_b32_e32 v7, s2
	s_waitcnt lgkmcnt(0)
	;;#ASMSTART
	global_store_dwordx4 v[7:8], v[1:4] off	
s_waitcnt vmcnt(0)
	;;#ASMEND
.LBB2232_85:
	s_or_b32 exec_lo, exec_lo, s1
	v_mov_b32_e32 v7, v9
.LBB2232_86:
	s_add_u32 s0, s14, s6
	v_mov_b32_e32 v3, 0
	s_addc_u32 s1, s15, s7
	s_add_u32 s0, s0, s8
	s_addc_u32 s1, s1, s9
	s_and_b32 vcc_lo, exec_lo, s20
	s_cbranch_vccz .LBB2232_98
; %bb.87:
	v_mul_u32_u24_e32 v1, 3, v0
	v_mov_b32_e32 v4, 0
	s_waitcnt lgkmcnt(0)
	v_mov_b32_e32 v2, 0
	s_add_i32 s21, s21, s26
	s_mov_b32 s2, exec_lo
	v_cmpx_gt_u32_e64 s21, v1
	s_cbranch_execz .LBB2232_93
; %bb.88:
	v_add_nc_u32_e32 v3, 1, v1
	v_mov_b32_e32 v2, 0
	v_mov_b32_e32 v4, 0
	s_mov_b32 s3, exec_lo
	v_cmpx_gt_u32_e64 s21, v3
	s_cbranch_execz .LBB2232_92
; %bb.89:
	v_add_nc_u32_e32 v2, 2, v1
	v_cmp_gt_u32_e32 vcc_lo, s21, v2
	v_mov_b32_e32 v2, 0
	s_and_saveexec_b32 s4, vcc_lo
; %bb.90:
	v_mov_b32_e32 v2, v6
; %bb.91:
	s_or_b32 exec_lo, exec_lo, s4
	v_mov_b32_e32 v4, v5
.LBB2232_92:
	s_or_b32 exec_lo, exec_lo, s3
	v_mov_b32_e32 v3, v7
.LBB2232_93:
	s_or_b32 exec_lo, exec_lo, s2
	v_lshlrev_b32_e32 v8, 2, v1
	s_barrier
	buffer_gl0_inv
	v_sub_nc_u32_e32 v1, v8, v19
	ds_write2_b32 v8, v3, v4 offset1:1
	ds_write_b32 v8, v2 offset:8
	s_waitcnt lgkmcnt(0)
	s_barrier
	buffer_gl0_inv
	ds_read2st64_b32 v[1:2], v1 offset0:4 offset1:8
	v_add_co_u32 v3, s2, s0, v18
	v_add_co_ci_u32_e64 v4, null, s1, 0, s2
	s_mov_b32 s2, exec_lo
	v_cmpx_gt_u32_e64 s21, v0
	s_cbranch_execz .LBB2232_95
; %bb.94:
	v_sub_nc_u32_e32 v9, 0, v19
	v_add_nc_u32_e32 v8, v8, v9
	ds_read_b32 v8, v8
	s_waitcnt lgkmcnt(0)
	flat_store_dword v[3:4], v8
.LBB2232_95:
	s_or_b32 exec_lo, exec_lo, s2
	v_or_b32_e32 v8, 0x100, v0
	s_mov_b32 s2, exec_lo
	v_cmpx_gt_u32_e64 s21, v8
	s_cbranch_execz .LBB2232_97
; %bb.96:
	s_waitcnt lgkmcnt(0)
	flat_store_dword v[3:4], v1 offset:1024
.LBB2232_97:
	s_or_b32 exec_lo, exec_lo, s2
	s_waitcnt lgkmcnt(0)
	v_or_b32_e32 v1, 0x200, v0
	v_cmp_gt_u32_e64 s2, s21, v1
	s_branch .LBB2232_100
.LBB2232_98:
	s_mov_b32 s2, 0
                                        ; implicit-def: $vgpr2
	s_cbranch_execz .LBB2232_100
; %bb.99:
	v_mul_u32_u24_e32 v1, 12, v0
	s_waitcnt lgkmcnt(0)
	s_waitcnt_vscnt null, 0x0
	s_barrier
	buffer_gl0_inv
	s_or_b32 s2, s2, exec_lo
	v_sub_nc_u32_e32 v2, v1, v19
	ds_write2_b32 v1, v7, v5 offset1:1
	ds_write_b32 v1, v6 offset:8
	s_waitcnt lgkmcnt(0)
	s_barrier
	buffer_gl0_inv
	ds_read2st64_b32 v[3:4], v2 offset1:4
	ds_read_b32 v2, v2 offset:2048
	v_add_co_u32 v5, s3, s0, v18
	v_add_co_ci_u32_e64 v6, null, s1, 0, s3
	s_waitcnt lgkmcnt(1)
	flat_store_dword v[5:6], v3
	flat_store_dword v[5:6], v4 offset:1024
.LBB2232_100:
	s_and_saveexec_b32 s3, s2
	s_cbranch_execnz .LBB2232_102
; %bb.101:
	s_endpgm
.LBB2232_102:
	v_lshlrev_b32_e32 v0, 2, v0
	v_add_co_u32 v0, s0, s0, v0
	v_add_co_ci_u32_e64 v1, null, s1, 0, s0
	v_add_co_u32 v0, vcc_lo, 0x800, v0
	v_add_co_ci_u32_e64 v1, null, 0, v1, vcc_lo
	s_waitcnt lgkmcnt(0)
	flat_store_dword v[0:1], v2
	s_endpgm
.LBB2232_103:
	v_add_co_u32 v2, s2, s5, v9
	v_add_co_ci_u32_e64 v3, null, s30, 0, s2
	v_mov_b32_e32 v11, v1
	v_mov_b32_e32 v12, v1
	flat_load_dword v10, v[2:3]
	s_waitcnt vmcnt(0) lgkmcnt(0)
	v_mov_b32_e32 v1, v10
	v_mov_b32_e32 v2, v11
	;; [unrolled: 1-line block ×3, first 2 shown]
	s_or_b32 exec_lo, exec_lo, s16
	s_and_saveexec_b32 s2, s3
	s_cbranch_execz .LBB2232_19
.LBB2232_104:
	v_add_co_u32 v10, s3, s5, v9
	v_add_co_ci_u32_e64 v11, null, s30, 0, s3
	flat_load_dword v2, v[10:11] offset:1024
	s_or_b32 exec_lo, exec_lo, s2
	s_and_saveexec_b32 s2, s4
	s_cbranch_execnz .LBB2232_20
	s_branch .LBB2232_21
.LBB2232_105:
                                        ; implicit-def: $sgpr16_sgpr17
	s_branch .LBB2232_14
.LBB2232_106:
                                        ; implicit-def: $sgpr2_sgpr3
	s_branch .LBB2232_30
	.section	.rodata,"a",@progbits
	.p2align	6, 0x0
	.amdhsa_kernel _ZN7rocprim17ROCPRIM_400000_NS6detail17trampoline_kernelINS0_14default_configENS1_27scan_by_key_config_selectorIiiEEZZNS1_16scan_by_key_implILNS1_25lookback_scan_determinismE0ELb0ES3_N6thrust23THRUST_200600_302600_NS10device_ptrIiEESB_SB_iNS9_4plusIvEENS9_8equal_toIvEEiEE10hipError_tPvRmT2_T3_T4_T5_mT6_T7_P12ihipStream_tbENKUlT_T0_E_clISt17integral_constantIbLb0EESV_IbLb1EEEEDaSR_SS_EUlSR_E_NS1_11comp_targetILNS1_3genE8ELNS1_11target_archE1030ELNS1_3gpuE2ELNS1_3repE0EEENS1_30default_config_static_selectorELNS0_4arch9wavefront6targetE0EEEvT1_
		.amdhsa_group_segment_fixed_size 5120
		.amdhsa_private_segment_fixed_size 0
		.amdhsa_kernarg_size 112
		.amdhsa_user_sgpr_count 6
		.amdhsa_user_sgpr_private_segment_buffer 1
		.amdhsa_user_sgpr_dispatch_ptr 0
		.amdhsa_user_sgpr_queue_ptr 0
		.amdhsa_user_sgpr_kernarg_segment_ptr 1
		.amdhsa_user_sgpr_dispatch_id 0
		.amdhsa_user_sgpr_flat_scratch_init 0
		.amdhsa_user_sgpr_private_segment_size 0
		.amdhsa_wavefront_size32 1
		.amdhsa_uses_dynamic_stack 0
		.amdhsa_system_sgpr_private_segment_wavefront_offset 0
		.amdhsa_system_sgpr_workgroup_id_x 1
		.amdhsa_system_sgpr_workgroup_id_y 0
		.amdhsa_system_sgpr_workgroup_id_z 0
		.amdhsa_system_sgpr_workgroup_info 0
		.amdhsa_system_vgpr_workitem_id 0
		.amdhsa_next_free_vgpr 42
		.amdhsa_next_free_sgpr 34
		.amdhsa_reserve_vcc 1
		.amdhsa_reserve_flat_scratch 1
		.amdhsa_float_round_mode_32 0
		.amdhsa_float_round_mode_16_64 0
		.amdhsa_float_denorm_mode_32 3
		.amdhsa_float_denorm_mode_16_64 3
		.amdhsa_dx10_clamp 1
		.amdhsa_ieee_mode 1
		.amdhsa_fp16_overflow 0
		.amdhsa_workgroup_processor_mode 1
		.amdhsa_memory_ordered 1
		.amdhsa_forward_progress 1
		.amdhsa_shared_vgpr_count 0
		.amdhsa_exception_fp_ieee_invalid_op 0
		.amdhsa_exception_fp_denorm_src 0
		.amdhsa_exception_fp_ieee_div_zero 0
		.amdhsa_exception_fp_ieee_overflow 0
		.amdhsa_exception_fp_ieee_underflow 0
		.amdhsa_exception_fp_ieee_inexact 0
		.amdhsa_exception_int_div_zero 0
	.end_amdhsa_kernel
	.section	.text._ZN7rocprim17ROCPRIM_400000_NS6detail17trampoline_kernelINS0_14default_configENS1_27scan_by_key_config_selectorIiiEEZZNS1_16scan_by_key_implILNS1_25lookback_scan_determinismE0ELb0ES3_N6thrust23THRUST_200600_302600_NS10device_ptrIiEESB_SB_iNS9_4plusIvEENS9_8equal_toIvEEiEE10hipError_tPvRmT2_T3_T4_T5_mT6_T7_P12ihipStream_tbENKUlT_T0_E_clISt17integral_constantIbLb0EESV_IbLb1EEEEDaSR_SS_EUlSR_E_NS1_11comp_targetILNS1_3genE8ELNS1_11target_archE1030ELNS1_3gpuE2ELNS1_3repE0EEENS1_30default_config_static_selectorELNS0_4arch9wavefront6targetE0EEEvT1_,"axG",@progbits,_ZN7rocprim17ROCPRIM_400000_NS6detail17trampoline_kernelINS0_14default_configENS1_27scan_by_key_config_selectorIiiEEZZNS1_16scan_by_key_implILNS1_25lookback_scan_determinismE0ELb0ES3_N6thrust23THRUST_200600_302600_NS10device_ptrIiEESB_SB_iNS9_4plusIvEENS9_8equal_toIvEEiEE10hipError_tPvRmT2_T3_T4_T5_mT6_T7_P12ihipStream_tbENKUlT_T0_E_clISt17integral_constantIbLb0EESV_IbLb1EEEEDaSR_SS_EUlSR_E_NS1_11comp_targetILNS1_3genE8ELNS1_11target_archE1030ELNS1_3gpuE2ELNS1_3repE0EEENS1_30default_config_static_selectorELNS0_4arch9wavefront6targetE0EEEvT1_,comdat
.Lfunc_end2232:
	.size	_ZN7rocprim17ROCPRIM_400000_NS6detail17trampoline_kernelINS0_14default_configENS1_27scan_by_key_config_selectorIiiEEZZNS1_16scan_by_key_implILNS1_25lookback_scan_determinismE0ELb0ES3_N6thrust23THRUST_200600_302600_NS10device_ptrIiEESB_SB_iNS9_4plusIvEENS9_8equal_toIvEEiEE10hipError_tPvRmT2_T3_T4_T5_mT6_T7_P12ihipStream_tbENKUlT_T0_E_clISt17integral_constantIbLb0EESV_IbLb1EEEEDaSR_SS_EUlSR_E_NS1_11comp_targetILNS1_3genE8ELNS1_11target_archE1030ELNS1_3gpuE2ELNS1_3repE0EEENS1_30default_config_static_selectorELNS0_4arch9wavefront6targetE0EEEvT1_, .Lfunc_end2232-_ZN7rocprim17ROCPRIM_400000_NS6detail17trampoline_kernelINS0_14default_configENS1_27scan_by_key_config_selectorIiiEEZZNS1_16scan_by_key_implILNS1_25lookback_scan_determinismE0ELb0ES3_N6thrust23THRUST_200600_302600_NS10device_ptrIiEESB_SB_iNS9_4plusIvEENS9_8equal_toIvEEiEE10hipError_tPvRmT2_T3_T4_T5_mT6_T7_P12ihipStream_tbENKUlT_T0_E_clISt17integral_constantIbLb0EESV_IbLb1EEEEDaSR_SS_EUlSR_E_NS1_11comp_targetILNS1_3genE8ELNS1_11target_archE1030ELNS1_3gpuE2ELNS1_3repE0EEENS1_30default_config_static_selectorELNS0_4arch9wavefront6targetE0EEEvT1_
                                        ; -- End function
	.set _ZN7rocprim17ROCPRIM_400000_NS6detail17trampoline_kernelINS0_14default_configENS1_27scan_by_key_config_selectorIiiEEZZNS1_16scan_by_key_implILNS1_25lookback_scan_determinismE0ELb0ES3_N6thrust23THRUST_200600_302600_NS10device_ptrIiEESB_SB_iNS9_4plusIvEENS9_8equal_toIvEEiEE10hipError_tPvRmT2_T3_T4_T5_mT6_T7_P12ihipStream_tbENKUlT_T0_E_clISt17integral_constantIbLb0EESV_IbLb1EEEEDaSR_SS_EUlSR_E_NS1_11comp_targetILNS1_3genE8ELNS1_11target_archE1030ELNS1_3gpuE2ELNS1_3repE0EEENS1_30default_config_static_selectorELNS0_4arch9wavefront6targetE0EEEvT1_.num_vgpr, 42
	.set _ZN7rocprim17ROCPRIM_400000_NS6detail17trampoline_kernelINS0_14default_configENS1_27scan_by_key_config_selectorIiiEEZZNS1_16scan_by_key_implILNS1_25lookback_scan_determinismE0ELb0ES3_N6thrust23THRUST_200600_302600_NS10device_ptrIiEESB_SB_iNS9_4plusIvEENS9_8equal_toIvEEiEE10hipError_tPvRmT2_T3_T4_T5_mT6_T7_P12ihipStream_tbENKUlT_T0_E_clISt17integral_constantIbLb0EESV_IbLb1EEEEDaSR_SS_EUlSR_E_NS1_11comp_targetILNS1_3genE8ELNS1_11target_archE1030ELNS1_3gpuE2ELNS1_3repE0EEENS1_30default_config_static_selectorELNS0_4arch9wavefront6targetE0EEEvT1_.num_agpr, 0
	.set _ZN7rocprim17ROCPRIM_400000_NS6detail17trampoline_kernelINS0_14default_configENS1_27scan_by_key_config_selectorIiiEEZZNS1_16scan_by_key_implILNS1_25lookback_scan_determinismE0ELb0ES3_N6thrust23THRUST_200600_302600_NS10device_ptrIiEESB_SB_iNS9_4plusIvEENS9_8equal_toIvEEiEE10hipError_tPvRmT2_T3_T4_T5_mT6_T7_P12ihipStream_tbENKUlT_T0_E_clISt17integral_constantIbLb0EESV_IbLb1EEEEDaSR_SS_EUlSR_E_NS1_11comp_targetILNS1_3genE8ELNS1_11target_archE1030ELNS1_3gpuE2ELNS1_3repE0EEENS1_30default_config_static_selectorELNS0_4arch9wavefront6targetE0EEEvT1_.numbered_sgpr, 34
	.set _ZN7rocprim17ROCPRIM_400000_NS6detail17trampoline_kernelINS0_14default_configENS1_27scan_by_key_config_selectorIiiEEZZNS1_16scan_by_key_implILNS1_25lookback_scan_determinismE0ELb0ES3_N6thrust23THRUST_200600_302600_NS10device_ptrIiEESB_SB_iNS9_4plusIvEENS9_8equal_toIvEEiEE10hipError_tPvRmT2_T3_T4_T5_mT6_T7_P12ihipStream_tbENKUlT_T0_E_clISt17integral_constantIbLb0EESV_IbLb1EEEEDaSR_SS_EUlSR_E_NS1_11comp_targetILNS1_3genE8ELNS1_11target_archE1030ELNS1_3gpuE2ELNS1_3repE0EEENS1_30default_config_static_selectorELNS0_4arch9wavefront6targetE0EEEvT1_.num_named_barrier, 0
	.set _ZN7rocprim17ROCPRIM_400000_NS6detail17trampoline_kernelINS0_14default_configENS1_27scan_by_key_config_selectorIiiEEZZNS1_16scan_by_key_implILNS1_25lookback_scan_determinismE0ELb0ES3_N6thrust23THRUST_200600_302600_NS10device_ptrIiEESB_SB_iNS9_4plusIvEENS9_8equal_toIvEEiEE10hipError_tPvRmT2_T3_T4_T5_mT6_T7_P12ihipStream_tbENKUlT_T0_E_clISt17integral_constantIbLb0EESV_IbLb1EEEEDaSR_SS_EUlSR_E_NS1_11comp_targetILNS1_3genE8ELNS1_11target_archE1030ELNS1_3gpuE2ELNS1_3repE0EEENS1_30default_config_static_selectorELNS0_4arch9wavefront6targetE0EEEvT1_.private_seg_size, 0
	.set _ZN7rocprim17ROCPRIM_400000_NS6detail17trampoline_kernelINS0_14default_configENS1_27scan_by_key_config_selectorIiiEEZZNS1_16scan_by_key_implILNS1_25lookback_scan_determinismE0ELb0ES3_N6thrust23THRUST_200600_302600_NS10device_ptrIiEESB_SB_iNS9_4plusIvEENS9_8equal_toIvEEiEE10hipError_tPvRmT2_T3_T4_T5_mT6_T7_P12ihipStream_tbENKUlT_T0_E_clISt17integral_constantIbLb0EESV_IbLb1EEEEDaSR_SS_EUlSR_E_NS1_11comp_targetILNS1_3genE8ELNS1_11target_archE1030ELNS1_3gpuE2ELNS1_3repE0EEENS1_30default_config_static_selectorELNS0_4arch9wavefront6targetE0EEEvT1_.uses_vcc, 1
	.set _ZN7rocprim17ROCPRIM_400000_NS6detail17trampoline_kernelINS0_14default_configENS1_27scan_by_key_config_selectorIiiEEZZNS1_16scan_by_key_implILNS1_25lookback_scan_determinismE0ELb0ES3_N6thrust23THRUST_200600_302600_NS10device_ptrIiEESB_SB_iNS9_4plusIvEENS9_8equal_toIvEEiEE10hipError_tPvRmT2_T3_T4_T5_mT6_T7_P12ihipStream_tbENKUlT_T0_E_clISt17integral_constantIbLb0EESV_IbLb1EEEEDaSR_SS_EUlSR_E_NS1_11comp_targetILNS1_3genE8ELNS1_11target_archE1030ELNS1_3gpuE2ELNS1_3repE0EEENS1_30default_config_static_selectorELNS0_4arch9wavefront6targetE0EEEvT1_.uses_flat_scratch, 1
	.set _ZN7rocprim17ROCPRIM_400000_NS6detail17trampoline_kernelINS0_14default_configENS1_27scan_by_key_config_selectorIiiEEZZNS1_16scan_by_key_implILNS1_25lookback_scan_determinismE0ELb0ES3_N6thrust23THRUST_200600_302600_NS10device_ptrIiEESB_SB_iNS9_4plusIvEENS9_8equal_toIvEEiEE10hipError_tPvRmT2_T3_T4_T5_mT6_T7_P12ihipStream_tbENKUlT_T0_E_clISt17integral_constantIbLb0EESV_IbLb1EEEEDaSR_SS_EUlSR_E_NS1_11comp_targetILNS1_3genE8ELNS1_11target_archE1030ELNS1_3gpuE2ELNS1_3repE0EEENS1_30default_config_static_selectorELNS0_4arch9wavefront6targetE0EEEvT1_.has_dyn_sized_stack, 0
	.set _ZN7rocprim17ROCPRIM_400000_NS6detail17trampoline_kernelINS0_14default_configENS1_27scan_by_key_config_selectorIiiEEZZNS1_16scan_by_key_implILNS1_25lookback_scan_determinismE0ELb0ES3_N6thrust23THRUST_200600_302600_NS10device_ptrIiEESB_SB_iNS9_4plusIvEENS9_8equal_toIvEEiEE10hipError_tPvRmT2_T3_T4_T5_mT6_T7_P12ihipStream_tbENKUlT_T0_E_clISt17integral_constantIbLb0EESV_IbLb1EEEEDaSR_SS_EUlSR_E_NS1_11comp_targetILNS1_3genE8ELNS1_11target_archE1030ELNS1_3gpuE2ELNS1_3repE0EEENS1_30default_config_static_selectorELNS0_4arch9wavefront6targetE0EEEvT1_.has_recursion, 0
	.set _ZN7rocprim17ROCPRIM_400000_NS6detail17trampoline_kernelINS0_14default_configENS1_27scan_by_key_config_selectorIiiEEZZNS1_16scan_by_key_implILNS1_25lookback_scan_determinismE0ELb0ES3_N6thrust23THRUST_200600_302600_NS10device_ptrIiEESB_SB_iNS9_4plusIvEENS9_8equal_toIvEEiEE10hipError_tPvRmT2_T3_T4_T5_mT6_T7_P12ihipStream_tbENKUlT_T0_E_clISt17integral_constantIbLb0EESV_IbLb1EEEEDaSR_SS_EUlSR_E_NS1_11comp_targetILNS1_3genE8ELNS1_11target_archE1030ELNS1_3gpuE2ELNS1_3repE0EEENS1_30default_config_static_selectorELNS0_4arch9wavefront6targetE0EEEvT1_.has_indirect_call, 0
	.section	.AMDGPU.csdata,"",@progbits
; Kernel info:
; codeLenInByte = 6332
; TotalNumSgprs: 36
; NumVgprs: 42
; ScratchSize: 0
; MemoryBound: 0
; FloatMode: 240
; IeeeMode: 1
; LDSByteSize: 5120 bytes/workgroup (compile time only)
; SGPRBlocks: 0
; VGPRBlocks: 5
; NumSGPRsForWavesPerEU: 36
; NumVGPRsForWavesPerEU: 42
; Occupancy: 16
; WaveLimiterHint : 1
; COMPUTE_PGM_RSRC2:SCRATCH_EN: 0
; COMPUTE_PGM_RSRC2:USER_SGPR: 6
; COMPUTE_PGM_RSRC2:TRAP_HANDLER: 0
; COMPUTE_PGM_RSRC2:TGID_X_EN: 1
; COMPUTE_PGM_RSRC2:TGID_Y_EN: 0
; COMPUTE_PGM_RSRC2:TGID_Z_EN: 0
; COMPUTE_PGM_RSRC2:TIDIG_COMP_CNT: 0
	.section	.text._ZN7rocprim17ROCPRIM_400000_NS6detail17trampoline_kernelINS0_14default_configENS1_27scan_by_key_config_selectorIiiEEZZNS1_16scan_by_key_implILNS1_25lookback_scan_determinismE0ELb1ES3_N6thrust23THRUST_200600_302600_NS10device_ptrIiEESB_SB_iNS9_4plusIvEENS9_8equal_toIvEEiEE10hipError_tPvRmT2_T3_T4_T5_mT6_T7_P12ihipStream_tbENKUlT_T0_E_clISt17integral_constantIbLb0EESW_EEDaSR_SS_EUlSR_E_NS1_11comp_targetILNS1_3genE0ELNS1_11target_archE4294967295ELNS1_3gpuE0ELNS1_3repE0EEENS1_30default_config_static_selectorELNS0_4arch9wavefront6targetE0EEEvT1_,"axG",@progbits,_ZN7rocprim17ROCPRIM_400000_NS6detail17trampoline_kernelINS0_14default_configENS1_27scan_by_key_config_selectorIiiEEZZNS1_16scan_by_key_implILNS1_25lookback_scan_determinismE0ELb1ES3_N6thrust23THRUST_200600_302600_NS10device_ptrIiEESB_SB_iNS9_4plusIvEENS9_8equal_toIvEEiEE10hipError_tPvRmT2_T3_T4_T5_mT6_T7_P12ihipStream_tbENKUlT_T0_E_clISt17integral_constantIbLb0EESW_EEDaSR_SS_EUlSR_E_NS1_11comp_targetILNS1_3genE0ELNS1_11target_archE4294967295ELNS1_3gpuE0ELNS1_3repE0EEENS1_30default_config_static_selectorELNS0_4arch9wavefront6targetE0EEEvT1_,comdat
	.protected	_ZN7rocprim17ROCPRIM_400000_NS6detail17trampoline_kernelINS0_14default_configENS1_27scan_by_key_config_selectorIiiEEZZNS1_16scan_by_key_implILNS1_25lookback_scan_determinismE0ELb1ES3_N6thrust23THRUST_200600_302600_NS10device_ptrIiEESB_SB_iNS9_4plusIvEENS9_8equal_toIvEEiEE10hipError_tPvRmT2_T3_T4_T5_mT6_T7_P12ihipStream_tbENKUlT_T0_E_clISt17integral_constantIbLb0EESW_EEDaSR_SS_EUlSR_E_NS1_11comp_targetILNS1_3genE0ELNS1_11target_archE4294967295ELNS1_3gpuE0ELNS1_3repE0EEENS1_30default_config_static_selectorELNS0_4arch9wavefront6targetE0EEEvT1_ ; -- Begin function _ZN7rocprim17ROCPRIM_400000_NS6detail17trampoline_kernelINS0_14default_configENS1_27scan_by_key_config_selectorIiiEEZZNS1_16scan_by_key_implILNS1_25lookback_scan_determinismE0ELb1ES3_N6thrust23THRUST_200600_302600_NS10device_ptrIiEESB_SB_iNS9_4plusIvEENS9_8equal_toIvEEiEE10hipError_tPvRmT2_T3_T4_T5_mT6_T7_P12ihipStream_tbENKUlT_T0_E_clISt17integral_constantIbLb0EESW_EEDaSR_SS_EUlSR_E_NS1_11comp_targetILNS1_3genE0ELNS1_11target_archE4294967295ELNS1_3gpuE0ELNS1_3repE0EEENS1_30default_config_static_selectorELNS0_4arch9wavefront6targetE0EEEvT1_
	.globl	_ZN7rocprim17ROCPRIM_400000_NS6detail17trampoline_kernelINS0_14default_configENS1_27scan_by_key_config_selectorIiiEEZZNS1_16scan_by_key_implILNS1_25lookback_scan_determinismE0ELb1ES3_N6thrust23THRUST_200600_302600_NS10device_ptrIiEESB_SB_iNS9_4plusIvEENS9_8equal_toIvEEiEE10hipError_tPvRmT2_T3_T4_T5_mT6_T7_P12ihipStream_tbENKUlT_T0_E_clISt17integral_constantIbLb0EESW_EEDaSR_SS_EUlSR_E_NS1_11comp_targetILNS1_3genE0ELNS1_11target_archE4294967295ELNS1_3gpuE0ELNS1_3repE0EEENS1_30default_config_static_selectorELNS0_4arch9wavefront6targetE0EEEvT1_
	.p2align	8
	.type	_ZN7rocprim17ROCPRIM_400000_NS6detail17trampoline_kernelINS0_14default_configENS1_27scan_by_key_config_selectorIiiEEZZNS1_16scan_by_key_implILNS1_25lookback_scan_determinismE0ELb1ES3_N6thrust23THRUST_200600_302600_NS10device_ptrIiEESB_SB_iNS9_4plusIvEENS9_8equal_toIvEEiEE10hipError_tPvRmT2_T3_T4_T5_mT6_T7_P12ihipStream_tbENKUlT_T0_E_clISt17integral_constantIbLb0EESW_EEDaSR_SS_EUlSR_E_NS1_11comp_targetILNS1_3genE0ELNS1_11target_archE4294967295ELNS1_3gpuE0ELNS1_3repE0EEENS1_30default_config_static_selectorELNS0_4arch9wavefront6targetE0EEEvT1_,@function
_ZN7rocprim17ROCPRIM_400000_NS6detail17trampoline_kernelINS0_14default_configENS1_27scan_by_key_config_selectorIiiEEZZNS1_16scan_by_key_implILNS1_25lookback_scan_determinismE0ELb1ES3_N6thrust23THRUST_200600_302600_NS10device_ptrIiEESB_SB_iNS9_4plusIvEENS9_8equal_toIvEEiEE10hipError_tPvRmT2_T3_T4_T5_mT6_T7_P12ihipStream_tbENKUlT_T0_E_clISt17integral_constantIbLb0EESW_EEDaSR_SS_EUlSR_E_NS1_11comp_targetILNS1_3genE0ELNS1_11target_archE4294967295ELNS1_3gpuE0ELNS1_3repE0EEENS1_30default_config_static_selectorELNS0_4arch9wavefront6targetE0EEEvT1_: ; @_ZN7rocprim17ROCPRIM_400000_NS6detail17trampoline_kernelINS0_14default_configENS1_27scan_by_key_config_selectorIiiEEZZNS1_16scan_by_key_implILNS1_25lookback_scan_determinismE0ELb1ES3_N6thrust23THRUST_200600_302600_NS10device_ptrIiEESB_SB_iNS9_4plusIvEENS9_8equal_toIvEEiEE10hipError_tPvRmT2_T3_T4_T5_mT6_T7_P12ihipStream_tbENKUlT_T0_E_clISt17integral_constantIbLb0EESW_EEDaSR_SS_EUlSR_E_NS1_11comp_targetILNS1_3genE0ELNS1_11target_archE4294967295ELNS1_3gpuE0ELNS1_3repE0EEENS1_30default_config_static_selectorELNS0_4arch9wavefront6targetE0EEEvT1_
; %bb.0:
	.section	.rodata,"a",@progbits
	.p2align	6, 0x0
	.amdhsa_kernel _ZN7rocprim17ROCPRIM_400000_NS6detail17trampoline_kernelINS0_14default_configENS1_27scan_by_key_config_selectorIiiEEZZNS1_16scan_by_key_implILNS1_25lookback_scan_determinismE0ELb1ES3_N6thrust23THRUST_200600_302600_NS10device_ptrIiEESB_SB_iNS9_4plusIvEENS9_8equal_toIvEEiEE10hipError_tPvRmT2_T3_T4_T5_mT6_T7_P12ihipStream_tbENKUlT_T0_E_clISt17integral_constantIbLb0EESW_EEDaSR_SS_EUlSR_E_NS1_11comp_targetILNS1_3genE0ELNS1_11target_archE4294967295ELNS1_3gpuE0ELNS1_3repE0EEENS1_30default_config_static_selectorELNS0_4arch9wavefront6targetE0EEEvT1_
		.amdhsa_group_segment_fixed_size 0
		.amdhsa_private_segment_fixed_size 0
		.amdhsa_kernarg_size 112
		.amdhsa_user_sgpr_count 6
		.amdhsa_user_sgpr_private_segment_buffer 1
		.amdhsa_user_sgpr_dispatch_ptr 0
		.amdhsa_user_sgpr_queue_ptr 0
		.amdhsa_user_sgpr_kernarg_segment_ptr 1
		.amdhsa_user_sgpr_dispatch_id 0
		.amdhsa_user_sgpr_flat_scratch_init 0
		.amdhsa_user_sgpr_private_segment_size 0
		.amdhsa_wavefront_size32 1
		.amdhsa_uses_dynamic_stack 0
		.amdhsa_system_sgpr_private_segment_wavefront_offset 0
		.amdhsa_system_sgpr_workgroup_id_x 1
		.amdhsa_system_sgpr_workgroup_id_y 0
		.amdhsa_system_sgpr_workgroup_id_z 0
		.amdhsa_system_sgpr_workgroup_info 0
		.amdhsa_system_vgpr_workitem_id 0
		.amdhsa_next_free_vgpr 1
		.amdhsa_next_free_sgpr 1
		.amdhsa_reserve_vcc 0
		.amdhsa_reserve_flat_scratch 0
		.amdhsa_float_round_mode_32 0
		.amdhsa_float_round_mode_16_64 0
		.amdhsa_float_denorm_mode_32 3
		.amdhsa_float_denorm_mode_16_64 3
		.amdhsa_dx10_clamp 1
		.amdhsa_ieee_mode 1
		.amdhsa_fp16_overflow 0
		.amdhsa_workgroup_processor_mode 1
		.amdhsa_memory_ordered 1
		.amdhsa_forward_progress 1
		.amdhsa_shared_vgpr_count 0
		.amdhsa_exception_fp_ieee_invalid_op 0
		.amdhsa_exception_fp_denorm_src 0
		.amdhsa_exception_fp_ieee_div_zero 0
		.amdhsa_exception_fp_ieee_overflow 0
		.amdhsa_exception_fp_ieee_underflow 0
		.amdhsa_exception_fp_ieee_inexact 0
		.amdhsa_exception_int_div_zero 0
	.end_amdhsa_kernel
	.section	.text._ZN7rocprim17ROCPRIM_400000_NS6detail17trampoline_kernelINS0_14default_configENS1_27scan_by_key_config_selectorIiiEEZZNS1_16scan_by_key_implILNS1_25lookback_scan_determinismE0ELb1ES3_N6thrust23THRUST_200600_302600_NS10device_ptrIiEESB_SB_iNS9_4plusIvEENS9_8equal_toIvEEiEE10hipError_tPvRmT2_T3_T4_T5_mT6_T7_P12ihipStream_tbENKUlT_T0_E_clISt17integral_constantIbLb0EESW_EEDaSR_SS_EUlSR_E_NS1_11comp_targetILNS1_3genE0ELNS1_11target_archE4294967295ELNS1_3gpuE0ELNS1_3repE0EEENS1_30default_config_static_selectorELNS0_4arch9wavefront6targetE0EEEvT1_,"axG",@progbits,_ZN7rocprim17ROCPRIM_400000_NS6detail17trampoline_kernelINS0_14default_configENS1_27scan_by_key_config_selectorIiiEEZZNS1_16scan_by_key_implILNS1_25lookback_scan_determinismE0ELb1ES3_N6thrust23THRUST_200600_302600_NS10device_ptrIiEESB_SB_iNS9_4plusIvEENS9_8equal_toIvEEiEE10hipError_tPvRmT2_T3_T4_T5_mT6_T7_P12ihipStream_tbENKUlT_T0_E_clISt17integral_constantIbLb0EESW_EEDaSR_SS_EUlSR_E_NS1_11comp_targetILNS1_3genE0ELNS1_11target_archE4294967295ELNS1_3gpuE0ELNS1_3repE0EEENS1_30default_config_static_selectorELNS0_4arch9wavefront6targetE0EEEvT1_,comdat
.Lfunc_end2233:
	.size	_ZN7rocprim17ROCPRIM_400000_NS6detail17trampoline_kernelINS0_14default_configENS1_27scan_by_key_config_selectorIiiEEZZNS1_16scan_by_key_implILNS1_25lookback_scan_determinismE0ELb1ES3_N6thrust23THRUST_200600_302600_NS10device_ptrIiEESB_SB_iNS9_4plusIvEENS9_8equal_toIvEEiEE10hipError_tPvRmT2_T3_T4_T5_mT6_T7_P12ihipStream_tbENKUlT_T0_E_clISt17integral_constantIbLb0EESW_EEDaSR_SS_EUlSR_E_NS1_11comp_targetILNS1_3genE0ELNS1_11target_archE4294967295ELNS1_3gpuE0ELNS1_3repE0EEENS1_30default_config_static_selectorELNS0_4arch9wavefront6targetE0EEEvT1_, .Lfunc_end2233-_ZN7rocprim17ROCPRIM_400000_NS6detail17trampoline_kernelINS0_14default_configENS1_27scan_by_key_config_selectorIiiEEZZNS1_16scan_by_key_implILNS1_25lookback_scan_determinismE0ELb1ES3_N6thrust23THRUST_200600_302600_NS10device_ptrIiEESB_SB_iNS9_4plusIvEENS9_8equal_toIvEEiEE10hipError_tPvRmT2_T3_T4_T5_mT6_T7_P12ihipStream_tbENKUlT_T0_E_clISt17integral_constantIbLb0EESW_EEDaSR_SS_EUlSR_E_NS1_11comp_targetILNS1_3genE0ELNS1_11target_archE4294967295ELNS1_3gpuE0ELNS1_3repE0EEENS1_30default_config_static_selectorELNS0_4arch9wavefront6targetE0EEEvT1_
                                        ; -- End function
	.set _ZN7rocprim17ROCPRIM_400000_NS6detail17trampoline_kernelINS0_14default_configENS1_27scan_by_key_config_selectorIiiEEZZNS1_16scan_by_key_implILNS1_25lookback_scan_determinismE0ELb1ES3_N6thrust23THRUST_200600_302600_NS10device_ptrIiEESB_SB_iNS9_4plusIvEENS9_8equal_toIvEEiEE10hipError_tPvRmT2_T3_T4_T5_mT6_T7_P12ihipStream_tbENKUlT_T0_E_clISt17integral_constantIbLb0EESW_EEDaSR_SS_EUlSR_E_NS1_11comp_targetILNS1_3genE0ELNS1_11target_archE4294967295ELNS1_3gpuE0ELNS1_3repE0EEENS1_30default_config_static_selectorELNS0_4arch9wavefront6targetE0EEEvT1_.num_vgpr, 0
	.set _ZN7rocprim17ROCPRIM_400000_NS6detail17trampoline_kernelINS0_14default_configENS1_27scan_by_key_config_selectorIiiEEZZNS1_16scan_by_key_implILNS1_25lookback_scan_determinismE0ELb1ES3_N6thrust23THRUST_200600_302600_NS10device_ptrIiEESB_SB_iNS9_4plusIvEENS9_8equal_toIvEEiEE10hipError_tPvRmT2_T3_T4_T5_mT6_T7_P12ihipStream_tbENKUlT_T0_E_clISt17integral_constantIbLb0EESW_EEDaSR_SS_EUlSR_E_NS1_11comp_targetILNS1_3genE0ELNS1_11target_archE4294967295ELNS1_3gpuE0ELNS1_3repE0EEENS1_30default_config_static_selectorELNS0_4arch9wavefront6targetE0EEEvT1_.num_agpr, 0
	.set _ZN7rocprim17ROCPRIM_400000_NS6detail17trampoline_kernelINS0_14default_configENS1_27scan_by_key_config_selectorIiiEEZZNS1_16scan_by_key_implILNS1_25lookback_scan_determinismE0ELb1ES3_N6thrust23THRUST_200600_302600_NS10device_ptrIiEESB_SB_iNS9_4plusIvEENS9_8equal_toIvEEiEE10hipError_tPvRmT2_T3_T4_T5_mT6_T7_P12ihipStream_tbENKUlT_T0_E_clISt17integral_constantIbLb0EESW_EEDaSR_SS_EUlSR_E_NS1_11comp_targetILNS1_3genE0ELNS1_11target_archE4294967295ELNS1_3gpuE0ELNS1_3repE0EEENS1_30default_config_static_selectorELNS0_4arch9wavefront6targetE0EEEvT1_.numbered_sgpr, 0
	.set _ZN7rocprim17ROCPRIM_400000_NS6detail17trampoline_kernelINS0_14default_configENS1_27scan_by_key_config_selectorIiiEEZZNS1_16scan_by_key_implILNS1_25lookback_scan_determinismE0ELb1ES3_N6thrust23THRUST_200600_302600_NS10device_ptrIiEESB_SB_iNS9_4plusIvEENS9_8equal_toIvEEiEE10hipError_tPvRmT2_T3_T4_T5_mT6_T7_P12ihipStream_tbENKUlT_T0_E_clISt17integral_constantIbLb0EESW_EEDaSR_SS_EUlSR_E_NS1_11comp_targetILNS1_3genE0ELNS1_11target_archE4294967295ELNS1_3gpuE0ELNS1_3repE0EEENS1_30default_config_static_selectorELNS0_4arch9wavefront6targetE0EEEvT1_.num_named_barrier, 0
	.set _ZN7rocprim17ROCPRIM_400000_NS6detail17trampoline_kernelINS0_14default_configENS1_27scan_by_key_config_selectorIiiEEZZNS1_16scan_by_key_implILNS1_25lookback_scan_determinismE0ELb1ES3_N6thrust23THRUST_200600_302600_NS10device_ptrIiEESB_SB_iNS9_4plusIvEENS9_8equal_toIvEEiEE10hipError_tPvRmT2_T3_T4_T5_mT6_T7_P12ihipStream_tbENKUlT_T0_E_clISt17integral_constantIbLb0EESW_EEDaSR_SS_EUlSR_E_NS1_11comp_targetILNS1_3genE0ELNS1_11target_archE4294967295ELNS1_3gpuE0ELNS1_3repE0EEENS1_30default_config_static_selectorELNS0_4arch9wavefront6targetE0EEEvT1_.private_seg_size, 0
	.set _ZN7rocprim17ROCPRIM_400000_NS6detail17trampoline_kernelINS0_14default_configENS1_27scan_by_key_config_selectorIiiEEZZNS1_16scan_by_key_implILNS1_25lookback_scan_determinismE0ELb1ES3_N6thrust23THRUST_200600_302600_NS10device_ptrIiEESB_SB_iNS9_4plusIvEENS9_8equal_toIvEEiEE10hipError_tPvRmT2_T3_T4_T5_mT6_T7_P12ihipStream_tbENKUlT_T0_E_clISt17integral_constantIbLb0EESW_EEDaSR_SS_EUlSR_E_NS1_11comp_targetILNS1_3genE0ELNS1_11target_archE4294967295ELNS1_3gpuE0ELNS1_3repE0EEENS1_30default_config_static_selectorELNS0_4arch9wavefront6targetE0EEEvT1_.uses_vcc, 0
	.set _ZN7rocprim17ROCPRIM_400000_NS6detail17trampoline_kernelINS0_14default_configENS1_27scan_by_key_config_selectorIiiEEZZNS1_16scan_by_key_implILNS1_25lookback_scan_determinismE0ELb1ES3_N6thrust23THRUST_200600_302600_NS10device_ptrIiEESB_SB_iNS9_4plusIvEENS9_8equal_toIvEEiEE10hipError_tPvRmT2_T3_T4_T5_mT6_T7_P12ihipStream_tbENKUlT_T0_E_clISt17integral_constantIbLb0EESW_EEDaSR_SS_EUlSR_E_NS1_11comp_targetILNS1_3genE0ELNS1_11target_archE4294967295ELNS1_3gpuE0ELNS1_3repE0EEENS1_30default_config_static_selectorELNS0_4arch9wavefront6targetE0EEEvT1_.uses_flat_scratch, 0
	.set _ZN7rocprim17ROCPRIM_400000_NS6detail17trampoline_kernelINS0_14default_configENS1_27scan_by_key_config_selectorIiiEEZZNS1_16scan_by_key_implILNS1_25lookback_scan_determinismE0ELb1ES3_N6thrust23THRUST_200600_302600_NS10device_ptrIiEESB_SB_iNS9_4plusIvEENS9_8equal_toIvEEiEE10hipError_tPvRmT2_T3_T4_T5_mT6_T7_P12ihipStream_tbENKUlT_T0_E_clISt17integral_constantIbLb0EESW_EEDaSR_SS_EUlSR_E_NS1_11comp_targetILNS1_3genE0ELNS1_11target_archE4294967295ELNS1_3gpuE0ELNS1_3repE0EEENS1_30default_config_static_selectorELNS0_4arch9wavefront6targetE0EEEvT1_.has_dyn_sized_stack, 0
	.set _ZN7rocprim17ROCPRIM_400000_NS6detail17trampoline_kernelINS0_14default_configENS1_27scan_by_key_config_selectorIiiEEZZNS1_16scan_by_key_implILNS1_25lookback_scan_determinismE0ELb1ES3_N6thrust23THRUST_200600_302600_NS10device_ptrIiEESB_SB_iNS9_4plusIvEENS9_8equal_toIvEEiEE10hipError_tPvRmT2_T3_T4_T5_mT6_T7_P12ihipStream_tbENKUlT_T0_E_clISt17integral_constantIbLb0EESW_EEDaSR_SS_EUlSR_E_NS1_11comp_targetILNS1_3genE0ELNS1_11target_archE4294967295ELNS1_3gpuE0ELNS1_3repE0EEENS1_30default_config_static_selectorELNS0_4arch9wavefront6targetE0EEEvT1_.has_recursion, 0
	.set _ZN7rocprim17ROCPRIM_400000_NS6detail17trampoline_kernelINS0_14default_configENS1_27scan_by_key_config_selectorIiiEEZZNS1_16scan_by_key_implILNS1_25lookback_scan_determinismE0ELb1ES3_N6thrust23THRUST_200600_302600_NS10device_ptrIiEESB_SB_iNS9_4plusIvEENS9_8equal_toIvEEiEE10hipError_tPvRmT2_T3_T4_T5_mT6_T7_P12ihipStream_tbENKUlT_T0_E_clISt17integral_constantIbLb0EESW_EEDaSR_SS_EUlSR_E_NS1_11comp_targetILNS1_3genE0ELNS1_11target_archE4294967295ELNS1_3gpuE0ELNS1_3repE0EEENS1_30default_config_static_selectorELNS0_4arch9wavefront6targetE0EEEvT1_.has_indirect_call, 0
	.section	.AMDGPU.csdata,"",@progbits
; Kernel info:
; codeLenInByte = 0
; TotalNumSgprs: 0
; NumVgprs: 0
; ScratchSize: 0
; MemoryBound: 0
; FloatMode: 240
; IeeeMode: 1
; LDSByteSize: 0 bytes/workgroup (compile time only)
; SGPRBlocks: 0
; VGPRBlocks: 0
; NumSGPRsForWavesPerEU: 1
; NumVGPRsForWavesPerEU: 1
; Occupancy: 16
; WaveLimiterHint : 0
; COMPUTE_PGM_RSRC2:SCRATCH_EN: 0
; COMPUTE_PGM_RSRC2:USER_SGPR: 6
; COMPUTE_PGM_RSRC2:TRAP_HANDLER: 0
; COMPUTE_PGM_RSRC2:TGID_X_EN: 1
; COMPUTE_PGM_RSRC2:TGID_Y_EN: 0
; COMPUTE_PGM_RSRC2:TGID_Z_EN: 0
; COMPUTE_PGM_RSRC2:TIDIG_COMP_CNT: 0
	.section	.text._ZN7rocprim17ROCPRIM_400000_NS6detail17trampoline_kernelINS0_14default_configENS1_27scan_by_key_config_selectorIiiEEZZNS1_16scan_by_key_implILNS1_25lookback_scan_determinismE0ELb1ES3_N6thrust23THRUST_200600_302600_NS10device_ptrIiEESB_SB_iNS9_4plusIvEENS9_8equal_toIvEEiEE10hipError_tPvRmT2_T3_T4_T5_mT6_T7_P12ihipStream_tbENKUlT_T0_E_clISt17integral_constantIbLb0EESW_EEDaSR_SS_EUlSR_E_NS1_11comp_targetILNS1_3genE10ELNS1_11target_archE1201ELNS1_3gpuE5ELNS1_3repE0EEENS1_30default_config_static_selectorELNS0_4arch9wavefront6targetE0EEEvT1_,"axG",@progbits,_ZN7rocprim17ROCPRIM_400000_NS6detail17trampoline_kernelINS0_14default_configENS1_27scan_by_key_config_selectorIiiEEZZNS1_16scan_by_key_implILNS1_25lookback_scan_determinismE0ELb1ES3_N6thrust23THRUST_200600_302600_NS10device_ptrIiEESB_SB_iNS9_4plusIvEENS9_8equal_toIvEEiEE10hipError_tPvRmT2_T3_T4_T5_mT6_T7_P12ihipStream_tbENKUlT_T0_E_clISt17integral_constantIbLb0EESW_EEDaSR_SS_EUlSR_E_NS1_11comp_targetILNS1_3genE10ELNS1_11target_archE1201ELNS1_3gpuE5ELNS1_3repE0EEENS1_30default_config_static_selectorELNS0_4arch9wavefront6targetE0EEEvT1_,comdat
	.protected	_ZN7rocprim17ROCPRIM_400000_NS6detail17trampoline_kernelINS0_14default_configENS1_27scan_by_key_config_selectorIiiEEZZNS1_16scan_by_key_implILNS1_25lookback_scan_determinismE0ELb1ES3_N6thrust23THRUST_200600_302600_NS10device_ptrIiEESB_SB_iNS9_4plusIvEENS9_8equal_toIvEEiEE10hipError_tPvRmT2_T3_T4_T5_mT6_T7_P12ihipStream_tbENKUlT_T0_E_clISt17integral_constantIbLb0EESW_EEDaSR_SS_EUlSR_E_NS1_11comp_targetILNS1_3genE10ELNS1_11target_archE1201ELNS1_3gpuE5ELNS1_3repE0EEENS1_30default_config_static_selectorELNS0_4arch9wavefront6targetE0EEEvT1_ ; -- Begin function _ZN7rocprim17ROCPRIM_400000_NS6detail17trampoline_kernelINS0_14default_configENS1_27scan_by_key_config_selectorIiiEEZZNS1_16scan_by_key_implILNS1_25lookback_scan_determinismE0ELb1ES3_N6thrust23THRUST_200600_302600_NS10device_ptrIiEESB_SB_iNS9_4plusIvEENS9_8equal_toIvEEiEE10hipError_tPvRmT2_T3_T4_T5_mT6_T7_P12ihipStream_tbENKUlT_T0_E_clISt17integral_constantIbLb0EESW_EEDaSR_SS_EUlSR_E_NS1_11comp_targetILNS1_3genE10ELNS1_11target_archE1201ELNS1_3gpuE5ELNS1_3repE0EEENS1_30default_config_static_selectorELNS0_4arch9wavefront6targetE0EEEvT1_
	.globl	_ZN7rocprim17ROCPRIM_400000_NS6detail17trampoline_kernelINS0_14default_configENS1_27scan_by_key_config_selectorIiiEEZZNS1_16scan_by_key_implILNS1_25lookback_scan_determinismE0ELb1ES3_N6thrust23THRUST_200600_302600_NS10device_ptrIiEESB_SB_iNS9_4plusIvEENS9_8equal_toIvEEiEE10hipError_tPvRmT2_T3_T4_T5_mT6_T7_P12ihipStream_tbENKUlT_T0_E_clISt17integral_constantIbLb0EESW_EEDaSR_SS_EUlSR_E_NS1_11comp_targetILNS1_3genE10ELNS1_11target_archE1201ELNS1_3gpuE5ELNS1_3repE0EEENS1_30default_config_static_selectorELNS0_4arch9wavefront6targetE0EEEvT1_
	.p2align	8
	.type	_ZN7rocprim17ROCPRIM_400000_NS6detail17trampoline_kernelINS0_14default_configENS1_27scan_by_key_config_selectorIiiEEZZNS1_16scan_by_key_implILNS1_25lookback_scan_determinismE0ELb1ES3_N6thrust23THRUST_200600_302600_NS10device_ptrIiEESB_SB_iNS9_4plusIvEENS9_8equal_toIvEEiEE10hipError_tPvRmT2_T3_T4_T5_mT6_T7_P12ihipStream_tbENKUlT_T0_E_clISt17integral_constantIbLb0EESW_EEDaSR_SS_EUlSR_E_NS1_11comp_targetILNS1_3genE10ELNS1_11target_archE1201ELNS1_3gpuE5ELNS1_3repE0EEENS1_30default_config_static_selectorELNS0_4arch9wavefront6targetE0EEEvT1_,@function
_ZN7rocprim17ROCPRIM_400000_NS6detail17trampoline_kernelINS0_14default_configENS1_27scan_by_key_config_selectorIiiEEZZNS1_16scan_by_key_implILNS1_25lookback_scan_determinismE0ELb1ES3_N6thrust23THRUST_200600_302600_NS10device_ptrIiEESB_SB_iNS9_4plusIvEENS9_8equal_toIvEEiEE10hipError_tPvRmT2_T3_T4_T5_mT6_T7_P12ihipStream_tbENKUlT_T0_E_clISt17integral_constantIbLb0EESW_EEDaSR_SS_EUlSR_E_NS1_11comp_targetILNS1_3genE10ELNS1_11target_archE1201ELNS1_3gpuE5ELNS1_3repE0EEENS1_30default_config_static_selectorELNS0_4arch9wavefront6targetE0EEEvT1_: ; @_ZN7rocprim17ROCPRIM_400000_NS6detail17trampoline_kernelINS0_14default_configENS1_27scan_by_key_config_selectorIiiEEZZNS1_16scan_by_key_implILNS1_25lookback_scan_determinismE0ELb1ES3_N6thrust23THRUST_200600_302600_NS10device_ptrIiEESB_SB_iNS9_4plusIvEENS9_8equal_toIvEEiEE10hipError_tPvRmT2_T3_T4_T5_mT6_T7_P12ihipStream_tbENKUlT_T0_E_clISt17integral_constantIbLb0EESW_EEDaSR_SS_EUlSR_E_NS1_11comp_targetILNS1_3genE10ELNS1_11target_archE1201ELNS1_3gpuE5ELNS1_3repE0EEENS1_30default_config_static_selectorELNS0_4arch9wavefront6targetE0EEEvT1_
; %bb.0:
	.section	.rodata,"a",@progbits
	.p2align	6, 0x0
	.amdhsa_kernel _ZN7rocprim17ROCPRIM_400000_NS6detail17trampoline_kernelINS0_14default_configENS1_27scan_by_key_config_selectorIiiEEZZNS1_16scan_by_key_implILNS1_25lookback_scan_determinismE0ELb1ES3_N6thrust23THRUST_200600_302600_NS10device_ptrIiEESB_SB_iNS9_4plusIvEENS9_8equal_toIvEEiEE10hipError_tPvRmT2_T3_T4_T5_mT6_T7_P12ihipStream_tbENKUlT_T0_E_clISt17integral_constantIbLb0EESW_EEDaSR_SS_EUlSR_E_NS1_11comp_targetILNS1_3genE10ELNS1_11target_archE1201ELNS1_3gpuE5ELNS1_3repE0EEENS1_30default_config_static_selectorELNS0_4arch9wavefront6targetE0EEEvT1_
		.amdhsa_group_segment_fixed_size 0
		.amdhsa_private_segment_fixed_size 0
		.amdhsa_kernarg_size 112
		.amdhsa_user_sgpr_count 6
		.amdhsa_user_sgpr_private_segment_buffer 1
		.amdhsa_user_sgpr_dispatch_ptr 0
		.amdhsa_user_sgpr_queue_ptr 0
		.amdhsa_user_sgpr_kernarg_segment_ptr 1
		.amdhsa_user_sgpr_dispatch_id 0
		.amdhsa_user_sgpr_flat_scratch_init 0
		.amdhsa_user_sgpr_private_segment_size 0
		.amdhsa_wavefront_size32 1
		.amdhsa_uses_dynamic_stack 0
		.amdhsa_system_sgpr_private_segment_wavefront_offset 0
		.amdhsa_system_sgpr_workgroup_id_x 1
		.amdhsa_system_sgpr_workgroup_id_y 0
		.amdhsa_system_sgpr_workgroup_id_z 0
		.amdhsa_system_sgpr_workgroup_info 0
		.amdhsa_system_vgpr_workitem_id 0
		.amdhsa_next_free_vgpr 1
		.amdhsa_next_free_sgpr 1
		.amdhsa_reserve_vcc 0
		.amdhsa_reserve_flat_scratch 0
		.amdhsa_float_round_mode_32 0
		.amdhsa_float_round_mode_16_64 0
		.amdhsa_float_denorm_mode_32 3
		.amdhsa_float_denorm_mode_16_64 3
		.amdhsa_dx10_clamp 1
		.amdhsa_ieee_mode 1
		.amdhsa_fp16_overflow 0
		.amdhsa_workgroup_processor_mode 1
		.amdhsa_memory_ordered 1
		.amdhsa_forward_progress 1
		.amdhsa_shared_vgpr_count 0
		.amdhsa_exception_fp_ieee_invalid_op 0
		.amdhsa_exception_fp_denorm_src 0
		.amdhsa_exception_fp_ieee_div_zero 0
		.amdhsa_exception_fp_ieee_overflow 0
		.amdhsa_exception_fp_ieee_underflow 0
		.amdhsa_exception_fp_ieee_inexact 0
		.amdhsa_exception_int_div_zero 0
	.end_amdhsa_kernel
	.section	.text._ZN7rocprim17ROCPRIM_400000_NS6detail17trampoline_kernelINS0_14default_configENS1_27scan_by_key_config_selectorIiiEEZZNS1_16scan_by_key_implILNS1_25lookback_scan_determinismE0ELb1ES3_N6thrust23THRUST_200600_302600_NS10device_ptrIiEESB_SB_iNS9_4plusIvEENS9_8equal_toIvEEiEE10hipError_tPvRmT2_T3_T4_T5_mT6_T7_P12ihipStream_tbENKUlT_T0_E_clISt17integral_constantIbLb0EESW_EEDaSR_SS_EUlSR_E_NS1_11comp_targetILNS1_3genE10ELNS1_11target_archE1201ELNS1_3gpuE5ELNS1_3repE0EEENS1_30default_config_static_selectorELNS0_4arch9wavefront6targetE0EEEvT1_,"axG",@progbits,_ZN7rocprim17ROCPRIM_400000_NS6detail17trampoline_kernelINS0_14default_configENS1_27scan_by_key_config_selectorIiiEEZZNS1_16scan_by_key_implILNS1_25lookback_scan_determinismE0ELb1ES3_N6thrust23THRUST_200600_302600_NS10device_ptrIiEESB_SB_iNS9_4plusIvEENS9_8equal_toIvEEiEE10hipError_tPvRmT2_T3_T4_T5_mT6_T7_P12ihipStream_tbENKUlT_T0_E_clISt17integral_constantIbLb0EESW_EEDaSR_SS_EUlSR_E_NS1_11comp_targetILNS1_3genE10ELNS1_11target_archE1201ELNS1_3gpuE5ELNS1_3repE0EEENS1_30default_config_static_selectorELNS0_4arch9wavefront6targetE0EEEvT1_,comdat
.Lfunc_end2234:
	.size	_ZN7rocprim17ROCPRIM_400000_NS6detail17trampoline_kernelINS0_14default_configENS1_27scan_by_key_config_selectorIiiEEZZNS1_16scan_by_key_implILNS1_25lookback_scan_determinismE0ELb1ES3_N6thrust23THRUST_200600_302600_NS10device_ptrIiEESB_SB_iNS9_4plusIvEENS9_8equal_toIvEEiEE10hipError_tPvRmT2_T3_T4_T5_mT6_T7_P12ihipStream_tbENKUlT_T0_E_clISt17integral_constantIbLb0EESW_EEDaSR_SS_EUlSR_E_NS1_11comp_targetILNS1_3genE10ELNS1_11target_archE1201ELNS1_3gpuE5ELNS1_3repE0EEENS1_30default_config_static_selectorELNS0_4arch9wavefront6targetE0EEEvT1_, .Lfunc_end2234-_ZN7rocprim17ROCPRIM_400000_NS6detail17trampoline_kernelINS0_14default_configENS1_27scan_by_key_config_selectorIiiEEZZNS1_16scan_by_key_implILNS1_25lookback_scan_determinismE0ELb1ES3_N6thrust23THRUST_200600_302600_NS10device_ptrIiEESB_SB_iNS9_4plusIvEENS9_8equal_toIvEEiEE10hipError_tPvRmT2_T3_T4_T5_mT6_T7_P12ihipStream_tbENKUlT_T0_E_clISt17integral_constantIbLb0EESW_EEDaSR_SS_EUlSR_E_NS1_11comp_targetILNS1_3genE10ELNS1_11target_archE1201ELNS1_3gpuE5ELNS1_3repE0EEENS1_30default_config_static_selectorELNS0_4arch9wavefront6targetE0EEEvT1_
                                        ; -- End function
	.set _ZN7rocprim17ROCPRIM_400000_NS6detail17trampoline_kernelINS0_14default_configENS1_27scan_by_key_config_selectorIiiEEZZNS1_16scan_by_key_implILNS1_25lookback_scan_determinismE0ELb1ES3_N6thrust23THRUST_200600_302600_NS10device_ptrIiEESB_SB_iNS9_4plusIvEENS9_8equal_toIvEEiEE10hipError_tPvRmT2_T3_T4_T5_mT6_T7_P12ihipStream_tbENKUlT_T0_E_clISt17integral_constantIbLb0EESW_EEDaSR_SS_EUlSR_E_NS1_11comp_targetILNS1_3genE10ELNS1_11target_archE1201ELNS1_3gpuE5ELNS1_3repE0EEENS1_30default_config_static_selectorELNS0_4arch9wavefront6targetE0EEEvT1_.num_vgpr, 0
	.set _ZN7rocprim17ROCPRIM_400000_NS6detail17trampoline_kernelINS0_14default_configENS1_27scan_by_key_config_selectorIiiEEZZNS1_16scan_by_key_implILNS1_25lookback_scan_determinismE0ELb1ES3_N6thrust23THRUST_200600_302600_NS10device_ptrIiEESB_SB_iNS9_4plusIvEENS9_8equal_toIvEEiEE10hipError_tPvRmT2_T3_T4_T5_mT6_T7_P12ihipStream_tbENKUlT_T0_E_clISt17integral_constantIbLb0EESW_EEDaSR_SS_EUlSR_E_NS1_11comp_targetILNS1_3genE10ELNS1_11target_archE1201ELNS1_3gpuE5ELNS1_3repE0EEENS1_30default_config_static_selectorELNS0_4arch9wavefront6targetE0EEEvT1_.num_agpr, 0
	.set _ZN7rocprim17ROCPRIM_400000_NS6detail17trampoline_kernelINS0_14default_configENS1_27scan_by_key_config_selectorIiiEEZZNS1_16scan_by_key_implILNS1_25lookback_scan_determinismE0ELb1ES3_N6thrust23THRUST_200600_302600_NS10device_ptrIiEESB_SB_iNS9_4plusIvEENS9_8equal_toIvEEiEE10hipError_tPvRmT2_T3_T4_T5_mT6_T7_P12ihipStream_tbENKUlT_T0_E_clISt17integral_constantIbLb0EESW_EEDaSR_SS_EUlSR_E_NS1_11comp_targetILNS1_3genE10ELNS1_11target_archE1201ELNS1_3gpuE5ELNS1_3repE0EEENS1_30default_config_static_selectorELNS0_4arch9wavefront6targetE0EEEvT1_.numbered_sgpr, 0
	.set _ZN7rocprim17ROCPRIM_400000_NS6detail17trampoline_kernelINS0_14default_configENS1_27scan_by_key_config_selectorIiiEEZZNS1_16scan_by_key_implILNS1_25lookback_scan_determinismE0ELb1ES3_N6thrust23THRUST_200600_302600_NS10device_ptrIiEESB_SB_iNS9_4plusIvEENS9_8equal_toIvEEiEE10hipError_tPvRmT2_T3_T4_T5_mT6_T7_P12ihipStream_tbENKUlT_T0_E_clISt17integral_constantIbLb0EESW_EEDaSR_SS_EUlSR_E_NS1_11comp_targetILNS1_3genE10ELNS1_11target_archE1201ELNS1_3gpuE5ELNS1_3repE0EEENS1_30default_config_static_selectorELNS0_4arch9wavefront6targetE0EEEvT1_.num_named_barrier, 0
	.set _ZN7rocprim17ROCPRIM_400000_NS6detail17trampoline_kernelINS0_14default_configENS1_27scan_by_key_config_selectorIiiEEZZNS1_16scan_by_key_implILNS1_25lookback_scan_determinismE0ELb1ES3_N6thrust23THRUST_200600_302600_NS10device_ptrIiEESB_SB_iNS9_4plusIvEENS9_8equal_toIvEEiEE10hipError_tPvRmT2_T3_T4_T5_mT6_T7_P12ihipStream_tbENKUlT_T0_E_clISt17integral_constantIbLb0EESW_EEDaSR_SS_EUlSR_E_NS1_11comp_targetILNS1_3genE10ELNS1_11target_archE1201ELNS1_3gpuE5ELNS1_3repE0EEENS1_30default_config_static_selectorELNS0_4arch9wavefront6targetE0EEEvT1_.private_seg_size, 0
	.set _ZN7rocprim17ROCPRIM_400000_NS6detail17trampoline_kernelINS0_14default_configENS1_27scan_by_key_config_selectorIiiEEZZNS1_16scan_by_key_implILNS1_25lookback_scan_determinismE0ELb1ES3_N6thrust23THRUST_200600_302600_NS10device_ptrIiEESB_SB_iNS9_4plusIvEENS9_8equal_toIvEEiEE10hipError_tPvRmT2_T3_T4_T5_mT6_T7_P12ihipStream_tbENKUlT_T0_E_clISt17integral_constantIbLb0EESW_EEDaSR_SS_EUlSR_E_NS1_11comp_targetILNS1_3genE10ELNS1_11target_archE1201ELNS1_3gpuE5ELNS1_3repE0EEENS1_30default_config_static_selectorELNS0_4arch9wavefront6targetE0EEEvT1_.uses_vcc, 0
	.set _ZN7rocprim17ROCPRIM_400000_NS6detail17trampoline_kernelINS0_14default_configENS1_27scan_by_key_config_selectorIiiEEZZNS1_16scan_by_key_implILNS1_25lookback_scan_determinismE0ELb1ES3_N6thrust23THRUST_200600_302600_NS10device_ptrIiEESB_SB_iNS9_4plusIvEENS9_8equal_toIvEEiEE10hipError_tPvRmT2_T3_T4_T5_mT6_T7_P12ihipStream_tbENKUlT_T0_E_clISt17integral_constantIbLb0EESW_EEDaSR_SS_EUlSR_E_NS1_11comp_targetILNS1_3genE10ELNS1_11target_archE1201ELNS1_3gpuE5ELNS1_3repE0EEENS1_30default_config_static_selectorELNS0_4arch9wavefront6targetE0EEEvT1_.uses_flat_scratch, 0
	.set _ZN7rocprim17ROCPRIM_400000_NS6detail17trampoline_kernelINS0_14default_configENS1_27scan_by_key_config_selectorIiiEEZZNS1_16scan_by_key_implILNS1_25lookback_scan_determinismE0ELb1ES3_N6thrust23THRUST_200600_302600_NS10device_ptrIiEESB_SB_iNS9_4plusIvEENS9_8equal_toIvEEiEE10hipError_tPvRmT2_T3_T4_T5_mT6_T7_P12ihipStream_tbENKUlT_T0_E_clISt17integral_constantIbLb0EESW_EEDaSR_SS_EUlSR_E_NS1_11comp_targetILNS1_3genE10ELNS1_11target_archE1201ELNS1_3gpuE5ELNS1_3repE0EEENS1_30default_config_static_selectorELNS0_4arch9wavefront6targetE0EEEvT1_.has_dyn_sized_stack, 0
	.set _ZN7rocprim17ROCPRIM_400000_NS6detail17trampoline_kernelINS0_14default_configENS1_27scan_by_key_config_selectorIiiEEZZNS1_16scan_by_key_implILNS1_25lookback_scan_determinismE0ELb1ES3_N6thrust23THRUST_200600_302600_NS10device_ptrIiEESB_SB_iNS9_4plusIvEENS9_8equal_toIvEEiEE10hipError_tPvRmT2_T3_T4_T5_mT6_T7_P12ihipStream_tbENKUlT_T0_E_clISt17integral_constantIbLb0EESW_EEDaSR_SS_EUlSR_E_NS1_11comp_targetILNS1_3genE10ELNS1_11target_archE1201ELNS1_3gpuE5ELNS1_3repE0EEENS1_30default_config_static_selectorELNS0_4arch9wavefront6targetE0EEEvT1_.has_recursion, 0
	.set _ZN7rocprim17ROCPRIM_400000_NS6detail17trampoline_kernelINS0_14default_configENS1_27scan_by_key_config_selectorIiiEEZZNS1_16scan_by_key_implILNS1_25lookback_scan_determinismE0ELb1ES3_N6thrust23THRUST_200600_302600_NS10device_ptrIiEESB_SB_iNS9_4plusIvEENS9_8equal_toIvEEiEE10hipError_tPvRmT2_T3_T4_T5_mT6_T7_P12ihipStream_tbENKUlT_T0_E_clISt17integral_constantIbLb0EESW_EEDaSR_SS_EUlSR_E_NS1_11comp_targetILNS1_3genE10ELNS1_11target_archE1201ELNS1_3gpuE5ELNS1_3repE0EEENS1_30default_config_static_selectorELNS0_4arch9wavefront6targetE0EEEvT1_.has_indirect_call, 0
	.section	.AMDGPU.csdata,"",@progbits
; Kernel info:
; codeLenInByte = 0
; TotalNumSgprs: 0
; NumVgprs: 0
; ScratchSize: 0
; MemoryBound: 0
; FloatMode: 240
; IeeeMode: 1
; LDSByteSize: 0 bytes/workgroup (compile time only)
; SGPRBlocks: 0
; VGPRBlocks: 0
; NumSGPRsForWavesPerEU: 1
; NumVGPRsForWavesPerEU: 1
; Occupancy: 16
; WaveLimiterHint : 0
; COMPUTE_PGM_RSRC2:SCRATCH_EN: 0
; COMPUTE_PGM_RSRC2:USER_SGPR: 6
; COMPUTE_PGM_RSRC2:TRAP_HANDLER: 0
; COMPUTE_PGM_RSRC2:TGID_X_EN: 1
; COMPUTE_PGM_RSRC2:TGID_Y_EN: 0
; COMPUTE_PGM_RSRC2:TGID_Z_EN: 0
; COMPUTE_PGM_RSRC2:TIDIG_COMP_CNT: 0
	.section	.text._ZN7rocprim17ROCPRIM_400000_NS6detail17trampoline_kernelINS0_14default_configENS1_27scan_by_key_config_selectorIiiEEZZNS1_16scan_by_key_implILNS1_25lookback_scan_determinismE0ELb1ES3_N6thrust23THRUST_200600_302600_NS10device_ptrIiEESB_SB_iNS9_4plusIvEENS9_8equal_toIvEEiEE10hipError_tPvRmT2_T3_T4_T5_mT6_T7_P12ihipStream_tbENKUlT_T0_E_clISt17integral_constantIbLb0EESW_EEDaSR_SS_EUlSR_E_NS1_11comp_targetILNS1_3genE5ELNS1_11target_archE942ELNS1_3gpuE9ELNS1_3repE0EEENS1_30default_config_static_selectorELNS0_4arch9wavefront6targetE0EEEvT1_,"axG",@progbits,_ZN7rocprim17ROCPRIM_400000_NS6detail17trampoline_kernelINS0_14default_configENS1_27scan_by_key_config_selectorIiiEEZZNS1_16scan_by_key_implILNS1_25lookback_scan_determinismE0ELb1ES3_N6thrust23THRUST_200600_302600_NS10device_ptrIiEESB_SB_iNS9_4plusIvEENS9_8equal_toIvEEiEE10hipError_tPvRmT2_T3_T4_T5_mT6_T7_P12ihipStream_tbENKUlT_T0_E_clISt17integral_constantIbLb0EESW_EEDaSR_SS_EUlSR_E_NS1_11comp_targetILNS1_3genE5ELNS1_11target_archE942ELNS1_3gpuE9ELNS1_3repE0EEENS1_30default_config_static_selectorELNS0_4arch9wavefront6targetE0EEEvT1_,comdat
	.protected	_ZN7rocprim17ROCPRIM_400000_NS6detail17trampoline_kernelINS0_14default_configENS1_27scan_by_key_config_selectorIiiEEZZNS1_16scan_by_key_implILNS1_25lookback_scan_determinismE0ELb1ES3_N6thrust23THRUST_200600_302600_NS10device_ptrIiEESB_SB_iNS9_4plusIvEENS9_8equal_toIvEEiEE10hipError_tPvRmT2_T3_T4_T5_mT6_T7_P12ihipStream_tbENKUlT_T0_E_clISt17integral_constantIbLb0EESW_EEDaSR_SS_EUlSR_E_NS1_11comp_targetILNS1_3genE5ELNS1_11target_archE942ELNS1_3gpuE9ELNS1_3repE0EEENS1_30default_config_static_selectorELNS0_4arch9wavefront6targetE0EEEvT1_ ; -- Begin function _ZN7rocprim17ROCPRIM_400000_NS6detail17trampoline_kernelINS0_14default_configENS1_27scan_by_key_config_selectorIiiEEZZNS1_16scan_by_key_implILNS1_25lookback_scan_determinismE0ELb1ES3_N6thrust23THRUST_200600_302600_NS10device_ptrIiEESB_SB_iNS9_4plusIvEENS9_8equal_toIvEEiEE10hipError_tPvRmT2_T3_T4_T5_mT6_T7_P12ihipStream_tbENKUlT_T0_E_clISt17integral_constantIbLb0EESW_EEDaSR_SS_EUlSR_E_NS1_11comp_targetILNS1_3genE5ELNS1_11target_archE942ELNS1_3gpuE9ELNS1_3repE0EEENS1_30default_config_static_selectorELNS0_4arch9wavefront6targetE0EEEvT1_
	.globl	_ZN7rocprim17ROCPRIM_400000_NS6detail17trampoline_kernelINS0_14default_configENS1_27scan_by_key_config_selectorIiiEEZZNS1_16scan_by_key_implILNS1_25lookback_scan_determinismE0ELb1ES3_N6thrust23THRUST_200600_302600_NS10device_ptrIiEESB_SB_iNS9_4plusIvEENS9_8equal_toIvEEiEE10hipError_tPvRmT2_T3_T4_T5_mT6_T7_P12ihipStream_tbENKUlT_T0_E_clISt17integral_constantIbLb0EESW_EEDaSR_SS_EUlSR_E_NS1_11comp_targetILNS1_3genE5ELNS1_11target_archE942ELNS1_3gpuE9ELNS1_3repE0EEENS1_30default_config_static_selectorELNS0_4arch9wavefront6targetE0EEEvT1_
	.p2align	8
	.type	_ZN7rocprim17ROCPRIM_400000_NS6detail17trampoline_kernelINS0_14default_configENS1_27scan_by_key_config_selectorIiiEEZZNS1_16scan_by_key_implILNS1_25lookback_scan_determinismE0ELb1ES3_N6thrust23THRUST_200600_302600_NS10device_ptrIiEESB_SB_iNS9_4plusIvEENS9_8equal_toIvEEiEE10hipError_tPvRmT2_T3_T4_T5_mT6_T7_P12ihipStream_tbENKUlT_T0_E_clISt17integral_constantIbLb0EESW_EEDaSR_SS_EUlSR_E_NS1_11comp_targetILNS1_3genE5ELNS1_11target_archE942ELNS1_3gpuE9ELNS1_3repE0EEENS1_30default_config_static_selectorELNS0_4arch9wavefront6targetE0EEEvT1_,@function
_ZN7rocprim17ROCPRIM_400000_NS6detail17trampoline_kernelINS0_14default_configENS1_27scan_by_key_config_selectorIiiEEZZNS1_16scan_by_key_implILNS1_25lookback_scan_determinismE0ELb1ES3_N6thrust23THRUST_200600_302600_NS10device_ptrIiEESB_SB_iNS9_4plusIvEENS9_8equal_toIvEEiEE10hipError_tPvRmT2_T3_T4_T5_mT6_T7_P12ihipStream_tbENKUlT_T0_E_clISt17integral_constantIbLb0EESW_EEDaSR_SS_EUlSR_E_NS1_11comp_targetILNS1_3genE5ELNS1_11target_archE942ELNS1_3gpuE9ELNS1_3repE0EEENS1_30default_config_static_selectorELNS0_4arch9wavefront6targetE0EEEvT1_: ; @_ZN7rocprim17ROCPRIM_400000_NS6detail17trampoline_kernelINS0_14default_configENS1_27scan_by_key_config_selectorIiiEEZZNS1_16scan_by_key_implILNS1_25lookback_scan_determinismE0ELb1ES3_N6thrust23THRUST_200600_302600_NS10device_ptrIiEESB_SB_iNS9_4plusIvEENS9_8equal_toIvEEiEE10hipError_tPvRmT2_T3_T4_T5_mT6_T7_P12ihipStream_tbENKUlT_T0_E_clISt17integral_constantIbLb0EESW_EEDaSR_SS_EUlSR_E_NS1_11comp_targetILNS1_3genE5ELNS1_11target_archE942ELNS1_3gpuE9ELNS1_3repE0EEENS1_30default_config_static_selectorELNS0_4arch9wavefront6targetE0EEEvT1_
; %bb.0:
	.section	.rodata,"a",@progbits
	.p2align	6, 0x0
	.amdhsa_kernel _ZN7rocprim17ROCPRIM_400000_NS6detail17trampoline_kernelINS0_14default_configENS1_27scan_by_key_config_selectorIiiEEZZNS1_16scan_by_key_implILNS1_25lookback_scan_determinismE0ELb1ES3_N6thrust23THRUST_200600_302600_NS10device_ptrIiEESB_SB_iNS9_4plusIvEENS9_8equal_toIvEEiEE10hipError_tPvRmT2_T3_T4_T5_mT6_T7_P12ihipStream_tbENKUlT_T0_E_clISt17integral_constantIbLb0EESW_EEDaSR_SS_EUlSR_E_NS1_11comp_targetILNS1_3genE5ELNS1_11target_archE942ELNS1_3gpuE9ELNS1_3repE0EEENS1_30default_config_static_selectorELNS0_4arch9wavefront6targetE0EEEvT1_
		.amdhsa_group_segment_fixed_size 0
		.amdhsa_private_segment_fixed_size 0
		.amdhsa_kernarg_size 112
		.amdhsa_user_sgpr_count 6
		.amdhsa_user_sgpr_private_segment_buffer 1
		.amdhsa_user_sgpr_dispatch_ptr 0
		.amdhsa_user_sgpr_queue_ptr 0
		.amdhsa_user_sgpr_kernarg_segment_ptr 1
		.amdhsa_user_sgpr_dispatch_id 0
		.amdhsa_user_sgpr_flat_scratch_init 0
		.amdhsa_user_sgpr_private_segment_size 0
		.amdhsa_wavefront_size32 1
		.amdhsa_uses_dynamic_stack 0
		.amdhsa_system_sgpr_private_segment_wavefront_offset 0
		.amdhsa_system_sgpr_workgroup_id_x 1
		.amdhsa_system_sgpr_workgroup_id_y 0
		.amdhsa_system_sgpr_workgroup_id_z 0
		.amdhsa_system_sgpr_workgroup_info 0
		.amdhsa_system_vgpr_workitem_id 0
		.amdhsa_next_free_vgpr 1
		.amdhsa_next_free_sgpr 1
		.amdhsa_reserve_vcc 0
		.amdhsa_reserve_flat_scratch 0
		.amdhsa_float_round_mode_32 0
		.amdhsa_float_round_mode_16_64 0
		.amdhsa_float_denorm_mode_32 3
		.amdhsa_float_denorm_mode_16_64 3
		.amdhsa_dx10_clamp 1
		.amdhsa_ieee_mode 1
		.amdhsa_fp16_overflow 0
		.amdhsa_workgroup_processor_mode 1
		.amdhsa_memory_ordered 1
		.amdhsa_forward_progress 1
		.amdhsa_shared_vgpr_count 0
		.amdhsa_exception_fp_ieee_invalid_op 0
		.amdhsa_exception_fp_denorm_src 0
		.amdhsa_exception_fp_ieee_div_zero 0
		.amdhsa_exception_fp_ieee_overflow 0
		.amdhsa_exception_fp_ieee_underflow 0
		.amdhsa_exception_fp_ieee_inexact 0
		.amdhsa_exception_int_div_zero 0
	.end_amdhsa_kernel
	.section	.text._ZN7rocprim17ROCPRIM_400000_NS6detail17trampoline_kernelINS0_14default_configENS1_27scan_by_key_config_selectorIiiEEZZNS1_16scan_by_key_implILNS1_25lookback_scan_determinismE0ELb1ES3_N6thrust23THRUST_200600_302600_NS10device_ptrIiEESB_SB_iNS9_4plusIvEENS9_8equal_toIvEEiEE10hipError_tPvRmT2_T3_T4_T5_mT6_T7_P12ihipStream_tbENKUlT_T0_E_clISt17integral_constantIbLb0EESW_EEDaSR_SS_EUlSR_E_NS1_11comp_targetILNS1_3genE5ELNS1_11target_archE942ELNS1_3gpuE9ELNS1_3repE0EEENS1_30default_config_static_selectorELNS0_4arch9wavefront6targetE0EEEvT1_,"axG",@progbits,_ZN7rocprim17ROCPRIM_400000_NS6detail17trampoline_kernelINS0_14default_configENS1_27scan_by_key_config_selectorIiiEEZZNS1_16scan_by_key_implILNS1_25lookback_scan_determinismE0ELb1ES3_N6thrust23THRUST_200600_302600_NS10device_ptrIiEESB_SB_iNS9_4plusIvEENS9_8equal_toIvEEiEE10hipError_tPvRmT2_T3_T4_T5_mT6_T7_P12ihipStream_tbENKUlT_T0_E_clISt17integral_constantIbLb0EESW_EEDaSR_SS_EUlSR_E_NS1_11comp_targetILNS1_3genE5ELNS1_11target_archE942ELNS1_3gpuE9ELNS1_3repE0EEENS1_30default_config_static_selectorELNS0_4arch9wavefront6targetE0EEEvT1_,comdat
.Lfunc_end2235:
	.size	_ZN7rocprim17ROCPRIM_400000_NS6detail17trampoline_kernelINS0_14default_configENS1_27scan_by_key_config_selectorIiiEEZZNS1_16scan_by_key_implILNS1_25lookback_scan_determinismE0ELb1ES3_N6thrust23THRUST_200600_302600_NS10device_ptrIiEESB_SB_iNS9_4plusIvEENS9_8equal_toIvEEiEE10hipError_tPvRmT2_T3_T4_T5_mT6_T7_P12ihipStream_tbENKUlT_T0_E_clISt17integral_constantIbLb0EESW_EEDaSR_SS_EUlSR_E_NS1_11comp_targetILNS1_3genE5ELNS1_11target_archE942ELNS1_3gpuE9ELNS1_3repE0EEENS1_30default_config_static_selectorELNS0_4arch9wavefront6targetE0EEEvT1_, .Lfunc_end2235-_ZN7rocprim17ROCPRIM_400000_NS6detail17trampoline_kernelINS0_14default_configENS1_27scan_by_key_config_selectorIiiEEZZNS1_16scan_by_key_implILNS1_25lookback_scan_determinismE0ELb1ES3_N6thrust23THRUST_200600_302600_NS10device_ptrIiEESB_SB_iNS9_4plusIvEENS9_8equal_toIvEEiEE10hipError_tPvRmT2_T3_T4_T5_mT6_T7_P12ihipStream_tbENKUlT_T0_E_clISt17integral_constantIbLb0EESW_EEDaSR_SS_EUlSR_E_NS1_11comp_targetILNS1_3genE5ELNS1_11target_archE942ELNS1_3gpuE9ELNS1_3repE0EEENS1_30default_config_static_selectorELNS0_4arch9wavefront6targetE0EEEvT1_
                                        ; -- End function
	.set _ZN7rocprim17ROCPRIM_400000_NS6detail17trampoline_kernelINS0_14default_configENS1_27scan_by_key_config_selectorIiiEEZZNS1_16scan_by_key_implILNS1_25lookback_scan_determinismE0ELb1ES3_N6thrust23THRUST_200600_302600_NS10device_ptrIiEESB_SB_iNS9_4plusIvEENS9_8equal_toIvEEiEE10hipError_tPvRmT2_T3_T4_T5_mT6_T7_P12ihipStream_tbENKUlT_T0_E_clISt17integral_constantIbLb0EESW_EEDaSR_SS_EUlSR_E_NS1_11comp_targetILNS1_3genE5ELNS1_11target_archE942ELNS1_3gpuE9ELNS1_3repE0EEENS1_30default_config_static_selectorELNS0_4arch9wavefront6targetE0EEEvT1_.num_vgpr, 0
	.set _ZN7rocprim17ROCPRIM_400000_NS6detail17trampoline_kernelINS0_14default_configENS1_27scan_by_key_config_selectorIiiEEZZNS1_16scan_by_key_implILNS1_25lookback_scan_determinismE0ELb1ES3_N6thrust23THRUST_200600_302600_NS10device_ptrIiEESB_SB_iNS9_4plusIvEENS9_8equal_toIvEEiEE10hipError_tPvRmT2_T3_T4_T5_mT6_T7_P12ihipStream_tbENKUlT_T0_E_clISt17integral_constantIbLb0EESW_EEDaSR_SS_EUlSR_E_NS1_11comp_targetILNS1_3genE5ELNS1_11target_archE942ELNS1_3gpuE9ELNS1_3repE0EEENS1_30default_config_static_selectorELNS0_4arch9wavefront6targetE0EEEvT1_.num_agpr, 0
	.set _ZN7rocprim17ROCPRIM_400000_NS6detail17trampoline_kernelINS0_14default_configENS1_27scan_by_key_config_selectorIiiEEZZNS1_16scan_by_key_implILNS1_25lookback_scan_determinismE0ELb1ES3_N6thrust23THRUST_200600_302600_NS10device_ptrIiEESB_SB_iNS9_4plusIvEENS9_8equal_toIvEEiEE10hipError_tPvRmT2_T3_T4_T5_mT6_T7_P12ihipStream_tbENKUlT_T0_E_clISt17integral_constantIbLb0EESW_EEDaSR_SS_EUlSR_E_NS1_11comp_targetILNS1_3genE5ELNS1_11target_archE942ELNS1_3gpuE9ELNS1_3repE0EEENS1_30default_config_static_selectorELNS0_4arch9wavefront6targetE0EEEvT1_.numbered_sgpr, 0
	.set _ZN7rocprim17ROCPRIM_400000_NS6detail17trampoline_kernelINS0_14default_configENS1_27scan_by_key_config_selectorIiiEEZZNS1_16scan_by_key_implILNS1_25lookback_scan_determinismE0ELb1ES3_N6thrust23THRUST_200600_302600_NS10device_ptrIiEESB_SB_iNS9_4plusIvEENS9_8equal_toIvEEiEE10hipError_tPvRmT2_T3_T4_T5_mT6_T7_P12ihipStream_tbENKUlT_T0_E_clISt17integral_constantIbLb0EESW_EEDaSR_SS_EUlSR_E_NS1_11comp_targetILNS1_3genE5ELNS1_11target_archE942ELNS1_3gpuE9ELNS1_3repE0EEENS1_30default_config_static_selectorELNS0_4arch9wavefront6targetE0EEEvT1_.num_named_barrier, 0
	.set _ZN7rocprim17ROCPRIM_400000_NS6detail17trampoline_kernelINS0_14default_configENS1_27scan_by_key_config_selectorIiiEEZZNS1_16scan_by_key_implILNS1_25lookback_scan_determinismE0ELb1ES3_N6thrust23THRUST_200600_302600_NS10device_ptrIiEESB_SB_iNS9_4plusIvEENS9_8equal_toIvEEiEE10hipError_tPvRmT2_T3_T4_T5_mT6_T7_P12ihipStream_tbENKUlT_T0_E_clISt17integral_constantIbLb0EESW_EEDaSR_SS_EUlSR_E_NS1_11comp_targetILNS1_3genE5ELNS1_11target_archE942ELNS1_3gpuE9ELNS1_3repE0EEENS1_30default_config_static_selectorELNS0_4arch9wavefront6targetE0EEEvT1_.private_seg_size, 0
	.set _ZN7rocprim17ROCPRIM_400000_NS6detail17trampoline_kernelINS0_14default_configENS1_27scan_by_key_config_selectorIiiEEZZNS1_16scan_by_key_implILNS1_25lookback_scan_determinismE0ELb1ES3_N6thrust23THRUST_200600_302600_NS10device_ptrIiEESB_SB_iNS9_4plusIvEENS9_8equal_toIvEEiEE10hipError_tPvRmT2_T3_T4_T5_mT6_T7_P12ihipStream_tbENKUlT_T0_E_clISt17integral_constantIbLb0EESW_EEDaSR_SS_EUlSR_E_NS1_11comp_targetILNS1_3genE5ELNS1_11target_archE942ELNS1_3gpuE9ELNS1_3repE0EEENS1_30default_config_static_selectorELNS0_4arch9wavefront6targetE0EEEvT1_.uses_vcc, 0
	.set _ZN7rocprim17ROCPRIM_400000_NS6detail17trampoline_kernelINS0_14default_configENS1_27scan_by_key_config_selectorIiiEEZZNS1_16scan_by_key_implILNS1_25lookback_scan_determinismE0ELb1ES3_N6thrust23THRUST_200600_302600_NS10device_ptrIiEESB_SB_iNS9_4plusIvEENS9_8equal_toIvEEiEE10hipError_tPvRmT2_T3_T4_T5_mT6_T7_P12ihipStream_tbENKUlT_T0_E_clISt17integral_constantIbLb0EESW_EEDaSR_SS_EUlSR_E_NS1_11comp_targetILNS1_3genE5ELNS1_11target_archE942ELNS1_3gpuE9ELNS1_3repE0EEENS1_30default_config_static_selectorELNS0_4arch9wavefront6targetE0EEEvT1_.uses_flat_scratch, 0
	.set _ZN7rocprim17ROCPRIM_400000_NS6detail17trampoline_kernelINS0_14default_configENS1_27scan_by_key_config_selectorIiiEEZZNS1_16scan_by_key_implILNS1_25lookback_scan_determinismE0ELb1ES3_N6thrust23THRUST_200600_302600_NS10device_ptrIiEESB_SB_iNS9_4plusIvEENS9_8equal_toIvEEiEE10hipError_tPvRmT2_T3_T4_T5_mT6_T7_P12ihipStream_tbENKUlT_T0_E_clISt17integral_constantIbLb0EESW_EEDaSR_SS_EUlSR_E_NS1_11comp_targetILNS1_3genE5ELNS1_11target_archE942ELNS1_3gpuE9ELNS1_3repE0EEENS1_30default_config_static_selectorELNS0_4arch9wavefront6targetE0EEEvT1_.has_dyn_sized_stack, 0
	.set _ZN7rocprim17ROCPRIM_400000_NS6detail17trampoline_kernelINS0_14default_configENS1_27scan_by_key_config_selectorIiiEEZZNS1_16scan_by_key_implILNS1_25lookback_scan_determinismE0ELb1ES3_N6thrust23THRUST_200600_302600_NS10device_ptrIiEESB_SB_iNS9_4plusIvEENS9_8equal_toIvEEiEE10hipError_tPvRmT2_T3_T4_T5_mT6_T7_P12ihipStream_tbENKUlT_T0_E_clISt17integral_constantIbLb0EESW_EEDaSR_SS_EUlSR_E_NS1_11comp_targetILNS1_3genE5ELNS1_11target_archE942ELNS1_3gpuE9ELNS1_3repE0EEENS1_30default_config_static_selectorELNS0_4arch9wavefront6targetE0EEEvT1_.has_recursion, 0
	.set _ZN7rocprim17ROCPRIM_400000_NS6detail17trampoline_kernelINS0_14default_configENS1_27scan_by_key_config_selectorIiiEEZZNS1_16scan_by_key_implILNS1_25lookback_scan_determinismE0ELb1ES3_N6thrust23THRUST_200600_302600_NS10device_ptrIiEESB_SB_iNS9_4plusIvEENS9_8equal_toIvEEiEE10hipError_tPvRmT2_T3_T4_T5_mT6_T7_P12ihipStream_tbENKUlT_T0_E_clISt17integral_constantIbLb0EESW_EEDaSR_SS_EUlSR_E_NS1_11comp_targetILNS1_3genE5ELNS1_11target_archE942ELNS1_3gpuE9ELNS1_3repE0EEENS1_30default_config_static_selectorELNS0_4arch9wavefront6targetE0EEEvT1_.has_indirect_call, 0
	.section	.AMDGPU.csdata,"",@progbits
; Kernel info:
; codeLenInByte = 0
; TotalNumSgprs: 0
; NumVgprs: 0
; ScratchSize: 0
; MemoryBound: 0
; FloatMode: 240
; IeeeMode: 1
; LDSByteSize: 0 bytes/workgroup (compile time only)
; SGPRBlocks: 0
; VGPRBlocks: 0
; NumSGPRsForWavesPerEU: 1
; NumVGPRsForWavesPerEU: 1
; Occupancy: 16
; WaveLimiterHint : 0
; COMPUTE_PGM_RSRC2:SCRATCH_EN: 0
; COMPUTE_PGM_RSRC2:USER_SGPR: 6
; COMPUTE_PGM_RSRC2:TRAP_HANDLER: 0
; COMPUTE_PGM_RSRC2:TGID_X_EN: 1
; COMPUTE_PGM_RSRC2:TGID_Y_EN: 0
; COMPUTE_PGM_RSRC2:TGID_Z_EN: 0
; COMPUTE_PGM_RSRC2:TIDIG_COMP_CNT: 0
	.section	.text._ZN7rocprim17ROCPRIM_400000_NS6detail17trampoline_kernelINS0_14default_configENS1_27scan_by_key_config_selectorIiiEEZZNS1_16scan_by_key_implILNS1_25lookback_scan_determinismE0ELb1ES3_N6thrust23THRUST_200600_302600_NS10device_ptrIiEESB_SB_iNS9_4plusIvEENS9_8equal_toIvEEiEE10hipError_tPvRmT2_T3_T4_T5_mT6_T7_P12ihipStream_tbENKUlT_T0_E_clISt17integral_constantIbLb0EESW_EEDaSR_SS_EUlSR_E_NS1_11comp_targetILNS1_3genE4ELNS1_11target_archE910ELNS1_3gpuE8ELNS1_3repE0EEENS1_30default_config_static_selectorELNS0_4arch9wavefront6targetE0EEEvT1_,"axG",@progbits,_ZN7rocprim17ROCPRIM_400000_NS6detail17trampoline_kernelINS0_14default_configENS1_27scan_by_key_config_selectorIiiEEZZNS1_16scan_by_key_implILNS1_25lookback_scan_determinismE0ELb1ES3_N6thrust23THRUST_200600_302600_NS10device_ptrIiEESB_SB_iNS9_4plusIvEENS9_8equal_toIvEEiEE10hipError_tPvRmT2_T3_T4_T5_mT6_T7_P12ihipStream_tbENKUlT_T0_E_clISt17integral_constantIbLb0EESW_EEDaSR_SS_EUlSR_E_NS1_11comp_targetILNS1_3genE4ELNS1_11target_archE910ELNS1_3gpuE8ELNS1_3repE0EEENS1_30default_config_static_selectorELNS0_4arch9wavefront6targetE0EEEvT1_,comdat
	.protected	_ZN7rocprim17ROCPRIM_400000_NS6detail17trampoline_kernelINS0_14default_configENS1_27scan_by_key_config_selectorIiiEEZZNS1_16scan_by_key_implILNS1_25lookback_scan_determinismE0ELb1ES3_N6thrust23THRUST_200600_302600_NS10device_ptrIiEESB_SB_iNS9_4plusIvEENS9_8equal_toIvEEiEE10hipError_tPvRmT2_T3_T4_T5_mT6_T7_P12ihipStream_tbENKUlT_T0_E_clISt17integral_constantIbLb0EESW_EEDaSR_SS_EUlSR_E_NS1_11comp_targetILNS1_3genE4ELNS1_11target_archE910ELNS1_3gpuE8ELNS1_3repE0EEENS1_30default_config_static_selectorELNS0_4arch9wavefront6targetE0EEEvT1_ ; -- Begin function _ZN7rocprim17ROCPRIM_400000_NS6detail17trampoline_kernelINS0_14default_configENS1_27scan_by_key_config_selectorIiiEEZZNS1_16scan_by_key_implILNS1_25lookback_scan_determinismE0ELb1ES3_N6thrust23THRUST_200600_302600_NS10device_ptrIiEESB_SB_iNS9_4plusIvEENS9_8equal_toIvEEiEE10hipError_tPvRmT2_T3_T4_T5_mT6_T7_P12ihipStream_tbENKUlT_T0_E_clISt17integral_constantIbLb0EESW_EEDaSR_SS_EUlSR_E_NS1_11comp_targetILNS1_3genE4ELNS1_11target_archE910ELNS1_3gpuE8ELNS1_3repE0EEENS1_30default_config_static_selectorELNS0_4arch9wavefront6targetE0EEEvT1_
	.globl	_ZN7rocprim17ROCPRIM_400000_NS6detail17trampoline_kernelINS0_14default_configENS1_27scan_by_key_config_selectorIiiEEZZNS1_16scan_by_key_implILNS1_25lookback_scan_determinismE0ELb1ES3_N6thrust23THRUST_200600_302600_NS10device_ptrIiEESB_SB_iNS9_4plusIvEENS9_8equal_toIvEEiEE10hipError_tPvRmT2_T3_T4_T5_mT6_T7_P12ihipStream_tbENKUlT_T0_E_clISt17integral_constantIbLb0EESW_EEDaSR_SS_EUlSR_E_NS1_11comp_targetILNS1_3genE4ELNS1_11target_archE910ELNS1_3gpuE8ELNS1_3repE0EEENS1_30default_config_static_selectorELNS0_4arch9wavefront6targetE0EEEvT1_
	.p2align	8
	.type	_ZN7rocprim17ROCPRIM_400000_NS6detail17trampoline_kernelINS0_14default_configENS1_27scan_by_key_config_selectorIiiEEZZNS1_16scan_by_key_implILNS1_25lookback_scan_determinismE0ELb1ES3_N6thrust23THRUST_200600_302600_NS10device_ptrIiEESB_SB_iNS9_4plusIvEENS9_8equal_toIvEEiEE10hipError_tPvRmT2_T3_T4_T5_mT6_T7_P12ihipStream_tbENKUlT_T0_E_clISt17integral_constantIbLb0EESW_EEDaSR_SS_EUlSR_E_NS1_11comp_targetILNS1_3genE4ELNS1_11target_archE910ELNS1_3gpuE8ELNS1_3repE0EEENS1_30default_config_static_selectorELNS0_4arch9wavefront6targetE0EEEvT1_,@function
_ZN7rocprim17ROCPRIM_400000_NS6detail17trampoline_kernelINS0_14default_configENS1_27scan_by_key_config_selectorIiiEEZZNS1_16scan_by_key_implILNS1_25lookback_scan_determinismE0ELb1ES3_N6thrust23THRUST_200600_302600_NS10device_ptrIiEESB_SB_iNS9_4plusIvEENS9_8equal_toIvEEiEE10hipError_tPvRmT2_T3_T4_T5_mT6_T7_P12ihipStream_tbENKUlT_T0_E_clISt17integral_constantIbLb0EESW_EEDaSR_SS_EUlSR_E_NS1_11comp_targetILNS1_3genE4ELNS1_11target_archE910ELNS1_3gpuE8ELNS1_3repE0EEENS1_30default_config_static_selectorELNS0_4arch9wavefront6targetE0EEEvT1_: ; @_ZN7rocprim17ROCPRIM_400000_NS6detail17trampoline_kernelINS0_14default_configENS1_27scan_by_key_config_selectorIiiEEZZNS1_16scan_by_key_implILNS1_25lookback_scan_determinismE0ELb1ES3_N6thrust23THRUST_200600_302600_NS10device_ptrIiEESB_SB_iNS9_4plusIvEENS9_8equal_toIvEEiEE10hipError_tPvRmT2_T3_T4_T5_mT6_T7_P12ihipStream_tbENKUlT_T0_E_clISt17integral_constantIbLb0EESW_EEDaSR_SS_EUlSR_E_NS1_11comp_targetILNS1_3genE4ELNS1_11target_archE910ELNS1_3gpuE8ELNS1_3repE0EEENS1_30default_config_static_selectorELNS0_4arch9wavefront6targetE0EEEvT1_
; %bb.0:
	.section	.rodata,"a",@progbits
	.p2align	6, 0x0
	.amdhsa_kernel _ZN7rocprim17ROCPRIM_400000_NS6detail17trampoline_kernelINS0_14default_configENS1_27scan_by_key_config_selectorIiiEEZZNS1_16scan_by_key_implILNS1_25lookback_scan_determinismE0ELb1ES3_N6thrust23THRUST_200600_302600_NS10device_ptrIiEESB_SB_iNS9_4plusIvEENS9_8equal_toIvEEiEE10hipError_tPvRmT2_T3_T4_T5_mT6_T7_P12ihipStream_tbENKUlT_T0_E_clISt17integral_constantIbLb0EESW_EEDaSR_SS_EUlSR_E_NS1_11comp_targetILNS1_3genE4ELNS1_11target_archE910ELNS1_3gpuE8ELNS1_3repE0EEENS1_30default_config_static_selectorELNS0_4arch9wavefront6targetE0EEEvT1_
		.amdhsa_group_segment_fixed_size 0
		.amdhsa_private_segment_fixed_size 0
		.amdhsa_kernarg_size 112
		.amdhsa_user_sgpr_count 6
		.amdhsa_user_sgpr_private_segment_buffer 1
		.amdhsa_user_sgpr_dispatch_ptr 0
		.amdhsa_user_sgpr_queue_ptr 0
		.amdhsa_user_sgpr_kernarg_segment_ptr 1
		.amdhsa_user_sgpr_dispatch_id 0
		.amdhsa_user_sgpr_flat_scratch_init 0
		.amdhsa_user_sgpr_private_segment_size 0
		.amdhsa_wavefront_size32 1
		.amdhsa_uses_dynamic_stack 0
		.amdhsa_system_sgpr_private_segment_wavefront_offset 0
		.amdhsa_system_sgpr_workgroup_id_x 1
		.amdhsa_system_sgpr_workgroup_id_y 0
		.amdhsa_system_sgpr_workgroup_id_z 0
		.amdhsa_system_sgpr_workgroup_info 0
		.amdhsa_system_vgpr_workitem_id 0
		.amdhsa_next_free_vgpr 1
		.amdhsa_next_free_sgpr 1
		.amdhsa_reserve_vcc 0
		.amdhsa_reserve_flat_scratch 0
		.amdhsa_float_round_mode_32 0
		.amdhsa_float_round_mode_16_64 0
		.amdhsa_float_denorm_mode_32 3
		.amdhsa_float_denorm_mode_16_64 3
		.amdhsa_dx10_clamp 1
		.amdhsa_ieee_mode 1
		.amdhsa_fp16_overflow 0
		.amdhsa_workgroup_processor_mode 1
		.amdhsa_memory_ordered 1
		.amdhsa_forward_progress 1
		.amdhsa_shared_vgpr_count 0
		.amdhsa_exception_fp_ieee_invalid_op 0
		.amdhsa_exception_fp_denorm_src 0
		.amdhsa_exception_fp_ieee_div_zero 0
		.amdhsa_exception_fp_ieee_overflow 0
		.amdhsa_exception_fp_ieee_underflow 0
		.amdhsa_exception_fp_ieee_inexact 0
		.amdhsa_exception_int_div_zero 0
	.end_amdhsa_kernel
	.section	.text._ZN7rocprim17ROCPRIM_400000_NS6detail17trampoline_kernelINS0_14default_configENS1_27scan_by_key_config_selectorIiiEEZZNS1_16scan_by_key_implILNS1_25lookback_scan_determinismE0ELb1ES3_N6thrust23THRUST_200600_302600_NS10device_ptrIiEESB_SB_iNS9_4plusIvEENS9_8equal_toIvEEiEE10hipError_tPvRmT2_T3_T4_T5_mT6_T7_P12ihipStream_tbENKUlT_T0_E_clISt17integral_constantIbLb0EESW_EEDaSR_SS_EUlSR_E_NS1_11comp_targetILNS1_3genE4ELNS1_11target_archE910ELNS1_3gpuE8ELNS1_3repE0EEENS1_30default_config_static_selectorELNS0_4arch9wavefront6targetE0EEEvT1_,"axG",@progbits,_ZN7rocprim17ROCPRIM_400000_NS6detail17trampoline_kernelINS0_14default_configENS1_27scan_by_key_config_selectorIiiEEZZNS1_16scan_by_key_implILNS1_25lookback_scan_determinismE0ELb1ES3_N6thrust23THRUST_200600_302600_NS10device_ptrIiEESB_SB_iNS9_4plusIvEENS9_8equal_toIvEEiEE10hipError_tPvRmT2_T3_T4_T5_mT6_T7_P12ihipStream_tbENKUlT_T0_E_clISt17integral_constantIbLb0EESW_EEDaSR_SS_EUlSR_E_NS1_11comp_targetILNS1_3genE4ELNS1_11target_archE910ELNS1_3gpuE8ELNS1_3repE0EEENS1_30default_config_static_selectorELNS0_4arch9wavefront6targetE0EEEvT1_,comdat
.Lfunc_end2236:
	.size	_ZN7rocprim17ROCPRIM_400000_NS6detail17trampoline_kernelINS0_14default_configENS1_27scan_by_key_config_selectorIiiEEZZNS1_16scan_by_key_implILNS1_25lookback_scan_determinismE0ELb1ES3_N6thrust23THRUST_200600_302600_NS10device_ptrIiEESB_SB_iNS9_4plusIvEENS9_8equal_toIvEEiEE10hipError_tPvRmT2_T3_T4_T5_mT6_T7_P12ihipStream_tbENKUlT_T0_E_clISt17integral_constantIbLb0EESW_EEDaSR_SS_EUlSR_E_NS1_11comp_targetILNS1_3genE4ELNS1_11target_archE910ELNS1_3gpuE8ELNS1_3repE0EEENS1_30default_config_static_selectorELNS0_4arch9wavefront6targetE0EEEvT1_, .Lfunc_end2236-_ZN7rocprim17ROCPRIM_400000_NS6detail17trampoline_kernelINS0_14default_configENS1_27scan_by_key_config_selectorIiiEEZZNS1_16scan_by_key_implILNS1_25lookback_scan_determinismE0ELb1ES3_N6thrust23THRUST_200600_302600_NS10device_ptrIiEESB_SB_iNS9_4plusIvEENS9_8equal_toIvEEiEE10hipError_tPvRmT2_T3_T4_T5_mT6_T7_P12ihipStream_tbENKUlT_T0_E_clISt17integral_constantIbLb0EESW_EEDaSR_SS_EUlSR_E_NS1_11comp_targetILNS1_3genE4ELNS1_11target_archE910ELNS1_3gpuE8ELNS1_3repE0EEENS1_30default_config_static_selectorELNS0_4arch9wavefront6targetE0EEEvT1_
                                        ; -- End function
	.set _ZN7rocprim17ROCPRIM_400000_NS6detail17trampoline_kernelINS0_14default_configENS1_27scan_by_key_config_selectorIiiEEZZNS1_16scan_by_key_implILNS1_25lookback_scan_determinismE0ELb1ES3_N6thrust23THRUST_200600_302600_NS10device_ptrIiEESB_SB_iNS9_4plusIvEENS9_8equal_toIvEEiEE10hipError_tPvRmT2_T3_T4_T5_mT6_T7_P12ihipStream_tbENKUlT_T0_E_clISt17integral_constantIbLb0EESW_EEDaSR_SS_EUlSR_E_NS1_11comp_targetILNS1_3genE4ELNS1_11target_archE910ELNS1_3gpuE8ELNS1_3repE0EEENS1_30default_config_static_selectorELNS0_4arch9wavefront6targetE0EEEvT1_.num_vgpr, 0
	.set _ZN7rocprim17ROCPRIM_400000_NS6detail17trampoline_kernelINS0_14default_configENS1_27scan_by_key_config_selectorIiiEEZZNS1_16scan_by_key_implILNS1_25lookback_scan_determinismE0ELb1ES3_N6thrust23THRUST_200600_302600_NS10device_ptrIiEESB_SB_iNS9_4plusIvEENS9_8equal_toIvEEiEE10hipError_tPvRmT2_T3_T4_T5_mT6_T7_P12ihipStream_tbENKUlT_T0_E_clISt17integral_constantIbLb0EESW_EEDaSR_SS_EUlSR_E_NS1_11comp_targetILNS1_3genE4ELNS1_11target_archE910ELNS1_3gpuE8ELNS1_3repE0EEENS1_30default_config_static_selectorELNS0_4arch9wavefront6targetE0EEEvT1_.num_agpr, 0
	.set _ZN7rocprim17ROCPRIM_400000_NS6detail17trampoline_kernelINS0_14default_configENS1_27scan_by_key_config_selectorIiiEEZZNS1_16scan_by_key_implILNS1_25lookback_scan_determinismE0ELb1ES3_N6thrust23THRUST_200600_302600_NS10device_ptrIiEESB_SB_iNS9_4plusIvEENS9_8equal_toIvEEiEE10hipError_tPvRmT2_T3_T4_T5_mT6_T7_P12ihipStream_tbENKUlT_T0_E_clISt17integral_constantIbLb0EESW_EEDaSR_SS_EUlSR_E_NS1_11comp_targetILNS1_3genE4ELNS1_11target_archE910ELNS1_3gpuE8ELNS1_3repE0EEENS1_30default_config_static_selectorELNS0_4arch9wavefront6targetE0EEEvT1_.numbered_sgpr, 0
	.set _ZN7rocprim17ROCPRIM_400000_NS6detail17trampoline_kernelINS0_14default_configENS1_27scan_by_key_config_selectorIiiEEZZNS1_16scan_by_key_implILNS1_25lookback_scan_determinismE0ELb1ES3_N6thrust23THRUST_200600_302600_NS10device_ptrIiEESB_SB_iNS9_4plusIvEENS9_8equal_toIvEEiEE10hipError_tPvRmT2_T3_T4_T5_mT6_T7_P12ihipStream_tbENKUlT_T0_E_clISt17integral_constantIbLb0EESW_EEDaSR_SS_EUlSR_E_NS1_11comp_targetILNS1_3genE4ELNS1_11target_archE910ELNS1_3gpuE8ELNS1_3repE0EEENS1_30default_config_static_selectorELNS0_4arch9wavefront6targetE0EEEvT1_.num_named_barrier, 0
	.set _ZN7rocprim17ROCPRIM_400000_NS6detail17trampoline_kernelINS0_14default_configENS1_27scan_by_key_config_selectorIiiEEZZNS1_16scan_by_key_implILNS1_25lookback_scan_determinismE0ELb1ES3_N6thrust23THRUST_200600_302600_NS10device_ptrIiEESB_SB_iNS9_4plusIvEENS9_8equal_toIvEEiEE10hipError_tPvRmT2_T3_T4_T5_mT6_T7_P12ihipStream_tbENKUlT_T0_E_clISt17integral_constantIbLb0EESW_EEDaSR_SS_EUlSR_E_NS1_11comp_targetILNS1_3genE4ELNS1_11target_archE910ELNS1_3gpuE8ELNS1_3repE0EEENS1_30default_config_static_selectorELNS0_4arch9wavefront6targetE0EEEvT1_.private_seg_size, 0
	.set _ZN7rocprim17ROCPRIM_400000_NS6detail17trampoline_kernelINS0_14default_configENS1_27scan_by_key_config_selectorIiiEEZZNS1_16scan_by_key_implILNS1_25lookback_scan_determinismE0ELb1ES3_N6thrust23THRUST_200600_302600_NS10device_ptrIiEESB_SB_iNS9_4plusIvEENS9_8equal_toIvEEiEE10hipError_tPvRmT2_T3_T4_T5_mT6_T7_P12ihipStream_tbENKUlT_T0_E_clISt17integral_constantIbLb0EESW_EEDaSR_SS_EUlSR_E_NS1_11comp_targetILNS1_3genE4ELNS1_11target_archE910ELNS1_3gpuE8ELNS1_3repE0EEENS1_30default_config_static_selectorELNS0_4arch9wavefront6targetE0EEEvT1_.uses_vcc, 0
	.set _ZN7rocprim17ROCPRIM_400000_NS6detail17trampoline_kernelINS0_14default_configENS1_27scan_by_key_config_selectorIiiEEZZNS1_16scan_by_key_implILNS1_25lookback_scan_determinismE0ELb1ES3_N6thrust23THRUST_200600_302600_NS10device_ptrIiEESB_SB_iNS9_4plusIvEENS9_8equal_toIvEEiEE10hipError_tPvRmT2_T3_T4_T5_mT6_T7_P12ihipStream_tbENKUlT_T0_E_clISt17integral_constantIbLb0EESW_EEDaSR_SS_EUlSR_E_NS1_11comp_targetILNS1_3genE4ELNS1_11target_archE910ELNS1_3gpuE8ELNS1_3repE0EEENS1_30default_config_static_selectorELNS0_4arch9wavefront6targetE0EEEvT1_.uses_flat_scratch, 0
	.set _ZN7rocprim17ROCPRIM_400000_NS6detail17trampoline_kernelINS0_14default_configENS1_27scan_by_key_config_selectorIiiEEZZNS1_16scan_by_key_implILNS1_25lookback_scan_determinismE0ELb1ES3_N6thrust23THRUST_200600_302600_NS10device_ptrIiEESB_SB_iNS9_4plusIvEENS9_8equal_toIvEEiEE10hipError_tPvRmT2_T3_T4_T5_mT6_T7_P12ihipStream_tbENKUlT_T0_E_clISt17integral_constantIbLb0EESW_EEDaSR_SS_EUlSR_E_NS1_11comp_targetILNS1_3genE4ELNS1_11target_archE910ELNS1_3gpuE8ELNS1_3repE0EEENS1_30default_config_static_selectorELNS0_4arch9wavefront6targetE0EEEvT1_.has_dyn_sized_stack, 0
	.set _ZN7rocprim17ROCPRIM_400000_NS6detail17trampoline_kernelINS0_14default_configENS1_27scan_by_key_config_selectorIiiEEZZNS1_16scan_by_key_implILNS1_25lookback_scan_determinismE0ELb1ES3_N6thrust23THRUST_200600_302600_NS10device_ptrIiEESB_SB_iNS9_4plusIvEENS9_8equal_toIvEEiEE10hipError_tPvRmT2_T3_T4_T5_mT6_T7_P12ihipStream_tbENKUlT_T0_E_clISt17integral_constantIbLb0EESW_EEDaSR_SS_EUlSR_E_NS1_11comp_targetILNS1_3genE4ELNS1_11target_archE910ELNS1_3gpuE8ELNS1_3repE0EEENS1_30default_config_static_selectorELNS0_4arch9wavefront6targetE0EEEvT1_.has_recursion, 0
	.set _ZN7rocprim17ROCPRIM_400000_NS6detail17trampoline_kernelINS0_14default_configENS1_27scan_by_key_config_selectorIiiEEZZNS1_16scan_by_key_implILNS1_25lookback_scan_determinismE0ELb1ES3_N6thrust23THRUST_200600_302600_NS10device_ptrIiEESB_SB_iNS9_4plusIvEENS9_8equal_toIvEEiEE10hipError_tPvRmT2_T3_T4_T5_mT6_T7_P12ihipStream_tbENKUlT_T0_E_clISt17integral_constantIbLb0EESW_EEDaSR_SS_EUlSR_E_NS1_11comp_targetILNS1_3genE4ELNS1_11target_archE910ELNS1_3gpuE8ELNS1_3repE0EEENS1_30default_config_static_selectorELNS0_4arch9wavefront6targetE0EEEvT1_.has_indirect_call, 0
	.section	.AMDGPU.csdata,"",@progbits
; Kernel info:
; codeLenInByte = 0
; TotalNumSgprs: 0
; NumVgprs: 0
; ScratchSize: 0
; MemoryBound: 0
; FloatMode: 240
; IeeeMode: 1
; LDSByteSize: 0 bytes/workgroup (compile time only)
; SGPRBlocks: 0
; VGPRBlocks: 0
; NumSGPRsForWavesPerEU: 1
; NumVGPRsForWavesPerEU: 1
; Occupancy: 16
; WaveLimiterHint : 0
; COMPUTE_PGM_RSRC2:SCRATCH_EN: 0
; COMPUTE_PGM_RSRC2:USER_SGPR: 6
; COMPUTE_PGM_RSRC2:TRAP_HANDLER: 0
; COMPUTE_PGM_RSRC2:TGID_X_EN: 1
; COMPUTE_PGM_RSRC2:TGID_Y_EN: 0
; COMPUTE_PGM_RSRC2:TGID_Z_EN: 0
; COMPUTE_PGM_RSRC2:TIDIG_COMP_CNT: 0
	.section	.text._ZN7rocprim17ROCPRIM_400000_NS6detail17trampoline_kernelINS0_14default_configENS1_27scan_by_key_config_selectorIiiEEZZNS1_16scan_by_key_implILNS1_25lookback_scan_determinismE0ELb1ES3_N6thrust23THRUST_200600_302600_NS10device_ptrIiEESB_SB_iNS9_4plusIvEENS9_8equal_toIvEEiEE10hipError_tPvRmT2_T3_T4_T5_mT6_T7_P12ihipStream_tbENKUlT_T0_E_clISt17integral_constantIbLb0EESW_EEDaSR_SS_EUlSR_E_NS1_11comp_targetILNS1_3genE3ELNS1_11target_archE908ELNS1_3gpuE7ELNS1_3repE0EEENS1_30default_config_static_selectorELNS0_4arch9wavefront6targetE0EEEvT1_,"axG",@progbits,_ZN7rocprim17ROCPRIM_400000_NS6detail17trampoline_kernelINS0_14default_configENS1_27scan_by_key_config_selectorIiiEEZZNS1_16scan_by_key_implILNS1_25lookback_scan_determinismE0ELb1ES3_N6thrust23THRUST_200600_302600_NS10device_ptrIiEESB_SB_iNS9_4plusIvEENS9_8equal_toIvEEiEE10hipError_tPvRmT2_T3_T4_T5_mT6_T7_P12ihipStream_tbENKUlT_T0_E_clISt17integral_constantIbLb0EESW_EEDaSR_SS_EUlSR_E_NS1_11comp_targetILNS1_3genE3ELNS1_11target_archE908ELNS1_3gpuE7ELNS1_3repE0EEENS1_30default_config_static_selectorELNS0_4arch9wavefront6targetE0EEEvT1_,comdat
	.protected	_ZN7rocprim17ROCPRIM_400000_NS6detail17trampoline_kernelINS0_14default_configENS1_27scan_by_key_config_selectorIiiEEZZNS1_16scan_by_key_implILNS1_25lookback_scan_determinismE0ELb1ES3_N6thrust23THRUST_200600_302600_NS10device_ptrIiEESB_SB_iNS9_4plusIvEENS9_8equal_toIvEEiEE10hipError_tPvRmT2_T3_T4_T5_mT6_T7_P12ihipStream_tbENKUlT_T0_E_clISt17integral_constantIbLb0EESW_EEDaSR_SS_EUlSR_E_NS1_11comp_targetILNS1_3genE3ELNS1_11target_archE908ELNS1_3gpuE7ELNS1_3repE0EEENS1_30default_config_static_selectorELNS0_4arch9wavefront6targetE0EEEvT1_ ; -- Begin function _ZN7rocprim17ROCPRIM_400000_NS6detail17trampoline_kernelINS0_14default_configENS1_27scan_by_key_config_selectorIiiEEZZNS1_16scan_by_key_implILNS1_25lookback_scan_determinismE0ELb1ES3_N6thrust23THRUST_200600_302600_NS10device_ptrIiEESB_SB_iNS9_4plusIvEENS9_8equal_toIvEEiEE10hipError_tPvRmT2_T3_T4_T5_mT6_T7_P12ihipStream_tbENKUlT_T0_E_clISt17integral_constantIbLb0EESW_EEDaSR_SS_EUlSR_E_NS1_11comp_targetILNS1_3genE3ELNS1_11target_archE908ELNS1_3gpuE7ELNS1_3repE0EEENS1_30default_config_static_selectorELNS0_4arch9wavefront6targetE0EEEvT1_
	.globl	_ZN7rocprim17ROCPRIM_400000_NS6detail17trampoline_kernelINS0_14default_configENS1_27scan_by_key_config_selectorIiiEEZZNS1_16scan_by_key_implILNS1_25lookback_scan_determinismE0ELb1ES3_N6thrust23THRUST_200600_302600_NS10device_ptrIiEESB_SB_iNS9_4plusIvEENS9_8equal_toIvEEiEE10hipError_tPvRmT2_T3_T4_T5_mT6_T7_P12ihipStream_tbENKUlT_T0_E_clISt17integral_constantIbLb0EESW_EEDaSR_SS_EUlSR_E_NS1_11comp_targetILNS1_3genE3ELNS1_11target_archE908ELNS1_3gpuE7ELNS1_3repE0EEENS1_30default_config_static_selectorELNS0_4arch9wavefront6targetE0EEEvT1_
	.p2align	8
	.type	_ZN7rocprim17ROCPRIM_400000_NS6detail17trampoline_kernelINS0_14default_configENS1_27scan_by_key_config_selectorIiiEEZZNS1_16scan_by_key_implILNS1_25lookback_scan_determinismE0ELb1ES3_N6thrust23THRUST_200600_302600_NS10device_ptrIiEESB_SB_iNS9_4plusIvEENS9_8equal_toIvEEiEE10hipError_tPvRmT2_T3_T4_T5_mT6_T7_P12ihipStream_tbENKUlT_T0_E_clISt17integral_constantIbLb0EESW_EEDaSR_SS_EUlSR_E_NS1_11comp_targetILNS1_3genE3ELNS1_11target_archE908ELNS1_3gpuE7ELNS1_3repE0EEENS1_30default_config_static_selectorELNS0_4arch9wavefront6targetE0EEEvT1_,@function
_ZN7rocprim17ROCPRIM_400000_NS6detail17trampoline_kernelINS0_14default_configENS1_27scan_by_key_config_selectorIiiEEZZNS1_16scan_by_key_implILNS1_25lookback_scan_determinismE0ELb1ES3_N6thrust23THRUST_200600_302600_NS10device_ptrIiEESB_SB_iNS9_4plusIvEENS9_8equal_toIvEEiEE10hipError_tPvRmT2_T3_T4_T5_mT6_T7_P12ihipStream_tbENKUlT_T0_E_clISt17integral_constantIbLb0EESW_EEDaSR_SS_EUlSR_E_NS1_11comp_targetILNS1_3genE3ELNS1_11target_archE908ELNS1_3gpuE7ELNS1_3repE0EEENS1_30default_config_static_selectorELNS0_4arch9wavefront6targetE0EEEvT1_: ; @_ZN7rocprim17ROCPRIM_400000_NS6detail17trampoline_kernelINS0_14default_configENS1_27scan_by_key_config_selectorIiiEEZZNS1_16scan_by_key_implILNS1_25lookback_scan_determinismE0ELb1ES3_N6thrust23THRUST_200600_302600_NS10device_ptrIiEESB_SB_iNS9_4plusIvEENS9_8equal_toIvEEiEE10hipError_tPvRmT2_T3_T4_T5_mT6_T7_P12ihipStream_tbENKUlT_T0_E_clISt17integral_constantIbLb0EESW_EEDaSR_SS_EUlSR_E_NS1_11comp_targetILNS1_3genE3ELNS1_11target_archE908ELNS1_3gpuE7ELNS1_3repE0EEENS1_30default_config_static_selectorELNS0_4arch9wavefront6targetE0EEEvT1_
; %bb.0:
	.section	.rodata,"a",@progbits
	.p2align	6, 0x0
	.amdhsa_kernel _ZN7rocprim17ROCPRIM_400000_NS6detail17trampoline_kernelINS0_14default_configENS1_27scan_by_key_config_selectorIiiEEZZNS1_16scan_by_key_implILNS1_25lookback_scan_determinismE0ELb1ES3_N6thrust23THRUST_200600_302600_NS10device_ptrIiEESB_SB_iNS9_4plusIvEENS9_8equal_toIvEEiEE10hipError_tPvRmT2_T3_T4_T5_mT6_T7_P12ihipStream_tbENKUlT_T0_E_clISt17integral_constantIbLb0EESW_EEDaSR_SS_EUlSR_E_NS1_11comp_targetILNS1_3genE3ELNS1_11target_archE908ELNS1_3gpuE7ELNS1_3repE0EEENS1_30default_config_static_selectorELNS0_4arch9wavefront6targetE0EEEvT1_
		.amdhsa_group_segment_fixed_size 0
		.amdhsa_private_segment_fixed_size 0
		.amdhsa_kernarg_size 112
		.amdhsa_user_sgpr_count 6
		.amdhsa_user_sgpr_private_segment_buffer 1
		.amdhsa_user_sgpr_dispatch_ptr 0
		.amdhsa_user_sgpr_queue_ptr 0
		.amdhsa_user_sgpr_kernarg_segment_ptr 1
		.amdhsa_user_sgpr_dispatch_id 0
		.amdhsa_user_sgpr_flat_scratch_init 0
		.amdhsa_user_sgpr_private_segment_size 0
		.amdhsa_wavefront_size32 1
		.amdhsa_uses_dynamic_stack 0
		.amdhsa_system_sgpr_private_segment_wavefront_offset 0
		.amdhsa_system_sgpr_workgroup_id_x 1
		.amdhsa_system_sgpr_workgroup_id_y 0
		.amdhsa_system_sgpr_workgroup_id_z 0
		.amdhsa_system_sgpr_workgroup_info 0
		.amdhsa_system_vgpr_workitem_id 0
		.amdhsa_next_free_vgpr 1
		.amdhsa_next_free_sgpr 1
		.amdhsa_reserve_vcc 0
		.amdhsa_reserve_flat_scratch 0
		.amdhsa_float_round_mode_32 0
		.amdhsa_float_round_mode_16_64 0
		.amdhsa_float_denorm_mode_32 3
		.amdhsa_float_denorm_mode_16_64 3
		.amdhsa_dx10_clamp 1
		.amdhsa_ieee_mode 1
		.amdhsa_fp16_overflow 0
		.amdhsa_workgroup_processor_mode 1
		.amdhsa_memory_ordered 1
		.amdhsa_forward_progress 1
		.amdhsa_shared_vgpr_count 0
		.amdhsa_exception_fp_ieee_invalid_op 0
		.amdhsa_exception_fp_denorm_src 0
		.amdhsa_exception_fp_ieee_div_zero 0
		.amdhsa_exception_fp_ieee_overflow 0
		.amdhsa_exception_fp_ieee_underflow 0
		.amdhsa_exception_fp_ieee_inexact 0
		.amdhsa_exception_int_div_zero 0
	.end_amdhsa_kernel
	.section	.text._ZN7rocprim17ROCPRIM_400000_NS6detail17trampoline_kernelINS0_14default_configENS1_27scan_by_key_config_selectorIiiEEZZNS1_16scan_by_key_implILNS1_25lookback_scan_determinismE0ELb1ES3_N6thrust23THRUST_200600_302600_NS10device_ptrIiEESB_SB_iNS9_4plusIvEENS9_8equal_toIvEEiEE10hipError_tPvRmT2_T3_T4_T5_mT6_T7_P12ihipStream_tbENKUlT_T0_E_clISt17integral_constantIbLb0EESW_EEDaSR_SS_EUlSR_E_NS1_11comp_targetILNS1_3genE3ELNS1_11target_archE908ELNS1_3gpuE7ELNS1_3repE0EEENS1_30default_config_static_selectorELNS0_4arch9wavefront6targetE0EEEvT1_,"axG",@progbits,_ZN7rocprim17ROCPRIM_400000_NS6detail17trampoline_kernelINS0_14default_configENS1_27scan_by_key_config_selectorIiiEEZZNS1_16scan_by_key_implILNS1_25lookback_scan_determinismE0ELb1ES3_N6thrust23THRUST_200600_302600_NS10device_ptrIiEESB_SB_iNS9_4plusIvEENS9_8equal_toIvEEiEE10hipError_tPvRmT2_T3_T4_T5_mT6_T7_P12ihipStream_tbENKUlT_T0_E_clISt17integral_constantIbLb0EESW_EEDaSR_SS_EUlSR_E_NS1_11comp_targetILNS1_3genE3ELNS1_11target_archE908ELNS1_3gpuE7ELNS1_3repE0EEENS1_30default_config_static_selectorELNS0_4arch9wavefront6targetE0EEEvT1_,comdat
.Lfunc_end2237:
	.size	_ZN7rocprim17ROCPRIM_400000_NS6detail17trampoline_kernelINS0_14default_configENS1_27scan_by_key_config_selectorIiiEEZZNS1_16scan_by_key_implILNS1_25lookback_scan_determinismE0ELb1ES3_N6thrust23THRUST_200600_302600_NS10device_ptrIiEESB_SB_iNS9_4plusIvEENS9_8equal_toIvEEiEE10hipError_tPvRmT2_T3_T4_T5_mT6_T7_P12ihipStream_tbENKUlT_T0_E_clISt17integral_constantIbLb0EESW_EEDaSR_SS_EUlSR_E_NS1_11comp_targetILNS1_3genE3ELNS1_11target_archE908ELNS1_3gpuE7ELNS1_3repE0EEENS1_30default_config_static_selectorELNS0_4arch9wavefront6targetE0EEEvT1_, .Lfunc_end2237-_ZN7rocprim17ROCPRIM_400000_NS6detail17trampoline_kernelINS0_14default_configENS1_27scan_by_key_config_selectorIiiEEZZNS1_16scan_by_key_implILNS1_25lookback_scan_determinismE0ELb1ES3_N6thrust23THRUST_200600_302600_NS10device_ptrIiEESB_SB_iNS9_4plusIvEENS9_8equal_toIvEEiEE10hipError_tPvRmT2_T3_T4_T5_mT6_T7_P12ihipStream_tbENKUlT_T0_E_clISt17integral_constantIbLb0EESW_EEDaSR_SS_EUlSR_E_NS1_11comp_targetILNS1_3genE3ELNS1_11target_archE908ELNS1_3gpuE7ELNS1_3repE0EEENS1_30default_config_static_selectorELNS0_4arch9wavefront6targetE0EEEvT1_
                                        ; -- End function
	.set _ZN7rocprim17ROCPRIM_400000_NS6detail17trampoline_kernelINS0_14default_configENS1_27scan_by_key_config_selectorIiiEEZZNS1_16scan_by_key_implILNS1_25lookback_scan_determinismE0ELb1ES3_N6thrust23THRUST_200600_302600_NS10device_ptrIiEESB_SB_iNS9_4plusIvEENS9_8equal_toIvEEiEE10hipError_tPvRmT2_T3_T4_T5_mT6_T7_P12ihipStream_tbENKUlT_T0_E_clISt17integral_constantIbLb0EESW_EEDaSR_SS_EUlSR_E_NS1_11comp_targetILNS1_3genE3ELNS1_11target_archE908ELNS1_3gpuE7ELNS1_3repE0EEENS1_30default_config_static_selectorELNS0_4arch9wavefront6targetE0EEEvT1_.num_vgpr, 0
	.set _ZN7rocprim17ROCPRIM_400000_NS6detail17trampoline_kernelINS0_14default_configENS1_27scan_by_key_config_selectorIiiEEZZNS1_16scan_by_key_implILNS1_25lookback_scan_determinismE0ELb1ES3_N6thrust23THRUST_200600_302600_NS10device_ptrIiEESB_SB_iNS9_4plusIvEENS9_8equal_toIvEEiEE10hipError_tPvRmT2_T3_T4_T5_mT6_T7_P12ihipStream_tbENKUlT_T0_E_clISt17integral_constantIbLb0EESW_EEDaSR_SS_EUlSR_E_NS1_11comp_targetILNS1_3genE3ELNS1_11target_archE908ELNS1_3gpuE7ELNS1_3repE0EEENS1_30default_config_static_selectorELNS0_4arch9wavefront6targetE0EEEvT1_.num_agpr, 0
	.set _ZN7rocprim17ROCPRIM_400000_NS6detail17trampoline_kernelINS0_14default_configENS1_27scan_by_key_config_selectorIiiEEZZNS1_16scan_by_key_implILNS1_25lookback_scan_determinismE0ELb1ES3_N6thrust23THRUST_200600_302600_NS10device_ptrIiEESB_SB_iNS9_4plusIvEENS9_8equal_toIvEEiEE10hipError_tPvRmT2_T3_T4_T5_mT6_T7_P12ihipStream_tbENKUlT_T0_E_clISt17integral_constantIbLb0EESW_EEDaSR_SS_EUlSR_E_NS1_11comp_targetILNS1_3genE3ELNS1_11target_archE908ELNS1_3gpuE7ELNS1_3repE0EEENS1_30default_config_static_selectorELNS0_4arch9wavefront6targetE0EEEvT1_.numbered_sgpr, 0
	.set _ZN7rocprim17ROCPRIM_400000_NS6detail17trampoline_kernelINS0_14default_configENS1_27scan_by_key_config_selectorIiiEEZZNS1_16scan_by_key_implILNS1_25lookback_scan_determinismE0ELb1ES3_N6thrust23THRUST_200600_302600_NS10device_ptrIiEESB_SB_iNS9_4plusIvEENS9_8equal_toIvEEiEE10hipError_tPvRmT2_T3_T4_T5_mT6_T7_P12ihipStream_tbENKUlT_T0_E_clISt17integral_constantIbLb0EESW_EEDaSR_SS_EUlSR_E_NS1_11comp_targetILNS1_3genE3ELNS1_11target_archE908ELNS1_3gpuE7ELNS1_3repE0EEENS1_30default_config_static_selectorELNS0_4arch9wavefront6targetE0EEEvT1_.num_named_barrier, 0
	.set _ZN7rocprim17ROCPRIM_400000_NS6detail17trampoline_kernelINS0_14default_configENS1_27scan_by_key_config_selectorIiiEEZZNS1_16scan_by_key_implILNS1_25lookback_scan_determinismE0ELb1ES3_N6thrust23THRUST_200600_302600_NS10device_ptrIiEESB_SB_iNS9_4plusIvEENS9_8equal_toIvEEiEE10hipError_tPvRmT2_T3_T4_T5_mT6_T7_P12ihipStream_tbENKUlT_T0_E_clISt17integral_constantIbLb0EESW_EEDaSR_SS_EUlSR_E_NS1_11comp_targetILNS1_3genE3ELNS1_11target_archE908ELNS1_3gpuE7ELNS1_3repE0EEENS1_30default_config_static_selectorELNS0_4arch9wavefront6targetE0EEEvT1_.private_seg_size, 0
	.set _ZN7rocprim17ROCPRIM_400000_NS6detail17trampoline_kernelINS0_14default_configENS1_27scan_by_key_config_selectorIiiEEZZNS1_16scan_by_key_implILNS1_25lookback_scan_determinismE0ELb1ES3_N6thrust23THRUST_200600_302600_NS10device_ptrIiEESB_SB_iNS9_4plusIvEENS9_8equal_toIvEEiEE10hipError_tPvRmT2_T3_T4_T5_mT6_T7_P12ihipStream_tbENKUlT_T0_E_clISt17integral_constantIbLb0EESW_EEDaSR_SS_EUlSR_E_NS1_11comp_targetILNS1_3genE3ELNS1_11target_archE908ELNS1_3gpuE7ELNS1_3repE0EEENS1_30default_config_static_selectorELNS0_4arch9wavefront6targetE0EEEvT1_.uses_vcc, 0
	.set _ZN7rocprim17ROCPRIM_400000_NS6detail17trampoline_kernelINS0_14default_configENS1_27scan_by_key_config_selectorIiiEEZZNS1_16scan_by_key_implILNS1_25lookback_scan_determinismE0ELb1ES3_N6thrust23THRUST_200600_302600_NS10device_ptrIiEESB_SB_iNS9_4plusIvEENS9_8equal_toIvEEiEE10hipError_tPvRmT2_T3_T4_T5_mT6_T7_P12ihipStream_tbENKUlT_T0_E_clISt17integral_constantIbLb0EESW_EEDaSR_SS_EUlSR_E_NS1_11comp_targetILNS1_3genE3ELNS1_11target_archE908ELNS1_3gpuE7ELNS1_3repE0EEENS1_30default_config_static_selectorELNS0_4arch9wavefront6targetE0EEEvT1_.uses_flat_scratch, 0
	.set _ZN7rocprim17ROCPRIM_400000_NS6detail17trampoline_kernelINS0_14default_configENS1_27scan_by_key_config_selectorIiiEEZZNS1_16scan_by_key_implILNS1_25lookback_scan_determinismE0ELb1ES3_N6thrust23THRUST_200600_302600_NS10device_ptrIiEESB_SB_iNS9_4plusIvEENS9_8equal_toIvEEiEE10hipError_tPvRmT2_T3_T4_T5_mT6_T7_P12ihipStream_tbENKUlT_T0_E_clISt17integral_constantIbLb0EESW_EEDaSR_SS_EUlSR_E_NS1_11comp_targetILNS1_3genE3ELNS1_11target_archE908ELNS1_3gpuE7ELNS1_3repE0EEENS1_30default_config_static_selectorELNS0_4arch9wavefront6targetE0EEEvT1_.has_dyn_sized_stack, 0
	.set _ZN7rocprim17ROCPRIM_400000_NS6detail17trampoline_kernelINS0_14default_configENS1_27scan_by_key_config_selectorIiiEEZZNS1_16scan_by_key_implILNS1_25lookback_scan_determinismE0ELb1ES3_N6thrust23THRUST_200600_302600_NS10device_ptrIiEESB_SB_iNS9_4plusIvEENS9_8equal_toIvEEiEE10hipError_tPvRmT2_T3_T4_T5_mT6_T7_P12ihipStream_tbENKUlT_T0_E_clISt17integral_constantIbLb0EESW_EEDaSR_SS_EUlSR_E_NS1_11comp_targetILNS1_3genE3ELNS1_11target_archE908ELNS1_3gpuE7ELNS1_3repE0EEENS1_30default_config_static_selectorELNS0_4arch9wavefront6targetE0EEEvT1_.has_recursion, 0
	.set _ZN7rocprim17ROCPRIM_400000_NS6detail17trampoline_kernelINS0_14default_configENS1_27scan_by_key_config_selectorIiiEEZZNS1_16scan_by_key_implILNS1_25lookback_scan_determinismE0ELb1ES3_N6thrust23THRUST_200600_302600_NS10device_ptrIiEESB_SB_iNS9_4plusIvEENS9_8equal_toIvEEiEE10hipError_tPvRmT2_T3_T4_T5_mT6_T7_P12ihipStream_tbENKUlT_T0_E_clISt17integral_constantIbLb0EESW_EEDaSR_SS_EUlSR_E_NS1_11comp_targetILNS1_3genE3ELNS1_11target_archE908ELNS1_3gpuE7ELNS1_3repE0EEENS1_30default_config_static_selectorELNS0_4arch9wavefront6targetE0EEEvT1_.has_indirect_call, 0
	.section	.AMDGPU.csdata,"",@progbits
; Kernel info:
; codeLenInByte = 0
; TotalNumSgprs: 0
; NumVgprs: 0
; ScratchSize: 0
; MemoryBound: 0
; FloatMode: 240
; IeeeMode: 1
; LDSByteSize: 0 bytes/workgroup (compile time only)
; SGPRBlocks: 0
; VGPRBlocks: 0
; NumSGPRsForWavesPerEU: 1
; NumVGPRsForWavesPerEU: 1
; Occupancy: 16
; WaveLimiterHint : 0
; COMPUTE_PGM_RSRC2:SCRATCH_EN: 0
; COMPUTE_PGM_RSRC2:USER_SGPR: 6
; COMPUTE_PGM_RSRC2:TRAP_HANDLER: 0
; COMPUTE_PGM_RSRC2:TGID_X_EN: 1
; COMPUTE_PGM_RSRC2:TGID_Y_EN: 0
; COMPUTE_PGM_RSRC2:TGID_Z_EN: 0
; COMPUTE_PGM_RSRC2:TIDIG_COMP_CNT: 0
	.section	.text._ZN7rocprim17ROCPRIM_400000_NS6detail17trampoline_kernelINS0_14default_configENS1_27scan_by_key_config_selectorIiiEEZZNS1_16scan_by_key_implILNS1_25lookback_scan_determinismE0ELb1ES3_N6thrust23THRUST_200600_302600_NS10device_ptrIiEESB_SB_iNS9_4plusIvEENS9_8equal_toIvEEiEE10hipError_tPvRmT2_T3_T4_T5_mT6_T7_P12ihipStream_tbENKUlT_T0_E_clISt17integral_constantIbLb0EESW_EEDaSR_SS_EUlSR_E_NS1_11comp_targetILNS1_3genE2ELNS1_11target_archE906ELNS1_3gpuE6ELNS1_3repE0EEENS1_30default_config_static_selectorELNS0_4arch9wavefront6targetE0EEEvT1_,"axG",@progbits,_ZN7rocprim17ROCPRIM_400000_NS6detail17trampoline_kernelINS0_14default_configENS1_27scan_by_key_config_selectorIiiEEZZNS1_16scan_by_key_implILNS1_25lookback_scan_determinismE0ELb1ES3_N6thrust23THRUST_200600_302600_NS10device_ptrIiEESB_SB_iNS9_4plusIvEENS9_8equal_toIvEEiEE10hipError_tPvRmT2_T3_T4_T5_mT6_T7_P12ihipStream_tbENKUlT_T0_E_clISt17integral_constantIbLb0EESW_EEDaSR_SS_EUlSR_E_NS1_11comp_targetILNS1_3genE2ELNS1_11target_archE906ELNS1_3gpuE6ELNS1_3repE0EEENS1_30default_config_static_selectorELNS0_4arch9wavefront6targetE0EEEvT1_,comdat
	.protected	_ZN7rocprim17ROCPRIM_400000_NS6detail17trampoline_kernelINS0_14default_configENS1_27scan_by_key_config_selectorIiiEEZZNS1_16scan_by_key_implILNS1_25lookback_scan_determinismE0ELb1ES3_N6thrust23THRUST_200600_302600_NS10device_ptrIiEESB_SB_iNS9_4plusIvEENS9_8equal_toIvEEiEE10hipError_tPvRmT2_T3_T4_T5_mT6_T7_P12ihipStream_tbENKUlT_T0_E_clISt17integral_constantIbLb0EESW_EEDaSR_SS_EUlSR_E_NS1_11comp_targetILNS1_3genE2ELNS1_11target_archE906ELNS1_3gpuE6ELNS1_3repE0EEENS1_30default_config_static_selectorELNS0_4arch9wavefront6targetE0EEEvT1_ ; -- Begin function _ZN7rocprim17ROCPRIM_400000_NS6detail17trampoline_kernelINS0_14default_configENS1_27scan_by_key_config_selectorIiiEEZZNS1_16scan_by_key_implILNS1_25lookback_scan_determinismE0ELb1ES3_N6thrust23THRUST_200600_302600_NS10device_ptrIiEESB_SB_iNS9_4plusIvEENS9_8equal_toIvEEiEE10hipError_tPvRmT2_T3_T4_T5_mT6_T7_P12ihipStream_tbENKUlT_T0_E_clISt17integral_constantIbLb0EESW_EEDaSR_SS_EUlSR_E_NS1_11comp_targetILNS1_3genE2ELNS1_11target_archE906ELNS1_3gpuE6ELNS1_3repE0EEENS1_30default_config_static_selectorELNS0_4arch9wavefront6targetE0EEEvT1_
	.globl	_ZN7rocprim17ROCPRIM_400000_NS6detail17trampoline_kernelINS0_14default_configENS1_27scan_by_key_config_selectorIiiEEZZNS1_16scan_by_key_implILNS1_25lookback_scan_determinismE0ELb1ES3_N6thrust23THRUST_200600_302600_NS10device_ptrIiEESB_SB_iNS9_4plusIvEENS9_8equal_toIvEEiEE10hipError_tPvRmT2_T3_T4_T5_mT6_T7_P12ihipStream_tbENKUlT_T0_E_clISt17integral_constantIbLb0EESW_EEDaSR_SS_EUlSR_E_NS1_11comp_targetILNS1_3genE2ELNS1_11target_archE906ELNS1_3gpuE6ELNS1_3repE0EEENS1_30default_config_static_selectorELNS0_4arch9wavefront6targetE0EEEvT1_
	.p2align	8
	.type	_ZN7rocprim17ROCPRIM_400000_NS6detail17trampoline_kernelINS0_14default_configENS1_27scan_by_key_config_selectorIiiEEZZNS1_16scan_by_key_implILNS1_25lookback_scan_determinismE0ELb1ES3_N6thrust23THRUST_200600_302600_NS10device_ptrIiEESB_SB_iNS9_4plusIvEENS9_8equal_toIvEEiEE10hipError_tPvRmT2_T3_T4_T5_mT6_T7_P12ihipStream_tbENKUlT_T0_E_clISt17integral_constantIbLb0EESW_EEDaSR_SS_EUlSR_E_NS1_11comp_targetILNS1_3genE2ELNS1_11target_archE906ELNS1_3gpuE6ELNS1_3repE0EEENS1_30default_config_static_selectorELNS0_4arch9wavefront6targetE0EEEvT1_,@function
_ZN7rocprim17ROCPRIM_400000_NS6detail17trampoline_kernelINS0_14default_configENS1_27scan_by_key_config_selectorIiiEEZZNS1_16scan_by_key_implILNS1_25lookback_scan_determinismE0ELb1ES3_N6thrust23THRUST_200600_302600_NS10device_ptrIiEESB_SB_iNS9_4plusIvEENS9_8equal_toIvEEiEE10hipError_tPvRmT2_T3_T4_T5_mT6_T7_P12ihipStream_tbENKUlT_T0_E_clISt17integral_constantIbLb0EESW_EEDaSR_SS_EUlSR_E_NS1_11comp_targetILNS1_3genE2ELNS1_11target_archE906ELNS1_3gpuE6ELNS1_3repE0EEENS1_30default_config_static_selectorELNS0_4arch9wavefront6targetE0EEEvT1_: ; @_ZN7rocprim17ROCPRIM_400000_NS6detail17trampoline_kernelINS0_14default_configENS1_27scan_by_key_config_selectorIiiEEZZNS1_16scan_by_key_implILNS1_25lookback_scan_determinismE0ELb1ES3_N6thrust23THRUST_200600_302600_NS10device_ptrIiEESB_SB_iNS9_4plusIvEENS9_8equal_toIvEEiEE10hipError_tPvRmT2_T3_T4_T5_mT6_T7_P12ihipStream_tbENKUlT_T0_E_clISt17integral_constantIbLb0EESW_EEDaSR_SS_EUlSR_E_NS1_11comp_targetILNS1_3genE2ELNS1_11target_archE906ELNS1_3gpuE6ELNS1_3repE0EEENS1_30default_config_static_selectorELNS0_4arch9wavefront6targetE0EEEvT1_
; %bb.0:
	.section	.rodata,"a",@progbits
	.p2align	6, 0x0
	.amdhsa_kernel _ZN7rocprim17ROCPRIM_400000_NS6detail17trampoline_kernelINS0_14default_configENS1_27scan_by_key_config_selectorIiiEEZZNS1_16scan_by_key_implILNS1_25lookback_scan_determinismE0ELb1ES3_N6thrust23THRUST_200600_302600_NS10device_ptrIiEESB_SB_iNS9_4plusIvEENS9_8equal_toIvEEiEE10hipError_tPvRmT2_T3_T4_T5_mT6_T7_P12ihipStream_tbENKUlT_T0_E_clISt17integral_constantIbLb0EESW_EEDaSR_SS_EUlSR_E_NS1_11comp_targetILNS1_3genE2ELNS1_11target_archE906ELNS1_3gpuE6ELNS1_3repE0EEENS1_30default_config_static_selectorELNS0_4arch9wavefront6targetE0EEEvT1_
		.amdhsa_group_segment_fixed_size 0
		.amdhsa_private_segment_fixed_size 0
		.amdhsa_kernarg_size 112
		.amdhsa_user_sgpr_count 6
		.amdhsa_user_sgpr_private_segment_buffer 1
		.amdhsa_user_sgpr_dispatch_ptr 0
		.amdhsa_user_sgpr_queue_ptr 0
		.amdhsa_user_sgpr_kernarg_segment_ptr 1
		.amdhsa_user_sgpr_dispatch_id 0
		.amdhsa_user_sgpr_flat_scratch_init 0
		.amdhsa_user_sgpr_private_segment_size 0
		.amdhsa_wavefront_size32 1
		.amdhsa_uses_dynamic_stack 0
		.amdhsa_system_sgpr_private_segment_wavefront_offset 0
		.amdhsa_system_sgpr_workgroup_id_x 1
		.amdhsa_system_sgpr_workgroup_id_y 0
		.amdhsa_system_sgpr_workgroup_id_z 0
		.amdhsa_system_sgpr_workgroup_info 0
		.amdhsa_system_vgpr_workitem_id 0
		.amdhsa_next_free_vgpr 1
		.amdhsa_next_free_sgpr 1
		.amdhsa_reserve_vcc 0
		.amdhsa_reserve_flat_scratch 0
		.amdhsa_float_round_mode_32 0
		.amdhsa_float_round_mode_16_64 0
		.amdhsa_float_denorm_mode_32 3
		.amdhsa_float_denorm_mode_16_64 3
		.amdhsa_dx10_clamp 1
		.amdhsa_ieee_mode 1
		.amdhsa_fp16_overflow 0
		.amdhsa_workgroup_processor_mode 1
		.amdhsa_memory_ordered 1
		.amdhsa_forward_progress 1
		.amdhsa_shared_vgpr_count 0
		.amdhsa_exception_fp_ieee_invalid_op 0
		.amdhsa_exception_fp_denorm_src 0
		.amdhsa_exception_fp_ieee_div_zero 0
		.amdhsa_exception_fp_ieee_overflow 0
		.amdhsa_exception_fp_ieee_underflow 0
		.amdhsa_exception_fp_ieee_inexact 0
		.amdhsa_exception_int_div_zero 0
	.end_amdhsa_kernel
	.section	.text._ZN7rocprim17ROCPRIM_400000_NS6detail17trampoline_kernelINS0_14default_configENS1_27scan_by_key_config_selectorIiiEEZZNS1_16scan_by_key_implILNS1_25lookback_scan_determinismE0ELb1ES3_N6thrust23THRUST_200600_302600_NS10device_ptrIiEESB_SB_iNS9_4plusIvEENS9_8equal_toIvEEiEE10hipError_tPvRmT2_T3_T4_T5_mT6_T7_P12ihipStream_tbENKUlT_T0_E_clISt17integral_constantIbLb0EESW_EEDaSR_SS_EUlSR_E_NS1_11comp_targetILNS1_3genE2ELNS1_11target_archE906ELNS1_3gpuE6ELNS1_3repE0EEENS1_30default_config_static_selectorELNS0_4arch9wavefront6targetE0EEEvT1_,"axG",@progbits,_ZN7rocprim17ROCPRIM_400000_NS6detail17trampoline_kernelINS0_14default_configENS1_27scan_by_key_config_selectorIiiEEZZNS1_16scan_by_key_implILNS1_25lookback_scan_determinismE0ELb1ES3_N6thrust23THRUST_200600_302600_NS10device_ptrIiEESB_SB_iNS9_4plusIvEENS9_8equal_toIvEEiEE10hipError_tPvRmT2_T3_T4_T5_mT6_T7_P12ihipStream_tbENKUlT_T0_E_clISt17integral_constantIbLb0EESW_EEDaSR_SS_EUlSR_E_NS1_11comp_targetILNS1_3genE2ELNS1_11target_archE906ELNS1_3gpuE6ELNS1_3repE0EEENS1_30default_config_static_selectorELNS0_4arch9wavefront6targetE0EEEvT1_,comdat
.Lfunc_end2238:
	.size	_ZN7rocprim17ROCPRIM_400000_NS6detail17trampoline_kernelINS0_14default_configENS1_27scan_by_key_config_selectorIiiEEZZNS1_16scan_by_key_implILNS1_25lookback_scan_determinismE0ELb1ES3_N6thrust23THRUST_200600_302600_NS10device_ptrIiEESB_SB_iNS9_4plusIvEENS9_8equal_toIvEEiEE10hipError_tPvRmT2_T3_T4_T5_mT6_T7_P12ihipStream_tbENKUlT_T0_E_clISt17integral_constantIbLb0EESW_EEDaSR_SS_EUlSR_E_NS1_11comp_targetILNS1_3genE2ELNS1_11target_archE906ELNS1_3gpuE6ELNS1_3repE0EEENS1_30default_config_static_selectorELNS0_4arch9wavefront6targetE0EEEvT1_, .Lfunc_end2238-_ZN7rocprim17ROCPRIM_400000_NS6detail17trampoline_kernelINS0_14default_configENS1_27scan_by_key_config_selectorIiiEEZZNS1_16scan_by_key_implILNS1_25lookback_scan_determinismE0ELb1ES3_N6thrust23THRUST_200600_302600_NS10device_ptrIiEESB_SB_iNS9_4plusIvEENS9_8equal_toIvEEiEE10hipError_tPvRmT2_T3_T4_T5_mT6_T7_P12ihipStream_tbENKUlT_T0_E_clISt17integral_constantIbLb0EESW_EEDaSR_SS_EUlSR_E_NS1_11comp_targetILNS1_3genE2ELNS1_11target_archE906ELNS1_3gpuE6ELNS1_3repE0EEENS1_30default_config_static_selectorELNS0_4arch9wavefront6targetE0EEEvT1_
                                        ; -- End function
	.set _ZN7rocprim17ROCPRIM_400000_NS6detail17trampoline_kernelINS0_14default_configENS1_27scan_by_key_config_selectorIiiEEZZNS1_16scan_by_key_implILNS1_25lookback_scan_determinismE0ELb1ES3_N6thrust23THRUST_200600_302600_NS10device_ptrIiEESB_SB_iNS9_4plusIvEENS9_8equal_toIvEEiEE10hipError_tPvRmT2_T3_T4_T5_mT6_T7_P12ihipStream_tbENKUlT_T0_E_clISt17integral_constantIbLb0EESW_EEDaSR_SS_EUlSR_E_NS1_11comp_targetILNS1_3genE2ELNS1_11target_archE906ELNS1_3gpuE6ELNS1_3repE0EEENS1_30default_config_static_selectorELNS0_4arch9wavefront6targetE0EEEvT1_.num_vgpr, 0
	.set _ZN7rocprim17ROCPRIM_400000_NS6detail17trampoline_kernelINS0_14default_configENS1_27scan_by_key_config_selectorIiiEEZZNS1_16scan_by_key_implILNS1_25lookback_scan_determinismE0ELb1ES3_N6thrust23THRUST_200600_302600_NS10device_ptrIiEESB_SB_iNS9_4plusIvEENS9_8equal_toIvEEiEE10hipError_tPvRmT2_T3_T4_T5_mT6_T7_P12ihipStream_tbENKUlT_T0_E_clISt17integral_constantIbLb0EESW_EEDaSR_SS_EUlSR_E_NS1_11comp_targetILNS1_3genE2ELNS1_11target_archE906ELNS1_3gpuE6ELNS1_3repE0EEENS1_30default_config_static_selectorELNS0_4arch9wavefront6targetE0EEEvT1_.num_agpr, 0
	.set _ZN7rocprim17ROCPRIM_400000_NS6detail17trampoline_kernelINS0_14default_configENS1_27scan_by_key_config_selectorIiiEEZZNS1_16scan_by_key_implILNS1_25lookback_scan_determinismE0ELb1ES3_N6thrust23THRUST_200600_302600_NS10device_ptrIiEESB_SB_iNS9_4plusIvEENS9_8equal_toIvEEiEE10hipError_tPvRmT2_T3_T4_T5_mT6_T7_P12ihipStream_tbENKUlT_T0_E_clISt17integral_constantIbLb0EESW_EEDaSR_SS_EUlSR_E_NS1_11comp_targetILNS1_3genE2ELNS1_11target_archE906ELNS1_3gpuE6ELNS1_3repE0EEENS1_30default_config_static_selectorELNS0_4arch9wavefront6targetE0EEEvT1_.numbered_sgpr, 0
	.set _ZN7rocprim17ROCPRIM_400000_NS6detail17trampoline_kernelINS0_14default_configENS1_27scan_by_key_config_selectorIiiEEZZNS1_16scan_by_key_implILNS1_25lookback_scan_determinismE0ELb1ES3_N6thrust23THRUST_200600_302600_NS10device_ptrIiEESB_SB_iNS9_4plusIvEENS9_8equal_toIvEEiEE10hipError_tPvRmT2_T3_T4_T5_mT6_T7_P12ihipStream_tbENKUlT_T0_E_clISt17integral_constantIbLb0EESW_EEDaSR_SS_EUlSR_E_NS1_11comp_targetILNS1_3genE2ELNS1_11target_archE906ELNS1_3gpuE6ELNS1_3repE0EEENS1_30default_config_static_selectorELNS0_4arch9wavefront6targetE0EEEvT1_.num_named_barrier, 0
	.set _ZN7rocprim17ROCPRIM_400000_NS6detail17trampoline_kernelINS0_14default_configENS1_27scan_by_key_config_selectorIiiEEZZNS1_16scan_by_key_implILNS1_25lookback_scan_determinismE0ELb1ES3_N6thrust23THRUST_200600_302600_NS10device_ptrIiEESB_SB_iNS9_4plusIvEENS9_8equal_toIvEEiEE10hipError_tPvRmT2_T3_T4_T5_mT6_T7_P12ihipStream_tbENKUlT_T0_E_clISt17integral_constantIbLb0EESW_EEDaSR_SS_EUlSR_E_NS1_11comp_targetILNS1_3genE2ELNS1_11target_archE906ELNS1_3gpuE6ELNS1_3repE0EEENS1_30default_config_static_selectorELNS0_4arch9wavefront6targetE0EEEvT1_.private_seg_size, 0
	.set _ZN7rocprim17ROCPRIM_400000_NS6detail17trampoline_kernelINS0_14default_configENS1_27scan_by_key_config_selectorIiiEEZZNS1_16scan_by_key_implILNS1_25lookback_scan_determinismE0ELb1ES3_N6thrust23THRUST_200600_302600_NS10device_ptrIiEESB_SB_iNS9_4plusIvEENS9_8equal_toIvEEiEE10hipError_tPvRmT2_T3_T4_T5_mT6_T7_P12ihipStream_tbENKUlT_T0_E_clISt17integral_constantIbLb0EESW_EEDaSR_SS_EUlSR_E_NS1_11comp_targetILNS1_3genE2ELNS1_11target_archE906ELNS1_3gpuE6ELNS1_3repE0EEENS1_30default_config_static_selectorELNS0_4arch9wavefront6targetE0EEEvT1_.uses_vcc, 0
	.set _ZN7rocprim17ROCPRIM_400000_NS6detail17trampoline_kernelINS0_14default_configENS1_27scan_by_key_config_selectorIiiEEZZNS1_16scan_by_key_implILNS1_25lookback_scan_determinismE0ELb1ES3_N6thrust23THRUST_200600_302600_NS10device_ptrIiEESB_SB_iNS9_4plusIvEENS9_8equal_toIvEEiEE10hipError_tPvRmT2_T3_T4_T5_mT6_T7_P12ihipStream_tbENKUlT_T0_E_clISt17integral_constantIbLb0EESW_EEDaSR_SS_EUlSR_E_NS1_11comp_targetILNS1_3genE2ELNS1_11target_archE906ELNS1_3gpuE6ELNS1_3repE0EEENS1_30default_config_static_selectorELNS0_4arch9wavefront6targetE0EEEvT1_.uses_flat_scratch, 0
	.set _ZN7rocprim17ROCPRIM_400000_NS6detail17trampoline_kernelINS0_14default_configENS1_27scan_by_key_config_selectorIiiEEZZNS1_16scan_by_key_implILNS1_25lookback_scan_determinismE0ELb1ES3_N6thrust23THRUST_200600_302600_NS10device_ptrIiEESB_SB_iNS9_4plusIvEENS9_8equal_toIvEEiEE10hipError_tPvRmT2_T3_T4_T5_mT6_T7_P12ihipStream_tbENKUlT_T0_E_clISt17integral_constantIbLb0EESW_EEDaSR_SS_EUlSR_E_NS1_11comp_targetILNS1_3genE2ELNS1_11target_archE906ELNS1_3gpuE6ELNS1_3repE0EEENS1_30default_config_static_selectorELNS0_4arch9wavefront6targetE0EEEvT1_.has_dyn_sized_stack, 0
	.set _ZN7rocprim17ROCPRIM_400000_NS6detail17trampoline_kernelINS0_14default_configENS1_27scan_by_key_config_selectorIiiEEZZNS1_16scan_by_key_implILNS1_25lookback_scan_determinismE0ELb1ES3_N6thrust23THRUST_200600_302600_NS10device_ptrIiEESB_SB_iNS9_4plusIvEENS9_8equal_toIvEEiEE10hipError_tPvRmT2_T3_T4_T5_mT6_T7_P12ihipStream_tbENKUlT_T0_E_clISt17integral_constantIbLb0EESW_EEDaSR_SS_EUlSR_E_NS1_11comp_targetILNS1_3genE2ELNS1_11target_archE906ELNS1_3gpuE6ELNS1_3repE0EEENS1_30default_config_static_selectorELNS0_4arch9wavefront6targetE0EEEvT1_.has_recursion, 0
	.set _ZN7rocprim17ROCPRIM_400000_NS6detail17trampoline_kernelINS0_14default_configENS1_27scan_by_key_config_selectorIiiEEZZNS1_16scan_by_key_implILNS1_25lookback_scan_determinismE0ELb1ES3_N6thrust23THRUST_200600_302600_NS10device_ptrIiEESB_SB_iNS9_4plusIvEENS9_8equal_toIvEEiEE10hipError_tPvRmT2_T3_T4_T5_mT6_T7_P12ihipStream_tbENKUlT_T0_E_clISt17integral_constantIbLb0EESW_EEDaSR_SS_EUlSR_E_NS1_11comp_targetILNS1_3genE2ELNS1_11target_archE906ELNS1_3gpuE6ELNS1_3repE0EEENS1_30default_config_static_selectorELNS0_4arch9wavefront6targetE0EEEvT1_.has_indirect_call, 0
	.section	.AMDGPU.csdata,"",@progbits
; Kernel info:
; codeLenInByte = 0
; TotalNumSgprs: 0
; NumVgprs: 0
; ScratchSize: 0
; MemoryBound: 0
; FloatMode: 240
; IeeeMode: 1
; LDSByteSize: 0 bytes/workgroup (compile time only)
; SGPRBlocks: 0
; VGPRBlocks: 0
; NumSGPRsForWavesPerEU: 1
; NumVGPRsForWavesPerEU: 1
; Occupancy: 16
; WaveLimiterHint : 0
; COMPUTE_PGM_RSRC2:SCRATCH_EN: 0
; COMPUTE_PGM_RSRC2:USER_SGPR: 6
; COMPUTE_PGM_RSRC2:TRAP_HANDLER: 0
; COMPUTE_PGM_RSRC2:TGID_X_EN: 1
; COMPUTE_PGM_RSRC2:TGID_Y_EN: 0
; COMPUTE_PGM_RSRC2:TGID_Z_EN: 0
; COMPUTE_PGM_RSRC2:TIDIG_COMP_CNT: 0
	.section	.text._ZN7rocprim17ROCPRIM_400000_NS6detail17trampoline_kernelINS0_14default_configENS1_27scan_by_key_config_selectorIiiEEZZNS1_16scan_by_key_implILNS1_25lookback_scan_determinismE0ELb1ES3_N6thrust23THRUST_200600_302600_NS10device_ptrIiEESB_SB_iNS9_4plusIvEENS9_8equal_toIvEEiEE10hipError_tPvRmT2_T3_T4_T5_mT6_T7_P12ihipStream_tbENKUlT_T0_E_clISt17integral_constantIbLb0EESW_EEDaSR_SS_EUlSR_E_NS1_11comp_targetILNS1_3genE10ELNS1_11target_archE1200ELNS1_3gpuE4ELNS1_3repE0EEENS1_30default_config_static_selectorELNS0_4arch9wavefront6targetE0EEEvT1_,"axG",@progbits,_ZN7rocprim17ROCPRIM_400000_NS6detail17trampoline_kernelINS0_14default_configENS1_27scan_by_key_config_selectorIiiEEZZNS1_16scan_by_key_implILNS1_25lookback_scan_determinismE0ELb1ES3_N6thrust23THRUST_200600_302600_NS10device_ptrIiEESB_SB_iNS9_4plusIvEENS9_8equal_toIvEEiEE10hipError_tPvRmT2_T3_T4_T5_mT6_T7_P12ihipStream_tbENKUlT_T0_E_clISt17integral_constantIbLb0EESW_EEDaSR_SS_EUlSR_E_NS1_11comp_targetILNS1_3genE10ELNS1_11target_archE1200ELNS1_3gpuE4ELNS1_3repE0EEENS1_30default_config_static_selectorELNS0_4arch9wavefront6targetE0EEEvT1_,comdat
	.protected	_ZN7rocprim17ROCPRIM_400000_NS6detail17trampoline_kernelINS0_14default_configENS1_27scan_by_key_config_selectorIiiEEZZNS1_16scan_by_key_implILNS1_25lookback_scan_determinismE0ELb1ES3_N6thrust23THRUST_200600_302600_NS10device_ptrIiEESB_SB_iNS9_4plusIvEENS9_8equal_toIvEEiEE10hipError_tPvRmT2_T3_T4_T5_mT6_T7_P12ihipStream_tbENKUlT_T0_E_clISt17integral_constantIbLb0EESW_EEDaSR_SS_EUlSR_E_NS1_11comp_targetILNS1_3genE10ELNS1_11target_archE1200ELNS1_3gpuE4ELNS1_3repE0EEENS1_30default_config_static_selectorELNS0_4arch9wavefront6targetE0EEEvT1_ ; -- Begin function _ZN7rocprim17ROCPRIM_400000_NS6detail17trampoline_kernelINS0_14default_configENS1_27scan_by_key_config_selectorIiiEEZZNS1_16scan_by_key_implILNS1_25lookback_scan_determinismE0ELb1ES3_N6thrust23THRUST_200600_302600_NS10device_ptrIiEESB_SB_iNS9_4plusIvEENS9_8equal_toIvEEiEE10hipError_tPvRmT2_T3_T4_T5_mT6_T7_P12ihipStream_tbENKUlT_T0_E_clISt17integral_constantIbLb0EESW_EEDaSR_SS_EUlSR_E_NS1_11comp_targetILNS1_3genE10ELNS1_11target_archE1200ELNS1_3gpuE4ELNS1_3repE0EEENS1_30default_config_static_selectorELNS0_4arch9wavefront6targetE0EEEvT1_
	.globl	_ZN7rocprim17ROCPRIM_400000_NS6detail17trampoline_kernelINS0_14default_configENS1_27scan_by_key_config_selectorIiiEEZZNS1_16scan_by_key_implILNS1_25lookback_scan_determinismE0ELb1ES3_N6thrust23THRUST_200600_302600_NS10device_ptrIiEESB_SB_iNS9_4plusIvEENS9_8equal_toIvEEiEE10hipError_tPvRmT2_T3_T4_T5_mT6_T7_P12ihipStream_tbENKUlT_T0_E_clISt17integral_constantIbLb0EESW_EEDaSR_SS_EUlSR_E_NS1_11comp_targetILNS1_3genE10ELNS1_11target_archE1200ELNS1_3gpuE4ELNS1_3repE0EEENS1_30default_config_static_selectorELNS0_4arch9wavefront6targetE0EEEvT1_
	.p2align	8
	.type	_ZN7rocprim17ROCPRIM_400000_NS6detail17trampoline_kernelINS0_14default_configENS1_27scan_by_key_config_selectorIiiEEZZNS1_16scan_by_key_implILNS1_25lookback_scan_determinismE0ELb1ES3_N6thrust23THRUST_200600_302600_NS10device_ptrIiEESB_SB_iNS9_4plusIvEENS9_8equal_toIvEEiEE10hipError_tPvRmT2_T3_T4_T5_mT6_T7_P12ihipStream_tbENKUlT_T0_E_clISt17integral_constantIbLb0EESW_EEDaSR_SS_EUlSR_E_NS1_11comp_targetILNS1_3genE10ELNS1_11target_archE1200ELNS1_3gpuE4ELNS1_3repE0EEENS1_30default_config_static_selectorELNS0_4arch9wavefront6targetE0EEEvT1_,@function
_ZN7rocprim17ROCPRIM_400000_NS6detail17trampoline_kernelINS0_14default_configENS1_27scan_by_key_config_selectorIiiEEZZNS1_16scan_by_key_implILNS1_25lookback_scan_determinismE0ELb1ES3_N6thrust23THRUST_200600_302600_NS10device_ptrIiEESB_SB_iNS9_4plusIvEENS9_8equal_toIvEEiEE10hipError_tPvRmT2_T3_T4_T5_mT6_T7_P12ihipStream_tbENKUlT_T0_E_clISt17integral_constantIbLb0EESW_EEDaSR_SS_EUlSR_E_NS1_11comp_targetILNS1_3genE10ELNS1_11target_archE1200ELNS1_3gpuE4ELNS1_3repE0EEENS1_30default_config_static_selectorELNS0_4arch9wavefront6targetE0EEEvT1_: ; @_ZN7rocprim17ROCPRIM_400000_NS6detail17trampoline_kernelINS0_14default_configENS1_27scan_by_key_config_selectorIiiEEZZNS1_16scan_by_key_implILNS1_25lookback_scan_determinismE0ELb1ES3_N6thrust23THRUST_200600_302600_NS10device_ptrIiEESB_SB_iNS9_4plusIvEENS9_8equal_toIvEEiEE10hipError_tPvRmT2_T3_T4_T5_mT6_T7_P12ihipStream_tbENKUlT_T0_E_clISt17integral_constantIbLb0EESW_EEDaSR_SS_EUlSR_E_NS1_11comp_targetILNS1_3genE10ELNS1_11target_archE1200ELNS1_3gpuE4ELNS1_3repE0EEENS1_30default_config_static_selectorELNS0_4arch9wavefront6targetE0EEEvT1_
; %bb.0:
	.section	.rodata,"a",@progbits
	.p2align	6, 0x0
	.amdhsa_kernel _ZN7rocprim17ROCPRIM_400000_NS6detail17trampoline_kernelINS0_14default_configENS1_27scan_by_key_config_selectorIiiEEZZNS1_16scan_by_key_implILNS1_25lookback_scan_determinismE0ELb1ES3_N6thrust23THRUST_200600_302600_NS10device_ptrIiEESB_SB_iNS9_4plusIvEENS9_8equal_toIvEEiEE10hipError_tPvRmT2_T3_T4_T5_mT6_T7_P12ihipStream_tbENKUlT_T0_E_clISt17integral_constantIbLb0EESW_EEDaSR_SS_EUlSR_E_NS1_11comp_targetILNS1_3genE10ELNS1_11target_archE1200ELNS1_3gpuE4ELNS1_3repE0EEENS1_30default_config_static_selectorELNS0_4arch9wavefront6targetE0EEEvT1_
		.amdhsa_group_segment_fixed_size 0
		.amdhsa_private_segment_fixed_size 0
		.amdhsa_kernarg_size 112
		.amdhsa_user_sgpr_count 6
		.amdhsa_user_sgpr_private_segment_buffer 1
		.amdhsa_user_sgpr_dispatch_ptr 0
		.amdhsa_user_sgpr_queue_ptr 0
		.amdhsa_user_sgpr_kernarg_segment_ptr 1
		.amdhsa_user_sgpr_dispatch_id 0
		.amdhsa_user_sgpr_flat_scratch_init 0
		.amdhsa_user_sgpr_private_segment_size 0
		.amdhsa_wavefront_size32 1
		.amdhsa_uses_dynamic_stack 0
		.amdhsa_system_sgpr_private_segment_wavefront_offset 0
		.amdhsa_system_sgpr_workgroup_id_x 1
		.amdhsa_system_sgpr_workgroup_id_y 0
		.amdhsa_system_sgpr_workgroup_id_z 0
		.amdhsa_system_sgpr_workgroup_info 0
		.amdhsa_system_vgpr_workitem_id 0
		.amdhsa_next_free_vgpr 1
		.amdhsa_next_free_sgpr 1
		.amdhsa_reserve_vcc 0
		.amdhsa_reserve_flat_scratch 0
		.amdhsa_float_round_mode_32 0
		.amdhsa_float_round_mode_16_64 0
		.amdhsa_float_denorm_mode_32 3
		.amdhsa_float_denorm_mode_16_64 3
		.amdhsa_dx10_clamp 1
		.amdhsa_ieee_mode 1
		.amdhsa_fp16_overflow 0
		.amdhsa_workgroup_processor_mode 1
		.amdhsa_memory_ordered 1
		.amdhsa_forward_progress 1
		.amdhsa_shared_vgpr_count 0
		.amdhsa_exception_fp_ieee_invalid_op 0
		.amdhsa_exception_fp_denorm_src 0
		.amdhsa_exception_fp_ieee_div_zero 0
		.amdhsa_exception_fp_ieee_overflow 0
		.amdhsa_exception_fp_ieee_underflow 0
		.amdhsa_exception_fp_ieee_inexact 0
		.amdhsa_exception_int_div_zero 0
	.end_amdhsa_kernel
	.section	.text._ZN7rocprim17ROCPRIM_400000_NS6detail17trampoline_kernelINS0_14default_configENS1_27scan_by_key_config_selectorIiiEEZZNS1_16scan_by_key_implILNS1_25lookback_scan_determinismE0ELb1ES3_N6thrust23THRUST_200600_302600_NS10device_ptrIiEESB_SB_iNS9_4plusIvEENS9_8equal_toIvEEiEE10hipError_tPvRmT2_T3_T4_T5_mT6_T7_P12ihipStream_tbENKUlT_T0_E_clISt17integral_constantIbLb0EESW_EEDaSR_SS_EUlSR_E_NS1_11comp_targetILNS1_3genE10ELNS1_11target_archE1200ELNS1_3gpuE4ELNS1_3repE0EEENS1_30default_config_static_selectorELNS0_4arch9wavefront6targetE0EEEvT1_,"axG",@progbits,_ZN7rocprim17ROCPRIM_400000_NS6detail17trampoline_kernelINS0_14default_configENS1_27scan_by_key_config_selectorIiiEEZZNS1_16scan_by_key_implILNS1_25lookback_scan_determinismE0ELb1ES3_N6thrust23THRUST_200600_302600_NS10device_ptrIiEESB_SB_iNS9_4plusIvEENS9_8equal_toIvEEiEE10hipError_tPvRmT2_T3_T4_T5_mT6_T7_P12ihipStream_tbENKUlT_T0_E_clISt17integral_constantIbLb0EESW_EEDaSR_SS_EUlSR_E_NS1_11comp_targetILNS1_3genE10ELNS1_11target_archE1200ELNS1_3gpuE4ELNS1_3repE0EEENS1_30default_config_static_selectorELNS0_4arch9wavefront6targetE0EEEvT1_,comdat
.Lfunc_end2239:
	.size	_ZN7rocprim17ROCPRIM_400000_NS6detail17trampoline_kernelINS0_14default_configENS1_27scan_by_key_config_selectorIiiEEZZNS1_16scan_by_key_implILNS1_25lookback_scan_determinismE0ELb1ES3_N6thrust23THRUST_200600_302600_NS10device_ptrIiEESB_SB_iNS9_4plusIvEENS9_8equal_toIvEEiEE10hipError_tPvRmT2_T3_T4_T5_mT6_T7_P12ihipStream_tbENKUlT_T0_E_clISt17integral_constantIbLb0EESW_EEDaSR_SS_EUlSR_E_NS1_11comp_targetILNS1_3genE10ELNS1_11target_archE1200ELNS1_3gpuE4ELNS1_3repE0EEENS1_30default_config_static_selectorELNS0_4arch9wavefront6targetE0EEEvT1_, .Lfunc_end2239-_ZN7rocprim17ROCPRIM_400000_NS6detail17trampoline_kernelINS0_14default_configENS1_27scan_by_key_config_selectorIiiEEZZNS1_16scan_by_key_implILNS1_25lookback_scan_determinismE0ELb1ES3_N6thrust23THRUST_200600_302600_NS10device_ptrIiEESB_SB_iNS9_4plusIvEENS9_8equal_toIvEEiEE10hipError_tPvRmT2_T3_T4_T5_mT6_T7_P12ihipStream_tbENKUlT_T0_E_clISt17integral_constantIbLb0EESW_EEDaSR_SS_EUlSR_E_NS1_11comp_targetILNS1_3genE10ELNS1_11target_archE1200ELNS1_3gpuE4ELNS1_3repE0EEENS1_30default_config_static_selectorELNS0_4arch9wavefront6targetE0EEEvT1_
                                        ; -- End function
	.set _ZN7rocprim17ROCPRIM_400000_NS6detail17trampoline_kernelINS0_14default_configENS1_27scan_by_key_config_selectorIiiEEZZNS1_16scan_by_key_implILNS1_25lookback_scan_determinismE0ELb1ES3_N6thrust23THRUST_200600_302600_NS10device_ptrIiEESB_SB_iNS9_4plusIvEENS9_8equal_toIvEEiEE10hipError_tPvRmT2_T3_T4_T5_mT6_T7_P12ihipStream_tbENKUlT_T0_E_clISt17integral_constantIbLb0EESW_EEDaSR_SS_EUlSR_E_NS1_11comp_targetILNS1_3genE10ELNS1_11target_archE1200ELNS1_3gpuE4ELNS1_3repE0EEENS1_30default_config_static_selectorELNS0_4arch9wavefront6targetE0EEEvT1_.num_vgpr, 0
	.set _ZN7rocprim17ROCPRIM_400000_NS6detail17trampoline_kernelINS0_14default_configENS1_27scan_by_key_config_selectorIiiEEZZNS1_16scan_by_key_implILNS1_25lookback_scan_determinismE0ELb1ES3_N6thrust23THRUST_200600_302600_NS10device_ptrIiEESB_SB_iNS9_4plusIvEENS9_8equal_toIvEEiEE10hipError_tPvRmT2_T3_T4_T5_mT6_T7_P12ihipStream_tbENKUlT_T0_E_clISt17integral_constantIbLb0EESW_EEDaSR_SS_EUlSR_E_NS1_11comp_targetILNS1_3genE10ELNS1_11target_archE1200ELNS1_3gpuE4ELNS1_3repE0EEENS1_30default_config_static_selectorELNS0_4arch9wavefront6targetE0EEEvT1_.num_agpr, 0
	.set _ZN7rocprim17ROCPRIM_400000_NS6detail17trampoline_kernelINS0_14default_configENS1_27scan_by_key_config_selectorIiiEEZZNS1_16scan_by_key_implILNS1_25lookback_scan_determinismE0ELb1ES3_N6thrust23THRUST_200600_302600_NS10device_ptrIiEESB_SB_iNS9_4plusIvEENS9_8equal_toIvEEiEE10hipError_tPvRmT2_T3_T4_T5_mT6_T7_P12ihipStream_tbENKUlT_T0_E_clISt17integral_constantIbLb0EESW_EEDaSR_SS_EUlSR_E_NS1_11comp_targetILNS1_3genE10ELNS1_11target_archE1200ELNS1_3gpuE4ELNS1_3repE0EEENS1_30default_config_static_selectorELNS0_4arch9wavefront6targetE0EEEvT1_.numbered_sgpr, 0
	.set _ZN7rocprim17ROCPRIM_400000_NS6detail17trampoline_kernelINS0_14default_configENS1_27scan_by_key_config_selectorIiiEEZZNS1_16scan_by_key_implILNS1_25lookback_scan_determinismE0ELb1ES3_N6thrust23THRUST_200600_302600_NS10device_ptrIiEESB_SB_iNS9_4plusIvEENS9_8equal_toIvEEiEE10hipError_tPvRmT2_T3_T4_T5_mT6_T7_P12ihipStream_tbENKUlT_T0_E_clISt17integral_constantIbLb0EESW_EEDaSR_SS_EUlSR_E_NS1_11comp_targetILNS1_3genE10ELNS1_11target_archE1200ELNS1_3gpuE4ELNS1_3repE0EEENS1_30default_config_static_selectorELNS0_4arch9wavefront6targetE0EEEvT1_.num_named_barrier, 0
	.set _ZN7rocprim17ROCPRIM_400000_NS6detail17trampoline_kernelINS0_14default_configENS1_27scan_by_key_config_selectorIiiEEZZNS1_16scan_by_key_implILNS1_25lookback_scan_determinismE0ELb1ES3_N6thrust23THRUST_200600_302600_NS10device_ptrIiEESB_SB_iNS9_4plusIvEENS9_8equal_toIvEEiEE10hipError_tPvRmT2_T3_T4_T5_mT6_T7_P12ihipStream_tbENKUlT_T0_E_clISt17integral_constantIbLb0EESW_EEDaSR_SS_EUlSR_E_NS1_11comp_targetILNS1_3genE10ELNS1_11target_archE1200ELNS1_3gpuE4ELNS1_3repE0EEENS1_30default_config_static_selectorELNS0_4arch9wavefront6targetE0EEEvT1_.private_seg_size, 0
	.set _ZN7rocprim17ROCPRIM_400000_NS6detail17trampoline_kernelINS0_14default_configENS1_27scan_by_key_config_selectorIiiEEZZNS1_16scan_by_key_implILNS1_25lookback_scan_determinismE0ELb1ES3_N6thrust23THRUST_200600_302600_NS10device_ptrIiEESB_SB_iNS9_4plusIvEENS9_8equal_toIvEEiEE10hipError_tPvRmT2_T3_T4_T5_mT6_T7_P12ihipStream_tbENKUlT_T0_E_clISt17integral_constantIbLb0EESW_EEDaSR_SS_EUlSR_E_NS1_11comp_targetILNS1_3genE10ELNS1_11target_archE1200ELNS1_3gpuE4ELNS1_3repE0EEENS1_30default_config_static_selectorELNS0_4arch9wavefront6targetE0EEEvT1_.uses_vcc, 0
	.set _ZN7rocprim17ROCPRIM_400000_NS6detail17trampoline_kernelINS0_14default_configENS1_27scan_by_key_config_selectorIiiEEZZNS1_16scan_by_key_implILNS1_25lookback_scan_determinismE0ELb1ES3_N6thrust23THRUST_200600_302600_NS10device_ptrIiEESB_SB_iNS9_4plusIvEENS9_8equal_toIvEEiEE10hipError_tPvRmT2_T3_T4_T5_mT6_T7_P12ihipStream_tbENKUlT_T0_E_clISt17integral_constantIbLb0EESW_EEDaSR_SS_EUlSR_E_NS1_11comp_targetILNS1_3genE10ELNS1_11target_archE1200ELNS1_3gpuE4ELNS1_3repE0EEENS1_30default_config_static_selectorELNS0_4arch9wavefront6targetE0EEEvT1_.uses_flat_scratch, 0
	.set _ZN7rocprim17ROCPRIM_400000_NS6detail17trampoline_kernelINS0_14default_configENS1_27scan_by_key_config_selectorIiiEEZZNS1_16scan_by_key_implILNS1_25lookback_scan_determinismE0ELb1ES3_N6thrust23THRUST_200600_302600_NS10device_ptrIiEESB_SB_iNS9_4plusIvEENS9_8equal_toIvEEiEE10hipError_tPvRmT2_T3_T4_T5_mT6_T7_P12ihipStream_tbENKUlT_T0_E_clISt17integral_constantIbLb0EESW_EEDaSR_SS_EUlSR_E_NS1_11comp_targetILNS1_3genE10ELNS1_11target_archE1200ELNS1_3gpuE4ELNS1_3repE0EEENS1_30default_config_static_selectorELNS0_4arch9wavefront6targetE0EEEvT1_.has_dyn_sized_stack, 0
	.set _ZN7rocprim17ROCPRIM_400000_NS6detail17trampoline_kernelINS0_14default_configENS1_27scan_by_key_config_selectorIiiEEZZNS1_16scan_by_key_implILNS1_25lookback_scan_determinismE0ELb1ES3_N6thrust23THRUST_200600_302600_NS10device_ptrIiEESB_SB_iNS9_4plusIvEENS9_8equal_toIvEEiEE10hipError_tPvRmT2_T3_T4_T5_mT6_T7_P12ihipStream_tbENKUlT_T0_E_clISt17integral_constantIbLb0EESW_EEDaSR_SS_EUlSR_E_NS1_11comp_targetILNS1_3genE10ELNS1_11target_archE1200ELNS1_3gpuE4ELNS1_3repE0EEENS1_30default_config_static_selectorELNS0_4arch9wavefront6targetE0EEEvT1_.has_recursion, 0
	.set _ZN7rocprim17ROCPRIM_400000_NS6detail17trampoline_kernelINS0_14default_configENS1_27scan_by_key_config_selectorIiiEEZZNS1_16scan_by_key_implILNS1_25lookback_scan_determinismE0ELb1ES3_N6thrust23THRUST_200600_302600_NS10device_ptrIiEESB_SB_iNS9_4plusIvEENS9_8equal_toIvEEiEE10hipError_tPvRmT2_T3_T4_T5_mT6_T7_P12ihipStream_tbENKUlT_T0_E_clISt17integral_constantIbLb0EESW_EEDaSR_SS_EUlSR_E_NS1_11comp_targetILNS1_3genE10ELNS1_11target_archE1200ELNS1_3gpuE4ELNS1_3repE0EEENS1_30default_config_static_selectorELNS0_4arch9wavefront6targetE0EEEvT1_.has_indirect_call, 0
	.section	.AMDGPU.csdata,"",@progbits
; Kernel info:
; codeLenInByte = 0
; TotalNumSgprs: 0
; NumVgprs: 0
; ScratchSize: 0
; MemoryBound: 0
; FloatMode: 240
; IeeeMode: 1
; LDSByteSize: 0 bytes/workgroup (compile time only)
; SGPRBlocks: 0
; VGPRBlocks: 0
; NumSGPRsForWavesPerEU: 1
; NumVGPRsForWavesPerEU: 1
; Occupancy: 16
; WaveLimiterHint : 0
; COMPUTE_PGM_RSRC2:SCRATCH_EN: 0
; COMPUTE_PGM_RSRC2:USER_SGPR: 6
; COMPUTE_PGM_RSRC2:TRAP_HANDLER: 0
; COMPUTE_PGM_RSRC2:TGID_X_EN: 1
; COMPUTE_PGM_RSRC2:TGID_Y_EN: 0
; COMPUTE_PGM_RSRC2:TGID_Z_EN: 0
; COMPUTE_PGM_RSRC2:TIDIG_COMP_CNT: 0
	.section	.text._ZN7rocprim17ROCPRIM_400000_NS6detail17trampoline_kernelINS0_14default_configENS1_27scan_by_key_config_selectorIiiEEZZNS1_16scan_by_key_implILNS1_25lookback_scan_determinismE0ELb1ES3_N6thrust23THRUST_200600_302600_NS10device_ptrIiEESB_SB_iNS9_4plusIvEENS9_8equal_toIvEEiEE10hipError_tPvRmT2_T3_T4_T5_mT6_T7_P12ihipStream_tbENKUlT_T0_E_clISt17integral_constantIbLb0EESW_EEDaSR_SS_EUlSR_E_NS1_11comp_targetILNS1_3genE9ELNS1_11target_archE1100ELNS1_3gpuE3ELNS1_3repE0EEENS1_30default_config_static_selectorELNS0_4arch9wavefront6targetE0EEEvT1_,"axG",@progbits,_ZN7rocprim17ROCPRIM_400000_NS6detail17trampoline_kernelINS0_14default_configENS1_27scan_by_key_config_selectorIiiEEZZNS1_16scan_by_key_implILNS1_25lookback_scan_determinismE0ELb1ES3_N6thrust23THRUST_200600_302600_NS10device_ptrIiEESB_SB_iNS9_4plusIvEENS9_8equal_toIvEEiEE10hipError_tPvRmT2_T3_T4_T5_mT6_T7_P12ihipStream_tbENKUlT_T0_E_clISt17integral_constantIbLb0EESW_EEDaSR_SS_EUlSR_E_NS1_11comp_targetILNS1_3genE9ELNS1_11target_archE1100ELNS1_3gpuE3ELNS1_3repE0EEENS1_30default_config_static_selectorELNS0_4arch9wavefront6targetE0EEEvT1_,comdat
	.protected	_ZN7rocprim17ROCPRIM_400000_NS6detail17trampoline_kernelINS0_14default_configENS1_27scan_by_key_config_selectorIiiEEZZNS1_16scan_by_key_implILNS1_25lookback_scan_determinismE0ELb1ES3_N6thrust23THRUST_200600_302600_NS10device_ptrIiEESB_SB_iNS9_4plusIvEENS9_8equal_toIvEEiEE10hipError_tPvRmT2_T3_T4_T5_mT6_T7_P12ihipStream_tbENKUlT_T0_E_clISt17integral_constantIbLb0EESW_EEDaSR_SS_EUlSR_E_NS1_11comp_targetILNS1_3genE9ELNS1_11target_archE1100ELNS1_3gpuE3ELNS1_3repE0EEENS1_30default_config_static_selectorELNS0_4arch9wavefront6targetE0EEEvT1_ ; -- Begin function _ZN7rocprim17ROCPRIM_400000_NS6detail17trampoline_kernelINS0_14default_configENS1_27scan_by_key_config_selectorIiiEEZZNS1_16scan_by_key_implILNS1_25lookback_scan_determinismE0ELb1ES3_N6thrust23THRUST_200600_302600_NS10device_ptrIiEESB_SB_iNS9_4plusIvEENS9_8equal_toIvEEiEE10hipError_tPvRmT2_T3_T4_T5_mT6_T7_P12ihipStream_tbENKUlT_T0_E_clISt17integral_constantIbLb0EESW_EEDaSR_SS_EUlSR_E_NS1_11comp_targetILNS1_3genE9ELNS1_11target_archE1100ELNS1_3gpuE3ELNS1_3repE0EEENS1_30default_config_static_selectorELNS0_4arch9wavefront6targetE0EEEvT1_
	.globl	_ZN7rocprim17ROCPRIM_400000_NS6detail17trampoline_kernelINS0_14default_configENS1_27scan_by_key_config_selectorIiiEEZZNS1_16scan_by_key_implILNS1_25lookback_scan_determinismE0ELb1ES3_N6thrust23THRUST_200600_302600_NS10device_ptrIiEESB_SB_iNS9_4plusIvEENS9_8equal_toIvEEiEE10hipError_tPvRmT2_T3_T4_T5_mT6_T7_P12ihipStream_tbENKUlT_T0_E_clISt17integral_constantIbLb0EESW_EEDaSR_SS_EUlSR_E_NS1_11comp_targetILNS1_3genE9ELNS1_11target_archE1100ELNS1_3gpuE3ELNS1_3repE0EEENS1_30default_config_static_selectorELNS0_4arch9wavefront6targetE0EEEvT1_
	.p2align	8
	.type	_ZN7rocprim17ROCPRIM_400000_NS6detail17trampoline_kernelINS0_14default_configENS1_27scan_by_key_config_selectorIiiEEZZNS1_16scan_by_key_implILNS1_25lookback_scan_determinismE0ELb1ES3_N6thrust23THRUST_200600_302600_NS10device_ptrIiEESB_SB_iNS9_4plusIvEENS9_8equal_toIvEEiEE10hipError_tPvRmT2_T3_T4_T5_mT6_T7_P12ihipStream_tbENKUlT_T0_E_clISt17integral_constantIbLb0EESW_EEDaSR_SS_EUlSR_E_NS1_11comp_targetILNS1_3genE9ELNS1_11target_archE1100ELNS1_3gpuE3ELNS1_3repE0EEENS1_30default_config_static_selectorELNS0_4arch9wavefront6targetE0EEEvT1_,@function
_ZN7rocprim17ROCPRIM_400000_NS6detail17trampoline_kernelINS0_14default_configENS1_27scan_by_key_config_selectorIiiEEZZNS1_16scan_by_key_implILNS1_25lookback_scan_determinismE0ELb1ES3_N6thrust23THRUST_200600_302600_NS10device_ptrIiEESB_SB_iNS9_4plusIvEENS9_8equal_toIvEEiEE10hipError_tPvRmT2_T3_T4_T5_mT6_T7_P12ihipStream_tbENKUlT_T0_E_clISt17integral_constantIbLb0EESW_EEDaSR_SS_EUlSR_E_NS1_11comp_targetILNS1_3genE9ELNS1_11target_archE1100ELNS1_3gpuE3ELNS1_3repE0EEENS1_30default_config_static_selectorELNS0_4arch9wavefront6targetE0EEEvT1_: ; @_ZN7rocprim17ROCPRIM_400000_NS6detail17trampoline_kernelINS0_14default_configENS1_27scan_by_key_config_selectorIiiEEZZNS1_16scan_by_key_implILNS1_25lookback_scan_determinismE0ELb1ES3_N6thrust23THRUST_200600_302600_NS10device_ptrIiEESB_SB_iNS9_4plusIvEENS9_8equal_toIvEEiEE10hipError_tPvRmT2_T3_T4_T5_mT6_T7_P12ihipStream_tbENKUlT_T0_E_clISt17integral_constantIbLb0EESW_EEDaSR_SS_EUlSR_E_NS1_11comp_targetILNS1_3genE9ELNS1_11target_archE1100ELNS1_3gpuE3ELNS1_3repE0EEENS1_30default_config_static_selectorELNS0_4arch9wavefront6targetE0EEEvT1_
; %bb.0:
	.section	.rodata,"a",@progbits
	.p2align	6, 0x0
	.amdhsa_kernel _ZN7rocprim17ROCPRIM_400000_NS6detail17trampoline_kernelINS0_14default_configENS1_27scan_by_key_config_selectorIiiEEZZNS1_16scan_by_key_implILNS1_25lookback_scan_determinismE0ELb1ES3_N6thrust23THRUST_200600_302600_NS10device_ptrIiEESB_SB_iNS9_4plusIvEENS9_8equal_toIvEEiEE10hipError_tPvRmT2_T3_T4_T5_mT6_T7_P12ihipStream_tbENKUlT_T0_E_clISt17integral_constantIbLb0EESW_EEDaSR_SS_EUlSR_E_NS1_11comp_targetILNS1_3genE9ELNS1_11target_archE1100ELNS1_3gpuE3ELNS1_3repE0EEENS1_30default_config_static_selectorELNS0_4arch9wavefront6targetE0EEEvT1_
		.amdhsa_group_segment_fixed_size 0
		.amdhsa_private_segment_fixed_size 0
		.amdhsa_kernarg_size 112
		.amdhsa_user_sgpr_count 6
		.amdhsa_user_sgpr_private_segment_buffer 1
		.amdhsa_user_sgpr_dispatch_ptr 0
		.amdhsa_user_sgpr_queue_ptr 0
		.amdhsa_user_sgpr_kernarg_segment_ptr 1
		.amdhsa_user_sgpr_dispatch_id 0
		.amdhsa_user_sgpr_flat_scratch_init 0
		.amdhsa_user_sgpr_private_segment_size 0
		.amdhsa_wavefront_size32 1
		.amdhsa_uses_dynamic_stack 0
		.amdhsa_system_sgpr_private_segment_wavefront_offset 0
		.amdhsa_system_sgpr_workgroup_id_x 1
		.amdhsa_system_sgpr_workgroup_id_y 0
		.amdhsa_system_sgpr_workgroup_id_z 0
		.amdhsa_system_sgpr_workgroup_info 0
		.amdhsa_system_vgpr_workitem_id 0
		.amdhsa_next_free_vgpr 1
		.amdhsa_next_free_sgpr 1
		.amdhsa_reserve_vcc 0
		.amdhsa_reserve_flat_scratch 0
		.amdhsa_float_round_mode_32 0
		.amdhsa_float_round_mode_16_64 0
		.amdhsa_float_denorm_mode_32 3
		.amdhsa_float_denorm_mode_16_64 3
		.amdhsa_dx10_clamp 1
		.amdhsa_ieee_mode 1
		.amdhsa_fp16_overflow 0
		.amdhsa_workgroup_processor_mode 1
		.amdhsa_memory_ordered 1
		.amdhsa_forward_progress 1
		.amdhsa_shared_vgpr_count 0
		.amdhsa_exception_fp_ieee_invalid_op 0
		.amdhsa_exception_fp_denorm_src 0
		.amdhsa_exception_fp_ieee_div_zero 0
		.amdhsa_exception_fp_ieee_overflow 0
		.amdhsa_exception_fp_ieee_underflow 0
		.amdhsa_exception_fp_ieee_inexact 0
		.amdhsa_exception_int_div_zero 0
	.end_amdhsa_kernel
	.section	.text._ZN7rocprim17ROCPRIM_400000_NS6detail17trampoline_kernelINS0_14default_configENS1_27scan_by_key_config_selectorIiiEEZZNS1_16scan_by_key_implILNS1_25lookback_scan_determinismE0ELb1ES3_N6thrust23THRUST_200600_302600_NS10device_ptrIiEESB_SB_iNS9_4plusIvEENS9_8equal_toIvEEiEE10hipError_tPvRmT2_T3_T4_T5_mT6_T7_P12ihipStream_tbENKUlT_T0_E_clISt17integral_constantIbLb0EESW_EEDaSR_SS_EUlSR_E_NS1_11comp_targetILNS1_3genE9ELNS1_11target_archE1100ELNS1_3gpuE3ELNS1_3repE0EEENS1_30default_config_static_selectorELNS0_4arch9wavefront6targetE0EEEvT1_,"axG",@progbits,_ZN7rocprim17ROCPRIM_400000_NS6detail17trampoline_kernelINS0_14default_configENS1_27scan_by_key_config_selectorIiiEEZZNS1_16scan_by_key_implILNS1_25lookback_scan_determinismE0ELb1ES3_N6thrust23THRUST_200600_302600_NS10device_ptrIiEESB_SB_iNS9_4plusIvEENS9_8equal_toIvEEiEE10hipError_tPvRmT2_T3_T4_T5_mT6_T7_P12ihipStream_tbENKUlT_T0_E_clISt17integral_constantIbLb0EESW_EEDaSR_SS_EUlSR_E_NS1_11comp_targetILNS1_3genE9ELNS1_11target_archE1100ELNS1_3gpuE3ELNS1_3repE0EEENS1_30default_config_static_selectorELNS0_4arch9wavefront6targetE0EEEvT1_,comdat
.Lfunc_end2240:
	.size	_ZN7rocprim17ROCPRIM_400000_NS6detail17trampoline_kernelINS0_14default_configENS1_27scan_by_key_config_selectorIiiEEZZNS1_16scan_by_key_implILNS1_25lookback_scan_determinismE0ELb1ES3_N6thrust23THRUST_200600_302600_NS10device_ptrIiEESB_SB_iNS9_4plusIvEENS9_8equal_toIvEEiEE10hipError_tPvRmT2_T3_T4_T5_mT6_T7_P12ihipStream_tbENKUlT_T0_E_clISt17integral_constantIbLb0EESW_EEDaSR_SS_EUlSR_E_NS1_11comp_targetILNS1_3genE9ELNS1_11target_archE1100ELNS1_3gpuE3ELNS1_3repE0EEENS1_30default_config_static_selectorELNS0_4arch9wavefront6targetE0EEEvT1_, .Lfunc_end2240-_ZN7rocprim17ROCPRIM_400000_NS6detail17trampoline_kernelINS0_14default_configENS1_27scan_by_key_config_selectorIiiEEZZNS1_16scan_by_key_implILNS1_25lookback_scan_determinismE0ELb1ES3_N6thrust23THRUST_200600_302600_NS10device_ptrIiEESB_SB_iNS9_4plusIvEENS9_8equal_toIvEEiEE10hipError_tPvRmT2_T3_T4_T5_mT6_T7_P12ihipStream_tbENKUlT_T0_E_clISt17integral_constantIbLb0EESW_EEDaSR_SS_EUlSR_E_NS1_11comp_targetILNS1_3genE9ELNS1_11target_archE1100ELNS1_3gpuE3ELNS1_3repE0EEENS1_30default_config_static_selectorELNS0_4arch9wavefront6targetE0EEEvT1_
                                        ; -- End function
	.set _ZN7rocprim17ROCPRIM_400000_NS6detail17trampoline_kernelINS0_14default_configENS1_27scan_by_key_config_selectorIiiEEZZNS1_16scan_by_key_implILNS1_25lookback_scan_determinismE0ELb1ES3_N6thrust23THRUST_200600_302600_NS10device_ptrIiEESB_SB_iNS9_4plusIvEENS9_8equal_toIvEEiEE10hipError_tPvRmT2_T3_T4_T5_mT6_T7_P12ihipStream_tbENKUlT_T0_E_clISt17integral_constantIbLb0EESW_EEDaSR_SS_EUlSR_E_NS1_11comp_targetILNS1_3genE9ELNS1_11target_archE1100ELNS1_3gpuE3ELNS1_3repE0EEENS1_30default_config_static_selectorELNS0_4arch9wavefront6targetE0EEEvT1_.num_vgpr, 0
	.set _ZN7rocprim17ROCPRIM_400000_NS6detail17trampoline_kernelINS0_14default_configENS1_27scan_by_key_config_selectorIiiEEZZNS1_16scan_by_key_implILNS1_25lookback_scan_determinismE0ELb1ES3_N6thrust23THRUST_200600_302600_NS10device_ptrIiEESB_SB_iNS9_4plusIvEENS9_8equal_toIvEEiEE10hipError_tPvRmT2_T3_T4_T5_mT6_T7_P12ihipStream_tbENKUlT_T0_E_clISt17integral_constantIbLb0EESW_EEDaSR_SS_EUlSR_E_NS1_11comp_targetILNS1_3genE9ELNS1_11target_archE1100ELNS1_3gpuE3ELNS1_3repE0EEENS1_30default_config_static_selectorELNS0_4arch9wavefront6targetE0EEEvT1_.num_agpr, 0
	.set _ZN7rocprim17ROCPRIM_400000_NS6detail17trampoline_kernelINS0_14default_configENS1_27scan_by_key_config_selectorIiiEEZZNS1_16scan_by_key_implILNS1_25lookback_scan_determinismE0ELb1ES3_N6thrust23THRUST_200600_302600_NS10device_ptrIiEESB_SB_iNS9_4plusIvEENS9_8equal_toIvEEiEE10hipError_tPvRmT2_T3_T4_T5_mT6_T7_P12ihipStream_tbENKUlT_T0_E_clISt17integral_constantIbLb0EESW_EEDaSR_SS_EUlSR_E_NS1_11comp_targetILNS1_3genE9ELNS1_11target_archE1100ELNS1_3gpuE3ELNS1_3repE0EEENS1_30default_config_static_selectorELNS0_4arch9wavefront6targetE0EEEvT1_.numbered_sgpr, 0
	.set _ZN7rocprim17ROCPRIM_400000_NS6detail17trampoline_kernelINS0_14default_configENS1_27scan_by_key_config_selectorIiiEEZZNS1_16scan_by_key_implILNS1_25lookback_scan_determinismE0ELb1ES3_N6thrust23THRUST_200600_302600_NS10device_ptrIiEESB_SB_iNS9_4plusIvEENS9_8equal_toIvEEiEE10hipError_tPvRmT2_T3_T4_T5_mT6_T7_P12ihipStream_tbENKUlT_T0_E_clISt17integral_constantIbLb0EESW_EEDaSR_SS_EUlSR_E_NS1_11comp_targetILNS1_3genE9ELNS1_11target_archE1100ELNS1_3gpuE3ELNS1_3repE0EEENS1_30default_config_static_selectorELNS0_4arch9wavefront6targetE0EEEvT1_.num_named_barrier, 0
	.set _ZN7rocprim17ROCPRIM_400000_NS6detail17trampoline_kernelINS0_14default_configENS1_27scan_by_key_config_selectorIiiEEZZNS1_16scan_by_key_implILNS1_25lookback_scan_determinismE0ELb1ES3_N6thrust23THRUST_200600_302600_NS10device_ptrIiEESB_SB_iNS9_4plusIvEENS9_8equal_toIvEEiEE10hipError_tPvRmT2_T3_T4_T5_mT6_T7_P12ihipStream_tbENKUlT_T0_E_clISt17integral_constantIbLb0EESW_EEDaSR_SS_EUlSR_E_NS1_11comp_targetILNS1_3genE9ELNS1_11target_archE1100ELNS1_3gpuE3ELNS1_3repE0EEENS1_30default_config_static_selectorELNS0_4arch9wavefront6targetE0EEEvT1_.private_seg_size, 0
	.set _ZN7rocprim17ROCPRIM_400000_NS6detail17trampoline_kernelINS0_14default_configENS1_27scan_by_key_config_selectorIiiEEZZNS1_16scan_by_key_implILNS1_25lookback_scan_determinismE0ELb1ES3_N6thrust23THRUST_200600_302600_NS10device_ptrIiEESB_SB_iNS9_4plusIvEENS9_8equal_toIvEEiEE10hipError_tPvRmT2_T3_T4_T5_mT6_T7_P12ihipStream_tbENKUlT_T0_E_clISt17integral_constantIbLb0EESW_EEDaSR_SS_EUlSR_E_NS1_11comp_targetILNS1_3genE9ELNS1_11target_archE1100ELNS1_3gpuE3ELNS1_3repE0EEENS1_30default_config_static_selectorELNS0_4arch9wavefront6targetE0EEEvT1_.uses_vcc, 0
	.set _ZN7rocprim17ROCPRIM_400000_NS6detail17trampoline_kernelINS0_14default_configENS1_27scan_by_key_config_selectorIiiEEZZNS1_16scan_by_key_implILNS1_25lookback_scan_determinismE0ELb1ES3_N6thrust23THRUST_200600_302600_NS10device_ptrIiEESB_SB_iNS9_4plusIvEENS9_8equal_toIvEEiEE10hipError_tPvRmT2_T3_T4_T5_mT6_T7_P12ihipStream_tbENKUlT_T0_E_clISt17integral_constantIbLb0EESW_EEDaSR_SS_EUlSR_E_NS1_11comp_targetILNS1_3genE9ELNS1_11target_archE1100ELNS1_3gpuE3ELNS1_3repE0EEENS1_30default_config_static_selectorELNS0_4arch9wavefront6targetE0EEEvT1_.uses_flat_scratch, 0
	.set _ZN7rocprim17ROCPRIM_400000_NS6detail17trampoline_kernelINS0_14default_configENS1_27scan_by_key_config_selectorIiiEEZZNS1_16scan_by_key_implILNS1_25lookback_scan_determinismE0ELb1ES3_N6thrust23THRUST_200600_302600_NS10device_ptrIiEESB_SB_iNS9_4plusIvEENS9_8equal_toIvEEiEE10hipError_tPvRmT2_T3_T4_T5_mT6_T7_P12ihipStream_tbENKUlT_T0_E_clISt17integral_constantIbLb0EESW_EEDaSR_SS_EUlSR_E_NS1_11comp_targetILNS1_3genE9ELNS1_11target_archE1100ELNS1_3gpuE3ELNS1_3repE0EEENS1_30default_config_static_selectorELNS0_4arch9wavefront6targetE0EEEvT1_.has_dyn_sized_stack, 0
	.set _ZN7rocprim17ROCPRIM_400000_NS6detail17trampoline_kernelINS0_14default_configENS1_27scan_by_key_config_selectorIiiEEZZNS1_16scan_by_key_implILNS1_25lookback_scan_determinismE0ELb1ES3_N6thrust23THRUST_200600_302600_NS10device_ptrIiEESB_SB_iNS9_4plusIvEENS9_8equal_toIvEEiEE10hipError_tPvRmT2_T3_T4_T5_mT6_T7_P12ihipStream_tbENKUlT_T0_E_clISt17integral_constantIbLb0EESW_EEDaSR_SS_EUlSR_E_NS1_11comp_targetILNS1_3genE9ELNS1_11target_archE1100ELNS1_3gpuE3ELNS1_3repE0EEENS1_30default_config_static_selectorELNS0_4arch9wavefront6targetE0EEEvT1_.has_recursion, 0
	.set _ZN7rocprim17ROCPRIM_400000_NS6detail17trampoline_kernelINS0_14default_configENS1_27scan_by_key_config_selectorIiiEEZZNS1_16scan_by_key_implILNS1_25lookback_scan_determinismE0ELb1ES3_N6thrust23THRUST_200600_302600_NS10device_ptrIiEESB_SB_iNS9_4plusIvEENS9_8equal_toIvEEiEE10hipError_tPvRmT2_T3_T4_T5_mT6_T7_P12ihipStream_tbENKUlT_T0_E_clISt17integral_constantIbLb0EESW_EEDaSR_SS_EUlSR_E_NS1_11comp_targetILNS1_3genE9ELNS1_11target_archE1100ELNS1_3gpuE3ELNS1_3repE0EEENS1_30default_config_static_selectorELNS0_4arch9wavefront6targetE0EEEvT1_.has_indirect_call, 0
	.section	.AMDGPU.csdata,"",@progbits
; Kernel info:
; codeLenInByte = 0
; TotalNumSgprs: 0
; NumVgprs: 0
; ScratchSize: 0
; MemoryBound: 0
; FloatMode: 240
; IeeeMode: 1
; LDSByteSize: 0 bytes/workgroup (compile time only)
; SGPRBlocks: 0
; VGPRBlocks: 0
; NumSGPRsForWavesPerEU: 1
; NumVGPRsForWavesPerEU: 1
; Occupancy: 16
; WaveLimiterHint : 0
; COMPUTE_PGM_RSRC2:SCRATCH_EN: 0
; COMPUTE_PGM_RSRC2:USER_SGPR: 6
; COMPUTE_PGM_RSRC2:TRAP_HANDLER: 0
; COMPUTE_PGM_RSRC2:TGID_X_EN: 1
; COMPUTE_PGM_RSRC2:TGID_Y_EN: 0
; COMPUTE_PGM_RSRC2:TGID_Z_EN: 0
; COMPUTE_PGM_RSRC2:TIDIG_COMP_CNT: 0
	.section	.text._ZN7rocprim17ROCPRIM_400000_NS6detail17trampoline_kernelINS0_14default_configENS1_27scan_by_key_config_selectorIiiEEZZNS1_16scan_by_key_implILNS1_25lookback_scan_determinismE0ELb1ES3_N6thrust23THRUST_200600_302600_NS10device_ptrIiEESB_SB_iNS9_4plusIvEENS9_8equal_toIvEEiEE10hipError_tPvRmT2_T3_T4_T5_mT6_T7_P12ihipStream_tbENKUlT_T0_E_clISt17integral_constantIbLb0EESW_EEDaSR_SS_EUlSR_E_NS1_11comp_targetILNS1_3genE8ELNS1_11target_archE1030ELNS1_3gpuE2ELNS1_3repE0EEENS1_30default_config_static_selectorELNS0_4arch9wavefront6targetE0EEEvT1_,"axG",@progbits,_ZN7rocprim17ROCPRIM_400000_NS6detail17trampoline_kernelINS0_14default_configENS1_27scan_by_key_config_selectorIiiEEZZNS1_16scan_by_key_implILNS1_25lookback_scan_determinismE0ELb1ES3_N6thrust23THRUST_200600_302600_NS10device_ptrIiEESB_SB_iNS9_4plusIvEENS9_8equal_toIvEEiEE10hipError_tPvRmT2_T3_T4_T5_mT6_T7_P12ihipStream_tbENKUlT_T0_E_clISt17integral_constantIbLb0EESW_EEDaSR_SS_EUlSR_E_NS1_11comp_targetILNS1_3genE8ELNS1_11target_archE1030ELNS1_3gpuE2ELNS1_3repE0EEENS1_30default_config_static_selectorELNS0_4arch9wavefront6targetE0EEEvT1_,comdat
	.protected	_ZN7rocprim17ROCPRIM_400000_NS6detail17trampoline_kernelINS0_14default_configENS1_27scan_by_key_config_selectorIiiEEZZNS1_16scan_by_key_implILNS1_25lookback_scan_determinismE0ELb1ES3_N6thrust23THRUST_200600_302600_NS10device_ptrIiEESB_SB_iNS9_4plusIvEENS9_8equal_toIvEEiEE10hipError_tPvRmT2_T3_T4_T5_mT6_T7_P12ihipStream_tbENKUlT_T0_E_clISt17integral_constantIbLb0EESW_EEDaSR_SS_EUlSR_E_NS1_11comp_targetILNS1_3genE8ELNS1_11target_archE1030ELNS1_3gpuE2ELNS1_3repE0EEENS1_30default_config_static_selectorELNS0_4arch9wavefront6targetE0EEEvT1_ ; -- Begin function _ZN7rocprim17ROCPRIM_400000_NS6detail17trampoline_kernelINS0_14default_configENS1_27scan_by_key_config_selectorIiiEEZZNS1_16scan_by_key_implILNS1_25lookback_scan_determinismE0ELb1ES3_N6thrust23THRUST_200600_302600_NS10device_ptrIiEESB_SB_iNS9_4plusIvEENS9_8equal_toIvEEiEE10hipError_tPvRmT2_T3_T4_T5_mT6_T7_P12ihipStream_tbENKUlT_T0_E_clISt17integral_constantIbLb0EESW_EEDaSR_SS_EUlSR_E_NS1_11comp_targetILNS1_3genE8ELNS1_11target_archE1030ELNS1_3gpuE2ELNS1_3repE0EEENS1_30default_config_static_selectorELNS0_4arch9wavefront6targetE0EEEvT1_
	.globl	_ZN7rocprim17ROCPRIM_400000_NS6detail17trampoline_kernelINS0_14default_configENS1_27scan_by_key_config_selectorIiiEEZZNS1_16scan_by_key_implILNS1_25lookback_scan_determinismE0ELb1ES3_N6thrust23THRUST_200600_302600_NS10device_ptrIiEESB_SB_iNS9_4plusIvEENS9_8equal_toIvEEiEE10hipError_tPvRmT2_T3_T4_T5_mT6_T7_P12ihipStream_tbENKUlT_T0_E_clISt17integral_constantIbLb0EESW_EEDaSR_SS_EUlSR_E_NS1_11comp_targetILNS1_3genE8ELNS1_11target_archE1030ELNS1_3gpuE2ELNS1_3repE0EEENS1_30default_config_static_selectorELNS0_4arch9wavefront6targetE0EEEvT1_
	.p2align	8
	.type	_ZN7rocprim17ROCPRIM_400000_NS6detail17trampoline_kernelINS0_14default_configENS1_27scan_by_key_config_selectorIiiEEZZNS1_16scan_by_key_implILNS1_25lookback_scan_determinismE0ELb1ES3_N6thrust23THRUST_200600_302600_NS10device_ptrIiEESB_SB_iNS9_4plusIvEENS9_8equal_toIvEEiEE10hipError_tPvRmT2_T3_T4_T5_mT6_T7_P12ihipStream_tbENKUlT_T0_E_clISt17integral_constantIbLb0EESW_EEDaSR_SS_EUlSR_E_NS1_11comp_targetILNS1_3genE8ELNS1_11target_archE1030ELNS1_3gpuE2ELNS1_3repE0EEENS1_30default_config_static_selectorELNS0_4arch9wavefront6targetE0EEEvT1_,@function
_ZN7rocprim17ROCPRIM_400000_NS6detail17trampoline_kernelINS0_14default_configENS1_27scan_by_key_config_selectorIiiEEZZNS1_16scan_by_key_implILNS1_25lookback_scan_determinismE0ELb1ES3_N6thrust23THRUST_200600_302600_NS10device_ptrIiEESB_SB_iNS9_4plusIvEENS9_8equal_toIvEEiEE10hipError_tPvRmT2_T3_T4_T5_mT6_T7_P12ihipStream_tbENKUlT_T0_E_clISt17integral_constantIbLb0EESW_EEDaSR_SS_EUlSR_E_NS1_11comp_targetILNS1_3genE8ELNS1_11target_archE1030ELNS1_3gpuE2ELNS1_3repE0EEENS1_30default_config_static_selectorELNS0_4arch9wavefront6targetE0EEEvT1_: ; @_ZN7rocprim17ROCPRIM_400000_NS6detail17trampoline_kernelINS0_14default_configENS1_27scan_by_key_config_selectorIiiEEZZNS1_16scan_by_key_implILNS1_25lookback_scan_determinismE0ELb1ES3_N6thrust23THRUST_200600_302600_NS10device_ptrIiEESB_SB_iNS9_4plusIvEENS9_8equal_toIvEEiEE10hipError_tPvRmT2_T3_T4_T5_mT6_T7_P12ihipStream_tbENKUlT_T0_E_clISt17integral_constantIbLb0EESW_EEDaSR_SS_EUlSR_E_NS1_11comp_targetILNS1_3genE8ELNS1_11target_archE1030ELNS1_3gpuE2ELNS1_3repE0EEENS1_30default_config_static_selectorELNS0_4arch9wavefront6targetE0EEEvT1_
; %bb.0:
	s_clause 0x5
	s_load_dwordx8 s[8:15], s[4:5], 0x0
	s_load_dwordx2 s[24:25], s[4:5], 0x38
	s_load_dword s2, s[4:5], 0x40
	s_load_dwordx4 s[20:23], s[4:5], 0x48
	s_load_dword s26, s[4:5], 0x20
	s_load_dwordx4 s[16:19], s[4:5], 0x28
	s_mov_b32 s1, 0
	s_mul_i32 s0, s6, 0x300
	s_waitcnt lgkmcnt(0)
	s_barrier
	buffer_gl0_inv
	s_lshl_b64 s[4:5], s[10:11], 2
	s_add_u32 s10, s8, s4
	s_addc_u32 s11, s9, s5
	s_mul_i32 s3, s25, s2
	s_mul_hi_u32 s7, s24, s2
	s_add_u32 s12, s12, s4
	s_addc_u32 s13, s13, s5
	s_lshl_b64 s[8:9], s[0:1], 2
	s_add_i32 s7, s7, s3
	s_add_u32 s10, s10, s8
	s_addc_u32 s11, s11, s9
	s_mul_i32 s0, s24, s2
	s_add_u32 s3, s12, s8
	s_addc_u32 s13, s13, s9
	s_add_u32 s28, s0, s6
	s_addc_u32 s29, s7, 0
	s_add_u32 s20, s20, -1
	s_addc_u32 s21, s21, -1
	s_mul_i32 s12, s20, 0xfffffd00
	v_cmp_ge_u64_e64 s7, s[28:29], s[20:21]
	s_and_b32 vcc_lo, exec_lo, s7
	s_cbranch_vccz .LBB2241_20
; %bb.1:
	v_mov_b32_e32 v1, s10
	v_mov_b32_e32 v2, s11
	s_add_i32 s19, s12, s18
	v_cmp_gt_u32_e32 vcc_lo, s19, v0
	flat_load_dword v1, v[1:2]
	s_waitcnt vmcnt(0) lgkmcnt(0)
	v_mov_b32_e32 v2, v1
	s_and_saveexec_b32 s0, vcc_lo
	s_cbranch_execz .LBB2241_3
; %bb.2:
	v_lshlrev_b32_e32 v2, 2, v0
	v_add_co_u32 v2, s1, s10, v2
	v_add_co_ci_u32_e64 v3, null, s11, 0, s1
	flat_load_dword v2, v[2:3]
.LBB2241_3:
	s_or_b32 exec_lo, exec_lo, s0
	v_or_b32_e32 v3, 0x100, v0
	v_cmp_gt_u32_e64 s0, s19, v3
	v_mov_b32_e32 v3, v1
	s_and_saveexec_b32 s1, s0
	s_cbranch_execz .LBB2241_5
; %bb.4:
	v_lshlrev_b32_e32 v3, 2, v0
	v_add_co_u32 v3, s2, s10, v3
	v_add_co_ci_u32_e64 v4, null, s11, 0, s2
	flat_load_dword v3, v[3:4] offset:1024
.LBB2241_5:
	s_or_b32 exec_lo, exec_lo, s1
	v_or_b32_e32 v4, 0x200, v0
	v_cmp_gt_u32_e64 s1, s19, v4
	v_lshlrev_b32_e32 v9, 2, v4
	s_and_saveexec_b32 s2, s1
	s_cbranch_execz .LBB2241_7
; %bb.6:
	v_add_co_u32 v4, s20, s10, v9
	v_add_co_ci_u32_e64 v5, null, s11, 0, s20
	flat_load_dword v1, v[4:5]
.LBB2241_7:
	s_or_b32 exec_lo, exec_lo, s2
	v_mov_b32_e32 v4, s10
	v_lshlrev_b32_e32 v10, 2, v0
	v_mov_b32_e32 v5, s11
	s_mov_b32 s20, exec_lo
	s_waitcnt vmcnt(0) lgkmcnt(0)
	ds_write2st64_b32 v10, v2, v3 offset1:4
	ds_write_b32 v10, v1 offset:2048
	s_waitcnt lgkmcnt(0)
	s_barrier
	buffer_gl0_inv
	flat_load_dword v8, v[4:5]
	v_lshlrev_b32_e32 v1, 3, v0
	v_add_nc_u32_e32 v6, v10, v1
	ds_read_b32 v7, v6
	ds_read2_b32 v[4:5], v6 offset0:1 offset1:2
	s_waitcnt lgkmcnt(1)
	ds_write_b32 v10, v7 offset:4096
	s_waitcnt vmcnt(0) lgkmcnt(0)
	s_barrier
	buffer_gl0_inv
	v_cmpx_ne_u32_e32 0xff, v0
; %bb.8:
	v_sub_nc_u32_e32 v1, 0, v1
	v_add_nc_u32_e32 v1, v6, v1
	ds_read_b32 v8, v1 offset:4100
; %bb.9:
	s_or_b32 exec_lo, exec_lo, s20
	v_mov_b32_e32 v1, 0
	s_waitcnt lgkmcnt(0)
	s_barrier
	buffer_gl0_inv
	v_mov_b32_e32 v2, v1
	v_mov_b32_e32 v3, v1
	s_and_saveexec_b32 s2, vcc_lo
	s_cbranch_execnz .LBB2241_90
; %bb.10:
	s_or_b32 exec_lo, exec_lo, s2
	s_and_saveexec_b32 s2, s0
	s_cbranch_execnz .LBB2241_91
.LBB2241_11:
	s_or_b32 exec_lo, exec_lo, s2
	v_mul_u32_u24_e32 v13, 3, v0
	s_and_saveexec_b32 s0, s1
	s_cbranch_execz .LBB2241_13
.LBB2241_12:
	v_add_co_u32 v11, s1, s3, v9
	v_add_co_ci_u32_e64 v12, null, s13, 0, s1
	flat_load_dword v3, v[11:12]
.LBB2241_13:
	s_or_b32 exec_lo, exec_lo, s0
	s_waitcnt vmcnt(0) lgkmcnt(0)
	ds_write2st64_b32 v10, v1, v2 offset1:4
	ds_write_b32 v10, v3 offset:2048
	v_mov_b32_e32 v9, 0
	v_mov_b32_e32 v1, 0
	;; [unrolled: 1-line block ×6, first 2 shown]
	s_mov_b32 s2, 0
	s_mov_b32 s1, 0
	s_mov_b32 s20, exec_lo
	s_waitcnt lgkmcnt(0)
	s_barrier
	buffer_gl0_inv
                                        ; implicit-def: $sgpr0
                                        ; implicit-def: $vgpr3
	v_cmpx_gt_u32_e64 s19, v13
	s_cbranch_execz .LBB2241_19
; %bb.14:
	ds_read_b32 v3, v6
	v_cmp_ne_u32_e32 vcc_lo, v7, v4
	v_mov_b32_e32 v1, 0
	v_add_nc_u32_e32 v11, 1, v13
	v_mov_b32_e32 v2, 0
	s_mov_b32 s21, 0
	v_cndmask_b32_e64 v10, 0, 1, vcc_lo
	v_cmp_eq_u32_e32 vcc_lo, v7, v4
	s_mov_b32 s1, exec_lo
                                        ; implicit-def: $sgpr0
	s_waitcnt lgkmcnt(0)
	v_cndmask_b32_e32 v9, s26, v3, vcc_lo
                                        ; implicit-def: $vgpr3
	v_cmpx_gt_u32_e64 s19, v11
	s_cbranch_execz .LBB2241_18
; %bb.15:
	ds_read2_b32 v[6:7], v6 offset0:1 offset1:2
	v_cmp_ne_u32_e32 vcc_lo, v4, v5
	v_add_nc_u32_e32 v3, 2, v13
                                        ; implicit-def: $sgpr0
	v_cndmask_b32_e64 v2, 0, 1, vcc_lo
	v_cmp_eq_u32_e32 vcc_lo, v4, v5
	s_waitcnt lgkmcnt(0)
	v_cndmask_b32_e32 v1, s26, v6, vcc_lo
	v_cmp_gt_u32_e32 vcc_lo, s19, v3
	s_mov_b32 s19, 0
                                        ; implicit-def: $vgpr3
	s_and_saveexec_b32 s21, vcc_lo
	s_xor_b32 s21, exec_lo, s21
; %bb.16:
	v_cmp_ne_u32_e64 s0, v5, v8
	s_mov_b32 s19, exec_lo
	v_cndmask_b32_e64 v3, v7, s26, s0
; %bb.17:
	s_or_b32 exec_lo, exec_lo, s21
	s_and_b32 s21, s19, exec_lo
.LBB2241_18:
	s_or_b32 exec_lo, exec_lo, s1
	v_mov_b32_e32 v12, v2
	v_mov_b32_e32 v11, v1
	s_and_b32 s1, s21, exec_lo
.LBB2241_19:
	s_or_b32 exec_lo, exec_lo, s20
	v_lshlrev_b32_e32 v18, 2, v0
	v_lshlrev_b32_e32 v19, 3, v0
	s_and_b32 vcc_lo, exec_lo, s2
	s_cbranch_vccnz .LBB2241_21
	s_branch .LBB2241_24
.LBB2241_20:
                                        ; implicit-def: $sgpr0
                                        ; implicit-def: $vgpr3
                                        ; implicit-def: $vgpr9_vgpr10
                                        ; implicit-def: $vgpr1_vgpr2
                                        ; implicit-def: $vgpr11_vgpr12
	v_lshlrev_b32_e32 v18, 2, v0
	v_lshlrev_b32_e32 v19, 3, v0
	s_cbranch_execz .LBB2241_24
.LBB2241_21:
	v_add_co_u32 v1, s0, s10, v18
	v_add_co_ci_u32_e64 v2, null, s11, 0, s0
	v_add_co_u32 v3, vcc_lo, 0x800, v1
	v_add_co_ci_u32_e64 v4, null, 0, v2, vcc_lo
	s_clause 0x2
	flat_load_dword v5, v[1:2]
	flat_load_dword v6, v[1:2] offset:1024
	flat_load_dword v3, v[3:4]
	v_add_co_u32 v1, s0, 0x800, s10
	v_add_co_ci_u32_e64 v2, null, 0, s11, s0
	s_mov_b32 s0, exec_lo
	s_waitcnt vmcnt(1) lgkmcnt(1)
	ds_write2st64_b32 v18, v5, v6 offset1:4
	s_waitcnt vmcnt(0) lgkmcnt(1)
	ds_write_b32 v18, v3 offset:2048
	s_waitcnt lgkmcnt(0)
	s_barrier
	buffer_gl0_inv
	flat_load_dword v5, v[1:2] offset:1024
	v_add_nc_u32_e32 v1, v18, v19
	ds_read_b32 v6, v1
	ds_read2_b32 v[3:4], v1 offset0:1 offset1:2
	s_waitcnt lgkmcnt(1)
	ds_write_b32 v18, v6 offset:4096
	s_waitcnt vmcnt(0) lgkmcnt(0)
	s_barrier
	buffer_gl0_inv
	v_cmpx_ne_u32_e32 0xff, v0
; %bb.22:
	v_sub_nc_u32_e32 v2, 0, v19
	v_add_nc_u32_e32 v2, v1, v2
	ds_read_b32 v5, v2 offset:4100
; %bb.23:
	s_or_b32 exec_lo, exec_lo, s0
	v_add_co_u32 v7, s0, s3, v18
	v_add_co_ci_u32_e64 v8, null, s13, 0, s0
	s_waitcnt lgkmcnt(0)
	v_add_co_u32 v9, vcc_lo, 0x800, v7
	v_add_co_ci_u32_e64 v10, null, 0, v8, vcc_lo
	s_barrier
	buffer_gl0_inv
	s_clause 0x2
	flat_load_dword v2, v[7:8]
	flat_load_dword v7, v[7:8] offset:1024
	flat_load_dword v8, v[9:10]
	v_cmp_eq_u32_e32 vcc_lo, v6, v3
	v_cmp_ne_u32_e64 s0, v4, v5
	s_mov_b32 s1, -1
	s_waitcnt vmcnt(1) lgkmcnt(1)
	ds_write2st64_b32 v18, v2, v7 offset1:4
	s_waitcnt vmcnt(0) lgkmcnt(1)
	ds_write_b32 v18, v8 offset:2048
	s_waitcnt lgkmcnt(0)
	s_barrier
	buffer_gl0_inv
	ds_read2_b32 v[7:8], v1 offset1:1
	ds_read_b32 v11, v1 offset:8
	s_waitcnt lgkmcnt(1)
	v_cndmask_b32_e32 v9, s26, v7, vcc_lo
	v_cmp_eq_u32_e32 vcc_lo, v3, v4
	v_cndmask_b32_e32 v1, s26, v8, vcc_lo
	v_cmp_ne_u32_e32 vcc_lo, v3, v4
	v_cndmask_b32_e64 v2, 0, 1, vcc_lo
	v_cmp_ne_u32_e32 vcc_lo, v6, v3
	s_waitcnt lgkmcnt(0)
	v_cndmask_b32_e64 v3, v11, s26, s0
	v_mov_b32_e32 v12, v2
	v_cndmask_b32_e64 v10, 0, 1, vcc_lo
	v_mov_b32_e32 v11, v1
.LBB2241_24:
	v_mov_b32_e32 v13, 0
	v_mov_b32_e32 v14, 0
	s_and_saveexec_b32 s2, s1
; %bb.25:
	v_cndmask_b32_e64 v4, 0, 1, s0
	v_mov_b32_e32 v12, v2
	v_mov_b32_e32 v11, v1
	;; [unrolled: 1-line block ×4, first 2 shown]
; %bb.26:
	s_or_b32 exec_lo, exec_lo, s2
	v_or_b32_e32 v23, v12, v14
	v_mbcnt_lo_u32_b32 v20, -1, 0
	v_lshrrev_b32_e32 v21, 5, v0
	v_or_b32_e32 v22, 31, v0
	s_cmp_lg_u32 s6, 0
	s_mov_b32 s2, 0
	s_barrier
	buffer_gl0_inv
	s_cbranch_scc0 .LBB2241_52
; %bb.27:
	v_and_b32_e32 v2, 0xff, v23
	v_mov_b32_e32 v1, 0
	s_mov_b32 s3, 1
	v_cmp_gt_u64_e64 s0, s[2:3], v[11:12]
	v_cmp_eq_u64_e32 vcc_lo, 0, v[1:2]
	v_cndmask_b32_e64 v3, 0, v9, s0
	v_cndmask_b32_e32 v2, 1, v10, vcc_lo
	v_cmp_gt_u64_e32 vcc_lo, s[2:3], v[13:14]
	v_add_nc_u32_e32 v3, v3, v11
	v_and_b32_e32 v4, 0xff, v2
	v_and_b32_e32 v6, 1, v2
	v_cndmask_b32_e32 v3, 0, v3, vcc_lo
	v_mov_b32_dpp v5, v4 row_shr:1 row_mask:0xf bank_mask:0xf
	v_cmp_eq_u32_e32 vcc_lo, 1, v6
	v_and_b32_e32 v6, 15, v20
	v_add_nc_u32_e32 v3, v3, v13
	v_and_b32_e32 v5, 1, v5
	v_mov_b32_dpp v7, v3 row_shr:1 row_mask:0xf bank_mask:0xf
	v_cndmask_b32_e64 v5, v5, 1, vcc_lo
	v_cmp_eq_u16_e32 vcc_lo, 0, v4
	v_and_b32_e32 v8, 0xffff, v5
	v_cndmask_b32_e32 v7, 0, v7, vcc_lo
	v_cmp_eq_u32_e32 vcc_lo, 0, v6
	v_cndmask_b32_e32 v4, v8, v4, vcc_lo
	v_cndmask_b32_e32 v2, v5, v2, vcc_lo
	v_cndmask_b32_e64 v7, v7, 0, vcc_lo
	v_mov_b32_dpp v5, v4 row_shr:2 row_mask:0xf bank_mask:0xf
	v_and_b32_e32 v8, 1, v2
	v_add_nc_u32_e32 v3, v7, v3
	v_cmp_eq_u16_sdwa s2, v2, v1 src0_sel:BYTE_0 src1_sel:DWORD
	v_and_b32_e32 v5, 1, v5
	v_cmp_eq_u32_e32 vcc_lo, 1, v8
	v_cndmask_b32_e64 v5, v5, 1, vcc_lo
	v_cmp_lt_u32_e32 vcc_lo, 1, v6
	v_and_b32_e32 v8, 0xffff, v5
	v_cndmask_b32_e32 v5, v2, v5, vcc_lo
	v_mov_b32_dpp v2, v3 row_shr:2 row_mask:0xf bank_mask:0xf
	v_cndmask_b32_e32 v4, v4, v8, vcc_lo
	v_and_b32_e32 v7, 1, v5
	s_and_b32 vcc_lo, vcc_lo, s2
	v_cndmask_b32_e32 v2, 0, v2, vcc_lo
	v_mov_b32_dpp v8, v4 row_shr:4 row_mask:0xf bank_mask:0xf
	v_cmp_eq_u32_e64 s1, 1, v7
	v_cmp_lt_u32_e32 vcc_lo, 3, v6
	v_add_nc_u32_e32 v2, v2, v3
	v_and_b32_e32 v8, 1, v8
	v_cndmask_b32_e64 v7, v8, 1, s1
	v_cmp_eq_u16_sdwa s1, v5, v1 src0_sel:BYTE_0 src1_sel:DWORD
	v_and_b32_e32 v8, 0xffff, v7
	v_cndmask_b32_e32 v3, v5, v7, vcc_lo
	v_mov_b32_dpp v5, v2 row_shr:4 row_mask:0xf bank_mask:0xf
	v_cndmask_b32_e32 v4, v4, v8, vcc_lo
	s_and_b32 vcc_lo, vcc_lo, s1
	v_and_b32_e32 v8, 1, v3
	v_cndmask_b32_e32 v5, 0, v5, vcc_lo
	v_cmp_eq_u16_sdwa s1, v3, v1 src0_sel:BYTE_0 src1_sel:DWORD
	v_mov_b32_dpp v7, v4 row_shr:8 row_mask:0xf bank_mask:0xf
	v_cmp_eq_u32_e32 vcc_lo, 1, v8
	v_add_nc_u32_e32 v2, v5, v2
	v_and_b32_e32 v7, 1, v7
	v_cndmask_b32_e64 v5, v7, 1, vcc_lo
	v_cmp_lt_u32_e32 vcc_lo, 7, v6
	v_mov_b32_dpp v6, v2 row_shr:8 row_mask:0xf bank_mask:0xf
	s_and_b32 s1, vcc_lo, s1
	v_cndmask_b32_e32 v7, v3, v5, vcc_lo
	v_cndmask_b32_e64 v3, 0, v6, s1
	v_and_b32_e32 v5, 0xffff, v5
	v_and_b32_e32 v6, 16, v20
	v_add_nc_u32_e32 v2, v3, v2
	v_cndmask_b32_e32 v3, v4, v5, vcc_lo
	v_cmp_eq_u16_sdwa vcc_lo, v7, v1 src0_sel:BYTE_0 src1_sel:DWORD
	v_bfe_i32 v5, v20, 4, 1
	v_cmp_eq_u32_e64 s1, 0, v6
	ds_swizzle_b32 v4, v2 offset:swizzle(BROADCAST,32,15)
	ds_swizzle_b32 v3, v3 offset:swizzle(BROADCAST,32,15)
	s_waitcnt lgkmcnt(1)
	v_cndmask_b32_e32 v1, 0, v4, vcc_lo
	v_and_b32_e32 v4, 1, v7
	s_waitcnt lgkmcnt(0)
	v_and_b32_e32 v3, 1, v3
	v_and_b32_e32 v1, v5, v1
	v_cmp_eq_u32_e32 vcc_lo, 1, v4
	v_lshlrev_b32_e32 v5, 3, v21
	v_cndmask_b32_e64 v4, v3, 1, vcc_lo
	v_add_nc_u32_e32 v3, v1, v2
	v_cndmask_b32_e64 v4, v4, v7, s1
	s_mov_b32 s1, exec_lo
	v_cmpx_eq_u32_e64 v0, v22
	s_cbranch_execz .LBB2241_29
; %bb.28:
	ds_write_b32 v5, v3
	ds_write_b8 v5, v4 offset:4
.LBB2241_29:
	s_or_b32 exec_lo, exec_lo, s1
	s_mov_b32 s1, exec_lo
	s_waitcnt lgkmcnt(0)
	s_barrier
	buffer_gl0_inv
	v_cmpx_gt_u32_e32 8, v0
	s_cbranch_execz .LBB2241_35
; %bb.30:
	ds_read_b64 v[1:2], v19
	v_and_b32_e32 v6, 7, v20
	s_mov_b32 s2, exec_lo
	s_waitcnt lgkmcnt(0)
	v_and_b32_e32 v7, 0xffffff00, v2
	v_mov_b32_dpp v15, v1 row_shr:1 row_mask:0xf bank_mask:0xf
	v_mov_b32_dpp v16, v2 row_shr:1 row_mask:0xf bank_mask:0xf
	v_mov_b32_e32 v8, v2
	v_cmpx_ne_u32_e32 0, v6
	s_cbranch_execz .LBB2241_32
; %bb.31:
	v_mov_b32_e32 v8, 0
	v_and_b32_e32 v17, 1, v2
	v_and_b32_e32 v16, 1, v16
	v_cmp_eq_u16_sdwa vcc_lo, v2, v8 src0_sel:BYTE_0 src1_sel:DWORD
	v_cndmask_b32_e32 v2, 0, v15, vcc_lo
	v_cmp_eq_u32_e32 vcc_lo, 1, v17
	v_add_nc_u32_e32 v1, v2, v1
	v_cndmask_b32_e64 v15, v16, 1, vcc_lo
	v_or_b32_sdwa v8, v7, v15 dst_sel:DWORD dst_unused:UNUSED_PAD src0_sel:DWORD src1_sel:WORD_0
	v_mov_b32_e32 v2, v15
.LBB2241_32:
	s_or_b32 exec_lo, exec_lo, s2
	v_mov_b32_dpp v15, v1 row_shr:2 row_mask:0xf bank_mask:0xf
	v_mov_b32_dpp v16, v8 row_shr:2 row_mask:0xf bank_mask:0xf
	s_mov_b32 s2, exec_lo
	v_cmpx_lt_u32_e32 1, v6
	s_cbranch_execz .LBB2241_34
; %bb.33:
	v_mov_b32_e32 v8, 0
	v_and_b32_e32 v17, 1, v2
	v_and_b32_e32 v16, 1, v16
	v_cmp_eq_u16_sdwa vcc_lo, v2, v8 src0_sel:BYTE_0 src1_sel:DWORD
	v_cndmask_b32_e32 v2, 0, v15, vcc_lo
	v_cmp_eq_u32_e32 vcc_lo, 1, v17
	v_add_nc_u32_e32 v1, v2, v1
	v_cndmask_b32_e64 v15, v16, 1, vcc_lo
	v_or_b32_sdwa v8, v7, v15 dst_sel:DWORD dst_unused:UNUSED_PAD src0_sel:DWORD src1_sel:WORD_0
	v_mov_b32_e32 v2, v15
.LBB2241_34:
	s_or_b32 exec_lo, exec_lo, s2
	v_mov_b32_dpp v7, v8 row_shr:4 row_mask:0xf bank_mask:0xf
	v_and_b32_e32 v15, 1, v2
	v_mov_b32_e32 v8, 0
	v_and_b32_e32 v7, 1, v7
	v_cmp_eq_u32_e32 vcc_lo, 1, v15
	v_cmp_eq_u16_sdwa s2, v2, v8 src0_sel:BYTE_0 src1_sel:DWORD
	v_cndmask_b32_e64 v7, v7, 1, vcc_lo
	v_cmp_lt_u32_e32 vcc_lo, 3, v6
	v_mov_b32_dpp v6, v1 row_shr:4 row_mask:0xf bank_mask:0xf
	v_cndmask_b32_e32 v2, v2, v7, vcc_lo
	s_and_b32 vcc_lo, vcc_lo, s2
	v_cndmask_b32_e32 v6, 0, v6, vcc_lo
	v_add_nc_u32_e32 v1, v6, v1
	ds_write_b32 v19, v1
	ds_write_b8 v19, v2 offset:4
.LBB2241_35:
	s_or_b32 exec_lo, exec_lo, s1
	v_mov_b32_e32 v25, 0
	v_mov_b32_e32 v24, 0
	s_mov_b32 s2, exec_lo
	v_cmp_gt_u32_e32 vcc_lo, 32, v0
	s_waitcnt lgkmcnt(0)
	s_barrier
	buffer_gl0_inv
	v_cmpx_lt_u32_e32 31, v0
	s_cbranch_execz .LBB2241_37
; %bb.36:
	v_add_nc_u32_e32 v1, -8, v5
	v_and_b32_e32 v2, 1, v4
	ds_read_b32 v24, v1
	v_add_nc_u32_e32 v1, -4, v5
	ds_read_u8 v25, v1
	v_mov_b32_e32 v1, 0
	v_cmp_eq_u16_sdwa s1, v4, v1 src0_sel:BYTE_0 src1_sel:DWORD
	s_waitcnt lgkmcnt(1)
	v_cndmask_b32_e64 v1, 0, v24, s1
	v_cmp_eq_u32_e64 s1, 1, v2
	v_add_nc_u32_e32 v3, v1, v3
	s_waitcnt lgkmcnt(0)
	v_cndmask_b32_e64 v4, v25, 1, s1
.LBB2241_37:
	s_or_b32 exec_lo, exec_lo, s2
	v_sub_co_u32 v1, s1, v20, 1
	v_and_b32_e32 v2, 0xff, v4
	v_cmp_gt_i32_e64 s2, 0, v1
	v_cndmask_b32_e64 v1, v1, v20, s2
	v_lshlrev_b32_e32 v1, 2, v1
	ds_bpermute_b32 v26, v1, v3
	ds_bpermute_b32 v27, v1, v2
	s_and_saveexec_b32 s3, vcc_lo
	s_cbranch_execz .LBB2241_57
; %bb.38:
	v_mov_b32_e32 v4, 0
	ds_read_b64 v[1:2], v4 offset:56
	s_and_saveexec_b32 s2, s1
	s_cbranch_execz .LBB2241_40
; %bb.39:
	s_add_i32 s10, s6, 32
	s_mov_b32 s11, 0
	v_mov_b32_e32 v3, 1
	s_lshl_b64 s[10:11], s[10:11], 4
	s_add_u32 s10, s16, s10
	s_addc_u32 s11, s17, s11
	v_mov_b32_e32 v5, s10
	v_mov_b32_e32 v6, s11
	s_waitcnt lgkmcnt(0)
	;;#ASMSTART
	global_store_dwordx4 v[5:6], v[1:4] off	
s_waitcnt vmcnt(0)
	;;#ASMEND
.LBB2241_40:
	s_or_b32 exec_lo, exec_lo, s2
	v_xad_u32 v15, v20, -1, s6
	s_mov_b32 s10, 0
	v_add_nc_u32_e32 v3, 32, v15
	v_lshlrev_b64 v[5:6], 4, v[3:4]
	v_add_co_u32 v16, vcc_lo, s16, v5
	v_add_co_ci_u32_e64 v17, null, s17, v6, vcc_lo
	;;#ASMSTART
	global_load_dwordx4 v[5:8], v[16:17] off glc dlc	
s_waitcnt vmcnt(0)
	;;#ASMEND
	v_and_b32_e32 v6, 0xff, v6
	v_cmp_eq_u16_sdwa s11, v7, v4 src0_sel:BYTE_0 src1_sel:DWORD
	s_and_saveexec_b32 s2, s11
	s_cbranch_execz .LBB2241_44
; %bb.41:
	v_mov_b32_e32 v3, 0
.LBB2241_42:                            ; =>This Inner Loop Header: Depth=1
	;;#ASMSTART
	global_load_dwordx4 v[5:8], v[16:17] off glc dlc	
s_waitcnt vmcnt(0)
	;;#ASMEND
	v_cmp_ne_u16_sdwa s11, v7, v3 src0_sel:BYTE_0 src1_sel:DWORD
	s_or_b32 s10, s11, s10
	s_andn2_b32 exec_lo, exec_lo, s10
	s_cbranch_execnz .LBB2241_42
; %bb.43:
	s_or_b32 exec_lo, exec_lo, s10
	v_and_b32_e32 v6, 0xff, v6
.LBB2241_44:
	s_or_b32 exec_lo, exec_lo, s2
	v_cmp_ne_u32_e32 vcc_lo, 31, v20
	v_mov_b32_e32 v28, 2
	v_lshlrev_b32_e64 v29, v20, -1
	v_and_b32_e32 v8, 1, v6
	s_mov_b32 s10, 0
	v_add_co_ci_u32_e64 v3, null, 0, v20, vcc_lo
	v_cmp_eq_u16_sdwa s2, v7, v28 src0_sel:BYTE_0 src1_sel:DWORD
	v_cmp_eq_u32_e32 vcc_lo, 1, v8
	s_mov_b32 s11, 1
	v_lshlrev_b32_e32 v17, 2, v3
	v_add_nc_u32_e32 v37, 8, v20
	v_and_or_b32 v4, s2, v29, 0x80000000
	v_cmp_gt_u64_e64 s2, s[10:11], v[5:6]
	v_lshl_or_b32 v38, v20, 2, 64
	ds_bpermute_b32 v3, v17, v6
	ds_bpermute_b32 v16, v17, v5
	v_ffbl_b32_e32 v4, v4
	v_add_nc_u32_e32 v39, 16, v20
	s_waitcnt lgkmcnt(1)
	v_and_b32_e32 v3, 1, v3
	v_cndmask_b32_e64 v3, v3, 1, vcc_lo
	v_cmp_gt_u32_e32 vcc_lo, 30, v20
	v_and_b32_e32 v31, 0xffff, v3
	v_cndmask_b32_e64 v8, 0, 2, vcc_lo
	v_cmp_lt_u32_e32 vcc_lo, v20, v4
	v_add_lshl_u32 v30, v8, v20, 2
	v_cndmask_b32_e32 v8, v6, v31, vcc_lo
	v_cndmask_b32_e32 v3, v6, v3, vcc_lo
	s_and_b32 vcc_lo, vcc_lo, s2
	s_waitcnt lgkmcnt(0)
	v_cndmask_b32_e32 v6, 0, v16, vcc_lo
	ds_bpermute_b32 v31, v30, v8
	v_and_b32_e32 v16, 1, v3
	v_add_nc_u32_e32 v5, v6, v5
	v_cmp_eq_u32_e32 vcc_lo, 1, v16
	v_mov_b32_e32 v16, 0
	ds_bpermute_b32 v6, v30, v5
	v_cmp_eq_u16_sdwa s2, v3, v16 src0_sel:BYTE_0 src1_sel:DWORD
	s_waitcnt lgkmcnt(1)
	v_and_b32_e32 v32, 1, v31
	v_add_nc_u32_e32 v31, 2, v20
	v_cndmask_b32_e64 v33, v32, 1, vcc_lo
	v_cmp_gt_u32_e32 vcc_lo, 28, v20
	v_and_b32_e32 v34, 0xffff, v33
	v_cndmask_b32_e64 v32, 0, 4, vcc_lo
	v_cmp_gt_u32_e32 vcc_lo, v31, v4
	v_add_lshl_u32 v32, v32, v20, 2
	v_cndmask_b32_e32 v8, v34, v8, vcc_lo
	v_cndmask_b32_e32 v35, v33, v3, vcc_lo
	s_waitcnt lgkmcnt(0)
	v_cndmask_b32_e64 v3, 0, v6, s2
	v_add_nc_u32_e32 v33, 4, v20
	ds_bpermute_b32 v6, v32, v8
	v_and_b32_e32 v34, 1, v35
	v_cndmask_b32_e64 v3, v3, 0, vcc_lo
	v_cmp_eq_u16_sdwa s2, v35, v16 src0_sel:BYTE_0 src1_sel:DWORD
	v_cmp_eq_u32_e32 vcc_lo, 1, v34
	v_add_nc_u32_e32 v3, v3, v5
	ds_bpermute_b32 v5, v32, v3
	s_waitcnt lgkmcnt(1)
	v_and_b32_e32 v6, 1, v6
	v_cndmask_b32_e64 v6, v6, 1, vcc_lo
	v_cmp_gt_u32_e32 vcc_lo, 24, v20
	v_and_b32_e32 v36, 0xffff, v6
	v_cndmask_b32_e64 v34, 0, 8, vcc_lo
	v_cmp_gt_u32_e32 vcc_lo, v33, v4
	s_waitcnt lgkmcnt(0)
	v_cndmask_b32_e64 v5, 0, v5, s2
	v_add_lshl_u32 v34, v34, v20, 2
	v_cndmask_b32_e32 v8, v36, v8, vcc_lo
	v_cndmask_b32_e32 v6, v6, v35, vcc_lo
	v_cndmask_b32_e64 v5, v5, 0, vcc_lo
	ds_bpermute_b32 v35, v34, v8
	v_and_b32_e32 v36, 1, v6
	v_add_nc_u32_e32 v3, v5, v3
	v_cmp_eq_u32_e32 vcc_lo, 1, v36
	ds_bpermute_b32 v5, v34, v3
	s_waitcnt lgkmcnt(1)
	v_and_b32_e32 v35, 1, v35
	v_cndmask_b32_e64 v35, v35, 1, vcc_lo
	v_cmp_eq_u16_sdwa vcc_lo, v6, v16 src0_sel:BYTE_0 src1_sel:DWORD
	v_and_b32_e32 v36, 0xffff, v35
	s_waitcnt lgkmcnt(0)
	v_cndmask_b32_e32 v5, 0, v5, vcc_lo
	v_cmp_gt_u32_e32 vcc_lo, v37, v4
	v_cndmask_b32_e64 v5, v5, 0, vcc_lo
	v_cndmask_b32_e32 v8, v36, v8, vcc_lo
	v_cndmask_b32_e32 v6, v35, v6, vcc_lo
	v_add_nc_u32_e32 v3, v5, v3
	ds_bpermute_b32 v5, v38, v8
	v_and_b32_e32 v35, 1, v6
	v_cmp_eq_u16_sdwa vcc_lo, v6, v16 src0_sel:BYTE_0 src1_sel:DWORD
	ds_bpermute_b32 v8, v38, v3
	s_waitcnt lgkmcnt(1)
	v_and_b32_e32 v5, 1, v5
	s_waitcnt lgkmcnt(0)
	v_cndmask_b32_e32 v8, 0, v8, vcc_lo
	v_cmp_eq_u32_e32 vcc_lo, 1, v35
	v_cndmask_b32_e64 v5, v5, 1, vcc_lo
	v_cmp_gt_u32_e32 vcc_lo, v39, v4
	v_cndmask_b32_e32 v4, v5, v6, vcc_lo
	v_cndmask_b32_e64 v5, v8, 0, vcc_lo
	v_add_nc_u32_e32 v3, v5, v3
	s_branch .LBB2241_48
.LBB2241_45:                            ;   in Loop: Header=BB2241_48 Depth=1
	s_or_b32 exec_lo, exec_lo, s13
	v_and_b32_e32 v6, 0xff, v6
.LBB2241_46:                            ;   in Loop: Header=BB2241_48 Depth=1
	s_or_b32 exec_lo, exec_lo, s2
	ds_bpermute_b32 v3, v17, v6
	v_cmp_eq_u16_sdwa s2, v7, v28 src0_sel:BYTE_0 src1_sel:DWORD
	v_and_b32_e32 v4, 1, v6
	v_subrev_nc_u32_e32 v15, 32, v15
	v_and_or_b32 v8, s2, v29, 0x80000000
	v_cmp_eq_u32_e32 vcc_lo, 1, v4
	v_cmp_gt_u64_e64 s2, s[10:11], v[5:6]
	v_ffbl_b32_e32 v4, v8
	ds_bpermute_b32 v8, v17, v5
	s_waitcnt lgkmcnt(1)
	v_and_b32_e32 v3, 1, v3
	v_cndmask_b32_e64 v3, v3, 1, vcc_lo
	v_cmp_lt_u32_e32 vcc_lo, v20, v4
	v_and_b32_e32 v40, 0xffff, v3
	v_cndmask_b32_e32 v3, v6, v3, vcc_lo
	v_cndmask_b32_e32 v40, v6, v40, vcc_lo
	s_and_b32 vcc_lo, vcc_lo, s2
	v_cmp_eq_u16_sdwa s2, v3, v16 src0_sel:BYTE_0 src1_sel:DWORD
	s_waitcnt lgkmcnt(0)
	v_cndmask_b32_e32 v6, 0, v8, vcc_lo
	v_and_b32_e32 v8, 1, v3
	ds_bpermute_b32 v41, v30, v40
	v_add_nc_u32_e32 v5, v6, v5
	v_cmp_eq_u32_e32 vcc_lo, 1, v8
	ds_bpermute_b32 v6, v30, v5
	s_waitcnt lgkmcnt(1)
	v_and_b32_e32 v41, 1, v41
	v_cndmask_b32_e64 v8, v41, 1, vcc_lo
	v_cmp_gt_u32_e32 vcc_lo, v31, v4
	v_and_b32_e32 v41, 0xffff, v8
	v_cndmask_b32_e32 v8, v8, v3, vcc_lo
	s_waitcnt lgkmcnt(0)
	v_cndmask_b32_e64 v3, 0, v6, s2
	v_cndmask_b32_e32 v40, v41, v40, vcc_lo
	v_and_b32_e32 v41, 1, v8
	v_cndmask_b32_e64 v3, v3, 0, vcc_lo
	v_cmp_eq_u16_sdwa s2, v8, v16 src0_sel:BYTE_0 src1_sel:DWORD
	ds_bpermute_b32 v6, v32, v40
	v_cmp_eq_u32_e32 vcc_lo, 1, v41
	v_add_nc_u32_e32 v3, v3, v5
	ds_bpermute_b32 v5, v32, v3
	s_waitcnt lgkmcnt(1)
	v_and_b32_e32 v6, 1, v6
	v_cndmask_b32_e64 v6, v6, 1, vcc_lo
	v_cmp_gt_u32_e32 vcc_lo, v33, v4
	s_waitcnt lgkmcnt(0)
	v_cndmask_b32_e64 v5, 0, v5, s2
	s_mov_b32 s2, 0
	v_and_b32_e32 v41, 0xffff, v6
	v_cndmask_b32_e32 v6, v6, v8, vcc_lo
	v_cndmask_b32_e64 v5, v5, 0, vcc_lo
	v_cndmask_b32_e32 v8, v41, v40, vcc_lo
	v_and_b32_e32 v41, 1, v6
	v_add_nc_u32_e32 v3, v5, v3
	ds_bpermute_b32 v40, v34, v8
	v_cmp_eq_u32_e32 vcc_lo, 1, v41
	ds_bpermute_b32 v5, v34, v3
	s_waitcnt lgkmcnt(1)
	v_and_b32_e32 v40, 1, v40
	v_cndmask_b32_e64 v40, v40, 1, vcc_lo
	v_cmp_eq_u16_sdwa vcc_lo, v6, v16 src0_sel:BYTE_0 src1_sel:DWORD
	v_and_b32_e32 v41, 0xffff, v40
	s_waitcnt lgkmcnt(0)
	v_cndmask_b32_e32 v5, 0, v5, vcc_lo
	v_cmp_gt_u32_e32 vcc_lo, v37, v4
	v_cndmask_b32_e64 v5, v5, 0, vcc_lo
	v_cndmask_b32_e32 v8, v41, v8, vcc_lo
	v_cndmask_b32_e32 v6, v40, v6, vcc_lo
	v_add_nc_u32_e32 v3, v5, v3
	ds_bpermute_b32 v5, v38, v8
	v_and_b32_e32 v40, 1, v6
	ds_bpermute_b32 v8, v38, v3
	v_cmp_eq_u32_e32 vcc_lo, 1, v40
	s_waitcnt lgkmcnt(1)
	v_cndmask_b32_e64 v5, v5, 1, vcc_lo
	v_cmp_eq_u16_sdwa vcc_lo, v6, v16 src0_sel:BYTE_0 src1_sel:DWORD
	s_waitcnt lgkmcnt(0)
	v_cndmask_b32_e32 v8, 0, v8, vcc_lo
	v_cmp_gt_u32_e32 vcc_lo, v39, v4
	v_cndmask_b32_e32 v4, v5, v6, vcc_lo
	v_cndmask_b32_e64 v5, v8, 0, vcc_lo
	v_cmp_eq_u16_sdwa vcc_lo, v35, v16 src0_sel:BYTE_0 src1_sel:DWORD
	v_and_b32_e32 v4, 1, v4
	v_add_nc_u32_e32 v3, v5, v3
	v_and_b32_e32 v5, 1, v35
	v_cndmask_b32_e32 v3, 0, v3, vcc_lo
	v_cmp_eq_u32_e32 vcc_lo, 1, v5
	v_add_nc_u32_e32 v3, v3, v36
	v_cndmask_b32_e64 v4, v4, 1, vcc_lo
.LBB2241_47:                            ;   in Loop: Header=BB2241_48 Depth=1
	s_and_b32 vcc_lo, exec_lo, s2
	s_cbranch_vccnz .LBB2241_53
.LBB2241_48:                            ; =>This Loop Header: Depth=1
                                        ;     Child Loop BB2241_51 Depth 2
	v_cmp_ne_u16_sdwa s2, v7, v28 src0_sel:BYTE_0 src1_sel:DWORD
	v_mov_b32_e32 v35, v4
	v_mov_b32_e32 v36, v3
                                        ; implicit-def: $vgpr4
                                        ; implicit-def: $vgpr3
                                        ; implicit-def: $vgpr7
	s_cmp_lg_u32 s2, exec_lo
	s_mov_b32 s2, -1
	s_cbranch_scc1 .LBB2241_47
; %bb.49:                               ;   in Loop: Header=BB2241_48 Depth=1
	v_lshlrev_b64 v[3:4], 4, v[15:16]
	v_add_co_u32 v3, vcc_lo, s16, v3
	v_add_co_ci_u32_e64 v4, null, s17, v4, vcc_lo
	;;#ASMSTART
	global_load_dwordx4 v[5:8], v[3:4] off glc dlc	
s_waitcnt vmcnt(0)
	;;#ASMEND
	v_and_b32_e32 v6, 0xff, v6
	v_cmp_eq_u16_sdwa s13, v7, v16 src0_sel:BYTE_0 src1_sel:DWORD
	s_and_saveexec_b32 s2, s13
	s_cbranch_execz .LBB2241_46
; %bb.50:                               ;   in Loop: Header=BB2241_48 Depth=1
	s_mov_b32 s13, 0
.LBB2241_51:                            ;   Parent Loop BB2241_48 Depth=1
                                        ; =>  This Inner Loop Header: Depth=2
	;;#ASMSTART
	global_load_dwordx4 v[5:8], v[3:4] off glc dlc	
s_waitcnt vmcnt(0)
	;;#ASMEND
	v_cmp_ne_u16_sdwa s19, v7, v16 src0_sel:BYTE_0 src1_sel:DWORD
	s_or_b32 s13, s19, s13
	s_andn2_b32 exec_lo, exec_lo, s13
	s_cbranch_execnz .LBB2241_51
	s_branch .LBB2241_45
.LBB2241_52:
                                        ; implicit-def: $vgpr6
                                        ; implicit-def: $vgpr5
                                        ; implicit-def: $vgpr7
	s_cbranch_execnz .LBB2241_58
	s_branch .LBB2241_73
.LBB2241_53:
	s_and_saveexec_b32 s2, s1
	s_cbranch_execz .LBB2241_55
; %bb.54:
	v_mov_b32_e32 v4, 0
	v_and_b32_e32 v3, 1, v2
	s_mov_b32 s11, 0
	s_add_i32 s10, s6, 32
	v_and_b32_e32 v5, 1, v35
	v_cmp_eq_u32_sdwa vcc_lo, v2, v4 src0_sel:BYTE_0 src1_sel:DWORD
	s_lshl_b64 s[10:11], s[10:11], 4
	s_add_u32 s10, s16, s10
	s_addc_u32 s11, s17, s11
	v_cndmask_b32_e32 v2, 0, v36, vcc_lo
	v_cmp_eq_u32_e32 vcc_lo, 1, v3
	v_mov_b32_e32 v3, 2
	v_add_nc_u32_e32 v1, v2, v1
	v_cndmask_b32_e64 v2, v5, 1, vcc_lo
	v_mov_b32_e32 v5, s10
	v_mov_b32_e32 v6, s11
	;;#ASMSTART
	global_store_dwordx4 v[5:6], v[1:4] off	
s_waitcnt vmcnt(0)
	;;#ASMEND
.LBB2241_55:
	s_or_b32 exec_lo, exec_lo, s2
	v_cmp_eq_u32_e32 vcc_lo, 0, v0
	s_and_b32 exec_lo, exec_lo, vcc_lo
	s_cbranch_execz .LBB2241_57
; %bb.56:
	v_mov_b32_e32 v1, 0
	ds_write_b32 v1, v36 offset:56
	ds_write_b8 v1, v35 offset:60
.LBB2241_57:
	s_or_b32 exec_lo, exec_lo, s3
	v_mov_b32_e32 v1, 0
	s_waitcnt lgkmcnt(0)
	s_barrier
	buffer_gl0_inv
	v_cndmask_b32_e64 v2, v27, v25, s1
	ds_read_b32 v3, v1 offset:56
	v_cndmask_b32_e64 v4, v26, v24, s1
	v_cmp_eq_u16_sdwa vcc_lo, v2, v1 src0_sel:BYTE_0 src1_sel:DWORD
	s_waitcnt lgkmcnt(0)
	v_cndmask_b32_e32 v2, 0, v3, vcc_lo
	v_cmp_eq_u32_e32 vcc_lo, 0, v0
	v_add_nc_u32_e32 v4, v2, v4
	v_and_b32_e32 v2, 0xff, v10
	v_cndmask_b32_e32 v6, v4, v3, vcc_lo
	v_cmp_eq_u64_e32 vcc_lo, 0, v[1:2]
	v_cndmask_b32_e32 v1, 0, v6, vcc_lo
	v_add_nc_u32_e32 v5, v1, v9
	v_cndmask_b32_e64 v1, 0, v5, s0
	v_add_nc_u32_e32 v7, v1, v11
	s_branch .LBB2241_73
.LBB2241_58:
	s_cmp_eq_u64 s[24:25], 0
	v_mov_b32_e32 v3, s26
	s_cselect_b32 s0, -1, 0
	s_cmp_eq_u64 s[22:23], 0
	s_cselect_b32 s1, -1, 0
	s_or_b32 s0, s0, s1
	s_and_b32 vcc_lo, exec_lo, s0
	s_cbranch_vccnz .LBB2241_60
; %bb.59:
	v_mov_b32_e32 v1, 0
	global_load_dword v3, v1, s[22:23]
.LBB2241_60:
	v_and_b32_e32 v2, 0xff, v23
	v_mov_b32_e32 v1, 0
	s_mov_b32 s2, 0
	s_mov_b32 s3, 1
	v_cmp_gt_u64_e32 vcc_lo, s[2:3], v[11:12]
	v_cmp_eq_u64_e64 s0, 0, v[1:2]
	v_cndmask_b32_e32 v4, 0, v9, vcc_lo
	v_cndmask_b32_e64 v2, 1, v10, s0
	v_cmp_gt_u64_e64 s0, s[2:3], v[13:14]
	v_add_nc_u32_e32 v4, v4, v11
	v_and_b32_e32 v5, 0xff, v2
	v_and_b32_e32 v7, 1, v2
	v_cndmask_b32_e64 v4, 0, v4, s0
	v_mov_b32_dpp v6, v5 row_shr:1 row_mask:0xf bank_mask:0xf
	v_cmp_eq_u32_e64 s0, 1, v7
	v_and_b32_e32 v7, 15, v20
	v_add_nc_u32_e32 v4, v4, v13
	v_and_b32_e32 v6, 1, v6
	v_mov_b32_dpp v8, v4 row_shr:1 row_mask:0xf bank_mask:0xf
	v_cndmask_b32_e64 v6, v6, 1, s0
	v_cmp_eq_u16_e64 s0, 0, v5
	v_and_b32_e32 v12, 0xffff, v6
	v_cndmask_b32_e64 v8, 0, v8, s0
	v_cmp_eq_u32_e64 s0, 0, v7
	v_cndmask_b32_e64 v5, v12, v5, s0
	v_cndmask_b32_e64 v2, v6, v2, s0
	;; [unrolled: 1-line block ×3, first 2 shown]
	v_mov_b32_dpp v6, v5 row_shr:2 row_mask:0xf bank_mask:0xf
	v_and_b32_e32 v12, 1, v2
	v_add_nc_u32_e32 v4, v8, v4
	v_cmp_eq_u16_sdwa s2, v2, v1 src0_sel:BYTE_0 src1_sel:DWORD
	v_and_b32_e32 v6, 1, v6
	v_cmp_eq_u32_e64 s0, 1, v12
	v_cndmask_b32_e64 v6, v6, 1, s0
	v_cmp_lt_u32_e64 s0, 1, v7
	v_and_b32_e32 v12, 0xffff, v6
	v_cndmask_b32_e64 v6, v2, v6, s0
	v_mov_b32_dpp v2, v4 row_shr:2 row_mask:0xf bank_mask:0xf
	v_cndmask_b32_e64 v5, v5, v12, s0
	v_and_b32_e32 v8, 1, v6
	s_and_b32 s0, s0, s2
	v_cndmask_b32_e64 v2, 0, v2, s0
	v_mov_b32_dpp v12, v5 row_shr:4 row_mask:0xf bank_mask:0xf
	v_cmp_eq_u32_e64 s1, 1, v8
	v_cmp_lt_u32_e64 s0, 3, v7
	v_add_nc_u32_e32 v2, v2, v4
	v_and_b32_e32 v12, 1, v12
	v_cndmask_b32_e64 v8, v12, 1, s1
	v_cmp_eq_u16_sdwa s1, v6, v1 src0_sel:BYTE_0 src1_sel:DWORD
	v_and_b32_e32 v12, 0xffff, v8
	v_cndmask_b32_e64 v4, v6, v8, s0
	v_mov_b32_dpp v6, v2 row_shr:4 row_mask:0xf bank_mask:0xf
	v_cndmask_b32_e64 v5, v5, v12, s0
	s_and_b32 s0, s0, s1
	v_and_b32_e32 v12, 1, v4
	v_cndmask_b32_e64 v6, 0, v6, s0
	v_cmp_eq_u16_sdwa s1, v4, v1 src0_sel:BYTE_0 src1_sel:DWORD
	v_mov_b32_dpp v8, v5 row_shr:8 row_mask:0xf bank_mask:0xf
	v_cmp_eq_u32_e64 s0, 1, v12
	v_add_nc_u32_e32 v2, v6, v2
	v_and_b32_e32 v8, 1, v8
	v_cndmask_b32_e64 v6, v8, 1, s0
	v_cmp_lt_u32_e64 s0, 7, v7
	v_mov_b32_dpp v7, v2 row_shr:8 row_mask:0xf bank_mask:0xf
	s_and_b32 s1, s0, s1
	v_cndmask_b32_e64 v8, v4, v6, s0
	v_cndmask_b32_e64 v4, 0, v7, s1
	v_and_b32_e32 v6, 0xffff, v6
	v_and_b32_e32 v7, 16, v20
	v_add_nc_u32_e32 v2, v4, v2
	v_cndmask_b32_e64 v4, v5, v6, s0
	v_cmp_eq_u16_sdwa s0, v8, v1 src0_sel:BYTE_0 src1_sel:DWORD
	v_bfe_i32 v6, v20, 4, 1
	v_cmp_eq_u32_e64 s1, 0, v7
	ds_swizzle_b32 v5, v2 offset:swizzle(BROADCAST,32,15)
	ds_swizzle_b32 v4, v4 offset:swizzle(BROADCAST,32,15)
	s_waitcnt lgkmcnt(1)
	v_cndmask_b32_e64 v1, 0, v5, s0
	v_and_b32_e32 v5, 1, v8
	s_waitcnt lgkmcnt(0)
	v_and_b32_e32 v4, 1, v4
	v_and_b32_e32 v1, v6, v1
	v_cmp_eq_u32_e64 s0, 1, v5
	v_lshlrev_b32_e32 v6, 3, v21
	v_cndmask_b32_e64 v5, v4, 1, s0
	v_add_nc_u32_e32 v4, v1, v2
	v_cndmask_b32_e64 v5, v5, v8, s1
	s_mov_b32 s1, exec_lo
	v_cmpx_eq_u32_e64 v0, v22
	s_cbranch_execz .LBB2241_62
; %bb.61:
	ds_write_b32 v6, v4
	ds_write_b8 v6, v5 offset:4
.LBB2241_62:
	s_or_b32 exec_lo, exec_lo, s1
	s_mov_b32 s1, exec_lo
	s_waitcnt vmcnt(0) lgkmcnt(0)
	s_barrier
	buffer_gl0_inv
	v_cmpx_gt_u32_e32 8, v0
	s_cbranch_execz .LBB2241_68
; %bb.63:
	ds_read_b64 v[1:2], v19
	v_and_b32_e32 v7, 7, v20
	s_mov_b32 s2, exec_lo
	s_waitcnt lgkmcnt(0)
	v_and_b32_e32 v8, 0xffffff00, v2
	v_mov_b32_dpp v13, v1 row_shr:1 row_mask:0xf bank_mask:0xf
	v_mov_b32_dpp v14, v2 row_shr:1 row_mask:0xf bank_mask:0xf
	v_mov_b32_e32 v12, v2
	v_cmpx_ne_u32_e32 0, v7
	s_cbranch_execz .LBB2241_65
; %bb.64:
	v_mov_b32_e32 v12, 0
	v_and_b32_e32 v15, 1, v2
	v_and_b32_e32 v14, 1, v14
	v_cmp_eq_u16_sdwa s0, v2, v12 src0_sel:BYTE_0 src1_sel:DWORD
	v_cndmask_b32_e64 v2, 0, v13, s0
	v_cmp_eq_u32_e64 s0, 1, v15
	v_add_nc_u32_e32 v1, v2, v1
	v_cndmask_b32_e64 v13, v14, 1, s0
	v_or_b32_sdwa v12, v8, v13 dst_sel:DWORD dst_unused:UNUSED_PAD src0_sel:DWORD src1_sel:WORD_0
	v_mov_b32_e32 v2, v13
.LBB2241_65:
	s_or_b32 exec_lo, exec_lo, s2
	v_mov_b32_dpp v13, v1 row_shr:2 row_mask:0xf bank_mask:0xf
	v_mov_b32_dpp v14, v12 row_shr:2 row_mask:0xf bank_mask:0xf
	s_mov_b32 s2, exec_lo
	v_cmpx_lt_u32_e32 1, v7
	s_cbranch_execz .LBB2241_67
; %bb.66:
	v_mov_b32_e32 v12, 0
	v_and_b32_e32 v15, 1, v2
	v_and_b32_e32 v14, 1, v14
	v_cmp_eq_u16_sdwa s0, v2, v12 src0_sel:BYTE_0 src1_sel:DWORD
	v_cndmask_b32_e64 v2, 0, v13, s0
	v_cmp_eq_u32_e64 s0, 1, v15
	v_add_nc_u32_e32 v1, v2, v1
	v_cndmask_b32_e64 v13, v14, 1, s0
	v_or_b32_sdwa v12, v8, v13 dst_sel:DWORD dst_unused:UNUSED_PAD src0_sel:DWORD src1_sel:WORD_0
	v_mov_b32_e32 v2, v13
.LBB2241_67:
	s_or_b32 exec_lo, exec_lo, s2
	v_mov_b32_dpp v8, v12 row_shr:4 row_mask:0xf bank_mask:0xf
	v_and_b32_e32 v13, 1, v2
	v_mov_b32_e32 v12, 0
	v_and_b32_e32 v8, 1, v8
	v_cmp_eq_u32_e64 s0, 1, v13
	v_cmp_eq_u16_sdwa s2, v2, v12 src0_sel:BYTE_0 src1_sel:DWORD
	v_cndmask_b32_e64 v8, v8, 1, s0
	v_cmp_lt_u32_e64 s0, 3, v7
	v_mov_b32_dpp v7, v1 row_shr:4 row_mask:0xf bank_mask:0xf
	v_cndmask_b32_e64 v2, v2, v8, s0
	s_and_b32 s0, s0, s2
	v_cndmask_b32_e64 v7, 0, v7, s0
	v_add_nc_u32_e32 v1, v7, v1
	ds_write_b32 v19, v1
	ds_write_b8 v19, v2 offset:4
.LBB2241_68:
	s_or_b32 exec_lo, exec_lo, s1
	v_mov_b32_e32 v2, v3
	s_mov_b32 s1, exec_lo
	s_waitcnt lgkmcnt(0)
	s_barrier
	buffer_gl0_inv
	v_cmpx_lt_u32_e32 31, v0
	s_cbranch_execz .LBB2241_70
; %bb.69:
	v_add_nc_u32_e32 v1, -4, v6
	v_add_nc_u32_e32 v2, -8, v6
	ds_read_u8 v1, v1
	ds_read_b32 v2, v2
	s_waitcnt lgkmcnt(1)
	v_cmp_eq_u16_e64 s0, 0, v1
	v_cndmask_b32_e64 v1, 0, v3, s0
	s_waitcnt lgkmcnt(0)
	v_add_nc_u32_e32 v2, v1, v2
.LBB2241_70:
	s_or_b32 exec_lo, exec_lo, s1
	v_mov_b32_e32 v1, 0
	v_sub_co_u32 v6, s0, v20, 1
	v_cmp_eq_u16_sdwa s1, v5, v1 src0_sel:BYTE_0 src1_sel:DWORD
	v_cndmask_b32_e64 v5, 0, v2, s1
	v_cmp_gt_i32_e64 s1, 0, v6
	v_add_nc_u32_e32 v4, v5, v4
	v_cndmask_b32_e64 v6, v6, v20, s1
	v_lshlrev_b32_e32 v5, 2, v6
	ds_bpermute_b32 v4, v5, v4
	s_waitcnt lgkmcnt(0)
	v_cndmask_b32_e64 v6, v4, v2, s0
	v_and_b32_e32 v2, 0xff, v10
	v_cmp_eq_u32_e64 s0, 0, v0
	v_cmp_eq_u64_e64 s1, 0, v[1:2]
	v_cndmask_b32_e64 v4, v6, v3, s0
	v_cndmask_b32_e64 v2, 0, v4, s1
	v_add_nc_u32_e32 v5, v2, v9
	v_cndmask_b32_e32 v2, 0, v5, vcc_lo
	s_and_saveexec_b32 s1, s0
	s_cbranch_execz .LBB2241_72
; %bb.71:
	ds_read_u8 v4, v1 offset:60
	ds_read_b32 v6, v1 offset:56
	v_mov_b32_e32 v9, v1
	s_add_u32 s2, s16, 0x200
	s_addc_u32 s3, s17, 0
	v_mov_b32_e32 v10, v1
	v_mov_b32_e32 v13, s3
	;; [unrolled: 1-line block ×3, first 2 shown]
	s_waitcnt lgkmcnt(1)
	v_and_b32_e32 v8, 0xffff, v4
	v_cmp_eq_u64_e32 vcc_lo, 0, v[8:9]
	v_mov_b32_e32 v9, 2
	v_cndmask_b32_e32 v4, 0, v3, vcc_lo
	s_waitcnt lgkmcnt(0)
	v_add_nc_u32_e32 v7, v4, v6
	v_mov_b32_e32 v6, v3
	;;#ASMSTART
	global_store_dwordx4 v[12:13], v[7:10] off	
s_waitcnt vmcnt(0)
	;;#ASMEND
.LBB2241_72:
	s_or_b32 exec_lo, exec_lo, s1
	v_add_nc_u32_e32 v7, v2, v11
.LBB2241_73:
	s_add_u32 s0, s14, s4
	v_mov_b32_e32 v3, 0
	s_addc_u32 s1, s15, s5
	s_add_u32 s0, s0, s8
	s_addc_u32 s1, s1, s9
	s_and_b32 vcc_lo, exec_lo, s7
	s_cbranch_vccz .LBB2241_85
; %bb.74:
	v_mul_u32_u24_e32 v1, 3, v0
	v_mov_b32_e32 v4, 0
	v_mov_b32_e32 v2, 0
	s_add_i32 s12, s12, s18
	s_mov_b32 s2, exec_lo
	v_cmpx_gt_u32_e64 s12, v1
	s_cbranch_execz .LBB2241_80
; %bb.75:
	v_add_nc_u32_e32 v3, 1, v1
	v_mov_b32_e32 v2, 0
	v_mov_b32_e32 v4, 0
	s_mov_b32 s3, exec_lo
	v_cmpx_gt_u32_e64 s12, v3
	s_cbranch_execz .LBB2241_79
; %bb.76:
	v_add_nc_u32_e32 v2, 2, v1
	v_cmp_gt_u32_e32 vcc_lo, s12, v2
	v_mov_b32_e32 v2, 0
	s_and_saveexec_b32 s4, vcc_lo
; %bb.77:
	v_mov_b32_e32 v2, v7
; %bb.78:
	s_or_b32 exec_lo, exec_lo, s4
	v_mov_b32_e32 v4, v5
.LBB2241_79:
	s_or_b32 exec_lo, exec_lo, s3
	v_mov_b32_e32 v3, v6
.LBB2241_80:
	s_or_b32 exec_lo, exec_lo, s2
	v_lshlrev_b32_e32 v8, 2, v1
	s_barrier
	buffer_gl0_inv
	v_sub_nc_u32_e32 v1, v8, v19
	ds_write2_b32 v8, v3, v4 offset1:1
	ds_write_b32 v8, v2 offset:8
	s_waitcnt lgkmcnt(0)
	s_barrier
	buffer_gl0_inv
	ds_read2st64_b32 v[1:2], v1 offset0:4 offset1:8
	v_add_co_u32 v3, s2, s0, v18
	v_add_co_ci_u32_e64 v4, null, s1, 0, s2
	s_mov_b32 s2, exec_lo
	v_cmpx_gt_u32_e64 s12, v0
	s_cbranch_execz .LBB2241_82
; %bb.81:
	v_sub_nc_u32_e32 v9, 0, v19
	v_add_nc_u32_e32 v8, v8, v9
	ds_read_b32 v8, v8
	s_waitcnt lgkmcnt(0)
	flat_store_dword v[3:4], v8
.LBB2241_82:
	s_or_b32 exec_lo, exec_lo, s2
	v_or_b32_e32 v8, 0x100, v0
	s_mov_b32 s2, exec_lo
	v_cmpx_gt_u32_e64 s12, v8
	s_cbranch_execz .LBB2241_84
; %bb.83:
	s_waitcnt lgkmcnt(0)
	flat_store_dword v[3:4], v1 offset:1024
.LBB2241_84:
	s_or_b32 exec_lo, exec_lo, s2
	s_waitcnt lgkmcnt(0)
	v_or_b32_e32 v1, 0x200, v0
	v_cmp_gt_u32_e64 s2, s12, v1
	s_branch .LBB2241_87
.LBB2241_85:
	s_mov_b32 s2, 0
                                        ; implicit-def: $vgpr2
	s_cbranch_execz .LBB2241_87
; %bb.86:
	v_mul_u32_u24_e32 v1, 12, v0
	s_waitcnt_vscnt null, 0x0
	s_barrier
	buffer_gl0_inv
	s_or_b32 s2, s2, exec_lo
	v_sub_nc_u32_e32 v2, v1, v19
	ds_write2_b32 v1, v6, v5 offset1:1
	ds_write_b32 v1, v7 offset:8
	s_waitcnt lgkmcnt(0)
	s_barrier
	buffer_gl0_inv
	ds_read2st64_b32 v[3:4], v2 offset1:4
	ds_read_b32 v2, v2 offset:2048
	v_add_co_u32 v5, s3, s0, v18
	v_add_co_ci_u32_e64 v6, null, s1, 0, s3
	s_waitcnt lgkmcnt(1)
	flat_store_dword v[5:6], v3
	flat_store_dword v[5:6], v4 offset:1024
.LBB2241_87:
	s_and_saveexec_b32 s3, s2
	s_cbranch_execnz .LBB2241_89
; %bb.88:
	s_endpgm
.LBB2241_89:
	v_lshlrev_b32_e32 v0, 2, v0
	v_add_co_u32 v0, s0, s0, v0
	v_add_co_ci_u32_e64 v1, null, s1, 0, s0
	v_add_co_u32 v0, vcc_lo, 0x800, v0
	v_add_co_ci_u32_e64 v1, null, 0, v1, vcc_lo
	s_waitcnt lgkmcnt(2)
	flat_store_dword v[0:1], v2
	s_endpgm
.LBB2241_90:
	v_add_co_u32 v2, s20, s3, v10
	v_add_co_ci_u32_e64 v3, null, s13, 0, s20
	v_mov_b32_e32 v12, v1
	v_mov_b32_e32 v13, v1
	flat_load_dword v11, v[2:3]
	s_waitcnt vmcnt(0) lgkmcnt(0)
	v_mov_b32_e32 v1, v11
	v_mov_b32_e32 v2, v12
	;; [unrolled: 1-line block ×3, first 2 shown]
	s_or_b32 exec_lo, exec_lo, s2
	s_and_saveexec_b32 s2, s0
	s_cbranch_execz .LBB2241_11
.LBB2241_91:
	v_add_co_u32 v11, s0, s3, v10
	v_add_co_ci_u32_e64 v12, null, s13, 0, s0
	flat_load_dword v2, v[11:12] offset:1024
	s_or_b32 exec_lo, exec_lo, s2
	v_mul_u32_u24_e32 v13, 3, v0
	s_and_saveexec_b32 s0, s1
	s_cbranch_execnz .LBB2241_12
	s_branch .LBB2241_13
	.section	.rodata,"a",@progbits
	.p2align	6, 0x0
	.amdhsa_kernel _ZN7rocprim17ROCPRIM_400000_NS6detail17trampoline_kernelINS0_14default_configENS1_27scan_by_key_config_selectorIiiEEZZNS1_16scan_by_key_implILNS1_25lookback_scan_determinismE0ELb1ES3_N6thrust23THRUST_200600_302600_NS10device_ptrIiEESB_SB_iNS9_4plusIvEENS9_8equal_toIvEEiEE10hipError_tPvRmT2_T3_T4_T5_mT6_T7_P12ihipStream_tbENKUlT_T0_E_clISt17integral_constantIbLb0EESW_EEDaSR_SS_EUlSR_E_NS1_11comp_targetILNS1_3genE8ELNS1_11target_archE1030ELNS1_3gpuE2ELNS1_3repE0EEENS1_30default_config_static_selectorELNS0_4arch9wavefront6targetE0EEEvT1_
		.amdhsa_group_segment_fixed_size 5120
		.amdhsa_private_segment_fixed_size 0
		.amdhsa_kernarg_size 112
		.amdhsa_user_sgpr_count 6
		.amdhsa_user_sgpr_private_segment_buffer 1
		.amdhsa_user_sgpr_dispatch_ptr 0
		.amdhsa_user_sgpr_queue_ptr 0
		.amdhsa_user_sgpr_kernarg_segment_ptr 1
		.amdhsa_user_sgpr_dispatch_id 0
		.amdhsa_user_sgpr_flat_scratch_init 0
		.amdhsa_user_sgpr_private_segment_size 0
		.amdhsa_wavefront_size32 1
		.amdhsa_uses_dynamic_stack 0
		.amdhsa_system_sgpr_private_segment_wavefront_offset 0
		.amdhsa_system_sgpr_workgroup_id_x 1
		.amdhsa_system_sgpr_workgroup_id_y 0
		.amdhsa_system_sgpr_workgroup_id_z 0
		.amdhsa_system_sgpr_workgroup_info 0
		.amdhsa_system_vgpr_workitem_id 0
		.amdhsa_next_free_vgpr 42
		.amdhsa_next_free_sgpr 30
		.amdhsa_reserve_vcc 1
		.amdhsa_reserve_flat_scratch 1
		.amdhsa_float_round_mode_32 0
		.amdhsa_float_round_mode_16_64 0
		.amdhsa_float_denorm_mode_32 3
		.amdhsa_float_denorm_mode_16_64 3
		.amdhsa_dx10_clamp 1
		.amdhsa_ieee_mode 1
		.amdhsa_fp16_overflow 0
		.amdhsa_workgroup_processor_mode 1
		.amdhsa_memory_ordered 1
		.amdhsa_forward_progress 1
		.amdhsa_shared_vgpr_count 0
		.amdhsa_exception_fp_ieee_invalid_op 0
		.amdhsa_exception_fp_denorm_src 0
		.amdhsa_exception_fp_ieee_div_zero 0
		.amdhsa_exception_fp_ieee_overflow 0
		.amdhsa_exception_fp_ieee_underflow 0
		.amdhsa_exception_fp_ieee_inexact 0
		.amdhsa_exception_int_div_zero 0
	.end_amdhsa_kernel
	.section	.text._ZN7rocprim17ROCPRIM_400000_NS6detail17trampoline_kernelINS0_14default_configENS1_27scan_by_key_config_selectorIiiEEZZNS1_16scan_by_key_implILNS1_25lookback_scan_determinismE0ELb1ES3_N6thrust23THRUST_200600_302600_NS10device_ptrIiEESB_SB_iNS9_4plusIvEENS9_8equal_toIvEEiEE10hipError_tPvRmT2_T3_T4_T5_mT6_T7_P12ihipStream_tbENKUlT_T0_E_clISt17integral_constantIbLb0EESW_EEDaSR_SS_EUlSR_E_NS1_11comp_targetILNS1_3genE8ELNS1_11target_archE1030ELNS1_3gpuE2ELNS1_3repE0EEENS1_30default_config_static_selectorELNS0_4arch9wavefront6targetE0EEEvT1_,"axG",@progbits,_ZN7rocprim17ROCPRIM_400000_NS6detail17trampoline_kernelINS0_14default_configENS1_27scan_by_key_config_selectorIiiEEZZNS1_16scan_by_key_implILNS1_25lookback_scan_determinismE0ELb1ES3_N6thrust23THRUST_200600_302600_NS10device_ptrIiEESB_SB_iNS9_4plusIvEENS9_8equal_toIvEEiEE10hipError_tPvRmT2_T3_T4_T5_mT6_T7_P12ihipStream_tbENKUlT_T0_E_clISt17integral_constantIbLb0EESW_EEDaSR_SS_EUlSR_E_NS1_11comp_targetILNS1_3genE8ELNS1_11target_archE1030ELNS1_3gpuE2ELNS1_3repE0EEENS1_30default_config_static_selectorELNS0_4arch9wavefront6targetE0EEEvT1_,comdat
.Lfunc_end2241:
	.size	_ZN7rocprim17ROCPRIM_400000_NS6detail17trampoline_kernelINS0_14default_configENS1_27scan_by_key_config_selectorIiiEEZZNS1_16scan_by_key_implILNS1_25lookback_scan_determinismE0ELb1ES3_N6thrust23THRUST_200600_302600_NS10device_ptrIiEESB_SB_iNS9_4plusIvEENS9_8equal_toIvEEiEE10hipError_tPvRmT2_T3_T4_T5_mT6_T7_P12ihipStream_tbENKUlT_T0_E_clISt17integral_constantIbLb0EESW_EEDaSR_SS_EUlSR_E_NS1_11comp_targetILNS1_3genE8ELNS1_11target_archE1030ELNS1_3gpuE2ELNS1_3repE0EEENS1_30default_config_static_selectorELNS0_4arch9wavefront6targetE0EEEvT1_, .Lfunc_end2241-_ZN7rocprim17ROCPRIM_400000_NS6detail17trampoline_kernelINS0_14default_configENS1_27scan_by_key_config_selectorIiiEEZZNS1_16scan_by_key_implILNS1_25lookback_scan_determinismE0ELb1ES3_N6thrust23THRUST_200600_302600_NS10device_ptrIiEESB_SB_iNS9_4plusIvEENS9_8equal_toIvEEiEE10hipError_tPvRmT2_T3_T4_T5_mT6_T7_P12ihipStream_tbENKUlT_T0_E_clISt17integral_constantIbLb0EESW_EEDaSR_SS_EUlSR_E_NS1_11comp_targetILNS1_3genE8ELNS1_11target_archE1030ELNS1_3gpuE2ELNS1_3repE0EEENS1_30default_config_static_selectorELNS0_4arch9wavefront6targetE0EEEvT1_
                                        ; -- End function
	.set _ZN7rocprim17ROCPRIM_400000_NS6detail17trampoline_kernelINS0_14default_configENS1_27scan_by_key_config_selectorIiiEEZZNS1_16scan_by_key_implILNS1_25lookback_scan_determinismE0ELb1ES3_N6thrust23THRUST_200600_302600_NS10device_ptrIiEESB_SB_iNS9_4plusIvEENS9_8equal_toIvEEiEE10hipError_tPvRmT2_T3_T4_T5_mT6_T7_P12ihipStream_tbENKUlT_T0_E_clISt17integral_constantIbLb0EESW_EEDaSR_SS_EUlSR_E_NS1_11comp_targetILNS1_3genE8ELNS1_11target_archE1030ELNS1_3gpuE2ELNS1_3repE0EEENS1_30default_config_static_selectorELNS0_4arch9wavefront6targetE0EEEvT1_.num_vgpr, 42
	.set _ZN7rocprim17ROCPRIM_400000_NS6detail17trampoline_kernelINS0_14default_configENS1_27scan_by_key_config_selectorIiiEEZZNS1_16scan_by_key_implILNS1_25lookback_scan_determinismE0ELb1ES3_N6thrust23THRUST_200600_302600_NS10device_ptrIiEESB_SB_iNS9_4plusIvEENS9_8equal_toIvEEiEE10hipError_tPvRmT2_T3_T4_T5_mT6_T7_P12ihipStream_tbENKUlT_T0_E_clISt17integral_constantIbLb0EESW_EEDaSR_SS_EUlSR_E_NS1_11comp_targetILNS1_3genE8ELNS1_11target_archE1030ELNS1_3gpuE2ELNS1_3repE0EEENS1_30default_config_static_selectorELNS0_4arch9wavefront6targetE0EEEvT1_.num_agpr, 0
	.set _ZN7rocprim17ROCPRIM_400000_NS6detail17trampoline_kernelINS0_14default_configENS1_27scan_by_key_config_selectorIiiEEZZNS1_16scan_by_key_implILNS1_25lookback_scan_determinismE0ELb1ES3_N6thrust23THRUST_200600_302600_NS10device_ptrIiEESB_SB_iNS9_4plusIvEENS9_8equal_toIvEEiEE10hipError_tPvRmT2_T3_T4_T5_mT6_T7_P12ihipStream_tbENKUlT_T0_E_clISt17integral_constantIbLb0EESW_EEDaSR_SS_EUlSR_E_NS1_11comp_targetILNS1_3genE8ELNS1_11target_archE1030ELNS1_3gpuE2ELNS1_3repE0EEENS1_30default_config_static_selectorELNS0_4arch9wavefront6targetE0EEEvT1_.numbered_sgpr, 30
	.set _ZN7rocprim17ROCPRIM_400000_NS6detail17trampoline_kernelINS0_14default_configENS1_27scan_by_key_config_selectorIiiEEZZNS1_16scan_by_key_implILNS1_25lookback_scan_determinismE0ELb1ES3_N6thrust23THRUST_200600_302600_NS10device_ptrIiEESB_SB_iNS9_4plusIvEENS9_8equal_toIvEEiEE10hipError_tPvRmT2_T3_T4_T5_mT6_T7_P12ihipStream_tbENKUlT_T0_E_clISt17integral_constantIbLb0EESW_EEDaSR_SS_EUlSR_E_NS1_11comp_targetILNS1_3genE8ELNS1_11target_archE1030ELNS1_3gpuE2ELNS1_3repE0EEENS1_30default_config_static_selectorELNS0_4arch9wavefront6targetE0EEEvT1_.num_named_barrier, 0
	.set _ZN7rocprim17ROCPRIM_400000_NS6detail17trampoline_kernelINS0_14default_configENS1_27scan_by_key_config_selectorIiiEEZZNS1_16scan_by_key_implILNS1_25lookback_scan_determinismE0ELb1ES3_N6thrust23THRUST_200600_302600_NS10device_ptrIiEESB_SB_iNS9_4plusIvEENS9_8equal_toIvEEiEE10hipError_tPvRmT2_T3_T4_T5_mT6_T7_P12ihipStream_tbENKUlT_T0_E_clISt17integral_constantIbLb0EESW_EEDaSR_SS_EUlSR_E_NS1_11comp_targetILNS1_3genE8ELNS1_11target_archE1030ELNS1_3gpuE2ELNS1_3repE0EEENS1_30default_config_static_selectorELNS0_4arch9wavefront6targetE0EEEvT1_.private_seg_size, 0
	.set _ZN7rocprim17ROCPRIM_400000_NS6detail17trampoline_kernelINS0_14default_configENS1_27scan_by_key_config_selectorIiiEEZZNS1_16scan_by_key_implILNS1_25lookback_scan_determinismE0ELb1ES3_N6thrust23THRUST_200600_302600_NS10device_ptrIiEESB_SB_iNS9_4plusIvEENS9_8equal_toIvEEiEE10hipError_tPvRmT2_T3_T4_T5_mT6_T7_P12ihipStream_tbENKUlT_T0_E_clISt17integral_constantIbLb0EESW_EEDaSR_SS_EUlSR_E_NS1_11comp_targetILNS1_3genE8ELNS1_11target_archE1030ELNS1_3gpuE2ELNS1_3repE0EEENS1_30default_config_static_selectorELNS0_4arch9wavefront6targetE0EEEvT1_.uses_vcc, 1
	.set _ZN7rocprim17ROCPRIM_400000_NS6detail17trampoline_kernelINS0_14default_configENS1_27scan_by_key_config_selectorIiiEEZZNS1_16scan_by_key_implILNS1_25lookback_scan_determinismE0ELb1ES3_N6thrust23THRUST_200600_302600_NS10device_ptrIiEESB_SB_iNS9_4plusIvEENS9_8equal_toIvEEiEE10hipError_tPvRmT2_T3_T4_T5_mT6_T7_P12ihipStream_tbENKUlT_T0_E_clISt17integral_constantIbLb0EESW_EEDaSR_SS_EUlSR_E_NS1_11comp_targetILNS1_3genE8ELNS1_11target_archE1030ELNS1_3gpuE2ELNS1_3repE0EEENS1_30default_config_static_selectorELNS0_4arch9wavefront6targetE0EEEvT1_.uses_flat_scratch, 1
	.set _ZN7rocprim17ROCPRIM_400000_NS6detail17trampoline_kernelINS0_14default_configENS1_27scan_by_key_config_selectorIiiEEZZNS1_16scan_by_key_implILNS1_25lookback_scan_determinismE0ELb1ES3_N6thrust23THRUST_200600_302600_NS10device_ptrIiEESB_SB_iNS9_4plusIvEENS9_8equal_toIvEEiEE10hipError_tPvRmT2_T3_T4_T5_mT6_T7_P12ihipStream_tbENKUlT_T0_E_clISt17integral_constantIbLb0EESW_EEDaSR_SS_EUlSR_E_NS1_11comp_targetILNS1_3genE8ELNS1_11target_archE1030ELNS1_3gpuE2ELNS1_3repE0EEENS1_30default_config_static_selectorELNS0_4arch9wavefront6targetE0EEEvT1_.has_dyn_sized_stack, 0
	.set _ZN7rocprim17ROCPRIM_400000_NS6detail17trampoline_kernelINS0_14default_configENS1_27scan_by_key_config_selectorIiiEEZZNS1_16scan_by_key_implILNS1_25lookback_scan_determinismE0ELb1ES3_N6thrust23THRUST_200600_302600_NS10device_ptrIiEESB_SB_iNS9_4plusIvEENS9_8equal_toIvEEiEE10hipError_tPvRmT2_T3_T4_T5_mT6_T7_P12ihipStream_tbENKUlT_T0_E_clISt17integral_constantIbLb0EESW_EEDaSR_SS_EUlSR_E_NS1_11comp_targetILNS1_3genE8ELNS1_11target_archE1030ELNS1_3gpuE2ELNS1_3repE0EEENS1_30default_config_static_selectorELNS0_4arch9wavefront6targetE0EEEvT1_.has_recursion, 0
	.set _ZN7rocprim17ROCPRIM_400000_NS6detail17trampoline_kernelINS0_14default_configENS1_27scan_by_key_config_selectorIiiEEZZNS1_16scan_by_key_implILNS1_25lookback_scan_determinismE0ELb1ES3_N6thrust23THRUST_200600_302600_NS10device_ptrIiEESB_SB_iNS9_4plusIvEENS9_8equal_toIvEEiEE10hipError_tPvRmT2_T3_T4_T5_mT6_T7_P12ihipStream_tbENKUlT_T0_E_clISt17integral_constantIbLb0EESW_EEDaSR_SS_EUlSR_E_NS1_11comp_targetILNS1_3genE8ELNS1_11target_archE1030ELNS1_3gpuE2ELNS1_3repE0EEENS1_30default_config_static_selectorELNS0_4arch9wavefront6targetE0EEEvT1_.has_indirect_call, 0
	.section	.AMDGPU.csdata,"",@progbits
; Kernel info:
; codeLenInByte = 6184
; TotalNumSgprs: 32
; NumVgprs: 42
; ScratchSize: 0
; MemoryBound: 0
; FloatMode: 240
; IeeeMode: 1
; LDSByteSize: 5120 bytes/workgroup (compile time only)
; SGPRBlocks: 0
; VGPRBlocks: 5
; NumSGPRsForWavesPerEU: 32
; NumVGPRsForWavesPerEU: 42
; Occupancy: 16
; WaveLimiterHint : 1
; COMPUTE_PGM_RSRC2:SCRATCH_EN: 0
; COMPUTE_PGM_RSRC2:USER_SGPR: 6
; COMPUTE_PGM_RSRC2:TRAP_HANDLER: 0
; COMPUTE_PGM_RSRC2:TGID_X_EN: 1
; COMPUTE_PGM_RSRC2:TGID_Y_EN: 0
; COMPUTE_PGM_RSRC2:TGID_Z_EN: 0
; COMPUTE_PGM_RSRC2:TIDIG_COMP_CNT: 0
	.section	.text._ZN7rocprim17ROCPRIM_400000_NS6detail17trampoline_kernelINS0_14default_configENS1_27scan_by_key_config_selectorIiiEEZZNS1_16scan_by_key_implILNS1_25lookback_scan_determinismE0ELb1ES3_N6thrust23THRUST_200600_302600_NS10device_ptrIiEESB_SB_iNS9_4plusIvEENS9_8equal_toIvEEiEE10hipError_tPvRmT2_T3_T4_T5_mT6_T7_P12ihipStream_tbENKUlT_T0_E_clISt17integral_constantIbLb1EESW_EEDaSR_SS_EUlSR_E_NS1_11comp_targetILNS1_3genE0ELNS1_11target_archE4294967295ELNS1_3gpuE0ELNS1_3repE0EEENS1_30default_config_static_selectorELNS0_4arch9wavefront6targetE0EEEvT1_,"axG",@progbits,_ZN7rocprim17ROCPRIM_400000_NS6detail17trampoline_kernelINS0_14default_configENS1_27scan_by_key_config_selectorIiiEEZZNS1_16scan_by_key_implILNS1_25lookback_scan_determinismE0ELb1ES3_N6thrust23THRUST_200600_302600_NS10device_ptrIiEESB_SB_iNS9_4plusIvEENS9_8equal_toIvEEiEE10hipError_tPvRmT2_T3_T4_T5_mT6_T7_P12ihipStream_tbENKUlT_T0_E_clISt17integral_constantIbLb1EESW_EEDaSR_SS_EUlSR_E_NS1_11comp_targetILNS1_3genE0ELNS1_11target_archE4294967295ELNS1_3gpuE0ELNS1_3repE0EEENS1_30default_config_static_selectorELNS0_4arch9wavefront6targetE0EEEvT1_,comdat
	.protected	_ZN7rocprim17ROCPRIM_400000_NS6detail17trampoline_kernelINS0_14default_configENS1_27scan_by_key_config_selectorIiiEEZZNS1_16scan_by_key_implILNS1_25lookback_scan_determinismE0ELb1ES3_N6thrust23THRUST_200600_302600_NS10device_ptrIiEESB_SB_iNS9_4plusIvEENS9_8equal_toIvEEiEE10hipError_tPvRmT2_T3_T4_T5_mT6_T7_P12ihipStream_tbENKUlT_T0_E_clISt17integral_constantIbLb1EESW_EEDaSR_SS_EUlSR_E_NS1_11comp_targetILNS1_3genE0ELNS1_11target_archE4294967295ELNS1_3gpuE0ELNS1_3repE0EEENS1_30default_config_static_selectorELNS0_4arch9wavefront6targetE0EEEvT1_ ; -- Begin function _ZN7rocprim17ROCPRIM_400000_NS6detail17trampoline_kernelINS0_14default_configENS1_27scan_by_key_config_selectorIiiEEZZNS1_16scan_by_key_implILNS1_25lookback_scan_determinismE0ELb1ES3_N6thrust23THRUST_200600_302600_NS10device_ptrIiEESB_SB_iNS9_4plusIvEENS9_8equal_toIvEEiEE10hipError_tPvRmT2_T3_T4_T5_mT6_T7_P12ihipStream_tbENKUlT_T0_E_clISt17integral_constantIbLb1EESW_EEDaSR_SS_EUlSR_E_NS1_11comp_targetILNS1_3genE0ELNS1_11target_archE4294967295ELNS1_3gpuE0ELNS1_3repE0EEENS1_30default_config_static_selectorELNS0_4arch9wavefront6targetE0EEEvT1_
	.globl	_ZN7rocprim17ROCPRIM_400000_NS6detail17trampoline_kernelINS0_14default_configENS1_27scan_by_key_config_selectorIiiEEZZNS1_16scan_by_key_implILNS1_25lookback_scan_determinismE0ELb1ES3_N6thrust23THRUST_200600_302600_NS10device_ptrIiEESB_SB_iNS9_4plusIvEENS9_8equal_toIvEEiEE10hipError_tPvRmT2_T3_T4_T5_mT6_T7_P12ihipStream_tbENKUlT_T0_E_clISt17integral_constantIbLb1EESW_EEDaSR_SS_EUlSR_E_NS1_11comp_targetILNS1_3genE0ELNS1_11target_archE4294967295ELNS1_3gpuE0ELNS1_3repE0EEENS1_30default_config_static_selectorELNS0_4arch9wavefront6targetE0EEEvT1_
	.p2align	8
	.type	_ZN7rocprim17ROCPRIM_400000_NS6detail17trampoline_kernelINS0_14default_configENS1_27scan_by_key_config_selectorIiiEEZZNS1_16scan_by_key_implILNS1_25lookback_scan_determinismE0ELb1ES3_N6thrust23THRUST_200600_302600_NS10device_ptrIiEESB_SB_iNS9_4plusIvEENS9_8equal_toIvEEiEE10hipError_tPvRmT2_T3_T4_T5_mT6_T7_P12ihipStream_tbENKUlT_T0_E_clISt17integral_constantIbLb1EESW_EEDaSR_SS_EUlSR_E_NS1_11comp_targetILNS1_3genE0ELNS1_11target_archE4294967295ELNS1_3gpuE0ELNS1_3repE0EEENS1_30default_config_static_selectorELNS0_4arch9wavefront6targetE0EEEvT1_,@function
_ZN7rocprim17ROCPRIM_400000_NS6detail17trampoline_kernelINS0_14default_configENS1_27scan_by_key_config_selectorIiiEEZZNS1_16scan_by_key_implILNS1_25lookback_scan_determinismE0ELb1ES3_N6thrust23THRUST_200600_302600_NS10device_ptrIiEESB_SB_iNS9_4plusIvEENS9_8equal_toIvEEiEE10hipError_tPvRmT2_T3_T4_T5_mT6_T7_P12ihipStream_tbENKUlT_T0_E_clISt17integral_constantIbLb1EESW_EEDaSR_SS_EUlSR_E_NS1_11comp_targetILNS1_3genE0ELNS1_11target_archE4294967295ELNS1_3gpuE0ELNS1_3repE0EEENS1_30default_config_static_selectorELNS0_4arch9wavefront6targetE0EEEvT1_: ; @_ZN7rocprim17ROCPRIM_400000_NS6detail17trampoline_kernelINS0_14default_configENS1_27scan_by_key_config_selectorIiiEEZZNS1_16scan_by_key_implILNS1_25lookback_scan_determinismE0ELb1ES3_N6thrust23THRUST_200600_302600_NS10device_ptrIiEESB_SB_iNS9_4plusIvEENS9_8equal_toIvEEiEE10hipError_tPvRmT2_T3_T4_T5_mT6_T7_P12ihipStream_tbENKUlT_T0_E_clISt17integral_constantIbLb1EESW_EEDaSR_SS_EUlSR_E_NS1_11comp_targetILNS1_3genE0ELNS1_11target_archE4294967295ELNS1_3gpuE0ELNS1_3repE0EEENS1_30default_config_static_selectorELNS0_4arch9wavefront6targetE0EEEvT1_
; %bb.0:
	.section	.rodata,"a",@progbits
	.p2align	6, 0x0
	.amdhsa_kernel _ZN7rocprim17ROCPRIM_400000_NS6detail17trampoline_kernelINS0_14default_configENS1_27scan_by_key_config_selectorIiiEEZZNS1_16scan_by_key_implILNS1_25lookback_scan_determinismE0ELb1ES3_N6thrust23THRUST_200600_302600_NS10device_ptrIiEESB_SB_iNS9_4plusIvEENS9_8equal_toIvEEiEE10hipError_tPvRmT2_T3_T4_T5_mT6_T7_P12ihipStream_tbENKUlT_T0_E_clISt17integral_constantIbLb1EESW_EEDaSR_SS_EUlSR_E_NS1_11comp_targetILNS1_3genE0ELNS1_11target_archE4294967295ELNS1_3gpuE0ELNS1_3repE0EEENS1_30default_config_static_selectorELNS0_4arch9wavefront6targetE0EEEvT1_
		.amdhsa_group_segment_fixed_size 0
		.amdhsa_private_segment_fixed_size 0
		.amdhsa_kernarg_size 112
		.amdhsa_user_sgpr_count 6
		.amdhsa_user_sgpr_private_segment_buffer 1
		.amdhsa_user_sgpr_dispatch_ptr 0
		.amdhsa_user_sgpr_queue_ptr 0
		.amdhsa_user_sgpr_kernarg_segment_ptr 1
		.amdhsa_user_sgpr_dispatch_id 0
		.amdhsa_user_sgpr_flat_scratch_init 0
		.amdhsa_user_sgpr_private_segment_size 0
		.amdhsa_wavefront_size32 1
		.amdhsa_uses_dynamic_stack 0
		.amdhsa_system_sgpr_private_segment_wavefront_offset 0
		.amdhsa_system_sgpr_workgroup_id_x 1
		.amdhsa_system_sgpr_workgroup_id_y 0
		.amdhsa_system_sgpr_workgroup_id_z 0
		.amdhsa_system_sgpr_workgroup_info 0
		.amdhsa_system_vgpr_workitem_id 0
		.amdhsa_next_free_vgpr 1
		.amdhsa_next_free_sgpr 1
		.amdhsa_reserve_vcc 0
		.amdhsa_reserve_flat_scratch 0
		.amdhsa_float_round_mode_32 0
		.amdhsa_float_round_mode_16_64 0
		.amdhsa_float_denorm_mode_32 3
		.amdhsa_float_denorm_mode_16_64 3
		.amdhsa_dx10_clamp 1
		.amdhsa_ieee_mode 1
		.amdhsa_fp16_overflow 0
		.amdhsa_workgroup_processor_mode 1
		.amdhsa_memory_ordered 1
		.amdhsa_forward_progress 1
		.amdhsa_shared_vgpr_count 0
		.amdhsa_exception_fp_ieee_invalid_op 0
		.amdhsa_exception_fp_denorm_src 0
		.amdhsa_exception_fp_ieee_div_zero 0
		.amdhsa_exception_fp_ieee_overflow 0
		.amdhsa_exception_fp_ieee_underflow 0
		.amdhsa_exception_fp_ieee_inexact 0
		.amdhsa_exception_int_div_zero 0
	.end_amdhsa_kernel
	.section	.text._ZN7rocprim17ROCPRIM_400000_NS6detail17trampoline_kernelINS0_14default_configENS1_27scan_by_key_config_selectorIiiEEZZNS1_16scan_by_key_implILNS1_25lookback_scan_determinismE0ELb1ES3_N6thrust23THRUST_200600_302600_NS10device_ptrIiEESB_SB_iNS9_4plusIvEENS9_8equal_toIvEEiEE10hipError_tPvRmT2_T3_T4_T5_mT6_T7_P12ihipStream_tbENKUlT_T0_E_clISt17integral_constantIbLb1EESW_EEDaSR_SS_EUlSR_E_NS1_11comp_targetILNS1_3genE0ELNS1_11target_archE4294967295ELNS1_3gpuE0ELNS1_3repE0EEENS1_30default_config_static_selectorELNS0_4arch9wavefront6targetE0EEEvT1_,"axG",@progbits,_ZN7rocprim17ROCPRIM_400000_NS6detail17trampoline_kernelINS0_14default_configENS1_27scan_by_key_config_selectorIiiEEZZNS1_16scan_by_key_implILNS1_25lookback_scan_determinismE0ELb1ES3_N6thrust23THRUST_200600_302600_NS10device_ptrIiEESB_SB_iNS9_4plusIvEENS9_8equal_toIvEEiEE10hipError_tPvRmT2_T3_T4_T5_mT6_T7_P12ihipStream_tbENKUlT_T0_E_clISt17integral_constantIbLb1EESW_EEDaSR_SS_EUlSR_E_NS1_11comp_targetILNS1_3genE0ELNS1_11target_archE4294967295ELNS1_3gpuE0ELNS1_3repE0EEENS1_30default_config_static_selectorELNS0_4arch9wavefront6targetE0EEEvT1_,comdat
.Lfunc_end2242:
	.size	_ZN7rocprim17ROCPRIM_400000_NS6detail17trampoline_kernelINS0_14default_configENS1_27scan_by_key_config_selectorIiiEEZZNS1_16scan_by_key_implILNS1_25lookback_scan_determinismE0ELb1ES3_N6thrust23THRUST_200600_302600_NS10device_ptrIiEESB_SB_iNS9_4plusIvEENS9_8equal_toIvEEiEE10hipError_tPvRmT2_T3_T4_T5_mT6_T7_P12ihipStream_tbENKUlT_T0_E_clISt17integral_constantIbLb1EESW_EEDaSR_SS_EUlSR_E_NS1_11comp_targetILNS1_3genE0ELNS1_11target_archE4294967295ELNS1_3gpuE0ELNS1_3repE0EEENS1_30default_config_static_selectorELNS0_4arch9wavefront6targetE0EEEvT1_, .Lfunc_end2242-_ZN7rocprim17ROCPRIM_400000_NS6detail17trampoline_kernelINS0_14default_configENS1_27scan_by_key_config_selectorIiiEEZZNS1_16scan_by_key_implILNS1_25lookback_scan_determinismE0ELb1ES3_N6thrust23THRUST_200600_302600_NS10device_ptrIiEESB_SB_iNS9_4plusIvEENS9_8equal_toIvEEiEE10hipError_tPvRmT2_T3_T4_T5_mT6_T7_P12ihipStream_tbENKUlT_T0_E_clISt17integral_constantIbLb1EESW_EEDaSR_SS_EUlSR_E_NS1_11comp_targetILNS1_3genE0ELNS1_11target_archE4294967295ELNS1_3gpuE0ELNS1_3repE0EEENS1_30default_config_static_selectorELNS0_4arch9wavefront6targetE0EEEvT1_
                                        ; -- End function
	.set _ZN7rocprim17ROCPRIM_400000_NS6detail17trampoline_kernelINS0_14default_configENS1_27scan_by_key_config_selectorIiiEEZZNS1_16scan_by_key_implILNS1_25lookback_scan_determinismE0ELb1ES3_N6thrust23THRUST_200600_302600_NS10device_ptrIiEESB_SB_iNS9_4plusIvEENS9_8equal_toIvEEiEE10hipError_tPvRmT2_T3_T4_T5_mT6_T7_P12ihipStream_tbENKUlT_T0_E_clISt17integral_constantIbLb1EESW_EEDaSR_SS_EUlSR_E_NS1_11comp_targetILNS1_3genE0ELNS1_11target_archE4294967295ELNS1_3gpuE0ELNS1_3repE0EEENS1_30default_config_static_selectorELNS0_4arch9wavefront6targetE0EEEvT1_.num_vgpr, 0
	.set _ZN7rocprim17ROCPRIM_400000_NS6detail17trampoline_kernelINS0_14default_configENS1_27scan_by_key_config_selectorIiiEEZZNS1_16scan_by_key_implILNS1_25lookback_scan_determinismE0ELb1ES3_N6thrust23THRUST_200600_302600_NS10device_ptrIiEESB_SB_iNS9_4plusIvEENS9_8equal_toIvEEiEE10hipError_tPvRmT2_T3_T4_T5_mT6_T7_P12ihipStream_tbENKUlT_T0_E_clISt17integral_constantIbLb1EESW_EEDaSR_SS_EUlSR_E_NS1_11comp_targetILNS1_3genE0ELNS1_11target_archE4294967295ELNS1_3gpuE0ELNS1_3repE0EEENS1_30default_config_static_selectorELNS0_4arch9wavefront6targetE0EEEvT1_.num_agpr, 0
	.set _ZN7rocprim17ROCPRIM_400000_NS6detail17trampoline_kernelINS0_14default_configENS1_27scan_by_key_config_selectorIiiEEZZNS1_16scan_by_key_implILNS1_25lookback_scan_determinismE0ELb1ES3_N6thrust23THRUST_200600_302600_NS10device_ptrIiEESB_SB_iNS9_4plusIvEENS9_8equal_toIvEEiEE10hipError_tPvRmT2_T3_T4_T5_mT6_T7_P12ihipStream_tbENKUlT_T0_E_clISt17integral_constantIbLb1EESW_EEDaSR_SS_EUlSR_E_NS1_11comp_targetILNS1_3genE0ELNS1_11target_archE4294967295ELNS1_3gpuE0ELNS1_3repE0EEENS1_30default_config_static_selectorELNS0_4arch9wavefront6targetE0EEEvT1_.numbered_sgpr, 0
	.set _ZN7rocprim17ROCPRIM_400000_NS6detail17trampoline_kernelINS0_14default_configENS1_27scan_by_key_config_selectorIiiEEZZNS1_16scan_by_key_implILNS1_25lookback_scan_determinismE0ELb1ES3_N6thrust23THRUST_200600_302600_NS10device_ptrIiEESB_SB_iNS9_4plusIvEENS9_8equal_toIvEEiEE10hipError_tPvRmT2_T3_T4_T5_mT6_T7_P12ihipStream_tbENKUlT_T0_E_clISt17integral_constantIbLb1EESW_EEDaSR_SS_EUlSR_E_NS1_11comp_targetILNS1_3genE0ELNS1_11target_archE4294967295ELNS1_3gpuE0ELNS1_3repE0EEENS1_30default_config_static_selectorELNS0_4arch9wavefront6targetE0EEEvT1_.num_named_barrier, 0
	.set _ZN7rocprim17ROCPRIM_400000_NS6detail17trampoline_kernelINS0_14default_configENS1_27scan_by_key_config_selectorIiiEEZZNS1_16scan_by_key_implILNS1_25lookback_scan_determinismE0ELb1ES3_N6thrust23THRUST_200600_302600_NS10device_ptrIiEESB_SB_iNS9_4plusIvEENS9_8equal_toIvEEiEE10hipError_tPvRmT2_T3_T4_T5_mT6_T7_P12ihipStream_tbENKUlT_T0_E_clISt17integral_constantIbLb1EESW_EEDaSR_SS_EUlSR_E_NS1_11comp_targetILNS1_3genE0ELNS1_11target_archE4294967295ELNS1_3gpuE0ELNS1_3repE0EEENS1_30default_config_static_selectorELNS0_4arch9wavefront6targetE0EEEvT1_.private_seg_size, 0
	.set _ZN7rocprim17ROCPRIM_400000_NS6detail17trampoline_kernelINS0_14default_configENS1_27scan_by_key_config_selectorIiiEEZZNS1_16scan_by_key_implILNS1_25lookback_scan_determinismE0ELb1ES3_N6thrust23THRUST_200600_302600_NS10device_ptrIiEESB_SB_iNS9_4plusIvEENS9_8equal_toIvEEiEE10hipError_tPvRmT2_T3_T4_T5_mT6_T7_P12ihipStream_tbENKUlT_T0_E_clISt17integral_constantIbLb1EESW_EEDaSR_SS_EUlSR_E_NS1_11comp_targetILNS1_3genE0ELNS1_11target_archE4294967295ELNS1_3gpuE0ELNS1_3repE0EEENS1_30default_config_static_selectorELNS0_4arch9wavefront6targetE0EEEvT1_.uses_vcc, 0
	.set _ZN7rocprim17ROCPRIM_400000_NS6detail17trampoline_kernelINS0_14default_configENS1_27scan_by_key_config_selectorIiiEEZZNS1_16scan_by_key_implILNS1_25lookback_scan_determinismE0ELb1ES3_N6thrust23THRUST_200600_302600_NS10device_ptrIiEESB_SB_iNS9_4plusIvEENS9_8equal_toIvEEiEE10hipError_tPvRmT2_T3_T4_T5_mT6_T7_P12ihipStream_tbENKUlT_T0_E_clISt17integral_constantIbLb1EESW_EEDaSR_SS_EUlSR_E_NS1_11comp_targetILNS1_3genE0ELNS1_11target_archE4294967295ELNS1_3gpuE0ELNS1_3repE0EEENS1_30default_config_static_selectorELNS0_4arch9wavefront6targetE0EEEvT1_.uses_flat_scratch, 0
	.set _ZN7rocprim17ROCPRIM_400000_NS6detail17trampoline_kernelINS0_14default_configENS1_27scan_by_key_config_selectorIiiEEZZNS1_16scan_by_key_implILNS1_25lookback_scan_determinismE0ELb1ES3_N6thrust23THRUST_200600_302600_NS10device_ptrIiEESB_SB_iNS9_4plusIvEENS9_8equal_toIvEEiEE10hipError_tPvRmT2_T3_T4_T5_mT6_T7_P12ihipStream_tbENKUlT_T0_E_clISt17integral_constantIbLb1EESW_EEDaSR_SS_EUlSR_E_NS1_11comp_targetILNS1_3genE0ELNS1_11target_archE4294967295ELNS1_3gpuE0ELNS1_3repE0EEENS1_30default_config_static_selectorELNS0_4arch9wavefront6targetE0EEEvT1_.has_dyn_sized_stack, 0
	.set _ZN7rocprim17ROCPRIM_400000_NS6detail17trampoline_kernelINS0_14default_configENS1_27scan_by_key_config_selectorIiiEEZZNS1_16scan_by_key_implILNS1_25lookback_scan_determinismE0ELb1ES3_N6thrust23THRUST_200600_302600_NS10device_ptrIiEESB_SB_iNS9_4plusIvEENS9_8equal_toIvEEiEE10hipError_tPvRmT2_T3_T4_T5_mT6_T7_P12ihipStream_tbENKUlT_T0_E_clISt17integral_constantIbLb1EESW_EEDaSR_SS_EUlSR_E_NS1_11comp_targetILNS1_3genE0ELNS1_11target_archE4294967295ELNS1_3gpuE0ELNS1_3repE0EEENS1_30default_config_static_selectorELNS0_4arch9wavefront6targetE0EEEvT1_.has_recursion, 0
	.set _ZN7rocprim17ROCPRIM_400000_NS6detail17trampoline_kernelINS0_14default_configENS1_27scan_by_key_config_selectorIiiEEZZNS1_16scan_by_key_implILNS1_25lookback_scan_determinismE0ELb1ES3_N6thrust23THRUST_200600_302600_NS10device_ptrIiEESB_SB_iNS9_4plusIvEENS9_8equal_toIvEEiEE10hipError_tPvRmT2_T3_T4_T5_mT6_T7_P12ihipStream_tbENKUlT_T0_E_clISt17integral_constantIbLb1EESW_EEDaSR_SS_EUlSR_E_NS1_11comp_targetILNS1_3genE0ELNS1_11target_archE4294967295ELNS1_3gpuE0ELNS1_3repE0EEENS1_30default_config_static_selectorELNS0_4arch9wavefront6targetE0EEEvT1_.has_indirect_call, 0
	.section	.AMDGPU.csdata,"",@progbits
; Kernel info:
; codeLenInByte = 0
; TotalNumSgprs: 0
; NumVgprs: 0
; ScratchSize: 0
; MemoryBound: 0
; FloatMode: 240
; IeeeMode: 1
; LDSByteSize: 0 bytes/workgroup (compile time only)
; SGPRBlocks: 0
; VGPRBlocks: 0
; NumSGPRsForWavesPerEU: 1
; NumVGPRsForWavesPerEU: 1
; Occupancy: 16
; WaveLimiterHint : 0
; COMPUTE_PGM_RSRC2:SCRATCH_EN: 0
; COMPUTE_PGM_RSRC2:USER_SGPR: 6
; COMPUTE_PGM_RSRC2:TRAP_HANDLER: 0
; COMPUTE_PGM_RSRC2:TGID_X_EN: 1
; COMPUTE_PGM_RSRC2:TGID_Y_EN: 0
; COMPUTE_PGM_RSRC2:TGID_Z_EN: 0
; COMPUTE_PGM_RSRC2:TIDIG_COMP_CNT: 0
	.section	.text._ZN7rocprim17ROCPRIM_400000_NS6detail17trampoline_kernelINS0_14default_configENS1_27scan_by_key_config_selectorIiiEEZZNS1_16scan_by_key_implILNS1_25lookback_scan_determinismE0ELb1ES3_N6thrust23THRUST_200600_302600_NS10device_ptrIiEESB_SB_iNS9_4plusIvEENS9_8equal_toIvEEiEE10hipError_tPvRmT2_T3_T4_T5_mT6_T7_P12ihipStream_tbENKUlT_T0_E_clISt17integral_constantIbLb1EESW_EEDaSR_SS_EUlSR_E_NS1_11comp_targetILNS1_3genE10ELNS1_11target_archE1201ELNS1_3gpuE5ELNS1_3repE0EEENS1_30default_config_static_selectorELNS0_4arch9wavefront6targetE0EEEvT1_,"axG",@progbits,_ZN7rocprim17ROCPRIM_400000_NS6detail17trampoline_kernelINS0_14default_configENS1_27scan_by_key_config_selectorIiiEEZZNS1_16scan_by_key_implILNS1_25lookback_scan_determinismE0ELb1ES3_N6thrust23THRUST_200600_302600_NS10device_ptrIiEESB_SB_iNS9_4plusIvEENS9_8equal_toIvEEiEE10hipError_tPvRmT2_T3_T4_T5_mT6_T7_P12ihipStream_tbENKUlT_T0_E_clISt17integral_constantIbLb1EESW_EEDaSR_SS_EUlSR_E_NS1_11comp_targetILNS1_3genE10ELNS1_11target_archE1201ELNS1_3gpuE5ELNS1_3repE0EEENS1_30default_config_static_selectorELNS0_4arch9wavefront6targetE0EEEvT1_,comdat
	.protected	_ZN7rocprim17ROCPRIM_400000_NS6detail17trampoline_kernelINS0_14default_configENS1_27scan_by_key_config_selectorIiiEEZZNS1_16scan_by_key_implILNS1_25lookback_scan_determinismE0ELb1ES3_N6thrust23THRUST_200600_302600_NS10device_ptrIiEESB_SB_iNS9_4plusIvEENS9_8equal_toIvEEiEE10hipError_tPvRmT2_T3_T4_T5_mT6_T7_P12ihipStream_tbENKUlT_T0_E_clISt17integral_constantIbLb1EESW_EEDaSR_SS_EUlSR_E_NS1_11comp_targetILNS1_3genE10ELNS1_11target_archE1201ELNS1_3gpuE5ELNS1_3repE0EEENS1_30default_config_static_selectorELNS0_4arch9wavefront6targetE0EEEvT1_ ; -- Begin function _ZN7rocprim17ROCPRIM_400000_NS6detail17trampoline_kernelINS0_14default_configENS1_27scan_by_key_config_selectorIiiEEZZNS1_16scan_by_key_implILNS1_25lookback_scan_determinismE0ELb1ES3_N6thrust23THRUST_200600_302600_NS10device_ptrIiEESB_SB_iNS9_4plusIvEENS9_8equal_toIvEEiEE10hipError_tPvRmT2_T3_T4_T5_mT6_T7_P12ihipStream_tbENKUlT_T0_E_clISt17integral_constantIbLb1EESW_EEDaSR_SS_EUlSR_E_NS1_11comp_targetILNS1_3genE10ELNS1_11target_archE1201ELNS1_3gpuE5ELNS1_3repE0EEENS1_30default_config_static_selectorELNS0_4arch9wavefront6targetE0EEEvT1_
	.globl	_ZN7rocprim17ROCPRIM_400000_NS6detail17trampoline_kernelINS0_14default_configENS1_27scan_by_key_config_selectorIiiEEZZNS1_16scan_by_key_implILNS1_25lookback_scan_determinismE0ELb1ES3_N6thrust23THRUST_200600_302600_NS10device_ptrIiEESB_SB_iNS9_4plusIvEENS9_8equal_toIvEEiEE10hipError_tPvRmT2_T3_T4_T5_mT6_T7_P12ihipStream_tbENKUlT_T0_E_clISt17integral_constantIbLb1EESW_EEDaSR_SS_EUlSR_E_NS1_11comp_targetILNS1_3genE10ELNS1_11target_archE1201ELNS1_3gpuE5ELNS1_3repE0EEENS1_30default_config_static_selectorELNS0_4arch9wavefront6targetE0EEEvT1_
	.p2align	8
	.type	_ZN7rocprim17ROCPRIM_400000_NS6detail17trampoline_kernelINS0_14default_configENS1_27scan_by_key_config_selectorIiiEEZZNS1_16scan_by_key_implILNS1_25lookback_scan_determinismE0ELb1ES3_N6thrust23THRUST_200600_302600_NS10device_ptrIiEESB_SB_iNS9_4plusIvEENS9_8equal_toIvEEiEE10hipError_tPvRmT2_T3_T4_T5_mT6_T7_P12ihipStream_tbENKUlT_T0_E_clISt17integral_constantIbLb1EESW_EEDaSR_SS_EUlSR_E_NS1_11comp_targetILNS1_3genE10ELNS1_11target_archE1201ELNS1_3gpuE5ELNS1_3repE0EEENS1_30default_config_static_selectorELNS0_4arch9wavefront6targetE0EEEvT1_,@function
_ZN7rocprim17ROCPRIM_400000_NS6detail17trampoline_kernelINS0_14default_configENS1_27scan_by_key_config_selectorIiiEEZZNS1_16scan_by_key_implILNS1_25lookback_scan_determinismE0ELb1ES3_N6thrust23THRUST_200600_302600_NS10device_ptrIiEESB_SB_iNS9_4plusIvEENS9_8equal_toIvEEiEE10hipError_tPvRmT2_T3_T4_T5_mT6_T7_P12ihipStream_tbENKUlT_T0_E_clISt17integral_constantIbLb1EESW_EEDaSR_SS_EUlSR_E_NS1_11comp_targetILNS1_3genE10ELNS1_11target_archE1201ELNS1_3gpuE5ELNS1_3repE0EEENS1_30default_config_static_selectorELNS0_4arch9wavefront6targetE0EEEvT1_: ; @_ZN7rocprim17ROCPRIM_400000_NS6detail17trampoline_kernelINS0_14default_configENS1_27scan_by_key_config_selectorIiiEEZZNS1_16scan_by_key_implILNS1_25lookback_scan_determinismE0ELb1ES3_N6thrust23THRUST_200600_302600_NS10device_ptrIiEESB_SB_iNS9_4plusIvEENS9_8equal_toIvEEiEE10hipError_tPvRmT2_T3_T4_T5_mT6_T7_P12ihipStream_tbENKUlT_T0_E_clISt17integral_constantIbLb1EESW_EEDaSR_SS_EUlSR_E_NS1_11comp_targetILNS1_3genE10ELNS1_11target_archE1201ELNS1_3gpuE5ELNS1_3repE0EEENS1_30default_config_static_selectorELNS0_4arch9wavefront6targetE0EEEvT1_
; %bb.0:
	.section	.rodata,"a",@progbits
	.p2align	6, 0x0
	.amdhsa_kernel _ZN7rocprim17ROCPRIM_400000_NS6detail17trampoline_kernelINS0_14default_configENS1_27scan_by_key_config_selectorIiiEEZZNS1_16scan_by_key_implILNS1_25lookback_scan_determinismE0ELb1ES3_N6thrust23THRUST_200600_302600_NS10device_ptrIiEESB_SB_iNS9_4plusIvEENS9_8equal_toIvEEiEE10hipError_tPvRmT2_T3_T4_T5_mT6_T7_P12ihipStream_tbENKUlT_T0_E_clISt17integral_constantIbLb1EESW_EEDaSR_SS_EUlSR_E_NS1_11comp_targetILNS1_3genE10ELNS1_11target_archE1201ELNS1_3gpuE5ELNS1_3repE0EEENS1_30default_config_static_selectorELNS0_4arch9wavefront6targetE0EEEvT1_
		.amdhsa_group_segment_fixed_size 0
		.amdhsa_private_segment_fixed_size 0
		.amdhsa_kernarg_size 112
		.amdhsa_user_sgpr_count 6
		.amdhsa_user_sgpr_private_segment_buffer 1
		.amdhsa_user_sgpr_dispatch_ptr 0
		.amdhsa_user_sgpr_queue_ptr 0
		.amdhsa_user_sgpr_kernarg_segment_ptr 1
		.amdhsa_user_sgpr_dispatch_id 0
		.amdhsa_user_sgpr_flat_scratch_init 0
		.amdhsa_user_sgpr_private_segment_size 0
		.amdhsa_wavefront_size32 1
		.amdhsa_uses_dynamic_stack 0
		.amdhsa_system_sgpr_private_segment_wavefront_offset 0
		.amdhsa_system_sgpr_workgroup_id_x 1
		.amdhsa_system_sgpr_workgroup_id_y 0
		.amdhsa_system_sgpr_workgroup_id_z 0
		.amdhsa_system_sgpr_workgroup_info 0
		.amdhsa_system_vgpr_workitem_id 0
		.amdhsa_next_free_vgpr 1
		.amdhsa_next_free_sgpr 1
		.amdhsa_reserve_vcc 0
		.amdhsa_reserve_flat_scratch 0
		.amdhsa_float_round_mode_32 0
		.amdhsa_float_round_mode_16_64 0
		.amdhsa_float_denorm_mode_32 3
		.amdhsa_float_denorm_mode_16_64 3
		.amdhsa_dx10_clamp 1
		.amdhsa_ieee_mode 1
		.amdhsa_fp16_overflow 0
		.amdhsa_workgroup_processor_mode 1
		.amdhsa_memory_ordered 1
		.amdhsa_forward_progress 1
		.amdhsa_shared_vgpr_count 0
		.amdhsa_exception_fp_ieee_invalid_op 0
		.amdhsa_exception_fp_denorm_src 0
		.amdhsa_exception_fp_ieee_div_zero 0
		.amdhsa_exception_fp_ieee_overflow 0
		.amdhsa_exception_fp_ieee_underflow 0
		.amdhsa_exception_fp_ieee_inexact 0
		.amdhsa_exception_int_div_zero 0
	.end_amdhsa_kernel
	.section	.text._ZN7rocprim17ROCPRIM_400000_NS6detail17trampoline_kernelINS0_14default_configENS1_27scan_by_key_config_selectorIiiEEZZNS1_16scan_by_key_implILNS1_25lookback_scan_determinismE0ELb1ES3_N6thrust23THRUST_200600_302600_NS10device_ptrIiEESB_SB_iNS9_4plusIvEENS9_8equal_toIvEEiEE10hipError_tPvRmT2_T3_T4_T5_mT6_T7_P12ihipStream_tbENKUlT_T0_E_clISt17integral_constantIbLb1EESW_EEDaSR_SS_EUlSR_E_NS1_11comp_targetILNS1_3genE10ELNS1_11target_archE1201ELNS1_3gpuE5ELNS1_3repE0EEENS1_30default_config_static_selectorELNS0_4arch9wavefront6targetE0EEEvT1_,"axG",@progbits,_ZN7rocprim17ROCPRIM_400000_NS6detail17trampoline_kernelINS0_14default_configENS1_27scan_by_key_config_selectorIiiEEZZNS1_16scan_by_key_implILNS1_25lookback_scan_determinismE0ELb1ES3_N6thrust23THRUST_200600_302600_NS10device_ptrIiEESB_SB_iNS9_4plusIvEENS9_8equal_toIvEEiEE10hipError_tPvRmT2_T3_T4_T5_mT6_T7_P12ihipStream_tbENKUlT_T0_E_clISt17integral_constantIbLb1EESW_EEDaSR_SS_EUlSR_E_NS1_11comp_targetILNS1_3genE10ELNS1_11target_archE1201ELNS1_3gpuE5ELNS1_3repE0EEENS1_30default_config_static_selectorELNS0_4arch9wavefront6targetE0EEEvT1_,comdat
.Lfunc_end2243:
	.size	_ZN7rocprim17ROCPRIM_400000_NS6detail17trampoline_kernelINS0_14default_configENS1_27scan_by_key_config_selectorIiiEEZZNS1_16scan_by_key_implILNS1_25lookback_scan_determinismE0ELb1ES3_N6thrust23THRUST_200600_302600_NS10device_ptrIiEESB_SB_iNS9_4plusIvEENS9_8equal_toIvEEiEE10hipError_tPvRmT2_T3_T4_T5_mT6_T7_P12ihipStream_tbENKUlT_T0_E_clISt17integral_constantIbLb1EESW_EEDaSR_SS_EUlSR_E_NS1_11comp_targetILNS1_3genE10ELNS1_11target_archE1201ELNS1_3gpuE5ELNS1_3repE0EEENS1_30default_config_static_selectorELNS0_4arch9wavefront6targetE0EEEvT1_, .Lfunc_end2243-_ZN7rocprim17ROCPRIM_400000_NS6detail17trampoline_kernelINS0_14default_configENS1_27scan_by_key_config_selectorIiiEEZZNS1_16scan_by_key_implILNS1_25lookback_scan_determinismE0ELb1ES3_N6thrust23THRUST_200600_302600_NS10device_ptrIiEESB_SB_iNS9_4plusIvEENS9_8equal_toIvEEiEE10hipError_tPvRmT2_T3_T4_T5_mT6_T7_P12ihipStream_tbENKUlT_T0_E_clISt17integral_constantIbLb1EESW_EEDaSR_SS_EUlSR_E_NS1_11comp_targetILNS1_3genE10ELNS1_11target_archE1201ELNS1_3gpuE5ELNS1_3repE0EEENS1_30default_config_static_selectorELNS0_4arch9wavefront6targetE0EEEvT1_
                                        ; -- End function
	.set _ZN7rocprim17ROCPRIM_400000_NS6detail17trampoline_kernelINS0_14default_configENS1_27scan_by_key_config_selectorIiiEEZZNS1_16scan_by_key_implILNS1_25lookback_scan_determinismE0ELb1ES3_N6thrust23THRUST_200600_302600_NS10device_ptrIiEESB_SB_iNS9_4plusIvEENS9_8equal_toIvEEiEE10hipError_tPvRmT2_T3_T4_T5_mT6_T7_P12ihipStream_tbENKUlT_T0_E_clISt17integral_constantIbLb1EESW_EEDaSR_SS_EUlSR_E_NS1_11comp_targetILNS1_3genE10ELNS1_11target_archE1201ELNS1_3gpuE5ELNS1_3repE0EEENS1_30default_config_static_selectorELNS0_4arch9wavefront6targetE0EEEvT1_.num_vgpr, 0
	.set _ZN7rocprim17ROCPRIM_400000_NS6detail17trampoline_kernelINS0_14default_configENS1_27scan_by_key_config_selectorIiiEEZZNS1_16scan_by_key_implILNS1_25lookback_scan_determinismE0ELb1ES3_N6thrust23THRUST_200600_302600_NS10device_ptrIiEESB_SB_iNS9_4plusIvEENS9_8equal_toIvEEiEE10hipError_tPvRmT2_T3_T4_T5_mT6_T7_P12ihipStream_tbENKUlT_T0_E_clISt17integral_constantIbLb1EESW_EEDaSR_SS_EUlSR_E_NS1_11comp_targetILNS1_3genE10ELNS1_11target_archE1201ELNS1_3gpuE5ELNS1_3repE0EEENS1_30default_config_static_selectorELNS0_4arch9wavefront6targetE0EEEvT1_.num_agpr, 0
	.set _ZN7rocprim17ROCPRIM_400000_NS6detail17trampoline_kernelINS0_14default_configENS1_27scan_by_key_config_selectorIiiEEZZNS1_16scan_by_key_implILNS1_25lookback_scan_determinismE0ELb1ES3_N6thrust23THRUST_200600_302600_NS10device_ptrIiEESB_SB_iNS9_4plusIvEENS9_8equal_toIvEEiEE10hipError_tPvRmT2_T3_T4_T5_mT6_T7_P12ihipStream_tbENKUlT_T0_E_clISt17integral_constantIbLb1EESW_EEDaSR_SS_EUlSR_E_NS1_11comp_targetILNS1_3genE10ELNS1_11target_archE1201ELNS1_3gpuE5ELNS1_3repE0EEENS1_30default_config_static_selectorELNS0_4arch9wavefront6targetE0EEEvT1_.numbered_sgpr, 0
	.set _ZN7rocprim17ROCPRIM_400000_NS6detail17trampoline_kernelINS0_14default_configENS1_27scan_by_key_config_selectorIiiEEZZNS1_16scan_by_key_implILNS1_25lookback_scan_determinismE0ELb1ES3_N6thrust23THRUST_200600_302600_NS10device_ptrIiEESB_SB_iNS9_4plusIvEENS9_8equal_toIvEEiEE10hipError_tPvRmT2_T3_T4_T5_mT6_T7_P12ihipStream_tbENKUlT_T0_E_clISt17integral_constantIbLb1EESW_EEDaSR_SS_EUlSR_E_NS1_11comp_targetILNS1_3genE10ELNS1_11target_archE1201ELNS1_3gpuE5ELNS1_3repE0EEENS1_30default_config_static_selectorELNS0_4arch9wavefront6targetE0EEEvT1_.num_named_barrier, 0
	.set _ZN7rocprim17ROCPRIM_400000_NS6detail17trampoline_kernelINS0_14default_configENS1_27scan_by_key_config_selectorIiiEEZZNS1_16scan_by_key_implILNS1_25lookback_scan_determinismE0ELb1ES3_N6thrust23THRUST_200600_302600_NS10device_ptrIiEESB_SB_iNS9_4plusIvEENS9_8equal_toIvEEiEE10hipError_tPvRmT2_T3_T4_T5_mT6_T7_P12ihipStream_tbENKUlT_T0_E_clISt17integral_constantIbLb1EESW_EEDaSR_SS_EUlSR_E_NS1_11comp_targetILNS1_3genE10ELNS1_11target_archE1201ELNS1_3gpuE5ELNS1_3repE0EEENS1_30default_config_static_selectorELNS0_4arch9wavefront6targetE0EEEvT1_.private_seg_size, 0
	.set _ZN7rocprim17ROCPRIM_400000_NS6detail17trampoline_kernelINS0_14default_configENS1_27scan_by_key_config_selectorIiiEEZZNS1_16scan_by_key_implILNS1_25lookback_scan_determinismE0ELb1ES3_N6thrust23THRUST_200600_302600_NS10device_ptrIiEESB_SB_iNS9_4plusIvEENS9_8equal_toIvEEiEE10hipError_tPvRmT2_T3_T4_T5_mT6_T7_P12ihipStream_tbENKUlT_T0_E_clISt17integral_constantIbLb1EESW_EEDaSR_SS_EUlSR_E_NS1_11comp_targetILNS1_3genE10ELNS1_11target_archE1201ELNS1_3gpuE5ELNS1_3repE0EEENS1_30default_config_static_selectorELNS0_4arch9wavefront6targetE0EEEvT1_.uses_vcc, 0
	.set _ZN7rocprim17ROCPRIM_400000_NS6detail17trampoline_kernelINS0_14default_configENS1_27scan_by_key_config_selectorIiiEEZZNS1_16scan_by_key_implILNS1_25lookback_scan_determinismE0ELb1ES3_N6thrust23THRUST_200600_302600_NS10device_ptrIiEESB_SB_iNS9_4plusIvEENS9_8equal_toIvEEiEE10hipError_tPvRmT2_T3_T4_T5_mT6_T7_P12ihipStream_tbENKUlT_T0_E_clISt17integral_constantIbLb1EESW_EEDaSR_SS_EUlSR_E_NS1_11comp_targetILNS1_3genE10ELNS1_11target_archE1201ELNS1_3gpuE5ELNS1_3repE0EEENS1_30default_config_static_selectorELNS0_4arch9wavefront6targetE0EEEvT1_.uses_flat_scratch, 0
	.set _ZN7rocprim17ROCPRIM_400000_NS6detail17trampoline_kernelINS0_14default_configENS1_27scan_by_key_config_selectorIiiEEZZNS1_16scan_by_key_implILNS1_25lookback_scan_determinismE0ELb1ES3_N6thrust23THRUST_200600_302600_NS10device_ptrIiEESB_SB_iNS9_4plusIvEENS9_8equal_toIvEEiEE10hipError_tPvRmT2_T3_T4_T5_mT6_T7_P12ihipStream_tbENKUlT_T0_E_clISt17integral_constantIbLb1EESW_EEDaSR_SS_EUlSR_E_NS1_11comp_targetILNS1_3genE10ELNS1_11target_archE1201ELNS1_3gpuE5ELNS1_3repE0EEENS1_30default_config_static_selectorELNS0_4arch9wavefront6targetE0EEEvT1_.has_dyn_sized_stack, 0
	.set _ZN7rocprim17ROCPRIM_400000_NS6detail17trampoline_kernelINS0_14default_configENS1_27scan_by_key_config_selectorIiiEEZZNS1_16scan_by_key_implILNS1_25lookback_scan_determinismE0ELb1ES3_N6thrust23THRUST_200600_302600_NS10device_ptrIiEESB_SB_iNS9_4plusIvEENS9_8equal_toIvEEiEE10hipError_tPvRmT2_T3_T4_T5_mT6_T7_P12ihipStream_tbENKUlT_T0_E_clISt17integral_constantIbLb1EESW_EEDaSR_SS_EUlSR_E_NS1_11comp_targetILNS1_3genE10ELNS1_11target_archE1201ELNS1_3gpuE5ELNS1_3repE0EEENS1_30default_config_static_selectorELNS0_4arch9wavefront6targetE0EEEvT1_.has_recursion, 0
	.set _ZN7rocprim17ROCPRIM_400000_NS6detail17trampoline_kernelINS0_14default_configENS1_27scan_by_key_config_selectorIiiEEZZNS1_16scan_by_key_implILNS1_25lookback_scan_determinismE0ELb1ES3_N6thrust23THRUST_200600_302600_NS10device_ptrIiEESB_SB_iNS9_4plusIvEENS9_8equal_toIvEEiEE10hipError_tPvRmT2_T3_T4_T5_mT6_T7_P12ihipStream_tbENKUlT_T0_E_clISt17integral_constantIbLb1EESW_EEDaSR_SS_EUlSR_E_NS1_11comp_targetILNS1_3genE10ELNS1_11target_archE1201ELNS1_3gpuE5ELNS1_3repE0EEENS1_30default_config_static_selectorELNS0_4arch9wavefront6targetE0EEEvT1_.has_indirect_call, 0
	.section	.AMDGPU.csdata,"",@progbits
; Kernel info:
; codeLenInByte = 0
; TotalNumSgprs: 0
; NumVgprs: 0
; ScratchSize: 0
; MemoryBound: 0
; FloatMode: 240
; IeeeMode: 1
; LDSByteSize: 0 bytes/workgroup (compile time only)
; SGPRBlocks: 0
; VGPRBlocks: 0
; NumSGPRsForWavesPerEU: 1
; NumVGPRsForWavesPerEU: 1
; Occupancy: 16
; WaveLimiterHint : 0
; COMPUTE_PGM_RSRC2:SCRATCH_EN: 0
; COMPUTE_PGM_RSRC2:USER_SGPR: 6
; COMPUTE_PGM_RSRC2:TRAP_HANDLER: 0
; COMPUTE_PGM_RSRC2:TGID_X_EN: 1
; COMPUTE_PGM_RSRC2:TGID_Y_EN: 0
; COMPUTE_PGM_RSRC2:TGID_Z_EN: 0
; COMPUTE_PGM_RSRC2:TIDIG_COMP_CNT: 0
	.section	.text._ZN7rocprim17ROCPRIM_400000_NS6detail17trampoline_kernelINS0_14default_configENS1_27scan_by_key_config_selectorIiiEEZZNS1_16scan_by_key_implILNS1_25lookback_scan_determinismE0ELb1ES3_N6thrust23THRUST_200600_302600_NS10device_ptrIiEESB_SB_iNS9_4plusIvEENS9_8equal_toIvEEiEE10hipError_tPvRmT2_T3_T4_T5_mT6_T7_P12ihipStream_tbENKUlT_T0_E_clISt17integral_constantIbLb1EESW_EEDaSR_SS_EUlSR_E_NS1_11comp_targetILNS1_3genE5ELNS1_11target_archE942ELNS1_3gpuE9ELNS1_3repE0EEENS1_30default_config_static_selectorELNS0_4arch9wavefront6targetE0EEEvT1_,"axG",@progbits,_ZN7rocprim17ROCPRIM_400000_NS6detail17trampoline_kernelINS0_14default_configENS1_27scan_by_key_config_selectorIiiEEZZNS1_16scan_by_key_implILNS1_25lookback_scan_determinismE0ELb1ES3_N6thrust23THRUST_200600_302600_NS10device_ptrIiEESB_SB_iNS9_4plusIvEENS9_8equal_toIvEEiEE10hipError_tPvRmT2_T3_T4_T5_mT6_T7_P12ihipStream_tbENKUlT_T0_E_clISt17integral_constantIbLb1EESW_EEDaSR_SS_EUlSR_E_NS1_11comp_targetILNS1_3genE5ELNS1_11target_archE942ELNS1_3gpuE9ELNS1_3repE0EEENS1_30default_config_static_selectorELNS0_4arch9wavefront6targetE0EEEvT1_,comdat
	.protected	_ZN7rocprim17ROCPRIM_400000_NS6detail17trampoline_kernelINS0_14default_configENS1_27scan_by_key_config_selectorIiiEEZZNS1_16scan_by_key_implILNS1_25lookback_scan_determinismE0ELb1ES3_N6thrust23THRUST_200600_302600_NS10device_ptrIiEESB_SB_iNS9_4plusIvEENS9_8equal_toIvEEiEE10hipError_tPvRmT2_T3_T4_T5_mT6_T7_P12ihipStream_tbENKUlT_T0_E_clISt17integral_constantIbLb1EESW_EEDaSR_SS_EUlSR_E_NS1_11comp_targetILNS1_3genE5ELNS1_11target_archE942ELNS1_3gpuE9ELNS1_3repE0EEENS1_30default_config_static_selectorELNS0_4arch9wavefront6targetE0EEEvT1_ ; -- Begin function _ZN7rocprim17ROCPRIM_400000_NS6detail17trampoline_kernelINS0_14default_configENS1_27scan_by_key_config_selectorIiiEEZZNS1_16scan_by_key_implILNS1_25lookback_scan_determinismE0ELb1ES3_N6thrust23THRUST_200600_302600_NS10device_ptrIiEESB_SB_iNS9_4plusIvEENS9_8equal_toIvEEiEE10hipError_tPvRmT2_T3_T4_T5_mT6_T7_P12ihipStream_tbENKUlT_T0_E_clISt17integral_constantIbLb1EESW_EEDaSR_SS_EUlSR_E_NS1_11comp_targetILNS1_3genE5ELNS1_11target_archE942ELNS1_3gpuE9ELNS1_3repE0EEENS1_30default_config_static_selectorELNS0_4arch9wavefront6targetE0EEEvT1_
	.globl	_ZN7rocprim17ROCPRIM_400000_NS6detail17trampoline_kernelINS0_14default_configENS1_27scan_by_key_config_selectorIiiEEZZNS1_16scan_by_key_implILNS1_25lookback_scan_determinismE0ELb1ES3_N6thrust23THRUST_200600_302600_NS10device_ptrIiEESB_SB_iNS9_4plusIvEENS9_8equal_toIvEEiEE10hipError_tPvRmT2_T3_T4_T5_mT6_T7_P12ihipStream_tbENKUlT_T0_E_clISt17integral_constantIbLb1EESW_EEDaSR_SS_EUlSR_E_NS1_11comp_targetILNS1_3genE5ELNS1_11target_archE942ELNS1_3gpuE9ELNS1_3repE0EEENS1_30default_config_static_selectorELNS0_4arch9wavefront6targetE0EEEvT1_
	.p2align	8
	.type	_ZN7rocprim17ROCPRIM_400000_NS6detail17trampoline_kernelINS0_14default_configENS1_27scan_by_key_config_selectorIiiEEZZNS1_16scan_by_key_implILNS1_25lookback_scan_determinismE0ELb1ES3_N6thrust23THRUST_200600_302600_NS10device_ptrIiEESB_SB_iNS9_4plusIvEENS9_8equal_toIvEEiEE10hipError_tPvRmT2_T3_T4_T5_mT6_T7_P12ihipStream_tbENKUlT_T0_E_clISt17integral_constantIbLb1EESW_EEDaSR_SS_EUlSR_E_NS1_11comp_targetILNS1_3genE5ELNS1_11target_archE942ELNS1_3gpuE9ELNS1_3repE0EEENS1_30default_config_static_selectorELNS0_4arch9wavefront6targetE0EEEvT1_,@function
_ZN7rocprim17ROCPRIM_400000_NS6detail17trampoline_kernelINS0_14default_configENS1_27scan_by_key_config_selectorIiiEEZZNS1_16scan_by_key_implILNS1_25lookback_scan_determinismE0ELb1ES3_N6thrust23THRUST_200600_302600_NS10device_ptrIiEESB_SB_iNS9_4plusIvEENS9_8equal_toIvEEiEE10hipError_tPvRmT2_T3_T4_T5_mT6_T7_P12ihipStream_tbENKUlT_T0_E_clISt17integral_constantIbLb1EESW_EEDaSR_SS_EUlSR_E_NS1_11comp_targetILNS1_3genE5ELNS1_11target_archE942ELNS1_3gpuE9ELNS1_3repE0EEENS1_30default_config_static_selectorELNS0_4arch9wavefront6targetE0EEEvT1_: ; @_ZN7rocprim17ROCPRIM_400000_NS6detail17trampoline_kernelINS0_14default_configENS1_27scan_by_key_config_selectorIiiEEZZNS1_16scan_by_key_implILNS1_25lookback_scan_determinismE0ELb1ES3_N6thrust23THRUST_200600_302600_NS10device_ptrIiEESB_SB_iNS9_4plusIvEENS9_8equal_toIvEEiEE10hipError_tPvRmT2_T3_T4_T5_mT6_T7_P12ihipStream_tbENKUlT_T0_E_clISt17integral_constantIbLb1EESW_EEDaSR_SS_EUlSR_E_NS1_11comp_targetILNS1_3genE5ELNS1_11target_archE942ELNS1_3gpuE9ELNS1_3repE0EEENS1_30default_config_static_selectorELNS0_4arch9wavefront6targetE0EEEvT1_
; %bb.0:
	.section	.rodata,"a",@progbits
	.p2align	6, 0x0
	.amdhsa_kernel _ZN7rocprim17ROCPRIM_400000_NS6detail17trampoline_kernelINS0_14default_configENS1_27scan_by_key_config_selectorIiiEEZZNS1_16scan_by_key_implILNS1_25lookback_scan_determinismE0ELb1ES3_N6thrust23THRUST_200600_302600_NS10device_ptrIiEESB_SB_iNS9_4plusIvEENS9_8equal_toIvEEiEE10hipError_tPvRmT2_T3_T4_T5_mT6_T7_P12ihipStream_tbENKUlT_T0_E_clISt17integral_constantIbLb1EESW_EEDaSR_SS_EUlSR_E_NS1_11comp_targetILNS1_3genE5ELNS1_11target_archE942ELNS1_3gpuE9ELNS1_3repE0EEENS1_30default_config_static_selectorELNS0_4arch9wavefront6targetE0EEEvT1_
		.amdhsa_group_segment_fixed_size 0
		.amdhsa_private_segment_fixed_size 0
		.amdhsa_kernarg_size 112
		.amdhsa_user_sgpr_count 6
		.amdhsa_user_sgpr_private_segment_buffer 1
		.amdhsa_user_sgpr_dispatch_ptr 0
		.amdhsa_user_sgpr_queue_ptr 0
		.amdhsa_user_sgpr_kernarg_segment_ptr 1
		.amdhsa_user_sgpr_dispatch_id 0
		.amdhsa_user_sgpr_flat_scratch_init 0
		.amdhsa_user_sgpr_private_segment_size 0
		.amdhsa_wavefront_size32 1
		.amdhsa_uses_dynamic_stack 0
		.amdhsa_system_sgpr_private_segment_wavefront_offset 0
		.amdhsa_system_sgpr_workgroup_id_x 1
		.amdhsa_system_sgpr_workgroup_id_y 0
		.amdhsa_system_sgpr_workgroup_id_z 0
		.amdhsa_system_sgpr_workgroup_info 0
		.amdhsa_system_vgpr_workitem_id 0
		.amdhsa_next_free_vgpr 1
		.amdhsa_next_free_sgpr 1
		.amdhsa_reserve_vcc 0
		.amdhsa_reserve_flat_scratch 0
		.amdhsa_float_round_mode_32 0
		.amdhsa_float_round_mode_16_64 0
		.amdhsa_float_denorm_mode_32 3
		.amdhsa_float_denorm_mode_16_64 3
		.amdhsa_dx10_clamp 1
		.amdhsa_ieee_mode 1
		.amdhsa_fp16_overflow 0
		.amdhsa_workgroup_processor_mode 1
		.amdhsa_memory_ordered 1
		.amdhsa_forward_progress 1
		.amdhsa_shared_vgpr_count 0
		.amdhsa_exception_fp_ieee_invalid_op 0
		.amdhsa_exception_fp_denorm_src 0
		.amdhsa_exception_fp_ieee_div_zero 0
		.amdhsa_exception_fp_ieee_overflow 0
		.amdhsa_exception_fp_ieee_underflow 0
		.amdhsa_exception_fp_ieee_inexact 0
		.amdhsa_exception_int_div_zero 0
	.end_amdhsa_kernel
	.section	.text._ZN7rocprim17ROCPRIM_400000_NS6detail17trampoline_kernelINS0_14default_configENS1_27scan_by_key_config_selectorIiiEEZZNS1_16scan_by_key_implILNS1_25lookback_scan_determinismE0ELb1ES3_N6thrust23THRUST_200600_302600_NS10device_ptrIiEESB_SB_iNS9_4plusIvEENS9_8equal_toIvEEiEE10hipError_tPvRmT2_T3_T4_T5_mT6_T7_P12ihipStream_tbENKUlT_T0_E_clISt17integral_constantIbLb1EESW_EEDaSR_SS_EUlSR_E_NS1_11comp_targetILNS1_3genE5ELNS1_11target_archE942ELNS1_3gpuE9ELNS1_3repE0EEENS1_30default_config_static_selectorELNS0_4arch9wavefront6targetE0EEEvT1_,"axG",@progbits,_ZN7rocprim17ROCPRIM_400000_NS6detail17trampoline_kernelINS0_14default_configENS1_27scan_by_key_config_selectorIiiEEZZNS1_16scan_by_key_implILNS1_25lookback_scan_determinismE0ELb1ES3_N6thrust23THRUST_200600_302600_NS10device_ptrIiEESB_SB_iNS9_4plusIvEENS9_8equal_toIvEEiEE10hipError_tPvRmT2_T3_T4_T5_mT6_T7_P12ihipStream_tbENKUlT_T0_E_clISt17integral_constantIbLb1EESW_EEDaSR_SS_EUlSR_E_NS1_11comp_targetILNS1_3genE5ELNS1_11target_archE942ELNS1_3gpuE9ELNS1_3repE0EEENS1_30default_config_static_selectorELNS0_4arch9wavefront6targetE0EEEvT1_,comdat
.Lfunc_end2244:
	.size	_ZN7rocprim17ROCPRIM_400000_NS6detail17trampoline_kernelINS0_14default_configENS1_27scan_by_key_config_selectorIiiEEZZNS1_16scan_by_key_implILNS1_25lookback_scan_determinismE0ELb1ES3_N6thrust23THRUST_200600_302600_NS10device_ptrIiEESB_SB_iNS9_4plusIvEENS9_8equal_toIvEEiEE10hipError_tPvRmT2_T3_T4_T5_mT6_T7_P12ihipStream_tbENKUlT_T0_E_clISt17integral_constantIbLb1EESW_EEDaSR_SS_EUlSR_E_NS1_11comp_targetILNS1_3genE5ELNS1_11target_archE942ELNS1_3gpuE9ELNS1_3repE0EEENS1_30default_config_static_selectorELNS0_4arch9wavefront6targetE0EEEvT1_, .Lfunc_end2244-_ZN7rocprim17ROCPRIM_400000_NS6detail17trampoline_kernelINS0_14default_configENS1_27scan_by_key_config_selectorIiiEEZZNS1_16scan_by_key_implILNS1_25lookback_scan_determinismE0ELb1ES3_N6thrust23THRUST_200600_302600_NS10device_ptrIiEESB_SB_iNS9_4plusIvEENS9_8equal_toIvEEiEE10hipError_tPvRmT2_T3_T4_T5_mT6_T7_P12ihipStream_tbENKUlT_T0_E_clISt17integral_constantIbLb1EESW_EEDaSR_SS_EUlSR_E_NS1_11comp_targetILNS1_3genE5ELNS1_11target_archE942ELNS1_3gpuE9ELNS1_3repE0EEENS1_30default_config_static_selectorELNS0_4arch9wavefront6targetE0EEEvT1_
                                        ; -- End function
	.set _ZN7rocprim17ROCPRIM_400000_NS6detail17trampoline_kernelINS0_14default_configENS1_27scan_by_key_config_selectorIiiEEZZNS1_16scan_by_key_implILNS1_25lookback_scan_determinismE0ELb1ES3_N6thrust23THRUST_200600_302600_NS10device_ptrIiEESB_SB_iNS9_4plusIvEENS9_8equal_toIvEEiEE10hipError_tPvRmT2_T3_T4_T5_mT6_T7_P12ihipStream_tbENKUlT_T0_E_clISt17integral_constantIbLb1EESW_EEDaSR_SS_EUlSR_E_NS1_11comp_targetILNS1_3genE5ELNS1_11target_archE942ELNS1_3gpuE9ELNS1_3repE0EEENS1_30default_config_static_selectorELNS0_4arch9wavefront6targetE0EEEvT1_.num_vgpr, 0
	.set _ZN7rocprim17ROCPRIM_400000_NS6detail17trampoline_kernelINS0_14default_configENS1_27scan_by_key_config_selectorIiiEEZZNS1_16scan_by_key_implILNS1_25lookback_scan_determinismE0ELb1ES3_N6thrust23THRUST_200600_302600_NS10device_ptrIiEESB_SB_iNS9_4plusIvEENS9_8equal_toIvEEiEE10hipError_tPvRmT2_T3_T4_T5_mT6_T7_P12ihipStream_tbENKUlT_T0_E_clISt17integral_constantIbLb1EESW_EEDaSR_SS_EUlSR_E_NS1_11comp_targetILNS1_3genE5ELNS1_11target_archE942ELNS1_3gpuE9ELNS1_3repE0EEENS1_30default_config_static_selectorELNS0_4arch9wavefront6targetE0EEEvT1_.num_agpr, 0
	.set _ZN7rocprim17ROCPRIM_400000_NS6detail17trampoline_kernelINS0_14default_configENS1_27scan_by_key_config_selectorIiiEEZZNS1_16scan_by_key_implILNS1_25lookback_scan_determinismE0ELb1ES3_N6thrust23THRUST_200600_302600_NS10device_ptrIiEESB_SB_iNS9_4plusIvEENS9_8equal_toIvEEiEE10hipError_tPvRmT2_T3_T4_T5_mT6_T7_P12ihipStream_tbENKUlT_T0_E_clISt17integral_constantIbLb1EESW_EEDaSR_SS_EUlSR_E_NS1_11comp_targetILNS1_3genE5ELNS1_11target_archE942ELNS1_3gpuE9ELNS1_3repE0EEENS1_30default_config_static_selectorELNS0_4arch9wavefront6targetE0EEEvT1_.numbered_sgpr, 0
	.set _ZN7rocprim17ROCPRIM_400000_NS6detail17trampoline_kernelINS0_14default_configENS1_27scan_by_key_config_selectorIiiEEZZNS1_16scan_by_key_implILNS1_25lookback_scan_determinismE0ELb1ES3_N6thrust23THRUST_200600_302600_NS10device_ptrIiEESB_SB_iNS9_4plusIvEENS9_8equal_toIvEEiEE10hipError_tPvRmT2_T3_T4_T5_mT6_T7_P12ihipStream_tbENKUlT_T0_E_clISt17integral_constantIbLb1EESW_EEDaSR_SS_EUlSR_E_NS1_11comp_targetILNS1_3genE5ELNS1_11target_archE942ELNS1_3gpuE9ELNS1_3repE0EEENS1_30default_config_static_selectorELNS0_4arch9wavefront6targetE0EEEvT1_.num_named_barrier, 0
	.set _ZN7rocprim17ROCPRIM_400000_NS6detail17trampoline_kernelINS0_14default_configENS1_27scan_by_key_config_selectorIiiEEZZNS1_16scan_by_key_implILNS1_25lookback_scan_determinismE0ELb1ES3_N6thrust23THRUST_200600_302600_NS10device_ptrIiEESB_SB_iNS9_4plusIvEENS9_8equal_toIvEEiEE10hipError_tPvRmT2_T3_T4_T5_mT6_T7_P12ihipStream_tbENKUlT_T0_E_clISt17integral_constantIbLb1EESW_EEDaSR_SS_EUlSR_E_NS1_11comp_targetILNS1_3genE5ELNS1_11target_archE942ELNS1_3gpuE9ELNS1_3repE0EEENS1_30default_config_static_selectorELNS0_4arch9wavefront6targetE0EEEvT1_.private_seg_size, 0
	.set _ZN7rocprim17ROCPRIM_400000_NS6detail17trampoline_kernelINS0_14default_configENS1_27scan_by_key_config_selectorIiiEEZZNS1_16scan_by_key_implILNS1_25lookback_scan_determinismE0ELb1ES3_N6thrust23THRUST_200600_302600_NS10device_ptrIiEESB_SB_iNS9_4plusIvEENS9_8equal_toIvEEiEE10hipError_tPvRmT2_T3_T4_T5_mT6_T7_P12ihipStream_tbENKUlT_T0_E_clISt17integral_constantIbLb1EESW_EEDaSR_SS_EUlSR_E_NS1_11comp_targetILNS1_3genE5ELNS1_11target_archE942ELNS1_3gpuE9ELNS1_3repE0EEENS1_30default_config_static_selectorELNS0_4arch9wavefront6targetE0EEEvT1_.uses_vcc, 0
	.set _ZN7rocprim17ROCPRIM_400000_NS6detail17trampoline_kernelINS0_14default_configENS1_27scan_by_key_config_selectorIiiEEZZNS1_16scan_by_key_implILNS1_25lookback_scan_determinismE0ELb1ES3_N6thrust23THRUST_200600_302600_NS10device_ptrIiEESB_SB_iNS9_4plusIvEENS9_8equal_toIvEEiEE10hipError_tPvRmT2_T3_T4_T5_mT6_T7_P12ihipStream_tbENKUlT_T0_E_clISt17integral_constantIbLb1EESW_EEDaSR_SS_EUlSR_E_NS1_11comp_targetILNS1_3genE5ELNS1_11target_archE942ELNS1_3gpuE9ELNS1_3repE0EEENS1_30default_config_static_selectorELNS0_4arch9wavefront6targetE0EEEvT1_.uses_flat_scratch, 0
	.set _ZN7rocprim17ROCPRIM_400000_NS6detail17trampoline_kernelINS0_14default_configENS1_27scan_by_key_config_selectorIiiEEZZNS1_16scan_by_key_implILNS1_25lookback_scan_determinismE0ELb1ES3_N6thrust23THRUST_200600_302600_NS10device_ptrIiEESB_SB_iNS9_4plusIvEENS9_8equal_toIvEEiEE10hipError_tPvRmT2_T3_T4_T5_mT6_T7_P12ihipStream_tbENKUlT_T0_E_clISt17integral_constantIbLb1EESW_EEDaSR_SS_EUlSR_E_NS1_11comp_targetILNS1_3genE5ELNS1_11target_archE942ELNS1_3gpuE9ELNS1_3repE0EEENS1_30default_config_static_selectorELNS0_4arch9wavefront6targetE0EEEvT1_.has_dyn_sized_stack, 0
	.set _ZN7rocprim17ROCPRIM_400000_NS6detail17trampoline_kernelINS0_14default_configENS1_27scan_by_key_config_selectorIiiEEZZNS1_16scan_by_key_implILNS1_25lookback_scan_determinismE0ELb1ES3_N6thrust23THRUST_200600_302600_NS10device_ptrIiEESB_SB_iNS9_4plusIvEENS9_8equal_toIvEEiEE10hipError_tPvRmT2_T3_T4_T5_mT6_T7_P12ihipStream_tbENKUlT_T0_E_clISt17integral_constantIbLb1EESW_EEDaSR_SS_EUlSR_E_NS1_11comp_targetILNS1_3genE5ELNS1_11target_archE942ELNS1_3gpuE9ELNS1_3repE0EEENS1_30default_config_static_selectorELNS0_4arch9wavefront6targetE0EEEvT1_.has_recursion, 0
	.set _ZN7rocprim17ROCPRIM_400000_NS6detail17trampoline_kernelINS0_14default_configENS1_27scan_by_key_config_selectorIiiEEZZNS1_16scan_by_key_implILNS1_25lookback_scan_determinismE0ELb1ES3_N6thrust23THRUST_200600_302600_NS10device_ptrIiEESB_SB_iNS9_4plusIvEENS9_8equal_toIvEEiEE10hipError_tPvRmT2_T3_T4_T5_mT6_T7_P12ihipStream_tbENKUlT_T0_E_clISt17integral_constantIbLb1EESW_EEDaSR_SS_EUlSR_E_NS1_11comp_targetILNS1_3genE5ELNS1_11target_archE942ELNS1_3gpuE9ELNS1_3repE0EEENS1_30default_config_static_selectorELNS0_4arch9wavefront6targetE0EEEvT1_.has_indirect_call, 0
	.section	.AMDGPU.csdata,"",@progbits
; Kernel info:
; codeLenInByte = 0
; TotalNumSgprs: 0
; NumVgprs: 0
; ScratchSize: 0
; MemoryBound: 0
; FloatMode: 240
; IeeeMode: 1
; LDSByteSize: 0 bytes/workgroup (compile time only)
; SGPRBlocks: 0
; VGPRBlocks: 0
; NumSGPRsForWavesPerEU: 1
; NumVGPRsForWavesPerEU: 1
; Occupancy: 16
; WaveLimiterHint : 0
; COMPUTE_PGM_RSRC2:SCRATCH_EN: 0
; COMPUTE_PGM_RSRC2:USER_SGPR: 6
; COMPUTE_PGM_RSRC2:TRAP_HANDLER: 0
; COMPUTE_PGM_RSRC2:TGID_X_EN: 1
; COMPUTE_PGM_RSRC2:TGID_Y_EN: 0
; COMPUTE_PGM_RSRC2:TGID_Z_EN: 0
; COMPUTE_PGM_RSRC2:TIDIG_COMP_CNT: 0
	.section	.text._ZN7rocprim17ROCPRIM_400000_NS6detail17trampoline_kernelINS0_14default_configENS1_27scan_by_key_config_selectorIiiEEZZNS1_16scan_by_key_implILNS1_25lookback_scan_determinismE0ELb1ES3_N6thrust23THRUST_200600_302600_NS10device_ptrIiEESB_SB_iNS9_4plusIvEENS9_8equal_toIvEEiEE10hipError_tPvRmT2_T3_T4_T5_mT6_T7_P12ihipStream_tbENKUlT_T0_E_clISt17integral_constantIbLb1EESW_EEDaSR_SS_EUlSR_E_NS1_11comp_targetILNS1_3genE4ELNS1_11target_archE910ELNS1_3gpuE8ELNS1_3repE0EEENS1_30default_config_static_selectorELNS0_4arch9wavefront6targetE0EEEvT1_,"axG",@progbits,_ZN7rocprim17ROCPRIM_400000_NS6detail17trampoline_kernelINS0_14default_configENS1_27scan_by_key_config_selectorIiiEEZZNS1_16scan_by_key_implILNS1_25lookback_scan_determinismE0ELb1ES3_N6thrust23THRUST_200600_302600_NS10device_ptrIiEESB_SB_iNS9_4plusIvEENS9_8equal_toIvEEiEE10hipError_tPvRmT2_T3_T4_T5_mT6_T7_P12ihipStream_tbENKUlT_T0_E_clISt17integral_constantIbLb1EESW_EEDaSR_SS_EUlSR_E_NS1_11comp_targetILNS1_3genE4ELNS1_11target_archE910ELNS1_3gpuE8ELNS1_3repE0EEENS1_30default_config_static_selectorELNS0_4arch9wavefront6targetE0EEEvT1_,comdat
	.protected	_ZN7rocprim17ROCPRIM_400000_NS6detail17trampoline_kernelINS0_14default_configENS1_27scan_by_key_config_selectorIiiEEZZNS1_16scan_by_key_implILNS1_25lookback_scan_determinismE0ELb1ES3_N6thrust23THRUST_200600_302600_NS10device_ptrIiEESB_SB_iNS9_4plusIvEENS9_8equal_toIvEEiEE10hipError_tPvRmT2_T3_T4_T5_mT6_T7_P12ihipStream_tbENKUlT_T0_E_clISt17integral_constantIbLb1EESW_EEDaSR_SS_EUlSR_E_NS1_11comp_targetILNS1_3genE4ELNS1_11target_archE910ELNS1_3gpuE8ELNS1_3repE0EEENS1_30default_config_static_selectorELNS0_4arch9wavefront6targetE0EEEvT1_ ; -- Begin function _ZN7rocprim17ROCPRIM_400000_NS6detail17trampoline_kernelINS0_14default_configENS1_27scan_by_key_config_selectorIiiEEZZNS1_16scan_by_key_implILNS1_25lookback_scan_determinismE0ELb1ES3_N6thrust23THRUST_200600_302600_NS10device_ptrIiEESB_SB_iNS9_4plusIvEENS9_8equal_toIvEEiEE10hipError_tPvRmT2_T3_T4_T5_mT6_T7_P12ihipStream_tbENKUlT_T0_E_clISt17integral_constantIbLb1EESW_EEDaSR_SS_EUlSR_E_NS1_11comp_targetILNS1_3genE4ELNS1_11target_archE910ELNS1_3gpuE8ELNS1_3repE0EEENS1_30default_config_static_selectorELNS0_4arch9wavefront6targetE0EEEvT1_
	.globl	_ZN7rocprim17ROCPRIM_400000_NS6detail17trampoline_kernelINS0_14default_configENS1_27scan_by_key_config_selectorIiiEEZZNS1_16scan_by_key_implILNS1_25lookback_scan_determinismE0ELb1ES3_N6thrust23THRUST_200600_302600_NS10device_ptrIiEESB_SB_iNS9_4plusIvEENS9_8equal_toIvEEiEE10hipError_tPvRmT2_T3_T4_T5_mT6_T7_P12ihipStream_tbENKUlT_T0_E_clISt17integral_constantIbLb1EESW_EEDaSR_SS_EUlSR_E_NS1_11comp_targetILNS1_3genE4ELNS1_11target_archE910ELNS1_3gpuE8ELNS1_3repE0EEENS1_30default_config_static_selectorELNS0_4arch9wavefront6targetE0EEEvT1_
	.p2align	8
	.type	_ZN7rocprim17ROCPRIM_400000_NS6detail17trampoline_kernelINS0_14default_configENS1_27scan_by_key_config_selectorIiiEEZZNS1_16scan_by_key_implILNS1_25lookback_scan_determinismE0ELb1ES3_N6thrust23THRUST_200600_302600_NS10device_ptrIiEESB_SB_iNS9_4plusIvEENS9_8equal_toIvEEiEE10hipError_tPvRmT2_T3_T4_T5_mT6_T7_P12ihipStream_tbENKUlT_T0_E_clISt17integral_constantIbLb1EESW_EEDaSR_SS_EUlSR_E_NS1_11comp_targetILNS1_3genE4ELNS1_11target_archE910ELNS1_3gpuE8ELNS1_3repE0EEENS1_30default_config_static_selectorELNS0_4arch9wavefront6targetE0EEEvT1_,@function
_ZN7rocprim17ROCPRIM_400000_NS6detail17trampoline_kernelINS0_14default_configENS1_27scan_by_key_config_selectorIiiEEZZNS1_16scan_by_key_implILNS1_25lookback_scan_determinismE0ELb1ES3_N6thrust23THRUST_200600_302600_NS10device_ptrIiEESB_SB_iNS9_4plusIvEENS9_8equal_toIvEEiEE10hipError_tPvRmT2_T3_T4_T5_mT6_T7_P12ihipStream_tbENKUlT_T0_E_clISt17integral_constantIbLb1EESW_EEDaSR_SS_EUlSR_E_NS1_11comp_targetILNS1_3genE4ELNS1_11target_archE910ELNS1_3gpuE8ELNS1_3repE0EEENS1_30default_config_static_selectorELNS0_4arch9wavefront6targetE0EEEvT1_: ; @_ZN7rocprim17ROCPRIM_400000_NS6detail17trampoline_kernelINS0_14default_configENS1_27scan_by_key_config_selectorIiiEEZZNS1_16scan_by_key_implILNS1_25lookback_scan_determinismE0ELb1ES3_N6thrust23THRUST_200600_302600_NS10device_ptrIiEESB_SB_iNS9_4plusIvEENS9_8equal_toIvEEiEE10hipError_tPvRmT2_T3_T4_T5_mT6_T7_P12ihipStream_tbENKUlT_T0_E_clISt17integral_constantIbLb1EESW_EEDaSR_SS_EUlSR_E_NS1_11comp_targetILNS1_3genE4ELNS1_11target_archE910ELNS1_3gpuE8ELNS1_3repE0EEENS1_30default_config_static_selectorELNS0_4arch9wavefront6targetE0EEEvT1_
; %bb.0:
	.section	.rodata,"a",@progbits
	.p2align	6, 0x0
	.amdhsa_kernel _ZN7rocprim17ROCPRIM_400000_NS6detail17trampoline_kernelINS0_14default_configENS1_27scan_by_key_config_selectorIiiEEZZNS1_16scan_by_key_implILNS1_25lookback_scan_determinismE0ELb1ES3_N6thrust23THRUST_200600_302600_NS10device_ptrIiEESB_SB_iNS9_4plusIvEENS9_8equal_toIvEEiEE10hipError_tPvRmT2_T3_T4_T5_mT6_T7_P12ihipStream_tbENKUlT_T0_E_clISt17integral_constantIbLb1EESW_EEDaSR_SS_EUlSR_E_NS1_11comp_targetILNS1_3genE4ELNS1_11target_archE910ELNS1_3gpuE8ELNS1_3repE0EEENS1_30default_config_static_selectorELNS0_4arch9wavefront6targetE0EEEvT1_
		.amdhsa_group_segment_fixed_size 0
		.amdhsa_private_segment_fixed_size 0
		.amdhsa_kernarg_size 112
		.amdhsa_user_sgpr_count 6
		.amdhsa_user_sgpr_private_segment_buffer 1
		.amdhsa_user_sgpr_dispatch_ptr 0
		.amdhsa_user_sgpr_queue_ptr 0
		.amdhsa_user_sgpr_kernarg_segment_ptr 1
		.amdhsa_user_sgpr_dispatch_id 0
		.amdhsa_user_sgpr_flat_scratch_init 0
		.amdhsa_user_sgpr_private_segment_size 0
		.amdhsa_wavefront_size32 1
		.amdhsa_uses_dynamic_stack 0
		.amdhsa_system_sgpr_private_segment_wavefront_offset 0
		.amdhsa_system_sgpr_workgroup_id_x 1
		.amdhsa_system_sgpr_workgroup_id_y 0
		.amdhsa_system_sgpr_workgroup_id_z 0
		.amdhsa_system_sgpr_workgroup_info 0
		.amdhsa_system_vgpr_workitem_id 0
		.amdhsa_next_free_vgpr 1
		.amdhsa_next_free_sgpr 1
		.amdhsa_reserve_vcc 0
		.amdhsa_reserve_flat_scratch 0
		.amdhsa_float_round_mode_32 0
		.amdhsa_float_round_mode_16_64 0
		.amdhsa_float_denorm_mode_32 3
		.amdhsa_float_denorm_mode_16_64 3
		.amdhsa_dx10_clamp 1
		.amdhsa_ieee_mode 1
		.amdhsa_fp16_overflow 0
		.amdhsa_workgroup_processor_mode 1
		.amdhsa_memory_ordered 1
		.amdhsa_forward_progress 1
		.amdhsa_shared_vgpr_count 0
		.amdhsa_exception_fp_ieee_invalid_op 0
		.amdhsa_exception_fp_denorm_src 0
		.amdhsa_exception_fp_ieee_div_zero 0
		.amdhsa_exception_fp_ieee_overflow 0
		.amdhsa_exception_fp_ieee_underflow 0
		.amdhsa_exception_fp_ieee_inexact 0
		.amdhsa_exception_int_div_zero 0
	.end_amdhsa_kernel
	.section	.text._ZN7rocprim17ROCPRIM_400000_NS6detail17trampoline_kernelINS0_14default_configENS1_27scan_by_key_config_selectorIiiEEZZNS1_16scan_by_key_implILNS1_25lookback_scan_determinismE0ELb1ES3_N6thrust23THRUST_200600_302600_NS10device_ptrIiEESB_SB_iNS9_4plusIvEENS9_8equal_toIvEEiEE10hipError_tPvRmT2_T3_T4_T5_mT6_T7_P12ihipStream_tbENKUlT_T0_E_clISt17integral_constantIbLb1EESW_EEDaSR_SS_EUlSR_E_NS1_11comp_targetILNS1_3genE4ELNS1_11target_archE910ELNS1_3gpuE8ELNS1_3repE0EEENS1_30default_config_static_selectorELNS0_4arch9wavefront6targetE0EEEvT1_,"axG",@progbits,_ZN7rocprim17ROCPRIM_400000_NS6detail17trampoline_kernelINS0_14default_configENS1_27scan_by_key_config_selectorIiiEEZZNS1_16scan_by_key_implILNS1_25lookback_scan_determinismE0ELb1ES3_N6thrust23THRUST_200600_302600_NS10device_ptrIiEESB_SB_iNS9_4plusIvEENS9_8equal_toIvEEiEE10hipError_tPvRmT2_T3_T4_T5_mT6_T7_P12ihipStream_tbENKUlT_T0_E_clISt17integral_constantIbLb1EESW_EEDaSR_SS_EUlSR_E_NS1_11comp_targetILNS1_3genE4ELNS1_11target_archE910ELNS1_3gpuE8ELNS1_3repE0EEENS1_30default_config_static_selectorELNS0_4arch9wavefront6targetE0EEEvT1_,comdat
.Lfunc_end2245:
	.size	_ZN7rocprim17ROCPRIM_400000_NS6detail17trampoline_kernelINS0_14default_configENS1_27scan_by_key_config_selectorIiiEEZZNS1_16scan_by_key_implILNS1_25lookback_scan_determinismE0ELb1ES3_N6thrust23THRUST_200600_302600_NS10device_ptrIiEESB_SB_iNS9_4plusIvEENS9_8equal_toIvEEiEE10hipError_tPvRmT2_T3_T4_T5_mT6_T7_P12ihipStream_tbENKUlT_T0_E_clISt17integral_constantIbLb1EESW_EEDaSR_SS_EUlSR_E_NS1_11comp_targetILNS1_3genE4ELNS1_11target_archE910ELNS1_3gpuE8ELNS1_3repE0EEENS1_30default_config_static_selectorELNS0_4arch9wavefront6targetE0EEEvT1_, .Lfunc_end2245-_ZN7rocprim17ROCPRIM_400000_NS6detail17trampoline_kernelINS0_14default_configENS1_27scan_by_key_config_selectorIiiEEZZNS1_16scan_by_key_implILNS1_25lookback_scan_determinismE0ELb1ES3_N6thrust23THRUST_200600_302600_NS10device_ptrIiEESB_SB_iNS9_4plusIvEENS9_8equal_toIvEEiEE10hipError_tPvRmT2_T3_T4_T5_mT6_T7_P12ihipStream_tbENKUlT_T0_E_clISt17integral_constantIbLb1EESW_EEDaSR_SS_EUlSR_E_NS1_11comp_targetILNS1_3genE4ELNS1_11target_archE910ELNS1_3gpuE8ELNS1_3repE0EEENS1_30default_config_static_selectorELNS0_4arch9wavefront6targetE0EEEvT1_
                                        ; -- End function
	.set _ZN7rocprim17ROCPRIM_400000_NS6detail17trampoline_kernelINS0_14default_configENS1_27scan_by_key_config_selectorIiiEEZZNS1_16scan_by_key_implILNS1_25lookback_scan_determinismE0ELb1ES3_N6thrust23THRUST_200600_302600_NS10device_ptrIiEESB_SB_iNS9_4plusIvEENS9_8equal_toIvEEiEE10hipError_tPvRmT2_T3_T4_T5_mT6_T7_P12ihipStream_tbENKUlT_T0_E_clISt17integral_constantIbLb1EESW_EEDaSR_SS_EUlSR_E_NS1_11comp_targetILNS1_3genE4ELNS1_11target_archE910ELNS1_3gpuE8ELNS1_3repE0EEENS1_30default_config_static_selectorELNS0_4arch9wavefront6targetE0EEEvT1_.num_vgpr, 0
	.set _ZN7rocprim17ROCPRIM_400000_NS6detail17trampoline_kernelINS0_14default_configENS1_27scan_by_key_config_selectorIiiEEZZNS1_16scan_by_key_implILNS1_25lookback_scan_determinismE0ELb1ES3_N6thrust23THRUST_200600_302600_NS10device_ptrIiEESB_SB_iNS9_4plusIvEENS9_8equal_toIvEEiEE10hipError_tPvRmT2_T3_T4_T5_mT6_T7_P12ihipStream_tbENKUlT_T0_E_clISt17integral_constantIbLb1EESW_EEDaSR_SS_EUlSR_E_NS1_11comp_targetILNS1_3genE4ELNS1_11target_archE910ELNS1_3gpuE8ELNS1_3repE0EEENS1_30default_config_static_selectorELNS0_4arch9wavefront6targetE0EEEvT1_.num_agpr, 0
	.set _ZN7rocprim17ROCPRIM_400000_NS6detail17trampoline_kernelINS0_14default_configENS1_27scan_by_key_config_selectorIiiEEZZNS1_16scan_by_key_implILNS1_25lookback_scan_determinismE0ELb1ES3_N6thrust23THRUST_200600_302600_NS10device_ptrIiEESB_SB_iNS9_4plusIvEENS9_8equal_toIvEEiEE10hipError_tPvRmT2_T3_T4_T5_mT6_T7_P12ihipStream_tbENKUlT_T0_E_clISt17integral_constantIbLb1EESW_EEDaSR_SS_EUlSR_E_NS1_11comp_targetILNS1_3genE4ELNS1_11target_archE910ELNS1_3gpuE8ELNS1_3repE0EEENS1_30default_config_static_selectorELNS0_4arch9wavefront6targetE0EEEvT1_.numbered_sgpr, 0
	.set _ZN7rocprim17ROCPRIM_400000_NS6detail17trampoline_kernelINS0_14default_configENS1_27scan_by_key_config_selectorIiiEEZZNS1_16scan_by_key_implILNS1_25lookback_scan_determinismE0ELb1ES3_N6thrust23THRUST_200600_302600_NS10device_ptrIiEESB_SB_iNS9_4plusIvEENS9_8equal_toIvEEiEE10hipError_tPvRmT2_T3_T4_T5_mT6_T7_P12ihipStream_tbENKUlT_T0_E_clISt17integral_constantIbLb1EESW_EEDaSR_SS_EUlSR_E_NS1_11comp_targetILNS1_3genE4ELNS1_11target_archE910ELNS1_3gpuE8ELNS1_3repE0EEENS1_30default_config_static_selectorELNS0_4arch9wavefront6targetE0EEEvT1_.num_named_barrier, 0
	.set _ZN7rocprim17ROCPRIM_400000_NS6detail17trampoline_kernelINS0_14default_configENS1_27scan_by_key_config_selectorIiiEEZZNS1_16scan_by_key_implILNS1_25lookback_scan_determinismE0ELb1ES3_N6thrust23THRUST_200600_302600_NS10device_ptrIiEESB_SB_iNS9_4plusIvEENS9_8equal_toIvEEiEE10hipError_tPvRmT2_T3_T4_T5_mT6_T7_P12ihipStream_tbENKUlT_T0_E_clISt17integral_constantIbLb1EESW_EEDaSR_SS_EUlSR_E_NS1_11comp_targetILNS1_3genE4ELNS1_11target_archE910ELNS1_3gpuE8ELNS1_3repE0EEENS1_30default_config_static_selectorELNS0_4arch9wavefront6targetE0EEEvT1_.private_seg_size, 0
	.set _ZN7rocprim17ROCPRIM_400000_NS6detail17trampoline_kernelINS0_14default_configENS1_27scan_by_key_config_selectorIiiEEZZNS1_16scan_by_key_implILNS1_25lookback_scan_determinismE0ELb1ES3_N6thrust23THRUST_200600_302600_NS10device_ptrIiEESB_SB_iNS9_4plusIvEENS9_8equal_toIvEEiEE10hipError_tPvRmT2_T3_T4_T5_mT6_T7_P12ihipStream_tbENKUlT_T0_E_clISt17integral_constantIbLb1EESW_EEDaSR_SS_EUlSR_E_NS1_11comp_targetILNS1_3genE4ELNS1_11target_archE910ELNS1_3gpuE8ELNS1_3repE0EEENS1_30default_config_static_selectorELNS0_4arch9wavefront6targetE0EEEvT1_.uses_vcc, 0
	.set _ZN7rocprim17ROCPRIM_400000_NS6detail17trampoline_kernelINS0_14default_configENS1_27scan_by_key_config_selectorIiiEEZZNS1_16scan_by_key_implILNS1_25lookback_scan_determinismE0ELb1ES3_N6thrust23THRUST_200600_302600_NS10device_ptrIiEESB_SB_iNS9_4plusIvEENS9_8equal_toIvEEiEE10hipError_tPvRmT2_T3_T4_T5_mT6_T7_P12ihipStream_tbENKUlT_T0_E_clISt17integral_constantIbLb1EESW_EEDaSR_SS_EUlSR_E_NS1_11comp_targetILNS1_3genE4ELNS1_11target_archE910ELNS1_3gpuE8ELNS1_3repE0EEENS1_30default_config_static_selectorELNS0_4arch9wavefront6targetE0EEEvT1_.uses_flat_scratch, 0
	.set _ZN7rocprim17ROCPRIM_400000_NS6detail17trampoline_kernelINS0_14default_configENS1_27scan_by_key_config_selectorIiiEEZZNS1_16scan_by_key_implILNS1_25lookback_scan_determinismE0ELb1ES3_N6thrust23THRUST_200600_302600_NS10device_ptrIiEESB_SB_iNS9_4plusIvEENS9_8equal_toIvEEiEE10hipError_tPvRmT2_T3_T4_T5_mT6_T7_P12ihipStream_tbENKUlT_T0_E_clISt17integral_constantIbLb1EESW_EEDaSR_SS_EUlSR_E_NS1_11comp_targetILNS1_3genE4ELNS1_11target_archE910ELNS1_3gpuE8ELNS1_3repE0EEENS1_30default_config_static_selectorELNS0_4arch9wavefront6targetE0EEEvT1_.has_dyn_sized_stack, 0
	.set _ZN7rocprim17ROCPRIM_400000_NS6detail17trampoline_kernelINS0_14default_configENS1_27scan_by_key_config_selectorIiiEEZZNS1_16scan_by_key_implILNS1_25lookback_scan_determinismE0ELb1ES3_N6thrust23THRUST_200600_302600_NS10device_ptrIiEESB_SB_iNS9_4plusIvEENS9_8equal_toIvEEiEE10hipError_tPvRmT2_T3_T4_T5_mT6_T7_P12ihipStream_tbENKUlT_T0_E_clISt17integral_constantIbLb1EESW_EEDaSR_SS_EUlSR_E_NS1_11comp_targetILNS1_3genE4ELNS1_11target_archE910ELNS1_3gpuE8ELNS1_3repE0EEENS1_30default_config_static_selectorELNS0_4arch9wavefront6targetE0EEEvT1_.has_recursion, 0
	.set _ZN7rocprim17ROCPRIM_400000_NS6detail17trampoline_kernelINS0_14default_configENS1_27scan_by_key_config_selectorIiiEEZZNS1_16scan_by_key_implILNS1_25lookback_scan_determinismE0ELb1ES3_N6thrust23THRUST_200600_302600_NS10device_ptrIiEESB_SB_iNS9_4plusIvEENS9_8equal_toIvEEiEE10hipError_tPvRmT2_T3_T4_T5_mT6_T7_P12ihipStream_tbENKUlT_T0_E_clISt17integral_constantIbLb1EESW_EEDaSR_SS_EUlSR_E_NS1_11comp_targetILNS1_3genE4ELNS1_11target_archE910ELNS1_3gpuE8ELNS1_3repE0EEENS1_30default_config_static_selectorELNS0_4arch9wavefront6targetE0EEEvT1_.has_indirect_call, 0
	.section	.AMDGPU.csdata,"",@progbits
; Kernel info:
; codeLenInByte = 0
; TotalNumSgprs: 0
; NumVgprs: 0
; ScratchSize: 0
; MemoryBound: 0
; FloatMode: 240
; IeeeMode: 1
; LDSByteSize: 0 bytes/workgroup (compile time only)
; SGPRBlocks: 0
; VGPRBlocks: 0
; NumSGPRsForWavesPerEU: 1
; NumVGPRsForWavesPerEU: 1
; Occupancy: 16
; WaveLimiterHint : 0
; COMPUTE_PGM_RSRC2:SCRATCH_EN: 0
; COMPUTE_PGM_RSRC2:USER_SGPR: 6
; COMPUTE_PGM_RSRC2:TRAP_HANDLER: 0
; COMPUTE_PGM_RSRC2:TGID_X_EN: 1
; COMPUTE_PGM_RSRC2:TGID_Y_EN: 0
; COMPUTE_PGM_RSRC2:TGID_Z_EN: 0
; COMPUTE_PGM_RSRC2:TIDIG_COMP_CNT: 0
	.section	.text._ZN7rocprim17ROCPRIM_400000_NS6detail17trampoline_kernelINS0_14default_configENS1_27scan_by_key_config_selectorIiiEEZZNS1_16scan_by_key_implILNS1_25lookback_scan_determinismE0ELb1ES3_N6thrust23THRUST_200600_302600_NS10device_ptrIiEESB_SB_iNS9_4plusIvEENS9_8equal_toIvEEiEE10hipError_tPvRmT2_T3_T4_T5_mT6_T7_P12ihipStream_tbENKUlT_T0_E_clISt17integral_constantIbLb1EESW_EEDaSR_SS_EUlSR_E_NS1_11comp_targetILNS1_3genE3ELNS1_11target_archE908ELNS1_3gpuE7ELNS1_3repE0EEENS1_30default_config_static_selectorELNS0_4arch9wavefront6targetE0EEEvT1_,"axG",@progbits,_ZN7rocprim17ROCPRIM_400000_NS6detail17trampoline_kernelINS0_14default_configENS1_27scan_by_key_config_selectorIiiEEZZNS1_16scan_by_key_implILNS1_25lookback_scan_determinismE0ELb1ES3_N6thrust23THRUST_200600_302600_NS10device_ptrIiEESB_SB_iNS9_4plusIvEENS9_8equal_toIvEEiEE10hipError_tPvRmT2_T3_T4_T5_mT6_T7_P12ihipStream_tbENKUlT_T0_E_clISt17integral_constantIbLb1EESW_EEDaSR_SS_EUlSR_E_NS1_11comp_targetILNS1_3genE3ELNS1_11target_archE908ELNS1_3gpuE7ELNS1_3repE0EEENS1_30default_config_static_selectorELNS0_4arch9wavefront6targetE0EEEvT1_,comdat
	.protected	_ZN7rocprim17ROCPRIM_400000_NS6detail17trampoline_kernelINS0_14default_configENS1_27scan_by_key_config_selectorIiiEEZZNS1_16scan_by_key_implILNS1_25lookback_scan_determinismE0ELb1ES3_N6thrust23THRUST_200600_302600_NS10device_ptrIiEESB_SB_iNS9_4plusIvEENS9_8equal_toIvEEiEE10hipError_tPvRmT2_T3_T4_T5_mT6_T7_P12ihipStream_tbENKUlT_T0_E_clISt17integral_constantIbLb1EESW_EEDaSR_SS_EUlSR_E_NS1_11comp_targetILNS1_3genE3ELNS1_11target_archE908ELNS1_3gpuE7ELNS1_3repE0EEENS1_30default_config_static_selectorELNS0_4arch9wavefront6targetE0EEEvT1_ ; -- Begin function _ZN7rocprim17ROCPRIM_400000_NS6detail17trampoline_kernelINS0_14default_configENS1_27scan_by_key_config_selectorIiiEEZZNS1_16scan_by_key_implILNS1_25lookback_scan_determinismE0ELb1ES3_N6thrust23THRUST_200600_302600_NS10device_ptrIiEESB_SB_iNS9_4plusIvEENS9_8equal_toIvEEiEE10hipError_tPvRmT2_T3_T4_T5_mT6_T7_P12ihipStream_tbENKUlT_T0_E_clISt17integral_constantIbLb1EESW_EEDaSR_SS_EUlSR_E_NS1_11comp_targetILNS1_3genE3ELNS1_11target_archE908ELNS1_3gpuE7ELNS1_3repE0EEENS1_30default_config_static_selectorELNS0_4arch9wavefront6targetE0EEEvT1_
	.globl	_ZN7rocprim17ROCPRIM_400000_NS6detail17trampoline_kernelINS0_14default_configENS1_27scan_by_key_config_selectorIiiEEZZNS1_16scan_by_key_implILNS1_25lookback_scan_determinismE0ELb1ES3_N6thrust23THRUST_200600_302600_NS10device_ptrIiEESB_SB_iNS9_4plusIvEENS9_8equal_toIvEEiEE10hipError_tPvRmT2_T3_T4_T5_mT6_T7_P12ihipStream_tbENKUlT_T0_E_clISt17integral_constantIbLb1EESW_EEDaSR_SS_EUlSR_E_NS1_11comp_targetILNS1_3genE3ELNS1_11target_archE908ELNS1_3gpuE7ELNS1_3repE0EEENS1_30default_config_static_selectorELNS0_4arch9wavefront6targetE0EEEvT1_
	.p2align	8
	.type	_ZN7rocprim17ROCPRIM_400000_NS6detail17trampoline_kernelINS0_14default_configENS1_27scan_by_key_config_selectorIiiEEZZNS1_16scan_by_key_implILNS1_25lookback_scan_determinismE0ELb1ES3_N6thrust23THRUST_200600_302600_NS10device_ptrIiEESB_SB_iNS9_4plusIvEENS9_8equal_toIvEEiEE10hipError_tPvRmT2_T3_T4_T5_mT6_T7_P12ihipStream_tbENKUlT_T0_E_clISt17integral_constantIbLb1EESW_EEDaSR_SS_EUlSR_E_NS1_11comp_targetILNS1_3genE3ELNS1_11target_archE908ELNS1_3gpuE7ELNS1_3repE0EEENS1_30default_config_static_selectorELNS0_4arch9wavefront6targetE0EEEvT1_,@function
_ZN7rocprim17ROCPRIM_400000_NS6detail17trampoline_kernelINS0_14default_configENS1_27scan_by_key_config_selectorIiiEEZZNS1_16scan_by_key_implILNS1_25lookback_scan_determinismE0ELb1ES3_N6thrust23THRUST_200600_302600_NS10device_ptrIiEESB_SB_iNS9_4plusIvEENS9_8equal_toIvEEiEE10hipError_tPvRmT2_T3_T4_T5_mT6_T7_P12ihipStream_tbENKUlT_T0_E_clISt17integral_constantIbLb1EESW_EEDaSR_SS_EUlSR_E_NS1_11comp_targetILNS1_3genE3ELNS1_11target_archE908ELNS1_3gpuE7ELNS1_3repE0EEENS1_30default_config_static_selectorELNS0_4arch9wavefront6targetE0EEEvT1_: ; @_ZN7rocprim17ROCPRIM_400000_NS6detail17trampoline_kernelINS0_14default_configENS1_27scan_by_key_config_selectorIiiEEZZNS1_16scan_by_key_implILNS1_25lookback_scan_determinismE0ELb1ES3_N6thrust23THRUST_200600_302600_NS10device_ptrIiEESB_SB_iNS9_4plusIvEENS9_8equal_toIvEEiEE10hipError_tPvRmT2_T3_T4_T5_mT6_T7_P12ihipStream_tbENKUlT_T0_E_clISt17integral_constantIbLb1EESW_EEDaSR_SS_EUlSR_E_NS1_11comp_targetILNS1_3genE3ELNS1_11target_archE908ELNS1_3gpuE7ELNS1_3repE0EEENS1_30default_config_static_selectorELNS0_4arch9wavefront6targetE0EEEvT1_
; %bb.0:
	.section	.rodata,"a",@progbits
	.p2align	6, 0x0
	.amdhsa_kernel _ZN7rocprim17ROCPRIM_400000_NS6detail17trampoline_kernelINS0_14default_configENS1_27scan_by_key_config_selectorIiiEEZZNS1_16scan_by_key_implILNS1_25lookback_scan_determinismE0ELb1ES3_N6thrust23THRUST_200600_302600_NS10device_ptrIiEESB_SB_iNS9_4plusIvEENS9_8equal_toIvEEiEE10hipError_tPvRmT2_T3_T4_T5_mT6_T7_P12ihipStream_tbENKUlT_T0_E_clISt17integral_constantIbLb1EESW_EEDaSR_SS_EUlSR_E_NS1_11comp_targetILNS1_3genE3ELNS1_11target_archE908ELNS1_3gpuE7ELNS1_3repE0EEENS1_30default_config_static_selectorELNS0_4arch9wavefront6targetE0EEEvT1_
		.amdhsa_group_segment_fixed_size 0
		.amdhsa_private_segment_fixed_size 0
		.amdhsa_kernarg_size 112
		.amdhsa_user_sgpr_count 6
		.amdhsa_user_sgpr_private_segment_buffer 1
		.amdhsa_user_sgpr_dispatch_ptr 0
		.amdhsa_user_sgpr_queue_ptr 0
		.amdhsa_user_sgpr_kernarg_segment_ptr 1
		.amdhsa_user_sgpr_dispatch_id 0
		.amdhsa_user_sgpr_flat_scratch_init 0
		.amdhsa_user_sgpr_private_segment_size 0
		.amdhsa_wavefront_size32 1
		.amdhsa_uses_dynamic_stack 0
		.amdhsa_system_sgpr_private_segment_wavefront_offset 0
		.amdhsa_system_sgpr_workgroup_id_x 1
		.amdhsa_system_sgpr_workgroup_id_y 0
		.amdhsa_system_sgpr_workgroup_id_z 0
		.amdhsa_system_sgpr_workgroup_info 0
		.amdhsa_system_vgpr_workitem_id 0
		.amdhsa_next_free_vgpr 1
		.amdhsa_next_free_sgpr 1
		.amdhsa_reserve_vcc 0
		.amdhsa_reserve_flat_scratch 0
		.amdhsa_float_round_mode_32 0
		.amdhsa_float_round_mode_16_64 0
		.amdhsa_float_denorm_mode_32 3
		.amdhsa_float_denorm_mode_16_64 3
		.amdhsa_dx10_clamp 1
		.amdhsa_ieee_mode 1
		.amdhsa_fp16_overflow 0
		.amdhsa_workgroup_processor_mode 1
		.amdhsa_memory_ordered 1
		.amdhsa_forward_progress 1
		.amdhsa_shared_vgpr_count 0
		.amdhsa_exception_fp_ieee_invalid_op 0
		.amdhsa_exception_fp_denorm_src 0
		.amdhsa_exception_fp_ieee_div_zero 0
		.amdhsa_exception_fp_ieee_overflow 0
		.amdhsa_exception_fp_ieee_underflow 0
		.amdhsa_exception_fp_ieee_inexact 0
		.amdhsa_exception_int_div_zero 0
	.end_amdhsa_kernel
	.section	.text._ZN7rocprim17ROCPRIM_400000_NS6detail17trampoline_kernelINS0_14default_configENS1_27scan_by_key_config_selectorIiiEEZZNS1_16scan_by_key_implILNS1_25lookback_scan_determinismE0ELb1ES3_N6thrust23THRUST_200600_302600_NS10device_ptrIiEESB_SB_iNS9_4plusIvEENS9_8equal_toIvEEiEE10hipError_tPvRmT2_T3_T4_T5_mT6_T7_P12ihipStream_tbENKUlT_T0_E_clISt17integral_constantIbLb1EESW_EEDaSR_SS_EUlSR_E_NS1_11comp_targetILNS1_3genE3ELNS1_11target_archE908ELNS1_3gpuE7ELNS1_3repE0EEENS1_30default_config_static_selectorELNS0_4arch9wavefront6targetE0EEEvT1_,"axG",@progbits,_ZN7rocprim17ROCPRIM_400000_NS6detail17trampoline_kernelINS0_14default_configENS1_27scan_by_key_config_selectorIiiEEZZNS1_16scan_by_key_implILNS1_25lookback_scan_determinismE0ELb1ES3_N6thrust23THRUST_200600_302600_NS10device_ptrIiEESB_SB_iNS9_4plusIvEENS9_8equal_toIvEEiEE10hipError_tPvRmT2_T3_T4_T5_mT6_T7_P12ihipStream_tbENKUlT_T0_E_clISt17integral_constantIbLb1EESW_EEDaSR_SS_EUlSR_E_NS1_11comp_targetILNS1_3genE3ELNS1_11target_archE908ELNS1_3gpuE7ELNS1_3repE0EEENS1_30default_config_static_selectorELNS0_4arch9wavefront6targetE0EEEvT1_,comdat
.Lfunc_end2246:
	.size	_ZN7rocprim17ROCPRIM_400000_NS6detail17trampoline_kernelINS0_14default_configENS1_27scan_by_key_config_selectorIiiEEZZNS1_16scan_by_key_implILNS1_25lookback_scan_determinismE0ELb1ES3_N6thrust23THRUST_200600_302600_NS10device_ptrIiEESB_SB_iNS9_4plusIvEENS9_8equal_toIvEEiEE10hipError_tPvRmT2_T3_T4_T5_mT6_T7_P12ihipStream_tbENKUlT_T0_E_clISt17integral_constantIbLb1EESW_EEDaSR_SS_EUlSR_E_NS1_11comp_targetILNS1_3genE3ELNS1_11target_archE908ELNS1_3gpuE7ELNS1_3repE0EEENS1_30default_config_static_selectorELNS0_4arch9wavefront6targetE0EEEvT1_, .Lfunc_end2246-_ZN7rocprim17ROCPRIM_400000_NS6detail17trampoline_kernelINS0_14default_configENS1_27scan_by_key_config_selectorIiiEEZZNS1_16scan_by_key_implILNS1_25lookback_scan_determinismE0ELb1ES3_N6thrust23THRUST_200600_302600_NS10device_ptrIiEESB_SB_iNS9_4plusIvEENS9_8equal_toIvEEiEE10hipError_tPvRmT2_T3_T4_T5_mT6_T7_P12ihipStream_tbENKUlT_T0_E_clISt17integral_constantIbLb1EESW_EEDaSR_SS_EUlSR_E_NS1_11comp_targetILNS1_3genE3ELNS1_11target_archE908ELNS1_3gpuE7ELNS1_3repE0EEENS1_30default_config_static_selectorELNS0_4arch9wavefront6targetE0EEEvT1_
                                        ; -- End function
	.set _ZN7rocprim17ROCPRIM_400000_NS6detail17trampoline_kernelINS0_14default_configENS1_27scan_by_key_config_selectorIiiEEZZNS1_16scan_by_key_implILNS1_25lookback_scan_determinismE0ELb1ES3_N6thrust23THRUST_200600_302600_NS10device_ptrIiEESB_SB_iNS9_4plusIvEENS9_8equal_toIvEEiEE10hipError_tPvRmT2_T3_T4_T5_mT6_T7_P12ihipStream_tbENKUlT_T0_E_clISt17integral_constantIbLb1EESW_EEDaSR_SS_EUlSR_E_NS1_11comp_targetILNS1_3genE3ELNS1_11target_archE908ELNS1_3gpuE7ELNS1_3repE0EEENS1_30default_config_static_selectorELNS0_4arch9wavefront6targetE0EEEvT1_.num_vgpr, 0
	.set _ZN7rocprim17ROCPRIM_400000_NS6detail17trampoline_kernelINS0_14default_configENS1_27scan_by_key_config_selectorIiiEEZZNS1_16scan_by_key_implILNS1_25lookback_scan_determinismE0ELb1ES3_N6thrust23THRUST_200600_302600_NS10device_ptrIiEESB_SB_iNS9_4plusIvEENS9_8equal_toIvEEiEE10hipError_tPvRmT2_T3_T4_T5_mT6_T7_P12ihipStream_tbENKUlT_T0_E_clISt17integral_constantIbLb1EESW_EEDaSR_SS_EUlSR_E_NS1_11comp_targetILNS1_3genE3ELNS1_11target_archE908ELNS1_3gpuE7ELNS1_3repE0EEENS1_30default_config_static_selectorELNS0_4arch9wavefront6targetE0EEEvT1_.num_agpr, 0
	.set _ZN7rocprim17ROCPRIM_400000_NS6detail17trampoline_kernelINS0_14default_configENS1_27scan_by_key_config_selectorIiiEEZZNS1_16scan_by_key_implILNS1_25lookback_scan_determinismE0ELb1ES3_N6thrust23THRUST_200600_302600_NS10device_ptrIiEESB_SB_iNS9_4plusIvEENS9_8equal_toIvEEiEE10hipError_tPvRmT2_T3_T4_T5_mT6_T7_P12ihipStream_tbENKUlT_T0_E_clISt17integral_constantIbLb1EESW_EEDaSR_SS_EUlSR_E_NS1_11comp_targetILNS1_3genE3ELNS1_11target_archE908ELNS1_3gpuE7ELNS1_3repE0EEENS1_30default_config_static_selectorELNS0_4arch9wavefront6targetE0EEEvT1_.numbered_sgpr, 0
	.set _ZN7rocprim17ROCPRIM_400000_NS6detail17trampoline_kernelINS0_14default_configENS1_27scan_by_key_config_selectorIiiEEZZNS1_16scan_by_key_implILNS1_25lookback_scan_determinismE0ELb1ES3_N6thrust23THRUST_200600_302600_NS10device_ptrIiEESB_SB_iNS9_4plusIvEENS9_8equal_toIvEEiEE10hipError_tPvRmT2_T3_T4_T5_mT6_T7_P12ihipStream_tbENKUlT_T0_E_clISt17integral_constantIbLb1EESW_EEDaSR_SS_EUlSR_E_NS1_11comp_targetILNS1_3genE3ELNS1_11target_archE908ELNS1_3gpuE7ELNS1_3repE0EEENS1_30default_config_static_selectorELNS0_4arch9wavefront6targetE0EEEvT1_.num_named_barrier, 0
	.set _ZN7rocprim17ROCPRIM_400000_NS6detail17trampoline_kernelINS0_14default_configENS1_27scan_by_key_config_selectorIiiEEZZNS1_16scan_by_key_implILNS1_25lookback_scan_determinismE0ELb1ES3_N6thrust23THRUST_200600_302600_NS10device_ptrIiEESB_SB_iNS9_4plusIvEENS9_8equal_toIvEEiEE10hipError_tPvRmT2_T3_T4_T5_mT6_T7_P12ihipStream_tbENKUlT_T0_E_clISt17integral_constantIbLb1EESW_EEDaSR_SS_EUlSR_E_NS1_11comp_targetILNS1_3genE3ELNS1_11target_archE908ELNS1_3gpuE7ELNS1_3repE0EEENS1_30default_config_static_selectorELNS0_4arch9wavefront6targetE0EEEvT1_.private_seg_size, 0
	.set _ZN7rocprim17ROCPRIM_400000_NS6detail17trampoline_kernelINS0_14default_configENS1_27scan_by_key_config_selectorIiiEEZZNS1_16scan_by_key_implILNS1_25lookback_scan_determinismE0ELb1ES3_N6thrust23THRUST_200600_302600_NS10device_ptrIiEESB_SB_iNS9_4plusIvEENS9_8equal_toIvEEiEE10hipError_tPvRmT2_T3_T4_T5_mT6_T7_P12ihipStream_tbENKUlT_T0_E_clISt17integral_constantIbLb1EESW_EEDaSR_SS_EUlSR_E_NS1_11comp_targetILNS1_3genE3ELNS1_11target_archE908ELNS1_3gpuE7ELNS1_3repE0EEENS1_30default_config_static_selectorELNS0_4arch9wavefront6targetE0EEEvT1_.uses_vcc, 0
	.set _ZN7rocprim17ROCPRIM_400000_NS6detail17trampoline_kernelINS0_14default_configENS1_27scan_by_key_config_selectorIiiEEZZNS1_16scan_by_key_implILNS1_25lookback_scan_determinismE0ELb1ES3_N6thrust23THRUST_200600_302600_NS10device_ptrIiEESB_SB_iNS9_4plusIvEENS9_8equal_toIvEEiEE10hipError_tPvRmT2_T3_T4_T5_mT6_T7_P12ihipStream_tbENKUlT_T0_E_clISt17integral_constantIbLb1EESW_EEDaSR_SS_EUlSR_E_NS1_11comp_targetILNS1_3genE3ELNS1_11target_archE908ELNS1_3gpuE7ELNS1_3repE0EEENS1_30default_config_static_selectorELNS0_4arch9wavefront6targetE0EEEvT1_.uses_flat_scratch, 0
	.set _ZN7rocprim17ROCPRIM_400000_NS6detail17trampoline_kernelINS0_14default_configENS1_27scan_by_key_config_selectorIiiEEZZNS1_16scan_by_key_implILNS1_25lookback_scan_determinismE0ELb1ES3_N6thrust23THRUST_200600_302600_NS10device_ptrIiEESB_SB_iNS9_4plusIvEENS9_8equal_toIvEEiEE10hipError_tPvRmT2_T3_T4_T5_mT6_T7_P12ihipStream_tbENKUlT_T0_E_clISt17integral_constantIbLb1EESW_EEDaSR_SS_EUlSR_E_NS1_11comp_targetILNS1_3genE3ELNS1_11target_archE908ELNS1_3gpuE7ELNS1_3repE0EEENS1_30default_config_static_selectorELNS0_4arch9wavefront6targetE0EEEvT1_.has_dyn_sized_stack, 0
	.set _ZN7rocprim17ROCPRIM_400000_NS6detail17trampoline_kernelINS0_14default_configENS1_27scan_by_key_config_selectorIiiEEZZNS1_16scan_by_key_implILNS1_25lookback_scan_determinismE0ELb1ES3_N6thrust23THRUST_200600_302600_NS10device_ptrIiEESB_SB_iNS9_4plusIvEENS9_8equal_toIvEEiEE10hipError_tPvRmT2_T3_T4_T5_mT6_T7_P12ihipStream_tbENKUlT_T0_E_clISt17integral_constantIbLb1EESW_EEDaSR_SS_EUlSR_E_NS1_11comp_targetILNS1_3genE3ELNS1_11target_archE908ELNS1_3gpuE7ELNS1_3repE0EEENS1_30default_config_static_selectorELNS0_4arch9wavefront6targetE0EEEvT1_.has_recursion, 0
	.set _ZN7rocprim17ROCPRIM_400000_NS6detail17trampoline_kernelINS0_14default_configENS1_27scan_by_key_config_selectorIiiEEZZNS1_16scan_by_key_implILNS1_25lookback_scan_determinismE0ELb1ES3_N6thrust23THRUST_200600_302600_NS10device_ptrIiEESB_SB_iNS9_4plusIvEENS9_8equal_toIvEEiEE10hipError_tPvRmT2_T3_T4_T5_mT6_T7_P12ihipStream_tbENKUlT_T0_E_clISt17integral_constantIbLb1EESW_EEDaSR_SS_EUlSR_E_NS1_11comp_targetILNS1_3genE3ELNS1_11target_archE908ELNS1_3gpuE7ELNS1_3repE0EEENS1_30default_config_static_selectorELNS0_4arch9wavefront6targetE0EEEvT1_.has_indirect_call, 0
	.section	.AMDGPU.csdata,"",@progbits
; Kernel info:
; codeLenInByte = 0
; TotalNumSgprs: 0
; NumVgprs: 0
; ScratchSize: 0
; MemoryBound: 0
; FloatMode: 240
; IeeeMode: 1
; LDSByteSize: 0 bytes/workgroup (compile time only)
; SGPRBlocks: 0
; VGPRBlocks: 0
; NumSGPRsForWavesPerEU: 1
; NumVGPRsForWavesPerEU: 1
; Occupancy: 16
; WaveLimiterHint : 0
; COMPUTE_PGM_RSRC2:SCRATCH_EN: 0
; COMPUTE_PGM_RSRC2:USER_SGPR: 6
; COMPUTE_PGM_RSRC2:TRAP_HANDLER: 0
; COMPUTE_PGM_RSRC2:TGID_X_EN: 1
; COMPUTE_PGM_RSRC2:TGID_Y_EN: 0
; COMPUTE_PGM_RSRC2:TGID_Z_EN: 0
; COMPUTE_PGM_RSRC2:TIDIG_COMP_CNT: 0
	.section	.text._ZN7rocprim17ROCPRIM_400000_NS6detail17trampoline_kernelINS0_14default_configENS1_27scan_by_key_config_selectorIiiEEZZNS1_16scan_by_key_implILNS1_25lookback_scan_determinismE0ELb1ES3_N6thrust23THRUST_200600_302600_NS10device_ptrIiEESB_SB_iNS9_4plusIvEENS9_8equal_toIvEEiEE10hipError_tPvRmT2_T3_T4_T5_mT6_T7_P12ihipStream_tbENKUlT_T0_E_clISt17integral_constantIbLb1EESW_EEDaSR_SS_EUlSR_E_NS1_11comp_targetILNS1_3genE2ELNS1_11target_archE906ELNS1_3gpuE6ELNS1_3repE0EEENS1_30default_config_static_selectorELNS0_4arch9wavefront6targetE0EEEvT1_,"axG",@progbits,_ZN7rocprim17ROCPRIM_400000_NS6detail17trampoline_kernelINS0_14default_configENS1_27scan_by_key_config_selectorIiiEEZZNS1_16scan_by_key_implILNS1_25lookback_scan_determinismE0ELb1ES3_N6thrust23THRUST_200600_302600_NS10device_ptrIiEESB_SB_iNS9_4plusIvEENS9_8equal_toIvEEiEE10hipError_tPvRmT2_T3_T4_T5_mT6_T7_P12ihipStream_tbENKUlT_T0_E_clISt17integral_constantIbLb1EESW_EEDaSR_SS_EUlSR_E_NS1_11comp_targetILNS1_3genE2ELNS1_11target_archE906ELNS1_3gpuE6ELNS1_3repE0EEENS1_30default_config_static_selectorELNS0_4arch9wavefront6targetE0EEEvT1_,comdat
	.protected	_ZN7rocprim17ROCPRIM_400000_NS6detail17trampoline_kernelINS0_14default_configENS1_27scan_by_key_config_selectorIiiEEZZNS1_16scan_by_key_implILNS1_25lookback_scan_determinismE0ELb1ES3_N6thrust23THRUST_200600_302600_NS10device_ptrIiEESB_SB_iNS9_4plusIvEENS9_8equal_toIvEEiEE10hipError_tPvRmT2_T3_T4_T5_mT6_T7_P12ihipStream_tbENKUlT_T0_E_clISt17integral_constantIbLb1EESW_EEDaSR_SS_EUlSR_E_NS1_11comp_targetILNS1_3genE2ELNS1_11target_archE906ELNS1_3gpuE6ELNS1_3repE0EEENS1_30default_config_static_selectorELNS0_4arch9wavefront6targetE0EEEvT1_ ; -- Begin function _ZN7rocprim17ROCPRIM_400000_NS6detail17trampoline_kernelINS0_14default_configENS1_27scan_by_key_config_selectorIiiEEZZNS1_16scan_by_key_implILNS1_25lookback_scan_determinismE0ELb1ES3_N6thrust23THRUST_200600_302600_NS10device_ptrIiEESB_SB_iNS9_4plusIvEENS9_8equal_toIvEEiEE10hipError_tPvRmT2_T3_T4_T5_mT6_T7_P12ihipStream_tbENKUlT_T0_E_clISt17integral_constantIbLb1EESW_EEDaSR_SS_EUlSR_E_NS1_11comp_targetILNS1_3genE2ELNS1_11target_archE906ELNS1_3gpuE6ELNS1_3repE0EEENS1_30default_config_static_selectorELNS0_4arch9wavefront6targetE0EEEvT1_
	.globl	_ZN7rocprim17ROCPRIM_400000_NS6detail17trampoline_kernelINS0_14default_configENS1_27scan_by_key_config_selectorIiiEEZZNS1_16scan_by_key_implILNS1_25lookback_scan_determinismE0ELb1ES3_N6thrust23THRUST_200600_302600_NS10device_ptrIiEESB_SB_iNS9_4plusIvEENS9_8equal_toIvEEiEE10hipError_tPvRmT2_T3_T4_T5_mT6_T7_P12ihipStream_tbENKUlT_T0_E_clISt17integral_constantIbLb1EESW_EEDaSR_SS_EUlSR_E_NS1_11comp_targetILNS1_3genE2ELNS1_11target_archE906ELNS1_3gpuE6ELNS1_3repE0EEENS1_30default_config_static_selectorELNS0_4arch9wavefront6targetE0EEEvT1_
	.p2align	8
	.type	_ZN7rocprim17ROCPRIM_400000_NS6detail17trampoline_kernelINS0_14default_configENS1_27scan_by_key_config_selectorIiiEEZZNS1_16scan_by_key_implILNS1_25lookback_scan_determinismE0ELb1ES3_N6thrust23THRUST_200600_302600_NS10device_ptrIiEESB_SB_iNS9_4plusIvEENS9_8equal_toIvEEiEE10hipError_tPvRmT2_T3_T4_T5_mT6_T7_P12ihipStream_tbENKUlT_T0_E_clISt17integral_constantIbLb1EESW_EEDaSR_SS_EUlSR_E_NS1_11comp_targetILNS1_3genE2ELNS1_11target_archE906ELNS1_3gpuE6ELNS1_3repE0EEENS1_30default_config_static_selectorELNS0_4arch9wavefront6targetE0EEEvT1_,@function
_ZN7rocprim17ROCPRIM_400000_NS6detail17trampoline_kernelINS0_14default_configENS1_27scan_by_key_config_selectorIiiEEZZNS1_16scan_by_key_implILNS1_25lookback_scan_determinismE0ELb1ES3_N6thrust23THRUST_200600_302600_NS10device_ptrIiEESB_SB_iNS9_4plusIvEENS9_8equal_toIvEEiEE10hipError_tPvRmT2_T3_T4_T5_mT6_T7_P12ihipStream_tbENKUlT_T0_E_clISt17integral_constantIbLb1EESW_EEDaSR_SS_EUlSR_E_NS1_11comp_targetILNS1_3genE2ELNS1_11target_archE906ELNS1_3gpuE6ELNS1_3repE0EEENS1_30default_config_static_selectorELNS0_4arch9wavefront6targetE0EEEvT1_: ; @_ZN7rocprim17ROCPRIM_400000_NS6detail17trampoline_kernelINS0_14default_configENS1_27scan_by_key_config_selectorIiiEEZZNS1_16scan_by_key_implILNS1_25lookback_scan_determinismE0ELb1ES3_N6thrust23THRUST_200600_302600_NS10device_ptrIiEESB_SB_iNS9_4plusIvEENS9_8equal_toIvEEiEE10hipError_tPvRmT2_T3_T4_T5_mT6_T7_P12ihipStream_tbENKUlT_T0_E_clISt17integral_constantIbLb1EESW_EEDaSR_SS_EUlSR_E_NS1_11comp_targetILNS1_3genE2ELNS1_11target_archE906ELNS1_3gpuE6ELNS1_3repE0EEENS1_30default_config_static_selectorELNS0_4arch9wavefront6targetE0EEEvT1_
; %bb.0:
	.section	.rodata,"a",@progbits
	.p2align	6, 0x0
	.amdhsa_kernel _ZN7rocprim17ROCPRIM_400000_NS6detail17trampoline_kernelINS0_14default_configENS1_27scan_by_key_config_selectorIiiEEZZNS1_16scan_by_key_implILNS1_25lookback_scan_determinismE0ELb1ES3_N6thrust23THRUST_200600_302600_NS10device_ptrIiEESB_SB_iNS9_4plusIvEENS9_8equal_toIvEEiEE10hipError_tPvRmT2_T3_T4_T5_mT6_T7_P12ihipStream_tbENKUlT_T0_E_clISt17integral_constantIbLb1EESW_EEDaSR_SS_EUlSR_E_NS1_11comp_targetILNS1_3genE2ELNS1_11target_archE906ELNS1_3gpuE6ELNS1_3repE0EEENS1_30default_config_static_selectorELNS0_4arch9wavefront6targetE0EEEvT1_
		.amdhsa_group_segment_fixed_size 0
		.amdhsa_private_segment_fixed_size 0
		.amdhsa_kernarg_size 112
		.amdhsa_user_sgpr_count 6
		.amdhsa_user_sgpr_private_segment_buffer 1
		.amdhsa_user_sgpr_dispatch_ptr 0
		.amdhsa_user_sgpr_queue_ptr 0
		.amdhsa_user_sgpr_kernarg_segment_ptr 1
		.amdhsa_user_sgpr_dispatch_id 0
		.amdhsa_user_sgpr_flat_scratch_init 0
		.amdhsa_user_sgpr_private_segment_size 0
		.amdhsa_wavefront_size32 1
		.amdhsa_uses_dynamic_stack 0
		.amdhsa_system_sgpr_private_segment_wavefront_offset 0
		.amdhsa_system_sgpr_workgroup_id_x 1
		.amdhsa_system_sgpr_workgroup_id_y 0
		.amdhsa_system_sgpr_workgroup_id_z 0
		.amdhsa_system_sgpr_workgroup_info 0
		.amdhsa_system_vgpr_workitem_id 0
		.amdhsa_next_free_vgpr 1
		.amdhsa_next_free_sgpr 1
		.amdhsa_reserve_vcc 0
		.amdhsa_reserve_flat_scratch 0
		.amdhsa_float_round_mode_32 0
		.amdhsa_float_round_mode_16_64 0
		.amdhsa_float_denorm_mode_32 3
		.amdhsa_float_denorm_mode_16_64 3
		.amdhsa_dx10_clamp 1
		.amdhsa_ieee_mode 1
		.amdhsa_fp16_overflow 0
		.amdhsa_workgroup_processor_mode 1
		.amdhsa_memory_ordered 1
		.amdhsa_forward_progress 1
		.amdhsa_shared_vgpr_count 0
		.amdhsa_exception_fp_ieee_invalid_op 0
		.amdhsa_exception_fp_denorm_src 0
		.amdhsa_exception_fp_ieee_div_zero 0
		.amdhsa_exception_fp_ieee_overflow 0
		.amdhsa_exception_fp_ieee_underflow 0
		.amdhsa_exception_fp_ieee_inexact 0
		.amdhsa_exception_int_div_zero 0
	.end_amdhsa_kernel
	.section	.text._ZN7rocprim17ROCPRIM_400000_NS6detail17trampoline_kernelINS0_14default_configENS1_27scan_by_key_config_selectorIiiEEZZNS1_16scan_by_key_implILNS1_25lookback_scan_determinismE0ELb1ES3_N6thrust23THRUST_200600_302600_NS10device_ptrIiEESB_SB_iNS9_4plusIvEENS9_8equal_toIvEEiEE10hipError_tPvRmT2_T3_T4_T5_mT6_T7_P12ihipStream_tbENKUlT_T0_E_clISt17integral_constantIbLb1EESW_EEDaSR_SS_EUlSR_E_NS1_11comp_targetILNS1_3genE2ELNS1_11target_archE906ELNS1_3gpuE6ELNS1_3repE0EEENS1_30default_config_static_selectorELNS0_4arch9wavefront6targetE0EEEvT1_,"axG",@progbits,_ZN7rocprim17ROCPRIM_400000_NS6detail17trampoline_kernelINS0_14default_configENS1_27scan_by_key_config_selectorIiiEEZZNS1_16scan_by_key_implILNS1_25lookback_scan_determinismE0ELb1ES3_N6thrust23THRUST_200600_302600_NS10device_ptrIiEESB_SB_iNS9_4plusIvEENS9_8equal_toIvEEiEE10hipError_tPvRmT2_T3_T4_T5_mT6_T7_P12ihipStream_tbENKUlT_T0_E_clISt17integral_constantIbLb1EESW_EEDaSR_SS_EUlSR_E_NS1_11comp_targetILNS1_3genE2ELNS1_11target_archE906ELNS1_3gpuE6ELNS1_3repE0EEENS1_30default_config_static_selectorELNS0_4arch9wavefront6targetE0EEEvT1_,comdat
.Lfunc_end2247:
	.size	_ZN7rocprim17ROCPRIM_400000_NS6detail17trampoline_kernelINS0_14default_configENS1_27scan_by_key_config_selectorIiiEEZZNS1_16scan_by_key_implILNS1_25lookback_scan_determinismE0ELb1ES3_N6thrust23THRUST_200600_302600_NS10device_ptrIiEESB_SB_iNS9_4plusIvEENS9_8equal_toIvEEiEE10hipError_tPvRmT2_T3_T4_T5_mT6_T7_P12ihipStream_tbENKUlT_T0_E_clISt17integral_constantIbLb1EESW_EEDaSR_SS_EUlSR_E_NS1_11comp_targetILNS1_3genE2ELNS1_11target_archE906ELNS1_3gpuE6ELNS1_3repE0EEENS1_30default_config_static_selectorELNS0_4arch9wavefront6targetE0EEEvT1_, .Lfunc_end2247-_ZN7rocprim17ROCPRIM_400000_NS6detail17trampoline_kernelINS0_14default_configENS1_27scan_by_key_config_selectorIiiEEZZNS1_16scan_by_key_implILNS1_25lookback_scan_determinismE0ELb1ES3_N6thrust23THRUST_200600_302600_NS10device_ptrIiEESB_SB_iNS9_4plusIvEENS9_8equal_toIvEEiEE10hipError_tPvRmT2_T3_T4_T5_mT6_T7_P12ihipStream_tbENKUlT_T0_E_clISt17integral_constantIbLb1EESW_EEDaSR_SS_EUlSR_E_NS1_11comp_targetILNS1_3genE2ELNS1_11target_archE906ELNS1_3gpuE6ELNS1_3repE0EEENS1_30default_config_static_selectorELNS0_4arch9wavefront6targetE0EEEvT1_
                                        ; -- End function
	.set _ZN7rocprim17ROCPRIM_400000_NS6detail17trampoline_kernelINS0_14default_configENS1_27scan_by_key_config_selectorIiiEEZZNS1_16scan_by_key_implILNS1_25lookback_scan_determinismE0ELb1ES3_N6thrust23THRUST_200600_302600_NS10device_ptrIiEESB_SB_iNS9_4plusIvEENS9_8equal_toIvEEiEE10hipError_tPvRmT2_T3_T4_T5_mT6_T7_P12ihipStream_tbENKUlT_T0_E_clISt17integral_constantIbLb1EESW_EEDaSR_SS_EUlSR_E_NS1_11comp_targetILNS1_3genE2ELNS1_11target_archE906ELNS1_3gpuE6ELNS1_3repE0EEENS1_30default_config_static_selectorELNS0_4arch9wavefront6targetE0EEEvT1_.num_vgpr, 0
	.set _ZN7rocprim17ROCPRIM_400000_NS6detail17trampoline_kernelINS0_14default_configENS1_27scan_by_key_config_selectorIiiEEZZNS1_16scan_by_key_implILNS1_25lookback_scan_determinismE0ELb1ES3_N6thrust23THRUST_200600_302600_NS10device_ptrIiEESB_SB_iNS9_4plusIvEENS9_8equal_toIvEEiEE10hipError_tPvRmT2_T3_T4_T5_mT6_T7_P12ihipStream_tbENKUlT_T0_E_clISt17integral_constantIbLb1EESW_EEDaSR_SS_EUlSR_E_NS1_11comp_targetILNS1_3genE2ELNS1_11target_archE906ELNS1_3gpuE6ELNS1_3repE0EEENS1_30default_config_static_selectorELNS0_4arch9wavefront6targetE0EEEvT1_.num_agpr, 0
	.set _ZN7rocprim17ROCPRIM_400000_NS6detail17trampoline_kernelINS0_14default_configENS1_27scan_by_key_config_selectorIiiEEZZNS1_16scan_by_key_implILNS1_25lookback_scan_determinismE0ELb1ES3_N6thrust23THRUST_200600_302600_NS10device_ptrIiEESB_SB_iNS9_4plusIvEENS9_8equal_toIvEEiEE10hipError_tPvRmT2_T3_T4_T5_mT6_T7_P12ihipStream_tbENKUlT_T0_E_clISt17integral_constantIbLb1EESW_EEDaSR_SS_EUlSR_E_NS1_11comp_targetILNS1_3genE2ELNS1_11target_archE906ELNS1_3gpuE6ELNS1_3repE0EEENS1_30default_config_static_selectorELNS0_4arch9wavefront6targetE0EEEvT1_.numbered_sgpr, 0
	.set _ZN7rocprim17ROCPRIM_400000_NS6detail17trampoline_kernelINS0_14default_configENS1_27scan_by_key_config_selectorIiiEEZZNS1_16scan_by_key_implILNS1_25lookback_scan_determinismE0ELb1ES3_N6thrust23THRUST_200600_302600_NS10device_ptrIiEESB_SB_iNS9_4plusIvEENS9_8equal_toIvEEiEE10hipError_tPvRmT2_T3_T4_T5_mT6_T7_P12ihipStream_tbENKUlT_T0_E_clISt17integral_constantIbLb1EESW_EEDaSR_SS_EUlSR_E_NS1_11comp_targetILNS1_3genE2ELNS1_11target_archE906ELNS1_3gpuE6ELNS1_3repE0EEENS1_30default_config_static_selectorELNS0_4arch9wavefront6targetE0EEEvT1_.num_named_barrier, 0
	.set _ZN7rocprim17ROCPRIM_400000_NS6detail17trampoline_kernelINS0_14default_configENS1_27scan_by_key_config_selectorIiiEEZZNS1_16scan_by_key_implILNS1_25lookback_scan_determinismE0ELb1ES3_N6thrust23THRUST_200600_302600_NS10device_ptrIiEESB_SB_iNS9_4plusIvEENS9_8equal_toIvEEiEE10hipError_tPvRmT2_T3_T4_T5_mT6_T7_P12ihipStream_tbENKUlT_T0_E_clISt17integral_constantIbLb1EESW_EEDaSR_SS_EUlSR_E_NS1_11comp_targetILNS1_3genE2ELNS1_11target_archE906ELNS1_3gpuE6ELNS1_3repE0EEENS1_30default_config_static_selectorELNS0_4arch9wavefront6targetE0EEEvT1_.private_seg_size, 0
	.set _ZN7rocprim17ROCPRIM_400000_NS6detail17trampoline_kernelINS0_14default_configENS1_27scan_by_key_config_selectorIiiEEZZNS1_16scan_by_key_implILNS1_25lookback_scan_determinismE0ELb1ES3_N6thrust23THRUST_200600_302600_NS10device_ptrIiEESB_SB_iNS9_4plusIvEENS9_8equal_toIvEEiEE10hipError_tPvRmT2_T3_T4_T5_mT6_T7_P12ihipStream_tbENKUlT_T0_E_clISt17integral_constantIbLb1EESW_EEDaSR_SS_EUlSR_E_NS1_11comp_targetILNS1_3genE2ELNS1_11target_archE906ELNS1_3gpuE6ELNS1_3repE0EEENS1_30default_config_static_selectorELNS0_4arch9wavefront6targetE0EEEvT1_.uses_vcc, 0
	.set _ZN7rocprim17ROCPRIM_400000_NS6detail17trampoline_kernelINS0_14default_configENS1_27scan_by_key_config_selectorIiiEEZZNS1_16scan_by_key_implILNS1_25lookback_scan_determinismE0ELb1ES3_N6thrust23THRUST_200600_302600_NS10device_ptrIiEESB_SB_iNS9_4plusIvEENS9_8equal_toIvEEiEE10hipError_tPvRmT2_T3_T4_T5_mT6_T7_P12ihipStream_tbENKUlT_T0_E_clISt17integral_constantIbLb1EESW_EEDaSR_SS_EUlSR_E_NS1_11comp_targetILNS1_3genE2ELNS1_11target_archE906ELNS1_3gpuE6ELNS1_3repE0EEENS1_30default_config_static_selectorELNS0_4arch9wavefront6targetE0EEEvT1_.uses_flat_scratch, 0
	.set _ZN7rocprim17ROCPRIM_400000_NS6detail17trampoline_kernelINS0_14default_configENS1_27scan_by_key_config_selectorIiiEEZZNS1_16scan_by_key_implILNS1_25lookback_scan_determinismE0ELb1ES3_N6thrust23THRUST_200600_302600_NS10device_ptrIiEESB_SB_iNS9_4plusIvEENS9_8equal_toIvEEiEE10hipError_tPvRmT2_T3_T4_T5_mT6_T7_P12ihipStream_tbENKUlT_T0_E_clISt17integral_constantIbLb1EESW_EEDaSR_SS_EUlSR_E_NS1_11comp_targetILNS1_3genE2ELNS1_11target_archE906ELNS1_3gpuE6ELNS1_3repE0EEENS1_30default_config_static_selectorELNS0_4arch9wavefront6targetE0EEEvT1_.has_dyn_sized_stack, 0
	.set _ZN7rocprim17ROCPRIM_400000_NS6detail17trampoline_kernelINS0_14default_configENS1_27scan_by_key_config_selectorIiiEEZZNS1_16scan_by_key_implILNS1_25lookback_scan_determinismE0ELb1ES3_N6thrust23THRUST_200600_302600_NS10device_ptrIiEESB_SB_iNS9_4plusIvEENS9_8equal_toIvEEiEE10hipError_tPvRmT2_T3_T4_T5_mT6_T7_P12ihipStream_tbENKUlT_T0_E_clISt17integral_constantIbLb1EESW_EEDaSR_SS_EUlSR_E_NS1_11comp_targetILNS1_3genE2ELNS1_11target_archE906ELNS1_3gpuE6ELNS1_3repE0EEENS1_30default_config_static_selectorELNS0_4arch9wavefront6targetE0EEEvT1_.has_recursion, 0
	.set _ZN7rocprim17ROCPRIM_400000_NS6detail17trampoline_kernelINS0_14default_configENS1_27scan_by_key_config_selectorIiiEEZZNS1_16scan_by_key_implILNS1_25lookback_scan_determinismE0ELb1ES3_N6thrust23THRUST_200600_302600_NS10device_ptrIiEESB_SB_iNS9_4plusIvEENS9_8equal_toIvEEiEE10hipError_tPvRmT2_T3_T4_T5_mT6_T7_P12ihipStream_tbENKUlT_T0_E_clISt17integral_constantIbLb1EESW_EEDaSR_SS_EUlSR_E_NS1_11comp_targetILNS1_3genE2ELNS1_11target_archE906ELNS1_3gpuE6ELNS1_3repE0EEENS1_30default_config_static_selectorELNS0_4arch9wavefront6targetE0EEEvT1_.has_indirect_call, 0
	.section	.AMDGPU.csdata,"",@progbits
; Kernel info:
; codeLenInByte = 0
; TotalNumSgprs: 0
; NumVgprs: 0
; ScratchSize: 0
; MemoryBound: 0
; FloatMode: 240
; IeeeMode: 1
; LDSByteSize: 0 bytes/workgroup (compile time only)
; SGPRBlocks: 0
; VGPRBlocks: 0
; NumSGPRsForWavesPerEU: 1
; NumVGPRsForWavesPerEU: 1
; Occupancy: 16
; WaveLimiterHint : 0
; COMPUTE_PGM_RSRC2:SCRATCH_EN: 0
; COMPUTE_PGM_RSRC2:USER_SGPR: 6
; COMPUTE_PGM_RSRC2:TRAP_HANDLER: 0
; COMPUTE_PGM_RSRC2:TGID_X_EN: 1
; COMPUTE_PGM_RSRC2:TGID_Y_EN: 0
; COMPUTE_PGM_RSRC2:TGID_Z_EN: 0
; COMPUTE_PGM_RSRC2:TIDIG_COMP_CNT: 0
	.section	.text._ZN7rocprim17ROCPRIM_400000_NS6detail17trampoline_kernelINS0_14default_configENS1_27scan_by_key_config_selectorIiiEEZZNS1_16scan_by_key_implILNS1_25lookback_scan_determinismE0ELb1ES3_N6thrust23THRUST_200600_302600_NS10device_ptrIiEESB_SB_iNS9_4plusIvEENS9_8equal_toIvEEiEE10hipError_tPvRmT2_T3_T4_T5_mT6_T7_P12ihipStream_tbENKUlT_T0_E_clISt17integral_constantIbLb1EESW_EEDaSR_SS_EUlSR_E_NS1_11comp_targetILNS1_3genE10ELNS1_11target_archE1200ELNS1_3gpuE4ELNS1_3repE0EEENS1_30default_config_static_selectorELNS0_4arch9wavefront6targetE0EEEvT1_,"axG",@progbits,_ZN7rocprim17ROCPRIM_400000_NS6detail17trampoline_kernelINS0_14default_configENS1_27scan_by_key_config_selectorIiiEEZZNS1_16scan_by_key_implILNS1_25lookback_scan_determinismE0ELb1ES3_N6thrust23THRUST_200600_302600_NS10device_ptrIiEESB_SB_iNS9_4plusIvEENS9_8equal_toIvEEiEE10hipError_tPvRmT2_T3_T4_T5_mT6_T7_P12ihipStream_tbENKUlT_T0_E_clISt17integral_constantIbLb1EESW_EEDaSR_SS_EUlSR_E_NS1_11comp_targetILNS1_3genE10ELNS1_11target_archE1200ELNS1_3gpuE4ELNS1_3repE0EEENS1_30default_config_static_selectorELNS0_4arch9wavefront6targetE0EEEvT1_,comdat
	.protected	_ZN7rocprim17ROCPRIM_400000_NS6detail17trampoline_kernelINS0_14default_configENS1_27scan_by_key_config_selectorIiiEEZZNS1_16scan_by_key_implILNS1_25lookback_scan_determinismE0ELb1ES3_N6thrust23THRUST_200600_302600_NS10device_ptrIiEESB_SB_iNS9_4plusIvEENS9_8equal_toIvEEiEE10hipError_tPvRmT2_T3_T4_T5_mT6_T7_P12ihipStream_tbENKUlT_T0_E_clISt17integral_constantIbLb1EESW_EEDaSR_SS_EUlSR_E_NS1_11comp_targetILNS1_3genE10ELNS1_11target_archE1200ELNS1_3gpuE4ELNS1_3repE0EEENS1_30default_config_static_selectorELNS0_4arch9wavefront6targetE0EEEvT1_ ; -- Begin function _ZN7rocprim17ROCPRIM_400000_NS6detail17trampoline_kernelINS0_14default_configENS1_27scan_by_key_config_selectorIiiEEZZNS1_16scan_by_key_implILNS1_25lookback_scan_determinismE0ELb1ES3_N6thrust23THRUST_200600_302600_NS10device_ptrIiEESB_SB_iNS9_4plusIvEENS9_8equal_toIvEEiEE10hipError_tPvRmT2_T3_T4_T5_mT6_T7_P12ihipStream_tbENKUlT_T0_E_clISt17integral_constantIbLb1EESW_EEDaSR_SS_EUlSR_E_NS1_11comp_targetILNS1_3genE10ELNS1_11target_archE1200ELNS1_3gpuE4ELNS1_3repE0EEENS1_30default_config_static_selectorELNS0_4arch9wavefront6targetE0EEEvT1_
	.globl	_ZN7rocprim17ROCPRIM_400000_NS6detail17trampoline_kernelINS0_14default_configENS1_27scan_by_key_config_selectorIiiEEZZNS1_16scan_by_key_implILNS1_25lookback_scan_determinismE0ELb1ES3_N6thrust23THRUST_200600_302600_NS10device_ptrIiEESB_SB_iNS9_4plusIvEENS9_8equal_toIvEEiEE10hipError_tPvRmT2_T3_T4_T5_mT6_T7_P12ihipStream_tbENKUlT_T0_E_clISt17integral_constantIbLb1EESW_EEDaSR_SS_EUlSR_E_NS1_11comp_targetILNS1_3genE10ELNS1_11target_archE1200ELNS1_3gpuE4ELNS1_3repE0EEENS1_30default_config_static_selectorELNS0_4arch9wavefront6targetE0EEEvT1_
	.p2align	8
	.type	_ZN7rocprim17ROCPRIM_400000_NS6detail17trampoline_kernelINS0_14default_configENS1_27scan_by_key_config_selectorIiiEEZZNS1_16scan_by_key_implILNS1_25lookback_scan_determinismE0ELb1ES3_N6thrust23THRUST_200600_302600_NS10device_ptrIiEESB_SB_iNS9_4plusIvEENS9_8equal_toIvEEiEE10hipError_tPvRmT2_T3_T4_T5_mT6_T7_P12ihipStream_tbENKUlT_T0_E_clISt17integral_constantIbLb1EESW_EEDaSR_SS_EUlSR_E_NS1_11comp_targetILNS1_3genE10ELNS1_11target_archE1200ELNS1_3gpuE4ELNS1_3repE0EEENS1_30default_config_static_selectorELNS0_4arch9wavefront6targetE0EEEvT1_,@function
_ZN7rocprim17ROCPRIM_400000_NS6detail17trampoline_kernelINS0_14default_configENS1_27scan_by_key_config_selectorIiiEEZZNS1_16scan_by_key_implILNS1_25lookback_scan_determinismE0ELb1ES3_N6thrust23THRUST_200600_302600_NS10device_ptrIiEESB_SB_iNS9_4plusIvEENS9_8equal_toIvEEiEE10hipError_tPvRmT2_T3_T4_T5_mT6_T7_P12ihipStream_tbENKUlT_T0_E_clISt17integral_constantIbLb1EESW_EEDaSR_SS_EUlSR_E_NS1_11comp_targetILNS1_3genE10ELNS1_11target_archE1200ELNS1_3gpuE4ELNS1_3repE0EEENS1_30default_config_static_selectorELNS0_4arch9wavefront6targetE0EEEvT1_: ; @_ZN7rocprim17ROCPRIM_400000_NS6detail17trampoline_kernelINS0_14default_configENS1_27scan_by_key_config_selectorIiiEEZZNS1_16scan_by_key_implILNS1_25lookback_scan_determinismE0ELb1ES3_N6thrust23THRUST_200600_302600_NS10device_ptrIiEESB_SB_iNS9_4plusIvEENS9_8equal_toIvEEiEE10hipError_tPvRmT2_T3_T4_T5_mT6_T7_P12ihipStream_tbENKUlT_T0_E_clISt17integral_constantIbLb1EESW_EEDaSR_SS_EUlSR_E_NS1_11comp_targetILNS1_3genE10ELNS1_11target_archE1200ELNS1_3gpuE4ELNS1_3repE0EEENS1_30default_config_static_selectorELNS0_4arch9wavefront6targetE0EEEvT1_
; %bb.0:
	.section	.rodata,"a",@progbits
	.p2align	6, 0x0
	.amdhsa_kernel _ZN7rocprim17ROCPRIM_400000_NS6detail17trampoline_kernelINS0_14default_configENS1_27scan_by_key_config_selectorIiiEEZZNS1_16scan_by_key_implILNS1_25lookback_scan_determinismE0ELb1ES3_N6thrust23THRUST_200600_302600_NS10device_ptrIiEESB_SB_iNS9_4plusIvEENS9_8equal_toIvEEiEE10hipError_tPvRmT2_T3_T4_T5_mT6_T7_P12ihipStream_tbENKUlT_T0_E_clISt17integral_constantIbLb1EESW_EEDaSR_SS_EUlSR_E_NS1_11comp_targetILNS1_3genE10ELNS1_11target_archE1200ELNS1_3gpuE4ELNS1_3repE0EEENS1_30default_config_static_selectorELNS0_4arch9wavefront6targetE0EEEvT1_
		.amdhsa_group_segment_fixed_size 0
		.amdhsa_private_segment_fixed_size 0
		.amdhsa_kernarg_size 112
		.amdhsa_user_sgpr_count 6
		.amdhsa_user_sgpr_private_segment_buffer 1
		.amdhsa_user_sgpr_dispatch_ptr 0
		.amdhsa_user_sgpr_queue_ptr 0
		.amdhsa_user_sgpr_kernarg_segment_ptr 1
		.amdhsa_user_sgpr_dispatch_id 0
		.amdhsa_user_sgpr_flat_scratch_init 0
		.amdhsa_user_sgpr_private_segment_size 0
		.amdhsa_wavefront_size32 1
		.amdhsa_uses_dynamic_stack 0
		.amdhsa_system_sgpr_private_segment_wavefront_offset 0
		.amdhsa_system_sgpr_workgroup_id_x 1
		.amdhsa_system_sgpr_workgroup_id_y 0
		.amdhsa_system_sgpr_workgroup_id_z 0
		.amdhsa_system_sgpr_workgroup_info 0
		.amdhsa_system_vgpr_workitem_id 0
		.amdhsa_next_free_vgpr 1
		.amdhsa_next_free_sgpr 1
		.amdhsa_reserve_vcc 0
		.amdhsa_reserve_flat_scratch 0
		.amdhsa_float_round_mode_32 0
		.amdhsa_float_round_mode_16_64 0
		.amdhsa_float_denorm_mode_32 3
		.amdhsa_float_denorm_mode_16_64 3
		.amdhsa_dx10_clamp 1
		.amdhsa_ieee_mode 1
		.amdhsa_fp16_overflow 0
		.amdhsa_workgroup_processor_mode 1
		.amdhsa_memory_ordered 1
		.amdhsa_forward_progress 1
		.amdhsa_shared_vgpr_count 0
		.amdhsa_exception_fp_ieee_invalid_op 0
		.amdhsa_exception_fp_denorm_src 0
		.amdhsa_exception_fp_ieee_div_zero 0
		.amdhsa_exception_fp_ieee_overflow 0
		.amdhsa_exception_fp_ieee_underflow 0
		.amdhsa_exception_fp_ieee_inexact 0
		.amdhsa_exception_int_div_zero 0
	.end_amdhsa_kernel
	.section	.text._ZN7rocprim17ROCPRIM_400000_NS6detail17trampoline_kernelINS0_14default_configENS1_27scan_by_key_config_selectorIiiEEZZNS1_16scan_by_key_implILNS1_25lookback_scan_determinismE0ELb1ES3_N6thrust23THRUST_200600_302600_NS10device_ptrIiEESB_SB_iNS9_4plusIvEENS9_8equal_toIvEEiEE10hipError_tPvRmT2_T3_T4_T5_mT6_T7_P12ihipStream_tbENKUlT_T0_E_clISt17integral_constantIbLb1EESW_EEDaSR_SS_EUlSR_E_NS1_11comp_targetILNS1_3genE10ELNS1_11target_archE1200ELNS1_3gpuE4ELNS1_3repE0EEENS1_30default_config_static_selectorELNS0_4arch9wavefront6targetE0EEEvT1_,"axG",@progbits,_ZN7rocprim17ROCPRIM_400000_NS6detail17trampoline_kernelINS0_14default_configENS1_27scan_by_key_config_selectorIiiEEZZNS1_16scan_by_key_implILNS1_25lookback_scan_determinismE0ELb1ES3_N6thrust23THRUST_200600_302600_NS10device_ptrIiEESB_SB_iNS9_4plusIvEENS9_8equal_toIvEEiEE10hipError_tPvRmT2_T3_T4_T5_mT6_T7_P12ihipStream_tbENKUlT_T0_E_clISt17integral_constantIbLb1EESW_EEDaSR_SS_EUlSR_E_NS1_11comp_targetILNS1_3genE10ELNS1_11target_archE1200ELNS1_3gpuE4ELNS1_3repE0EEENS1_30default_config_static_selectorELNS0_4arch9wavefront6targetE0EEEvT1_,comdat
.Lfunc_end2248:
	.size	_ZN7rocprim17ROCPRIM_400000_NS6detail17trampoline_kernelINS0_14default_configENS1_27scan_by_key_config_selectorIiiEEZZNS1_16scan_by_key_implILNS1_25lookback_scan_determinismE0ELb1ES3_N6thrust23THRUST_200600_302600_NS10device_ptrIiEESB_SB_iNS9_4plusIvEENS9_8equal_toIvEEiEE10hipError_tPvRmT2_T3_T4_T5_mT6_T7_P12ihipStream_tbENKUlT_T0_E_clISt17integral_constantIbLb1EESW_EEDaSR_SS_EUlSR_E_NS1_11comp_targetILNS1_3genE10ELNS1_11target_archE1200ELNS1_3gpuE4ELNS1_3repE0EEENS1_30default_config_static_selectorELNS0_4arch9wavefront6targetE0EEEvT1_, .Lfunc_end2248-_ZN7rocprim17ROCPRIM_400000_NS6detail17trampoline_kernelINS0_14default_configENS1_27scan_by_key_config_selectorIiiEEZZNS1_16scan_by_key_implILNS1_25lookback_scan_determinismE0ELb1ES3_N6thrust23THRUST_200600_302600_NS10device_ptrIiEESB_SB_iNS9_4plusIvEENS9_8equal_toIvEEiEE10hipError_tPvRmT2_T3_T4_T5_mT6_T7_P12ihipStream_tbENKUlT_T0_E_clISt17integral_constantIbLb1EESW_EEDaSR_SS_EUlSR_E_NS1_11comp_targetILNS1_3genE10ELNS1_11target_archE1200ELNS1_3gpuE4ELNS1_3repE0EEENS1_30default_config_static_selectorELNS0_4arch9wavefront6targetE0EEEvT1_
                                        ; -- End function
	.set _ZN7rocprim17ROCPRIM_400000_NS6detail17trampoline_kernelINS0_14default_configENS1_27scan_by_key_config_selectorIiiEEZZNS1_16scan_by_key_implILNS1_25lookback_scan_determinismE0ELb1ES3_N6thrust23THRUST_200600_302600_NS10device_ptrIiEESB_SB_iNS9_4plusIvEENS9_8equal_toIvEEiEE10hipError_tPvRmT2_T3_T4_T5_mT6_T7_P12ihipStream_tbENKUlT_T0_E_clISt17integral_constantIbLb1EESW_EEDaSR_SS_EUlSR_E_NS1_11comp_targetILNS1_3genE10ELNS1_11target_archE1200ELNS1_3gpuE4ELNS1_3repE0EEENS1_30default_config_static_selectorELNS0_4arch9wavefront6targetE0EEEvT1_.num_vgpr, 0
	.set _ZN7rocprim17ROCPRIM_400000_NS6detail17trampoline_kernelINS0_14default_configENS1_27scan_by_key_config_selectorIiiEEZZNS1_16scan_by_key_implILNS1_25lookback_scan_determinismE0ELb1ES3_N6thrust23THRUST_200600_302600_NS10device_ptrIiEESB_SB_iNS9_4plusIvEENS9_8equal_toIvEEiEE10hipError_tPvRmT2_T3_T4_T5_mT6_T7_P12ihipStream_tbENKUlT_T0_E_clISt17integral_constantIbLb1EESW_EEDaSR_SS_EUlSR_E_NS1_11comp_targetILNS1_3genE10ELNS1_11target_archE1200ELNS1_3gpuE4ELNS1_3repE0EEENS1_30default_config_static_selectorELNS0_4arch9wavefront6targetE0EEEvT1_.num_agpr, 0
	.set _ZN7rocprim17ROCPRIM_400000_NS6detail17trampoline_kernelINS0_14default_configENS1_27scan_by_key_config_selectorIiiEEZZNS1_16scan_by_key_implILNS1_25lookback_scan_determinismE0ELb1ES3_N6thrust23THRUST_200600_302600_NS10device_ptrIiEESB_SB_iNS9_4plusIvEENS9_8equal_toIvEEiEE10hipError_tPvRmT2_T3_T4_T5_mT6_T7_P12ihipStream_tbENKUlT_T0_E_clISt17integral_constantIbLb1EESW_EEDaSR_SS_EUlSR_E_NS1_11comp_targetILNS1_3genE10ELNS1_11target_archE1200ELNS1_3gpuE4ELNS1_3repE0EEENS1_30default_config_static_selectorELNS0_4arch9wavefront6targetE0EEEvT1_.numbered_sgpr, 0
	.set _ZN7rocprim17ROCPRIM_400000_NS6detail17trampoline_kernelINS0_14default_configENS1_27scan_by_key_config_selectorIiiEEZZNS1_16scan_by_key_implILNS1_25lookback_scan_determinismE0ELb1ES3_N6thrust23THRUST_200600_302600_NS10device_ptrIiEESB_SB_iNS9_4plusIvEENS9_8equal_toIvEEiEE10hipError_tPvRmT2_T3_T4_T5_mT6_T7_P12ihipStream_tbENKUlT_T0_E_clISt17integral_constantIbLb1EESW_EEDaSR_SS_EUlSR_E_NS1_11comp_targetILNS1_3genE10ELNS1_11target_archE1200ELNS1_3gpuE4ELNS1_3repE0EEENS1_30default_config_static_selectorELNS0_4arch9wavefront6targetE0EEEvT1_.num_named_barrier, 0
	.set _ZN7rocprim17ROCPRIM_400000_NS6detail17trampoline_kernelINS0_14default_configENS1_27scan_by_key_config_selectorIiiEEZZNS1_16scan_by_key_implILNS1_25lookback_scan_determinismE0ELb1ES3_N6thrust23THRUST_200600_302600_NS10device_ptrIiEESB_SB_iNS9_4plusIvEENS9_8equal_toIvEEiEE10hipError_tPvRmT2_T3_T4_T5_mT6_T7_P12ihipStream_tbENKUlT_T0_E_clISt17integral_constantIbLb1EESW_EEDaSR_SS_EUlSR_E_NS1_11comp_targetILNS1_3genE10ELNS1_11target_archE1200ELNS1_3gpuE4ELNS1_3repE0EEENS1_30default_config_static_selectorELNS0_4arch9wavefront6targetE0EEEvT1_.private_seg_size, 0
	.set _ZN7rocprim17ROCPRIM_400000_NS6detail17trampoline_kernelINS0_14default_configENS1_27scan_by_key_config_selectorIiiEEZZNS1_16scan_by_key_implILNS1_25lookback_scan_determinismE0ELb1ES3_N6thrust23THRUST_200600_302600_NS10device_ptrIiEESB_SB_iNS9_4plusIvEENS9_8equal_toIvEEiEE10hipError_tPvRmT2_T3_T4_T5_mT6_T7_P12ihipStream_tbENKUlT_T0_E_clISt17integral_constantIbLb1EESW_EEDaSR_SS_EUlSR_E_NS1_11comp_targetILNS1_3genE10ELNS1_11target_archE1200ELNS1_3gpuE4ELNS1_3repE0EEENS1_30default_config_static_selectorELNS0_4arch9wavefront6targetE0EEEvT1_.uses_vcc, 0
	.set _ZN7rocprim17ROCPRIM_400000_NS6detail17trampoline_kernelINS0_14default_configENS1_27scan_by_key_config_selectorIiiEEZZNS1_16scan_by_key_implILNS1_25lookback_scan_determinismE0ELb1ES3_N6thrust23THRUST_200600_302600_NS10device_ptrIiEESB_SB_iNS9_4plusIvEENS9_8equal_toIvEEiEE10hipError_tPvRmT2_T3_T4_T5_mT6_T7_P12ihipStream_tbENKUlT_T0_E_clISt17integral_constantIbLb1EESW_EEDaSR_SS_EUlSR_E_NS1_11comp_targetILNS1_3genE10ELNS1_11target_archE1200ELNS1_3gpuE4ELNS1_3repE0EEENS1_30default_config_static_selectorELNS0_4arch9wavefront6targetE0EEEvT1_.uses_flat_scratch, 0
	.set _ZN7rocprim17ROCPRIM_400000_NS6detail17trampoline_kernelINS0_14default_configENS1_27scan_by_key_config_selectorIiiEEZZNS1_16scan_by_key_implILNS1_25lookback_scan_determinismE0ELb1ES3_N6thrust23THRUST_200600_302600_NS10device_ptrIiEESB_SB_iNS9_4plusIvEENS9_8equal_toIvEEiEE10hipError_tPvRmT2_T3_T4_T5_mT6_T7_P12ihipStream_tbENKUlT_T0_E_clISt17integral_constantIbLb1EESW_EEDaSR_SS_EUlSR_E_NS1_11comp_targetILNS1_3genE10ELNS1_11target_archE1200ELNS1_3gpuE4ELNS1_3repE0EEENS1_30default_config_static_selectorELNS0_4arch9wavefront6targetE0EEEvT1_.has_dyn_sized_stack, 0
	.set _ZN7rocprim17ROCPRIM_400000_NS6detail17trampoline_kernelINS0_14default_configENS1_27scan_by_key_config_selectorIiiEEZZNS1_16scan_by_key_implILNS1_25lookback_scan_determinismE0ELb1ES3_N6thrust23THRUST_200600_302600_NS10device_ptrIiEESB_SB_iNS9_4plusIvEENS9_8equal_toIvEEiEE10hipError_tPvRmT2_T3_T4_T5_mT6_T7_P12ihipStream_tbENKUlT_T0_E_clISt17integral_constantIbLb1EESW_EEDaSR_SS_EUlSR_E_NS1_11comp_targetILNS1_3genE10ELNS1_11target_archE1200ELNS1_3gpuE4ELNS1_3repE0EEENS1_30default_config_static_selectorELNS0_4arch9wavefront6targetE0EEEvT1_.has_recursion, 0
	.set _ZN7rocprim17ROCPRIM_400000_NS6detail17trampoline_kernelINS0_14default_configENS1_27scan_by_key_config_selectorIiiEEZZNS1_16scan_by_key_implILNS1_25lookback_scan_determinismE0ELb1ES3_N6thrust23THRUST_200600_302600_NS10device_ptrIiEESB_SB_iNS9_4plusIvEENS9_8equal_toIvEEiEE10hipError_tPvRmT2_T3_T4_T5_mT6_T7_P12ihipStream_tbENKUlT_T0_E_clISt17integral_constantIbLb1EESW_EEDaSR_SS_EUlSR_E_NS1_11comp_targetILNS1_3genE10ELNS1_11target_archE1200ELNS1_3gpuE4ELNS1_3repE0EEENS1_30default_config_static_selectorELNS0_4arch9wavefront6targetE0EEEvT1_.has_indirect_call, 0
	.section	.AMDGPU.csdata,"",@progbits
; Kernel info:
; codeLenInByte = 0
; TotalNumSgprs: 0
; NumVgprs: 0
; ScratchSize: 0
; MemoryBound: 0
; FloatMode: 240
; IeeeMode: 1
; LDSByteSize: 0 bytes/workgroup (compile time only)
; SGPRBlocks: 0
; VGPRBlocks: 0
; NumSGPRsForWavesPerEU: 1
; NumVGPRsForWavesPerEU: 1
; Occupancy: 16
; WaveLimiterHint : 0
; COMPUTE_PGM_RSRC2:SCRATCH_EN: 0
; COMPUTE_PGM_RSRC2:USER_SGPR: 6
; COMPUTE_PGM_RSRC2:TRAP_HANDLER: 0
; COMPUTE_PGM_RSRC2:TGID_X_EN: 1
; COMPUTE_PGM_RSRC2:TGID_Y_EN: 0
; COMPUTE_PGM_RSRC2:TGID_Z_EN: 0
; COMPUTE_PGM_RSRC2:TIDIG_COMP_CNT: 0
	.section	.text._ZN7rocprim17ROCPRIM_400000_NS6detail17trampoline_kernelINS0_14default_configENS1_27scan_by_key_config_selectorIiiEEZZNS1_16scan_by_key_implILNS1_25lookback_scan_determinismE0ELb1ES3_N6thrust23THRUST_200600_302600_NS10device_ptrIiEESB_SB_iNS9_4plusIvEENS9_8equal_toIvEEiEE10hipError_tPvRmT2_T3_T4_T5_mT6_T7_P12ihipStream_tbENKUlT_T0_E_clISt17integral_constantIbLb1EESW_EEDaSR_SS_EUlSR_E_NS1_11comp_targetILNS1_3genE9ELNS1_11target_archE1100ELNS1_3gpuE3ELNS1_3repE0EEENS1_30default_config_static_selectorELNS0_4arch9wavefront6targetE0EEEvT1_,"axG",@progbits,_ZN7rocprim17ROCPRIM_400000_NS6detail17trampoline_kernelINS0_14default_configENS1_27scan_by_key_config_selectorIiiEEZZNS1_16scan_by_key_implILNS1_25lookback_scan_determinismE0ELb1ES3_N6thrust23THRUST_200600_302600_NS10device_ptrIiEESB_SB_iNS9_4plusIvEENS9_8equal_toIvEEiEE10hipError_tPvRmT2_T3_T4_T5_mT6_T7_P12ihipStream_tbENKUlT_T0_E_clISt17integral_constantIbLb1EESW_EEDaSR_SS_EUlSR_E_NS1_11comp_targetILNS1_3genE9ELNS1_11target_archE1100ELNS1_3gpuE3ELNS1_3repE0EEENS1_30default_config_static_selectorELNS0_4arch9wavefront6targetE0EEEvT1_,comdat
	.protected	_ZN7rocprim17ROCPRIM_400000_NS6detail17trampoline_kernelINS0_14default_configENS1_27scan_by_key_config_selectorIiiEEZZNS1_16scan_by_key_implILNS1_25lookback_scan_determinismE0ELb1ES3_N6thrust23THRUST_200600_302600_NS10device_ptrIiEESB_SB_iNS9_4plusIvEENS9_8equal_toIvEEiEE10hipError_tPvRmT2_T3_T4_T5_mT6_T7_P12ihipStream_tbENKUlT_T0_E_clISt17integral_constantIbLb1EESW_EEDaSR_SS_EUlSR_E_NS1_11comp_targetILNS1_3genE9ELNS1_11target_archE1100ELNS1_3gpuE3ELNS1_3repE0EEENS1_30default_config_static_selectorELNS0_4arch9wavefront6targetE0EEEvT1_ ; -- Begin function _ZN7rocprim17ROCPRIM_400000_NS6detail17trampoline_kernelINS0_14default_configENS1_27scan_by_key_config_selectorIiiEEZZNS1_16scan_by_key_implILNS1_25lookback_scan_determinismE0ELb1ES3_N6thrust23THRUST_200600_302600_NS10device_ptrIiEESB_SB_iNS9_4plusIvEENS9_8equal_toIvEEiEE10hipError_tPvRmT2_T3_T4_T5_mT6_T7_P12ihipStream_tbENKUlT_T0_E_clISt17integral_constantIbLb1EESW_EEDaSR_SS_EUlSR_E_NS1_11comp_targetILNS1_3genE9ELNS1_11target_archE1100ELNS1_3gpuE3ELNS1_3repE0EEENS1_30default_config_static_selectorELNS0_4arch9wavefront6targetE0EEEvT1_
	.globl	_ZN7rocprim17ROCPRIM_400000_NS6detail17trampoline_kernelINS0_14default_configENS1_27scan_by_key_config_selectorIiiEEZZNS1_16scan_by_key_implILNS1_25lookback_scan_determinismE0ELb1ES3_N6thrust23THRUST_200600_302600_NS10device_ptrIiEESB_SB_iNS9_4plusIvEENS9_8equal_toIvEEiEE10hipError_tPvRmT2_T3_T4_T5_mT6_T7_P12ihipStream_tbENKUlT_T0_E_clISt17integral_constantIbLb1EESW_EEDaSR_SS_EUlSR_E_NS1_11comp_targetILNS1_3genE9ELNS1_11target_archE1100ELNS1_3gpuE3ELNS1_3repE0EEENS1_30default_config_static_selectorELNS0_4arch9wavefront6targetE0EEEvT1_
	.p2align	8
	.type	_ZN7rocprim17ROCPRIM_400000_NS6detail17trampoline_kernelINS0_14default_configENS1_27scan_by_key_config_selectorIiiEEZZNS1_16scan_by_key_implILNS1_25lookback_scan_determinismE0ELb1ES3_N6thrust23THRUST_200600_302600_NS10device_ptrIiEESB_SB_iNS9_4plusIvEENS9_8equal_toIvEEiEE10hipError_tPvRmT2_T3_T4_T5_mT6_T7_P12ihipStream_tbENKUlT_T0_E_clISt17integral_constantIbLb1EESW_EEDaSR_SS_EUlSR_E_NS1_11comp_targetILNS1_3genE9ELNS1_11target_archE1100ELNS1_3gpuE3ELNS1_3repE0EEENS1_30default_config_static_selectorELNS0_4arch9wavefront6targetE0EEEvT1_,@function
_ZN7rocprim17ROCPRIM_400000_NS6detail17trampoline_kernelINS0_14default_configENS1_27scan_by_key_config_selectorIiiEEZZNS1_16scan_by_key_implILNS1_25lookback_scan_determinismE0ELb1ES3_N6thrust23THRUST_200600_302600_NS10device_ptrIiEESB_SB_iNS9_4plusIvEENS9_8equal_toIvEEiEE10hipError_tPvRmT2_T3_T4_T5_mT6_T7_P12ihipStream_tbENKUlT_T0_E_clISt17integral_constantIbLb1EESW_EEDaSR_SS_EUlSR_E_NS1_11comp_targetILNS1_3genE9ELNS1_11target_archE1100ELNS1_3gpuE3ELNS1_3repE0EEENS1_30default_config_static_selectorELNS0_4arch9wavefront6targetE0EEEvT1_: ; @_ZN7rocprim17ROCPRIM_400000_NS6detail17trampoline_kernelINS0_14default_configENS1_27scan_by_key_config_selectorIiiEEZZNS1_16scan_by_key_implILNS1_25lookback_scan_determinismE0ELb1ES3_N6thrust23THRUST_200600_302600_NS10device_ptrIiEESB_SB_iNS9_4plusIvEENS9_8equal_toIvEEiEE10hipError_tPvRmT2_T3_T4_T5_mT6_T7_P12ihipStream_tbENKUlT_T0_E_clISt17integral_constantIbLb1EESW_EEDaSR_SS_EUlSR_E_NS1_11comp_targetILNS1_3genE9ELNS1_11target_archE1100ELNS1_3gpuE3ELNS1_3repE0EEENS1_30default_config_static_selectorELNS0_4arch9wavefront6targetE0EEEvT1_
; %bb.0:
	.section	.rodata,"a",@progbits
	.p2align	6, 0x0
	.amdhsa_kernel _ZN7rocprim17ROCPRIM_400000_NS6detail17trampoline_kernelINS0_14default_configENS1_27scan_by_key_config_selectorIiiEEZZNS1_16scan_by_key_implILNS1_25lookback_scan_determinismE0ELb1ES3_N6thrust23THRUST_200600_302600_NS10device_ptrIiEESB_SB_iNS9_4plusIvEENS9_8equal_toIvEEiEE10hipError_tPvRmT2_T3_T4_T5_mT6_T7_P12ihipStream_tbENKUlT_T0_E_clISt17integral_constantIbLb1EESW_EEDaSR_SS_EUlSR_E_NS1_11comp_targetILNS1_3genE9ELNS1_11target_archE1100ELNS1_3gpuE3ELNS1_3repE0EEENS1_30default_config_static_selectorELNS0_4arch9wavefront6targetE0EEEvT1_
		.amdhsa_group_segment_fixed_size 0
		.amdhsa_private_segment_fixed_size 0
		.amdhsa_kernarg_size 112
		.amdhsa_user_sgpr_count 6
		.amdhsa_user_sgpr_private_segment_buffer 1
		.amdhsa_user_sgpr_dispatch_ptr 0
		.amdhsa_user_sgpr_queue_ptr 0
		.amdhsa_user_sgpr_kernarg_segment_ptr 1
		.amdhsa_user_sgpr_dispatch_id 0
		.amdhsa_user_sgpr_flat_scratch_init 0
		.amdhsa_user_sgpr_private_segment_size 0
		.amdhsa_wavefront_size32 1
		.amdhsa_uses_dynamic_stack 0
		.amdhsa_system_sgpr_private_segment_wavefront_offset 0
		.amdhsa_system_sgpr_workgroup_id_x 1
		.amdhsa_system_sgpr_workgroup_id_y 0
		.amdhsa_system_sgpr_workgroup_id_z 0
		.amdhsa_system_sgpr_workgroup_info 0
		.amdhsa_system_vgpr_workitem_id 0
		.amdhsa_next_free_vgpr 1
		.amdhsa_next_free_sgpr 1
		.amdhsa_reserve_vcc 0
		.amdhsa_reserve_flat_scratch 0
		.amdhsa_float_round_mode_32 0
		.amdhsa_float_round_mode_16_64 0
		.amdhsa_float_denorm_mode_32 3
		.amdhsa_float_denorm_mode_16_64 3
		.amdhsa_dx10_clamp 1
		.amdhsa_ieee_mode 1
		.amdhsa_fp16_overflow 0
		.amdhsa_workgroup_processor_mode 1
		.amdhsa_memory_ordered 1
		.amdhsa_forward_progress 1
		.amdhsa_shared_vgpr_count 0
		.amdhsa_exception_fp_ieee_invalid_op 0
		.amdhsa_exception_fp_denorm_src 0
		.amdhsa_exception_fp_ieee_div_zero 0
		.amdhsa_exception_fp_ieee_overflow 0
		.amdhsa_exception_fp_ieee_underflow 0
		.amdhsa_exception_fp_ieee_inexact 0
		.amdhsa_exception_int_div_zero 0
	.end_amdhsa_kernel
	.section	.text._ZN7rocprim17ROCPRIM_400000_NS6detail17trampoline_kernelINS0_14default_configENS1_27scan_by_key_config_selectorIiiEEZZNS1_16scan_by_key_implILNS1_25lookback_scan_determinismE0ELb1ES3_N6thrust23THRUST_200600_302600_NS10device_ptrIiEESB_SB_iNS9_4plusIvEENS9_8equal_toIvEEiEE10hipError_tPvRmT2_T3_T4_T5_mT6_T7_P12ihipStream_tbENKUlT_T0_E_clISt17integral_constantIbLb1EESW_EEDaSR_SS_EUlSR_E_NS1_11comp_targetILNS1_3genE9ELNS1_11target_archE1100ELNS1_3gpuE3ELNS1_3repE0EEENS1_30default_config_static_selectorELNS0_4arch9wavefront6targetE0EEEvT1_,"axG",@progbits,_ZN7rocprim17ROCPRIM_400000_NS6detail17trampoline_kernelINS0_14default_configENS1_27scan_by_key_config_selectorIiiEEZZNS1_16scan_by_key_implILNS1_25lookback_scan_determinismE0ELb1ES3_N6thrust23THRUST_200600_302600_NS10device_ptrIiEESB_SB_iNS9_4plusIvEENS9_8equal_toIvEEiEE10hipError_tPvRmT2_T3_T4_T5_mT6_T7_P12ihipStream_tbENKUlT_T0_E_clISt17integral_constantIbLb1EESW_EEDaSR_SS_EUlSR_E_NS1_11comp_targetILNS1_3genE9ELNS1_11target_archE1100ELNS1_3gpuE3ELNS1_3repE0EEENS1_30default_config_static_selectorELNS0_4arch9wavefront6targetE0EEEvT1_,comdat
.Lfunc_end2249:
	.size	_ZN7rocprim17ROCPRIM_400000_NS6detail17trampoline_kernelINS0_14default_configENS1_27scan_by_key_config_selectorIiiEEZZNS1_16scan_by_key_implILNS1_25lookback_scan_determinismE0ELb1ES3_N6thrust23THRUST_200600_302600_NS10device_ptrIiEESB_SB_iNS9_4plusIvEENS9_8equal_toIvEEiEE10hipError_tPvRmT2_T3_T4_T5_mT6_T7_P12ihipStream_tbENKUlT_T0_E_clISt17integral_constantIbLb1EESW_EEDaSR_SS_EUlSR_E_NS1_11comp_targetILNS1_3genE9ELNS1_11target_archE1100ELNS1_3gpuE3ELNS1_3repE0EEENS1_30default_config_static_selectorELNS0_4arch9wavefront6targetE0EEEvT1_, .Lfunc_end2249-_ZN7rocprim17ROCPRIM_400000_NS6detail17trampoline_kernelINS0_14default_configENS1_27scan_by_key_config_selectorIiiEEZZNS1_16scan_by_key_implILNS1_25lookback_scan_determinismE0ELb1ES3_N6thrust23THRUST_200600_302600_NS10device_ptrIiEESB_SB_iNS9_4plusIvEENS9_8equal_toIvEEiEE10hipError_tPvRmT2_T3_T4_T5_mT6_T7_P12ihipStream_tbENKUlT_T0_E_clISt17integral_constantIbLb1EESW_EEDaSR_SS_EUlSR_E_NS1_11comp_targetILNS1_3genE9ELNS1_11target_archE1100ELNS1_3gpuE3ELNS1_3repE0EEENS1_30default_config_static_selectorELNS0_4arch9wavefront6targetE0EEEvT1_
                                        ; -- End function
	.set _ZN7rocprim17ROCPRIM_400000_NS6detail17trampoline_kernelINS0_14default_configENS1_27scan_by_key_config_selectorIiiEEZZNS1_16scan_by_key_implILNS1_25lookback_scan_determinismE0ELb1ES3_N6thrust23THRUST_200600_302600_NS10device_ptrIiEESB_SB_iNS9_4plusIvEENS9_8equal_toIvEEiEE10hipError_tPvRmT2_T3_T4_T5_mT6_T7_P12ihipStream_tbENKUlT_T0_E_clISt17integral_constantIbLb1EESW_EEDaSR_SS_EUlSR_E_NS1_11comp_targetILNS1_3genE9ELNS1_11target_archE1100ELNS1_3gpuE3ELNS1_3repE0EEENS1_30default_config_static_selectorELNS0_4arch9wavefront6targetE0EEEvT1_.num_vgpr, 0
	.set _ZN7rocprim17ROCPRIM_400000_NS6detail17trampoline_kernelINS0_14default_configENS1_27scan_by_key_config_selectorIiiEEZZNS1_16scan_by_key_implILNS1_25lookback_scan_determinismE0ELb1ES3_N6thrust23THRUST_200600_302600_NS10device_ptrIiEESB_SB_iNS9_4plusIvEENS9_8equal_toIvEEiEE10hipError_tPvRmT2_T3_T4_T5_mT6_T7_P12ihipStream_tbENKUlT_T0_E_clISt17integral_constantIbLb1EESW_EEDaSR_SS_EUlSR_E_NS1_11comp_targetILNS1_3genE9ELNS1_11target_archE1100ELNS1_3gpuE3ELNS1_3repE0EEENS1_30default_config_static_selectorELNS0_4arch9wavefront6targetE0EEEvT1_.num_agpr, 0
	.set _ZN7rocprim17ROCPRIM_400000_NS6detail17trampoline_kernelINS0_14default_configENS1_27scan_by_key_config_selectorIiiEEZZNS1_16scan_by_key_implILNS1_25lookback_scan_determinismE0ELb1ES3_N6thrust23THRUST_200600_302600_NS10device_ptrIiEESB_SB_iNS9_4plusIvEENS9_8equal_toIvEEiEE10hipError_tPvRmT2_T3_T4_T5_mT6_T7_P12ihipStream_tbENKUlT_T0_E_clISt17integral_constantIbLb1EESW_EEDaSR_SS_EUlSR_E_NS1_11comp_targetILNS1_3genE9ELNS1_11target_archE1100ELNS1_3gpuE3ELNS1_3repE0EEENS1_30default_config_static_selectorELNS0_4arch9wavefront6targetE0EEEvT1_.numbered_sgpr, 0
	.set _ZN7rocprim17ROCPRIM_400000_NS6detail17trampoline_kernelINS0_14default_configENS1_27scan_by_key_config_selectorIiiEEZZNS1_16scan_by_key_implILNS1_25lookback_scan_determinismE0ELb1ES3_N6thrust23THRUST_200600_302600_NS10device_ptrIiEESB_SB_iNS9_4plusIvEENS9_8equal_toIvEEiEE10hipError_tPvRmT2_T3_T4_T5_mT6_T7_P12ihipStream_tbENKUlT_T0_E_clISt17integral_constantIbLb1EESW_EEDaSR_SS_EUlSR_E_NS1_11comp_targetILNS1_3genE9ELNS1_11target_archE1100ELNS1_3gpuE3ELNS1_3repE0EEENS1_30default_config_static_selectorELNS0_4arch9wavefront6targetE0EEEvT1_.num_named_barrier, 0
	.set _ZN7rocprim17ROCPRIM_400000_NS6detail17trampoline_kernelINS0_14default_configENS1_27scan_by_key_config_selectorIiiEEZZNS1_16scan_by_key_implILNS1_25lookback_scan_determinismE0ELb1ES3_N6thrust23THRUST_200600_302600_NS10device_ptrIiEESB_SB_iNS9_4plusIvEENS9_8equal_toIvEEiEE10hipError_tPvRmT2_T3_T4_T5_mT6_T7_P12ihipStream_tbENKUlT_T0_E_clISt17integral_constantIbLb1EESW_EEDaSR_SS_EUlSR_E_NS1_11comp_targetILNS1_3genE9ELNS1_11target_archE1100ELNS1_3gpuE3ELNS1_3repE0EEENS1_30default_config_static_selectorELNS0_4arch9wavefront6targetE0EEEvT1_.private_seg_size, 0
	.set _ZN7rocprim17ROCPRIM_400000_NS6detail17trampoline_kernelINS0_14default_configENS1_27scan_by_key_config_selectorIiiEEZZNS1_16scan_by_key_implILNS1_25lookback_scan_determinismE0ELb1ES3_N6thrust23THRUST_200600_302600_NS10device_ptrIiEESB_SB_iNS9_4plusIvEENS9_8equal_toIvEEiEE10hipError_tPvRmT2_T3_T4_T5_mT6_T7_P12ihipStream_tbENKUlT_T0_E_clISt17integral_constantIbLb1EESW_EEDaSR_SS_EUlSR_E_NS1_11comp_targetILNS1_3genE9ELNS1_11target_archE1100ELNS1_3gpuE3ELNS1_3repE0EEENS1_30default_config_static_selectorELNS0_4arch9wavefront6targetE0EEEvT1_.uses_vcc, 0
	.set _ZN7rocprim17ROCPRIM_400000_NS6detail17trampoline_kernelINS0_14default_configENS1_27scan_by_key_config_selectorIiiEEZZNS1_16scan_by_key_implILNS1_25lookback_scan_determinismE0ELb1ES3_N6thrust23THRUST_200600_302600_NS10device_ptrIiEESB_SB_iNS9_4plusIvEENS9_8equal_toIvEEiEE10hipError_tPvRmT2_T3_T4_T5_mT6_T7_P12ihipStream_tbENKUlT_T0_E_clISt17integral_constantIbLb1EESW_EEDaSR_SS_EUlSR_E_NS1_11comp_targetILNS1_3genE9ELNS1_11target_archE1100ELNS1_3gpuE3ELNS1_3repE0EEENS1_30default_config_static_selectorELNS0_4arch9wavefront6targetE0EEEvT1_.uses_flat_scratch, 0
	.set _ZN7rocprim17ROCPRIM_400000_NS6detail17trampoline_kernelINS0_14default_configENS1_27scan_by_key_config_selectorIiiEEZZNS1_16scan_by_key_implILNS1_25lookback_scan_determinismE0ELb1ES3_N6thrust23THRUST_200600_302600_NS10device_ptrIiEESB_SB_iNS9_4plusIvEENS9_8equal_toIvEEiEE10hipError_tPvRmT2_T3_T4_T5_mT6_T7_P12ihipStream_tbENKUlT_T0_E_clISt17integral_constantIbLb1EESW_EEDaSR_SS_EUlSR_E_NS1_11comp_targetILNS1_3genE9ELNS1_11target_archE1100ELNS1_3gpuE3ELNS1_3repE0EEENS1_30default_config_static_selectorELNS0_4arch9wavefront6targetE0EEEvT1_.has_dyn_sized_stack, 0
	.set _ZN7rocprim17ROCPRIM_400000_NS6detail17trampoline_kernelINS0_14default_configENS1_27scan_by_key_config_selectorIiiEEZZNS1_16scan_by_key_implILNS1_25lookback_scan_determinismE0ELb1ES3_N6thrust23THRUST_200600_302600_NS10device_ptrIiEESB_SB_iNS9_4plusIvEENS9_8equal_toIvEEiEE10hipError_tPvRmT2_T3_T4_T5_mT6_T7_P12ihipStream_tbENKUlT_T0_E_clISt17integral_constantIbLb1EESW_EEDaSR_SS_EUlSR_E_NS1_11comp_targetILNS1_3genE9ELNS1_11target_archE1100ELNS1_3gpuE3ELNS1_3repE0EEENS1_30default_config_static_selectorELNS0_4arch9wavefront6targetE0EEEvT1_.has_recursion, 0
	.set _ZN7rocprim17ROCPRIM_400000_NS6detail17trampoline_kernelINS0_14default_configENS1_27scan_by_key_config_selectorIiiEEZZNS1_16scan_by_key_implILNS1_25lookback_scan_determinismE0ELb1ES3_N6thrust23THRUST_200600_302600_NS10device_ptrIiEESB_SB_iNS9_4plusIvEENS9_8equal_toIvEEiEE10hipError_tPvRmT2_T3_T4_T5_mT6_T7_P12ihipStream_tbENKUlT_T0_E_clISt17integral_constantIbLb1EESW_EEDaSR_SS_EUlSR_E_NS1_11comp_targetILNS1_3genE9ELNS1_11target_archE1100ELNS1_3gpuE3ELNS1_3repE0EEENS1_30default_config_static_selectorELNS0_4arch9wavefront6targetE0EEEvT1_.has_indirect_call, 0
	.section	.AMDGPU.csdata,"",@progbits
; Kernel info:
; codeLenInByte = 0
; TotalNumSgprs: 0
; NumVgprs: 0
; ScratchSize: 0
; MemoryBound: 0
; FloatMode: 240
; IeeeMode: 1
; LDSByteSize: 0 bytes/workgroup (compile time only)
; SGPRBlocks: 0
; VGPRBlocks: 0
; NumSGPRsForWavesPerEU: 1
; NumVGPRsForWavesPerEU: 1
; Occupancy: 16
; WaveLimiterHint : 0
; COMPUTE_PGM_RSRC2:SCRATCH_EN: 0
; COMPUTE_PGM_RSRC2:USER_SGPR: 6
; COMPUTE_PGM_RSRC2:TRAP_HANDLER: 0
; COMPUTE_PGM_RSRC2:TGID_X_EN: 1
; COMPUTE_PGM_RSRC2:TGID_Y_EN: 0
; COMPUTE_PGM_RSRC2:TGID_Z_EN: 0
; COMPUTE_PGM_RSRC2:TIDIG_COMP_CNT: 0
	.section	.text._ZN7rocprim17ROCPRIM_400000_NS6detail17trampoline_kernelINS0_14default_configENS1_27scan_by_key_config_selectorIiiEEZZNS1_16scan_by_key_implILNS1_25lookback_scan_determinismE0ELb1ES3_N6thrust23THRUST_200600_302600_NS10device_ptrIiEESB_SB_iNS9_4plusIvEENS9_8equal_toIvEEiEE10hipError_tPvRmT2_T3_T4_T5_mT6_T7_P12ihipStream_tbENKUlT_T0_E_clISt17integral_constantIbLb1EESW_EEDaSR_SS_EUlSR_E_NS1_11comp_targetILNS1_3genE8ELNS1_11target_archE1030ELNS1_3gpuE2ELNS1_3repE0EEENS1_30default_config_static_selectorELNS0_4arch9wavefront6targetE0EEEvT1_,"axG",@progbits,_ZN7rocprim17ROCPRIM_400000_NS6detail17trampoline_kernelINS0_14default_configENS1_27scan_by_key_config_selectorIiiEEZZNS1_16scan_by_key_implILNS1_25lookback_scan_determinismE0ELb1ES3_N6thrust23THRUST_200600_302600_NS10device_ptrIiEESB_SB_iNS9_4plusIvEENS9_8equal_toIvEEiEE10hipError_tPvRmT2_T3_T4_T5_mT6_T7_P12ihipStream_tbENKUlT_T0_E_clISt17integral_constantIbLb1EESW_EEDaSR_SS_EUlSR_E_NS1_11comp_targetILNS1_3genE8ELNS1_11target_archE1030ELNS1_3gpuE2ELNS1_3repE0EEENS1_30default_config_static_selectorELNS0_4arch9wavefront6targetE0EEEvT1_,comdat
	.protected	_ZN7rocprim17ROCPRIM_400000_NS6detail17trampoline_kernelINS0_14default_configENS1_27scan_by_key_config_selectorIiiEEZZNS1_16scan_by_key_implILNS1_25lookback_scan_determinismE0ELb1ES3_N6thrust23THRUST_200600_302600_NS10device_ptrIiEESB_SB_iNS9_4plusIvEENS9_8equal_toIvEEiEE10hipError_tPvRmT2_T3_T4_T5_mT6_T7_P12ihipStream_tbENKUlT_T0_E_clISt17integral_constantIbLb1EESW_EEDaSR_SS_EUlSR_E_NS1_11comp_targetILNS1_3genE8ELNS1_11target_archE1030ELNS1_3gpuE2ELNS1_3repE0EEENS1_30default_config_static_selectorELNS0_4arch9wavefront6targetE0EEEvT1_ ; -- Begin function _ZN7rocprim17ROCPRIM_400000_NS6detail17trampoline_kernelINS0_14default_configENS1_27scan_by_key_config_selectorIiiEEZZNS1_16scan_by_key_implILNS1_25lookback_scan_determinismE0ELb1ES3_N6thrust23THRUST_200600_302600_NS10device_ptrIiEESB_SB_iNS9_4plusIvEENS9_8equal_toIvEEiEE10hipError_tPvRmT2_T3_T4_T5_mT6_T7_P12ihipStream_tbENKUlT_T0_E_clISt17integral_constantIbLb1EESW_EEDaSR_SS_EUlSR_E_NS1_11comp_targetILNS1_3genE8ELNS1_11target_archE1030ELNS1_3gpuE2ELNS1_3repE0EEENS1_30default_config_static_selectorELNS0_4arch9wavefront6targetE0EEEvT1_
	.globl	_ZN7rocprim17ROCPRIM_400000_NS6detail17trampoline_kernelINS0_14default_configENS1_27scan_by_key_config_selectorIiiEEZZNS1_16scan_by_key_implILNS1_25lookback_scan_determinismE0ELb1ES3_N6thrust23THRUST_200600_302600_NS10device_ptrIiEESB_SB_iNS9_4plusIvEENS9_8equal_toIvEEiEE10hipError_tPvRmT2_T3_T4_T5_mT6_T7_P12ihipStream_tbENKUlT_T0_E_clISt17integral_constantIbLb1EESW_EEDaSR_SS_EUlSR_E_NS1_11comp_targetILNS1_3genE8ELNS1_11target_archE1030ELNS1_3gpuE2ELNS1_3repE0EEENS1_30default_config_static_selectorELNS0_4arch9wavefront6targetE0EEEvT1_
	.p2align	8
	.type	_ZN7rocprim17ROCPRIM_400000_NS6detail17trampoline_kernelINS0_14default_configENS1_27scan_by_key_config_selectorIiiEEZZNS1_16scan_by_key_implILNS1_25lookback_scan_determinismE0ELb1ES3_N6thrust23THRUST_200600_302600_NS10device_ptrIiEESB_SB_iNS9_4plusIvEENS9_8equal_toIvEEiEE10hipError_tPvRmT2_T3_T4_T5_mT6_T7_P12ihipStream_tbENKUlT_T0_E_clISt17integral_constantIbLb1EESW_EEDaSR_SS_EUlSR_E_NS1_11comp_targetILNS1_3genE8ELNS1_11target_archE1030ELNS1_3gpuE2ELNS1_3repE0EEENS1_30default_config_static_selectorELNS0_4arch9wavefront6targetE0EEEvT1_,@function
_ZN7rocprim17ROCPRIM_400000_NS6detail17trampoline_kernelINS0_14default_configENS1_27scan_by_key_config_selectorIiiEEZZNS1_16scan_by_key_implILNS1_25lookback_scan_determinismE0ELb1ES3_N6thrust23THRUST_200600_302600_NS10device_ptrIiEESB_SB_iNS9_4plusIvEENS9_8equal_toIvEEiEE10hipError_tPvRmT2_T3_T4_T5_mT6_T7_P12ihipStream_tbENKUlT_T0_E_clISt17integral_constantIbLb1EESW_EEDaSR_SS_EUlSR_E_NS1_11comp_targetILNS1_3genE8ELNS1_11target_archE1030ELNS1_3gpuE2ELNS1_3repE0EEENS1_30default_config_static_selectorELNS0_4arch9wavefront6targetE0EEEvT1_: ; @_ZN7rocprim17ROCPRIM_400000_NS6detail17trampoline_kernelINS0_14default_configENS1_27scan_by_key_config_selectorIiiEEZZNS1_16scan_by_key_implILNS1_25lookback_scan_determinismE0ELb1ES3_N6thrust23THRUST_200600_302600_NS10device_ptrIiEESB_SB_iNS9_4plusIvEENS9_8equal_toIvEEiEE10hipError_tPvRmT2_T3_T4_T5_mT6_T7_P12ihipStream_tbENKUlT_T0_E_clISt17integral_constantIbLb1EESW_EEDaSR_SS_EUlSR_E_NS1_11comp_targetILNS1_3genE8ELNS1_11target_archE1030ELNS1_3gpuE2ELNS1_3repE0EEENS1_30default_config_static_selectorELNS0_4arch9wavefront6targetE0EEEvT1_
; %bb.0:
	s_endpgm
	.section	.rodata,"a",@progbits
	.p2align	6, 0x0
	.amdhsa_kernel _ZN7rocprim17ROCPRIM_400000_NS6detail17trampoline_kernelINS0_14default_configENS1_27scan_by_key_config_selectorIiiEEZZNS1_16scan_by_key_implILNS1_25lookback_scan_determinismE0ELb1ES3_N6thrust23THRUST_200600_302600_NS10device_ptrIiEESB_SB_iNS9_4plusIvEENS9_8equal_toIvEEiEE10hipError_tPvRmT2_T3_T4_T5_mT6_T7_P12ihipStream_tbENKUlT_T0_E_clISt17integral_constantIbLb1EESW_EEDaSR_SS_EUlSR_E_NS1_11comp_targetILNS1_3genE8ELNS1_11target_archE1030ELNS1_3gpuE2ELNS1_3repE0EEENS1_30default_config_static_selectorELNS0_4arch9wavefront6targetE0EEEvT1_
		.amdhsa_group_segment_fixed_size 0
		.amdhsa_private_segment_fixed_size 0
		.amdhsa_kernarg_size 112
		.amdhsa_user_sgpr_count 6
		.amdhsa_user_sgpr_private_segment_buffer 1
		.amdhsa_user_sgpr_dispatch_ptr 0
		.amdhsa_user_sgpr_queue_ptr 0
		.amdhsa_user_sgpr_kernarg_segment_ptr 1
		.amdhsa_user_sgpr_dispatch_id 0
		.amdhsa_user_sgpr_flat_scratch_init 0
		.amdhsa_user_sgpr_private_segment_size 0
		.amdhsa_wavefront_size32 1
		.amdhsa_uses_dynamic_stack 0
		.amdhsa_system_sgpr_private_segment_wavefront_offset 0
		.amdhsa_system_sgpr_workgroup_id_x 1
		.amdhsa_system_sgpr_workgroup_id_y 0
		.amdhsa_system_sgpr_workgroup_id_z 0
		.amdhsa_system_sgpr_workgroup_info 0
		.amdhsa_system_vgpr_workitem_id 0
		.amdhsa_next_free_vgpr 1
		.amdhsa_next_free_sgpr 1
		.amdhsa_reserve_vcc 0
		.amdhsa_reserve_flat_scratch 0
		.amdhsa_float_round_mode_32 0
		.amdhsa_float_round_mode_16_64 0
		.amdhsa_float_denorm_mode_32 3
		.amdhsa_float_denorm_mode_16_64 3
		.amdhsa_dx10_clamp 1
		.amdhsa_ieee_mode 1
		.amdhsa_fp16_overflow 0
		.amdhsa_workgroup_processor_mode 1
		.amdhsa_memory_ordered 1
		.amdhsa_forward_progress 1
		.amdhsa_shared_vgpr_count 0
		.amdhsa_exception_fp_ieee_invalid_op 0
		.amdhsa_exception_fp_denorm_src 0
		.amdhsa_exception_fp_ieee_div_zero 0
		.amdhsa_exception_fp_ieee_overflow 0
		.amdhsa_exception_fp_ieee_underflow 0
		.amdhsa_exception_fp_ieee_inexact 0
		.amdhsa_exception_int_div_zero 0
	.end_amdhsa_kernel
	.section	.text._ZN7rocprim17ROCPRIM_400000_NS6detail17trampoline_kernelINS0_14default_configENS1_27scan_by_key_config_selectorIiiEEZZNS1_16scan_by_key_implILNS1_25lookback_scan_determinismE0ELb1ES3_N6thrust23THRUST_200600_302600_NS10device_ptrIiEESB_SB_iNS9_4plusIvEENS9_8equal_toIvEEiEE10hipError_tPvRmT2_T3_T4_T5_mT6_T7_P12ihipStream_tbENKUlT_T0_E_clISt17integral_constantIbLb1EESW_EEDaSR_SS_EUlSR_E_NS1_11comp_targetILNS1_3genE8ELNS1_11target_archE1030ELNS1_3gpuE2ELNS1_3repE0EEENS1_30default_config_static_selectorELNS0_4arch9wavefront6targetE0EEEvT1_,"axG",@progbits,_ZN7rocprim17ROCPRIM_400000_NS6detail17trampoline_kernelINS0_14default_configENS1_27scan_by_key_config_selectorIiiEEZZNS1_16scan_by_key_implILNS1_25lookback_scan_determinismE0ELb1ES3_N6thrust23THRUST_200600_302600_NS10device_ptrIiEESB_SB_iNS9_4plusIvEENS9_8equal_toIvEEiEE10hipError_tPvRmT2_T3_T4_T5_mT6_T7_P12ihipStream_tbENKUlT_T0_E_clISt17integral_constantIbLb1EESW_EEDaSR_SS_EUlSR_E_NS1_11comp_targetILNS1_3genE8ELNS1_11target_archE1030ELNS1_3gpuE2ELNS1_3repE0EEENS1_30default_config_static_selectorELNS0_4arch9wavefront6targetE0EEEvT1_,comdat
.Lfunc_end2250:
	.size	_ZN7rocprim17ROCPRIM_400000_NS6detail17trampoline_kernelINS0_14default_configENS1_27scan_by_key_config_selectorIiiEEZZNS1_16scan_by_key_implILNS1_25lookback_scan_determinismE0ELb1ES3_N6thrust23THRUST_200600_302600_NS10device_ptrIiEESB_SB_iNS9_4plusIvEENS9_8equal_toIvEEiEE10hipError_tPvRmT2_T3_T4_T5_mT6_T7_P12ihipStream_tbENKUlT_T0_E_clISt17integral_constantIbLb1EESW_EEDaSR_SS_EUlSR_E_NS1_11comp_targetILNS1_3genE8ELNS1_11target_archE1030ELNS1_3gpuE2ELNS1_3repE0EEENS1_30default_config_static_selectorELNS0_4arch9wavefront6targetE0EEEvT1_, .Lfunc_end2250-_ZN7rocprim17ROCPRIM_400000_NS6detail17trampoline_kernelINS0_14default_configENS1_27scan_by_key_config_selectorIiiEEZZNS1_16scan_by_key_implILNS1_25lookback_scan_determinismE0ELb1ES3_N6thrust23THRUST_200600_302600_NS10device_ptrIiEESB_SB_iNS9_4plusIvEENS9_8equal_toIvEEiEE10hipError_tPvRmT2_T3_T4_T5_mT6_T7_P12ihipStream_tbENKUlT_T0_E_clISt17integral_constantIbLb1EESW_EEDaSR_SS_EUlSR_E_NS1_11comp_targetILNS1_3genE8ELNS1_11target_archE1030ELNS1_3gpuE2ELNS1_3repE0EEENS1_30default_config_static_selectorELNS0_4arch9wavefront6targetE0EEEvT1_
                                        ; -- End function
	.set _ZN7rocprim17ROCPRIM_400000_NS6detail17trampoline_kernelINS0_14default_configENS1_27scan_by_key_config_selectorIiiEEZZNS1_16scan_by_key_implILNS1_25lookback_scan_determinismE0ELb1ES3_N6thrust23THRUST_200600_302600_NS10device_ptrIiEESB_SB_iNS9_4plusIvEENS9_8equal_toIvEEiEE10hipError_tPvRmT2_T3_T4_T5_mT6_T7_P12ihipStream_tbENKUlT_T0_E_clISt17integral_constantIbLb1EESW_EEDaSR_SS_EUlSR_E_NS1_11comp_targetILNS1_3genE8ELNS1_11target_archE1030ELNS1_3gpuE2ELNS1_3repE0EEENS1_30default_config_static_selectorELNS0_4arch9wavefront6targetE0EEEvT1_.num_vgpr, 0
	.set _ZN7rocprim17ROCPRIM_400000_NS6detail17trampoline_kernelINS0_14default_configENS1_27scan_by_key_config_selectorIiiEEZZNS1_16scan_by_key_implILNS1_25lookback_scan_determinismE0ELb1ES3_N6thrust23THRUST_200600_302600_NS10device_ptrIiEESB_SB_iNS9_4plusIvEENS9_8equal_toIvEEiEE10hipError_tPvRmT2_T3_T4_T5_mT6_T7_P12ihipStream_tbENKUlT_T0_E_clISt17integral_constantIbLb1EESW_EEDaSR_SS_EUlSR_E_NS1_11comp_targetILNS1_3genE8ELNS1_11target_archE1030ELNS1_3gpuE2ELNS1_3repE0EEENS1_30default_config_static_selectorELNS0_4arch9wavefront6targetE0EEEvT1_.num_agpr, 0
	.set _ZN7rocprim17ROCPRIM_400000_NS6detail17trampoline_kernelINS0_14default_configENS1_27scan_by_key_config_selectorIiiEEZZNS1_16scan_by_key_implILNS1_25lookback_scan_determinismE0ELb1ES3_N6thrust23THRUST_200600_302600_NS10device_ptrIiEESB_SB_iNS9_4plusIvEENS9_8equal_toIvEEiEE10hipError_tPvRmT2_T3_T4_T5_mT6_T7_P12ihipStream_tbENKUlT_T0_E_clISt17integral_constantIbLb1EESW_EEDaSR_SS_EUlSR_E_NS1_11comp_targetILNS1_3genE8ELNS1_11target_archE1030ELNS1_3gpuE2ELNS1_3repE0EEENS1_30default_config_static_selectorELNS0_4arch9wavefront6targetE0EEEvT1_.numbered_sgpr, 0
	.set _ZN7rocprim17ROCPRIM_400000_NS6detail17trampoline_kernelINS0_14default_configENS1_27scan_by_key_config_selectorIiiEEZZNS1_16scan_by_key_implILNS1_25lookback_scan_determinismE0ELb1ES3_N6thrust23THRUST_200600_302600_NS10device_ptrIiEESB_SB_iNS9_4plusIvEENS9_8equal_toIvEEiEE10hipError_tPvRmT2_T3_T4_T5_mT6_T7_P12ihipStream_tbENKUlT_T0_E_clISt17integral_constantIbLb1EESW_EEDaSR_SS_EUlSR_E_NS1_11comp_targetILNS1_3genE8ELNS1_11target_archE1030ELNS1_3gpuE2ELNS1_3repE0EEENS1_30default_config_static_selectorELNS0_4arch9wavefront6targetE0EEEvT1_.num_named_barrier, 0
	.set _ZN7rocprim17ROCPRIM_400000_NS6detail17trampoline_kernelINS0_14default_configENS1_27scan_by_key_config_selectorIiiEEZZNS1_16scan_by_key_implILNS1_25lookback_scan_determinismE0ELb1ES3_N6thrust23THRUST_200600_302600_NS10device_ptrIiEESB_SB_iNS9_4plusIvEENS9_8equal_toIvEEiEE10hipError_tPvRmT2_T3_T4_T5_mT6_T7_P12ihipStream_tbENKUlT_T0_E_clISt17integral_constantIbLb1EESW_EEDaSR_SS_EUlSR_E_NS1_11comp_targetILNS1_3genE8ELNS1_11target_archE1030ELNS1_3gpuE2ELNS1_3repE0EEENS1_30default_config_static_selectorELNS0_4arch9wavefront6targetE0EEEvT1_.private_seg_size, 0
	.set _ZN7rocprim17ROCPRIM_400000_NS6detail17trampoline_kernelINS0_14default_configENS1_27scan_by_key_config_selectorIiiEEZZNS1_16scan_by_key_implILNS1_25lookback_scan_determinismE0ELb1ES3_N6thrust23THRUST_200600_302600_NS10device_ptrIiEESB_SB_iNS9_4plusIvEENS9_8equal_toIvEEiEE10hipError_tPvRmT2_T3_T4_T5_mT6_T7_P12ihipStream_tbENKUlT_T0_E_clISt17integral_constantIbLb1EESW_EEDaSR_SS_EUlSR_E_NS1_11comp_targetILNS1_3genE8ELNS1_11target_archE1030ELNS1_3gpuE2ELNS1_3repE0EEENS1_30default_config_static_selectorELNS0_4arch9wavefront6targetE0EEEvT1_.uses_vcc, 0
	.set _ZN7rocprim17ROCPRIM_400000_NS6detail17trampoline_kernelINS0_14default_configENS1_27scan_by_key_config_selectorIiiEEZZNS1_16scan_by_key_implILNS1_25lookback_scan_determinismE0ELb1ES3_N6thrust23THRUST_200600_302600_NS10device_ptrIiEESB_SB_iNS9_4plusIvEENS9_8equal_toIvEEiEE10hipError_tPvRmT2_T3_T4_T5_mT6_T7_P12ihipStream_tbENKUlT_T0_E_clISt17integral_constantIbLb1EESW_EEDaSR_SS_EUlSR_E_NS1_11comp_targetILNS1_3genE8ELNS1_11target_archE1030ELNS1_3gpuE2ELNS1_3repE0EEENS1_30default_config_static_selectorELNS0_4arch9wavefront6targetE0EEEvT1_.uses_flat_scratch, 0
	.set _ZN7rocprim17ROCPRIM_400000_NS6detail17trampoline_kernelINS0_14default_configENS1_27scan_by_key_config_selectorIiiEEZZNS1_16scan_by_key_implILNS1_25lookback_scan_determinismE0ELb1ES3_N6thrust23THRUST_200600_302600_NS10device_ptrIiEESB_SB_iNS9_4plusIvEENS9_8equal_toIvEEiEE10hipError_tPvRmT2_T3_T4_T5_mT6_T7_P12ihipStream_tbENKUlT_T0_E_clISt17integral_constantIbLb1EESW_EEDaSR_SS_EUlSR_E_NS1_11comp_targetILNS1_3genE8ELNS1_11target_archE1030ELNS1_3gpuE2ELNS1_3repE0EEENS1_30default_config_static_selectorELNS0_4arch9wavefront6targetE0EEEvT1_.has_dyn_sized_stack, 0
	.set _ZN7rocprim17ROCPRIM_400000_NS6detail17trampoline_kernelINS0_14default_configENS1_27scan_by_key_config_selectorIiiEEZZNS1_16scan_by_key_implILNS1_25lookback_scan_determinismE0ELb1ES3_N6thrust23THRUST_200600_302600_NS10device_ptrIiEESB_SB_iNS9_4plusIvEENS9_8equal_toIvEEiEE10hipError_tPvRmT2_T3_T4_T5_mT6_T7_P12ihipStream_tbENKUlT_T0_E_clISt17integral_constantIbLb1EESW_EEDaSR_SS_EUlSR_E_NS1_11comp_targetILNS1_3genE8ELNS1_11target_archE1030ELNS1_3gpuE2ELNS1_3repE0EEENS1_30default_config_static_selectorELNS0_4arch9wavefront6targetE0EEEvT1_.has_recursion, 0
	.set _ZN7rocprim17ROCPRIM_400000_NS6detail17trampoline_kernelINS0_14default_configENS1_27scan_by_key_config_selectorIiiEEZZNS1_16scan_by_key_implILNS1_25lookback_scan_determinismE0ELb1ES3_N6thrust23THRUST_200600_302600_NS10device_ptrIiEESB_SB_iNS9_4plusIvEENS9_8equal_toIvEEiEE10hipError_tPvRmT2_T3_T4_T5_mT6_T7_P12ihipStream_tbENKUlT_T0_E_clISt17integral_constantIbLb1EESW_EEDaSR_SS_EUlSR_E_NS1_11comp_targetILNS1_3genE8ELNS1_11target_archE1030ELNS1_3gpuE2ELNS1_3repE0EEENS1_30default_config_static_selectorELNS0_4arch9wavefront6targetE0EEEvT1_.has_indirect_call, 0
	.section	.AMDGPU.csdata,"",@progbits
; Kernel info:
; codeLenInByte = 4
; TotalNumSgprs: 0
; NumVgprs: 0
; ScratchSize: 0
; MemoryBound: 0
; FloatMode: 240
; IeeeMode: 1
; LDSByteSize: 0 bytes/workgroup (compile time only)
; SGPRBlocks: 0
; VGPRBlocks: 0
; NumSGPRsForWavesPerEU: 1
; NumVGPRsForWavesPerEU: 1
; Occupancy: 16
; WaveLimiterHint : 0
; COMPUTE_PGM_RSRC2:SCRATCH_EN: 0
; COMPUTE_PGM_RSRC2:USER_SGPR: 6
; COMPUTE_PGM_RSRC2:TRAP_HANDLER: 0
; COMPUTE_PGM_RSRC2:TGID_X_EN: 1
; COMPUTE_PGM_RSRC2:TGID_Y_EN: 0
; COMPUTE_PGM_RSRC2:TGID_Z_EN: 0
; COMPUTE_PGM_RSRC2:TIDIG_COMP_CNT: 0
	.section	.text._ZN7rocprim17ROCPRIM_400000_NS6detail17trampoline_kernelINS0_14default_configENS1_27scan_by_key_config_selectorIiiEEZZNS1_16scan_by_key_implILNS1_25lookback_scan_determinismE0ELb1ES3_N6thrust23THRUST_200600_302600_NS10device_ptrIiEESB_SB_iNS9_4plusIvEENS9_8equal_toIvEEiEE10hipError_tPvRmT2_T3_T4_T5_mT6_T7_P12ihipStream_tbENKUlT_T0_E_clISt17integral_constantIbLb1EESV_IbLb0EEEEDaSR_SS_EUlSR_E_NS1_11comp_targetILNS1_3genE0ELNS1_11target_archE4294967295ELNS1_3gpuE0ELNS1_3repE0EEENS1_30default_config_static_selectorELNS0_4arch9wavefront6targetE0EEEvT1_,"axG",@progbits,_ZN7rocprim17ROCPRIM_400000_NS6detail17trampoline_kernelINS0_14default_configENS1_27scan_by_key_config_selectorIiiEEZZNS1_16scan_by_key_implILNS1_25lookback_scan_determinismE0ELb1ES3_N6thrust23THRUST_200600_302600_NS10device_ptrIiEESB_SB_iNS9_4plusIvEENS9_8equal_toIvEEiEE10hipError_tPvRmT2_T3_T4_T5_mT6_T7_P12ihipStream_tbENKUlT_T0_E_clISt17integral_constantIbLb1EESV_IbLb0EEEEDaSR_SS_EUlSR_E_NS1_11comp_targetILNS1_3genE0ELNS1_11target_archE4294967295ELNS1_3gpuE0ELNS1_3repE0EEENS1_30default_config_static_selectorELNS0_4arch9wavefront6targetE0EEEvT1_,comdat
	.protected	_ZN7rocprim17ROCPRIM_400000_NS6detail17trampoline_kernelINS0_14default_configENS1_27scan_by_key_config_selectorIiiEEZZNS1_16scan_by_key_implILNS1_25lookback_scan_determinismE0ELb1ES3_N6thrust23THRUST_200600_302600_NS10device_ptrIiEESB_SB_iNS9_4plusIvEENS9_8equal_toIvEEiEE10hipError_tPvRmT2_T3_T4_T5_mT6_T7_P12ihipStream_tbENKUlT_T0_E_clISt17integral_constantIbLb1EESV_IbLb0EEEEDaSR_SS_EUlSR_E_NS1_11comp_targetILNS1_3genE0ELNS1_11target_archE4294967295ELNS1_3gpuE0ELNS1_3repE0EEENS1_30default_config_static_selectorELNS0_4arch9wavefront6targetE0EEEvT1_ ; -- Begin function _ZN7rocprim17ROCPRIM_400000_NS6detail17trampoline_kernelINS0_14default_configENS1_27scan_by_key_config_selectorIiiEEZZNS1_16scan_by_key_implILNS1_25lookback_scan_determinismE0ELb1ES3_N6thrust23THRUST_200600_302600_NS10device_ptrIiEESB_SB_iNS9_4plusIvEENS9_8equal_toIvEEiEE10hipError_tPvRmT2_T3_T4_T5_mT6_T7_P12ihipStream_tbENKUlT_T0_E_clISt17integral_constantIbLb1EESV_IbLb0EEEEDaSR_SS_EUlSR_E_NS1_11comp_targetILNS1_3genE0ELNS1_11target_archE4294967295ELNS1_3gpuE0ELNS1_3repE0EEENS1_30default_config_static_selectorELNS0_4arch9wavefront6targetE0EEEvT1_
	.globl	_ZN7rocprim17ROCPRIM_400000_NS6detail17trampoline_kernelINS0_14default_configENS1_27scan_by_key_config_selectorIiiEEZZNS1_16scan_by_key_implILNS1_25lookback_scan_determinismE0ELb1ES3_N6thrust23THRUST_200600_302600_NS10device_ptrIiEESB_SB_iNS9_4plusIvEENS9_8equal_toIvEEiEE10hipError_tPvRmT2_T3_T4_T5_mT6_T7_P12ihipStream_tbENKUlT_T0_E_clISt17integral_constantIbLb1EESV_IbLb0EEEEDaSR_SS_EUlSR_E_NS1_11comp_targetILNS1_3genE0ELNS1_11target_archE4294967295ELNS1_3gpuE0ELNS1_3repE0EEENS1_30default_config_static_selectorELNS0_4arch9wavefront6targetE0EEEvT1_
	.p2align	8
	.type	_ZN7rocprim17ROCPRIM_400000_NS6detail17trampoline_kernelINS0_14default_configENS1_27scan_by_key_config_selectorIiiEEZZNS1_16scan_by_key_implILNS1_25lookback_scan_determinismE0ELb1ES3_N6thrust23THRUST_200600_302600_NS10device_ptrIiEESB_SB_iNS9_4plusIvEENS9_8equal_toIvEEiEE10hipError_tPvRmT2_T3_T4_T5_mT6_T7_P12ihipStream_tbENKUlT_T0_E_clISt17integral_constantIbLb1EESV_IbLb0EEEEDaSR_SS_EUlSR_E_NS1_11comp_targetILNS1_3genE0ELNS1_11target_archE4294967295ELNS1_3gpuE0ELNS1_3repE0EEENS1_30default_config_static_selectorELNS0_4arch9wavefront6targetE0EEEvT1_,@function
_ZN7rocprim17ROCPRIM_400000_NS6detail17trampoline_kernelINS0_14default_configENS1_27scan_by_key_config_selectorIiiEEZZNS1_16scan_by_key_implILNS1_25lookback_scan_determinismE0ELb1ES3_N6thrust23THRUST_200600_302600_NS10device_ptrIiEESB_SB_iNS9_4plusIvEENS9_8equal_toIvEEiEE10hipError_tPvRmT2_T3_T4_T5_mT6_T7_P12ihipStream_tbENKUlT_T0_E_clISt17integral_constantIbLb1EESV_IbLb0EEEEDaSR_SS_EUlSR_E_NS1_11comp_targetILNS1_3genE0ELNS1_11target_archE4294967295ELNS1_3gpuE0ELNS1_3repE0EEENS1_30default_config_static_selectorELNS0_4arch9wavefront6targetE0EEEvT1_: ; @_ZN7rocprim17ROCPRIM_400000_NS6detail17trampoline_kernelINS0_14default_configENS1_27scan_by_key_config_selectorIiiEEZZNS1_16scan_by_key_implILNS1_25lookback_scan_determinismE0ELb1ES3_N6thrust23THRUST_200600_302600_NS10device_ptrIiEESB_SB_iNS9_4plusIvEENS9_8equal_toIvEEiEE10hipError_tPvRmT2_T3_T4_T5_mT6_T7_P12ihipStream_tbENKUlT_T0_E_clISt17integral_constantIbLb1EESV_IbLb0EEEEDaSR_SS_EUlSR_E_NS1_11comp_targetILNS1_3genE0ELNS1_11target_archE4294967295ELNS1_3gpuE0ELNS1_3repE0EEENS1_30default_config_static_selectorELNS0_4arch9wavefront6targetE0EEEvT1_
; %bb.0:
	.section	.rodata,"a",@progbits
	.p2align	6, 0x0
	.amdhsa_kernel _ZN7rocprim17ROCPRIM_400000_NS6detail17trampoline_kernelINS0_14default_configENS1_27scan_by_key_config_selectorIiiEEZZNS1_16scan_by_key_implILNS1_25lookback_scan_determinismE0ELb1ES3_N6thrust23THRUST_200600_302600_NS10device_ptrIiEESB_SB_iNS9_4plusIvEENS9_8equal_toIvEEiEE10hipError_tPvRmT2_T3_T4_T5_mT6_T7_P12ihipStream_tbENKUlT_T0_E_clISt17integral_constantIbLb1EESV_IbLb0EEEEDaSR_SS_EUlSR_E_NS1_11comp_targetILNS1_3genE0ELNS1_11target_archE4294967295ELNS1_3gpuE0ELNS1_3repE0EEENS1_30default_config_static_selectorELNS0_4arch9wavefront6targetE0EEEvT1_
		.amdhsa_group_segment_fixed_size 0
		.amdhsa_private_segment_fixed_size 0
		.amdhsa_kernarg_size 112
		.amdhsa_user_sgpr_count 6
		.amdhsa_user_sgpr_private_segment_buffer 1
		.amdhsa_user_sgpr_dispatch_ptr 0
		.amdhsa_user_sgpr_queue_ptr 0
		.amdhsa_user_sgpr_kernarg_segment_ptr 1
		.amdhsa_user_sgpr_dispatch_id 0
		.amdhsa_user_sgpr_flat_scratch_init 0
		.amdhsa_user_sgpr_private_segment_size 0
		.amdhsa_wavefront_size32 1
		.amdhsa_uses_dynamic_stack 0
		.amdhsa_system_sgpr_private_segment_wavefront_offset 0
		.amdhsa_system_sgpr_workgroup_id_x 1
		.amdhsa_system_sgpr_workgroup_id_y 0
		.amdhsa_system_sgpr_workgroup_id_z 0
		.amdhsa_system_sgpr_workgroup_info 0
		.amdhsa_system_vgpr_workitem_id 0
		.amdhsa_next_free_vgpr 1
		.amdhsa_next_free_sgpr 1
		.amdhsa_reserve_vcc 0
		.amdhsa_reserve_flat_scratch 0
		.amdhsa_float_round_mode_32 0
		.amdhsa_float_round_mode_16_64 0
		.amdhsa_float_denorm_mode_32 3
		.amdhsa_float_denorm_mode_16_64 3
		.amdhsa_dx10_clamp 1
		.amdhsa_ieee_mode 1
		.amdhsa_fp16_overflow 0
		.amdhsa_workgroup_processor_mode 1
		.amdhsa_memory_ordered 1
		.amdhsa_forward_progress 1
		.amdhsa_shared_vgpr_count 0
		.amdhsa_exception_fp_ieee_invalid_op 0
		.amdhsa_exception_fp_denorm_src 0
		.amdhsa_exception_fp_ieee_div_zero 0
		.amdhsa_exception_fp_ieee_overflow 0
		.amdhsa_exception_fp_ieee_underflow 0
		.amdhsa_exception_fp_ieee_inexact 0
		.amdhsa_exception_int_div_zero 0
	.end_amdhsa_kernel
	.section	.text._ZN7rocprim17ROCPRIM_400000_NS6detail17trampoline_kernelINS0_14default_configENS1_27scan_by_key_config_selectorIiiEEZZNS1_16scan_by_key_implILNS1_25lookback_scan_determinismE0ELb1ES3_N6thrust23THRUST_200600_302600_NS10device_ptrIiEESB_SB_iNS9_4plusIvEENS9_8equal_toIvEEiEE10hipError_tPvRmT2_T3_T4_T5_mT6_T7_P12ihipStream_tbENKUlT_T0_E_clISt17integral_constantIbLb1EESV_IbLb0EEEEDaSR_SS_EUlSR_E_NS1_11comp_targetILNS1_3genE0ELNS1_11target_archE4294967295ELNS1_3gpuE0ELNS1_3repE0EEENS1_30default_config_static_selectorELNS0_4arch9wavefront6targetE0EEEvT1_,"axG",@progbits,_ZN7rocprim17ROCPRIM_400000_NS6detail17trampoline_kernelINS0_14default_configENS1_27scan_by_key_config_selectorIiiEEZZNS1_16scan_by_key_implILNS1_25lookback_scan_determinismE0ELb1ES3_N6thrust23THRUST_200600_302600_NS10device_ptrIiEESB_SB_iNS9_4plusIvEENS9_8equal_toIvEEiEE10hipError_tPvRmT2_T3_T4_T5_mT6_T7_P12ihipStream_tbENKUlT_T0_E_clISt17integral_constantIbLb1EESV_IbLb0EEEEDaSR_SS_EUlSR_E_NS1_11comp_targetILNS1_3genE0ELNS1_11target_archE4294967295ELNS1_3gpuE0ELNS1_3repE0EEENS1_30default_config_static_selectorELNS0_4arch9wavefront6targetE0EEEvT1_,comdat
.Lfunc_end2251:
	.size	_ZN7rocprim17ROCPRIM_400000_NS6detail17trampoline_kernelINS0_14default_configENS1_27scan_by_key_config_selectorIiiEEZZNS1_16scan_by_key_implILNS1_25lookback_scan_determinismE0ELb1ES3_N6thrust23THRUST_200600_302600_NS10device_ptrIiEESB_SB_iNS9_4plusIvEENS9_8equal_toIvEEiEE10hipError_tPvRmT2_T3_T4_T5_mT6_T7_P12ihipStream_tbENKUlT_T0_E_clISt17integral_constantIbLb1EESV_IbLb0EEEEDaSR_SS_EUlSR_E_NS1_11comp_targetILNS1_3genE0ELNS1_11target_archE4294967295ELNS1_3gpuE0ELNS1_3repE0EEENS1_30default_config_static_selectorELNS0_4arch9wavefront6targetE0EEEvT1_, .Lfunc_end2251-_ZN7rocprim17ROCPRIM_400000_NS6detail17trampoline_kernelINS0_14default_configENS1_27scan_by_key_config_selectorIiiEEZZNS1_16scan_by_key_implILNS1_25lookback_scan_determinismE0ELb1ES3_N6thrust23THRUST_200600_302600_NS10device_ptrIiEESB_SB_iNS9_4plusIvEENS9_8equal_toIvEEiEE10hipError_tPvRmT2_T3_T4_T5_mT6_T7_P12ihipStream_tbENKUlT_T0_E_clISt17integral_constantIbLb1EESV_IbLb0EEEEDaSR_SS_EUlSR_E_NS1_11comp_targetILNS1_3genE0ELNS1_11target_archE4294967295ELNS1_3gpuE0ELNS1_3repE0EEENS1_30default_config_static_selectorELNS0_4arch9wavefront6targetE0EEEvT1_
                                        ; -- End function
	.set _ZN7rocprim17ROCPRIM_400000_NS6detail17trampoline_kernelINS0_14default_configENS1_27scan_by_key_config_selectorIiiEEZZNS1_16scan_by_key_implILNS1_25lookback_scan_determinismE0ELb1ES3_N6thrust23THRUST_200600_302600_NS10device_ptrIiEESB_SB_iNS9_4plusIvEENS9_8equal_toIvEEiEE10hipError_tPvRmT2_T3_T4_T5_mT6_T7_P12ihipStream_tbENKUlT_T0_E_clISt17integral_constantIbLb1EESV_IbLb0EEEEDaSR_SS_EUlSR_E_NS1_11comp_targetILNS1_3genE0ELNS1_11target_archE4294967295ELNS1_3gpuE0ELNS1_3repE0EEENS1_30default_config_static_selectorELNS0_4arch9wavefront6targetE0EEEvT1_.num_vgpr, 0
	.set _ZN7rocprim17ROCPRIM_400000_NS6detail17trampoline_kernelINS0_14default_configENS1_27scan_by_key_config_selectorIiiEEZZNS1_16scan_by_key_implILNS1_25lookback_scan_determinismE0ELb1ES3_N6thrust23THRUST_200600_302600_NS10device_ptrIiEESB_SB_iNS9_4plusIvEENS9_8equal_toIvEEiEE10hipError_tPvRmT2_T3_T4_T5_mT6_T7_P12ihipStream_tbENKUlT_T0_E_clISt17integral_constantIbLb1EESV_IbLb0EEEEDaSR_SS_EUlSR_E_NS1_11comp_targetILNS1_3genE0ELNS1_11target_archE4294967295ELNS1_3gpuE0ELNS1_3repE0EEENS1_30default_config_static_selectorELNS0_4arch9wavefront6targetE0EEEvT1_.num_agpr, 0
	.set _ZN7rocprim17ROCPRIM_400000_NS6detail17trampoline_kernelINS0_14default_configENS1_27scan_by_key_config_selectorIiiEEZZNS1_16scan_by_key_implILNS1_25lookback_scan_determinismE0ELb1ES3_N6thrust23THRUST_200600_302600_NS10device_ptrIiEESB_SB_iNS9_4plusIvEENS9_8equal_toIvEEiEE10hipError_tPvRmT2_T3_T4_T5_mT6_T7_P12ihipStream_tbENKUlT_T0_E_clISt17integral_constantIbLb1EESV_IbLb0EEEEDaSR_SS_EUlSR_E_NS1_11comp_targetILNS1_3genE0ELNS1_11target_archE4294967295ELNS1_3gpuE0ELNS1_3repE0EEENS1_30default_config_static_selectorELNS0_4arch9wavefront6targetE0EEEvT1_.numbered_sgpr, 0
	.set _ZN7rocprim17ROCPRIM_400000_NS6detail17trampoline_kernelINS0_14default_configENS1_27scan_by_key_config_selectorIiiEEZZNS1_16scan_by_key_implILNS1_25lookback_scan_determinismE0ELb1ES3_N6thrust23THRUST_200600_302600_NS10device_ptrIiEESB_SB_iNS9_4plusIvEENS9_8equal_toIvEEiEE10hipError_tPvRmT2_T3_T4_T5_mT6_T7_P12ihipStream_tbENKUlT_T0_E_clISt17integral_constantIbLb1EESV_IbLb0EEEEDaSR_SS_EUlSR_E_NS1_11comp_targetILNS1_3genE0ELNS1_11target_archE4294967295ELNS1_3gpuE0ELNS1_3repE0EEENS1_30default_config_static_selectorELNS0_4arch9wavefront6targetE0EEEvT1_.num_named_barrier, 0
	.set _ZN7rocprim17ROCPRIM_400000_NS6detail17trampoline_kernelINS0_14default_configENS1_27scan_by_key_config_selectorIiiEEZZNS1_16scan_by_key_implILNS1_25lookback_scan_determinismE0ELb1ES3_N6thrust23THRUST_200600_302600_NS10device_ptrIiEESB_SB_iNS9_4plusIvEENS9_8equal_toIvEEiEE10hipError_tPvRmT2_T3_T4_T5_mT6_T7_P12ihipStream_tbENKUlT_T0_E_clISt17integral_constantIbLb1EESV_IbLb0EEEEDaSR_SS_EUlSR_E_NS1_11comp_targetILNS1_3genE0ELNS1_11target_archE4294967295ELNS1_3gpuE0ELNS1_3repE0EEENS1_30default_config_static_selectorELNS0_4arch9wavefront6targetE0EEEvT1_.private_seg_size, 0
	.set _ZN7rocprim17ROCPRIM_400000_NS6detail17trampoline_kernelINS0_14default_configENS1_27scan_by_key_config_selectorIiiEEZZNS1_16scan_by_key_implILNS1_25lookback_scan_determinismE0ELb1ES3_N6thrust23THRUST_200600_302600_NS10device_ptrIiEESB_SB_iNS9_4plusIvEENS9_8equal_toIvEEiEE10hipError_tPvRmT2_T3_T4_T5_mT6_T7_P12ihipStream_tbENKUlT_T0_E_clISt17integral_constantIbLb1EESV_IbLb0EEEEDaSR_SS_EUlSR_E_NS1_11comp_targetILNS1_3genE0ELNS1_11target_archE4294967295ELNS1_3gpuE0ELNS1_3repE0EEENS1_30default_config_static_selectorELNS0_4arch9wavefront6targetE0EEEvT1_.uses_vcc, 0
	.set _ZN7rocprim17ROCPRIM_400000_NS6detail17trampoline_kernelINS0_14default_configENS1_27scan_by_key_config_selectorIiiEEZZNS1_16scan_by_key_implILNS1_25lookback_scan_determinismE0ELb1ES3_N6thrust23THRUST_200600_302600_NS10device_ptrIiEESB_SB_iNS9_4plusIvEENS9_8equal_toIvEEiEE10hipError_tPvRmT2_T3_T4_T5_mT6_T7_P12ihipStream_tbENKUlT_T0_E_clISt17integral_constantIbLb1EESV_IbLb0EEEEDaSR_SS_EUlSR_E_NS1_11comp_targetILNS1_3genE0ELNS1_11target_archE4294967295ELNS1_3gpuE0ELNS1_3repE0EEENS1_30default_config_static_selectorELNS0_4arch9wavefront6targetE0EEEvT1_.uses_flat_scratch, 0
	.set _ZN7rocprim17ROCPRIM_400000_NS6detail17trampoline_kernelINS0_14default_configENS1_27scan_by_key_config_selectorIiiEEZZNS1_16scan_by_key_implILNS1_25lookback_scan_determinismE0ELb1ES3_N6thrust23THRUST_200600_302600_NS10device_ptrIiEESB_SB_iNS9_4plusIvEENS9_8equal_toIvEEiEE10hipError_tPvRmT2_T3_T4_T5_mT6_T7_P12ihipStream_tbENKUlT_T0_E_clISt17integral_constantIbLb1EESV_IbLb0EEEEDaSR_SS_EUlSR_E_NS1_11comp_targetILNS1_3genE0ELNS1_11target_archE4294967295ELNS1_3gpuE0ELNS1_3repE0EEENS1_30default_config_static_selectorELNS0_4arch9wavefront6targetE0EEEvT1_.has_dyn_sized_stack, 0
	.set _ZN7rocprim17ROCPRIM_400000_NS6detail17trampoline_kernelINS0_14default_configENS1_27scan_by_key_config_selectorIiiEEZZNS1_16scan_by_key_implILNS1_25lookback_scan_determinismE0ELb1ES3_N6thrust23THRUST_200600_302600_NS10device_ptrIiEESB_SB_iNS9_4plusIvEENS9_8equal_toIvEEiEE10hipError_tPvRmT2_T3_T4_T5_mT6_T7_P12ihipStream_tbENKUlT_T0_E_clISt17integral_constantIbLb1EESV_IbLb0EEEEDaSR_SS_EUlSR_E_NS1_11comp_targetILNS1_3genE0ELNS1_11target_archE4294967295ELNS1_3gpuE0ELNS1_3repE0EEENS1_30default_config_static_selectorELNS0_4arch9wavefront6targetE0EEEvT1_.has_recursion, 0
	.set _ZN7rocprim17ROCPRIM_400000_NS6detail17trampoline_kernelINS0_14default_configENS1_27scan_by_key_config_selectorIiiEEZZNS1_16scan_by_key_implILNS1_25lookback_scan_determinismE0ELb1ES3_N6thrust23THRUST_200600_302600_NS10device_ptrIiEESB_SB_iNS9_4plusIvEENS9_8equal_toIvEEiEE10hipError_tPvRmT2_T3_T4_T5_mT6_T7_P12ihipStream_tbENKUlT_T0_E_clISt17integral_constantIbLb1EESV_IbLb0EEEEDaSR_SS_EUlSR_E_NS1_11comp_targetILNS1_3genE0ELNS1_11target_archE4294967295ELNS1_3gpuE0ELNS1_3repE0EEENS1_30default_config_static_selectorELNS0_4arch9wavefront6targetE0EEEvT1_.has_indirect_call, 0
	.section	.AMDGPU.csdata,"",@progbits
; Kernel info:
; codeLenInByte = 0
; TotalNumSgprs: 0
; NumVgprs: 0
; ScratchSize: 0
; MemoryBound: 0
; FloatMode: 240
; IeeeMode: 1
; LDSByteSize: 0 bytes/workgroup (compile time only)
; SGPRBlocks: 0
; VGPRBlocks: 0
; NumSGPRsForWavesPerEU: 1
; NumVGPRsForWavesPerEU: 1
; Occupancy: 16
; WaveLimiterHint : 0
; COMPUTE_PGM_RSRC2:SCRATCH_EN: 0
; COMPUTE_PGM_RSRC2:USER_SGPR: 6
; COMPUTE_PGM_RSRC2:TRAP_HANDLER: 0
; COMPUTE_PGM_RSRC2:TGID_X_EN: 1
; COMPUTE_PGM_RSRC2:TGID_Y_EN: 0
; COMPUTE_PGM_RSRC2:TGID_Z_EN: 0
; COMPUTE_PGM_RSRC2:TIDIG_COMP_CNT: 0
	.section	.text._ZN7rocprim17ROCPRIM_400000_NS6detail17trampoline_kernelINS0_14default_configENS1_27scan_by_key_config_selectorIiiEEZZNS1_16scan_by_key_implILNS1_25lookback_scan_determinismE0ELb1ES3_N6thrust23THRUST_200600_302600_NS10device_ptrIiEESB_SB_iNS9_4plusIvEENS9_8equal_toIvEEiEE10hipError_tPvRmT2_T3_T4_T5_mT6_T7_P12ihipStream_tbENKUlT_T0_E_clISt17integral_constantIbLb1EESV_IbLb0EEEEDaSR_SS_EUlSR_E_NS1_11comp_targetILNS1_3genE10ELNS1_11target_archE1201ELNS1_3gpuE5ELNS1_3repE0EEENS1_30default_config_static_selectorELNS0_4arch9wavefront6targetE0EEEvT1_,"axG",@progbits,_ZN7rocprim17ROCPRIM_400000_NS6detail17trampoline_kernelINS0_14default_configENS1_27scan_by_key_config_selectorIiiEEZZNS1_16scan_by_key_implILNS1_25lookback_scan_determinismE0ELb1ES3_N6thrust23THRUST_200600_302600_NS10device_ptrIiEESB_SB_iNS9_4plusIvEENS9_8equal_toIvEEiEE10hipError_tPvRmT2_T3_T4_T5_mT6_T7_P12ihipStream_tbENKUlT_T0_E_clISt17integral_constantIbLb1EESV_IbLb0EEEEDaSR_SS_EUlSR_E_NS1_11comp_targetILNS1_3genE10ELNS1_11target_archE1201ELNS1_3gpuE5ELNS1_3repE0EEENS1_30default_config_static_selectorELNS0_4arch9wavefront6targetE0EEEvT1_,comdat
	.protected	_ZN7rocprim17ROCPRIM_400000_NS6detail17trampoline_kernelINS0_14default_configENS1_27scan_by_key_config_selectorIiiEEZZNS1_16scan_by_key_implILNS1_25lookback_scan_determinismE0ELb1ES3_N6thrust23THRUST_200600_302600_NS10device_ptrIiEESB_SB_iNS9_4plusIvEENS9_8equal_toIvEEiEE10hipError_tPvRmT2_T3_T4_T5_mT6_T7_P12ihipStream_tbENKUlT_T0_E_clISt17integral_constantIbLb1EESV_IbLb0EEEEDaSR_SS_EUlSR_E_NS1_11comp_targetILNS1_3genE10ELNS1_11target_archE1201ELNS1_3gpuE5ELNS1_3repE0EEENS1_30default_config_static_selectorELNS0_4arch9wavefront6targetE0EEEvT1_ ; -- Begin function _ZN7rocprim17ROCPRIM_400000_NS6detail17trampoline_kernelINS0_14default_configENS1_27scan_by_key_config_selectorIiiEEZZNS1_16scan_by_key_implILNS1_25lookback_scan_determinismE0ELb1ES3_N6thrust23THRUST_200600_302600_NS10device_ptrIiEESB_SB_iNS9_4plusIvEENS9_8equal_toIvEEiEE10hipError_tPvRmT2_T3_T4_T5_mT6_T7_P12ihipStream_tbENKUlT_T0_E_clISt17integral_constantIbLb1EESV_IbLb0EEEEDaSR_SS_EUlSR_E_NS1_11comp_targetILNS1_3genE10ELNS1_11target_archE1201ELNS1_3gpuE5ELNS1_3repE0EEENS1_30default_config_static_selectorELNS0_4arch9wavefront6targetE0EEEvT1_
	.globl	_ZN7rocprim17ROCPRIM_400000_NS6detail17trampoline_kernelINS0_14default_configENS1_27scan_by_key_config_selectorIiiEEZZNS1_16scan_by_key_implILNS1_25lookback_scan_determinismE0ELb1ES3_N6thrust23THRUST_200600_302600_NS10device_ptrIiEESB_SB_iNS9_4plusIvEENS9_8equal_toIvEEiEE10hipError_tPvRmT2_T3_T4_T5_mT6_T7_P12ihipStream_tbENKUlT_T0_E_clISt17integral_constantIbLb1EESV_IbLb0EEEEDaSR_SS_EUlSR_E_NS1_11comp_targetILNS1_3genE10ELNS1_11target_archE1201ELNS1_3gpuE5ELNS1_3repE0EEENS1_30default_config_static_selectorELNS0_4arch9wavefront6targetE0EEEvT1_
	.p2align	8
	.type	_ZN7rocprim17ROCPRIM_400000_NS6detail17trampoline_kernelINS0_14default_configENS1_27scan_by_key_config_selectorIiiEEZZNS1_16scan_by_key_implILNS1_25lookback_scan_determinismE0ELb1ES3_N6thrust23THRUST_200600_302600_NS10device_ptrIiEESB_SB_iNS9_4plusIvEENS9_8equal_toIvEEiEE10hipError_tPvRmT2_T3_T4_T5_mT6_T7_P12ihipStream_tbENKUlT_T0_E_clISt17integral_constantIbLb1EESV_IbLb0EEEEDaSR_SS_EUlSR_E_NS1_11comp_targetILNS1_3genE10ELNS1_11target_archE1201ELNS1_3gpuE5ELNS1_3repE0EEENS1_30default_config_static_selectorELNS0_4arch9wavefront6targetE0EEEvT1_,@function
_ZN7rocprim17ROCPRIM_400000_NS6detail17trampoline_kernelINS0_14default_configENS1_27scan_by_key_config_selectorIiiEEZZNS1_16scan_by_key_implILNS1_25lookback_scan_determinismE0ELb1ES3_N6thrust23THRUST_200600_302600_NS10device_ptrIiEESB_SB_iNS9_4plusIvEENS9_8equal_toIvEEiEE10hipError_tPvRmT2_T3_T4_T5_mT6_T7_P12ihipStream_tbENKUlT_T0_E_clISt17integral_constantIbLb1EESV_IbLb0EEEEDaSR_SS_EUlSR_E_NS1_11comp_targetILNS1_3genE10ELNS1_11target_archE1201ELNS1_3gpuE5ELNS1_3repE0EEENS1_30default_config_static_selectorELNS0_4arch9wavefront6targetE0EEEvT1_: ; @_ZN7rocprim17ROCPRIM_400000_NS6detail17trampoline_kernelINS0_14default_configENS1_27scan_by_key_config_selectorIiiEEZZNS1_16scan_by_key_implILNS1_25lookback_scan_determinismE0ELb1ES3_N6thrust23THRUST_200600_302600_NS10device_ptrIiEESB_SB_iNS9_4plusIvEENS9_8equal_toIvEEiEE10hipError_tPvRmT2_T3_T4_T5_mT6_T7_P12ihipStream_tbENKUlT_T0_E_clISt17integral_constantIbLb1EESV_IbLb0EEEEDaSR_SS_EUlSR_E_NS1_11comp_targetILNS1_3genE10ELNS1_11target_archE1201ELNS1_3gpuE5ELNS1_3repE0EEENS1_30default_config_static_selectorELNS0_4arch9wavefront6targetE0EEEvT1_
; %bb.0:
	.section	.rodata,"a",@progbits
	.p2align	6, 0x0
	.amdhsa_kernel _ZN7rocprim17ROCPRIM_400000_NS6detail17trampoline_kernelINS0_14default_configENS1_27scan_by_key_config_selectorIiiEEZZNS1_16scan_by_key_implILNS1_25lookback_scan_determinismE0ELb1ES3_N6thrust23THRUST_200600_302600_NS10device_ptrIiEESB_SB_iNS9_4plusIvEENS9_8equal_toIvEEiEE10hipError_tPvRmT2_T3_T4_T5_mT6_T7_P12ihipStream_tbENKUlT_T0_E_clISt17integral_constantIbLb1EESV_IbLb0EEEEDaSR_SS_EUlSR_E_NS1_11comp_targetILNS1_3genE10ELNS1_11target_archE1201ELNS1_3gpuE5ELNS1_3repE0EEENS1_30default_config_static_selectorELNS0_4arch9wavefront6targetE0EEEvT1_
		.amdhsa_group_segment_fixed_size 0
		.amdhsa_private_segment_fixed_size 0
		.amdhsa_kernarg_size 112
		.amdhsa_user_sgpr_count 6
		.amdhsa_user_sgpr_private_segment_buffer 1
		.amdhsa_user_sgpr_dispatch_ptr 0
		.amdhsa_user_sgpr_queue_ptr 0
		.amdhsa_user_sgpr_kernarg_segment_ptr 1
		.amdhsa_user_sgpr_dispatch_id 0
		.amdhsa_user_sgpr_flat_scratch_init 0
		.amdhsa_user_sgpr_private_segment_size 0
		.amdhsa_wavefront_size32 1
		.amdhsa_uses_dynamic_stack 0
		.amdhsa_system_sgpr_private_segment_wavefront_offset 0
		.amdhsa_system_sgpr_workgroup_id_x 1
		.amdhsa_system_sgpr_workgroup_id_y 0
		.amdhsa_system_sgpr_workgroup_id_z 0
		.amdhsa_system_sgpr_workgroup_info 0
		.amdhsa_system_vgpr_workitem_id 0
		.amdhsa_next_free_vgpr 1
		.amdhsa_next_free_sgpr 1
		.amdhsa_reserve_vcc 0
		.amdhsa_reserve_flat_scratch 0
		.amdhsa_float_round_mode_32 0
		.amdhsa_float_round_mode_16_64 0
		.amdhsa_float_denorm_mode_32 3
		.amdhsa_float_denorm_mode_16_64 3
		.amdhsa_dx10_clamp 1
		.amdhsa_ieee_mode 1
		.amdhsa_fp16_overflow 0
		.amdhsa_workgroup_processor_mode 1
		.amdhsa_memory_ordered 1
		.amdhsa_forward_progress 1
		.amdhsa_shared_vgpr_count 0
		.amdhsa_exception_fp_ieee_invalid_op 0
		.amdhsa_exception_fp_denorm_src 0
		.amdhsa_exception_fp_ieee_div_zero 0
		.amdhsa_exception_fp_ieee_overflow 0
		.amdhsa_exception_fp_ieee_underflow 0
		.amdhsa_exception_fp_ieee_inexact 0
		.amdhsa_exception_int_div_zero 0
	.end_amdhsa_kernel
	.section	.text._ZN7rocprim17ROCPRIM_400000_NS6detail17trampoline_kernelINS0_14default_configENS1_27scan_by_key_config_selectorIiiEEZZNS1_16scan_by_key_implILNS1_25lookback_scan_determinismE0ELb1ES3_N6thrust23THRUST_200600_302600_NS10device_ptrIiEESB_SB_iNS9_4plusIvEENS9_8equal_toIvEEiEE10hipError_tPvRmT2_T3_T4_T5_mT6_T7_P12ihipStream_tbENKUlT_T0_E_clISt17integral_constantIbLb1EESV_IbLb0EEEEDaSR_SS_EUlSR_E_NS1_11comp_targetILNS1_3genE10ELNS1_11target_archE1201ELNS1_3gpuE5ELNS1_3repE0EEENS1_30default_config_static_selectorELNS0_4arch9wavefront6targetE0EEEvT1_,"axG",@progbits,_ZN7rocprim17ROCPRIM_400000_NS6detail17trampoline_kernelINS0_14default_configENS1_27scan_by_key_config_selectorIiiEEZZNS1_16scan_by_key_implILNS1_25lookback_scan_determinismE0ELb1ES3_N6thrust23THRUST_200600_302600_NS10device_ptrIiEESB_SB_iNS9_4plusIvEENS9_8equal_toIvEEiEE10hipError_tPvRmT2_T3_T4_T5_mT6_T7_P12ihipStream_tbENKUlT_T0_E_clISt17integral_constantIbLb1EESV_IbLb0EEEEDaSR_SS_EUlSR_E_NS1_11comp_targetILNS1_3genE10ELNS1_11target_archE1201ELNS1_3gpuE5ELNS1_3repE0EEENS1_30default_config_static_selectorELNS0_4arch9wavefront6targetE0EEEvT1_,comdat
.Lfunc_end2252:
	.size	_ZN7rocprim17ROCPRIM_400000_NS6detail17trampoline_kernelINS0_14default_configENS1_27scan_by_key_config_selectorIiiEEZZNS1_16scan_by_key_implILNS1_25lookback_scan_determinismE0ELb1ES3_N6thrust23THRUST_200600_302600_NS10device_ptrIiEESB_SB_iNS9_4plusIvEENS9_8equal_toIvEEiEE10hipError_tPvRmT2_T3_T4_T5_mT6_T7_P12ihipStream_tbENKUlT_T0_E_clISt17integral_constantIbLb1EESV_IbLb0EEEEDaSR_SS_EUlSR_E_NS1_11comp_targetILNS1_3genE10ELNS1_11target_archE1201ELNS1_3gpuE5ELNS1_3repE0EEENS1_30default_config_static_selectorELNS0_4arch9wavefront6targetE0EEEvT1_, .Lfunc_end2252-_ZN7rocprim17ROCPRIM_400000_NS6detail17trampoline_kernelINS0_14default_configENS1_27scan_by_key_config_selectorIiiEEZZNS1_16scan_by_key_implILNS1_25lookback_scan_determinismE0ELb1ES3_N6thrust23THRUST_200600_302600_NS10device_ptrIiEESB_SB_iNS9_4plusIvEENS9_8equal_toIvEEiEE10hipError_tPvRmT2_T3_T4_T5_mT6_T7_P12ihipStream_tbENKUlT_T0_E_clISt17integral_constantIbLb1EESV_IbLb0EEEEDaSR_SS_EUlSR_E_NS1_11comp_targetILNS1_3genE10ELNS1_11target_archE1201ELNS1_3gpuE5ELNS1_3repE0EEENS1_30default_config_static_selectorELNS0_4arch9wavefront6targetE0EEEvT1_
                                        ; -- End function
	.set _ZN7rocprim17ROCPRIM_400000_NS6detail17trampoline_kernelINS0_14default_configENS1_27scan_by_key_config_selectorIiiEEZZNS1_16scan_by_key_implILNS1_25lookback_scan_determinismE0ELb1ES3_N6thrust23THRUST_200600_302600_NS10device_ptrIiEESB_SB_iNS9_4plusIvEENS9_8equal_toIvEEiEE10hipError_tPvRmT2_T3_T4_T5_mT6_T7_P12ihipStream_tbENKUlT_T0_E_clISt17integral_constantIbLb1EESV_IbLb0EEEEDaSR_SS_EUlSR_E_NS1_11comp_targetILNS1_3genE10ELNS1_11target_archE1201ELNS1_3gpuE5ELNS1_3repE0EEENS1_30default_config_static_selectorELNS0_4arch9wavefront6targetE0EEEvT1_.num_vgpr, 0
	.set _ZN7rocprim17ROCPRIM_400000_NS6detail17trampoline_kernelINS0_14default_configENS1_27scan_by_key_config_selectorIiiEEZZNS1_16scan_by_key_implILNS1_25lookback_scan_determinismE0ELb1ES3_N6thrust23THRUST_200600_302600_NS10device_ptrIiEESB_SB_iNS9_4plusIvEENS9_8equal_toIvEEiEE10hipError_tPvRmT2_T3_T4_T5_mT6_T7_P12ihipStream_tbENKUlT_T0_E_clISt17integral_constantIbLb1EESV_IbLb0EEEEDaSR_SS_EUlSR_E_NS1_11comp_targetILNS1_3genE10ELNS1_11target_archE1201ELNS1_3gpuE5ELNS1_3repE0EEENS1_30default_config_static_selectorELNS0_4arch9wavefront6targetE0EEEvT1_.num_agpr, 0
	.set _ZN7rocprim17ROCPRIM_400000_NS6detail17trampoline_kernelINS0_14default_configENS1_27scan_by_key_config_selectorIiiEEZZNS1_16scan_by_key_implILNS1_25lookback_scan_determinismE0ELb1ES3_N6thrust23THRUST_200600_302600_NS10device_ptrIiEESB_SB_iNS9_4plusIvEENS9_8equal_toIvEEiEE10hipError_tPvRmT2_T3_T4_T5_mT6_T7_P12ihipStream_tbENKUlT_T0_E_clISt17integral_constantIbLb1EESV_IbLb0EEEEDaSR_SS_EUlSR_E_NS1_11comp_targetILNS1_3genE10ELNS1_11target_archE1201ELNS1_3gpuE5ELNS1_3repE0EEENS1_30default_config_static_selectorELNS0_4arch9wavefront6targetE0EEEvT1_.numbered_sgpr, 0
	.set _ZN7rocprim17ROCPRIM_400000_NS6detail17trampoline_kernelINS0_14default_configENS1_27scan_by_key_config_selectorIiiEEZZNS1_16scan_by_key_implILNS1_25lookback_scan_determinismE0ELb1ES3_N6thrust23THRUST_200600_302600_NS10device_ptrIiEESB_SB_iNS9_4plusIvEENS9_8equal_toIvEEiEE10hipError_tPvRmT2_T3_T4_T5_mT6_T7_P12ihipStream_tbENKUlT_T0_E_clISt17integral_constantIbLb1EESV_IbLb0EEEEDaSR_SS_EUlSR_E_NS1_11comp_targetILNS1_3genE10ELNS1_11target_archE1201ELNS1_3gpuE5ELNS1_3repE0EEENS1_30default_config_static_selectorELNS0_4arch9wavefront6targetE0EEEvT1_.num_named_barrier, 0
	.set _ZN7rocprim17ROCPRIM_400000_NS6detail17trampoline_kernelINS0_14default_configENS1_27scan_by_key_config_selectorIiiEEZZNS1_16scan_by_key_implILNS1_25lookback_scan_determinismE0ELb1ES3_N6thrust23THRUST_200600_302600_NS10device_ptrIiEESB_SB_iNS9_4plusIvEENS9_8equal_toIvEEiEE10hipError_tPvRmT2_T3_T4_T5_mT6_T7_P12ihipStream_tbENKUlT_T0_E_clISt17integral_constantIbLb1EESV_IbLb0EEEEDaSR_SS_EUlSR_E_NS1_11comp_targetILNS1_3genE10ELNS1_11target_archE1201ELNS1_3gpuE5ELNS1_3repE0EEENS1_30default_config_static_selectorELNS0_4arch9wavefront6targetE0EEEvT1_.private_seg_size, 0
	.set _ZN7rocprim17ROCPRIM_400000_NS6detail17trampoline_kernelINS0_14default_configENS1_27scan_by_key_config_selectorIiiEEZZNS1_16scan_by_key_implILNS1_25lookback_scan_determinismE0ELb1ES3_N6thrust23THRUST_200600_302600_NS10device_ptrIiEESB_SB_iNS9_4plusIvEENS9_8equal_toIvEEiEE10hipError_tPvRmT2_T3_T4_T5_mT6_T7_P12ihipStream_tbENKUlT_T0_E_clISt17integral_constantIbLb1EESV_IbLb0EEEEDaSR_SS_EUlSR_E_NS1_11comp_targetILNS1_3genE10ELNS1_11target_archE1201ELNS1_3gpuE5ELNS1_3repE0EEENS1_30default_config_static_selectorELNS0_4arch9wavefront6targetE0EEEvT1_.uses_vcc, 0
	.set _ZN7rocprim17ROCPRIM_400000_NS6detail17trampoline_kernelINS0_14default_configENS1_27scan_by_key_config_selectorIiiEEZZNS1_16scan_by_key_implILNS1_25lookback_scan_determinismE0ELb1ES3_N6thrust23THRUST_200600_302600_NS10device_ptrIiEESB_SB_iNS9_4plusIvEENS9_8equal_toIvEEiEE10hipError_tPvRmT2_T3_T4_T5_mT6_T7_P12ihipStream_tbENKUlT_T0_E_clISt17integral_constantIbLb1EESV_IbLb0EEEEDaSR_SS_EUlSR_E_NS1_11comp_targetILNS1_3genE10ELNS1_11target_archE1201ELNS1_3gpuE5ELNS1_3repE0EEENS1_30default_config_static_selectorELNS0_4arch9wavefront6targetE0EEEvT1_.uses_flat_scratch, 0
	.set _ZN7rocprim17ROCPRIM_400000_NS6detail17trampoline_kernelINS0_14default_configENS1_27scan_by_key_config_selectorIiiEEZZNS1_16scan_by_key_implILNS1_25lookback_scan_determinismE0ELb1ES3_N6thrust23THRUST_200600_302600_NS10device_ptrIiEESB_SB_iNS9_4plusIvEENS9_8equal_toIvEEiEE10hipError_tPvRmT2_T3_T4_T5_mT6_T7_P12ihipStream_tbENKUlT_T0_E_clISt17integral_constantIbLb1EESV_IbLb0EEEEDaSR_SS_EUlSR_E_NS1_11comp_targetILNS1_3genE10ELNS1_11target_archE1201ELNS1_3gpuE5ELNS1_3repE0EEENS1_30default_config_static_selectorELNS0_4arch9wavefront6targetE0EEEvT1_.has_dyn_sized_stack, 0
	.set _ZN7rocprim17ROCPRIM_400000_NS6detail17trampoline_kernelINS0_14default_configENS1_27scan_by_key_config_selectorIiiEEZZNS1_16scan_by_key_implILNS1_25lookback_scan_determinismE0ELb1ES3_N6thrust23THRUST_200600_302600_NS10device_ptrIiEESB_SB_iNS9_4plusIvEENS9_8equal_toIvEEiEE10hipError_tPvRmT2_T3_T4_T5_mT6_T7_P12ihipStream_tbENKUlT_T0_E_clISt17integral_constantIbLb1EESV_IbLb0EEEEDaSR_SS_EUlSR_E_NS1_11comp_targetILNS1_3genE10ELNS1_11target_archE1201ELNS1_3gpuE5ELNS1_3repE0EEENS1_30default_config_static_selectorELNS0_4arch9wavefront6targetE0EEEvT1_.has_recursion, 0
	.set _ZN7rocprim17ROCPRIM_400000_NS6detail17trampoline_kernelINS0_14default_configENS1_27scan_by_key_config_selectorIiiEEZZNS1_16scan_by_key_implILNS1_25lookback_scan_determinismE0ELb1ES3_N6thrust23THRUST_200600_302600_NS10device_ptrIiEESB_SB_iNS9_4plusIvEENS9_8equal_toIvEEiEE10hipError_tPvRmT2_T3_T4_T5_mT6_T7_P12ihipStream_tbENKUlT_T0_E_clISt17integral_constantIbLb1EESV_IbLb0EEEEDaSR_SS_EUlSR_E_NS1_11comp_targetILNS1_3genE10ELNS1_11target_archE1201ELNS1_3gpuE5ELNS1_3repE0EEENS1_30default_config_static_selectorELNS0_4arch9wavefront6targetE0EEEvT1_.has_indirect_call, 0
	.section	.AMDGPU.csdata,"",@progbits
; Kernel info:
; codeLenInByte = 0
; TotalNumSgprs: 0
; NumVgprs: 0
; ScratchSize: 0
; MemoryBound: 0
; FloatMode: 240
; IeeeMode: 1
; LDSByteSize: 0 bytes/workgroup (compile time only)
; SGPRBlocks: 0
; VGPRBlocks: 0
; NumSGPRsForWavesPerEU: 1
; NumVGPRsForWavesPerEU: 1
; Occupancy: 16
; WaveLimiterHint : 0
; COMPUTE_PGM_RSRC2:SCRATCH_EN: 0
; COMPUTE_PGM_RSRC2:USER_SGPR: 6
; COMPUTE_PGM_RSRC2:TRAP_HANDLER: 0
; COMPUTE_PGM_RSRC2:TGID_X_EN: 1
; COMPUTE_PGM_RSRC2:TGID_Y_EN: 0
; COMPUTE_PGM_RSRC2:TGID_Z_EN: 0
; COMPUTE_PGM_RSRC2:TIDIG_COMP_CNT: 0
	.section	.text._ZN7rocprim17ROCPRIM_400000_NS6detail17trampoline_kernelINS0_14default_configENS1_27scan_by_key_config_selectorIiiEEZZNS1_16scan_by_key_implILNS1_25lookback_scan_determinismE0ELb1ES3_N6thrust23THRUST_200600_302600_NS10device_ptrIiEESB_SB_iNS9_4plusIvEENS9_8equal_toIvEEiEE10hipError_tPvRmT2_T3_T4_T5_mT6_T7_P12ihipStream_tbENKUlT_T0_E_clISt17integral_constantIbLb1EESV_IbLb0EEEEDaSR_SS_EUlSR_E_NS1_11comp_targetILNS1_3genE5ELNS1_11target_archE942ELNS1_3gpuE9ELNS1_3repE0EEENS1_30default_config_static_selectorELNS0_4arch9wavefront6targetE0EEEvT1_,"axG",@progbits,_ZN7rocprim17ROCPRIM_400000_NS6detail17trampoline_kernelINS0_14default_configENS1_27scan_by_key_config_selectorIiiEEZZNS1_16scan_by_key_implILNS1_25lookback_scan_determinismE0ELb1ES3_N6thrust23THRUST_200600_302600_NS10device_ptrIiEESB_SB_iNS9_4plusIvEENS9_8equal_toIvEEiEE10hipError_tPvRmT2_T3_T4_T5_mT6_T7_P12ihipStream_tbENKUlT_T0_E_clISt17integral_constantIbLb1EESV_IbLb0EEEEDaSR_SS_EUlSR_E_NS1_11comp_targetILNS1_3genE5ELNS1_11target_archE942ELNS1_3gpuE9ELNS1_3repE0EEENS1_30default_config_static_selectorELNS0_4arch9wavefront6targetE0EEEvT1_,comdat
	.protected	_ZN7rocprim17ROCPRIM_400000_NS6detail17trampoline_kernelINS0_14default_configENS1_27scan_by_key_config_selectorIiiEEZZNS1_16scan_by_key_implILNS1_25lookback_scan_determinismE0ELb1ES3_N6thrust23THRUST_200600_302600_NS10device_ptrIiEESB_SB_iNS9_4plusIvEENS9_8equal_toIvEEiEE10hipError_tPvRmT2_T3_T4_T5_mT6_T7_P12ihipStream_tbENKUlT_T0_E_clISt17integral_constantIbLb1EESV_IbLb0EEEEDaSR_SS_EUlSR_E_NS1_11comp_targetILNS1_3genE5ELNS1_11target_archE942ELNS1_3gpuE9ELNS1_3repE0EEENS1_30default_config_static_selectorELNS0_4arch9wavefront6targetE0EEEvT1_ ; -- Begin function _ZN7rocprim17ROCPRIM_400000_NS6detail17trampoline_kernelINS0_14default_configENS1_27scan_by_key_config_selectorIiiEEZZNS1_16scan_by_key_implILNS1_25lookback_scan_determinismE0ELb1ES3_N6thrust23THRUST_200600_302600_NS10device_ptrIiEESB_SB_iNS9_4plusIvEENS9_8equal_toIvEEiEE10hipError_tPvRmT2_T3_T4_T5_mT6_T7_P12ihipStream_tbENKUlT_T0_E_clISt17integral_constantIbLb1EESV_IbLb0EEEEDaSR_SS_EUlSR_E_NS1_11comp_targetILNS1_3genE5ELNS1_11target_archE942ELNS1_3gpuE9ELNS1_3repE0EEENS1_30default_config_static_selectorELNS0_4arch9wavefront6targetE0EEEvT1_
	.globl	_ZN7rocprim17ROCPRIM_400000_NS6detail17trampoline_kernelINS0_14default_configENS1_27scan_by_key_config_selectorIiiEEZZNS1_16scan_by_key_implILNS1_25lookback_scan_determinismE0ELb1ES3_N6thrust23THRUST_200600_302600_NS10device_ptrIiEESB_SB_iNS9_4plusIvEENS9_8equal_toIvEEiEE10hipError_tPvRmT2_T3_T4_T5_mT6_T7_P12ihipStream_tbENKUlT_T0_E_clISt17integral_constantIbLb1EESV_IbLb0EEEEDaSR_SS_EUlSR_E_NS1_11comp_targetILNS1_3genE5ELNS1_11target_archE942ELNS1_3gpuE9ELNS1_3repE0EEENS1_30default_config_static_selectorELNS0_4arch9wavefront6targetE0EEEvT1_
	.p2align	8
	.type	_ZN7rocprim17ROCPRIM_400000_NS6detail17trampoline_kernelINS0_14default_configENS1_27scan_by_key_config_selectorIiiEEZZNS1_16scan_by_key_implILNS1_25lookback_scan_determinismE0ELb1ES3_N6thrust23THRUST_200600_302600_NS10device_ptrIiEESB_SB_iNS9_4plusIvEENS9_8equal_toIvEEiEE10hipError_tPvRmT2_T3_T4_T5_mT6_T7_P12ihipStream_tbENKUlT_T0_E_clISt17integral_constantIbLb1EESV_IbLb0EEEEDaSR_SS_EUlSR_E_NS1_11comp_targetILNS1_3genE5ELNS1_11target_archE942ELNS1_3gpuE9ELNS1_3repE0EEENS1_30default_config_static_selectorELNS0_4arch9wavefront6targetE0EEEvT1_,@function
_ZN7rocprim17ROCPRIM_400000_NS6detail17trampoline_kernelINS0_14default_configENS1_27scan_by_key_config_selectorIiiEEZZNS1_16scan_by_key_implILNS1_25lookback_scan_determinismE0ELb1ES3_N6thrust23THRUST_200600_302600_NS10device_ptrIiEESB_SB_iNS9_4plusIvEENS9_8equal_toIvEEiEE10hipError_tPvRmT2_T3_T4_T5_mT6_T7_P12ihipStream_tbENKUlT_T0_E_clISt17integral_constantIbLb1EESV_IbLb0EEEEDaSR_SS_EUlSR_E_NS1_11comp_targetILNS1_3genE5ELNS1_11target_archE942ELNS1_3gpuE9ELNS1_3repE0EEENS1_30default_config_static_selectorELNS0_4arch9wavefront6targetE0EEEvT1_: ; @_ZN7rocprim17ROCPRIM_400000_NS6detail17trampoline_kernelINS0_14default_configENS1_27scan_by_key_config_selectorIiiEEZZNS1_16scan_by_key_implILNS1_25lookback_scan_determinismE0ELb1ES3_N6thrust23THRUST_200600_302600_NS10device_ptrIiEESB_SB_iNS9_4plusIvEENS9_8equal_toIvEEiEE10hipError_tPvRmT2_T3_T4_T5_mT6_T7_P12ihipStream_tbENKUlT_T0_E_clISt17integral_constantIbLb1EESV_IbLb0EEEEDaSR_SS_EUlSR_E_NS1_11comp_targetILNS1_3genE5ELNS1_11target_archE942ELNS1_3gpuE9ELNS1_3repE0EEENS1_30default_config_static_selectorELNS0_4arch9wavefront6targetE0EEEvT1_
; %bb.0:
	.section	.rodata,"a",@progbits
	.p2align	6, 0x0
	.amdhsa_kernel _ZN7rocprim17ROCPRIM_400000_NS6detail17trampoline_kernelINS0_14default_configENS1_27scan_by_key_config_selectorIiiEEZZNS1_16scan_by_key_implILNS1_25lookback_scan_determinismE0ELb1ES3_N6thrust23THRUST_200600_302600_NS10device_ptrIiEESB_SB_iNS9_4plusIvEENS9_8equal_toIvEEiEE10hipError_tPvRmT2_T3_T4_T5_mT6_T7_P12ihipStream_tbENKUlT_T0_E_clISt17integral_constantIbLb1EESV_IbLb0EEEEDaSR_SS_EUlSR_E_NS1_11comp_targetILNS1_3genE5ELNS1_11target_archE942ELNS1_3gpuE9ELNS1_3repE0EEENS1_30default_config_static_selectorELNS0_4arch9wavefront6targetE0EEEvT1_
		.amdhsa_group_segment_fixed_size 0
		.amdhsa_private_segment_fixed_size 0
		.amdhsa_kernarg_size 112
		.amdhsa_user_sgpr_count 6
		.amdhsa_user_sgpr_private_segment_buffer 1
		.amdhsa_user_sgpr_dispatch_ptr 0
		.amdhsa_user_sgpr_queue_ptr 0
		.amdhsa_user_sgpr_kernarg_segment_ptr 1
		.amdhsa_user_sgpr_dispatch_id 0
		.amdhsa_user_sgpr_flat_scratch_init 0
		.amdhsa_user_sgpr_private_segment_size 0
		.amdhsa_wavefront_size32 1
		.amdhsa_uses_dynamic_stack 0
		.amdhsa_system_sgpr_private_segment_wavefront_offset 0
		.amdhsa_system_sgpr_workgroup_id_x 1
		.amdhsa_system_sgpr_workgroup_id_y 0
		.amdhsa_system_sgpr_workgroup_id_z 0
		.amdhsa_system_sgpr_workgroup_info 0
		.amdhsa_system_vgpr_workitem_id 0
		.amdhsa_next_free_vgpr 1
		.amdhsa_next_free_sgpr 1
		.amdhsa_reserve_vcc 0
		.amdhsa_reserve_flat_scratch 0
		.amdhsa_float_round_mode_32 0
		.amdhsa_float_round_mode_16_64 0
		.amdhsa_float_denorm_mode_32 3
		.amdhsa_float_denorm_mode_16_64 3
		.amdhsa_dx10_clamp 1
		.amdhsa_ieee_mode 1
		.amdhsa_fp16_overflow 0
		.amdhsa_workgroup_processor_mode 1
		.amdhsa_memory_ordered 1
		.amdhsa_forward_progress 1
		.amdhsa_shared_vgpr_count 0
		.amdhsa_exception_fp_ieee_invalid_op 0
		.amdhsa_exception_fp_denorm_src 0
		.amdhsa_exception_fp_ieee_div_zero 0
		.amdhsa_exception_fp_ieee_overflow 0
		.amdhsa_exception_fp_ieee_underflow 0
		.amdhsa_exception_fp_ieee_inexact 0
		.amdhsa_exception_int_div_zero 0
	.end_amdhsa_kernel
	.section	.text._ZN7rocprim17ROCPRIM_400000_NS6detail17trampoline_kernelINS0_14default_configENS1_27scan_by_key_config_selectorIiiEEZZNS1_16scan_by_key_implILNS1_25lookback_scan_determinismE0ELb1ES3_N6thrust23THRUST_200600_302600_NS10device_ptrIiEESB_SB_iNS9_4plusIvEENS9_8equal_toIvEEiEE10hipError_tPvRmT2_T3_T4_T5_mT6_T7_P12ihipStream_tbENKUlT_T0_E_clISt17integral_constantIbLb1EESV_IbLb0EEEEDaSR_SS_EUlSR_E_NS1_11comp_targetILNS1_3genE5ELNS1_11target_archE942ELNS1_3gpuE9ELNS1_3repE0EEENS1_30default_config_static_selectorELNS0_4arch9wavefront6targetE0EEEvT1_,"axG",@progbits,_ZN7rocprim17ROCPRIM_400000_NS6detail17trampoline_kernelINS0_14default_configENS1_27scan_by_key_config_selectorIiiEEZZNS1_16scan_by_key_implILNS1_25lookback_scan_determinismE0ELb1ES3_N6thrust23THRUST_200600_302600_NS10device_ptrIiEESB_SB_iNS9_4plusIvEENS9_8equal_toIvEEiEE10hipError_tPvRmT2_T3_T4_T5_mT6_T7_P12ihipStream_tbENKUlT_T0_E_clISt17integral_constantIbLb1EESV_IbLb0EEEEDaSR_SS_EUlSR_E_NS1_11comp_targetILNS1_3genE5ELNS1_11target_archE942ELNS1_3gpuE9ELNS1_3repE0EEENS1_30default_config_static_selectorELNS0_4arch9wavefront6targetE0EEEvT1_,comdat
.Lfunc_end2253:
	.size	_ZN7rocprim17ROCPRIM_400000_NS6detail17trampoline_kernelINS0_14default_configENS1_27scan_by_key_config_selectorIiiEEZZNS1_16scan_by_key_implILNS1_25lookback_scan_determinismE0ELb1ES3_N6thrust23THRUST_200600_302600_NS10device_ptrIiEESB_SB_iNS9_4plusIvEENS9_8equal_toIvEEiEE10hipError_tPvRmT2_T3_T4_T5_mT6_T7_P12ihipStream_tbENKUlT_T0_E_clISt17integral_constantIbLb1EESV_IbLb0EEEEDaSR_SS_EUlSR_E_NS1_11comp_targetILNS1_3genE5ELNS1_11target_archE942ELNS1_3gpuE9ELNS1_3repE0EEENS1_30default_config_static_selectorELNS0_4arch9wavefront6targetE0EEEvT1_, .Lfunc_end2253-_ZN7rocprim17ROCPRIM_400000_NS6detail17trampoline_kernelINS0_14default_configENS1_27scan_by_key_config_selectorIiiEEZZNS1_16scan_by_key_implILNS1_25lookback_scan_determinismE0ELb1ES3_N6thrust23THRUST_200600_302600_NS10device_ptrIiEESB_SB_iNS9_4plusIvEENS9_8equal_toIvEEiEE10hipError_tPvRmT2_T3_T4_T5_mT6_T7_P12ihipStream_tbENKUlT_T0_E_clISt17integral_constantIbLb1EESV_IbLb0EEEEDaSR_SS_EUlSR_E_NS1_11comp_targetILNS1_3genE5ELNS1_11target_archE942ELNS1_3gpuE9ELNS1_3repE0EEENS1_30default_config_static_selectorELNS0_4arch9wavefront6targetE0EEEvT1_
                                        ; -- End function
	.set _ZN7rocprim17ROCPRIM_400000_NS6detail17trampoline_kernelINS0_14default_configENS1_27scan_by_key_config_selectorIiiEEZZNS1_16scan_by_key_implILNS1_25lookback_scan_determinismE0ELb1ES3_N6thrust23THRUST_200600_302600_NS10device_ptrIiEESB_SB_iNS9_4plusIvEENS9_8equal_toIvEEiEE10hipError_tPvRmT2_T3_T4_T5_mT6_T7_P12ihipStream_tbENKUlT_T0_E_clISt17integral_constantIbLb1EESV_IbLb0EEEEDaSR_SS_EUlSR_E_NS1_11comp_targetILNS1_3genE5ELNS1_11target_archE942ELNS1_3gpuE9ELNS1_3repE0EEENS1_30default_config_static_selectorELNS0_4arch9wavefront6targetE0EEEvT1_.num_vgpr, 0
	.set _ZN7rocprim17ROCPRIM_400000_NS6detail17trampoline_kernelINS0_14default_configENS1_27scan_by_key_config_selectorIiiEEZZNS1_16scan_by_key_implILNS1_25lookback_scan_determinismE0ELb1ES3_N6thrust23THRUST_200600_302600_NS10device_ptrIiEESB_SB_iNS9_4plusIvEENS9_8equal_toIvEEiEE10hipError_tPvRmT2_T3_T4_T5_mT6_T7_P12ihipStream_tbENKUlT_T0_E_clISt17integral_constantIbLb1EESV_IbLb0EEEEDaSR_SS_EUlSR_E_NS1_11comp_targetILNS1_3genE5ELNS1_11target_archE942ELNS1_3gpuE9ELNS1_3repE0EEENS1_30default_config_static_selectorELNS0_4arch9wavefront6targetE0EEEvT1_.num_agpr, 0
	.set _ZN7rocprim17ROCPRIM_400000_NS6detail17trampoline_kernelINS0_14default_configENS1_27scan_by_key_config_selectorIiiEEZZNS1_16scan_by_key_implILNS1_25lookback_scan_determinismE0ELb1ES3_N6thrust23THRUST_200600_302600_NS10device_ptrIiEESB_SB_iNS9_4plusIvEENS9_8equal_toIvEEiEE10hipError_tPvRmT2_T3_T4_T5_mT6_T7_P12ihipStream_tbENKUlT_T0_E_clISt17integral_constantIbLb1EESV_IbLb0EEEEDaSR_SS_EUlSR_E_NS1_11comp_targetILNS1_3genE5ELNS1_11target_archE942ELNS1_3gpuE9ELNS1_3repE0EEENS1_30default_config_static_selectorELNS0_4arch9wavefront6targetE0EEEvT1_.numbered_sgpr, 0
	.set _ZN7rocprim17ROCPRIM_400000_NS6detail17trampoline_kernelINS0_14default_configENS1_27scan_by_key_config_selectorIiiEEZZNS1_16scan_by_key_implILNS1_25lookback_scan_determinismE0ELb1ES3_N6thrust23THRUST_200600_302600_NS10device_ptrIiEESB_SB_iNS9_4plusIvEENS9_8equal_toIvEEiEE10hipError_tPvRmT2_T3_T4_T5_mT6_T7_P12ihipStream_tbENKUlT_T0_E_clISt17integral_constantIbLb1EESV_IbLb0EEEEDaSR_SS_EUlSR_E_NS1_11comp_targetILNS1_3genE5ELNS1_11target_archE942ELNS1_3gpuE9ELNS1_3repE0EEENS1_30default_config_static_selectorELNS0_4arch9wavefront6targetE0EEEvT1_.num_named_barrier, 0
	.set _ZN7rocprim17ROCPRIM_400000_NS6detail17trampoline_kernelINS0_14default_configENS1_27scan_by_key_config_selectorIiiEEZZNS1_16scan_by_key_implILNS1_25lookback_scan_determinismE0ELb1ES3_N6thrust23THRUST_200600_302600_NS10device_ptrIiEESB_SB_iNS9_4plusIvEENS9_8equal_toIvEEiEE10hipError_tPvRmT2_T3_T4_T5_mT6_T7_P12ihipStream_tbENKUlT_T0_E_clISt17integral_constantIbLb1EESV_IbLb0EEEEDaSR_SS_EUlSR_E_NS1_11comp_targetILNS1_3genE5ELNS1_11target_archE942ELNS1_3gpuE9ELNS1_3repE0EEENS1_30default_config_static_selectorELNS0_4arch9wavefront6targetE0EEEvT1_.private_seg_size, 0
	.set _ZN7rocprim17ROCPRIM_400000_NS6detail17trampoline_kernelINS0_14default_configENS1_27scan_by_key_config_selectorIiiEEZZNS1_16scan_by_key_implILNS1_25lookback_scan_determinismE0ELb1ES3_N6thrust23THRUST_200600_302600_NS10device_ptrIiEESB_SB_iNS9_4plusIvEENS9_8equal_toIvEEiEE10hipError_tPvRmT2_T3_T4_T5_mT6_T7_P12ihipStream_tbENKUlT_T0_E_clISt17integral_constantIbLb1EESV_IbLb0EEEEDaSR_SS_EUlSR_E_NS1_11comp_targetILNS1_3genE5ELNS1_11target_archE942ELNS1_3gpuE9ELNS1_3repE0EEENS1_30default_config_static_selectorELNS0_4arch9wavefront6targetE0EEEvT1_.uses_vcc, 0
	.set _ZN7rocprim17ROCPRIM_400000_NS6detail17trampoline_kernelINS0_14default_configENS1_27scan_by_key_config_selectorIiiEEZZNS1_16scan_by_key_implILNS1_25lookback_scan_determinismE0ELb1ES3_N6thrust23THRUST_200600_302600_NS10device_ptrIiEESB_SB_iNS9_4plusIvEENS9_8equal_toIvEEiEE10hipError_tPvRmT2_T3_T4_T5_mT6_T7_P12ihipStream_tbENKUlT_T0_E_clISt17integral_constantIbLb1EESV_IbLb0EEEEDaSR_SS_EUlSR_E_NS1_11comp_targetILNS1_3genE5ELNS1_11target_archE942ELNS1_3gpuE9ELNS1_3repE0EEENS1_30default_config_static_selectorELNS0_4arch9wavefront6targetE0EEEvT1_.uses_flat_scratch, 0
	.set _ZN7rocprim17ROCPRIM_400000_NS6detail17trampoline_kernelINS0_14default_configENS1_27scan_by_key_config_selectorIiiEEZZNS1_16scan_by_key_implILNS1_25lookback_scan_determinismE0ELb1ES3_N6thrust23THRUST_200600_302600_NS10device_ptrIiEESB_SB_iNS9_4plusIvEENS9_8equal_toIvEEiEE10hipError_tPvRmT2_T3_T4_T5_mT6_T7_P12ihipStream_tbENKUlT_T0_E_clISt17integral_constantIbLb1EESV_IbLb0EEEEDaSR_SS_EUlSR_E_NS1_11comp_targetILNS1_3genE5ELNS1_11target_archE942ELNS1_3gpuE9ELNS1_3repE0EEENS1_30default_config_static_selectorELNS0_4arch9wavefront6targetE0EEEvT1_.has_dyn_sized_stack, 0
	.set _ZN7rocprim17ROCPRIM_400000_NS6detail17trampoline_kernelINS0_14default_configENS1_27scan_by_key_config_selectorIiiEEZZNS1_16scan_by_key_implILNS1_25lookback_scan_determinismE0ELb1ES3_N6thrust23THRUST_200600_302600_NS10device_ptrIiEESB_SB_iNS9_4plusIvEENS9_8equal_toIvEEiEE10hipError_tPvRmT2_T3_T4_T5_mT6_T7_P12ihipStream_tbENKUlT_T0_E_clISt17integral_constantIbLb1EESV_IbLb0EEEEDaSR_SS_EUlSR_E_NS1_11comp_targetILNS1_3genE5ELNS1_11target_archE942ELNS1_3gpuE9ELNS1_3repE0EEENS1_30default_config_static_selectorELNS0_4arch9wavefront6targetE0EEEvT1_.has_recursion, 0
	.set _ZN7rocprim17ROCPRIM_400000_NS6detail17trampoline_kernelINS0_14default_configENS1_27scan_by_key_config_selectorIiiEEZZNS1_16scan_by_key_implILNS1_25lookback_scan_determinismE0ELb1ES3_N6thrust23THRUST_200600_302600_NS10device_ptrIiEESB_SB_iNS9_4plusIvEENS9_8equal_toIvEEiEE10hipError_tPvRmT2_T3_T4_T5_mT6_T7_P12ihipStream_tbENKUlT_T0_E_clISt17integral_constantIbLb1EESV_IbLb0EEEEDaSR_SS_EUlSR_E_NS1_11comp_targetILNS1_3genE5ELNS1_11target_archE942ELNS1_3gpuE9ELNS1_3repE0EEENS1_30default_config_static_selectorELNS0_4arch9wavefront6targetE0EEEvT1_.has_indirect_call, 0
	.section	.AMDGPU.csdata,"",@progbits
; Kernel info:
; codeLenInByte = 0
; TotalNumSgprs: 0
; NumVgprs: 0
; ScratchSize: 0
; MemoryBound: 0
; FloatMode: 240
; IeeeMode: 1
; LDSByteSize: 0 bytes/workgroup (compile time only)
; SGPRBlocks: 0
; VGPRBlocks: 0
; NumSGPRsForWavesPerEU: 1
; NumVGPRsForWavesPerEU: 1
; Occupancy: 16
; WaveLimiterHint : 0
; COMPUTE_PGM_RSRC2:SCRATCH_EN: 0
; COMPUTE_PGM_RSRC2:USER_SGPR: 6
; COMPUTE_PGM_RSRC2:TRAP_HANDLER: 0
; COMPUTE_PGM_RSRC2:TGID_X_EN: 1
; COMPUTE_PGM_RSRC2:TGID_Y_EN: 0
; COMPUTE_PGM_RSRC2:TGID_Z_EN: 0
; COMPUTE_PGM_RSRC2:TIDIG_COMP_CNT: 0
	.section	.text._ZN7rocprim17ROCPRIM_400000_NS6detail17trampoline_kernelINS0_14default_configENS1_27scan_by_key_config_selectorIiiEEZZNS1_16scan_by_key_implILNS1_25lookback_scan_determinismE0ELb1ES3_N6thrust23THRUST_200600_302600_NS10device_ptrIiEESB_SB_iNS9_4plusIvEENS9_8equal_toIvEEiEE10hipError_tPvRmT2_T3_T4_T5_mT6_T7_P12ihipStream_tbENKUlT_T0_E_clISt17integral_constantIbLb1EESV_IbLb0EEEEDaSR_SS_EUlSR_E_NS1_11comp_targetILNS1_3genE4ELNS1_11target_archE910ELNS1_3gpuE8ELNS1_3repE0EEENS1_30default_config_static_selectorELNS0_4arch9wavefront6targetE0EEEvT1_,"axG",@progbits,_ZN7rocprim17ROCPRIM_400000_NS6detail17trampoline_kernelINS0_14default_configENS1_27scan_by_key_config_selectorIiiEEZZNS1_16scan_by_key_implILNS1_25lookback_scan_determinismE0ELb1ES3_N6thrust23THRUST_200600_302600_NS10device_ptrIiEESB_SB_iNS9_4plusIvEENS9_8equal_toIvEEiEE10hipError_tPvRmT2_T3_T4_T5_mT6_T7_P12ihipStream_tbENKUlT_T0_E_clISt17integral_constantIbLb1EESV_IbLb0EEEEDaSR_SS_EUlSR_E_NS1_11comp_targetILNS1_3genE4ELNS1_11target_archE910ELNS1_3gpuE8ELNS1_3repE0EEENS1_30default_config_static_selectorELNS0_4arch9wavefront6targetE0EEEvT1_,comdat
	.protected	_ZN7rocprim17ROCPRIM_400000_NS6detail17trampoline_kernelINS0_14default_configENS1_27scan_by_key_config_selectorIiiEEZZNS1_16scan_by_key_implILNS1_25lookback_scan_determinismE0ELb1ES3_N6thrust23THRUST_200600_302600_NS10device_ptrIiEESB_SB_iNS9_4plusIvEENS9_8equal_toIvEEiEE10hipError_tPvRmT2_T3_T4_T5_mT6_T7_P12ihipStream_tbENKUlT_T0_E_clISt17integral_constantIbLb1EESV_IbLb0EEEEDaSR_SS_EUlSR_E_NS1_11comp_targetILNS1_3genE4ELNS1_11target_archE910ELNS1_3gpuE8ELNS1_3repE0EEENS1_30default_config_static_selectorELNS0_4arch9wavefront6targetE0EEEvT1_ ; -- Begin function _ZN7rocprim17ROCPRIM_400000_NS6detail17trampoline_kernelINS0_14default_configENS1_27scan_by_key_config_selectorIiiEEZZNS1_16scan_by_key_implILNS1_25lookback_scan_determinismE0ELb1ES3_N6thrust23THRUST_200600_302600_NS10device_ptrIiEESB_SB_iNS9_4plusIvEENS9_8equal_toIvEEiEE10hipError_tPvRmT2_T3_T4_T5_mT6_T7_P12ihipStream_tbENKUlT_T0_E_clISt17integral_constantIbLb1EESV_IbLb0EEEEDaSR_SS_EUlSR_E_NS1_11comp_targetILNS1_3genE4ELNS1_11target_archE910ELNS1_3gpuE8ELNS1_3repE0EEENS1_30default_config_static_selectorELNS0_4arch9wavefront6targetE0EEEvT1_
	.globl	_ZN7rocprim17ROCPRIM_400000_NS6detail17trampoline_kernelINS0_14default_configENS1_27scan_by_key_config_selectorIiiEEZZNS1_16scan_by_key_implILNS1_25lookback_scan_determinismE0ELb1ES3_N6thrust23THRUST_200600_302600_NS10device_ptrIiEESB_SB_iNS9_4plusIvEENS9_8equal_toIvEEiEE10hipError_tPvRmT2_T3_T4_T5_mT6_T7_P12ihipStream_tbENKUlT_T0_E_clISt17integral_constantIbLb1EESV_IbLb0EEEEDaSR_SS_EUlSR_E_NS1_11comp_targetILNS1_3genE4ELNS1_11target_archE910ELNS1_3gpuE8ELNS1_3repE0EEENS1_30default_config_static_selectorELNS0_4arch9wavefront6targetE0EEEvT1_
	.p2align	8
	.type	_ZN7rocprim17ROCPRIM_400000_NS6detail17trampoline_kernelINS0_14default_configENS1_27scan_by_key_config_selectorIiiEEZZNS1_16scan_by_key_implILNS1_25lookback_scan_determinismE0ELb1ES3_N6thrust23THRUST_200600_302600_NS10device_ptrIiEESB_SB_iNS9_4plusIvEENS9_8equal_toIvEEiEE10hipError_tPvRmT2_T3_T4_T5_mT6_T7_P12ihipStream_tbENKUlT_T0_E_clISt17integral_constantIbLb1EESV_IbLb0EEEEDaSR_SS_EUlSR_E_NS1_11comp_targetILNS1_3genE4ELNS1_11target_archE910ELNS1_3gpuE8ELNS1_3repE0EEENS1_30default_config_static_selectorELNS0_4arch9wavefront6targetE0EEEvT1_,@function
_ZN7rocprim17ROCPRIM_400000_NS6detail17trampoline_kernelINS0_14default_configENS1_27scan_by_key_config_selectorIiiEEZZNS1_16scan_by_key_implILNS1_25lookback_scan_determinismE0ELb1ES3_N6thrust23THRUST_200600_302600_NS10device_ptrIiEESB_SB_iNS9_4plusIvEENS9_8equal_toIvEEiEE10hipError_tPvRmT2_T3_T4_T5_mT6_T7_P12ihipStream_tbENKUlT_T0_E_clISt17integral_constantIbLb1EESV_IbLb0EEEEDaSR_SS_EUlSR_E_NS1_11comp_targetILNS1_3genE4ELNS1_11target_archE910ELNS1_3gpuE8ELNS1_3repE0EEENS1_30default_config_static_selectorELNS0_4arch9wavefront6targetE0EEEvT1_: ; @_ZN7rocprim17ROCPRIM_400000_NS6detail17trampoline_kernelINS0_14default_configENS1_27scan_by_key_config_selectorIiiEEZZNS1_16scan_by_key_implILNS1_25lookback_scan_determinismE0ELb1ES3_N6thrust23THRUST_200600_302600_NS10device_ptrIiEESB_SB_iNS9_4plusIvEENS9_8equal_toIvEEiEE10hipError_tPvRmT2_T3_T4_T5_mT6_T7_P12ihipStream_tbENKUlT_T0_E_clISt17integral_constantIbLb1EESV_IbLb0EEEEDaSR_SS_EUlSR_E_NS1_11comp_targetILNS1_3genE4ELNS1_11target_archE910ELNS1_3gpuE8ELNS1_3repE0EEENS1_30default_config_static_selectorELNS0_4arch9wavefront6targetE0EEEvT1_
; %bb.0:
	.section	.rodata,"a",@progbits
	.p2align	6, 0x0
	.amdhsa_kernel _ZN7rocprim17ROCPRIM_400000_NS6detail17trampoline_kernelINS0_14default_configENS1_27scan_by_key_config_selectorIiiEEZZNS1_16scan_by_key_implILNS1_25lookback_scan_determinismE0ELb1ES3_N6thrust23THRUST_200600_302600_NS10device_ptrIiEESB_SB_iNS9_4plusIvEENS9_8equal_toIvEEiEE10hipError_tPvRmT2_T3_T4_T5_mT6_T7_P12ihipStream_tbENKUlT_T0_E_clISt17integral_constantIbLb1EESV_IbLb0EEEEDaSR_SS_EUlSR_E_NS1_11comp_targetILNS1_3genE4ELNS1_11target_archE910ELNS1_3gpuE8ELNS1_3repE0EEENS1_30default_config_static_selectorELNS0_4arch9wavefront6targetE0EEEvT1_
		.amdhsa_group_segment_fixed_size 0
		.amdhsa_private_segment_fixed_size 0
		.amdhsa_kernarg_size 112
		.amdhsa_user_sgpr_count 6
		.amdhsa_user_sgpr_private_segment_buffer 1
		.amdhsa_user_sgpr_dispatch_ptr 0
		.amdhsa_user_sgpr_queue_ptr 0
		.amdhsa_user_sgpr_kernarg_segment_ptr 1
		.amdhsa_user_sgpr_dispatch_id 0
		.amdhsa_user_sgpr_flat_scratch_init 0
		.amdhsa_user_sgpr_private_segment_size 0
		.amdhsa_wavefront_size32 1
		.amdhsa_uses_dynamic_stack 0
		.amdhsa_system_sgpr_private_segment_wavefront_offset 0
		.amdhsa_system_sgpr_workgroup_id_x 1
		.amdhsa_system_sgpr_workgroup_id_y 0
		.amdhsa_system_sgpr_workgroup_id_z 0
		.amdhsa_system_sgpr_workgroup_info 0
		.amdhsa_system_vgpr_workitem_id 0
		.amdhsa_next_free_vgpr 1
		.amdhsa_next_free_sgpr 1
		.amdhsa_reserve_vcc 0
		.amdhsa_reserve_flat_scratch 0
		.amdhsa_float_round_mode_32 0
		.amdhsa_float_round_mode_16_64 0
		.amdhsa_float_denorm_mode_32 3
		.amdhsa_float_denorm_mode_16_64 3
		.amdhsa_dx10_clamp 1
		.amdhsa_ieee_mode 1
		.amdhsa_fp16_overflow 0
		.amdhsa_workgroup_processor_mode 1
		.amdhsa_memory_ordered 1
		.amdhsa_forward_progress 1
		.amdhsa_shared_vgpr_count 0
		.amdhsa_exception_fp_ieee_invalid_op 0
		.amdhsa_exception_fp_denorm_src 0
		.amdhsa_exception_fp_ieee_div_zero 0
		.amdhsa_exception_fp_ieee_overflow 0
		.amdhsa_exception_fp_ieee_underflow 0
		.amdhsa_exception_fp_ieee_inexact 0
		.amdhsa_exception_int_div_zero 0
	.end_amdhsa_kernel
	.section	.text._ZN7rocprim17ROCPRIM_400000_NS6detail17trampoline_kernelINS0_14default_configENS1_27scan_by_key_config_selectorIiiEEZZNS1_16scan_by_key_implILNS1_25lookback_scan_determinismE0ELb1ES3_N6thrust23THRUST_200600_302600_NS10device_ptrIiEESB_SB_iNS9_4plusIvEENS9_8equal_toIvEEiEE10hipError_tPvRmT2_T3_T4_T5_mT6_T7_P12ihipStream_tbENKUlT_T0_E_clISt17integral_constantIbLb1EESV_IbLb0EEEEDaSR_SS_EUlSR_E_NS1_11comp_targetILNS1_3genE4ELNS1_11target_archE910ELNS1_3gpuE8ELNS1_3repE0EEENS1_30default_config_static_selectorELNS0_4arch9wavefront6targetE0EEEvT1_,"axG",@progbits,_ZN7rocprim17ROCPRIM_400000_NS6detail17trampoline_kernelINS0_14default_configENS1_27scan_by_key_config_selectorIiiEEZZNS1_16scan_by_key_implILNS1_25lookback_scan_determinismE0ELb1ES3_N6thrust23THRUST_200600_302600_NS10device_ptrIiEESB_SB_iNS9_4plusIvEENS9_8equal_toIvEEiEE10hipError_tPvRmT2_T3_T4_T5_mT6_T7_P12ihipStream_tbENKUlT_T0_E_clISt17integral_constantIbLb1EESV_IbLb0EEEEDaSR_SS_EUlSR_E_NS1_11comp_targetILNS1_3genE4ELNS1_11target_archE910ELNS1_3gpuE8ELNS1_3repE0EEENS1_30default_config_static_selectorELNS0_4arch9wavefront6targetE0EEEvT1_,comdat
.Lfunc_end2254:
	.size	_ZN7rocprim17ROCPRIM_400000_NS6detail17trampoline_kernelINS0_14default_configENS1_27scan_by_key_config_selectorIiiEEZZNS1_16scan_by_key_implILNS1_25lookback_scan_determinismE0ELb1ES3_N6thrust23THRUST_200600_302600_NS10device_ptrIiEESB_SB_iNS9_4plusIvEENS9_8equal_toIvEEiEE10hipError_tPvRmT2_T3_T4_T5_mT6_T7_P12ihipStream_tbENKUlT_T0_E_clISt17integral_constantIbLb1EESV_IbLb0EEEEDaSR_SS_EUlSR_E_NS1_11comp_targetILNS1_3genE4ELNS1_11target_archE910ELNS1_3gpuE8ELNS1_3repE0EEENS1_30default_config_static_selectorELNS0_4arch9wavefront6targetE0EEEvT1_, .Lfunc_end2254-_ZN7rocprim17ROCPRIM_400000_NS6detail17trampoline_kernelINS0_14default_configENS1_27scan_by_key_config_selectorIiiEEZZNS1_16scan_by_key_implILNS1_25lookback_scan_determinismE0ELb1ES3_N6thrust23THRUST_200600_302600_NS10device_ptrIiEESB_SB_iNS9_4plusIvEENS9_8equal_toIvEEiEE10hipError_tPvRmT2_T3_T4_T5_mT6_T7_P12ihipStream_tbENKUlT_T0_E_clISt17integral_constantIbLb1EESV_IbLb0EEEEDaSR_SS_EUlSR_E_NS1_11comp_targetILNS1_3genE4ELNS1_11target_archE910ELNS1_3gpuE8ELNS1_3repE0EEENS1_30default_config_static_selectorELNS0_4arch9wavefront6targetE0EEEvT1_
                                        ; -- End function
	.set _ZN7rocprim17ROCPRIM_400000_NS6detail17trampoline_kernelINS0_14default_configENS1_27scan_by_key_config_selectorIiiEEZZNS1_16scan_by_key_implILNS1_25lookback_scan_determinismE0ELb1ES3_N6thrust23THRUST_200600_302600_NS10device_ptrIiEESB_SB_iNS9_4plusIvEENS9_8equal_toIvEEiEE10hipError_tPvRmT2_T3_T4_T5_mT6_T7_P12ihipStream_tbENKUlT_T0_E_clISt17integral_constantIbLb1EESV_IbLb0EEEEDaSR_SS_EUlSR_E_NS1_11comp_targetILNS1_3genE4ELNS1_11target_archE910ELNS1_3gpuE8ELNS1_3repE0EEENS1_30default_config_static_selectorELNS0_4arch9wavefront6targetE0EEEvT1_.num_vgpr, 0
	.set _ZN7rocprim17ROCPRIM_400000_NS6detail17trampoline_kernelINS0_14default_configENS1_27scan_by_key_config_selectorIiiEEZZNS1_16scan_by_key_implILNS1_25lookback_scan_determinismE0ELb1ES3_N6thrust23THRUST_200600_302600_NS10device_ptrIiEESB_SB_iNS9_4plusIvEENS9_8equal_toIvEEiEE10hipError_tPvRmT2_T3_T4_T5_mT6_T7_P12ihipStream_tbENKUlT_T0_E_clISt17integral_constantIbLb1EESV_IbLb0EEEEDaSR_SS_EUlSR_E_NS1_11comp_targetILNS1_3genE4ELNS1_11target_archE910ELNS1_3gpuE8ELNS1_3repE0EEENS1_30default_config_static_selectorELNS0_4arch9wavefront6targetE0EEEvT1_.num_agpr, 0
	.set _ZN7rocprim17ROCPRIM_400000_NS6detail17trampoline_kernelINS0_14default_configENS1_27scan_by_key_config_selectorIiiEEZZNS1_16scan_by_key_implILNS1_25lookback_scan_determinismE0ELb1ES3_N6thrust23THRUST_200600_302600_NS10device_ptrIiEESB_SB_iNS9_4plusIvEENS9_8equal_toIvEEiEE10hipError_tPvRmT2_T3_T4_T5_mT6_T7_P12ihipStream_tbENKUlT_T0_E_clISt17integral_constantIbLb1EESV_IbLb0EEEEDaSR_SS_EUlSR_E_NS1_11comp_targetILNS1_3genE4ELNS1_11target_archE910ELNS1_3gpuE8ELNS1_3repE0EEENS1_30default_config_static_selectorELNS0_4arch9wavefront6targetE0EEEvT1_.numbered_sgpr, 0
	.set _ZN7rocprim17ROCPRIM_400000_NS6detail17trampoline_kernelINS0_14default_configENS1_27scan_by_key_config_selectorIiiEEZZNS1_16scan_by_key_implILNS1_25lookback_scan_determinismE0ELb1ES3_N6thrust23THRUST_200600_302600_NS10device_ptrIiEESB_SB_iNS9_4plusIvEENS9_8equal_toIvEEiEE10hipError_tPvRmT2_T3_T4_T5_mT6_T7_P12ihipStream_tbENKUlT_T0_E_clISt17integral_constantIbLb1EESV_IbLb0EEEEDaSR_SS_EUlSR_E_NS1_11comp_targetILNS1_3genE4ELNS1_11target_archE910ELNS1_3gpuE8ELNS1_3repE0EEENS1_30default_config_static_selectorELNS0_4arch9wavefront6targetE0EEEvT1_.num_named_barrier, 0
	.set _ZN7rocprim17ROCPRIM_400000_NS6detail17trampoline_kernelINS0_14default_configENS1_27scan_by_key_config_selectorIiiEEZZNS1_16scan_by_key_implILNS1_25lookback_scan_determinismE0ELb1ES3_N6thrust23THRUST_200600_302600_NS10device_ptrIiEESB_SB_iNS9_4plusIvEENS9_8equal_toIvEEiEE10hipError_tPvRmT2_T3_T4_T5_mT6_T7_P12ihipStream_tbENKUlT_T0_E_clISt17integral_constantIbLb1EESV_IbLb0EEEEDaSR_SS_EUlSR_E_NS1_11comp_targetILNS1_3genE4ELNS1_11target_archE910ELNS1_3gpuE8ELNS1_3repE0EEENS1_30default_config_static_selectorELNS0_4arch9wavefront6targetE0EEEvT1_.private_seg_size, 0
	.set _ZN7rocprim17ROCPRIM_400000_NS6detail17trampoline_kernelINS0_14default_configENS1_27scan_by_key_config_selectorIiiEEZZNS1_16scan_by_key_implILNS1_25lookback_scan_determinismE0ELb1ES3_N6thrust23THRUST_200600_302600_NS10device_ptrIiEESB_SB_iNS9_4plusIvEENS9_8equal_toIvEEiEE10hipError_tPvRmT2_T3_T4_T5_mT6_T7_P12ihipStream_tbENKUlT_T0_E_clISt17integral_constantIbLb1EESV_IbLb0EEEEDaSR_SS_EUlSR_E_NS1_11comp_targetILNS1_3genE4ELNS1_11target_archE910ELNS1_3gpuE8ELNS1_3repE0EEENS1_30default_config_static_selectorELNS0_4arch9wavefront6targetE0EEEvT1_.uses_vcc, 0
	.set _ZN7rocprim17ROCPRIM_400000_NS6detail17trampoline_kernelINS0_14default_configENS1_27scan_by_key_config_selectorIiiEEZZNS1_16scan_by_key_implILNS1_25lookback_scan_determinismE0ELb1ES3_N6thrust23THRUST_200600_302600_NS10device_ptrIiEESB_SB_iNS9_4plusIvEENS9_8equal_toIvEEiEE10hipError_tPvRmT2_T3_T4_T5_mT6_T7_P12ihipStream_tbENKUlT_T0_E_clISt17integral_constantIbLb1EESV_IbLb0EEEEDaSR_SS_EUlSR_E_NS1_11comp_targetILNS1_3genE4ELNS1_11target_archE910ELNS1_3gpuE8ELNS1_3repE0EEENS1_30default_config_static_selectorELNS0_4arch9wavefront6targetE0EEEvT1_.uses_flat_scratch, 0
	.set _ZN7rocprim17ROCPRIM_400000_NS6detail17trampoline_kernelINS0_14default_configENS1_27scan_by_key_config_selectorIiiEEZZNS1_16scan_by_key_implILNS1_25lookback_scan_determinismE0ELb1ES3_N6thrust23THRUST_200600_302600_NS10device_ptrIiEESB_SB_iNS9_4plusIvEENS9_8equal_toIvEEiEE10hipError_tPvRmT2_T3_T4_T5_mT6_T7_P12ihipStream_tbENKUlT_T0_E_clISt17integral_constantIbLb1EESV_IbLb0EEEEDaSR_SS_EUlSR_E_NS1_11comp_targetILNS1_3genE4ELNS1_11target_archE910ELNS1_3gpuE8ELNS1_3repE0EEENS1_30default_config_static_selectorELNS0_4arch9wavefront6targetE0EEEvT1_.has_dyn_sized_stack, 0
	.set _ZN7rocprim17ROCPRIM_400000_NS6detail17trampoline_kernelINS0_14default_configENS1_27scan_by_key_config_selectorIiiEEZZNS1_16scan_by_key_implILNS1_25lookback_scan_determinismE0ELb1ES3_N6thrust23THRUST_200600_302600_NS10device_ptrIiEESB_SB_iNS9_4plusIvEENS9_8equal_toIvEEiEE10hipError_tPvRmT2_T3_T4_T5_mT6_T7_P12ihipStream_tbENKUlT_T0_E_clISt17integral_constantIbLb1EESV_IbLb0EEEEDaSR_SS_EUlSR_E_NS1_11comp_targetILNS1_3genE4ELNS1_11target_archE910ELNS1_3gpuE8ELNS1_3repE0EEENS1_30default_config_static_selectorELNS0_4arch9wavefront6targetE0EEEvT1_.has_recursion, 0
	.set _ZN7rocprim17ROCPRIM_400000_NS6detail17trampoline_kernelINS0_14default_configENS1_27scan_by_key_config_selectorIiiEEZZNS1_16scan_by_key_implILNS1_25lookback_scan_determinismE0ELb1ES3_N6thrust23THRUST_200600_302600_NS10device_ptrIiEESB_SB_iNS9_4plusIvEENS9_8equal_toIvEEiEE10hipError_tPvRmT2_T3_T4_T5_mT6_T7_P12ihipStream_tbENKUlT_T0_E_clISt17integral_constantIbLb1EESV_IbLb0EEEEDaSR_SS_EUlSR_E_NS1_11comp_targetILNS1_3genE4ELNS1_11target_archE910ELNS1_3gpuE8ELNS1_3repE0EEENS1_30default_config_static_selectorELNS0_4arch9wavefront6targetE0EEEvT1_.has_indirect_call, 0
	.section	.AMDGPU.csdata,"",@progbits
; Kernel info:
; codeLenInByte = 0
; TotalNumSgprs: 0
; NumVgprs: 0
; ScratchSize: 0
; MemoryBound: 0
; FloatMode: 240
; IeeeMode: 1
; LDSByteSize: 0 bytes/workgroup (compile time only)
; SGPRBlocks: 0
; VGPRBlocks: 0
; NumSGPRsForWavesPerEU: 1
; NumVGPRsForWavesPerEU: 1
; Occupancy: 16
; WaveLimiterHint : 0
; COMPUTE_PGM_RSRC2:SCRATCH_EN: 0
; COMPUTE_PGM_RSRC2:USER_SGPR: 6
; COMPUTE_PGM_RSRC2:TRAP_HANDLER: 0
; COMPUTE_PGM_RSRC2:TGID_X_EN: 1
; COMPUTE_PGM_RSRC2:TGID_Y_EN: 0
; COMPUTE_PGM_RSRC2:TGID_Z_EN: 0
; COMPUTE_PGM_RSRC2:TIDIG_COMP_CNT: 0
	.section	.text._ZN7rocprim17ROCPRIM_400000_NS6detail17trampoline_kernelINS0_14default_configENS1_27scan_by_key_config_selectorIiiEEZZNS1_16scan_by_key_implILNS1_25lookback_scan_determinismE0ELb1ES3_N6thrust23THRUST_200600_302600_NS10device_ptrIiEESB_SB_iNS9_4plusIvEENS9_8equal_toIvEEiEE10hipError_tPvRmT2_T3_T4_T5_mT6_T7_P12ihipStream_tbENKUlT_T0_E_clISt17integral_constantIbLb1EESV_IbLb0EEEEDaSR_SS_EUlSR_E_NS1_11comp_targetILNS1_3genE3ELNS1_11target_archE908ELNS1_3gpuE7ELNS1_3repE0EEENS1_30default_config_static_selectorELNS0_4arch9wavefront6targetE0EEEvT1_,"axG",@progbits,_ZN7rocprim17ROCPRIM_400000_NS6detail17trampoline_kernelINS0_14default_configENS1_27scan_by_key_config_selectorIiiEEZZNS1_16scan_by_key_implILNS1_25lookback_scan_determinismE0ELb1ES3_N6thrust23THRUST_200600_302600_NS10device_ptrIiEESB_SB_iNS9_4plusIvEENS9_8equal_toIvEEiEE10hipError_tPvRmT2_T3_T4_T5_mT6_T7_P12ihipStream_tbENKUlT_T0_E_clISt17integral_constantIbLb1EESV_IbLb0EEEEDaSR_SS_EUlSR_E_NS1_11comp_targetILNS1_3genE3ELNS1_11target_archE908ELNS1_3gpuE7ELNS1_3repE0EEENS1_30default_config_static_selectorELNS0_4arch9wavefront6targetE0EEEvT1_,comdat
	.protected	_ZN7rocprim17ROCPRIM_400000_NS6detail17trampoline_kernelINS0_14default_configENS1_27scan_by_key_config_selectorIiiEEZZNS1_16scan_by_key_implILNS1_25lookback_scan_determinismE0ELb1ES3_N6thrust23THRUST_200600_302600_NS10device_ptrIiEESB_SB_iNS9_4plusIvEENS9_8equal_toIvEEiEE10hipError_tPvRmT2_T3_T4_T5_mT6_T7_P12ihipStream_tbENKUlT_T0_E_clISt17integral_constantIbLb1EESV_IbLb0EEEEDaSR_SS_EUlSR_E_NS1_11comp_targetILNS1_3genE3ELNS1_11target_archE908ELNS1_3gpuE7ELNS1_3repE0EEENS1_30default_config_static_selectorELNS0_4arch9wavefront6targetE0EEEvT1_ ; -- Begin function _ZN7rocprim17ROCPRIM_400000_NS6detail17trampoline_kernelINS0_14default_configENS1_27scan_by_key_config_selectorIiiEEZZNS1_16scan_by_key_implILNS1_25lookback_scan_determinismE0ELb1ES3_N6thrust23THRUST_200600_302600_NS10device_ptrIiEESB_SB_iNS9_4plusIvEENS9_8equal_toIvEEiEE10hipError_tPvRmT2_T3_T4_T5_mT6_T7_P12ihipStream_tbENKUlT_T0_E_clISt17integral_constantIbLb1EESV_IbLb0EEEEDaSR_SS_EUlSR_E_NS1_11comp_targetILNS1_3genE3ELNS1_11target_archE908ELNS1_3gpuE7ELNS1_3repE0EEENS1_30default_config_static_selectorELNS0_4arch9wavefront6targetE0EEEvT1_
	.globl	_ZN7rocprim17ROCPRIM_400000_NS6detail17trampoline_kernelINS0_14default_configENS1_27scan_by_key_config_selectorIiiEEZZNS1_16scan_by_key_implILNS1_25lookback_scan_determinismE0ELb1ES3_N6thrust23THRUST_200600_302600_NS10device_ptrIiEESB_SB_iNS9_4plusIvEENS9_8equal_toIvEEiEE10hipError_tPvRmT2_T3_T4_T5_mT6_T7_P12ihipStream_tbENKUlT_T0_E_clISt17integral_constantIbLb1EESV_IbLb0EEEEDaSR_SS_EUlSR_E_NS1_11comp_targetILNS1_3genE3ELNS1_11target_archE908ELNS1_3gpuE7ELNS1_3repE0EEENS1_30default_config_static_selectorELNS0_4arch9wavefront6targetE0EEEvT1_
	.p2align	8
	.type	_ZN7rocprim17ROCPRIM_400000_NS6detail17trampoline_kernelINS0_14default_configENS1_27scan_by_key_config_selectorIiiEEZZNS1_16scan_by_key_implILNS1_25lookback_scan_determinismE0ELb1ES3_N6thrust23THRUST_200600_302600_NS10device_ptrIiEESB_SB_iNS9_4plusIvEENS9_8equal_toIvEEiEE10hipError_tPvRmT2_T3_T4_T5_mT6_T7_P12ihipStream_tbENKUlT_T0_E_clISt17integral_constantIbLb1EESV_IbLb0EEEEDaSR_SS_EUlSR_E_NS1_11comp_targetILNS1_3genE3ELNS1_11target_archE908ELNS1_3gpuE7ELNS1_3repE0EEENS1_30default_config_static_selectorELNS0_4arch9wavefront6targetE0EEEvT1_,@function
_ZN7rocprim17ROCPRIM_400000_NS6detail17trampoline_kernelINS0_14default_configENS1_27scan_by_key_config_selectorIiiEEZZNS1_16scan_by_key_implILNS1_25lookback_scan_determinismE0ELb1ES3_N6thrust23THRUST_200600_302600_NS10device_ptrIiEESB_SB_iNS9_4plusIvEENS9_8equal_toIvEEiEE10hipError_tPvRmT2_T3_T4_T5_mT6_T7_P12ihipStream_tbENKUlT_T0_E_clISt17integral_constantIbLb1EESV_IbLb0EEEEDaSR_SS_EUlSR_E_NS1_11comp_targetILNS1_3genE3ELNS1_11target_archE908ELNS1_3gpuE7ELNS1_3repE0EEENS1_30default_config_static_selectorELNS0_4arch9wavefront6targetE0EEEvT1_: ; @_ZN7rocprim17ROCPRIM_400000_NS6detail17trampoline_kernelINS0_14default_configENS1_27scan_by_key_config_selectorIiiEEZZNS1_16scan_by_key_implILNS1_25lookback_scan_determinismE0ELb1ES3_N6thrust23THRUST_200600_302600_NS10device_ptrIiEESB_SB_iNS9_4plusIvEENS9_8equal_toIvEEiEE10hipError_tPvRmT2_T3_T4_T5_mT6_T7_P12ihipStream_tbENKUlT_T0_E_clISt17integral_constantIbLb1EESV_IbLb0EEEEDaSR_SS_EUlSR_E_NS1_11comp_targetILNS1_3genE3ELNS1_11target_archE908ELNS1_3gpuE7ELNS1_3repE0EEENS1_30default_config_static_selectorELNS0_4arch9wavefront6targetE0EEEvT1_
; %bb.0:
	.section	.rodata,"a",@progbits
	.p2align	6, 0x0
	.amdhsa_kernel _ZN7rocprim17ROCPRIM_400000_NS6detail17trampoline_kernelINS0_14default_configENS1_27scan_by_key_config_selectorIiiEEZZNS1_16scan_by_key_implILNS1_25lookback_scan_determinismE0ELb1ES3_N6thrust23THRUST_200600_302600_NS10device_ptrIiEESB_SB_iNS9_4plusIvEENS9_8equal_toIvEEiEE10hipError_tPvRmT2_T3_T4_T5_mT6_T7_P12ihipStream_tbENKUlT_T0_E_clISt17integral_constantIbLb1EESV_IbLb0EEEEDaSR_SS_EUlSR_E_NS1_11comp_targetILNS1_3genE3ELNS1_11target_archE908ELNS1_3gpuE7ELNS1_3repE0EEENS1_30default_config_static_selectorELNS0_4arch9wavefront6targetE0EEEvT1_
		.amdhsa_group_segment_fixed_size 0
		.amdhsa_private_segment_fixed_size 0
		.amdhsa_kernarg_size 112
		.amdhsa_user_sgpr_count 6
		.amdhsa_user_sgpr_private_segment_buffer 1
		.amdhsa_user_sgpr_dispatch_ptr 0
		.amdhsa_user_sgpr_queue_ptr 0
		.amdhsa_user_sgpr_kernarg_segment_ptr 1
		.amdhsa_user_sgpr_dispatch_id 0
		.amdhsa_user_sgpr_flat_scratch_init 0
		.amdhsa_user_sgpr_private_segment_size 0
		.amdhsa_wavefront_size32 1
		.amdhsa_uses_dynamic_stack 0
		.amdhsa_system_sgpr_private_segment_wavefront_offset 0
		.amdhsa_system_sgpr_workgroup_id_x 1
		.amdhsa_system_sgpr_workgroup_id_y 0
		.amdhsa_system_sgpr_workgroup_id_z 0
		.amdhsa_system_sgpr_workgroup_info 0
		.amdhsa_system_vgpr_workitem_id 0
		.amdhsa_next_free_vgpr 1
		.amdhsa_next_free_sgpr 1
		.amdhsa_reserve_vcc 0
		.amdhsa_reserve_flat_scratch 0
		.amdhsa_float_round_mode_32 0
		.amdhsa_float_round_mode_16_64 0
		.amdhsa_float_denorm_mode_32 3
		.amdhsa_float_denorm_mode_16_64 3
		.amdhsa_dx10_clamp 1
		.amdhsa_ieee_mode 1
		.amdhsa_fp16_overflow 0
		.amdhsa_workgroup_processor_mode 1
		.amdhsa_memory_ordered 1
		.amdhsa_forward_progress 1
		.amdhsa_shared_vgpr_count 0
		.amdhsa_exception_fp_ieee_invalid_op 0
		.amdhsa_exception_fp_denorm_src 0
		.amdhsa_exception_fp_ieee_div_zero 0
		.amdhsa_exception_fp_ieee_overflow 0
		.amdhsa_exception_fp_ieee_underflow 0
		.amdhsa_exception_fp_ieee_inexact 0
		.amdhsa_exception_int_div_zero 0
	.end_amdhsa_kernel
	.section	.text._ZN7rocprim17ROCPRIM_400000_NS6detail17trampoline_kernelINS0_14default_configENS1_27scan_by_key_config_selectorIiiEEZZNS1_16scan_by_key_implILNS1_25lookback_scan_determinismE0ELb1ES3_N6thrust23THRUST_200600_302600_NS10device_ptrIiEESB_SB_iNS9_4plusIvEENS9_8equal_toIvEEiEE10hipError_tPvRmT2_T3_T4_T5_mT6_T7_P12ihipStream_tbENKUlT_T0_E_clISt17integral_constantIbLb1EESV_IbLb0EEEEDaSR_SS_EUlSR_E_NS1_11comp_targetILNS1_3genE3ELNS1_11target_archE908ELNS1_3gpuE7ELNS1_3repE0EEENS1_30default_config_static_selectorELNS0_4arch9wavefront6targetE0EEEvT1_,"axG",@progbits,_ZN7rocprim17ROCPRIM_400000_NS6detail17trampoline_kernelINS0_14default_configENS1_27scan_by_key_config_selectorIiiEEZZNS1_16scan_by_key_implILNS1_25lookback_scan_determinismE0ELb1ES3_N6thrust23THRUST_200600_302600_NS10device_ptrIiEESB_SB_iNS9_4plusIvEENS9_8equal_toIvEEiEE10hipError_tPvRmT2_T3_T4_T5_mT6_T7_P12ihipStream_tbENKUlT_T0_E_clISt17integral_constantIbLb1EESV_IbLb0EEEEDaSR_SS_EUlSR_E_NS1_11comp_targetILNS1_3genE3ELNS1_11target_archE908ELNS1_3gpuE7ELNS1_3repE0EEENS1_30default_config_static_selectorELNS0_4arch9wavefront6targetE0EEEvT1_,comdat
.Lfunc_end2255:
	.size	_ZN7rocprim17ROCPRIM_400000_NS6detail17trampoline_kernelINS0_14default_configENS1_27scan_by_key_config_selectorIiiEEZZNS1_16scan_by_key_implILNS1_25lookback_scan_determinismE0ELb1ES3_N6thrust23THRUST_200600_302600_NS10device_ptrIiEESB_SB_iNS9_4plusIvEENS9_8equal_toIvEEiEE10hipError_tPvRmT2_T3_T4_T5_mT6_T7_P12ihipStream_tbENKUlT_T0_E_clISt17integral_constantIbLb1EESV_IbLb0EEEEDaSR_SS_EUlSR_E_NS1_11comp_targetILNS1_3genE3ELNS1_11target_archE908ELNS1_3gpuE7ELNS1_3repE0EEENS1_30default_config_static_selectorELNS0_4arch9wavefront6targetE0EEEvT1_, .Lfunc_end2255-_ZN7rocprim17ROCPRIM_400000_NS6detail17trampoline_kernelINS0_14default_configENS1_27scan_by_key_config_selectorIiiEEZZNS1_16scan_by_key_implILNS1_25lookback_scan_determinismE0ELb1ES3_N6thrust23THRUST_200600_302600_NS10device_ptrIiEESB_SB_iNS9_4plusIvEENS9_8equal_toIvEEiEE10hipError_tPvRmT2_T3_T4_T5_mT6_T7_P12ihipStream_tbENKUlT_T0_E_clISt17integral_constantIbLb1EESV_IbLb0EEEEDaSR_SS_EUlSR_E_NS1_11comp_targetILNS1_3genE3ELNS1_11target_archE908ELNS1_3gpuE7ELNS1_3repE0EEENS1_30default_config_static_selectorELNS0_4arch9wavefront6targetE0EEEvT1_
                                        ; -- End function
	.set _ZN7rocprim17ROCPRIM_400000_NS6detail17trampoline_kernelINS0_14default_configENS1_27scan_by_key_config_selectorIiiEEZZNS1_16scan_by_key_implILNS1_25lookback_scan_determinismE0ELb1ES3_N6thrust23THRUST_200600_302600_NS10device_ptrIiEESB_SB_iNS9_4plusIvEENS9_8equal_toIvEEiEE10hipError_tPvRmT2_T3_T4_T5_mT6_T7_P12ihipStream_tbENKUlT_T0_E_clISt17integral_constantIbLb1EESV_IbLb0EEEEDaSR_SS_EUlSR_E_NS1_11comp_targetILNS1_3genE3ELNS1_11target_archE908ELNS1_3gpuE7ELNS1_3repE0EEENS1_30default_config_static_selectorELNS0_4arch9wavefront6targetE0EEEvT1_.num_vgpr, 0
	.set _ZN7rocprim17ROCPRIM_400000_NS6detail17trampoline_kernelINS0_14default_configENS1_27scan_by_key_config_selectorIiiEEZZNS1_16scan_by_key_implILNS1_25lookback_scan_determinismE0ELb1ES3_N6thrust23THRUST_200600_302600_NS10device_ptrIiEESB_SB_iNS9_4plusIvEENS9_8equal_toIvEEiEE10hipError_tPvRmT2_T3_T4_T5_mT6_T7_P12ihipStream_tbENKUlT_T0_E_clISt17integral_constantIbLb1EESV_IbLb0EEEEDaSR_SS_EUlSR_E_NS1_11comp_targetILNS1_3genE3ELNS1_11target_archE908ELNS1_3gpuE7ELNS1_3repE0EEENS1_30default_config_static_selectorELNS0_4arch9wavefront6targetE0EEEvT1_.num_agpr, 0
	.set _ZN7rocprim17ROCPRIM_400000_NS6detail17trampoline_kernelINS0_14default_configENS1_27scan_by_key_config_selectorIiiEEZZNS1_16scan_by_key_implILNS1_25lookback_scan_determinismE0ELb1ES3_N6thrust23THRUST_200600_302600_NS10device_ptrIiEESB_SB_iNS9_4plusIvEENS9_8equal_toIvEEiEE10hipError_tPvRmT2_T3_T4_T5_mT6_T7_P12ihipStream_tbENKUlT_T0_E_clISt17integral_constantIbLb1EESV_IbLb0EEEEDaSR_SS_EUlSR_E_NS1_11comp_targetILNS1_3genE3ELNS1_11target_archE908ELNS1_3gpuE7ELNS1_3repE0EEENS1_30default_config_static_selectorELNS0_4arch9wavefront6targetE0EEEvT1_.numbered_sgpr, 0
	.set _ZN7rocprim17ROCPRIM_400000_NS6detail17trampoline_kernelINS0_14default_configENS1_27scan_by_key_config_selectorIiiEEZZNS1_16scan_by_key_implILNS1_25lookback_scan_determinismE0ELb1ES3_N6thrust23THRUST_200600_302600_NS10device_ptrIiEESB_SB_iNS9_4plusIvEENS9_8equal_toIvEEiEE10hipError_tPvRmT2_T3_T4_T5_mT6_T7_P12ihipStream_tbENKUlT_T0_E_clISt17integral_constantIbLb1EESV_IbLb0EEEEDaSR_SS_EUlSR_E_NS1_11comp_targetILNS1_3genE3ELNS1_11target_archE908ELNS1_3gpuE7ELNS1_3repE0EEENS1_30default_config_static_selectorELNS0_4arch9wavefront6targetE0EEEvT1_.num_named_barrier, 0
	.set _ZN7rocprim17ROCPRIM_400000_NS6detail17trampoline_kernelINS0_14default_configENS1_27scan_by_key_config_selectorIiiEEZZNS1_16scan_by_key_implILNS1_25lookback_scan_determinismE0ELb1ES3_N6thrust23THRUST_200600_302600_NS10device_ptrIiEESB_SB_iNS9_4plusIvEENS9_8equal_toIvEEiEE10hipError_tPvRmT2_T3_T4_T5_mT6_T7_P12ihipStream_tbENKUlT_T0_E_clISt17integral_constantIbLb1EESV_IbLb0EEEEDaSR_SS_EUlSR_E_NS1_11comp_targetILNS1_3genE3ELNS1_11target_archE908ELNS1_3gpuE7ELNS1_3repE0EEENS1_30default_config_static_selectorELNS0_4arch9wavefront6targetE0EEEvT1_.private_seg_size, 0
	.set _ZN7rocprim17ROCPRIM_400000_NS6detail17trampoline_kernelINS0_14default_configENS1_27scan_by_key_config_selectorIiiEEZZNS1_16scan_by_key_implILNS1_25lookback_scan_determinismE0ELb1ES3_N6thrust23THRUST_200600_302600_NS10device_ptrIiEESB_SB_iNS9_4plusIvEENS9_8equal_toIvEEiEE10hipError_tPvRmT2_T3_T4_T5_mT6_T7_P12ihipStream_tbENKUlT_T0_E_clISt17integral_constantIbLb1EESV_IbLb0EEEEDaSR_SS_EUlSR_E_NS1_11comp_targetILNS1_3genE3ELNS1_11target_archE908ELNS1_3gpuE7ELNS1_3repE0EEENS1_30default_config_static_selectorELNS0_4arch9wavefront6targetE0EEEvT1_.uses_vcc, 0
	.set _ZN7rocprim17ROCPRIM_400000_NS6detail17trampoline_kernelINS0_14default_configENS1_27scan_by_key_config_selectorIiiEEZZNS1_16scan_by_key_implILNS1_25lookback_scan_determinismE0ELb1ES3_N6thrust23THRUST_200600_302600_NS10device_ptrIiEESB_SB_iNS9_4plusIvEENS9_8equal_toIvEEiEE10hipError_tPvRmT2_T3_T4_T5_mT6_T7_P12ihipStream_tbENKUlT_T0_E_clISt17integral_constantIbLb1EESV_IbLb0EEEEDaSR_SS_EUlSR_E_NS1_11comp_targetILNS1_3genE3ELNS1_11target_archE908ELNS1_3gpuE7ELNS1_3repE0EEENS1_30default_config_static_selectorELNS0_4arch9wavefront6targetE0EEEvT1_.uses_flat_scratch, 0
	.set _ZN7rocprim17ROCPRIM_400000_NS6detail17trampoline_kernelINS0_14default_configENS1_27scan_by_key_config_selectorIiiEEZZNS1_16scan_by_key_implILNS1_25lookback_scan_determinismE0ELb1ES3_N6thrust23THRUST_200600_302600_NS10device_ptrIiEESB_SB_iNS9_4plusIvEENS9_8equal_toIvEEiEE10hipError_tPvRmT2_T3_T4_T5_mT6_T7_P12ihipStream_tbENKUlT_T0_E_clISt17integral_constantIbLb1EESV_IbLb0EEEEDaSR_SS_EUlSR_E_NS1_11comp_targetILNS1_3genE3ELNS1_11target_archE908ELNS1_3gpuE7ELNS1_3repE0EEENS1_30default_config_static_selectorELNS0_4arch9wavefront6targetE0EEEvT1_.has_dyn_sized_stack, 0
	.set _ZN7rocprim17ROCPRIM_400000_NS6detail17trampoline_kernelINS0_14default_configENS1_27scan_by_key_config_selectorIiiEEZZNS1_16scan_by_key_implILNS1_25lookback_scan_determinismE0ELb1ES3_N6thrust23THRUST_200600_302600_NS10device_ptrIiEESB_SB_iNS9_4plusIvEENS9_8equal_toIvEEiEE10hipError_tPvRmT2_T3_T4_T5_mT6_T7_P12ihipStream_tbENKUlT_T0_E_clISt17integral_constantIbLb1EESV_IbLb0EEEEDaSR_SS_EUlSR_E_NS1_11comp_targetILNS1_3genE3ELNS1_11target_archE908ELNS1_3gpuE7ELNS1_3repE0EEENS1_30default_config_static_selectorELNS0_4arch9wavefront6targetE0EEEvT1_.has_recursion, 0
	.set _ZN7rocprim17ROCPRIM_400000_NS6detail17trampoline_kernelINS0_14default_configENS1_27scan_by_key_config_selectorIiiEEZZNS1_16scan_by_key_implILNS1_25lookback_scan_determinismE0ELb1ES3_N6thrust23THRUST_200600_302600_NS10device_ptrIiEESB_SB_iNS9_4plusIvEENS9_8equal_toIvEEiEE10hipError_tPvRmT2_T3_T4_T5_mT6_T7_P12ihipStream_tbENKUlT_T0_E_clISt17integral_constantIbLb1EESV_IbLb0EEEEDaSR_SS_EUlSR_E_NS1_11comp_targetILNS1_3genE3ELNS1_11target_archE908ELNS1_3gpuE7ELNS1_3repE0EEENS1_30default_config_static_selectorELNS0_4arch9wavefront6targetE0EEEvT1_.has_indirect_call, 0
	.section	.AMDGPU.csdata,"",@progbits
; Kernel info:
; codeLenInByte = 0
; TotalNumSgprs: 0
; NumVgprs: 0
; ScratchSize: 0
; MemoryBound: 0
; FloatMode: 240
; IeeeMode: 1
; LDSByteSize: 0 bytes/workgroup (compile time only)
; SGPRBlocks: 0
; VGPRBlocks: 0
; NumSGPRsForWavesPerEU: 1
; NumVGPRsForWavesPerEU: 1
; Occupancy: 16
; WaveLimiterHint : 0
; COMPUTE_PGM_RSRC2:SCRATCH_EN: 0
; COMPUTE_PGM_RSRC2:USER_SGPR: 6
; COMPUTE_PGM_RSRC2:TRAP_HANDLER: 0
; COMPUTE_PGM_RSRC2:TGID_X_EN: 1
; COMPUTE_PGM_RSRC2:TGID_Y_EN: 0
; COMPUTE_PGM_RSRC2:TGID_Z_EN: 0
; COMPUTE_PGM_RSRC2:TIDIG_COMP_CNT: 0
	.section	.text._ZN7rocprim17ROCPRIM_400000_NS6detail17trampoline_kernelINS0_14default_configENS1_27scan_by_key_config_selectorIiiEEZZNS1_16scan_by_key_implILNS1_25lookback_scan_determinismE0ELb1ES3_N6thrust23THRUST_200600_302600_NS10device_ptrIiEESB_SB_iNS9_4plusIvEENS9_8equal_toIvEEiEE10hipError_tPvRmT2_T3_T4_T5_mT6_T7_P12ihipStream_tbENKUlT_T0_E_clISt17integral_constantIbLb1EESV_IbLb0EEEEDaSR_SS_EUlSR_E_NS1_11comp_targetILNS1_3genE2ELNS1_11target_archE906ELNS1_3gpuE6ELNS1_3repE0EEENS1_30default_config_static_selectorELNS0_4arch9wavefront6targetE0EEEvT1_,"axG",@progbits,_ZN7rocprim17ROCPRIM_400000_NS6detail17trampoline_kernelINS0_14default_configENS1_27scan_by_key_config_selectorIiiEEZZNS1_16scan_by_key_implILNS1_25lookback_scan_determinismE0ELb1ES3_N6thrust23THRUST_200600_302600_NS10device_ptrIiEESB_SB_iNS9_4plusIvEENS9_8equal_toIvEEiEE10hipError_tPvRmT2_T3_T4_T5_mT6_T7_P12ihipStream_tbENKUlT_T0_E_clISt17integral_constantIbLb1EESV_IbLb0EEEEDaSR_SS_EUlSR_E_NS1_11comp_targetILNS1_3genE2ELNS1_11target_archE906ELNS1_3gpuE6ELNS1_3repE0EEENS1_30default_config_static_selectorELNS0_4arch9wavefront6targetE0EEEvT1_,comdat
	.protected	_ZN7rocprim17ROCPRIM_400000_NS6detail17trampoline_kernelINS0_14default_configENS1_27scan_by_key_config_selectorIiiEEZZNS1_16scan_by_key_implILNS1_25lookback_scan_determinismE0ELb1ES3_N6thrust23THRUST_200600_302600_NS10device_ptrIiEESB_SB_iNS9_4plusIvEENS9_8equal_toIvEEiEE10hipError_tPvRmT2_T3_T4_T5_mT6_T7_P12ihipStream_tbENKUlT_T0_E_clISt17integral_constantIbLb1EESV_IbLb0EEEEDaSR_SS_EUlSR_E_NS1_11comp_targetILNS1_3genE2ELNS1_11target_archE906ELNS1_3gpuE6ELNS1_3repE0EEENS1_30default_config_static_selectorELNS0_4arch9wavefront6targetE0EEEvT1_ ; -- Begin function _ZN7rocprim17ROCPRIM_400000_NS6detail17trampoline_kernelINS0_14default_configENS1_27scan_by_key_config_selectorIiiEEZZNS1_16scan_by_key_implILNS1_25lookback_scan_determinismE0ELb1ES3_N6thrust23THRUST_200600_302600_NS10device_ptrIiEESB_SB_iNS9_4plusIvEENS9_8equal_toIvEEiEE10hipError_tPvRmT2_T3_T4_T5_mT6_T7_P12ihipStream_tbENKUlT_T0_E_clISt17integral_constantIbLb1EESV_IbLb0EEEEDaSR_SS_EUlSR_E_NS1_11comp_targetILNS1_3genE2ELNS1_11target_archE906ELNS1_3gpuE6ELNS1_3repE0EEENS1_30default_config_static_selectorELNS0_4arch9wavefront6targetE0EEEvT1_
	.globl	_ZN7rocprim17ROCPRIM_400000_NS6detail17trampoline_kernelINS0_14default_configENS1_27scan_by_key_config_selectorIiiEEZZNS1_16scan_by_key_implILNS1_25lookback_scan_determinismE0ELb1ES3_N6thrust23THRUST_200600_302600_NS10device_ptrIiEESB_SB_iNS9_4plusIvEENS9_8equal_toIvEEiEE10hipError_tPvRmT2_T3_T4_T5_mT6_T7_P12ihipStream_tbENKUlT_T0_E_clISt17integral_constantIbLb1EESV_IbLb0EEEEDaSR_SS_EUlSR_E_NS1_11comp_targetILNS1_3genE2ELNS1_11target_archE906ELNS1_3gpuE6ELNS1_3repE0EEENS1_30default_config_static_selectorELNS0_4arch9wavefront6targetE0EEEvT1_
	.p2align	8
	.type	_ZN7rocprim17ROCPRIM_400000_NS6detail17trampoline_kernelINS0_14default_configENS1_27scan_by_key_config_selectorIiiEEZZNS1_16scan_by_key_implILNS1_25lookback_scan_determinismE0ELb1ES3_N6thrust23THRUST_200600_302600_NS10device_ptrIiEESB_SB_iNS9_4plusIvEENS9_8equal_toIvEEiEE10hipError_tPvRmT2_T3_T4_T5_mT6_T7_P12ihipStream_tbENKUlT_T0_E_clISt17integral_constantIbLb1EESV_IbLb0EEEEDaSR_SS_EUlSR_E_NS1_11comp_targetILNS1_3genE2ELNS1_11target_archE906ELNS1_3gpuE6ELNS1_3repE0EEENS1_30default_config_static_selectorELNS0_4arch9wavefront6targetE0EEEvT1_,@function
_ZN7rocprim17ROCPRIM_400000_NS6detail17trampoline_kernelINS0_14default_configENS1_27scan_by_key_config_selectorIiiEEZZNS1_16scan_by_key_implILNS1_25lookback_scan_determinismE0ELb1ES3_N6thrust23THRUST_200600_302600_NS10device_ptrIiEESB_SB_iNS9_4plusIvEENS9_8equal_toIvEEiEE10hipError_tPvRmT2_T3_T4_T5_mT6_T7_P12ihipStream_tbENKUlT_T0_E_clISt17integral_constantIbLb1EESV_IbLb0EEEEDaSR_SS_EUlSR_E_NS1_11comp_targetILNS1_3genE2ELNS1_11target_archE906ELNS1_3gpuE6ELNS1_3repE0EEENS1_30default_config_static_selectorELNS0_4arch9wavefront6targetE0EEEvT1_: ; @_ZN7rocprim17ROCPRIM_400000_NS6detail17trampoline_kernelINS0_14default_configENS1_27scan_by_key_config_selectorIiiEEZZNS1_16scan_by_key_implILNS1_25lookback_scan_determinismE0ELb1ES3_N6thrust23THRUST_200600_302600_NS10device_ptrIiEESB_SB_iNS9_4plusIvEENS9_8equal_toIvEEiEE10hipError_tPvRmT2_T3_T4_T5_mT6_T7_P12ihipStream_tbENKUlT_T0_E_clISt17integral_constantIbLb1EESV_IbLb0EEEEDaSR_SS_EUlSR_E_NS1_11comp_targetILNS1_3genE2ELNS1_11target_archE906ELNS1_3gpuE6ELNS1_3repE0EEENS1_30default_config_static_selectorELNS0_4arch9wavefront6targetE0EEEvT1_
; %bb.0:
	.section	.rodata,"a",@progbits
	.p2align	6, 0x0
	.amdhsa_kernel _ZN7rocprim17ROCPRIM_400000_NS6detail17trampoline_kernelINS0_14default_configENS1_27scan_by_key_config_selectorIiiEEZZNS1_16scan_by_key_implILNS1_25lookback_scan_determinismE0ELb1ES3_N6thrust23THRUST_200600_302600_NS10device_ptrIiEESB_SB_iNS9_4plusIvEENS9_8equal_toIvEEiEE10hipError_tPvRmT2_T3_T4_T5_mT6_T7_P12ihipStream_tbENKUlT_T0_E_clISt17integral_constantIbLb1EESV_IbLb0EEEEDaSR_SS_EUlSR_E_NS1_11comp_targetILNS1_3genE2ELNS1_11target_archE906ELNS1_3gpuE6ELNS1_3repE0EEENS1_30default_config_static_selectorELNS0_4arch9wavefront6targetE0EEEvT1_
		.amdhsa_group_segment_fixed_size 0
		.amdhsa_private_segment_fixed_size 0
		.amdhsa_kernarg_size 112
		.amdhsa_user_sgpr_count 6
		.amdhsa_user_sgpr_private_segment_buffer 1
		.amdhsa_user_sgpr_dispatch_ptr 0
		.amdhsa_user_sgpr_queue_ptr 0
		.amdhsa_user_sgpr_kernarg_segment_ptr 1
		.amdhsa_user_sgpr_dispatch_id 0
		.amdhsa_user_sgpr_flat_scratch_init 0
		.amdhsa_user_sgpr_private_segment_size 0
		.amdhsa_wavefront_size32 1
		.amdhsa_uses_dynamic_stack 0
		.amdhsa_system_sgpr_private_segment_wavefront_offset 0
		.amdhsa_system_sgpr_workgroup_id_x 1
		.amdhsa_system_sgpr_workgroup_id_y 0
		.amdhsa_system_sgpr_workgroup_id_z 0
		.amdhsa_system_sgpr_workgroup_info 0
		.amdhsa_system_vgpr_workitem_id 0
		.amdhsa_next_free_vgpr 1
		.amdhsa_next_free_sgpr 1
		.amdhsa_reserve_vcc 0
		.amdhsa_reserve_flat_scratch 0
		.amdhsa_float_round_mode_32 0
		.amdhsa_float_round_mode_16_64 0
		.amdhsa_float_denorm_mode_32 3
		.amdhsa_float_denorm_mode_16_64 3
		.amdhsa_dx10_clamp 1
		.amdhsa_ieee_mode 1
		.amdhsa_fp16_overflow 0
		.amdhsa_workgroup_processor_mode 1
		.amdhsa_memory_ordered 1
		.amdhsa_forward_progress 1
		.amdhsa_shared_vgpr_count 0
		.amdhsa_exception_fp_ieee_invalid_op 0
		.amdhsa_exception_fp_denorm_src 0
		.amdhsa_exception_fp_ieee_div_zero 0
		.amdhsa_exception_fp_ieee_overflow 0
		.amdhsa_exception_fp_ieee_underflow 0
		.amdhsa_exception_fp_ieee_inexact 0
		.amdhsa_exception_int_div_zero 0
	.end_amdhsa_kernel
	.section	.text._ZN7rocprim17ROCPRIM_400000_NS6detail17trampoline_kernelINS0_14default_configENS1_27scan_by_key_config_selectorIiiEEZZNS1_16scan_by_key_implILNS1_25lookback_scan_determinismE0ELb1ES3_N6thrust23THRUST_200600_302600_NS10device_ptrIiEESB_SB_iNS9_4plusIvEENS9_8equal_toIvEEiEE10hipError_tPvRmT2_T3_T4_T5_mT6_T7_P12ihipStream_tbENKUlT_T0_E_clISt17integral_constantIbLb1EESV_IbLb0EEEEDaSR_SS_EUlSR_E_NS1_11comp_targetILNS1_3genE2ELNS1_11target_archE906ELNS1_3gpuE6ELNS1_3repE0EEENS1_30default_config_static_selectorELNS0_4arch9wavefront6targetE0EEEvT1_,"axG",@progbits,_ZN7rocprim17ROCPRIM_400000_NS6detail17trampoline_kernelINS0_14default_configENS1_27scan_by_key_config_selectorIiiEEZZNS1_16scan_by_key_implILNS1_25lookback_scan_determinismE0ELb1ES3_N6thrust23THRUST_200600_302600_NS10device_ptrIiEESB_SB_iNS9_4plusIvEENS9_8equal_toIvEEiEE10hipError_tPvRmT2_T3_T4_T5_mT6_T7_P12ihipStream_tbENKUlT_T0_E_clISt17integral_constantIbLb1EESV_IbLb0EEEEDaSR_SS_EUlSR_E_NS1_11comp_targetILNS1_3genE2ELNS1_11target_archE906ELNS1_3gpuE6ELNS1_3repE0EEENS1_30default_config_static_selectorELNS0_4arch9wavefront6targetE0EEEvT1_,comdat
.Lfunc_end2256:
	.size	_ZN7rocprim17ROCPRIM_400000_NS6detail17trampoline_kernelINS0_14default_configENS1_27scan_by_key_config_selectorIiiEEZZNS1_16scan_by_key_implILNS1_25lookback_scan_determinismE0ELb1ES3_N6thrust23THRUST_200600_302600_NS10device_ptrIiEESB_SB_iNS9_4plusIvEENS9_8equal_toIvEEiEE10hipError_tPvRmT2_T3_T4_T5_mT6_T7_P12ihipStream_tbENKUlT_T0_E_clISt17integral_constantIbLb1EESV_IbLb0EEEEDaSR_SS_EUlSR_E_NS1_11comp_targetILNS1_3genE2ELNS1_11target_archE906ELNS1_3gpuE6ELNS1_3repE0EEENS1_30default_config_static_selectorELNS0_4arch9wavefront6targetE0EEEvT1_, .Lfunc_end2256-_ZN7rocprim17ROCPRIM_400000_NS6detail17trampoline_kernelINS0_14default_configENS1_27scan_by_key_config_selectorIiiEEZZNS1_16scan_by_key_implILNS1_25lookback_scan_determinismE0ELb1ES3_N6thrust23THRUST_200600_302600_NS10device_ptrIiEESB_SB_iNS9_4plusIvEENS9_8equal_toIvEEiEE10hipError_tPvRmT2_T3_T4_T5_mT6_T7_P12ihipStream_tbENKUlT_T0_E_clISt17integral_constantIbLb1EESV_IbLb0EEEEDaSR_SS_EUlSR_E_NS1_11comp_targetILNS1_3genE2ELNS1_11target_archE906ELNS1_3gpuE6ELNS1_3repE0EEENS1_30default_config_static_selectorELNS0_4arch9wavefront6targetE0EEEvT1_
                                        ; -- End function
	.set _ZN7rocprim17ROCPRIM_400000_NS6detail17trampoline_kernelINS0_14default_configENS1_27scan_by_key_config_selectorIiiEEZZNS1_16scan_by_key_implILNS1_25lookback_scan_determinismE0ELb1ES3_N6thrust23THRUST_200600_302600_NS10device_ptrIiEESB_SB_iNS9_4plusIvEENS9_8equal_toIvEEiEE10hipError_tPvRmT2_T3_T4_T5_mT6_T7_P12ihipStream_tbENKUlT_T0_E_clISt17integral_constantIbLb1EESV_IbLb0EEEEDaSR_SS_EUlSR_E_NS1_11comp_targetILNS1_3genE2ELNS1_11target_archE906ELNS1_3gpuE6ELNS1_3repE0EEENS1_30default_config_static_selectorELNS0_4arch9wavefront6targetE0EEEvT1_.num_vgpr, 0
	.set _ZN7rocprim17ROCPRIM_400000_NS6detail17trampoline_kernelINS0_14default_configENS1_27scan_by_key_config_selectorIiiEEZZNS1_16scan_by_key_implILNS1_25lookback_scan_determinismE0ELb1ES3_N6thrust23THRUST_200600_302600_NS10device_ptrIiEESB_SB_iNS9_4plusIvEENS9_8equal_toIvEEiEE10hipError_tPvRmT2_T3_T4_T5_mT6_T7_P12ihipStream_tbENKUlT_T0_E_clISt17integral_constantIbLb1EESV_IbLb0EEEEDaSR_SS_EUlSR_E_NS1_11comp_targetILNS1_3genE2ELNS1_11target_archE906ELNS1_3gpuE6ELNS1_3repE0EEENS1_30default_config_static_selectorELNS0_4arch9wavefront6targetE0EEEvT1_.num_agpr, 0
	.set _ZN7rocprim17ROCPRIM_400000_NS6detail17trampoline_kernelINS0_14default_configENS1_27scan_by_key_config_selectorIiiEEZZNS1_16scan_by_key_implILNS1_25lookback_scan_determinismE0ELb1ES3_N6thrust23THRUST_200600_302600_NS10device_ptrIiEESB_SB_iNS9_4plusIvEENS9_8equal_toIvEEiEE10hipError_tPvRmT2_T3_T4_T5_mT6_T7_P12ihipStream_tbENKUlT_T0_E_clISt17integral_constantIbLb1EESV_IbLb0EEEEDaSR_SS_EUlSR_E_NS1_11comp_targetILNS1_3genE2ELNS1_11target_archE906ELNS1_3gpuE6ELNS1_3repE0EEENS1_30default_config_static_selectorELNS0_4arch9wavefront6targetE0EEEvT1_.numbered_sgpr, 0
	.set _ZN7rocprim17ROCPRIM_400000_NS6detail17trampoline_kernelINS0_14default_configENS1_27scan_by_key_config_selectorIiiEEZZNS1_16scan_by_key_implILNS1_25lookback_scan_determinismE0ELb1ES3_N6thrust23THRUST_200600_302600_NS10device_ptrIiEESB_SB_iNS9_4plusIvEENS9_8equal_toIvEEiEE10hipError_tPvRmT2_T3_T4_T5_mT6_T7_P12ihipStream_tbENKUlT_T0_E_clISt17integral_constantIbLb1EESV_IbLb0EEEEDaSR_SS_EUlSR_E_NS1_11comp_targetILNS1_3genE2ELNS1_11target_archE906ELNS1_3gpuE6ELNS1_3repE0EEENS1_30default_config_static_selectorELNS0_4arch9wavefront6targetE0EEEvT1_.num_named_barrier, 0
	.set _ZN7rocprim17ROCPRIM_400000_NS6detail17trampoline_kernelINS0_14default_configENS1_27scan_by_key_config_selectorIiiEEZZNS1_16scan_by_key_implILNS1_25lookback_scan_determinismE0ELb1ES3_N6thrust23THRUST_200600_302600_NS10device_ptrIiEESB_SB_iNS9_4plusIvEENS9_8equal_toIvEEiEE10hipError_tPvRmT2_T3_T4_T5_mT6_T7_P12ihipStream_tbENKUlT_T0_E_clISt17integral_constantIbLb1EESV_IbLb0EEEEDaSR_SS_EUlSR_E_NS1_11comp_targetILNS1_3genE2ELNS1_11target_archE906ELNS1_3gpuE6ELNS1_3repE0EEENS1_30default_config_static_selectorELNS0_4arch9wavefront6targetE0EEEvT1_.private_seg_size, 0
	.set _ZN7rocprim17ROCPRIM_400000_NS6detail17trampoline_kernelINS0_14default_configENS1_27scan_by_key_config_selectorIiiEEZZNS1_16scan_by_key_implILNS1_25lookback_scan_determinismE0ELb1ES3_N6thrust23THRUST_200600_302600_NS10device_ptrIiEESB_SB_iNS9_4plusIvEENS9_8equal_toIvEEiEE10hipError_tPvRmT2_T3_T4_T5_mT6_T7_P12ihipStream_tbENKUlT_T0_E_clISt17integral_constantIbLb1EESV_IbLb0EEEEDaSR_SS_EUlSR_E_NS1_11comp_targetILNS1_3genE2ELNS1_11target_archE906ELNS1_3gpuE6ELNS1_3repE0EEENS1_30default_config_static_selectorELNS0_4arch9wavefront6targetE0EEEvT1_.uses_vcc, 0
	.set _ZN7rocprim17ROCPRIM_400000_NS6detail17trampoline_kernelINS0_14default_configENS1_27scan_by_key_config_selectorIiiEEZZNS1_16scan_by_key_implILNS1_25lookback_scan_determinismE0ELb1ES3_N6thrust23THRUST_200600_302600_NS10device_ptrIiEESB_SB_iNS9_4plusIvEENS9_8equal_toIvEEiEE10hipError_tPvRmT2_T3_T4_T5_mT6_T7_P12ihipStream_tbENKUlT_T0_E_clISt17integral_constantIbLb1EESV_IbLb0EEEEDaSR_SS_EUlSR_E_NS1_11comp_targetILNS1_3genE2ELNS1_11target_archE906ELNS1_3gpuE6ELNS1_3repE0EEENS1_30default_config_static_selectorELNS0_4arch9wavefront6targetE0EEEvT1_.uses_flat_scratch, 0
	.set _ZN7rocprim17ROCPRIM_400000_NS6detail17trampoline_kernelINS0_14default_configENS1_27scan_by_key_config_selectorIiiEEZZNS1_16scan_by_key_implILNS1_25lookback_scan_determinismE0ELb1ES3_N6thrust23THRUST_200600_302600_NS10device_ptrIiEESB_SB_iNS9_4plusIvEENS9_8equal_toIvEEiEE10hipError_tPvRmT2_T3_T4_T5_mT6_T7_P12ihipStream_tbENKUlT_T0_E_clISt17integral_constantIbLb1EESV_IbLb0EEEEDaSR_SS_EUlSR_E_NS1_11comp_targetILNS1_3genE2ELNS1_11target_archE906ELNS1_3gpuE6ELNS1_3repE0EEENS1_30default_config_static_selectorELNS0_4arch9wavefront6targetE0EEEvT1_.has_dyn_sized_stack, 0
	.set _ZN7rocprim17ROCPRIM_400000_NS6detail17trampoline_kernelINS0_14default_configENS1_27scan_by_key_config_selectorIiiEEZZNS1_16scan_by_key_implILNS1_25lookback_scan_determinismE0ELb1ES3_N6thrust23THRUST_200600_302600_NS10device_ptrIiEESB_SB_iNS9_4plusIvEENS9_8equal_toIvEEiEE10hipError_tPvRmT2_T3_T4_T5_mT6_T7_P12ihipStream_tbENKUlT_T0_E_clISt17integral_constantIbLb1EESV_IbLb0EEEEDaSR_SS_EUlSR_E_NS1_11comp_targetILNS1_3genE2ELNS1_11target_archE906ELNS1_3gpuE6ELNS1_3repE0EEENS1_30default_config_static_selectorELNS0_4arch9wavefront6targetE0EEEvT1_.has_recursion, 0
	.set _ZN7rocprim17ROCPRIM_400000_NS6detail17trampoline_kernelINS0_14default_configENS1_27scan_by_key_config_selectorIiiEEZZNS1_16scan_by_key_implILNS1_25lookback_scan_determinismE0ELb1ES3_N6thrust23THRUST_200600_302600_NS10device_ptrIiEESB_SB_iNS9_4plusIvEENS9_8equal_toIvEEiEE10hipError_tPvRmT2_T3_T4_T5_mT6_T7_P12ihipStream_tbENKUlT_T0_E_clISt17integral_constantIbLb1EESV_IbLb0EEEEDaSR_SS_EUlSR_E_NS1_11comp_targetILNS1_3genE2ELNS1_11target_archE906ELNS1_3gpuE6ELNS1_3repE0EEENS1_30default_config_static_selectorELNS0_4arch9wavefront6targetE0EEEvT1_.has_indirect_call, 0
	.section	.AMDGPU.csdata,"",@progbits
; Kernel info:
; codeLenInByte = 0
; TotalNumSgprs: 0
; NumVgprs: 0
; ScratchSize: 0
; MemoryBound: 0
; FloatMode: 240
; IeeeMode: 1
; LDSByteSize: 0 bytes/workgroup (compile time only)
; SGPRBlocks: 0
; VGPRBlocks: 0
; NumSGPRsForWavesPerEU: 1
; NumVGPRsForWavesPerEU: 1
; Occupancy: 16
; WaveLimiterHint : 0
; COMPUTE_PGM_RSRC2:SCRATCH_EN: 0
; COMPUTE_PGM_RSRC2:USER_SGPR: 6
; COMPUTE_PGM_RSRC2:TRAP_HANDLER: 0
; COMPUTE_PGM_RSRC2:TGID_X_EN: 1
; COMPUTE_PGM_RSRC2:TGID_Y_EN: 0
; COMPUTE_PGM_RSRC2:TGID_Z_EN: 0
; COMPUTE_PGM_RSRC2:TIDIG_COMP_CNT: 0
	.section	.text._ZN7rocprim17ROCPRIM_400000_NS6detail17trampoline_kernelINS0_14default_configENS1_27scan_by_key_config_selectorIiiEEZZNS1_16scan_by_key_implILNS1_25lookback_scan_determinismE0ELb1ES3_N6thrust23THRUST_200600_302600_NS10device_ptrIiEESB_SB_iNS9_4plusIvEENS9_8equal_toIvEEiEE10hipError_tPvRmT2_T3_T4_T5_mT6_T7_P12ihipStream_tbENKUlT_T0_E_clISt17integral_constantIbLb1EESV_IbLb0EEEEDaSR_SS_EUlSR_E_NS1_11comp_targetILNS1_3genE10ELNS1_11target_archE1200ELNS1_3gpuE4ELNS1_3repE0EEENS1_30default_config_static_selectorELNS0_4arch9wavefront6targetE0EEEvT1_,"axG",@progbits,_ZN7rocprim17ROCPRIM_400000_NS6detail17trampoline_kernelINS0_14default_configENS1_27scan_by_key_config_selectorIiiEEZZNS1_16scan_by_key_implILNS1_25lookback_scan_determinismE0ELb1ES3_N6thrust23THRUST_200600_302600_NS10device_ptrIiEESB_SB_iNS9_4plusIvEENS9_8equal_toIvEEiEE10hipError_tPvRmT2_T3_T4_T5_mT6_T7_P12ihipStream_tbENKUlT_T0_E_clISt17integral_constantIbLb1EESV_IbLb0EEEEDaSR_SS_EUlSR_E_NS1_11comp_targetILNS1_3genE10ELNS1_11target_archE1200ELNS1_3gpuE4ELNS1_3repE0EEENS1_30default_config_static_selectorELNS0_4arch9wavefront6targetE0EEEvT1_,comdat
	.protected	_ZN7rocprim17ROCPRIM_400000_NS6detail17trampoline_kernelINS0_14default_configENS1_27scan_by_key_config_selectorIiiEEZZNS1_16scan_by_key_implILNS1_25lookback_scan_determinismE0ELb1ES3_N6thrust23THRUST_200600_302600_NS10device_ptrIiEESB_SB_iNS9_4plusIvEENS9_8equal_toIvEEiEE10hipError_tPvRmT2_T3_T4_T5_mT6_T7_P12ihipStream_tbENKUlT_T0_E_clISt17integral_constantIbLb1EESV_IbLb0EEEEDaSR_SS_EUlSR_E_NS1_11comp_targetILNS1_3genE10ELNS1_11target_archE1200ELNS1_3gpuE4ELNS1_3repE0EEENS1_30default_config_static_selectorELNS0_4arch9wavefront6targetE0EEEvT1_ ; -- Begin function _ZN7rocprim17ROCPRIM_400000_NS6detail17trampoline_kernelINS0_14default_configENS1_27scan_by_key_config_selectorIiiEEZZNS1_16scan_by_key_implILNS1_25lookback_scan_determinismE0ELb1ES3_N6thrust23THRUST_200600_302600_NS10device_ptrIiEESB_SB_iNS9_4plusIvEENS9_8equal_toIvEEiEE10hipError_tPvRmT2_T3_T4_T5_mT6_T7_P12ihipStream_tbENKUlT_T0_E_clISt17integral_constantIbLb1EESV_IbLb0EEEEDaSR_SS_EUlSR_E_NS1_11comp_targetILNS1_3genE10ELNS1_11target_archE1200ELNS1_3gpuE4ELNS1_3repE0EEENS1_30default_config_static_selectorELNS0_4arch9wavefront6targetE0EEEvT1_
	.globl	_ZN7rocprim17ROCPRIM_400000_NS6detail17trampoline_kernelINS0_14default_configENS1_27scan_by_key_config_selectorIiiEEZZNS1_16scan_by_key_implILNS1_25lookback_scan_determinismE0ELb1ES3_N6thrust23THRUST_200600_302600_NS10device_ptrIiEESB_SB_iNS9_4plusIvEENS9_8equal_toIvEEiEE10hipError_tPvRmT2_T3_T4_T5_mT6_T7_P12ihipStream_tbENKUlT_T0_E_clISt17integral_constantIbLb1EESV_IbLb0EEEEDaSR_SS_EUlSR_E_NS1_11comp_targetILNS1_3genE10ELNS1_11target_archE1200ELNS1_3gpuE4ELNS1_3repE0EEENS1_30default_config_static_selectorELNS0_4arch9wavefront6targetE0EEEvT1_
	.p2align	8
	.type	_ZN7rocprim17ROCPRIM_400000_NS6detail17trampoline_kernelINS0_14default_configENS1_27scan_by_key_config_selectorIiiEEZZNS1_16scan_by_key_implILNS1_25lookback_scan_determinismE0ELb1ES3_N6thrust23THRUST_200600_302600_NS10device_ptrIiEESB_SB_iNS9_4plusIvEENS9_8equal_toIvEEiEE10hipError_tPvRmT2_T3_T4_T5_mT6_T7_P12ihipStream_tbENKUlT_T0_E_clISt17integral_constantIbLb1EESV_IbLb0EEEEDaSR_SS_EUlSR_E_NS1_11comp_targetILNS1_3genE10ELNS1_11target_archE1200ELNS1_3gpuE4ELNS1_3repE0EEENS1_30default_config_static_selectorELNS0_4arch9wavefront6targetE0EEEvT1_,@function
_ZN7rocprim17ROCPRIM_400000_NS6detail17trampoline_kernelINS0_14default_configENS1_27scan_by_key_config_selectorIiiEEZZNS1_16scan_by_key_implILNS1_25lookback_scan_determinismE0ELb1ES3_N6thrust23THRUST_200600_302600_NS10device_ptrIiEESB_SB_iNS9_4plusIvEENS9_8equal_toIvEEiEE10hipError_tPvRmT2_T3_T4_T5_mT6_T7_P12ihipStream_tbENKUlT_T0_E_clISt17integral_constantIbLb1EESV_IbLb0EEEEDaSR_SS_EUlSR_E_NS1_11comp_targetILNS1_3genE10ELNS1_11target_archE1200ELNS1_3gpuE4ELNS1_3repE0EEENS1_30default_config_static_selectorELNS0_4arch9wavefront6targetE0EEEvT1_: ; @_ZN7rocprim17ROCPRIM_400000_NS6detail17trampoline_kernelINS0_14default_configENS1_27scan_by_key_config_selectorIiiEEZZNS1_16scan_by_key_implILNS1_25lookback_scan_determinismE0ELb1ES3_N6thrust23THRUST_200600_302600_NS10device_ptrIiEESB_SB_iNS9_4plusIvEENS9_8equal_toIvEEiEE10hipError_tPvRmT2_T3_T4_T5_mT6_T7_P12ihipStream_tbENKUlT_T0_E_clISt17integral_constantIbLb1EESV_IbLb0EEEEDaSR_SS_EUlSR_E_NS1_11comp_targetILNS1_3genE10ELNS1_11target_archE1200ELNS1_3gpuE4ELNS1_3repE0EEENS1_30default_config_static_selectorELNS0_4arch9wavefront6targetE0EEEvT1_
; %bb.0:
	.section	.rodata,"a",@progbits
	.p2align	6, 0x0
	.amdhsa_kernel _ZN7rocprim17ROCPRIM_400000_NS6detail17trampoline_kernelINS0_14default_configENS1_27scan_by_key_config_selectorIiiEEZZNS1_16scan_by_key_implILNS1_25lookback_scan_determinismE0ELb1ES3_N6thrust23THRUST_200600_302600_NS10device_ptrIiEESB_SB_iNS9_4plusIvEENS9_8equal_toIvEEiEE10hipError_tPvRmT2_T3_T4_T5_mT6_T7_P12ihipStream_tbENKUlT_T0_E_clISt17integral_constantIbLb1EESV_IbLb0EEEEDaSR_SS_EUlSR_E_NS1_11comp_targetILNS1_3genE10ELNS1_11target_archE1200ELNS1_3gpuE4ELNS1_3repE0EEENS1_30default_config_static_selectorELNS0_4arch9wavefront6targetE0EEEvT1_
		.amdhsa_group_segment_fixed_size 0
		.amdhsa_private_segment_fixed_size 0
		.amdhsa_kernarg_size 112
		.amdhsa_user_sgpr_count 6
		.amdhsa_user_sgpr_private_segment_buffer 1
		.amdhsa_user_sgpr_dispatch_ptr 0
		.amdhsa_user_sgpr_queue_ptr 0
		.amdhsa_user_sgpr_kernarg_segment_ptr 1
		.amdhsa_user_sgpr_dispatch_id 0
		.amdhsa_user_sgpr_flat_scratch_init 0
		.amdhsa_user_sgpr_private_segment_size 0
		.amdhsa_wavefront_size32 1
		.amdhsa_uses_dynamic_stack 0
		.amdhsa_system_sgpr_private_segment_wavefront_offset 0
		.amdhsa_system_sgpr_workgroup_id_x 1
		.amdhsa_system_sgpr_workgroup_id_y 0
		.amdhsa_system_sgpr_workgroup_id_z 0
		.amdhsa_system_sgpr_workgroup_info 0
		.amdhsa_system_vgpr_workitem_id 0
		.amdhsa_next_free_vgpr 1
		.amdhsa_next_free_sgpr 1
		.amdhsa_reserve_vcc 0
		.amdhsa_reserve_flat_scratch 0
		.amdhsa_float_round_mode_32 0
		.amdhsa_float_round_mode_16_64 0
		.amdhsa_float_denorm_mode_32 3
		.amdhsa_float_denorm_mode_16_64 3
		.amdhsa_dx10_clamp 1
		.amdhsa_ieee_mode 1
		.amdhsa_fp16_overflow 0
		.amdhsa_workgroup_processor_mode 1
		.amdhsa_memory_ordered 1
		.amdhsa_forward_progress 1
		.amdhsa_shared_vgpr_count 0
		.amdhsa_exception_fp_ieee_invalid_op 0
		.amdhsa_exception_fp_denorm_src 0
		.amdhsa_exception_fp_ieee_div_zero 0
		.amdhsa_exception_fp_ieee_overflow 0
		.amdhsa_exception_fp_ieee_underflow 0
		.amdhsa_exception_fp_ieee_inexact 0
		.amdhsa_exception_int_div_zero 0
	.end_amdhsa_kernel
	.section	.text._ZN7rocprim17ROCPRIM_400000_NS6detail17trampoline_kernelINS0_14default_configENS1_27scan_by_key_config_selectorIiiEEZZNS1_16scan_by_key_implILNS1_25lookback_scan_determinismE0ELb1ES3_N6thrust23THRUST_200600_302600_NS10device_ptrIiEESB_SB_iNS9_4plusIvEENS9_8equal_toIvEEiEE10hipError_tPvRmT2_T3_T4_T5_mT6_T7_P12ihipStream_tbENKUlT_T0_E_clISt17integral_constantIbLb1EESV_IbLb0EEEEDaSR_SS_EUlSR_E_NS1_11comp_targetILNS1_3genE10ELNS1_11target_archE1200ELNS1_3gpuE4ELNS1_3repE0EEENS1_30default_config_static_selectorELNS0_4arch9wavefront6targetE0EEEvT1_,"axG",@progbits,_ZN7rocprim17ROCPRIM_400000_NS6detail17trampoline_kernelINS0_14default_configENS1_27scan_by_key_config_selectorIiiEEZZNS1_16scan_by_key_implILNS1_25lookback_scan_determinismE0ELb1ES3_N6thrust23THRUST_200600_302600_NS10device_ptrIiEESB_SB_iNS9_4plusIvEENS9_8equal_toIvEEiEE10hipError_tPvRmT2_T3_T4_T5_mT6_T7_P12ihipStream_tbENKUlT_T0_E_clISt17integral_constantIbLb1EESV_IbLb0EEEEDaSR_SS_EUlSR_E_NS1_11comp_targetILNS1_3genE10ELNS1_11target_archE1200ELNS1_3gpuE4ELNS1_3repE0EEENS1_30default_config_static_selectorELNS0_4arch9wavefront6targetE0EEEvT1_,comdat
.Lfunc_end2257:
	.size	_ZN7rocprim17ROCPRIM_400000_NS6detail17trampoline_kernelINS0_14default_configENS1_27scan_by_key_config_selectorIiiEEZZNS1_16scan_by_key_implILNS1_25lookback_scan_determinismE0ELb1ES3_N6thrust23THRUST_200600_302600_NS10device_ptrIiEESB_SB_iNS9_4plusIvEENS9_8equal_toIvEEiEE10hipError_tPvRmT2_T3_T4_T5_mT6_T7_P12ihipStream_tbENKUlT_T0_E_clISt17integral_constantIbLb1EESV_IbLb0EEEEDaSR_SS_EUlSR_E_NS1_11comp_targetILNS1_3genE10ELNS1_11target_archE1200ELNS1_3gpuE4ELNS1_3repE0EEENS1_30default_config_static_selectorELNS0_4arch9wavefront6targetE0EEEvT1_, .Lfunc_end2257-_ZN7rocprim17ROCPRIM_400000_NS6detail17trampoline_kernelINS0_14default_configENS1_27scan_by_key_config_selectorIiiEEZZNS1_16scan_by_key_implILNS1_25lookback_scan_determinismE0ELb1ES3_N6thrust23THRUST_200600_302600_NS10device_ptrIiEESB_SB_iNS9_4plusIvEENS9_8equal_toIvEEiEE10hipError_tPvRmT2_T3_T4_T5_mT6_T7_P12ihipStream_tbENKUlT_T0_E_clISt17integral_constantIbLb1EESV_IbLb0EEEEDaSR_SS_EUlSR_E_NS1_11comp_targetILNS1_3genE10ELNS1_11target_archE1200ELNS1_3gpuE4ELNS1_3repE0EEENS1_30default_config_static_selectorELNS0_4arch9wavefront6targetE0EEEvT1_
                                        ; -- End function
	.set _ZN7rocprim17ROCPRIM_400000_NS6detail17trampoline_kernelINS0_14default_configENS1_27scan_by_key_config_selectorIiiEEZZNS1_16scan_by_key_implILNS1_25lookback_scan_determinismE0ELb1ES3_N6thrust23THRUST_200600_302600_NS10device_ptrIiEESB_SB_iNS9_4plusIvEENS9_8equal_toIvEEiEE10hipError_tPvRmT2_T3_T4_T5_mT6_T7_P12ihipStream_tbENKUlT_T0_E_clISt17integral_constantIbLb1EESV_IbLb0EEEEDaSR_SS_EUlSR_E_NS1_11comp_targetILNS1_3genE10ELNS1_11target_archE1200ELNS1_3gpuE4ELNS1_3repE0EEENS1_30default_config_static_selectorELNS0_4arch9wavefront6targetE0EEEvT1_.num_vgpr, 0
	.set _ZN7rocprim17ROCPRIM_400000_NS6detail17trampoline_kernelINS0_14default_configENS1_27scan_by_key_config_selectorIiiEEZZNS1_16scan_by_key_implILNS1_25lookback_scan_determinismE0ELb1ES3_N6thrust23THRUST_200600_302600_NS10device_ptrIiEESB_SB_iNS9_4plusIvEENS9_8equal_toIvEEiEE10hipError_tPvRmT2_T3_T4_T5_mT6_T7_P12ihipStream_tbENKUlT_T0_E_clISt17integral_constantIbLb1EESV_IbLb0EEEEDaSR_SS_EUlSR_E_NS1_11comp_targetILNS1_3genE10ELNS1_11target_archE1200ELNS1_3gpuE4ELNS1_3repE0EEENS1_30default_config_static_selectorELNS0_4arch9wavefront6targetE0EEEvT1_.num_agpr, 0
	.set _ZN7rocprim17ROCPRIM_400000_NS6detail17trampoline_kernelINS0_14default_configENS1_27scan_by_key_config_selectorIiiEEZZNS1_16scan_by_key_implILNS1_25lookback_scan_determinismE0ELb1ES3_N6thrust23THRUST_200600_302600_NS10device_ptrIiEESB_SB_iNS9_4plusIvEENS9_8equal_toIvEEiEE10hipError_tPvRmT2_T3_T4_T5_mT6_T7_P12ihipStream_tbENKUlT_T0_E_clISt17integral_constantIbLb1EESV_IbLb0EEEEDaSR_SS_EUlSR_E_NS1_11comp_targetILNS1_3genE10ELNS1_11target_archE1200ELNS1_3gpuE4ELNS1_3repE0EEENS1_30default_config_static_selectorELNS0_4arch9wavefront6targetE0EEEvT1_.numbered_sgpr, 0
	.set _ZN7rocprim17ROCPRIM_400000_NS6detail17trampoline_kernelINS0_14default_configENS1_27scan_by_key_config_selectorIiiEEZZNS1_16scan_by_key_implILNS1_25lookback_scan_determinismE0ELb1ES3_N6thrust23THRUST_200600_302600_NS10device_ptrIiEESB_SB_iNS9_4plusIvEENS9_8equal_toIvEEiEE10hipError_tPvRmT2_T3_T4_T5_mT6_T7_P12ihipStream_tbENKUlT_T0_E_clISt17integral_constantIbLb1EESV_IbLb0EEEEDaSR_SS_EUlSR_E_NS1_11comp_targetILNS1_3genE10ELNS1_11target_archE1200ELNS1_3gpuE4ELNS1_3repE0EEENS1_30default_config_static_selectorELNS0_4arch9wavefront6targetE0EEEvT1_.num_named_barrier, 0
	.set _ZN7rocprim17ROCPRIM_400000_NS6detail17trampoline_kernelINS0_14default_configENS1_27scan_by_key_config_selectorIiiEEZZNS1_16scan_by_key_implILNS1_25lookback_scan_determinismE0ELb1ES3_N6thrust23THRUST_200600_302600_NS10device_ptrIiEESB_SB_iNS9_4plusIvEENS9_8equal_toIvEEiEE10hipError_tPvRmT2_T3_T4_T5_mT6_T7_P12ihipStream_tbENKUlT_T0_E_clISt17integral_constantIbLb1EESV_IbLb0EEEEDaSR_SS_EUlSR_E_NS1_11comp_targetILNS1_3genE10ELNS1_11target_archE1200ELNS1_3gpuE4ELNS1_3repE0EEENS1_30default_config_static_selectorELNS0_4arch9wavefront6targetE0EEEvT1_.private_seg_size, 0
	.set _ZN7rocprim17ROCPRIM_400000_NS6detail17trampoline_kernelINS0_14default_configENS1_27scan_by_key_config_selectorIiiEEZZNS1_16scan_by_key_implILNS1_25lookback_scan_determinismE0ELb1ES3_N6thrust23THRUST_200600_302600_NS10device_ptrIiEESB_SB_iNS9_4plusIvEENS9_8equal_toIvEEiEE10hipError_tPvRmT2_T3_T4_T5_mT6_T7_P12ihipStream_tbENKUlT_T0_E_clISt17integral_constantIbLb1EESV_IbLb0EEEEDaSR_SS_EUlSR_E_NS1_11comp_targetILNS1_3genE10ELNS1_11target_archE1200ELNS1_3gpuE4ELNS1_3repE0EEENS1_30default_config_static_selectorELNS0_4arch9wavefront6targetE0EEEvT1_.uses_vcc, 0
	.set _ZN7rocprim17ROCPRIM_400000_NS6detail17trampoline_kernelINS0_14default_configENS1_27scan_by_key_config_selectorIiiEEZZNS1_16scan_by_key_implILNS1_25lookback_scan_determinismE0ELb1ES3_N6thrust23THRUST_200600_302600_NS10device_ptrIiEESB_SB_iNS9_4plusIvEENS9_8equal_toIvEEiEE10hipError_tPvRmT2_T3_T4_T5_mT6_T7_P12ihipStream_tbENKUlT_T0_E_clISt17integral_constantIbLb1EESV_IbLb0EEEEDaSR_SS_EUlSR_E_NS1_11comp_targetILNS1_3genE10ELNS1_11target_archE1200ELNS1_3gpuE4ELNS1_3repE0EEENS1_30default_config_static_selectorELNS0_4arch9wavefront6targetE0EEEvT1_.uses_flat_scratch, 0
	.set _ZN7rocprim17ROCPRIM_400000_NS6detail17trampoline_kernelINS0_14default_configENS1_27scan_by_key_config_selectorIiiEEZZNS1_16scan_by_key_implILNS1_25lookback_scan_determinismE0ELb1ES3_N6thrust23THRUST_200600_302600_NS10device_ptrIiEESB_SB_iNS9_4plusIvEENS9_8equal_toIvEEiEE10hipError_tPvRmT2_T3_T4_T5_mT6_T7_P12ihipStream_tbENKUlT_T0_E_clISt17integral_constantIbLb1EESV_IbLb0EEEEDaSR_SS_EUlSR_E_NS1_11comp_targetILNS1_3genE10ELNS1_11target_archE1200ELNS1_3gpuE4ELNS1_3repE0EEENS1_30default_config_static_selectorELNS0_4arch9wavefront6targetE0EEEvT1_.has_dyn_sized_stack, 0
	.set _ZN7rocprim17ROCPRIM_400000_NS6detail17trampoline_kernelINS0_14default_configENS1_27scan_by_key_config_selectorIiiEEZZNS1_16scan_by_key_implILNS1_25lookback_scan_determinismE0ELb1ES3_N6thrust23THRUST_200600_302600_NS10device_ptrIiEESB_SB_iNS9_4plusIvEENS9_8equal_toIvEEiEE10hipError_tPvRmT2_T3_T4_T5_mT6_T7_P12ihipStream_tbENKUlT_T0_E_clISt17integral_constantIbLb1EESV_IbLb0EEEEDaSR_SS_EUlSR_E_NS1_11comp_targetILNS1_3genE10ELNS1_11target_archE1200ELNS1_3gpuE4ELNS1_3repE0EEENS1_30default_config_static_selectorELNS0_4arch9wavefront6targetE0EEEvT1_.has_recursion, 0
	.set _ZN7rocprim17ROCPRIM_400000_NS6detail17trampoline_kernelINS0_14default_configENS1_27scan_by_key_config_selectorIiiEEZZNS1_16scan_by_key_implILNS1_25lookback_scan_determinismE0ELb1ES3_N6thrust23THRUST_200600_302600_NS10device_ptrIiEESB_SB_iNS9_4plusIvEENS9_8equal_toIvEEiEE10hipError_tPvRmT2_T3_T4_T5_mT6_T7_P12ihipStream_tbENKUlT_T0_E_clISt17integral_constantIbLb1EESV_IbLb0EEEEDaSR_SS_EUlSR_E_NS1_11comp_targetILNS1_3genE10ELNS1_11target_archE1200ELNS1_3gpuE4ELNS1_3repE0EEENS1_30default_config_static_selectorELNS0_4arch9wavefront6targetE0EEEvT1_.has_indirect_call, 0
	.section	.AMDGPU.csdata,"",@progbits
; Kernel info:
; codeLenInByte = 0
; TotalNumSgprs: 0
; NumVgprs: 0
; ScratchSize: 0
; MemoryBound: 0
; FloatMode: 240
; IeeeMode: 1
; LDSByteSize: 0 bytes/workgroup (compile time only)
; SGPRBlocks: 0
; VGPRBlocks: 0
; NumSGPRsForWavesPerEU: 1
; NumVGPRsForWavesPerEU: 1
; Occupancy: 16
; WaveLimiterHint : 0
; COMPUTE_PGM_RSRC2:SCRATCH_EN: 0
; COMPUTE_PGM_RSRC2:USER_SGPR: 6
; COMPUTE_PGM_RSRC2:TRAP_HANDLER: 0
; COMPUTE_PGM_RSRC2:TGID_X_EN: 1
; COMPUTE_PGM_RSRC2:TGID_Y_EN: 0
; COMPUTE_PGM_RSRC2:TGID_Z_EN: 0
; COMPUTE_PGM_RSRC2:TIDIG_COMP_CNT: 0
	.section	.text._ZN7rocprim17ROCPRIM_400000_NS6detail17trampoline_kernelINS0_14default_configENS1_27scan_by_key_config_selectorIiiEEZZNS1_16scan_by_key_implILNS1_25lookback_scan_determinismE0ELb1ES3_N6thrust23THRUST_200600_302600_NS10device_ptrIiEESB_SB_iNS9_4plusIvEENS9_8equal_toIvEEiEE10hipError_tPvRmT2_T3_T4_T5_mT6_T7_P12ihipStream_tbENKUlT_T0_E_clISt17integral_constantIbLb1EESV_IbLb0EEEEDaSR_SS_EUlSR_E_NS1_11comp_targetILNS1_3genE9ELNS1_11target_archE1100ELNS1_3gpuE3ELNS1_3repE0EEENS1_30default_config_static_selectorELNS0_4arch9wavefront6targetE0EEEvT1_,"axG",@progbits,_ZN7rocprim17ROCPRIM_400000_NS6detail17trampoline_kernelINS0_14default_configENS1_27scan_by_key_config_selectorIiiEEZZNS1_16scan_by_key_implILNS1_25lookback_scan_determinismE0ELb1ES3_N6thrust23THRUST_200600_302600_NS10device_ptrIiEESB_SB_iNS9_4plusIvEENS9_8equal_toIvEEiEE10hipError_tPvRmT2_T3_T4_T5_mT6_T7_P12ihipStream_tbENKUlT_T0_E_clISt17integral_constantIbLb1EESV_IbLb0EEEEDaSR_SS_EUlSR_E_NS1_11comp_targetILNS1_3genE9ELNS1_11target_archE1100ELNS1_3gpuE3ELNS1_3repE0EEENS1_30default_config_static_selectorELNS0_4arch9wavefront6targetE0EEEvT1_,comdat
	.protected	_ZN7rocprim17ROCPRIM_400000_NS6detail17trampoline_kernelINS0_14default_configENS1_27scan_by_key_config_selectorIiiEEZZNS1_16scan_by_key_implILNS1_25lookback_scan_determinismE0ELb1ES3_N6thrust23THRUST_200600_302600_NS10device_ptrIiEESB_SB_iNS9_4plusIvEENS9_8equal_toIvEEiEE10hipError_tPvRmT2_T3_T4_T5_mT6_T7_P12ihipStream_tbENKUlT_T0_E_clISt17integral_constantIbLb1EESV_IbLb0EEEEDaSR_SS_EUlSR_E_NS1_11comp_targetILNS1_3genE9ELNS1_11target_archE1100ELNS1_3gpuE3ELNS1_3repE0EEENS1_30default_config_static_selectorELNS0_4arch9wavefront6targetE0EEEvT1_ ; -- Begin function _ZN7rocprim17ROCPRIM_400000_NS6detail17trampoline_kernelINS0_14default_configENS1_27scan_by_key_config_selectorIiiEEZZNS1_16scan_by_key_implILNS1_25lookback_scan_determinismE0ELb1ES3_N6thrust23THRUST_200600_302600_NS10device_ptrIiEESB_SB_iNS9_4plusIvEENS9_8equal_toIvEEiEE10hipError_tPvRmT2_T3_T4_T5_mT6_T7_P12ihipStream_tbENKUlT_T0_E_clISt17integral_constantIbLb1EESV_IbLb0EEEEDaSR_SS_EUlSR_E_NS1_11comp_targetILNS1_3genE9ELNS1_11target_archE1100ELNS1_3gpuE3ELNS1_3repE0EEENS1_30default_config_static_selectorELNS0_4arch9wavefront6targetE0EEEvT1_
	.globl	_ZN7rocprim17ROCPRIM_400000_NS6detail17trampoline_kernelINS0_14default_configENS1_27scan_by_key_config_selectorIiiEEZZNS1_16scan_by_key_implILNS1_25lookback_scan_determinismE0ELb1ES3_N6thrust23THRUST_200600_302600_NS10device_ptrIiEESB_SB_iNS9_4plusIvEENS9_8equal_toIvEEiEE10hipError_tPvRmT2_T3_T4_T5_mT6_T7_P12ihipStream_tbENKUlT_T0_E_clISt17integral_constantIbLb1EESV_IbLb0EEEEDaSR_SS_EUlSR_E_NS1_11comp_targetILNS1_3genE9ELNS1_11target_archE1100ELNS1_3gpuE3ELNS1_3repE0EEENS1_30default_config_static_selectorELNS0_4arch9wavefront6targetE0EEEvT1_
	.p2align	8
	.type	_ZN7rocprim17ROCPRIM_400000_NS6detail17trampoline_kernelINS0_14default_configENS1_27scan_by_key_config_selectorIiiEEZZNS1_16scan_by_key_implILNS1_25lookback_scan_determinismE0ELb1ES3_N6thrust23THRUST_200600_302600_NS10device_ptrIiEESB_SB_iNS9_4plusIvEENS9_8equal_toIvEEiEE10hipError_tPvRmT2_T3_T4_T5_mT6_T7_P12ihipStream_tbENKUlT_T0_E_clISt17integral_constantIbLb1EESV_IbLb0EEEEDaSR_SS_EUlSR_E_NS1_11comp_targetILNS1_3genE9ELNS1_11target_archE1100ELNS1_3gpuE3ELNS1_3repE0EEENS1_30default_config_static_selectorELNS0_4arch9wavefront6targetE0EEEvT1_,@function
_ZN7rocprim17ROCPRIM_400000_NS6detail17trampoline_kernelINS0_14default_configENS1_27scan_by_key_config_selectorIiiEEZZNS1_16scan_by_key_implILNS1_25lookback_scan_determinismE0ELb1ES3_N6thrust23THRUST_200600_302600_NS10device_ptrIiEESB_SB_iNS9_4plusIvEENS9_8equal_toIvEEiEE10hipError_tPvRmT2_T3_T4_T5_mT6_T7_P12ihipStream_tbENKUlT_T0_E_clISt17integral_constantIbLb1EESV_IbLb0EEEEDaSR_SS_EUlSR_E_NS1_11comp_targetILNS1_3genE9ELNS1_11target_archE1100ELNS1_3gpuE3ELNS1_3repE0EEENS1_30default_config_static_selectorELNS0_4arch9wavefront6targetE0EEEvT1_: ; @_ZN7rocprim17ROCPRIM_400000_NS6detail17trampoline_kernelINS0_14default_configENS1_27scan_by_key_config_selectorIiiEEZZNS1_16scan_by_key_implILNS1_25lookback_scan_determinismE0ELb1ES3_N6thrust23THRUST_200600_302600_NS10device_ptrIiEESB_SB_iNS9_4plusIvEENS9_8equal_toIvEEiEE10hipError_tPvRmT2_T3_T4_T5_mT6_T7_P12ihipStream_tbENKUlT_T0_E_clISt17integral_constantIbLb1EESV_IbLb0EEEEDaSR_SS_EUlSR_E_NS1_11comp_targetILNS1_3genE9ELNS1_11target_archE1100ELNS1_3gpuE3ELNS1_3repE0EEENS1_30default_config_static_selectorELNS0_4arch9wavefront6targetE0EEEvT1_
; %bb.0:
	.section	.rodata,"a",@progbits
	.p2align	6, 0x0
	.amdhsa_kernel _ZN7rocprim17ROCPRIM_400000_NS6detail17trampoline_kernelINS0_14default_configENS1_27scan_by_key_config_selectorIiiEEZZNS1_16scan_by_key_implILNS1_25lookback_scan_determinismE0ELb1ES3_N6thrust23THRUST_200600_302600_NS10device_ptrIiEESB_SB_iNS9_4plusIvEENS9_8equal_toIvEEiEE10hipError_tPvRmT2_T3_T4_T5_mT6_T7_P12ihipStream_tbENKUlT_T0_E_clISt17integral_constantIbLb1EESV_IbLb0EEEEDaSR_SS_EUlSR_E_NS1_11comp_targetILNS1_3genE9ELNS1_11target_archE1100ELNS1_3gpuE3ELNS1_3repE0EEENS1_30default_config_static_selectorELNS0_4arch9wavefront6targetE0EEEvT1_
		.amdhsa_group_segment_fixed_size 0
		.amdhsa_private_segment_fixed_size 0
		.amdhsa_kernarg_size 112
		.amdhsa_user_sgpr_count 6
		.amdhsa_user_sgpr_private_segment_buffer 1
		.amdhsa_user_sgpr_dispatch_ptr 0
		.amdhsa_user_sgpr_queue_ptr 0
		.amdhsa_user_sgpr_kernarg_segment_ptr 1
		.amdhsa_user_sgpr_dispatch_id 0
		.amdhsa_user_sgpr_flat_scratch_init 0
		.amdhsa_user_sgpr_private_segment_size 0
		.amdhsa_wavefront_size32 1
		.amdhsa_uses_dynamic_stack 0
		.amdhsa_system_sgpr_private_segment_wavefront_offset 0
		.amdhsa_system_sgpr_workgroup_id_x 1
		.amdhsa_system_sgpr_workgroup_id_y 0
		.amdhsa_system_sgpr_workgroup_id_z 0
		.amdhsa_system_sgpr_workgroup_info 0
		.amdhsa_system_vgpr_workitem_id 0
		.amdhsa_next_free_vgpr 1
		.amdhsa_next_free_sgpr 1
		.amdhsa_reserve_vcc 0
		.amdhsa_reserve_flat_scratch 0
		.amdhsa_float_round_mode_32 0
		.amdhsa_float_round_mode_16_64 0
		.amdhsa_float_denorm_mode_32 3
		.amdhsa_float_denorm_mode_16_64 3
		.amdhsa_dx10_clamp 1
		.amdhsa_ieee_mode 1
		.amdhsa_fp16_overflow 0
		.amdhsa_workgroup_processor_mode 1
		.amdhsa_memory_ordered 1
		.amdhsa_forward_progress 1
		.amdhsa_shared_vgpr_count 0
		.amdhsa_exception_fp_ieee_invalid_op 0
		.amdhsa_exception_fp_denorm_src 0
		.amdhsa_exception_fp_ieee_div_zero 0
		.amdhsa_exception_fp_ieee_overflow 0
		.amdhsa_exception_fp_ieee_underflow 0
		.amdhsa_exception_fp_ieee_inexact 0
		.amdhsa_exception_int_div_zero 0
	.end_amdhsa_kernel
	.section	.text._ZN7rocprim17ROCPRIM_400000_NS6detail17trampoline_kernelINS0_14default_configENS1_27scan_by_key_config_selectorIiiEEZZNS1_16scan_by_key_implILNS1_25lookback_scan_determinismE0ELb1ES3_N6thrust23THRUST_200600_302600_NS10device_ptrIiEESB_SB_iNS9_4plusIvEENS9_8equal_toIvEEiEE10hipError_tPvRmT2_T3_T4_T5_mT6_T7_P12ihipStream_tbENKUlT_T0_E_clISt17integral_constantIbLb1EESV_IbLb0EEEEDaSR_SS_EUlSR_E_NS1_11comp_targetILNS1_3genE9ELNS1_11target_archE1100ELNS1_3gpuE3ELNS1_3repE0EEENS1_30default_config_static_selectorELNS0_4arch9wavefront6targetE0EEEvT1_,"axG",@progbits,_ZN7rocprim17ROCPRIM_400000_NS6detail17trampoline_kernelINS0_14default_configENS1_27scan_by_key_config_selectorIiiEEZZNS1_16scan_by_key_implILNS1_25lookback_scan_determinismE0ELb1ES3_N6thrust23THRUST_200600_302600_NS10device_ptrIiEESB_SB_iNS9_4plusIvEENS9_8equal_toIvEEiEE10hipError_tPvRmT2_T3_T4_T5_mT6_T7_P12ihipStream_tbENKUlT_T0_E_clISt17integral_constantIbLb1EESV_IbLb0EEEEDaSR_SS_EUlSR_E_NS1_11comp_targetILNS1_3genE9ELNS1_11target_archE1100ELNS1_3gpuE3ELNS1_3repE0EEENS1_30default_config_static_selectorELNS0_4arch9wavefront6targetE0EEEvT1_,comdat
.Lfunc_end2258:
	.size	_ZN7rocprim17ROCPRIM_400000_NS6detail17trampoline_kernelINS0_14default_configENS1_27scan_by_key_config_selectorIiiEEZZNS1_16scan_by_key_implILNS1_25lookback_scan_determinismE0ELb1ES3_N6thrust23THRUST_200600_302600_NS10device_ptrIiEESB_SB_iNS9_4plusIvEENS9_8equal_toIvEEiEE10hipError_tPvRmT2_T3_T4_T5_mT6_T7_P12ihipStream_tbENKUlT_T0_E_clISt17integral_constantIbLb1EESV_IbLb0EEEEDaSR_SS_EUlSR_E_NS1_11comp_targetILNS1_3genE9ELNS1_11target_archE1100ELNS1_3gpuE3ELNS1_3repE0EEENS1_30default_config_static_selectorELNS0_4arch9wavefront6targetE0EEEvT1_, .Lfunc_end2258-_ZN7rocprim17ROCPRIM_400000_NS6detail17trampoline_kernelINS0_14default_configENS1_27scan_by_key_config_selectorIiiEEZZNS1_16scan_by_key_implILNS1_25lookback_scan_determinismE0ELb1ES3_N6thrust23THRUST_200600_302600_NS10device_ptrIiEESB_SB_iNS9_4plusIvEENS9_8equal_toIvEEiEE10hipError_tPvRmT2_T3_T4_T5_mT6_T7_P12ihipStream_tbENKUlT_T0_E_clISt17integral_constantIbLb1EESV_IbLb0EEEEDaSR_SS_EUlSR_E_NS1_11comp_targetILNS1_3genE9ELNS1_11target_archE1100ELNS1_3gpuE3ELNS1_3repE0EEENS1_30default_config_static_selectorELNS0_4arch9wavefront6targetE0EEEvT1_
                                        ; -- End function
	.set _ZN7rocprim17ROCPRIM_400000_NS6detail17trampoline_kernelINS0_14default_configENS1_27scan_by_key_config_selectorIiiEEZZNS1_16scan_by_key_implILNS1_25lookback_scan_determinismE0ELb1ES3_N6thrust23THRUST_200600_302600_NS10device_ptrIiEESB_SB_iNS9_4plusIvEENS9_8equal_toIvEEiEE10hipError_tPvRmT2_T3_T4_T5_mT6_T7_P12ihipStream_tbENKUlT_T0_E_clISt17integral_constantIbLb1EESV_IbLb0EEEEDaSR_SS_EUlSR_E_NS1_11comp_targetILNS1_3genE9ELNS1_11target_archE1100ELNS1_3gpuE3ELNS1_3repE0EEENS1_30default_config_static_selectorELNS0_4arch9wavefront6targetE0EEEvT1_.num_vgpr, 0
	.set _ZN7rocprim17ROCPRIM_400000_NS6detail17trampoline_kernelINS0_14default_configENS1_27scan_by_key_config_selectorIiiEEZZNS1_16scan_by_key_implILNS1_25lookback_scan_determinismE0ELb1ES3_N6thrust23THRUST_200600_302600_NS10device_ptrIiEESB_SB_iNS9_4plusIvEENS9_8equal_toIvEEiEE10hipError_tPvRmT2_T3_T4_T5_mT6_T7_P12ihipStream_tbENKUlT_T0_E_clISt17integral_constantIbLb1EESV_IbLb0EEEEDaSR_SS_EUlSR_E_NS1_11comp_targetILNS1_3genE9ELNS1_11target_archE1100ELNS1_3gpuE3ELNS1_3repE0EEENS1_30default_config_static_selectorELNS0_4arch9wavefront6targetE0EEEvT1_.num_agpr, 0
	.set _ZN7rocprim17ROCPRIM_400000_NS6detail17trampoline_kernelINS0_14default_configENS1_27scan_by_key_config_selectorIiiEEZZNS1_16scan_by_key_implILNS1_25lookback_scan_determinismE0ELb1ES3_N6thrust23THRUST_200600_302600_NS10device_ptrIiEESB_SB_iNS9_4plusIvEENS9_8equal_toIvEEiEE10hipError_tPvRmT2_T3_T4_T5_mT6_T7_P12ihipStream_tbENKUlT_T0_E_clISt17integral_constantIbLb1EESV_IbLb0EEEEDaSR_SS_EUlSR_E_NS1_11comp_targetILNS1_3genE9ELNS1_11target_archE1100ELNS1_3gpuE3ELNS1_3repE0EEENS1_30default_config_static_selectorELNS0_4arch9wavefront6targetE0EEEvT1_.numbered_sgpr, 0
	.set _ZN7rocprim17ROCPRIM_400000_NS6detail17trampoline_kernelINS0_14default_configENS1_27scan_by_key_config_selectorIiiEEZZNS1_16scan_by_key_implILNS1_25lookback_scan_determinismE0ELb1ES3_N6thrust23THRUST_200600_302600_NS10device_ptrIiEESB_SB_iNS9_4plusIvEENS9_8equal_toIvEEiEE10hipError_tPvRmT2_T3_T4_T5_mT6_T7_P12ihipStream_tbENKUlT_T0_E_clISt17integral_constantIbLb1EESV_IbLb0EEEEDaSR_SS_EUlSR_E_NS1_11comp_targetILNS1_3genE9ELNS1_11target_archE1100ELNS1_3gpuE3ELNS1_3repE0EEENS1_30default_config_static_selectorELNS0_4arch9wavefront6targetE0EEEvT1_.num_named_barrier, 0
	.set _ZN7rocprim17ROCPRIM_400000_NS6detail17trampoline_kernelINS0_14default_configENS1_27scan_by_key_config_selectorIiiEEZZNS1_16scan_by_key_implILNS1_25lookback_scan_determinismE0ELb1ES3_N6thrust23THRUST_200600_302600_NS10device_ptrIiEESB_SB_iNS9_4plusIvEENS9_8equal_toIvEEiEE10hipError_tPvRmT2_T3_T4_T5_mT6_T7_P12ihipStream_tbENKUlT_T0_E_clISt17integral_constantIbLb1EESV_IbLb0EEEEDaSR_SS_EUlSR_E_NS1_11comp_targetILNS1_3genE9ELNS1_11target_archE1100ELNS1_3gpuE3ELNS1_3repE0EEENS1_30default_config_static_selectorELNS0_4arch9wavefront6targetE0EEEvT1_.private_seg_size, 0
	.set _ZN7rocprim17ROCPRIM_400000_NS6detail17trampoline_kernelINS0_14default_configENS1_27scan_by_key_config_selectorIiiEEZZNS1_16scan_by_key_implILNS1_25lookback_scan_determinismE0ELb1ES3_N6thrust23THRUST_200600_302600_NS10device_ptrIiEESB_SB_iNS9_4plusIvEENS9_8equal_toIvEEiEE10hipError_tPvRmT2_T3_T4_T5_mT6_T7_P12ihipStream_tbENKUlT_T0_E_clISt17integral_constantIbLb1EESV_IbLb0EEEEDaSR_SS_EUlSR_E_NS1_11comp_targetILNS1_3genE9ELNS1_11target_archE1100ELNS1_3gpuE3ELNS1_3repE0EEENS1_30default_config_static_selectorELNS0_4arch9wavefront6targetE0EEEvT1_.uses_vcc, 0
	.set _ZN7rocprim17ROCPRIM_400000_NS6detail17trampoline_kernelINS0_14default_configENS1_27scan_by_key_config_selectorIiiEEZZNS1_16scan_by_key_implILNS1_25lookback_scan_determinismE0ELb1ES3_N6thrust23THRUST_200600_302600_NS10device_ptrIiEESB_SB_iNS9_4plusIvEENS9_8equal_toIvEEiEE10hipError_tPvRmT2_T3_T4_T5_mT6_T7_P12ihipStream_tbENKUlT_T0_E_clISt17integral_constantIbLb1EESV_IbLb0EEEEDaSR_SS_EUlSR_E_NS1_11comp_targetILNS1_3genE9ELNS1_11target_archE1100ELNS1_3gpuE3ELNS1_3repE0EEENS1_30default_config_static_selectorELNS0_4arch9wavefront6targetE0EEEvT1_.uses_flat_scratch, 0
	.set _ZN7rocprim17ROCPRIM_400000_NS6detail17trampoline_kernelINS0_14default_configENS1_27scan_by_key_config_selectorIiiEEZZNS1_16scan_by_key_implILNS1_25lookback_scan_determinismE0ELb1ES3_N6thrust23THRUST_200600_302600_NS10device_ptrIiEESB_SB_iNS9_4plusIvEENS9_8equal_toIvEEiEE10hipError_tPvRmT2_T3_T4_T5_mT6_T7_P12ihipStream_tbENKUlT_T0_E_clISt17integral_constantIbLb1EESV_IbLb0EEEEDaSR_SS_EUlSR_E_NS1_11comp_targetILNS1_3genE9ELNS1_11target_archE1100ELNS1_3gpuE3ELNS1_3repE0EEENS1_30default_config_static_selectorELNS0_4arch9wavefront6targetE0EEEvT1_.has_dyn_sized_stack, 0
	.set _ZN7rocprim17ROCPRIM_400000_NS6detail17trampoline_kernelINS0_14default_configENS1_27scan_by_key_config_selectorIiiEEZZNS1_16scan_by_key_implILNS1_25lookback_scan_determinismE0ELb1ES3_N6thrust23THRUST_200600_302600_NS10device_ptrIiEESB_SB_iNS9_4plusIvEENS9_8equal_toIvEEiEE10hipError_tPvRmT2_T3_T4_T5_mT6_T7_P12ihipStream_tbENKUlT_T0_E_clISt17integral_constantIbLb1EESV_IbLb0EEEEDaSR_SS_EUlSR_E_NS1_11comp_targetILNS1_3genE9ELNS1_11target_archE1100ELNS1_3gpuE3ELNS1_3repE0EEENS1_30default_config_static_selectorELNS0_4arch9wavefront6targetE0EEEvT1_.has_recursion, 0
	.set _ZN7rocprim17ROCPRIM_400000_NS6detail17trampoline_kernelINS0_14default_configENS1_27scan_by_key_config_selectorIiiEEZZNS1_16scan_by_key_implILNS1_25lookback_scan_determinismE0ELb1ES3_N6thrust23THRUST_200600_302600_NS10device_ptrIiEESB_SB_iNS9_4plusIvEENS9_8equal_toIvEEiEE10hipError_tPvRmT2_T3_T4_T5_mT6_T7_P12ihipStream_tbENKUlT_T0_E_clISt17integral_constantIbLb1EESV_IbLb0EEEEDaSR_SS_EUlSR_E_NS1_11comp_targetILNS1_3genE9ELNS1_11target_archE1100ELNS1_3gpuE3ELNS1_3repE0EEENS1_30default_config_static_selectorELNS0_4arch9wavefront6targetE0EEEvT1_.has_indirect_call, 0
	.section	.AMDGPU.csdata,"",@progbits
; Kernel info:
; codeLenInByte = 0
; TotalNumSgprs: 0
; NumVgprs: 0
; ScratchSize: 0
; MemoryBound: 0
; FloatMode: 240
; IeeeMode: 1
; LDSByteSize: 0 bytes/workgroup (compile time only)
; SGPRBlocks: 0
; VGPRBlocks: 0
; NumSGPRsForWavesPerEU: 1
; NumVGPRsForWavesPerEU: 1
; Occupancy: 16
; WaveLimiterHint : 0
; COMPUTE_PGM_RSRC2:SCRATCH_EN: 0
; COMPUTE_PGM_RSRC2:USER_SGPR: 6
; COMPUTE_PGM_RSRC2:TRAP_HANDLER: 0
; COMPUTE_PGM_RSRC2:TGID_X_EN: 1
; COMPUTE_PGM_RSRC2:TGID_Y_EN: 0
; COMPUTE_PGM_RSRC2:TGID_Z_EN: 0
; COMPUTE_PGM_RSRC2:TIDIG_COMP_CNT: 0
	.section	.text._ZN7rocprim17ROCPRIM_400000_NS6detail17trampoline_kernelINS0_14default_configENS1_27scan_by_key_config_selectorIiiEEZZNS1_16scan_by_key_implILNS1_25lookback_scan_determinismE0ELb1ES3_N6thrust23THRUST_200600_302600_NS10device_ptrIiEESB_SB_iNS9_4plusIvEENS9_8equal_toIvEEiEE10hipError_tPvRmT2_T3_T4_T5_mT6_T7_P12ihipStream_tbENKUlT_T0_E_clISt17integral_constantIbLb1EESV_IbLb0EEEEDaSR_SS_EUlSR_E_NS1_11comp_targetILNS1_3genE8ELNS1_11target_archE1030ELNS1_3gpuE2ELNS1_3repE0EEENS1_30default_config_static_selectorELNS0_4arch9wavefront6targetE0EEEvT1_,"axG",@progbits,_ZN7rocprim17ROCPRIM_400000_NS6detail17trampoline_kernelINS0_14default_configENS1_27scan_by_key_config_selectorIiiEEZZNS1_16scan_by_key_implILNS1_25lookback_scan_determinismE0ELb1ES3_N6thrust23THRUST_200600_302600_NS10device_ptrIiEESB_SB_iNS9_4plusIvEENS9_8equal_toIvEEiEE10hipError_tPvRmT2_T3_T4_T5_mT6_T7_P12ihipStream_tbENKUlT_T0_E_clISt17integral_constantIbLb1EESV_IbLb0EEEEDaSR_SS_EUlSR_E_NS1_11comp_targetILNS1_3genE8ELNS1_11target_archE1030ELNS1_3gpuE2ELNS1_3repE0EEENS1_30default_config_static_selectorELNS0_4arch9wavefront6targetE0EEEvT1_,comdat
	.protected	_ZN7rocprim17ROCPRIM_400000_NS6detail17trampoline_kernelINS0_14default_configENS1_27scan_by_key_config_selectorIiiEEZZNS1_16scan_by_key_implILNS1_25lookback_scan_determinismE0ELb1ES3_N6thrust23THRUST_200600_302600_NS10device_ptrIiEESB_SB_iNS9_4plusIvEENS9_8equal_toIvEEiEE10hipError_tPvRmT2_T3_T4_T5_mT6_T7_P12ihipStream_tbENKUlT_T0_E_clISt17integral_constantIbLb1EESV_IbLb0EEEEDaSR_SS_EUlSR_E_NS1_11comp_targetILNS1_3genE8ELNS1_11target_archE1030ELNS1_3gpuE2ELNS1_3repE0EEENS1_30default_config_static_selectorELNS0_4arch9wavefront6targetE0EEEvT1_ ; -- Begin function _ZN7rocprim17ROCPRIM_400000_NS6detail17trampoline_kernelINS0_14default_configENS1_27scan_by_key_config_selectorIiiEEZZNS1_16scan_by_key_implILNS1_25lookback_scan_determinismE0ELb1ES3_N6thrust23THRUST_200600_302600_NS10device_ptrIiEESB_SB_iNS9_4plusIvEENS9_8equal_toIvEEiEE10hipError_tPvRmT2_T3_T4_T5_mT6_T7_P12ihipStream_tbENKUlT_T0_E_clISt17integral_constantIbLb1EESV_IbLb0EEEEDaSR_SS_EUlSR_E_NS1_11comp_targetILNS1_3genE8ELNS1_11target_archE1030ELNS1_3gpuE2ELNS1_3repE0EEENS1_30default_config_static_selectorELNS0_4arch9wavefront6targetE0EEEvT1_
	.globl	_ZN7rocprim17ROCPRIM_400000_NS6detail17trampoline_kernelINS0_14default_configENS1_27scan_by_key_config_selectorIiiEEZZNS1_16scan_by_key_implILNS1_25lookback_scan_determinismE0ELb1ES3_N6thrust23THRUST_200600_302600_NS10device_ptrIiEESB_SB_iNS9_4plusIvEENS9_8equal_toIvEEiEE10hipError_tPvRmT2_T3_T4_T5_mT6_T7_P12ihipStream_tbENKUlT_T0_E_clISt17integral_constantIbLb1EESV_IbLb0EEEEDaSR_SS_EUlSR_E_NS1_11comp_targetILNS1_3genE8ELNS1_11target_archE1030ELNS1_3gpuE2ELNS1_3repE0EEENS1_30default_config_static_selectorELNS0_4arch9wavefront6targetE0EEEvT1_
	.p2align	8
	.type	_ZN7rocprim17ROCPRIM_400000_NS6detail17trampoline_kernelINS0_14default_configENS1_27scan_by_key_config_selectorIiiEEZZNS1_16scan_by_key_implILNS1_25lookback_scan_determinismE0ELb1ES3_N6thrust23THRUST_200600_302600_NS10device_ptrIiEESB_SB_iNS9_4plusIvEENS9_8equal_toIvEEiEE10hipError_tPvRmT2_T3_T4_T5_mT6_T7_P12ihipStream_tbENKUlT_T0_E_clISt17integral_constantIbLb1EESV_IbLb0EEEEDaSR_SS_EUlSR_E_NS1_11comp_targetILNS1_3genE8ELNS1_11target_archE1030ELNS1_3gpuE2ELNS1_3repE0EEENS1_30default_config_static_selectorELNS0_4arch9wavefront6targetE0EEEvT1_,@function
_ZN7rocprim17ROCPRIM_400000_NS6detail17trampoline_kernelINS0_14default_configENS1_27scan_by_key_config_selectorIiiEEZZNS1_16scan_by_key_implILNS1_25lookback_scan_determinismE0ELb1ES3_N6thrust23THRUST_200600_302600_NS10device_ptrIiEESB_SB_iNS9_4plusIvEENS9_8equal_toIvEEiEE10hipError_tPvRmT2_T3_T4_T5_mT6_T7_P12ihipStream_tbENKUlT_T0_E_clISt17integral_constantIbLb1EESV_IbLb0EEEEDaSR_SS_EUlSR_E_NS1_11comp_targetILNS1_3genE8ELNS1_11target_archE1030ELNS1_3gpuE2ELNS1_3repE0EEENS1_30default_config_static_selectorELNS0_4arch9wavefront6targetE0EEEvT1_: ; @_ZN7rocprim17ROCPRIM_400000_NS6detail17trampoline_kernelINS0_14default_configENS1_27scan_by_key_config_selectorIiiEEZZNS1_16scan_by_key_implILNS1_25lookback_scan_determinismE0ELb1ES3_N6thrust23THRUST_200600_302600_NS10device_ptrIiEESB_SB_iNS9_4plusIvEENS9_8equal_toIvEEiEE10hipError_tPvRmT2_T3_T4_T5_mT6_T7_P12ihipStream_tbENKUlT_T0_E_clISt17integral_constantIbLb1EESV_IbLb0EEEEDaSR_SS_EUlSR_E_NS1_11comp_targetILNS1_3genE8ELNS1_11target_archE1030ELNS1_3gpuE2ELNS1_3repE0EEENS1_30default_config_static_selectorELNS0_4arch9wavefront6targetE0EEEvT1_
; %bb.0:
	s_endpgm
	.section	.rodata,"a",@progbits
	.p2align	6, 0x0
	.amdhsa_kernel _ZN7rocprim17ROCPRIM_400000_NS6detail17trampoline_kernelINS0_14default_configENS1_27scan_by_key_config_selectorIiiEEZZNS1_16scan_by_key_implILNS1_25lookback_scan_determinismE0ELb1ES3_N6thrust23THRUST_200600_302600_NS10device_ptrIiEESB_SB_iNS9_4plusIvEENS9_8equal_toIvEEiEE10hipError_tPvRmT2_T3_T4_T5_mT6_T7_P12ihipStream_tbENKUlT_T0_E_clISt17integral_constantIbLb1EESV_IbLb0EEEEDaSR_SS_EUlSR_E_NS1_11comp_targetILNS1_3genE8ELNS1_11target_archE1030ELNS1_3gpuE2ELNS1_3repE0EEENS1_30default_config_static_selectorELNS0_4arch9wavefront6targetE0EEEvT1_
		.amdhsa_group_segment_fixed_size 0
		.amdhsa_private_segment_fixed_size 0
		.amdhsa_kernarg_size 112
		.amdhsa_user_sgpr_count 6
		.amdhsa_user_sgpr_private_segment_buffer 1
		.amdhsa_user_sgpr_dispatch_ptr 0
		.amdhsa_user_sgpr_queue_ptr 0
		.amdhsa_user_sgpr_kernarg_segment_ptr 1
		.amdhsa_user_sgpr_dispatch_id 0
		.amdhsa_user_sgpr_flat_scratch_init 0
		.amdhsa_user_sgpr_private_segment_size 0
		.amdhsa_wavefront_size32 1
		.amdhsa_uses_dynamic_stack 0
		.amdhsa_system_sgpr_private_segment_wavefront_offset 0
		.amdhsa_system_sgpr_workgroup_id_x 1
		.amdhsa_system_sgpr_workgroup_id_y 0
		.amdhsa_system_sgpr_workgroup_id_z 0
		.amdhsa_system_sgpr_workgroup_info 0
		.amdhsa_system_vgpr_workitem_id 0
		.amdhsa_next_free_vgpr 1
		.amdhsa_next_free_sgpr 1
		.amdhsa_reserve_vcc 0
		.amdhsa_reserve_flat_scratch 0
		.amdhsa_float_round_mode_32 0
		.amdhsa_float_round_mode_16_64 0
		.amdhsa_float_denorm_mode_32 3
		.amdhsa_float_denorm_mode_16_64 3
		.amdhsa_dx10_clamp 1
		.amdhsa_ieee_mode 1
		.amdhsa_fp16_overflow 0
		.amdhsa_workgroup_processor_mode 1
		.amdhsa_memory_ordered 1
		.amdhsa_forward_progress 1
		.amdhsa_shared_vgpr_count 0
		.amdhsa_exception_fp_ieee_invalid_op 0
		.amdhsa_exception_fp_denorm_src 0
		.amdhsa_exception_fp_ieee_div_zero 0
		.amdhsa_exception_fp_ieee_overflow 0
		.amdhsa_exception_fp_ieee_underflow 0
		.amdhsa_exception_fp_ieee_inexact 0
		.amdhsa_exception_int_div_zero 0
	.end_amdhsa_kernel
	.section	.text._ZN7rocprim17ROCPRIM_400000_NS6detail17trampoline_kernelINS0_14default_configENS1_27scan_by_key_config_selectorIiiEEZZNS1_16scan_by_key_implILNS1_25lookback_scan_determinismE0ELb1ES3_N6thrust23THRUST_200600_302600_NS10device_ptrIiEESB_SB_iNS9_4plusIvEENS9_8equal_toIvEEiEE10hipError_tPvRmT2_T3_T4_T5_mT6_T7_P12ihipStream_tbENKUlT_T0_E_clISt17integral_constantIbLb1EESV_IbLb0EEEEDaSR_SS_EUlSR_E_NS1_11comp_targetILNS1_3genE8ELNS1_11target_archE1030ELNS1_3gpuE2ELNS1_3repE0EEENS1_30default_config_static_selectorELNS0_4arch9wavefront6targetE0EEEvT1_,"axG",@progbits,_ZN7rocprim17ROCPRIM_400000_NS6detail17trampoline_kernelINS0_14default_configENS1_27scan_by_key_config_selectorIiiEEZZNS1_16scan_by_key_implILNS1_25lookback_scan_determinismE0ELb1ES3_N6thrust23THRUST_200600_302600_NS10device_ptrIiEESB_SB_iNS9_4plusIvEENS9_8equal_toIvEEiEE10hipError_tPvRmT2_T3_T4_T5_mT6_T7_P12ihipStream_tbENKUlT_T0_E_clISt17integral_constantIbLb1EESV_IbLb0EEEEDaSR_SS_EUlSR_E_NS1_11comp_targetILNS1_3genE8ELNS1_11target_archE1030ELNS1_3gpuE2ELNS1_3repE0EEENS1_30default_config_static_selectorELNS0_4arch9wavefront6targetE0EEEvT1_,comdat
.Lfunc_end2259:
	.size	_ZN7rocprim17ROCPRIM_400000_NS6detail17trampoline_kernelINS0_14default_configENS1_27scan_by_key_config_selectorIiiEEZZNS1_16scan_by_key_implILNS1_25lookback_scan_determinismE0ELb1ES3_N6thrust23THRUST_200600_302600_NS10device_ptrIiEESB_SB_iNS9_4plusIvEENS9_8equal_toIvEEiEE10hipError_tPvRmT2_T3_T4_T5_mT6_T7_P12ihipStream_tbENKUlT_T0_E_clISt17integral_constantIbLb1EESV_IbLb0EEEEDaSR_SS_EUlSR_E_NS1_11comp_targetILNS1_3genE8ELNS1_11target_archE1030ELNS1_3gpuE2ELNS1_3repE0EEENS1_30default_config_static_selectorELNS0_4arch9wavefront6targetE0EEEvT1_, .Lfunc_end2259-_ZN7rocprim17ROCPRIM_400000_NS6detail17trampoline_kernelINS0_14default_configENS1_27scan_by_key_config_selectorIiiEEZZNS1_16scan_by_key_implILNS1_25lookback_scan_determinismE0ELb1ES3_N6thrust23THRUST_200600_302600_NS10device_ptrIiEESB_SB_iNS9_4plusIvEENS9_8equal_toIvEEiEE10hipError_tPvRmT2_T3_T4_T5_mT6_T7_P12ihipStream_tbENKUlT_T0_E_clISt17integral_constantIbLb1EESV_IbLb0EEEEDaSR_SS_EUlSR_E_NS1_11comp_targetILNS1_3genE8ELNS1_11target_archE1030ELNS1_3gpuE2ELNS1_3repE0EEENS1_30default_config_static_selectorELNS0_4arch9wavefront6targetE0EEEvT1_
                                        ; -- End function
	.set _ZN7rocprim17ROCPRIM_400000_NS6detail17trampoline_kernelINS0_14default_configENS1_27scan_by_key_config_selectorIiiEEZZNS1_16scan_by_key_implILNS1_25lookback_scan_determinismE0ELb1ES3_N6thrust23THRUST_200600_302600_NS10device_ptrIiEESB_SB_iNS9_4plusIvEENS9_8equal_toIvEEiEE10hipError_tPvRmT2_T3_T4_T5_mT6_T7_P12ihipStream_tbENKUlT_T0_E_clISt17integral_constantIbLb1EESV_IbLb0EEEEDaSR_SS_EUlSR_E_NS1_11comp_targetILNS1_3genE8ELNS1_11target_archE1030ELNS1_3gpuE2ELNS1_3repE0EEENS1_30default_config_static_selectorELNS0_4arch9wavefront6targetE0EEEvT1_.num_vgpr, 0
	.set _ZN7rocprim17ROCPRIM_400000_NS6detail17trampoline_kernelINS0_14default_configENS1_27scan_by_key_config_selectorIiiEEZZNS1_16scan_by_key_implILNS1_25lookback_scan_determinismE0ELb1ES3_N6thrust23THRUST_200600_302600_NS10device_ptrIiEESB_SB_iNS9_4plusIvEENS9_8equal_toIvEEiEE10hipError_tPvRmT2_T3_T4_T5_mT6_T7_P12ihipStream_tbENKUlT_T0_E_clISt17integral_constantIbLb1EESV_IbLb0EEEEDaSR_SS_EUlSR_E_NS1_11comp_targetILNS1_3genE8ELNS1_11target_archE1030ELNS1_3gpuE2ELNS1_3repE0EEENS1_30default_config_static_selectorELNS0_4arch9wavefront6targetE0EEEvT1_.num_agpr, 0
	.set _ZN7rocprim17ROCPRIM_400000_NS6detail17trampoline_kernelINS0_14default_configENS1_27scan_by_key_config_selectorIiiEEZZNS1_16scan_by_key_implILNS1_25lookback_scan_determinismE0ELb1ES3_N6thrust23THRUST_200600_302600_NS10device_ptrIiEESB_SB_iNS9_4plusIvEENS9_8equal_toIvEEiEE10hipError_tPvRmT2_T3_T4_T5_mT6_T7_P12ihipStream_tbENKUlT_T0_E_clISt17integral_constantIbLb1EESV_IbLb0EEEEDaSR_SS_EUlSR_E_NS1_11comp_targetILNS1_3genE8ELNS1_11target_archE1030ELNS1_3gpuE2ELNS1_3repE0EEENS1_30default_config_static_selectorELNS0_4arch9wavefront6targetE0EEEvT1_.numbered_sgpr, 0
	.set _ZN7rocprim17ROCPRIM_400000_NS6detail17trampoline_kernelINS0_14default_configENS1_27scan_by_key_config_selectorIiiEEZZNS1_16scan_by_key_implILNS1_25lookback_scan_determinismE0ELb1ES3_N6thrust23THRUST_200600_302600_NS10device_ptrIiEESB_SB_iNS9_4plusIvEENS9_8equal_toIvEEiEE10hipError_tPvRmT2_T3_T4_T5_mT6_T7_P12ihipStream_tbENKUlT_T0_E_clISt17integral_constantIbLb1EESV_IbLb0EEEEDaSR_SS_EUlSR_E_NS1_11comp_targetILNS1_3genE8ELNS1_11target_archE1030ELNS1_3gpuE2ELNS1_3repE0EEENS1_30default_config_static_selectorELNS0_4arch9wavefront6targetE0EEEvT1_.num_named_barrier, 0
	.set _ZN7rocprim17ROCPRIM_400000_NS6detail17trampoline_kernelINS0_14default_configENS1_27scan_by_key_config_selectorIiiEEZZNS1_16scan_by_key_implILNS1_25lookback_scan_determinismE0ELb1ES3_N6thrust23THRUST_200600_302600_NS10device_ptrIiEESB_SB_iNS9_4plusIvEENS9_8equal_toIvEEiEE10hipError_tPvRmT2_T3_T4_T5_mT6_T7_P12ihipStream_tbENKUlT_T0_E_clISt17integral_constantIbLb1EESV_IbLb0EEEEDaSR_SS_EUlSR_E_NS1_11comp_targetILNS1_3genE8ELNS1_11target_archE1030ELNS1_3gpuE2ELNS1_3repE0EEENS1_30default_config_static_selectorELNS0_4arch9wavefront6targetE0EEEvT1_.private_seg_size, 0
	.set _ZN7rocprim17ROCPRIM_400000_NS6detail17trampoline_kernelINS0_14default_configENS1_27scan_by_key_config_selectorIiiEEZZNS1_16scan_by_key_implILNS1_25lookback_scan_determinismE0ELb1ES3_N6thrust23THRUST_200600_302600_NS10device_ptrIiEESB_SB_iNS9_4plusIvEENS9_8equal_toIvEEiEE10hipError_tPvRmT2_T3_T4_T5_mT6_T7_P12ihipStream_tbENKUlT_T0_E_clISt17integral_constantIbLb1EESV_IbLb0EEEEDaSR_SS_EUlSR_E_NS1_11comp_targetILNS1_3genE8ELNS1_11target_archE1030ELNS1_3gpuE2ELNS1_3repE0EEENS1_30default_config_static_selectorELNS0_4arch9wavefront6targetE0EEEvT1_.uses_vcc, 0
	.set _ZN7rocprim17ROCPRIM_400000_NS6detail17trampoline_kernelINS0_14default_configENS1_27scan_by_key_config_selectorIiiEEZZNS1_16scan_by_key_implILNS1_25lookback_scan_determinismE0ELb1ES3_N6thrust23THRUST_200600_302600_NS10device_ptrIiEESB_SB_iNS9_4plusIvEENS9_8equal_toIvEEiEE10hipError_tPvRmT2_T3_T4_T5_mT6_T7_P12ihipStream_tbENKUlT_T0_E_clISt17integral_constantIbLb1EESV_IbLb0EEEEDaSR_SS_EUlSR_E_NS1_11comp_targetILNS1_3genE8ELNS1_11target_archE1030ELNS1_3gpuE2ELNS1_3repE0EEENS1_30default_config_static_selectorELNS0_4arch9wavefront6targetE0EEEvT1_.uses_flat_scratch, 0
	.set _ZN7rocprim17ROCPRIM_400000_NS6detail17trampoline_kernelINS0_14default_configENS1_27scan_by_key_config_selectorIiiEEZZNS1_16scan_by_key_implILNS1_25lookback_scan_determinismE0ELb1ES3_N6thrust23THRUST_200600_302600_NS10device_ptrIiEESB_SB_iNS9_4plusIvEENS9_8equal_toIvEEiEE10hipError_tPvRmT2_T3_T4_T5_mT6_T7_P12ihipStream_tbENKUlT_T0_E_clISt17integral_constantIbLb1EESV_IbLb0EEEEDaSR_SS_EUlSR_E_NS1_11comp_targetILNS1_3genE8ELNS1_11target_archE1030ELNS1_3gpuE2ELNS1_3repE0EEENS1_30default_config_static_selectorELNS0_4arch9wavefront6targetE0EEEvT1_.has_dyn_sized_stack, 0
	.set _ZN7rocprim17ROCPRIM_400000_NS6detail17trampoline_kernelINS0_14default_configENS1_27scan_by_key_config_selectorIiiEEZZNS1_16scan_by_key_implILNS1_25lookback_scan_determinismE0ELb1ES3_N6thrust23THRUST_200600_302600_NS10device_ptrIiEESB_SB_iNS9_4plusIvEENS9_8equal_toIvEEiEE10hipError_tPvRmT2_T3_T4_T5_mT6_T7_P12ihipStream_tbENKUlT_T0_E_clISt17integral_constantIbLb1EESV_IbLb0EEEEDaSR_SS_EUlSR_E_NS1_11comp_targetILNS1_3genE8ELNS1_11target_archE1030ELNS1_3gpuE2ELNS1_3repE0EEENS1_30default_config_static_selectorELNS0_4arch9wavefront6targetE0EEEvT1_.has_recursion, 0
	.set _ZN7rocprim17ROCPRIM_400000_NS6detail17trampoline_kernelINS0_14default_configENS1_27scan_by_key_config_selectorIiiEEZZNS1_16scan_by_key_implILNS1_25lookback_scan_determinismE0ELb1ES3_N6thrust23THRUST_200600_302600_NS10device_ptrIiEESB_SB_iNS9_4plusIvEENS9_8equal_toIvEEiEE10hipError_tPvRmT2_T3_T4_T5_mT6_T7_P12ihipStream_tbENKUlT_T0_E_clISt17integral_constantIbLb1EESV_IbLb0EEEEDaSR_SS_EUlSR_E_NS1_11comp_targetILNS1_3genE8ELNS1_11target_archE1030ELNS1_3gpuE2ELNS1_3repE0EEENS1_30default_config_static_selectorELNS0_4arch9wavefront6targetE0EEEvT1_.has_indirect_call, 0
	.section	.AMDGPU.csdata,"",@progbits
; Kernel info:
; codeLenInByte = 4
; TotalNumSgprs: 0
; NumVgprs: 0
; ScratchSize: 0
; MemoryBound: 0
; FloatMode: 240
; IeeeMode: 1
; LDSByteSize: 0 bytes/workgroup (compile time only)
; SGPRBlocks: 0
; VGPRBlocks: 0
; NumSGPRsForWavesPerEU: 1
; NumVGPRsForWavesPerEU: 1
; Occupancy: 16
; WaveLimiterHint : 0
; COMPUTE_PGM_RSRC2:SCRATCH_EN: 0
; COMPUTE_PGM_RSRC2:USER_SGPR: 6
; COMPUTE_PGM_RSRC2:TRAP_HANDLER: 0
; COMPUTE_PGM_RSRC2:TGID_X_EN: 1
; COMPUTE_PGM_RSRC2:TGID_Y_EN: 0
; COMPUTE_PGM_RSRC2:TGID_Z_EN: 0
; COMPUTE_PGM_RSRC2:TIDIG_COMP_CNT: 0
	.section	.text._ZN7rocprim17ROCPRIM_400000_NS6detail17trampoline_kernelINS0_14default_configENS1_27scan_by_key_config_selectorIiiEEZZNS1_16scan_by_key_implILNS1_25lookback_scan_determinismE0ELb1ES3_N6thrust23THRUST_200600_302600_NS10device_ptrIiEESB_SB_iNS9_4plusIvEENS9_8equal_toIvEEiEE10hipError_tPvRmT2_T3_T4_T5_mT6_T7_P12ihipStream_tbENKUlT_T0_E_clISt17integral_constantIbLb0EESV_IbLb1EEEEDaSR_SS_EUlSR_E_NS1_11comp_targetILNS1_3genE0ELNS1_11target_archE4294967295ELNS1_3gpuE0ELNS1_3repE0EEENS1_30default_config_static_selectorELNS0_4arch9wavefront6targetE0EEEvT1_,"axG",@progbits,_ZN7rocprim17ROCPRIM_400000_NS6detail17trampoline_kernelINS0_14default_configENS1_27scan_by_key_config_selectorIiiEEZZNS1_16scan_by_key_implILNS1_25lookback_scan_determinismE0ELb1ES3_N6thrust23THRUST_200600_302600_NS10device_ptrIiEESB_SB_iNS9_4plusIvEENS9_8equal_toIvEEiEE10hipError_tPvRmT2_T3_T4_T5_mT6_T7_P12ihipStream_tbENKUlT_T0_E_clISt17integral_constantIbLb0EESV_IbLb1EEEEDaSR_SS_EUlSR_E_NS1_11comp_targetILNS1_3genE0ELNS1_11target_archE4294967295ELNS1_3gpuE0ELNS1_3repE0EEENS1_30default_config_static_selectorELNS0_4arch9wavefront6targetE0EEEvT1_,comdat
	.protected	_ZN7rocprim17ROCPRIM_400000_NS6detail17trampoline_kernelINS0_14default_configENS1_27scan_by_key_config_selectorIiiEEZZNS1_16scan_by_key_implILNS1_25lookback_scan_determinismE0ELb1ES3_N6thrust23THRUST_200600_302600_NS10device_ptrIiEESB_SB_iNS9_4plusIvEENS9_8equal_toIvEEiEE10hipError_tPvRmT2_T3_T4_T5_mT6_T7_P12ihipStream_tbENKUlT_T0_E_clISt17integral_constantIbLb0EESV_IbLb1EEEEDaSR_SS_EUlSR_E_NS1_11comp_targetILNS1_3genE0ELNS1_11target_archE4294967295ELNS1_3gpuE0ELNS1_3repE0EEENS1_30default_config_static_selectorELNS0_4arch9wavefront6targetE0EEEvT1_ ; -- Begin function _ZN7rocprim17ROCPRIM_400000_NS6detail17trampoline_kernelINS0_14default_configENS1_27scan_by_key_config_selectorIiiEEZZNS1_16scan_by_key_implILNS1_25lookback_scan_determinismE0ELb1ES3_N6thrust23THRUST_200600_302600_NS10device_ptrIiEESB_SB_iNS9_4plusIvEENS9_8equal_toIvEEiEE10hipError_tPvRmT2_T3_T4_T5_mT6_T7_P12ihipStream_tbENKUlT_T0_E_clISt17integral_constantIbLb0EESV_IbLb1EEEEDaSR_SS_EUlSR_E_NS1_11comp_targetILNS1_3genE0ELNS1_11target_archE4294967295ELNS1_3gpuE0ELNS1_3repE0EEENS1_30default_config_static_selectorELNS0_4arch9wavefront6targetE0EEEvT1_
	.globl	_ZN7rocprim17ROCPRIM_400000_NS6detail17trampoline_kernelINS0_14default_configENS1_27scan_by_key_config_selectorIiiEEZZNS1_16scan_by_key_implILNS1_25lookback_scan_determinismE0ELb1ES3_N6thrust23THRUST_200600_302600_NS10device_ptrIiEESB_SB_iNS9_4plusIvEENS9_8equal_toIvEEiEE10hipError_tPvRmT2_T3_T4_T5_mT6_T7_P12ihipStream_tbENKUlT_T0_E_clISt17integral_constantIbLb0EESV_IbLb1EEEEDaSR_SS_EUlSR_E_NS1_11comp_targetILNS1_3genE0ELNS1_11target_archE4294967295ELNS1_3gpuE0ELNS1_3repE0EEENS1_30default_config_static_selectorELNS0_4arch9wavefront6targetE0EEEvT1_
	.p2align	8
	.type	_ZN7rocprim17ROCPRIM_400000_NS6detail17trampoline_kernelINS0_14default_configENS1_27scan_by_key_config_selectorIiiEEZZNS1_16scan_by_key_implILNS1_25lookback_scan_determinismE0ELb1ES3_N6thrust23THRUST_200600_302600_NS10device_ptrIiEESB_SB_iNS9_4plusIvEENS9_8equal_toIvEEiEE10hipError_tPvRmT2_T3_T4_T5_mT6_T7_P12ihipStream_tbENKUlT_T0_E_clISt17integral_constantIbLb0EESV_IbLb1EEEEDaSR_SS_EUlSR_E_NS1_11comp_targetILNS1_3genE0ELNS1_11target_archE4294967295ELNS1_3gpuE0ELNS1_3repE0EEENS1_30default_config_static_selectorELNS0_4arch9wavefront6targetE0EEEvT1_,@function
_ZN7rocprim17ROCPRIM_400000_NS6detail17trampoline_kernelINS0_14default_configENS1_27scan_by_key_config_selectorIiiEEZZNS1_16scan_by_key_implILNS1_25lookback_scan_determinismE0ELb1ES3_N6thrust23THRUST_200600_302600_NS10device_ptrIiEESB_SB_iNS9_4plusIvEENS9_8equal_toIvEEiEE10hipError_tPvRmT2_T3_T4_T5_mT6_T7_P12ihipStream_tbENKUlT_T0_E_clISt17integral_constantIbLb0EESV_IbLb1EEEEDaSR_SS_EUlSR_E_NS1_11comp_targetILNS1_3genE0ELNS1_11target_archE4294967295ELNS1_3gpuE0ELNS1_3repE0EEENS1_30default_config_static_selectorELNS0_4arch9wavefront6targetE0EEEvT1_: ; @_ZN7rocprim17ROCPRIM_400000_NS6detail17trampoline_kernelINS0_14default_configENS1_27scan_by_key_config_selectorIiiEEZZNS1_16scan_by_key_implILNS1_25lookback_scan_determinismE0ELb1ES3_N6thrust23THRUST_200600_302600_NS10device_ptrIiEESB_SB_iNS9_4plusIvEENS9_8equal_toIvEEiEE10hipError_tPvRmT2_T3_T4_T5_mT6_T7_P12ihipStream_tbENKUlT_T0_E_clISt17integral_constantIbLb0EESV_IbLb1EEEEDaSR_SS_EUlSR_E_NS1_11comp_targetILNS1_3genE0ELNS1_11target_archE4294967295ELNS1_3gpuE0ELNS1_3repE0EEENS1_30default_config_static_selectorELNS0_4arch9wavefront6targetE0EEEvT1_
; %bb.0:
	.section	.rodata,"a",@progbits
	.p2align	6, 0x0
	.amdhsa_kernel _ZN7rocprim17ROCPRIM_400000_NS6detail17trampoline_kernelINS0_14default_configENS1_27scan_by_key_config_selectorIiiEEZZNS1_16scan_by_key_implILNS1_25lookback_scan_determinismE0ELb1ES3_N6thrust23THRUST_200600_302600_NS10device_ptrIiEESB_SB_iNS9_4plusIvEENS9_8equal_toIvEEiEE10hipError_tPvRmT2_T3_T4_T5_mT6_T7_P12ihipStream_tbENKUlT_T0_E_clISt17integral_constantIbLb0EESV_IbLb1EEEEDaSR_SS_EUlSR_E_NS1_11comp_targetILNS1_3genE0ELNS1_11target_archE4294967295ELNS1_3gpuE0ELNS1_3repE0EEENS1_30default_config_static_selectorELNS0_4arch9wavefront6targetE0EEEvT1_
		.amdhsa_group_segment_fixed_size 0
		.amdhsa_private_segment_fixed_size 0
		.amdhsa_kernarg_size 112
		.amdhsa_user_sgpr_count 6
		.amdhsa_user_sgpr_private_segment_buffer 1
		.amdhsa_user_sgpr_dispatch_ptr 0
		.amdhsa_user_sgpr_queue_ptr 0
		.amdhsa_user_sgpr_kernarg_segment_ptr 1
		.amdhsa_user_sgpr_dispatch_id 0
		.amdhsa_user_sgpr_flat_scratch_init 0
		.amdhsa_user_sgpr_private_segment_size 0
		.amdhsa_wavefront_size32 1
		.amdhsa_uses_dynamic_stack 0
		.amdhsa_system_sgpr_private_segment_wavefront_offset 0
		.amdhsa_system_sgpr_workgroup_id_x 1
		.amdhsa_system_sgpr_workgroup_id_y 0
		.amdhsa_system_sgpr_workgroup_id_z 0
		.amdhsa_system_sgpr_workgroup_info 0
		.amdhsa_system_vgpr_workitem_id 0
		.amdhsa_next_free_vgpr 1
		.amdhsa_next_free_sgpr 1
		.amdhsa_reserve_vcc 0
		.amdhsa_reserve_flat_scratch 0
		.amdhsa_float_round_mode_32 0
		.amdhsa_float_round_mode_16_64 0
		.amdhsa_float_denorm_mode_32 3
		.amdhsa_float_denorm_mode_16_64 3
		.amdhsa_dx10_clamp 1
		.amdhsa_ieee_mode 1
		.amdhsa_fp16_overflow 0
		.amdhsa_workgroup_processor_mode 1
		.amdhsa_memory_ordered 1
		.amdhsa_forward_progress 1
		.amdhsa_shared_vgpr_count 0
		.amdhsa_exception_fp_ieee_invalid_op 0
		.amdhsa_exception_fp_denorm_src 0
		.amdhsa_exception_fp_ieee_div_zero 0
		.amdhsa_exception_fp_ieee_overflow 0
		.amdhsa_exception_fp_ieee_underflow 0
		.amdhsa_exception_fp_ieee_inexact 0
		.amdhsa_exception_int_div_zero 0
	.end_amdhsa_kernel
	.section	.text._ZN7rocprim17ROCPRIM_400000_NS6detail17trampoline_kernelINS0_14default_configENS1_27scan_by_key_config_selectorIiiEEZZNS1_16scan_by_key_implILNS1_25lookback_scan_determinismE0ELb1ES3_N6thrust23THRUST_200600_302600_NS10device_ptrIiEESB_SB_iNS9_4plusIvEENS9_8equal_toIvEEiEE10hipError_tPvRmT2_T3_T4_T5_mT6_T7_P12ihipStream_tbENKUlT_T0_E_clISt17integral_constantIbLb0EESV_IbLb1EEEEDaSR_SS_EUlSR_E_NS1_11comp_targetILNS1_3genE0ELNS1_11target_archE4294967295ELNS1_3gpuE0ELNS1_3repE0EEENS1_30default_config_static_selectorELNS0_4arch9wavefront6targetE0EEEvT1_,"axG",@progbits,_ZN7rocprim17ROCPRIM_400000_NS6detail17trampoline_kernelINS0_14default_configENS1_27scan_by_key_config_selectorIiiEEZZNS1_16scan_by_key_implILNS1_25lookback_scan_determinismE0ELb1ES3_N6thrust23THRUST_200600_302600_NS10device_ptrIiEESB_SB_iNS9_4plusIvEENS9_8equal_toIvEEiEE10hipError_tPvRmT2_T3_T4_T5_mT6_T7_P12ihipStream_tbENKUlT_T0_E_clISt17integral_constantIbLb0EESV_IbLb1EEEEDaSR_SS_EUlSR_E_NS1_11comp_targetILNS1_3genE0ELNS1_11target_archE4294967295ELNS1_3gpuE0ELNS1_3repE0EEENS1_30default_config_static_selectorELNS0_4arch9wavefront6targetE0EEEvT1_,comdat
.Lfunc_end2260:
	.size	_ZN7rocprim17ROCPRIM_400000_NS6detail17trampoline_kernelINS0_14default_configENS1_27scan_by_key_config_selectorIiiEEZZNS1_16scan_by_key_implILNS1_25lookback_scan_determinismE0ELb1ES3_N6thrust23THRUST_200600_302600_NS10device_ptrIiEESB_SB_iNS9_4plusIvEENS9_8equal_toIvEEiEE10hipError_tPvRmT2_T3_T4_T5_mT6_T7_P12ihipStream_tbENKUlT_T0_E_clISt17integral_constantIbLb0EESV_IbLb1EEEEDaSR_SS_EUlSR_E_NS1_11comp_targetILNS1_3genE0ELNS1_11target_archE4294967295ELNS1_3gpuE0ELNS1_3repE0EEENS1_30default_config_static_selectorELNS0_4arch9wavefront6targetE0EEEvT1_, .Lfunc_end2260-_ZN7rocprim17ROCPRIM_400000_NS6detail17trampoline_kernelINS0_14default_configENS1_27scan_by_key_config_selectorIiiEEZZNS1_16scan_by_key_implILNS1_25lookback_scan_determinismE0ELb1ES3_N6thrust23THRUST_200600_302600_NS10device_ptrIiEESB_SB_iNS9_4plusIvEENS9_8equal_toIvEEiEE10hipError_tPvRmT2_T3_T4_T5_mT6_T7_P12ihipStream_tbENKUlT_T0_E_clISt17integral_constantIbLb0EESV_IbLb1EEEEDaSR_SS_EUlSR_E_NS1_11comp_targetILNS1_3genE0ELNS1_11target_archE4294967295ELNS1_3gpuE0ELNS1_3repE0EEENS1_30default_config_static_selectorELNS0_4arch9wavefront6targetE0EEEvT1_
                                        ; -- End function
	.set _ZN7rocprim17ROCPRIM_400000_NS6detail17trampoline_kernelINS0_14default_configENS1_27scan_by_key_config_selectorIiiEEZZNS1_16scan_by_key_implILNS1_25lookback_scan_determinismE0ELb1ES3_N6thrust23THRUST_200600_302600_NS10device_ptrIiEESB_SB_iNS9_4plusIvEENS9_8equal_toIvEEiEE10hipError_tPvRmT2_T3_T4_T5_mT6_T7_P12ihipStream_tbENKUlT_T0_E_clISt17integral_constantIbLb0EESV_IbLb1EEEEDaSR_SS_EUlSR_E_NS1_11comp_targetILNS1_3genE0ELNS1_11target_archE4294967295ELNS1_3gpuE0ELNS1_3repE0EEENS1_30default_config_static_selectorELNS0_4arch9wavefront6targetE0EEEvT1_.num_vgpr, 0
	.set _ZN7rocprim17ROCPRIM_400000_NS6detail17trampoline_kernelINS0_14default_configENS1_27scan_by_key_config_selectorIiiEEZZNS1_16scan_by_key_implILNS1_25lookback_scan_determinismE0ELb1ES3_N6thrust23THRUST_200600_302600_NS10device_ptrIiEESB_SB_iNS9_4plusIvEENS9_8equal_toIvEEiEE10hipError_tPvRmT2_T3_T4_T5_mT6_T7_P12ihipStream_tbENKUlT_T0_E_clISt17integral_constantIbLb0EESV_IbLb1EEEEDaSR_SS_EUlSR_E_NS1_11comp_targetILNS1_3genE0ELNS1_11target_archE4294967295ELNS1_3gpuE0ELNS1_3repE0EEENS1_30default_config_static_selectorELNS0_4arch9wavefront6targetE0EEEvT1_.num_agpr, 0
	.set _ZN7rocprim17ROCPRIM_400000_NS6detail17trampoline_kernelINS0_14default_configENS1_27scan_by_key_config_selectorIiiEEZZNS1_16scan_by_key_implILNS1_25lookback_scan_determinismE0ELb1ES3_N6thrust23THRUST_200600_302600_NS10device_ptrIiEESB_SB_iNS9_4plusIvEENS9_8equal_toIvEEiEE10hipError_tPvRmT2_T3_T4_T5_mT6_T7_P12ihipStream_tbENKUlT_T0_E_clISt17integral_constantIbLb0EESV_IbLb1EEEEDaSR_SS_EUlSR_E_NS1_11comp_targetILNS1_3genE0ELNS1_11target_archE4294967295ELNS1_3gpuE0ELNS1_3repE0EEENS1_30default_config_static_selectorELNS0_4arch9wavefront6targetE0EEEvT1_.numbered_sgpr, 0
	.set _ZN7rocprim17ROCPRIM_400000_NS6detail17trampoline_kernelINS0_14default_configENS1_27scan_by_key_config_selectorIiiEEZZNS1_16scan_by_key_implILNS1_25lookback_scan_determinismE0ELb1ES3_N6thrust23THRUST_200600_302600_NS10device_ptrIiEESB_SB_iNS9_4plusIvEENS9_8equal_toIvEEiEE10hipError_tPvRmT2_T3_T4_T5_mT6_T7_P12ihipStream_tbENKUlT_T0_E_clISt17integral_constantIbLb0EESV_IbLb1EEEEDaSR_SS_EUlSR_E_NS1_11comp_targetILNS1_3genE0ELNS1_11target_archE4294967295ELNS1_3gpuE0ELNS1_3repE0EEENS1_30default_config_static_selectorELNS0_4arch9wavefront6targetE0EEEvT1_.num_named_barrier, 0
	.set _ZN7rocprim17ROCPRIM_400000_NS6detail17trampoline_kernelINS0_14default_configENS1_27scan_by_key_config_selectorIiiEEZZNS1_16scan_by_key_implILNS1_25lookback_scan_determinismE0ELb1ES3_N6thrust23THRUST_200600_302600_NS10device_ptrIiEESB_SB_iNS9_4plusIvEENS9_8equal_toIvEEiEE10hipError_tPvRmT2_T3_T4_T5_mT6_T7_P12ihipStream_tbENKUlT_T0_E_clISt17integral_constantIbLb0EESV_IbLb1EEEEDaSR_SS_EUlSR_E_NS1_11comp_targetILNS1_3genE0ELNS1_11target_archE4294967295ELNS1_3gpuE0ELNS1_3repE0EEENS1_30default_config_static_selectorELNS0_4arch9wavefront6targetE0EEEvT1_.private_seg_size, 0
	.set _ZN7rocprim17ROCPRIM_400000_NS6detail17trampoline_kernelINS0_14default_configENS1_27scan_by_key_config_selectorIiiEEZZNS1_16scan_by_key_implILNS1_25lookback_scan_determinismE0ELb1ES3_N6thrust23THRUST_200600_302600_NS10device_ptrIiEESB_SB_iNS9_4plusIvEENS9_8equal_toIvEEiEE10hipError_tPvRmT2_T3_T4_T5_mT6_T7_P12ihipStream_tbENKUlT_T0_E_clISt17integral_constantIbLb0EESV_IbLb1EEEEDaSR_SS_EUlSR_E_NS1_11comp_targetILNS1_3genE0ELNS1_11target_archE4294967295ELNS1_3gpuE0ELNS1_3repE0EEENS1_30default_config_static_selectorELNS0_4arch9wavefront6targetE0EEEvT1_.uses_vcc, 0
	.set _ZN7rocprim17ROCPRIM_400000_NS6detail17trampoline_kernelINS0_14default_configENS1_27scan_by_key_config_selectorIiiEEZZNS1_16scan_by_key_implILNS1_25lookback_scan_determinismE0ELb1ES3_N6thrust23THRUST_200600_302600_NS10device_ptrIiEESB_SB_iNS9_4plusIvEENS9_8equal_toIvEEiEE10hipError_tPvRmT2_T3_T4_T5_mT6_T7_P12ihipStream_tbENKUlT_T0_E_clISt17integral_constantIbLb0EESV_IbLb1EEEEDaSR_SS_EUlSR_E_NS1_11comp_targetILNS1_3genE0ELNS1_11target_archE4294967295ELNS1_3gpuE0ELNS1_3repE0EEENS1_30default_config_static_selectorELNS0_4arch9wavefront6targetE0EEEvT1_.uses_flat_scratch, 0
	.set _ZN7rocprim17ROCPRIM_400000_NS6detail17trampoline_kernelINS0_14default_configENS1_27scan_by_key_config_selectorIiiEEZZNS1_16scan_by_key_implILNS1_25lookback_scan_determinismE0ELb1ES3_N6thrust23THRUST_200600_302600_NS10device_ptrIiEESB_SB_iNS9_4plusIvEENS9_8equal_toIvEEiEE10hipError_tPvRmT2_T3_T4_T5_mT6_T7_P12ihipStream_tbENKUlT_T0_E_clISt17integral_constantIbLb0EESV_IbLb1EEEEDaSR_SS_EUlSR_E_NS1_11comp_targetILNS1_3genE0ELNS1_11target_archE4294967295ELNS1_3gpuE0ELNS1_3repE0EEENS1_30default_config_static_selectorELNS0_4arch9wavefront6targetE0EEEvT1_.has_dyn_sized_stack, 0
	.set _ZN7rocprim17ROCPRIM_400000_NS6detail17trampoline_kernelINS0_14default_configENS1_27scan_by_key_config_selectorIiiEEZZNS1_16scan_by_key_implILNS1_25lookback_scan_determinismE0ELb1ES3_N6thrust23THRUST_200600_302600_NS10device_ptrIiEESB_SB_iNS9_4plusIvEENS9_8equal_toIvEEiEE10hipError_tPvRmT2_T3_T4_T5_mT6_T7_P12ihipStream_tbENKUlT_T0_E_clISt17integral_constantIbLb0EESV_IbLb1EEEEDaSR_SS_EUlSR_E_NS1_11comp_targetILNS1_3genE0ELNS1_11target_archE4294967295ELNS1_3gpuE0ELNS1_3repE0EEENS1_30default_config_static_selectorELNS0_4arch9wavefront6targetE0EEEvT1_.has_recursion, 0
	.set _ZN7rocprim17ROCPRIM_400000_NS6detail17trampoline_kernelINS0_14default_configENS1_27scan_by_key_config_selectorIiiEEZZNS1_16scan_by_key_implILNS1_25lookback_scan_determinismE0ELb1ES3_N6thrust23THRUST_200600_302600_NS10device_ptrIiEESB_SB_iNS9_4plusIvEENS9_8equal_toIvEEiEE10hipError_tPvRmT2_T3_T4_T5_mT6_T7_P12ihipStream_tbENKUlT_T0_E_clISt17integral_constantIbLb0EESV_IbLb1EEEEDaSR_SS_EUlSR_E_NS1_11comp_targetILNS1_3genE0ELNS1_11target_archE4294967295ELNS1_3gpuE0ELNS1_3repE0EEENS1_30default_config_static_selectorELNS0_4arch9wavefront6targetE0EEEvT1_.has_indirect_call, 0
	.section	.AMDGPU.csdata,"",@progbits
; Kernel info:
; codeLenInByte = 0
; TotalNumSgprs: 0
; NumVgprs: 0
; ScratchSize: 0
; MemoryBound: 0
; FloatMode: 240
; IeeeMode: 1
; LDSByteSize: 0 bytes/workgroup (compile time only)
; SGPRBlocks: 0
; VGPRBlocks: 0
; NumSGPRsForWavesPerEU: 1
; NumVGPRsForWavesPerEU: 1
; Occupancy: 16
; WaveLimiterHint : 0
; COMPUTE_PGM_RSRC2:SCRATCH_EN: 0
; COMPUTE_PGM_RSRC2:USER_SGPR: 6
; COMPUTE_PGM_RSRC2:TRAP_HANDLER: 0
; COMPUTE_PGM_RSRC2:TGID_X_EN: 1
; COMPUTE_PGM_RSRC2:TGID_Y_EN: 0
; COMPUTE_PGM_RSRC2:TGID_Z_EN: 0
; COMPUTE_PGM_RSRC2:TIDIG_COMP_CNT: 0
	.section	.text._ZN7rocprim17ROCPRIM_400000_NS6detail17trampoline_kernelINS0_14default_configENS1_27scan_by_key_config_selectorIiiEEZZNS1_16scan_by_key_implILNS1_25lookback_scan_determinismE0ELb1ES3_N6thrust23THRUST_200600_302600_NS10device_ptrIiEESB_SB_iNS9_4plusIvEENS9_8equal_toIvEEiEE10hipError_tPvRmT2_T3_T4_T5_mT6_T7_P12ihipStream_tbENKUlT_T0_E_clISt17integral_constantIbLb0EESV_IbLb1EEEEDaSR_SS_EUlSR_E_NS1_11comp_targetILNS1_3genE10ELNS1_11target_archE1201ELNS1_3gpuE5ELNS1_3repE0EEENS1_30default_config_static_selectorELNS0_4arch9wavefront6targetE0EEEvT1_,"axG",@progbits,_ZN7rocprim17ROCPRIM_400000_NS6detail17trampoline_kernelINS0_14default_configENS1_27scan_by_key_config_selectorIiiEEZZNS1_16scan_by_key_implILNS1_25lookback_scan_determinismE0ELb1ES3_N6thrust23THRUST_200600_302600_NS10device_ptrIiEESB_SB_iNS9_4plusIvEENS9_8equal_toIvEEiEE10hipError_tPvRmT2_T3_T4_T5_mT6_T7_P12ihipStream_tbENKUlT_T0_E_clISt17integral_constantIbLb0EESV_IbLb1EEEEDaSR_SS_EUlSR_E_NS1_11comp_targetILNS1_3genE10ELNS1_11target_archE1201ELNS1_3gpuE5ELNS1_3repE0EEENS1_30default_config_static_selectorELNS0_4arch9wavefront6targetE0EEEvT1_,comdat
	.protected	_ZN7rocprim17ROCPRIM_400000_NS6detail17trampoline_kernelINS0_14default_configENS1_27scan_by_key_config_selectorIiiEEZZNS1_16scan_by_key_implILNS1_25lookback_scan_determinismE0ELb1ES3_N6thrust23THRUST_200600_302600_NS10device_ptrIiEESB_SB_iNS9_4plusIvEENS9_8equal_toIvEEiEE10hipError_tPvRmT2_T3_T4_T5_mT6_T7_P12ihipStream_tbENKUlT_T0_E_clISt17integral_constantIbLb0EESV_IbLb1EEEEDaSR_SS_EUlSR_E_NS1_11comp_targetILNS1_3genE10ELNS1_11target_archE1201ELNS1_3gpuE5ELNS1_3repE0EEENS1_30default_config_static_selectorELNS0_4arch9wavefront6targetE0EEEvT1_ ; -- Begin function _ZN7rocprim17ROCPRIM_400000_NS6detail17trampoline_kernelINS0_14default_configENS1_27scan_by_key_config_selectorIiiEEZZNS1_16scan_by_key_implILNS1_25lookback_scan_determinismE0ELb1ES3_N6thrust23THRUST_200600_302600_NS10device_ptrIiEESB_SB_iNS9_4plusIvEENS9_8equal_toIvEEiEE10hipError_tPvRmT2_T3_T4_T5_mT6_T7_P12ihipStream_tbENKUlT_T0_E_clISt17integral_constantIbLb0EESV_IbLb1EEEEDaSR_SS_EUlSR_E_NS1_11comp_targetILNS1_3genE10ELNS1_11target_archE1201ELNS1_3gpuE5ELNS1_3repE0EEENS1_30default_config_static_selectorELNS0_4arch9wavefront6targetE0EEEvT1_
	.globl	_ZN7rocprim17ROCPRIM_400000_NS6detail17trampoline_kernelINS0_14default_configENS1_27scan_by_key_config_selectorIiiEEZZNS1_16scan_by_key_implILNS1_25lookback_scan_determinismE0ELb1ES3_N6thrust23THRUST_200600_302600_NS10device_ptrIiEESB_SB_iNS9_4plusIvEENS9_8equal_toIvEEiEE10hipError_tPvRmT2_T3_T4_T5_mT6_T7_P12ihipStream_tbENKUlT_T0_E_clISt17integral_constantIbLb0EESV_IbLb1EEEEDaSR_SS_EUlSR_E_NS1_11comp_targetILNS1_3genE10ELNS1_11target_archE1201ELNS1_3gpuE5ELNS1_3repE0EEENS1_30default_config_static_selectorELNS0_4arch9wavefront6targetE0EEEvT1_
	.p2align	8
	.type	_ZN7rocprim17ROCPRIM_400000_NS6detail17trampoline_kernelINS0_14default_configENS1_27scan_by_key_config_selectorIiiEEZZNS1_16scan_by_key_implILNS1_25lookback_scan_determinismE0ELb1ES3_N6thrust23THRUST_200600_302600_NS10device_ptrIiEESB_SB_iNS9_4plusIvEENS9_8equal_toIvEEiEE10hipError_tPvRmT2_T3_T4_T5_mT6_T7_P12ihipStream_tbENKUlT_T0_E_clISt17integral_constantIbLb0EESV_IbLb1EEEEDaSR_SS_EUlSR_E_NS1_11comp_targetILNS1_3genE10ELNS1_11target_archE1201ELNS1_3gpuE5ELNS1_3repE0EEENS1_30default_config_static_selectorELNS0_4arch9wavefront6targetE0EEEvT1_,@function
_ZN7rocprim17ROCPRIM_400000_NS6detail17trampoline_kernelINS0_14default_configENS1_27scan_by_key_config_selectorIiiEEZZNS1_16scan_by_key_implILNS1_25lookback_scan_determinismE0ELb1ES3_N6thrust23THRUST_200600_302600_NS10device_ptrIiEESB_SB_iNS9_4plusIvEENS9_8equal_toIvEEiEE10hipError_tPvRmT2_T3_T4_T5_mT6_T7_P12ihipStream_tbENKUlT_T0_E_clISt17integral_constantIbLb0EESV_IbLb1EEEEDaSR_SS_EUlSR_E_NS1_11comp_targetILNS1_3genE10ELNS1_11target_archE1201ELNS1_3gpuE5ELNS1_3repE0EEENS1_30default_config_static_selectorELNS0_4arch9wavefront6targetE0EEEvT1_: ; @_ZN7rocprim17ROCPRIM_400000_NS6detail17trampoline_kernelINS0_14default_configENS1_27scan_by_key_config_selectorIiiEEZZNS1_16scan_by_key_implILNS1_25lookback_scan_determinismE0ELb1ES3_N6thrust23THRUST_200600_302600_NS10device_ptrIiEESB_SB_iNS9_4plusIvEENS9_8equal_toIvEEiEE10hipError_tPvRmT2_T3_T4_T5_mT6_T7_P12ihipStream_tbENKUlT_T0_E_clISt17integral_constantIbLb0EESV_IbLb1EEEEDaSR_SS_EUlSR_E_NS1_11comp_targetILNS1_3genE10ELNS1_11target_archE1201ELNS1_3gpuE5ELNS1_3repE0EEENS1_30default_config_static_selectorELNS0_4arch9wavefront6targetE0EEEvT1_
; %bb.0:
	.section	.rodata,"a",@progbits
	.p2align	6, 0x0
	.amdhsa_kernel _ZN7rocprim17ROCPRIM_400000_NS6detail17trampoline_kernelINS0_14default_configENS1_27scan_by_key_config_selectorIiiEEZZNS1_16scan_by_key_implILNS1_25lookback_scan_determinismE0ELb1ES3_N6thrust23THRUST_200600_302600_NS10device_ptrIiEESB_SB_iNS9_4plusIvEENS9_8equal_toIvEEiEE10hipError_tPvRmT2_T3_T4_T5_mT6_T7_P12ihipStream_tbENKUlT_T0_E_clISt17integral_constantIbLb0EESV_IbLb1EEEEDaSR_SS_EUlSR_E_NS1_11comp_targetILNS1_3genE10ELNS1_11target_archE1201ELNS1_3gpuE5ELNS1_3repE0EEENS1_30default_config_static_selectorELNS0_4arch9wavefront6targetE0EEEvT1_
		.amdhsa_group_segment_fixed_size 0
		.amdhsa_private_segment_fixed_size 0
		.amdhsa_kernarg_size 112
		.amdhsa_user_sgpr_count 6
		.amdhsa_user_sgpr_private_segment_buffer 1
		.amdhsa_user_sgpr_dispatch_ptr 0
		.amdhsa_user_sgpr_queue_ptr 0
		.amdhsa_user_sgpr_kernarg_segment_ptr 1
		.amdhsa_user_sgpr_dispatch_id 0
		.amdhsa_user_sgpr_flat_scratch_init 0
		.amdhsa_user_sgpr_private_segment_size 0
		.amdhsa_wavefront_size32 1
		.amdhsa_uses_dynamic_stack 0
		.amdhsa_system_sgpr_private_segment_wavefront_offset 0
		.amdhsa_system_sgpr_workgroup_id_x 1
		.amdhsa_system_sgpr_workgroup_id_y 0
		.amdhsa_system_sgpr_workgroup_id_z 0
		.amdhsa_system_sgpr_workgroup_info 0
		.amdhsa_system_vgpr_workitem_id 0
		.amdhsa_next_free_vgpr 1
		.amdhsa_next_free_sgpr 1
		.amdhsa_reserve_vcc 0
		.amdhsa_reserve_flat_scratch 0
		.amdhsa_float_round_mode_32 0
		.amdhsa_float_round_mode_16_64 0
		.amdhsa_float_denorm_mode_32 3
		.amdhsa_float_denorm_mode_16_64 3
		.amdhsa_dx10_clamp 1
		.amdhsa_ieee_mode 1
		.amdhsa_fp16_overflow 0
		.amdhsa_workgroup_processor_mode 1
		.amdhsa_memory_ordered 1
		.amdhsa_forward_progress 1
		.amdhsa_shared_vgpr_count 0
		.amdhsa_exception_fp_ieee_invalid_op 0
		.amdhsa_exception_fp_denorm_src 0
		.amdhsa_exception_fp_ieee_div_zero 0
		.amdhsa_exception_fp_ieee_overflow 0
		.amdhsa_exception_fp_ieee_underflow 0
		.amdhsa_exception_fp_ieee_inexact 0
		.amdhsa_exception_int_div_zero 0
	.end_amdhsa_kernel
	.section	.text._ZN7rocprim17ROCPRIM_400000_NS6detail17trampoline_kernelINS0_14default_configENS1_27scan_by_key_config_selectorIiiEEZZNS1_16scan_by_key_implILNS1_25lookback_scan_determinismE0ELb1ES3_N6thrust23THRUST_200600_302600_NS10device_ptrIiEESB_SB_iNS9_4plusIvEENS9_8equal_toIvEEiEE10hipError_tPvRmT2_T3_T4_T5_mT6_T7_P12ihipStream_tbENKUlT_T0_E_clISt17integral_constantIbLb0EESV_IbLb1EEEEDaSR_SS_EUlSR_E_NS1_11comp_targetILNS1_3genE10ELNS1_11target_archE1201ELNS1_3gpuE5ELNS1_3repE0EEENS1_30default_config_static_selectorELNS0_4arch9wavefront6targetE0EEEvT1_,"axG",@progbits,_ZN7rocprim17ROCPRIM_400000_NS6detail17trampoline_kernelINS0_14default_configENS1_27scan_by_key_config_selectorIiiEEZZNS1_16scan_by_key_implILNS1_25lookback_scan_determinismE0ELb1ES3_N6thrust23THRUST_200600_302600_NS10device_ptrIiEESB_SB_iNS9_4plusIvEENS9_8equal_toIvEEiEE10hipError_tPvRmT2_T3_T4_T5_mT6_T7_P12ihipStream_tbENKUlT_T0_E_clISt17integral_constantIbLb0EESV_IbLb1EEEEDaSR_SS_EUlSR_E_NS1_11comp_targetILNS1_3genE10ELNS1_11target_archE1201ELNS1_3gpuE5ELNS1_3repE0EEENS1_30default_config_static_selectorELNS0_4arch9wavefront6targetE0EEEvT1_,comdat
.Lfunc_end2261:
	.size	_ZN7rocprim17ROCPRIM_400000_NS6detail17trampoline_kernelINS0_14default_configENS1_27scan_by_key_config_selectorIiiEEZZNS1_16scan_by_key_implILNS1_25lookback_scan_determinismE0ELb1ES3_N6thrust23THRUST_200600_302600_NS10device_ptrIiEESB_SB_iNS9_4plusIvEENS9_8equal_toIvEEiEE10hipError_tPvRmT2_T3_T4_T5_mT6_T7_P12ihipStream_tbENKUlT_T0_E_clISt17integral_constantIbLb0EESV_IbLb1EEEEDaSR_SS_EUlSR_E_NS1_11comp_targetILNS1_3genE10ELNS1_11target_archE1201ELNS1_3gpuE5ELNS1_3repE0EEENS1_30default_config_static_selectorELNS0_4arch9wavefront6targetE0EEEvT1_, .Lfunc_end2261-_ZN7rocprim17ROCPRIM_400000_NS6detail17trampoline_kernelINS0_14default_configENS1_27scan_by_key_config_selectorIiiEEZZNS1_16scan_by_key_implILNS1_25lookback_scan_determinismE0ELb1ES3_N6thrust23THRUST_200600_302600_NS10device_ptrIiEESB_SB_iNS9_4plusIvEENS9_8equal_toIvEEiEE10hipError_tPvRmT2_T3_T4_T5_mT6_T7_P12ihipStream_tbENKUlT_T0_E_clISt17integral_constantIbLb0EESV_IbLb1EEEEDaSR_SS_EUlSR_E_NS1_11comp_targetILNS1_3genE10ELNS1_11target_archE1201ELNS1_3gpuE5ELNS1_3repE0EEENS1_30default_config_static_selectorELNS0_4arch9wavefront6targetE0EEEvT1_
                                        ; -- End function
	.set _ZN7rocprim17ROCPRIM_400000_NS6detail17trampoline_kernelINS0_14default_configENS1_27scan_by_key_config_selectorIiiEEZZNS1_16scan_by_key_implILNS1_25lookback_scan_determinismE0ELb1ES3_N6thrust23THRUST_200600_302600_NS10device_ptrIiEESB_SB_iNS9_4plusIvEENS9_8equal_toIvEEiEE10hipError_tPvRmT2_T3_T4_T5_mT6_T7_P12ihipStream_tbENKUlT_T0_E_clISt17integral_constantIbLb0EESV_IbLb1EEEEDaSR_SS_EUlSR_E_NS1_11comp_targetILNS1_3genE10ELNS1_11target_archE1201ELNS1_3gpuE5ELNS1_3repE0EEENS1_30default_config_static_selectorELNS0_4arch9wavefront6targetE0EEEvT1_.num_vgpr, 0
	.set _ZN7rocprim17ROCPRIM_400000_NS6detail17trampoline_kernelINS0_14default_configENS1_27scan_by_key_config_selectorIiiEEZZNS1_16scan_by_key_implILNS1_25lookback_scan_determinismE0ELb1ES3_N6thrust23THRUST_200600_302600_NS10device_ptrIiEESB_SB_iNS9_4plusIvEENS9_8equal_toIvEEiEE10hipError_tPvRmT2_T3_T4_T5_mT6_T7_P12ihipStream_tbENKUlT_T0_E_clISt17integral_constantIbLb0EESV_IbLb1EEEEDaSR_SS_EUlSR_E_NS1_11comp_targetILNS1_3genE10ELNS1_11target_archE1201ELNS1_3gpuE5ELNS1_3repE0EEENS1_30default_config_static_selectorELNS0_4arch9wavefront6targetE0EEEvT1_.num_agpr, 0
	.set _ZN7rocprim17ROCPRIM_400000_NS6detail17trampoline_kernelINS0_14default_configENS1_27scan_by_key_config_selectorIiiEEZZNS1_16scan_by_key_implILNS1_25lookback_scan_determinismE0ELb1ES3_N6thrust23THRUST_200600_302600_NS10device_ptrIiEESB_SB_iNS9_4plusIvEENS9_8equal_toIvEEiEE10hipError_tPvRmT2_T3_T4_T5_mT6_T7_P12ihipStream_tbENKUlT_T0_E_clISt17integral_constantIbLb0EESV_IbLb1EEEEDaSR_SS_EUlSR_E_NS1_11comp_targetILNS1_3genE10ELNS1_11target_archE1201ELNS1_3gpuE5ELNS1_3repE0EEENS1_30default_config_static_selectorELNS0_4arch9wavefront6targetE0EEEvT1_.numbered_sgpr, 0
	.set _ZN7rocprim17ROCPRIM_400000_NS6detail17trampoline_kernelINS0_14default_configENS1_27scan_by_key_config_selectorIiiEEZZNS1_16scan_by_key_implILNS1_25lookback_scan_determinismE0ELb1ES3_N6thrust23THRUST_200600_302600_NS10device_ptrIiEESB_SB_iNS9_4plusIvEENS9_8equal_toIvEEiEE10hipError_tPvRmT2_T3_T4_T5_mT6_T7_P12ihipStream_tbENKUlT_T0_E_clISt17integral_constantIbLb0EESV_IbLb1EEEEDaSR_SS_EUlSR_E_NS1_11comp_targetILNS1_3genE10ELNS1_11target_archE1201ELNS1_3gpuE5ELNS1_3repE0EEENS1_30default_config_static_selectorELNS0_4arch9wavefront6targetE0EEEvT1_.num_named_barrier, 0
	.set _ZN7rocprim17ROCPRIM_400000_NS6detail17trampoline_kernelINS0_14default_configENS1_27scan_by_key_config_selectorIiiEEZZNS1_16scan_by_key_implILNS1_25lookback_scan_determinismE0ELb1ES3_N6thrust23THRUST_200600_302600_NS10device_ptrIiEESB_SB_iNS9_4plusIvEENS9_8equal_toIvEEiEE10hipError_tPvRmT2_T3_T4_T5_mT6_T7_P12ihipStream_tbENKUlT_T0_E_clISt17integral_constantIbLb0EESV_IbLb1EEEEDaSR_SS_EUlSR_E_NS1_11comp_targetILNS1_3genE10ELNS1_11target_archE1201ELNS1_3gpuE5ELNS1_3repE0EEENS1_30default_config_static_selectorELNS0_4arch9wavefront6targetE0EEEvT1_.private_seg_size, 0
	.set _ZN7rocprim17ROCPRIM_400000_NS6detail17trampoline_kernelINS0_14default_configENS1_27scan_by_key_config_selectorIiiEEZZNS1_16scan_by_key_implILNS1_25lookback_scan_determinismE0ELb1ES3_N6thrust23THRUST_200600_302600_NS10device_ptrIiEESB_SB_iNS9_4plusIvEENS9_8equal_toIvEEiEE10hipError_tPvRmT2_T3_T4_T5_mT6_T7_P12ihipStream_tbENKUlT_T0_E_clISt17integral_constantIbLb0EESV_IbLb1EEEEDaSR_SS_EUlSR_E_NS1_11comp_targetILNS1_3genE10ELNS1_11target_archE1201ELNS1_3gpuE5ELNS1_3repE0EEENS1_30default_config_static_selectorELNS0_4arch9wavefront6targetE0EEEvT1_.uses_vcc, 0
	.set _ZN7rocprim17ROCPRIM_400000_NS6detail17trampoline_kernelINS0_14default_configENS1_27scan_by_key_config_selectorIiiEEZZNS1_16scan_by_key_implILNS1_25lookback_scan_determinismE0ELb1ES3_N6thrust23THRUST_200600_302600_NS10device_ptrIiEESB_SB_iNS9_4plusIvEENS9_8equal_toIvEEiEE10hipError_tPvRmT2_T3_T4_T5_mT6_T7_P12ihipStream_tbENKUlT_T0_E_clISt17integral_constantIbLb0EESV_IbLb1EEEEDaSR_SS_EUlSR_E_NS1_11comp_targetILNS1_3genE10ELNS1_11target_archE1201ELNS1_3gpuE5ELNS1_3repE0EEENS1_30default_config_static_selectorELNS0_4arch9wavefront6targetE0EEEvT1_.uses_flat_scratch, 0
	.set _ZN7rocprim17ROCPRIM_400000_NS6detail17trampoline_kernelINS0_14default_configENS1_27scan_by_key_config_selectorIiiEEZZNS1_16scan_by_key_implILNS1_25lookback_scan_determinismE0ELb1ES3_N6thrust23THRUST_200600_302600_NS10device_ptrIiEESB_SB_iNS9_4plusIvEENS9_8equal_toIvEEiEE10hipError_tPvRmT2_T3_T4_T5_mT6_T7_P12ihipStream_tbENKUlT_T0_E_clISt17integral_constantIbLb0EESV_IbLb1EEEEDaSR_SS_EUlSR_E_NS1_11comp_targetILNS1_3genE10ELNS1_11target_archE1201ELNS1_3gpuE5ELNS1_3repE0EEENS1_30default_config_static_selectorELNS0_4arch9wavefront6targetE0EEEvT1_.has_dyn_sized_stack, 0
	.set _ZN7rocprim17ROCPRIM_400000_NS6detail17trampoline_kernelINS0_14default_configENS1_27scan_by_key_config_selectorIiiEEZZNS1_16scan_by_key_implILNS1_25lookback_scan_determinismE0ELb1ES3_N6thrust23THRUST_200600_302600_NS10device_ptrIiEESB_SB_iNS9_4plusIvEENS9_8equal_toIvEEiEE10hipError_tPvRmT2_T3_T4_T5_mT6_T7_P12ihipStream_tbENKUlT_T0_E_clISt17integral_constantIbLb0EESV_IbLb1EEEEDaSR_SS_EUlSR_E_NS1_11comp_targetILNS1_3genE10ELNS1_11target_archE1201ELNS1_3gpuE5ELNS1_3repE0EEENS1_30default_config_static_selectorELNS0_4arch9wavefront6targetE0EEEvT1_.has_recursion, 0
	.set _ZN7rocprim17ROCPRIM_400000_NS6detail17trampoline_kernelINS0_14default_configENS1_27scan_by_key_config_selectorIiiEEZZNS1_16scan_by_key_implILNS1_25lookback_scan_determinismE0ELb1ES3_N6thrust23THRUST_200600_302600_NS10device_ptrIiEESB_SB_iNS9_4plusIvEENS9_8equal_toIvEEiEE10hipError_tPvRmT2_T3_T4_T5_mT6_T7_P12ihipStream_tbENKUlT_T0_E_clISt17integral_constantIbLb0EESV_IbLb1EEEEDaSR_SS_EUlSR_E_NS1_11comp_targetILNS1_3genE10ELNS1_11target_archE1201ELNS1_3gpuE5ELNS1_3repE0EEENS1_30default_config_static_selectorELNS0_4arch9wavefront6targetE0EEEvT1_.has_indirect_call, 0
	.section	.AMDGPU.csdata,"",@progbits
; Kernel info:
; codeLenInByte = 0
; TotalNumSgprs: 0
; NumVgprs: 0
; ScratchSize: 0
; MemoryBound: 0
; FloatMode: 240
; IeeeMode: 1
; LDSByteSize: 0 bytes/workgroup (compile time only)
; SGPRBlocks: 0
; VGPRBlocks: 0
; NumSGPRsForWavesPerEU: 1
; NumVGPRsForWavesPerEU: 1
; Occupancy: 16
; WaveLimiterHint : 0
; COMPUTE_PGM_RSRC2:SCRATCH_EN: 0
; COMPUTE_PGM_RSRC2:USER_SGPR: 6
; COMPUTE_PGM_RSRC2:TRAP_HANDLER: 0
; COMPUTE_PGM_RSRC2:TGID_X_EN: 1
; COMPUTE_PGM_RSRC2:TGID_Y_EN: 0
; COMPUTE_PGM_RSRC2:TGID_Z_EN: 0
; COMPUTE_PGM_RSRC2:TIDIG_COMP_CNT: 0
	.section	.text._ZN7rocprim17ROCPRIM_400000_NS6detail17trampoline_kernelINS0_14default_configENS1_27scan_by_key_config_selectorIiiEEZZNS1_16scan_by_key_implILNS1_25lookback_scan_determinismE0ELb1ES3_N6thrust23THRUST_200600_302600_NS10device_ptrIiEESB_SB_iNS9_4plusIvEENS9_8equal_toIvEEiEE10hipError_tPvRmT2_T3_T4_T5_mT6_T7_P12ihipStream_tbENKUlT_T0_E_clISt17integral_constantIbLb0EESV_IbLb1EEEEDaSR_SS_EUlSR_E_NS1_11comp_targetILNS1_3genE5ELNS1_11target_archE942ELNS1_3gpuE9ELNS1_3repE0EEENS1_30default_config_static_selectorELNS0_4arch9wavefront6targetE0EEEvT1_,"axG",@progbits,_ZN7rocprim17ROCPRIM_400000_NS6detail17trampoline_kernelINS0_14default_configENS1_27scan_by_key_config_selectorIiiEEZZNS1_16scan_by_key_implILNS1_25lookback_scan_determinismE0ELb1ES3_N6thrust23THRUST_200600_302600_NS10device_ptrIiEESB_SB_iNS9_4plusIvEENS9_8equal_toIvEEiEE10hipError_tPvRmT2_T3_T4_T5_mT6_T7_P12ihipStream_tbENKUlT_T0_E_clISt17integral_constantIbLb0EESV_IbLb1EEEEDaSR_SS_EUlSR_E_NS1_11comp_targetILNS1_3genE5ELNS1_11target_archE942ELNS1_3gpuE9ELNS1_3repE0EEENS1_30default_config_static_selectorELNS0_4arch9wavefront6targetE0EEEvT1_,comdat
	.protected	_ZN7rocprim17ROCPRIM_400000_NS6detail17trampoline_kernelINS0_14default_configENS1_27scan_by_key_config_selectorIiiEEZZNS1_16scan_by_key_implILNS1_25lookback_scan_determinismE0ELb1ES3_N6thrust23THRUST_200600_302600_NS10device_ptrIiEESB_SB_iNS9_4plusIvEENS9_8equal_toIvEEiEE10hipError_tPvRmT2_T3_T4_T5_mT6_T7_P12ihipStream_tbENKUlT_T0_E_clISt17integral_constantIbLb0EESV_IbLb1EEEEDaSR_SS_EUlSR_E_NS1_11comp_targetILNS1_3genE5ELNS1_11target_archE942ELNS1_3gpuE9ELNS1_3repE0EEENS1_30default_config_static_selectorELNS0_4arch9wavefront6targetE0EEEvT1_ ; -- Begin function _ZN7rocprim17ROCPRIM_400000_NS6detail17trampoline_kernelINS0_14default_configENS1_27scan_by_key_config_selectorIiiEEZZNS1_16scan_by_key_implILNS1_25lookback_scan_determinismE0ELb1ES3_N6thrust23THRUST_200600_302600_NS10device_ptrIiEESB_SB_iNS9_4plusIvEENS9_8equal_toIvEEiEE10hipError_tPvRmT2_T3_T4_T5_mT6_T7_P12ihipStream_tbENKUlT_T0_E_clISt17integral_constantIbLb0EESV_IbLb1EEEEDaSR_SS_EUlSR_E_NS1_11comp_targetILNS1_3genE5ELNS1_11target_archE942ELNS1_3gpuE9ELNS1_3repE0EEENS1_30default_config_static_selectorELNS0_4arch9wavefront6targetE0EEEvT1_
	.globl	_ZN7rocprim17ROCPRIM_400000_NS6detail17trampoline_kernelINS0_14default_configENS1_27scan_by_key_config_selectorIiiEEZZNS1_16scan_by_key_implILNS1_25lookback_scan_determinismE0ELb1ES3_N6thrust23THRUST_200600_302600_NS10device_ptrIiEESB_SB_iNS9_4plusIvEENS9_8equal_toIvEEiEE10hipError_tPvRmT2_T3_T4_T5_mT6_T7_P12ihipStream_tbENKUlT_T0_E_clISt17integral_constantIbLb0EESV_IbLb1EEEEDaSR_SS_EUlSR_E_NS1_11comp_targetILNS1_3genE5ELNS1_11target_archE942ELNS1_3gpuE9ELNS1_3repE0EEENS1_30default_config_static_selectorELNS0_4arch9wavefront6targetE0EEEvT1_
	.p2align	8
	.type	_ZN7rocprim17ROCPRIM_400000_NS6detail17trampoline_kernelINS0_14default_configENS1_27scan_by_key_config_selectorIiiEEZZNS1_16scan_by_key_implILNS1_25lookback_scan_determinismE0ELb1ES3_N6thrust23THRUST_200600_302600_NS10device_ptrIiEESB_SB_iNS9_4plusIvEENS9_8equal_toIvEEiEE10hipError_tPvRmT2_T3_T4_T5_mT6_T7_P12ihipStream_tbENKUlT_T0_E_clISt17integral_constantIbLb0EESV_IbLb1EEEEDaSR_SS_EUlSR_E_NS1_11comp_targetILNS1_3genE5ELNS1_11target_archE942ELNS1_3gpuE9ELNS1_3repE0EEENS1_30default_config_static_selectorELNS0_4arch9wavefront6targetE0EEEvT1_,@function
_ZN7rocprim17ROCPRIM_400000_NS6detail17trampoline_kernelINS0_14default_configENS1_27scan_by_key_config_selectorIiiEEZZNS1_16scan_by_key_implILNS1_25lookback_scan_determinismE0ELb1ES3_N6thrust23THRUST_200600_302600_NS10device_ptrIiEESB_SB_iNS9_4plusIvEENS9_8equal_toIvEEiEE10hipError_tPvRmT2_T3_T4_T5_mT6_T7_P12ihipStream_tbENKUlT_T0_E_clISt17integral_constantIbLb0EESV_IbLb1EEEEDaSR_SS_EUlSR_E_NS1_11comp_targetILNS1_3genE5ELNS1_11target_archE942ELNS1_3gpuE9ELNS1_3repE0EEENS1_30default_config_static_selectorELNS0_4arch9wavefront6targetE0EEEvT1_: ; @_ZN7rocprim17ROCPRIM_400000_NS6detail17trampoline_kernelINS0_14default_configENS1_27scan_by_key_config_selectorIiiEEZZNS1_16scan_by_key_implILNS1_25lookback_scan_determinismE0ELb1ES3_N6thrust23THRUST_200600_302600_NS10device_ptrIiEESB_SB_iNS9_4plusIvEENS9_8equal_toIvEEiEE10hipError_tPvRmT2_T3_T4_T5_mT6_T7_P12ihipStream_tbENKUlT_T0_E_clISt17integral_constantIbLb0EESV_IbLb1EEEEDaSR_SS_EUlSR_E_NS1_11comp_targetILNS1_3genE5ELNS1_11target_archE942ELNS1_3gpuE9ELNS1_3repE0EEENS1_30default_config_static_selectorELNS0_4arch9wavefront6targetE0EEEvT1_
; %bb.0:
	.section	.rodata,"a",@progbits
	.p2align	6, 0x0
	.amdhsa_kernel _ZN7rocprim17ROCPRIM_400000_NS6detail17trampoline_kernelINS0_14default_configENS1_27scan_by_key_config_selectorIiiEEZZNS1_16scan_by_key_implILNS1_25lookback_scan_determinismE0ELb1ES3_N6thrust23THRUST_200600_302600_NS10device_ptrIiEESB_SB_iNS9_4plusIvEENS9_8equal_toIvEEiEE10hipError_tPvRmT2_T3_T4_T5_mT6_T7_P12ihipStream_tbENKUlT_T0_E_clISt17integral_constantIbLb0EESV_IbLb1EEEEDaSR_SS_EUlSR_E_NS1_11comp_targetILNS1_3genE5ELNS1_11target_archE942ELNS1_3gpuE9ELNS1_3repE0EEENS1_30default_config_static_selectorELNS0_4arch9wavefront6targetE0EEEvT1_
		.amdhsa_group_segment_fixed_size 0
		.amdhsa_private_segment_fixed_size 0
		.amdhsa_kernarg_size 112
		.amdhsa_user_sgpr_count 6
		.amdhsa_user_sgpr_private_segment_buffer 1
		.amdhsa_user_sgpr_dispatch_ptr 0
		.amdhsa_user_sgpr_queue_ptr 0
		.amdhsa_user_sgpr_kernarg_segment_ptr 1
		.amdhsa_user_sgpr_dispatch_id 0
		.amdhsa_user_sgpr_flat_scratch_init 0
		.amdhsa_user_sgpr_private_segment_size 0
		.amdhsa_wavefront_size32 1
		.amdhsa_uses_dynamic_stack 0
		.amdhsa_system_sgpr_private_segment_wavefront_offset 0
		.amdhsa_system_sgpr_workgroup_id_x 1
		.amdhsa_system_sgpr_workgroup_id_y 0
		.amdhsa_system_sgpr_workgroup_id_z 0
		.amdhsa_system_sgpr_workgroup_info 0
		.amdhsa_system_vgpr_workitem_id 0
		.amdhsa_next_free_vgpr 1
		.amdhsa_next_free_sgpr 1
		.amdhsa_reserve_vcc 0
		.amdhsa_reserve_flat_scratch 0
		.amdhsa_float_round_mode_32 0
		.amdhsa_float_round_mode_16_64 0
		.amdhsa_float_denorm_mode_32 3
		.amdhsa_float_denorm_mode_16_64 3
		.amdhsa_dx10_clamp 1
		.amdhsa_ieee_mode 1
		.amdhsa_fp16_overflow 0
		.amdhsa_workgroup_processor_mode 1
		.amdhsa_memory_ordered 1
		.amdhsa_forward_progress 1
		.amdhsa_shared_vgpr_count 0
		.amdhsa_exception_fp_ieee_invalid_op 0
		.amdhsa_exception_fp_denorm_src 0
		.amdhsa_exception_fp_ieee_div_zero 0
		.amdhsa_exception_fp_ieee_overflow 0
		.amdhsa_exception_fp_ieee_underflow 0
		.amdhsa_exception_fp_ieee_inexact 0
		.amdhsa_exception_int_div_zero 0
	.end_amdhsa_kernel
	.section	.text._ZN7rocprim17ROCPRIM_400000_NS6detail17trampoline_kernelINS0_14default_configENS1_27scan_by_key_config_selectorIiiEEZZNS1_16scan_by_key_implILNS1_25lookback_scan_determinismE0ELb1ES3_N6thrust23THRUST_200600_302600_NS10device_ptrIiEESB_SB_iNS9_4plusIvEENS9_8equal_toIvEEiEE10hipError_tPvRmT2_T3_T4_T5_mT6_T7_P12ihipStream_tbENKUlT_T0_E_clISt17integral_constantIbLb0EESV_IbLb1EEEEDaSR_SS_EUlSR_E_NS1_11comp_targetILNS1_3genE5ELNS1_11target_archE942ELNS1_3gpuE9ELNS1_3repE0EEENS1_30default_config_static_selectorELNS0_4arch9wavefront6targetE0EEEvT1_,"axG",@progbits,_ZN7rocprim17ROCPRIM_400000_NS6detail17trampoline_kernelINS0_14default_configENS1_27scan_by_key_config_selectorIiiEEZZNS1_16scan_by_key_implILNS1_25lookback_scan_determinismE0ELb1ES3_N6thrust23THRUST_200600_302600_NS10device_ptrIiEESB_SB_iNS9_4plusIvEENS9_8equal_toIvEEiEE10hipError_tPvRmT2_T3_T4_T5_mT6_T7_P12ihipStream_tbENKUlT_T0_E_clISt17integral_constantIbLb0EESV_IbLb1EEEEDaSR_SS_EUlSR_E_NS1_11comp_targetILNS1_3genE5ELNS1_11target_archE942ELNS1_3gpuE9ELNS1_3repE0EEENS1_30default_config_static_selectorELNS0_4arch9wavefront6targetE0EEEvT1_,comdat
.Lfunc_end2262:
	.size	_ZN7rocprim17ROCPRIM_400000_NS6detail17trampoline_kernelINS0_14default_configENS1_27scan_by_key_config_selectorIiiEEZZNS1_16scan_by_key_implILNS1_25lookback_scan_determinismE0ELb1ES3_N6thrust23THRUST_200600_302600_NS10device_ptrIiEESB_SB_iNS9_4plusIvEENS9_8equal_toIvEEiEE10hipError_tPvRmT2_T3_T4_T5_mT6_T7_P12ihipStream_tbENKUlT_T0_E_clISt17integral_constantIbLb0EESV_IbLb1EEEEDaSR_SS_EUlSR_E_NS1_11comp_targetILNS1_3genE5ELNS1_11target_archE942ELNS1_3gpuE9ELNS1_3repE0EEENS1_30default_config_static_selectorELNS0_4arch9wavefront6targetE0EEEvT1_, .Lfunc_end2262-_ZN7rocprim17ROCPRIM_400000_NS6detail17trampoline_kernelINS0_14default_configENS1_27scan_by_key_config_selectorIiiEEZZNS1_16scan_by_key_implILNS1_25lookback_scan_determinismE0ELb1ES3_N6thrust23THRUST_200600_302600_NS10device_ptrIiEESB_SB_iNS9_4plusIvEENS9_8equal_toIvEEiEE10hipError_tPvRmT2_T3_T4_T5_mT6_T7_P12ihipStream_tbENKUlT_T0_E_clISt17integral_constantIbLb0EESV_IbLb1EEEEDaSR_SS_EUlSR_E_NS1_11comp_targetILNS1_3genE5ELNS1_11target_archE942ELNS1_3gpuE9ELNS1_3repE0EEENS1_30default_config_static_selectorELNS0_4arch9wavefront6targetE0EEEvT1_
                                        ; -- End function
	.set _ZN7rocprim17ROCPRIM_400000_NS6detail17trampoline_kernelINS0_14default_configENS1_27scan_by_key_config_selectorIiiEEZZNS1_16scan_by_key_implILNS1_25lookback_scan_determinismE0ELb1ES3_N6thrust23THRUST_200600_302600_NS10device_ptrIiEESB_SB_iNS9_4plusIvEENS9_8equal_toIvEEiEE10hipError_tPvRmT2_T3_T4_T5_mT6_T7_P12ihipStream_tbENKUlT_T0_E_clISt17integral_constantIbLb0EESV_IbLb1EEEEDaSR_SS_EUlSR_E_NS1_11comp_targetILNS1_3genE5ELNS1_11target_archE942ELNS1_3gpuE9ELNS1_3repE0EEENS1_30default_config_static_selectorELNS0_4arch9wavefront6targetE0EEEvT1_.num_vgpr, 0
	.set _ZN7rocprim17ROCPRIM_400000_NS6detail17trampoline_kernelINS0_14default_configENS1_27scan_by_key_config_selectorIiiEEZZNS1_16scan_by_key_implILNS1_25lookback_scan_determinismE0ELb1ES3_N6thrust23THRUST_200600_302600_NS10device_ptrIiEESB_SB_iNS9_4plusIvEENS9_8equal_toIvEEiEE10hipError_tPvRmT2_T3_T4_T5_mT6_T7_P12ihipStream_tbENKUlT_T0_E_clISt17integral_constantIbLb0EESV_IbLb1EEEEDaSR_SS_EUlSR_E_NS1_11comp_targetILNS1_3genE5ELNS1_11target_archE942ELNS1_3gpuE9ELNS1_3repE0EEENS1_30default_config_static_selectorELNS0_4arch9wavefront6targetE0EEEvT1_.num_agpr, 0
	.set _ZN7rocprim17ROCPRIM_400000_NS6detail17trampoline_kernelINS0_14default_configENS1_27scan_by_key_config_selectorIiiEEZZNS1_16scan_by_key_implILNS1_25lookback_scan_determinismE0ELb1ES3_N6thrust23THRUST_200600_302600_NS10device_ptrIiEESB_SB_iNS9_4plusIvEENS9_8equal_toIvEEiEE10hipError_tPvRmT2_T3_T4_T5_mT6_T7_P12ihipStream_tbENKUlT_T0_E_clISt17integral_constantIbLb0EESV_IbLb1EEEEDaSR_SS_EUlSR_E_NS1_11comp_targetILNS1_3genE5ELNS1_11target_archE942ELNS1_3gpuE9ELNS1_3repE0EEENS1_30default_config_static_selectorELNS0_4arch9wavefront6targetE0EEEvT1_.numbered_sgpr, 0
	.set _ZN7rocprim17ROCPRIM_400000_NS6detail17trampoline_kernelINS0_14default_configENS1_27scan_by_key_config_selectorIiiEEZZNS1_16scan_by_key_implILNS1_25lookback_scan_determinismE0ELb1ES3_N6thrust23THRUST_200600_302600_NS10device_ptrIiEESB_SB_iNS9_4plusIvEENS9_8equal_toIvEEiEE10hipError_tPvRmT2_T3_T4_T5_mT6_T7_P12ihipStream_tbENKUlT_T0_E_clISt17integral_constantIbLb0EESV_IbLb1EEEEDaSR_SS_EUlSR_E_NS1_11comp_targetILNS1_3genE5ELNS1_11target_archE942ELNS1_3gpuE9ELNS1_3repE0EEENS1_30default_config_static_selectorELNS0_4arch9wavefront6targetE0EEEvT1_.num_named_barrier, 0
	.set _ZN7rocprim17ROCPRIM_400000_NS6detail17trampoline_kernelINS0_14default_configENS1_27scan_by_key_config_selectorIiiEEZZNS1_16scan_by_key_implILNS1_25lookback_scan_determinismE0ELb1ES3_N6thrust23THRUST_200600_302600_NS10device_ptrIiEESB_SB_iNS9_4plusIvEENS9_8equal_toIvEEiEE10hipError_tPvRmT2_T3_T4_T5_mT6_T7_P12ihipStream_tbENKUlT_T0_E_clISt17integral_constantIbLb0EESV_IbLb1EEEEDaSR_SS_EUlSR_E_NS1_11comp_targetILNS1_3genE5ELNS1_11target_archE942ELNS1_3gpuE9ELNS1_3repE0EEENS1_30default_config_static_selectorELNS0_4arch9wavefront6targetE0EEEvT1_.private_seg_size, 0
	.set _ZN7rocprim17ROCPRIM_400000_NS6detail17trampoline_kernelINS0_14default_configENS1_27scan_by_key_config_selectorIiiEEZZNS1_16scan_by_key_implILNS1_25lookback_scan_determinismE0ELb1ES3_N6thrust23THRUST_200600_302600_NS10device_ptrIiEESB_SB_iNS9_4plusIvEENS9_8equal_toIvEEiEE10hipError_tPvRmT2_T3_T4_T5_mT6_T7_P12ihipStream_tbENKUlT_T0_E_clISt17integral_constantIbLb0EESV_IbLb1EEEEDaSR_SS_EUlSR_E_NS1_11comp_targetILNS1_3genE5ELNS1_11target_archE942ELNS1_3gpuE9ELNS1_3repE0EEENS1_30default_config_static_selectorELNS0_4arch9wavefront6targetE0EEEvT1_.uses_vcc, 0
	.set _ZN7rocprim17ROCPRIM_400000_NS6detail17trampoline_kernelINS0_14default_configENS1_27scan_by_key_config_selectorIiiEEZZNS1_16scan_by_key_implILNS1_25lookback_scan_determinismE0ELb1ES3_N6thrust23THRUST_200600_302600_NS10device_ptrIiEESB_SB_iNS9_4plusIvEENS9_8equal_toIvEEiEE10hipError_tPvRmT2_T3_T4_T5_mT6_T7_P12ihipStream_tbENKUlT_T0_E_clISt17integral_constantIbLb0EESV_IbLb1EEEEDaSR_SS_EUlSR_E_NS1_11comp_targetILNS1_3genE5ELNS1_11target_archE942ELNS1_3gpuE9ELNS1_3repE0EEENS1_30default_config_static_selectorELNS0_4arch9wavefront6targetE0EEEvT1_.uses_flat_scratch, 0
	.set _ZN7rocprim17ROCPRIM_400000_NS6detail17trampoline_kernelINS0_14default_configENS1_27scan_by_key_config_selectorIiiEEZZNS1_16scan_by_key_implILNS1_25lookback_scan_determinismE0ELb1ES3_N6thrust23THRUST_200600_302600_NS10device_ptrIiEESB_SB_iNS9_4plusIvEENS9_8equal_toIvEEiEE10hipError_tPvRmT2_T3_T4_T5_mT6_T7_P12ihipStream_tbENKUlT_T0_E_clISt17integral_constantIbLb0EESV_IbLb1EEEEDaSR_SS_EUlSR_E_NS1_11comp_targetILNS1_3genE5ELNS1_11target_archE942ELNS1_3gpuE9ELNS1_3repE0EEENS1_30default_config_static_selectorELNS0_4arch9wavefront6targetE0EEEvT1_.has_dyn_sized_stack, 0
	.set _ZN7rocprim17ROCPRIM_400000_NS6detail17trampoline_kernelINS0_14default_configENS1_27scan_by_key_config_selectorIiiEEZZNS1_16scan_by_key_implILNS1_25lookback_scan_determinismE0ELb1ES3_N6thrust23THRUST_200600_302600_NS10device_ptrIiEESB_SB_iNS9_4plusIvEENS9_8equal_toIvEEiEE10hipError_tPvRmT2_T3_T4_T5_mT6_T7_P12ihipStream_tbENKUlT_T0_E_clISt17integral_constantIbLb0EESV_IbLb1EEEEDaSR_SS_EUlSR_E_NS1_11comp_targetILNS1_3genE5ELNS1_11target_archE942ELNS1_3gpuE9ELNS1_3repE0EEENS1_30default_config_static_selectorELNS0_4arch9wavefront6targetE0EEEvT1_.has_recursion, 0
	.set _ZN7rocprim17ROCPRIM_400000_NS6detail17trampoline_kernelINS0_14default_configENS1_27scan_by_key_config_selectorIiiEEZZNS1_16scan_by_key_implILNS1_25lookback_scan_determinismE0ELb1ES3_N6thrust23THRUST_200600_302600_NS10device_ptrIiEESB_SB_iNS9_4plusIvEENS9_8equal_toIvEEiEE10hipError_tPvRmT2_T3_T4_T5_mT6_T7_P12ihipStream_tbENKUlT_T0_E_clISt17integral_constantIbLb0EESV_IbLb1EEEEDaSR_SS_EUlSR_E_NS1_11comp_targetILNS1_3genE5ELNS1_11target_archE942ELNS1_3gpuE9ELNS1_3repE0EEENS1_30default_config_static_selectorELNS0_4arch9wavefront6targetE0EEEvT1_.has_indirect_call, 0
	.section	.AMDGPU.csdata,"",@progbits
; Kernel info:
; codeLenInByte = 0
; TotalNumSgprs: 0
; NumVgprs: 0
; ScratchSize: 0
; MemoryBound: 0
; FloatMode: 240
; IeeeMode: 1
; LDSByteSize: 0 bytes/workgroup (compile time only)
; SGPRBlocks: 0
; VGPRBlocks: 0
; NumSGPRsForWavesPerEU: 1
; NumVGPRsForWavesPerEU: 1
; Occupancy: 16
; WaveLimiterHint : 0
; COMPUTE_PGM_RSRC2:SCRATCH_EN: 0
; COMPUTE_PGM_RSRC2:USER_SGPR: 6
; COMPUTE_PGM_RSRC2:TRAP_HANDLER: 0
; COMPUTE_PGM_RSRC2:TGID_X_EN: 1
; COMPUTE_PGM_RSRC2:TGID_Y_EN: 0
; COMPUTE_PGM_RSRC2:TGID_Z_EN: 0
; COMPUTE_PGM_RSRC2:TIDIG_COMP_CNT: 0
	.section	.text._ZN7rocprim17ROCPRIM_400000_NS6detail17trampoline_kernelINS0_14default_configENS1_27scan_by_key_config_selectorIiiEEZZNS1_16scan_by_key_implILNS1_25lookback_scan_determinismE0ELb1ES3_N6thrust23THRUST_200600_302600_NS10device_ptrIiEESB_SB_iNS9_4plusIvEENS9_8equal_toIvEEiEE10hipError_tPvRmT2_T3_T4_T5_mT6_T7_P12ihipStream_tbENKUlT_T0_E_clISt17integral_constantIbLb0EESV_IbLb1EEEEDaSR_SS_EUlSR_E_NS1_11comp_targetILNS1_3genE4ELNS1_11target_archE910ELNS1_3gpuE8ELNS1_3repE0EEENS1_30default_config_static_selectorELNS0_4arch9wavefront6targetE0EEEvT1_,"axG",@progbits,_ZN7rocprim17ROCPRIM_400000_NS6detail17trampoline_kernelINS0_14default_configENS1_27scan_by_key_config_selectorIiiEEZZNS1_16scan_by_key_implILNS1_25lookback_scan_determinismE0ELb1ES3_N6thrust23THRUST_200600_302600_NS10device_ptrIiEESB_SB_iNS9_4plusIvEENS9_8equal_toIvEEiEE10hipError_tPvRmT2_T3_T4_T5_mT6_T7_P12ihipStream_tbENKUlT_T0_E_clISt17integral_constantIbLb0EESV_IbLb1EEEEDaSR_SS_EUlSR_E_NS1_11comp_targetILNS1_3genE4ELNS1_11target_archE910ELNS1_3gpuE8ELNS1_3repE0EEENS1_30default_config_static_selectorELNS0_4arch9wavefront6targetE0EEEvT1_,comdat
	.protected	_ZN7rocprim17ROCPRIM_400000_NS6detail17trampoline_kernelINS0_14default_configENS1_27scan_by_key_config_selectorIiiEEZZNS1_16scan_by_key_implILNS1_25lookback_scan_determinismE0ELb1ES3_N6thrust23THRUST_200600_302600_NS10device_ptrIiEESB_SB_iNS9_4plusIvEENS9_8equal_toIvEEiEE10hipError_tPvRmT2_T3_T4_T5_mT6_T7_P12ihipStream_tbENKUlT_T0_E_clISt17integral_constantIbLb0EESV_IbLb1EEEEDaSR_SS_EUlSR_E_NS1_11comp_targetILNS1_3genE4ELNS1_11target_archE910ELNS1_3gpuE8ELNS1_3repE0EEENS1_30default_config_static_selectorELNS0_4arch9wavefront6targetE0EEEvT1_ ; -- Begin function _ZN7rocprim17ROCPRIM_400000_NS6detail17trampoline_kernelINS0_14default_configENS1_27scan_by_key_config_selectorIiiEEZZNS1_16scan_by_key_implILNS1_25lookback_scan_determinismE0ELb1ES3_N6thrust23THRUST_200600_302600_NS10device_ptrIiEESB_SB_iNS9_4plusIvEENS9_8equal_toIvEEiEE10hipError_tPvRmT2_T3_T4_T5_mT6_T7_P12ihipStream_tbENKUlT_T0_E_clISt17integral_constantIbLb0EESV_IbLb1EEEEDaSR_SS_EUlSR_E_NS1_11comp_targetILNS1_3genE4ELNS1_11target_archE910ELNS1_3gpuE8ELNS1_3repE0EEENS1_30default_config_static_selectorELNS0_4arch9wavefront6targetE0EEEvT1_
	.globl	_ZN7rocprim17ROCPRIM_400000_NS6detail17trampoline_kernelINS0_14default_configENS1_27scan_by_key_config_selectorIiiEEZZNS1_16scan_by_key_implILNS1_25lookback_scan_determinismE0ELb1ES3_N6thrust23THRUST_200600_302600_NS10device_ptrIiEESB_SB_iNS9_4plusIvEENS9_8equal_toIvEEiEE10hipError_tPvRmT2_T3_T4_T5_mT6_T7_P12ihipStream_tbENKUlT_T0_E_clISt17integral_constantIbLb0EESV_IbLb1EEEEDaSR_SS_EUlSR_E_NS1_11comp_targetILNS1_3genE4ELNS1_11target_archE910ELNS1_3gpuE8ELNS1_3repE0EEENS1_30default_config_static_selectorELNS0_4arch9wavefront6targetE0EEEvT1_
	.p2align	8
	.type	_ZN7rocprim17ROCPRIM_400000_NS6detail17trampoline_kernelINS0_14default_configENS1_27scan_by_key_config_selectorIiiEEZZNS1_16scan_by_key_implILNS1_25lookback_scan_determinismE0ELb1ES3_N6thrust23THRUST_200600_302600_NS10device_ptrIiEESB_SB_iNS9_4plusIvEENS9_8equal_toIvEEiEE10hipError_tPvRmT2_T3_T4_T5_mT6_T7_P12ihipStream_tbENKUlT_T0_E_clISt17integral_constantIbLb0EESV_IbLb1EEEEDaSR_SS_EUlSR_E_NS1_11comp_targetILNS1_3genE4ELNS1_11target_archE910ELNS1_3gpuE8ELNS1_3repE0EEENS1_30default_config_static_selectorELNS0_4arch9wavefront6targetE0EEEvT1_,@function
_ZN7rocprim17ROCPRIM_400000_NS6detail17trampoline_kernelINS0_14default_configENS1_27scan_by_key_config_selectorIiiEEZZNS1_16scan_by_key_implILNS1_25lookback_scan_determinismE0ELb1ES3_N6thrust23THRUST_200600_302600_NS10device_ptrIiEESB_SB_iNS9_4plusIvEENS9_8equal_toIvEEiEE10hipError_tPvRmT2_T3_T4_T5_mT6_T7_P12ihipStream_tbENKUlT_T0_E_clISt17integral_constantIbLb0EESV_IbLb1EEEEDaSR_SS_EUlSR_E_NS1_11comp_targetILNS1_3genE4ELNS1_11target_archE910ELNS1_3gpuE8ELNS1_3repE0EEENS1_30default_config_static_selectorELNS0_4arch9wavefront6targetE0EEEvT1_: ; @_ZN7rocprim17ROCPRIM_400000_NS6detail17trampoline_kernelINS0_14default_configENS1_27scan_by_key_config_selectorIiiEEZZNS1_16scan_by_key_implILNS1_25lookback_scan_determinismE0ELb1ES3_N6thrust23THRUST_200600_302600_NS10device_ptrIiEESB_SB_iNS9_4plusIvEENS9_8equal_toIvEEiEE10hipError_tPvRmT2_T3_T4_T5_mT6_T7_P12ihipStream_tbENKUlT_T0_E_clISt17integral_constantIbLb0EESV_IbLb1EEEEDaSR_SS_EUlSR_E_NS1_11comp_targetILNS1_3genE4ELNS1_11target_archE910ELNS1_3gpuE8ELNS1_3repE0EEENS1_30default_config_static_selectorELNS0_4arch9wavefront6targetE0EEEvT1_
; %bb.0:
	.section	.rodata,"a",@progbits
	.p2align	6, 0x0
	.amdhsa_kernel _ZN7rocprim17ROCPRIM_400000_NS6detail17trampoline_kernelINS0_14default_configENS1_27scan_by_key_config_selectorIiiEEZZNS1_16scan_by_key_implILNS1_25lookback_scan_determinismE0ELb1ES3_N6thrust23THRUST_200600_302600_NS10device_ptrIiEESB_SB_iNS9_4plusIvEENS9_8equal_toIvEEiEE10hipError_tPvRmT2_T3_T4_T5_mT6_T7_P12ihipStream_tbENKUlT_T0_E_clISt17integral_constantIbLb0EESV_IbLb1EEEEDaSR_SS_EUlSR_E_NS1_11comp_targetILNS1_3genE4ELNS1_11target_archE910ELNS1_3gpuE8ELNS1_3repE0EEENS1_30default_config_static_selectorELNS0_4arch9wavefront6targetE0EEEvT1_
		.amdhsa_group_segment_fixed_size 0
		.amdhsa_private_segment_fixed_size 0
		.amdhsa_kernarg_size 112
		.amdhsa_user_sgpr_count 6
		.amdhsa_user_sgpr_private_segment_buffer 1
		.amdhsa_user_sgpr_dispatch_ptr 0
		.amdhsa_user_sgpr_queue_ptr 0
		.amdhsa_user_sgpr_kernarg_segment_ptr 1
		.amdhsa_user_sgpr_dispatch_id 0
		.amdhsa_user_sgpr_flat_scratch_init 0
		.amdhsa_user_sgpr_private_segment_size 0
		.amdhsa_wavefront_size32 1
		.amdhsa_uses_dynamic_stack 0
		.amdhsa_system_sgpr_private_segment_wavefront_offset 0
		.amdhsa_system_sgpr_workgroup_id_x 1
		.amdhsa_system_sgpr_workgroup_id_y 0
		.amdhsa_system_sgpr_workgroup_id_z 0
		.amdhsa_system_sgpr_workgroup_info 0
		.amdhsa_system_vgpr_workitem_id 0
		.amdhsa_next_free_vgpr 1
		.amdhsa_next_free_sgpr 1
		.amdhsa_reserve_vcc 0
		.amdhsa_reserve_flat_scratch 0
		.amdhsa_float_round_mode_32 0
		.amdhsa_float_round_mode_16_64 0
		.amdhsa_float_denorm_mode_32 3
		.amdhsa_float_denorm_mode_16_64 3
		.amdhsa_dx10_clamp 1
		.amdhsa_ieee_mode 1
		.amdhsa_fp16_overflow 0
		.amdhsa_workgroup_processor_mode 1
		.amdhsa_memory_ordered 1
		.amdhsa_forward_progress 1
		.amdhsa_shared_vgpr_count 0
		.amdhsa_exception_fp_ieee_invalid_op 0
		.amdhsa_exception_fp_denorm_src 0
		.amdhsa_exception_fp_ieee_div_zero 0
		.amdhsa_exception_fp_ieee_overflow 0
		.amdhsa_exception_fp_ieee_underflow 0
		.amdhsa_exception_fp_ieee_inexact 0
		.amdhsa_exception_int_div_zero 0
	.end_amdhsa_kernel
	.section	.text._ZN7rocprim17ROCPRIM_400000_NS6detail17trampoline_kernelINS0_14default_configENS1_27scan_by_key_config_selectorIiiEEZZNS1_16scan_by_key_implILNS1_25lookback_scan_determinismE0ELb1ES3_N6thrust23THRUST_200600_302600_NS10device_ptrIiEESB_SB_iNS9_4plusIvEENS9_8equal_toIvEEiEE10hipError_tPvRmT2_T3_T4_T5_mT6_T7_P12ihipStream_tbENKUlT_T0_E_clISt17integral_constantIbLb0EESV_IbLb1EEEEDaSR_SS_EUlSR_E_NS1_11comp_targetILNS1_3genE4ELNS1_11target_archE910ELNS1_3gpuE8ELNS1_3repE0EEENS1_30default_config_static_selectorELNS0_4arch9wavefront6targetE0EEEvT1_,"axG",@progbits,_ZN7rocprim17ROCPRIM_400000_NS6detail17trampoline_kernelINS0_14default_configENS1_27scan_by_key_config_selectorIiiEEZZNS1_16scan_by_key_implILNS1_25lookback_scan_determinismE0ELb1ES3_N6thrust23THRUST_200600_302600_NS10device_ptrIiEESB_SB_iNS9_4plusIvEENS9_8equal_toIvEEiEE10hipError_tPvRmT2_T3_T4_T5_mT6_T7_P12ihipStream_tbENKUlT_T0_E_clISt17integral_constantIbLb0EESV_IbLb1EEEEDaSR_SS_EUlSR_E_NS1_11comp_targetILNS1_3genE4ELNS1_11target_archE910ELNS1_3gpuE8ELNS1_3repE0EEENS1_30default_config_static_selectorELNS0_4arch9wavefront6targetE0EEEvT1_,comdat
.Lfunc_end2263:
	.size	_ZN7rocprim17ROCPRIM_400000_NS6detail17trampoline_kernelINS0_14default_configENS1_27scan_by_key_config_selectorIiiEEZZNS1_16scan_by_key_implILNS1_25lookback_scan_determinismE0ELb1ES3_N6thrust23THRUST_200600_302600_NS10device_ptrIiEESB_SB_iNS9_4plusIvEENS9_8equal_toIvEEiEE10hipError_tPvRmT2_T3_T4_T5_mT6_T7_P12ihipStream_tbENKUlT_T0_E_clISt17integral_constantIbLb0EESV_IbLb1EEEEDaSR_SS_EUlSR_E_NS1_11comp_targetILNS1_3genE4ELNS1_11target_archE910ELNS1_3gpuE8ELNS1_3repE0EEENS1_30default_config_static_selectorELNS0_4arch9wavefront6targetE0EEEvT1_, .Lfunc_end2263-_ZN7rocprim17ROCPRIM_400000_NS6detail17trampoline_kernelINS0_14default_configENS1_27scan_by_key_config_selectorIiiEEZZNS1_16scan_by_key_implILNS1_25lookback_scan_determinismE0ELb1ES3_N6thrust23THRUST_200600_302600_NS10device_ptrIiEESB_SB_iNS9_4plusIvEENS9_8equal_toIvEEiEE10hipError_tPvRmT2_T3_T4_T5_mT6_T7_P12ihipStream_tbENKUlT_T0_E_clISt17integral_constantIbLb0EESV_IbLb1EEEEDaSR_SS_EUlSR_E_NS1_11comp_targetILNS1_3genE4ELNS1_11target_archE910ELNS1_3gpuE8ELNS1_3repE0EEENS1_30default_config_static_selectorELNS0_4arch9wavefront6targetE0EEEvT1_
                                        ; -- End function
	.set _ZN7rocprim17ROCPRIM_400000_NS6detail17trampoline_kernelINS0_14default_configENS1_27scan_by_key_config_selectorIiiEEZZNS1_16scan_by_key_implILNS1_25lookback_scan_determinismE0ELb1ES3_N6thrust23THRUST_200600_302600_NS10device_ptrIiEESB_SB_iNS9_4plusIvEENS9_8equal_toIvEEiEE10hipError_tPvRmT2_T3_T4_T5_mT6_T7_P12ihipStream_tbENKUlT_T0_E_clISt17integral_constantIbLb0EESV_IbLb1EEEEDaSR_SS_EUlSR_E_NS1_11comp_targetILNS1_3genE4ELNS1_11target_archE910ELNS1_3gpuE8ELNS1_3repE0EEENS1_30default_config_static_selectorELNS0_4arch9wavefront6targetE0EEEvT1_.num_vgpr, 0
	.set _ZN7rocprim17ROCPRIM_400000_NS6detail17trampoline_kernelINS0_14default_configENS1_27scan_by_key_config_selectorIiiEEZZNS1_16scan_by_key_implILNS1_25lookback_scan_determinismE0ELb1ES3_N6thrust23THRUST_200600_302600_NS10device_ptrIiEESB_SB_iNS9_4plusIvEENS9_8equal_toIvEEiEE10hipError_tPvRmT2_T3_T4_T5_mT6_T7_P12ihipStream_tbENKUlT_T0_E_clISt17integral_constantIbLb0EESV_IbLb1EEEEDaSR_SS_EUlSR_E_NS1_11comp_targetILNS1_3genE4ELNS1_11target_archE910ELNS1_3gpuE8ELNS1_3repE0EEENS1_30default_config_static_selectorELNS0_4arch9wavefront6targetE0EEEvT1_.num_agpr, 0
	.set _ZN7rocprim17ROCPRIM_400000_NS6detail17trampoline_kernelINS0_14default_configENS1_27scan_by_key_config_selectorIiiEEZZNS1_16scan_by_key_implILNS1_25lookback_scan_determinismE0ELb1ES3_N6thrust23THRUST_200600_302600_NS10device_ptrIiEESB_SB_iNS9_4plusIvEENS9_8equal_toIvEEiEE10hipError_tPvRmT2_T3_T4_T5_mT6_T7_P12ihipStream_tbENKUlT_T0_E_clISt17integral_constantIbLb0EESV_IbLb1EEEEDaSR_SS_EUlSR_E_NS1_11comp_targetILNS1_3genE4ELNS1_11target_archE910ELNS1_3gpuE8ELNS1_3repE0EEENS1_30default_config_static_selectorELNS0_4arch9wavefront6targetE0EEEvT1_.numbered_sgpr, 0
	.set _ZN7rocprim17ROCPRIM_400000_NS6detail17trampoline_kernelINS0_14default_configENS1_27scan_by_key_config_selectorIiiEEZZNS1_16scan_by_key_implILNS1_25lookback_scan_determinismE0ELb1ES3_N6thrust23THRUST_200600_302600_NS10device_ptrIiEESB_SB_iNS9_4plusIvEENS9_8equal_toIvEEiEE10hipError_tPvRmT2_T3_T4_T5_mT6_T7_P12ihipStream_tbENKUlT_T0_E_clISt17integral_constantIbLb0EESV_IbLb1EEEEDaSR_SS_EUlSR_E_NS1_11comp_targetILNS1_3genE4ELNS1_11target_archE910ELNS1_3gpuE8ELNS1_3repE0EEENS1_30default_config_static_selectorELNS0_4arch9wavefront6targetE0EEEvT1_.num_named_barrier, 0
	.set _ZN7rocprim17ROCPRIM_400000_NS6detail17trampoline_kernelINS0_14default_configENS1_27scan_by_key_config_selectorIiiEEZZNS1_16scan_by_key_implILNS1_25lookback_scan_determinismE0ELb1ES3_N6thrust23THRUST_200600_302600_NS10device_ptrIiEESB_SB_iNS9_4plusIvEENS9_8equal_toIvEEiEE10hipError_tPvRmT2_T3_T4_T5_mT6_T7_P12ihipStream_tbENKUlT_T0_E_clISt17integral_constantIbLb0EESV_IbLb1EEEEDaSR_SS_EUlSR_E_NS1_11comp_targetILNS1_3genE4ELNS1_11target_archE910ELNS1_3gpuE8ELNS1_3repE0EEENS1_30default_config_static_selectorELNS0_4arch9wavefront6targetE0EEEvT1_.private_seg_size, 0
	.set _ZN7rocprim17ROCPRIM_400000_NS6detail17trampoline_kernelINS0_14default_configENS1_27scan_by_key_config_selectorIiiEEZZNS1_16scan_by_key_implILNS1_25lookback_scan_determinismE0ELb1ES3_N6thrust23THRUST_200600_302600_NS10device_ptrIiEESB_SB_iNS9_4plusIvEENS9_8equal_toIvEEiEE10hipError_tPvRmT2_T3_T4_T5_mT6_T7_P12ihipStream_tbENKUlT_T0_E_clISt17integral_constantIbLb0EESV_IbLb1EEEEDaSR_SS_EUlSR_E_NS1_11comp_targetILNS1_3genE4ELNS1_11target_archE910ELNS1_3gpuE8ELNS1_3repE0EEENS1_30default_config_static_selectorELNS0_4arch9wavefront6targetE0EEEvT1_.uses_vcc, 0
	.set _ZN7rocprim17ROCPRIM_400000_NS6detail17trampoline_kernelINS0_14default_configENS1_27scan_by_key_config_selectorIiiEEZZNS1_16scan_by_key_implILNS1_25lookback_scan_determinismE0ELb1ES3_N6thrust23THRUST_200600_302600_NS10device_ptrIiEESB_SB_iNS9_4plusIvEENS9_8equal_toIvEEiEE10hipError_tPvRmT2_T3_T4_T5_mT6_T7_P12ihipStream_tbENKUlT_T0_E_clISt17integral_constantIbLb0EESV_IbLb1EEEEDaSR_SS_EUlSR_E_NS1_11comp_targetILNS1_3genE4ELNS1_11target_archE910ELNS1_3gpuE8ELNS1_3repE0EEENS1_30default_config_static_selectorELNS0_4arch9wavefront6targetE0EEEvT1_.uses_flat_scratch, 0
	.set _ZN7rocprim17ROCPRIM_400000_NS6detail17trampoline_kernelINS0_14default_configENS1_27scan_by_key_config_selectorIiiEEZZNS1_16scan_by_key_implILNS1_25lookback_scan_determinismE0ELb1ES3_N6thrust23THRUST_200600_302600_NS10device_ptrIiEESB_SB_iNS9_4plusIvEENS9_8equal_toIvEEiEE10hipError_tPvRmT2_T3_T4_T5_mT6_T7_P12ihipStream_tbENKUlT_T0_E_clISt17integral_constantIbLb0EESV_IbLb1EEEEDaSR_SS_EUlSR_E_NS1_11comp_targetILNS1_3genE4ELNS1_11target_archE910ELNS1_3gpuE8ELNS1_3repE0EEENS1_30default_config_static_selectorELNS0_4arch9wavefront6targetE0EEEvT1_.has_dyn_sized_stack, 0
	.set _ZN7rocprim17ROCPRIM_400000_NS6detail17trampoline_kernelINS0_14default_configENS1_27scan_by_key_config_selectorIiiEEZZNS1_16scan_by_key_implILNS1_25lookback_scan_determinismE0ELb1ES3_N6thrust23THRUST_200600_302600_NS10device_ptrIiEESB_SB_iNS9_4plusIvEENS9_8equal_toIvEEiEE10hipError_tPvRmT2_T3_T4_T5_mT6_T7_P12ihipStream_tbENKUlT_T0_E_clISt17integral_constantIbLb0EESV_IbLb1EEEEDaSR_SS_EUlSR_E_NS1_11comp_targetILNS1_3genE4ELNS1_11target_archE910ELNS1_3gpuE8ELNS1_3repE0EEENS1_30default_config_static_selectorELNS0_4arch9wavefront6targetE0EEEvT1_.has_recursion, 0
	.set _ZN7rocprim17ROCPRIM_400000_NS6detail17trampoline_kernelINS0_14default_configENS1_27scan_by_key_config_selectorIiiEEZZNS1_16scan_by_key_implILNS1_25lookback_scan_determinismE0ELb1ES3_N6thrust23THRUST_200600_302600_NS10device_ptrIiEESB_SB_iNS9_4plusIvEENS9_8equal_toIvEEiEE10hipError_tPvRmT2_T3_T4_T5_mT6_T7_P12ihipStream_tbENKUlT_T0_E_clISt17integral_constantIbLb0EESV_IbLb1EEEEDaSR_SS_EUlSR_E_NS1_11comp_targetILNS1_3genE4ELNS1_11target_archE910ELNS1_3gpuE8ELNS1_3repE0EEENS1_30default_config_static_selectorELNS0_4arch9wavefront6targetE0EEEvT1_.has_indirect_call, 0
	.section	.AMDGPU.csdata,"",@progbits
; Kernel info:
; codeLenInByte = 0
; TotalNumSgprs: 0
; NumVgprs: 0
; ScratchSize: 0
; MemoryBound: 0
; FloatMode: 240
; IeeeMode: 1
; LDSByteSize: 0 bytes/workgroup (compile time only)
; SGPRBlocks: 0
; VGPRBlocks: 0
; NumSGPRsForWavesPerEU: 1
; NumVGPRsForWavesPerEU: 1
; Occupancy: 16
; WaveLimiterHint : 0
; COMPUTE_PGM_RSRC2:SCRATCH_EN: 0
; COMPUTE_PGM_RSRC2:USER_SGPR: 6
; COMPUTE_PGM_RSRC2:TRAP_HANDLER: 0
; COMPUTE_PGM_RSRC2:TGID_X_EN: 1
; COMPUTE_PGM_RSRC2:TGID_Y_EN: 0
; COMPUTE_PGM_RSRC2:TGID_Z_EN: 0
; COMPUTE_PGM_RSRC2:TIDIG_COMP_CNT: 0
	.section	.text._ZN7rocprim17ROCPRIM_400000_NS6detail17trampoline_kernelINS0_14default_configENS1_27scan_by_key_config_selectorIiiEEZZNS1_16scan_by_key_implILNS1_25lookback_scan_determinismE0ELb1ES3_N6thrust23THRUST_200600_302600_NS10device_ptrIiEESB_SB_iNS9_4plusIvEENS9_8equal_toIvEEiEE10hipError_tPvRmT2_T3_T4_T5_mT6_T7_P12ihipStream_tbENKUlT_T0_E_clISt17integral_constantIbLb0EESV_IbLb1EEEEDaSR_SS_EUlSR_E_NS1_11comp_targetILNS1_3genE3ELNS1_11target_archE908ELNS1_3gpuE7ELNS1_3repE0EEENS1_30default_config_static_selectorELNS0_4arch9wavefront6targetE0EEEvT1_,"axG",@progbits,_ZN7rocprim17ROCPRIM_400000_NS6detail17trampoline_kernelINS0_14default_configENS1_27scan_by_key_config_selectorIiiEEZZNS1_16scan_by_key_implILNS1_25lookback_scan_determinismE0ELb1ES3_N6thrust23THRUST_200600_302600_NS10device_ptrIiEESB_SB_iNS9_4plusIvEENS9_8equal_toIvEEiEE10hipError_tPvRmT2_T3_T4_T5_mT6_T7_P12ihipStream_tbENKUlT_T0_E_clISt17integral_constantIbLb0EESV_IbLb1EEEEDaSR_SS_EUlSR_E_NS1_11comp_targetILNS1_3genE3ELNS1_11target_archE908ELNS1_3gpuE7ELNS1_3repE0EEENS1_30default_config_static_selectorELNS0_4arch9wavefront6targetE0EEEvT1_,comdat
	.protected	_ZN7rocprim17ROCPRIM_400000_NS6detail17trampoline_kernelINS0_14default_configENS1_27scan_by_key_config_selectorIiiEEZZNS1_16scan_by_key_implILNS1_25lookback_scan_determinismE0ELb1ES3_N6thrust23THRUST_200600_302600_NS10device_ptrIiEESB_SB_iNS9_4plusIvEENS9_8equal_toIvEEiEE10hipError_tPvRmT2_T3_T4_T5_mT6_T7_P12ihipStream_tbENKUlT_T0_E_clISt17integral_constantIbLb0EESV_IbLb1EEEEDaSR_SS_EUlSR_E_NS1_11comp_targetILNS1_3genE3ELNS1_11target_archE908ELNS1_3gpuE7ELNS1_3repE0EEENS1_30default_config_static_selectorELNS0_4arch9wavefront6targetE0EEEvT1_ ; -- Begin function _ZN7rocprim17ROCPRIM_400000_NS6detail17trampoline_kernelINS0_14default_configENS1_27scan_by_key_config_selectorIiiEEZZNS1_16scan_by_key_implILNS1_25lookback_scan_determinismE0ELb1ES3_N6thrust23THRUST_200600_302600_NS10device_ptrIiEESB_SB_iNS9_4plusIvEENS9_8equal_toIvEEiEE10hipError_tPvRmT2_T3_T4_T5_mT6_T7_P12ihipStream_tbENKUlT_T0_E_clISt17integral_constantIbLb0EESV_IbLb1EEEEDaSR_SS_EUlSR_E_NS1_11comp_targetILNS1_3genE3ELNS1_11target_archE908ELNS1_3gpuE7ELNS1_3repE0EEENS1_30default_config_static_selectorELNS0_4arch9wavefront6targetE0EEEvT1_
	.globl	_ZN7rocprim17ROCPRIM_400000_NS6detail17trampoline_kernelINS0_14default_configENS1_27scan_by_key_config_selectorIiiEEZZNS1_16scan_by_key_implILNS1_25lookback_scan_determinismE0ELb1ES3_N6thrust23THRUST_200600_302600_NS10device_ptrIiEESB_SB_iNS9_4plusIvEENS9_8equal_toIvEEiEE10hipError_tPvRmT2_T3_T4_T5_mT6_T7_P12ihipStream_tbENKUlT_T0_E_clISt17integral_constantIbLb0EESV_IbLb1EEEEDaSR_SS_EUlSR_E_NS1_11comp_targetILNS1_3genE3ELNS1_11target_archE908ELNS1_3gpuE7ELNS1_3repE0EEENS1_30default_config_static_selectorELNS0_4arch9wavefront6targetE0EEEvT1_
	.p2align	8
	.type	_ZN7rocprim17ROCPRIM_400000_NS6detail17trampoline_kernelINS0_14default_configENS1_27scan_by_key_config_selectorIiiEEZZNS1_16scan_by_key_implILNS1_25lookback_scan_determinismE0ELb1ES3_N6thrust23THRUST_200600_302600_NS10device_ptrIiEESB_SB_iNS9_4plusIvEENS9_8equal_toIvEEiEE10hipError_tPvRmT2_T3_T4_T5_mT6_T7_P12ihipStream_tbENKUlT_T0_E_clISt17integral_constantIbLb0EESV_IbLb1EEEEDaSR_SS_EUlSR_E_NS1_11comp_targetILNS1_3genE3ELNS1_11target_archE908ELNS1_3gpuE7ELNS1_3repE0EEENS1_30default_config_static_selectorELNS0_4arch9wavefront6targetE0EEEvT1_,@function
_ZN7rocprim17ROCPRIM_400000_NS6detail17trampoline_kernelINS0_14default_configENS1_27scan_by_key_config_selectorIiiEEZZNS1_16scan_by_key_implILNS1_25lookback_scan_determinismE0ELb1ES3_N6thrust23THRUST_200600_302600_NS10device_ptrIiEESB_SB_iNS9_4plusIvEENS9_8equal_toIvEEiEE10hipError_tPvRmT2_T3_T4_T5_mT6_T7_P12ihipStream_tbENKUlT_T0_E_clISt17integral_constantIbLb0EESV_IbLb1EEEEDaSR_SS_EUlSR_E_NS1_11comp_targetILNS1_3genE3ELNS1_11target_archE908ELNS1_3gpuE7ELNS1_3repE0EEENS1_30default_config_static_selectorELNS0_4arch9wavefront6targetE0EEEvT1_: ; @_ZN7rocprim17ROCPRIM_400000_NS6detail17trampoline_kernelINS0_14default_configENS1_27scan_by_key_config_selectorIiiEEZZNS1_16scan_by_key_implILNS1_25lookback_scan_determinismE0ELb1ES3_N6thrust23THRUST_200600_302600_NS10device_ptrIiEESB_SB_iNS9_4plusIvEENS9_8equal_toIvEEiEE10hipError_tPvRmT2_T3_T4_T5_mT6_T7_P12ihipStream_tbENKUlT_T0_E_clISt17integral_constantIbLb0EESV_IbLb1EEEEDaSR_SS_EUlSR_E_NS1_11comp_targetILNS1_3genE3ELNS1_11target_archE908ELNS1_3gpuE7ELNS1_3repE0EEENS1_30default_config_static_selectorELNS0_4arch9wavefront6targetE0EEEvT1_
; %bb.0:
	.section	.rodata,"a",@progbits
	.p2align	6, 0x0
	.amdhsa_kernel _ZN7rocprim17ROCPRIM_400000_NS6detail17trampoline_kernelINS0_14default_configENS1_27scan_by_key_config_selectorIiiEEZZNS1_16scan_by_key_implILNS1_25lookback_scan_determinismE0ELb1ES3_N6thrust23THRUST_200600_302600_NS10device_ptrIiEESB_SB_iNS9_4plusIvEENS9_8equal_toIvEEiEE10hipError_tPvRmT2_T3_T4_T5_mT6_T7_P12ihipStream_tbENKUlT_T0_E_clISt17integral_constantIbLb0EESV_IbLb1EEEEDaSR_SS_EUlSR_E_NS1_11comp_targetILNS1_3genE3ELNS1_11target_archE908ELNS1_3gpuE7ELNS1_3repE0EEENS1_30default_config_static_selectorELNS0_4arch9wavefront6targetE0EEEvT1_
		.amdhsa_group_segment_fixed_size 0
		.amdhsa_private_segment_fixed_size 0
		.amdhsa_kernarg_size 112
		.amdhsa_user_sgpr_count 6
		.amdhsa_user_sgpr_private_segment_buffer 1
		.amdhsa_user_sgpr_dispatch_ptr 0
		.amdhsa_user_sgpr_queue_ptr 0
		.amdhsa_user_sgpr_kernarg_segment_ptr 1
		.amdhsa_user_sgpr_dispatch_id 0
		.amdhsa_user_sgpr_flat_scratch_init 0
		.amdhsa_user_sgpr_private_segment_size 0
		.amdhsa_wavefront_size32 1
		.amdhsa_uses_dynamic_stack 0
		.amdhsa_system_sgpr_private_segment_wavefront_offset 0
		.amdhsa_system_sgpr_workgroup_id_x 1
		.amdhsa_system_sgpr_workgroup_id_y 0
		.amdhsa_system_sgpr_workgroup_id_z 0
		.amdhsa_system_sgpr_workgroup_info 0
		.amdhsa_system_vgpr_workitem_id 0
		.amdhsa_next_free_vgpr 1
		.amdhsa_next_free_sgpr 1
		.amdhsa_reserve_vcc 0
		.amdhsa_reserve_flat_scratch 0
		.amdhsa_float_round_mode_32 0
		.amdhsa_float_round_mode_16_64 0
		.amdhsa_float_denorm_mode_32 3
		.amdhsa_float_denorm_mode_16_64 3
		.amdhsa_dx10_clamp 1
		.amdhsa_ieee_mode 1
		.amdhsa_fp16_overflow 0
		.amdhsa_workgroup_processor_mode 1
		.amdhsa_memory_ordered 1
		.amdhsa_forward_progress 1
		.amdhsa_shared_vgpr_count 0
		.amdhsa_exception_fp_ieee_invalid_op 0
		.amdhsa_exception_fp_denorm_src 0
		.amdhsa_exception_fp_ieee_div_zero 0
		.amdhsa_exception_fp_ieee_overflow 0
		.amdhsa_exception_fp_ieee_underflow 0
		.amdhsa_exception_fp_ieee_inexact 0
		.amdhsa_exception_int_div_zero 0
	.end_amdhsa_kernel
	.section	.text._ZN7rocprim17ROCPRIM_400000_NS6detail17trampoline_kernelINS0_14default_configENS1_27scan_by_key_config_selectorIiiEEZZNS1_16scan_by_key_implILNS1_25lookback_scan_determinismE0ELb1ES3_N6thrust23THRUST_200600_302600_NS10device_ptrIiEESB_SB_iNS9_4plusIvEENS9_8equal_toIvEEiEE10hipError_tPvRmT2_T3_T4_T5_mT6_T7_P12ihipStream_tbENKUlT_T0_E_clISt17integral_constantIbLb0EESV_IbLb1EEEEDaSR_SS_EUlSR_E_NS1_11comp_targetILNS1_3genE3ELNS1_11target_archE908ELNS1_3gpuE7ELNS1_3repE0EEENS1_30default_config_static_selectorELNS0_4arch9wavefront6targetE0EEEvT1_,"axG",@progbits,_ZN7rocprim17ROCPRIM_400000_NS6detail17trampoline_kernelINS0_14default_configENS1_27scan_by_key_config_selectorIiiEEZZNS1_16scan_by_key_implILNS1_25lookback_scan_determinismE0ELb1ES3_N6thrust23THRUST_200600_302600_NS10device_ptrIiEESB_SB_iNS9_4plusIvEENS9_8equal_toIvEEiEE10hipError_tPvRmT2_T3_T4_T5_mT6_T7_P12ihipStream_tbENKUlT_T0_E_clISt17integral_constantIbLb0EESV_IbLb1EEEEDaSR_SS_EUlSR_E_NS1_11comp_targetILNS1_3genE3ELNS1_11target_archE908ELNS1_3gpuE7ELNS1_3repE0EEENS1_30default_config_static_selectorELNS0_4arch9wavefront6targetE0EEEvT1_,comdat
.Lfunc_end2264:
	.size	_ZN7rocprim17ROCPRIM_400000_NS6detail17trampoline_kernelINS0_14default_configENS1_27scan_by_key_config_selectorIiiEEZZNS1_16scan_by_key_implILNS1_25lookback_scan_determinismE0ELb1ES3_N6thrust23THRUST_200600_302600_NS10device_ptrIiEESB_SB_iNS9_4plusIvEENS9_8equal_toIvEEiEE10hipError_tPvRmT2_T3_T4_T5_mT6_T7_P12ihipStream_tbENKUlT_T0_E_clISt17integral_constantIbLb0EESV_IbLb1EEEEDaSR_SS_EUlSR_E_NS1_11comp_targetILNS1_3genE3ELNS1_11target_archE908ELNS1_3gpuE7ELNS1_3repE0EEENS1_30default_config_static_selectorELNS0_4arch9wavefront6targetE0EEEvT1_, .Lfunc_end2264-_ZN7rocprim17ROCPRIM_400000_NS6detail17trampoline_kernelINS0_14default_configENS1_27scan_by_key_config_selectorIiiEEZZNS1_16scan_by_key_implILNS1_25lookback_scan_determinismE0ELb1ES3_N6thrust23THRUST_200600_302600_NS10device_ptrIiEESB_SB_iNS9_4plusIvEENS9_8equal_toIvEEiEE10hipError_tPvRmT2_T3_T4_T5_mT6_T7_P12ihipStream_tbENKUlT_T0_E_clISt17integral_constantIbLb0EESV_IbLb1EEEEDaSR_SS_EUlSR_E_NS1_11comp_targetILNS1_3genE3ELNS1_11target_archE908ELNS1_3gpuE7ELNS1_3repE0EEENS1_30default_config_static_selectorELNS0_4arch9wavefront6targetE0EEEvT1_
                                        ; -- End function
	.set _ZN7rocprim17ROCPRIM_400000_NS6detail17trampoline_kernelINS0_14default_configENS1_27scan_by_key_config_selectorIiiEEZZNS1_16scan_by_key_implILNS1_25lookback_scan_determinismE0ELb1ES3_N6thrust23THRUST_200600_302600_NS10device_ptrIiEESB_SB_iNS9_4plusIvEENS9_8equal_toIvEEiEE10hipError_tPvRmT2_T3_T4_T5_mT6_T7_P12ihipStream_tbENKUlT_T0_E_clISt17integral_constantIbLb0EESV_IbLb1EEEEDaSR_SS_EUlSR_E_NS1_11comp_targetILNS1_3genE3ELNS1_11target_archE908ELNS1_3gpuE7ELNS1_3repE0EEENS1_30default_config_static_selectorELNS0_4arch9wavefront6targetE0EEEvT1_.num_vgpr, 0
	.set _ZN7rocprim17ROCPRIM_400000_NS6detail17trampoline_kernelINS0_14default_configENS1_27scan_by_key_config_selectorIiiEEZZNS1_16scan_by_key_implILNS1_25lookback_scan_determinismE0ELb1ES3_N6thrust23THRUST_200600_302600_NS10device_ptrIiEESB_SB_iNS9_4plusIvEENS9_8equal_toIvEEiEE10hipError_tPvRmT2_T3_T4_T5_mT6_T7_P12ihipStream_tbENKUlT_T0_E_clISt17integral_constantIbLb0EESV_IbLb1EEEEDaSR_SS_EUlSR_E_NS1_11comp_targetILNS1_3genE3ELNS1_11target_archE908ELNS1_3gpuE7ELNS1_3repE0EEENS1_30default_config_static_selectorELNS0_4arch9wavefront6targetE0EEEvT1_.num_agpr, 0
	.set _ZN7rocprim17ROCPRIM_400000_NS6detail17trampoline_kernelINS0_14default_configENS1_27scan_by_key_config_selectorIiiEEZZNS1_16scan_by_key_implILNS1_25lookback_scan_determinismE0ELb1ES3_N6thrust23THRUST_200600_302600_NS10device_ptrIiEESB_SB_iNS9_4plusIvEENS9_8equal_toIvEEiEE10hipError_tPvRmT2_T3_T4_T5_mT6_T7_P12ihipStream_tbENKUlT_T0_E_clISt17integral_constantIbLb0EESV_IbLb1EEEEDaSR_SS_EUlSR_E_NS1_11comp_targetILNS1_3genE3ELNS1_11target_archE908ELNS1_3gpuE7ELNS1_3repE0EEENS1_30default_config_static_selectorELNS0_4arch9wavefront6targetE0EEEvT1_.numbered_sgpr, 0
	.set _ZN7rocprim17ROCPRIM_400000_NS6detail17trampoline_kernelINS0_14default_configENS1_27scan_by_key_config_selectorIiiEEZZNS1_16scan_by_key_implILNS1_25lookback_scan_determinismE0ELb1ES3_N6thrust23THRUST_200600_302600_NS10device_ptrIiEESB_SB_iNS9_4plusIvEENS9_8equal_toIvEEiEE10hipError_tPvRmT2_T3_T4_T5_mT6_T7_P12ihipStream_tbENKUlT_T0_E_clISt17integral_constantIbLb0EESV_IbLb1EEEEDaSR_SS_EUlSR_E_NS1_11comp_targetILNS1_3genE3ELNS1_11target_archE908ELNS1_3gpuE7ELNS1_3repE0EEENS1_30default_config_static_selectorELNS0_4arch9wavefront6targetE0EEEvT1_.num_named_barrier, 0
	.set _ZN7rocprim17ROCPRIM_400000_NS6detail17trampoline_kernelINS0_14default_configENS1_27scan_by_key_config_selectorIiiEEZZNS1_16scan_by_key_implILNS1_25lookback_scan_determinismE0ELb1ES3_N6thrust23THRUST_200600_302600_NS10device_ptrIiEESB_SB_iNS9_4plusIvEENS9_8equal_toIvEEiEE10hipError_tPvRmT2_T3_T4_T5_mT6_T7_P12ihipStream_tbENKUlT_T0_E_clISt17integral_constantIbLb0EESV_IbLb1EEEEDaSR_SS_EUlSR_E_NS1_11comp_targetILNS1_3genE3ELNS1_11target_archE908ELNS1_3gpuE7ELNS1_3repE0EEENS1_30default_config_static_selectorELNS0_4arch9wavefront6targetE0EEEvT1_.private_seg_size, 0
	.set _ZN7rocprim17ROCPRIM_400000_NS6detail17trampoline_kernelINS0_14default_configENS1_27scan_by_key_config_selectorIiiEEZZNS1_16scan_by_key_implILNS1_25lookback_scan_determinismE0ELb1ES3_N6thrust23THRUST_200600_302600_NS10device_ptrIiEESB_SB_iNS9_4plusIvEENS9_8equal_toIvEEiEE10hipError_tPvRmT2_T3_T4_T5_mT6_T7_P12ihipStream_tbENKUlT_T0_E_clISt17integral_constantIbLb0EESV_IbLb1EEEEDaSR_SS_EUlSR_E_NS1_11comp_targetILNS1_3genE3ELNS1_11target_archE908ELNS1_3gpuE7ELNS1_3repE0EEENS1_30default_config_static_selectorELNS0_4arch9wavefront6targetE0EEEvT1_.uses_vcc, 0
	.set _ZN7rocprim17ROCPRIM_400000_NS6detail17trampoline_kernelINS0_14default_configENS1_27scan_by_key_config_selectorIiiEEZZNS1_16scan_by_key_implILNS1_25lookback_scan_determinismE0ELb1ES3_N6thrust23THRUST_200600_302600_NS10device_ptrIiEESB_SB_iNS9_4plusIvEENS9_8equal_toIvEEiEE10hipError_tPvRmT2_T3_T4_T5_mT6_T7_P12ihipStream_tbENKUlT_T0_E_clISt17integral_constantIbLb0EESV_IbLb1EEEEDaSR_SS_EUlSR_E_NS1_11comp_targetILNS1_3genE3ELNS1_11target_archE908ELNS1_3gpuE7ELNS1_3repE0EEENS1_30default_config_static_selectorELNS0_4arch9wavefront6targetE0EEEvT1_.uses_flat_scratch, 0
	.set _ZN7rocprim17ROCPRIM_400000_NS6detail17trampoline_kernelINS0_14default_configENS1_27scan_by_key_config_selectorIiiEEZZNS1_16scan_by_key_implILNS1_25lookback_scan_determinismE0ELb1ES3_N6thrust23THRUST_200600_302600_NS10device_ptrIiEESB_SB_iNS9_4plusIvEENS9_8equal_toIvEEiEE10hipError_tPvRmT2_T3_T4_T5_mT6_T7_P12ihipStream_tbENKUlT_T0_E_clISt17integral_constantIbLb0EESV_IbLb1EEEEDaSR_SS_EUlSR_E_NS1_11comp_targetILNS1_3genE3ELNS1_11target_archE908ELNS1_3gpuE7ELNS1_3repE0EEENS1_30default_config_static_selectorELNS0_4arch9wavefront6targetE0EEEvT1_.has_dyn_sized_stack, 0
	.set _ZN7rocprim17ROCPRIM_400000_NS6detail17trampoline_kernelINS0_14default_configENS1_27scan_by_key_config_selectorIiiEEZZNS1_16scan_by_key_implILNS1_25lookback_scan_determinismE0ELb1ES3_N6thrust23THRUST_200600_302600_NS10device_ptrIiEESB_SB_iNS9_4plusIvEENS9_8equal_toIvEEiEE10hipError_tPvRmT2_T3_T4_T5_mT6_T7_P12ihipStream_tbENKUlT_T0_E_clISt17integral_constantIbLb0EESV_IbLb1EEEEDaSR_SS_EUlSR_E_NS1_11comp_targetILNS1_3genE3ELNS1_11target_archE908ELNS1_3gpuE7ELNS1_3repE0EEENS1_30default_config_static_selectorELNS0_4arch9wavefront6targetE0EEEvT1_.has_recursion, 0
	.set _ZN7rocprim17ROCPRIM_400000_NS6detail17trampoline_kernelINS0_14default_configENS1_27scan_by_key_config_selectorIiiEEZZNS1_16scan_by_key_implILNS1_25lookback_scan_determinismE0ELb1ES3_N6thrust23THRUST_200600_302600_NS10device_ptrIiEESB_SB_iNS9_4plusIvEENS9_8equal_toIvEEiEE10hipError_tPvRmT2_T3_T4_T5_mT6_T7_P12ihipStream_tbENKUlT_T0_E_clISt17integral_constantIbLb0EESV_IbLb1EEEEDaSR_SS_EUlSR_E_NS1_11comp_targetILNS1_3genE3ELNS1_11target_archE908ELNS1_3gpuE7ELNS1_3repE0EEENS1_30default_config_static_selectorELNS0_4arch9wavefront6targetE0EEEvT1_.has_indirect_call, 0
	.section	.AMDGPU.csdata,"",@progbits
; Kernel info:
; codeLenInByte = 0
; TotalNumSgprs: 0
; NumVgprs: 0
; ScratchSize: 0
; MemoryBound: 0
; FloatMode: 240
; IeeeMode: 1
; LDSByteSize: 0 bytes/workgroup (compile time only)
; SGPRBlocks: 0
; VGPRBlocks: 0
; NumSGPRsForWavesPerEU: 1
; NumVGPRsForWavesPerEU: 1
; Occupancy: 16
; WaveLimiterHint : 0
; COMPUTE_PGM_RSRC2:SCRATCH_EN: 0
; COMPUTE_PGM_RSRC2:USER_SGPR: 6
; COMPUTE_PGM_RSRC2:TRAP_HANDLER: 0
; COMPUTE_PGM_RSRC2:TGID_X_EN: 1
; COMPUTE_PGM_RSRC2:TGID_Y_EN: 0
; COMPUTE_PGM_RSRC2:TGID_Z_EN: 0
; COMPUTE_PGM_RSRC2:TIDIG_COMP_CNT: 0
	.section	.text._ZN7rocprim17ROCPRIM_400000_NS6detail17trampoline_kernelINS0_14default_configENS1_27scan_by_key_config_selectorIiiEEZZNS1_16scan_by_key_implILNS1_25lookback_scan_determinismE0ELb1ES3_N6thrust23THRUST_200600_302600_NS10device_ptrIiEESB_SB_iNS9_4plusIvEENS9_8equal_toIvEEiEE10hipError_tPvRmT2_T3_T4_T5_mT6_T7_P12ihipStream_tbENKUlT_T0_E_clISt17integral_constantIbLb0EESV_IbLb1EEEEDaSR_SS_EUlSR_E_NS1_11comp_targetILNS1_3genE2ELNS1_11target_archE906ELNS1_3gpuE6ELNS1_3repE0EEENS1_30default_config_static_selectorELNS0_4arch9wavefront6targetE0EEEvT1_,"axG",@progbits,_ZN7rocprim17ROCPRIM_400000_NS6detail17trampoline_kernelINS0_14default_configENS1_27scan_by_key_config_selectorIiiEEZZNS1_16scan_by_key_implILNS1_25lookback_scan_determinismE0ELb1ES3_N6thrust23THRUST_200600_302600_NS10device_ptrIiEESB_SB_iNS9_4plusIvEENS9_8equal_toIvEEiEE10hipError_tPvRmT2_T3_T4_T5_mT6_T7_P12ihipStream_tbENKUlT_T0_E_clISt17integral_constantIbLb0EESV_IbLb1EEEEDaSR_SS_EUlSR_E_NS1_11comp_targetILNS1_3genE2ELNS1_11target_archE906ELNS1_3gpuE6ELNS1_3repE0EEENS1_30default_config_static_selectorELNS0_4arch9wavefront6targetE0EEEvT1_,comdat
	.protected	_ZN7rocprim17ROCPRIM_400000_NS6detail17trampoline_kernelINS0_14default_configENS1_27scan_by_key_config_selectorIiiEEZZNS1_16scan_by_key_implILNS1_25lookback_scan_determinismE0ELb1ES3_N6thrust23THRUST_200600_302600_NS10device_ptrIiEESB_SB_iNS9_4plusIvEENS9_8equal_toIvEEiEE10hipError_tPvRmT2_T3_T4_T5_mT6_T7_P12ihipStream_tbENKUlT_T0_E_clISt17integral_constantIbLb0EESV_IbLb1EEEEDaSR_SS_EUlSR_E_NS1_11comp_targetILNS1_3genE2ELNS1_11target_archE906ELNS1_3gpuE6ELNS1_3repE0EEENS1_30default_config_static_selectorELNS0_4arch9wavefront6targetE0EEEvT1_ ; -- Begin function _ZN7rocprim17ROCPRIM_400000_NS6detail17trampoline_kernelINS0_14default_configENS1_27scan_by_key_config_selectorIiiEEZZNS1_16scan_by_key_implILNS1_25lookback_scan_determinismE0ELb1ES3_N6thrust23THRUST_200600_302600_NS10device_ptrIiEESB_SB_iNS9_4plusIvEENS9_8equal_toIvEEiEE10hipError_tPvRmT2_T3_T4_T5_mT6_T7_P12ihipStream_tbENKUlT_T0_E_clISt17integral_constantIbLb0EESV_IbLb1EEEEDaSR_SS_EUlSR_E_NS1_11comp_targetILNS1_3genE2ELNS1_11target_archE906ELNS1_3gpuE6ELNS1_3repE0EEENS1_30default_config_static_selectorELNS0_4arch9wavefront6targetE0EEEvT1_
	.globl	_ZN7rocprim17ROCPRIM_400000_NS6detail17trampoline_kernelINS0_14default_configENS1_27scan_by_key_config_selectorIiiEEZZNS1_16scan_by_key_implILNS1_25lookback_scan_determinismE0ELb1ES3_N6thrust23THRUST_200600_302600_NS10device_ptrIiEESB_SB_iNS9_4plusIvEENS9_8equal_toIvEEiEE10hipError_tPvRmT2_T3_T4_T5_mT6_T7_P12ihipStream_tbENKUlT_T0_E_clISt17integral_constantIbLb0EESV_IbLb1EEEEDaSR_SS_EUlSR_E_NS1_11comp_targetILNS1_3genE2ELNS1_11target_archE906ELNS1_3gpuE6ELNS1_3repE0EEENS1_30default_config_static_selectorELNS0_4arch9wavefront6targetE0EEEvT1_
	.p2align	8
	.type	_ZN7rocprim17ROCPRIM_400000_NS6detail17trampoline_kernelINS0_14default_configENS1_27scan_by_key_config_selectorIiiEEZZNS1_16scan_by_key_implILNS1_25lookback_scan_determinismE0ELb1ES3_N6thrust23THRUST_200600_302600_NS10device_ptrIiEESB_SB_iNS9_4plusIvEENS9_8equal_toIvEEiEE10hipError_tPvRmT2_T3_T4_T5_mT6_T7_P12ihipStream_tbENKUlT_T0_E_clISt17integral_constantIbLb0EESV_IbLb1EEEEDaSR_SS_EUlSR_E_NS1_11comp_targetILNS1_3genE2ELNS1_11target_archE906ELNS1_3gpuE6ELNS1_3repE0EEENS1_30default_config_static_selectorELNS0_4arch9wavefront6targetE0EEEvT1_,@function
_ZN7rocprim17ROCPRIM_400000_NS6detail17trampoline_kernelINS0_14default_configENS1_27scan_by_key_config_selectorIiiEEZZNS1_16scan_by_key_implILNS1_25lookback_scan_determinismE0ELb1ES3_N6thrust23THRUST_200600_302600_NS10device_ptrIiEESB_SB_iNS9_4plusIvEENS9_8equal_toIvEEiEE10hipError_tPvRmT2_T3_T4_T5_mT6_T7_P12ihipStream_tbENKUlT_T0_E_clISt17integral_constantIbLb0EESV_IbLb1EEEEDaSR_SS_EUlSR_E_NS1_11comp_targetILNS1_3genE2ELNS1_11target_archE906ELNS1_3gpuE6ELNS1_3repE0EEENS1_30default_config_static_selectorELNS0_4arch9wavefront6targetE0EEEvT1_: ; @_ZN7rocprim17ROCPRIM_400000_NS6detail17trampoline_kernelINS0_14default_configENS1_27scan_by_key_config_selectorIiiEEZZNS1_16scan_by_key_implILNS1_25lookback_scan_determinismE0ELb1ES3_N6thrust23THRUST_200600_302600_NS10device_ptrIiEESB_SB_iNS9_4plusIvEENS9_8equal_toIvEEiEE10hipError_tPvRmT2_T3_T4_T5_mT6_T7_P12ihipStream_tbENKUlT_T0_E_clISt17integral_constantIbLb0EESV_IbLb1EEEEDaSR_SS_EUlSR_E_NS1_11comp_targetILNS1_3genE2ELNS1_11target_archE906ELNS1_3gpuE6ELNS1_3repE0EEENS1_30default_config_static_selectorELNS0_4arch9wavefront6targetE0EEEvT1_
; %bb.0:
	.section	.rodata,"a",@progbits
	.p2align	6, 0x0
	.amdhsa_kernel _ZN7rocprim17ROCPRIM_400000_NS6detail17trampoline_kernelINS0_14default_configENS1_27scan_by_key_config_selectorIiiEEZZNS1_16scan_by_key_implILNS1_25lookback_scan_determinismE0ELb1ES3_N6thrust23THRUST_200600_302600_NS10device_ptrIiEESB_SB_iNS9_4plusIvEENS9_8equal_toIvEEiEE10hipError_tPvRmT2_T3_T4_T5_mT6_T7_P12ihipStream_tbENKUlT_T0_E_clISt17integral_constantIbLb0EESV_IbLb1EEEEDaSR_SS_EUlSR_E_NS1_11comp_targetILNS1_3genE2ELNS1_11target_archE906ELNS1_3gpuE6ELNS1_3repE0EEENS1_30default_config_static_selectorELNS0_4arch9wavefront6targetE0EEEvT1_
		.amdhsa_group_segment_fixed_size 0
		.amdhsa_private_segment_fixed_size 0
		.amdhsa_kernarg_size 112
		.amdhsa_user_sgpr_count 6
		.amdhsa_user_sgpr_private_segment_buffer 1
		.amdhsa_user_sgpr_dispatch_ptr 0
		.amdhsa_user_sgpr_queue_ptr 0
		.amdhsa_user_sgpr_kernarg_segment_ptr 1
		.amdhsa_user_sgpr_dispatch_id 0
		.amdhsa_user_sgpr_flat_scratch_init 0
		.amdhsa_user_sgpr_private_segment_size 0
		.amdhsa_wavefront_size32 1
		.amdhsa_uses_dynamic_stack 0
		.amdhsa_system_sgpr_private_segment_wavefront_offset 0
		.amdhsa_system_sgpr_workgroup_id_x 1
		.amdhsa_system_sgpr_workgroup_id_y 0
		.amdhsa_system_sgpr_workgroup_id_z 0
		.amdhsa_system_sgpr_workgroup_info 0
		.amdhsa_system_vgpr_workitem_id 0
		.amdhsa_next_free_vgpr 1
		.amdhsa_next_free_sgpr 1
		.amdhsa_reserve_vcc 0
		.amdhsa_reserve_flat_scratch 0
		.amdhsa_float_round_mode_32 0
		.amdhsa_float_round_mode_16_64 0
		.amdhsa_float_denorm_mode_32 3
		.amdhsa_float_denorm_mode_16_64 3
		.amdhsa_dx10_clamp 1
		.amdhsa_ieee_mode 1
		.amdhsa_fp16_overflow 0
		.amdhsa_workgroup_processor_mode 1
		.amdhsa_memory_ordered 1
		.amdhsa_forward_progress 1
		.amdhsa_shared_vgpr_count 0
		.amdhsa_exception_fp_ieee_invalid_op 0
		.amdhsa_exception_fp_denorm_src 0
		.amdhsa_exception_fp_ieee_div_zero 0
		.amdhsa_exception_fp_ieee_overflow 0
		.amdhsa_exception_fp_ieee_underflow 0
		.amdhsa_exception_fp_ieee_inexact 0
		.amdhsa_exception_int_div_zero 0
	.end_amdhsa_kernel
	.section	.text._ZN7rocprim17ROCPRIM_400000_NS6detail17trampoline_kernelINS0_14default_configENS1_27scan_by_key_config_selectorIiiEEZZNS1_16scan_by_key_implILNS1_25lookback_scan_determinismE0ELb1ES3_N6thrust23THRUST_200600_302600_NS10device_ptrIiEESB_SB_iNS9_4plusIvEENS9_8equal_toIvEEiEE10hipError_tPvRmT2_T3_T4_T5_mT6_T7_P12ihipStream_tbENKUlT_T0_E_clISt17integral_constantIbLb0EESV_IbLb1EEEEDaSR_SS_EUlSR_E_NS1_11comp_targetILNS1_3genE2ELNS1_11target_archE906ELNS1_3gpuE6ELNS1_3repE0EEENS1_30default_config_static_selectorELNS0_4arch9wavefront6targetE0EEEvT1_,"axG",@progbits,_ZN7rocprim17ROCPRIM_400000_NS6detail17trampoline_kernelINS0_14default_configENS1_27scan_by_key_config_selectorIiiEEZZNS1_16scan_by_key_implILNS1_25lookback_scan_determinismE0ELb1ES3_N6thrust23THRUST_200600_302600_NS10device_ptrIiEESB_SB_iNS9_4plusIvEENS9_8equal_toIvEEiEE10hipError_tPvRmT2_T3_T4_T5_mT6_T7_P12ihipStream_tbENKUlT_T0_E_clISt17integral_constantIbLb0EESV_IbLb1EEEEDaSR_SS_EUlSR_E_NS1_11comp_targetILNS1_3genE2ELNS1_11target_archE906ELNS1_3gpuE6ELNS1_3repE0EEENS1_30default_config_static_selectorELNS0_4arch9wavefront6targetE0EEEvT1_,comdat
.Lfunc_end2265:
	.size	_ZN7rocprim17ROCPRIM_400000_NS6detail17trampoline_kernelINS0_14default_configENS1_27scan_by_key_config_selectorIiiEEZZNS1_16scan_by_key_implILNS1_25lookback_scan_determinismE0ELb1ES3_N6thrust23THRUST_200600_302600_NS10device_ptrIiEESB_SB_iNS9_4plusIvEENS9_8equal_toIvEEiEE10hipError_tPvRmT2_T3_T4_T5_mT6_T7_P12ihipStream_tbENKUlT_T0_E_clISt17integral_constantIbLb0EESV_IbLb1EEEEDaSR_SS_EUlSR_E_NS1_11comp_targetILNS1_3genE2ELNS1_11target_archE906ELNS1_3gpuE6ELNS1_3repE0EEENS1_30default_config_static_selectorELNS0_4arch9wavefront6targetE0EEEvT1_, .Lfunc_end2265-_ZN7rocprim17ROCPRIM_400000_NS6detail17trampoline_kernelINS0_14default_configENS1_27scan_by_key_config_selectorIiiEEZZNS1_16scan_by_key_implILNS1_25lookback_scan_determinismE0ELb1ES3_N6thrust23THRUST_200600_302600_NS10device_ptrIiEESB_SB_iNS9_4plusIvEENS9_8equal_toIvEEiEE10hipError_tPvRmT2_T3_T4_T5_mT6_T7_P12ihipStream_tbENKUlT_T0_E_clISt17integral_constantIbLb0EESV_IbLb1EEEEDaSR_SS_EUlSR_E_NS1_11comp_targetILNS1_3genE2ELNS1_11target_archE906ELNS1_3gpuE6ELNS1_3repE0EEENS1_30default_config_static_selectorELNS0_4arch9wavefront6targetE0EEEvT1_
                                        ; -- End function
	.set _ZN7rocprim17ROCPRIM_400000_NS6detail17trampoline_kernelINS0_14default_configENS1_27scan_by_key_config_selectorIiiEEZZNS1_16scan_by_key_implILNS1_25lookback_scan_determinismE0ELb1ES3_N6thrust23THRUST_200600_302600_NS10device_ptrIiEESB_SB_iNS9_4plusIvEENS9_8equal_toIvEEiEE10hipError_tPvRmT2_T3_T4_T5_mT6_T7_P12ihipStream_tbENKUlT_T0_E_clISt17integral_constantIbLb0EESV_IbLb1EEEEDaSR_SS_EUlSR_E_NS1_11comp_targetILNS1_3genE2ELNS1_11target_archE906ELNS1_3gpuE6ELNS1_3repE0EEENS1_30default_config_static_selectorELNS0_4arch9wavefront6targetE0EEEvT1_.num_vgpr, 0
	.set _ZN7rocprim17ROCPRIM_400000_NS6detail17trampoline_kernelINS0_14default_configENS1_27scan_by_key_config_selectorIiiEEZZNS1_16scan_by_key_implILNS1_25lookback_scan_determinismE0ELb1ES3_N6thrust23THRUST_200600_302600_NS10device_ptrIiEESB_SB_iNS9_4plusIvEENS9_8equal_toIvEEiEE10hipError_tPvRmT2_T3_T4_T5_mT6_T7_P12ihipStream_tbENKUlT_T0_E_clISt17integral_constantIbLb0EESV_IbLb1EEEEDaSR_SS_EUlSR_E_NS1_11comp_targetILNS1_3genE2ELNS1_11target_archE906ELNS1_3gpuE6ELNS1_3repE0EEENS1_30default_config_static_selectorELNS0_4arch9wavefront6targetE0EEEvT1_.num_agpr, 0
	.set _ZN7rocprim17ROCPRIM_400000_NS6detail17trampoline_kernelINS0_14default_configENS1_27scan_by_key_config_selectorIiiEEZZNS1_16scan_by_key_implILNS1_25lookback_scan_determinismE0ELb1ES3_N6thrust23THRUST_200600_302600_NS10device_ptrIiEESB_SB_iNS9_4plusIvEENS9_8equal_toIvEEiEE10hipError_tPvRmT2_T3_T4_T5_mT6_T7_P12ihipStream_tbENKUlT_T0_E_clISt17integral_constantIbLb0EESV_IbLb1EEEEDaSR_SS_EUlSR_E_NS1_11comp_targetILNS1_3genE2ELNS1_11target_archE906ELNS1_3gpuE6ELNS1_3repE0EEENS1_30default_config_static_selectorELNS0_4arch9wavefront6targetE0EEEvT1_.numbered_sgpr, 0
	.set _ZN7rocprim17ROCPRIM_400000_NS6detail17trampoline_kernelINS0_14default_configENS1_27scan_by_key_config_selectorIiiEEZZNS1_16scan_by_key_implILNS1_25lookback_scan_determinismE0ELb1ES3_N6thrust23THRUST_200600_302600_NS10device_ptrIiEESB_SB_iNS9_4plusIvEENS9_8equal_toIvEEiEE10hipError_tPvRmT2_T3_T4_T5_mT6_T7_P12ihipStream_tbENKUlT_T0_E_clISt17integral_constantIbLb0EESV_IbLb1EEEEDaSR_SS_EUlSR_E_NS1_11comp_targetILNS1_3genE2ELNS1_11target_archE906ELNS1_3gpuE6ELNS1_3repE0EEENS1_30default_config_static_selectorELNS0_4arch9wavefront6targetE0EEEvT1_.num_named_barrier, 0
	.set _ZN7rocprim17ROCPRIM_400000_NS6detail17trampoline_kernelINS0_14default_configENS1_27scan_by_key_config_selectorIiiEEZZNS1_16scan_by_key_implILNS1_25lookback_scan_determinismE0ELb1ES3_N6thrust23THRUST_200600_302600_NS10device_ptrIiEESB_SB_iNS9_4plusIvEENS9_8equal_toIvEEiEE10hipError_tPvRmT2_T3_T4_T5_mT6_T7_P12ihipStream_tbENKUlT_T0_E_clISt17integral_constantIbLb0EESV_IbLb1EEEEDaSR_SS_EUlSR_E_NS1_11comp_targetILNS1_3genE2ELNS1_11target_archE906ELNS1_3gpuE6ELNS1_3repE0EEENS1_30default_config_static_selectorELNS0_4arch9wavefront6targetE0EEEvT1_.private_seg_size, 0
	.set _ZN7rocprim17ROCPRIM_400000_NS6detail17trampoline_kernelINS0_14default_configENS1_27scan_by_key_config_selectorIiiEEZZNS1_16scan_by_key_implILNS1_25lookback_scan_determinismE0ELb1ES3_N6thrust23THRUST_200600_302600_NS10device_ptrIiEESB_SB_iNS9_4plusIvEENS9_8equal_toIvEEiEE10hipError_tPvRmT2_T3_T4_T5_mT6_T7_P12ihipStream_tbENKUlT_T0_E_clISt17integral_constantIbLb0EESV_IbLb1EEEEDaSR_SS_EUlSR_E_NS1_11comp_targetILNS1_3genE2ELNS1_11target_archE906ELNS1_3gpuE6ELNS1_3repE0EEENS1_30default_config_static_selectorELNS0_4arch9wavefront6targetE0EEEvT1_.uses_vcc, 0
	.set _ZN7rocprim17ROCPRIM_400000_NS6detail17trampoline_kernelINS0_14default_configENS1_27scan_by_key_config_selectorIiiEEZZNS1_16scan_by_key_implILNS1_25lookback_scan_determinismE0ELb1ES3_N6thrust23THRUST_200600_302600_NS10device_ptrIiEESB_SB_iNS9_4plusIvEENS9_8equal_toIvEEiEE10hipError_tPvRmT2_T3_T4_T5_mT6_T7_P12ihipStream_tbENKUlT_T0_E_clISt17integral_constantIbLb0EESV_IbLb1EEEEDaSR_SS_EUlSR_E_NS1_11comp_targetILNS1_3genE2ELNS1_11target_archE906ELNS1_3gpuE6ELNS1_3repE0EEENS1_30default_config_static_selectorELNS0_4arch9wavefront6targetE0EEEvT1_.uses_flat_scratch, 0
	.set _ZN7rocprim17ROCPRIM_400000_NS6detail17trampoline_kernelINS0_14default_configENS1_27scan_by_key_config_selectorIiiEEZZNS1_16scan_by_key_implILNS1_25lookback_scan_determinismE0ELb1ES3_N6thrust23THRUST_200600_302600_NS10device_ptrIiEESB_SB_iNS9_4plusIvEENS9_8equal_toIvEEiEE10hipError_tPvRmT2_T3_T4_T5_mT6_T7_P12ihipStream_tbENKUlT_T0_E_clISt17integral_constantIbLb0EESV_IbLb1EEEEDaSR_SS_EUlSR_E_NS1_11comp_targetILNS1_3genE2ELNS1_11target_archE906ELNS1_3gpuE6ELNS1_3repE0EEENS1_30default_config_static_selectorELNS0_4arch9wavefront6targetE0EEEvT1_.has_dyn_sized_stack, 0
	.set _ZN7rocprim17ROCPRIM_400000_NS6detail17trampoline_kernelINS0_14default_configENS1_27scan_by_key_config_selectorIiiEEZZNS1_16scan_by_key_implILNS1_25lookback_scan_determinismE0ELb1ES3_N6thrust23THRUST_200600_302600_NS10device_ptrIiEESB_SB_iNS9_4plusIvEENS9_8equal_toIvEEiEE10hipError_tPvRmT2_T3_T4_T5_mT6_T7_P12ihipStream_tbENKUlT_T0_E_clISt17integral_constantIbLb0EESV_IbLb1EEEEDaSR_SS_EUlSR_E_NS1_11comp_targetILNS1_3genE2ELNS1_11target_archE906ELNS1_3gpuE6ELNS1_3repE0EEENS1_30default_config_static_selectorELNS0_4arch9wavefront6targetE0EEEvT1_.has_recursion, 0
	.set _ZN7rocprim17ROCPRIM_400000_NS6detail17trampoline_kernelINS0_14default_configENS1_27scan_by_key_config_selectorIiiEEZZNS1_16scan_by_key_implILNS1_25lookback_scan_determinismE0ELb1ES3_N6thrust23THRUST_200600_302600_NS10device_ptrIiEESB_SB_iNS9_4plusIvEENS9_8equal_toIvEEiEE10hipError_tPvRmT2_T3_T4_T5_mT6_T7_P12ihipStream_tbENKUlT_T0_E_clISt17integral_constantIbLb0EESV_IbLb1EEEEDaSR_SS_EUlSR_E_NS1_11comp_targetILNS1_3genE2ELNS1_11target_archE906ELNS1_3gpuE6ELNS1_3repE0EEENS1_30default_config_static_selectorELNS0_4arch9wavefront6targetE0EEEvT1_.has_indirect_call, 0
	.section	.AMDGPU.csdata,"",@progbits
; Kernel info:
; codeLenInByte = 0
; TotalNumSgprs: 0
; NumVgprs: 0
; ScratchSize: 0
; MemoryBound: 0
; FloatMode: 240
; IeeeMode: 1
; LDSByteSize: 0 bytes/workgroup (compile time only)
; SGPRBlocks: 0
; VGPRBlocks: 0
; NumSGPRsForWavesPerEU: 1
; NumVGPRsForWavesPerEU: 1
; Occupancy: 16
; WaveLimiterHint : 0
; COMPUTE_PGM_RSRC2:SCRATCH_EN: 0
; COMPUTE_PGM_RSRC2:USER_SGPR: 6
; COMPUTE_PGM_RSRC2:TRAP_HANDLER: 0
; COMPUTE_PGM_RSRC2:TGID_X_EN: 1
; COMPUTE_PGM_RSRC2:TGID_Y_EN: 0
; COMPUTE_PGM_RSRC2:TGID_Z_EN: 0
; COMPUTE_PGM_RSRC2:TIDIG_COMP_CNT: 0
	.section	.text._ZN7rocprim17ROCPRIM_400000_NS6detail17trampoline_kernelINS0_14default_configENS1_27scan_by_key_config_selectorIiiEEZZNS1_16scan_by_key_implILNS1_25lookback_scan_determinismE0ELb1ES3_N6thrust23THRUST_200600_302600_NS10device_ptrIiEESB_SB_iNS9_4plusIvEENS9_8equal_toIvEEiEE10hipError_tPvRmT2_T3_T4_T5_mT6_T7_P12ihipStream_tbENKUlT_T0_E_clISt17integral_constantIbLb0EESV_IbLb1EEEEDaSR_SS_EUlSR_E_NS1_11comp_targetILNS1_3genE10ELNS1_11target_archE1200ELNS1_3gpuE4ELNS1_3repE0EEENS1_30default_config_static_selectorELNS0_4arch9wavefront6targetE0EEEvT1_,"axG",@progbits,_ZN7rocprim17ROCPRIM_400000_NS6detail17trampoline_kernelINS0_14default_configENS1_27scan_by_key_config_selectorIiiEEZZNS1_16scan_by_key_implILNS1_25lookback_scan_determinismE0ELb1ES3_N6thrust23THRUST_200600_302600_NS10device_ptrIiEESB_SB_iNS9_4plusIvEENS9_8equal_toIvEEiEE10hipError_tPvRmT2_T3_T4_T5_mT6_T7_P12ihipStream_tbENKUlT_T0_E_clISt17integral_constantIbLb0EESV_IbLb1EEEEDaSR_SS_EUlSR_E_NS1_11comp_targetILNS1_3genE10ELNS1_11target_archE1200ELNS1_3gpuE4ELNS1_3repE0EEENS1_30default_config_static_selectorELNS0_4arch9wavefront6targetE0EEEvT1_,comdat
	.protected	_ZN7rocprim17ROCPRIM_400000_NS6detail17trampoline_kernelINS0_14default_configENS1_27scan_by_key_config_selectorIiiEEZZNS1_16scan_by_key_implILNS1_25lookback_scan_determinismE0ELb1ES3_N6thrust23THRUST_200600_302600_NS10device_ptrIiEESB_SB_iNS9_4plusIvEENS9_8equal_toIvEEiEE10hipError_tPvRmT2_T3_T4_T5_mT6_T7_P12ihipStream_tbENKUlT_T0_E_clISt17integral_constantIbLb0EESV_IbLb1EEEEDaSR_SS_EUlSR_E_NS1_11comp_targetILNS1_3genE10ELNS1_11target_archE1200ELNS1_3gpuE4ELNS1_3repE0EEENS1_30default_config_static_selectorELNS0_4arch9wavefront6targetE0EEEvT1_ ; -- Begin function _ZN7rocprim17ROCPRIM_400000_NS6detail17trampoline_kernelINS0_14default_configENS1_27scan_by_key_config_selectorIiiEEZZNS1_16scan_by_key_implILNS1_25lookback_scan_determinismE0ELb1ES3_N6thrust23THRUST_200600_302600_NS10device_ptrIiEESB_SB_iNS9_4plusIvEENS9_8equal_toIvEEiEE10hipError_tPvRmT2_T3_T4_T5_mT6_T7_P12ihipStream_tbENKUlT_T0_E_clISt17integral_constantIbLb0EESV_IbLb1EEEEDaSR_SS_EUlSR_E_NS1_11comp_targetILNS1_3genE10ELNS1_11target_archE1200ELNS1_3gpuE4ELNS1_3repE0EEENS1_30default_config_static_selectorELNS0_4arch9wavefront6targetE0EEEvT1_
	.globl	_ZN7rocprim17ROCPRIM_400000_NS6detail17trampoline_kernelINS0_14default_configENS1_27scan_by_key_config_selectorIiiEEZZNS1_16scan_by_key_implILNS1_25lookback_scan_determinismE0ELb1ES3_N6thrust23THRUST_200600_302600_NS10device_ptrIiEESB_SB_iNS9_4plusIvEENS9_8equal_toIvEEiEE10hipError_tPvRmT2_T3_T4_T5_mT6_T7_P12ihipStream_tbENKUlT_T0_E_clISt17integral_constantIbLb0EESV_IbLb1EEEEDaSR_SS_EUlSR_E_NS1_11comp_targetILNS1_3genE10ELNS1_11target_archE1200ELNS1_3gpuE4ELNS1_3repE0EEENS1_30default_config_static_selectorELNS0_4arch9wavefront6targetE0EEEvT1_
	.p2align	8
	.type	_ZN7rocprim17ROCPRIM_400000_NS6detail17trampoline_kernelINS0_14default_configENS1_27scan_by_key_config_selectorIiiEEZZNS1_16scan_by_key_implILNS1_25lookback_scan_determinismE0ELb1ES3_N6thrust23THRUST_200600_302600_NS10device_ptrIiEESB_SB_iNS9_4plusIvEENS9_8equal_toIvEEiEE10hipError_tPvRmT2_T3_T4_T5_mT6_T7_P12ihipStream_tbENKUlT_T0_E_clISt17integral_constantIbLb0EESV_IbLb1EEEEDaSR_SS_EUlSR_E_NS1_11comp_targetILNS1_3genE10ELNS1_11target_archE1200ELNS1_3gpuE4ELNS1_3repE0EEENS1_30default_config_static_selectorELNS0_4arch9wavefront6targetE0EEEvT1_,@function
_ZN7rocprim17ROCPRIM_400000_NS6detail17trampoline_kernelINS0_14default_configENS1_27scan_by_key_config_selectorIiiEEZZNS1_16scan_by_key_implILNS1_25lookback_scan_determinismE0ELb1ES3_N6thrust23THRUST_200600_302600_NS10device_ptrIiEESB_SB_iNS9_4plusIvEENS9_8equal_toIvEEiEE10hipError_tPvRmT2_T3_T4_T5_mT6_T7_P12ihipStream_tbENKUlT_T0_E_clISt17integral_constantIbLb0EESV_IbLb1EEEEDaSR_SS_EUlSR_E_NS1_11comp_targetILNS1_3genE10ELNS1_11target_archE1200ELNS1_3gpuE4ELNS1_3repE0EEENS1_30default_config_static_selectorELNS0_4arch9wavefront6targetE0EEEvT1_: ; @_ZN7rocprim17ROCPRIM_400000_NS6detail17trampoline_kernelINS0_14default_configENS1_27scan_by_key_config_selectorIiiEEZZNS1_16scan_by_key_implILNS1_25lookback_scan_determinismE0ELb1ES3_N6thrust23THRUST_200600_302600_NS10device_ptrIiEESB_SB_iNS9_4plusIvEENS9_8equal_toIvEEiEE10hipError_tPvRmT2_T3_T4_T5_mT6_T7_P12ihipStream_tbENKUlT_T0_E_clISt17integral_constantIbLb0EESV_IbLb1EEEEDaSR_SS_EUlSR_E_NS1_11comp_targetILNS1_3genE10ELNS1_11target_archE1200ELNS1_3gpuE4ELNS1_3repE0EEENS1_30default_config_static_selectorELNS0_4arch9wavefront6targetE0EEEvT1_
; %bb.0:
	.section	.rodata,"a",@progbits
	.p2align	6, 0x0
	.amdhsa_kernel _ZN7rocprim17ROCPRIM_400000_NS6detail17trampoline_kernelINS0_14default_configENS1_27scan_by_key_config_selectorIiiEEZZNS1_16scan_by_key_implILNS1_25lookback_scan_determinismE0ELb1ES3_N6thrust23THRUST_200600_302600_NS10device_ptrIiEESB_SB_iNS9_4plusIvEENS9_8equal_toIvEEiEE10hipError_tPvRmT2_T3_T4_T5_mT6_T7_P12ihipStream_tbENKUlT_T0_E_clISt17integral_constantIbLb0EESV_IbLb1EEEEDaSR_SS_EUlSR_E_NS1_11comp_targetILNS1_3genE10ELNS1_11target_archE1200ELNS1_3gpuE4ELNS1_3repE0EEENS1_30default_config_static_selectorELNS0_4arch9wavefront6targetE0EEEvT1_
		.amdhsa_group_segment_fixed_size 0
		.amdhsa_private_segment_fixed_size 0
		.amdhsa_kernarg_size 112
		.amdhsa_user_sgpr_count 6
		.amdhsa_user_sgpr_private_segment_buffer 1
		.amdhsa_user_sgpr_dispatch_ptr 0
		.amdhsa_user_sgpr_queue_ptr 0
		.amdhsa_user_sgpr_kernarg_segment_ptr 1
		.amdhsa_user_sgpr_dispatch_id 0
		.amdhsa_user_sgpr_flat_scratch_init 0
		.amdhsa_user_sgpr_private_segment_size 0
		.amdhsa_wavefront_size32 1
		.amdhsa_uses_dynamic_stack 0
		.amdhsa_system_sgpr_private_segment_wavefront_offset 0
		.amdhsa_system_sgpr_workgroup_id_x 1
		.amdhsa_system_sgpr_workgroup_id_y 0
		.amdhsa_system_sgpr_workgroup_id_z 0
		.amdhsa_system_sgpr_workgroup_info 0
		.amdhsa_system_vgpr_workitem_id 0
		.amdhsa_next_free_vgpr 1
		.amdhsa_next_free_sgpr 1
		.amdhsa_reserve_vcc 0
		.amdhsa_reserve_flat_scratch 0
		.amdhsa_float_round_mode_32 0
		.amdhsa_float_round_mode_16_64 0
		.amdhsa_float_denorm_mode_32 3
		.amdhsa_float_denorm_mode_16_64 3
		.amdhsa_dx10_clamp 1
		.amdhsa_ieee_mode 1
		.amdhsa_fp16_overflow 0
		.amdhsa_workgroup_processor_mode 1
		.amdhsa_memory_ordered 1
		.amdhsa_forward_progress 1
		.amdhsa_shared_vgpr_count 0
		.amdhsa_exception_fp_ieee_invalid_op 0
		.amdhsa_exception_fp_denorm_src 0
		.amdhsa_exception_fp_ieee_div_zero 0
		.amdhsa_exception_fp_ieee_overflow 0
		.amdhsa_exception_fp_ieee_underflow 0
		.amdhsa_exception_fp_ieee_inexact 0
		.amdhsa_exception_int_div_zero 0
	.end_amdhsa_kernel
	.section	.text._ZN7rocprim17ROCPRIM_400000_NS6detail17trampoline_kernelINS0_14default_configENS1_27scan_by_key_config_selectorIiiEEZZNS1_16scan_by_key_implILNS1_25lookback_scan_determinismE0ELb1ES3_N6thrust23THRUST_200600_302600_NS10device_ptrIiEESB_SB_iNS9_4plusIvEENS9_8equal_toIvEEiEE10hipError_tPvRmT2_T3_T4_T5_mT6_T7_P12ihipStream_tbENKUlT_T0_E_clISt17integral_constantIbLb0EESV_IbLb1EEEEDaSR_SS_EUlSR_E_NS1_11comp_targetILNS1_3genE10ELNS1_11target_archE1200ELNS1_3gpuE4ELNS1_3repE0EEENS1_30default_config_static_selectorELNS0_4arch9wavefront6targetE0EEEvT1_,"axG",@progbits,_ZN7rocprim17ROCPRIM_400000_NS6detail17trampoline_kernelINS0_14default_configENS1_27scan_by_key_config_selectorIiiEEZZNS1_16scan_by_key_implILNS1_25lookback_scan_determinismE0ELb1ES3_N6thrust23THRUST_200600_302600_NS10device_ptrIiEESB_SB_iNS9_4plusIvEENS9_8equal_toIvEEiEE10hipError_tPvRmT2_T3_T4_T5_mT6_T7_P12ihipStream_tbENKUlT_T0_E_clISt17integral_constantIbLb0EESV_IbLb1EEEEDaSR_SS_EUlSR_E_NS1_11comp_targetILNS1_3genE10ELNS1_11target_archE1200ELNS1_3gpuE4ELNS1_3repE0EEENS1_30default_config_static_selectorELNS0_4arch9wavefront6targetE0EEEvT1_,comdat
.Lfunc_end2266:
	.size	_ZN7rocprim17ROCPRIM_400000_NS6detail17trampoline_kernelINS0_14default_configENS1_27scan_by_key_config_selectorIiiEEZZNS1_16scan_by_key_implILNS1_25lookback_scan_determinismE0ELb1ES3_N6thrust23THRUST_200600_302600_NS10device_ptrIiEESB_SB_iNS9_4plusIvEENS9_8equal_toIvEEiEE10hipError_tPvRmT2_T3_T4_T5_mT6_T7_P12ihipStream_tbENKUlT_T0_E_clISt17integral_constantIbLb0EESV_IbLb1EEEEDaSR_SS_EUlSR_E_NS1_11comp_targetILNS1_3genE10ELNS1_11target_archE1200ELNS1_3gpuE4ELNS1_3repE0EEENS1_30default_config_static_selectorELNS0_4arch9wavefront6targetE0EEEvT1_, .Lfunc_end2266-_ZN7rocprim17ROCPRIM_400000_NS6detail17trampoline_kernelINS0_14default_configENS1_27scan_by_key_config_selectorIiiEEZZNS1_16scan_by_key_implILNS1_25lookback_scan_determinismE0ELb1ES3_N6thrust23THRUST_200600_302600_NS10device_ptrIiEESB_SB_iNS9_4plusIvEENS9_8equal_toIvEEiEE10hipError_tPvRmT2_T3_T4_T5_mT6_T7_P12ihipStream_tbENKUlT_T0_E_clISt17integral_constantIbLb0EESV_IbLb1EEEEDaSR_SS_EUlSR_E_NS1_11comp_targetILNS1_3genE10ELNS1_11target_archE1200ELNS1_3gpuE4ELNS1_3repE0EEENS1_30default_config_static_selectorELNS0_4arch9wavefront6targetE0EEEvT1_
                                        ; -- End function
	.set _ZN7rocprim17ROCPRIM_400000_NS6detail17trampoline_kernelINS0_14default_configENS1_27scan_by_key_config_selectorIiiEEZZNS1_16scan_by_key_implILNS1_25lookback_scan_determinismE0ELb1ES3_N6thrust23THRUST_200600_302600_NS10device_ptrIiEESB_SB_iNS9_4plusIvEENS9_8equal_toIvEEiEE10hipError_tPvRmT2_T3_T4_T5_mT6_T7_P12ihipStream_tbENKUlT_T0_E_clISt17integral_constantIbLb0EESV_IbLb1EEEEDaSR_SS_EUlSR_E_NS1_11comp_targetILNS1_3genE10ELNS1_11target_archE1200ELNS1_3gpuE4ELNS1_3repE0EEENS1_30default_config_static_selectorELNS0_4arch9wavefront6targetE0EEEvT1_.num_vgpr, 0
	.set _ZN7rocprim17ROCPRIM_400000_NS6detail17trampoline_kernelINS0_14default_configENS1_27scan_by_key_config_selectorIiiEEZZNS1_16scan_by_key_implILNS1_25lookback_scan_determinismE0ELb1ES3_N6thrust23THRUST_200600_302600_NS10device_ptrIiEESB_SB_iNS9_4plusIvEENS9_8equal_toIvEEiEE10hipError_tPvRmT2_T3_T4_T5_mT6_T7_P12ihipStream_tbENKUlT_T0_E_clISt17integral_constantIbLb0EESV_IbLb1EEEEDaSR_SS_EUlSR_E_NS1_11comp_targetILNS1_3genE10ELNS1_11target_archE1200ELNS1_3gpuE4ELNS1_3repE0EEENS1_30default_config_static_selectorELNS0_4arch9wavefront6targetE0EEEvT1_.num_agpr, 0
	.set _ZN7rocprim17ROCPRIM_400000_NS6detail17trampoline_kernelINS0_14default_configENS1_27scan_by_key_config_selectorIiiEEZZNS1_16scan_by_key_implILNS1_25lookback_scan_determinismE0ELb1ES3_N6thrust23THRUST_200600_302600_NS10device_ptrIiEESB_SB_iNS9_4plusIvEENS9_8equal_toIvEEiEE10hipError_tPvRmT2_T3_T4_T5_mT6_T7_P12ihipStream_tbENKUlT_T0_E_clISt17integral_constantIbLb0EESV_IbLb1EEEEDaSR_SS_EUlSR_E_NS1_11comp_targetILNS1_3genE10ELNS1_11target_archE1200ELNS1_3gpuE4ELNS1_3repE0EEENS1_30default_config_static_selectorELNS0_4arch9wavefront6targetE0EEEvT1_.numbered_sgpr, 0
	.set _ZN7rocprim17ROCPRIM_400000_NS6detail17trampoline_kernelINS0_14default_configENS1_27scan_by_key_config_selectorIiiEEZZNS1_16scan_by_key_implILNS1_25lookback_scan_determinismE0ELb1ES3_N6thrust23THRUST_200600_302600_NS10device_ptrIiEESB_SB_iNS9_4plusIvEENS9_8equal_toIvEEiEE10hipError_tPvRmT2_T3_T4_T5_mT6_T7_P12ihipStream_tbENKUlT_T0_E_clISt17integral_constantIbLb0EESV_IbLb1EEEEDaSR_SS_EUlSR_E_NS1_11comp_targetILNS1_3genE10ELNS1_11target_archE1200ELNS1_3gpuE4ELNS1_3repE0EEENS1_30default_config_static_selectorELNS0_4arch9wavefront6targetE0EEEvT1_.num_named_barrier, 0
	.set _ZN7rocprim17ROCPRIM_400000_NS6detail17trampoline_kernelINS0_14default_configENS1_27scan_by_key_config_selectorIiiEEZZNS1_16scan_by_key_implILNS1_25lookback_scan_determinismE0ELb1ES3_N6thrust23THRUST_200600_302600_NS10device_ptrIiEESB_SB_iNS9_4plusIvEENS9_8equal_toIvEEiEE10hipError_tPvRmT2_T3_T4_T5_mT6_T7_P12ihipStream_tbENKUlT_T0_E_clISt17integral_constantIbLb0EESV_IbLb1EEEEDaSR_SS_EUlSR_E_NS1_11comp_targetILNS1_3genE10ELNS1_11target_archE1200ELNS1_3gpuE4ELNS1_3repE0EEENS1_30default_config_static_selectorELNS0_4arch9wavefront6targetE0EEEvT1_.private_seg_size, 0
	.set _ZN7rocprim17ROCPRIM_400000_NS6detail17trampoline_kernelINS0_14default_configENS1_27scan_by_key_config_selectorIiiEEZZNS1_16scan_by_key_implILNS1_25lookback_scan_determinismE0ELb1ES3_N6thrust23THRUST_200600_302600_NS10device_ptrIiEESB_SB_iNS9_4plusIvEENS9_8equal_toIvEEiEE10hipError_tPvRmT2_T3_T4_T5_mT6_T7_P12ihipStream_tbENKUlT_T0_E_clISt17integral_constantIbLb0EESV_IbLb1EEEEDaSR_SS_EUlSR_E_NS1_11comp_targetILNS1_3genE10ELNS1_11target_archE1200ELNS1_3gpuE4ELNS1_3repE0EEENS1_30default_config_static_selectorELNS0_4arch9wavefront6targetE0EEEvT1_.uses_vcc, 0
	.set _ZN7rocprim17ROCPRIM_400000_NS6detail17trampoline_kernelINS0_14default_configENS1_27scan_by_key_config_selectorIiiEEZZNS1_16scan_by_key_implILNS1_25lookback_scan_determinismE0ELb1ES3_N6thrust23THRUST_200600_302600_NS10device_ptrIiEESB_SB_iNS9_4plusIvEENS9_8equal_toIvEEiEE10hipError_tPvRmT2_T3_T4_T5_mT6_T7_P12ihipStream_tbENKUlT_T0_E_clISt17integral_constantIbLb0EESV_IbLb1EEEEDaSR_SS_EUlSR_E_NS1_11comp_targetILNS1_3genE10ELNS1_11target_archE1200ELNS1_3gpuE4ELNS1_3repE0EEENS1_30default_config_static_selectorELNS0_4arch9wavefront6targetE0EEEvT1_.uses_flat_scratch, 0
	.set _ZN7rocprim17ROCPRIM_400000_NS6detail17trampoline_kernelINS0_14default_configENS1_27scan_by_key_config_selectorIiiEEZZNS1_16scan_by_key_implILNS1_25lookback_scan_determinismE0ELb1ES3_N6thrust23THRUST_200600_302600_NS10device_ptrIiEESB_SB_iNS9_4plusIvEENS9_8equal_toIvEEiEE10hipError_tPvRmT2_T3_T4_T5_mT6_T7_P12ihipStream_tbENKUlT_T0_E_clISt17integral_constantIbLb0EESV_IbLb1EEEEDaSR_SS_EUlSR_E_NS1_11comp_targetILNS1_3genE10ELNS1_11target_archE1200ELNS1_3gpuE4ELNS1_3repE0EEENS1_30default_config_static_selectorELNS0_4arch9wavefront6targetE0EEEvT1_.has_dyn_sized_stack, 0
	.set _ZN7rocprim17ROCPRIM_400000_NS6detail17trampoline_kernelINS0_14default_configENS1_27scan_by_key_config_selectorIiiEEZZNS1_16scan_by_key_implILNS1_25lookback_scan_determinismE0ELb1ES3_N6thrust23THRUST_200600_302600_NS10device_ptrIiEESB_SB_iNS9_4plusIvEENS9_8equal_toIvEEiEE10hipError_tPvRmT2_T3_T4_T5_mT6_T7_P12ihipStream_tbENKUlT_T0_E_clISt17integral_constantIbLb0EESV_IbLb1EEEEDaSR_SS_EUlSR_E_NS1_11comp_targetILNS1_3genE10ELNS1_11target_archE1200ELNS1_3gpuE4ELNS1_3repE0EEENS1_30default_config_static_selectorELNS0_4arch9wavefront6targetE0EEEvT1_.has_recursion, 0
	.set _ZN7rocprim17ROCPRIM_400000_NS6detail17trampoline_kernelINS0_14default_configENS1_27scan_by_key_config_selectorIiiEEZZNS1_16scan_by_key_implILNS1_25lookback_scan_determinismE0ELb1ES3_N6thrust23THRUST_200600_302600_NS10device_ptrIiEESB_SB_iNS9_4plusIvEENS9_8equal_toIvEEiEE10hipError_tPvRmT2_T3_T4_T5_mT6_T7_P12ihipStream_tbENKUlT_T0_E_clISt17integral_constantIbLb0EESV_IbLb1EEEEDaSR_SS_EUlSR_E_NS1_11comp_targetILNS1_3genE10ELNS1_11target_archE1200ELNS1_3gpuE4ELNS1_3repE0EEENS1_30default_config_static_selectorELNS0_4arch9wavefront6targetE0EEEvT1_.has_indirect_call, 0
	.section	.AMDGPU.csdata,"",@progbits
; Kernel info:
; codeLenInByte = 0
; TotalNumSgprs: 0
; NumVgprs: 0
; ScratchSize: 0
; MemoryBound: 0
; FloatMode: 240
; IeeeMode: 1
; LDSByteSize: 0 bytes/workgroup (compile time only)
; SGPRBlocks: 0
; VGPRBlocks: 0
; NumSGPRsForWavesPerEU: 1
; NumVGPRsForWavesPerEU: 1
; Occupancy: 16
; WaveLimiterHint : 0
; COMPUTE_PGM_RSRC2:SCRATCH_EN: 0
; COMPUTE_PGM_RSRC2:USER_SGPR: 6
; COMPUTE_PGM_RSRC2:TRAP_HANDLER: 0
; COMPUTE_PGM_RSRC2:TGID_X_EN: 1
; COMPUTE_PGM_RSRC2:TGID_Y_EN: 0
; COMPUTE_PGM_RSRC2:TGID_Z_EN: 0
; COMPUTE_PGM_RSRC2:TIDIG_COMP_CNT: 0
	.section	.text._ZN7rocprim17ROCPRIM_400000_NS6detail17trampoline_kernelINS0_14default_configENS1_27scan_by_key_config_selectorIiiEEZZNS1_16scan_by_key_implILNS1_25lookback_scan_determinismE0ELb1ES3_N6thrust23THRUST_200600_302600_NS10device_ptrIiEESB_SB_iNS9_4plusIvEENS9_8equal_toIvEEiEE10hipError_tPvRmT2_T3_T4_T5_mT6_T7_P12ihipStream_tbENKUlT_T0_E_clISt17integral_constantIbLb0EESV_IbLb1EEEEDaSR_SS_EUlSR_E_NS1_11comp_targetILNS1_3genE9ELNS1_11target_archE1100ELNS1_3gpuE3ELNS1_3repE0EEENS1_30default_config_static_selectorELNS0_4arch9wavefront6targetE0EEEvT1_,"axG",@progbits,_ZN7rocprim17ROCPRIM_400000_NS6detail17trampoline_kernelINS0_14default_configENS1_27scan_by_key_config_selectorIiiEEZZNS1_16scan_by_key_implILNS1_25lookback_scan_determinismE0ELb1ES3_N6thrust23THRUST_200600_302600_NS10device_ptrIiEESB_SB_iNS9_4plusIvEENS9_8equal_toIvEEiEE10hipError_tPvRmT2_T3_T4_T5_mT6_T7_P12ihipStream_tbENKUlT_T0_E_clISt17integral_constantIbLb0EESV_IbLb1EEEEDaSR_SS_EUlSR_E_NS1_11comp_targetILNS1_3genE9ELNS1_11target_archE1100ELNS1_3gpuE3ELNS1_3repE0EEENS1_30default_config_static_selectorELNS0_4arch9wavefront6targetE0EEEvT1_,comdat
	.protected	_ZN7rocprim17ROCPRIM_400000_NS6detail17trampoline_kernelINS0_14default_configENS1_27scan_by_key_config_selectorIiiEEZZNS1_16scan_by_key_implILNS1_25lookback_scan_determinismE0ELb1ES3_N6thrust23THRUST_200600_302600_NS10device_ptrIiEESB_SB_iNS9_4plusIvEENS9_8equal_toIvEEiEE10hipError_tPvRmT2_T3_T4_T5_mT6_T7_P12ihipStream_tbENKUlT_T0_E_clISt17integral_constantIbLb0EESV_IbLb1EEEEDaSR_SS_EUlSR_E_NS1_11comp_targetILNS1_3genE9ELNS1_11target_archE1100ELNS1_3gpuE3ELNS1_3repE0EEENS1_30default_config_static_selectorELNS0_4arch9wavefront6targetE0EEEvT1_ ; -- Begin function _ZN7rocprim17ROCPRIM_400000_NS6detail17trampoline_kernelINS0_14default_configENS1_27scan_by_key_config_selectorIiiEEZZNS1_16scan_by_key_implILNS1_25lookback_scan_determinismE0ELb1ES3_N6thrust23THRUST_200600_302600_NS10device_ptrIiEESB_SB_iNS9_4plusIvEENS9_8equal_toIvEEiEE10hipError_tPvRmT2_T3_T4_T5_mT6_T7_P12ihipStream_tbENKUlT_T0_E_clISt17integral_constantIbLb0EESV_IbLb1EEEEDaSR_SS_EUlSR_E_NS1_11comp_targetILNS1_3genE9ELNS1_11target_archE1100ELNS1_3gpuE3ELNS1_3repE0EEENS1_30default_config_static_selectorELNS0_4arch9wavefront6targetE0EEEvT1_
	.globl	_ZN7rocprim17ROCPRIM_400000_NS6detail17trampoline_kernelINS0_14default_configENS1_27scan_by_key_config_selectorIiiEEZZNS1_16scan_by_key_implILNS1_25lookback_scan_determinismE0ELb1ES3_N6thrust23THRUST_200600_302600_NS10device_ptrIiEESB_SB_iNS9_4plusIvEENS9_8equal_toIvEEiEE10hipError_tPvRmT2_T3_T4_T5_mT6_T7_P12ihipStream_tbENKUlT_T0_E_clISt17integral_constantIbLb0EESV_IbLb1EEEEDaSR_SS_EUlSR_E_NS1_11comp_targetILNS1_3genE9ELNS1_11target_archE1100ELNS1_3gpuE3ELNS1_3repE0EEENS1_30default_config_static_selectorELNS0_4arch9wavefront6targetE0EEEvT1_
	.p2align	8
	.type	_ZN7rocprim17ROCPRIM_400000_NS6detail17trampoline_kernelINS0_14default_configENS1_27scan_by_key_config_selectorIiiEEZZNS1_16scan_by_key_implILNS1_25lookback_scan_determinismE0ELb1ES3_N6thrust23THRUST_200600_302600_NS10device_ptrIiEESB_SB_iNS9_4plusIvEENS9_8equal_toIvEEiEE10hipError_tPvRmT2_T3_T4_T5_mT6_T7_P12ihipStream_tbENKUlT_T0_E_clISt17integral_constantIbLb0EESV_IbLb1EEEEDaSR_SS_EUlSR_E_NS1_11comp_targetILNS1_3genE9ELNS1_11target_archE1100ELNS1_3gpuE3ELNS1_3repE0EEENS1_30default_config_static_selectorELNS0_4arch9wavefront6targetE0EEEvT1_,@function
_ZN7rocprim17ROCPRIM_400000_NS6detail17trampoline_kernelINS0_14default_configENS1_27scan_by_key_config_selectorIiiEEZZNS1_16scan_by_key_implILNS1_25lookback_scan_determinismE0ELb1ES3_N6thrust23THRUST_200600_302600_NS10device_ptrIiEESB_SB_iNS9_4plusIvEENS9_8equal_toIvEEiEE10hipError_tPvRmT2_T3_T4_T5_mT6_T7_P12ihipStream_tbENKUlT_T0_E_clISt17integral_constantIbLb0EESV_IbLb1EEEEDaSR_SS_EUlSR_E_NS1_11comp_targetILNS1_3genE9ELNS1_11target_archE1100ELNS1_3gpuE3ELNS1_3repE0EEENS1_30default_config_static_selectorELNS0_4arch9wavefront6targetE0EEEvT1_: ; @_ZN7rocprim17ROCPRIM_400000_NS6detail17trampoline_kernelINS0_14default_configENS1_27scan_by_key_config_selectorIiiEEZZNS1_16scan_by_key_implILNS1_25lookback_scan_determinismE0ELb1ES3_N6thrust23THRUST_200600_302600_NS10device_ptrIiEESB_SB_iNS9_4plusIvEENS9_8equal_toIvEEiEE10hipError_tPvRmT2_T3_T4_T5_mT6_T7_P12ihipStream_tbENKUlT_T0_E_clISt17integral_constantIbLb0EESV_IbLb1EEEEDaSR_SS_EUlSR_E_NS1_11comp_targetILNS1_3genE9ELNS1_11target_archE1100ELNS1_3gpuE3ELNS1_3repE0EEENS1_30default_config_static_selectorELNS0_4arch9wavefront6targetE0EEEvT1_
; %bb.0:
	.section	.rodata,"a",@progbits
	.p2align	6, 0x0
	.amdhsa_kernel _ZN7rocprim17ROCPRIM_400000_NS6detail17trampoline_kernelINS0_14default_configENS1_27scan_by_key_config_selectorIiiEEZZNS1_16scan_by_key_implILNS1_25lookback_scan_determinismE0ELb1ES3_N6thrust23THRUST_200600_302600_NS10device_ptrIiEESB_SB_iNS9_4plusIvEENS9_8equal_toIvEEiEE10hipError_tPvRmT2_T3_T4_T5_mT6_T7_P12ihipStream_tbENKUlT_T0_E_clISt17integral_constantIbLb0EESV_IbLb1EEEEDaSR_SS_EUlSR_E_NS1_11comp_targetILNS1_3genE9ELNS1_11target_archE1100ELNS1_3gpuE3ELNS1_3repE0EEENS1_30default_config_static_selectorELNS0_4arch9wavefront6targetE0EEEvT1_
		.amdhsa_group_segment_fixed_size 0
		.amdhsa_private_segment_fixed_size 0
		.amdhsa_kernarg_size 112
		.amdhsa_user_sgpr_count 6
		.amdhsa_user_sgpr_private_segment_buffer 1
		.amdhsa_user_sgpr_dispatch_ptr 0
		.amdhsa_user_sgpr_queue_ptr 0
		.amdhsa_user_sgpr_kernarg_segment_ptr 1
		.amdhsa_user_sgpr_dispatch_id 0
		.amdhsa_user_sgpr_flat_scratch_init 0
		.amdhsa_user_sgpr_private_segment_size 0
		.amdhsa_wavefront_size32 1
		.amdhsa_uses_dynamic_stack 0
		.amdhsa_system_sgpr_private_segment_wavefront_offset 0
		.amdhsa_system_sgpr_workgroup_id_x 1
		.amdhsa_system_sgpr_workgroup_id_y 0
		.amdhsa_system_sgpr_workgroup_id_z 0
		.amdhsa_system_sgpr_workgroup_info 0
		.amdhsa_system_vgpr_workitem_id 0
		.amdhsa_next_free_vgpr 1
		.amdhsa_next_free_sgpr 1
		.amdhsa_reserve_vcc 0
		.amdhsa_reserve_flat_scratch 0
		.amdhsa_float_round_mode_32 0
		.amdhsa_float_round_mode_16_64 0
		.amdhsa_float_denorm_mode_32 3
		.amdhsa_float_denorm_mode_16_64 3
		.amdhsa_dx10_clamp 1
		.amdhsa_ieee_mode 1
		.amdhsa_fp16_overflow 0
		.amdhsa_workgroup_processor_mode 1
		.amdhsa_memory_ordered 1
		.amdhsa_forward_progress 1
		.amdhsa_shared_vgpr_count 0
		.amdhsa_exception_fp_ieee_invalid_op 0
		.amdhsa_exception_fp_denorm_src 0
		.amdhsa_exception_fp_ieee_div_zero 0
		.amdhsa_exception_fp_ieee_overflow 0
		.amdhsa_exception_fp_ieee_underflow 0
		.amdhsa_exception_fp_ieee_inexact 0
		.amdhsa_exception_int_div_zero 0
	.end_amdhsa_kernel
	.section	.text._ZN7rocprim17ROCPRIM_400000_NS6detail17trampoline_kernelINS0_14default_configENS1_27scan_by_key_config_selectorIiiEEZZNS1_16scan_by_key_implILNS1_25lookback_scan_determinismE0ELb1ES3_N6thrust23THRUST_200600_302600_NS10device_ptrIiEESB_SB_iNS9_4plusIvEENS9_8equal_toIvEEiEE10hipError_tPvRmT2_T3_T4_T5_mT6_T7_P12ihipStream_tbENKUlT_T0_E_clISt17integral_constantIbLb0EESV_IbLb1EEEEDaSR_SS_EUlSR_E_NS1_11comp_targetILNS1_3genE9ELNS1_11target_archE1100ELNS1_3gpuE3ELNS1_3repE0EEENS1_30default_config_static_selectorELNS0_4arch9wavefront6targetE0EEEvT1_,"axG",@progbits,_ZN7rocprim17ROCPRIM_400000_NS6detail17trampoline_kernelINS0_14default_configENS1_27scan_by_key_config_selectorIiiEEZZNS1_16scan_by_key_implILNS1_25lookback_scan_determinismE0ELb1ES3_N6thrust23THRUST_200600_302600_NS10device_ptrIiEESB_SB_iNS9_4plusIvEENS9_8equal_toIvEEiEE10hipError_tPvRmT2_T3_T4_T5_mT6_T7_P12ihipStream_tbENKUlT_T0_E_clISt17integral_constantIbLb0EESV_IbLb1EEEEDaSR_SS_EUlSR_E_NS1_11comp_targetILNS1_3genE9ELNS1_11target_archE1100ELNS1_3gpuE3ELNS1_3repE0EEENS1_30default_config_static_selectorELNS0_4arch9wavefront6targetE0EEEvT1_,comdat
.Lfunc_end2267:
	.size	_ZN7rocprim17ROCPRIM_400000_NS6detail17trampoline_kernelINS0_14default_configENS1_27scan_by_key_config_selectorIiiEEZZNS1_16scan_by_key_implILNS1_25lookback_scan_determinismE0ELb1ES3_N6thrust23THRUST_200600_302600_NS10device_ptrIiEESB_SB_iNS9_4plusIvEENS9_8equal_toIvEEiEE10hipError_tPvRmT2_T3_T4_T5_mT6_T7_P12ihipStream_tbENKUlT_T0_E_clISt17integral_constantIbLb0EESV_IbLb1EEEEDaSR_SS_EUlSR_E_NS1_11comp_targetILNS1_3genE9ELNS1_11target_archE1100ELNS1_3gpuE3ELNS1_3repE0EEENS1_30default_config_static_selectorELNS0_4arch9wavefront6targetE0EEEvT1_, .Lfunc_end2267-_ZN7rocprim17ROCPRIM_400000_NS6detail17trampoline_kernelINS0_14default_configENS1_27scan_by_key_config_selectorIiiEEZZNS1_16scan_by_key_implILNS1_25lookback_scan_determinismE0ELb1ES3_N6thrust23THRUST_200600_302600_NS10device_ptrIiEESB_SB_iNS9_4plusIvEENS9_8equal_toIvEEiEE10hipError_tPvRmT2_T3_T4_T5_mT6_T7_P12ihipStream_tbENKUlT_T0_E_clISt17integral_constantIbLb0EESV_IbLb1EEEEDaSR_SS_EUlSR_E_NS1_11comp_targetILNS1_3genE9ELNS1_11target_archE1100ELNS1_3gpuE3ELNS1_3repE0EEENS1_30default_config_static_selectorELNS0_4arch9wavefront6targetE0EEEvT1_
                                        ; -- End function
	.set _ZN7rocprim17ROCPRIM_400000_NS6detail17trampoline_kernelINS0_14default_configENS1_27scan_by_key_config_selectorIiiEEZZNS1_16scan_by_key_implILNS1_25lookback_scan_determinismE0ELb1ES3_N6thrust23THRUST_200600_302600_NS10device_ptrIiEESB_SB_iNS9_4plusIvEENS9_8equal_toIvEEiEE10hipError_tPvRmT2_T3_T4_T5_mT6_T7_P12ihipStream_tbENKUlT_T0_E_clISt17integral_constantIbLb0EESV_IbLb1EEEEDaSR_SS_EUlSR_E_NS1_11comp_targetILNS1_3genE9ELNS1_11target_archE1100ELNS1_3gpuE3ELNS1_3repE0EEENS1_30default_config_static_selectorELNS0_4arch9wavefront6targetE0EEEvT1_.num_vgpr, 0
	.set _ZN7rocprim17ROCPRIM_400000_NS6detail17trampoline_kernelINS0_14default_configENS1_27scan_by_key_config_selectorIiiEEZZNS1_16scan_by_key_implILNS1_25lookback_scan_determinismE0ELb1ES3_N6thrust23THRUST_200600_302600_NS10device_ptrIiEESB_SB_iNS9_4plusIvEENS9_8equal_toIvEEiEE10hipError_tPvRmT2_T3_T4_T5_mT6_T7_P12ihipStream_tbENKUlT_T0_E_clISt17integral_constantIbLb0EESV_IbLb1EEEEDaSR_SS_EUlSR_E_NS1_11comp_targetILNS1_3genE9ELNS1_11target_archE1100ELNS1_3gpuE3ELNS1_3repE0EEENS1_30default_config_static_selectorELNS0_4arch9wavefront6targetE0EEEvT1_.num_agpr, 0
	.set _ZN7rocprim17ROCPRIM_400000_NS6detail17trampoline_kernelINS0_14default_configENS1_27scan_by_key_config_selectorIiiEEZZNS1_16scan_by_key_implILNS1_25lookback_scan_determinismE0ELb1ES3_N6thrust23THRUST_200600_302600_NS10device_ptrIiEESB_SB_iNS9_4plusIvEENS9_8equal_toIvEEiEE10hipError_tPvRmT2_T3_T4_T5_mT6_T7_P12ihipStream_tbENKUlT_T0_E_clISt17integral_constantIbLb0EESV_IbLb1EEEEDaSR_SS_EUlSR_E_NS1_11comp_targetILNS1_3genE9ELNS1_11target_archE1100ELNS1_3gpuE3ELNS1_3repE0EEENS1_30default_config_static_selectorELNS0_4arch9wavefront6targetE0EEEvT1_.numbered_sgpr, 0
	.set _ZN7rocprim17ROCPRIM_400000_NS6detail17trampoline_kernelINS0_14default_configENS1_27scan_by_key_config_selectorIiiEEZZNS1_16scan_by_key_implILNS1_25lookback_scan_determinismE0ELb1ES3_N6thrust23THRUST_200600_302600_NS10device_ptrIiEESB_SB_iNS9_4plusIvEENS9_8equal_toIvEEiEE10hipError_tPvRmT2_T3_T4_T5_mT6_T7_P12ihipStream_tbENKUlT_T0_E_clISt17integral_constantIbLb0EESV_IbLb1EEEEDaSR_SS_EUlSR_E_NS1_11comp_targetILNS1_3genE9ELNS1_11target_archE1100ELNS1_3gpuE3ELNS1_3repE0EEENS1_30default_config_static_selectorELNS0_4arch9wavefront6targetE0EEEvT1_.num_named_barrier, 0
	.set _ZN7rocprim17ROCPRIM_400000_NS6detail17trampoline_kernelINS0_14default_configENS1_27scan_by_key_config_selectorIiiEEZZNS1_16scan_by_key_implILNS1_25lookback_scan_determinismE0ELb1ES3_N6thrust23THRUST_200600_302600_NS10device_ptrIiEESB_SB_iNS9_4plusIvEENS9_8equal_toIvEEiEE10hipError_tPvRmT2_T3_T4_T5_mT6_T7_P12ihipStream_tbENKUlT_T0_E_clISt17integral_constantIbLb0EESV_IbLb1EEEEDaSR_SS_EUlSR_E_NS1_11comp_targetILNS1_3genE9ELNS1_11target_archE1100ELNS1_3gpuE3ELNS1_3repE0EEENS1_30default_config_static_selectorELNS0_4arch9wavefront6targetE0EEEvT1_.private_seg_size, 0
	.set _ZN7rocprim17ROCPRIM_400000_NS6detail17trampoline_kernelINS0_14default_configENS1_27scan_by_key_config_selectorIiiEEZZNS1_16scan_by_key_implILNS1_25lookback_scan_determinismE0ELb1ES3_N6thrust23THRUST_200600_302600_NS10device_ptrIiEESB_SB_iNS9_4plusIvEENS9_8equal_toIvEEiEE10hipError_tPvRmT2_T3_T4_T5_mT6_T7_P12ihipStream_tbENKUlT_T0_E_clISt17integral_constantIbLb0EESV_IbLb1EEEEDaSR_SS_EUlSR_E_NS1_11comp_targetILNS1_3genE9ELNS1_11target_archE1100ELNS1_3gpuE3ELNS1_3repE0EEENS1_30default_config_static_selectorELNS0_4arch9wavefront6targetE0EEEvT1_.uses_vcc, 0
	.set _ZN7rocprim17ROCPRIM_400000_NS6detail17trampoline_kernelINS0_14default_configENS1_27scan_by_key_config_selectorIiiEEZZNS1_16scan_by_key_implILNS1_25lookback_scan_determinismE0ELb1ES3_N6thrust23THRUST_200600_302600_NS10device_ptrIiEESB_SB_iNS9_4plusIvEENS9_8equal_toIvEEiEE10hipError_tPvRmT2_T3_T4_T5_mT6_T7_P12ihipStream_tbENKUlT_T0_E_clISt17integral_constantIbLb0EESV_IbLb1EEEEDaSR_SS_EUlSR_E_NS1_11comp_targetILNS1_3genE9ELNS1_11target_archE1100ELNS1_3gpuE3ELNS1_3repE0EEENS1_30default_config_static_selectorELNS0_4arch9wavefront6targetE0EEEvT1_.uses_flat_scratch, 0
	.set _ZN7rocprim17ROCPRIM_400000_NS6detail17trampoline_kernelINS0_14default_configENS1_27scan_by_key_config_selectorIiiEEZZNS1_16scan_by_key_implILNS1_25lookback_scan_determinismE0ELb1ES3_N6thrust23THRUST_200600_302600_NS10device_ptrIiEESB_SB_iNS9_4plusIvEENS9_8equal_toIvEEiEE10hipError_tPvRmT2_T3_T4_T5_mT6_T7_P12ihipStream_tbENKUlT_T0_E_clISt17integral_constantIbLb0EESV_IbLb1EEEEDaSR_SS_EUlSR_E_NS1_11comp_targetILNS1_3genE9ELNS1_11target_archE1100ELNS1_3gpuE3ELNS1_3repE0EEENS1_30default_config_static_selectorELNS0_4arch9wavefront6targetE0EEEvT1_.has_dyn_sized_stack, 0
	.set _ZN7rocprim17ROCPRIM_400000_NS6detail17trampoline_kernelINS0_14default_configENS1_27scan_by_key_config_selectorIiiEEZZNS1_16scan_by_key_implILNS1_25lookback_scan_determinismE0ELb1ES3_N6thrust23THRUST_200600_302600_NS10device_ptrIiEESB_SB_iNS9_4plusIvEENS9_8equal_toIvEEiEE10hipError_tPvRmT2_T3_T4_T5_mT6_T7_P12ihipStream_tbENKUlT_T0_E_clISt17integral_constantIbLb0EESV_IbLb1EEEEDaSR_SS_EUlSR_E_NS1_11comp_targetILNS1_3genE9ELNS1_11target_archE1100ELNS1_3gpuE3ELNS1_3repE0EEENS1_30default_config_static_selectorELNS0_4arch9wavefront6targetE0EEEvT1_.has_recursion, 0
	.set _ZN7rocprim17ROCPRIM_400000_NS6detail17trampoline_kernelINS0_14default_configENS1_27scan_by_key_config_selectorIiiEEZZNS1_16scan_by_key_implILNS1_25lookback_scan_determinismE0ELb1ES3_N6thrust23THRUST_200600_302600_NS10device_ptrIiEESB_SB_iNS9_4plusIvEENS9_8equal_toIvEEiEE10hipError_tPvRmT2_T3_T4_T5_mT6_T7_P12ihipStream_tbENKUlT_T0_E_clISt17integral_constantIbLb0EESV_IbLb1EEEEDaSR_SS_EUlSR_E_NS1_11comp_targetILNS1_3genE9ELNS1_11target_archE1100ELNS1_3gpuE3ELNS1_3repE0EEENS1_30default_config_static_selectorELNS0_4arch9wavefront6targetE0EEEvT1_.has_indirect_call, 0
	.section	.AMDGPU.csdata,"",@progbits
; Kernel info:
; codeLenInByte = 0
; TotalNumSgprs: 0
; NumVgprs: 0
; ScratchSize: 0
; MemoryBound: 0
; FloatMode: 240
; IeeeMode: 1
; LDSByteSize: 0 bytes/workgroup (compile time only)
; SGPRBlocks: 0
; VGPRBlocks: 0
; NumSGPRsForWavesPerEU: 1
; NumVGPRsForWavesPerEU: 1
; Occupancy: 16
; WaveLimiterHint : 0
; COMPUTE_PGM_RSRC2:SCRATCH_EN: 0
; COMPUTE_PGM_RSRC2:USER_SGPR: 6
; COMPUTE_PGM_RSRC2:TRAP_HANDLER: 0
; COMPUTE_PGM_RSRC2:TGID_X_EN: 1
; COMPUTE_PGM_RSRC2:TGID_Y_EN: 0
; COMPUTE_PGM_RSRC2:TGID_Z_EN: 0
; COMPUTE_PGM_RSRC2:TIDIG_COMP_CNT: 0
	.section	.text._ZN7rocprim17ROCPRIM_400000_NS6detail17trampoline_kernelINS0_14default_configENS1_27scan_by_key_config_selectorIiiEEZZNS1_16scan_by_key_implILNS1_25lookback_scan_determinismE0ELb1ES3_N6thrust23THRUST_200600_302600_NS10device_ptrIiEESB_SB_iNS9_4plusIvEENS9_8equal_toIvEEiEE10hipError_tPvRmT2_T3_T4_T5_mT6_T7_P12ihipStream_tbENKUlT_T0_E_clISt17integral_constantIbLb0EESV_IbLb1EEEEDaSR_SS_EUlSR_E_NS1_11comp_targetILNS1_3genE8ELNS1_11target_archE1030ELNS1_3gpuE2ELNS1_3repE0EEENS1_30default_config_static_selectorELNS0_4arch9wavefront6targetE0EEEvT1_,"axG",@progbits,_ZN7rocprim17ROCPRIM_400000_NS6detail17trampoline_kernelINS0_14default_configENS1_27scan_by_key_config_selectorIiiEEZZNS1_16scan_by_key_implILNS1_25lookback_scan_determinismE0ELb1ES3_N6thrust23THRUST_200600_302600_NS10device_ptrIiEESB_SB_iNS9_4plusIvEENS9_8equal_toIvEEiEE10hipError_tPvRmT2_T3_T4_T5_mT6_T7_P12ihipStream_tbENKUlT_T0_E_clISt17integral_constantIbLb0EESV_IbLb1EEEEDaSR_SS_EUlSR_E_NS1_11comp_targetILNS1_3genE8ELNS1_11target_archE1030ELNS1_3gpuE2ELNS1_3repE0EEENS1_30default_config_static_selectorELNS0_4arch9wavefront6targetE0EEEvT1_,comdat
	.protected	_ZN7rocprim17ROCPRIM_400000_NS6detail17trampoline_kernelINS0_14default_configENS1_27scan_by_key_config_selectorIiiEEZZNS1_16scan_by_key_implILNS1_25lookback_scan_determinismE0ELb1ES3_N6thrust23THRUST_200600_302600_NS10device_ptrIiEESB_SB_iNS9_4plusIvEENS9_8equal_toIvEEiEE10hipError_tPvRmT2_T3_T4_T5_mT6_T7_P12ihipStream_tbENKUlT_T0_E_clISt17integral_constantIbLb0EESV_IbLb1EEEEDaSR_SS_EUlSR_E_NS1_11comp_targetILNS1_3genE8ELNS1_11target_archE1030ELNS1_3gpuE2ELNS1_3repE0EEENS1_30default_config_static_selectorELNS0_4arch9wavefront6targetE0EEEvT1_ ; -- Begin function _ZN7rocprim17ROCPRIM_400000_NS6detail17trampoline_kernelINS0_14default_configENS1_27scan_by_key_config_selectorIiiEEZZNS1_16scan_by_key_implILNS1_25lookback_scan_determinismE0ELb1ES3_N6thrust23THRUST_200600_302600_NS10device_ptrIiEESB_SB_iNS9_4plusIvEENS9_8equal_toIvEEiEE10hipError_tPvRmT2_T3_T4_T5_mT6_T7_P12ihipStream_tbENKUlT_T0_E_clISt17integral_constantIbLb0EESV_IbLb1EEEEDaSR_SS_EUlSR_E_NS1_11comp_targetILNS1_3genE8ELNS1_11target_archE1030ELNS1_3gpuE2ELNS1_3repE0EEENS1_30default_config_static_selectorELNS0_4arch9wavefront6targetE0EEEvT1_
	.globl	_ZN7rocprim17ROCPRIM_400000_NS6detail17trampoline_kernelINS0_14default_configENS1_27scan_by_key_config_selectorIiiEEZZNS1_16scan_by_key_implILNS1_25lookback_scan_determinismE0ELb1ES3_N6thrust23THRUST_200600_302600_NS10device_ptrIiEESB_SB_iNS9_4plusIvEENS9_8equal_toIvEEiEE10hipError_tPvRmT2_T3_T4_T5_mT6_T7_P12ihipStream_tbENKUlT_T0_E_clISt17integral_constantIbLb0EESV_IbLb1EEEEDaSR_SS_EUlSR_E_NS1_11comp_targetILNS1_3genE8ELNS1_11target_archE1030ELNS1_3gpuE2ELNS1_3repE0EEENS1_30default_config_static_selectorELNS0_4arch9wavefront6targetE0EEEvT1_
	.p2align	8
	.type	_ZN7rocprim17ROCPRIM_400000_NS6detail17trampoline_kernelINS0_14default_configENS1_27scan_by_key_config_selectorIiiEEZZNS1_16scan_by_key_implILNS1_25lookback_scan_determinismE0ELb1ES3_N6thrust23THRUST_200600_302600_NS10device_ptrIiEESB_SB_iNS9_4plusIvEENS9_8equal_toIvEEiEE10hipError_tPvRmT2_T3_T4_T5_mT6_T7_P12ihipStream_tbENKUlT_T0_E_clISt17integral_constantIbLb0EESV_IbLb1EEEEDaSR_SS_EUlSR_E_NS1_11comp_targetILNS1_3genE8ELNS1_11target_archE1030ELNS1_3gpuE2ELNS1_3repE0EEENS1_30default_config_static_selectorELNS0_4arch9wavefront6targetE0EEEvT1_,@function
_ZN7rocprim17ROCPRIM_400000_NS6detail17trampoline_kernelINS0_14default_configENS1_27scan_by_key_config_selectorIiiEEZZNS1_16scan_by_key_implILNS1_25lookback_scan_determinismE0ELb1ES3_N6thrust23THRUST_200600_302600_NS10device_ptrIiEESB_SB_iNS9_4plusIvEENS9_8equal_toIvEEiEE10hipError_tPvRmT2_T3_T4_T5_mT6_T7_P12ihipStream_tbENKUlT_T0_E_clISt17integral_constantIbLb0EESV_IbLb1EEEEDaSR_SS_EUlSR_E_NS1_11comp_targetILNS1_3genE8ELNS1_11target_archE1030ELNS1_3gpuE2ELNS1_3repE0EEENS1_30default_config_static_selectorELNS0_4arch9wavefront6targetE0EEEvT1_: ; @_ZN7rocprim17ROCPRIM_400000_NS6detail17trampoline_kernelINS0_14default_configENS1_27scan_by_key_config_selectorIiiEEZZNS1_16scan_by_key_implILNS1_25lookback_scan_determinismE0ELb1ES3_N6thrust23THRUST_200600_302600_NS10device_ptrIiEESB_SB_iNS9_4plusIvEENS9_8equal_toIvEEiEE10hipError_tPvRmT2_T3_T4_T5_mT6_T7_P12ihipStream_tbENKUlT_T0_E_clISt17integral_constantIbLb0EESV_IbLb1EEEEDaSR_SS_EUlSR_E_NS1_11comp_targetILNS1_3genE8ELNS1_11target_archE1030ELNS1_3gpuE2ELNS1_3repE0EEENS1_30default_config_static_selectorELNS0_4arch9wavefront6targetE0EEEvT1_
; %bb.0:
	s_clause 0x2
	s_load_dword s22, s[4:5], 0x20
	s_load_dwordx4 s[16:19], s[4:5], 0x28
	s_load_dwordx2 s[20:21], s[4:5], 0x38
	v_cmp_eq_u32_e64 s0, 0, v0
	s_and_saveexec_b32 s1, s0
	s_cbranch_execz .LBB2268_4
; %bb.1:
	s_mov_b32 s3, exec_lo
	s_mov_b32 s2, exec_lo
	v_mbcnt_lo_u32_b32 v1, s3, 0
                                        ; implicit-def: $vgpr2
	v_cmpx_eq_u32_e32 0, v1
	s_cbranch_execz .LBB2268_3
; %bb.2:
	s_load_dwordx2 s[6:7], s[4:5], 0x68
	s_bcnt1_i32_b32 s3, s3
	v_mov_b32_e32 v2, 0
	v_mov_b32_e32 v3, s3
	s_waitcnt lgkmcnt(0)
	global_atomic_add v2, v2, v3, s[6:7] glc
.LBB2268_3:
	s_or_b32 exec_lo, exec_lo, s2
	s_waitcnt vmcnt(0)
	v_readfirstlane_b32 s2, v2
	v_mov_b32_e32 v2, 0
	v_add_nc_u32_e32 v1, s2, v1
	ds_write_b32 v2, v1
.LBB2268_4:
	s_or_b32 exec_lo, exec_lo, s1
	v_mov_b32_e32 v2, 0
	s_clause 0x2
	s_load_dwordx8 s[8:15], s[4:5], 0x0
	s_load_dword s1, s[4:5], 0x40
	s_load_dwordx4 s[4:7], s[4:5], 0x48
	s_waitcnt lgkmcnt(0)
	s_barrier
	buffer_gl0_inv
	ds_read_b32 v5, v2
	s_waitcnt lgkmcnt(0)
	s_barrier
	buffer_gl0_inv
	s_barrier
	buffer_gl0_inv
	s_lshl_b64 s[10:11], s[10:11], 2
	s_mul_i32 s2, s21, s1
	s_add_u32 s8, s8, s10
	s_mul_hi_u32 s3, s20, s1
	s_mul_i32 s1, s20, s1
	s_addc_u32 s9, s9, s11
	v_mul_lo_u32 v1, 0x300, v5
	s_add_u32 s12, s12, s10
	s_addc_u32 s19, s13, s11
	s_add_i32 s3, s3, s2
	v_add_co_u32 v3, s1, s1, v5
	v_add_co_ci_u32_e64 v4, null, s3, 0, s1
	v_lshlrev_b64 v[9:10], 2, v[1:2]
	s_add_u32 s2, s4, -1
	s_addc_u32 s3, s5, -1
	v_readfirstlane_b32 s13, v5
	v_cmp_le_u64_e64 s1, s[2:3], v[3:4]
	v_add_co_u32 v4, vcc_lo, s8, v9
	v_add_co_ci_u32_e64 v5, null, s9, v10, vcc_lo
	v_add_co_u32 v8, vcc_lo, s12, v9
	v_add_co_ci_u32_e64 v15, null, s19, v10, vcc_lo
	s_and_b32 vcc_lo, exec_lo, s1
	s_mul_i32 s12, s2, 0xfffffd00
	s_cbranch_vccz .LBB2268_24
; %bb.5:
	flat_load_dword v1, v[4:5]
	s_add_i32 s5, s12, s18
	v_cmp_gt_u32_e32 vcc_lo, s5, v0
	s_waitcnt vmcnt(0) lgkmcnt(0)
	v_mov_b32_e32 v2, v1
	s_and_saveexec_b32 s3, vcc_lo
	s_cbranch_execz .LBB2268_7
; %bb.6:
	v_lshlrev_b32_e32 v2, 2, v0
	v_add_co_u32 v2, s2, v4, v2
	v_add_co_ci_u32_e64 v3, null, 0, v5, s2
	flat_load_dword v2, v[2:3]
.LBB2268_7:
	s_or_b32 exec_lo, exec_lo, s3
	v_or_b32_e32 v3, 0x100, v0
	v_cmp_gt_u32_e64 s2, s5, v3
	v_mov_b32_e32 v3, v1
	s_and_saveexec_b32 s4, s2
	s_cbranch_execz .LBB2268_9
; %bb.8:
	v_lshlrev_b32_e32 v3, 2, v0
	v_add_co_u32 v6, s3, v4, v3
	v_add_co_ci_u32_e64 v7, null, 0, v5, s3
	flat_load_dword v3, v[6:7] offset:1024
.LBB2268_9:
	s_or_b32 exec_lo, exec_lo, s4
	v_or_b32_e32 v6, 0x200, v0
	v_cmp_gt_u32_e64 s3, s5, v6
	v_lshlrev_b32_e32 v11, 2, v6
	s_and_saveexec_b32 s8, s3
	s_cbranch_execz .LBB2268_11
; %bb.10:
	v_add_co_u32 v6, s4, v4, v11
	v_add_co_ci_u32_e64 v7, null, 0, v5, s4
	flat_load_dword v1, v[6:7]
.LBB2268_11:
	s_or_b32 exec_lo, exec_lo, s8
	v_lshlrev_b32_e32 v12, 2, v0
	s_mov_b32 s8, exec_lo
	s_waitcnt vmcnt(0) lgkmcnt(0)
	ds_write2st64_b32 v12, v2, v3 offset1:4
	ds_write_b32 v12, v1 offset:2048
	s_waitcnt lgkmcnt(0)
	s_barrier
	buffer_gl0_inv
	flat_load_dword v16, v[4:5]
	v_lshlrev_b32_e32 v1, 3, v0
	v_add_nc_u32_e32 v17, v12, v1
	ds_read_b32 v18, v17
	ds_read2_b32 v[6:7], v17 offset0:1 offset1:2
	s_waitcnt lgkmcnt(1)
	ds_write_b32 v12, v18 offset:4096
	s_waitcnt vmcnt(0) lgkmcnt(0)
	s_barrier
	buffer_gl0_inv
	v_cmpx_ne_u32_e32 0xff, v0
; %bb.12:
	v_sub_nc_u32_e32 v1, 0, v1
	v_add_nc_u32_e32 v1, v17, v1
	ds_read_b32 v16, v1 offset:4100
; %bb.13:
	s_or_b32 exec_lo, exec_lo, s8
	v_mov_b32_e32 v1, 0
	s_waitcnt lgkmcnt(0)
	s_barrier
	buffer_gl0_inv
	v_mov_b32_e32 v2, v1
	v_mov_b32_e32 v3, v1
	s_and_saveexec_b32 s4, vcc_lo
	s_cbranch_execnz .LBB2268_94
; %bb.14:
	s_or_b32 exec_lo, exec_lo, s4
	s_and_saveexec_b32 s4, s2
	s_cbranch_execnz .LBB2268_95
.LBB2268_15:
	s_or_b32 exec_lo, exec_lo, s4
	v_mul_u32_u24_e32 v19, 3, v0
	s_and_saveexec_b32 s2, s3
	s_cbranch_execz .LBB2268_17
.LBB2268_16:
	v_add_co_u32 v13, vcc_lo, v8, v11
	v_add_co_ci_u32_e64 v14, null, 0, v15, vcc_lo
	flat_load_dword v3, v[13:14]
.LBB2268_17:
	s_or_b32 exec_lo, exec_lo, s2
	s_waitcnt vmcnt(0) lgkmcnt(0)
	ds_write2st64_b32 v12, v1, v2 offset1:4
	ds_write_b32 v12, v3 offset:2048
	v_mov_b32_e32 v11, 0
	v_mov_b32_e32 v1, 0
	;; [unrolled: 1-line block ×6, first 2 shown]
	s_mov_b32 s3, 0
	s_mov_b32 s8, 0
	s_mov_b32 s4, exec_lo
	s_waitcnt lgkmcnt(0)
	s_barrier
	buffer_gl0_inv
                                        ; implicit-def: $sgpr2
                                        ; implicit-def: $vgpr3
	v_cmpx_gt_u32_e64 s5, v19
	s_cbranch_execz .LBB2268_23
; %bb.18:
	ds_read_b32 v3, v17
	v_cmp_ne_u32_e32 vcc_lo, v18, v6
	v_mov_b32_e32 v1, 0
	v_add_nc_u32_e32 v13, 1, v19
	v_mov_b32_e32 v2, 0
	s_mov_b32 s9, 0
	v_cndmask_b32_e64 v12, 0, 1, vcc_lo
	v_cmp_eq_u32_e32 vcc_lo, v18, v6
	s_mov_b32 s8, exec_lo
                                        ; implicit-def: $sgpr2
	s_waitcnt lgkmcnt(0)
	v_cndmask_b32_e32 v11, s22, v3, vcc_lo
                                        ; implicit-def: $vgpr3
	v_cmpx_gt_u32_e64 s5, v13
	s_cbranch_execz .LBB2268_22
; %bb.19:
	ds_read2_b32 v[13:14], v17 offset0:1 offset1:2
	v_cmp_ne_u32_e32 vcc_lo, v6, v7
	v_add_nc_u32_e32 v3, 2, v19
                                        ; implicit-def: $sgpr2
	v_cndmask_b32_e64 v2, 0, 1, vcc_lo
	v_cmp_eq_u32_e32 vcc_lo, v6, v7
	s_waitcnt lgkmcnt(0)
	v_cndmask_b32_e32 v1, s22, v13, vcc_lo
	v_cmp_gt_u32_e32 vcc_lo, s5, v3
	s_mov_b32 s5, 0
                                        ; implicit-def: $vgpr3
	s_and_saveexec_b32 s9, vcc_lo
	s_xor_b32 s9, exec_lo, s9
; %bb.20:
	v_cmp_ne_u32_e64 s2, v7, v16
	s_mov_b32 s5, exec_lo
	v_cndmask_b32_e64 v3, v14, s22, s2
; %bb.21:
	s_or_b32 exec_lo, exec_lo, s9
	s_and_b32 s9, s5, exec_lo
.LBB2268_22:
	s_or_b32 exec_lo, exec_lo, s8
	v_mov_b32_e32 v14, v2
	v_mov_b32_e32 v13, v1
	s_and_b32 s8, s9, exec_lo
.LBB2268_23:
	s_or_b32 exec_lo, exec_lo, s4
	v_lshlrev_b32_e32 v20, 2, v0
	v_lshlrev_b32_e32 v21, 3, v0
	s_and_b32 vcc_lo, exec_lo, s3
	s_cbranch_vccnz .LBB2268_25
	s_branch .LBB2268_28
.LBB2268_24:
	s_mov_b32 s8, 0
                                        ; implicit-def: $sgpr2
                                        ; implicit-def: $vgpr3
                                        ; implicit-def: $vgpr11_vgpr12
                                        ; implicit-def: $vgpr1_vgpr2
                                        ; implicit-def: $vgpr13_vgpr14
	v_lshlrev_b32_e32 v20, 2, v0
	v_lshlrev_b32_e32 v21, 3, v0
	s_cbranch_execz .LBB2268_28
.LBB2268_25:
	v_add_co_u32 v1, vcc_lo, v4, v20
	v_add_co_ci_u32_e64 v2, null, 0, v5, vcc_lo
	s_mov_b32 s2, exec_lo
	v_add_co_u32 v6, vcc_lo, 0x800, v1
	v_add_co_ci_u32_e64 v7, null, 0, v2, vcc_lo
	s_clause 0x2
	flat_load_dword v3, v[1:2]
	flat_load_dword v11, v[1:2] offset:1024
	flat_load_dword v6, v[6:7]
	v_add_co_u32 v1, vcc_lo, 0x800, v4
	v_add_co_ci_u32_e64 v2, null, 0, v5, vcc_lo
	s_waitcnt vmcnt(1) lgkmcnt(1)
	ds_write2st64_b32 v20, v3, v11 offset1:4
	s_waitcnt vmcnt(0) lgkmcnt(1)
	ds_write_b32 v20, v6 offset:2048
	s_waitcnt lgkmcnt(0)
	s_barrier
	buffer_gl0_inv
	flat_load_dword v5, v[1:2] offset:1024
	v_add_nc_u32_e32 v1, v20, v21
	ds_read_b32 v6, v1
	ds_read2_b32 v[3:4], v1 offset0:1 offset1:2
	s_waitcnt lgkmcnt(1)
	ds_write_b32 v20, v6 offset:4096
	s_waitcnt vmcnt(0) lgkmcnt(0)
	s_barrier
	buffer_gl0_inv
	v_cmpx_ne_u32_e32 0xff, v0
; %bb.26:
	v_sub_nc_u32_e32 v2, 0, v21
	v_add_nc_u32_e32 v2, v1, v2
	ds_read_b32 v5, v2 offset:4100
; %bb.27:
	s_or_b32 exec_lo, exec_lo, s2
	v_add_co_u32 v7, vcc_lo, v8, v20
	v_add_co_ci_u32_e64 v8, null, 0, v15, vcc_lo
	s_waitcnt lgkmcnt(0)
	v_add_co_u32 v11, vcc_lo, 0x800, v7
	v_add_co_ci_u32_e64 v12, null, 0, v8, vcc_lo
	s_barrier
	buffer_gl0_inv
	s_clause 0x2
	flat_load_dword v2, v[7:8]
	flat_load_dword v7, v[7:8] offset:1024
	flat_load_dword v8, v[11:12]
	v_cmp_eq_u32_e32 vcc_lo, v6, v3
	v_cmp_ne_u32_e64 s2, v4, v5
	s_mov_b32 s8, -1
	s_waitcnt vmcnt(1) lgkmcnt(1)
	ds_write2st64_b32 v20, v2, v7 offset1:4
	s_waitcnt vmcnt(0) lgkmcnt(1)
	ds_write_b32 v20, v8 offset:2048
	s_waitcnt lgkmcnt(0)
	s_barrier
	buffer_gl0_inv
	ds_read2_b32 v[7:8], v1 offset1:1
	ds_read_b32 v13, v1 offset:8
	s_waitcnt lgkmcnt(1)
	v_cndmask_b32_e32 v11, s22, v7, vcc_lo
	v_cmp_eq_u32_e32 vcc_lo, v3, v4
	v_cndmask_b32_e32 v1, s22, v8, vcc_lo
	v_cmp_ne_u32_e32 vcc_lo, v3, v4
	v_cndmask_b32_e64 v2, 0, 1, vcc_lo
	v_cmp_ne_u32_e32 vcc_lo, v6, v3
	s_waitcnt lgkmcnt(0)
	v_cndmask_b32_e64 v3, v13, s22, s2
	v_mov_b32_e32 v14, v2
	v_cndmask_b32_e64 v12, 0, 1, vcc_lo
	v_mov_b32_e32 v13, v1
.LBB2268_28:
	v_mov_b32_e32 v15, 0
	v_mov_b32_e32 v16, 0
	s_and_saveexec_b32 s3, s8
; %bb.29:
	v_cndmask_b32_e64 v4, 0, 1, s2
	v_mov_b32_e32 v14, v2
	v_mov_b32_e32 v13, v1
	;; [unrolled: 1-line block ×4, first 2 shown]
; %bb.30:
	s_or_b32 exec_lo, exec_lo, s3
	v_or_b32_e32 v25, v14, v16
	v_mbcnt_lo_u32_b32 v22, -1, 0
	v_lshrrev_b32_e32 v23, 5, v0
	v_or_b32_e32 v24, 31, v0
	s_cmp_lg_u32 s13, 0
	s_mov_b32 s4, 0
	s_barrier
	buffer_gl0_inv
	s_cbranch_scc0 .LBB2268_56
; %bb.31:
	v_and_b32_e32 v2, 0xff, v25
	v_mov_b32_e32 v1, 0
	s_mov_b32 s5, 1
	v_cmp_gt_u64_e64 s2, s[4:5], v[13:14]
	v_cmp_eq_u64_e32 vcc_lo, 0, v[1:2]
	v_cndmask_b32_e64 v3, 0, v11, s2
	v_cndmask_b32_e32 v2, 1, v12, vcc_lo
	v_cmp_gt_u64_e32 vcc_lo, s[4:5], v[15:16]
	v_add_nc_u32_e32 v3, v3, v13
	v_and_b32_e32 v4, 0xff, v2
	v_and_b32_e32 v6, 1, v2
	v_cndmask_b32_e32 v3, 0, v3, vcc_lo
	v_mov_b32_dpp v5, v4 row_shr:1 row_mask:0xf bank_mask:0xf
	v_cmp_eq_u32_e32 vcc_lo, 1, v6
	v_and_b32_e32 v6, 15, v22
	v_add_nc_u32_e32 v3, v3, v15
	v_and_b32_e32 v5, 1, v5
	v_mov_b32_dpp v7, v3 row_shr:1 row_mask:0xf bank_mask:0xf
	v_cndmask_b32_e64 v5, v5, 1, vcc_lo
	v_cmp_eq_u16_e32 vcc_lo, 0, v4
	v_and_b32_e32 v8, 0xffff, v5
	v_cndmask_b32_e32 v7, 0, v7, vcc_lo
	v_cmp_eq_u32_e32 vcc_lo, 0, v6
	v_cndmask_b32_e32 v4, v8, v4, vcc_lo
	v_cndmask_b32_e32 v2, v5, v2, vcc_lo
	v_cndmask_b32_e64 v7, v7, 0, vcc_lo
	v_mov_b32_dpp v5, v4 row_shr:2 row_mask:0xf bank_mask:0xf
	v_and_b32_e32 v8, 1, v2
	v_add_nc_u32_e32 v3, v7, v3
	v_cmp_eq_u16_sdwa s4, v2, v1 src0_sel:BYTE_0 src1_sel:DWORD
	v_and_b32_e32 v5, 1, v5
	v_cmp_eq_u32_e32 vcc_lo, 1, v8
	v_cndmask_b32_e64 v5, v5, 1, vcc_lo
	v_cmp_lt_u32_e32 vcc_lo, 1, v6
	v_and_b32_e32 v8, 0xffff, v5
	v_cndmask_b32_e32 v5, v2, v5, vcc_lo
	v_mov_b32_dpp v2, v3 row_shr:2 row_mask:0xf bank_mask:0xf
	v_cndmask_b32_e32 v4, v4, v8, vcc_lo
	v_and_b32_e32 v7, 1, v5
	s_and_b32 vcc_lo, vcc_lo, s4
	v_cndmask_b32_e32 v2, 0, v2, vcc_lo
	v_mov_b32_dpp v8, v4 row_shr:4 row_mask:0xf bank_mask:0xf
	v_cmp_eq_u32_e64 s3, 1, v7
	v_cmp_lt_u32_e32 vcc_lo, 3, v6
	v_add_nc_u32_e32 v2, v2, v3
	v_and_b32_e32 v8, 1, v8
	v_cndmask_b32_e64 v7, v8, 1, s3
	v_cmp_eq_u16_sdwa s3, v5, v1 src0_sel:BYTE_0 src1_sel:DWORD
	v_and_b32_e32 v8, 0xffff, v7
	v_cndmask_b32_e32 v3, v5, v7, vcc_lo
	v_mov_b32_dpp v5, v2 row_shr:4 row_mask:0xf bank_mask:0xf
	v_cndmask_b32_e32 v4, v4, v8, vcc_lo
	s_and_b32 vcc_lo, vcc_lo, s3
	v_and_b32_e32 v8, 1, v3
	v_cndmask_b32_e32 v5, 0, v5, vcc_lo
	v_cmp_eq_u16_sdwa s3, v3, v1 src0_sel:BYTE_0 src1_sel:DWORD
	v_mov_b32_dpp v7, v4 row_shr:8 row_mask:0xf bank_mask:0xf
	v_cmp_eq_u32_e32 vcc_lo, 1, v8
	v_add_nc_u32_e32 v2, v5, v2
	v_and_b32_e32 v7, 1, v7
	v_cndmask_b32_e64 v5, v7, 1, vcc_lo
	v_cmp_lt_u32_e32 vcc_lo, 7, v6
	v_mov_b32_dpp v6, v2 row_shr:8 row_mask:0xf bank_mask:0xf
	s_and_b32 s3, vcc_lo, s3
	v_cndmask_b32_e32 v7, v3, v5, vcc_lo
	v_cndmask_b32_e64 v3, 0, v6, s3
	v_and_b32_e32 v5, 0xffff, v5
	v_and_b32_e32 v6, 16, v22
	v_add_nc_u32_e32 v2, v3, v2
	v_cndmask_b32_e32 v3, v4, v5, vcc_lo
	v_cmp_eq_u16_sdwa vcc_lo, v7, v1 src0_sel:BYTE_0 src1_sel:DWORD
	v_bfe_i32 v5, v22, 4, 1
	v_cmp_eq_u32_e64 s3, 0, v6
	ds_swizzle_b32 v4, v2 offset:swizzle(BROADCAST,32,15)
	ds_swizzle_b32 v3, v3 offset:swizzle(BROADCAST,32,15)
	s_waitcnt lgkmcnt(1)
	v_cndmask_b32_e32 v1, 0, v4, vcc_lo
	v_and_b32_e32 v4, 1, v7
	s_waitcnt lgkmcnt(0)
	v_and_b32_e32 v3, 1, v3
	v_and_b32_e32 v1, v5, v1
	v_cmp_eq_u32_e32 vcc_lo, 1, v4
	v_lshlrev_b32_e32 v5, 3, v23
	v_cndmask_b32_e64 v4, v3, 1, vcc_lo
	v_add_nc_u32_e32 v3, v1, v2
	v_cndmask_b32_e64 v4, v4, v7, s3
	s_mov_b32 s3, exec_lo
	v_cmpx_eq_u32_e64 v0, v24
	s_cbranch_execz .LBB2268_33
; %bb.32:
	ds_write_b32 v5, v3
	ds_write_b8 v5, v4 offset:4
.LBB2268_33:
	s_or_b32 exec_lo, exec_lo, s3
	s_mov_b32 s3, exec_lo
	s_waitcnt lgkmcnt(0)
	s_barrier
	buffer_gl0_inv
	v_cmpx_gt_u32_e32 8, v0
	s_cbranch_execz .LBB2268_39
; %bb.34:
	ds_read_b64 v[1:2], v21
	v_and_b32_e32 v6, 7, v22
	s_mov_b32 s4, exec_lo
	s_waitcnt lgkmcnt(0)
	v_and_b32_e32 v7, 0xffffff00, v2
	v_mov_b32_dpp v17, v1 row_shr:1 row_mask:0xf bank_mask:0xf
	v_mov_b32_dpp v18, v2 row_shr:1 row_mask:0xf bank_mask:0xf
	v_mov_b32_e32 v8, v2
	v_cmpx_ne_u32_e32 0, v6
	s_cbranch_execz .LBB2268_36
; %bb.35:
	v_mov_b32_e32 v8, 0
	v_and_b32_e32 v19, 1, v2
	v_and_b32_e32 v18, 1, v18
	v_cmp_eq_u16_sdwa vcc_lo, v2, v8 src0_sel:BYTE_0 src1_sel:DWORD
	v_cndmask_b32_e32 v2, 0, v17, vcc_lo
	v_cmp_eq_u32_e32 vcc_lo, 1, v19
	v_add_nc_u32_e32 v1, v2, v1
	v_cndmask_b32_e64 v17, v18, 1, vcc_lo
	v_or_b32_sdwa v8, v7, v17 dst_sel:DWORD dst_unused:UNUSED_PAD src0_sel:DWORD src1_sel:WORD_0
	v_mov_b32_e32 v2, v17
.LBB2268_36:
	s_or_b32 exec_lo, exec_lo, s4
	v_mov_b32_dpp v17, v1 row_shr:2 row_mask:0xf bank_mask:0xf
	v_mov_b32_dpp v18, v8 row_shr:2 row_mask:0xf bank_mask:0xf
	s_mov_b32 s4, exec_lo
	v_cmpx_lt_u32_e32 1, v6
	s_cbranch_execz .LBB2268_38
; %bb.37:
	v_mov_b32_e32 v8, 0
	v_and_b32_e32 v19, 1, v2
	v_and_b32_e32 v18, 1, v18
	v_cmp_eq_u16_sdwa vcc_lo, v2, v8 src0_sel:BYTE_0 src1_sel:DWORD
	v_cndmask_b32_e32 v2, 0, v17, vcc_lo
	v_cmp_eq_u32_e32 vcc_lo, 1, v19
	v_add_nc_u32_e32 v1, v2, v1
	v_cndmask_b32_e64 v17, v18, 1, vcc_lo
	v_or_b32_sdwa v8, v7, v17 dst_sel:DWORD dst_unused:UNUSED_PAD src0_sel:DWORD src1_sel:WORD_0
	v_mov_b32_e32 v2, v17
.LBB2268_38:
	s_or_b32 exec_lo, exec_lo, s4
	v_mov_b32_dpp v7, v8 row_shr:4 row_mask:0xf bank_mask:0xf
	v_and_b32_e32 v17, 1, v2
	v_mov_b32_e32 v8, 0
	v_and_b32_e32 v7, 1, v7
	v_cmp_eq_u32_e32 vcc_lo, 1, v17
	v_cmp_eq_u16_sdwa s4, v2, v8 src0_sel:BYTE_0 src1_sel:DWORD
	v_cndmask_b32_e64 v7, v7, 1, vcc_lo
	v_cmp_lt_u32_e32 vcc_lo, 3, v6
	v_mov_b32_dpp v6, v1 row_shr:4 row_mask:0xf bank_mask:0xf
	v_cndmask_b32_e32 v2, v2, v7, vcc_lo
	s_and_b32 vcc_lo, vcc_lo, s4
	v_cndmask_b32_e32 v6, 0, v6, vcc_lo
	v_add_nc_u32_e32 v1, v6, v1
	ds_write_b32 v21, v1
	ds_write_b8 v21, v2 offset:4
.LBB2268_39:
	s_or_b32 exec_lo, exec_lo, s3
	v_mov_b32_e32 v27, 0
	v_mov_b32_e32 v26, 0
	s_mov_b32 s4, exec_lo
	v_cmp_gt_u32_e32 vcc_lo, 32, v0
	s_waitcnt lgkmcnt(0)
	s_barrier
	buffer_gl0_inv
	v_cmpx_lt_u32_e32 31, v0
	s_cbranch_execz .LBB2268_41
; %bb.40:
	v_add_nc_u32_e32 v1, -8, v5
	v_and_b32_e32 v2, 1, v4
	ds_read_b32 v26, v1
	v_add_nc_u32_e32 v1, -4, v5
	ds_read_u8 v27, v1
	v_mov_b32_e32 v1, 0
	v_cmp_eq_u16_sdwa s3, v4, v1 src0_sel:BYTE_0 src1_sel:DWORD
	s_waitcnt lgkmcnt(1)
	v_cndmask_b32_e64 v1, 0, v26, s3
	v_cmp_eq_u32_e64 s3, 1, v2
	v_add_nc_u32_e32 v3, v1, v3
	s_waitcnt lgkmcnt(0)
	v_cndmask_b32_e64 v4, v27, 1, s3
.LBB2268_41:
	s_or_b32 exec_lo, exec_lo, s4
	v_sub_co_u32 v1, s3, v22, 1
	v_and_b32_e32 v2, 0xff, v4
	v_cmp_gt_i32_e64 s4, 0, v1
	v_cndmask_b32_e64 v1, v1, v22, s4
	v_lshlrev_b32_e32 v1, 2, v1
	ds_bpermute_b32 v28, v1, v3
	ds_bpermute_b32 v29, v1, v2
	s_and_saveexec_b32 s5, vcc_lo
	s_cbranch_execz .LBB2268_61
; %bb.42:
	v_mov_b32_e32 v4, 0
	ds_read_b64 v[1:2], v4 offset:56
	s_and_saveexec_b32 s4, s3
	s_cbranch_execz .LBB2268_44
; %bb.43:
	s_add_i32 s8, s13, 32
	s_mov_b32 s9, 0
	v_mov_b32_e32 v3, 1
	s_lshl_b64 s[8:9], s[8:9], 4
	s_add_u32 s8, s16, s8
	s_addc_u32 s9, s17, s9
	v_mov_b32_e32 v5, s8
	v_mov_b32_e32 v6, s9
	s_waitcnt lgkmcnt(0)
	;;#ASMSTART
	global_store_dwordx4 v[5:6], v[1:4] off	
s_waitcnt vmcnt(0)
	;;#ASMEND
.LBB2268_44:
	s_or_b32 exec_lo, exec_lo, s4
	v_xad_u32 v17, v22, -1, s13
	s_mov_b32 s8, 0
	v_add_nc_u32_e32 v3, 32, v17
	v_lshlrev_b64 v[5:6], 4, v[3:4]
	v_add_co_u32 v18, vcc_lo, s16, v5
	v_add_co_ci_u32_e64 v19, null, s17, v6, vcc_lo
	;;#ASMSTART
	global_load_dwordx4 v[5:8], v[18:19] off glc dlc	
s_waitcnt vmcnt(0)
	;;#ASMEND
	v_and_b32_e32 v6, 0xff, v6
	v_cmp_eq_u16_sdwa s9, v7, v4 src0_sel:BYTE_0 src1_sel:DWORD
	s_and_saveexec_b32 s4, s9
	s_cbranch_execz .LBB2268_48
; %bb.45:
	v_mov_b32_e32 v3, 0
.LBB2268_46:                            ; =>This Inner Loop Header: Depth=1
	;;#ASMSTART
	global_load_dwordx4 v[5:8], v[18:19] off glc dlc	
s_waitcnt vmcnt(0)
	;;#ASMEND
	v_cmp_ne_u16_sdwa s9, v7, v3 src0_sel:BYTE_0 src1_sel:DWORD
	s_or_b32 s8, s9, s8
	s_andn2_b32 exec_lo, exec_lo, s8
	s_cbranch_execnz .LBB2268_46
; %bb.47:
	s_or_b32 exec_lo, exec_lo, s8
	v_and_b32_e32 v6, 0xff, v6
.LBB2268_48:
	s_or_b32 exec_lo, exec_lo, s4
	v_cmp_ne_u32_e32 vcc_lo, 31, v22
	v_mov_b32_e32 v30, 2
	v_lshlrev_b32_e64 v31, v22, -1
	v_and_b32_e32 v8, 1, v6
	s_mov_b32 s8, 0
	v_add_co_ci_u32_e64 v3, null, 0, v22, vcc_lo
	v_cmp_eq_u16_sdwa s4, v7, v30 src0_sel:BYTE_0 src1_sel:DWORD
	v_cmp_eq_u32_e32 vcc_lo, 1, v8
	s_mov_b32 s9, 1
	v_lshlrev_b32_e32 v19, 2, v3
	v_add_nc_u32_e32 v39, 8, v22
	v_and_or_b32 v4, s4, v31, 0x80000000
	v_cmp_gt_u64_e64 s4, s[8:9], v[5:6]
	v_lshl_or_b32 v40, v22, 2, 64
	ds_bpermute_b32 v3, v19, v6
	ds_bpermute_b32 v18, v19, v5
	v_ffbl_b32_e32 v4, v4
	v_add_nc_u32_e32 v41, 16, v22
	s_waitcnt lgkmcnt(1)
	v_and_b32_e32 v3, 1, v3
	v_cndmask_b32_e64 v3, v3, 1, vcc_lo
	v_cmp_gt_u32_e32 vcc_lo, 30, v22
	v_and_b32_e32 v33, 0xffff, v3
	v_cndmask_b32_e64 v8, 0, 2, vcc_lo
	v_cmp_lt_u32_e32 vcc_lo, v22, v4
	v_add_lshl_u32 v32, v8, v22, 2
	v_cndmask_b32_e32 v8, v6, v33, vcc_lo
	v_cndmask_b32_e32 v3, v6, v3, vcc_lo
	s_and_b32 vcc_lo, vcc_lo, s4
	s_waitcnt lgkmcnt(0)
	v_cndmask_b32_e32 v6, 0, v18, vcc_lo
	ds_bpermute_b32 v33, v32, v8
	v_and_b32_e32 v18, 1, v3
	v_add_nc_u32_e32 v5, v6, v5
	v_cmp_eq_u32_e32 vcc_lo, 1, v18
	v_mov_b32_e32 v18, 0
	ds_bpermute_b32 v6, v32, v5
	v_cmp_eq_u16_sdwa s4, v3, v18 src0_sel:BYTE_0 src1_sel:DWORD
	s_waitcnt lgkmcnt(1)
	v_and_b32_e32 v34, 1, v33
	v_add_nc_u32_e32 v33, 2, v22
	v_cndmask_b32_e64 v35, v34, 1, vcc_lo
	v_cmp_gt_u32_e32 vcc_lo, 28, v22
	v_and_b32_e32 v36, 0xffff, v35
	v_cndmask_b32_e64 v34, 0, 4, vcc_lo
	v_cmp_gt_u32_e32 vcc_lo, v33, v4
	v_add_lshl_u32 v34, v34, v22, 2
	v_cndmask_b32_e32 v8, v36, v8, vcc_lo
	v_cndmask_b32_e32 v37, v35, v3, vcc_lo
	s_waitcnt lgkmcnt(0)
	v_cndmask_b32_e64 v3, 0, v6, s4
	v_add_nc_u32_e32 v35, 4, v22
	ds_bpermute_b32 v6, v34, v8
	v_and_b32_e32 v36, 1, v37
	v_cndmask_b32_e64 v3, v3, 0, vcc_lo
	v_cmp_eq_u16_sdwa s4, v37, v18 src0_sel:BYTE_0 src1_sel:DWORD
	v_cmp_eq_u32_e32 vcc_lo, 1, v36
	v_add_nc_u32_e32 v3, v3, v5
	ds_bpermute_b32 v5, v34, v3
	s_waitcnt lgkmcnt(1)
	v_and_b32_e32 v6, 1, v6
	v_cndmask_b32_e64 v6, v6, 1, vcc_lo
	v_cmp_gt_u32_e32 vcc_lo, 24, v22
	v_and_b32_e32 v38, 0xffff, v6
	v_cndmask_b32_e64 v36, 0, 8, vcc_lo
	v_cmp_gt_u32_e32 vcc_lo, v35, v4
	s_waitcnt lgkmcnt(0)
	v_cndmask_b32_e64 v5, 0, v5, s4
	v_add_lshl_u32 v36, v36, v22, 2
	v_cndmask_b32_e32 v8, v38, v8, vcc_lo
	v_cndmask_b32_e32 v6, v6, v37, vcc_lo
	v_cndmask_b32_e64 v5, v5, 0, vcc_lo
	ds_bpermute_b32 v37, v36, v8
	v_and_b32_e32 v38, 1, v6
	v_add_nc_u32_e32 v3, v5, v3
	v_cmp_eq_u32_e32 vcc_lo, 1, v38
	ds_bpermute_b32 v5, v36, v3
	s_waitcnt lgkmcnt(1)
	v_and_b32_e32 v37, 1, v37
	v_cndmask_b32_e64 v37, v37, 1, vcc_lo
	v_cmp_eq_u16_sdwa vcc_lo, v6, v18 src0_sel:BYTE_0 src1_sel:DWORD
	v_and_b32_e32 v38, 0xffff, v37
	s_waitcnt lgkmcnt(0)
	v_cndmask_b32_e32 v5, 0, v5, vcc_lo
	v_cmp_gt_u32_e32 vcc_lo, v39, v4
	v_cndmask_b32_e64 v5, v5, 0, vcc_lo
	v_cndmask_b32_e32 v8, v38, v8, vcc_lo
	v_cndmask_b32_e32 v6, v37, v6, vcc_lo
	v_add_nc_u32_e32 v3, v5, v3
	ds_bpermute_b32 v5, v40, v8
	v_and_b32_e32 v37, 1, v6
	v_cmp_eq_u16_sdwa vcc_lo, v6, v18 src0_sel:BYTE_0 src1_sel:DWORD
	ds_bpermute_b32 v8, v40, v3
	s_waitcnt lgkmcnt(1)
	v_and_b32_e32 v5, 1, v5
	s_waitcnt lgkmcnt(0)
	v_cndmask_b32_e32 v8, 0, v8, vcc_lo
	v_cmp_eq_u32_e32 vcc_lo, 1, v37
	v_cndmask_b32_e64 v5, v5, 1, vcc_lo
	v_cmp_gt_u32_e32 vcc_lo, v41, v4
	v_cndmask_b32_e32 v4, v5, v6, vcc_lo
	v_cndmask_b32_e64 v5, v8, 0, vcc_lo
	v_add_nc_u32_e32 v3, v5, v3
	s_branch .LBB2268_52
.LBB2268_49:                            ;   in Loop: Header=BB2268_52 Depth=1
	s_or_b32 exec_lo, exec_lo, s19
	v_and_b32_e32 v6, 0xff, v6
.LBB2268_50:                            ;   in Loop: Header=BB2268_52 Depth=1
	s_or_b32 exec_lo, exec_lo, s4
	ds_bpermute_b32 v3, v19, v6
	v_cmp_eq_u16_sdwa s4, v7, v30 src0_sel:BYTE_0 src1_sel:DWORD
	v_and_b32_e32 v4, 1, v6
	v_subrev_nc_u32_e32 v17, 32, v17
	v_and_or_b32 v8, s4, v31, 0x80000000
	v_cmp_eq_u32_e32 vcc_lo, 1, v4
	v_cmp_gt_u64_e64 s4, s[8:9], v[5:6]
	v_ffbl_b32_e32 v4, v8
	ds_bpermute_b32 v8, v19, v5
	s_waitcnt lgkmcnt(1)
	v_and_b32_e32 v3, 1, v3
	v_cndmask_b32_e64 v3, v3, 1, vcc_lo
	v_cmp_lt_u32_e32 vcc_lo, v22, v4
	v_and_b32_e32 v42, 0xffff, v3
	v_cndmask_b32_e32 v3, v6, v3, vcc_lo
	v_cndmask_b32_e32 v42, v6, v42, vcc_lo
	s_and_b32 vcc_lo, vcc_lo, s4
	v_cmp_eq_u16_sdwa s4, v3, v18 src0_sel:BYTE_0 src1_sel:DWORD
	s_waitcnt lgkmcnt(0)
	v_cndmask_b32_e32 v6, 0, v8, vcc_lo
	v_and_b32_e32 v8, 1, v3
	ds_bpermute_b32 v43, v32, v42
	v_add_nc_u32_e32 v5, v6, v5
	v_cmp_eq_u32_e32 vcc_lo, 1, v8
	ds_bpermute_b32 v6, v32, v5
	s_waitcnt lgkmcnt(1)
	v_and_b32_e32 v43, 1, v43
	v_cndmask_b32_e64 v8, v43, 1, vcc_lo
	v_cmp_gt_u32_e32 vcc_lo, v33, v4
	v_and_b32_e32 v43, 0xffff, v8
	v_cndmask_b32_e32 v8, v8, v3, vcc_lo
	s_waitcnt lgkmcnt(0)
	v_cndmask_b32_e64 v3, 0, v6, s4
	v_cndmask_b32_e32 v42, v43, v42, vcc_lo
	v_and_b32_e32 v43, 1, v8
	v_cndmask_b32_e64 v3, v3, 0, vcc_lo
	v_cmp_eq_u16_sdwa s4, v8, v18 src0_sel:BYTE_0 src1_sel:DWORD
	ds_bpermute_b32 v6, v34, v42
	v_cmp_eq_u32_e32 vcc_lo, 1, v43
	v_add_nc_u32_e32 v3, v3, v5
	ds_bpermute_b32 v5, v34, v3
	s_waitcnt lgkmcnt(1)
	v_and_b32_e32 v6, 1, v6
	v_cndmask_b32_e64 v6, v6, 1, vcc_lo
	v_cmp_gt_u32_e32 vcc_lo, v35, v4
	s_waitcnt lgkmcnt(0)
	v_cndmask_b32_e64 v5, 0, v5, s4
	s_mov_b32 s4, 0
	v_and_b32_e32 v43, 0xffff, v6
	v_cndmask_b32_e32 v6, v6, v8, vcc_lo
	v_cndmask_b32_e64 v5, v5, 0, vcc_lo
	v_cndmask_b32_e32 v8, v43, v42, vcc_lo
	v_and_b32_e32 v43, 1, v6
	v_add_nc_u32_e32 v3, v5, v3
	ds_bpermute_b32 v42, v36, v8
	v_cmp_eq_u32_e32 vcc_lo, 1, v43
	ds_bpermute_b32 v5, v36, v3
	s_waitcnt lgkmcnt(1)
	v_and_b32_e32 v42, 1, v42
	v_cndmask_b32_e64 v42, v42, 1, vcc_lo
	v_cmp_eq_u16_sdwa vcc_lo, v6, v18 src0_sel:BYTE_0 src1_sel:DWORD
	v_and_b32_e32 v43, 0xffff, v42
	s_waitcnt lgkmcnt(0)
	v_cndmask_b32_e32 v5, 0, v5, vcc_lo
	v_cmp_gt_u32_e32 vcc_lo, v39, v4
	v_cndmask_b32_e64 v5, v5, 0, vcc_lo
	v_cndmask_b32_e32 v8, v43, v8, vcc_lo
	v_cndmask_b32_e32 v6, v42, v6, vcc_lo
	v_add_nc_u32_e32 v3, v5, v3
	ds_bpermute_b32 v5, v40, v8
	v_and_b32_e32 v42, 1, v6
	ds_bpermute_b32 v8, v40, v3
	v_cmp_eq_u32_e32 vcc_lo, 1, v42
	s_waitcnt lgkmcnt(1)
	v_cndmask_b32_e64 v5, v5, 1, vcc_lo
	v_cmp_eq_u16_sdwa vcc_lo, v6, v18 src0_sel:BYTE_0 src1_sel:DWORD
	s_waitcnt lgkmcnt(0)
	v_cndmask_b32_e32 v8, 0, v8, vcc_lo
	v_cmp_gt_u32_e32 vcc_lo, v41, v4
	v_cndmask_b32_e32 v4, v5, v6, vcc_lo
	v_cndmask_b32_e64 v5, v8, 0, vcc_lo
	v_cmp_eq_u16_sdwa vcc_lo, v37, v18 src0_sel:BYTE_0 src1_sel:DWORD
	v_and_b32_e32 v4, 1, v4
	v_add_nc_u32_e32 v3, v5, v3
	v_and_b32_e32 v5, 1, v37
	v_cndmask_b32_e32 v3, 0, v3, vcc_lo
	v_cmp_eq_u32_e32 vcc_lo, 1, v5
	v_add_nc_u32_e32 v3, v3, v38
	v_cndmask_b32_e64 v4, v4, 1, vcc_lo
.LBB2268_51:                            ;   in Loop: Header=BB2268_52 Depth=1
	s_and_b32 vcc_lo, exec_lo, s4
	s_cbranch_vccnz .LBB2268_57
.LBB2268_52:                            ; =>This Loop Header: Depth=1
                                        ;     Child Loop BB2268_55 Depth 2
	v_cmp_ne_u16_sdwa s4, v7, v30 src0_sel:BYTE_0 src1_sel:DWORD
	v_mov_b32_e32 v37, v4
	v_mov_b32_e32 v38, v3
                                        ; implicit-def: $vgpr4
                                        ; implicit-def: $vgpr3
                                        ; implicit-def: $vgpr7
	s_cmp_lg_u32 s4, exec_lo
	s_mov_b32 s4, -1
	s_cbranch_scc1 .LBB2268_51
; %bb.53:                               ;   in Loop: Header=BB2268_52 Depth=1
	v_lshlrev_b64 v[3:4], 4, v[17:18]
	v_add_co_u32 v3, vcc_lo, s16, v3
	v_add_co_ci_u32_e64 v4, null, s17, v4, vcc_lo
	;;#ASMSTART
	global_load_dwordx4 v[5:8], v[3:4] off glc dlc	
s_waitcnt vmcnt(0)
	;;#ASMEND
	v_and_b32_e32 v6, 0xff, v6
	v_cmp_eq_u16_sdwa s19, v7, v18 src0_sel:BYTE_0 src1_sel:DWORD
	s_and_saveexec_b32 s4, s19
	s_cbranch_execz .LBB2268_50
; %bb.54:                               ;   in Loop: Header=BB2268_52 Depth=1
	s_mov_b32 s19, 0
.LBB2268_55:                            ;   Parent Loop BB2268_52 Depth=1
                                        ; =>  This Inner Loop Header: Depth=2
	;;#ASMSTART
	global_load_dwordx4 v[5:8], v[3:4] off glc dlc	
s_waitcnt vmcnt(0)
	;;#ASMEND
	v_cmp_ne_u16_sdwa s23, v7, v18 src0_sel:BYTE_0 src1_sel:DWORD
	s_or_b32 s19, s23, s19
	s_andn2_b32 exec_lo, exec_lo, s19
	s_cbranch_execnz .LBB2268_55
	s_branch .LBB2268_49
.LBB2268_56:
                                        ; implicit-def: $vgpr6
                                        ; implicit-def: $vgpr5
                                        ; implicit-def: $vgpr7
	s_cbranch_execnz .LBB2268_62
	s_branch .LBB2268_77
.LBB2268_57:
	s_and_saveexec_b32 s4, s3
	s_cbranch_execz .LBB2268_59
; %bb.58:
	v_mov_b32_e32 v4, 0
	v_and_b32_e32 v3, 1, v2
	s_mov_b32 s9, 0
	s_add_i32 s8, s13, 32
	v_and_b32_e32 v5, 1, v37
	v_cmp_eq_u32_sdwa vcc_lo, v2, v4 src0_sel:BYTE_0 src1_sel:DWORD
	s_lshl_b64 s[8:9], s[8:9], 4
	s_add_u32 s8, s16, s8
	s_addc_u32 s9, s17, s9
	v_cndmask_b32_e32 v2, 0, v38, vcc_lo
	v_cmp_eq_u32_e32 vcc_lo, 1, v3
	v_mov_b32_e32 v3, 2
	v_add_nc_u32_e32 v1, v2, v1
	v_cndmask_b32_e64 v2, v5, 1, vcc_lo
	v_mov_b32_e32 v5, s8
	v_mov_b32_e32 v6, s9
	;;#ASMSTART
	global_store_dwordx4 v[5:6], v[1:4] off	
s_waitcnt vmcnt(0)
	;;#ASMEND
.LBB2268_59:
	s_or_b32 exec_lo, exec_lo, s4
	s_and_b32 exec_lo, exec_lo, s0
	s_cbranch_execz .LBB2268_61
; %bb.60:
	v_mov_b32_e32 v1, 0
	ds_write_b32 v1, v38 offset:56
	ds_write_b8 v1, v37 offset:60
.LBB2268_61:
	s_or_b32 exec_lo, exec_lo, s5
	v_mov_b32_e32 v1, 0
	s_waitcnt lgkmcnt(0)
	s_barrier
	buffer_gl0_inv
	v_cndmask_b32_e64 v2, v29, v27, s3
	ds_read_b32 v3, v1 offset:56
	v_cndmask_b32_e64 v4, v28, v26, s3
	v_cmp_eq_u16_sdwa vcc_lo, v2, v1 src0_sel:BYTE_0 src1_sel:DWORD
	s_waitcnt lgkmcnt(0)
	v_cndmask_b32_e32 v2, 0, v3, vcc_lo
	v_add_nc_u32_e32 v4, v2, v4
	v_and_b32_e32 v2, 0xff, v12
	v_cndmask_b32_e64 v6, v4, v3, s0
	v_cmp_eq_u64_e32 vcc_lo, 0, v[1:2]
	v_cndmask_b32_e32 v1, 0, v6, vcc_lo
	v_add_nc_u32_e32 v5, v1, v11
	v_cndmask_b32_e64 v1, 0, v5, s2
	v_add_nc_u32_e32 v7, v1, v13
	s_branch .LBB2268_77
.LBB2268_62:
	s_cmp_eq_u64 s[20:21], 0
	v_mov_b32_e32 v3, s22
	s_cselect_b32 s2, -1, 0
	s_cmp_eq_u64 s[6:7], 0
	s_cselect_b32 s3, -1, 0
	s_or_b32 s2, s2, s3
	s_and_b32 vcc_lo, exec_lo, s2
	s_cbranch_vccnz .LBB2268_64
; %bb.63:
	v_mov_b32_e32 v1, 0
	global_load_dword v3, v1, s[6:7]
.LBB2268_64:
	v_and_b32_e32 v2, 0xff, v25
	v_mov_b32_e32 v1, 0
	s_mov_b32 s4, 0
	s_mov_b32 s5, 1
	v_cmp_gt_u64_e32 vcc_lo, s[4:5], v[13:14]
	v_cmp_eq_u64_e64 s2, 0, v[1:2]
	v_cndmask_b32_e32 v4, 0, v11, vcc_lo
	v_cndmask_b32_e64 v2, 1, v12, s2
	v_cmp_gt_u64_e64 s2, s[4:5], v[15:16]
	v_add_nc_u32_e32 v4, v4, v13
	v_and_b32_e32 v5, 0xff, v2
	v_and_b32_e32 v7, 1, v2
	v_cndmask_b32_e64 v4, 0, v4, s2
	v_mov_b32_dpp v6, v5 row_shr:1 row_mask:0xf bank_mask:0xf
	v_cmp_eq_u32_e64 s2, 1, v7
	v_and_b32_e32 v7, 15, v22
	v_add_nc_u32_e32 v4, v4, v15
	v_and_b32_e32 v6, 1, v6
	v_mov_b32_dpp v8, v4 row_shr:1 row_mask:0xf bank_mask:0xf
	v_cndmask_b32_e64 v6, v6, 1, s2
	v_cmp_eq_u16_e64 s2, 0, v5
	v_and_b32_e32 v14, 0xffff, v6
	v_cndmask_b32_e64 v8, 0, v8, s2
	v_cmp_eq_u32_e64 s2, 0, v7
	v_cndmask_b32_e64 v5, v14, v5, s2
	v_cndmask_b32_e64 v2, v6, v2, s2
	;; [unrolled: 1-line block ×3, first 2 shown]
	v_mov_b32_dpp v6, v5 row_shr:2 row_mask:0xf bank_mask:0xf
	v_and_b32_e32 v14, 1, v2
	v_add_nc_u32_e32 v4, v8, v4
	v_cmp_eq_u16_sdwa s4, v2, v1 src0_sel:BYTE_0 src1_sel:DWORD
	v_and_b32_e32 v6, 1, v6
	v_cmp_eq_u32_e64 s2, 1, v14
	v_cndmask_b32_e64 v6, v6, 1, s2
	v_cmp_lt_u32_e64 s2, 1, v7
	v_and_b32_e32 v14, 0xffff, v6
	v_cndmask_b32_e64 v6, v2, v6, s2
	v_mov_b32_dpp v2, v4 row_shr:2 row_mask:0xf bank_mask:0xf
	v_cndmask_b32_e64 v5, v5, v14, s2
	v_and_b32_e32 v8, 1, v6
	s_and_b32 s2, s2, s4
	v_cndmask_b32_e64 v2, 0, v2, s2
	v_mov_b32_dpp v14, v5 row_shr:4 row_mask:0xf bank_mask:0xf
	v_cmp_eq_u32_e64 s3, 1, v8
	v_cmp_lt_u32_e64 s2, 3, v7
	v_add_nc_u32_e32 v2, v2, v4
	v_and_b32_e32 v14, 1, v14
	v_cndmask_b32_e64 v8, v14, 1, s3
	v_cmp_eq_u16_sdwa s3, v6, v1 src0_sel:BYTE_0 src1_sel:DWORD
	v_and_b32_e32 v14, 0xffff, v8
	v_cndmask_b32_e64 v4, v6, v8, s2
	v_mov_b32_dpp v6, v2 row_shr:4 row_mask:0xf bank_mask:0xf
	v_cndmask_b32_e64 v5, v5, v14, s2
	s_and_b32 s2, s2, s3
	v_and_b32_e32 v14, 1, v4
	v_cndmask_b32_e64 v6, 0, v6, s2
	v_cmp_eq_u16_sdwa s3, v4, v1 src0_sel:BYTE_0 src1_sel:DWORD
	v_mov_b32_dpp v8, v5 row_shr:8 row_mask:0xf bank_mask:0xf
	v_cmp_eq_u32_e64 s2, 1, v14
	v_add_nc_u32_e32 v2, v6, v2
	v_and_b32_e32 v8, 1, v8
	v_cndmask_b32_e64 v6, v8, 1, s2
	v_cmp_lt_u32_e64 s2, 7, v7
	v_mov_b32_dpp v7, v2 row_shr:8 row_mask:0xf bank_mask:0xf
	s_and_b32 s3, s2, s3
	v_cndmask_b32_e64 v8, v4, v6, s2
	v_cndmask_b32_e64 v4, 0, v7, s3
	v_and_b32_e32 v6, 0xffff, v6
	v_and_b32_e32 v7, 16, v22
	v_add_nc_u32_e32 v2, v4, v2
	v_cndmask_b32_e64 v4, v5, v6, s2
	v_cmp_eq_u16_sdwa s2, v8, v1 src0_sel:BYTE_0 src1_sel:DWORD
	v_bfe_i32 v6, v22, 4, 1
	v_cmp_eq_u32_e64 s3, 0, v7
	ds_swizzle_b32 v5, v2 offset:swizzle(BROADCAST,32,15)
	ds_swizzle_b32 v4, v4 offset:swizzle(BROADCAST,32,15)
	s_waitcnt lgkmcnt(1)
	v_cndmask_b32_e64 v1, 0, v5, s2
	v_and_b32_e32 v5, 1, v8
	s_waitcnt lgkmcnt(0)
	v_and_b32_e32 v4, 1, v4
	v_and_b32_e32 v1, v6, v1
	v_cmp_eq_u32_e64 s2, 1, v5
	v_lshlrev_b32_e32 v6, 3, v23
	v_cndmask_b32_e64 v5, v4, 1, s2
	v_add_nc_u32_e32 v4, v1, v2
	v_cndmask_b32_e64 v5, v5, v8, s3
	s_mov_b32 s3, exec_lo
	v_cmpx_eq_u32_e64 v0, v24
	s_cbranch_execz .LBB2268_66
; %bb.65:
	ds_write_b32 v6, v4
	ds_write_b8 v6, v5 offset:4
.LBB2268_66:
	s_or_b32 exec_lo, exec_lo, s3
	s_mov_b32 s3, exec_lo
	s_waitcnt vmcnt(0) lgkmcnt(0)
	s_barrier
	buffer_gl0_inv
	v_cmpx_gt_u32_e32 8, v0
	s_cbranch_execz .LBB2268_72
; %bb.67:
	ds_read_b64 v[1:2], v21
	v_and_b32_e32 v7, 7, v22
	s_mov_b32 s4, exec_lo
	s_waitcnt lgkmcnt(0)
	v_and_b32_e32 v8, 0xffffff00, v2
	v_mov_b32_dpp v15, v1 row_shr:1 row_mask:0xf bank_mask:0xf
	v_mov_b32_dpp v16, v2 row_shr:1 row_mask:0xf bank_mask:0xf
	v_mov_b32_e32 v14, v2
	v_cmpx_ne_u32_e32 0, v7
	s_cbranch_execz .LBB2268_69
; %bb.68:
	v_mov_b32_e32 v14, 0
	v_and_b32_e32 v17, 1, v2
	v_and_b32_e32 v16, 1, v16
	v_cmp_eq_u16_sdwa s2, v2, v14 src0_sel:BYTE_0 src1_sel:DWORD
	v_cndmask_b32_e64 v2, 0, v15, s2
	v_cmp_eq_u32_e64 s2, 1, v17
	v_add_nc_u32_e32 v1, v2, v1
	v_cndmask_b32_e64 v15, v16, 1, s2
	v_or_b32_sdwa v14, v8, v15 dst_sel:DWORD dst_unused:UNUSED_PAD src0_sel:DWORD src1_sel:WORD_0
	v_mov_b32_e32 v2, v15
.LBB2268_69:
	s_or_b32 exec_lo, exec_lo, s4
	v_mov_b32_dpp v15, v1 row_shr:2 row_mask:0xf bank_mask:0xf
	v_mov_b32_dpp v16, v14 row_shr:2 row_mask:0xf bank_mask:0xf
	s_mov_b32 s4, exec_lo
	v_cmpx_lt_u32_e32 1, v7
	s_cbranch_execz .LBB2268_71
; %bb.70:
	v_mov_b32_e32 v14, 0
	v_and_b32_e32 v17, 1, v2
	v_and_b32_e32 v16, 1, v16
	v_cmp_eq_u16_sdwa s2, v2, v14 src0_sel:BYTE_0 src1_sel:DWORD
	v_cndmask_b32_e64 v2, 0, v15, s2
	v_cmp_eq_u32_e64 s2, 1, v17
	v_add_nc_u32_e32 v1, v2, v1
	v_cndmask_b32_e64 v15, v16, 1, s2
	v_or_b32_sdwa v14, v8, v15 dst_sel:DWORD dst_unused:UNUSED_PAD src0_sel:DWORD src1_sel:WORD_0
	v_mov_b32_e32 v2, v15
.LBB2268_71:
	s_or_b32 exec_lo, exec_lo, s4
	v_mov_b32_dpp v8, v14 row_shr:4 row_mask:0xf bank_mask:0xf
	v_and_b32_e32 v15, 1, v2
	v_mov_b32_e32 v14, 0
	v_and_b32_e32 v8, 1, v8
	v_cmp_eq_u32_e64 s2, 1, v15
	v_cmp_eq_u16_sdwa s4, v2, v14 src0_sel:BYTE_0 src1_sel:DWORD
	v_cndmask_b32_e64 v8, v8, 1, s2
	v_cmp_lt_u32_e64 s2, 3, v7
	v_mov_b32_dpp v7, v1 row_shr:4 row_mask:0xf bank_mask:0xf
	v_cndmask_b32_e64 v2, v2, v8, s2
	s_and_b32 s2, s2, s4
	v_cndmask_b32_e64 v7, 0, v7, s2
	v_add_nc_u32_e32 v1, v7, v1
	ds_write_b32 v21, v1
	ds_write_b8 v21, v2 offset:4
.LBB2268_72:
	s_or_b32 exec_lo, exec_lo, s3
	v_mov_b32_e32 v2, v3
	s_mov_b32 s3, exec_lo
	s_waitcnt lgkmcnt(0)
	s_barrier
	buffer_gl0_inv
	v_cmpx_lt_u32_e32 31, v0
	s_cbranch_execz .LBB2268_74
; %bb.73:
	v_add_nc_u32_e32 v1, -4, v6
	v_add_nc_u32_e32 v2, -8, v6
	ds_read_u8 v1, v1
	ds_read_b32 v2, v2
	s_waitcnt lgkmcnt(1)
	v_cmp_eq_u16_e64 s2, 0, v1
	v_cndmask_b32_e64 v1, 0, v3, s2
	s_waitcnt lgkmcnt(0)
	v_add_nc_u32_e32 v2, v1, v2
.LBB2268_74:
	s_or_b32 exec_lo, exec_lo, s3
	v_mov_b32_e32 v1, 0
	v_sub_co_u32 v6, s2, v22, 1
	v_cmp_eq_u16_sdwa s3, v5, v1 src0_sel:BYTE_0 src1_sel:DWORD
	v_cndmask_b32_e64 v5, 0, v2, s3
	v_cmp_gt_i32_e64 s3, 0, v6
	v_add_nc_u32_e32 v4, v5, v4
	v_cndmask_b32_e64 v6, v6, v22, s3
	v_lshlrev_b32_e32 v5, 2, v6
	ds_bpermute_b32 v4, v5, v4
	s_waitcnt lgkmcnt(0)
	v_cndmask_b32_e64 v6, v4, v2, s2
	v_and_b32_e32 v2, 0xff, v12
	v_cndmask_b32_e64 v4, v6, v3, s0
	v_cmp_eq_u64_e64 s2, 0, v[1:2]
	v_cndmask_b32_e64 v2, 0, v4, s2
	v_add_nc_u32_e32 v5, v2, v11
	v_cndmask_b32_e32 v2, 0, v5, vcc_lo
	s_and_saveexec_b32 s2, s0
	s_cbranch_execz .LBB2268_76
; %bb.75:
	ds_read_u8 v4, v1 offset:60
	ds_read_b32 v6, v1 offset:56
	v_mov_b32_e32 v16, v1
	s_add_u32 s4, s16, 0x200
	s_addc_u32 s5, s17, 0
	v_mov_b32_e32 v17, v1
	v_mov_b32_e32 v8, s5
	;; [unrolled: 1-line block ×3, first 2 shown]
	s_waitcnt lgkmcnt(1)
	v_and_b32_e32 v15, 0xffff, v4
	v_cmp_eq_u64_e32 vcc_lo, 0, v[15:16]
	v_mov_b32_e32 v16, 2
	v_cndmask_b32_e32 v4, 0, v3, vcc_lo
	s_waitcnt lgkmcnt(0)
	v_add_nc_u32_e32 v14, v4, v6
	v_mov_b32_e32 v6, v3
	;;#ASMSTART
	global_store_dwordx4 v[7:8], v[14:17] off	
s_waitcnt vmcnt(0)
	;;#ASMEND
.LBB2268_76:
	s_or_b32 exec_lo, exec_lo, s2
	v_add_nc_u32_e32 v7, v2, v13
.LBB2268_77:
	s_add_u32 s0, s14, s10
	s_addc_u32 s2, s15, s11
	v_add_co_u32 v8, vcc_lo, s0, v9
	v_add_co_ci_u32_e64 v9, null, s2, v10, vcc_lo
	v_mov_b32_e32 v3, 0
	s_and_b32 vcc_lo, exec_lo, s1
	s_cbranch_vccz .LBB2268_89
; %bb.78:
	v_mul_u32_u24_e32 v1, 3, v0
	v_mov_b32_e32 v4, 0
	v_mov_b32_e32 v2, 0
	s_add_i32 s12, s12, s18
	s_mov_b32 s0, exec_lo
	v_cmpx_gt_u32_e64 s12, v1
	s_cbranch_execz .LBB2268_84
; %bb.79:
	v_add_nc_u32_e32 v3, 1, v1
	v_mov_b32_e32 v2, 0
	v_mov_b32_e32 v4, 0
	s_mov_b32 s1, exec_lo
	v_cmpx_gt_u32_e64 s12, v3
	s_cbranch_execz .LBB2268_83
; %bb.80:
	v_add_nc_u32_e32 v2, 2, v1
	v_cmp_gt_u32_e32 vcc_lo, s12, v2
	v_mov_b32_e32 v2, 0
	s_and_saveexec_b32 s2, vcc_lo
; %bb.81:
	v_mov_b32_e32 v2, v7
; %bb.82:
	s_or_b32 exec_lo, exec_lo, s2
	v_mov_b32_e32 v4, v5
.LBB2268_83:
	s_or_b32 exec_lo, exec_lo, s1
	v_mov_b32_e32 v3, v6
.LBB2268_84:
	s_or_b32 exec_lo, exec_lo, s0
	v_lshlrev_b32_e32 v10, 2, v1
	s_barrier
	buffer_gl0_inv
	s_mov_b32 s0, exec_lo
	v_sub_nc_u32_e32 v1, v10, v21
	ds_write2_b32 v10, v3, v4 offset1:1
	ds_write_b32 v10, v2 offset:8
	s_waitcnt lgkmcnt(0)
	s_barrier
	buffer_gl0_inv
	ds_read2st64_b32 v[1:2], v1 offset0:4 offset1:8
	v_add_co_u32 v3, vcc_lo, v8, v20
	v_add_co_ci_u32_e64 v4, null, 0, v9, vcc_lo
	v_cmpx_gt_u32_e64 s12, v0
	s_cbranch_execz .LBB2268_86
; %bb.85:
	v_sub_nc_u32_e32 v11, 0, v21
	v_add_nc_u32_e32 v10, v10, v11
	ds_read_b32 v10, v10
	s_waitcnt lgkmcnt(0)
	flat_store_dword v[3:4], v10
.LBB2268_86:
	s_or_b32 exec_lo, exec_lo, s0
	v_or_b32_e32 v10, 0x100, v0
	s_mov_b32 s0, exec_lo
	v_cmpx_gt_u32_e64 s12, v10
	s_cbranch_execz .LBB2268_88
; %bb.87:
	s_waitcnt lgkmcnt(0)
	flat_store_dword v[3:4], v1 offset:1024
.LBB2268_88:
	s_or_b32 exec_lo, exec_lo, s0
	s_waitcnt lgkmcnt(0)
	v_or_b32_e32 v1, 0x200, v0
	v_cmp_gt_u32_e64 s0, s12, v1
	s_branch .LBB2268_91
.LBB2268_89:
	s_mov_b32 s0, 0
                                        ; implicit-def: $vgpr2
	s_cbranch_execz .LBB2268_91
; %bb.90:
	v_mul_u32_u24_e32 v1, 12, v0
	s_waitcnt_vscnt null, 0x0
	s_barrier
	buffer_gl0_inv
	s_or_b32 s0, s0, exec_lo
	v_sub_nc_u32_e32 v2, v1, v21
	ds_write2_b32 v1, v6, v5 offset1:1
	ds_write_b32 v1, v7 offset:8
	s_waitcnt lgkmcnt(0)
	s_barrier
	buffer_gl0_inv
	ds_read2st64_b32 v[3:4], v2 offset1:4
	ds_read_b32 v2, v2 offset:2048
	v_add_co_u32 v5, vcc_lo, v8, v20
	v_add_co_ci_u32_e64 v6, null, 0, v9, vcc_lo
	s_waitcnt lgkmcnt(1)
	flat_store_dword v[5:6], v3
	flat_store_dword v[5:6], v4 offset:1024
.LBB2268_91:
	s_and_saveexec_b32 s1, s0
	s_cbranch_execnz .LBB2268_93
; %bb.92:
	s_endpgm
.LBB2268_93:
	v_lshlrev_b32_e32 v0, 2, v0
	v_add_co_u32 v0, vcc_lo, v8, v0
	v_add_co_ci_u32_e64 v1, null, 0, v9, vcc_lo
	v_add_co_u32 v0, vcc_lo, 0x800, v0
	v_add_co_ci_u32_e64 v1, null, 0, v1, vcc_lo
	s_waitcnt lgkmcnt(2)
	flat_store_dword v[0:1], v2
	s_endpgm
.LBB2268_94:
	v_add_co_u32 v2, vcc_lo, v8, v12
	v_add_co_ci_u32_e64 v3, null, 0, v15, vcc_lo
	v_mov_b32_e32 v20, v1
	v_mov_b32_e32 v21, v1
	flat_load_dword v19, v[2:3]
	s_waitcnt vmcnt(0) lgkmcnt(0)
	v_mov_b32_e32 v1, v19
	v_mov_b32_e32 v2, v20
	;; [unrolled: 1-line block ×3, first 2 shown]
	s_or_b32 exec_lo, exec_lo, s4
	s_and_saveexec_b32 s4, s2
	s_cbranch_execz .LBB2268_15
.LBB2268_95:
	v_add_co_u32 v13, vcc_lo, v8, v12
	v_add_co_ci_u32_e64 v14, null, 0, v15, vcc_lo
	flat_load_dword v2, v[13:14] offset:1024
	s_or_b32 exec_lo, exec_lo, s4
	v_mul_u32_u24_e32 v19, 3, v0
	s_and_saveexec_b32 s2, s3
	s_cbranch_execnz .LBB2268_16
	s_branch .LBB2268_17
	.section	.rodata,"a",@progbits
	.p2align	6, 0x0
	.amdhsa_kernel _ZN7rocprim17ROCPRIM_400000_NS6detail17trampoline_kernelINS0_14default_configENS1_27scan_by_key_config_selectorIiiEEZZNS1_16scan_by_key_implILNS1_25lookback_scan_determinismE0ELb1ES3_N6thrust23THRUST_200600_302600_NS10device_ptrIiEESB_SB_iNS9_4plusIvEENS9_8equal_toIvEEiEE10hipError_tPvRmT2_T3_T4_T5_mT6_T7_P12ihipStream_tbENKUlT_T0_E_clISt17integral_constantIbLb0EESV_IbLb1EEEEDaSR_SS_EUlSR_E_NS1_11comp_targetILNS1_3genE8ELNS1_11target_archE1030ELNS1_3gpuE2ELNS1_3repE0EEENS1_30default_config_static_selectorELNS0_4arch9wavefront6targetE0EEEvT1_
		.amdhsa_group_segment_fixed_size 5120
		.amdhsa_private_segment_fixed_size 0
		.amdhsa_kernarg_size 112
		.amdhsa_user_sgpr_count 6
		.amdhsa_user_sgpr_private_segment_buffer 1
		.amdhsa_user_sgpr_dispatch_ptr 0
		.amdhsa_user_sgpr_queue_ptr 0
		.amdhsa_user_sgpr_kernarg_segment_ptr 1
		.amdhsa_user_sgpr_dispatch_id 0
		.amdhsa_user_sgpr_flat_scratch_init 0
		.amdhsa_user_sgpr_private_segment_size 0
		.amdhsa_wavefront_size32 1
		.amdhsa_uses_dynamic_stack 0
		.amdhsa_system_sgpr_private_segment_wavefront_offset 0
		.amdhsa_system_sgpr_workgroup_id_x 1
		.amdhsa_system_sgpr_workgroup_id_y 0
		.amdhsa_system_sgpr_workgroup_id_z 0
		.amdhsa_system_sgpr_workgroup_info 0
		.amdhsa_system_vgpr_workitem_id 0
		.amdhsa_next_free_vgpr 44
		.amdhsa_next_free_sgpr 24
		.amdhsa_reserve_vcc 1
		.amdhsa_reserve_flat_scratch 1
		.amdhsa_float_round_mode_32 0
		.amdhsa_float_round_mode_16_64 0
		.amdhsa_float_denorm_mode_32 3
		.amdhsa_float_denorm_mode_16_64 3
		.amdhsa_dx10_clamp 1
		.amdhsa_ieee_mode 1
		.amdhsa_fp16_overflow 0
		.amdhsa_workgroup_processor_mode 1
		.amdhsa_memory_ordered 1
		.amdhsa_forward_progress 1
		.amdhsa_shared_vgpr_count 0
		.amdhsa_exception_fp_ieee_invalid_op 0
		.amdhsa_exception_fp_denorm_src 0
		.amdhsa_exception_fp_ieee_div_zero 0
		.amdhsa_exception_fp_ieee_overflow 0
		.amdhsa_exception_fp_ieee_underflow 0
		.amdhsa_exception_fp_ieee_inexact 0
		.amdhsa_exception_int_div_zero 0
	.end_amdhsa_kernel
	.section	.text._ZN7rocprim17ROCPRIM_400000_NS6detail17trampoline_kernelINS0_14default_configENS1_27scan_by_key_config_selectorIiiEEZZNS1_16scan_by_key_implILNS1_25lookback_scan_determinismE0ELb1ES3_N6thrust23THRUST_200600_302600_NS10device_ptrIiEESB_SB_iNS9_4plusIvEENS9_8equal_toIvEEiEE10hipError_tPvRmT2_T3_T4_T5_mT6_T7_P12ihipStream_tbENKUlT_T0_E_clISt17integral_constantIbLb0EESV_IbLb1EEEEDaSR_SS_EUlSR_E_NS1_11comp_targetILNS1_3genE8ELNS1_11target_archE1030ELNS1_3gpuE2ELNS1_3repE0EEENS1_30default_config_static_selectorELNS0_4arch9wavefront6targetE0EEEvT1_,"axG",@progbits,_ZN7rocprim17ROCPRIM_400000_NS6detail17trampoline_kernelINS0_14default_configENS1_27scan_by_key_config_selectorIiiEEZZNS1_16scan_by_key_implILNS1_25lookback_scan_determinismE0ELb1ES3_N6thrust23THRUST_200600_302600_NS10device_ptrIiEESB_SB_iNS9_4plusIvEENS9_8equal_toIvEEiEE10hipError_tPvRmT2_T3_T4_T5_mT6_T7_P12ihipStream_tbENKUlT_T0_E_clISt17integral_constantIbLb0EESV_IbLb1EEEEDaSR_SS_EUlSR_E_NS1_11comp_targetILNS1_3genE8ELNS1_11target_archE1030ELNS1_3gpuE2ELNS1_3repE0EEENS1_30default_config_static_selectorELNS0_4arch9wavefront6targetE0EEEvT1_,comdat
.Lfunc_end2268:
	.size	_ZN7rocprim17ROCPRIM_400000_NS6detail17trampoline_kernelINS0_14default_configENS1_27scan_by_key_config_selectorIiiEEZZNS1_16scan_by_key_implILNS1_25lookback_scan_determinismE0ELb1ES3_N6thrust23THRUST_200600_302600_NS10device_ptrIiEESB_SB_iNS9_4plusIvEENS9_8equal_toIvEEiEE10hipError_tPvRmT2_T3_T4_T5_mT6_T7_P12ihipStream_tbENKUlT_T0_E_clISt17integral_constantIbLb0EESV_IbLb1EEEEDaSR_SS_EUlSR_E_NS1_11comp_targetILNS1_3genE8ELNS1_11target_archE1030ELNS1_3gpuE2ELNS1_3repE0EEENS1_30default_config_static_selectorELNS0_4arch9wavefront6targetE0EEEvT1_, .Lfunc_end2268-_ZN7rocprim17ROCPRIM_400000_NS6detail17trampoline_kernelINS0_14default_configENS1_27scan_by_key_config_selectorIiiEEZZNS1_16scan_by_key_implILNS1_25lookback_scan_determinismE0ELb1ES3_N6thrust23THRUST_200600_302600_NS10device_ptrIiEESB_SB_iNS9_4plusIvEENS9_8equal_toIvEEiEE10hipError_tPvRmT2_T3_T4_T5_mT6_T7_P12ihipStream_tbENKUlT_T0_E_clISt17integral_constantIbLb0EESV_IbLb1EEEEDaSR_SS_EUlSR_E_NS1_11comp_targetILNS1_3genE8ELNS1_11target_archE1030ELNS1_3gpuE2ELNS1_3repE0EEENS1_30default_config_static_selectorELNS0_4arch9wavefront6targetE0EEEvT1_
                                        ; -- End function
	.set _ZN7rocprim17ROCPRIM_400000_NS6detail17trampoline_kernelINS0_14default_configENS1_27scan_by_key_config_selectorIiiEEZZNS1_16scan_by_key_implILNS1_25lookback_scan_determinismE0ELb1ES3_N6thrust23THRUST_200600_302600_NS10device_ptrIiEESB_SB_iNS9_4plusIvEENS9_8equal_toIvEEiEE10hipError_tPvRmT2_T3_T4_T5_mT6_T7_P12ihipStream_tbENKUlT_T0_E_clISt17integral_constantIbLb0EESV_IbLb1EEEEDaSR_SS_EUlSR_E_NS1_11comp_targetILNS1_3genE8ELNS1_11target_archE1030ELNS1_3gpuE2ELNS1_3repE0EEENS1_30default_config_static_selectorELNS0_4arch9wavefront6targetE0EEEvT1_.num_vgpr, 44
	.set _ZN7rocprim17ROCPRIM_400000_NS6detail17trampoline_kernelINS0_14default_configENS1_27scan_by_key_config_selectorIiiEEZZNS1_16scan_by_key_implILNS1_25lookback_scan_determinismE0ELb1ES3_N6thrust23THRUST_200600_302600_NS10device_ptrIiEESB_SB_iNS9_4plusIvEENS9_8equal_toIvEEiEE10hipError_tPvRmT2_T3_T4_T5_mT6_T7_P12ihipStream_tbENKUlT_T0_E_clISt17integral_constantIbLb0EESV_IbLb1EEEEDaSR_SS_EUlSR_E_NS1_11comp_targetILNS1_3genE8ELNS1_11target_archE1030ELNS1_3gpuE2ELNS1_3repE0EEENS1_30default_config_static_selectorELNS0_4arch9wavefront6targetE0EEEvT1_.num_agpr, 0
	.set _ZN7rocprim17ROCPRIM_400000_NS6detail17trampoline_kernelINS0_14default_configENS1_27scan_by_key_config_selectorIiiEEZZNS1_16scan_by_key_implILNS1_25lookback_scan_determinismE0ELb1ES3_N6thrust23THRUST_200600_302600_NS10device_ptrIiEESB_SB_iNS9_4plusIvEENS9_8equal_toIvEEiEE10hipError_tPvRmT2_T3_T4_T5_mT6_T7_P12ihipStream_tbENKUlT_T0_E_clISt17integral_constantIbLb0EESV_IbLb1EEEEDaSR_SS_EUlSR_E_NS1_11comp_targetILNS1_3genE8ELNS1_11target_archE1030ELNS1_3gpuE2ELNS1_3repE0EEENS1_30default_config_static_selectorELNS0_4arch9wavefront6targetE0EEEvT1_.numbered_sgpr, 24
	.set _ZN7rocprim17ROCPRIM_400000_NS6detail17trampoline_kernelINS0_14default_configENS1_27scan_by_key_config_selectorIiiEEZZNS1_16scan_by_key_implILNS1_25lookback_scan_determinismE0ELb1ES3_N6thrust23THRUST_200600_302600_NS10device_ptrIiEESB_SB_iNS9_4plusIvEENS9_8equal_toIvEEiEE10hipError_tPvRmT2_T3_T4_T5_mT6_T7_P12ihipStream_tbENKUlT_T0_E_clISt17integral_constantIbLb0EESV_IbLb1EEEEDaSR_SS_EUlSR_E_NS1_11comp_targetILNS1_3genE8ELNS1_11target_archE1030ELNS1_3gpuE2ELNS1_3repE0EEENS1_30default_config_static_selectorELNS0_4arch9wavefront6targetE0EEEvT1_.num_named_barrier, 0
	.set _ZN7rocprim17ROCPRIM_400000_NS6detail17trampoline_kernelINS0_14default_configENS1_27scan_by_key_config_selectorIiiEEZZNS1_16scan_by_key_implILNS1_25lookback_scan_determinismE0ELb1ES3_N6thrust23THRUST_200600_302600_NS10device_ptrIiEESB_SB_iNS9_4plusIvEENS9_8equal_toIvEEiEE10hipError_tPvRmT2_T3_T4_T5_mT6_T7_P12ihipStream_tbENKUlT_T0_E_clISt17integral_constantIbLb0EESV_IbLb1EEEEDaSR_SS_EUlSR_E_NS1_11comp_targetILNS1_3genE8ELNS1_11target_archE1030ELNS1_3gpuE2ELNS1_3repE0EEENS1_30default_config_static_selectorELNS0_4arch9wavefront6targetE0EEEvT1_.private_seg_size, 0
	.set _ZN7rocprim17ROCPRIM_400000_NS6detail17trampoline_kernelINS0_14default_configENS1_27scan_by_key_config_selectorIiiEEZZNS1_16scan_by_key_implILNS1_25lookback_scan_determinismE0ELb1ES3_N6thrust23THRUST_200600_302600_NS10device_ptrIiEESB_SB_iNS9_4plusIvEENS9_8equal_toIvEEiEE10hipError_tPvRmT2_T3_T4_T5_mT6_T7_P12ihipStream_tbENKUlT_T0_E_clISt17integral_constantIbLb0EESV_IbLb1EEEEDaSR_SS_EUlSR_E_NS1_11comp_targetILNS1_3genE8ELNS1_11target_archE1030ELNS1_3gpuE2ELNS1_3repE0EEENS1_30default_config_static_selectorELNS0_4arch9wavefront6targetE0EEEvT1_.uses_vcc, 1
	.set _ZN7rocprim17ROCPRIM_400000_NS6detail17trampoline_kernelINS0_14default_configENS1_27scan_by_key_config_selectorIiiEEZZNS1_16scan_by_key_implILNS1_25lookback_scan_determinismE0ELb1ES3_N6thrust23THRUST_200600_302600_NS10device_ptrIiEESB_SB_iNS9_4plusIvEENS9_8equal_toIvEEiEE10hipError_tPvRmT2_T3_T4_T5_mT6_T7_P12ihipStream_tbENKUlT_T0_E_clISt17integral_constantIbLb0EESV_IbLb1EEEEDaSR_SS_EUlSR_E_NS1_11comp_targetILNS1_3genE8ELNS1_11target_archE1030ELNS1_3gpuE2ELNS1_3repE0EEENS1_30default_config_static_selectorELNS0_4arch9wavefront6targetE0EEEvT1_.uses_flat_scratch, 1
	.set _ZN7rocprim17ROCPRIM_400000_NS6detail17trampoline_kernelINS0_14default_configENS1_27scan_by_key_config_selectorIiiEEZZNS1_16scan_by_key_implILNS1_25lookback_scan_determinismE0ELb1ES3_N6thrust23THRUST_200600_302600_NS10device_ptrIiEESB_SB_iNS9_4plusIvEENS9_8equal_toIvEEiEE10hipError_tPvRmT2_T3_T4_T5_mT6_T7_P12ihipStream_tbENKUlT_T0_E_clISt17integral_constantIbLb0EESV_IbLb1EEEEDaSR_SS_EUlSR_E_NS1_11comp_targetILNS1_3genE8ELNS1_11target_archE1030ELNS1_3gpuE2ELNS1_3repE0EEENS1_30default_config_static_selectorELNS0_4arch9wavefront6targetE0EEEvT1_.has_dyn_sized_stack, 0
	.set _ZN7rocprim17ROCPRIM_400000_NS6detail17trampoline_kernelINS0_14default_configENS1_27scan_by_key_config_selectorIiiEEZZNS1_16scan_by_key_implILNS1_25lookback_scan_determinismE0ELb1ES3_N6thrust23THRUST_200600_302600_NS10device_ptrIiEESB_SB_iNS9_4plusIvEENS9_8equal_toIvEEiEE10hipError_tPvRmT2_T3_T4_T5_mT6_T7_P12ihipStream_tbENKUlT_T0_E_clISt17integral_constantIbLb0EESV_IbLb1EEEEDaSR_SS_EUlSR_E_NS1_11comp_targetILNS1_3genE8ELNS1_11target_archE1030ELNS1_3gpuE2ELNS1_3repE0EEENS1_30default_config_static_selectorELNS0_4arch9wavefront6targetE0EEEvT1_.has_recursion, 0
	.set _ZN7rocprim17ROCPRIM_400000_NS6detail17trampoline_kernelINS0_14default_configENS1_27scan_by_key_config_selectorIiiEEZZNS1_16scan_by_key_implILNS1_25lookback_scan_determinismE0ELb1ES3_N6thrust23THRUST_200600_302600_NS10device_ptrIiEESB_SB_iNS9_4plusIvEENS9_8equal_toIvEEiEE10hipError_tPvRmT2_T3_T4_T5_mT6_T7_P12ihipStream_tbENKUlT_T0_E_clISt17integral_constantIbLb0EESV_IbLb1EEEEDaSR_SS_EUlSR_E_NS1_11comp_targetILNS1_3genE8ELNS1_11target_archE1030ELNS1_3gpuE2ELNS1_3repE0EEENS1_30default_config_static_selectorELNS0_4arch9wavefront6targetE0EEEvT1_.has_indirect_call, 0
	.section	.AMDGPU.csdata,"",@progbits
; Kernel info:
; codeLenInByte = 6348
; TotalNumSgprs: 26
; NumVgprs: 44
; ScratchSize: 0
; MemoryBound: 0
; FloatMode: 240
; IeeeMode: 1
; LDSByteSize: 5120 bytes/workgroup (compile time only)
; SGPRBlocks: 0
; VGPRBlocks: 5
; NumSGPRsForWavesPerEU: 26
; NumVGPRsForWavesPerEU: 44
; Occupancy: 16
; WaveLimiterHint : 1
; COMPUTE_PGM_RSRC2:SCRATCH_EN: 0
; COMPUTE_PGM_RSRC2:USER_SGPR: 6
; COMPUTE_PGM_RSRC2:TRAP_HANDLER: 0
; COMPUTE_PGM_RSRC2:TGID_X_EN: 1
; COMPUTE_PGM_RSRC2:TGID_Y_EN: 0
; COMPUTE_PGM_RSRC2:TGID_Z_EN: 0
; COMPUTE_PGM_RSRC2:TIDIG_COMP_CNT: 0
	.text
	.p2alignl 6, 3214868480
	.fill 48, 4, 3214868480
	.section	.AMDGPU.gpr_maximums,"",@progbits
	.set amdgpu.max_num_vgpr, 0
	.set amdgpu.max_num_agpr, 0
	.set amdgpu.max_num_sgpr, 0
	.text
	.type	__hip_cuid_98ab502380fafec4,@object ; @__hip_cuid_98ab502380fafec4
	.section	.bss,"aw",@nobits
	.globl	__hip_cuid_98ab502380fafec4
__hip_cuid_98ab502380fafec4:
	.byte	0                               ; 0x0
	.size	__hip_cuid_98ab502380fafec4, 1

	.ident	"AMD clang version 22.0.0git (https://github.com/RadeonOpenCompute/llvm-project roc-7.2.4 26084 f58b06dce1f9c15707c5f808fd002e18c2accf7e)"
	.section	".note.GNU-stack","",@progbits
	.addrsig
	.addrsig_sym __hip_cuid_98ab502380fafec4
	.amdgpu_metadata
---
amdhsa.kernels:
  - .args:
      - .offset:         0
        .size:           4
        .value_kind:     by_value
      - .address_space:  global
        .offset:         8
        .size:           8
        .value_kind:     global_buffer
      - .address_space:  global
        .offset:         16
        .size:           8
        .value_kind:     global_buffer
      - .address_space:  global
        .offset:         24
        .size:           8
        .value_kind:     global_buffer
    .group_segment_fixed_size: 0
    .kernarg_segment_align: 8
    .kernarg_segment_size: 32
    .language:       OpenCL C
    .language_version:
      - 2
      - 0
    .max_flat_workgroup_size: 256
    .name:           _Z24InclusiveScanByKeyKerneliPiS_S_
    .private_segment_fixed_size: 0
    .sgpr_count:     12
    .sgpr_spill_count: 0
    .symbol:         _Z24InclusiveScanByKeyKerneliPiS_S_.kd
    .uniform_work_group_size: 1
    .uses_dynamic_stack: false
    .vgpr_count:     5
    .vgpr_spill_count: 0
    .wavefront_size: 32
    .workgroup_processor_mode: 1
  - .args:
      - .offset:         0
        .size:           4
        .value_kind:     by_value
      - .address_space:  global
        .offset:         8
        .size:           8
        .value_kind:     global_buffer
      - .address_space:  global
        .offset:         16
        .size:           8
        .value_kind:     global_buffer
      - .address_space:  global
        .offset:         24
        .size:           8
        .value_kind:     global_buffer
    .group_segment_fixed_size: 0
    .kernarg_segment_align: 8
    .kernarg_segment_size: 32
    .language:       OpenCL C
    .language_version:
      - 2
      - 0
    .max_flat_workgroup_size: 256
    .name:           _Z24ExclusiveScanByKeyKerneliPiS_S_
    .private_segment_fixed_size: 0
    .sgpr_count:     12
    .sgpr_spill_count: 0
    .symbol:         _Z24ExclusiveScanByKeyKerneliPiS_S_.kd
    .uniform_work_group_size: 1
    .uses_dynamic_stack: false
    .vgpr_count:     5
    .vgpr_spill_count: 0
    .wavefront_size: 32
    .workgroup_processor_mode: 1
  - .args:
      - .offset:         0
        .size:           16
        .value_kind:     by_value
      - .offset:         16
        .size:           8
        .value_kind:     by_value
      - .offset:         24
        .size:           8
        .value_kind:     by_value
    .group_segment_fixed_size: 0
    .kernarg_segment_align: 8
    .kernarg_segment_size: 32
    .language:       OpenCL C
    .language_version:
      - 2
      - 0
    .max_flat_workgroup_size: 256
    .name:           _ZN6thrust23THRUST_200600_302600_NS11hip_rocprim14__parallel_for6kernelILj256ENS1_20__uninitialized_fill7functorINS0_10device_ptrIxEExEEmLj1EEEvT0_T1_SA_
    .private_segment_fixed_size: 0
    .sgpr_count:     18
    .sgpr_spill_count: 0
    .symbol:         _ZN6thrust23THRUST_200600_302600_NS11hip_rocprim14__parallel_for6kernelILj256ENS1_20__uninitialized_fill7functorINS0_10device_ptrIxEExEEmLj1EEEvT0_T1_SA_.kd
    .uniform_work_group_size: 1
    .uses_dynamic_stack: false
    .vgpr_count:     5
    .vgpr_spill_count: 0
    .wavefront_size: 32
    .workgroup_processor_mode: 1
  - .args:
      - .offset:         0
        .size:           24
        .value_kind:     by_value
      - .offset:         24
        .size:           4
        .value_kind:     by_value
      - .offset:         28
        .size:           4
        .value_kind:     by_value
      - .address_space:  global
        .offset:         32
        .size:           8
        .value_kind:     global_buffer
      - .address_space:  global
        .offset:         40
        .size:           8
        .value_kind:     global_buffer
      - .actual_access:  write_only
        .address_space:  global
        .offset:         48
        .size:           8
        .value_kind:     global_buffer
      - .offset:         56
        .size:           8
        .value_kind:     by_value
      - .offset:         64
        .size:           4
        .value_kind:     by_value
      - .offset:         68
        .size:           1
        .value_kind:     by_value
      - .offset:         72
        .size:           4
        .value_kind:     hidden_block_count_x
      - .offset:         76
        .size:           4
        .value_kind:     hidden_block_count_y
      - .offset:         80
        .size:           4
        .value_kind:     hidden_block_count_z
      - .offset:         84
        .size:           2
        .value_kind:     hidden_group_size_x
      - .offset:         86
        .size:           2
        .value_kind:     hidden_group_size_y
      - .offset:         88
        .size:           2
        .value_kind:     hidden_group_size_z
      - .offset:         90
        .size:           2
        .value_kind:     hidden_remainder_x
      - .offset:         92
        .size:           2
        .value_kind:     hidden_remainder_y
      - .offset:         94
        .size:           2
        .value_kind:     hidden_remainder_z
      - .offset:         112
        .size:           8
        .value_kind:     hidden_global_offset_x
      - .offset:         120
        .size:           8
        .value_kind:     hidden_global_offset_y
      - .offset:         128
        .size:           8
        .value_kind:     hidden_global_offset_z
      - .offset:         136
        .size:           2
        .value_kind:     hidden_grid_dims
    .group_segment_fixed_size: 0
    .kernarg_segment_align: 8
    .kernarg_segment_size: 328
    .language:       OpenCL C
    .language_version:
      - 2
      - 0
    .max_flat_workgroup_size: 256
    .name:           _ZN7rocprim17ROCPRIM_400000_NS6detail30init_device_scan_by_key_kernelINS1_19lookback_scan_stateINS0_5tupleIJxbEEELb0ELb0EEEN6thrust23THRUST_200600_302600_NS6detail15normal_iteratorINS8_10device_ptrIxEEEEjNS1_16block_id_wrapperIjLb0EEEEEvT_jjPNSG_10value_typeET0_PNSt15iterator_traitsISJ_E10value_typeEmT1_T2_
    .private_segment_fixed_size: 0
    .sgpr_count:     24
    .sgpr_spill_count: 0
    .symbol:         _ZN7rocprim17ROCPRIM_400000_NS6detail30init_device_scan_by_key_kernelINS1_19lookback_scan_stateINS0_5tupleIJxbEEELb0ELb0EEEN6thrust23THRUST_200600_302600_NS6detail15normal_iteratorINS8_10device_ptrIxEEEEjNS1_16block_id_wrapperIjLb0EEEEEvT_jjPNSG_10value_typeET0_PNSt15iterator_traitsISJ_E10value_typeEmT1_T2_.kd
    .uniform_work_group_size: 1
    .uses_dynamic_stack: false
    .vgpr_count:     8
    .vgpr_spill_count: 0
    .wavefront_size: 32
    .workgroup_processor_mode: 1
  - .args:
      - .offset:         0
        .size:           24
        .value_kind:     by_value
      - .offset:         24
        .size:           4
        .value_kind:     by_value
      - .offset:         28
        .size:           4
        .value_kind:     by_value
      - .address_space:  global
        .offset:         32
        .size:           8
        .value_kind:     global_buffer
      - .offset:         40
        .size:           1
        .value_kind:     by_value
      - .offset:         48
        .size:           4
        .value_kind:     hidden_block_count_x
      - .offset:         52
        .size:           4
        .value_kind:     hidden_block_count_y
      - .offset:         56
        .size:           4
        .value_kind:     hidden_block_count_z
      - .offset:         60
        .size:           2
        .value_kind:     hidden_group_size_x
      - .offset:         62
        .size:           2
        .value_kind:     hidden_group_size_y
      - .offset:         64
        .size:           2
        .value_kind:     hidden_group_size_z
      - .offset:         66
        .size:           2
        .value_kind:     hidden_remainder_x
      - .offset:         68
        .size:           2
        .value_kind:     hidden_remainder_y
      - .offset:         70
        .size:           2
        .value_kind:     hidden_remainder_z
      - .offset:         88
        .size:           8
        .value_kind:     hidden_global_offset_x
      - .offset:         96
        .size:           8
        .value_kind:     hidden_global_offset_y
      - .offset:         104
        .size:           8
        .value_kind:     hidden_global_offset_z
      - .offset:         112
        .size:           2
        .value_kind:     hidden_grid_dims
    .group_segment_fixed_size: 0
    .kernarg_segment_align: 8
    .kernarg_segment_size: 304
    .language:       OpenCL C
    .language_version:
      - 2
      - 0
    .max_flat_workgroup_size: 256
    .name:           _ZN7rocprim17ROCPRIM_400000_NS6detail30init_device_scan_by_key_kernelINS1_19lookback_scan_stateINS0_5tupleIJxbEEELb0ELb0EEENS1_16block_id_wrapperIjLb0EEEEEvT_jjPNS9_10value_typeET0_
    .private_segment_fixed_size: 0
    .sgpr_count:     18
    .sgpr_spill_count: 0
    .symbol:         _ZN7rocprim17ROCPRIM_400000_NS6detail30init_device_scan_by_key_kernelINS1_19lookback_scan_stateINS0_5tupleIJxbEEELb0ELb0EEENS1_16block_id_wrapperIjLb0EEEEEvT_jjPNS9_10value_typeET0_.kd
    .uniform_work_group_size: 1
    .uses_dynamic_stack: false
    .vgpr_count:     5
    .vgpr_spill_count: 0
    .wavefront_size: 32
    .workgroup_processor_mode: 1
  - .args:
      - .offset:         0
        .size:           136
        .value_kind:     by_value
    .group_segment_fixed_size: 0
    .kernarg_segment_align: 8
    .kernarg_segment_size: 136
    .language:       OpenCL C
    .language_version:
      - 2
      - 0
    .max_flat_workgroup_size: 256
    .name:           _ZN7rocprim17ROCPRIM_400000_NS6detail17trampoline_kernelINS0_14default_configENS1_27scan_by_key_config_selectorIxxEEZZNS1_16scan_by_key_implILNS1_25lookback_scan_determinismE0ELb0ES3_N6thrust23THRUST_200600_302600_NS6detail15normal_iteratorINS9_10device_ptrIxEEEESE_SE_xNS9_4plusIvEENS9_8equal_toIvEExEE10hipError_tPvRmT2_T3_T4_T5_mT6_T7_P12ihipStream_tbENKUlT_T0_E_clISt17integral_constantIbLb0EESZ_EEDaSU_SV_EUlSU_E_NS1_11comp_targetILNS1_3genE0ELNS1_11target_archE4294967295ELNS1_3gpuE0ELNS1_3repE0EEENS1_30default_config_static_selectorELNS0_4arch9wavefront6targetE0EEEvT1_
    .private_segment_fixed_size: 0
    .sgpr_count:     0
    .sgpr_spill_count: 0
    .symbol:         _ZN7rocprim17ROCPRIM_400000_NS6detail17trampoline_kernelINS0_14default_configENS1_27scan_by_key_config_selectorIxxEEZZNS1_16scan_by_key_implILNS1_25lookback_scan_determinismE0ELb0ES3_N6thrust23THRUST_200600_302600_NS6detail15normal_iteratorINS9_10device_ptrIxEEEESE_SE_xNS9_4plusIvEENS9_8equal_toIvEExEE10hipError_tPvRmT2_T3_T4_T5_mT6_T7_P12ihipStream_tbENKUlT_T0_E_clISt17integral_constantIbLb0EESZ_EEDaSU_SV_EUlSU_E_NS1_11comp_targetILNS1_3genE0ELNS1_11target_archE4294967295ELNS1_3gpuE0ELNS1_3repE0EEENS1_30default_config_static_selectorELNS0_4arch9wavefront6targetE0EEEvT1_.kd
    .uniform_work_group_size: 1
    .uses_dynamic_stack: false
    .vgpr_count:     0
    .vgpr_spill_count: 0
    .wavefront_size: 32
    .workgroup_processor_mode: 1
  - .args:
      - .offset:         0
        .size:           136
        .value_kind:     by_value
    .group_segment_fixed_size: 0
    .kernarg_segment_align: 8
    .kernarg_segment_size: 136
    .language:       OpenCL C
    .language_version:
      - 2
      - 0
    .max_flat_workgroup_size: 256
    .name:           _ZN7rocprim17ROCPRIM_400000_NS6detail17trampoline_kernelINS0_14default_configENS1_27scan_by_key_config_selectorIxxEEZZNS1_16scan_by_key_implILNS1_25lookback_scan_determinismE0ELb0ES3_N6thrust23THRUST_200600_302600_NS6detail15normal_iteratorINS9_10device_ptrIxEEEESE_SE_xNS9_4plusIvEENS9_8equal_toIvEExEE10hipError_tPvRmT2_T3_T4_T5_mT6_T7_P12ihipStream_tbENKUlT_T0_E_clISt17integral_constantIbLb0EESZ_EEDaSU_SV_EUlSU_E_NS1_11comp_targetILNS1_3genE10ELNS1_11target_archE1201ELNS1_3gpuE5ELNS1_3repE0EEENS1_30default_config_static_selectorELNS0_4arch9wavefront6targetE0EEEvT1_
    .private_segment_fixed_size: 0
    .sgpr_count:     0
    .sgpr_spill_count: 0
    .symbol:         _ZN7rocprim17ROCPRIM_400000_NS6detail17trampoline_kernelINS0_14default_configENS1_27scan_by_key_config_selectorIxxEEZZNS1_16scan_by_key_implILNS1_25lookback_scan_determinismE0ELb0ES3_N6thrust23THRUST_200600_302600_NS6detail15normal_iteratorINS9_10device_ptrIxEEEESE_SE_xNS9_4plusIvEENS9_8equal_toIvEExEE10hipError_tPvRmT2_T3_T4_T5_mT6_T7_P12ihipStream_tbENKUlT_T0_E_clISt17integral_constantIbLb0EESZ_EEDaSU_SV_EUlSU_E_NS1_11comp_targetILNS1_3genE10ELNS1_11target_archE1201ELNS1_3gpuE5ELNS1_3repE0EEENS1_30default_config_static_selectorELNS0_4arch9wavefront6targetE0EEEvT1_.kd
    .uniform_work_group_size: 1
    .uses_dynamic_stack: false
    .vgpr_count:     0
    .vgpr_spill_count: 0
    .wavefront_size: 32
    .workgroup_processor_mode: 1
  - .args:
      - .offset:         0
        .size:           136
        .value_kind:     by_value
    .group_segment_fixed_size: 0
    .kernarg_segment_align: 8
    .kernarg_segment_size: 136
    .language:       OpenCL C
    .language_version:
      - 2
      - 0
    .max_flat_workgroup_size: 256
    .name:           _ZN7rocprim17ROCPRIM_400000_NS6detail17trampoline_kernelINS0_14default_configENS1_27scan_by_key_config_selectorIxxEEZZNS1_16scan_by_key_implILNS1_25lookback_scan_determinismE0ELb0ES3_N6thrust23THRUST_200600_302600_NS6detail15normal_iteratorINS9_10device_ptrIxEEEESE_SE_xNS9_4plusIvEENS9_8equal_toIvEExEE10hipError_tPvRmT2_T3_T4_T5_mT6_T7_P12ihipStream_tbENKUlT_T0_E_clISt17integral_constantIbLb0EESZ_EEDaSU_SV_EUlSU_E_NS1_11comp_targetILNS1_3genE5ELNS1_11target_archE942ELNS1_3gpuE9ELNS1_3repE0EEENS1_30default_config_static_selectorELNS0_4arch9wavefront6targetE0EEEvT1_
    .private_segment_fixed_size: 0
    .sgpr_count:     0
    .sgpr_spill_count: 0
    .symbol:         _ZN7rocprim17ROCPRIM_400000_NS6detail17trampoline_kernelINS0_14default_configENS1_27scan_by_key_config_selectorIxxEEZZNS1_16scan_by_key_implILNS1_25lookback_scan_determinismE0ELb0ES3_N6thrust23THRUST_200600_302600_NS6detail15normal_iteratorINS9_10device_ptrIxEEEESE_SE_xNS9_4plusIvEENS9_8equal_toIvEExEE10hipError_tPvRmT2_T3_T4_T5_mT6_T7_P12ihipStream_tbENKUlT_T0_E_clISt17integral_constantIbLb0EESZ_EEDaSU_SV_EUlSU_E_NS1_11comp_targetILNS1_3genE5ELNS1_11target_archE942ELNS1_3gpuE9ELNS1_3repE0EEENS1_30default_config_static_selectorELNS0_4arch9wavefront6targetE0EEEvT1_.kd
    .uniform_work_group_size: 1
    .uses_dynamic_stack: false
    .vgpr_count:     0
    .vgpr_spill_count: 0
    .wavefront_size: 32
    .workgroup_processor_mode: 1
  - .args:
      - .offset:         0
        .size:           136
        .value_kind:     by_value
    .group_segment_fixed_size: 0
    .kernarg_segment_align: 8
    .kernarg_segment_size: 136
    .language:       OpenCL C
    .language_version:
      - 2
      - 0
    .max_flat_workgroup_size: 64
    .name:           _ZN7rocprim17ROCPRIM_400000_NS6detail17trampoline_kernelINS0_14default_configENS1_27scan_by_key_config_selectorIxxEEZZNS1_16scan_by_key_implILNS1_25lookback_scan_determinismE0ELb0ES3_N6thrust23THRUST_200600_302600_NS6detail15normal_iteratorINS9_10device_ptrIxEEEESE_SE_xNS9_4plusIvEENS9_8equal_toIvEExEE10hipError_tPvRmT2_T3_T4_T5_mT6_T7_P12ihipStream_tbENKUlT_T0_E_clISt17integral_constantIbLb0EESZ_EEDaSU_SV_EUlSU_E_NS1_11comp_targetILNS1_3genE4ELNS1_11target_archE910ELNS1_3gpuE8ELNS1_3repE0EEENS1_30default_config_static_selectorELNS0_4arch9wavefront6targetE0EEEvT1_
    .private_segment_fixed_size: 0
    .sgpr_count:     0
    .sgpr_spill_count: 0
    .symbol:         _ZN7rocprim17ROCPRIM_400000_NS6detail17trampoline_kernelINS0_14default_configENS1_27scan_by_key_config_selectorIxxEEZZNS1_16scan_by_key_implILNS1_25lookback_scan_determinismE0ELb0ES3_N6thrust23THRUST_200600_302600_NS6detail15normal_iteratorINS9_10device_ptrIxEEEESE_SE_xNS9_4plusIvEENS9_8equal_toIvEExEE10hipError_tPvRmT2_T3_T4_T5_mT6_T7_P12ihipStream_tbENKUlT_T0_E_clISt17integral_constantIbLb0EESZ_EEDaSU_SV_EUlSU_E_NS1_11comp_targetILNS1_3genE4ELNS1_11target_archE910ELNS1_3gpuE8ELNS1_3repE0EEENS1_30default_config_static_selectorELNS0_4arch9wavefront6targetE0EEEvT1_.kd
    .uniform_work_group_size: 1
    .uses_dynamic_stack: false
    .vgpr_count:     0
    .vgpr_spill_count: 0
    .wavefront_size: 32
    .workgroup_processor_mode: 1
  - .args:
      - .offset:         0
        .size:           136
        .value_kind:     by_value
    .group_segment_fixed_size: 0
    .kernarg_segment_align: 8
    .kernarg_segment_size: 136
    .language:       OpenCL C
    .language_version:
      - 2
      - 0
    .max_flat_workgroup_size: 256
    .name:           _ZN7rocprim17ROCPRIM_400000_NS6detail17trampoline_kernelINS0_14default_configENS1_27scan_by_key_config_selectorIxxEEZZNS1_16scan_by_key_implILNS1_25lookback_scan_determinismE0ELb0ES3_N6thrust23THRUST_200600_302600_NS6detail15normal_iteratorINS9_10device_ptrIxEEEESE_SE_xNS9_4plusIvEENS9_8equal_toIvEExEE10hipError_tPvRmT2_T3_T4_T5_mT6_T7_P12ihipStream_tbENKUlT_T0_E_clISt17integral_constantIbLb0EESZ_EEDaSU_SV_EUlSU_E_NS1_11comp_targetILNS1_3genE3ELNS1_11target_archE908ELNS1_3gpuE7ELNS1_3repE0EEENS1_30default_config_static_selectorELNS0_4arch9wavefront6targetE0EEEvT1_
    .private_segment_fixed_size: 0
    .sgpr_count:     0
    .sgpr_spill_count: 0
    .symbol:         _ZN7rocprim17ROCPRIM_400000_NS6detail17trampoline_kernelINS0_14default_configENS1_27scan_by_key_config_selectorIxxEEZZNS1_16scan_by_key_implILNS1_25lookback_scan_determinismE0ELb0ES3_N6thrust23THRUST_200600_302600_NS6detail15normal_iteratorINS9_10device_ptrIxEEEESE_SE_xNS9_4plusIvEENS9_8equal_toIvEExEE10hipError_tPvRmT2_T3_T4_T5_mT6_T7_P12ihipStream_tbENKUlT_T0_E_clISt17integral_constantIbLb0EESZ_EEDaSU_SV_EUlSU_E_NS1_11comp_targetILNS1_3genE3ELNS1_11target_archE908ELNS1_3gpuE7ELNS1_3repE0EEENS1_30default_config_static_selectorELNS0_4arch9wavefront6targetE0EEEvT1_.kd
    .uniform_work_group_size: 1
    .uses_dynamic_stack: false
    .vgpr_count:     0
    .vgpr_spill_count: 0
    .wavefront_size: 32
    .workgroup_processor_mode: 1
  - .args:
      - .offset:         0
        .size:           136
        .value_kind:     by_value
    .group_segment_fixed_size: 0
    .kernarg_segment_align: 8
    .kernarg_segment_size: 136
    .language:       OpenCL C
    .language_version:
      - 2
      - 0
    .max_flat_workgroup_size: 256
    .name:           _ZN7rocprim17ROCPRIM_400000_NS6detail17trampoline_kernelINS0_14default_configENS1_27scan_by_key_config_selectorIxxEEZZNS1_16scan_by_key_implILNS1_25lookback_scan_determinismE0ELb0ES3_N6thrust23THRUST_200600_302600_NS6detail15normal_iteratorINS9_10device_ptrIxEEEESE_SE_xNS9_4plusIvEENS9_8equal_toIvEExEE10hipError_tPvRmT2_T3_T4_T5_mT6_T7_P12ihipStream_tbENKUlT_T0_E_clISt17integral_constantIbLb0EESZ_EEDaSU_SV_EUlSU_E_NS1_11comp_targetILNS1_3genE2ELNS1_11target_archE906ELNS1_3gpuE6ELNS1_3repE0EEENS1_30default_config_static_selectorELNS0_4arch9wavefront6targetE0EEEvT1_
    .private_segment_fixed_size: 0
    .sgpr_count:     0
    .sgpr_spill_count: 0
    .symbol:         _ZN7rocprim17ROCPRIM_400000_NS6detail17trampoline_kernelINS0_14default_configENS1_27scan_by_key_config_selectorIxxEEZZNS1_16scan_by_key_implILNS1_25lookback_scan_determinismE0ELb0ES3_N6thrust23THRUST_200600_302600_NS6detail15normal_iteratorINS9_10device_ptrIxEEEESE_SE_xNS9_4plusIvEENS9_8equal_toIvEExEE10hipError_tPvRmT2_T3_T4_T5_mT6_T7_P12ihipStream_tbENKUlT_T0_E_clISt17integral_constantIbLb0EESZ_EEDaSU_SV_EUlSU_E_NS1_11comp_targetILNS1_3genE2ELNS1_11target_archE906ELNS1_3gpuE6ELNS1_3repE0EEENS1_30default_config_static_selectorELNS0_4arch9wavefront6targetE0EEEvT1_.kd
    .uniform_work_group_size: 1
    .uses_dynamic_stack: false
    .vgpr_count:     0
    .vgpr_spill_count: 0
    .wavefront_size: 32
    .workgroup_processor_mode: 1
  - .args:
      - .offset:         0
        .size:           136
        .value_kind:     by_value
    .group_segment_fixed_size: 0
    .kernarg_segment_align: 8
    .kernarg_segment_size: 136
    .language:       OpenCL C
    .language_version:
      - 2
      - 0
    .max_flat_workgroup_size: 256
    .name:           _ZN7rocprim17ROCPRIM_400000_NS6detail17trampoline_kernelINS0_14default_configENS1_27scan_by_key_config_selectorIxxEEZZNS1_16scan_by_key_implILNS1_25lookback_scan_determinismE0ELb0ES3_N6thrust23THRUST_200600_302600_NS6detail15normal_iteratorINS9_10device_ptrIxEEEESE_SE_xNS9_4plusIvEENS9_8equal_toIvEExEE10hipError_tPvRmT2_T3_T4_T5_mT6_T7_P12ihipStream_tbENKUlT_T0_E_clISt17integral_constantIbLb0EESZ_EEDaSU_SV_EUlSU_E_NS1_11comp_targetILNS1_3genE10ELNS1_11target_archE1200ELNS1_3gpuE4ELNS1_3repE0EEENS1_30default_config_static_selectorELNS0_4arch9wavefront6targetE0EEEvT1_
    .private_segment_fixed_size: 0
    .sgpr_count:     0
    .sgpr_spill_count: 0
    .symbol:         _ZN7rocprim17ROCPRIM_400000_NS6detail17trampoline_kernelINS0_14default_configENS1_27scan_by_key_config_selectorIxxEEZZNS1_16scan_by_key_implILNS1_25lookback_scan_determinismE0ELb0ES3_N6thrust23THRUST_200600_302600_NS6detail15normal_iteratorINS9_10device_ptrIxEEEESE_SE_xNS9_4plusIvEENS9_8equal_toIvEExEE10hipError_tPvRmT2_T3_T4_T5_mT6_T7_P12ihipStream_tbENKUlT_T0_E_clISt17integral_constantIbLb0EESZ_EEDaSU_SV_EUlSU_E_NS1_11comp_targetILNS1_3genE10ELNS1_11target_archE1200ELNS1_3gpuE4ELNS1_3repE0EEENS1_30default_config_static_selectorELNS0_4arch9wavefront6targetE0EEEvT1_.kd
    .uniform_work_group_size: 1
    .uses_dynamic_stack: false
    .vgpr_count:     0
    .vgpr_spill_count: 0
    .wavefront_size: 32
    .workgroup_processor_mode: 1
  - .args:
      - .offset:         0
        .size:           136
        .value_kind:     by_value
    .group_segment_fixed_size: 0
    .kernarg_segment_align: 8
    .kernarg_segment_size: 136
    .language:       OpenCL C
    .language_version:
      - 2
      - 0
    .max_flat_workgroup_size: 256
    .name:           _ZN7rocprim17ROCPRIM_400000_NS6detail17trampoline_kernelINS0_14default_configENS1_27scan_by_key_config_selectorIxxEEZZNS1_16scan_by_key_implILNS1_25lookback_scan_determinismE0ELb0ES3_N6thrust23THRUST_200600_302600_NS6detail15normal_iteratorINS9_10device_ptrIxEEEESE_SE_xNS9_4plusIvEENS9_8equal_toIvEExEE10hipError_tPvRmT2_T3_T4_T5_mT6_T7_P12ihipStream_tbENKUlT_T0_E_clISt17integral_constantIbLb0EESZ_EEDaSU_SV_EUlSU_E_NS1_11comp_targetILNS1_3genE9ELNS1_11target_archE1100ELNS1_3gpuE3ELNS1_3repE0EEENS1_30default_config_static_selectorELNS0_4arch9wavefront6targetE0EEEvT1_
    .private_segment_fixed_size: 0
    .sgpr_count:     0
    .sgpr_spill_count: 0
    .symbol:         _ZN7rocprim17ROCPRIM_400000_NS6detail17trampoline_kernelINS0_14default_configENS1_27scan_by_key_config_selectorIxxEEZZNS1_16scan_by_key_implILNS1_25lookback_scan_determinismE0ELb0ES3_N6thrust23THRUST_200600_302600_NS6detail15normal_iteratorINS9_10device_ptrIxEEEESE_SE_xNS9_4plusIvEENS9_8equal_toIvEExEE10hipError_tPvRmT2_T3_T4_T5_mT6_T7_P12ihipStream_tbENKUlT_T0_E_clISt17integral_constantIbLb0EESZ_EEDaSU_SV_EUlSU_E_NS1_11comp_targetILNS1_3genE9ELNS1_11target_archE1100ELNS1_3gpuE3ELNS1_3repE0EEENS1_30default_config_static_selectorELNS0_4arch9wavefront6targetE0EEEvT1_.kd
    .uniform_work_group_size: 1
    .uses_dynamic_stack: false
    .vgpr_count:     0
    .vgpr_spill_count: 0
    .wavefront_size: 32
    .workgroup_processor_mode: 1
  - .args:
      - .offset:         0
        .size:           136
        .value_kind:     by_value
    .group_segment_fixed_size: 30720
    .kernarg_segment_align: 8
    .kernarg_segment_size: 136
    .language:       OpenCL C
    .language_version:
      - 2
      - 0
    .max_flat_workgroup_size: 256
    .name:           _ZN7rocprim17ROCPRIM_400000_NS6detail17trampoline_kernelINS0_14default_configENS1_27scan_by_key_config_selectorIxxEEZZNS1_16scan_by_key_implILNS1_25lookback_scan_determinismE0ELb0ES3_N6thrust23THRUST_200600_302600_NS6detail15normal_iteratorINS9_10device_ptrIxEEEESE_SE_xNS9_4plusIvEENS9_8equal_toIvEExEE10hipError_tPvRmT2_T3_T4_T5_mT6_T7_P12ihipStream_tbENKUlT_T0_E_clISt17integral_constantIbLb0EESZ_EEDaSU_SV_EUlSU_E_NS1_11comp_targetILNS1_3genE8ELNS1_11target_archE1030ELNS1_3gpuE2ELNS1_3repE0EEENS1_30default_config_static_selectorELNS0_4arch9wavefront6targetE0EEEvT1_
    .private_segment_fixed_size: 0
    .sgpr_count:     51
    .sgpr_spill_count: 0
    .symbol:         _ZN7rocprim17ROCPRIM_400000_NS6detail17trampoline_kernelINS0_14default_configENS1_27scan_by_key_config_selectorIxxEEZZNS1_16scan_by_key_implILNS1_25lookback_scan_determinismE0ELb0ES3_N6thrust23THRUST_200600_302600_NS6detail15normal_iteratorINS9_10device_ptrIxEEEESE_SE_xNS9_4plusIvEENS9_8equal_toIvEExEE10hipError_tPvRmT2_T3_T4_T5_mT6_T7_P12ihipStream_tbENKUlT_T0_E_clISt17integral_constantIbLb0EESZ_EEDaSU_SV_EUlSU_E_NS1_11comp_targetILNS1_3genE8ELNS1_11target_archE1030ELNS1_3gpuE2ELNS1_3repE0EEENS1_30default_config_static_selectorELNS0_4arch9wavefront6targetE0EEEvT1_.kd
    .uniform_work_group_size: 1
    .uses_dynamic_stack: false
    .vgpr_count:     106
    .vgpr_spill_count: 0
    .wavefront_size: 32
    .workgroup_processor_mode: 1
  - .args:
      - .offset:         0
        .size:           24
        .value_kind:     by_value
      - .offset:         24
        .size:           4
        .value_kind:     by_value
      - .offset:         28
        .size:           4
        .value_kind:     by_value
      - .address_space:  global
        .offset:         32
        .size:           8
        .value_kind:     global_buffer
      - .address_space:  global
        .offset:         40
        .size:           8
        .value_kind:     global_buffer
      - .actual_access:  write_only
        .address_space:  global
        .offset:         48
        .size:           8
        .value_kind:     global_buffer
      - .offset:         56
        .size:           8
        .value_kind:     by_value
      - .offset:         64
        .size:           4
        .value_kind:     by_value
      - .address_space:  global
        .offset:         72
        .size:           8
        .value_kind:     global_buffer
      - .offset:         80
        .size:           4
        .value_kind:     hidden_block_count_x
      - .offset:         84
        .size:           4
        .value_kind:     hidden_block_count_y
      - .offset:         88
        .size:           4
        .value_kind:     hidden_block_count_z
      - .offset:         92
        .size:           2
        .value_kind:     hidden_group_size_x
      - .offset:         94
        .size:           2
        .value_kind:     hidden_group_size_y
      - .offset:         96
        .size:           2
        .value_kind:     hidden_group_size_z
      - .offset:         98
        .size:           2
        .value_kind:     hidden_remainder_x
      - .offset:         100
        .size:           2
        .value_kind:     hidden_remainder_y
      - .offset:         102
        .size:           2
        .value_kind:     hidden_remainder_z
      - .offset:         120
        .size:           8
        .value_kind:     hidden_global_offset_x
      - .offset:         128
        .size:           8
        .value_kind:     hidden_global_offset_y
      - .offset:         136
        .size:           8
        .value_kind:     hidden_global_offset_z
      - .offset:         144
        .size:           2
        .value_kind:     hidden_grid_dims
    .group_segment_fixed_size: 0
    .kernarg_segment_align: 8
    .kernarg_segment_size: 336
    .language:       OpenCL C
    .language_version:
      - 2
      - 0
    .max_flat_workgroup_size: 256
    .name:           _ZN7rocprim17ROCPRIM_400000_NS6detail30init_device_scan_by_key_kernelINS1_19lookback_scan_stateINS0_5tupleIJxbEEELb1ELb0EEEN6thrust23THRUST_200600_302600_NS6detail15normal_iteratorINS8_10device_ptrIxEEEEjNS1_16block_id_wrapperIjLb1EEEEEvT_jjPNSG_10value_typeET0_PNSt15iterator_traitsISJ_E10value_typeEmT1_T2_
    .private_segment_fixed_size: 0
    .sgpr_count:     25
    .sgpr_spill_count: 0
    .symbol:         _ZN7rocprim17ROCPRIM_400000_NS6detail30init_device_scan_by_key_kernelINS1_19lookback_scan_stateINS0_5tupleIJxbEEELb1ELb0EEEN6thrust23THRUST_200600_302600_NS6detail15normal_iteratorINS8_10device_ptrIxEEEEjNS1_16block_id_wrapperIjLb1EEEEEvT_jjPNSG_10value_typeET0_PNSt15iterator_traitsISJ_E10value_typeEmT1_T2_.kd
    .uniform_work_group_size: 1
    .uses_dynamic_stack: false
    .vgpr_count:     8
    .vgpr_spill_count: 0
    .wavefront_size: 32
    .workgroup_processor_mode: 1
  - .args:
      - .offset:         0
        .size:           24
        .value_kind:     by_value
      - .offset:         24
        .size:           4
        .value_kind:     by_value
      - .offset:         28
        .size:           4
        .value_kind:     by_value
      - .address_space:  global
        .offset:         32
        .size:           8
        .value_kind:     global_buffer
      - .address_space:  global
        .offset:         40
        .size:           8
        .value_kind:     global_buffer
      - .offset:         48
        .size:           4
        .value_kind:     hidden_block_count_x
      - .offset:         52
        .size:           4
        .value_kind:     hidden_block_count_y
      - .offset:         56
        .size:           4
        .value_kind:     hidden_block_count_z
      - .offset:         60
        .size:           2
        .value_kind:     hidden_group_size_x
      - .offset:         62
        .size:           2
        .value_kind:     hidden_group_size_y
      - .offset:         64
        .size:           2
        .value_kind:     hidden_group_size_z
      - .offset:         66
        .size:           2
        .value_kind:     hidden_remainder_x
      - .offset:         68
        .size:           2
        .value_kind:     hidden_remainder_y
      - .offset:         70
        .size:           2
        .value_kind:     hidden_remainder_z
      - .offset:         88
        .size:           8
        .value_kind:     hidden_global_offset_x
      - .offset:         96
        .size:           8
        .value_kind:     hidden_global_offset_y
      - .offset:         104
        .size:           8
        .value_kind:     hidden_global_offset_z
      - .offset:         112
        .size:           2
        .value_kind:     hidden_grid_dims
    .group_segment_fixed_size: 0
    .kernarg_segment_align: 8
    .kernarg_segment_size: 304
    .language:       OpenCL C
    .language_version:
      - 2
      - 0
    .max_flat_workgroup_size: 256
    .name:           _ZN7rocprim17ROCPRIM_400000_NS6detail30init_device_scan_by_key_kernelINS1_19lookback_scan_stateINS0_5tupleIJxbEEELb1ELb0EEENS1_16block_id_wrapperIjLb1EEEEEvT_jjPNS9_10value_typeET0_
    .private_segment_fixed_size: 0
    .sgpr_count:     21
    .sgpr_spill_count: 0
    .symbol:         _ZN7rocprim17ROCPRIM_400000_NS6detail30init_device_scan_by_key_kernelINS1_19lookback_scan_stateINS0_5tupleIJxbEEELb1ELb0EEENS1_16block_id_wrapperIjLb1EEEEEvT_jjPNS9_10value_typeET0_.kd
    .uniform_work_group_size: 1
    .uses_dynamic_stack: false
    .vgpr_count:     5
    .vgpr_spill_count: 0
    .wavefront_size: 32
    .workgroup_processor_mode: 1
  - .args:
      - .offset:         0
        .size:           136
        .value_kind:     by_value
    .group_segment_fixed_size: 0
    .kernarg_segment_align: 8
    .kernarg_segment_size: 136
    .language:       OpenCL C
    .language_version:
      - 2
      - 0
    .max_flat_workgroup_size: 256
    .name:           _ZN7rocprim17ROCPRIM_400000_NS6detail17trampoline_kernelINS0_14default_configENS1_27scan_by_key_config_selectorIxxEEZZNS1_16scan_by_key_implILNS1_25lookback_scan_determinismE0ELb0ES3_N6thrust23THRUST_200600_302600_NS6detail15normal_iteratorINS9_10device_ptrIxEEEESE_SE_xNS9_4plusIvEENS9_8equal_toIvEExEE10hipError_tPvRmT2_T3_T4_T5_mT6_T7_P12ihipStream_tbENKUlT_T0_E_clISt17integral_constantIbLb1EESZ_EEDaSU_SV_EUlSU_E_NS1_11comp_targetILNS1_3genE0ELNS1_11target_archE4294967295ELNS1_3gpuE0ELNS1_3repE0EEENS1_30default_config_static_selectorELNS0_4arch9wavefront6targetE0EEEvT1_
    .private_segment_fixed_size: 0
    .sgpr_count:     0
    .sgpr_spill_count: 0
    .symbol:         _ZN7rocprim17ROCPRIM_400000_NS6detail17trampoline_kernelINS0_14default_configENS1_27scan_by_key_config_selectorIxxEEZZNS1_16scan_by_key_implILNS1_25lookback_scan_determinismE0ELb0ES3_N6thrust23THRUST_200600_302600_NS6detail15normal_iteratorINS9_10device_ptrIxEEEESE_SE_xNS9_4plusIvEENS9_8equal_toIvEExEE10hipError_tPvRmT2_T3_T4_T5_mT6_T7_P12ihipStream_tbENKUlT_T0_E_clISt17integral_constantIbLb1EESZ_EEDaSU_SV_EUlSU_E_NS1_11comp_targetILNS1_3genE0ELNS1_11target_archE4294967295ELNS1_3gpuE0ELNS1_3repE0EEENS1_30default_config_static_selectorELNS0_4arch9wavefront6targetE0EEEvT1_.kd
    .uniform_work_group_size: 1
    .uses_dynamic_stack: false
    .vgpr_count:     0
    .vgpr_spill_count: 0
    .wavefront_size: 32
    .workgroup_processor_mode: 1
  - .args:
      - .offset:         0
        .size:           136
        .value_kind:     by_value
    .group_segment_fixed_size: 0
    .kernarg_segment_align: 8
    .kernarg_segment_size: 136
    .language:       OpenCL C
    .language_version:
      - 2
      - 0
    .max_flat_workgroup_size: 256
    .name:           _ZN7rocprim17ROCPRIM_400000_NS6detail17trampoline_kernelINS0_14default_configENS1_27scan_by_key_config_selectorIxxEEZZNS1_16scan_by_key_implILNS1_25lookback_scan_determinismE0ELb0ES3_N6thrust23THRUST_200600_302600_NS6detail15normal_iteratorINS9_10device_ptrIxEEEESE_SE_xNS9_4plusIvEENS9_8equal_toIvEExEE10hipError_tPvRmT2_T3_T4_T5_mT6_T7_P12ihipStream_tbENKUlT_T0_E_clISt17integral_constantIbLb1EESZ_EEDaSU_SV_EUlSU_E_NS1_11comp_targetILNS1_3genE10ELNS1_11target_archE1201ELNS1_3gpuE5ELNS1_3repE0EEENS1_30default_config_static_selectorELNS0_4arch9wavefront6targetE0EEEvT1_
    .private_segment_fixed_size: 0
    .sgpr_count:     0
    .sgpr_spill_count: 0
    .symbol:         _ZN7rocprim17ROCPRIM_400000_NS6detail17trampoline_kernelINS0_14default_configENS1_27scan_by_key_config_selectorIxxEEZZNS1_16scan_by_key_implILNS1_25lookback_scan_determinismE0ELb0ES3_N6thrust23THRUST_200600_302600_NS6detail15normal_iteratorINS9_10device_ptrIxEEEESE_SE_xNS9_4plusIvEENS9_8equal_toIvEExEE10hipError_tPvRmT2_T3_T4_T5_mT6_T7_P12ihipStream_tbENKUlT_T0_E_clISt17integral_constantIbLb1EESZ_EEDaSU_SV_EUlSU_E_NS1_11comp_targetILNS1_3genE10ELNS1_11target_archE1201ELNS1_3gpuE5ELNS1_3repE0EEENS1_30default_config_static_selectorELNS0_4arch9wavefront6targetE0EEEvT1_.kd
    .uniform_work_group_size: 1
    .uses_dynamic_stack: false
    .vgpr_count:     0
    .vgpr_spill_count: 0
    .wavefront_size: 32
    .workgroup_processor_mode: 1
  - .args:
      - .offset:         0
        .size:           136
        .value_kind:     by_value
    .group_segment_fixed_size: 0
    .kernarg_segment_align: 8
    .kernarg_segment_size: 136
    .language:       OpenCL C
    .language_version:
      - 2
      - 0
    .max_flat_workgroup_size: 256
    .name:           _ZN7rocprim17ROCPRIM_400000_NS6detail17trampoline_kernelINS0_14default_configENS1_27scan_by_key_config_selectorIxxEEZZNS1_16scan_by_key_implILNS1_25lookback_scan_determinismE0ELb0ES3_N6thrust23THRUST_200600_302600_NS6detail15normal_iteratorINS9_10device_ptrIxEEEESE_SE_xNS9_4plusIvEENS9_8equal_toIvEExEE10hipError_tPvRmT2_T3_T4_T5_mT6_T7_P12ihipStream_tbENKUlT_T0_E_clISt17integral_constantIbLb1EESZ_EEDaSU_SV_EUlSU_E_NS1_11comp_targetILNS1_3genE5ELNS1_11target_archE942ELNS1_3gpuE9ELNS1_3repE0EEENS1_30default_config_static_selectorELNS0_4arch9wavefront6targetE0EEEvT1_
    .private_segment_fixed_size: 0
    .sgpr_count:     0
    .sgpr_spill_count: 0
    .symbol:         _ZN7rocprim17ROCPRIM_400000_NS6detail17trampoline_kernelINS0_14default_configENS1_27scan_by_key_config_selectorIxxEEZZNS1_16scan_by_key_implILNS1_25lookback_scan_determinismE0ELb0ES3_N6thrust23THRUST_200600_302600_NS6detail15normal_iteratorINS9_10device_ptrIxEEEESE_SE_xNS9_4plusIvEENS9_8equal_toIvEExEE10hipError_tPvRmT2_T3_T4_T5_mT6_T7_P12ihipStream_tbENKUlT_T0_E_clISt17integral_constantIbLb1EESZ_EEDaSU_SV_EUlSU_E_NS1_11comp_targetILNS1_3genE5ELNS1_11target_archE942ELNS1_3gpuE9ELNS1_3repE0EEENS1_30default_config_static_selectorELNS0_4arch9wavefront6targetE0EEEvT1_.kd
    .uniform_work_group_size: 1
    .uses_dynamic_stack: false
    .vgpr_count:     0
    .vgpr_spill_count: 0
    .wavefront_size: 32
    .workgroup_processor_mode: 1
  - .args:
      - .offset:         0
        .size:           136
        .value_kind:     by_value
    .group_segment_fixed_size: 0
    .kernarg_segment_align: 8
    .kernarg_segment_size: 136
    .language:       OpenCL C
    .language_version:
      - 2
      - 0
    .max_flat_workgroup_size: 64
    .name:           _ZN7rocprim17ROCPRIM_400000_NS6detail17trampoline_kernelINS0_14default_configENS1_27scan_by_key_config_selectorIxxEEZZNS1_16scan_by_key_implILNS1_25lookback_scan_determinismE0ELb0ES3_N6thrust23THRUST_200600_302600_NS6detail15normal_iteratorINS9_10device_ptrIxEEEESE_SE_xNS9_4plusIvEENS9_8equal_toIvEExEE10hipError_tPvRmT2_T3_T4_T5_mT6_T7_P12ihipStream_tbENKUlT_T0_E_clISt17integral_constantIbLb1EESZ_EEDaSU_SV_EUlSU_E_NS1_11comp_targetILNS1_3genE4ELNS1_11target_archE910ELNS1_3gpuE8ELNS1_3repE0EEENS1_30default_config_static_selectorELNS0_4arch9wavefront6targetE0EEEvT1_
    .private_segment_fixed_size: 0
    .sgpr_count:     0
    .sgpr_spill_count: 0
    .symbol:         _ZN7rocprim17ROCPRIM_400000_NS6detail17trampoline_kernelINS0_14default_configENS1_27scan_by_key_config_selectorIxxEEZZNS1_16scan_by_key_implILNS1_25lookback_scan_determinismE0ELb0ES3_N6thrust23THRUST_200600_302600_NS6detail15normal_iteratorINS9_10device_ptrIxEEEESE_SE_xNS9_4plusIvEENS9_8equal_toIvEExEE10hipError_tPvRmT2_T3_T4_T5_mT6_T7_P12ihipStream_tbENKUlT_T0_E_clISt17integral_constantIbLb1EESZ_EEDaSU_SV_EUlSU_E_NS1_11comp_targetILNS1_3genE4ELNS1_11target_archE910ELNS1_3gpuE8ELNS1_3repE0EEENS1_30default_config_static_selectorELNS0_4arch9wavefront6targetE0EEEvT1_.kd
    .uniform_work_group_size: 1
    .uses_dynamic_stack: false
    .vgpr_count:     0
    .vgpr_spill_count: 0
    .wavefront_size: 32
    .workgroup_processor_mode: 1
  - .args:
      - .offset:         0
        .size:           136
        .value_kind:     by_value
    .group_segment_fixed_size: 0
    .kernarg_segment_align: 8
    .kernarg_segment_size: 136
    .language:       OpenCL C
    .language_version:
      - 2
      - 0
    .max_flat_workgroup_size: 256
    .name:           _ZN7rocprim17ROCPRIM_400000_NS6detail17trampoline_kernelINS0_14default_configENS1_27scan_by_key_config_selectorIxxEEZZNS1_16scan_by_key_implILNS1_25lookback_scan_determinismE0ELb0ES3_N6thrust23THRUST_200600_302600_NS6detail15normal_iteratorINS9_10device_ptrIxEEEESE_SE_xNS9_4plusIvEENS9_8equal_toIvEExEE10hipError_tPvRmT2_T3_T4_T5_mT6_T7_P12ihipStream_tbENKUlT_T0_E_clISt17integral_constantIbLb1EESZ_EEDaSU_SV_EUlSU_E_NS1_11comp_targetILNS1_3genE3ELNS1_11target_archE908ELNS1_3gpuE7ELNS1_3repE0EEENS1_30default_config_static_selectorELNS0_4arch9wavefront6targetE0EEEvT1_
    .private_segment_fixed_size: 0
    .sgpr_count:     0
    .sgpr_spill_count: 0
    .symbol:         _ZN7rocprim17ROCPRIM_400000_NS6detail17trampoline_kernelINS0_14default_configENS1_27scan_by_key_config_selectorIxxEEZZNS1_16scan_by_key_implILNS1_25lookback_scan_determinismE0ELb0ES3_N6thrust23THRUST_200600_302600_NS6detail15normal_iteratorINS9_10device_ptrIxEEEESE_SE_xNS9_4plusIvEENS9_8equal_toIvEExEE10hipError_tPvRmT2_T3_T4_T5_mT6_T7_P12ihipStream_tbENKUlT_T0_E_clISt17integral_constantIbLb1EESZ_EEDaSU_SV_EUlSU_E_NS1_11comp_targetILNS1_3genE3ELNS1_11target_archE908ELNS1_3gpuE7ELNS1_3repE0EEENS1_30default_config_static_selectorELNS0_4arch9wavefront6targetE0EEEvT1_.kd
    .uniform_work_group_size: 1
    .uses_dynamic_stack: false
    .vgpr_count:     0
    .vgpr_spill_count: 0
    .wavefront_size: 32
    .workgroup_processor_mode: 1
  - .args:
      - .offset:         0
        .size:           136
        .value_kind:     by_value
    .group_segment_fixed_size: 0
    .kernarg_segment_align: 8
    .kernarg_segment_size: 136
    .language:       OpenCL C
    .language_version:
      - 2
      - 0
    .max_flat_workgroup_size: 256
    .name:           _ZN7rocprim17ROCPRIM_400000_NS6detail17trampoline_kernelINS0_14default_configENS1_27scan_by_key_config_selectorIxxEEZZNS1_16scan_by_key_implILNS1_25lookback_scan_determinismE0ELb0ES3_N6thrust23THRUST_200600_302600_NS6detail15normal_iteratorINS9_10device_ptrIxEEEESE_SE_xNS9_4plusIvEENS9_8equal_toIvEExEE10hipError_tPvRmT2_T3_T4_T5_mT6_T7_P12ihipStream_tbENKUlT_T0_E_clISt17integral_constantIbLb1EESZ_EEDaSU_SV_EUlSU_E_NS1_11comp_targetILNS1_3genE2ELNS1_11target_archE906ELNS1_3gpuE6ELNS1_3repE0EEENS1_30default_config_static_selectorELNS0_4arch9wavefront6targetE0EEEvT1_
    .private_segment_fixed_size: 0
    .sgpr_count:     0
    .sgpr_spill_count: 0
    .symbol:         _ZN7rocprim17ROCPRIM_400000_NS6detail17trampoline_kernelINS0_14default_configENS1_27scan_by_key_config_selectorIxxEEZZNS1_16scan_by_key_implILNS1_25lookback_scan_determinismE0ELb0ES3_N6thrust23THRUST_200600_302600_NS6detail15normal_iteratorINS9_10device_ptrIxEEEESE_SE_xNS9_4plusIvEENS9_8equal_toIvEExEE10hipError_tPvRmT2_T3_T4_T5_mT6_T7_P12ihipStream_tbENKUlT_T0_E_clISt17integral_constantIbLb1EESZ_EEDaSU_SV_EUlSU_E_NS1_11comp_targetILNS1_3genE2ELNS1_11target_archE906ELNS1_3gpuE6ELNS1_3repE0EEENS1_30default_config_static_selectorELNS0_4arch9wavefront6targetE0EEEvT1_.kd
    .uniform_work_group_size: 1
    .uses_dynamic_stack: false
    .vgpr_count:     0
    .vgpr_spill_count: 0
    .wavefront_size: 32
    .workgroup_processor_mode: 1
  - .args:
      - .offset:         0
        .size:           136
        .value_kind:     by_value
    .group_segment_fixed_size: 0
    .kernarg_segment_align: 8
    .kernarg_segment_size: 136
    .language:       OpenCL C
    .language_version:
      - 2
      - 0
    .max_flat_workgroup_size: 256
    .name:           _ZN7rocprim17ROCPRIM_400000_NS6detail17trampoline_kernelINS0_14default_configENS1_27scan_by_key_config_selectorIxxEEZZNS1_16scan_by_key_implILNS1_25lookback_scan_determinismE0ELb0ES3_N6thrust23THRUST_200600_302600_NS6detail15normal_iteratorINS9_10device_ptrIxEEEESE_SE_xNS9_4plusIvEENS9_8equal_toIvEExEE10hipError_tPvRmT2_T3_T4_T5_mT6_T7_P12ihipStream_tbENKUlT_T0_E_clISt17integral_constantIbLb1EESZ_EEDaSU_SV_EUlSU_E_NS1_11comp_targetILNS1_3genE10ELNS1_11target_archE1200ELNS1_3gpuE4ELNS1_3repE0EEENS1_30default_config_static_selectorELNS0_4arch9wavefront6targetE0EEEvT1_
    .private_segment_fixed_size: 0
    .sgpr_count:     0
    .sgpr_spill_count: 0
    .symbol:         _ZN7rocprim17ROCPRIM_400000_NS6detail17trampoline_kernelINS0_14default_configENS1_27scan_by_key_config_selectorIxxEEZZNS1_16scan_by_key_implILNS1_25lookback_scan_determinismE0ELb0ES3_N6thrust23THRUST_200600_302600_NS6detail15normal_iteratorINS9_10device_ptrIxEEEESE_SE_xNS9_4plusIvEENS9_8equal_toIvEExEE10hipError_tPvRmT2_T3_T4_T5_mT6_T7_P12ihipStream_tbENKUlT_T0_E_clISt17integral_constantIbLb1EESZ_EEDaSU_SV_EUlSU_E_NS1_11comp_targetILNS1_3genE10ELNS1_11target_archE1200ELNS1_3gpuE4ELNS1_3repE0EEENS1_30default_config_static_selectorELNS0_4arch9wavefront6targetE0EEEvT1_.kd
    .uniform_work_group_size: 1
    .uses_dynamic_stack: false
    .vgpr_count:     0
    .vgpr_spill_count: 0
    .wavefront_size: 32
    .workgroup_processor_mode: 1
  - .args:
      - .offset:         0
        .size:           136
        .value_kind:     by_value
    .group_segment_fixed_size: 0
    .kernarg_segment_align: 8
    .kernarg_segment_size: 136
    .language:       OpenCL C
    .language_version:
      - 2
      - 0
    .max_flat_workgroup_size: 256
    .name:           _ZN7rocprim17ROCPRIM_400000_NS6detail17trampoline_kernelINS0_14default_configENS1_27scan_by_key_config_selectorIxxEEZZNS1_16scan_by_key_implILNS1_25lookback_scan_determinismE0ELb0ES3_N6thrust23THRUST_200600_302600_NS6detail15normal_iteratorINS9_10device_ptrIxEEEESE_SE_xNS9_4plusIvEENS9_8equal_toIvEExEE10hipError_tPvRmT2_T3_T4_T5_mT6_T7_P12ihipStream_tbENKUlT_T0_E_clISt17integral_constantIbLb1EESZ_EEDaSU_SV_EUlSU_E_NS1_11comp_targetILNS1_3genE9ELNS1_11target_archE1100ELNS1_3gpuE3ELNS1_3repE0EEENS1_30default_config_static_selectorELNS0_4arch9wavefront6targetE0EEEvT1_
    .private_segment_fixed_size: 0
    .sgpr_count:     0
    .sgpr_spill_count: 0
    .symbol:         _ZN7rocprim17ROCPRIM_400000_NS6detail17trampoline_kernelINS0_14default_configENS1_27scan_by_key_config_selectorIxxEEZZNS1_16scan_by_key_implILNS1_25lookback_scan_determinismE0ELb0ES3_N6thrust23THRUST_200600_302600_NS6detail15normal_iteratorINS9_10device_ptrIxEEEESE_SE_xNS9_4plusIvEENS9_8equal_toIvEExEE10hipError_tPvRmT2_T3_T4_T5_mT6_T7_P12ihipStream_tbENKUlT_T0_E_clISt17integral_constantIbLb1EESZ_EEDaSU_SV_EUlSU_E_NS1_11comp_targetILNS1_3genE9ELNS1_11target_archE1100ELNS1_3gpuE3ELNS1_3repE0EEENS1_30default_config_static_selectorELNS0_4arch9wavefront6targetE0EEEvT1_.kd
    .uniform_work_group_size: 1
    .uses_dynamic_stack: false
    .vgpr_count:     0
    .vgpr_spill_count: 0
    .wavefront_size: 32
    .workgroup_processor_mode: 1
  - .args:
      - .offset:         0
        .size:           136
        .value_kind:     by_value
    .group_segment_fixed_size: 0
    .kernarg_segment_align: 8
    .kernarg_segment_size: 136
    .language:       OpenCL C
    .language_version:
      - 2
      - 0
    .max_flat_workgroup_size: 256
    .name:           _ZN7rocprim17ROCPRIM_400000_NS6detail17trampoline_kernelINS0_14default_configENS1_27scan_by_key_config_selectorIxxEEZZNS1_16scan_by_key_implILNS1_25lookback_scan_determinismE0ELb0ES3_N6thrust23THRUST_200600_302600_NS6detail15normal_iteratorINS9_10device_ptrIxEEEESE_SE_xNS9_4plusIvEENS9_8equal_toIvEExEE10hipError_tPvRmT2_T3_T4_T5_mT6_T7_P12ihipStream_tbENKUlT_T0_E_clISt17integral_constantIbLb1EESZ_EEDaSU_SV_EUlSU_E_NS1_11comp_targetILNS1_3genE8ELNS1_11target_archE1030ELNS1_3gpuE2ELNS1_3repE0EEENS1_30default_config_static_selectorELNS0_4arch9wavefront6targetE0EEEvT1_
    .private_segment_fixed_size: 0
    .sgpr_count:     0
    .sgpr_spill_count: 0
    .symbol:         _ZN7rocprim17ROCPRIM_400000_NS6detail17trampoline_kernelINS0_14default_configENS1_27scan_by_key_config_selectorIxxEEZZNS1_16scan_by_key_implILNS1_25lookback_scan_determinismE0ELb0ES3_N6thrust23THRUST_200600_302600_NS6detail15normal_iteratorINS9_10device_ptrIxEEEESE_SE_xNS9_4plusIvEENS9_8equal_toIvEExEE10hipError_tPvRmT2_T3_T4_T5_mT6_T7_P12ihipStream_tbENKUlT_T0_E_clISt17integral_constantIbLb1EESZ_EEDaSU_SV_EUlSU_E_NS1_11comp_targetILNS1_3genE8ELNS1_11target_archE1030ELNS1_3gpuE2ELNS1_3repE0EEENS1_30default_config_static_selectorELNS0_4arch9wavefront6targetE0EEEvT1_.kd
    .uniform_work_group_size: 1
    .uses_dynamic_stack: false
    .vgpr_count:     0
    .vgpr_spill_count: 0
    .wavefront_size: 32
    .workgroup_processor_mode: 1
  - .args:
      - .offset:         0
        .size:           24
        .value_kind:     by_value
      - .offset:         24
        .size:           4
        .value_kind:     by_value
      - .offset:         28
        .size:           4
        .value_kind:     by_value
      - .address_space:  global
        .offset:         32
        .size:           8
        .value_kind:     global_buffer
      - .address_space:  global
        .offset:         40
        .size:           8
        .value_kind:     global_buffer
      - .actual_access:  write_only
        .address_space:  global
        .offset:         48
        .size:           8
        .value_kind:     global_buffer
      - .offset:         56
        .size:           8
        .value_kind:     by_value
      - .offset:         64
        .size:           4
        .value_kind:     by_value
      - .offset:         68
        .size:           1
        .value_kind:     by_value
      - .offset:         72
        .size:           4
        .value_kind:     hidden_block_count_x
      - .offset:         76
        .size:           4
        .value_kind:     hidden_block_count_y
      - .offset:         80
        .size:           4
        .value_kind:     hidden_block_count_z
      - .offset:         84
        .size:           2
        .value_kind:     hidden_group_size_x
      - .offset:         86
        .size:           2
        .value_kind:     hidden_group_size_y
      - .offset:         88
        .size:           2
        .value_kind:     hidden_group_size_z
      - .offset:         90
        .size:           2
        .value_kind:     hidden_remainder_x
      - .offset:         92
        .size:           2
        .value_kind:     hidden_remainder_y
      - .offset:         94
        .size:           2
        .value_kind:     hidden_remainder_z
      - .offset:         112
        .size:           8
        .value_kind:     hidden_global_offset_x
      - .offset:         120
        .size:           8
        .value_kind:     hidden_global_offset_y
      - .offset:         128
        .size:           8
        .value_kind:     hidden_global_offset_z
      - .offset:         136
        .size:           2
        .value_kind:     hidden_grid_dims
    .group_segment_fixed_size: 0
    .kernarg_segment_align: 8
    .kernarg_segment_size: 328
    .language:       OpenCL C
    .language_version:
      - 2
      - 0
    .max_flat_workgroup_size: 256
    .name:           _ZN7rocprim17ROCPRIM_400000_NS6detail30init_device_scan_by_key_kernelINS1_19lookback_scan_stateINS0_5tupleIJxbEEELb1ELb0EEEN6thrust23THRUST_200600_302600_NS6detail15normal_iteratorINS8_10device_ptrIxEEEEjNS1_16block_id_wrapperIjLb0EEEEEvT_jjPNSG_10value_typeET0_PNSt15iterator_traitsISJ_E10value_typeEmT1_T2_
    .private_segment_fixed_size: 0
    .sgpr_count:     25
    .sgpr_spill_count: 0
    .symbol:         _ZN7rocprim17ROCPRIM_400000_NS6detail30init_device_scan_by_key_kernelINS1_19lookback_scan_stateINS0_5tupleIJxbEEELb1ELb0EEEN6thrust23THRUST_200600_302600_NS6detail15normal_iteratorINS8_10device_ptrIxEEEEjNS1_16block_id_wrapperIjLb0EEEEEvT_jjPNSG_10value_typeET0_PNSt15iterator_traitsISJ_E10value_typeEmT1_T2_.kd
    .uniform_work_group_size: 1
    .uses_dynamic_stack: false
    .vgpr_count:     8
    .vgpr_spill_count: 0
    .wavefront_size: 32
    .workgroup_processor_mode: 1
  - .args:
      - .offset:         0
        .size:           24
        .value_kind:     by_value
      - .offset:         24
        .size:           4
        .value_kind:     by_value
      - .offset:         28
        .size:           4
        .value_kind:     by_value
      - .address_space:  global
        .offset:         32
        .size:           8
        .value_kind:     global_buffer
      - .offset:         40
        .size:           1
        .value_kind:     by_value
      - .offset:         48
        .size:           4
        .value_kind:     hidden_block_count_x
      - .offset:         52
        .size:           4
        .value_kind:     hidden_block_count_y
      - .offset:         56
        .size:           4
        .value_kind:     hidden_block_count_z
      - .offset:         60
        .size:           2
        .value_kind:     hidden_group_size_x
      - .offset:         62
        .size:           2
        .value_kind:     hidden_group_size_y
      - .offset:         64
        .size:           2
        .value_kind:     hidden_group_size_z
      - .offset:         66
        .size:           2
        .value_kind:     hidden_remainder_x
      - .offset:         68
        .size:           2
        .value_kind:     hidden_remainder_y
      - .offset:         70
        .size:           2
        .value_kind:     hidden_remainder_z
      - .offset:         88
        .size:           8
        .value_kind:     hidden_global_offset_x
      - .offset:         96
        .size:           8
        .value_kind:     hidden_global_offset_y
      - .offset:         104
        .size:           8
        .value_kind:     hidden_global_offset_z
      - .offset:         112
        .size:           2
        .value_kind:     hidden_grid_dims
    .group_segment_fixed_size: 0
    .kernarg_segment_align: 8
    .kernarg_segment_size: 304
    .language:       OpenCL C
    .language_version:
      - 2
      - 0
    .max_flat_workgroup_size: 256
    .name:           _ZN7rocprim17ROCPRIM_400000_NS6detail30init_device_scan_by_key_kernelINS1_19lookback_scan_stateINS0_5tupleIJxbEEELb1ELb0EEENS1_16block_id_wrapperIjLb0EEEEEvT_jjPNS9_10value_typeET0_
    .private_segment_fixed_size: 0
    .sgpr_count:     19
    .sgpr_spill_count: 0
    .symbol:         _ZN7rocprim17ROCPRIM_400000_NS6detail30init_device_scan_by_key_kernelINS1_19lookback_scan_stateINS0_5tupleIJxbEEELb1ELb0EEENS1_16block_id_wrapperIjLb0EEEEEvT_jjPNS9_10value_typeET0_.kd
    .uniform_work_group_size: 1
    .uses_dynamic_stack: false
    .vgpr_count:     5
    .vgpr_spill_count: 0
    .wavefront_size: 32
    .workgroup_processor_mode: 1
  - .args:
      - .offset:         0
        .size:           136
        .value_kind:     by_value
    .group_segment_fixed_size: 0
    .kernarg_segment_align: 8
    .kernarg_segment_size: 136
    .language:       OpenCL C
    .language_version:
      - 2
      - 0
    .max_flat_workgroup_size: 256
    .name:           _ZN7rocprim17ROCPRIM_400000_NS6detail17trampoline_kernelINS0_14default_configENS1_27scan_by_key_config_selectorIxxEEZZNS1_16scan_by_key_implILNS1_25lookback_scan_determinismE0ELb0ES3_N6thrust23THRUST_200600_302600_NS6detail15normal_iteratorINS9_10device_ptrIxEEEESE_SE_xNS9_4plusIvEENS9_8equal_toIvEExEE10hipError_tPvRmT2_T3_T4_T5_mT6_T7_P12ihipStream_tbENKUlT_T0_E_clISt17integral_constantIbLb1EESY_IbLb0EEEEDaSU_SV_EUlSU_E_NS1_11comp_targetILNS1_3genE0ELNS1_11target_archE4294967295ELNS1_3gpuE0ELNS1_3repE0EEENS1_30default_config_static_selectorELNS0_4arch9wavefront6targetE0EEEvT1_
    .private_segment_fixed_size: 0
    .sgpr_count:     0
    .sgpr_spill_count: 0
    .symbol:         _ZN7rocprim17ROCPRIM_400000_NS6detail17trampoline_kernelINS0_14default_configENS1_27scan_by_key_config_selectorIxxEEZZNS1_16scan_by_key_implILNS1_25lookback_scan_determinismE0ELb0ES3_N6thrust23THRUST_200600_302600_NS6detail15normal_iteratorINS9_10device_ptrIxEEEESE_SE_xNS9_4plusIvEENS9_8equal_toIvEExEE10hipError_tPvRmT2_T3_T4_T5_mT6_T7_P12ihipStream_tbENKUlT_T0_E_clISt17integral_constantIbLb1EESY_IbLb0EEEEDaSU_SV_EUlSU_E_NS1_11comp_targetILNS1_3genE0ELNS1_11target_archE4294967295ELNS1_3gpuE0ELNS1_3repE0EEENS1_30default_config_static_selectorELNS0_4arch9wavefront6targetE0EEEvT1_.kd
    .uniform_work_group_size: 1
    .uses_dynamic_stack: false
    .vgpr_count:     0
    .vgpr_spill_count: 0
    .wavefront_size: 32
    .workgroup_processor_mode: 1
  - .args:
      - .offset:         0
        .size:           136
        .value_kind:     by_value
    .group_segment_fixed_size: 0
    .kernarg_segment_align: 8
    .kernarg_segment_size: 136
    .language:       OpenCL C
    .language_version:
      - 2
      - 0
    .max_flat_workgroup_size: 256
    .name:           _ZN7rocprim17ROCPRIM_400000_NS6detail17trampoline_kernelINS0_14default_configENS1_27scan_by_key_config_selectorIxxEEZZNS1_16scan_by_key_implILNS1_25lookback_scan_determinismE0ELb0ES3_N6thrust23THRUST_200600_302600_NS6detail15normal_iteratorINS9_10device_ptrIxEEEESE_SE_xNS9_4plusIvEENS9_8equal_toIvEExEE10hipError_tPvRmT2_T3_T4_T5_mT6_T7_P12ihipStream_tbENKUlT_T0_E_clISt17integral_constantIbLb1EESY_IbLb0EEEEDaSU_SV_EUlSU_E_NS1_11comp_targetILNS1_3genE10ELNS1_11target_archE1201ELNS1_3gpuE5ELNS1_3repE0EEENS1_30default_config_static_selectorELNS0_4arch9wavefront6targetE0EEEvT1_
    .private_segment_fixed_size: 0
    .sgpr_count:     0
    .sgpr_spill_count: 0
    .symbol:         _ZN7rocprim17ROCPRIM_400000_NS6detail17trampoline_kernelINS0_14default_configENS1_27scan_by_key_config_selectorIxxEEZZNS1_16scan_by_key_implILNS1_25lookback_scan_determinismE0ELb0ES3_N6thrust23THRUST_200600_302600_NS6detail15normal_iteratorINS9_10device_ptrIxEEEESE_SE_xNS9_4plusIvEENS9_8equal_toIvEExEE10hipError_tPvRmT2_T3_T4_T5_mT6_T7_P12ihipStream_tbENKUlT_T0_E_clISt17integral_constantIbLb1EESY_IbLb0EEEEDaSU_SV_EUlSU_E_NS1_11comp_targetILNS1_3genE10ELNS1_11target_archE1201ELNS1_3gpuE5ELNS1_3repE0EEENS1_30default_config_static_selectorELNS0_4arch9wavefront6targetE0EEEvT1_.kd
    .uniform_work_group_size: 1
    .uses_dynamic_stack: false
    .vgpr_count:     0
    .vgpr_spill_count: 0
    .wavefront_size: 32
    .workgroup_processor_mode: 1
  - .args:
      - .offset:         0
        .size:           136
        .value_kind:     by_value
    .group_segment_fixed_size: 0
    .kernarg_segment_align: 8
    .kernarg_segment_size: 136
    .language:       OpenCL C
    .language_version:
      - 2
      - 0
    .max_flat_workgroup_size: 256
    .name:           _ZN7rocprim17ROCPRIM_400000_NS6detail17trampoline_kernelINS0_14default_configENS1_27scan_by_key_config_selectorIxxEEZZNS1_16scan_by_key_implILNS1_25lookback_scan_determinismE0ELb0ES3_N6thrust23THRUST_200600_302600_NS6detail15normal_iteratorINS9_10device_ptrIxEEEESE_SE_xNS9_4plusIvEENS9_8equal_toIvEExEE10hipError_tPvRmT2_T3_T4_T5_mT6_T7_P12ihipStream_tbENKUlT_T0_E_clISt17integral_constantIbLb1EESY_IbLb0EEEEDaSU_SV_EUlSU_E_NS1_11comp_targetILNS1_3genE5ELNS1_11target_archE942ELNS1_3gpuE9ELNS1_3repE0EEENS1_30default_config_static_selectorELNS0_4arch9wavefront6targetE0EEEvT1_
    .private_segment_fixed_size: 0
    .sgpr_count:     0
    .sgpr_spill_count: 0
    .symbol:         _ZN7rocprim17ROCPRIM_400000_NS6detail17trampoline_kernelINS0_14default_configENS1_27scan_by_key_config_selectorIxxEEZZNS1_16scan_by_key_implILNS1_25lookback_scan_determinismE0ELb0ES3_N6thrust23THRUST_200600_302600_NS6detail15normal_iteratorINS9_10device_ptrIxEEEESE_SE_xNS9_4plusIvEENS9_8equal_toIvEExEE10hipError_tPvRmT2_T3_T4_T5_mT6_T7_P12ihipStream_tbENKUlT_T0_E_clISt17integral_constantIbLb1EESY_IbLb0EEEEDaSU_SV_EUlSU_E_NS1_11comp_targetILNS1_3genE5ELNS1_11target_archE942ELNS1_3gpuE9ELNS1_3repE0EEENS1_30default_config_static_selectorELNS0_4arch9wavefront6targetE0EEEvT1_.kd
    .uniform_work_group_size: 1
    .uses_dynamic_stack: false
    .vgpr_count:     0
    .vgpr_spill_count: 0
    .wavefront_size: 32
    .workgroup_processor_mode: 1
  - .args:
      - .offset:         0
        .size:           136
        .value_kind:     by_value
    .group_segment_fixed_size: 0
    .kernarg_segment_align: 8
    .kernarg_segment_size: 136
    .language:       OpenCL C
    .language_version:
      - 2
      - 0
    .max_flat_workgroup_size: 64
    .name:           _ZN7rocprim17ROCPRIM_400000_NS6detail17trampoline_kernelINS0_14default_configENS1_27scan_by_key_config_selectorIxxEEZZNS1_16scan_by_key_implILNS1_25lookback_scan_determinismE0ELb0ES3_N6thrust23THRUST_200600_302600_NS6detail15normal_iteratorINS9_10device_ptrIxEEEESE_SE_xNS9_4plusIvEENS9_8equal_toIvEExEE10hipError_tPvRmT2_T3_T4_T5_mT6_T7_P12ihipStream_tbENKUlT_T0_E_clISt17integral_constantIbLb1EESY_IbLb0EEEEDaSU_SV_EUlSU_E_NS1_11comp_targetILNS1_3genE4ELNS1_11target_archE910ELNS1_3gpuE8ELNS1_3repE0EEENS1_30default_config_static_selectorELNS0_4arch9wavefront6targetE0EEEvT1_
    .private_segment_fixed_size: 0
    .sgpr_count:     0
    .sgpr_spill_count: 0
    .symbol:         _ZN7rocprim17ROCPRIM_400000_NS6detail17trampoline_kernelINS0_14default_configENS1_27scan_by_key_config_selectorIxxEEZZNS1_16scan_by_key_implILNS1_25lookback_scan_determinismE0ELb0ES3_N6thrust23THRUST_200600_302600_NS6detail15normal_iteratorINS9_10device_ptrIxEEEESE_SE_xNS9_4plusIvEENS9_8equal_toIvEExEE10hipError_tPvRmT2_T3_T4_T5_mT6_T7_P12ihipStream_tbENKUlT_T0_E_clISt17integral_constantIbLb1EESY_IbLb0EEEEDaSU_SV_EUlSU_E_NS1_11comp_targetILNS1_3genE4ELNS1_11target_archE910ELNS1_3gpuE8ELNS1_3repE0EEENS1_30default_config_static_selectorELNS0_4arch9wavefront6targetE0EEEvT1_.kd
    .uniform_work_group_size: 1
    .uses_dynamic_stack: false
    .vgpr_count:     0
    .vgpr_spill_count: 0
    .wavefront_size: 32
    .workgroup_processor_mode: 1
  - .args:
      - .offset:         0
        .size:           136
        .value_kind:     by_value
    .group_segment_fixed_size: 0
    .kernarg_segment_align: 8
    .kernarg_segment_size: 136
    .language:       OpenCL C
    .language_version:
      - 2
      - 0
    .max_flat_workgroup_size: 256
    .name:           _ZN7rocprim17ROCPRIM_400000_NS6detail17trampoline_kernelINS0_14default_configENS1_27scan_by_key_config_selectorIxxEEZZNS1_16scan_by_key_implILNS1_25lookback_scan_determinismE0ELb0ES3_N6thrust23THRUST_200600_302600_NS6detail15normal_iteratorINS9_10device_ptrIxEEEESE_SE_xNS9_4plusIvEENS9_8equal_toIvEExEE10hipError_tPvRmT2_T3_T4_T5_mT6_T7_P12ihipStream_tbENKUlT_T0_E_clISt17integral_constantIbLb1EESY_IbLb0EEEEDaSU_SV_EUlSU_E_NS1_11comp_targetILNS1_3genE3ELNS1_11target_archE908ELNS1_3gpuE7ELNS1_3repE0EEENS1_30default_config_static_selectorELNS0_4arch9wavefront6targetE0EEEvT1_
    .private_segment_fixed_size: 0
    .sgpr_count:     0
    .sgpr_spill_count: 0
    .symbol:         _ZN7rocprim17ROCPRIM_400000_NS6detail17trampoline_kernelINS0_14default_configENS1_27scan_by_key_config_selectorIxxEEZZNS1_16scan_by_key_implILNS1_25lookback_scan_determinismE0ELb0ES3_N6thrust23THRUST_200600_302600_NS6detail15normal_iteratorINS9_10device_ptrIxEEEESE_SE_xNS9_4plusIvEENS9_8equal_toIvEExEE10hipError_tPvRmT2_T3_T4_T5_mT6_T7_P12ihipStream_tbENKUlT_T0_E_clISt17integral_constantIbLb1EESY_IbLb0EEEEDaSU_SV_EUlSU_E_NS1_11comp_targetILNS1_3genE3ELNS1_11target_archE908ELNS1_3gpuE7ELNS1_3repE0EEENS1_30default_config_static_selectorELNS0_4arch9wavefront6targetE0EEEvT1_.kd
    .uniform_work_group_size: 1
    .uses_dynamic_stack: false
    .vgpr_count:     0
    .vgpr_spill_count: 0
    .wavefront_size: 32
    .workgroup_processor_mode: 1
  - .args:
      - .offset:         0
        .size:           136
        .value_kind:     by_value
    .group_segment_fixed_size: 0
    .kernarg_segment_align: 8
    .kernarg_segment_size: 136
    .language:       OpenCL C
    .language_version:
      - 2
      - 0
    .max_flat_workgroup_size: 256
    .name:           _ZN7rocprim17ROCPRIM_400000_NS6detail17trampoline_kernelINS0_14default_configENS1_27scan_by_key_config_selectorIxxEEZZNS1_16scan_by_key_implILNS1_25lookback_scan_determinismE0ELb0ES3_N6thrust23THRUST_200600_302600_NS6detail15normal_iteratorINS9_10device_ptrIxEEEESE_SE_xNS9_4plusIvEENS9_8equal_toIvEExEE10hipError_tPvRmT2_T3_T4_T5_mT6_T7_P12ihipStream_tbENKUlT_T0_E_clISt17integral_constantIbLb1EESY_IbLb0EEEEDaSU_SV_EUlSU_E_NS1_11comp_targetILNS1_3genE2ELNS1_11target_archE906ELNS1_3gpuE6ELNS1_3repE0EEENS1_30default_config_static_selectorELNS0_4arch9wavefront6targetE0EEEvT1_
    .private_segment_fixed_size: 0
    .sgpr_count:     0
    .sgpr_spill_count: 0
    .symbol:         _ZN7rocprim17ROCPRIM_400000_NS6detail17trampoline_kernelINS0_14default_configENS1_27scan_by_key_config_selectorIxxEEZZNS1_16scan_by_key_implILNS1_25lookback_scan_determinismE0ELb0ES3_N6thrust23THRUST_200600_302600_NS6detail15normal_iteratorINS9_10device_ptrIxEEEESE_SE_xNS9_4plusIvEENS9_8equal_toIvEExEE10hipError_tPvRmT2_T3_T4_T5_mT6_T7_P12ihipStream_tbENKUlT_T0_E_clISt17integral_constantIbLb1EESY_IbLb0EEEEDaSU_SV_EUlSU_E_NS1_11comp_targetILNS1_3genE2ELNS1_11target_archE906ELNS1_3gpuE6ELNS1_3repE0EEENS1_30default_config_static_selectorELNS0_4arch9wavefront6targetE0EEEvT1_.kd
    .uniform_work_group_size: 1
    .uses_dynamic_stack: false
    .vgpr_count:     0
    .vgpr_spill_count: 0
    .wavefront_size: 32
    .workgroup_processor_mode: 1
  - .args:
      - .offset:         0
        .size:           136
        .value_kind:     by_value
    .group_segment_fixed_size: 0
    .kernarg_segment_align: 8
    .kernarg_segment_size: 136
    .language:       OpenCL C
    .language_version:
      - 2
      - 0
    .max_flat_workgroup_size: 256
    .name:           _ZN7rocprim17ROCPRIM_400000_NS6detail17trampoline_kernelINS0_14default_configENS1_27scan_by_key_config_selectorIxxEEZZNS1_16scan_by_key_implILNS1_25lookback_scan_determinismE0ELb0ES3_N6thrust23THRUST_200600_302600_NS6detail15normal_iteratorINS9_10device_ptrIxEEEESE_SE_xNS9_4plusIvEENS9_8equal_toIvEExEE10hipError_tPvRmT2_T3_T4_T5_mT6_T7_P12ihipStream_tbENKUlT_T0_E_clISt17integral_constantIbLb1EESY_IbLb0EEEEDaSU_SV_EUlSU_E_NS1_11comp_targetILNS1_3genE10ELNS1_11target_archE1200ELNS1_3gpuE4ELNS1_3repE0EEENS1_30default_config_static_selectorELNS0_4arch9wavefront6targetE0EEEvT1_
    .private_segment_fixed_size: 0
    .sgpr_count:     0
    .sgpr_spill_count: 0
    .symbol:         _ZN7rocprim17ROCPRIM_400000_NS6detail17trampoline_kernelINS0_14default_configENS1_27scan_by_key_config_selectorIxxEEZZNS1_16scan_by_key_implILNS1_25lookback_scan_determinismE0ELb0ES3_N6thrust23THRUST_200600_302600_NS6detail15normal_iteratorINS9_10device_ptrIxEEEESE_SE_xNS9_4plusIvEENS9_8equal_toIvEExEE10hipError_tPvRmT2_T3_T4_T5_mT6_T7_P12ihipStream_tbENKUlT_T0_E_clISt17integral_constantIbLb1EESY_IbLb0EEEEDaSU_SV_EUlSU_E_NS1_11comp_targetILNS1_3genE10ELNS1_11target_archE1200ELNS1_3gpuE4ELNS1_3repE0EEENS1_30default_config_static_selectorELNS0_4arch9wavefront6targetE0EEEvT1_.kd
    .uniform_work_group_size: 1
    .uses_dynamic_stack: false
    .vgpr_count:     0
    .vgpr_spill_count: 0
    .wavefront_size: 32
    .workgroup_processor_mode: 1
  - .args:
      - .offset:         0
        .size:           136
        .value_kind:     by_value
    .group_segment_fixed_size: 0
    .kernarg_segment_align: 8
    .kernarg_segment_size: 136
    .language:       OpenCL C
    .language_version:
      - 2
      - 0
    .max_flat_workgroup_size: 256
    .name:           _ZN7rocprim17ROCPRIM_400000_NS6detail17trampoline_kernelINS0_14default_configENS1_27scan_by_key_config_selectorIxxEEZZNS1_16scan_by_key_implILNS1_25lookback_scan_determinismE0ELb0ES3_N6thrust23THRUST_200600_302600_NS6detail15normal_iteratorINS9_10device_ptrIxEEEESE_SE_xNS9_4plusIvEENS9_8equal_toIvEExEE10hipError_tPvRmT2_T3_T4_T5_mT6_T7_P12ihipStream_tbENKUlT_T0_E_clISt17integral_constantIbLb1EESY_IbLb0EEEEDaSU_SV_EUlSU_E_NS1_11comp_targetILNS1_3genE9ELNS1_11target_archE1100ELNS1_3gpuE3ELNS1_3repE0EEENS1_30default_config_static_selectorELNS0_4arch9wavefront6targetE0EEEvT1_
    .private_segment_fixed_size: 0
    .sgpr_count:     0
    .sgpr_spill_count: 0
    .symbol:         _ZN7rocprim17ROCPRIM_400000_NS6detail17trampoline_kernelINS0_14default_configENS1_27scan_by_key_config_selectorIxxEEZZNS1_16scan_by_key_implILNS1_25lookback_scan_determinismE0ELb0ES3_N6thrust23THRUST_200600_302600_NS6detail15normal_iteratorINS9_10device_ptrIxEEEESE_SE_xNS9_4plusIvEENS9_8equal_toIvEExEE10hipError_tPvRmT2_T3_T4_T5_mT6_T7_P12ihipStream_tbENKUlT_T0_E_clISt17integral_constantIbLb1EESY_IbLb0EEEEDaSU_SV_EUlSU_E_NS1_11comp_targetILNS1_3genE9ELNS1_11target_archE1100ELNS1_3gpuE3ELNS1_3repE0EEENS1_30default_config_static_selectorELNS0_4arch9wavefront6targetE0EEEvT1_.kd
    .uniform_work_group_size: 1
    .uses_dynamic_stack: false
    .vgpr_count:     0
    .vgpr_spill_count: 0
    .wavefront_size: 32
    .workgroup_processor_mode: 1
  - .args:
      - .offset:         0
        .size:           136
        .value_kind:     by_value
    .group_segment_fixed_size: 0
    .kernarg_segment_align: 8
    .kernarg_segment_size: 136
    .language:       OpenCL C
    .language_version:
      - 2
      - 0
    .max_flat_workgroup_size: 256
    .name:           _ZN7rocprim17ROCPRIM_400000_NS6detail17trampoline_kernelINS0_14default_configENS1_27scan_by_key_config_selectorIxxEEZZNS1_16scan_by_key_implILNS1_25lookback_scan_determinismE0ELb0ES3_N6thrust23THRUST_200600_302600_NS6detail15normal_iteratorINS9_10device_ptrIxEEEESE_SE_xNS9_4plusIvEENS9_8equal_toIvEExEE10hipError_tPvRmT2_T3_T4_T5_mT6_T7_P12ihipStream_tbENKUlT_T0_E_clISt17integral_constantIbLb1EESY_IbLb0EEEEDaSU_SV_EUlSU_E_NS1_11comp_targetILNS1_3genE8ELNS1_11target_archE1030ELNS1_3gpuE2ELNS1_3repE0EEENS1_30default_config_static_selectorELNS0_4arch9wavefront6targetE0EEEvT1_
    .private_segment_fixed_size: 0
    .sgpr_count:     0
    .sgpr_spill_count: 0
    .symbol:         _ZN7rocprim17ROCPRIM_400000_NS6detail17trampoline_kernelINS0_14default_configENS1_27scan_by_key_config_selectorIxxEEZZNS1_16scan_by_key_implILNS1_25lookback_scan_determinismE0ELb0ES3_N6thrust23THRUST_200600_302600_NS6detail15normal_iteratorINS9_10device_ptrIxEEEESE_SE_xNS9_4plusIvEENS9_8equal_toIvEExEE10hipError_tPvRmT2_T3_T4_T5_mT6_T7_P12ihipStream_tbENKUlT_T0_E_clISt17integral_constantIbLb1EESY_IbLb0EEEEDaSU_SV_EUlSU_E_NS1_11comp_targetILNS1_3genE8ELNS1_11target_archE1030ELNS1_3gpuE2ELNS1_3repE0EEENS1_30default_config_static_selectorELNS0_4arch9wavefront6targetE0EEEvT1_.kd
    .uniform_work_group_size: 1
    .uses_dynamic_stack: false
    .vgpr_count:     0
    .vgpr_spill_count: 0
    .wavefront_size: 32
    .workgroup_processor_mode: 1
  - .args:
      - .offset:         0
        .size:           24
        .value_kind:     by_value
      - .offset:         24
        .size:           4
        .value_kind:     by_value
      - .offset:         28
        .size:           4
        .value_kind:     by_value
      - .address_space:  global
        .offset:         32
        .size:           8
        .value_kind:     global_buffer
      - .address_space:  global
        .offset:         40
        .size:           8
        .value_kind:     global_buffer
      - .actual_access:  write_only
        .address_space:  global
        .offset:         48
        .size:           8
        .value_kind:     global_buffer
      - .offset:         56
        .size:           8
        .value_kind:     by_value
      - .offset:         64
        .size:           4
        .value_kind:     by_value
      - .address_space:  global
        .offset:         72
        .size:           8
        .value_kind:     global_buffer
      - .offset:         80
        .size:           4
        .value_kind:     hidden_block_count_x
      - .offset:         84
        .size:           4
        .value_kind:     hidden_block_count_y
      - .offset:         88
        .size:           4
        .value_kind:     hidden_block_count_z
      - .offset:         92
        .size:           2
        .value_kind:     hidden_group_size_x
      - .offset:         94
        .size:           2
        .value_kind:     hidden_group_size_y
      - .offset:         96
        .size:           2
        .value_kind:     hidden_group_size_z
      - .offset:         98
        .size:           2
        .value_kind:     hidden_remainder_x
      - .offset:         100
        .size:           2
        .value_kind:     hidden_remainder_y
      - .offset:         102
        .size:           2
        .value_kind:     hidden_remainder_z
      - .offset:         120
        .size:           8
        .value_kind:     hidden_global_offset_x
      - .offset:         128
        .size:           8
        .value_kind:     hidden_global_offset_y
      - .offset:         136
        .size:           8
        .value_kind:     hidden_global_offset_z
      - .offset:         144
        .size:           2
        .value_kind:     hidden_grid_dims
    .group_segment_fixed_size: 0
    .kernarg_segment_align: 8
    .kernarg_segment_size: 336
    .language:       OpenCL C
    .language_version:
      - 2
      - 0
    .max_flat_workgroup_size: 256
    .name:           _ZN7rocprim17ROCPRIM_400000_NS6detail30init_device_scan_by_key_kernelINS1_19lookback_scan_stateINS0_5tupleIJxbEEELb0ELb0EEEN6thrust23THRUST_200600_302600_NS6detail15normal_iteratorINS8_10device_ptrIxEEEEjNS1_16block_id_wrapperIjLb1EEEEEvT_jjPNSG_10value_typeET0_PNSt15iterator_traitsISJ_E10value_typeEmT1_T2_
    .private_segment_fixed_size: 0
    .sgpr_count:     24
    .sgpr_spill_count: 0
    .symbol:         _ZN7rocprim17ROCPRIM_400000_NS6detail30init_device_scan_by_key_kernelINS1_19lookback_scan_stateINS0_5tupleIJxbEEELb0ELb0EEEN6thrust23THRUST_200600_302600_NS6detail15normal_iteratorINS8_10device_ptrIxEEEEjNS1_16block_id_wrapperIjLb1EEEEEvT_jjPNSG_10value_typeET0_PNSt15iterator_traitsISJ_E10value_typeEmT1_T2_.kd
    .uniform_work_group_size: 1
    .uses_dynamic_stack: false
    .vgpr_count:     8
    .vgpr_spill_count: 0
    .wavefront_size: 32
    .workgroup_processor_mode: 1
  - .args:
      - .offset:         0
        .size:           24
        .value_kind:     by_value
      - .offset:         24
        .size:           4
        .value_kind:     by_value
      - .offset:         28
        .size:           4
        .value_kind:     by_value
      - .address_space:  global
        .offset:         32
        .size:           8
        .value_kind:     global_buffer
      - .address_space:  global
        .offset:         40
        .size:           8
        .value_kind:     global_buffer
      - .offset:         48
        .size:           4
        .value_kind:     hidden_block_count_x
      - .offset:         52
        .size:           4
        .value_kind:     hidden_block_count_y
      - .offset:         56
        .size:           4
        .value_kind:     hidden_block_count_z
      - .offset:         60
        .size:           2
        .value_kind:     hidden_group_size_x
      - .offset:         62
        .size:           2
        .value_kind:     hidden_group_size_y
      - .offset:         64
        .size:           2
        .value_kind:     hidden_group_size_z
      - .offset:         66
        .size:           2
        .value_kind:     hidden_remainder_x
      - .offset:         68
        .size:           2
        .value_kind:     hidden_remainder_y
      - .offset:         70
        .size:           2
        .value_kind:     hidden_remainder_z
      - .offset:         88
        .size:           8
        .value_kind:     hidden_global_offset_x
      - .offset:         96
        .size:           8
        .value_kind:     hidden_global_offset_y
      - .offset:         104
        .size:           8
        .value_kind:     hidden_global_offset_z
      - .offset:         112
        .size:           2
        .value_kind:     hidden_grid_dims
    .group_segment_fixed_size: 0
    .kernarg_segment_align: 8
    .kernarg_segment_size: 304
    .language:       OpenCL C
    .language_version:
      - 2
      - 0
    .max_flat_workgroup_size: 256
    .name:           _ZN7rocprim17ROCPRIM_400000_NS6detail30init_device_scan_by_key_kernelINS1_19lookback_scan_stateINS0_5tupleIJxbEEELb0ELb0EEENS1_16block_id_wrapperIjLb1EEEEEvT_jjPNS9_10value_typeET0_
    .private_segment_fixed_size: 0
    .sgpr_count:     20
    .sgpr_spill_count: 0
    .symbol:         _ZN7rocprim17ROCPRIM_400000_NS6detail30init_device_scan_by_key_kernelINS1_19lookback_scan_stateINS0_5tupleIJxbEEELb0ELb0EEENS1_16block_id_wrapperIjLb1EEEEEvT_jjPNS9_10value_typeET0_.kd
    .uniform_work_group_size: 1
    .uses_dynamic_stack: false
    .vgpr_count:     5
    .vgpr_spill_count: 0
    .wavefront_size: 32
    .workgroup_processor_mode: 1
  - .args:
      - .offset:         0
        .size:           136
        .value_kind:     by_value
    .group_segment_fixed_size: 0
    .kernarg_segment_align: 8
    .kernarg_segment_size: 136
    .language:       OpenCL C
    .language_version:
      - 2
      - 0
    .max_flat_workgroup_size: 256
    .name:           _ZN7rocprim17ROCPRIM_400000_NS6detail17trampoline_kernelINS0_14default_configENS1_27scan_by_key_config_selectorIxxEEZZNS1_16scan_by_key_implILNS1_25lookback_scan_determinismE0ELb0ES3_N6thrust23THRUST_200600_302600_NS6detail15normal_iteratorINS9_10device_ptrIxEEEESE_SE_xNS9_4plusIvEENS9_8equal_toIvEExEE10hipError_tPvRmT2_T3_T4_T5_mT6_T7_P12ihipStream_tbENKUlT_T0_E_clISt17integral_constantIbLb0EESY_IbLb1EEEEDaSU_SV_EUlSU_E_NS1_11comp_targetILNS1_3genE0ELNS1_11target_archE4294967295ELNS1_3gpuE0ELNS1_3repE0EEENS1_30default_config_static_selectorELNS0_4arch9wavefront6targetE0EEEvT1_
    .private_segment_fixed_size: 0
    .sgpr_count:     0
    .sgpr_spill_count: 0
    .symbol:         _ZN7rocprim17ROCPRIM_400000_NS6detail17trampoline_kernelINS0_14default_configENS1_27scan_by_key_config_selectorIxxEEZZNS1_16scan_by_key_implILNS1_25lookback_scan_determinismE0ELb0ES3_N6thrust23THRUST_200600_302600_NS6detail15normal_iteratorINS9_10device_ptrIxEEEESE_SE_xNS9_4plusIvEENS9_8equal_toIvEExEE10hipError_tPvRmT2_T3_T4_T5_mT6_T7_P12ihipStream_tbENKUlT_T0_E_clISt17integral_constantIbLb0EESY_IbLb1EEEEDaSU_SV_EUlSU_E_NS1_11comp_targetILNS1_3genE0ELNS1_11target_archE4294967295ELNS1_3gpuE0ELNS1_3repE0EEENS1_30default_config_static_selectorELNS0_4arch9wavefront6targetE0EEEvT1_.kd
    .uniform_work_group_size: 1
    .uses_dynamic_stack: false
    .vgpr_count:     0
    .vgpr_spill_count: 0
    .wavefront_size: 32
    .workgroup_processor_mode: 1
  - .args:
      - .offset:         0
        .size:           136
        .value_kind:     by_value
    .group_segment_fixed_size: 0
    .kernarg_segment_align: 8
    .kernarg_segment_size: 136
    .language:       OpenCL C
    .language_version:
      - 2
      - 0
    .max_flat_workgroup_size: 256
    .name:           _ZN7rocprim17ROCPRIM_400000_NS6detail17trampoline_kernelINS0_14default_configENS1_27scan_by_key_config_selectorIxxEEZZNS1_16scan_by_key_implILNS1_25lookback_scan_determinismE0ELb0ES3_N6thrust23THRUST_200600_302600_NS6detail15normal_iteratorINS9_10device_ptrIxEEEESE_SE_xNS9_4plusIvEENS9_8equal_toIvEExEE10hipError_tPvRmT2_T3_T4_T5_mT6_T7_P12ihipStream_tbENKUlT_T0_E_clISt17integral_constantIbLb0EESY_IbLb1EEEEDaSU_SV_EUlSU_E_NS1_11comp_targetILNS1_3genE10ELNS1_11target_archE1201ELNS1_3gpuE5ELNS1_3repE0EEENS1_30default_config_static_selectorELNS0_4arch9wavefront6targetE0EEEvT1_
    .private_segment_fixed_size: 0
    .sgpr_count:     0
    .sgpr_spill_count: 0
    .symbol:         _ZN7rocprim17ROCPRIM_400000_NS6detail17trampoline_kernelINS0_14default_configENS1_27scan_by_key_config_selectorIxxEEZZNS1_16scan_by_key_implILNS1_25lookback_scan_determinismE0ELb0ES3_N6thrust23THRUST_200600_302600_NS6detail15normal_iteratorINS9_10device_ptrIxEEEESE_SE_xNS9_4plusIvEENS9_8equal_toIvEExEE10hipError_tPvRmT2_T3_T4_T5_mT6_T7_P12ihipStream_tbENKUlT_T0_E_clISt17integral_constantIbLb0EESY_IbLb1EEEEDaSU_SV_EUlSU_E_NS1_11comp_targetILNS1_3genE10ELNS1_11target_archE1201ELNS1_3gpuE5ELNS1_3repE0EEENS1_30default_config_static_selectorELNS0_4arch9wavefront6targetE0EEEvT1_.kd
    .uniform_work_group_size: 1
    .uses_dynamic_stack: false
    .vgpr_count:     0
    .vgpr_spill_count: 0
    .wavefront_size: 32
    .workgroup_processor_mode: 1
  - .args:
      - .offset:         0
        .size:           136
        .value_kind:     by_value
    .group_segment_fixed_size: 0
    .kernarg_segment_align: 8
    .kernarg_segment_size: 136
    .language:       OpenCL C
    .language_version:
      - 2
      - 0
    .max_flat_workgroup_size: 256
    .name:           _ZN7rocprim17ROCPRIM_400000_NS6detail17trampoline_kernelINS0_14default_configENS1_27scan_by_key_config_selectorIxxEEZZNS1_16scan_by_key_implILNS1_25lookback_scan_determinismE0ELb0ES3_N6thrust23THRUST_200600_302600_NS6detail15normal_iteratorINS9_10device_ptrIxEEEESE_SE_xNS9_4plusIvEENS9_8equal_toIvEExEE10hipError_tPvRmT2_T3_T4_T5_mT6_T7_P12ihipStream_tbENKUlT_T0_E_clISt17integral_constantIbLb0EESY_IbLb1EEEEDaSU_SV_EUlSU_E_NS1_11comp_targetILNS1_3genE5ELNS1_11target_archE942ELNS1_3gpuE9ELNS1_3repE0EEENS1_30default_config_static_selectorELNS0_4arch9wavefront6targetE0EEEvT1_
    .private_segment_fixed_size: 0
    .sgpr_count:     0
    .sgpr_spill_count: 0
    .symbol:         _ZN7rocprim17ROCPRIM_400000_NS6detail17trampoline_kernelINS0_14default_configENS1_27scan_by_key_config_selectorIxxEEZZNS1_16scan_by_key_implILNS1_25lookback_scan_determinismE0ELb0ES3_N6thrust23THRUST_200600_302600_NS6detail15normal_iteratorINS9_10device_ptrIxEEEESE_SE_xNS9_4plusIvEENS9_8equal_toIvEExEE10hipError_tPvRmT2_T3_T4_T5_mT6_T7_P12ihipStream_tbENKUlT_T0_E_clISt17integral_constantIbLb0EESY_IbLb1EEEEDaSU_SV_EUlSU_E_NS1_11comp_targetILNS1_3genE5ELNS1_11target_archE942ELNS1_3gpuE9ELNS1_3repE0EEENS1_30default_config_static_selectorELNS0_4arch9wavefront6targetE0EEEvT1_.kd
    .uniform_work_group_size: 1
    .uses_dynamic_stack: false
    .vgpr_count:     0
    .vgpr_spill_count: 0
    .wavefront_size: 32
    .workgroup_processor_mode: 1
  - .args:
      - .offset:         0
        .size:           136
        .value_kind:     by_value
    .group_segment_fixed_size: 0
    .kernarg_segment_align: 8
    .kernarg_segment_size: 136
    .language:       OpenCL C
    .language_version:
      - 2
      - 0
    .max_flat_workgroup_size: 64
    .name:           _ZN7rocprim17ROCPRIM_400000_NS6detail17trampoline_kernelINS0_14default_configENS1_27scan_by_key_config_selectorIxxEEZZNS1_16scan_by_key_implILNS1_25lookback_scan_determinismE0ELb0ES3_N6thrust23THRUST_200600_302600_NS6detail15normal_iteratorINS9_10device_ptrIxEEEESE_SE_xNS9_4plusIvEENS9_8equal_toIvEExEE10hipError_tPvRmT2_T3_T4_T5_mT6_T7_P12ihipStream_tbENKUlT_T0_E_clISt17integral_constantIbLb0EESY_IbLb1EEEEDaSU_SV_EUlSU_E_NS1_11comp_targetILNS1_3genE4ELNS1_11target_archE910ELNS1_3gpuE8ELNS1_3repE0EEENS1_30default_config_static_selectorELNS0_4arch9wavefront6targetE0EEEvT1_
    .private_segment_fixed_size: 0
    .sgpr_count:     0
    .sgpr_spill_count: 0
    .symbol:         _ZN7rocprim17ROCPRIM_400000_NS6detail17trampoline_kernelINS0_14default_configENS1_27scan_by_key_config_selectorIxxEEZZNS1_16scan_by_key_implILNS1_25lookback_scan_determinismE0ELb0ES3_N6thrust23THRUST_200600_302600_NS6detail15normal_iteratorINS9_10device_ptrIxEEEESE_SE_xNS9_4plusIvEENS9_8equal_toIvEExEE10hipError_tPvRmT2_T3_T4_T5_mT6_T7_P12ihipStream_tbENKUlT_T0_E_clISt17integral_constantIbLb0EESY_IbLb1EEEEDaSU_SV_EUlSU_E_NS1_11comp_targetILNS1_3genE4ELNS1_11target_archE910ELNS1_3gpuE8ELNS1_3repE0EEENS1_30default_config_static_selectorELNS0_4arch9wavefront6targetE0EEEvT1_.kd
    .uniform_work_group_size: 1
    .uses_dynamic_stack: false
    .vgpr_count:     0
    .vgpr_spill_count: 0
    .wavefront_size: 32
    .workgroup_processor_mode: 1
  - .args:
      - .offset:         0
        .size:           136
        .value_kind:     by_value
    .group_segment_fixed_size: 0
    .kernarg_segment_align: 8
    .kernarg_segment_size: 136
    .language:       OpenCL C
    .language_version:
      - 2
      - 0
    .max_flat_workgroup_size: 256
    .name:           _ZN7rocprim17ROCPRIM_400000_NS6detail17trampoline_kernelINS0_14default_configENS1_27scan_by_key_config_selectorIxxEEZZNS1_16scan_by_key_implILNS1_25lookback_scan_determinismE0ELb0ES3_N6thrust23THRUST_200600_302600_NS6detail15normal_iteratorINS9_10device_ptrIxEEEESE_SE_xNS9_4plusIvEENS9_8equal_toIvEExEE10hipError_tPvRmT2_T3_T4_T5_mT6_T7_P12ihipStream_tbENKUlT_T0_E_clISt17integral_constantIbLb0EESY_IbLb1EEEEDaSU_SV_EUlSU_E_NS1_11comp_targetILNS1_3genE3ELNS1_11target_archE908ELNS1_3gpuE7ELNS1_3repE0EEENS1_30default_config_static_selectorELNS0_4arch9wavefront6targetE0EEEvT1_
    .private_segment_fixed_size: 0
    .sgpr_count:     0
    .sgpr_spill_count: 0
    .symbol:         _ZN7rocprim17ROCPRIM_400000_NS6detail17trampoline_kernelINS0_14default_configENS1_27scan_by_key_config_selectorIxxEEZZNS1_16scan_by_key_implILNS1_25lookback_scan_determinismE0ELb0ES3_N6thrust23THRUST_200600_302600_NS6detail15normal_iteratorINS9_10device_ptrIxEEEESE_SE_xNS9_4plusIvEENS9_8equal_toIvEExEE10hipError_tPvRmT2_T3_T4_T5_mT6_T7_P12ihipStream_tbENKUlT_T0_E_clISt17integral_constantIbLb0EESY_IbLb1EEEEDaSU_SV_EUlSU_E_NS1_11comp_targetILNS1_3genE3ELNS1_11target_archE908ELNS1_3gpuE7ELNS1_3repE0EEENS1_30default_config_static_selectorELNS0_4arch9wavefront6targetE0EEEvT1_.kd
    .uniform_work_group_size: 1
    .uses_dynamic_stack: false
    .vgpr_count:     0
    .vgpr_spill_count: 0
    .wavefront_size: 32
    .workgroup_processor_mode: 1
  - .args:
      - .offset:         0
        .size:           136
        .value_kind:     by_value
    .group_segment_fixed_size: 0
    .kernarg_segment_align: 8
    .kernarg_segment_size: 136
    .language:       OpenCL C
    .language_version:
      - 2
      - 0
    .max_flat_workgroup_size: 256
    .name:           _ZN7rocprim17ROCPRIM_400000_NS6detail17trampoline_kernelINS0_14default_configENS1_27scan_by_key_config_selectorIxxEEZZNS1_16scan_by_key_implILNS1_25lookback_scan_determinismE0ELb0ES3_N6thrust23THRUST_200600_302600_NS6detail15normal_iteratorINS9_10device_ptrIxEEEESE_SE_xNS9_4plusIvEENS9_8equal_toIvEExEE10hipError_tPvRmT2_T3_T4_T5_mT6_T7_P12ihipStream_tbENKUlT_T0_E_clISt17integral_constantIbLb0EESY_IbLb1EEEEDaSU_SV_EUlSU_E_NS1_11comp_targetILNS1_3genE2ELNS1_11target_archE906ELNS1_3gpuE6ELNS1_3repE0EEENS1_30default_config_static_selectorELNS0_4arch9wavefront6targetE0EEEvT1_
    .private_segment_fixed_size: 0
    .sgpr_count:     0
    .sgpr_spill_count: 0
    .symbol:         _ZN7rocprim17ROCPRIM_400000_NS6detail17trampoline_kernelINS0_14default_configENS1_27scan_by_key_config_selectorIxxEEZZNS1_16scan_by_key_implILNS1_25lookback_scan_determinismE0ELb0ES3_N6thrust23THRUST_200600_302600_NS6detail15normal_iteratorINS9_10device_ptrIxEEEESE_SE_xNS9_4plusIvEENS9_8equal_toIvEExEE10hipError_tPvRmT2_T3_T4_T5_mT6_T7_P12ihipStream_tbENKUlT_T0_E_clISt17integral_constantIbLb0EESY_IbLb1EEEEDaSU_SV_EUlSU_E_NS1_11comp_targetILNS1_3genE2ELNS1_11target_archE906ELNS1_3gpuE6ELNS1_3repE0EEENS1_30default_config_static_selectorELNS0_4arch9wavefront6targetE0EEEvT1_.kd
    .uniform_work_group_size: 1
    .uses_dynamic_stack: false
    .vgpr_count:     0
    .vgpr_spill_count: 0
    .wavefront_size: 32
    .workgroup_processor_mode: 1
  - .args:
      - .offset:         0
        .size:           136
        .value_kind:     by_value
    .group_segment_fixed_size: 0
    .kernarg_segment_align: 8
    .kernarg_segment_size: 136
    .language:       OpenCL C
    .language_version:
      - 2
      - 0
    .max_flat_workgroup_size: 256
    .name:           _ZN7rocprim17ROCPRIM_400000_NS6detail17trampoline_kernelINS0_14default_configENS1_27scan_by_key_config_selectorIxxEEZZNS1_16scan_by_key_implILNS1_25lookback_scan_determinismE0ELb0ES3_N6thrust23THRUST_200600_302600_NS6detail15normal_iteratorINS9_10device_ptrIxEEEESE_SE_xNS9_4plusIvEENS9_8equal_toIvEExEE10hipError_tPvRmT2_T3_T4_T5_mT6_T7_P12ihipStream_tbENKUlT_T0_E_clISt17integral_constantIbLb0EESY_IbLb1EEEEDaSU_SV_EUlSU_E_NS1_11comp_targetILNS1_3genE10ELNS1_11target_archE1200ELNS1_3gpuE4ELNS1_3repE0EEENS1_30default_config_static_selectorELNS0_4arch9wavefront6targetE0EEEvT1_
    .private_segment_fixed_size: 0
    .sgpr_count:     0
    .sgpr_spill_count: 0
    .symbol:         _ZN7rocprim17ROCPRIM_400000_NS6detail17trampoline_kernelINS0_14default_configENS1_27scan_by_key_config_selectorIxxEEZZNS1_16scan_by_key_implILNS1_25lookback_scan_determinismE0ELb0ES3_N6thrust23THRUST_200600_302600_NS6detail15normal_iteratorINS9_10device_ptrIxEEEESE_SE_xNS9_4plusIvEENS9_8equal_toIvEExEE10hipError_tPvRmT2_T3_T4_T5_mT6_T7_P12ihipStream_tbENKUlT_T0_E_clISt17integral_constantIbLb0EESY_IbLb1EEEEDaSU_SV_EUlSU_E_NS1_11comp_targetILNS1_3genE10ELNS1_11target_archE1200ELNS1_3gpuE4ELNS1_3repE0EEENS1_30default_config_static_selectorELNS0_4arch9wavefront6targetE0EEEvT1_.kd
    .uniform_work_group_size: 1
    .uses_dynamic_stack: false
    .vgpr_count:     0
    .vgpr_spill_count: 0
    .wavefront_size: 32
    .workgroup_processor_mode: 1
  - .args:
      - .offset:         0
        .size:           136
        .value_kind:     by_value
    .group_segment_fixed_size: 0
    .kernarg_segment_align: 8
    .kernarg_segment_size: 136
    .language:       OpenCL C
    .language_version:
      - 2
      - 0
    .max_flat_workgroup_size: 256
    .name:           _ZN7rocprim17ROCPRIM_400000_NS6detail17trampoline_kernelINS0_14default_configENS1_27scan_by_key_config_selectorIxxEEZZNS1_16scan_by_key_implILNS1_25lookback_scan_determinismE0ELb0ES3_N6thrust23THRUST_200600_302600_NS6detail15normal_iteratorINS9_10device_ptrIxEEEESE_SE_xNS9_4plusIvEENS9_8equal_toIvEExEE10hipError_tPvRmT2_T3_T4_T5_mT6_T7_P12ihipStream_tbENKUlT_T0_E_clISt17integral_constantIbLb0EESY_IbLb1EEEEDaSU_SV_EUlSU_E_NS1_11comp_targetILNS1_3genE9ELNS1_11target_archE1100ELNS1_3gpuE3ELNS1_3repE0EEENS1_30default_config_static_selectorELNS0_4arch9wavefront6targetE0EEEvT1_
    .private_segment_fixed_size: 0
    .sgpr_count:     0
    .sgpr_spill_count: 0
    .symbol:         _ZN7rocprim17ROCPRIM_400000_NS6detail17trampoline_kernelINS0_14default_configENS1_27scan_by_key_config_selectorIxxEEZZNS1_16scan_by_key_implILNS1_25lookback_scan_determinismE0ELb0ES3_N6thrust23THRUST_200600_302600_NS6detail15normal_iteratorINS9_10device_ptrIxEEEESE_SE_xNS9_4plusIvEENS9_8equal_toIvEExEE10hipError_tPvRmT2_T3_T4_T5_mT6_T7_P12ihipStream_tbENKUlT_T0_E_clISt17integral_constantIbLb0EESY_IbLb1EEEEDaSU_SV_EUlSU_E_NS1_11comp_targetILNS1_3genE9ELNS1_11target_archE1100ELNS1_3gpuE3ELNS1_3repE0EEENS1_30default_config_static_selectorELNS0_4arch9wavefront6targetE0EEEvT1_.kd
    .uniform_work_group_size: 1
    .uses_dynamic_stack: false
    .vgpr_count:     0
    .vgpr_spill_count: 0
    .wavefront_size: 32
    .workgroup_processor_mode: 1
  - .args:
      - .offset:         0
        .size:           136
        .value_kind:     by_value
    .group_segment_fixed_size: 30720
    .kernarg_segment_align: 8
    .kernarg_segment_size: 136
    .language:       OpenCL C
    .language_version:
      - 2
      - 0
    .max_flat_workgroup_size: 256
    .name:           _ZN7rocprim17ROCPRIM_400000_NS6detail17trampoline_kernelINS0_14default_configENS1_27scan_by_key_config_selectorIxxEEZZNS1_16scan_by_key_implILNS1_25lookback_scan_determinismE0ELb0ES3_N6thrust23THRUST_200600_302600_NS6detail15normal_iteratorINS9_10device_ptrIxEEEESE_SE_xNS9_4plusIvEENS9_8equal_toIvEExEE10hipError_tPvRmT2_T3_T4_T5_mT6_T7_P12ihipStream_tbENKUlT_T0_E_clISt17integral_constantIbLb0EESY_IbLb1EEEEDaSU_SV_EUlSU_E_NS1_11comp_targetILNS1_3genE8ELNS1_11target_archE1030ELNS1_3gpuE2ELNS1_3repE0EEENS1_30default_config_static_selectorELNS0_4arch9wavefront6targetE0EEEvT1_
    .private_segment_fixed_size: 0
    .sgpr_count:     53
    .sgpr_spill_count: 0
    .symbol:         _ZN7rocprim17ROCPRIM_400000_NS6detail17trampoline_kernelINS0_14default_configENS1_27scan_by_key_config_selectorIxxEEZZNS1_16scan_by_key_implILNS1_25lookback_scan_determinismE0ELb0ES3_N6thrust23THRUST_200600_302600_NS6detail15normal_iteratorINS9_10device_ptrIxEEEESE_SE_xNS9_4plusIvEENS9_8equal_toIvEExEE10hipError_tPvRmT2_T3_T4_T5_mT6_T7_P12ihipStream_tbENKUlT_T0_E_clISt17integral_constantIbLb0EESY_IbLb1EEEEDaSU_SV_EUlSU_E_NS1_11comp_targetILNS1_3genE8ELNS1_11target_archE1030ELNS1_3gpuE2ELNS1_3repE0EEENS1_30default_config_static_selectorELNS0_4arch9wavefront6targetE0EEEvT1_.kd
    .uniform_work_group_size: 1
    .uses_dynamic_stack: false
    .vgpr_count:     106
    .vgpr_spill_count: 0
    .wavefront_size: 32
    .workgroup_processor_mode: 1
  - .args:
      - .offset:         0
        .size:           136
        .value_kind:     by_value
    .group_segment_fixed_size: 0
    .kernarg_segment_align: 8
    .kernarg_segment_size: 136
    .language:       OpenCL C
    .language_version:
      - 2
      - 0
    .max_flat_workgroup_size: 256
    .name:           _ZN7rocprim17ROCPRIM_400000_NS6detail17trampoline_kernelINS0_14default_configENS1_27scan_by_key_config_selectorIxxEEZZNS1_16scan_by_key_implILNS1_25lookback_scan_determinismE0ELb0ES3_N6thrust23THRUST_200600_302600_NS6detail15normal_iteratorINS9_10device_ptrIxEEEESE_SE_xNS9_10multipliesIxEENS9_8equal_toIxEExEE10hipError_tPvRmT2_T3_T4_T5_mT6_T7_P12ihipStream_tbENKUlT_T0_E_clISt17integral_constantIbLb0EESZ_EEDaSU_SV_EUlSU_E_NS1_11comp_targetILNS1_3genE0ELNS1_11target_archE4294967295ELNS1_3gpuE0ELNS1_3repE0EEENS1_30default_config_static_selectorELNS0_4arch9wavefront6targetE0EEEvT1_
    .private_segment_fixed_size: 0
    .sgpr_count:     0
    .sgpr_spill_count: 0
    .symbol:         _ZN7rocprim17ROCPRIM_400000_NS6detail17trampoline_kernelINS0_14default_configENS1_27scan_by_key_config_selectorIxxEEZZNS1_16scan_by_key_implILNS1_25lookback_scan_determinismE0ELb0ES3_N6thrust23THRUST_200600_302600_NS6detail15normal_iteratorINS9_10device_ptrIxEEEESE_SE_xNS9_10multipliesIxEENS9_8equal_toIxEExEE10hipError_tPvRmT2_T3_T4_T5_mT6_T7_P12ihipStream_tbENKUlT_T0_E_clISt17integral_constantIbLb0EESZ_EEDaSU_SV_EUlSU_E_NS1_11comp_targetILNS1_3genE0ELNS1_11target_archE4294967295ELNS1_3gpuE0ELNS1_3repE0EEENS1_30default_config_static_selectorELNS0_4arch9wavefront6targetE0EEEvT1_.kd
    .uniform_work_group_size: 1
    .uses_dynamic_stack: false
    .vgpr_count:     0
    .vgpr_spill_count: 0
    .wavefront_size: 32
    .workgroup_processor_mode: 1
  - .args:
      - .offset:         0
        .size:           136
        .value_kind:     by_value
    .group_segment_fixed_size: 0
    .kernarg_segment_align: 8
    .kernarg_segment_size: 136
    .language:       OpenCL C
    .language_version:
      - 2
      - 0
    .max_flat_workgroup_size: 256
    .name:           _ZN7rocprim17ROCPRIM_400000_NS6detail17trampoline_kernelINS0_14default_configENS1_27scan_by_key_config_selectorIxxEEZZNS1_16scan_by_key_implILNS1_25lookback_scan_determinismE0ELb0ES3_N6thrust23THRUST_200600_302600_NS6detail15normal_iteratorINS9_10device_ptrIxEEEESE_SE_xNS9_10multipliesIxEENS9_8equal_toIxEExEE10hipError_tPvRmT2_T3_T4_T5_mT6_T7_P12ihipStream_tbENKUlT_T0_E_clISt17integral_constantIbLb0EESZ_EEDaSU_SV_EUlSU_E_NS1_11comp_targetILNS1_3genE10ELNS1_11target_archE1201ELNS1_3gpuE5ELNS1_3repE0EEENS1_30default_config_static_selectorELNS0_4arch9wavefront6targetE0EEEvT1_
    .private_segment_fixed_size: 0
    .sgpr_count:     0
    .sgpr_spill_count: 0
    .symbol:         _ZN7rocprim17ROCPRIM_400000_NS6detail17trampoline_kernelINS0_14default_configENS1_27scan_by_key_config_selectorIxxEEZZNS1_16scan_by_key_implILNS1_25lookback_scan_determinismE0ELb0ES3_N6thrust23THRUST_200600_302600_NS6detail15normal_iteratorINS9_10device_ptrIxEEEESE_SE_xNS9_10multipliesIxEENS9_8equal_toIxEExEE10hipError_tPvRmT2_T3_T4_T5_mT6_T7_P12ihipStream_tbENKUlT_T0_E_clISt17integral_constantIbLb0EESZ_EEDaSU_SV_EUlSU_E_NS1_11comp_targetILNS1_3genE10ELNS1_11target_archE1201ELNS1_3gpuE5ELNS1_3repE0EEENS1_30default_config_static_selectorELNS0_4arch9wavefront6targetE0EEEvT1_.kd
    .uniform_work_group_size: 1
    .uses_dynamic_stack: false
    .vgpr_count:     0
    .vgpr_spill_count: 0
    .wavefront_size: 32
    .workgroup_processor_mode: 1
  - .args:
      - .offset:         0
        .size:           136
        .value_kind:     by_value
    .group_segment_fixed_size: 0
    .kernarg_segment_align: 8
    .kernarg_segment_size: 136
    .language:       OpenCL C
    .language_version:
      - 2
      - 0
    .max_flat_workgroup_size: 256
    .name:           _ZN7rocprim17ROCPRIM_400000_NS6detail17trampoline_kernelINS0_14default_configENS1_27scan_by_key_config_selectorIxxEEZZNS1_16scan_by_key_implILNS1_25lookback_scan_determinismE0ELb0ES3_N6thrust23THRUST_200600_302600_NS6detail15normal_iteratorINS9_10device_ptrIxEEEESE_SE_xNS9_10multipliesIxEENS9_8equal_toIxEExEE10hipError_tPvRmT2_T3_T4_T5_mT6_T7_P12ihipStream_tbENKUlT_T0_E_clISt17integral_constantIbLb0EESZ_EEDaSU_SV_EUlSU_E_NS1_11comp_targetILNS1_3genE5ELNS1_11target_archE942ELNS1_3gpuE9ELNS1_3repE0EEENS1_30default_config_static_selectorELNS0_4arch9wavefront6targetE0EEEvT1_
    .private_segment_fixed_size: 0
    .sgpr_count:     0
    .sgpr_spill_count: 0
    .symbol:         _ZN7rocprim17ROCPRIM_400000_NS6detail17trampoline_kernelINS0_14default_configENS1_27scan_by_key_config_selectorIxxEEZZNS1_16scan_by_key_implILNS1_25lookback_scan_determinismE0ELb0ES3_N6thrust23THRUST_200600_302600_NS6detail15normal_iteratorINS9_10device_ptrIxEEEESE_SE_xNS9_10multipliesIxEENS9_8equal_toIxEExEE10hipError_tPvRmT2_T3_T4_T5_mT6_T7_P12ihipStream_tbENKUlT_T0_E_clISt17integral_constantIbLb0EESZ_EEDaSU_SV_EUlSU_E_NS1_11comp_targetILNS1_3genE5ELNS1_11target_archE942ELNS1_3gpuE9ELNS1_3repE0EEENS1_30default_config_static_selectorELNS0_4arch9wavefront6targetE0EEEvT1_.kd
    .uniform_work_group_size: 1
    .uses_dynamic_stack: false
    .vgpr_count:     0
    .vgpr_spill_count: 0
    .wavefront_size: 32
    .workgroup_processor_mode: 1
  - .args:
      - .offset:         0
        .size:           136
        .value_kind:     by_value
    .group_segment_fixed_size: 0
    .kernarg_segment_align: 8
    .kernarg_segment_size: 136
    .language:       OpenCL C
    .language_version:
      - 2
      - 0
    .max_flat_workgroup_size: 64
    .name:           _ZN7rocprim17ROCPRIM_400000_NS6detail17trampoline_kernelINS0_14default_configENS1_27scan_by_key_config_selectorIxxEEZZNS1_16scan_by_key_implILNS1_25lookback_scan_determinismE0ELb0ES3_N6thrust23THRUST_200600_302600_NS6detail15normal_iteratorINS9_10device_ptrIxEEEESE_SE_xNS9_10multipliesIxEENS9_8equal_toIxEExEE10hipError_tPvRmT2_T3_T4_T5_mT6_T7_P12ihipStream_tbENKUlT_T0_E_clISt17integral_constantIbLb0EESZ_EEDaSU_SV_EUlSU_E_NS1_11comp_targetILNS1_3genE4ELNS1_11target_archE910ELNS1_3gpuE8ELNS1_3repE0EEENS1_30default_config_static_selectorELNS0_4arch9wavefront6targetE0EEEvT1_
    .private_segment_fixed_size: 0
    .sgpr_count:     0
    .sgpr_spill_count: 0
    .symbol:         _ZN7rocprim17ROCPRIM_400000_NS6detail17trampoline_kernelINS0_14default_configENS1_27scan_by_key_config_selectorIxxEEZZNS1_16scan_by_key_implILNS1_25lookback_scan_determinismE0ELb0ES3_N6thrust23THRUST_200600_302600_NS6detail15normal_iteratorINS9_10device_ptrIxEEEESE_SE_xNS9_10multipliesIxEENS9_8equal_toIxEExEE10hipError_tPvRmT2_T3_T4_T5_mT6_T7_P12ihipStream_tbENKUlT_T0_E_clISt17integral_constantIbLb0EESZ_EEDaSU_SV_EUlSU_E_NS1_11comp_targetILNS1_3genE4ELNS1_11target_archE910ELNS1_3gpuE8ELNS1_3repE0EEENS1_30default_config_static_selectorELNS0_4arch9wavefront6targetE0EEEvT1_.kd
    .uniform_work_group_size: 1
    .uses_dynamic_stack: false
    .vgpr_count:     0
    .vgpr_spill_count: 0
    .wavefront_size: 32
    .workgroup_processor_mode: 1
  - .args:
      - .offset:         0
        .size:           136
        .value_kind:     by_value
    .group_segment_fixed_size: 0
    .kernarg_segment_align: 8
    .kernarg_segment_size: 136
    .language:       OpenCL C
    .language_version:
      - 2
      - 0
    .max_flat_workgroup_size: 256
    .name:           _ZN7rocprim17ROCPRIM_400000_NS6detail17trampoline_kernelINS0_14default_configENS1_27scan_by_key_config_selectorIxxEEZZNS1_16scan_by_key_implILNS1_25lookback_scan_determinismE0ELb0ES3_N6thrust23THRUST_200600_302600_NS6detail15normal_iteratorINS9_10device_ptrIxEEEESE_SE_xNS9_10multipliesIxEENS9_8equal_toIxEExEE10hipError_tPvRmT2_T3_T4_T5_mT6_T7_P12ihipStream_tbENKUlT_T0_E_clISt17integral_constantIbLb0EESZ_EEDaSU_SV_EUlSU_E_NS1_11comp_targetILNS1_3genE3ELNS1_11target_archE908ELNS1_3gpuE7ELNS1_3repE0EEENS1_30default_config_static_selectorELNS0_4arch9wavefront6targetE0EEEvT1_
    .private_segment_fixed_size: 0
    .sgpr_count:     0
    .sgpr_spill_count: 0
    .symbol:         _ZN7rocprim17ROCPRIM_400000_NS6detail17trampoline_kernelINS0_14default_configENS1_27scan_by_key_config_selectorIxxEEZZNS1_16scan_by_key_implILNS1_25lookback_scan_determinismE0ELb0ES3_N6thrust23THRUST_200600_302600_NS6detail15normal_iteratorINS9_10device_ptrIxEEEESE_SE_xNS9_10multipliesIxEENS9_8equal_toIxEExEE10hipError_tPvRmT2_T3_T4_T5_mT6_T7_P12ihipStream_tbENKUlT_T0_E_clISt17integral_constantIbLb0EESZ_EEDaSU_SV_EUlSU_E_NS1_11comp_targetILNS1_3genE3ELNS1_11target_archE908ELNS1_3gpuE7ELNS1_3repE0EEENS1_30default_config_static_selectorELNS0_4arch9wavefront6targetE0EEEvT1_.kd
    .uniform_work_group_size: 1
    .uses_dynamic_stack: false
    .vgpr_count:     0
    .vgpr_spill_count: 0
    .wavefront_size: 32
    .workgroup_processor_mode: 1
  - .args:
      - .offset:         0
        .size:           136
        .value_kind:     by_value
    .group_segment_fixed_size: 0
    .kernarg_segment_align: 8
    .kernarg_segment_size: 136
    .language:       OpenCL C
    .language_version:
      - 2
      - 0
    .max_flat_workgroup_size: 256
    .name:           _ZN7rocprim17ROCPRIM_400000_NS6detail17trampoline_kernelINS0_14default_configENS1_27scan_by_key_config_selectorIxxEEZZNS1_16scan_by_key_implILNS1_25lookback_scan_determinismE0ELb0ES3_N6thrust23THRUST_200600_302600_NS6detail15normal_iteratorINS9_10device_ptrIxEEEESE_SE_xNS9_10multipliesIxEENS9_8equal_toIxEExEE10hipError_tPvRmT2_T3_T4_T5_mT6_T7_P12ihipStream_tbENKUlT_T0_E_clISt17integral_constantIbLb0EESZ_EEDaSU_SV_EUlSU_E_NS1_11comp_targetILNS1_3genE2ELNS1_11target_archE906ELNS1_3gpuE6ELNS1_3repE0EEENS1_30default_config_static_selectorELNS0_4arch9wavefront6targetE0EEEvT1_
    .private_segment_fixed_size: 0
    .sgpr_count:     0
    .sgpr_spill_count: 0
    .symbol:         _ZN7rocprim17ROCPRIM_400000_NS6detail17trampoline_kernelINS0_14default_configENS1_27scan_by_key_config_selectorIxxEEZZNS1_16scan_by_key_implILNS1_25lookback_scan_determinismE0ELb0ES3_N6thrust23THRUST_200600_302600_NS6detail15normal_iteratorINS9_10device_ptrIxEEEESE_SE_xNS9_10multipliesIxEENS9_8equal_toIxEExEE10hipError_tPvRmT2_T3_T4_T5_mT6_T7_P12ihipStream_tbENKUlT_T0_E_clISt17integral_constantIbLb0EESZ_EEDaSU_SV_EUlSU_E_NS1_11comp_targetILNS1_3genE2ELNS1_11target_archE906ELNS1_3gpuE6ELNS1_3repE0EEENS1_30default_config_static_selectorELNS0_4arch9wavefront6targetE0EEEvT1_.kd
    .uniform_work_group_size: 1
    .uses_dynamic_stack: false
    .vgpr_count:     0
    .vgpr_spill_count: 0
    .wavefront_size: 32
    .workgroup_processor_mode: 1
  - .args:
      - .offset:         0
        .size:           136
        .value_kind:     by_value
    .group_segment_fixed_size: 0
    .kernarg_segment_align: 8
    .kernarg_segment_size: 136
    .language:       OpenCL C
    .language_version:
      - 2
      - 0
    .max_flat_workgroup_size: 256
    .name:           _ZN7rocprim17ROCPRIM_400000_NS6detail17trampoline_kernelINS0_14default_configENS1_27scan_by_key_config_selectorIxxEEZZNS1_16scan_by_key_implILNS1_25lookback_scan_determinismE0ELb0ES3_N6thrust23THRUST_200600_302600_NS6detail15normal_iteratorINS9_10device_ptrIxEEEESE_SE_xNS9_10multipliesIxEENS9_8equal_toIxEExEE10hipError_tPvRmT2_T3_T4_T5_mT6_T7_P12ihipStream_tbENKUlT_T0_E_clISt17integral_constantIbLb0EESZ_EEDaSU_SV_EUlSU_E_NS1_11comp_targetILNS1_3genE10ELNS1_11target_archE1200ELNS1_3gpuE4ELNS1_3repE0EEENS1_30default_config_static_selectorELNS0_4arch9wavefront6targetE0EEEvT1_
    .private_segment_fixed_size: 0
    .sgpr_count:     0
    .sgpr_spill_count: 0
    .symbol:         _ZN7rocprim17ROCPRIM_400000_NS6detail17trampoline_kernelINS0_14default_configENS1_27scan_by_key_config_selectorIxxEEZZNS1_16scan_by_key_implILNS1_25lookback_scan_determinismE0ELb0ES3_N6thrust23THRUST_200600_302600_NS6detail15normal_iteratorINS9_10device_ptrIxEEEESE_SE_xNS9_10multipliesIxEENS9_8equal_toIxEExEE10hipError_tPvRmT2_T3_T4_T5_mT6_T7_P12ihipStream_tbENKUlT_T0_E_clISt17integral_constantIbLb0EESZ_EEDaSU_SV_EUlSU_E_NS1_11comp_targetILNS1_3genE10ELNS1_11target_archE1200ELNS1_3gpuE4ELNS1_3repE0EEENS1_30default_config_static_selectorELNS0_4arch9wavefront6targetE0EEEvT1_.kd
    .uniform_work_group_size: 1
    .uses_dynamic_stack: false
    .vgpr_count:     0
    .vgpr_spill_count: 0
    .wavefront_size: 32
    .workgroup_processor_mode: 1
  - .args:
      - .offset:         0
        .size:           136
        .value_kind:     by_value
    .group_segment_fixed_size: 0
    .kernarg_segment_align: 8
    .kernarg_segment_size: 136
    .language:       OpenCL C
    .language_version:
      - 2
      - 0
    .max_flat_workgroup_size: 256
    .name:           _ZN7rocprim17ROCPRIM_400000_NS6detail17trampoline_kernelINS0_14default_configENS1_27scan_by_key_config_selectorIxxEEZZNS1_16scan_by_key_implILNS1_25lookback_scan_determinismE0ELb0ES3_N6thrust23THRUST_200600_302600_NS6detail15normal_iteratorINS9_10device_ptrIxEEEESE_SE_xNS9_10multipliesIxEENS9_8equal_toIxEExEE10hipError_tPvRmT2_T3_T4_T5_mT6_T7_P12ihipStream_tbENKUlT_T0_E_clISt17integral_constantIbLb0EESZ_EEDaSU_SV_EUlSU_E_NS1_11comp_targetILNS1_3genE9ELNS1_11target_archE1100ELNS1_3gpuE3ELNS1_3repE0EEENS1_30default_config_static_selectorELNS0_4arch9wavefront6targetE0EEEvT1_
    .private_segment_fixed_size: 0
    .sgpr_count:     0
    .sgpr_spill_count: 0
    .symbol:         _ZN7rocprim17ROCPRIM_400000_NS6detail17trampoline_kernelINS0_14default_configENS1_27scan_by_key_config_selectorIxxEEZZNS1_16scan_by_key_implILNS1_25lookback_scan_determinismE0ELb0ES3_N6thrust23THRUST_200600_302600_NS6detail15normal_iteratorINS9_10device_ptrIxEEEESE_SE_xNS9_10multipliesIxEENS9_8equal_toIxEExEE10hipError_tPvRmT2_T3_T4_T5_mT6_T7_P12ihipStream_tbENKUlT_T0_E_clISt17integral_constantIbLb0EESZ_EEDaSU_SV_EUlSU_E_NS1_11comp_targetILNS1_3genE9ELNS1_11target_archE1100ELNS1_3gpuE3ELNS1_3repE0EEENS1_30default_config_static_selectorELNS0_4arch9wavefront6targetE0EEEvT1_.kd
    .uniform_work_group_size: 1
    .uses_dynamic_stack: false
    .vgpr_count:     0
    .vgpr_spill_count: 0
    .wavefront_size: 32
    .workgroup_processor_mode: 1
  - .args:
      - .offset:         0
        .size:           136
        .value_kind:     by_value
    .group_segment_fixed_size: 30720
    .kernarg_segment_align: 8
    .kernarg_segment_size: 136
    .language:       OpenCL C
    .language_version:
      - 2
      - 0
    .max_flat_workgroup_size: 256
    .name:           _ZN7rocprim17ROCPRIM_400000_NS6detail17trampoline_kernelINS0_14default_configENS1_27scan_by_key_config_selectorIxxEEZZNS1_16scan_by_key_implILNS1_25lookback_scan_determinismE0ELb0ES3_N6thrust23THRUST_200600_302600_NS6detail15normal_iteratorINS9_10device_ptrIxEEEESE_SE_xNS9_10multipliesIxEENS9_8equal_toIxEExEE10hipError_tPvRmT2_T3_T4_T5_mT6_T7_P12ihipStream_tbENKUlT_T0_E_clISt17integral_constantIbLb0EESZ_EEDaSU_SV_EUlSU_E_NS1_11comp_targetILNS1_3genE8ELNS1_11target_archE1030ELNS1_3gpuE2ELNS1_3repE0EEENS1_30default_config_static_selectorELNS0_4arch9wavefront6targetE0EEEvT1_
    .private_segment_fixed_size: 0
    .sgpr_count:     51
    .sgpr_spill_count: 0
    .symbol:         _ZN7rocprim17ROCPRIM_400000_NS6detail17trampoline_kernelINS0_14default_configENS1_27scan_by_key_config_selectorIxxEEZZNS1_16scan_by_key_implILNS1_25lookback_scan_determinismE0ELb0ES3_N6thrust23THRUST_200600_302600_NS6detail15normal_iteratorINS9_10device_ptrIxEEEESE_SE_xNS9_10multipliesIxEENS9_8equal_toIxEExEE10hipError_tPvRmT2_T3_T4_T5_mT6_T7_P12ihipStream_tbENKUlT_T0_E_clISt17integral_constantIbLb0EESZ_EEDaSU_SV_EUlSU_E_NS1_11comp_targetILNS1_3genE8ELNS1_11target_archE1030ELNS1_3gpuE2ELNS1_3repE0EEENS1_30default_config_static_selectorELNS0_4arch9wavefront6targetE0EEEvT1_.kd
    .uniform_work_group_size: 1
    .uses_dynamic_stack: false
    .vgpr_count:     106
    .vgpr_spill_count: 0
    .wavefront_size: 32
    .workgroup_processor_mode: 1
  - .args:
      - .offset:         0
        .size:           136
        .value_kind:     by_value
    .group_segment_fixed_size: 0
    .kernarg_segment_align: 8
    .kernarg_segment_size: 136
    .language:       OpenCL C
    .language_version:
      - 2
      - 0
    .max_flat_workgroup_size: 256
    .name:           _ZN7rocprim17ROCPRIM_400000_NS6detail17trampoline_kernelINS0_14default_configENS1_27scan_by_key_config_selectorIxxEEZZNS1_16scan_by_key_implILNS1_25lookback_scan_determinismE0ELb0ES3_N6thrust23THRUST_200600_302600_NS6detail15normal_iteratorINS9_10device_ptrIxEEEESE_SE_xNS9_10multipliesIxEENS9_8equal_toIxEExEE10hipError_tPvRmT2_T3_T4_T5_mT6_T7_P12ihipStream_tbENKUlT_T0_E_clISt17integral_constantIbLb1EESZ_EEDaSU_SV_EUlSU_E_NS1_11comp_targetILNS1_3genE0ELNS1_11target_archE4294967295ELNS1_3gpuE0ELNS1_3repE0EEENS1_30default_config_static_selectorELNS0_4arch9wavefront6targetE0EEEvT1_
    .private_segment_fixed_size: 0
    .sgpr_count:     0
    .sgpr_spill_count: 0
    .symbol:         _ZN7rocprim17ROCPRIM_400000_NS6detail17trampoline_kernelINS0_14default_configENS1_27scan_by_key_config_selectorIxxEEZZNS1_16scan_by_key_implILNS1_25lookback_scan_determinismE0ELb0ES3_N6thrust23THRUST_200600_302600_NS6detail15normal_iteratorINS9_10device_ptrIxEEEESE_SE_xNS9_10multipliesIxEENS9_8equal_toIxEExEE10hipError_tPvRmT2_T3_T4_T5_mT6_T7_P12ihipStream_tbENKUlT_T0_E_clISt17integral_constantIbLb1EESZ_EEDaSU_SV_EUlSU_E_NS1_11comp_targetILNS1_3genE0ELNS1_11target_archE4294967295ELNS1_3gpuE0ELNS1_3repE0EEENS1_30default_config_static_selectorELNS0_4arch9wavefront6targetE0EEEvT1_.kd
    .uniform_work_group_size: 1
    .uses_dynamic_stack: false
    .vgpr_count:     0
    .vgpr_spill_count: 0
    .wavefront_size: 32
    .workgroup_processor_mode: 1
  - .args:
      - .offset:         0
        .size:           136
        .value_kind:     by_value
    .group_segment_fixed_size: 0
    .kernarg_segment_align: 8
    .kernarg_segment_size: 136
    .language:       OpenCL C
    .language_version:
      - 2
      - 0
    .max_flat_workgroup_size: 256
    .name:           _ZN7rocprim17ROCPRIM_400000_NS6detail17trampoline_kernelINS0_14default_configENS1_27scan_by_key_config_selectorIxxEEZZNS1_16scan_by_key_implILNS1_25lookback_scan_determinismE0ELb0ES3_N6thrust23THRUST_200600_302600_NS6detail15normal_iteratorINS9_10device_ptrIxEEEESE_SE_xNS9_10multipliesIxEENS9_8equal_toIxEExEE10hipError_tPvRmT2_T3_T4_T5_mT6_T7_P12ihipStream_tbENKUlT_T0_E_clISt17integral_constantIbLb1EESZ_EEDaSU_SV_EUlSU_E_NS1_11comp_targetILNS1_3genE10ELNS1_11target_archE1201ELNS1_3gpuE5ELNS1_3repE0EEENS1_30default_config_static_selectorELNS0_4arch9wavefront6targetE0EEEvT1_
    .private_segment_fixed_size: 0
    .sgpr_count:     0
    .sgpr_spill_count: 0
    .symbol:         _ZN7rocprim17ROCPRIM_400000_NS6detail17trampoline_kernelINS0_14default_configENS1_27scan_by_key_config_selectorIxxEEZZNS1_16scan_by_key_implILNS1_25lookback_scan_determinismE0ELb0ES3_N6thrust23THRUST_200600_302600_NS6detail15normal_iteratorINS9_10device_ptrIxEEEESE_SE_xNS9_10multipliesIxEENS9_8equal_toIxEExEE10hipError_tPvRmT2_T3_T4_T5_mT6_T7_P12ihipStream_tbENKUlT_T0_E_clISt17integral_constantIbLb1EESZ_EEDaSU_SV_EUlSU_E_NS1_11comp_targetILNS1_3genE10ELNS1_11target_archE1201ELNS1_3gpuE5ELNS1_3repE0EEENS1_30default_config_static_selectorELNS0_4arch9wavefront6targetE0EEEvT1_.kd
    .uniform_work_group_size: 1
    .uses_dynamic_stack: false
    .vgpr_count:     0
    .vgpr_spill_count: 0
    .wavefront_size: 32
    .workgroup_processor_mode: 1
  - .args:
      - .offset:         0
        .size:           136
        .value_kind:     by_value
    .group_segment_fixed_size: 0
    .kernarg_segment_align: 8
    .kernarg_segment_size: 136
    .language:       OpenCL C
    .language_version:
      - 2
      - 0
    .max_flat_workgroup_size: 256
    .name:           _ZN7rocprim17ROCPRIM_400000_NS6detail17trampoline_kernelINS0_14default_configENS1_27scan_by_key_config_selectorIxxEEZZNS1_16scan_by_key_implILNS1_25lookback_scan_determinismE0ELb0ES3_N6thrust23THRUST_200600_302600_NS6detail15normal_iteratorINS9_10device_ptrIxEEEESE_SE_xNS9_10multipliesIxEENS9_8equal_toIxEExEE10hipError_tPvRmT2_T3_T4_T5_mT6_T7_P12ihipStream_tbENKUlT_T0_E_clISt17integral_constantIbLb1EESZ_EEDaSU_SV_EUlSU_E_NS1_11comp_targetILNS1_3genE5ELNS1_11target_archE942ELNS1_3gpuE9ELNS1_3repE0EEENS1_30default_config_static_selectorELNS0_4arch9wavefront6targetE0EEEvT1_
    .private_segment_fixed_size: 0
    .sgpr_count:     0
    .sgpr_spill_count: 0
    .symbol:         _ZN7rocprim17ROCPRIM_400000_NS6detail17trampoline_kernelINS0_14default_configENS1_27scan_by_key_config_selectorIxxEEZZNS1_16scan_by_key_implILNS1_25lookback_scan_determinismE0ELb0ES3_N6thrust23THRUST_200600_302600_NS6detail15normal_iteratorINS9_10device_ptrIxEEEESE_SE_xNS9_10multipliesIxEENS9_8equal_toIxEExEE10hipError_tPvRmT2_T3_T4_T5_mT6_T7_P12ihipStream_tbENKUlT_T0_E_clISt17integral_constantIbLb1EESZ_EEDaSU_SV_EUlSU_E_NS1_11comp_targetILNS1_3genE5ELNS1_11target_archE942ELNS1_3gpuE9ELNS1_3repE0EEENS1_30default_config_static_selectorELNS0_4arch9wavefront6targetE0EEEvT1_.kd
    .uniform_work_group_size: 1
    .uses_dynamic_stack: false
    .vgpr_count:     0
    .vgpr_spill_count: 0
    .wavefront_size: 32
    .workgroup_processor_mode: 1
  - .args:
      - .offset:         0
        .size:           136
        .value_kind:     by_value
    .group_segment_fixed_size: 0
    .kernarg_segment_align: 8
    .kernarg_segment_size: 136
    .language:       OpenCL C
    .language_version:
      - 2
      - 0
    .max_flat_workgroup_size: 64
    .name:           _ZN7rocprim17ROCPRIM_400000_NS6detail17trampoline_kernelINS0_14default_configENS1_27scan_by_key_config_selectorIxxEEZZNS1_16scan_by_key_implILNS1_25lookback_scan_determinismE0ELb0ES3_N6thrust23THRUST_200600_302600_NS6detail15normal_iteratorINS9_10device_ptrIxEEEESE_SE_xNS9_10multipliesIxEENS9_8equal_toIxEExEE10hipError_tPvRmT2_T3_T4_T5_mT6_T7_P12ihipStream_tbENKUlT_T0_E_clISt17integral_constantIbLb1EESZ_EEDaSU_SV_EUlSU_E_NS1_11comp_targetILNS1_3genE4ELNS1_11target_archE910ELNS1_3gpuE8ELNS1_3repE0EEENS1_30default_config_static_selectorELNS0_4arch9wavefront6targetE0EEEvT1_
    .private_segment_fixed_size: 0
    .sgpr_count:     0
    .sgpr_spill_count: 0
    .symbol:         _ZN7rocprim17ROCPRIM_400000_NS6detail17trampoline_kernelINS0_14default_configENS1_27scan_by_key_config_selectorIxxEEZZNS1_16scan_by_key_implILNS1_25lookback_scan_determinismE0ELb0ES3_N6thrust23THRUST_200600_302600_NS6detail15normal_iteratorINS9_10device_ptrIxEEEESE_SE_xNS9_10multipliesIxEENS9_8equal_toIxEExEE10hipError_tPvRmT2_T3_T4_T5_mT6_T7_P12ihipStream_tbENKUlT_T0_E_clISt17integral_constantIbLb1EESZ_EEDaSU_SV_EUlSU_E_NS1_11comp_targetILNS1_3genE4ELNS1_11target_archE910ELNS1_3gpuE8ELNS1_3repE0EEENS1_30default_config_static_selectorELNS0_4arch9wavefront6targetE0EEEvT1_.kd
    .uniform_work_group_size: 1
    .uses_dynamic_stack: false
    .vgpr_count:     0
    .vgpr_spill_count: 0
    .wavefront_size: 32
    .workgroup_processor_mode: 1
  - .args:
      - .offset:         0
        .size:           136
        .value_kind:     by_value
    .group_segment_fixed_size: 0
    .kernarg_segment_align: 8
    .kernarg_segment_size: 136
    .language:       OpenCL C
    .language_version:
      - 2
      - 0
    .max_flat_workgroup_size: 256
    .name:           _ZN7rocprim17ROCPRIM_400000_NS6detail17trampoline_kernelINS0_14default_configENS1_27scan_by_key_config_selectorIxxEEZZNS1_16scan_by_key_implILNS1_25lookback_scan_determinismE0ELb0ES3_N6thrust23THRUST_200600_302600_NS6detail15normal_iteratorINS9_10device_ptrIxEEEESE_SE_xNS9_10multipliesIxEENS9_8equal_toIxEExEE10hipError_tPvRmT2_T3_T4_T5_mT6_T7_P12ihipStream_tbENKUlT_T0_E_clISt17integral_constantIbLb1EESZ_EEDaSU_SV_EUlSU_E_NS1_11comp_targetILNS1_3genE3ELNS1_11target_archE908ELNS1_3gpuE7ELNS1_3repE0EEENS1_30default_config_static_selectorELNS0_4arch9wavefront6targetE0EEEvT1_
    .private_segment_fixed_size: 0
    .sgpr_count:     0
    .sgpr_spill_count: 0
    .symbol:         _ZN7rocprim17ROCPRIM_400000_NS6detail17trampoline_kernelINS0_14default_configENS1_27scan_by_key_config_selectorIxxEEZZNS1_16scan_by_key_implILNS1_25lookback_scan_determinismE0ELb0ES3_N6thrust23THRUST_200600_302600_NS6detail15normal_iteratorINS9_10device_ptrIxEEEESE_SE_xNS9_10multipliesIxEENS9_8equal_toIxEExEE10hipError_tPvRmT2_T3_T4_T5_mT6_T7_P12ihipStream_tbENKUlT_T0_E_clISt17integral_constantIbLb1EESZ_EEDaSU_SV_EUlSU_E_NS1_11comp_targetILNS1_3genE3ELNS1_11target_archE908ELNS1_3gpuE7ELNS1_3repE0EEENS1_30default_config_static_selectorELNS0_4arch9wavefront6targetE0EEEvT1_.kd
    .uniform_work_group_size: 1
    .uses_dynamic_stack: false
    .vgpr_count:     0
    .vgpr_spill_count: 0
    .wavefront_size: 32
    .workgroup_processor_mode: 1
  - .args:
      - .offset:         0
        .size:           136
        .value_kind:     by_value
    .group_segment_fixed_size: 0
    .kernarg_segment_align: 8
    .kernarg_segment_size: 136
    .language:       OpenCL C
    .language_version:
      - 2
      - 0
    .max_flat_workgroup_size: 256
    .name:           _ZN7rocprim17ROCPRIM_400000_NS6detail17trampoline_kernelINS0_14default_configENS1_27scan_by_key_config_selectorIxxEEZZNS1_16scan_by_key_implILNS1_25lookback_scan_determinismE0ELb0ES3_N6thrust23THRUST_200600_302600_NS6detail15normal_iteratorINS9_10device_ptrIxEEEESE_SE_xNS9_10multipliesIxEENS9_8equal_toIxEExEE10hipError_tPvRmT2_T3_T4_T5_mT6_T7_P12ihipStream_tbENKUlT_T0_E_clISt17integral_constantIbLb1EESZ_EEDaSU_SV_EUlSU_E_NS1_11comp_targetILNS1_3genE2ELNS1_11target_archE906ELNS1_3gpuE6ELNS1_3repE0EEENS1_30default_config_static_selectorELNS0_4arch9wavefront6targetE0EEEvT1_
    .private_segment_fixed_size: 0
    .sgpr_count:     0
    .sgpr_spill_count: 0
    .symbol:         _ZN7rocprim17ROCPRIM_400000_NS6detail17trampoline_kernelINS0_14default_configENS1_27scan_by_key_config_selectorIxxEEZZNS1_16scan_by_key_implILNS1_25lookback_scan_determinismE0ELb0ES3_N6thrust23THRUST_200600_302600_NS6detail15normal_iteratorINS9_10device_ptrIxEEEESE_SE_xNS9_10multipliesIxEENS9_8equal_toIxEExEE10hipError_tPvRmT2_T3_T4_T5_mT6_T7_P12ihipStream_tbENKUlT_T0_E_clISt17integral_constantIbLb1EESZ_EEDaSU_SV_EUlSU_E_NS1_11comp_targetILNS1_3genE2ELNS1_11target_archE906ELNS1_3gpuE6ELNS1_3repE0EEENS1_30default_config_static_selectorELNS0_4arch9wavefront6targetE0EEEvT1_.kd
    .uniform_work_group_size: 1
    .uses_dynamic_stack: false
    .vgpr_count:     0
    .vgpr_spill_count: 0
    .wavefront_size: 32
    .workgroup_processor_mode: 1
  - .args:
      - .offset:         0
        .size:           136
        .value_kind:     by_value
    .group_segment_fixed_size: 0
    .kernarg_segment_align: 8
    .kernarg_segment_size: 136
    .language:       OpenCL C
    .language_version:
      - 2
      - 0
    .max_flat_workgroup_size: 256
    .name:           _ZN7rocprim17ROCPRIM_400000_NS6detail17trampoline_kernelINS0_14default_configENS1_27scan_by_key_config_selectorIxxEEZZNS1_16scan_by_key_implILNS1_25lookback_scan_determinismE0ELb0ES3_N6thrust23THRUST_200600_302600_NS6detail15normal_iteratorINS9_10device_ptrIxEEEESE_SE_xNS9_10multipliesIxEENS9_8equal_toIxEExEE10hipError_tPvRmT2_T3_T4_T5_mT6_T7_P12ihipStream_tbENKUlT_T0_E_clISt17integral_constantIbLb1EESZ_EEDaSU_SV_EUlSU_E_NS1_11comp_targetILNS1_3genE10ELNS1_11target_archE1200ELNS1_3gpuE4ELNS1_3repE0EEENS1_30default_config_static_selectorELNS0_4arch9wavefront6targetE0EEEvT1_
    .private_segment_fixed_size: 0
    .sgpr_count:     0
    .sgpr_spill_count: 0
    .symbol:         _ZN7rocprim17ROCPRIM_400000_NS6detail17trampoline_kernelINS0_14default_configENS1_27scan_by_key_config_selectorIxxEEZZNS1_16scan_by_key_implILNS1_25lookback_scan_determinismE0ELb0ES3_N6thrust23THRUST_200600_302600_NS6detail15normal_iteratorINS9_10device_ptrIxEEEESE_SE_xNS9_10multipliesIxEENS9_8equal_toIxEExEE10hipError_tPvRmT2_T3_T4_T5_mT6_T7_P12ihipStream_tbENKUlT_T0_E_clISt17integral_constantIbLb1EESZ_EEDaSU_SV_EUlSU_E_NS1_11comp_targetILNS1_3genE10ELNS1_11target_archE1200ELNS1_3gpuE4ELNS1_3repE0EEENS1_30default_config_static_selectorELNS0_4arch9wavefront6targetE0EEEvT1_.kd
    .uniform_work_group_size: 1
    .uses_dynamic_stack: false
    .vgpr_count:     0
    .vgpr_spill_count: 0
    .wavefront_size: 32
    .workgroup_processor_mode: 1
  - .args:
      - .offset:         0
        .size:           136
        .value_kind:     by_value
    .group_segment_fixed_size: 0
    .kernarg_segment_align: 8
    .kernarg_segment_size: 136
    .language:       OpenCL C
    .language_version:
      - 2
      - 0
    .max_flat_workgroup_size: 256
    .name:           _ZN7rocprim17ROCPRIM_400000_NS6detail17trampoline_kernelINS0_14default_configENS1_27scan_by_key_config_selectorIxxEEZZNS1_16scan_by_key_implILNS1_25lookback_scan_determinismE0ELb0ES3_N6thrust23THRUST_200600_302600_NS6detail15normal_iteratorINS9_10device_ptrIxEEEESE_SE_xNS9_10multipliesIxEENS9_8equal_toIxEExEE10hipError_tPvRmT2_T3_T4_T5_mT6_T7_P12ihipStream_tbENKUlT_T0_E_clISt17integral_constantIbLb1EESZ_EEDaSU_SV_EUlSU_E_NS1_11comp_targetILNS1_3genE9ELNS1_11target_archE1100ELNS1_3gpuE3ELNS1_3repE0EEENS1_30default_config_static_selectorELNS0_4arch9wavefront6targetE0EEEvT1_
    .private_segment_fixed_size: 0
    .sgpr_count:     0
    .sgpr_spill_count: 0
    .symbol:         _ZN7rocprim17ROCPRIM_400000_NS6detail17trampoline_kernelINS0_14default_configENS1_27scan_by_key_config_selectorIxxEEZZNS1_16scan_by_key_implILNS1_25lookback_scan_determinismE0ELb0ES3_N6thrust23THRUST_200600_302600_NS6detail15normal_iteratorINS9_10device_ptrIxEEEESE_SE_xNS9_10multipliesIxEENS9_8equal_toIxEExEE10hipError_tPvRmT2_T3_T4_T5_mT6_T7_P12ihipStream_tbENKUlT_T0_E_clISt17integral_constantIbLb1EESZ_EEDaSU_SV_EUlSU_E_NS1_11comp_targetILNS1_3genE9ELNS1_11target_archE1100ELNS1_3gpuE3ELNS1_3repE0EEENS1_30default_config_static_selectorELNS0_4arch9wavefront6targetE0EEEvT1_.kd
    .uniform_work_group_size: 1
    .uses_dynamic_stack: false
    .vgpr_count:     0
    .vgpr_spill_count: 0
    .wavefront_size: 32
    .workgroup_processor_mode: 1
  - .args:
      - .offset:         0
        .size:           136
        .value_kind:     by_value
    .group_segment_fixed_size: 0
    .kernarg_segment_align: 8
    .kernarg_segment_size: 136
    .language:       OpenCL C
    .language_version:
      - 2
      - 0
    .max_flat_workgroup_size: 256
    .name:           _ZN7rocprim17ROCPRIM_400000_NS6detail17trampoline_kernelINS0_14default_configENS1_27scan_by_key_config_selectorIxxEEZZNS1_16scan_by_key_implILNS1_25lookback_scan_determinismE0ELb0ES3_N6thrust23THRUST_200600_302600_NS6detail15normal_iteratorINS9_10device_ptrIxEEEESE_SE_xNS9_10multipliesIxEENS9_8equal_toIxEExEE10hipError_tPvRmT2_T3_T4_T5_mT6_T7_P12ihipStream_tbENKUlT_T0_E_clISt17integral_constantIbLb1EESZ_EEDaSU_SV_EUlSU_E_NS1_11comp_targetILNS1_3genE8ELNS1_11target_archE1030ELNS1_3gpuE2ELNS1_3repE0EEENS1_30default_config_static_selectorELNS0_4arch9wavefront6targetE0EEEvT1_
    .private_segment_fixed_size: 0
    .sgpr_count:     0
    .sgpr_spill_count: 0
    .symbol:         _ZN7rocprim17ROCPRIM_400000_NS6detail17trampoline_kernelINS0_14default_configENS1_27scan_by_key_config_selectorIxxEEZZNS1_16scan_by_key_implILNS1_25lookback_scan_determinismE0ELb0ES3_N6thrust23THRUST_200600_302600_NS6detail15normal_iteratorINS9_10device_ptrIxEEEESE_SE_xNS9_10multipliesIxEENS9_8equal_toIxEExEE10hipError_tPvRmT2_T3_T4_T5_mT6_T7_P12ihipStream_tbENKUlT_T0_E_clISt17integral_constantIbLb1EESZ_EEDaSU_SV_EUlSU_E_NS1_11comp_targetILNS1_3genE8ELNS1_11target_archE1030ELNS1_3gpuE2ELNS1_3repE0EEENS1_30default_config_static_selectorELNS0_4arch9wavefront6targetE0EEEvT1_.kd
    .uniform_work_group_size: 1
    .uses_dynamic_stack: false
    .vgpr_count:     0
    .vgpr_spill_count: 0
    .wavefront_size: 32
    .workgroup_processor_mode: 1
  - .args:
      - .offset:         0
        .size:           136
        .value_kind:     by_value
    .group_segment_fixed_size: 0
    .kernarg_segment_align: 8
    .kernarg_segment_size: 136
    .language:       OpenCL C
    .language_version:
      - 2
      - 0
    .max_flat_workgroup_size: 256
    .name:           _ZN7rocprim17ROCPRIM_400000_NS6detail17trampoline_kernelINS0_14default_configENS1_27scan_by_key_config_selectorIxxEEZZNS1_16scan_by_key_implILNS1_25lookback_scan_determinismE0ELb0ES3_N6thrust23THRUST_200600_302600_NS6detail15normal_iteratorINS9_10device_ptrIxEEEESE_SE_xNS9_10multipliesIxEENS9_8equal_toIxEExEE10hipError_tPvRmT2_T3_T4_T5_mT6_T7_P12ihipStream_tbENKUlT_T0_E_clISt17integral_constantIbLb1EESY_IbLb0EEEEDaSU_SV_EUlSU_E_NS1_11comp_targetILNS1_3genE0ELNS1_11target_archE4294967295ELNS1_3gpuE0ELNS1_3repE0EEENS1_30default_config_static_selectorELNS0_4arch9wavefront6targetE0EEEvT1_
    .private_segment_fixed_size: 0
    .sgpr_count:     0
    .sgpr_spill_count: 0
    .symbol:         _ZN7rocprim17ROCPRIM_400000_NS6detail17trampoline_kernelINS0_14default_configENS1_27scan_by_key_config_selectorIxxEEZZNS1_16scan_by_key_implILNS1_25lookback_scan_determinismE0ELb0ES3_N6thrust23THRUST_200600_302600_NS6detail15normal_iteratorINS9_10device_ptrIxEEEESE_SE_xNS9_10multipliesIxEENS9_8equal_toIxEExEE10hipError_tPvRmT2_T3_T4_T5_mT6_T7_P12ihipStream_tbENKUlT_T0_E_clISt17integral_constantIbLb1EESY_IbLb0EEEEDaSU_SV_EUlSU_E_NS1_11comp_targetILNS1_3genE0ELNS1_11target_archE4294967295ELNS1_3gpuE0ELNS1_3repE0EEENS1_30default_config_static_selectorELNS0_4arch9wavefront6targetE0EEEvT1_.kd
    .uniform_work_group_size: 1
    .uses_dynamic_stack: false
    .vgpr_count:     0
    .vgpr_spill_count: 0
    .wavefront_size: 32
    .workgroup_processor_mode: 1
  - .args:
      - .offset:         0
        .size:           136
        .value_kind:     by_value
    .group_segment_fixed_size: 0
    .kernarg_segment_align: 8
    .kernarg_segment_size: 136
    .language:       OpenCL C
    .language_version:
      - 2
      - 0
    .max_flat_workgroup_size: 256
    .name:           _ZN7rocprim17ROCPRIM_400000_NS6detail17trampoline_kernelINS0_14default_configENS1_27scan_by_key_config_selectorIxxEEZZNS1_16scan_by_key_implILNS1_25lookback_scan_determinismE0ELb0ES3_N6thrust23THRUST_200600_302600_NS6detail15normal_iteratorINS9_10device_ptrIxEEEESE_SE_xNS9_10multipliesIxEENS9_8equal_toIxEExEE10hipError_tPvRmT2_T3_T4_T5_mT6_T7_P12ihipStream_tbENKUlT_T0_E_clISt17integral_constantIbLb1EESY_IbLb0EEEEDaSU_SV_EUlSU_E_NS1_11comp_targetILNS1_3genE10ELNS1_11target_archE1201ELNS1_3gpuE5ELNS1_3repE0EEENS1_30default_config_static_selectorELNS0_4arch9wavefront6targetE0EEEvT1_
    .private_segment_fixed_size: 0
    .sgpr_count:     0
    .sgpr_spill_count: 0
    .symbol:         _ZN7rocprim17ROCPRIM_400000_NS6detail17trampoline_kernelINS0_14default_configENS1_27scan_by_key_config_selectorIxxEEZZNS1_16scan_by_key_implILNS1_25lookback_scan_determinismE0ELb0ES3_N6thrust23THRUST_200600_302600_NS6detail15normal_iteratorINS9_10device_ptrIxEEEESE_SE_xNS9_10multipliesIxEENS9_8equal_toIxEExEE10hipError_tPvRmT2_T3_T4_T5_mT6_T7_P12ihipStream_tbENKUlT_T0_E_clISt17integral_constantIbLb1EESY_IbLb0EEEEDaSU_SV_EUlSU_E_NS1_11comp_targetILNS1_3genE10ELNS1_11target_archE1201ELNS1_3gpuE5ELNS1_3repE0EEENS1_30default_config_static_selectorELNS0_4arch9wavefront6targetE0EEEvT1_.kd
    .uniform_work_group_size: 1
    .uses_dynamic_stack: false
    .vgpr_count:     0
    .vgpr_spill_count: 0
    .wavefront_size: 32
    .workgroup_processor_mode: 1
  - .args:
      - .offset:         0
        .size:           136
        .value_kind:     by_value
    .group_segment_fixed_size: 0
    .kernarg_segment_align: 8
    .kernarg_segment_size: 136
    .language:       OpenCL C
    .language_version:
      - 2
      - 0
    .max_flat_workgroup_size: 256
    .name:           _ZN7rocprim17ROCPRIM_400000_NS6detail17trampoline_kernelINS0_14default_configENS1_27scan_by_key_config_selectorIxxEEZZNS1_16scan_by_key_implILNS1_25lookback_scan_determinismE0ELb0ES3_N6thrust23THRUST_200600_302600_NS6detail15normal_iteratorINS9_10device_ptrIxEEEESE_SE_xNS9_10multipliesIxEENS9_8equal_toIxEExEE10hipError_tPvRmT2_T3_T4_T5_mT6_T7_P12ihipStream_tbENKUlT_T0_E_clISt17integral_constantIbLb1EESY_IbLb0EEEEDaSU_SV_EUlSU_E_NS1_11comp_targetILNS1_3genE5ELNS1_11target_archE942ELNS1_3gpuE9ELNS1_3repE0EEENS1_30default_config_static_selectorELNS0_4arch9wavefront6targetE0EEEvT1_
    .private_segment_fixed_size: 0
    .sgpr_count:     0
    .sgpr_spill_count: 0
    .symbol:         _ZN7rocprim17ROCPRIM_400000_NS6detail17trampoline_kernelINS0_14default_configENS1_27scan_by_key_config_selectorIxxEEZZNS1_16scan_by_key_implILNS1_25lookback_scan_determinismE0ELb0ES3_N6thrust23THRUST_200600_302600_NS6detail15normal_iteratorINS9_10device_ptrIxEEEESE_SE_xNS9_10multipliesIxEENS9_8equal_toIxEExEE10hipError_tPvRmT2_T3_T4_T5_mT6_T7_P12ihipStream_tbENKUlT_T0_E_clISt17integral_constantIbLb1EESY_IbLb0EEEEDaSU_SV_EUlSU_E_NS1_11comp_targetILNS1_3genE5ELNS1_11target_archE942ELNS1_3gpuE9ELNS1_3repE0EEENS1_30default_config_static_selectorELNS0_4arch9wavefront6targetE0EEEvT1_.kd
    .uniform_work_group_size: 1
    .uses_dynamic_stack: false
    .vgpr_count:     0
    .vgpr_spill_count: 0
    .wavefront_size: 32
    .workgroup_processor_mode: 1
  - .args:
      - .offset:         0
        .size:           136
        .value_kind:     by_value
    .group_segment_fixed_size: 0
    .kernarg_segment_align: 8
    .kernarg_segment_size: 136
    .language:       OpenCL C
    .language_version:
      - 2
      - 0
    .max_flat_workgroup_size: 64
    .name:           _ZN7rocprim17ROCPRIM_400000_NS6detail17trampoline_kernelINS0_14default_configENS1_27scan_by_key_config_selectorIxxEEZZNS1_16scan_by_key_implILNS1_25lookback_scan_determinismE0ELb0ES3_N6thrust23THRUST_200600_302600_NS6detail15normal_iteratorINS9_10device_ptrIxEEEESE_SE_xNS9_10multipliesIxEENS9_8equal_toIxEExEE10hipError_tPvRmT2_T3_T4_T5_mT6_T7_P12ihipStream_tbENKUlT_T0_E_clISt17integral_constantIbLb1EESY_IbLb0EEEEDaSU_SV_EUlSU_E_NS1_11comp_targetILNS1_3genE4ELNS1_11target_archE910ELNS1_3gpuE8ELNS1_3repE0EEENS1_30default_config_static_selectorELNS0_4arch9wavefront6targetE0EEEvT1_
    .private_segment_fixed_size: 0
    .sgpr_count:     0
    .sgpr_spill_count: 0
    .symbol:         _ZN7rocprim17ROCPRIM_400000_NS6detail17trampoline_kernelINS0_14default_configENS1_27scan_by_key_config_selectorIxxEEZZNS1_16scan_by_key_implILNS1_25lookback_scan_determinismE0ELb0ES3_N6thrust23THRUST_200600_302600_NS6detail15normal_iteratorINS9_10device_ptrIxEEEESE_SE_xNS9_10multipliesIxEENS9_8equal_toIxEExEE10hipError_tPvRmT2_T3_T4_T5_mT6_T7_P12ihipStream_tbENKUlT_T0_E_clISt17integral_constantIbLb1EESY_IbLb0EEEEDaSU_SV_EUlSU_E_NS1_11comp_targetILNS1_3genE4ELNS1_11target_archE910ELNS1_3gpuE8ELNS1_3repE0EEENS1_30default_config_static_selectorELNS0_4arch9wavefront6targetE0EEEvT1_.kd
    .uniform_work_group_size: 1
    .uses_dynamic_stack: false
    .vgpr_count:     0
    .vgpr_spill_count: 0
    .wavefront_size: 32
    .workgroup_processor_mode: 1
  - .args:
      - .offset:         0
        .size:           136
        .value_kind:     by_value
    .group_segment_fixed_size: 0
    .kernarg_segment_align: 8
    .kernarg_segment_size: 136
    .language:       OpenCL C
    .language_version:
      - 2
      - 0
    .max_flat_workgroup_size: 256
    .name:           _ZN7rocprim17ROCPRIM_400000_NS6detail17trampoline_kernelINS0_14default_configENS1_27scan_by_key_config_selectorIxxEEZZNS1_16scan_by_key_implILNS1_25lookback_scan_determinismE0ELb0ES3_N6thrust23THRUST_200600_302600_NS6detail15normal_iteratorINS9_10device_ptrIxEEEESE_SE_xNS9_10multipliesIxEENS9_8equal_toIxEExEE10hipError_tPvRmT2_T3_T4_T5_mT6_T7_P12ihipStream_tbENKUlT_T0_E_clISt17integral_constantIbLb1EESY_IbLb0EEEEDaSU_SV_EUlSU_E_NS1_11comp_targetILNS1_3genE3ELNS1_11target_archE908ELNS1_3gpuE7ELNS1_3repE0EEENS1_30default_config_static_selectorELNS0_4arch9wavefront6targetE0EEEvT1_
    .private_segment_fixed_size: 0
    .sgpr_count:     0
    .sgpr_spill_count: 0
    .symbol:         _ZN7rocprim17ROCPRIM_400000_NS6detail17trampoline_kernelINS0_14default_configENS1_27scan_by_key_config_selectorIxxEEZZNS1_16scan_by_key_implILNS1_25lookback_scan_determinismE0ELb0ES3_N6thrust23THRUST_200600_302600_NS6detail15normal_iteratorINS9_10device_ptrIxEEEESE_SE_xNS9_10multipliesIxEENS9_8equal_toIxEExEE10hipError_tPvRmT2_T3_T4_T5_mT6_T7_P12ihipStream_tbENKUlT_T0_E_clISt17integral_constantIbLb1EESY_IbLb0EEEEDaSU_SV_EUlSU_E_NS1_11comp_targetILNS1_3genE3ELNS1_11target_archE908ELNS1_3gpuE7ELNS1_3repE0EEENS1_30default_config_static_selectorELNS0_4arch9wavefront6targetE0EEEvT1_.kd
    .uniform_work_group_size: 1
    .uses_dynamic_stack: false
    .vgpr_count:     0
    .vgpr_spill_count: 0
    .wavefront_size: 32
    .workgroup_processor_mode: 1
  - .args:
      - .offset:         0
        .size:           136
        .value_kind:     by_value
    .group_segment_fixed_size: 0
    .kernarg_segment_align: 8
    .kernarg_segment_size: 136
    .language:       OpenCL C
    .language_version:
      - 2
      - 0
    .max_flat_workgroup_size: 256
    .name:           _ZN7rocprim17ROCPRIM_400000_NS6detail17trampoline_kernelINS0_14default_configENS1_27scan_by_key_config_selectorIxxEEZZNS1_16scan_by_key_implILNS1_25lookback_scan_determinismE0ELb0ES3_N6thrust23THRUST_200600_302600_NS6detail15normal_iteratorINS9_10device_ptrIxEEEESE_SE_xNS9_10multipliesIxEENS9_8equal_toIxEExEE10hipError_tPvRmT2_T3_T4_T5_mT6_T7_P12ihipStream_tbENKUlT_T0_E_clISt17integral_constantIbLb1EESY_IbLb0EEEEDaSU_SV_EUlSU_E_NS1_11comp_targetILNS1_3genE2ELNS1_11target_archE906ELNS1_3gpuE6ELNS1_3repE0EEENS1_30default_config_static_selectorELNS0_4arch9wavefront6targetE0EEEvT1_
    .private_segment_fixed_size: 0
    .sgpr_count:     0
    .sgpr_spill_count: 0
    .symbol:         _ZN7rocprim17ROCPRIM_400000_NS6detail17trampoline_kernelINS0_14default_configENS1_27scan_by_key_config_selectorIxxEEZZNS1_16scan_by_key_implILNS1_25lookback_scan_determinismE0ELb0ES3_N6thrust23THRUST_200600_302600_NS6detail15normal_iteratorINS9_10device_ptrIxEEEESE_SE_xNS9_10multipliesIxEENS9_8equal_toIxEExEE10hipError_tPvRmT2_T3_T4_T5_mT6_T7_P12ihipStream_tbENKUlT_T0_E_clISt17integral_constantIbLb1EESY_IbLb0EEEEDaSU_SV_EUlSU_E_NS1_11comp_targetILNS1_3genE2ELNS1_11target_archE906ELNS1_3gpuE6ELNS1_3repE0EEENS1_30default_config_static_selectorELNS0_4arch9wavefront6targetE0EEEvT1_.kd
    .uniform_work_group_size: 1
    .uses_dynamic_stack: false
    .vgpr_count:     0
    .vgpr_spill_count: 0
    .wavefront_size: 32
    .workgroup_processor_mode: 1
  - .args:
      - .offset:         0
        .size:           136
        .value_kind:     by_value
    .group_segment_fixed_size: 0
    .kernarg_segment_align: 8
    .kernarg_segment_size: 136
    .language:       OpenCL C
    .language_version:
      - 2
      - 0
    .max_flat_workgroup_size: 256
    .name:           _ZN7rocprim17ROCPRIM_400000_NS6detail17trampoline_kernelINS0_14default_configENS1_27scan_by_key_config_selectorIxxEEZZNS1_16scan_by_key_implILNS1_25lookback_scan_determinismE0ELb0ES3_N6thrust23THRUST_200600_302600_NS6detail15normal_iteratorINS9_10device_ptrIxEEEESE_SE_xNS9_10multipliesIxEENS9_8equal_toIxEExEE10hipError_tPvRmT2_T3_T4_T5_mT6_T7_P12ihipStream_tbENKUlT_T0_E_clISt17integral_constantIbLb1EESY_IbLb0EEEEDaSU_SV_EUlSU_E_NS1_11comp_targetILNS1_3genE10ELNS1_11target_archE1200ELNS1_3gpuE4ELNS1_3repE0EEENS1_30default_config_static_selectorELNS0_4arch9wavefront6targetE0EEEvT1_
    .private_segment_fixed_size: 0
    .sgpr_count:     0
    .sgpr_spill_count: 0
    .symbol:         _ZN7rocprim17ROCPRIM_400000_NS6detail17trampoline_kernelINS0_14default_configENS1_27scan_by_key_config_selectorIxxEEZZNS1_16scan_by_key_implILNS1_25lookback_scan_determinismE0ELb0ES3_N6thrust23THRUST_200600_302600_NS6detail15normal_iteratorINS9_10device_ptrIxEEEESE_SE_xNS9_10multipliesIxEENS9_8equal_toIxEExEE10hipError_tPvRmT2_T3_T4_T5_mT6_T7_P12ihipStream_tbENKUlT_T0_E_clISt17integral_constantIbLb1EESY_IbLb0EEEEDaSU_SV_EUlSU_E_NS1_11comp_targetILNS1_3genE10ELNS1_11target_archE1200ELNS1_3gpuE4ELNS1_3repE0EEENS1_30default_config_static_selectorELNS0_4arch9wavefront6targetE0EEEvT1_.kd
    .uniform_work_group_size: 1
    .uses_dynamic_stack: false
    .vgpr_count:     0
    .vgpr_spill_count: 0
    .wavefront_size: 32
    .workgroup_processor_mode: 1
  - .args:
      - .offset:         0
        .size:           136
        .value_kind:     by_value
    .group_segment_fixed_size: 0
    .kernarg_segment_align: 8
    .kernarg_segment_size: 136
    .language:       OpenCL C
    .language_version:
      - 2
      - 0
    .max_flat_workgroup_size: 256
    .name:           _ZN7rocprim17ROCPRIM_400000_NS6detail17trampoline_kernelINS0_14default_configENS1_27scan_by_key_config_selectorIxxEEZZNS1_16scan_by_key_implILNS1_25lookback_scan_determinismE0ELb0ES3_N6thrust23THRUST_200600_302600_NS6detail15normal_iteratorINS9_10device_ptrIxEEEESE_SE_xNS9_10multipliesIxEENS9_8equal_toIxEExEE10hipError_tPvRmT2_T3_T4_T5_mT6_T7_P12ihipStream_tbENKUlT_T0_E_clISt17integral_constantIbLb1EESY_IbLb0EEEEDaSU_SV_EUlSU_E_NS1_11comp_targetILNS1_3genE9ELNS1_11target_archE1100ELNS1_3gpuE3ELNS1_3repE0EEENS1_30default_config_static_selectorELNS0_4arch9wavefront6targetE0EEEvT1_
    .private_segment_fixed_size: 0
    .sgpr_count:     0
    .sgpr_spill_count: 0
    .symbol:         _ZN7rocprim17ROCPRIM_400000_NS6detail17trampoline_kernelINS0_14default_configENS1_27scan_by_key_config_selectorIxxEEZZNS1_16scan_by_key_implILNS1_25lookback_scan_determinismE0ELb0ES3_N6thrust23THRUST_200600_302600_NS6detail15normal_iteratorINS9_10device_ptrIxEEEESE_SE_xNS9_10multipliesIxEENS9_8equal_toIxEExEE10hipError_tPvRmT2_T3_T4_T5_mT6_T7_P12ihipStream_tbENKUlT_T0_E_clISt17integral_constantIbLb1EESY_IbLb0EEEEDaSU_SV_EUlSU_E_NS1_11comp_targetILNS1_3genE9ELNS1_11target_archE1100ELNS1_3gpuE3ELNS1_3repE0EEENS1_30default_config_static_selectorELNS0_4arch9wavefront6targetE0EEEvT1_.kd
    .uniform_work_group_size: 1
    .uses_dynamic_stack: false
    .vgpr_count:     0
    .vgpr_spill_count: 0
    .wavefront_size: 32
    .workgroup_processor_mode: 1
  - .args:
      - .offset:         0
        .size:           136
        .value_kind:     by_value
    .group_segment_fixed_size: 0
    .kernarg_segment_align: 8
    .kernarg_segment_size: 136
    .language:       OpenCL C
    .language_version:
      - 2
      - 0
    .max_flat_workgroup_size: 256
    .name:           _ZN7rocprim17ROCPRIM_400000_NS6detail17trampoline_kernelINS0_14default_configENS1_27scan_by_key_config_selectorIxxEEZZNS1_16scan_by_key_implILNS1_25lookback_scan_determinismE0ELb0ES3_N6thrust23THRUST_200600_302600_NS6detail15normal_iteratorINS9_10device_ptrIxEEEESE_SE_xNS9_10multipliesIxEENS9_8equal_toIxEExEE10hipError_tPvRmT2_T3_T4_T5_mT6_T7_P12ihipStream_tbENKUlT_T0_E_clISt17integral_constantIbLb1EESY_IbLb0EEEEDaSU_SV_EUlSU_E_NS1_11comp_targetILNS1_3genE8ELNS1_11target_archE1030ELNS1_3gpuE2ELNS1_3repE0EEENS1_30default_config_static_selectorELNS0_4arch9wavefront6targetE0EEEvT1_
    .private_segment_fixed_size: 0
    .sgpr_count:     0
    .sgpr_spill_count: 0
    .symbol:         _ZN7rocprim17ROCPRIM_400000_NS6detail17trampoline_kernelINS0_14default_configENS1_27scan_by_key_config_selectorIxxEEZZNS1_16scan_by_key_implILNS1_25lookback_scan_determinismE0ELb0ES3_N6thrust23THRUST_200600_302600_NS6detail15normal_iteratorINS9_10device_ptrIxEEEESE_SE_xNS9_10multipliesIxEENS9_8equal_toIxEExEE10hipError_tPvRmT2_T3_T4_T5_mT6_T7_P12ihipStream_tbENKUlT_T0_E_clISt17integral_constantIbLb1EESY_IbLb0EEEEDaSU_SV_EUlSU_E_NS1_11comp_targetILNS1_3genE8ELNS1_11target_archE1030ELNS1_3gpuE2ELNS1_3repE0EEENS1_30default_config_static_selectorELNS0_4arch9wavefront6targetE0EEEvT1_.kd
    .uniform_work_group_size: 1
    .uses_dynamic_stack: false
    .vgpr_count:     0
    .vgpr_spill_count: 0
    .wavefront_size: 32
    .workgroup_processor_mode: 1
  - .args:
      - .offset:         0
        .size:           136
        .value_kind:     by_value
    .group_segment_fixed_size: 0
    .kernarg_segment_align: 8
    .kernarg_segment_size: 136
    .language:       OpenCL C
    .language_version:
      - 2
      - 0
    .max_flat_workgroup_size: 256
    .name:           _ZN7rocprim17ROCPRIM_400000_NS6detail17trampoline_kernelINS0_14default_configENS1_27scan_by_key_config_selectorIxxEEZZNS1_16scan_by_key_implILNS1_25lookback_scan_determinismE0ELb0ES3_N6thrust23THRUST_200600_302600_NS6detail15normal_iteratorINS9_10device_ptrIxEEEESE_SE_xNS9_10multipliesIxEENS9_8equal_toIxEExEE10hipError_tPvRmT2_T3_T4_T5_mT6_T7_P12ihipStream_tbENKUlT_T0_E_clISt17integral_constantIbLb0EESY_IbLb1EEEEDaSU_SV_EUlSU_E_NS1_11comp_targetILNS1_3genE0ELNS1_11target_archE4294967295ELNS1_3gpuE0ELNS1_3repE0EEENS1_30default_config_static_selectorELNS0_4arch9wavefront6targetE0EEEvT1_
    .private_segment_fixed_size: 0
    .sgpr_count:     0
    .sgpr_spill_count: 0
    .symbol:         _ZN7rocprim17ROCPRIM_400000_NS6detail17trampoline_kernelINS0_14default_configENS1_27scan_by_key_config_selectorIxxEEZZNS1_16scan_by_key_implILNS1_25lookback_scan_determinismE0ELb0ES3_N6thrust23THRUST_200600_302600_NS6detail15normal_iteratorINS9_10device_ptrIxEEEESE_SE_xNS9_10multipliesIxEENS9_8equal_toIxEExEE10hipError_tPvRmT2_T3_T4_T5_mT6_T7_P12ihipStream_tbENKUlT_T0_E_clISt17integral_constantIbLb0EESY_IbLb1EEEEDaSU_SV_EUlSU_E_NS1_11comp_targetILNS1_3genE0ELNS1_11target_archE4294967295ELNS1_3gpuE0ELNS1_3repE0EEENS1_30default_config_static_selectorELNS0_4arch9wavefront6targetE0EEEvT1_.kd
    .uniform_work_group_size: 1
    .uses_dynamic_stack: false
    .vgpr_count:     0
    .vgpr_spill_count: 0
    .wavefront_size: 32
    .workgroup_processor_mode: 1
  - .args:
      - .offset:         0
        .size:           136
        .value_kind:     by_value
    .group_segment_fixed_size: 0
    .kernarg_segment_align: 8
    .kernarg_segment_size: 136
    .language:       OpenCL C
    .language_version:
      - 2
      - 0
    .max_flat_workgroup_size: 256
    .name:           _ZN7rocprim17ROCPRIM_400000_NS6detail17trampoline_kernelINS0_14default_configENS1_27scan_by_key_config_selectorIxxEEZZNS1_16scan_by_key_implILNS1_25lookback_scan_determinismE0ELb0ES3_N6thrust23THRUST_200600_302600_NS6detail15normal_iteratorINS9_10device_ptrIxEEEESE_SE_xNS9_10multipliesIxEENS9_8equal_toIxEExEE10hipError_tPvRmT2_T3_T4_T5_mT6_T7_P12ihipStream_tbENKUlT_T0_E_clISt17integral_constantIbLb0EESY_IbLb1EEEEDaSU_SV_EUlSU_E_NS1_11comp_targetILNS1_3genE10ELNS1_11target_archE1201ELNS1_3gpuE5ELNS1_3repE0EEENS1_30default_config_static_selectorELNS0_4arch9wavefront6targetE0EEEvT1_
    .private_segment_fixed_size: 0
    .sgpr_count:     0
    .sgpr_spill_count: 0
    .symbol:         _ZN7rocprim17ROCPRIM_400000_NS6detail17trampoline_kernelINS0_14default_configENS1_27scan_by_key_config_selectorIxxEEZZNS1_16scan_by_key_implILNS1_25lookback_scan_determinismE0ELb0ES3_N6thrust23THRUST_200600_302600_NS6detail15normal_iteratorINS9_10device_ptrIxEEEESE_SE_xNS9_10multipliesIxEENS9_8equal_toIxEExEE10hipError_tPvRmT2_T3_T4_T5_mT6_T7_P12ihipStream_tbENKUlT_T0_E_clISt17integral_constantIbLb0EESY_IbLb1EEEEDaSU_SV_EUlSU_E_NS1_11comp_targetILNS1_3genE10ELNS1_11target_archE1201ELNS1_3gpuE5ELNS1_3repE0EEENS1_30default_config_static_selectorELNS0_4arch9wavefront6targetE0EEEvT1_.kd
    .uniform_work_group_size: 1
    .uses_dynamic_stack: false
    .vgpr_count:     0
    .vgpr_spill_count: 0
    .wavefront_size: 32
    .workgroup_processor_mode: 1
  - .args:
      - .offset:         0
        .size:           136
        .value_kind:     by_value
    .group_segment_fixed_size: 0
    .kernarg_segment_align: 8
    .kernarg_segment_size: 136
    .language:       OpenCL C
    .language_version:
      - 2
      - 0
    .max_flat_workgroup_size: 256
    .name:           _ZN7rocprim17ROCPRIM_400000_NS6detail17trampoline_kernelINS0_14default_configENS1_27scan_by_key_config_selectorIxxEEZZNS1_16scan_by_key_implILNS1_25lookback_scan_determinismE0ELb0ES3_N6thrust23THRUST_200600_302600_NS6detail15normal_iteratorINS9_10device_ptrIxEEEESE_SE_xNS9_10multipliesIxEENS9_8equal_toIxEExEE10hipError_tPvRmT2_T3_T4_T5_mT6_T7_P12ihipStream_tbENKUlT_T0_E_clISt17integral_constantIbLb0EESY_IbLb1EEEEDaSU_SV_EUlSU_E_NS1_11comp_targetILNS1_3genE5ELNS1_11target_archE942ELNS1_3gpuE9ELNS1_3repE0EEENS1_30default_config_static_selectorELNS0_4arch9wavefront6targetE0EEEvT1_
    .private_segment_fixed_size: 0
    .sgpr_count:     0
    .sgpr_spill_count: 0
    .symbol:         _ZN7rocprim17ROCPRIM_400000_NS6detail17trampoline_kernelINS0_14default_configENS1_27scan_by_key_config_selectorIxxEEZZNS1_16scan_by_key_implILNS1_25lookback_scan_determinismE0ELb0ES3_N6thrust23THRUST_200600_302600_NS6detail15normal_iteratorINS9_10device_ptrIxEEEESE_SE_xNS9_10multipliesIxEENS9_8equal_toIxEExEE10hipError_tPvRmT2_T3_T4_T5_mT6_T7_P12ihipStream_tbENKUlT_T0_E_clISt17integral_constantIbLb0EESY_IbLb1EEEEDaSU_SV_EUlSU_E_NS1_11comp_targetILNS1_3genE5ELNS1_11target_archE942ELNS1_3gpuE9ELNS1_3repE0EEENS1_30default_config_static_selectorELNS0_4arch9wavefront6targetE0EEEvT1_.kd
    .uniform_work_group_size: 1
    .uses_dynamic_stack: false
    .vgpr_count:     0
    .vgpr_spill_count: 0
    .wavefront_size: 32
    .workgroup_processor_mode: 1
  - .args:
      - .offset:         0
        .size:           136
        .value_kind:     by_value
    .group_segment_fixed_size: 0
    .kernarg_segment_align: 8
    .kernarg_segment_size: 136
    .language:       OpenCL C
    .language_version:
      - 2
      - 0
    .max_flat_workgroup_size: 64
    .name:           _ZN7rocprim17ROCPRIM_400000_NS6detail17trampoline_kernelINS0_14default_configENS1_27scan_by_key_config_selectorIxxEEZZNS1_16scan_by_key_implILNS1_25lookback_scan_determinismE0ELb0ES3_N6thrust23THRUST_200600_302600_NS6detail15normal_iteratorINS9_10device_ptrIxEEEESE_SE_xNS9_10multipliesIxEENS9_8equal_toIxEExEE10hipError_tPvRmT2_T3_T4_T5_mT6_T7_P12ihipStream_tbENKUlT_T0_E_clISt17integral_constantIbLb0EESY_IbLb1EEEEDaSU_SV_EUlSU_E_NS1_11comp_targetILNS1_3genE4ELNS1_11target_archE910ELNS1_3gpuE8ELNS1_3repE0EEENS1_30default_config_static_selectorELNS0_4arch9wavefront6targetE0EEEvT1_
    .private_segment_fixed_size: 0
    .sgpr_count:     0
    .sgpr_spill_count: 0
    .symbol:         _ZN7rocprim17ROCPRIM_400000_NS6detail17trampoline_kernelINS0_14default_configENS1_27scan_by_key_config_selectorIxxEEZZNS1_16scan_by_key_implILNS1_25lookback_scan_determinismE0ELb0ES3_N6thrust23THRUST_200600_302600_NS6detail15normal_iteratorINS9_10device_ptrIxEEEESE_SE_xNS9_10multipliesIxEENS9_8equal_toIxEExEE10hipError_tPvRmT2_T3_T4_T5_mT6_T7_P12ihipStream_tbENKUlT_T0_E_clISt17integral_constantIbLb0EESY_IbLb1EEEEDaSU_SV_EUlSU_E_NS1_11comp_targetILNS1_3genE4ELNS1_11target_archE910ELNS1_3gpuE8ELNS1_3repE0EEENS1_30default_config_static_selectorELNS0_4arch9wavefront6targetE0EEEvT1_.kd
    .uniform_work_group_size: 1
    .uses_dynamic_stack: false
    .vgpr_count:     0
    .vgpr_spill_count: 0
    .wavefront_size: 32
    .workgroup_processor_mode: 1
  - .args:
      - .offset:         0
        .size:           136
        .value_kind:     by_value
    .group_segment_fixed_size: 0
    .kernarg_segment_align: 8
    .kernarg_segment_size: 136
    .language:       OpenCL C
    .language_version:
      - 2
      - 0
    .max_flat_workgroup_size: 256
    .name:           _ZN7rocprim17ROCPRIM_400000_NS6detail17trampoline_kernelINS0_14default_configENS1_27scan_by_key_config_selectorIxxEEZZNS1_16scan_by_key_implILNS1_25lookback_scan_determinismE0ELb0ES3_N6thrust23THRUST_200600_302600_NS6detail15normal_iteratorINS9_10device_ptrIxEEEESE_SE_xNS9_10multipliesIxEENS9_8equal_toIxEExEE10hipError_tPvRmT2_T3_T4_T5_mT6_T7_P12ihipStream_tbENKUlT_T0_E_clISt17integral_constantIbLb0EESY_IbLb1EEEEDaSU_SV_EUlSU_E_NS1_11comp_targetILNS1_3genE3ELNS1_11target_archE908ELNS1_3gpuE7ELNS1_3repE0EEENS1_30default_config_static_selectorELNS0_4arch9wavefront6targetE0EEEvT1_
    .private_segment_fixed_size: 0
    .sgpr_count:     0
    .sgpr_spill_count: 0
    .symbol:         _ZN7rocprim17ROCPRIM_400000_NS6detail17trampoline_kernelINS0_14default_configENS1_27scan_by_key_config_selectorIxxEEZZNS1_16scan_by_key_implILNS1_25lookback_scan_determinismE0ELb0ES3_N6thrust23THRUST_200600_302600_NS6detail15normal_iteratorINS9_10device_ptrIxEEEESE_SE_xNS9_10multipliesIxEENS9_8equal_toIxEExEE10hipError_tPvRmT2_T3_T4_T5_mT6_T7_P12ihipStream_tbENKUlT_T0_E_clISt17integral_constantIbLb0EESY_IbLb1EEEEDaSU_SV_EUlSU_E_NS1_11comp_targetILNS1_3genE3ELNS1_11target_archE908ELNS1_3gpuE7ELNS1_3repE0EEENS1_30default_config_static_selectorELNS0_4arch9wavefront6targetE0EEEvT1_.kd
    .uniform_work_group_size: 1
    .uses_dynamic_stack: false
    .vgpr_count:     0
    .vgpr_spill_count: 0
    .wavefront_size: 32
    .workgroup_processor_mode: 1
  - .args:
      - .offset:         0
        .size:           136
        .value_kind:     by_value
    .group_segment_fixed_size: 0
    .kernarg_segment_align: 8
    .kernarg_segment_size: 136
    .language:       OpenCL C
    .language_version:
      - 2
      - 0
    .max_flat_workgroup_size: 256
    .name:           _ZN7rocprim17ROCPRIM_400000_NS6detail17trampoline_kernelINS0_14default_configENS1_27scan_by_key_config_selectorIxxEEZZNS1_16scan_by_key_implILNS1_25lookback_scan_determinismE0ELb0ES3_N6thrust23THRUST_200600_302600_NS6detail15normal_iteratorINS9_10device_ptrIxEEEESE_SE_xNS9_10multipliesIxEENS9_8equal_toIxEExEE10hipError_tPvRmT2_T3_T4_T5_mT6_T7_P12ihipStream_tbENKUlT_T0_E_clISt17integral_constantIbLb0EESY_IbLb1EEEEDaSU_SV_EUlSU_E_NS1_11comp_targetILNS1_3genE2ELNS1_11target_archE906ELNS1_3gpuE6ELNS1_3repE0EEENS1_30default_config_static_selectorELNS0_4arch9wavefront6targetE0EEEvT1_
    .private_segment_fixed_size: 0
    .sgpr_count:     0
    .sgpr_spill_count: 0
    .symbol:         _ZN7rocprim17ROCPRIM_400000_NS6detail17trampoline_kernelINS0_14default_configENS1_27scan_by_key_config_selectorIxxEEZZNS1_16scan_by_key_implILNS1_25lookback_scan_determinismE0ELb0ES3_N6thrust23THRUST_200600_302600_NS6detail15normal_iteratorINS9_10device_ptrIxEEEESE_SE_xNS9_10multipliesIxEENS9_8equal_toIxEExEE10hipError_tPvRmT2_T3_T4_T5_mT6_T7_P12ihipStream_tbENKUlT_T0_E_clISt17integral_constantIbLb0EESY_IbLb1EEEEDaSU_SV_EUlSU_E_NS1_11comp_targetILNS1_3genE2ELNS1_11target_archE906ELNS1_3gpuE6ELNS1_3repE0EEENS1_30default_config_static_selectorELNS0_4arch9wavefront6targetE0EEEvT1_.kd
    .uniform_work_group_size: 1
    .uses_dynamic_stack: false
    .vgpr_count:     0
    .vgpr_spill_count: 0
    .wavefront_size: 32
    .workgroup_processor_mode: 1
  - .args:
      - .offset:         0
        .size:           136
        .value_kind:     by_value
    .group_segment_fixed_size: 0
    .kernarg_segment_align: 8
    .kernarg_segment_size: 136
    .language:       OpenCL C
    .language_version:
      - 2
      - 0
    .max_flat_workgroup_size: 256
    .name:           _ZN7rocprim17ROCPRIM_400000_NS6detail17trampoline_kernelINS0_14default_configENS1_27scan_by_key_config_selectorIxxEEZZNS1_16scan_by_key_implILNS1_25lookback_scan_determinismE0ELb0ES3_N6thrust23THRUST_200600_302600_NS6detail15normal_iteratorINS9_10device_ptrIxEEEESE_SE_xNS9_10multipliesIxEENS9_8equal_toIxEExEE10hipError_tPvRmT2_T3_T4_T5_mT6_T7_P12ihipStream_tbENKUlT_T0_E_clISt17integral_constantIbLb0EESY_IbLb1EEEEDaSU_SV_EUlSU_E_NS1_11comp_targetILNS1_3genE10ELNS1_11target_archE1200ELNS1_3gpuE4ELNS1_3repE0EEENS1_30default_config_static_selectorELNS0_4arch9wavefront6targetE0EEEvT1_
    .private_segment_fixed_size: 0
    .sgpr_count:     0
    .sgpr_spill_count: 0
    .symbol:         _ZN7rocprim17ROCPRIM_400000_NS6detail17trampoline_kernelINS0_14default_configENS1_27scan_by_key_config_selectorIxxEEZZNS1_16scan_by_key_implILNS1_25lookback_scan_determinismE0ELb0ES3_N6thrust23THRUST_200600_302600_NS6detail15normal_iteratorINS9_10device_ptrIxEEEESE_SE_xNS9_10multipliesIxEENS9_8equal_toIxEExEE10hipError_tPvRmT2_T3_T4_T5_mT6_T7_P12ihipStream_tbENKUlT_T0_E_clISt17integral_constantIbLb0EESY_IbLb1EEEEDaSU_SV_EUlSU_E_NS1_11comp_targetILNS1_3genE10ELNS1_11target_archE1200ELNS1_3gpuE4ELNS1_3repE0EEENS1_30default_config_static_selectorELNS0_4arch9wavefront6targetE0EEEvT1_.kd
    .uniform_work_group_size: 1
    .uses_dynamic_stack: false
    .vgpr_count:     0
    .vgpr_spill_count: 0
    .wavefront_size: 32
    .workgroup_processor_mode: 1
  - .args:
      - .offset:         0
        .size:           136
        .value_kind:     by_value
    .group_segment_fixed_size: 0
    .kernarg_segment_align: 8
    .kernarg_segment_size: 136
    .language:       OpenCL C
    .language_version:
      - 2
      - 0
    .max_flat_workgroup_size: 256
    .name:           _ZN7rocprim17ROCPRIM_400000_NS6detail17trampoline_kernelINS0_14default_configENS1_27scan_by_key_config_selectorIxxEEZZNS1_16scan_by_key_implILNS1_25lookback_scan_determinismE0ELb0ES3_N6thrust23THRUST_200600_302600_NS6detail15normal_iteratorINS9_10device_ptrIxEEEESE_SE_xNS9_10multipliesIxEENS9_8equal_toIxEExEE10hipError_tPvRmT2_T3_T4_T5_mT6_T7_P12ihipStream_tbENKUlT_T0_E_clISt17integral_constantIbLb0EESY_IbLb1EEEEDaSU_SV_EUlSU_E_NS1_11comp_targetILNS1_3genE9ELNS1_11target_archE1100ELNS1_3gpuE3ELNS1_3repE0EEENS1_30default_config_static_selectorELNS0_4arch9wavefront6targetE0EEEvT1_
    .private_segment_fixed_size: 0
    .sgpr_count:     0
    .sgpr_spill_count: 0
    .symbol:         _ZN7rocprim17ROCPRIM_400000_NS6detail17trampoline_kernelINS0_14default_configENS1_27scan_by_key_config_selectorIxxEEZZNS1_16scan_by_key_implILNS1_25lookback_scan_determinismE0ELb0ES3_N6thrust23THRUST_200600_302600_NS6detail15normal_iteratorINS9_10device_ptrIxEEEESE_SE_xNS9_10multipliesIxEENS9_8equal_toIxEExEE10hipError_tPvRmT2_T3_T4_T5_mT6_T7_P12ihipStream_tbENKUlT_T0_E_clISt17integral_constantIbLb0EESY_IbLb1EEEEDaSU_SV_EUlSU_E_NS1_11comp_targetILNS1_3genE9ELNS1_11target_archE1100ELNS1_3gpuE3ELNS1_3repE0EEENS1_30default_config_static_selectorELNS0_4arch9wavefront6targetE0EEEvT1_.kd
    .uniform_work_group_size: 1
    .uses_dynamic_stack: false
    .vgpr_count:     0
    .vgpr_spill_count: 0
    .wavefront_size: 32
    .workgroup_processor_mode: 1
  - .args:
      - .offset:         0
        .size:           136
        .value_kind:     by_value
    .group_segment_fixed_size: 30720
    .kernarg_segment_align: 8
    .kernarg_segment_size: 136
    .language:       OpenCL C
    .language_version:
      - 2
      - 0
    .max_flat_workgroup_size: 256
    .name:           _ZN7rocprim17ROCPRIM_400000_NS6detail17trampoline_kernelINS0_14default_configENS1_27scan_by_key_config_selectorIxxEEZZNS1_16scan_by_key_implILNS1_25lookback_scan_determinismE0ELb0ES3_N6thrust23THRUST_200600_302600_NS6detail15normal_iteratorINS9_10device_ptrIxEEEESE_SE_xNS9_10multipliesIxEENS9_8equal_toIxEExEE10hipError_tPvRmT2_T3_T4_T5_mT6_T7_P12ihipStream_tbENKUlT_T0_E_clISt17integral_constantIbLb0EESY_IbLb1EEEEDaSU_SV_EUlSU_E_NS1_11comp_targetILNS1_3genE8ELNS1_11target_archE1030ELNS1_3gpuE2ELNS1_3repE0EEENS1_30default_config_static_selectorELNS0_4arch9wavefront6targetE0EEEvT1_
    .private_segment_fixed_size: 0
    .sgpr_count:     53
    .sgpr_spill_count: 0
    .symbol:         _ZN7rocprim17ROCPRIM_400000_NS6detail17trampoline_kernelINS0_14default_configENS1_27scan_by_key_config_selectorIxxEEZZNS1_16scan_by_key_implILNS1_25lookback_scan_determinismE0ELb0ES3_N6thrust23THRUST_200600_302600_NS6detail15normal_iteratorINS9_10device_ptrIxEEEESE_SE_xNS9_10multipliesIxEENS9_8equal_toIxEExEE10hipError_tPvRmT2_T3_T4_T5_mT6_T7_P12ihipStream_tbENKUlT_T0_E_clISt17integral_constantIbLb0EESY_IbLb1EEEEDaSU_SV_EUlSU_E_NS1_11comp_targetILNS1_3genE8ELNS1_11target_archE1030ELNS1_3gpuE2ELNS1_3repE0EEENS1_30default_config_static_selectorELNS0_4arch9wavefront6targetE0EEEvT1_.kd
    .uniform_work_group_size: 1
    .uses_dynamic_stack: false
    .vgpr_count:     106
    .vgpr_spill_count: 0
    .wavefront_size: 32
    .workgroup_processor_mode: 1
  - .args:
      - .offset:         0
        .size:           136
        .value_kind:     by_value
    .group_segment_fixed_size: 0
    .kernarg_segment_align: 8
    .kernarg_segment_size: 136
    .language:       OpenCL C
    .language_version:
      - 2
      - 0
    .max_flat_workgroup_size: 256
    .name:           _ZN7rocprim17ROCPRIM_400000_NS6detail17trampoline_kernelINS0_14default_configENS1_27scan_by_key_config_selectorIxxEEZZNS1_16scan_by_key_implILNS1_25lookback_scan_determinismE0ELb0ES3_N6thrust23THRUST_200600_302600_NS6detail15normal_iteratorINS9_10device_ptrIxEEEESE_SE_xNS9_4plusIvEENS9_8equal_toIxEExEE10hipError_tPvRmT2_T3_T4_T5_mT6_T7_P12ihipStream_tbENKUlT_T0_E_clISt17integral_constantIbLb0EESZ_EEDaSU_SV_EUlSU_E_NS1_11comp_targetILNS1_3genE0ELNS1_11target_archE4294967295ELNS1_3gpuE0ELNS1_3repE0EEENS1_30default_config_static_selectorELNS0_4arch9wavefront6targetE0EEEvT1_
    .private_segment_fixed_size: 0
    .sgpr_count:     0
    .sgpr_spill_count: 0
    .symbol:         _ZN7rocprim17ROCPRIM_400000_NS6detail17trampoline_kernelINS0_14default_configENS1_27scan_by_key_config_selectorIxxEEZZNS1_16scan_by_key_implILNS1_25lookback_scan_determinismE0ELb0ES3_N6thrust23THRUST_200600_302600_NS6detail15normal_iteratorINS9_10device_ptrIxEEEESE_SE_xNS9_4plusIvEENS9_8equal_toIxEExEE10hipError_tPvRmT2_T3_T4_T5_mT6_T7_P12ihipStream_tbENKUlT_T0_E_clISt17integral_constantIbLb0EESZ_EEDaSU_SV_EUlSU_E_NS1_11comp_targetILNS1_3genE0ELNS1_11target_archE4294967295ELNS1_3gpuE0ELNS1_3repE0EEENS1_30default_config_static_selectorELNS0_4arch9wavefront6targetE0EEEvT1_.kd
    .uniform_work_group_size: 1
    .uses_dynamic_stack: false
    .vgpr_count:     0
    .vgpr_spill_count: 0
    .wavefront_size: 32
    .workgroup_processor_mode: 1
  - .args:
      - .offset:         0
        .size:           136
        .value_kind:     by_value
    .group_segment_fixed_size: 0
    .kernarg_segment_align: 8
    .kernarg_segment_size: 136
    .language:       OpenCL C
    .language_version:
      - 2
      - 0
    .max_flat_workgroup_size: 256
    .name:           _ZN7rocprim17ROCPRIM_400000_NS6detail17trampoline_kernelINS0_14default_configENS1_27scan_by_key_config_selectorIxxEEZZNS1_16scan_by_key_implILNS1_25lookback_scan_determinismE0ELb0ES3_N6thrust23THRUST_200600_302600_NS6detail15normal_iteratorINS9_10device_ptrIxEEEESE_SE_xNS9_4plusIvEENS9_8equal_toIxEExEE10hipError_tPvRmT2_T3_T4_T5_mT6_T7_P12ihipStream_tbENKUlT_T0_E_clISt17integral_constantIbLb0EESZ_EEDaSU_SV_EUlSU_E_NS1_11comp_targetILNS1_3genE10ELNS1_11target_archE1201ELNS1_3gpuE5ELNS1_3repE0EEENS1_30default_config_static_selectorELNS0_4arch9wavefront6targetE0EEEvT1_
    .private_segment_fixed_size: 0
    .sgpr_count:     0
    .sgpr_spill_count: 0
    .symbol:         _ZN7rocprim17ROCPRIM_400000_NS6detail17trampoline_kernelINS0_14default_configENS1_27scan_by_key_config_selectorIxxEEZZNS1_16scan_by_key_implILNS1_25lookback_scan_determinismE0ELb0ES3_N6thrust23THRUST_200600_302600_NS6detail15normal_iteratorINS9_10device_ptrIxEEEESE_SE_xNS9_4plusIvEENS9_8equal_toIxEExEE10hipError_tPvRmT2_T3_T4_T5_mT6_T7_P12ihipStream_tbENKUlT_T0_E_clISt17integral_constantIbLb0EESZ_EEDaSU_SV_EUlSU_E_NS1_11comp_targetILNS1_3genE10ELNS1_11target_archE1201ELNS1_3gpuE5ELNS1_3repE0EEENS1_30default_config_static_selectorELNS0_4arch9wavefront6targetE0EEEvT1_.kd
    .uniform_work_group_size: 1
    .uses_dynamic_stack: false
    .vgpr_count:     0
    .vgpr_spill_count: 0
    .wavefront_size: 32
    .workgroup_processor_mode: 1
  - .args:
      - .offset:         0
        .size:           136
        .value_kind:     by_value
    .group_segment_fixed_size: 0
    .kernarg_segment_align: 8
    .kernarg_segment_size: 136
    .language:       OpenCL C
    .language_version:
      - 2
      - 0
    .max_flat_workgroup_size: 256
    .name:           _ZN7rocprim17ROCPRIM_400000_NS6detail17trampoline_kernelINS0_14default_configENS1_27scan_by_key_config_selectorIxxEEZZNS1_16scan_by_key_implILNS1_25lookback_scan_determinismE0ELb0ES3_N6thrust23THRUST_200600_302600_NS6detail15normal_iteratorINS9_10device_ptrIxEEEESE_SE_xNS9_4plusIvEENS9_8equal_toIxEExEE10hipError_tPvRmT2_T3_T4_T5_mT6_T7_P12ihipStream_tbENKUlT_T0_E_clISt17integral_constantIbLb0EESZ_EEDaSU_SV_EUlSU_E_NS1_11comp_targetILNS1_3genE5ELNS1_11target_archE942ELNS1_3gpuE9ELNS1_3repE0EEENS1_30default_config_static_selectorELNS0_4arch9wavefront6targetE0EEEvT1_
    .private_segment_fixed_size: 0
    .sgpr_count:     0
    .sgpr_spill_count: 0
    .symbol:         _ZN7rocprim17ROCPRIM_400000_NS6detail17trampoline_kernelINS0_14default_configENS1_27scan_by_key_config_selectorIxxEEZZNS1_16scan_by_key_implILNS1_25lookback_scan_determinismE0ELb0ES3_N6thrust23THRUST_200600_302600_NS6detail15normal_iteratorINS9_10device_ptrIxEEEESE_SE_xNS9_4plusIvEENS9_8equal_toIxEExEE10hipError_tPvRmT2_T3_T4_T5_mT6_T7_P12ihipStream_tbENKUlT_T0_E_clISt17integral_constantIbLb0EESZ_EEDaSU_SV_EUlSU_E_NS1_11comp_targetILNS1_3genE5ELNS1_11target_archE942ELNS1_3gpuE9ELNS1_3repE0EEENS1_30default_config_static_selectorELNS0_4arch9wavefront6targetE0EEEvT1_.kd
    .uniform_work_group_size: 1
    .uses_dynamic_stack: false
    .vgpr_count:     0
    .vgpr_spill_count: 0
    .wavefront_size: 32
    .workgroup_processor_mode: 1
  - .args:
      - .offset:         0
        .size:           136
        .value_kind:     by_value
    .group_segment_fixed_size: 0
    .kernarg_segment_align: 8
    .kernarg_segment_size: 136
    .language:       OpenCL C
    .language_version:
      - 2
      - 0
    .max_flat_workgroup_size: 64
    .name:           _ZN7rocprim17ROCPRIM_400000_NS6detail17trampoline_kernelINS0_14default_configENS1_27scan_by_key_config_selectorIxxEEZZNS1_16scan_by_key_implILNS1_25lookback_scan_determinismE0ELb0ES3_N6thrust23THRUST_200600_302600_NS6detail15normal_iteratorINS9_10device_ptrIxEEEESE_SE_xNS9_4plusIvEENS9_8equal_toIxEExEE10hipError_tPvRmT2_T3_T4_T5_mT6_T7_P12ihipStream_tbENKUlT_T0_E_clISt17integral_constantIbLb0EESZ_EEDaSU_SV_EUlSU_E_NS1_11comp_targetILNS1_3genE4ELNS1_11target_archE910ELNS1_3gpuE8ELNS1_3repE0EEENS1_30default_config_static_selectorELNS0_4arch9wavefront6targetE0EEEvT1_
    .private_segment_fixed_size: 0
    .sgpr_count:     0
    .sgpr_spill_count: 0
    .symbol:         _ZN7rocprim17ROCPRIM_400000_NS6detail17trampoline_kernelINS0_14default_configENS1_27scan_by_key_config_selectorIxxEEZZNS1_16scan_by_key_implILNS1_25lookback_scan_determinismE0ELb0ES3_N6thrust23THRUST_200600_302600_NS6detail15normal_iteratorINS9_10device_ptrIxEEEESE_SE_xNS9_4plusIvEENS9_8equal_toIxEExEE10hipError_tPvRmT2_T3_T4_T5_mT6_T7_P12ihipStream_tbENKUlT_T0_E_clISt17integral_constantIbLb0EESZ_EEDaSU_SV_EUlSU_E_NS1_11comp_targetILNS1_3genE4ELNS1_11target_archE910ELNS1_3gpuE8ELNS1_3repE0EEENS1_30default_config_static_selectorELNS0_4arch9wavefront6targetE0EEEvT1_.kd
    .uniform_work_group_size: 1
    .uses_dynamic_stack: false
    .vgpr_count:     0
    .vgpr_spill_count: 0
    .wavefront_size: 32
    .workgroup_processor_mode: 1
  - .args:
      - .offset:         0
        .size:           136
        .value_kind:     by_value
    .group_segment_fixed_size: 0
    .kernarg_segment_align: 8
    .kernarg_segment_size: 136
    .language:       OpenCL C
    .language_version:
      - 2
      - 0
    .max_flat_workgroup_size: 256
    .name:           _ZN7rocprim17ROCPRIM_400000_NS6detail17trampoline_kernelINS0_14default_configENS1_27scan_by_key_config_selectorIxxEEZZNS1_16scan_by_key_implILNS1_25lookback_scan_determinismE0ELb0ES3_N6thrust23THRUST_200600_302600_NS6detail15normal_iteratorINS9_10device_ptrIxEEEESE_SE_xNS9_4plusIvEENS9_8equal_toIxEExEE10hipError_tPvRmT2_T3_T4_T5_mT6_T7_P12ihipStream_tbENKUlT_T0_E_clISt17integral_constantIbLb0EESZ_EEDaSU_SV_EUlSU_E_NS1_11comp_targetILNS1_3genE3ELNS1_11target_archE908ELNS1_3gpuE7ELNS1_3repE0EEENS1_30default_config_static_selectorELNS0_4arch9wavefront6targetE0EEEvT1_
    .private_segment_fixed_size: 0
    .sgpr_count:     0
    .sgpr_spill_count: 0
    .symbol:         _ZN7rocprim17ROCPRIM_400000_NS6detail17trampoline_kernelINS0_14default_configENS1_27scan_by_key_config_selectorIxxEEZZNS1_16scan_by_key_implILNS1_25lookback_scan_determinismE0ELb0ES3_N6thrust23THRUST_200600_302600_NS6detail15normal_iteratorINS9_10device_ptrIxEEEESE_SE_xNS9_4plusIvEENS9_8equal_toIxEExEE10hipError_tPvRmT2_T3_T4_T5_mT6_T7_P12ihipStream_tbENKUlT_T0_E_clISt17integral_constantIbLb0EESZ_EEDaSU_SV_EUlSU_E_NS1_11comp_targetILNS1_3genE3ELNS1_11target_archE908ELNS1_3gpuE7ELNS1_3repE0EEENS1_30default_config_static_selectorELNS0_4arch9wavefront6targetE0EEEvT1_.kd
    .uniform_work_group_size: 1
    .uses_dynamic_stack: false
    .vgpr_count:     0
    .vgpr_spill_count: 0
    .wavefront_size: 32
    .workgroup_processor_mode: 1
  - .args:
      - .offset:         0
        .size:           136
        .value_kind:     by_value
    .group_segment_fixed_size: 0
    .kernarg_segment_align: 8
    .kernarg_segment_size: 136
    .language:       OpenCL C
    .language_version:
      - 2
      - 0
    .max_flat_workgroup_size: 256
    .name:           _ZN7rocprim17ROCPRIM_400000_NS6detail17trampoline_kernelINS0_14default_configENS1_27scan_by_key_config_selectorIxxEEZZNS1_16scan_by_key_implILNS1_25lookback_scan_determinismE0ELb0ES3_N6thrust23THRUST_200600_302600_NS6detail15normal_iteratorINS9_10device_ptrIxEEEESE_SE_xNS9_4plusIvEENS9_8equal_toIxEExEE10hipError_tPvRmT2_T3_T4_T5_mT6_T7_P12ihipStream_tbENKUlT_T0_E_clISt17integral_constantIbLb0EESZ_EEDaSU_SV_EUlSU_E_NS1_11comp_targetILNS1_3genE2ELNS1_11target_archE906ELNS1_3gpuE6ELNS1_3repE0EEENS1_30default_config_static_selectorELNS0_4arch9wavefront6targetE0EEEvT1_
    .private_segment_fixed_size: 0
    .sgpr_count:     0
    .sgpr_spill_count: 0
    .symbol:         _ZN7rocprim17ROCPRIM_400000_NS6detail17trampoline_kernelINS0_14default_configENS1_27scan_by_key_config_selectorIxxEEZZNS1_16scan_by_key_implILNS1_25lookback_scan_determinismE0ELb0ES3_N6thrust23THRUST_200600_302600_NS6detail15normal_iteratorINS9_10device_ptrIxEEEESE_SE_xNS9_4plusIvEENS9_8equal_toIxEExEE10hipError_tPvRmT2_T3_T4_T5_mT6_T7_P12ihipStream_tbENKUlT_T0_E_clISt17integral_constantIbLb0EESZ_EEDaSU_SV_EUlSU_E_NS1_11comp_targetILNS1_3genE2ELNS1_11target_archE906ELNS1_3gpuE6ELNS1_3repE0EEENS1_30default_config_static_selectorELNS0_4arch9wavefront6targetE0EEEvT1_.kd
    .uniform_work_group_size: 1
    .uses_dynamic_stack: false
    .vgpr_count:     0
    .vgpr_spill_count: 0
    .wavefront_size: 32
    .workgroup_processor_mode: 1
  - .args:
      - .offset:         0
        .size:           136
        .value_kind:     by_value
    .group_segment_fixed_size: 0
    .kernarg_segment_align: 8
    .kernarg_segment_size: 136
    .language:       OpenCL C
    .language_version:
      - 2
      - 0
    .max_flat_workgroup_size: 256
    .name:           _ZN7rocprim17ROCPRIM_400000_NS6detail17trampoline_kernelINS0_14default_configENS1_27scan_by_key_config_selectorIxxEEZZNS1_16scan_by_key_implILNS1_25lookback_scan_determinismE0ELb0ES3_N6thrust23THRUST_200600_302600_NS6detail15normal_iteratorINS9_10device_ptrIxEEEESE_SE_xNS9_4plusIvEENS9_8equal_toIxEExEE10hipError_tPvRmT2_T3_T4_T5_mT6_T7_P12ihipStream_tbENKUlT_T0_E_clISt17integral_constantIbLb0EESZ_EEDaSU_SV_EUlSU_E_NS1_11comp_targetILNS1_3genE10ELNS1_11target_archE1200ELNS1_3gpuE4ELNS1_3repE0EEENS1_30default_config_static_selectorELNS0_4arch9wavefront6targetE0EEEvT1_
    .private_segment_fixed_size: 0
    .sgpr_count:     0
    .sgpr_spill_count: 0
    .symbol:         _ZN7rocprim17ROCPRIM_400000_NS6detail17trampoline_kernelINS0_14default_configENS1_27scan_by_key_config_selectorIxxEEZZNS1_16scan_by_key_implILNS1_25lookback_scan_determinismE0ELb0ES3_N6thrust23THRUST_200600_302600_NS6detail15normal_iteratorINS9_10device_ptrIxEEEESE_SE_xNS9_4plusIvEENS9_8equal_toIxEExEE10hipError_tPvRmT2_T3_T4_T5_mT6_T7_P12ihipStream_tbENKUlT_T0_E_clISt17integral_constantIbLb0EESZ_EEDaSU_SV_EUlSU_E_NS1_11comp_targetILNS1_3genE10ELNS1_11target_archE1200ELNS1_3gpuE4ELNS1_3repE0EEENS1_30default_config_static_selectorELNS0_4arch9wavefront6targetE0EEEvT1_.kd
    .uniform_work_group_size: 1
    .uses_dynamic_stack: false
    .vgpr_count:     0
    .vgpr_spill_count: 0
    .wavefront_size: 32
    .workgroup_processor_mode: 1
  - .args:
      - .offset:         0
        .size:           136
        .value_kind:     by_value
    .group_segment_fixed_size: 0
    .kernarg_segment_align: 8
    .kernarg_segment_size: 136
    .language:       OpenCL C
    .language_version:
      - 2
      - 0
    .max_flat_workgroup_size: 256
    .name:           _ZN7rocprim17ROCPRIM_400000_NS6detail17trampoline_kernelINS0_14default_configENS1_27scan_by_key_config_selectorIxxEEZZNS1_16scan_by_key_implILNS1_25lookback_scan_determinismE0ELb0ES3_N6thrust23THRUST_200600_302600_NS6detail15normal_iteratorINS9_10device_ptrIxEEEESE_SE_xNS9_4plusIvEENS9_8equal_toIxEExEE10hipError_tPvRmT2_T3_T4_T5_mT6_T7_P12ihipStream_tbENKUlT_T0_E_clISt17integral_constantIbLb0EESZ_EEDaSU_SV_EUlSU_E_NS1_11comp_targetILNS1_3genE9ELNS1_11target_archE1100ELNS1_3gpuE3ELNS1_3repE0EEENS1_30default_config_static_selectorELNS0_4arch9wavefront6targetE0EEEvT1_
    .private_segment_fixed_size: 0
    .sgpr_count:     0
    .sgpr_spill_count: 0
    .symbol:         _ZN7rocprim17ROCPRIM_400000_NS6detail17trampoline_kernelINS0_14default_configENS1_27scan_by_key_config_selectorIxxEEZZNS1_16scan_by_key_implILNS1_25lookback_scan_determinismE0ELb0ES3_N6thrust23THRUST_200600_302600_NS6detail15normal_iteratorINS9_10device_ptrIxEEEESE_SE_xNS9_4plusIvEENS9_8equal_toIxEExEE10hipError_tPvRmT2_T3_T4_T5_mT6_T7_P12ihipStream_tbENKUlT_T0_E_clISt17integral_constantIbLb0EESZ_EEDaSU_SV_EUlSU_E_NS1_11comp_targetILNS1_3genE9ELNS1_11target_archE1100ELNS1_3gpuE3ELNS1_3repE0EEENS1_30default_config_static_selectorELNS0_4arch9wavefront6targetE0EEEvT1_.kd
    .uniform_work_group_size: 1
    .uses_dynamic_stack: false
    .vgpr_count:     0
    .vgpr_spill_count: 0
    .wavefront_size: 32
    .workgroup_processor_mode: 1
  - .args:
      - .offset:         0
        .size:           136
        .value_kind:     by_value
    .group_segment_fixed_size: 30720
    .kernarg_segment_align: 8
    .kernarg_segment_size: 136
    .language:       OpenCL C
    .language_version:
      - 2
      - 0
    .max_flat_workgroup_size: 256
    .name:           _ZN7rocprim17ROCPRIM_400000_NS6detail17trampoline_kernelINS0_14default_configENS1_27scan_by_key_config_selectorIxxEEZZNS1_16scan_by_key_implILNS1_25lookback_scan_determinismE0ELb0ES3_N6thrust23THRUST_200600_302600_NS6detail15normal_iteratorINS9_10device_ptrIxEEEESE_SE_xNS9_4plusIvEENS9_8equal_toIxEExEE10hipError_tPvRmT2_T3_T4_T5_mT6_T7_P12ihipStream_tbENKUlT_T0_E_clISt17integral_constantIbLb0EESZ_EEDaSU_SV_EUlSU_E_NS1_11comp_targetILNS1_3genE8ELNS1_11target_archE1030ELNS1_3gpuE2ELNS1_3repE0EEENS1_30default_config_static_selectorELNS0_4arch9wavefront6targetE0EEEvT1_
    .private_segment_fixed_size: 0
    .sgpr_count:     51
    .sgpr_spill_count: 0
    .symbol:         _ZN7rocprim17ROCPRIM_400000_NS6detail17trampoline_kernelINS0_14default_configENS1_27scan_by_key_config_selectorIxxEEZZNS1_16scan_by_key_implILNS1_25lookback_scan_determinismE0ELb0ES3_N6thrust23THRUST_200600_302600_NS6detail15normal_iteratorINS9_10device_ptrIxEEEESE_SE_xNS9_4plusIvEENS9_8equal_toIxEExEE10hipError_tPvRmT2_T3_T4_T5_mT6_T7_P12ihipStream_tbENKUlT_T0_E_clISt17integral_constantIbLb0EESZ_EEDaSU_SV_EUlSU_E_NS1_11comp_targetILNS1_3genE8ELNS1_11target_archE1030ELNS1_3gpuE2ELNS1_3repE0EEENS1_30default_config_static_selectorELNS0_4arch9wavefront6targetE0EEEvT1_.kd
    .uniform_work_group_size: 1
    .uses_dynamic_stack: false
    .vgpr_count:     106
    .vgpr_spill_count: 0
    .wavefront_size: 32
    .workgroup_processor_mode: 1
  - .args:
      - .offset:         0
        .size:           136
        .value_kind:     by_value
    .group_segment_fixed_size: 0
    .kernarg_segment_align: 8
    .kernarg_segment_size: 136
    .language:       OpenCL C
    .language_version:
      - 2
      - 0
    .max_flat_workgroup_size: 256
    .name:           _ZN7rocprim17ROCPRIM_400000_NS6detail17trampoline_kernelINS0_14default_configENS1_27scan_by_key_config_selectorIxxEEZZNS1_16scan_by_key_implILNS1_25lookback_scan_determinismE0ELb0ES3_N6thrust23THRUST_200600_302600_NS6detail15normal_iteratorINS9_10device_ptrIxEEEESE_SE_xNS9_4plusIvEENS9_8equal_toIxEExEE10hipError_tPvRmT2_T3_T4_T5_mT6_T7_P12ihipStream_tbENKUlT_T0_E_clISt17integral_constantIbLb1EESZ_EEDaSU_SV_EUlSU_E_NS1_11comp_targetILNS1_3genE0ELNS1_11target_archE4294967295ELNS1_3gpuE0ELNS1_3repE0EEENS1_30default_config_static_selectorELNS0_4arch9wavefront6targetE0EEEvT1_
    .private_segment_fixed_size: 0
    .sgpr_count:     0
    .sgpr_spill_count: 0
    .symbol:         _ZN7rocprim17ROCPRIM_400000_NS6detail17trampoline_kernelINS0_14default_configENS1_27scan_by_key_config_selectorIxxEEZZNS1_16scan_by_key_implILNS1_25lookback_scan_determinismE0ELb0ES3_N6thrust23THRUST_200600_302600_NS6detail15normal_iteratorINS9_10device_ptrIxEEEESE_SE_xNS9_4plusIvEENS9_8equal_toIxEExEE10hipError_tPvRmT2_T3_T4_T5_mT6_T7_P12ihipStream_tbENKUlT_T0_E_clISt17integral_constantIbLb1EESZ_EEDaSU_SV_EUlSU_E_NS1_11comp_targetILNS1_3genE0ELNS1_11target_archE4294967295ELNS1_3gpuE0ELNS1_3repE0EEENS1_30default_config_static_selectorELNS0_4arch9wavefront6targetE0EEEvT1_.kd
    .uniform_work_group_size: 1
    .uses_dynamic_stack: false
    .vgpr_count:     0
    .vgpr_spill_count: 0
    .wavefront_size: 32
    .workgroup_processor_mode: 1
  - .args:
      - .offset:         0
        .size:           136
        .value_kind:     by_value
    .group_segment_fixed_size: 0
    .kernarg_segment_align: 8
    .kernarg_segment_size: 136
    .language:       OpenCL C
    .language_version:
      - 2
      - 0
    .max_flat_workgroup_size: 256
    .name:           _ZN7rocprim17ROCPRIM_400000_NS6detail17trampoline_kernelINS0_14default_configENS1_27scan_by_key_config_selectorIxxEEZZNS1_16scan_by_key_implILNS1_25lookback_scan_determinismE0ELb0ES3_N6thrust23THRUST_200600_302600_NS6detail15normal_iteratorINS9_10device_ptrIxEEEESE_SE_xNS9_4plusIvEENS9_8equal_toIxEExEE10hipError_tPvRmT2_T3_T4_T5_mT6_T7_P12ihipStream_tbENKUlT_T0_E_clISt17integral_constantIbLb1EESZ_EEDaSU_SV_EUlSU_E_NS1_11comp_targetILNS1_3genE10ELNS1_11target_archE1201ELNS1_3gpuE5ELNS1_3repE0EEENS1_30default_config_static_selectorELNS0_4arch9wavefront6targetE0EEEvT1_
    .private_segment_fixed_size: 0
    .sgpr_count:     0
    .sgpr_spill_count: 0
    .symbol:         _ZN7rocprim17ROCPRIM_400000_NS6detail17trampoline_kernelINS0_14default_configENS1_27scan_by_key_config_selectorIxxEEZZNS1_16scan_by_key_implILNS1_25lookback_scan_determinismE0ELb0ES3_N6thrust23THRUST_200600_302600_NS6detail15normal_iteratorINS9_10device_ptrIxEEEESE_SE_xNS9_4plusIvEENS9_8equal_toIxEExEE10hipError_tPvRmT2_T3_T4_T5_mT6_T7_P12ihipStream_tbENKUlT_T0_E_clISt17integral_constantIbLb1EESZ_EEDaSU_SV_EUlSU_E_NS1_11comp_targetILNS1_3genE10ELNS1_11target_archE1201ELNS1_3gpuE5ELNS1_3repE0EEENS1_30default_config_static_selectorELNS0_4arch9wavefront6targetE0EEEvT1_.kd
    .uniform_work_group_size: 1
    .uses_dynamic_stack: false
    .vgpr_count:     0
    .vgpr_spill_count: 0
    .wavefront_size: 32
    .workgroup_processor_mode: 1
  - .args:
      - .offset:         0
        .size:           136
        .value_kind:     by_value
    .group_segment_fixed_size: 0
    .kernarg_segment_align: 8
    .kernarg_segment_size: 136
    .language:       OpenCL C
    .language_version:
      - 2
      - 0
    .max_flat_workgroup_size: 256
    .name:           _ZN7rocprim17ROCPRIM_400000_NS6detail17trampoline_kernelINS0_14default_configENS1_27scan_by_key_config_selectorIxxEEZZNS1_16scan_by_key_implILNS1_25lookback_scan_determinismE0ELb0ES3_N6thrust23THRUST_200600_302600_NS6detail15normal_iteratorINS9_10device_ptrIxEEEESE_SE_xNS9_4plusIvEENS9_8equal_toIxEExEE10hipError_tPvRmT2_T3_T4_T5_mT6_T7_P12ihipStream_tbENKUlT_T0_E_clISt17integral_constantIbLb1EESZ_EEDaSU_SV_EUlSU_E_NS1_11comp_targetILNS1_3genE5ELNS1_11target_archE942ELNS1_3gpuE9ELNS1_3repE0EEENS1_30default_config_static_selectorELNS0_4arch9wavefront6targetE0EEEvT1_
    .private_segment_fixed_size: 0
    .sgpr_count:     0
    .sgpr_spill_count: 0
    .symbol:         _ZN7rocprim17ROCPRIM_400000_NS6detail17trampoline_kernelINS0_14default_configENS1_27scan_by_key_config_selectorIxxEEZZNS1_16scan_by_key_implILNS1_25lookback_scan_determinismE0ELb0ES3_N6thrust23THRUST_200600_302600_NS6detail15normal_iteratorINS9_10device_ptrIxEEEESE_SE_xNS9_4plusIvEENS9_8equal_toIxEExEE10hipError_tPvRmT2_T3_T4_T5_mT6_T7_P12ihipStream_tbENKUlT_T0_E_clISt17integral_constantIbLb1EESZ_EEDaSU_SV_EUlSU_E_NS1_11comp_targetILNS1_3genE5ELNS1_11target_archE942ELNS1_3gpuE9ELNS1_3repE0EEENS1_30default_config_static_selectorELNS0_4arch9wavefront6targetE0EEEvT1_.kd
    .uniform_work_group_size: 1
    .uses_dynamic_stack: false
    .vgpr_count:     0
    .vgpr_spill_count: 0
    .wavefront_size: 32
    .workgroup_processor_mode: 1
  - .args:
      - .offset:         0
        .size:           136
        .value_kind:     by_value
    .group_segment_fixed_size: 0
    .kernarg_segment_align: 8
    .kernarg_segment_size: 136
    .language:       OpenCL C
    .language_version:
      - 2
      - 0
    .max_flat_workgroup_size: 64
    .name:           _ZN7rocprim17ROCPRIM_400000_NS6detail17trampoline_kernelINS0_14default_configENS1_27scan_by_key_config_selectorIxxEEZZNS1_16scan_by_key_implILNS1_25lookback_scan_determinismE0ELb0ES3_N6thrust23THRUST_200600_302600_NS6detail15normal_iteratorINS9_10device_ptrIxEEEESE_SE_xNS9_4plusIvEENS9_8equal_toIxEExEE10hipError_tPvRmT2_T3_T4_T5_mT6_T7_P12ihipStream_tbENKUlT_T0_E_clISt17integral_constantIbLb1EESZ_EEDaSU_SV_EUlSU_E_NS1_11comp_targetILNS1_3genE4ELNS1_11target_archE910ELNS1_3gpuE8ELNS1_3repE0EEENS1_30default_config_static_selectorELNS0_4arch9wavefront6targetE0EEEvT1_
    .private_segment_fixed_size: 0
    .sgpr_count:     0
    .sgpr_spill_count: 0
    .symbol:         _ZN7rocprim17ROCPRIM_400000_NS6detail17trampoline_kernelINS0_14default_configENS1_27scan_by_key_config_selectorIxxEEZZNS1_16scan_by_key_implILNS1_25lookback_scan_determinismE0ELb0ES3_N6thrust23THRUST_200600_302600_NS6detail15normal_iteratorINS9_10device_ptrIxEEEESE_SE_xNS9_4plusIvEENS9_8equal_toIxEExEE10hipError_tPvRmT2_T3_T4_T5_mT6_T7_P12ihipStream_tbENKUlT_T0_E_clISt17integral_constantIbLb1EESZ_EEDaSU_SV_EUlSU_E_NS1_11comp_targetILNS1_3genE4ELNS1_11target_archE910ELNS1_3gpuE8ELNS1_3repE0EEENS1_30default_config_static_selectorELNS0_4arch9wavefront6targetE0EEEvT1_.kd
    .uniform_work_group_size: 1
    .uses_dynamic_stack: false
    .vgpr_count:     0
    .vgpr_spill_count: 0
    .wavefront_size: 32
    .workgroup_processor_mode: 1
  - .args:
      - .offset:         0
        .size:           136
        .value_kind:     by_value
    .group_segment_fixed_size: 0
    .kernarg_segment_align: 8
    .kernarg_segment_size: 136
    .language:       OpenCL C
    .language_version:
      - 2
      - 0
    .max_flat_workgroup_size: 256
    .name:           _ZN7rocprim17ROCPRIM_400000_NS6detail17trampoline_kernelINS0_14default_configENS1_27scan_by_key_config_selectorIxxEEZZNS1_16scan_by_key_implILNS1_25lookback_scan_determinismE0ELb0ES3_N6thrust23THRUST_200600_302600_NS6detail15normal_iteratorINS9_10device_ptrIxEEEESE_SE_xNS9_4plusIvEENS9_8equal_toIxEExEE10hipError_tPvRmT2_T3_T4_T5_mT6_T7_P12ihipStream_tbENKUlT_T0_E_clISt17integral_constantIbLb1EESZ_EEDaSU_SV_EUlSU_E_NS1_11comp_targetILNS1_3genE3ELNS1_11target_archE908ELNS1_3gpuE7ELNS1_3repE0EEENS1_30default_config_static_selectorELNS0_4arch9wavefront6targetE0EEEvT1_
    .private_segment_fixed_size: 0
    .sgpr_count:     0
    .sgpr_spill_count: 0
    .symbol:         _ZN7rocprim17ROCPRIM_400000_NS6detail17trampoline_kernelINS0_14default_configENS1_27scan_by_key_config_selectorIxxEEZZNS1_16scan_by_key_implILNS1_25lookback_scan_determinismE0ELb0ES3_N6thrust23THRUST_200600_302600_NS6detail15normal_iteratorINS9_10device_ptrIxEEEESE_SE_xNS9_4plusIvEENS9_8equal_toIxEExEE10hipError_tPvRmT2_T3_T4_T5_mT6_T7_P12ihipStream_tbENKUlT_T0_E_clISt17integral_constantIbLb1EESZ_EEDaSU_SV_EUlSU_E_NS1_11comp_targetILNS1_3genE3ELNS1_11target_archE908ELNS1_3gpuE7ELNS1_3repE0EEENS1_30default_config_static_selectorELNS0_4arch9wavefront6targetE0EEEvT1_.kd
    .uniform_work_group_size: 1
    .uses_dynamic_stack: false
    .vgpr_count:     0
    .vgpr_spill_count: 0
    .wavefront_size: 32
    .workgroup_processor_mode: 1
  - .args:
      - .offset:         0
        .size:           136
        .value_kind:     by_value
    .group_segment_fixed_size: 0
    .kernarg_segment_align: 8
    .kernarg_segment_size: 136
    .language:       OpenCL C
    .language_version:
      - 2
      - 0
    .max_flat_workgroup_size: 256
    .name:           _ZN7rocprim17ROCPRIM_400000_NS6detail17trampoline_kernelINS0_14default_configENS1_27scan_by_key_config_selectorIxxEEZZNS1_16scan_by_key_implILNS1_25lookback_scan_determinismE0ELb0ES3_N6thrust23THRUST_200600_302600_NS6detail15normal_iteratorINS9_10device_ptrIxEEEESE_SE_xNS9_4plusIvEENS9_8equal_toIxEExEE10hipError_tPvRmT2_T3_T4_T5_mT6_T7_P12ihipStream_tbENKUlT_T0_E_clISt17integral_constantIbLb1EESZ_EEDaSU_SV_EUlSU_E_NS1_11comp_targetILNS1_3genE2ELNS1_11target_archE906ELNS1_3gpuE6ELNS1_3repE0EEENS1_30default_config_static_selectorELNS0_4arch9wavefront6targetE0EEEvT1_
    .private_segment_fixed_size: 0
    .sgpr_count:     0
    .sgpr_spill_count: 0
    .symbol:         _ZN7rocprim17ROCPRIM_400000_NS6detail17trampoline_kernelINS0_14default_configENS1_27scan_by_key_config_selectorIxxEEZZNS1_16scan_by_key_implILNS1_25lookback_scan_determinismE0ELb0ES3_N6thrust23THRUST_200600_302600_NS6detail15normal_iteratorINS9_10device_ptrIxEEEESE_SE_xNS9_4plusIvEENS9_8equal_toIxEExEE10hipError_tPvRmT2_T3_T4_T5_mT6_T7_P12ihipStream_tbENKUlT_T0_E_clISt17integral_constantIbLb1EESZ_EEDaSU_SV_EUlSU_E_NS1_11comp_targetILNS1_3genE2ELNS1_11target_archE906ELNS1_3gpuE6ELNS1_3repE0EEENS1_30default_config_static_selectorELNS0_4arch9wavefront6targetE0EEEvT1_.kd
    .uniform_work_group_size: 1
    .uses_dynamic_stack: false
    .vgpr_count:     0
    .vgpr_spill_count: 0
    .wavefront_size: 32
    .workgroup_processor_mode: 1
  - .args:
      - .offset:         0
        .size:           136
        .value_kind:     by_value
    .group_segment_fixed_size: 0
    .kernarg_segment_align: 8
    .kernarg_segment_size: 136
    .language:       OpenCL C
    .language_version:
      - 2
      - 0
    .max_flat_workgroup_size: 256
    .name:           _ZN7rocprim17ROCPRIM_400000_NS6detail17trampoline_kernelINS0_14default_configENS1_27scan_by_key_config_selectorIxxEEZZNS1_16scan_by_key_implILNS1_25lookback_scan_determinismE0ELb0ES3_N6thrust23THRUST_200600_302600_NS6detail15normal_iteratorINS9_10device_ptrIxEEEESE_SE_xNS9_4plusIvEENS9_8equal_toIxEExEE10hipError_tPvRmT2_T3_T4_T5_mT6_T7_P12ihipStream_tbENKUlT_T0_E_clISt17integral_constantIbLb1EESZ_EEDaSU_SV_EUlSU_E_NS1_11comp_targetILNS1_3genE10ELNS1_11target_archE1200ELNS1_3gpuE4ELNS1_3repE0EEENS1_30default_config_static_selectorELNS0_4arch9wavefront6targetE0EEEvT1_
    .private_segment_fixed_size: 0
    .sgpr_count:     0
    .sgpr_spill_count: 0
    .symbol:         _ZN7rocprim17ROCPRIM_400000_NS6detail17trampoline_kernelINS0_14default_configENS1_27scan_by_key_config_selectorIxxEEZZNS1_16scan_by_key_implILNS1_25lookback_scan_determinismE0ELb0ES3_N6thrust23THRUST_200600_302600_NS6detail15normal_iteratorINS9_10device_ptrIxEEEESE_SE_xNS9_4plusIvEENS9_8equal_toIxEExEE10hipError_tPvRmT2_T3_T4_T5_mT6_T7_P12ihipStream_tbENKUlT_T0_E_clISt17integral_constantIbLb1EESZ_EEDaSU_SV_EUlSU_E_NS1_11comp_targetILNS1_3genE10ELNS1_11target_archE1200ELNS1_3gpuE4ELNS1_3repE0EEENS1_30default_config_static_selectorELNS0_4arch9wavefront6targetE0EEEvT1_.kd
    .uniform_work_group_size: 1
    .uses_dynamic_stack: false
    .vgpr_count:     0
    .vgpr_spill_count: 0
    .wavefront_size: 32
    .workgroup_processor_mode: 1
  - .args:
      - .offset:         0
        .size:           136
        .value_kind:     by_value
    .group_segment_fixed_size: 0
    .kernarg_segment_align: 8
    .kernarg_segment_size: 136
    .language:       OpenCL C
    .language_version:
      - 2
      - 0
    .max_flat_workgroup_size: 256
    .name:           _ZN7rocprim17ROCPRIM_400000_NS6detail17trampoline_kernelINS0_14default_configENS1_27scan_by_key_config_selectorIxxEEZZNS1_16scan_by_key_implILNS1_25lookback_scan_determinismE0ELb0ES3_N6thrust23THRUST_200600_302600_NS6detail15normal_iteratorINS9_10device_ptrIxEEEESE_SE_xNS9_4plusIvEENS9_8equal_toIxEExEE10hipError_tPvRmT2_T3_T4_T5_mT6_T7_P12ihipStream_tbENKUlT_T0_E_clISt17integral_constantIbLb1EESZ_EEDaSU_SV_EUlSU_E_NS1_11comp_targetILNS1_3genE9ELNS1_11target_archE1100ELNS1_3gpuE3ELNS1_3repE0EEENS1_30default_config_static_selectorELNS0_4arch9wavefront6targetE0EEEvT1_
    .private_segment_fixed_size: 0
    .sgpr_count:     0
    .sgpr_spill_count: 0
    .symbol:         _ZN7rocprim17ROCPRIM_400000_NS6detail17trampoline_kernelINS0_14default_configENS1_27scan_by_key_config_selectorIxxEEZZNS1_16scan_by_key_implILNS1_25lookback_scan_determinismE0ELb0ES3_N6thrust23THRUST_200600_302600_NS6detail15normal_iteratorINS9_10device_ptrIxEEEESE_SE_xNS9_4plusIvEENS9_8equal_toIxEExEE10hipError_tPvRmT2_T3_T4_T5_mT6_T7_P12ihipStream_tbENKUlT_T0_E_clISt17integral_constantIbLb1EESZ_EEDaSU_SV_EUlSU_E_NS1_11comp_targetILNS1_3genE9ELNS1_11target_archE1100ELNS1_3gpuE3ELNS1_3repE0EEENS1_30default_config_static_selectorELNS0_4arch9wavefront6targetE0EEEvT1_.kd
    .uniform_work_group_size: 1
    .uses_dynamic_stack: false
    .vgpr_count:     0
    .vgpr_spill_count: 0
    .wavefront_size: 32
    .workgroup_processor_mode: 1
  - .args:
      - .offset:         0
        .size:           136
        .value_kind:     by_value
    .group_segment_fixed_size: 0
    .kernarg_segment_align: 8
    .kernarg_segment_size: 136
    .language:       OpenCL C
    .language_version:
      - 2
      - 0
    .max_flat_workgroup_size: 256
    .name:           _ZN7rocprim17ROCPRIM_400000_NS6detail17trampoline_kernelINS0_14default_configENS1_27scan_by_key_config_selectorIxxEEZZNS1_16scan_by_key_implILNS1_25lookback_scan_determinismE0ELb0ES3_N6thrust23THRUST_200600_302600_NS6detail15normal_iteratorINS9_10device_ptrIxEEEESE_SE_xNS9_4plusIvEENS9_8equal_toIxEExEE10hipError_tPvRmT2_T3_T4_T5_mT6_T7_P12ihipStream_tbENKUlT_T0_E_clISt17integral_constantIbLb1EESZ_EEDaSU_SV_EUlSU_E_NS1_11comp_targetILNS1_3genE8ELNS1_11target_archE1030ELNS1_3gpuE2ELNS1_3repE0EEENS1_30default_config_static_selectorELNS0_4arch9wavefront6targetE0EEEvT1_
    .private_segment_fixed_size: 0
    .sgpr_count:     0
    .sgpr_spill_count: 0
    .symbol:         _ZN7rocprim17ROCPRIM_400000_NS6detail17trampoline_kernelINS0_14default_configENS1_27scan_by_key_config_selectorIxxEEZZNS1_16scan_by_key_implILNS1_25lookback_scan_determinismE0ELb0ES3_N6thrust23THRUST_200600_302600_NS6detail15normal_iteratorINS9_10device_ptrIxEEEESE_SE_xNS9_4plusIvEENS9_8equal_toIxEExEE10hipError_tPvRmT2_T3_T4_T5_mT6_T7_P12ihipStream_tbENKUlT_T0_E_clISt17integral_constantIbLb1EESZ_EEDaSU_SV_EUlSU_E_NS1_11comp_targetILNS1_3genE8ELNS1_11target_archE1030ELNS1_3gpuE2ELNS1_3repE0EEENS1_30default_config_static_selectorELNS0_4arch9wavefront6targetE0EEEvT1_.kd
    .uniform_work_group_size: 1
    .uses_dynamic_stack: false
    .vgpr_count:     0
    .vgpr_spill_count: 0
    .wavefront_size: 32
    .workgroup_processor_mode: 1
  - .args:
      - .offset:         0
        .size:           136
        .value_kind:     by_value
    .group_segment_fixed_size: 0
    .kernarg_segment_align: 8
    .kernarg_segment_size: 136
    .language:       OpenCL C
    .language_version:
      - 2
      - 0
    .max_flat_workgroup_size: 256
    .name:           _ZN7rocprim17ROCPRIM_400000_NS6detail17trampoline_kernelINS0_14default_configENS1_27scan_by_key_config_selectorIxxEEZZNS1_16scan_by_key_implILNS1_25lookback_scan_determinismE0ELb0ES3_N6thrust23THRUST_200600_302600_NS6detail15normal_iteratorINS9_10device_ptrIxEEEESE_SE_xNS9_4plusIvEENS9_8equal_toIxEExEE10hipError_tPvRmT2_T3_T4_T5_mT6_T7_P12ihipStream_tbENKUlT_T0_E_clISt17integral_constantIbLb1EESY_IbLb0EEEEDaSU_SV_EUlSU_E_NS1_11comp_targetILNS1_3genE0ELNS1_11target_archE4294967295ELNS1_3gpuE0ELNS1_3repE0EEENS1_30default_config_static_selectorELNS0_4arch9wavefront6targetE0EEEvT1_
    .private_segment_fixed_size: 0
    .sgpr_count:     0
    .sgpr_spill_count: 0
    .symbol:         _ZN7rocprim17ROCPRIM_400000_NS6detail17trampoline_kernelINS0_14default_configENS1_27scan_by_key_config_selectorIxxEEZZNS1_16scan_by_key_implILNS1_25lookback_scan_determinismE0ELb0ES3_N6thrust23THRUST_200600_302600_NS6detail15normal_iteratorINS9_10device_ptrIxEEEESE_SE_xNS9_4plusIvEENS9_8equal_toIxEExEE10hipError_tPvRmT2_T3_T4_T5_mT6_T7_P12ihipStream_tbENKUlT_T0_E_clISt17integral_constantIbLb1EESY_IbLb0EEEEDaSU_SV_EUlSU_E_NS1_11comp_targetILNS1_3genE0ELNS1_11target_archE4294967295ELNS1_3gpuE0ELNS1_3repE0EEENS1_30default_config_static_selectorELNS0_4arch9wavefront6targetE0EEEvT1_.kd
    .uniform_work_group_size: 1
    .uses_dynamic_stack: false
    .vgpr_count:     0
    .vgpr_spill_count: 0
    .wavefront_size: 32
    .workgroup_processor_mode: 1
  - .args:
      - .offset:         0
        .size:           136
        .value_kind:     by_value
    .group_segment_fixed_size: 0
    .kernarg_segment_align: 8
    .kernarg_segment_size: 136
    .language:       OpenCL C
    .language_version:
      - 2
      - 0
    .max_flat_workgroup_size: 256
    .name:           _ZN7rocprim17ROCPRIM_400000_NS6detail17trampoline_kernelINS0_14default_configENS1_27scan_by_key_config_selectorIxxEEZZNS1_16scan_by_key_implILNS1_25lookback_scan_determinismE0ELb0ES3_N6thrust23THRUST_200600_302600_NS6detail15normal_iteratorINS9_10device_ptrIxEEEESE_SE_xNS9_4plusIvEENS9_8equal_toIxEExEE10hipError_tPvRmT2_T3_T4_T5_mT6_T7_P12ihipStream_tbENKUlT_T0_E_clISt17integral_constantIbLb1EESY_IbLb0EEEEDaSU_SV_EUlSU_E_NS1_11comp_targetILNS1_3genE10ELNS1_11target_archE1201ELNS1_3gpuE5ELNS1_3repE0EEENS1_30default_config_static_selectorELNS0_4arch9wavefront6targetE0EEEvT1_
    .private_segment_fixed_size: 0
    .sgpr_count:     0
    .sgpr_spill_count: 0
    .symbol:         _ZN7rocprim17ROCPRIM_400000_NS6detail17trampoline_kernelINS0_14default_configENS1_27scan_by_key_config_selectorIxxEEZZNS1_16scan_by_key_implILNS1_25lookback_scan_determinismE0ELb0ES3_N6thrust23THRUST_200600_302600_NS6detail15normal_iteratorINS9_10device_ptrIxEEEESE_SE_xNS9_4plusIvEENS9_8equal_toIxEExEE10hipError_tPvRmT2_T3_T4_T5_mT6_T7_P12ihipStream_tbENKUlT_T0_E_clISt17integral_constantIbLb1EESY_IbLb0EEEEDaSU_SV_EUlSU_E_NS1_11comp_targetILNS1_3genE10ELNS1_11target_archE1201ELNS1_3gpuE5ELNS1_3repE0EEENS1_30default_config_static_selectorELNS0_4arch9wavefront6targetE0EEEvT1_.kd
    .uniform_work_group_size: 1
    .uses_dynamic_stack: false
    .vgpr_count:     0
    .vgpr_spill_count: 0
    .wavefront_size: 32
    .workgroup_processor_mode: 1
  - .args:
      - .offset:         0
        .size:           136
        .value_kind:     by_value
    .group_segment_fixed_size: 0
    .kernarg_segment_align: 8
    .kernarg_segment_size: 136
    .language:       OpenCL C
    .language_version:
      - 2
      - 0
    .max_flat_workgroup_size: 256
    .name:           _ZN7rocprim17ROCPRIM_400000_NS6detail17trampoline_kernelINS0_14default_configENS1_27scan_by_key_config_selectorIxxEEZZNS1_16scan_by_key_implILNS1_25lookback_scan_determinismE0ELb0ES3_N6thrust23THRUST_200600_302600_NS6detail15normal_iteratorINS9_10device_ptrIxEEEESE_SE_xNS9_4plusIvEENS9_8equal_toIxEExEE10hipError_tPvRmT2_T3_T4_T5_mT6_T7_P12ihipStream_tbENKUlT_T0_E_clISt17integral_constantIbLb1EESY_IbLb0EEEEDaSU_SV_EUlSU_E_NS1_11comp_targetILNS1_3genE5ELNS1_11target_archE942ELNS1_3gpuE9ELNS1_3repE0EEENS1_30default_config_static_selectorELNS0_4arch9wavefront6targetE0EEEvT1_
    .private_segment_fixed_size: 0
    .sgpr_count:     0
    .sgpr_spill_count: 0
    .symbol:         _ZN7rocprim17ROCPRIM_400000_NS6detail17trampoline_kernelINS0_14default_configENS1_27scan_by_key_config_selectorIxxEEZZNS1_16scan_by_key_implILNS1_25lookback_scan_determinismE0ELb0ES3_N6thrust23THRUST_200600_302600_NS6detail15normal_iteratorINS9_10device_ptrIxEEEESE_SE_xNS9_4plusIvEENS9_8equal_toIxEExEE10hipError_tPvRmT2_T3_T4_T5_mT6_T7_P12ihipStream_tbENKUlT_T0_E_clISt17integral_constantIbLb1EESY_IbLb0EEEEDaSU_SV_EUlSU_E_NS1_11comp_targetILNS1_3genE5ELNS1_11target_archE942ELNS1_3gpuE9ELNS1_3repE0EEENS1_30default_config_static_selectorELNS0_4arch9wavefront6targetE0EEEvT1_.kd
    .uniform_work_group_size: 1
    .uses_dynamic_stack: false
    .vgpr_count:     0
    .vgpr_spill_count: 0
    .wavefront_size: 32
    .workgroup_processor_mode: 1
  - .args:
      - .offset:         0
        .size:           136
        .value_kind:     by_value
    .group_segment_fixed_size: 0
    .kernarg_segment_align: 8
    .kernarg_segment_size: 136
    .language:       OpenCL C
    .language_version:
      - 2
      - 0
    .max_flat_workgroup_size: 64
    .name:           _ZN7rocprim17ROCPRIM_400000_NS6detail17trampoline_kernelINS0_14default_configENS1_27scan_by_key_config_selectorIxxEEZZNS1_16scan_by_key_implILNS1_25lookback_scan_determinismE0ELb0ES3_N6thrust23THRUST_200600_302600_NS6detail15normal_iteratorINS9_10device_ptrIxEEEESE_SE_xNS9_4plusIvEENS9_8equal_toIxEExEE10hipError_tPvRmT2_T3_T4_T5_mT6_T7_P12ihipStream_tbENKUlT_T0_E_clISt17integral_constantIbLb1EESY_IbLb0EEEEDaSU_SV_EUlSU_E_NS1_11comp_targetILNS1_3genE4ELNS1_11target_archE910ELNS1_3gpuE8ELNS1_3repE0EEENS1_30default_config_static_selectorELNS0_4arch9wavefront6targetE0EEEvT1_
    .private_segment_fixed_size: 0
    .sgpr_count:     0
    .sgpr_spill_count: 0
    .symbol:         _ZN7rocprim17ROCPRIM_400000_NS6detail17trampoline_kernelINS0_14default_configENS1_27scan_by_key_config_selectorIxxEEZZNS1_16scan_by_key_implILNS1_25lookback_scan_determinismE0ELb0ES3_N6thrust23THRUST_200600_302600_NS6detail15normal_iteratorINS9_10device_ptrIxEEEESE_SE_xNS9_4plusIvEENS9_8equal_toIxEExEE10hipError_tPvRmT2_T3_T4_T5_mT6_T7_P12ihipStream_tbENKUlT_T0_E_clISt17integral_constantIbLb1EESY_IbLb0EEEEDaSU_SV_EUlSU_E_NS1_11comp_targetILNS1_3genE4ELNS1_11target_archE910ELNS1_3gpuE8ELNS1_3repE0EEENS1_30default_config_static_selectorELNS0_4arch9wavefront6targetE0EEEvT1_.kd
    .uniform_work_group_size: 1
    .uses_dynamic_stack: false
    .vgpr_count:     0
    .vgpr_spill_count: 0
    .wavefront_size: 32
    .workgroup_processor_mode: 1
  - .args:
      - .offset:         0
        .size:           136
        .value_kind:     by_value
    .group_segment_fixed_size: 0
    .kernarg_segment_align: 8
    .kernarg_segment_size: 136
    .language:       OpenCL C
    .language_version:
      - 2
      - 0
    .max_flat_workgroup_size: 256
    .name:           _ZN7rocprim17ROCPRIM_400000_NS6detail17trampoline_kernelINS0_14default_configENS1_27scan_by_key_config_selectorIxxEEZZNS1_16scan_by_key_implILNS1_25lookback_scan_determinismE0ELb0ES3_N6thrust23THRUST_200600_302600_NS6detail15normal_iteratorINS9_10device_ptrIxEEEESE_SE_xNS9_4plusIvEENS9_8equal_toIxEExEE10hipError_tPvRmT2_T3_T4_T5_mT6_T7_P12ihipStream_tbENKUlT_T0_E_clISt17integral_constantIbLb1EESY_IbLb0EEEEDaSU_SV_EUlSU_E_NS1_11comp_targetILNS1_3genE3ELNS1_11target_archE908ELNS1_3gpuE7ELNS1_3repE0EEENS1_30default_config_static_selectorELNS0_4arch9wavefront6targetE0EEEvT1_
    .private_segment_fixed_size: 0
    .sgpr_count:     0
    .sgpr_spill_count: 0
    .symbol:         _ZN7rocprim17ROCPRIM_400000_NS6detail17trampoline_kernelINS0_14default_configENS1_27scan_by_key_config_selectorIxxEEZZNS1_16scan_by_key_implILNS1_25lookback_scan_determinismE0ELb0ES3_N6thrust23THRUST_200600_302600_NS6detail15normal_iteratorINS9_10device_ptrIxEEEESE_SE_xNS9_4plusIvEENS9_8equal_toIxEExEE10hipError_tPvRmT2_T3_T4_T5_mT6_T7_P12ihipStream_tbENKUlT_T0_E_clISt17integral_constantIbLb1EESY_IbLb0EEEEDaSU_SV_EUlSU_E_NS1_11comp_targetILNS1_3genE3ELNS1_11target_archE908ELNS1_3gpuE7ELNS1_3repE0EEENS1_30default_config_static_selectorELNS0_4arch9wavefront6targetE0EEEvT1_.kd
    .uniform_work_group_size: 1
    .uses_dynamic_stack: false
    .vgpr_count:     0
    .vgpr_spill_count: 0
    .wavefront_size: 32
    .workgroup_processor_mode: 1
  - .args:
      - .offset:         0
        .size:           136
        .value_kind:     by_value
    .group_segment_fixed_size: 0
    .kernarg_segment_align: 8
    .kernarg_segment_size: 136
    .language:       OpenCL C
    .language_version:
      - 2
      - 0
    .max_flat_workgroup_size: 256
    .name:           _ZN7rocprim17ROCPRIM_400000_NS6detail17trampoline_kernelINS0_14default_configENS1_27scan_by_key_config_selectorIxxEEZZNS1_16scan_by_key_implILNS1_25lookback_scan_determinismE0ELb0ES3_N6thrust23THRUST_200600_302600_NS6detail15normal_iteratorINS9_10device_ptrIxEEEESE_SE_xNS9_4plusIvEENS9_8equal_toIxEExEE10hipError_tPvRmT2_T3_T4_T5_mT6_T7_P12ihipStream_tbENKUlT_T0_E_clISt17integral_constantIbLb1EESY_IbLb0EEEEDaSU_SV_EUlSU_E_NS1_11comp_targetILNS1_3genE2ELNS1_11target_archE906ELNS1_3gpuE6ELNS1_3repE0EEENS1_30default_config_static_selectorELNS0_4arch9wavefront6targetE0EEEvT1_
    .private_segment_fixed_size: 0
    .sgpr_count:     0
    .sgpr_spill_count: 0
    .symbol:         _ZN7rocprim17ROCPRIM_400000_NS6detail17trampoline_kernelINS0_14default_configENS1_27scan_by_key_config_selectorIxxEEZZNS1_16scan_by_key_implILNS1_25lookback_scan_determinismE0ELb0ES3_N6thrust23THRUST_200600_302600_NS6detail15normal_iteratorINS9_10device_ptrIxEEEESE_SE_xNS9_4plusIvEENS9_8equal_toIxEExEE10hipError_tPvRmT2_T3_T4_T5_mT6_T7_P12ihipStream_tbENKUlT_T0_E_clISt17integral_constantIbLb1EESY_IbLb0EEEEDaSU_SV_EUlSU_E_NS1_11comp_targetILNS1_3genE2ELNS1_11target_archE906ELNS1_3gpuE6ELNS1_3repE0EEENS1_30default_config_static_selectorELNS0_4arch9wavefront6targetE0EEEvT1_.kd
    .uniform_work_group_size: 1
    .uses_dynamic_stack: false
    .vgpr_count:     0
    .vgpr_spill_count: 0
    .wavefront_size: 32
    .workgroup_processor_mode: 1
  - .args:
      - .offset:         0
        .size:           136
        .value_kind:     by_value
    .group_segment_fixed_size: 0
    .kernarg_segment_align: 8
    .kernarg_segment_size: 136
    .language:       OpenCL C
    .language_version:
      - 2
      - 0
    .max_flat_workgroup_size: 256
    .name:           _ZN7rocprim17ROCPRIM_400000_NS6detail17trampoline_kernelINS0_14default_configENS1_27scan_by_key_config_selectorIxxEEZZNS1_16scan_by_key_implILNS1_25lookback_scan_determinismE0ELb0ES3_N6thrust23THRUST_200600_302600_NS6detail15normal_iteratorINS9_10device_ptrIxEEEESE_SE_xNS9_4plusIvEENS9_8equal_toIxEExEE10hipError_tPvRmT2_T3_T4_T5_mT6_T7_P12ihipStream_tbENKUlT_T0_E_clISt17integral_constantIbLb1EESY_IbLb0EEEEDaSU_SV_EUlSU_E_NS1_11comp_targetILNS1_3genE10ELNS1_11target_archE1200ELNS1_3gpuE4ELNS1_3repE0EEENS1_30default_config_static_selectorELNS0_4arch9wavefront6targetE0EEEvT1_
    .private_segment_fixed_size: 0
    .sgpr_count:     0
    .sgpr_spill_count: 0
    .symbol:         _ZN7rocprim17ROCPRIM_400000_NS6detail17trampoline_kernelINS0_14default_configENS1_27scan_by_key_config_selectorIxxEEZZNS1_16scan_by_key_implILNS1_25lookback_scan_determinismE0ELb0ES3_N6thrust23THRUST_200600_302600_NS6detail15normal_iteratorINS9_10device_ptrIxEEEESE_SE_xNS9_4plusIvEENS9_8equal_toIxEExEE10hipError_tPvRmT2_T3_T4_T5_mT6_T7_P12ihipStream_tbENKUlT_T0_E_clISt17integral_constantIbLb1EESY_IbLb0EEEEDaSU_SV_EUlSU_E_NS1_11comp_targetILNS1_3genE10ELNS1_11target_archE1200ELNS1_3gpuE4ELNS1_3repE0EEENS1_30default_config_static_selectorELNS0_4arch9wavefront6targetE0EEEvT1_.kd
    .uniform_work_group_size: 1
    .uses_dynamic_stack: false
    .vgpr_count:     0
    .vgpr_spill_count: 0
    .wavefront_size: 32
    .workgroup_processor_mode: 1
  - .args:
      - .offset:         0
        .size:           136
        .value_kind:     by_value
    .group_segment_fixed_size: 0
    .kernarg_segment_align: 8
    .kernarg_segment_size: 136
    .language:       OpenCL C
    .language_version:
      - 2
      - 0
    .max_flat_workgroup_size: 256
    .name:           _ZN7rocprim17ROCPRIM_400000_NS6detail17trampoline_kernelINS0_14default_configENS1_27scan_by_key_config_selectorIxxEEZZNS1_16scan_by_key_implILNS1_25lookback_scan_determinismE0ELb0ES3_N6thrust23THRUST_200600_302600_NS6detail15normal_iteratorINS9_10device_ptrIxEEEESE_SE_xNS9_4plusIvEENS9_8equal_toIxEExEE10hipError_tPvRmT2_T3_T4_T5_mT6_T7_P12ihipStream_tbENKUlT_T0_E_clISt17integral_constantIbLb1EESY_IbLb0EEEEDaSU_SV_EUlSU_E_NS1_11comp_targetILNS1_3genE9ELNS1_11target_archE1100ELNS1_3gpuE3ELNS1_3repE0EEENS1_30default_config_static_selectorELNS0_4arch9wavefront6targetE0EEEvT1_
    .private_segment_fixed_size: 0
    .sgpr_count:     0
    .sgpr_spill_count: 0
    .symbol:         _ZN7rocprim17ROCPRIM_400000_NS6detail17trampoline_kernelINS0_14default_configENS1_27scan_by_key_config_selectorIxxEEZZNS1_16scan_by_key_implILNS1_25lookback_scan_determinismE0ELb0ES3_N6thrust23THRUST_200600_302600_NS6detail15normal_iteratorINS9_10device_ptrIxEEEESE_SE_xNS9_4plusIvEENS9_8equal_toIxEExEE10hipError_tPvRmT2_T3_T4_T5_mT6_T7_P12ihipStream_tbENKUlT_T0_E_clISt17integral_constantIbLb1EESY_IbLb0EEEEDaSU_SV_EUlSU_E_NS1_11comp_targetILNS1_3genE9ELNS1_11target_archE1100ELNS1_3gpuE3ELNS1_3repE0EEENS1_30default_config_static_selectorELNS0_4arch9wavefront6targetE0EEEvT1_.kd
    .uniform_work_group_size: 1
    .uses_dynamic_stack: false
    .vgpr_count:     0
    .vgpr_spill_count: 0
    .wavefront_size: 32
    .workgroup_processor_mode: 1
  - .args:
      - .offset:         0
        .size:           136
        .value_kind:     by_value
    .group_segment_fixed_size: 0
    .kernarg_segment_align: 8
    .kernarg_segment_size: 136
    .language:       OpenCL C
    .language_version:
      - 2
      - 0
    .max_flat_workgroup_size: 256
    .name:           _ZN7rocprim17ROCPRIM_400000_NS6detail17trampoline_kernelINS0_14default_configENS1_27scan_by_key_config_selectorIxxEEZZNS1_16scan_by_key_implILNS1_25lookback_scan_determinismE0ELb0ES3_N6thrust23THRUST_200600_302600_NS6detail15normal_iteratorINS9_10device_ptrIxEEEESE_SE_xNS9_4plusIvEENS9_8equal_toIxEExEE10hipError_tPvRmT2_T3_T4_T5_mT6_T7_P12ihipStream_tbENKUlT_T0_E_clISt17integral_constantIbLb1EESY_IbLb0EEEEDaSU_SV_EUlSU_E_NS1_11comp_targetILNS1_3genE8ELNS1_11target_archE1030ELNS1_3gpuE2ELNS1_3repE0EEENS1_30default_config_static_selectorELNS0_4arch9wavefront6targetE0EEEvT1_
    .private_segment_fixed_size: 0
    .sgpr_count:     0
    .sgpr_spill_count: 0
    .symbol:         _ZN7rocprim17ROCPRIM_400000_NS6detail17trampoline_kernelINS0_14default_configENS1_27scan_by_key_config_selectorIxxEEZZNS1_16scan_by_key_implILNS1_25lookback_scan_determinismE0ELb0ES3_N6thrust23THRUST_200600_302600_NS6detail15normal_iteratorINS9_10device_ptrIxEEEESE_SE_xNS9_4plusIvEENS9_8equal_toIxEExEE10hipError_tPvRmT2_T3_T4_T5_mT6_T7_P12ihipStream_tbENKUlT_T0_E_clISt17integral_constantIbLb1EESY_IbLb0EEEEDaSU_SV_EUlSU_E_NS1_11comp_targetILNS1_3genE8ELNS1_11target_archE1030ELNS1_3gpuE2ELNS1_3repE0EEENS1_30default_config_static_selectorELNS0_4arch9wavefront6targetE0EEEvT1_.kd
    .uniform_work_group_size: 1
    .uses_dynamic_stack: false
    .vgpr_count:     0
    .vgpr_spill_count: 0
    .wavefront_size: 32
    .workgroup_processor_mode: 1
  - .args:
      - .offset:         0
        .size:           136
        .value_kind:     by_value
    .group_segment_fixed_size: 0
    .kernarg_segment_align: 8
    .kernarg_segment_size: 136
    .language:       OpenCL C
    .language_version:
      - 2
      - 0
    .max_flat_workgroup_size: 256
    .name:           _ZN7rocprim17ROCPRIM_400000_NS6detail17trampoline_kernelINS0_14default_configENS1_27scan_by_key_config_selectorIxxEEZZNS1_16scan_by_key_implILNS1_25lookback_scan_determinismE0ELb0ES3_N6thrust23THRUST_200600_302600_NS6detail15normal_iteratorINS9_10device_ptrIxEEEESE_SE_xNS9_4plusIvEENS9_8equal_toIxEExEE10hipError_tPvRmT2_T3_T4_T5_mT6_T7_P12ihipStream_tbENKUlT_T0_E_clISt17integral_constantIbLb0EESY_IbLb1EEEEDaSU_SV_EUlSU_E_NS1_11comp_targetILNS1_3genE0ELNS1_11target_archE4294967295ELNS1_3gpuE0ELNS1_3repE0EEENS1_30default_config_static_selectorELNS0_4arch9wavefront6targetE0EEEvT1_
    .private_segment_fixed_size: 0
    .sgpr_count:     0
    .sgpr_spill_count: 0
    .symbol:         _ZN7rocprim17ROCPRIM_400000_NS6detail17trampoline_kernelINS0_14default_configENS1_27scan_by_key_config_selectorIxxEEZZNS1_16scan_by_key_implILNS1_25lookback_scan_determinismE0ELb0ES3_N6thrust23THRUST_200600_302600_NS6detail15normal_iteratorINS9_10device_ptrIxEEEESE_SE_xNS9_4plusIvEENS9_8equal_toIxEExEE10hipError_tPvRmT2_T3_T4_T5_mT6_T7_P12ihipStream_tbENKUlT_T0_E_clISt17integral_constantIbLb0EESY_IbLb1EEEEDaSU_SV_EUlSU_E_NS1_11comp_targetILNS1_3genE0ELNS1_11target_archE4294967295ELNS1_3gpuE0ELNS1_3repE0EEENS1_30default_config_static_selectorELNS0_4arch9wavefront6targetE0EEEvT1_.kd
    .uniform_work_group_size: 1
    .uses_dynamic_stack: false
    .vgpr_count:     0
    .vgpr_spill_count: 0
    .wavefront_size: 32
    .workgroup_processor_mode: 1
  - .args:
      - .offset:         0
        .size:           136
        .value_kind:     by_value
    .group_segment_fixed_size: 0
    .kernarg_segment_align: 8
    .kernarg_segment_size: 136
    .language:       OpenCL C
    .language_version:
      - 2
      - 0
    .max_flat_workgroup_size: 256
    .name:           _ZN7rocprim17ROCPRIM_400000_NS6detail17trampoline_kernelINS0_14default_configENS1_27scan_by_key_config_selectorIxxEEZZNS1_16scan_by_key_implILNS1_25lookback_scan_determinismE0ELb0ES3_N6thrust23THRUST_200600_302600_NS6detail15normal_iteratorINS9_10device_ptrIxEEEESE_SE_xNS9_4plusIvEENS9_8equal_toIxEExEE10hipError_tPvRmT2_T3_T4_T5_mT6_T7_P12ihipStream_tbENKUlT_T0_E_clISt17integral_constantIbLb0EESY_IbLb1EEEEDaSU_SV_EUlSU_E_NS1_11comp_targetILNS1_3genE10ELNS1_11target_archE1201ELNS1_3gpuE5ELNS1_3repE0EEENS1_30default_config_static_selectorELNS0_4arch9wavefront6targetE0EEEvT1_
    .private_segment_fixed_size: 0
    .sgpr_count:     0
    .sgpr_spill_count: 0
    .symbol:         _ZN7rocprim17ROCPRIM_400000_NS6detail17trampoline_kernelINS0_14default_configENS1_27scan_by_key_config_selectorIxxEEZZNS1_16scan_by_key_implILNS1_25lookback_scan_determinismE0ELb0ES3_N6thrust23THRUST_200600_302600_NS6detail15normal_iteratorINS9_10device_ptrIxEEEESE_SE_xNS9_4plusIvEENS9_8equal_toIxEExEE10hipError_tPvRmT2_T3_T4_T5_mT6_T7_P12ihipStream_tbENKUlT_T0_E_clISt17integral_constantIbLb0EESY_IbLb1EEEEDaSU_SV_EUlSU_E_NS1_11comp_targetILNS1_3genE10ELNS1_11target_archE1201ELNS1_3gpuE5ELNS1_3repE0EEENS1_30default_config_static_selectorELNS0_4arch9wavefront6targetE0EEEvT1_.kd
    .uniform_work_group_size: 1
    .uses_dynamic_stack: false
    .vgpr_count:     0
    .vgpr_spill_count: 0
    .wavefront_size: 32
    .workgroup_processor_mode: 1
  - .args:
      - .offset:         0
        .size:           136
        .value_kind:     by_value
    .group_segment_fixed_size: 0
    .kernarg_segment_align: 8
    .kernarg_segment_size: 136
    .language:       OpenCL C
    .language_version:
      - 2
      - 0
    .max_flat_workgroup_size: 256
    .name:           _ZN7rocprim17ROCPRIM_400000_NS6detail17trampoline_kernelINS0_14default_configENS1_27scan_by_key_config_selectorIxxEEZZNS1_16scan_by_key_implILNS1_25lookback_scan_determinismE0ELb0ES3_N6thrust23THRUST_200600_302600_NS6detail15normal_iteratorINS9_10device_ptrIxEEEESE_SE_xNS9_4plusIvEENS9_8equal_toIxEExEE10hipError_tPvRmT2_T3_T4_T5_mT6_T7_P12ihipStream_tbENKUlT_T0_E_clISt17integral_constantIbLb0EESY_IbLb1EEEEDaSU_SV_EUlSU_E_NS1_11comp_targetILNS1_3genE5ELNS1_11target_archE942ELNS1_3gpuE9ELNS1_3repE0EEENS1_30default_config_static_selectorELNS0_4arch9wavefront6targetE0EEEvT1_
    .private_segment_fixed_size: 0
    .sgpr_count:     0
    .sgpr_spill_count: 0
    .symbol:         _ZN7rocprim17ROCPRIM_400000_NS6detail17trampoline_kernelINS0_14default_configENS1_27scan_by_key_config_selectorIxxEEZZNS1_16scan_by_key_implILNS1_25lookback_scan_determinismE0ELb0ES3_N6thrust23THRUST_200600_302600_NS6detail15normal_iteratorINS9_10device_ptrIxEEEESE_SE_xNS9_4plusIvEENS9_8equal_toIxEExEE10hipError_tPvRmT2_T3_T4_T5_mT6_T7_P12ihipStream_tbENKUlT_T0_E_clISt17integral_constantIbLb0EESY_IbLb1EEEEDaSU_SV_EUlSU_E_NS1_11comp_targetILNS1_3genE5ELNS1_11target_archE942ELNS1_3gpuE9ELNS1_3repE0EEENS1_30default_config_static_selectorELNS0_4arch9wavefront6targetE0EEEvT1_.kd
    .uniform_work_group_size: 1
    .uses_dynamic_stack: false
    .vgpr_count:     0
    .vgpr_spill_count: 0
    .wavefront_size: 32
    .workgroup_processor_mode: 1
  - .args:
      - .offset:         0
        .size:           136
        .value_kind:     by_value
    .group_segment_fixed_size: 0
    .kernarg_segment_align: 8
    .kernarg_segment_size: 136
    .language:       OpenCL C
    .language_version:
      - 2
      - 0
    .max_flat_workgroup_size: 64
    .name:           _ZN7rocprim17ROCPRIM_400000_NS6detail17trampoline_kernelINS0_14default_configENS1_27scan_by_key_config_selectorIxxEEZZNS1_16scan_by_key_implILNS1_25lookback_scan_determinismE0ELb0ES3_N6thrust23THRUST_200600_302600_NS6detail15normal_iteratorINS9_10device_ptrIxEEEESE_SE_xNS9_4plusIvEENS9_8equal_toIxEExEE10hipError_tPvRmT2_T3_T4_T5_mT6_T7_P12ihipStream_tbENKUlT_T0_E_clISt17integral_constantIbLb0EESY_IbLb1EEEEDaSU_SV_EUlSU_E_NS1_11comp_targetILNS1_3genE4ELNS1_11target_archE910ELNS1_3gpuE8ELNS1_3repE0EEENS1_30default_config_static_selectorELNS0_4arch9wavefront6targetE0EEEvT1_
    .private_segment_fixed_size: 0
    .sgpr_count:     0
    .sgpr_spill_count: 0
    .symbol:         _ZN7rocprim17ROCPRIM_400000_NS6detail17trampoline_kernelINS0_14default_configENS1_27scan_by_key_config_selectorIxxEEZZNS1_16scan_by_key_implILNS1_25lookback_scan_determinismE0ELb0ES3_N6thrust23THRUST_200600_302600_NS6detail15normal_iteratorINS9_10device_ptrIxEEEESE_SE_xNS9_4plusIvEENS9_8equal_toIxEExEE10hipError_tPvRmT2_T3_T4_T5_mT6_T7_P12ihipStream_tbENKUlT_T0_E_clISt17integral_constantIbLb0EESY_IbLb1EEEEDaSU_SV_EUlSU_E_NS1_11comp_targetILNS1_3genE4ELNS1_11target_archE910ELNS1_3gpuE8ELNS1_3repE0EEENS1_30default_config_static_selectorELNS0_4arch9wavefront6targetE0EEEvT1_.kd
    .uniform_work_group_size: 1
    .uses_dynamic_stack: false
    .vgpr_count:     0
    .vgpr_spill_count: 0
    .wavefront_size: 32
    .workgroup_processor_mode: 1
  - .args:
      - .offset:         0
        .size:           136
        .value_kind:     by_value
    .group_segment_fixed_size: 0
    .kernarg_segment_align: 8
    .kernarg_segment_size: 136
    .language:       OpenCL C
    .language_version:
      - 2
      - 0
    .max_flat_workgroup_size: 256
    .name:           _ZN7rocprim17ROCPRIM_400000_NS6detail17trampoline_kernelINS0_14default_configENS1_27scan_by_key_config_selectorIxxEEZZNS1_16scan_by_key_implILNS1_25lookback_scan_determinismE0ELb0ES3_N6thrust23THRUST_200600_302600_NS6detail15normal_iteratorINS9_10device_ptrIxEEEESE_SE_xNS9_4plusIvEENS9_8equal_toIxEExEE10hipError_tPvRmT2_T3_T4_T5_mT6_T7_P12ihipStream_tbENKUlT_T0_E_clISt17integral_constantIbLb0EESY_IbLb1EEEEDaSU_SV_EUlSU_E_NS1_11comp_targetILNS1_3genE3ELNS1_11target_archE908ELNS1_3gpuE7ELNS1_3repE0EEENS1_30default_config_static_selectorELNS0_4arch9wavefront6targetE0EEEvT1_
    .private_segment_fixed_size: 0
    .sgpr_count:     0
    .sgpr_spill_count: 0
    .symbol:         _ZN7rocprim17ROCPRIM_400000_NS6detail17trampoline_kernelINS0_14default_configENS1_27scan_by_key_config_selectorIxxEEZZNS1_16scan_by_key_implILNS1_25lookback_scan_determinismE0ELb0ES3_N6thrust23THRUST_200600_302600_NS6detail15normal_iteratorINS9_10device_ptrIxEEEESE_SE_xNS9_4plusIvEENS9_8equal_toIxEExEE10hipError_tPvRmT2_T3_T4_T5_mT6_T7_P12ihipStream_tbENKUlT_T0_E_clISt17integral_constantIbLb0EESY_IbLb1EEEEDaSU_SV_EUlSU_E_NS1_11comp_targetILNS1_3genE3ELNS1_11target_archE908ELNS1_3gpuE7ELNS1_3repE0EEENS1_30default_config_static_selectorELNS0_4arch9wavefront6targetE0EEEvT1_.kd
    .uniform_work_group_size: 1
    .uses_dynamic_stack: false
    .vgpr_count:     0
    .vgpr_spill_count: 0
    .wavefront_size: 32
    .workgroup_processor_mode: 1
  - .args:
      - .offset:         0
        .size:           136
        .value_kind:     by_value
    .group_segment_fixed_size: 0
    .kernarg_segment_align: 8
    .kernarg_segment_size: 136
    .language:       OpenCL C
    .language_version:
      - 2
      - 0
    .max_flat_workgroup_size: 256
    .name:           _ZN7rocprim17ROCPRIM_400000_NS6detail17trampoline_kernelINS0_14default_configENS1_27scan_by_key_config_selectorIxxEEZZNS1_16scan_by_key_implILNS1_25lookback_scan_determinismE0ELb0ES3_N6thrust23THRUST_200600_302600_NS6detail15normal_iteratorINS9_10device_ptrIxEEEESE_SE_xNS9_4plusIvEENS9_8equal_toIxEExEE10hipError_tPvRmT2_T3_T4_T5_mT6_T7_P12ihipStream_tbENKUlT_T0_E_clISt17integral_constantIbLb0EESY_IbLb1EEEEDaSU_SV_EUlSU_E_NS1_11comp_targetILNS1_3genE2ELNS1_11target_archE906ELNS1_3gpuE6ELNS1_3repE0EEENS1_30default_config_static_selectorELNS0_4arch9wavefront6targetE0EEEvT1_
    .private_segment_fixed_size: 0
    .sgpr_count:     0
    .sgpr_spill_count: 0
    .symbol:         _ZN7rocprim17ROCPRIM_400000_NS6detail17trampoline_kernelINS0_14default_configENS1_27scan_by_key_config_selectorIxxEEZZNS1_16scan_by_key_implILNS1_25lookback_scan_determinismE0ELb0ES3_N6thrust23THRUST_200600_302600_NS6detail15normal_iteratorINS9_10device_ptrIxEEEESE_SE_xNS9_4plusIvEENS9_8equal_toIxEExEE10hipError_tPvRmT2_T3_T4_T5_mT6_T7_P12ihipStream_tbENKUlT_T0_E_clISt17integral_constantIbLb0EESY_IbLb1EEEEDaSU_SV_EUlSU_E_NS1_11comp_targetILNS1_3genE2ELNS1_11target_archE906ELNS1_3gpuE6ELNS1_3repE0EEENS1_30default_config_static_selectorELNS0_4arch9wavefront6targetE0EEEvT1_.kd
    .uniform_work_group_size: 1
    .uses_dynamic_stack: false
    .vgpr_count:     0
    .vgpr_spill_count: 0
    .wavefront_size: 32
    .workgroup_processor_mode: 1
  - .args:
      - .offset:         0
        .size:           136
        .value_kind:     by_value
    .group_segment_fixed_size: 0
    .kernarg_segment_align: 8
    .kernarg_segment_size: 136
    .language:       OpenCL C
    .language_version:
      - 2
      - 0
    .max_flat_workgroup_size: 256
    .name:           _ZN7rocprim17ROCPRIM_400000_NS6detail17trampoline_kernelINS0_14default_configENS1_27scan_by_key_config_selectorIxxEEZZNS1_16scan_by_key_implILNS1_25lookback_scan_determinismE0ELb0ES3_N6thrust23THRUST_200600_302600_NS6detail15normal_iteratorINS9_10device_ptrIxEEEESE_SE_xNS9_4plusIvEENS9_8equal_toIxEExEE10hipError_tPvRmT2_T3_T4_T5_mT6_T7_P12ihipStream_tbENKUlT_T0_E_clISt17integral_constantIbLb0EESY_IbLb1EEEEDaSU_SV_EUlSU_E_NS1_11comp_targetILNS1_3genE10ELNS1_11target_archE1200ELNS1_3gpuE4ELNS1_3repE0EEENS1_30default_config_static_selectorELNS0_4arch9wavefront6targetE0EEEvT1_
    .private_segment_fixed_size: 0
    .sgpr_count:     0
    .sgpr_spill_count: 0
    .symbol:         _ZN7rocprim17ROCPRIM_400000_NS6detail17trampoline_kernelINS0_14default_configENS1_27scan_by_key_config_selectorIxxEEZZNS1_16scan_by_key_implILNS1_25lookback_scan_determinismE0ELb0ES3_N6thrust23THRUST_200600_302600_NS6detail15normal_iteratorINS9_10device_ptrIxEEEESE_SE_xNS9_4plusIvEENS9_8equal_toIxEExEE10hipError_tPvRmT2_T3_T4_T5_mT6_T7_P12ihipStream_tbENKUlT_T0_E_clISt17integral_constantIbLb0EESY_IbLb1EEEEDaSU_SV_EUlSU_E_NS1_11comp_targetILNS1_3genE10ELNS1_11target_archE1200ELNS1_3gpuE4ELNS1_3repE0EEENS1_30default_config_static_selectorELNS0_4arch9wavefront6targetE0EEEvT1_.kd
    .uniform_work_group_size: 1
    .uses_dynamic_stack: false
    .vgpr_count:     0
    .vgpr_spill_count: 0
    .wavefront_size: 32
    .workgroup_processor_mode: 1
  - .args:
      - .offset:         0
        .size:           136
        .value_kind:     by_value
    .group_segment_fixed_size: 0
    .kernarg_segment_align: 8
    .kernarg_segment_size: 136
    .language:       OpenCL C
    .language_version:
      - 2
      - 0
    .max_flat_workgroup_size: 256
    .name:           _ZN7rocprim17ROCPRIM_400000_NS6detail17trampoline_kernelINS0_14default_configENS1_27scan_by_key_config_selectorIxxEEZZNS1_16scan_by_key_implILNS1_25lookback_scan_determinismE0ELb0ES3_N6thrust23THRUST_200600_302600_NS6detail15normal_iteratorINS9_10device_ptrIxEEEESE_SE_xNS9_4plusIvEENS9_8equal_toIxEExEE10hipError_tPvRmT2_T3_T4_T5_mT6_T7_P12ihipStream_tbENKUlT_T0_E_clISt17integral_constantIbLb0EESY_IbLb1EEEEDaSU_SV_EUlSU_E_NS1_11comp_targetILNS1_3genE9ELNS1_11target_archE1100ELNS1_3gpuE3ELNS1_3repE0EEENS1_30default_config_static_selectorELNS0_4arch9wavefront6targetE0EEEvT1_
    .private_segment_fixed_size: 0
    .sgpr_count:     0
    .sgpr_spill_count: 0
    .symbol:         _ZN7rocprim17ROCPRIM_400000_NS6detail17trampoline_kernelINS0_14default_configENS1_27scan_by_key_config_selectorIxxEEZZNS1_16scan_by_key_implILNS1_25lookback_scan_determinismE0ELb0ES3_N6thrust23THRUST_200600_302600_NS6detail15normal_iteratorINS9_10device_ptrIxEEEESE_SE_xNS9_4plusIvEENS9_8equal_toIxEExEE10hipError_tPvRmT2_T3_T4_T5_mT6_T7_P12ihipStream_tbENKUlT_T0_E_clISt17integral_constantIbLb0EESY_IbLb1EEEEDaSU_SV_EUlSU_E_NS1_11comp_targetILNS1_3genE9ELNS1_11target_archE1100ELNS1_3gpuE3ELNS1_3repE0EEENS1_30default_config_static_selectorELNS0_4arch9wavefront6targetE0EEEvT1_.kd
    .uniform_work_group_size: 1
    .uses_dynamic_stack: false
    .vgpr_count:     0
    .vgpr_spill_count: 0
    .wavefront_size: 32
    .workgroup_processor_mode: 1
  - .args:
      - .offset:         0
        .size:           136
        .value_kind:     by_value
    .group_segment_fixed_size: 30720
    .kernarg_segment_align: 8
    .kernarg_segment_size: 136
    .language:       OpenCL C
    .language_version:
      - 2
      - 0
    .max_flat_workgroup_size: 256
    .name:           _ZN7rocprim17ROCPRIM_400000_NS6detail17trampoline_kernelINS0_14default_configENS1_27scan_by_key_config_selectorIxxEEZZNS1_16scan_by_key_implILNS1_25lookback_scan_determinismE0ELb0ES3_N6thrust23THRUST_200600_302600_NS6detail15normal_iteratorINS9_10device_ptrIxEEEESE_SE_xNS9_4plusIvEENS9_8equal_toIxEExEE10hipError_tPvRmT2_T3_T4_T5_mT6_T7_P12ihipStream_tbENKUlT_T0_E_clISt17integral_constantIbLb0EESY_IbLb1EEEEDaSU_SV_EUlSU_E_NS1_11comp_targetILNS1_3genE8ELNS1_11target_archE1030ELNS1_3gpuE2ELNS1_3repE0EEENS1_30default_config_static_selectorELNS0_4arch9wavefront6targetE0EEEvT1_
    .private_segment_fixed_size: 0
    .sgpr_count:     53
    .sgpr_spill_count: 0
    .symbol:         _ZN7rocprim17ROCPRIM_400000_NS6detail17trampoline_kernelINS0_14default_configENS1_27scan_by_key_config_selectorIxxEEZZNS1_16scan_by_key_implILNS1_25lookback_scan_determinismE0ELb0ES3_N6thrust23THRUST_200600_302600_NS6detail15normal_iteratorINS9_10device_ptrIxEEEESE_SE_xNS9_4plusIvEENS9_8equal_toIxEExEE10hipError_tPvRmT2_T3_T4_T5_mT6_T7_P12ihipStream_tbENKUlT_T0_E_clISt17integral_constantIbLb0EESY_IbLb1EEEEDaSU_SV_EUlSU_E_NS1_11comp_targetILNS1_3genE8ELNS1_11target_archE1030ELNS1_3gpuE2ELNS1_3repE0EEENS1_30default_config_static_selectorELNS0_4arch9wavefront6targetE0EEEvT1_.kd
    .uniform_work_group_size: 1
    .uses_dynamic_stack: false
    .vgpr_count:     106
    .vgpr_spill_count: 0
    .wavefront_size: 32
    .workgroup_processor_mode: 1
  - .args:
      - .offset:         0
        .size:           16
        .value_kind:     by_value
      - .offset:         16
        .size:           8
        .value_kind:     by_value
      - .offset:         24
        .size:           8
        .value_kind:     by_value
    .group_segment_fixed_size: 0
    .kernarg_segment_align: 8
    .kernarg_segment_size: 32
    .language:       OpenCL C
    .language_version:
      - 2
      - 0
    .max_flat_workgroup_size: 256
    .name:           _ZN6thrust23THRUST_200600_302600_NS11hip_rocprim14__parallel_for6kernelILj256ENS1_20__uninitialized_fill7functorINS0_10device_ptrIiEEiEEmLj1EEEvT0_T1_SA_
    .private_segment_fixed_size: 0
    .sgpr_count:     14
    .sgpr_spill_count: 0
    .symbol:         _ZN6thrust23THRUST_200600_302600_NS11hip_rocprim14__parallel_for6kernelILj256ENS1_20__uninitialized_fill7functorINS0_10device_ptrIiEEiEEmLj1EEEvT0_T1_SA_.kd
    .uniform_work_group_size: 1
    .uses_dynamic_stack: false
    .vgpr_count:     4
    .vgpr_spill_count: 0
    .wavefront_size: 32
    .workgroup_processor_mode: 1
  - .args:
      - .address_space:  global
        .offset:         0
        .size:           8
        .value_kind:     global_buffer
      - .offset:         8
        .size:           4
        .value_kind:     by_value
      - .offset:         12
        .size:           4
        .value_kind:     by_value
      - .address_space:  global
        .offset:         16
        .size:           8
        .value_kind:     global_buffer
      - .address_space:  global
        .offset:         24
        .size:           8
        .value_kind:     global_buffer
      - .actual_access:  write_only
        .address_space:  global
        .offset:         32
        .size:           8
        .value_kind:     global_buffer
      - .offset:         40
        .size:           8
        .value_kind:     by_value
      - .offset:         48
        .size:           4
        .value_kind:     by_value
      - .offset:         52
        .size:           1
        .value_kind:     by_value
      - .offset:         56
        .size:           4
        .value_kind:     hidden_block_count_x
      - .offset:         60
        .size:           4
        .value_kind:     hidden_block_count_y
      - .offset:         64
        .size:           4
        .value_kind:     hidden_block_count_z
      - .offset:         68
        .size:           2
        .value_kind:     hidden_group_size_x
      - .offset:         70
        .size:           2
        .value_kind:     hidden_group_size_y
      - .offset:         72
        .size:           2
        .value_kind:     hidden_group_size_z
      - .offset:         74
        .size:           2
        .value_kind:     hidden_remainder_x
      - .offset:         76
        .size:           2
        .value_kind:     hidden_remainder_y
      - .offset:         78
        .size:           2
        .value_kind:     hidden_remainder_z
      - .offset:         96
        .size:           8
        .value_kind:     hidden_global_offset_x
      - .offset:         104
        .size:           8
        .value_kind:     hidden_global_offset_y
      - .offset:         112
        .size:           8
        .value_kind:     hidden_global_offset_z
      - .offset:         120
        .size:           2
        .value_kind:     hidden_grid_dims
    .group_segment_fixed_size: 0
    .kernarg_segment_align: 8
    .kernarg_segment_size: 312
    .language:       OpenCL C
    .language_version:
      - 2
      - 0
    .max_flat_workgroup_size: 256
    .name:           _ZN7rocprim17ROCPRIM_400000_NS6detail30init_device_scan_by_key_kernelINS1_19lookback_scan_stateINS0_5tupleIJibEEELb0ELb1EEEN6thrust23THRUST_200600_302600_NS6detail15normal_iteratorINS8_10device_ptrIiEEEEjNS1_16block_id_wrapperIjLb0EEEEEvT_jjPNSG_10value_typeET0_PNSt15iterator_traitsISJ_E10value_typeEmT1_T2_
    .private_segment_fixed_size: 0
    .sgpr_count:     19
    .sgpr_spill_count: 0
    .symbol:         _ZN7rocprim17ROCPRIM_400000_NS6detail30init_device_scan_by_key_kernelINS1_19lookback_scan_stateINS0_5tupleIJibEEELb0ELb1EEEN6thrust23THRUST_200600_302600_NS6detail15normal_iteratorINS8_10device_ptrIiEEEEjNS1_16block_id_wrapperIjLb0EEEEEvT_jjPNSG_10value_typeET0_PNSt15iterator_traitsISJ_E10value_typeEmT1_T2_.kd
    .uniform_work_group_size: 1
    .uses_dynamic_stack: false
    .vgpr_count:     9
    .vgpr_spill_count: 0
    .wavefront_size: 32
    .workgroup_processor_mode: 1
  - .args:
      - .address_space:  global
        .offset:         0
        .size:           8
        .value_kind:     global_buffer
      - .offset:         8
        .size:           4
        .value_kind:     by_value
      - .offset:         12
        .size:           4
        .value_kind:     by_value
      - .address_space:  global
        .offset:         16
        .size:           8
        .value_kind:     global_buffer
      - .offset:         24
        .size:           1
        .value_kind:     by_value
      - .offset:         32
        .size:           4
        .value_kind:     hidden_block_count_x
      - .offset:         36
        .size:           4
        .value_kind:     hidden_block_count_y
      - .offset:         40
        .size:           4
        .value_kind:     hidden_block_count_z
      - .offset:         44
        .size:           2
        .value_kind:     hidden_group_size_x
      - .offset:         46
        .size:           2
        .value_kind:     hidden_group_size_y
      - .offset:         48
        .size:           2
        .value_kind:     hidden_group_size_z
      - .offset:         50
        .size:           2
        .value_kind:     hidden_remainder_x
      - .offset:         52
        .size:           2
        .value_kind:     hidden_remainder_y
      - .offset:         54
        .size:           2
        .value_kind:     hidden_remainder_z
      - .offset:         72
        .size:           8
        .value_kind:     hidden_global_offset_x
      - .offset:         80
        .size:           8
        .value_kind:     hidden_global_offset_y
      - .offset:         88
        .size:           8
        .value_kind:     hidden_global_offset_z
      - .offset:         96
        .size:           2
        .value_kind:     hidden_grid_dims
    .group_segment_fixed_size: 0
    .kernarg_segment_align: 8
    .kernarg_segment_size: 288
    .language:       OpenCL C
    .language_version:
      - 2
      - 0
    .max_flat_workgroup_size: 256
    .name:           _ZN7rocprim17ROCPRIM_400000_NS6detail30init_device_scan_by_key_kernelINS1_19lookback_scan_stateINS0_5tupleIJibEEELb0ELb1EEENS1_16block_id_wrapperIjLb0EEEEEvT_jjPNS9_10value_typeET0_
    .private_segment_fixed_size: 0
    .sgpr_count:     12
    .sgpr_spill_count: 0
    .symbol:         _ZN7rocprim17ROCPRIM_400000_NS6detail30init_device_scan_by_key_kernelINS1_19lookback_scan_stateINS0_5tupleIJibEEELb0ELb1EEENS1_16block_id_wrapperIjLb0EEEEEvT_jjPNS9_10value_typeET0_.kd
    .uniform_work_group_size: 1
    .uses_dynamic_stack: false
    .vgpr_count:     8
    .vgpr_spill_count: 0
    .wavefront_size: 32
    .workgroup_processor_mode: 1
  - .args:
      - .offset:         0
        .size:           112
        .value_kind:     by_value
    .group_segment_fixed_size: 0
    .kernarg_segment_align: 8
    .kernarg_segment_size: 112
    .language:       OpenCL C
    .language_version:
      - 2
      - 0
    .max_flat_workgroup_size: 256
    .name:           _ZN7rocprim17ROCPRIM_400000_NS6detail17trampoline_kernelINS0_14default_configENS1_27scan_by_key_config_selectorIiiEEZZNS1_16scan_by_key_implILNS1_25lookback_scan_determinismE0ELb0ES3_N6thrust23THRUST_200600_302600_NS6detail15normal_iteratorINS9_10device_ptrIiEEEESE_SE_iNS9_4plusIvEENS9_8equal_toIvEEiEE10hipError_tPvRmT2_T3_T4_T5_mT6_T7_P12ihipStream_tbENKUlT_T0_E_clISt17integral_constantIbLb0EESZ_EEDaSU_SV_EUlSU_E_NS1_11comp_targetILNS1_3genE0ELNS1_11target_archE4294967295ELNS1_3gpuE0ELNS1_3repE0EEENS1_30default_config_static_selectorELNS0_4arch9wavefront6targetE0EEEvT1_
    .private_segment_fixed_size: 0
    .sgpr_count:     0
    .sgpr_spill_count: 0
    .symbol:         _ZN7rocprim17ROCPRIM_400000_NS6detail17trampoline_kernelINS0_14default_configENS1_27scan_by_key_config_selectorIiiEEZZNS1_16scan_by_key_implILNS1_25lookback_scan_determinismE0ELb0ES3_N6thrust23THRUST_200600_302600_NS6detail15normal_iteratorINS9_10device_ptrIiEEEESE_SE_iNS9_4plusIvEENS9_8equal_toIvEEiEE10hipError_tPvRmT2_T3_T4_T5_mT6_T7_P12ihipStream_tbENKUlT_T0_E_clISt17integral_constantIbLb0EESZ_EEDaSU_SV_EUlSU_E_NS1_11comp_targetILNS1_3genE0ELNS1_11target_archE4294967295ELNS1_3gpuE0ELNS1_3repE0EEENS1_30default_config_static_selectorELNS0_4arch9wavefront6targetE0EEEvT1_.kd
    .uniform_work_group_size: 1
    .uses_dynamic_stack: false
    .vgpr_count:     0
    .vgpr_spill_count: 0
    .wavefront_size: 32
    .workgroup_processor_mode: 1
  - .args:
      - .offset:         0
        .size:           112
        .value_kind:     by_value
    .group_segment_fixed_size: 0
    .kernarg_segment_align: 8
    .kernarg_segment_size: 112
    .language:       OpenCL C
    .language_version:
      - 2
      - 0
    .max_flat_workgroup_size: 256
    .name:           _ZN7rocprim17ROCPRIM_400000_NS6detail17trampoline_kernelINS0_14default_configENS1_27scan_by_key_config_selectorIiiEEZZNS1_16scan_by_key_implILNS1_25lookback_scan_determinismE0ELb0ES3_N6thrust23THRUST_200600_302600_NS6detail15normal_iteratorINS9_10device_ptrIiEEEESE_SE_iNS9_4plusIvEENS9_8equal_toIvEEiEE10hipError_tPvRmT2_T3_T4_T5_mT6_T7_P12ihipStream_tbENKUlT_T0_E_clISt17integral_constantIbLb0EESZ_EEDaSU_SV_EUlSU_E_NS1_11comp_targetILNS1_3genE10ELNS1_11target_archE1201ELNS1_3gpuE5ELNS1_3repE0EEENS1_30default_config_static_selectorELNS0_4arch9wavefront6targetE0EEEvT1_
    .private_segment_fixed_size: 0
    .sgpr_count:     0
    .sgpr_spill_count: 0
    .symbol:         _ZN7rocprim17ROCPRIM_400000_NS6detail17trampoline_kernelINS0_14default_configENS1_27scan_by_key_config_selectorIiiEEZZNS1_16scan_by_key_implILNS1_25lookback_scan_determinismE0ELb0ES3_N6thrust23THRUST_200600_302600_NS6detail15normal_iteratorINS9_10device_ptrIiEEEESE_SE_iNS9_4plusIvEENS9_8equal_toIvEEiEE10hipError_tPvRmT2_T3_T4_T5_mT6_T7_P12ihipStream_tbENKUlT_T0_E_clISt17integral_constantIbLb0EESZ_EEDaSU_SV_EUlSU_E_NS1_11comp_targetILNS1_3genE10ELNS1_11target_archE1201ELNS1_3gpuE5ELNS1_3repE0EEENS1_30default_config_static_selectorELNS0_4arch9wavefront6targetE0EEEvT1_.kd
    .uniform_work_group_size: 1
    .uses_dynamic_stack: false
    .vgpr_count:     0
    .vgpr_spill_count: 0
    .wavefront_size: 32
    .workgroup_processor_mode: 1
  - .args:
      - .offset:         0
        .size:           112
        .value_kind:     by_value
    .group_segment_fixed_size: 0
    .kernarg_segment_align: 8
    .kernarg_segment_size: 112
    .language:       OpenCL C
    .language_version:
      - 2
      - 0
    .max_flat_workgroup_size: 256
    .name:           _ZN7rocprim17ROCPRIM_400000_NS6detail17trampoline_kernelINS0_14default_configENS1_27scan_by_key_config_selectorIiiEEZZNS1_16scan_by_key_implILNS1_25lookback_scan_determinismE0ELb0ES3_N6thrust23THRUST_200600_302600_NS6detail15normal_iteratorINS9_10device_ptrIiEEEESE_SE_iNS9_4plusIvEENS9_8equal_toIvEEiEE10hipError_tPvRmT2_T3_T4_T5_mT6_T7_P12ihipStream_tbENKUlT_T0_E_clISt17integral_constantIbLb0EESZ_EEDaSU_SV_EUlSU_E_NS1_11comp_targetILNS1_3genE5ELNS1_11target_archE942ELNS1_3gpuE9ELNS1_3repE0EEENS1_30default_config_static_selectorELNS0_4arch9wavefront6targetE0EEEvT1_
    .private_segment_fixed_size: 0
    .sgpr_count:     0
    .sgpr_spill_count: 0
    .symbol:         _ZN7rocprim17ROCPRIM_400000_NS6detail17trampoline_kernelINS0_14default_configENS1_27scan_by_key_config_selectorIiiEEZZNS1_16scan_by_key_implILNS1_25lookback_scan_determinismE0ELb0ES3_N6thrust23THRUST_200600_302600_NS6detail15normal_iteratorINS9_10device_ptrIiEEEESE_SE_iNS9_4plusIvEENS9_8equal_toIvEEiEE10hipError_tPvRmT2_T3_T4_T5_mT6_T7_P12ihipStream_tbENKUlT_T0_E_clISt17integral_constantIbLb0EESZ_EEDaSU_SV_EUlSU_E_NS1_11comp_targetILNS1_3genE5ELNS1_11target_archE942ELNS1_3gpuE9ELNS1_3repE0EEENS1_30default_config_static_selectorELNS0_4arch9wavefront6targetE0EEEvT1_.kd
    .uniform_work_group_size: 1
    .uses_dynamic_stack: false
    .vgpr_count:     0
    .vgpr_spill_count: 0
    .wavefront_size: 32
    .workgroup_processor_mode: 1
  - .args:
      - .offset:         0
        .size:           112
        .value_kind:     by_value
    .group_segment_fixed_size: 0
    .kernarg_segment_align: 8
    .kernarg_segment_size: 112
    .language:       OpenCL C
    .language_version:
      - 2
      - 0
    .max_flat_workgroup_size: 256
    .name:           _ZN7rocprim17ROCPRIM_400000_NS6detail17trampoline_kernelINS0_14default_configENS1_27scan_by_key_config_selectorIiiEEZZNS1_16scan_by_key_implILNS1_25lookback_scan_determinismE0ELb0ES3_N6thrust23THRUST_200600_302600_NS6detail15normal_iteratorINS9_10device_ptrIiEEEESE_SE_iNS9_4plusIvEENS9_8equal_toIvEEiEE10hipError_tPvRmT2_T3_T4_T5_mT6_T7_P12ihipStream_tbENKUlT_T0_E_clISt17integral_constantIbLb0EESZ_EEDaSU_SV_EUlSU_E_NS1_11comp_targetILNS1_3genE4ELNS1_11target_archE910ELNS1_3gpuE8ELNS1_3repE0EEENS1_30default_config_static_selectorELNS0_4arch9wavefront6targetE0EEEvT1_
    .private_segment_fixed_size: 0
    .sgpr_count:     0
    .sgpr_spill_count: 0
    .symbol:         _ZN7rocprim17ROCPRIM_400000_NS6detail17trampoline_kernelINS0_14default_configENS1_27scan_by_key_config_selectorIiiEEZZNS1_16scan_by_key_implILNS1_25lookback_scan_determinismE0ELb0ES3_N6thrust23THRUST_200600_302600_NS6detail15normal_iteratorINS9_10device_ptrIiEEEESE_SE_iNS9_4plusIvEENS9_8equal_toIvEEiEE10hipError_tPvRmT2_T3_T4_T5_mT6_T7_P12ihipStream_tbENKUlT_T0_E_clISt17integral_constantIbLb0EESZ_EEDaSU_SV_EUlSU_E_NS1_11comp_targetILNS1_3genE4ELNS1_11target_archE910ELNS1_3gpuE8ELNS1_3repE0EEENS1_30default_config_static_selectorELNS0_4arch9wavefront6targetE0EEEvT1_.kd
    .uniform_work_group_size: 1
    .uses_dynamic_stack: false
    .vgpr_count:     0
    .vgpr_spill_count: 0
    .wavefront_size: 32
    .workgroup_processor_mode: 1
  - .args:
      - .offset:         0
        .size:           112
        .value_kind:     by_value
    .group_segment_fixed_size: 0
    .kernarg_segment_align: 8
    .kernarg_segment_size: 112
    .language:       OpenCL C
    .language_version:
      - 2
      - 0
    .max_flat_workgroup_size: 256
    .name:           _ZN7rocprim17ROCPRIM_400000_NS6detail17trampoline_kernelINS0_14default_configENS1_27scan_by_key_config_selectorIiiEEZZNS1_16scan_by_key_implILNS1_25lookback_scan_determinismE0ELb0ES3_N6thrust23THRUST_200600_302600_NS6detail15normal_iteratorINS9_10device_ptrIiEEEESE_SE_iNS9_4plusIvEENS9_8equal_toIvEEiEE10hipError_tPvRmT2_T3_T4_T5_mT6_T7_P12ihipStream_tbENKUlT_T0_E_clISt17integral_constantIbLb0EESZ_EEDaSU_SV_EUlSU_E_NS1_11comp_targetILNS1_3genE3ELNS1_11target_archE908ELNS1_3gpuE7ELNS1_3repE0EEENS1_30default_config_static_selectorELNS0_4arch9wavefront6targetE0EEEvT1_
    .private_segment_fixed_size: 0
    .sgpr_count:     0
    .sgpr_spill_count: 0
    .symbol:         _ZN7rocprim17ROCPRIM_400000_NS6detail17trampoline_kernelINS0_14default_configENS1_27scan_by_key_config_selectorIiiEEZZNS1_16scan_by_key_implILNS1_25lookback_scan_determinismE0ELb0ES3_N6thrust23THRUST_200600_302600_NS6detail15normal_iteratorINS9_10device_ptrIiEEEESE_SE_iNS9_4plusIvEENS9_8equal_toIvEEiEE10hipError_tPvRmT2_T3_T4_T5_mT6_T7_P12ihipStream_tbENKUlT_T0_E_clISt17integral_constantIbLb0EESZ_EEDaSU_SV_EUlSU_E_NS1_11comp_targetILNS1_3genE3ELNS1_11target_archE908ELNS1_3gpuE7ELNS1_3repE0EEENS1_30default_config_static_selectorELNS0_4arch9wavefront6targetE0EEEvT1_.kd
    .uniform_work_group_size: 1
    .uses_dynamic_stack: false
    .vgpr_count:     0
    .vgpr_spill_count: 0
    .wavefront_size: 32
    .workgroup_processor_mode: 1
  - .args:
      - .offset:         0
        .size:           112
        .value_kind:     by_value
    .group_segment_fixed_size: 0
    .kernarg_segment_align: 8
    .kernarg_segment_size: 112
    .language:       OpenCL C
    .language_version:
      - 2
      - 0
    .max_flat_workgroup_size: 256
    .name:           _ZN7rocprim17ROCPRIM_400000_NS6detail17trampoline_kernelINS0_14default_configENS1_27scan_by_key_config_selectorIiiEEZZNS1_16scan_by_key_implILNS1_25lookback_scan_determinismE0ELb0ES3_N6thrust23THRUST_200600_302600_NS6detail15normal_iteratorINS9_10device_ptrIiEEEESE_SE_iNS9_4plusIvEENS9_8equal_toIvEEiEE10hipError_tPvRmT2_T3_T4_T5_mT6_T7_P12ihipStream_tbENKUlT_T0_E_clISt17integral_constantIbLb0EESZ_EEDaSU_SV_EUlSU_E_NS1_11comp_targetILNS1_3genE2ELNS1_11target_archE906ELNS1_3gpuE6ELNS1_3repE0EEENS1_30default_config_static_selectorELNS0_4arch9wavefront6targetE0EEEvT1_
    .private_segment_fixed_size: 0
    .sgpr_count:     0
    .sgpr_spill_count: 0
    .symbol:         _ZN7rocprim17ROCPRIM_400000_NS6detail17trampoline_kernelINS0_14default_configENS1_27scan_by_key_config_selectorIiiEEZZNS1_16scan_by_key_implILNS1_25lookback_scan_determinismE0ELb0ES3_N6thrust23THRUST_200600_302600_NS6detail15normal_iteratorINS9_10device_ptrIiEEEESE_SE_iNS9_4plusIvEENS9_8equal_toIvEEiEE10hipError_tPvRmT2_T3_T4_T5_mT6_T7_P12ihipStream_tbENKUlT_T0_E_clISt17integral_constantIbLb0EESZ_EEDaSU_SV_EUlSU_E_NS1_11comp_targetILNS1_3genE2ELNS1_11target_archE906ELNS1_3gpuE6ELNS1_3repE0EEENS1_30default_config_static_selectorELNS0_4arch9wavefront6targetE0EEEvT1_.kd
    .uniform_work_group_size: 1
    .uses_dynamic_stack: false
    .vgpr_count:     0
    .vgpr_spill_count: 0
    .wavefront_size: 32
    .workgroup_processor_mode: 1
  - .args:
      - .offset:         0
        .size:           112
        .value_kind:     by_value
    .group_segment_fixed_size: 0
    .kernarg_segment_align: 8
    .kernarg_segment_size: 112
    .language:       OpenCL C
    .language_version:
      - 2
      - 0
    .max_flat_workgroup_size: 256
    .name:           _ZN7rocprim17ROCPRIM_400000_NS6detail17trampoline_kernelINS0_14default_configENS1_27scan_by_key_config_selectorIiiEEZZNS1_16scan_by_key_implILNS1_25lookback_scan_determinismE0ELb0ES3_N6thrust23THRUST_200600_302600_NS6detail15normal_iteratorINS9_10device_ptrIiEEEESE_SE_iNS9_4plusIvEENS9_8equal_toIvEEiEE10hipError_tPvRmT2_T3_T4_T5_mT6_T7_P12ihipStream_tbENKUlT_T0_E_clISt17integral_constantIbLb0EESZ_EEDaSU_SV_EUlSU_E_NS1_11comp_targetILNS1_3genE10ELNS1_11target_archE1200ELNS1_3gpuE4ELNS1_3repE0EEENS1_30default_config_static_selectorELNS0_4arch9wavefront6targetE0EEEvT1_
    .private_segment_fixed_size: 0
    .sgpr_count:     0
    .sgpr_spill_count: 0
    .symbol:         _ZN7rocprim17ROCPRIM_400000_NS6detail17trampoline_kernelINS0_14default_configENS1_27scan_by_key_config_selectorIiiEEZZNS1_16scan_by_key_implILNS1_25lookback_scan_determinismE0ELb0ES3_N6thrust23THRUST_200600_302600_NS6detail15normal_iteratorINS9_10device_ptrIiEEEESE_SE_iNS9_4plusIvEENS9_8equal_toIvEEiEE10hipError_tPvRmT2_T3_T4_T5_mT6_T7_P12ihipStream_tbENKUlT_T0_E_clISt17integral_constantIbLb0EESZ_EEDaSU_SV_EUlSU_E_NS1_11comp_targetILNS1_3genE10ELNS1_11target_archE1200ELNS1_3gpuE4ELNS1_3repE0EEENS1_30default_config_static_selectorELNS0_4arch9wavefront6targetE0EEEvT1_.kd
    .uniform_work_group_size: 1
    .uses_dynamic_stack: false
    .vgpr_count:     0
    .vgpr_spill_count: 0
    .wavefront_size: 32
    .workgroup_processor_mode: 1
  - .args:
      - .offset:         0
        .size:           112
        .value_kind:     by_value
    .group_segment_fixed_size: 0
    .kernarg_segment_align: 8
    .kernarg_segment_size: 112
    .language:       OpenCL C
    .language_version:
      - 2
      - 0
    .max_flat_workgroup_size: 256
    .name:           _ZN7rocprim17ROCPRIM_400000_NS6detail17trampoline_kernelINS0_14default_configENS1_27scan_by_key_config_selectorIiiEEZZNS1_16scan_by_key_implILNS1_25lookback_scan_determinismE0ELb0ES3_N6thrust23THRUST_200600_302600_NS6detail15normal_iteratorINS9_10device_ptrIiEEEESE_SE_iNS9_4plusIvEENS9_8equal_toIvEEiEE10hipError_tPvRmT2_T3_T4_T5_mT6_T7_P12ihipStream_tbENKUlT_T0_E_clISt17integral_constantIbLb0EESZ_EEDaSU_SV_EUlSU_E_NS1_11comp_targetILNS1_3genE9ELNS1_11target_archE1100ELNS1_3gpuE3ELNS1_3repE0EEENS1_30default_config_static_selectorELNS0_4arch9wavefront6targetE0EEEvT1_
    .private_segment_fixed_size: 0
    .sgpr_count:     0
    .sgpr_spill_count: 0
    .symbol:         _ZN7rocprim17ROCPRIM_400000_NS6detail17trampoline_kernelINS0_14default_configENS1_27scan_by_key_config_selectorIiiEEZZNS1_16scan_by_key_implILNS1_25lookback_scan_determinismE0ELb0ES3_N6thrust23THRUST_200600_302600_NS6detail15normal_iteratorINS9_10device_ptrIiEEEESE_SE_iNS9_4plusIvEENS9_8equal_toIvEEiEE10hipError_tPvRmT2_T3_T4_T5_mT6_T7_P12ihipStream_tbENKUlT_T0_E_clISt17integral_constantIbLb0EESZ_EEDaSU_SV_EUlSU_E_NS1_11comp_targetILNS1_3genE9ELNS1_11target_archE1100ELNS1_3gpuE3ELNS1_3repE0EEENS1_30default_config_static_selectorELNS0_4arch9wavefront6targetE0EEEvT1_.kd
    .uniform_work_group_size: 1
    .uses_dynamic_stack: false
    .vgpr_count:     0
    .vgpr_spill_count: 0
    .wavefront_size: 32
    .workgroup_processor_mode: 1
  - .args:
      - .offset:         0
        .size:           112
        .value_kind:     by_value
    .group_segment_fixed_size: 5120
    .kernarg_segment_align: 8
    .kernarg_segment_size: 112
    .language:       OpenCL C
    .language_version:
      - 2
      - 0
    .max_flat_workgroup_size: 256
    .name:           _ZN7rocprim17ROCPRIM_400000_NS6detail17trampoline_kernelINS0_14default_configENS1_27scan_by_key_config_selectorIiiEEZZNS1_16scan_by_key_implILNS1_25lookback_scan_determinismE0ELb0ES3_N6thrust23THRUST_200600_302600_NS6detail15normal_iteratorINS9_10device_ptrIiEEEESE_SE_iNS9_4plusIvEENS9_8equal_toIvEEiEE10hipError_tPvRmT2_T3_T4_T5_mT6_T7_P12ihipStream_tbENKUlT_T0_E_clISt17integral_constantIbLb0EESZ_EEDaSU_SV_EUlSU_E_NS1_11comp_targetILNS1_3genE8ELNS1_11target_archE1030ELNS1_3gpuE2ELNS1_3repE0EEENS1_30default_config_static_selectorELNS0_4arch9wavefront6targetE0EEEvT1_
    .private_segment_fixed_size: 0
    .sgpr_count:     33
    .sgpr_spill_count: 0
    .symbol:         _ZN7rocprim17ROCPRIM_400000_NS6detail17trampoline_kernelINS0_14default_configENS1_27scan_by_key_config_selectorIiiEEZZNS1_16scan_by_key_implILNS1_25lookback_scan_determinismE0ELb0ES3_N6thrust23THRUST_200600_302600_NS6detail15normal_iteratorINS9_10device_ptrIiEEEESE_SE_iNS9_4plusIvEENS9_8equal_toIvEEiEE10hipError_tPvRmT2_T3_T4_T5_mT6_T7_P12ihipStream_tbENKUlT_T0_E_clISt17integral_constantIbLb0EESZ_EEDaSU_SV_EUlSU_E_NS1_11comp_targetILNS1_3genE8ELNS1_11target_archE1030ELNS1_3gpuE2ELNS1_3repE0EEENS1_30default_config_static_selectorELNS0_4arch9wavefront6targetE0EEEvT1_.kd
    .uniform_work_group_size: 1
    .uses_dynamic_stack: false
    .vgpr_count:     42
    .vgpr_spill_count: 0
    .wavefront_size: 32
    .workgroup_processor_mode: 1
  - .args:
      - .address_space:  global
        .offset:         0
        .size:           8
        .value_kind:     global_buffer
      - .offset:         8
        .size:           4
        .value_kind:     by_value
      - .offset:         12
        .size:           4
        .value_kind:     by_value
      - .address_space:  global
        .offset:         16
        .size:           8
        .value_kind:     global_buffer
      - .address_space:  global
        .offset:         24
        .size:           8
        .value_kind:     global_buffer
      - .actual_access:  write_only
        .address_space:  global
        .offset:         32
        .size:           8
        .value_kind:     global_buffer
      - .offset:         40
        .size:           8
        .value_kind:     by_value
      - .offset:         48
        .size:           4
        .value_kind:     by_value
      - .address_space:  global
        .offset:         56
        .size:           8
        .value_kind:     global_buffer
      - .offset:         64
        .size:           4
        .value_kind:     hidden_block_count_x
      - .offset:         68
        .size:           4
        .value_kind:     hidden_block_count_y
      - .offset:         72
        .size:           4
        .value_kind:     hidden_block_count_z
      - .offset:         76
        .size:           2
        .value_kind:     hidden_group_size_x
      - .offset:         78
        .size:           2
        .value_kind:     hidden_group_size_y
      - .offset:         80
        .size:           2
        .value_kind:     hidden_group_size_z
      - .offset:         82
        .size:           2
        .value_kind:     hidden_remainder_x
      - .offset:         84
        .size:           2
        .value_kind:     hidden_remainder_y
      - .offset:         86
        .size:           2
        .value_kind:     hidden_remainder_z
      - .offset:         104
        .size:           8
        .value_kind:     hidden_global_offset_x
      - .offset:         112
        .size:           8
        .value_kind:     hidden_global_offset_y
      - .offset:         120
        .size:           8
        .value_kind:     hidden_global_offset_z
      - .offset:         128
        .size:           2
        .value_kind:     hidden_grid_dims
    .group_segment_fixed_size: 0
    .kernarg_segment_align: 8
    .kernarg_segment_size: 320
    .language:       OpenCL C
    .language_version:
      - 2
      - 0
    .max_flat_workgroup_size: 256
    .name:           _ZN7rocprim17ROCPRIM_400000_NS6detail30init_device_scan_by_key_kernelINS1_19lookback_scan_stateINS0_5tupleIJibEEELb1ELb1EEEN6thrust23THRUST_200600_302600_NS6detail15normal_iteratorINS8_10device_ptrIiEEEEjNS1_16block_id_wrapperIjLb1EEEEEvT_jjPNSG_10value_typeET0_PNSt15iterator_traitsISJ_E10value_typeEmT1_T2_
    .private_segment_fixed_size: 0
    .sgpr_count:     19
    .sgpr_spill_count: 0
    .symbol:         _ZN7rocprim17ROCPRIM_400000_NS6detail30init_device_scan_by_key_kernelINS1_19lookback_scan_stateINS0_5tupleIJibEEELb1ELb1EEEN6thrust23THRUST_200600_302600_NS6detail15normal_iteratorINS8_10device_ptrIiEEEEjNS1_16block_id_wrapperIjLb1EEEEEvT_jjPNSG_10value_typeET0_PNSt15iterator_traitsISJ_E10value_typeEmT1_T2_.kd
    .uniform_work_group_size: 1
    .uses_dynamic_stack: false
    .vgpr_count:     9
    .vgpr_spill_count: 0
    .wavefront_size: 32
    .workgroup_processor_mode: 1
  - .args:
      - .address_space:  global
        .offset:         0
        .size:           8
        .value_kind:     global_buffer
      - .offset:         8
        .size:           4
        .value_kind:     by_value
      - .offset:         12
        .size:           4
        .value_kind:     by_value
      - .address_space:  global
        .offset:         16
        .size:           8
        .value_kind:     global_buffer
      - .address_space:  global
        .offset:         24
        .size:           8
        .value_kind:     global_buffer
      - .offset:         32
        .size:           4
        .value_kind:     hidden_block_count_x
      - .offset:         36
        .size:           4
        .value_kind:     hidden_block_count_y
      - .offset:         40
        .size:           4
        .value_kind:     hidden_block_count_z
      - .offset:         44
        .size:           2
        .value_kind:     hidden_group_size_x
      - .offset:         46
        .size:           2
        .value_kind:     hidden_group_size_y
      - .offset:         48
        .size:           2
        .value_kind:     hidden_group_size_z
      - .offset:         50
        .size:           2
        .value_kind:     hidden_remainder_x
      - .offset:         52
        .size:           2
        .value_kind:     hidden_remainder_y
      - .offset:         54
        .size:           2
        .value_kind:     hidden_remainder_z
      - .offset:         72
        .size:           8
        .value_kind:     hidden_global_offset_x
      - .offset:         80
        .size:           8
        .value_kind:     hidden_global_offset_y
      - .offset:         88
        .size:           8
        .value_kind:     hidden_global_offset_z
      - .offset:         96
        .size:           2
        .value_kind:     hidden_grid_dims
    .group_segment_fixed_size: 0
    .kernarg_segment_align: 8
    .kernarg_segment_size: 288
    .language:       OpenCL C
    .language_version:
      - 2
      - 0
    .max_flat_workgroup_size: 256
    .name:           _ZN7rocprim17ROCPRIM_400000_NS6detail30init_device_scan_by_key_kernelINS1_19lookback_scan_stateINS0_5tupleIJibEEELb1ELb1EEENS1_16block_id_wrapperIjLb1EEEEEvT_jjPNS9_10value_typeET0_
    .private_segment_fixed_size: 0
    .sgpr_count:     18
    .sgpr_spill_count: 0
    .symbol:         _ZN7rocprim17ROCPRIM_400000_NS6detail30init_device_scan_by_key_kernelINS1_19lookback_scan_stateINS0_5tupleIJibEEELb1ELb1EEENS1_16block_id_wrapperIjLb1EEEEEvT_jjPNS9_10value_typeET0_.kd
    .uniform_work_group_size: 1
    .uses_dynamic_stack: false
    .vgpr_count:     8
    .vgpr_spill_count: 0
    .wavefront_size: 32
    .workgroup_processor_mode: 1
  - .args:
      - .offset:         0
        .size:           112
        .value_kind:     by_value
    .group_segment_fixed_size: 0
    .kernarg_segment_align: 8
    .kernarg_segment_size: 112
    .language:       OpenCL C
    .language_version:
      - 2
      - 0
    .max_flat_workgroup_size: 256
    .name:           _ZN7rocprim17ROCPRIM_400000_NS6detail17trampoline_kernelINS0_14default_configENS1_27scan_by_key_config_selectorIiiEEZZNS1_16scan_by_key_implILNS1_25lookback_scan_determinismE0ELb0ES3_N6thrust23THRUST_200600_302600_NS6detail15normal_iteratorINS9_10device_ptrIiEEEESE_SE_iNS9_4plusIvEENS9_8equal_toIvEEiEE10hipError_tPvRmT2_T3_T4_T5_mT6_T7_P12ihipStream_tbENKUlT_T0_E_clISt17integral_constantIbLb1EESZ_EEDaSU_SV_EUlSU_E_NS1_11comp_targetILNS1_3genE0ELNS1_11target_archE4294967295ELNS1_3gpuE0ELNS1_3repE0EEENS1_30default_config_static_selectorELNS0_4arch9wavefront6targetE0EEEvT1_
    .private_segment_fixed_size: 0
    .sgpr_count:     0
    .sgpr_spill_count: 0
    .symbol:         _ZN7rocprim17ROCPRIM_400000_NS6detail17trampoline_kernelINS0_14default_configENS1_27scan_by_key_config_selectorIiiEEZZNS1_16scan_by_key_implILNS1_25lookback_scan_determinismE0ELb0ES3_N6thrust23THRUST_200600_302600_NS6detail15normal_iteratorINS9_10device_ptrIiEEEESE_SE_iNS9_4plusIvEENS9_8equal_toIvEEiEE10hipError_tPvRmT2_T3_T4_T5_mT6_T7_P12ihipStream_tbENKUlT_T0_E_clISt17integral_constantIbLb1EESZ_EEDaSU_SV_EUlSU_E_NS1_11comp_targetILNS1_3genE0ELNS1_11target_archE4294967295ELNS1_3gpuE0ELNS1_3repE0EEENS1_30default_config_static_selectorELNS0_4arch9wavefront6targetE0EEEvT1_.kd
    .uniform_work_group_size: 1
    .uses_dynamic_stack: false
    .vgpr_count:     0
    .vgpr_spill_count: 0
    .wavefront_size: 32
    .workgroup_processor_mode: 1
  - .args:
      - .offset:         0
        .size:           112
        .value_kind:     by_value
    .group_segment_fixed_size: 0
    .kernarg_segment_align: 8
    .kernarg_segment_size: 112
    .language:       OpenCL C
    .language_version:
      - 2
      - 0
    .max_flat_workgroup_size: 256
    .name:           _ZN7rocprim17ROCPRIM_400000_NS6detail17trampoline_kernelINS0_14default_configENS1_27scan_by_key_config_selectorIiiEEZZNS1_16scan_by_key_implILNS1_25lookback_scan_determinismE0ELb0ES3_N6thrust23THRUST_200600_302600_NS6detail15normal_iteratorINS9_10device_ptrIiEEEESE_SE_iNS9_4plusIvEENS9_8equal_toIvEEiEE10hipError_tPvRmT2_T3_T4_T5_mT6_T7_P12ihipStream_tbENKUlT_T0_E_clISt17integral_constantIbLb1EESZ_EEDaSU_SV_EUlSU_E_NS1_11comp_targetILNS1_3genE10ELNS1_11target_archE1201ELNS1_3gpuE5ELNS1_3repE0EEENS1_30default_config_static_selectorELNS0_4arch9wavefront6targetE0EEEvT1_
    .private_segment_fixed_size: 0
    .sgpr_count:     0
    .sgpr_spill_count: 0
    .symbol:         _ZN7rocprim17ROCPRIM_400000_NS6detail17trampoline_kernelINS0_14default_configENS1_27scan_by_key_config_selectorIiiEEZZNS1_16scan_by_key_implILNS1_25lookback_scan_determinismE0ELb0ES3_N6thrust23THRUST_200600_302600_NS6detail15normal_iteratorINS9_10device_ptrIiEEEESE_SE_iNS9_4plusIvEENS9_8equal_toIvEEiEE10hipError_tPvRmT2_T3_T4_T5_mT6_T7_P12ihipStream_tbENKUlT_T0_E_clISt17integral_constantIbLb1EESZ_EEDaSU_SV_EUlSU_E_NS1_11comp_targetILNS1_3genE10ELNS1_11target_archE1201ELNS1_3gpuE5ELNS1_3repE0EEENS1_30default_config_static_selectorELNS0_4arch9wavefront6targetE0EEEvT1_.kd
    .uniform_work_group_size: 1
    .uses_dynamic_stack: false
    .vgpr_count:     0
    .vgpr_spill_count: 0
    .wavefront_size: 32
    .workgroup_processor_mode: 1
  - .args:
      - .offset:         0
        .size:           112
        .value_kind:     by_value
    .group_segment_fixed_size: 0
    .kernarg_segment_align: 8
    .kernarg_segment_size: 112
    .language:       OpenCL C
    .language_version:
      - 2
      - 0
    .max_flat_workgroup_size: 256
    .name:           _ZN7rocprim17ROCPRIM_400000_NS6detail17trampoline_kernelINS0_14default_configENS1_27scan_by_key_config_selectorIiiEEZZNS1_16scan_by_key_implILNS1_25lookback_scan_determinismE0ELb0ES3_N6thrust23THRUST_200600_302600_NS6detail15normal_iteratorINS9_10device_ptrIiEEEESE_SE_iNS9_4plusIvEENS9_8equal_toIvEEiEE10hipError_tPvRmT2_T3_T4_T5_mT6_T7_P12ihipStream_tbENKUlT_T0_E_clISt17integral_constantIbLb1EESZ_EEDaSU_SV_EUlSU_E_NS1_11comp_targetILNS1_3genE5ELNS1_11target_archE942ELNS1_3gpuE9ELNS1_3repE0EEENS1_30default_config_static_selectorELNS0_4arch9wavefront6targetE0EEEvT1_
    .private_segment_fixed_size: 0
    .sgpr_count:     0
    .sgpr_spill_count: 0
    .symbol:         _ZN7rocprim17ROCPRIM_400000_NS6detail17trampoline_kernelINS0_14default_configENS1_27scan_by_key_config_selectorIiiEEZZNS1_16scan_by_key_implILNS1_25lookback_scan_determinismE0ELb0ES3_N6thrust23THRUST_200600_302600_NS6detail15normal_iteratorINS9_10device_ptrIiEEEESE_SE_iNS9_4plusIvEENS9_8equal_toIvEEiEE10hipError_tPvRmT2_T3_T4_T5_mT6_T7_P12ihipStream_tbENKUlT_T0_E_clISt17integral_constantIbLb1EESZ_EEDaSU_SV_EUlSU_E_NS1_11comp_targetILNS1_3genE5ELNS1_11target_archE942ELNS1_3gpuE9ELNS1_3repE0EEENS1_30default_config_static_selectorELNS0_4arch9wavefront6targetE0EEEvT1_.kd
    .uniform_work_group_size: 1
    .uses_dynamic_stack: false
    .vgpr_count:     0
    .vgpr_spill_count: 0
    .wavefront_size: 32
    .workgroup_processor_mode: 1
  - .args:
      - .offset:         0
        .size:           112
        .value_kind:     by_value
    .group_segment_fixed_size: 0
    .kernarg_segment_align: 8
    .kernarg_segment_size: 112
    .language:       OpenCL C
    .language_version:
      - 2
      - 0
    .max_flat_workgroup_size: 256
    .name:           _ZN7rocprim17ROCPRIM_400000_NS6detail17trampoline_kernelINS0_14default_configENS1_27scan_by_key_config_selectorIiiEEZZNS1_16scan_by_key_implILNS1_25lookback_scan_determinismE0ELb0ES3_N6thrust23THRUST_200600_302600_NS6detail15normal_iteratorINS9_10device_ptrIiEEEESE_SE_iNS9_4plusIvEENS9_8equal_toIvEEiEE10hipError_tPvRmT2_T3_T4_T5_mT6_T7_P12ihipStream_tbENKUlT_T0_E_clISt17integral_constantIbLb1EESZ_EEDaSU_SV_EUlSU_E_NS1_11comp_targetILNS1_3genE4ELNS1_11target_archE910ELNS1_3gpuE8ELNS1_3repE0EEENS1_30default_config_static_selectorELNS0_4arch9wavefront6targetE0EEEvT1_
    .private_segment_fixed_size: 0
    .sgpr_count:     0
    .sgpr_spill_count: 0
    .symbol:         _ZN7rocprim17ROCPRIM_400000_NS6detail17trampoline_kernelINS0_14default_configENS1_27scan_by_key_config_selectorIiiEEZZNS1_16scan_by_key_implILNS1_25lookback_scan_determinismE0ELb0ES3_N6thrust23THRUST_200600_302600_NS6detail15normal_iteratorINS9_10device_ptrIiEEEESE_SE_iNS9_4plusIvEENS9_8equal_toIvEEiEE10hipError_tPvRmT2_T3_T4_T5_mT6_T7_P12ihipStream_tbENKUlT_T0_E_clISt17integral_constantIbLb1EESZ_EEDaSU_SV_EUlSU_E_NS1_11comp_targetILNS1_3genE4ELNS1_11target_archE910ELNS1_3gpuE8ELNS1_3repE0EEENS1_30default_config_static_selectorELNS0_4arch9wavefront6targetE0EEEvT1_.kd
    .uniform_work_group_size: 1
    .uses_dynamic_stack: false
    .vgpr_count:     0
    .vgpr_spill_count: 0
    .wavefront_size: 32
    .workgroup_processor_mode: 1
  - .args:
      - .offset:         0
        .size:           112
        .value_kind:     by_value
    .group_segment_fixed_size: 0
    .kernarg_segment_align: 8
    .kernarg_segment_size: 112
    .language:       OpenCL C
    .language_version:
      - 2
      - 0
    .max_flat_workgroup_size: 256
    .name:           _ZN7rocprim17ROCPRIM_400000_NS6detail17trampoline_kernelINS0_14default_configENS1_27scan_by_key_config_selectorIiiEEZZNS1_16scan_by_key_implILNS1_25lookback_scan_determinismE0ELb0ES3_N6thrust23THRUST_200600_302600_NS6detail15normal_iteratorINS9_10device_ptrIiEEEESE_SE_iNS9_4plusIvEENS9_8equal_toIvEEiEE10hipError_tPvRmT2_T3_T4_T5_mT6_T7_P12ihipStream_tbENKUlT_T0_E_clISt17integral_constantIbLb1EESZ_EEDaSU_SV_EUlSU_E_NS1_11comp_targetILNS1_3genE3ELNS1_11target_archE908ELNS1_3gpuE7ELNS1_3repE0EEENS1_30default_config_static_selectorELNS0_4arch9wavefront6targetE0EEEvT1_
    .private_segment_fixed_size: 0
    .sgpr_count:     0
    .sgpr_spill_count: 0
    .symbol:         _ZN7rocprim17ROCPRIM_400000_NS6detail17trampoline_kernelINS0_14default_configENS1_27scan_by_key_config_selectorIiiEEZZNS1_16scan_by_key_implILNS1_25lookback_scan_determinismE0ELb0ES3_N6thrust23THRUST_200600_302600_NS6detail15normal_iteratorINS9_10device_ptrIiEEEESE_SE_iNS9_4plusIvEENS9_8equal_toIvEEiEE10hipError_tPvRmT2_T3_T4_T5_mT6_T7_P12ihipStream_tbENKUlT_T0_E_clISt17integral_constantIbLb1EESZ_EEDaSU_SV_EUlSU_E_NS1_11comp_targetILNS1_3genE3ELNS1_11target_archE908ELNS1_3gpuE7ELNS1_3repE0EEENS1_30default_config_static_selectorELNS0_4arch9wavefront6targetE0EEEvT1_.kd
    .uniform_work_group_size: 1
    .uses_dynamic_stack: false
    .vgpr_count:     0
    .vgpr_spill_count: 0
    .wavefront_size: 32
    .workgroup_processor_mode: 1
  - .args:
      - .offset:         0
        .size:           112
        .value_kind:     by_value
    .group_segment_fixed_size: 0
    .kernarg_segment_align: 8
    .kernarg_segment_size: 112
    .language:       OpenCL C
    .language_version:
      - 2
      - 0
    .max_flat_workgroup_size: 256
    .name:           _ZN7rocprim17ROCPRIM_400000_NS6detail17trampoline_kernelINS0_14default_configENS1_27scan_by_key_config_selectorIiiEEZZNS1_16scan_by_key_implILNS1_25lookback_scan_determinismE0ELb0ES3_N6thrust23THRUST_200600_302600_NS6detail15normal_iteratorINS9_10device_ptrIiEEEESE_SE_iNS9_4plusIvEENS9_8equal_toIvEEiEE10hipError_tPvRmT2_T3_T4_T5_mT6_T7_P12ihipStream_tbENKUlT_T0_E_clISt17integral_constantIbLb1EESZ_EEDaSU_SV_EUlSU_E_NS1_11comp_targetILNS1_3genE2ELNS1_11target_archE906ELNS1_3gpuE6ELNS1_3repE0EEENS1_30default_config_static_selectorELNS0_4arch9wavefront6targetE0EEEvT1_
    .private_segment_fixed_size: 0
    .sgpr_count:     0
    .sgpr_spill_count: 0
    .symbol:         _ZN7rocprim17ROCPRIM_400000_NS6detail17trampoline_kernelINS0_14default_configENS1_27scan_by_key_config_selectorIiiEEZZNS1_16scan_by_key_implILNS1_25lookback_scan_determinismE0ELb0ES3_N6thrust23THRUST_200600_302600_NS6detail15normal_iteratorINS9_10device_ptrIiEEEESE_SE_iNS9_4plusIvEENS9_8equal_toIvEEiEE10hipError_tPvRmT2_T3_T4_T5_mT6_T7_P12ihipStream_tbENKUlT_T0_E_clISt17integral_constantIbLb1EESZ_EEDaSU_SV_EUlSU_E_NS1_11comp_targetILNS1_3genE2ELNS1_11target_archE906ELNS1_3gpuE6ELNS1_3repE0EEENS1_30default_config_static_selectorELNS0_4arch9wavefront6targetE0EEEvT1_.kd
    .uniform_work_group_size: 1
    .uses_dynamic_stack: false
    .vgpr_count:     0
    .vgpr_spill_count: 0
    .wavefront_size: 32
    .workgroup_processor_mode: 1
  - .args:
      - .offset:         0
        .size:           112
        .value_kind:     by_value
    .group_segment_fixed_size: 0
    .kernarg_segment_align: 8
    .kernarg_segment_size: 112
    .language:       OpenCL C
    .language_version:
      - 2
      - 0
    .max_flat_workgroup_size: 256
    .name:           _ZN7rocprim17ROCPRIM_400000_NS6detail17trampoline_kernelINS0_14default_configENS1_27scan_by_key_config_selectorIiiEEZZNS1_16scan_by_key_implILNS1_25lookback_scan_determinismE0ELb0ES3_N6thrust23THRUST_200600_302600_NS6detail15normal_iteratorINS9_10device_ptrIiEEEESE_SE_iNS9_4plusIvEENS9_8equal_toIvEEiEE10hipError_tPvRmT2_T3_T4_T5_mT6_T7_P12ihipStream_tbENKUlT_T0_E_clISt17integral_constantIbLb1EESZ_EEDaSU_SV_EUlSU_E_NS1_11comp_targetILNS1_3genE10ELNS1_11target_archE1200ELNS1_3gpuE4ELNS1_3repE0EEENS1_30default_config_static_selectorELNS0_4arch9wavefront6targetE0EEEvT1_
    .private_segment_fixed_size: 0
    .sgpr_count:     0
    .sgpr_spill_count: 0
    .symbol:         _ZN7rocprim17ROCPRIM_400000_NS6detail17trampoline_kernelINS0_14default_configENS1_27scan_by_key_config_selectorIiiEEZZNS1_16scan_by_key_implILNS1_25lookback_scan_determinismE0ELb0ES3_N6thrust23THRUST_200600_302600_NS6detail15normal_iteratorINS9_10device_ptrIiEEEESE_SE_iNS9_4plusIvEENS9_8equal_toIvEEiEE10hipError_tPvRmT2_T3_T4_T5_mT6_T7_P12ihipStream_tbENKUlT_T0_E_clISt17integral_constantIbLb1EESZ_EEDaSU_SV_EUlSU_E_NS1_11comp_targetILNS1_3genE10ELNS1_11target_archE1200ELNS1_3gpuE4ELNS1_3repE0EEENS1_30default_config_static_selectorELNS0_4arch9wavefront6targetE0EEEvT1_.kd
    .uniform_work_group_size: 1
    .uses_dynamic_stack: false
    .vgpr_count:     0
    .vgpr_spill_count: 0
    .wavefront_size: 32
    .workgroup_processor_mode: 1
  - .args:
      - .offset:         0
        .size:           112
        .value_kind:     by_value
    .group_segment_fixed_size: 0
    .kernarg_segment_align: 8
    .kernarg_segment_size: 112
    .language:       OpenCL C
    .language_version:
      - 2
      - 0
    .max_flat_workgroup_size: 256
    .name:           _ZN7rocprim17ROCPRIM_400000_NS6detail17trampoline_kernelINS0_14default_configENS1_27scan_by_key_config_selectorIiiEEZZNS1_16scan_by_key_implILNS1_25lookback_scan_determinismE0ELb0ES3_N6thrust23THRUST_200600_302600_NS6detail15normal_iteratorINS9_10device_ptrIiEEEESE_SE_iNS9_4plusIvEENS9_8equal_toIvEEiEE10hipError_tPvRmT2_T3_T4_T5_mT6_T7_P12ihipStream_tbENKUlT_T0_E_clISt17integral_constantIbLb1EESZ_EEDaSU_SV_EUlSU_E_NS1_11comp_targetILNS1_3genE9ELNS1_11target_archE1100ELNS1_3gpuE3ELNS1_3repE0EEENS1_30default_config_static_selectorELNS0_4arch9wavefront6targetE0EEEvT1_
    .private_segment_fixed_size: 0
    .sgpr_count:     0
    .sgpr_spill_count: 0
    .symbol:         _ZN7rocprim17ROCPRIM_400000_NS6detail17trampoline_kernelINS0_14default_configENS1_27scan_by_key_config_selectorIiiEEZZNS1_16scan_by_key_implILNS1_25lookback_scan_determinismE0ELb0ES3_N6thrust23THRUST_200600_302600_NS6detail15normal_iteratorINS9_10device_ptrIiEEEESE_SE_iNS9_4plusIvEENS9_8equal_toIvEEiEE10hipError_tPvRmT2_T3_T4_T5_mT6_T7_P12ihipStream_tbENKUlT_T0_E_clISt17integral_constantIbLb1EESZ_EEDaSU_SV_EUlSU_E_NS1_11comp_targetILNS1_3genE9ELNS1_11target_archE1100ELNS1_3gpuE3ELNS1_3repE0EEENS1_30default_config_static_selectorELNS0_4arch9wavefront6targetE0EEEvT1_.kd
    .uniform_work_group_size: 1
    .uses_dynamic_stack: false
    .vgpr_count:     0
    .vgpr_spill_count: 0
    .wavefront_size: 32
    .workgroup_processor_mode: 1
  - .args:
      - .offset:         0
        .size:           112
        .value_kind:     by_value
    .group_segment_fixed_size: 0
    .kernarg_segment_align: 8
    .kernarg_segment_size: 112
    .language:       OpenCL C
    .language_version:
      - 2
      - 0
    .max_flat_workgroup_size: 256
    .name:           _ZN7rocprim17ROCPRIM_400000_NS6detail17trampoline_kernelINS0_14default_configENS1_27scan_by_key_config_selectorIiiEEZZNS1_16scan_by_key_implILNS1_25lookback_scan_determinismE0ELb0ES3_N6thrust23THRUST_200600_302600_NS6detail15normal_iteratorINS9_10device_ptrIiEEEESE_SE_iNS9_4plusIvEENS9_8equal_toIvEEiEE10hipError_tPvRmT2_T3_T4_T5_mT6_T7_P12ihipStream_tbENKUlT_T0_E_clISt17integral_constantIbLb1EESZ_EEDaSU_SV_EUlSU_E_NS1_11comp_targetILNS1_3genE8ELNS1_11target_archE1030ELNS1_3gpuE2ELNS1_3repE0EEENS1_30default_config_static_selectorELNS0_4arch9wavefront6targetE0EEEvT1_
    .private_segment_fixed_size: 0
    .sgpr_count:     0
    .sgpr_spill_count: 0
    .symbol:         _ZN7rocprim17ROCPRIM_400000_NS6detail17trampoline_kernelINS0_14default_configENS1_27scan_by_key_config_selectorIiiEEZZNS1_16scan_by_key_implILNS1_25lookback_scan_determinismE0ELb0ES3_N6thrust23THRUST_200600_302600_NS6detail15normal_iteratorINS9_10device_ptrIiEEEESE_SE_iNS9_4plusIvEENS9_8equal_toIvEEiEE10hipError_tPvRmT2_T3_T4_T5_mT6_T7_P12ihipStream_tbENKUlT_T0_E_clISt17integral_constantIbLb1EESZ_EEDaSU_SV_EUlSU_E_NS1_11comp_targetILNS1_3genE8ELNS1_11target_archE1030ELNS1_3gpuE2ELNS1_3repE0EEENS1_30default_config_static_selectorELNS0_4arch9wavefront6targetE0EEEvT1_.kd
    .uniform_work_group_size: 1
    .uses_dynamic_stack: false
    .vgpr_count:     0
    .vgpr_spill_count: 0
    .wavefront_size: 32
    .workgroup_processor_mode: 1
  - .args:
      - .address_space:  global
        .offset:         0
        .size:           8
        .value_kind:     global_buffer
      - .offset:         8
        .size:           4
        .value_kind:     by_value
      - .offset:         12
        .size:           4
        .value_kind:     by_value
      - .address_space:  global
        .offset:         16
        .size:           8
        .value_kind:     global_buffer
      - .address_space:  global
        .offset:         24
        .size:           8
        .value_kind:     global_buffer
      - .actual_access:  write_only
        .address_space:  global
        .offset:         32
        .size:           8
        .value_kind:     global_buffer
      - .offset:         40
        .size:           8
        .value_kind:     by_value
      - .offset:         48
        .size:           4
        .value_kind:     by_value
      - .offset:         52
        .size:           1
        .value_kind:     by_value
      - .offset:         56
        .size:           4
        .value_kind:     hidden_block_count_x
      - .offset:         60
        .size:           4
        .value_kind:     hidden_block_count_y
      - .offset:         64
        .size:           4
        .value_kind:     hidden_block_count_z
      - .offset:         68
        .size:           2
        .value_kind:     hidden_group_size_x
      - .offset:         70
        .size:           2
        .value_kind:     hidden_group_size_y
      - .offset:         72
        .size:           2
        .value_kind:     hidden_group_size_z
      - .offset:         74
        .size:           2
        .value_kind:     hidden_remainder_x
      - .offset:         76
        .size:           2
        .value_kind:     hidden_remainder_y
      - .offset:         78
        .size:           2
        .value_kind:     hidden_remainder_z
      - .offset:         96
        .size:           8
        .value_kind:     hidden_global_offset_x
      - .offset:         104
        .size:           8
        .value_kind:     hidden_global_offset_y
      - .offset:         112
        .size:           8
        .value_kind:     hidden_global_offset_z
      - .offset:         120
        .size:           2
        .value_kind:     hidden_grid_dims
    .group_segment_fixed_size: 0
    .kernarg_segment_align: 8
    .kernarg_segment_size: 312
    .language:       OpenCL C
    .language_version:
      - 2
      - 0
    .max_flat_workgroup_size: 256
    .name:           _ZN7rocprim17ROCPRIM_400000_NS6detail30init_device_scan_by_key_kernelINS1_19lookback_scan_stateINS0_5tupleIJibEEELb1ELb1EEEN6thrust23THRUST_200600_302600_NS6detail15normal_iteratorINS8_10device_ptrIiEEEEjNS1_16block_id_wrapperIjLb0EEEEEvT_jjPNSG_10value_typeET0_PNSt15iterator_traitsISJ_E10value_typeEmT1_T2_
    .private_segment_fixed_size: 0
    .sgpr_count:     19
    .sgpr_spill_count: 0
    .symbol:         _ZN7rocprim17ROCPRIM_400000_NS6detail30init_device_scan_by_key_kernelINS1_19lookback_scan_stateINS0_5tupleIJibEEELb1ELb1EEEN6thrust23THRUST_200600_302600_NS6detail15normal_iteratorINS8_10device_ptrIiEEEEjNS1_16block_id_wrapperIjLb0EEEEEvT_jjPNSG_10value_typeET0_PNSt15iterator_traitsISJ_E10value_typeEmT1_T2_.kd
    .uniform_work_group_size: 1
    .uses_dynamic_stack: false
    .vgpr_count:     9
    .vgpr_spill_count: 0
    .wavefront_size: 32
    .workgroup_processor_mode: 1
  - .args:
      - .address_space:  global
        .offset:         0
        .size:           8
        .value_kind:     global_buffer
      - .offset:         8
        .size:           4
        .value_kind:     by_value
      - .offset:         12
        .size:           4
        .value_kind:     by_value
      - .address_space:  global
        .offset:         16
        .size:           8
        .value_kind:     global_buffer
      - .offset:         24
        .size:           1
        .value_kind:     by_value
      - .offset:         32
        .size:           4
        .value_kind:     hidden_block_count_x
      - .offset:         36
        .size:           4
        .value_kind:     hidden_block_count_y
      - .offset:         40
        .size:           4
        .value_kind:     hidden_block_count_z
      - .offset:         44
        .size:           2
        .value_kind:     hidden_group_size_x
      - .offset:         46
        .size:           2
        .value_kind:     hidden_group_size_y
      - .offset:         48
        .size:           2
        .value_kind:     hidden_group_size_z
      - .offset:         50
        .size:           2
        .value_kind:     hidden_remainder_x
      - .offset:         52
        .size:           2
        .value_kind:     hidden_remainder_y
      - .offset:         54
        .size:           2
        .value_kind:     hidden_remainder_z
      - .offset:         72
        .size:           8
        .value_kind:     hidden_global_offset_x
      - .offset:         80
        .size:           8
        .value_kind:     hidden_global_offset_y
      - .offset:         88
        .size:           8
        .value_kind:     hidden_global_offset_z
      - .offset:         96
        .size:           2
        .value_kind:     hidden_grid_dims
    .group_segment_fixed_size: 0
    .kernarg_segment_align: 8
    .kernarg_segment_size: 288
    .language:       OpenCL C
    .language_version:
      - 2
      - 0
    .max_flat_workgroup_size: 256
    .name:           _ZN7rocprim17ROCPRIM_400000_NS6detail30init_device_scan_by_key_kernelINS1_19lookback_scan_stateINS0_5tupleIJibEEELb1ELb1EEENS1_16block_id_wrapperIjLb0EEEEEvT_jjPNS9_10value_typeET0_
    .private_segment_fixed_size: 0
    .sgpr_count:     12
    .sgpr_spill_count: 0
    .symbol:         _ZN7rocprim17ROCPRIM_400000_NS6detail30init_device_scan_by_key_kernelINS1_19lookback_scan_stateINS0_5tupleIJibEEELb1ELb1EEENS1_16block_id_wrapperIjLb0EEEEEvT_jjPNS9_10value_typeET0_.kd
    .uniform_work_group_size: 1
    .uses_dynamic_stack: false
    .vgpr_count:     8
    .vgpr_spill_count: 0
    .wavefront_size: 32
    .workgroup_processor_mode: 1
  - .args:
      - .offset:         0
        .size:           112
        .value_kind:     by_value
    .group_segment_fixed_size: 0
    .kernarg_segment_align: 8
    .kernarg_segment_size: 112
    .language:       OpenCL C
    .language_version:
      - 2
      - 0
    .max_flat_workgroup_size: 256
    .name:           _ZN7rocprim17ROCPRIM_400000_NS6detail17trampoline_kernelINS0_14default_configENS1_27scan_by_key_config_selectorIiiEEZZNS1_16scan_by_key_implILNS1_25lookback_scan_determinismE0ELb0ES3_N6thrust23THRUST_200600_302600_NS6detail15normal_iteratorINS9_10device_ptrIiEEEESE_SE_iNS9_4plusIvEENS9_8equal_toIvEEiEE10hipError_tPvRmT2_T3_T4_T5_mT6_T7_P12ihipStream_tbENKUlT_T0_E_clISt17integral_constantIbLb1EESY_IbLb0EEEEDaSU_SV_EUlSU_E_NS1_11comp_targetILNS1_3genE0ELNS1_11target_archE4294967295ELNS1_3gpuE0ELNS1_3repE0EEENS1_30default_config_static_selectorELNS0_4arch9wavefront6targetE0EEEvT1_
    .private_segment_fixed_size: 0
    .sgpr_count:     0
    .sgpr_spill_count: 0
    .symbol:         _ZN7rocprim17ROCPRIM_400000_NS6detail17trampoline_kernelINS0_14default_configENS1_27scan_by_key_config_selectorIiiEEZZNS1_16scan_by_key_implILNS1_25lookback_scan_determinismE0ELb0ES3_N6thrust23THRUST_200600_302600_NS6detail15normal_iteratorINS9_10device_ptrIiEEEESE_SE_iNS9_4plusIvEENS9_8equal_toIvEEiEE10hipError_tPvRmT2_T3_T4_T5_mT6_T7_P12ihipStream_tbENKUlT_T0_E_clISt17integral_constantIbLb1EESY_IbLb0EEEEDaSU_SV_EUlSU_E_NS1_11comp_targetILNS1_3genE0ELNS1_11target_archE4294967295ELNS1_3gpuE0ELNS1_3repE0EEENS1_30default_config_static_selectorELNS0_4arch9wavefront6targetE0EEEvT1_.kd
    .uniform_work_group_size: 1
    .uses_dynamic_stack: false
    .vgpr_count:     0
    .vgpr_spill_count: 0
    .wavefront_size: 32
    .workgroup_processor_mode: 1
  - .args:
      - .offset:         0
        .size:           112
        .value_kind:     by_value
    .group_segment_fixed_size: 0
    .kernarg_segment_align: 8
    .kernarg_segment_size: 112
    .language:       OpenCL C
    .language_version:
      - 2
      - 0
    .max_flat_workgroup_size: 256
    .name:           _ZN7rocprim17ROCPRIM_400000_NS6detail17trampoline_kernelINS0_14default_configENS1_27scan_by_key_config_selectorIiiEEZZNS1_16scan_by_key_implILNS1_25lookback_scan_determinismE0ELb0ES3_N6thrust23THRUST_200600_302600_NS6detail15normal_iteratorINS9_10device_ptrIiEEEESE_SE_iNS9_4plusIvEENS9_8equal_toIvEEiEE10hipError_tPvRmT2_T3_T4_T5_mT6_T7_P12ihipStream_tbENKUlT_T0_E_clISt17integral_constantIbLb1EESY_IbLb0EEEEDaSU_SV_EUlSU_E_NS1_11comp_targetILNS1_3genE10ELNS1_11target_archE1201ELNS1_3gpuE5ELNS1_3repE0EEENS1_30default_config_static_selectorELNS0_4arch9wavefront6targetE0EEEvT1_
    .private_segment_fixed_size: 0
    .sgpr_count:     0
    .sgpr_spill_count: 0
    .symbol:         _ZN7rocprim17ROCPRIM_400000_NS6detail17trampoline_kernelINS0_14default_configENS1_27scan_by_key_config_selectorIiiEEZZNS1_16scan_by_key_implILNS1_25lookback_scan_determinismE0ELb0ES3_N6thrust23THRUST_200600_302600_NS6detail15normal_iteratorINS9_10device_ptrIiEEEESE_SE_iNS9_4plusIvEENS9_8equal_toIvEEiEE10hipError_tPvRmT2_T3_T4_T5_mT6_T7_P12ihipStream_tbENKUlT_T0_E_clISt17integral_constantIbLb1EESY_IbLb0EEEEDaSU_SV_EUlSU_E_NS1_11comp_targetILNS1_3genE10ELNS1_11target_archE1201ELNS1_3gpuE5ELNS1_3repE0EEENS1_30default_config_static_selectorELNS0_4arch9wavefront6targetE0EEEvT1_.kd
    .uniform_work_group_size: 1
    .uses_dynamic_stack: false
    .vgpr_count:     0
    .vgpr_spill_count: 0
    .wavefront_size: 32
    .workgroup_processor_mode: 1
  - .args:
      - .offset:         0
        .size:           112
        .value_kind:     by_value
    .group_segment_fixed_size: 0
    .kernarg_segment_align: 8
    .kernarg_segment_size: 112
    .language:       OpenCL C
    .language_version:
      - 2
      - 0
    .max_flat_workgroup_size: 256
    .name:           _ZN7rocprim17ROCPRIM_400000_NS6detail17trampoline_kernelINS0_14default_configENS1_27scan_by_key_config_selectorIiiEEZZNS1_16scan_by_key_implILNS1_25lookback_scan_determinismE0ELb0ES3_N6thrust23THRUST_200600_302600_NS6detail15normal_iteratorINS9_10device_ptrIiEEEESE_SE_iNS9_4plusIvEENS9_8equal_toIvEEiEE10hipError_tPvRmT2_T3_T4_T5_mT6_T7_P12ihipStream_tbENKUlT_T0_E_clISt17integral_constantIbLb1EESY_IbLb0EEEEDaSU_SV_EUlSU_E_NS1_11comp_targetILNS1_3genE5ELNS1_11target_archE942ELNS1_3gpuE9ELNS1_3repE0EEENS1_30default_config_static_selectorELNS0_4arch9wavefront6targetE0EEEvT1_
    .private_segment_fixed_size: 0
    .sgpr_count:     0
    .sgpr_spill_count: 0
    .symbol:         _ZN7rocprim17ROCPRIM_400000_NS6detail17trampoline_kernelINS0_14default_configENS1_27scan_by_key_config_selectorIiiEEZZNS1_16scan_by_key_implILNS1_25lookback_scan_determinismE0ELb0ES3_N6thrust23THRUST_200600_302600_NS6detail15normal_iteratorINS9_10device_ptrIiEEEESE_SE_iNS9_4plusIvEENS9_8equal_toIvEEiEE10hipError_tPvRmT2_T3_T4_T5_mT6_T7_P12ihipStream_tbENKUlT_T0_E_clISt17integral_constantIbLb1EESY_IbLb0EEEEDaSU_SV_EUlSU_E_NS1_11comp_targetILNS1_3genE5ELNS1_11target_archE942ELNS1_3gpuE9ELNS1_3repE0EEENS1_30default_config_static_selectorELNS0_4arch9wavefront6targetE0EEEvT1_.kd
    .uniform_work_group_size: 1
    .uses_dynamic_stack: false
    .vgpr_count:     0
    .vgpr_spill_count: 0
    .wavefront_size: 32
    .workgroup_processor_mode: 1
  - .args:
      - .offset:         0
        .size:           112
        .value_kind:     by_value
    .group_segment_fixed_size: 0
    .kernarg_segment_align: 8
    .kernarg_segment_size: 112
    .language:       OpenCL C
    .language_version:
      - 2
      - 0
    .max_flat_workgroup_size: 256
    .name:           _ZN7rocprim17ROCPRIM_400000_NS6detail17trampoline_kernelINS0_14default_configENS1_27scan_by_key_config_selectorIiiEEZZNS1_16scan_by_key_implILNS1_25lookback_scan_determinismE0ELb0ES3_N6thrust23THRUST_200600_302600_NS6detail15normal_iteratorINS9_10device_ptrIiEEEESE_SE_iNS9_4plusIvEENS9_8equal_toIvEEiEE10hipError_tPvRmT2_T3_T4_T5_mT6_T7_P12ihipStream_tbENKUlT_T0_E_clISt17integral_constantIbLb1EESY_IbLb0EEEEDaSU_SV_EUlSU_E_NS1_11comp_targetILNS1_3genE4ELNS1_11target_archE910ELNS1_3gpuE8ELNS1_3repE0EEENS1_30default_config_static_selectorELNS0_4arch9wavefront6targetE0EEEvT1_
    .private_segment_fixed_size: 0
    .sgpr_count:     0
    .sgpr_spill_count: 0
    .symbol:         _ZN7rocprim17ROCPRIM_400000_NS6detail17trampoline_kernelINS0_14default_configENS1_27scan_by_key_config_selectorIiiEEZZNS1_16scan_by_key_implILNS1_25lookback_scan_determinismE0ELb0ES3_N6thrust23THRUST_200600_302600_NS6detail15normal_iteratorINS9_10device_ptrIiEEEESE_SE_iNS9_4plusIvEENS9_8equal_toIvEEiEE10hipError_tPvRmT2_T3_T4_T5_mT6_T7_P12ihipStream_tbENKUlT_T0_E_clISt17integral_constantIbLb1EESY_IbLb0EEEEDaSU_SV_EUlSU_E_NS1_11comp_targetILNS1_3genE4ELNS1_11target_archE910ELNS1_3gpuE8ELNS1_3repE0EEENS1_30default_config_static_selectorELNS0_4arch9wavefront6targetE0EEEvT1_.kd
    .uniform_work_group_size: 1
    .uses_dynamic_stack: false
    .vgpr_count:     0
    .vgpr_spill_count: 0
    .wavefront_size: 32
    .workgroup_processor_mode: 1
  - .args:
      - .offset:         0
        .size:           112
        .value_kind:     by_value
    .group_segment_fixed_size: 0
    .kernarg_segment_align: 8
    .kernarg_segment_size: 112
    .language:       OpenCL C
    .language_version:
      - 2
      - 0
    .max_flat_workgroup_size: 256
    .name:           _ZN7rocprim17ROCPRIM_400000_NS6detail17trampoline_kernelINS0_14default_configENS1_27scan_by_key_config_selectorIiiEEZZNS1_16scan_by_key_implILNS1_25lookback_scan_determinismE0ELb0ES3_N6thrust23THRUST_200600_302600_NS6detail15normal_iteratorINS9_10device_ptrIiEEEESE_SE_iNS9_4plusIvEENS9_8equal_toIvEEiEE10hipError_tPvRmT2_T3_T4_T5_mT6_T7_P12ihipStream_tbENKUlT_T0_E_clISt17integral_constantIbLb1EESY_IbLb0EEEEDaSU_SV_EUlSU_E_NS1_11comp_targetILNS1_3genE3ELNS1_11target_archE908ELNS1_3gpuE7ELNS1_3repE0EEENS1_30default_config_static_selectorELNS0_4arch9wavefront6targetE0EEEvT1_
    .private_segment_fixed_size: 0
    .sgpr_count:     0
    .sgpr_spill_count: 0
    .symbol:         _ZN7rocprim17ROCPRIM_400000_NS6detail17trampoline_kernelINS0_14default_configENS1_27scan_by_key_config_selectorIiiEEZZNS1_16scan_by_key_implILNS1_25lookback_scan_determinismE0ELb0ES3_N6thrust23THRUST_200600_302600_NS6detail15normal_iteratorINS9_10device_ptrIiEEEESE_SE_iNS9_4plusIvEENS9_8equal_toIvEEiEE10hipError_tPvRmT2_T3_T4_T5_mT6_T7_P12ihipStream_tbENKUlT_T0_E_clISt17integral_constantIbLb1EESY_IbLb0EEEEDaSU_SV_EUlSU_E_NS1_11comp_targetILNS1_3genE3ELNS1_11target_archE908ELNS1_3gpuE7ELNS1_3repE0EEENS1_30default_config_static_selectorELNS0_4arch9wavefront6targetE0EEEvT1_.kd
    .uniform_work_group_size: 1
    .uses_dynamic_stack: false
    .vgpr_count:     0
    .vgpr_spill_count: 0
    .wavefront_size: 32
    .workgroup_processor_mode: 1
  - .args:
      - .offset:         0
        .size:           112
        .value_kind:     by_value
    .group_segment_fixed_size: 0
    .kernarg_segment_align: 8
    .kernarg_segment_size: 112
    .language:       OpenCL C
    .language_version:
      - 2
      - 0
    .max_flat_workgroup_size: 256
    .name:           _ZN7rocprim17ROCPRIM_400000_NS6detail17trampoline_kernelINS0_14default_configENS1_27scan_by_key_config_selectorIiiEEZZNS1_16scan_by_key_implILNS1_25lookback_scan_determinismE0ELb0ES3_N6thrust23THRUST_200600_302600_NS6detail15normal_iteratorINS9_10device_ptrIiEEEESE_SE_iNS9_4plusIvEENS9_8equal_toIvEEiEE10hipError_tPvRmT2_T3_T4_T5_mT6_T7_P12ihipStream_tbENKUlT_T0_E_clISt17integral_constantIbLb1EESY_IbLb0EEEEDaSU_SV_EUlSU_E_NS1_11comp_targetILNS1_3genE2ELNS1_11target_archE906ELNS1_3gpuE6ELNS1_3repE0EEENS1_30default_config_static_selectorELNS0_4arch9wavefront6targetE0EEEvT1_
    .private_segment_fixed_size: 0
    .sgpr_count:     0
    .sgpr_spill_count: 0
    .symbol:         _ZN7rocprim17ROCPRIM_400000_NS6detail17trampoline_kernelINS0_14default_configENS1_27scan_by_key_config_selectorIiiEEZZNS1_16scan_by_key_implILNS1_25lookback_scan_determinismE0ELb0ES3_N6thrust23THRUST_200600_302600_NS6detail15normal_iteratorINS9_10device_ptrIiEEEESE_SE_iNS9_4plusIvEENS9_8equal_toIvEEiEE10hipError_tPvRmT2_T3_T4_T5_mT6_T7_P12ihipStream_tbENKUlT_T0_E_clISt17integral_constantIbLb1EESY_IbLb0EEEEDaSU_SV_EUlSU_E_NS1_11comp_targetILNS1_3genE2ELNS1_11target_archE906ELNS1_3gpuE6ELNS1_3repE0EEENS1_30default_config_static_selectorELNS0_4arch9wavefront6targetE0EEEvT1_.kd
    .uniform_work_group_size: 1
    .uses_dynamic_stack: false
    .vgpr_count:     0
    .vgpr_spill_count: 0
    .wavefront_size: 32
    .workgroup_processor_mode: 1
  - .args:
      - .offset:         0
        .size:           112
        .value_kind:     by_value
    .group_segment_fixed_size: 0
    .kernarg_segment_align: 8
    .kernarg_segment_size: 112
    .language:       OpenCL C
    .language_version:
      - 2
      - 0
    .max_flat_workgroup_size: 256
    .name:           _ZN7rocprim17ROCPRIM_400000_NS6detail17trampoline_kernelINS0_14default_configENS1_27scan_by_key_config_selectorIiiEEZZNS1_16scan_by_key_implILNS1_25lookback_scan_determinismE0ELb0ES3_N6thrust23THRUST_200600_302600_NS6detail15normal_iteratorINS9_10device_ptrIiEEEESE_SE_iNS9_4plusIvEENS9_8equal_toIvEEiEE10hipError_tPvRmT2_T3_T4_T5_mT6_T7_P12ihipStream_tbENKUlT_T0_E_clISt17integral_constantIbLb1EESY_IbLb0EEEEDaSU_SV_EUlSU_E_NS1_11comp_targetILNS1_3genE10ELNS1_11target_archE1200ELNS1_3gpuE4ELNS1_3repE0EEENS1_30default_config_static_selectorELNS0_4arch9wavefront6targetE0EEEvT1_
    .private_segment_fixed_size: 0
    .sgpr_count:     0
    .sgpr_spill_count: 0
    .symbol:         _ZN7rocprim17ROCPRIM_400000_NS6detail17trampoline_kernelINS0_14default_configENS1_27scan_by_key_config_selectorIiiEEZZNS1_16scan_by_key_implILNS1_25lookback_scan_determinismE0ELb0ES3_N6thrust23THRUST_200600_302600_NS6detail15normal_iteratorINS9_10device_ptrIiEEEESE_SE_iNS9_4plusIvEENS9_8equal_toIvEEiEE10hipError_tPvRmT2_T3_T4_T5_mT6_T7_P12ihipStream_tbENKUlT_T0_E_clISt17integral_constantIbLb1EESY_IbLb0EEEEDaSU_SV_EUlSU_E_NS1_11comp_targetILNS1_3genE10ELNS1_11target_archE1200ELNS1_3gpuE4ELNS1_3repE0EEENS1_30default_config_static_selectorELNS0_4arch9wavefront6targetE0EEEvT1_.kd
    .uniform_work_group_size: 1
    .uses_dynamic_stack: false
    .vgpr_count:     0
    .vgpr_spill_count: 0
    .wavefront_size: 32
    .workgroup_processor_mode: 1
  - .args:
      - .offset:         0
        .size:           112
        .value_kind:     by_value
    .group_segment_fixed_size: 0
    .kernarg_segment_align: 8
    .kernarg_segment_size: 112
    .language:       OpenCL C
    .language_version:
      - 2
      - 0
    .max_flat_workgroup_size: 256
    .name:           _ZN7rocprim17ROCPRIM_400000_NS6detail17trampoline_kernelINS0_14default_configENS1_27scan_by_key_config_selectorIiiEEZZNS1_16scan_by_key_implILNS1_25lookback_scan_determinismE0ELb0ES3_N6thrust23THRUST_200600_302600_NS6detail15normal_iteratorINS9_10device_ptrIiEEEESE_SE_iNS9_4plusIvEENS9_8equal_toIvEEiEE10hipError_tPvRmT2_T3_T4_T5_mT6_T7_P12ihipStream_tbENKUlT_T0_E_clISt17integral_constantIbLb1EESY_IbLb0EEEEDaSU_SV_EUlSU_E_NS1_11comp_targetILNS1_3genE9ELNS1_11target_archE1100ELNS1_3gpuE3ELNS1_3repE0EEENS1_30default_config_static_selectorELNS0_4arch9wavefront6targetE0EEEvT1_
    .private_segment_fixed_size: 0
    .sgpr_count:     0
    .sgpr_spill_count: 0
    .symbol:         _ZN7rocprim17ROCPRIM_400000_NS6detail17trampoline_kernelINS0_14default_configENS1_27scan_by_key_config_selectorIiiEEZZNS1_16scan_by_key_implILNS1_25lookback_scan_determinismE0ELb0ES3_N6thrust23THRUST_200600_302600_NS6detail15normal_iteratorINS9_10device_ptrIiEEEESE_SE_iNS9_4plusIvEENS9_8equal_toIvEEiEE10hipError_tPvRmT2_T3_T4_T5_mT6_T7_P12ihipStream_tbENKUlT_T0_E_clISt17integral_constantIbLb1EESY_IbLb0EEEEDaSU_SV_EUlSU_E_NS1_11comp_targetILNS1_3genE9ELNS1_11target_archE1100ELNS1_3gpuE3ELNS1_3repE0EEENS1_30default_config_static_selectorELNS0_4arch9wavefront6targetE0EEEvT1_.kd
    .uniform_work_group_size: 1
    .uses_dynamic_stack: false
    .vgpr_count:     0
    .vgpr_spill_count: 0
    .wavefront_size: 32
    .workgroup_processor_mode: 1
  - .args:
      - .offset:         0
        .size:           112
        .value_kind:     by_value
    .group_segment_fixed_size: 0
    .kernarg_segment_align: 8
    .kernarg_segment_size: 112
    .language:       OpenCL C
    .language_version:
      - 2
      - 0
    .max_flat_workgroup_size: 256
    .name:           _ZN7rocprim17ROCPRIM_400000_NS6detail17trampoline_kernelINS0_14default_configENS1_27scan_by_key_config_selectorIiiEEZZNS1_16scan_by_key_implILNS1_25lookback_scan_determinismE0ELb0ES3_N6thrust23THRUST_200600_302600_NS6detail15normal_iteratorINS9_10device_ptrIiEEEESE_SE_iNS9_4plusIvEENS9_8equal_toIvEEiEE10hipError_tPvRmT2_T3_T4_T5_mT6_T7_P12ihipStream_tbENKUlT_T0_E_clISt17integral_constantIbLb1EESY_IbLb0EEEEDaSU_SV_EUlSU_E_NS1_11comp_targetILNS1_3genE8ELNS1_11target_archE1030ELNS1_3gpuE2ELNS1_3repE0EEENS1_30default_config_static_selectorELNS0_4arch9wavefront6targetE0EEEvT1_
    .private_segment_fixed_size: 0
    .sgpr_count:     0
    .sgpr_spill_count: 0
    .symbol:         _ZN7rocprim17ROCPRIM_400000_NS6detail17trampoline_kernelINS0_14default_configENS1_27scan_by_key_config_selectorIiiEEZZNS1_16scan_by_key_implILNS1_25lookback_scan_determinismE0ELb0ES3_N6thrust23THRUST_200600_302600_NS6detail15normal_iteratorINS9_10device_ptrIiEEEESE_SE_iNS9_4plusIvEENS9_8equal_toIvEEiEE10hipError_tPvRmT2_T3_T4_T5_mT6_T7_P12ihipStream_tbENKUlT_T0_E_clISt17integral_constantIbLb1EESY_IbLb0EEEEDaSU_SV_EUlSU_E_NS1_11comp_targetILNS1_3genE8ELNS1_11target_archE1030ELNS1_3gpuE2ELNS1_3repE0EEENS1_30default_config_static_selectorELNS0_4arch9wavefront6targetE0EEEvT1_.kd
    .uniform_work_group_size: 1
    .uses_dynamic_stack: false
    .vgpr_count:     0
    .vgpr_spill_count: 0
    .wavefront_size: 32
    .workgroup_processor_mode: 1
  - .args:
      - .address_space:  global
        .offset:         0
        .size:           8
        .value_kind:     global_buffer
      - .offset:         8
        .size:           4
        .value_kind:     by_value
      - .offset:         12
        .size:           4
        .value_kind:     by_value
      - .address_space:  global
        .offset:         16
        .size:           8
        .value_kind:     global_buffer
      - .address_space:  global
        .offset:         24
        .size:           8
        .value_kind:     global_buffer
      - .actual_access:  write_only
        .address_space:  global
        .offset:         32
        .size:           8
        .value_kind:     global_buffer
      - .offset:         40
        .size:           8
        .value_kind:     by_value
      - .offset:         48
        .size:           4
        .value_kind:     by_value
      - .address_space:  global
        .offset:         56
        .size:           8
        .value_kind:     global_buffer
      - .offset:         64
        .size:           4
        .value_kind:     hidden_block_count_x
      - .offset:         68
        .size:           4
        .value_kind:     hidden_block_count_y
      - .offset:         72
        .size:           4
        .value_kind:     hidden_block_count_z
      - .offset:         76
        .size:           2
        .value_kind:     hidden_group_size_x
      - .offset:         78
        .size:           2
        .value_kind:     hidden_group_size_y
      - .offset:         80
        .size:           2
        .value_kind:     hidden_group_size_z
      - .offset:         82
        .size:           2
        .value_kind:     hidden_remainder_x
      - .offset:         84
        .size:           2
        .value_kind:     hidden_remainder_y
      - .offset:         86
        .size:           2
        .value_kind:     hidden_remainder_z
      - .offset:         104
        .size:           8
        .value_kind:     hidden_global_offset_x
      - .offset:         112
        .size:           8
        .value_kind:     hidden_global_offset_y
      - .offset:         120
        .size:           8
        .value_kind:     hidden_global_offset_z
      - .offset:         128
        .size:           2
        .value_kind:     hidden_grid_dims
    .group_segment_fixed_size: 0
    .kernarg_segment_align: 8
    .kernarg_segment_size: 320
    .language:       OpenCL C
    .language_version:
      - 2
      - 0
    .max_flat_workgroup_size: 256
    .name:           _ZN7rocprim17ROCPRIM_400000_NS6detail30init_device_scan_by_key_kernelINS1_19lookback_scan_stateINS0_5tupleIJibEEELb0ELb1EEEN6thrust23THRUST_200600_302600_NS6detail15normal_iteratorINS8_10device_ptrIiEEEEjNS1_16block_id_wrapperIjLb1EEEEEvT_jjPNSG_10value_typeET0_PNSt15iterator_traitsISJ_E10value_typeEmT1_T2_
    .private_segment_fixed_size: 0
    .sgpr_count:     19
    .sgpr_spill_count: 0
    .symbol:         _ZN7rocprim17ROCPRIM_400000_NS6detail30init_device_scan_by_key_kernelINS1_19lookback_scan_stateINS0_5tupleIJibEEELb0ELb1EEEN6thrust23THRUST_200600_302600_NS6detail15normal_iteratorINS8_10device_ptrIiEEEEjNS1_16block_id_wrapperIjLb1EEEEEvT_jjPNSG_10value_typeET0_PNSt15iterator_traitsISJ_E10value_typeEmT1_T2_.kd
    .uniform_work_group_size: 1
    .uses_dynamic_stack: false
    .vgpr_count:     9
    .vgpr_spill_count: 0
    .wavefront_size: 32
    .workgroup_processor_mode: 1
  - .args:
      - .address_space:  global
        .offset:         0
        .size:           8
        .value_kind:     global_buffer
      - .offset:         8
        .size:           4
        .value_kind:     by_value
      - .offset:         12
        .size:           4
        .value_kind:     by_value
      - .address_space:  global
        .offset:         16
        .size:           8
        .value_kind:     global_buffer
      - .address_space:  global
        .offset:         24
        .size:           8
        .value_kind:     global_buffer
      - .offset:         32
        .size:           4
        .value_kind:     hidden_block_count_x
      - .offset:         36
        .size:           4
        .value_kind:     hidden_block_count_y
      - .offset:         40
        .size:           4
        .value_kind:     hidden_block_count_z
      - .offset:         44
        .size:           2
        .value_kind:     hidden_group_size_x
      - .offset:         46
        .size:           2
        .value_kind:     hidden_group_size_y
      - .offset:         48
        .size:           2
        .value_kind:     hidden_group_size_z
      - .offset:         50
        .size:           2
        .value_kind:     hidden_remainder_x
      - .offset:         52
        .size:           2
        .value_kind:     hidden_remainder_y
      - .offset:         54
        .size:           2
        .value_kind:     hidden_remainder_z
      - .offset:         72
        .size:           8
        .value_kind:     hidden_global_offset_x
      - .offset:         80
        .size:           8
        .value_kind:     hidden_global_offset_y
      - .offset:         88
        .size:           8
        .value_kind:     hidden_global_offset_z
      - .offset:         96
        .size:           2
        .value_kind:     hidden_grid_dims
    .group_segment_fixed_size: 0
    .kernarg_segment_align: 8
    .kernarg_segment_size: 288
    .language:       OpenCL C
    .language_version:
      - 2
      - 0
    .max_flat_workgroup_size: 256
    .name:           _ZN7rocprim17ROCPRIM_400000_NS6detail30init_device_scan_by_key_kernelINS1_19lookback_scan_stateINS0_5tupleIJibEEELb0ELb1EEENS1_16block_id_wrapperIjLb1EEEEEvT_jjPNS9_10value_typeET0_
    .private_segment_fixed_size: 0
    .sgpr_count:     18
    .sgpr_spill_count: 0
    .symbol:         _ZN7rocprim17ROCPRIM_400000_NS6detail30init_device_scan_by_key_kernelINS1_19lookback_scan_stateINS0_5tupleIJibEEELb0ELb1EEENS1_16block_id_wrapperIjLb1EEEEEvT_jjPNS9_10value_typeET0_.kd
    .uniform_work_group_size: 1
    .uses_dynamic_stack: false
    .vgpr_count:     8
    .vgpr_spill_count: 0
    .wavefront_size: 32
    .workgroup_processor_mode: 1
  - .args:
      - .offset:         0
        .size:           112
        .value_kind:     by_value
    .group_segment_fixed_size: 0
    .kernarg_segment_align: 8
    .kernarg_segment_size: 112
    .language:       OpenCL C
    .language_version:
      - 2
      - 0
    .max_flat_workgroup_size: 256
    .name:           _ZN7rocprim17ROCPRIM_400000_NS6detail17trampoline_kernelINS0_14default_configENS1_27scan_by_key_config_selectorIiiEEZZNS1_16scan_by_key_implILNS1_25lookback_scan_determinismE0ELb0ES3_N6thrust23THRUST_200600_302600_NS6detail15normal_iteratorINS9_10device_ptrIiEEEESE_SE_iNS9_4plusIvEENS9_8equal_toIvEEiEE10hipError_tPvRmT2_T3_T4_T5_mT6_T7_P12ihipStream_tbENKUlT_T0_E_clISt17integral_constantIbLb0EESY_IbLb1EEEEDaSU_SV_EUlSU_E_NS1_11comp_targetILNS1_3genE0ELNS1_11target_archE4294967295ELNS1_3gpuE0ELNS1_3repE0EEENS1_30default_config_static_selectorELNS0_4arch9wavefront6targetE0EEEvT1_
    .private_segment_fixed_size: 0
    .sgpr_count:     0
    .sgpr_spill_count: 0
    .symbol:         _ZN7rocprim17ROCPRIM_400000_NS6detail17trampoline_kernelINS0_14default_configENS1_27scan_by_key_config_selectorIiiEEZZNS1_16scan_by_key_implILNS1_25lookback_scan_determinismE0ELb0ES3_N6thrust23THRUST_200600_302600_NS6detail15normal_iteratorINS9_10device_ptrIiEEEESE_SE_iNS9_4plusIvEENS9_8equal_toIvEEiEE10hipError_tPvRmT2_T3_T4_T5_mT6_T7_P12ihipStream_tbENKUlT_T0_E_clISt17integral_constantIbLb0EESY_IbLb1EEEEDaSU_SV_EUlSU_E_NS1_11comp_targetILNS1_3genE0ELNS1_11target_archE4294967295ELNS1_3gpuE0ELNS1_3repE0EEENS1_30default_config_static_selectorELNS0_4arch9wavefront6targetE0EEEvT1_.kd
    .uniform_work_group_size: 1
    .uses_dynamic_stack: false
    .vgpr_count:     0
    .vgpr_spill_count: 0
    .wavefront_size: 32
    .workgroup_processor_mode: 1
  - .args:
      - .offset:         0
        .size:           112
        .value_kind:     by_value
    .group_segment_fixed_size: 0
    .kernarg_segment_align: 8
    .kernarg_segment_size: 112
    .language:       OpenCL C
    .language_version:
      - 2
      - 0
    .max_flat_workgroup_size: 256
    .name:           _ZN7rocprim17ROCPRIM_400000_NS6detail17trampoline_kernelINS0_14default_configENS1_27scan_by_key_config_selectorIiiEEZZNS1_16scan_by_key_implILNS1_25lookback_scan_determinismE0ELb0ES3_N6thrust23THRUST_200600_302600_NS6detail15normal_iteratorINS9_10device_ptrIiEEEESE_SE_iNS9_4plusIvEENS9_8equal_toIvEEiEE10hipError_tPvRmT2_T3_T4_T5_mT6_T7_P12ihipStream_tbENKUlT_T0_E_clISt17integral_constantIbLb0EESY_IbLb1EEEEDaSU_SV_EUlSU_E_NS1_11comp_targetILNS1_3genE10ELNS1_11target_archE1201ELNS1_3gpuE5ELNS1_3repE0EEENS1_30default_config_static_selectorELNS0_4arch9wavefront6targetE0EEEvT1_
    .private_segment_fixed_size: 0
    .sgpr_count:     0
    .sgpr_spill_count: 0
    .symbol:         _ZN7rocprim17ROCPRIM_400000_NS6detail17trampoline_kernelINS0_14default_configENS1_27scan_by_key_config_selectorIiiEEZZNS1_16scan_by_key_implILNS1_25lookback_scan_determinismE0ELb0ES3_N6thrust23THRUST_200600_302600_NS6detail15normal_iteratorINS9_10device_ptrIiEEEESE_SE_iNS9_4plusIvEENS9_8equal_toIvEEiEE10hipError_tPvRmT2_T3_T4_T5_mT6_T7_P12ihipStream_tbENKUlT_T0_E_clISt17integral_constantIbLb0EESY_IbLb1EEEEDaSU_SV_EUlSU_E_NS1_11comp_targetILNS1_3genE10ELNS1_11target_archE1201ELNS1_3gpuE5ELNS1_3repE0EEENS1_30default_config_static_selectorELNS0_4arch9wavefront6targetE0EEEvT1_.kd
    .uniform_work_group_size: 1
    .uses_dynamic_stack: false
    .vgpr_count:     0
    .vgpr_spill_count: 0
    .wavefront_size: 32
    .workgroup_processor_mode: 1
  - .args:
      - .offset:         0
        .size:           112
        .value_kind:     by_value
    .group_segment_fixed_size: 0
    .kernarg_segment_align: 8
    .kernarg_segment_size: 112
    .language:       OpenCL C
    .language_version:
      - 2
      - 0
    .max_flat_workgroup_size: 256
    .name:           _ZN7rocprim17ROCPRIM_400000_NS6detail17trampoline_kernelINS0_14default_configENS1_27scan_by_key_config_selectorIiiEEZZNS1_16scan_by_key_implILNS1_25lookback_scan_determinismE0ELb0ES3_N6thrust23THRUST_200600_302600_NS6detail15normal_iteratorINS9_10device_ptrIiEEEESE_SE_iNS9_4plusIvEENS9_8equal_toIvEEiEE10hipError_tPvRmT2_T3_T4_T5_mT6_T7_P12ihipStream_tbENKUlT_T0_E_clISt17integral_constantIbLb0EESY_IbLb1EEEEDaSU_SV_EUlSU_E_NS1_11comp_targetILNS1_3genE5ELNS1_11target_archE942ELNS1_3gpuE9ELNS1_3repE0EEENS1_30default_config_static_selectorELNS0_4arch9wavefront6targetE0EEEvT1_
    .private_segment_fixed_size: 0
    .sgpr_count:     0
    .sgpr_spill_count: 0
    .symbol:         _ZN7rocprim17ROCPRIM_400000_NS6detail17trampoline_kernelINS0_14default_configENS1_27scan_by_key_config_selectorIiiEEZZNS1_16scan_by_key_implILNS1_25lookback_scan_determinismE0ELb0ES3_N6thrust23THRUST_200600_302600_NS6detail15normal_iteratorINS9_10device_ptrIiEEEESE_SE_iNS9_4plusIvEENS9_8equal_toIvEEiEE10hipError_tPvRmT2_T3_T4_T5_mT6_T7_P12ihipStream_tbENKUlT_T0_E_clISt17integral_constantIbLb0EESY_IbLb1EEEEDaSU_SV_EUlSU_E_NS1_11comp_targetILNS1_3genE5ELNS1_11target_archE942ELNS1_3gpuE9ELNS1_3repE0EEENS1_30default_config_static_selectorELNS0_4arch9wavefront6targetE0EEEvT1_.kd
    .uniform_work_group_size: 1
    .uses_dynamic_stack: false
    .vgpr_count:     0
    .vgpr_spill_count: 0
    .wavefront_size: 32
    .workgroup_processor_mode: 1
  - .args:
      - .offset:         0
        .size:           112
        .value_kind:     by_value
    .group_segment_fixed_size: 0
    .kernarg_segment_align: 8
    .kernarg_segment_size: 112
    .language:       OpenCL C
    .language_version:
      - 2
      - 0
    .max_flat_workgroup_size: 256
    .name:           _ZN7rocprim17ROCPRIM_400000_NS6detail17trampoline_kernelINS0_14default_configENS1_27scan_by_key_config_selectorIiiEEZZNS1_16scan_by_key_implILNS1_25lookback_scan_determinismE0ELb0ES3_N6thrust23THRUST_200600_302600_NS6detail15normal_iteratorINS9_10device_ptrIiEEEESE_SE_iNS9_4plusIvEENS9_8equal_toIvEEiEE10hipError_tPvRmT2_T3_T4_T5_mT6_T7_P12ihipStream_tbENKUlT_T0_E_clISt17integral_constantIbLb0EESY_IbLb1EEEEDaSU_SV_EUlSU_E_NS1_11comp_targetILNS1_3genE4ELNS1_11target_archE910ELNS1_3gpuE8ELNS1_3repE0EEENS1_30default_config_static_selectorELNS0_4arch9wavefront6targetE0EEEvT1_
    .private_segment_fixed_size: 0
    .sgpr_count:     0
    .sgpr_spill_count: 0
    .symbol:         _ZN7rocprim17ROCPRIM_400000_NS6detail17trampoline_kernelINS0_14default_configENS1_27scan_by_key_config_selectorIiiEEZZNS1_16scan_by_key_implILNS1_25lookback_scan_determinismE0ELb0ES3_N6thrust23THRUST_200600_302600_NS6detail15normal_iteratorINS9_10device_ptrIiEEEESE_SE_iNS9_4plusIvEENS9_8equal_toIvEEiEE10hipError_tPvRmT2_T3_T4_T5_mT6_T7_P12ihipStream_tbENKUlT_T0_E_clISt17integral_constantIbLb0EESY_IbLb1EEEEDaSU_SV_EUlSU_E_NS1_11comp_targetILNS1_3genE4ELNS1_11target_archE910ELNS1_3gpuE8ELNS1_3repE0EEENS1_30default_config_static_selectorELNS0_4arch9wavefront6targetE0EEEvT1_.kd
    .uniform_work_group_size: 1
    .uses_dynamic_stack: false
    .vgpr_count:     0
    .vgpr_spill_count: 0
    .wavefront_size: 32
    .workgroup_processor_mode: 1
  - .args:
      - .offset:         0
        .size:           112
        .value_kind:     by_value
    .group_segment_fixed_size: 0
    .kernarg_segment_align: 8
    .kernarg_segment_size: 112
    .language:       OpenCL C
    .language_version:
      - 2
      - 0
    .max_flat_workgroup_size: 256
    .name:           _ZN7rocprim17ROCPRIM_400000_NS6detail17trampoline_kernelINS0_14default_configENS1_27scan_by_key_config_selectorIiiEEZZNS1_16scan_by_key_implILNS1_25lookback_scan_determinismE0ELb0ES3_N6thrust23THRUST_200600_302600_NS6detail15normal_iteratorINS9_10device_ptrIiEEEESE_SE_iNS9_4plusIvEENS9_8equal_toIvEEiEE10hipError_tPvRmT2_T3_T4_T5_mT6_T7_P12ihipStream_tbENKUlT_T0_E_clISt17integral_constantIbLb0EESY_IbLb1EEEEDaSU_SV_EUlSU_E_NS1_11comp_targetILNS1_3genE3ELNS1_11target_archE908ELNS1_3gpuE7ELNS1_3repE0EEENS1_30default_config_static_selectorELNS0_4arch9wavefront6targetE0EEEvT1_
    .private_segment_fixed_size: 0
    .sgpr_count:     0
    .sgpr_spill_count: 0
    .symbol:         _ZN7rocprim17ROCPRIM_400000_NS6detail17trampoline_kernelINS0_14default_configENS1_27scan_by_key_config_selectorIiiEEZZNS1_16scan_by_key_implILNS1_25lookback_scan_determinismE0ELb0ES3_N6thrust23THRUST_200600_302600_NS6detail15normal_iteratorINS9_10device_ptrIiEEEESE_SE_iNS9_4plusIvEENS9_8equal_toIvEEiEE10hipError_tPvRmT2_T3_T4_T5_mT6_T7_P12ihipStream_tbENKUlT_T0_E_clISt17integral_constantIbLb0EESY_IbLb1EEEEDaSU_SV_EUlSU_E_NS1_11comp_targetILNS1_3genE3ELNS1_11target_archE908ELNS1_3gpuE7ELNS1_3repE0EEENS1_30default_config_static_selectorELNS0_4arch9wavefront6targetE0EEEvT1_.kd
    .uniform_work_group_size: 1
    .uses_dynamic_stack: false
    .vgpr_count:     0
    .vgpr_spill_count: 0
    .wavefront_size: 32
    .workgroup_processor_mode: 1
  - .args:
      - .offset:         0
        .size:           112
        .value_kind:     by_value
    .group_segment_fixed_size: 0
    .kernarg_segment_align: 8
    .kernarg_segment_size: 112
    .language:       OpenCL C
    .language_version:
      - 2
      - 0
    .max_flat_workgroup_size: 256
    .name:           _ZN7rocprim17ROCPRIM_400000_NS6detail17trampoline_kernelINS0_14default_configENS1_27scan_by_key_config_selectorIiiEEZZNS1_16scan_by_key_implILNS1_25lookback_scan_determinismE0ELb0ES3_N6thrust23THRUST_200600_302600_NS6detail15normal_iteratorINS9_10device_ptrIiEEEESE_SE_iNS9_4plusIvEENS9_8equal_toIvEEiEE10hipError_tPvRmT2_T3_T4_T5_mT6_T7_P12ihipStream_tbENKUlT_T0_E_clISt17integral_constantIbLb0EESY_IbLb1EEEEDaSU_SV_EUlSU_E_NS1_11comp_targetILNS1_3genE2ELNS1_11target_archE906ELNS1_3gpuE6ELNS1_3repE0EEENS1_30default_config_static_selectorELNS0_4arch9wavefront6targetE0EEEvT1_
    .private_segment_fixed_size: 0
    .sgpr_count:     0
    .sgpr_spill_count: 0
    .symbol:         _ZN7rocprim17ROCPRIM_400000_NS6detail17trampoline_kernelINS0_14default_configENS1_27scan_by_key_config_selectorIiiEEZZNS1_16scan_by_key_implILNS1_25lookback_scan_determinismE0ELb0ES3_N6thrust23THRUST_200600_302600_NS6detail15normal_iteratorINS9_10device_ptrIiEEEESE_SE_iNS9_4plusIvEENS9_8equal_toIvEEiEE10hipError_tPvRmT2_T3_T4_T5_mT6_T7_P12ihipStream_tbENKUlT_T0_E_clISt17integral_constantIbLb0EESY_IbLb1EEEEDaSU_SV_EUlSU_E_NS1_11comp_targetILNS1_3genE2ELNS1_11target_archE906ELNS1_3gpuE6ELNS1_3repE0EEENS1_30default_config_static_selectorELNS0_4arch9wavefront6targetE0EEEvT1_.kd
    .uniform_work_group_size: 1
    .uses_dynamic_stack: false
    .vgpr_count:     0
    .vgpr_spill_count: 0
    .wavefront_size: 32
    .workgroup_processor_mode: 1
  - .args:
      - .offset:         0
        .size:           112
        .value_kind:     by_value
    .group_segment_fixed_size: 0
    .kernarg_segment_align: 8
    .kernarg_segment_size: 112
    .language:       OpenCL C
    .language_version:
      - 2
      - 0
    .max_flat_workgroup_size: 256
    .name:           _ZN7rocprim17ROCPRIM_400000_NS6detail17trampoline_kernelINS0_14default_configENS1_27scan_by_key_config_selectorIiiEEZZNS1_16scan_by_key_implILNS1_25lookback_scan_determinismE0ELb0ES3_N6thrust23THRUST_200600_302600_NS6detail15normal_iteratorINS9_10device_ptrIiEEEESE_SE_iNS9_4plusIvEENS9_8equal_toIvEEiEE10hipError_tPvRmT2_T3_T4_T5_mT6_T7_P12ihipStream_tbENKUlT_T0_E_clISt17integral_constantIbLb0EESY_IbLb1EEEEDaSU_SV_EUlSU_E_NS1_11comp_targetILNS1_3genE10ELNS1_11target_archE1200ELNS1_3gpuE4ELNS1_3repE0EEENS1_30default_config_static_selectorELNS0_4arch9wavefront6targetE0EEEvT1_
    .private_segment_fixed_size: 0
    .sgpr_count:     0
    .sgpr_spill_count: 0
    .symbol:         _ZN7rocprim17ROCPRIM_400000_NS6detail17trampoline_kernelINS0_14default_configENS1_27scan_by_key_config_selectorIiiEEZZNS1_16scan_by_key_implILNS1_25lookback_scan_determinismE0ELb0ES3_N6thrust23THRUST_200600_302600_NS6detail15normal_iteratorINS9_10device_ptrIiEEEESE_SE_iNS9_4plusIvEENS9_8equal_toIvEEiEE10hipError_tPvRmT2_T3_T4_T5_mT6_T7_P12ihipStream_tbENKUlT_T0_E_clISt17integral_constantIbLb0EESY_IbLb1EEEEDaSU_SV_EUlSU_E_NS1_11comp_targetILNS1_3genE10ELNS1_11target_archE1200ELNS1_3gpuE4ELNS1_3repE0EEENS1_30default_config_static_selectorELNS0_4arch9wavefront6targetE0EEEvT1_.kd
    .uniform_work_group_size: 1
    .uses_dynamic_stack: false
    .vgpr_count:     0
    .vgpr_spill_count: 0
    .wavefront_size: 32
    .workgroup_processor_mode: 1
  - .args:
      - .offset:         0
        .size:           112
        .value_kind:     by_value
    .group_segment_fixed_size: 0
    .kernarg_segment_align: 8
    .kernarg_segment_size: 112
    .language:       OpenCL C
    .language_version:
      - 2
      - 0
    .max_flat_workgroup_size: 256
    .name:           _ZN7rocprim17ROCPRIM_400000_NS6detail17trampoline_kernelINS0_14default_configENS1_27scan_by_key_config_selectorIiiEEZZNS1_16scan_by_key_implILNS1_25lookback_scan_determinismE0ELb0ES3_N6thrust23THRUST_200600_302600_NS6detail15normal_iteratorINS9_10device_ptrIiEEEESE_SE_iNS9_4plusIvEENS9_8equal_toIvEEiEE10hipError_tPvRmT2_T3_T4_T5_mT6_T7_P12ihipStream_tbENKUlT_T0_E_clISt17integral_constantIbLb0EESY_IbLb1EEEEDaSU_SV_EUlSU_E_NS1_11comp_targetILNS1_3genE9ELNS1_11target_archE1100ELNS1_3gpuE3ELNS1_3repE0EEENS1_30default_config_static_selectorELNS0_4arch9wavefront6targetE0EEEvT1_
    .private_segment_fixed_size: 0
    .sgpr_count:     0
    .sgpr_spill_count: 0
    .symbol:         _ZN7rocprim17ROCPRIM_400000_NS6detail17trampoline_kernelINS0_14default_configENS1_27scan_by_key_config_selectorIiiEEZZNS1_16scan_by_key_implILNS1_25lookback_scan_determinismE0ELb0ES3_N6thrust23THRUST_200600_302600_NS6detail15normal_iteratorINS9_10device_ptrIiEEEESE_SE_iNS9_4plusIvEENS9_8equal_toIvEEiEE10hipError_tPvRmT2_T3_T4_T5_mT6_T7_P12ihipStream_tbENKUlT_T0_E_clISt17integral_constantIbLb0EESY_IbLb1EEEEDaSU_SV_EUlSU_E_NS1_11comp_targetILNS1_3genE9ELNS1_11target_archE1100ELNS1_3gpuE3ELNS1_3repE0EEENS1_30default_config_static_selectorELNS0_4arch9wavefront6targetE0EEEvT1_.kd
    .uniform_work_group_size: 1
    .uses_dynamic_stack: false
    .vgpr_count:     0
    .vgpr_spill_count: 0
    .wavefront_size: 32
    .workgroup_processor_mode: 1
  - .args:
      - .offset:         0
        .size:           112
        .value_kind:     by_value
    .group_segment_fixed_size: 5120
    .kernarg_segment_align: 8
    .kernarg_segment_size: 112
    .language:       OpenCL C
    .language_version:
      - 2
      - 0
    .max_flat_workgroup_size: 256
    .name:           _ZN7rocprim17ROCPRIM_400000_NS6detail17trampoline_kernelINS0_14default_configENS1_27scan_by_key_config_selectorIiiEEZZNS1_16scan_by_key_implILNS1_25lookback_scan_determinismE0ELb0ES3_N6thrust23THRUST_200600_302600_NS6detail15normal_iteratorINS9_10device_ptrIiEEEESE_SE_iNS9_4plusIvEENS9_8equal_toIvEEiEE10hipError_tPvRmT2_T3_T4_T5_mT6_T7_P12ihipStream_tbENKUlT_T0_E_clISt17integral_constantIbLb0EESY_IbLb1EEEEDaSU_SV_EUlSU_E_NS1_11comp_targetILNS1_3genE8ELNS1_11target_archE1030ELNS1_3gpuE2ELNS1_3repE0EEENS1_30default_config_static_selectorELNS0_4arch9wavefront6targetE0EEEvT1_
    .private_segment_fixed_size: 0
    .sgpr_count:     36
    .sgpr_spill_count: 0
    .symbol:         _ZN7rocprim17ROCPRIM_400000_NS6detail17trampoline_kernelINS0_14default_configENS1_27scan_by_key_config_selectorIiiEEZZNS1_16scan_by_key_implILNS1_25lookback_scan_determinismE0ELb0ES3_N6thrust23THRUST_200600_302600_NS6detail15normal_iteratorINS9_10device_ptrIiEEEESE_SE_iNS9_4plusIvEENS9_8equal_toIvEEiEE10hipError_tPvRmT2_T3_T4_T5_mT6_T7_P12ihipStream_tbENKUlT_T0_E_clISt17integral_constantIbLb0EESY_IbLb1EEEEDaSU_SV_EUlSU_E_NS1_11comp_targetILNS1_3genE8ELNS1_11target_archE1030ELNS1_3gpuE2ELNS1_3repE0EEENS1_30default_config_static_selectorELNS0_4arch9wavefront6targetE0EEEvT1_.kd
    .uniform_work_group_size: 1
    .uses_dynamic_stack: false
    .vgpr_count:     42
    .vgpr_spill_count: 0
    .wavefront_size: 32
    .workgroup_processor_mode: 1
  - .args:
      - .offset:         0
        .size:           112
        .value_kind:     by_value
    .group_segment_fixed_size: 0
    .kernarg_segment_align: 8
    .kernarg_segment_size: 112
    .language:       OpenCL C
    .language_version:
      - 2
      - 0
    .max_flat_workgroup_size: 256
    .name:           _ZN7rocprim17ROCPRIM_400000_NS6detail17trampoline_kernelINS0_14default_configENS1_27scan_by_key_config_selectorIiiEEZZNS1_16scan_by_key_implILNS1_25lookback_scan_determinismE0ELb0ES3_N6thrust23THRUST_200600_302600_NS6detail15normal_iteratorINS9_10device_ptrIiEEEESE_SE_iNS9_10multipliesIiEENS9_8equal_toIiEEiEE10hipError_tPvRmT2_T3_T4_T5_mT6_T7_P12ihipStream_tbENKUlT_T0_E_clISt17integral_constantIbLb0EESZ_EEDaSU_SV_EUlSU_E_NS1_11comp_targetILNS1_3genE0ELNS1_11target_archE4294967295ELNS1_3gpuE0ELNS1_3repE0EEENS1_30default_config_static_selectorELNS0_4arch9wavefront6targetE0EEEvT1_
    .private_segment_fixed_size: 0
    .sgpr_count:     0
    .sgpr_spill_count: 0
    .symbol:         _ZN7rocprim17ROCPRIM_400000_NS6detail17trampoline_kernelINS0_14default_configENS1_27scan_by_key_config_selectorIiiEEZZNS1_16scan_by_key_implILNS1_25lookback_scan_determinismE0ELb0ES3_N6thrust23THRUST_200600_302600_NS6detail15normal_iteratorINS9_10device_ptrIiEEEESE_SE_iNS9_10multipliesIiEENS9_8equal_toIiEEiEE10hipError_tPvRmT2_T3_T4_T5_mT6_T7_P12ihipStream_tbENKUlT_T0_E_clISt17integral_constantIbLb0EESZ_EEDaSU_SV_EUlSU_E_NS1_11comp_targetILNS1_3genE0ELNS1_11target_archE4294967295ELNS1_3gpuE0ELNS1_3repE0EEENS1_30default_config_static_selectorELNS0_4arch9wavefront6targetE0EEEvT1_.kd
    .uniform_work_group_size: 1
    .uses_dynamic_stack: false
    .vgpr_count:     0
    .vgpr_spill_count: 0
    .wavefront_size: 32
    .workgroup_processor_mode: 1
  - .args:
      - .offset:         0
        .size:           112
        .value_kind:     by_value
    .group_segment_fixed_size: 0
    .kernarg_segment_align: 8
    .kernarg_segment_size: 112
    .language:       OpenCL C
    .language_version:
      - 2
      - 0
    .max_flat_workgroup_size: 256
    .name:           _ZN7rocprim17ROCPRIM_400000_NS6detail17trampoline_kernelINS0_14default_configENS1_27scan_by_key_config_selectorIiiEEZZNS1_16scan_by_key_implILNS1_25lookback_scan_determinismE0ELb0ES3_N6thrust23THRUST_200600_302600_NS6detail15normal_iteratorINS9_10device_ptrIiEEEESE_SE_iNS9_10multipliesIiEENS9_8equal_toIiEEiEE10hipError_tPvRmT2_T3_T4_T5_mT6_T7_P12ihipStream_tbENKUlT_T0_E_clISt17integral_constantIbLb0EESZ_EEDaSU_SV_EUlSU_E_NS1_11comp_targetILNS1_3genE10ELNS1_11target_archE1201ELNS1_3gpuE5ELNS1_3repE0EEENS1_30default_config_static_selectorELNS0_4arch9wavefront6targetE0EEEvT1_
    .private_segment_fixed_size: 0
    .sgpr_count:     0
    .sgpr_spill_count: 0
    .symbol:         _ZN7rocprim17ROCPRIM_400000_NS6detail17trampoline_kernelINS0_14default_configENS1_27scan_by_key_config_selectorIiiEEZZNS1_16scan_by_key_implILNS1_25lookback_scan_determinismE0ELb0ES3_N6thrust23THRUST_200600_302600_NS6detail15normal_iteratorINS9_10device_ptrIiEEEESE_SE_iNS9_10multipliesIiEENS9_8equal_toIiEEiEE10hipError_tPvRmT2_T3_T4_T5_mT6_T7_P12ihipStream_tbENKUlT_T0_E_clISt17integral_constantIbLb0EESZ_EEDaSU_SV_EUlSU_E_NS1_11comp_targetILNS1_3genE10ELNS1_11target_archE1201ELNS1_3gpuE5ELNS1_3repE0EEENS1_30default_config_static_selectorELNS0_4arch9wavefront6targetE0EEEvT1_.kd
    .uniform_work_group_size: 1
    .uses_dynamic_stack: false
    .vgpr_count:     0
    .vgpr_spill_count: 0
    .wavefront_size: 32
    .workgroup_processor_mode: 1
  - .args:
      - .offset:         0
        .size:           112
        .value_kind:     by_value
    .group_segment_fixed_size: 0
    .kernarg_segment_align: 8
    .kernarg_segment_size: 112
    .language:       OpenCL C
    .language_version:
      - 2
      - 0
    .max_flat_workgroup_size: 256
    .name:           _ZN7rocprim17ROCPRIM_400000_NS6detail17trampoline_kernelINS0_14default_configENS1_27scan_by_key_config_selectorIiiEEZZNS1_16scan_by_key_implILNS1_25lookback_scan_determinismE0ELb0ES3_N6thrust23THRUST_200600_302600_NS6detail15normal_iteratorINS9_10device_ptrIiEEEESE_SE_iNS9_10multipliesIiEENS9_8equal_toIiEEiEE10hipError_tPvRmT2_T3_T4_T5_mT6_T7_P12ihipStream_tbENKUlT_T0_E_clISt17integral_constantIbLb0EESZ_EEDaSU_SV_EUlSU_E_NS1_11comp_targetILNS1_3genE5ELNS1_11target_archE942ELNS1_3gpuE9ELNS1_3repE0EEENS1_30default_config_static_selectorELNS0_4arch9wavefront6targetE0EEEvT1_
    .private_segment_fixed_size: 0
    .sgpr_count:     0
    .sgpr_spill_count: 0
    .symbol:         _ZN7rocprim17ROCPRIM_400000_NS6detail17trampoline_kernelINS0_14default_configENS1_27scan_by_key_config_selectorIiiEEZZNS1_16scan_by_key_implILNS1_25lookback_scan_determinismE0ELb0ES3_N6thrust23THRUST_200600_302600_NS6detail15normal_iteratorINS9_10device_ptrIiEEEESE_SE_iNS9_10multipliesIiEENS9_8equal_toIiEEiEE10hipError_tPvRmT2_T3_T4_T5_mT6_T7_P12ihipStream_tbENKUlT_T0_E_clISt17integral_constantIbLb0EESZ_EEDaSU_SV_EUlSU_E_NS1_11comp_targetILNS1_3genE5ELNS1_11target_archE942ELNS1_3gpuE9ELNS1_3repE0EEENS1_30default_config_static_selectorELNS0_4arch9wavefront6targetE0EEEvT1_.kd
    .uniform_work_group_size: 1
    .uses_dynamic_stack: false
    .vgpr_count:     0
    .vgpr_spill_count: 0
    .wavefront_size: 32
    .workgroup_processor_mode: 1
  - .args:
      - .offset:         0
        .size:           112
        .value_kind:     by_value
    .group_segment_fixed_size: 0
    .kernarg_segment_align: 8
    .kernarg_segment_size: 112
    .language:       OpenCL C
    .language_version:
      - 2
      - 0
    .max_flat_workgroup_size: 256
    .name:           _ZN7rocprim17ROCPRIM_400000_NS6detail17trampoline_kernelINS0_14default_configENS1_27scan_by_key_config_selectorIiiEEZZNS1_16scan_by_key_implILNS1_25lookback_scan_determinismE0ELb0ES3_N6thrust23THRUST_200600_302600_NS6detail15normal_iteratorINS9_10device_ptrIiEEEESE_SE_iNS9_10multipliesIiEENS9_8equal_toIiEEiEE10hipError_tPvRmT2_T3_T4_T5_mT6_T7_P12ihipStream_tbENKUlT_T0_E_clISt17integral_constantIbLb0EESZ_EEDaSU_SV_EUlSU_E_NS1_11comp_targetILNS1_3genE4ELNS1_11target_archE910ELNS1_3gpuE8ELNS1_3repE0EEENS1_30default_config_static_selectorELNS0_4arch9wavefront6targetE0EEEvT1_
    .private_segment_fixed_size: 0
    .sgpr_count:     0
    .sgpr_spill_count: 0
    .symbol:         _ZN7rocprim17ROCPRIM_400000_NS6detail17trampoline_kernelINS0_14default_configENS1_27scan_by_key_config_selectorIiiEEZZNS1_16scan_by_key_implILNS1_25lookback_scan_determinismE0ELb0ES3_N6thrust23THRUST_200600_302600_NS6detail15normal_iteratorINS9_10device_ptrIiEEEESE_SE_iNS9_10multipliesIiEENS9_8equal_toIiEEiEE10hipError_tPvRmT2_T3_T4_T5_mT6_T7_P12ihipStream_tbENKUlT_T0_E_clISt17integral_constantIbLb0EESZ_EEDaSU_SV_EUlSU_E_NS1_11comp_targetILNS1_3genE4ELNS1_11target_archE910ELNS1_3gpuE8ELNS1_3repE0EEENS1_30default_config_static_selectorELNS0_4arch9wavefront6targetE0EEEvT1_.kd
    .uniform_work_group_size: 1
    .uses_dynamic_stack: false
    .vgpr_count:     0
    .vgpr_spill_count: 0
    .wavefront_size: 32
    .workgroup_processor_mode: 1
  - .args:
      - .offset:         0
        .size:           112
        .value_kind:     by_value
    .group_segment_fixed_size: 0
    .kernarg_segment_align: 8
    .kernarg_segment_size: 112
    .language:       OpenCL C
    .language_version:
      - 2
      - 0
    .max_flat_workgroup_size: 256
    .name:           _ZN7rocprim17ROCPRIM_400000_NS6detail17trampoline_kernelINS0_14default_configENS1_27scan_by_key_config_selectorIiiEEZZNS1_16scan_by_key_implILNS1_25lookback_scan_determinismE0ELb0ES3_N6thrust23THRUST_200600_302600_NS6detail15normal_iteratorINS9_10device_ptrIiEEEESE_SE_iNS9_10multipliesIiEENS9_8equal_toIiEEiEE10hipError_tPvRmT2_T3_T4_T5_mT6_T7_P12ihipStream_tbENKUlT_T0_E_clISt17integral_constantIbLb0EESZ_EEDaSU_SV_EUlSU_E_NS1_11comp_targetILNS1_3genE3ELNS1_11target_archE908ELNS1_3gpuE7ELNS1_3repE0EEENS1_30default_config_static_selectorELNS0_4arch9wavefront6targetE0EEEvT1_
    .private_segment_fixed_size: 0
    .sgpr_count:     0
    .sgpr_spill_count: 0
    .symbol:         _ZN7rocprim17ROCPRIM_400000_NS6detail17trampoline_kernelINS0_14default_configENS1_27scan_by_key_config_selectorIiiEEZZNS1_16scan_by_key_implILNS1_25lookback_scan_determinismE0ELb0ES3_N6thrust23THRUST_200600_302600_NS6detail15normal_iteratorINS9_10device_ptrIiEEEESE_SE_iNS9_10multipliesIiEENS9_8equal_toIiEEiEE10hipError_tPvRmT2_T3_T4_T5_mT6_T7_P12ihipStream_tbENKUlT_T0_E_clISt17integral_constantIbLb0EESZ_EEDaSU_SV_EUlSU_E_NS1_11comp_targetILNS1_3genE3ELNS1_11target_archE908ELNS1_3gpuE7ELNS1_3repE0EEENS1_30default_config_static_selectorELNS0_4arch9wavefront6targetE0EEEvT1_.kd
    .uniform_work_group_size: 1
    .uses_dynamic_stack: false
    .vgpr_count:     0
    .vgpr_spill_count: 0
    .wavefront_size: 32
    .workgroup_processor_mode: 1
  - .args:
      - .offset:         0
        .size:           112
        .value_kind:     by_value
    .group_segment_fixed_size: 0
    .kernarg_segment_align: 8
    .kernarg_segment_size: 112
    .language:       OpenCL C
    .language_version:
      - 2
      - 0
    .max_flat_workgroup_size: 256
    .name:           _ZN7rocprim17ROCPRIM_400000_NS6detail17trampoline_kernelINS0_14default_configENS1_27scan_by_key_config_selectorIiiEEZZNS1_16scan_by_key_implILNS1_25lookback_scan_determinismE0ELb0ES3_N6thrust23THRUST_200600_302600_NS6detail15normal_iteratorINS9_10device_ptrIiEEEESE_SE_iNS9_10multipliesIiEENS9_8equal_toIiEEiEE10hipError_tPvRmT2_T3_T4_T5_mT6_T7_P12ihipStream_tbENKUlT_T0_E_clISt17integral_constantIbLb0EESZ_EEDaSU_SV_EUlSU_E_NS1_11comp_targetILNS1_3genE2ELNS1_11target_archE906ELNS1_3gpuE6ELNS1_3repE0EEENS1_30default_config_static_selectorELNS0_4arch9wavefront6targetE0EEEvT1_
    .private_segment_fixed_size: 0
    .sgpr_count:     0
    .sgpr_spill_count: 0
    .symbol:         _ZN7rocprim17ROCPRIM_400000_NS6detail17trampoline_kernelINS0_14default_configENS1_27scan_by_key_config_selectorIiiEEZZNS1_16scan_by_key_implILNS1_25lookback_scan_determinismE0ELb0ES3_N6thrust23THRUST_200600_302600_NS6detail15normal_iteratorINS9_10device_ptrIiEEEESE_SE_iNS9_10multipliesIiEENS9_8equal_toIiEEiEE10hipError_tPvRmT2_T3_T4_T5_mT6_T7_P12ihipStream_tbENKUlT_T0_E_clISt17integral_constantIbLb0EESZ_EEDaSU_SV_EUlSU_E_NS1_11comp_targetILNS1_3genE2ELNS1_11target_archE906ELNS1_3gpuE6ELNS1_3repE0EEENS1_30default_config_static_selectorELNS0_4arch9wavefront6targetE0EEEvT1_.kd
    .uniform_work_group_size: 1
    .uses_dynamic_stack: false
    .vgpr_count:     0
    .vgpr_spill_count: 0
    .wavefront_size: 32
    .workgroup_processor_mode: 1
  - .args:
      - .offset:         0
        .size:           112
        .value_kind:     by_value
    .group_segment_fixed_size: 0
    .kernarg_segment_align: 8
    .kernarg_segment_size: 112
    .language:       OpenCL C
    .language_version:
      - 2
      - 0
    .max_flat_workgroup_size: 256
    .name:           _ZN7rocprim17ROCPRIM_400000_NS6detail17trampoline_kernelINS0_14default_configENS1_27scan_by_key_config_selectorIiiEEZZNS1_16scan_by_key_implILNS1_25lookback_scan_determinismE0ELb0ES3_N6thrust23THRUST_200600_302600_NS6detail15normal_iteratorINS9_10device_ptrIiEEEESE_SE_iNS9_10multipliesIiEENS9_8equal_toIiEEiEE10hipError_tPvRmT2_T3_T4_T5_mT6_T7_P12ihipStream_tbENKUlT_T0_E_clISt17integral_constantIbLb0EESZ_EEDaSU_SV_EUlSU_E_NS1_11comp_targetILNS1_3genE10ELNS1_11target_archE1200ELNS1_3gpuE4ELNS1_3repE0EEENS1_30default_config_static_selectorELNS0_4arch9wavefront6targetE0EEEvT1_
    .private_segment_fixed_size: 0
    .sgpr_count:     0
    .sgpr_spill_count: 0
    .symbol:         _ZN7rocprim17ROCPRIM_400000_NS6detail17trampoline_kernelINS0_14default_configENS1_27scan_by_key_config_selectorIiiEEZZNS1_16scan_by_key_implILNS1_25lookback_scan_determinismE0ELb0ES3_N6thrust23THRUST_200600_302600_NS6detail15normal_iteratorINS9_10device_ptrIiEEEESE_SE_iNS9_10multipliesIiEENS9_8equal_toIiEEiEE10hipError_tPvRmT2_T3_T4_T5_mT6_T7_P12ihipStream_tbENKUlT_T0_E_clISt17integral_constantIbLb0EESZ_EEDaSU_SV_EUlSU_E_NS1_11comp_targetILNS1_3genE10ELNS1_11target_archE1200ELNS1_3gpuE4ELNS1_3repE0EEENS1_30default_config_static_selectorELNS0_4arch9wavefront6targetE0EEEvT1_.kd
    .uniform_work_group_size: 1
    .uses_dynamic_stack: false
    .vgpr_count:     0
    .vgpr_spill_count: 0
    .wavefront_size: 32
    .workgroup_processor_mode: 1
  - .args:
      - .offset:         0
        .size:           112
        .value_kind:     by_value
    .group_segment_fixed_size: 0
    .kernarg_segment_align: 8
    .kernarg_segment_size: 112
    .language:       OpenCL C
    .language_version:
      - 2
      - 0
    .max_flat_workgroup_size: 256
    .name:           _ZN7rocprim17ROCPRIM_400000_NS6detail17trampoline_kernelINS0_14default_configENS1_27scan_by_key_config_selectorIiiEEZZNS1_16scan_by_key_implILNS1_25lookback_scan_determinismE0ELb0ES3_N6thrust23THRUST_200600_302600_NS6detail15normal_iteratorINS9_10device_ptrIiEEEESE_SE_iNS9_10multipliesIiEENS9_8equal_toIiEEiEE10hipError_tPvRmT2_T3_T4_T5_mT6_T7_P12ihipStream_tbENKUlT_T0_E_clISt17integral_constantIbLb0EESZ_EEDaSU_SV_EUlSU_E_NS1_11comp_targetILNS1_3genE9ELNS1_11target_archE1100ELNS1_3gpuE3ELNS1_3repE0EEENS1_30default_config_static_selectorELNS0_4arch9wavefront6targetE0EEEvT1_
    .private_segment_fixed_size: 0
    .sgpr_count:     0
    .sgpr_spill_count: 0
    .symbol:         _ZN7rocprim17ROCPRIM_400000_NS6detail17trampoline_kernelINS0_14default_configENS1_27scan_by_key_config_selectorIiiEEZZNS1_16scan_by_key_implILNS1_25lookback_scan_determinismE0ELb0ES3_N6thrust23THRUST_200600_302600_NS6detail15normal_iteratorINS9_10device_ptrIiEEEESE_SE_iNS9_10multipliesIiEENS9_8equal_toIiEEiEE10hipError_tPvRmT2_T3_T4_T5_mT6_T7_P12ihipStream_tbENKUlT_T0_E_clISt17integral_constantIbLb0EESZ_EEDaSU_SV_EUlSU_E_NS1_11comp_targetILNS1_3genE9ELNS1_11target_archE1100ELNS1_3gpuE3ELNS1_3repE0EEENS1_30default_config_static_selectorELNS0_4arch9wavefront6targetE0EEEvT1_.kd
    .uniform_work_group_size: 1
    .uses_dynamic_stack: false
    .vgpr_count:     0
    .vgpr_spill_count: 0
    .wavefront_size: 32
    .workgroup_processor_mode: 1
  - .args:
      - .offset:         0
        .size:           112
        .value_kind:     by_value
    .group_segment_fixed_size: 5120
    .kernarg_segment_align: 8
    .kernarg_segment_size: 112
    .language:       OpenCL C
    .language_version:
      - 2
      - 0
    .max_flat_workgroup_size: 256
    .name:           _ZN7rocprim17ROCPRIM_400000_NS6detail17trampoline_kernelINS0_14default_configENS1_27scan_by_key_config_selectorIiiEEZZNS1_16scan_by_key_implILNS1_25lookback_scan_determinismE0ELb0ES3_N6thrust23THRUST_200600_302600_NS6detail15normal_iteratorINS9_10device_ptrIiEEEESE_SE_iNS9_10multipliesIiEENS9_8equal_toIiEEiEE10hipError_tPvRmT2_T3_T4_T5_mT6_T7_P12ihipStream_tbENKUlT_T0_E_clISt17integral_constantIbLb0EESZ_EEDaSU_SV_EUlSU_E_NS1_11comp_targetILNS1_3genE8ELNS1_11target_archE1030ELNS1_3gpuE2ELNS1_3repE0EEENS1_30default_config_static_selectorELNS0_4arch9wavefront6targetE0EEEvT1_
    .private_segment_fixed_size: 0
    .sgpr_count:     33
    .sgpr_spill_count: 0
    .symbol:         _ZN7rocprim17ROCPRIM_400000_NS6detail17trampoline_kernelINS0_14default_configENS1_27scan_by_key_config_selectorIiiEEZZNS1_16scan_by_key_implILNS1_25lookback_scan_determinismE0ELb0ES3_N6thrust23THRUST_200600_302600_NS6detail15normal_iteratorINS9_10device_ptrIiEEEESE_SE_iNS9_10multipliesIiEENS9_8equal_toIiEEiEE10hipError_tPvRmT2_T3_T4_T5_mT6_T7_P12ihipStream_tbENKUlT_T0_E_clISt17integral_constantIbLb0EESZ_EEDaSU_SV_EUlSU_E_NS1_11comp_targetILNS1_3genE8ELNS1_11target_archE1030ELNS1_3gpuE2ELNS1_3repE0EEENS1_30default_config_static_selectorELNS0_4arch9wavefront6targetE0EEEvT1_.kd
    .uniform_work_group_size: 1
    .uses_dynamic_stack: false
    .vgpr_count:     39
    .vgpr_spill_count: 0
    .wavefront_size: 32
    .workgroup_processor_mode: 1
  - .args:
      - .offset:         0
        .size:           112
        .value_kind:     by_value
    .group_segment_fixed_size: 0
    .kernarg_segment_align: 8
    .kernarg_segment_size: 112
    .language:       OpenCL C
    .language_version:
      - 2
      - 0
    .max_flat_workgroup_size: 256
    .name:           _ZN7rocprim17ROCPRIM_400000_NS6detail17trampoline_kernelINS0_14default_configENS1_27scan_by_key_config_selectorIiiEEZZNS1_16scan_by_key_implILNS1_25lookback_scan_determinismE0ELb0ES3_N6thrust23THRUST_200600_302600_NS6detail15normal_iteratorINS9_10device_ptrIiEEEESE_SE_iNS9_10multipliesIiEENS9_8equal_toIiEEiEE10hipError_tPvRmT2_T3_T4_T5_mT6_T7_P12ihipStream_tbENKUlT_T0_E_clISt17integral_constantIbLb1EESZ_EEDaSU_SV_EUlSU_E_NS1_11comp_targetILNS1_3genE0ELNS1_11target_archE4294967295ELNS1_3gpuE0ELNS1_3repE0EEENS1_30default_config_static_selectorELNS0_4arch9wavefront6targetE0EEEvT1_
    .private_segment_fixed_size: 0
    .sgpr_count:     0
    .sgpr_spill_count: 0
    .symbol:         _ZN7rocprim17ROCPRIM_400000_NS6detail17trampoline_kernelINS0_14default_configENS1_27scan_by_key_config_selectorIiiEEZZNS1_16scan_by_key_implILNS1_25lookback_scan_determinismE0ELb0ES3_N6thrust23THRUST_200600_302600_NS6detail15normal_iteratorINS9_10device_ptrIiEEEESE_SE_iNS9_10multipliesIiEENS9_8equal_toIiEEiEE10hipError_tPvRmT2_T3_T4_T5_mT6_T7_P12ihipStream_tbENKUlT_T0_E_clISt17integral_constantIbLb1EESZ_EEDaSU_SV_EUlSU_E_NS1_11comp_targetILNS1_3genE0ELNS1_11target_archE4294967295ELNS1_3gpuE0ELNS1_3repE0EEENS1_30default_config_static_selectorELNS0_4arch9wavefront6targetE0EEEvT1_.kd
    .uniform_work_group_size: 1
    .uses_dynamic_stack: false
    .vgpr_count:     0
    .vgpr_spill_count: 0
    .wavefront_size: 32
    .workgroup_processor_mode: 1
  - .args:
      - .offset:         0
        .size:           112
        .value_kind:     by_value
    .group_segment_fixed_size: 0
    .kernarg_segment_align: 8
    .kernarg_segment_size: 112
    .language:       OpenCL C
    .language_version:
      - 2
      - 0
    .max_flat_workgroup_size: 256
    .name:           _ZN7rocprim17ROCPRIM_400000_NS6detail17trampoline_kernelINS0_14default_configENS1_27scan_by_key_config_selectorIiiEEZZNS1_16scan_by_key_implILNS1_25lookback_scan_determinismE0ELb0ES3_N6thrust23THRUST_200600_302600_NS6detail15normal_iteratorINS9_10device_ptrIiEEEESE_SE_iNS9_10multipliesIiEENS9_8equal_toIiEEiEE10hipError_tPvRmT2_T3_T4_T5_mT6_T7_P12ihipStream_tbENKUlT_T0_E_clISt17integral_constantIbLb1EESZ_EEDaSU_SV_EUlSU_E_NS1_11comp_targetILNS1_3genE10ELNS1_11target_archE1201ELNS1_3gpuE5ELNS1_3repE0EEENS1_30default_config_static_selectorELNS0_4arch9wavefront6targetE0EEEvT1_
    .private_segment_fixed_size: 0
    .sgpr_count:     0
    .sgpr_spill_count: 0
    .symbol:         _ZN7rocprim17ROCPRIM_400000_NS6detail17trampoline_kernelINS0_14default_configENS1_27scan_by_key_config_selectorIiiEEZZNS1_16scan_by_key_implILNS1_25lookback_scan_determinismE0ELb0ES3_N6thrust23THRUST_200600_302600_NS6detail15normal_iteratorINS9_10device_ptrIiEEEESE_SE_iNS9_10multipliesIiEENS9_8equal_toIiEEiEE10hipError_tPvRmT2_T3_T4_T5_mT6_T7_P12ihipStream_tbENKUlT_T0_E_clISt17integral_constantIbLb1EESZ_EEDaSU_SV_EUlSU_E_NS1_11comp_targetILNS1_3genE10ELNS1_11target_archE1201ELNS1_3gpuE5ELNS1_3repE0EEENS1_30default_config_static_selectorELNS0_4arch9wavefront6targetE0EEEvT1_.kd
    .uniform_work_group_size: 1
    .uses_dynamic_stack: false
    .vgpr_count:     0
    .vgpr_spill_count: 0
    .wavefront_size: 32
    .workgroup_processor_mode: 1
  - .args:
      - .offset:         0
        .size:           112
        .value_kind:     by_value
    .group_segment_fixed_size: 0
    .kernarg_segment_align: 8
    .kernarg_segment_size: 112
    .language:       OpenCL C
    .language_version:
      - 2
      - 0
    .max_flat_workgroup_size: 256
    .name:           _ZN7rocprim17ROCPRIM_400000_NS6detail17trampoline_kernelINS0_14default_configENS1_27scan_by_key_config_selectorIiiEEZZNS1_16scan_by_key_implILNS1_25lookback_scan_determinismE0ELb0ES3_N6thrust23THRUST_200600_302600_NS6detail15normal_iteratorINS9_10device_ptrIiEEEESE_SE_iNS9_10multipliesIiEENS9_8equal_toIiEEiEE10hipError_tPvRmT2_T3_T4_T5_mT6_T7_P12ihipStream_tbENKUlT_T0_E_clISt17integral_constantIbLb1EESZ_EEDaSU_SV_EUlSU_E_NS1_11comp_targetILNS1_3genE5ELNS1_11target_archE942ELNS1_3gpuE9ELNS1_3repE0EEENS1_30default_config_static_selectorELNS0_4arch9wavefront6targetE0EEEvT1_
    .private_segment_fixed_size: 0
    .sgpr_count:     0
    .sgpr_spill_count: 0
    .symbol:         _ZN7rocprim17ROCPRIM_400000_NS6detail17trampoline_kernelINS0_14default_configENS1_27scan_by_key_config_selectorIiiEEZZNS1_16scan_by_key_implILNS1_25lookback_scan_determinismE0ELb0ES3_N6thrust23THRUST_200600_302600_NS6detail15normal_iteratorINS9_10device_ptrIiEEEESE_SE_iNS9_10multipliesIiEENS9_8equal_toIiEEiEE10hipError_tPvRmT2_T3_T4_T5_mT6_T7_P12ihipStream_tbENKUlT_T0_E_clISt17integral_constantIbLb1EESZ_EEDaSU_SV_EUlSU_E_NS1_11comp_targetILNS1_3genE5ELNS1_11target_archE942ELNS1_3gpuE9ELNS1_3repE0EEENS1_30default_config_static_selectorELNS0_4arch9wavefront6targetE0EEEvT1_.kd
    .uniform_work_group_size: 1
    .uses_dynamic_stack: false
    .vgpr_count:     0
    .vgpr_spill_count: 0
    .wavefront_size: 32
    .workgroup_processor_mode: 1
  - .args:
      - .offset:         0
        .size:           112
        .value_kind:     by_value
    .group_segment_fixed_size: 0
    .kernarg_segment_align: 8
    .kernarg_segment_size: 112
    .language:       OpenCL C
    .language_version:
      - 2
      - 0
    .max_flat_workgroup_size: 256
    .name:           _ZN7rocprim17ROCPRIM_400000_NS6detail17trampoline_kernelINS0_14default_configENS1_27scan_by_key_config_selectorIiiEEZZNS1_16scan_by_key_implILNS1_25lookback_scan_determinismE0ELb0ES3_N6thrust23THRUST_200600_302600_NS6detail15normal_iteratorINS9_10device_ptrIiEEEESE_SE_iNS9_10multipliesIiEENS9_8equal_toIiEEiEE10hipError_tPvRmT2_T3_T4_T5_mT6_T7_P12ihipStream_tbENKUlT_T0_E_clISt17integral_constantIbLb1EESZ_EEDaSU_SV_EUlSU_E_NS1_11comp_targetILNS1_3genE4ELNS1_11target_archE910ELNS1_3gpuE8ELNS1_3repE0EEENS1_30default_config_static_selectorELNS0_4arch9wavefront6targetE0EEEvT1_
    .private_segment_fixed_size: 0
    .sgpr_count:     0
    .sgpr_spill_count: 0
    .symbol:         _ZN7rocprim17ROCPRIM_400000_NS6detail17trampoline_kernelINS0_14default_configENS1_27scan_by_key_config_selectorIiiEEZZNS1_16scan_by_key_implILNS1_25lookback_scan_determinismE0ELb0ES3_N6thrust23THRUST_200600_302600_NS6detail15normal_iteratorINS9_10device_ptrIiEEEESE_SE_iNS9_10multipliesIiEENS9_8equal_toIiEEiEE10hipError_tPvRmT2_T3_T4_T5_mT6_T7_P12ihipStream_tbENKUlT_T0_E_clISt17integral_constantIbLb1EESZ_EEDaSU_SV_EUlSU_E_NS1_11comp_targetILNS1_3genE4ELNS1_11target_archE910ELNS1_3gpuE8ELNS1_3repE0EEENS1_30default_config_static_selectorELNS0_4arch9wavefront6targetE0EEEvT1_.kd
    .uniform_work_group_size: 1
    .uses_dynamic_stack: false
    .vgpr_count:     0
    .vgpr_spill_count: 0
    .wavefront_size: 32
    .workgroup_processor_mode: 1
  - .args:
      - .offset:         0
        .size:           112
        .value_kind:     by_value
    .group_segment_fixed_size: 0
    .kernarg_segment_align: 8
    .kernarg_segment_size: 112
    .language:       OpenCL C
    .language_version:
      - 2
      - 0
    .max_flat_workgroup_size: 256
    .name:           _ZN7rocprim17ROCPRIM_400000_NS6detail17trampoline_kernelINS0_14default_configENS1_27scan_by_key_config_selectorIiiEEZZNS1_16scan_by_key_implILNS1_25lookback_scan_determinismE0ELb0ES3_N6thrust23THRUST_200600_302600_NS6detail15normal_iteratorINS9_10device_ptrIiEEEESE_SE_iNS9_10multipliesIiEENS9_8equal_toIiEEiEE10hipError_tPvRmT2_T3_T4_T5_mT6_T7_P12ihipStream_tbENKUlT_T0_E_clISt17integral_constantIbLb1EESZ_EEDaSU_SV_EUlSU_E_NS1_11comp_targetILNS1_3genE3ELNS1_11target_archE908ELNS1_3gpuE7ELNS1_3repE0EEENS1_30default_config_static_selectorELNS0_4arch9wavefront6targetE0EEEvT1_
    .private_segment_fixed_size: 0
    .sgpr_count:     0
    .sgpr_spill_count: 0
    .symbol:         _ZN7rocprim17ROCPRIM_400000_NS6detail17trampoline_kernelINS0_14default_configENS1_27scan_by_key_config_selectorIiiEEZZNS1_16scan_by_key_implILNS1_25lookback_scan_determinismE0ELb0ES3_N6thrust23THRUST_200600_302600_NS6detail15normal_iteratorINS9_10device_ptrIiEEEESE_SE_iNS9_10multipliesIiEENS9_8equal_toIiEEiEE10hipError_tPvRmT2_T3_T4_T5_mT6_T7_P12ihipStream_tbENKUlT_T0_E_clISt17integral_constantIbLb1EESZ_EEDaSU_SV_EUlSU_E_NS1_11comp_targetILNS1_3genE3ELNS1_11target_archE908ELNS1_3gpuE7ELNS1_3repE0EEENS1_30default_config_static_selectorELNS0_4arch9wavefront6targetE0EEEvT1_.kd
    .uniform_work_group_size: 1
    .uses_dynamic_stack: false
    .vgpr_count:     0
    .vgpr_spill_count: 0
    .wavefront_size: 32
    .workgroup_processor_mode: 1
  - .args:
      - .offset:         0
        .size:           112
        .value_kind:     by_value
    .group_segment_fixed_size: 0
    .kernarg_segment_align: 8
    .kernarg_segment_size: 112
    .language:       OpenCL C
    .language_version:
      - 2
      - 0
    .max_flat_workgroup_size: 256
    .name:           _ZN7rocprim17ROCPRIM_400000_NS6detail17trampoline_kernelINS0_14default_configENS1_27scan_by_key_config_selectorIiiEEZZNS1_16scan_by_key_implILNS1_25lookback_scan_determinismE0ELb0ES3_N6thrust23THRUST_200600_302600_NS6detail15normal_iteratorINS9_10device_ptrIiEEEESE_SE_iNS9_10multipliesIiEENS9_8equal_toIiEEiEE10hipError_tPvRmT2_T3_T4_T5_mT6_T7_P12ihipStream_tbENKUlT_T0_E_clISt17integral_constantIbLb1EESZ_EEDaSU_SV_EUlSU_E_NS1_11comp_targetILNS1_3genE2ELNS1_11target_archE906ELNS1_3gpuE6ELNS1_3repE0EEENS1_30default_config_static_selectorELNS0_4arch9wavefront6targetE0EEEvT1_
    .private_segment_fixed_size: 0
    .sgpr_count:     0
    .sgpr_spill_count: 0
    .symbol:         _ZN7rocprim17ROCPRIM_400000_NS6detail17trampoline_kernelINS0_14default_configENS1_27scan_by_key_config_selectorIiiEEZZNS1_16scan_by_key_implILNS1_25lookback_scan_determinismE0ELb0ES3_N6thrust23THRUST_200600_302600_NS6detail15normal_iteratorINS9_10device_ptrIiEEEESE_SE_iNS9_10multipliesIiEENS9_8equal_toIiEEiEE10hipError_tPvRmT2_T3_T4_T5_mT6_T7_P12ihipStream_tbENKUlT_T0_E_clISt17integral_constantIbLb1EESZ_EEDaSU_SV_EUlSU_E_NS1_11comp_targetILNS1_3genE2ELNS1_11target_archE906ELNS1_3gpuE6ELNS1_3repE0EEENS1_30default_config_static_selectorELNS0_4arch9wavefront6targetE0EEEvT1_.kd
    .uniform_work_group_size: 1
    .uses_dynamic_stack: false
    .vgpr_count:     0
    .vgpr_spill_count: 0
    .wavefront_size: 32
    .workgroup_processor_mode: 1
  - .args:
      - .offset:         0
        .size:           112
        .value_kind:     by_value
    .group_segment_fixed_size: 0
    .kernarg_segment_align: 8
    .kernarg_segment_size: 112
    .language:       OpenCL C
    .language_version:
      - 2
      - 0
    .max_flat_workgroup_size: 256
    .name:           _ZN7rocprim17ROCPRIM_400000_NS6detail17trampoline_kernelINS0_14default_configENS1_27scan_by_key_config_selectorIiiEEZZNS1_16scan_by_key_implILNS1_25lookback_scan_determinismE0ELb0ES3_N6thrust23THRUST_200600_302600_NS6detail15normal_iteratorINS9_10device_ptrIiEEEESE_SE_iNS9_10multipliesIiEENS9_8equal_toIiEEiEE10hipError_tPvRmT2_T3_T4_T5_mT6_T7_P12ihipStream_tbENKUlT_T0_E_clISt17integral_constantIbLb1EESZ_EEDaSU_SV_EUlSU_E_NS1_11comp_targetILNS1_3genE10ELNS1_11target_archE1200ELNS1_3gpuE4ELNS1_3repE0EEENS1_30default_config_static_selectorELNS0_4arch9wavefront6targetE0EEEvT1_
    .private_segment_fixed_size: 0
    .sgpr_count:     0
    .sgpr_spill_count: 0
    .symbol:         _ZN7rocprim17ROCPRIM_400000_NS6detail17trampoline_kernelINS0_14default_configENS1_27scan_by_key_config_selectorIiiEEZZNS1_16scan_by_key_implILNS1_25lookback_scan_determinismE0ELb0ES3_N6thrust23THRUST_200600_302600_NS6detail15normal_iteratorINS9_10device_ptrIiEEEESE_SE_iNS9_10multipliesIiEENS9_8equal_toIiEEiEE10hipError_tPvRmT2_T3_T4_T5_mT6_T7_P12ihipStream_tbENKUlT_T0_E_clISt17integral_constantIbLb1EESZ_EEDaSU_SV_EUlSU_E_NS1_11comp_targetILNS1_3genE10ELNS1_11target_archE1200ELNS1_3gpuE4ELNS1_3repE0EEENS1_30default_config_static_selectorELNS0_4arch9wavefront6targetE0EEEvT1_.kd
    .uniform_work_group_size: 1
    .uses_dynamic_stack: false
    .vgpr_count:     0
    .vgpr_spill_count: 0
    .wavefront_size: 32
    .workgroup_processor_mode: 1
  - .args:
      - .offset:         0
        .size:           112
        .value_kind:     by_value
    .group_segment_fixed_size: 0
    .kernarg_segment_align: 8
    .kernarg_segment_size: 112
    .language:       OpenCL C
    .language_version:
      - 2
      - 0
    .max_flat_workgroup_size: 256
    .name:           _ZN7rocprim17ROCPRIM_400000_NS6detail17trampoline_kernelINS0_14default_configENS1_27scan_by_key_config_selectorIiiEEZZNS1_16scan_by_key_implILNS1_25lookback_scan_determinismE0ELb0ES3_N6thrust23THRUST_200600_302600_NS6detail15normal_iteratorINS9_10device_ptrIiEEEESE_SE_iNS9_10multipliesIiEENS9_8equal_toIiEEiEE10hipError_tPvRmT2_T3_T4_T5_mT6_T7_P12ihipStream_tbENKUlT_T0_E_clISt17integral_constantIbLb1EESZ_EEDaSU_SV_EUlSU_E_NS1_11comp_targetILNS1_3genE9ELNS1_11target_archE1100ELNS1_3gpuE3ELNS1_3repE0EEENS1_30default_config_static_selectorELNS0_4arch9wavefront6targetE0EEEvT1_
    .private_segment_fixed_size: 0
    .sgpr_count:     0
    .sgpr_spill_count: 0
    .symbol:         _ZN7rocprim17ROCPRIM_400000_NS6detail17trampoline_kernelINS0_14default_configENS1_27scan_by_key_config_selectorIiiEEZZNS1_16scan_by_key_implILNS1_25lookback_scan_determinismE0ELb0ES3_N6thrust23THRUST_200600_302600_NS6detail15normal_iteratorINS9_10device_ptrIiEEEESE_SE_iNS9_10multipliesIiEENS9_8equal_toIiEEiEE10hipError_tPvRmT2_T3_T4_T5_mT6_T7_P12ihipStream_tbENKUlT_T0_E_clISt17integral_constantIbLb1EESZ_EEDaSU_SV_EUlSU_E_NS1_11comp_targetILNS1_3genE9ELNS1_11target_archE1100ELNS1_3gpuE3ELNS1_3repE0EEENS1_30default_config_static_selectorELNS0_4arch9wavefront6targetE0EEEvT1_.kd
    .uniform_work_group_size: 1
    .uses_dynamic_stack: false
    .vgpr_count:     0
    .vgpr_spill_count: 0
    .wavefront_size: 32
    .workgroup_processor_mode: 1
  - .args:
      - .offset:         0
        .size:           112
        .value_kind:     by_value
    .group_segment_fixed_size: 0
    .kernarg_segment_align: 8
    .kernarg_segment_size: 112
    .language:       OpenCL C
    .language_version:
      - 2
      - 0
    .max_flat_workgroup_size: 256
    .name:           _ZN7rocprim17ROCPRIM_400000_NS6detail17trampoline_kernelINS0_14default_configENS1_27scan_by_key_config_selectorIiiEEZZNS1_16scan_by_key_implILNS1_25lookback_scan_determinismE0ELb0ES3_N6thrust23THRUST_200600_302600_NS6detail15normal_iteratorINS9_10device_ptrIiEEEESE_SE_iNS9_10multipliesIiEENS9_8equal_toIiEEiEE10hipError_tPvRmT2_T3_T4_T5_mT6_T7_P12ihipStream_tbENKUlT_T0_E_clISt17integral_constantIbLb1EESZ_EEDaSU_SV_EUlSU_E_NS1_11comp_targetILNS1_3genE8ELNS1_11target_archE1030ELNS1_3gpuE2ELNS1_3repE0EEENS1_30default_config_static_selectorELNS0_4arch9wavefront6targetE0EEEvT1_
    .private_segment_fixed_size: 0
    .sgpr_count:     0
    .sgpr_spill_count: 0
    .symbol:         _ZN7rocprim17ROCPRIM_400000_NS6detail17trampoline_kernelINS0_14default_configENS1_27scan_by_key_config_selectorIiiEEZZNS1_16scan_by_key_implILNS1_25lookback_scan_determinismE0ELb0ES3_N6thrust23THRUST_200600_302600_NS6detail15normal_iteratorINS9_10device_ptrIiEEEESE_SE_iNS9_10multipliesIiEENS9_8equal_toIiEEiEE10hipError_tPvRmT2_T3_T4_T5_mT6_T7_P12ihipStream_tbENKUlT_T0_E_clISt17integral_constantIbLb1EESZ_EEDaSU_SV_EUlSU_E_NS1_11comp_targetILNS1_3genE8ELNS1_11target_archE1030ELNS1_3gpuE2ELNS1_3repE0EEENS1_30default_config_static_selectorELNS0_4arch9wavefront6targetE0EEEvT1_.kd
    .uniform_work_group_size: 1
    .uses_dynamic_stack: false
    .vgpr_count:     0
    .vgpr_spill_count: 0
    .wavefront_size: 32
    .workgroup_processor_mode: 1
  - .args:
      - .offset:         0
        .size:           112
        .value_kind:     by_value
    .group_segment_fixed_size: 0
    .kernarg_segment_align: 8
    .kernarg_segment_size: 112
    .language:       OpenCL C
    .language_version:
      - 2
      - 0
    .max_flat_workgroup_size: 256
    .name:           _ZN7rocprim17ROCPRIM_400000_NS6detail17trampoline_kernelINS0_14default_configENS1_27scan_by_key_config_selectorIiiEEZZNS1_16scan_by_key_implILNS1_25lookback_scan_determinismE0ELb0ES3_N6thrust23THRUST_200600_302600_NS6detail15normal_iteratorINS9_10device_ptrIiEEEESE_SE_iNS9_10multipliesIiEENS9_8equal_toIiEEiEE10hipError_tPvRmT2_T3_T4_T5_mT6_T7_P12ihipStream_tbENKUlT_T0_E_clISt17integral_constantIbLb1EESY_IbLb0EEEEDaSU_SV_EUlSU_E_NS1_11comp_targetILNS1_3genE0ELNS1_11target_archE4294967295ELNS1_3gpuE0ELNS1_3repE0EEENS1_30default_config_static_selectorELNS0_4arch9wavefront6targetE0EEEvT1_
    .private_segment_fixed_size: 0
    .sgpr_count:     0
    .sgpr_spill_count: 0
    .symbol:         _ZN7rocprim17ROCPRIM_400000_NS6detail17trampoline_kernelINS0_14default_configENS1_27scan_by_key_config_selectorIiiEEZZNS1_16scan_by_key_implILNS1_25lookback_scan_determinismE0ELb0ES3_N6thrust23THRUST_200600_302600_NS6detail15normal_iteratorINS9_10device_ptrIiEEEESE_SE_iNS9_10multipliesIiEENS9_8equal_toIiEEiEE10hipError_tPvRmT2_T3_T4_T5_mT6_T7_P12ihipStream_tbENKUlT_T0_E_clISt17integral_constantIbLb1EESY_IbLb0EEEEDaSU_SV_EUlSU_E_NS1_11comp_targetILNS1_3genE0ELNS1_11target_archE4294967295ELNS1_3gpuE0ELNS1_3repE0EEENS1_30default_config_static_selectorELNS0_4arch9wavefront6targetE0EEEvT1_.kd
    .uniform_work_group_size: 1
    .uses_dynamic_stack: false
    .vgpr_count:     0
    .vgpr_spill_count: 0
    .wavefront_size: 32
    .workgroup_processor_mode: 1
  - .args:
      - .offset:         0
        .size:           112
        .value_kind:     by_value
    .group_segment_fixed_size: 0
    .kernarg_segment_align: 8
    .kernarg_segment_size: 112
    .language:       OpenCL C
    .language_version:
      - 2
      - 0
    .max_flat_workgroup_size: 256
    .name:           _ZN7rocprim17ROCPRIM_400000_NS6detail17trampoline_kernelINS0_14default_configENS1_27scan_by_key_config_selectorIiiEEZZNS1_16scan_by_key_implILNS1_25lookback_scan_determinismE0ELb0ES3_N6thrust23THRUST_200600_302600_NS6detail15normal_iteratorINS9_10device_ptrIiEEEESE_SE_iNS9_10multipliesIiEENS9_8equal_toIiEEiEE10hipError_tPvRmT2_T3_T4_T5_mT6_T7_P12ihipStream_tbENKUlT_T0_E_clISt17integral_constantIbLb1EESY_IbLb0EEEEDaSU_SV_EUlSU_E_NS1_11comp_targetILNS1_3genE10ELNS1_11target_archE1201ELNS1_3gpuE5ELNS1_3repE0EEENS1_30default_config_static_selectorELNS0_4arch9wavefront6targetE0EEEvT1_
    .private_segment_fixed_size: 0
    .sgpr_count:     0
    .sgpr_spill_count: 0
    .symbol:         _ZN7rocprim17ROCPRIM_400000_NS6detail17trampoline_kernelINS0_14default_configENS1_27scan_by_key_config_selectorIiiEEZZNS1_16scan_by_key_implILNS1_25lookback_scan_determinismE0ELb0ES3_N6thrust23THRUST_200600_302600_NS6detail15normal_iteratorINS9_10device_ptrIiEEEESE_SE_iNS9_10multipliesIiEENS9_8equal_toIiEEiEE10hipError_tPvRmT2_T3_T4_T5_mT6_T7_P12ihipStream_tbENKUlT_T0_E_clISt17integral_constantIbLb1EESY_IbLb0EEEEDaSU_SV_EUlSU_E_NS1_11comp_targetILNS1_3genE10ELNS1_11target_archE1201ELNS1_3gpuE5ELNS1_3repE0EEENS1_30default_config_static_selectorELNS0_4arch9wavefront6targetE0EEEvT1_.kd
    .uniform_work_group_size: 1
    .uses_dynamic_stack: false
    .vgpr_count:     0
    .vgpr_spill_count: 0
    .wavefront_size: 32
    .workgroup_processor_mode: 1
  - .args:
      - .offset:         0
        .size:           112
        .value_kind:     by_value
    .group_segment_fixed_size: 0
    .kernarg_segment_align: 8
    .kernarg_segment_size: 112
    .language:       OpenCL C
    .language_version:
      - 2
      - 0
    .max_flat_workgroup_size: 256
    .name:           _ZN7rocprim17ROCPRIM_400000_NS6detail17trampoline_kernelINS0_14default_configENS1_27scan_by_key_config_selectorIiiEEZZNS1_16scan_by_key_implILNS1_25lookback_scan_determinismE0ELb0ES3_N6thrust23THRUST_200600_302600_NS6detail15normal_iteratorINS9_10device_ptrIiEEEESE_SE_iNS9_10multipliesIiEENS9_8equal_toIiEEiEE10hipError_tPvRmT2_T3_T4_T5_mT6_T7_P12ihipStream_tbENKUlT_T0_E_clISt17integral_constantIbLb1EESY_IbLb0EEEEDaSU_SV_EUlSU_E_NS1_11comp_targetILNS1_3genE5ELNS1_11target_archE942ELNS1_3gpuE9ELNS1_3repE0EEENS1_30default_config_static_selectorELNS0_4arch9wavefront6targetE0EEEvT1_
    .private_segment_fixed_size: 0
    .sgpr_count:     0
    .sgpr_spill_count: 0
    .symbol:         _ZN7rocprim17ROCPRIM_400000_NS6detail17trampoline_kernelINS0_14default_configENS1_27scan_by_key_config_selectorIiiEEZZNS1_16scan_by_key_implILNS1_25lookback_scan_determinismE0ELb0ES3_N6thrust23THRUST_200600_302600_NS6detail15normal_iteratorINS9_10device_ptrIiEEEESE_SE_iNS9_10multipliesIiEENS9_8equal_toIiEEiEE10hipError_tPvRmT2_T3_T4_T5_mT6_T7_P12ihipStream_tbENKUlT_T0_E_clISt17integral_constantIbLb1EESY_IbLb0EEEEDaSU_SV_EUlSU_E_NS1_11comp_targetILNS1_3genE5ELNS1_11target_archE942ELNS1_3gpuE9ELNS1_3repE0EEENS1_30default_config_static_selectorELNS0_4arch9wavefront6targetE0EEEvT1_.kd
    .uniform_work_group_size: 1
    .uses_dynamic_stack: false
    .vgpr_count:     0
    .vgpr_spill_count: 0
    .wavefront_size: 32
    .workgroup_processor_mode: 1
  - .args:
      - .offset:         0
        .size:           112
        .value_kind:     by_value
    .group_segment_fixed_size: 0
    .kernarg_segment_align: 8
    .kernarg_segment_size: 112
    .language:       OpenCL C
    .language_version:
      - 2
      - 0
    .max_flat_workgroup_size: 256
    .name:           _ZN7rocprim17ROCPRIM_400000_NS6detail17trampoline_kernelINS0_14default_configENS1_27scan_by_key_config_selectorIiiEEZZNS1_16scan_by_key_implILNS1_25lookback_scan_determinismE0ELb0ES3_N6thrust23THRUST_200600_302600_NS6detail15normal_iteratorINS9_10device_ptrIiEEEESE_SE_iNS9_10multipliesIiEENS9_8equal_toIiEEiEE10hipError_tPvRmT2_T3_T4_T5_mT6_T7_P12ihipStream_tbENKUlT_T0_E_clISt17integral_constantIbLb1EESY_IbLb0EEEEDaSU_SV_EUlSU_E_NS1_11comp_targetILNS1_3genE4ELNS1_11target_archE910ELNS1_3gpuE8ELNS1_3repE0EEENS1_30default_config_static_selectorELNS0_4arch9wavefront6targetE0EEEvT1_
    .private_segment_fixed_size: 0
    .sgpr_count:     0
    .sgpr_spill_count: 0
    .symbol:         _ZN7rocprim17ROCPRIM_400000_NS6detail17trampoline_kernelINS0_14default_configENS1_27scan_by_key_config_selectorIiiEEZZNS1_16scan_by_key_implILNS1_25lookback_scan_determinismE0ELb0ES3_N6thrust23THRUST_200600_302600_NS6detail15normal_iteratorINS9_10device_ptrIiEEEESE_SE_iNS9_10multipliesIiEENS9_8equal_toIiEEiEE10hipError_tPvRmT2_T3_T4_T5_mT6_T7_P12ihipStream_tbENKUlT_T0_E_clISt17integral_constantIbLb1EESY_IbLb0EEEEDaSU_SV_EUlSU_E_NS1_11comp_targetILNS1_3genE4ELNS1_11target_archE910ELNS1_3gpuE8ELNS1_3repE0EEENS1_30default_config_static_selectorELNS0_4arch9wavefront6targetE0EEEvT1_.kd
    .uniform_work_group_size: 1
    .uses_dynamic_stack: false
    .vgpr_count:     0
    .vgpr_spill_count: 0
    .wavefront_size: 32
    .workgroup_processor_mode: 1
  - .args:
      - .offset:         0
        .size:           112
        .value_kind:     by_value
    .group_segment_fixed_size: 0
    .kernarg_segment_align: 8
    .kernarg_segment_size: 112
    .language:       OpenCL C
    .language_version:
      - 2
      - 0
    .max_flat_workgroup_size: 256
    .name:           _ZN7rocprim17ROCPRIM_400000_NS6detail17trampoline_kernelINS0_14default_configENS1_27scan_by_key_config_selectorIiiEEZZNS1_16scan_by_key_implILNS1_25lookback_scan_determinismE0ELb0ES3_N6thrust23THRUST_200600_302600_NS6detail15normal_iteratorINS9_10device_ptrIiEEEESE_SE_iNS9_10multipliesIiEENS9_8equal_toIiEEiEE10hipError_tPvRmT2_T3_T4_T5_mT6_T7_P12ihipStream_tbENKUlT_T0_E_clISt17integral_constantIbLb1EESY_IbLb0EEEEDaSU_SV_EUlSU_E_NS1_11comp_targetILNS1_3genE3ELNS1_11target_archE908ELNS1_3gpuE7ELNS1_3repE0EEENS1_30default_config_static_selectorELNS0_4arch9wavefront6targetE0EEEvT1_
    .private_segment_fixed_size: 0
    .sgpr_count:     0
    .sgpr_spill_count: 0
    .symbol:         _ZN7rocprim17ROCPRIM_400000_NS6detail17trampoline_kernelINS0_14default_configENS1_27scan_by_key_config_selectorIiiEEZZNS1_16scan_by_key_implILNS1_25lookback_scan_determinismE0ELb0ES3_N6thrust23THRUST_200600_302600_NS6detail15normal_iteratorINS9_10device_ptrIiEEEESE_SE_iNS9_10multipliesIiEENS9_8equal_toIiEEiEE10hipError_tPvRmT2_T3_T4_T5_mT6_T7_P12ihipStream_tbENKUlT_T0_E_clISt17integral_constantIbLb1EESY_IbLb0EEEEDaSU_SV_EUlSU_E_NS1_11comp_targetILNS1_3genE3ELNS1_11target_archE908ELNS1_3gpuE7ELNS1_3repE0EEENS1_30default_config_static_selectorELNS0_4arch9wavefront6targetE0EEEvT1_.kd
    .uniform_work_group_size: 1
    .uses_dynamic_stack: false
    .vgpr_count:     0
    .vgpr_spill_count: 0
    .wavefront_size: 32
    .workgroup_processor_mode: 1
  - .args:
      - .offset:         0
        .size:           112
        .value_kind:     by_value
    .group_segment_fixed_size: 0
    .kernarg_segment_align: 8
    .kernarg_segment_size: 112
    .language:       OpenCL C
    .language_version:
      - 2
      - 0
    .max_flat_workgroup_size: 256
    .name:           _ZN7rocprim17ROCPRIM_400000_NS6detail17trampoline_kernelINS0_14default_configENS1_27scan_by_key_config_selectorIiiEEZZNS1_16scan_by_key_implILNS1_25lookback_scan_determinismE0ELb0ES3_N6thrust23THRUST_200600_302600_NS6detail15normal_iteratorINS9_10device_ptrIiEEEESE_SE_iNS9_10multipliesIiEENS9_8equal_toIiEEiEE10hipError_tPvRmT2_T3_T4_T5_mT6_T7_P12ihipStream_tbENKUlT_T0_E_clISt17integral_constantIbLb1EESY_IbLb0EEEEDaSU_SV_EUlSU_E_NS1_11comp_targetILNS1_3genE2ELNS1_11target_archE906ELNS1_3gpuE6ELNS1_3repE0EEENS1_30default_config_static_selectorELNS0_4arch9wavefront6targetE0EEEvT1_
    .private_segment_fixed_size: 0
    .sgpr_count:     0
    .sgpr_spill_count: 0
    .symbol:         _ZN7rocprim17ROCPRIM_400000_NS6detail17trampoline_kernelINS0_14default_configENS1_27scan_by_key_config_selectorIiiEEZZNS1_16scan_by_key_implILNS1_25lookback_scan_determinismE0ELb0ES3_N6thrust23THRUST_200600_302600_NS6detail15normal_iteratorINS9_10device_ptrIiEEEESE_SE_iNS9_10multipliesIiEENS9_8equal_toIiEEiEE10hipError_tPvRmT2_T3_T4_T5_mT6_T7_P12ihipStream_tbENKUlT_T0_E_clISt17integral_constantIbLb1EESY_IbLb0EEEEDaSU_SV_EUlSU_E_NS1_11comp_targetILNS1_3genE2ELNS1_11target_archE906ELNS1_3gpuE6ELNS1_3repE0EEENS1_30default_config_static_selectorELNS0_4arch9wavefront6targetE0EEEvT1_.kd
    .uniform_work_group_size: 1
    .uses_dynamic_stack: false
    .vgpr_count:     0
    .vgpr_spill_count: 0
    .wavefront_size: 32
    .workgroup_processor_mode: 1
  - .args:
      - .offset:         0
        .size:           112
        .value_kind:     by_value
    .group_segment_fixed_size: 0
    .kernarg_segment_align: 8
    .kernarg_segment_size: 112
    .language:       OpenCL C
    .language_version:
      - 2
      - 0
    .max_flat_workgroup_size: 256
    .name:           _ZN7rocprim17ROCPRIM_400000_NS6detail17trampoline_kernelINS0_14default_configENS1_27scan_by_key_config_selectorIiiEEZZNS1_16scan_by_key_implILNS1_25lookback_scan_determinismE0ELb0ES3_N6thrust23THRUST_200600_302600_NS6detail15normal_iteratorINS9_10device_ptrIiEEEESE_SE_iNS9_10multipliesIiEENS9_8equal_toIiEEiEE10hipError_tPvRmT2_T3_T4_T5_mT6_T7_P12ihipStream_tbENKUlT_T0_E_clISt17integral_constantIbLb1EESY_IbLb0EEEEDaSU_SV_EUlSU_E_NS1_11comp_targetILNS1_3genE10ELNS1_11target_archE1200ELNS1_3gpuE4ELNS1_3repE0EEENS1_30default_config_static_selectorELNS0_4arch9wavefront6targetE0EEEvT1_
    .private_segment_fixed_size: 0
    .sgpr_count:     0
    .sgpr_spill_count: 0
    .symbol:         _ZN7rocprim17ROCPRIM_400000_NS6detail17trampoline_kernelINS0_14default_configENS1_27scan_by_key_config_selectorIiiEEZZNS1_16scan_by_key_implILNS1_25lookback_scan_determinismE0ELb0ES3_N6thrust23THRUST_200600_302600_NS6detail15normal_iteratorINS9_10device_ptrIiEEEESE_SE_iNS9_10multipliesIiEENS9_8equal_toIiEEiEE10hipError_tPvRmT2_T3_T4_T5_mT6_T7_P12ihipStream_tbENKUlT_T0_E_clISt17integral_constantIbLb1EESY_IbLb0EEEEDaSU_SV_EUlSU_E_NS1_11comp_targetILNS1_3genE10ELNS1_11target_archE1200ELNS1_3gpuE4ELNS1_3repE0EEENS1_30default_config_static_selectorELNS0_4arch9wavefront6targetE0EEEvT1_.kd
    .uniform_work_group_size: 1
    .uses_dynamic_stack: false
    .vgpr_count:     0
    .vgpr_spill_count: 0
    .wavefront_size: 32
    .workgroup_processor_mode: 1
  - .args:
      - .offset:         0
        .size:           112
        .value_kind:     by_value
    .group_segment_fixed_size: 0
    .kernarg_segment_align: 8
    .kernarg_segment_size: 112
    .language:       OpenCL C
    .language_version:
      - 2
      - 0
    .max_flat_workgroup_size: 256
    .name:           _ZN7rocprim17ROCPRIM_400000_NS6detail17trampoline_kernelINS0_14default_configENS1_27scan_by_key_config_selectorIiiEEZZNS1_16scan_by_key_implILNS1_25lookback_scan_determinismE0ELb0ES3_N6thrust23THRUST_200600_302600_NS6detail15normal_iteratorINS9_10device_ptrIiEEEESE_SE_iNS9_10multipliesIiEENS9_8equal_toIiEEiEE10hipError_tPvRmT2_T3_T4_T5_mT6_T7_P12ihipStream_tbENKUlT_T0_E_clISt17integral_constantIbLb1EESY_IbLb0EEEEDaSU_SV_EUlSU_E_NS1_11comp_targetILNS1_3genE9ELNS1_11target_archE1100ELNS1_3gpuE3ELNS1_3repE0EEENS1_30default_config_static_selectorELNS0_4arch9wavefront6targetE0EEEvT1_
    .private_segment_fixed_size: 0
    .sgpr_count:     0
    .sgpr_spill_count: 0
    .symbol:         _ZN7rocprim17ROCPRIM_400000_NS6detail17trampoline_kernelINS0_14default_configENS1_27scan_by_key_config_selectorIiiEEZZNS1_16scan_by_key_implILNS1_25lookback_scan_determinismE0ELb0ES3_N6thrust23THRUST_200600_302600_NS6detail15normal_iteratorINS9_10device_ptrIiEEEESE_SE_iNS9_10multipliesIiEENS9_8equal_toIiEEiEE10hipError_tPvRmT2_T3_T4_T5_mT6_T7_P12ihipStream_tbENKUlT_T0_E_clISt17integral_constantIbLb1EESY_IbLb0EEEEDaSU_SV_EUlSU_E_NS1_11comp_targetILNS1_3genE9ELNS1_11target_archE1100ELNS1_3gpuE3ELNS1_3repE0EEENS1_30default_config_static_selectorELNS0_4arch9wavefront6targetE0EEEvT1_.kd
    .uniform_work_group_size: 1
    .uses_dynamic_stack: false
    .vgpr_count:     0
    .vgpr_spill_count: 0
    .wavefront_size: 32
    .workgroup_processor_mode: 1
  - .args:
      - .offset:         0
        .size:           112
        .value_kind:     by_value
    .group_segment_fixed_size: 0
    .kernarg_segment_align: 8
    .kernarg_segment_size: 112
    .language:       OpenCL C
    .language_version:
      - 2
      - 0
    .max_flat_workgroup_size: 256
    .name:           _ZN7rocprim17ROCPRIM_400000_NS6detail17trampoline_kernelINS0_14default_configENS1_27scan_by_key_config_selectorIiiEEZZNS1_16scan_by_key_implILNS1_25lookback_scan_determinismE0ELb0ES3_N6thrust23THRUST_200600_302600_NS6detail15normal_iteratorINS9_10device_ptrIiEEEESE_SE_iNS9_10multipliesIiEENS9_8equal_toIiEEiEE10hipError_tPvRmT2_T3_T4_T5_mT6_T7_P12ihipStream_tbENKUlT_T0_E_clISt17integral_constantIbLb1EESY_IbLb0EEEEDaSU_SV_EUlSU_E_NS1_11comp_targetILNS1_3genE8ELNS1_11target_archE1030ELNS1_3gpuE2ELNS1_3repE0EEENS1_30default_config_static_selectorELNS0_4arch9wavefront6targetE0EEEvT1_
    .private_segment_fixed_size: 0
    .sgpr_count:     0
    .sgpr_spill_count: 0
    .symbol:         _ZN7rocprim17ROCPRIM_400000_NS6detail17trampoline_kernelINS0_14default_configENS1_27scan_by_key_config_selectorIiiEEZZNS1_16scan_by_key_implILNS1_25lookback_scan_determinismE0ELb0ES3_N6thrust23THRUST_200600_302600_NS6detail15normal_iteratorINS9_10device_ptrIiEEEESE_SE_iNS9_10multipliesIiEENS9_8equal_toIiEEiEE10hipError_tPvRmT2_T3_T4_T5_mT6_T7_P12ihipStream_tbENKUlT_T0_E_clISt17integral_constantIbLb1EESY_IbLb0EEEEDaSU_SV_EUlSU_E_NS1_11comp_targetILNS1_3genE8ELNS1_11target_archE1030ELNS1_3gpuE2ELNS1_3repE0EEENS1_30default_config_static_selectorELNS0_4arch9wavefront6targetE0EEEvT1_.kd
    .uniform_work_group_size: 1
    .uses_dynamic_stack: false
    .vgpr_count:     0
    .vgpr_spill_count: 0
    .wavefront_size: 32
    .workgroup_processor_mode: 1
  - .args:
      - .offset:         0
        .size:           112
        .value_kind:     by_value
    .group_segment_fixed_size: 0
    .kernarg_segment_align: 8
    .kernarg_segment_size: 112
    .language:       OpenCL C
    .language_version:
      - 2
      - 0
    .max_flat_workgroup_size: 256
    .name:           _ZN7rocprim17ROCPRIM_400000_NS6detail17trampoline_kernelINS0_14default_configENS1_27scan_by_key_config_selectorIiiEEZZNS1_16scan_by_key_implILNS1_25lookback_scan_determinismE0ELb0ES3_N6thrust23THRUST_200600_302600_NS6detail15normal_iteratorINS9_10device_ptrIiEEEESE_SE_iNS9_10multipliesIiEENS9_8equal_toIiEEiEE10hipError_tPvRmT2_T3_T4_T5_mT6_T7_P12ihipStream_tbENKUlT_T0_E_clISt17integral_constantIbLb0EESY_IbLb1EEEEDaSU_SV_EUlSU_E_NS1_11comp_targetILNS1_3genE0ELNS1_11target_archE4294967295ELNS1_3gpuE0ELNS1_3repE0EEENS1_30default_config_static_selectorELNS0_4arch9wavefront6targetE0EEEvT1_
    .private_segment_fixed_size: 0
    .sgpr_count:     0
    .sgpr_spill_count: 0
    .symbol:         _ZN7rocprim17ROCPRIM_400000_NS6detail17trampoline_kernelINS0_14default_configENS1_27scan_by_key_config_selectorIiiEEZZNS1_16scan_by_key_implILNS1_25lookback_scan_determinismE0ELb0ES3_N6thrust23THRUST_200600_302600_NS6detail15normal_iteratorINS9_10device_ptrIiEEEESE_SE_iNS9_10multipliesIiEENS9_8equal_toIiEEiEE10hipError_tPvRmT2_T3_T4_T5_mT6_T7_P12ihipStream_tbENKUlT_T0_E_clISt17integral_constantIbLb0EESY_IbLb1EEEEDaSU_SV_EUlSU_E_NS1_11comp_targetILNS1_3genE0ELNS1_11target_archE4294967295ELNS1_3gpuE0ELNS1_3repE0EEENS1_30default_config_static_selectorELNS0_4arch9wavefront6targetE0EEEvT1_.kd
    .uniform_work_group_size: 1
    .uses_dynamic_stack: false
    .vgpr_count:     0
    .vgpr_spill_count: 0
    .wavefront_size: 32
    .workgroup_processor_mode: 1
  - .args:
      - .offset:         0
        .size:           112
        .value_kind:     by_value
    .group_segment_fixed_size: 0
    .kernarg_segment_align: 8
    .kernarg_segment_size: 112
    .language:       OpenCL C
    .language_version:
      - 2
      - 0
    .max_flat_workgroup_size: 256
    .name:           _ZN7rocprim17ROCPRIM_400000_NS6detail17trampoline_kernelINS0_14default_configENS1_27scan_by_key_config_selectorIiiEEZZNS1_16scan_by_key_implILNS1_25lookback_scan_determinismE0ELb0ES3_N6thrust23THRUST_200600_302600_NS6detail15normal_iteratorINS9_10device_ptrIiEEEESE_SE_iNS9_10multipliesIiEENS9_8equal_toIiEEiEE10hipError_tPvRmT2_T3_T4_T5_mT6_T7_P12ihipStream_tbENKUlT_T0_E_clISt17integral_constantIbLb0EESY_IbLb1EEEEDaSU_SV_EUlSU_E_NS1_11comp_targetILNS1_3genE10ELNS1_11target_archE1201ELNS1_3gpuE5ELNS1_3repE0EEENS1_30default_config_static_selectorELNS0_4arch9wavefront6targetE0EEEvT1_
    .private_segment_fixed_size: 0
    .sgpr_count:     0
    .sgpr_spill_count: 0
    .symbol:         _ZN7rocprim17ROCPRIM_400000_NS6detail17trampoline_kernelINS0_14default_configENS1_27scan_by_key_config_selectorIiiEEZZNS1_16scan_by_key_implILNS1_25lookback_scan_determinismE0ELb0ES3_N6thrust23THRUST_200600_302600_NS6detail15normal_iteratorINS9_10device_ptrIiEEEESE_SE_iNS9_10multipliesIiEENS9_8equal_toIiEEiEE10hipError_tPvRmT2_T3_T4_T5_mT6_T7_P12ihipStream_tbENKUlT_T0_E_clISt17integral_constantIbLb0EESY_IbLb1EEEEDaSU_SV_EUlSU_E_NS1_11comp_targetILNS1_3genE10ELNS1_11target_archE1201ELNS1_3gpuE5ELNS1_3repE0EEENS1_30default_config_static_selectorELNS0_4arch9wavefront6targetE0EEEvT1_.kd
    .uniform_work_group_size: 1
    .uses_dynamic_stack: false
    .vgpr_count:     0
    .vgpr_spill_count: 0
    .wavefront_size: 32
    .workgroup_processor_mode: 1
  - .args:
      - .offset:         0
        .size:           112
        .value_kind:     by_value
    .group_segment_fixed_size: 0
    .kernarg_segment_align: 8
    .kernarg_segment_size: 112
    .language:       OpenCL C
    .language_version:
      - 2
      - 0
    .max_flat_workgroup_size: 256
    .name:           _ZN7rocprim17ROCPRIM_400000_NS6detail17trampoline_kernelINS0_14default_configENS1_27scan_by_key_config_selectorIiiEEZZNS1_16scan_by_key_implILNS1_25lookback_scan_determinismE0ELb0ES3_N6thrust23THRUST_200600_302600_NS6detail15normal_iteratorINS9_10device_ptrIiEEEESE_SE_iNS9_10multipliesIiEENS9_8equal_toIiEEiEE10hipError_tPvRmT2_T3_T4_T5_mT6_T7_P12ihipStream_tbENKUlT_T0_E_clISt17integral_constantIbLb0EESY_IbLb1EEEEDaSU_SV_EUlSU_E_NS1_11comp_targetILNS1_3genE5ELNS1_11target_archE942ELNS1_3gpuE9ELNS1_3repE0EEENS1_30default_config_static_selectorELNS0_4arch9wavefront6targetE0EEEvT1_
    .private_segment_fixed_size: 0
    .sgpr_count:     0
    .sgpr_spill_count: 0
    .symbol:         _ZN7rocprim17ROCPRIM_400000_NS6detail17trampoline_kernelINS0_14default_configENS1_27scan_by_key_config_selectorIiiEEZZNS1_16scan_by_key_implILNS1_25lookback_scan_determinismE0ELb0ES3_N6thrust23THRUST_200600_302600_NS6detail15normal_iteratorINS9_10device_ptrIiEEEESE_SE_iNS9_10multipliesIiEENS9_8equal_toIiEEiEE10hipError_tPvRmT2_T3_T4_T5_mT6_T7_P12ihipStream_tbENKUlT_T0_E_clISt17integral_constantIbLb0EESY_IbLb1EEEEDaSU_SV_EUlSU_E_NS1_11comp_targetILNS1_3genE5ELNS1_11target_archE942ELNS1_3gpuE9ELNS1_3repE0EEENS1_30default_config_static_selectorELNS0_4arch9wavefront6targetE0EEEvT1_.kd
    .uniform_work_group_size: 1
    .uses_dynamic_stack: false
    .vgpr_count:     0
    .vgpr_spill_count: 0
    .wavefront_size: 32
    .workgroup_processor_mode: 1
  - .args:
      - .offset:         0
        .size:           112
        .value_kind:     by_value
    .group_segment_fixed_size: 0
    .kernarg_segment_align: 8
    .kernarg_segment_size: 112
    .language:       OpenCL C
    .language_version:
      - 2
      - 0
    .max_flat_workgroup_size: 256
    .name:           _ZN7rocprim17ROCPRIM_400000_NS6detail17trampoline_kernelINS0_14default_configENS1_27scan_by_key_config_selectorIiiEEZZNS1_16scan_by_key_implILNS1_25lookback_scan_determinismE0ELb0ES3_N6thrust23THRUST_200600_302600_NS6detail15normal_iteratorINS9_10device_ptrIiEEEESE_SE_iNS9_10multipliesIiEENS9_8equal_toIiEEiEE10hipError_tPvRmT2_T3_T4_T5_mT6_T7_P12ihipStream_tbENKUlT_T0_E_clISt17integral_constantIbLb0EESY_IbLb1EEEEDaSU_SV_EUlSU_E_NS1_11comp_targetILNS1_3genE4ELNS1_11target_archE910ELNS1_3gpuE8ELNS1_3repE0EEENS1_30default_config_static_selectorELNS0_4arch9wavefront6targetE0EEEvT1_
    .private_segment_fixed_size: 0
    .sgpr_count:     0
    .sgpr_spill_count: 0
    .symbol:         _ZN7rocprim17ROCPRIM_400000_NS6detail17trampoline_kernelINS0_14default_configENS1_27scan_by_key_config_selectorIiiEEZZNS1_16scan_by_key_implILNS1_25lookback_scan_determinismE0ELb0ES3_N6thrust23THRUST_200600_302600_NS6detail15normal_iteratorINS9_10device_ptrIiEEEESE_SE_iNS9_10multipliesIiEENS9_8equal_toIiEEiEE10hipError_tPvRmT2_T3_T4_T5_mT6_T7_P12ihipStream_tbENKUlT_T0_E_clISt17integral_constantIbLb0EESY_IbLb1EEEEDaSU_SV_EUlSU_E_NS1_11comp_targetILNS1_3genE4ELNS1_11target_archE910ELNS1_3gpuE8ELNS1_3repE0EEENS1_30default_config_static_selectorELNS0_4arch9wavefront6targetE0EEEvT1_.kd
    .uniform_work_group_size: 1
    .uses_dynamic_stack: false
    .vgpr_count:     0
    .vgpr_spill_count: 0
    .wavefront_size: 32
    .workgroup_processor_mode: 1
  - .args:
      - .offset:         0
        .size:           112
        .value_kind:     by_value
    .group_segment_fixed_size: 0
    .kernarg_segment_align: 8
    .kernarg_segment_size: 112
    .language:       OpenCL C
    .language_version:
      - 2
      - 0
    .max_flat_workgroup_size: 256
    .name:           _ZN7rocprim17ROCPRIM_400000_NS6detail17trampoline_kernelINS0_14default_configENS1_27scan_by_key_config_selectorIiiEEZZNS1_16scan_by_key_implILNS1_25lookback_scan_determinismE0ELb0ES3_N6thrust23THRUST_200600_302600_NS6detail15normal_iteratorINS9_10device_ptrIiEEEESE_SE_iNS9_10multipliesIiEENS9_8equal_toIiEEiEE10hipError_tPvRmT2_T3_T4_T5_mT6_T7_P12ihipStream_tbENKUlT_T0_E_clISt17integral_constantIbLb0EESY_IbLb1EEEEDaSU_SV_EUlSU_E_NS1_11comp_targetILNS1_3genE3ELNS1_11target_archE908ELNS1_3gpuE7ELNS1_3repE0EEENS1_30default_config_static_selectorELNS0_4arch9wavefront6targetE0EEEvT1_
    .private_segment_fixed_size: 0
    .sgpr_count:     0
    .sgpr_spill_count: 0
    .symbol:         _ZN7rocprim17ROCPRIM_400000_NS6detail17trampoline_kernelINS0_14default_configENS1_27scan_by_key_config_selectorIiiEEZZNS1_16scan_by_key_implILNS1_25lookback_scan_determinismE0ELb0ES3_N6thrust23THRUST_200600_302600_NS6detail15normal_iteratorINS9_10device_ptrIiEEEESE_SE_iNS9_10multipliesIiEENS9_8equal_toIiEEiEE10hipError_tPvRmT2_T3_T4_T5_mT6_T7_P12ihipStream_tbENKUlT_T0_E_clISt17integral_constantIbLb0EESY_IbLb1EEEEDaSU_SV_EUlSU_E_NS1_11comp_targetILNS1_3genE3ELNS1_11target_archE908ELNS1_3gpuE7ELNS1_3repE0EEENS1_30default_config_static_selectorELNS0_4arch9wavefront6targetE0EEEvT1_.kd
    .uniform_work_group_size: 1
    .uses_dynamic_stack: false
    .vgpr_count:     0
    .vgpr_spill_count: 0
    .wavefront_size: 32
    .workgroup_processor_mode: 1
  - .args:
      - .offset:         0
        .size:           112
        .value_kind:     by_value
    .group_segment_fixed_size: 0
    .kernarg_segment_align: 8
    .kernarg_segment_size: 112
    .language:       OpenCL C
    .language_version:
      - 2
      - 0
    .max_flat_workgroup_size: 256
    .name:           _ZN7rocprim17ROCPRIM_400000_NS6detail17trampoline_kernelINS0_14default_configENS1_27scan_by_key_config_selectorIiiEEZZNS1_16scan_by_key_implILNS1_25lookback_scan_determinismE0ELb0ES3_N6thrust23THRUST_200600_302600_NS6detail15normal_iteratorINS9_10device_ptrIiEEEESE_SE_iNS9_10multipliesIiEENS9_8equal_toIiEEiEE10hipError_tPvRmT2_T3_T4_T5_mT6_T7_P12ihipStream_tbENKUlT_T0_E_clISt17integral_constantIbLb0EESY_IbLb1EEEEDaSU_SV_EUlSU_E_NS1_11comp_targetILNS1_3genE2ELNS1_11target_archE906ELNS1_3gpuE6ELNS1_3repE0EEENS1_30default_config_static_selectorELNS0_4arch9wavefront6targetE0EEEvT1_
    .private_segment_fixed_size: 0
    .sgpr_count:     0
    .sgpr_spill_count: 0
    .symbol:         _ZN7rocprim17ROCPRIM_400000_NS6detail17trampoline_kernelINS0_14default_configENS1_27scan_by_key_config_selectorIiiEEZZNS1_16scan_by_key_implILNS1_25lookback_scan_determinismE0ELb0ES3_N6thrust23THRUST_200600_302600_NS6detail15normal_iteratorINS9_10device_ptrIiEEEESE_SE_iNS9_10multipliesIiEENS9_8equal_toIiEEiEE10hipError_tPvRmT2_T3_T4_T5_mT6_T7_P12ihipStream_tbENKUlT_T0_E_clISt17integral_constantIbLb0EESY_IbLb1EEEEDaSU_SV_EUlSU_E_NS1_11comp_targetILNS1_3genE2ELNS1_11target_archE906ELNS1_3gpuE6ELNS1_3repE0EEENS1_30default_config_static_selectorELNS0_4arch9wavefront6targetE0EEEvT1_.kd
    .uniform_work_group_size: 1
    .uses_dynamic_stack: false
    .vgpr_count:     0
    .vgpr_spill_count: 0
    .wavefront_size: 32
    .workgroup_processor_mode: 1
  - .args:
      - .offset:         0
        .size:           112
        .value_kind:     by_value
    .group_segment_fixed_size: 0
    .kernarg_segment_align: 8
    .kernarg_segment_size: 112
    .language:       OpenCL C
    .language_version:
      - 2
      - 0
    .max_flat_workgroup_size: 256
    .name:           _ZN7rocprim17ROCPRIM_400000_NS6detail17trampoline_kernelINS0_14default_configENS1_27scan_by_key_config_selectorIiiEEZZNS1_16scan_by_key_implILNS1_25lookback_scan_determinismE0ELb0ES3_N6thrust23THRUST_200600_302600_NS6detail15normal_iteratorINS9_10device_ptrIiEEEESE_SE_iNS9_10multipliesIiEENS9_8equal_toIiEEiEE10hipError_tPvRmT2_T3_T4_T5_mT6_T7_P12ihipStream_tbENKUlT_T0_E_clISt17integral_constantIbLb0EESY_IbLb1EEEEDaSU_SV_EUlSU_E_NS1_11comp_targetILNS1_3genE10ELNS1_11target_archE1200ELNS1_3gpuE4ELNS1_3repE0EEENS1_30default_config_static_selectorELNS0_4arch9wavefront6targetE0EEEvT1_
    .private_segment_fixed_size: 0
    .sgpr_count:     0
    .sgpr_spill_count: 0
    .symbol:         _ZN7rocprim17ROCPRIM_400000_NS6detail17trampoline_kernelINS0_14default_configENS1_27scan_by_key_config_selectorIiiEEZZNS1_16scan_by_key_implILNS1_25lookback_scan_determinismE0ELb0ES3_N6thrust23THRUST_200600_302600_NS6detail15normal_iteratorINS9_10device_ptrIiEEEESE_SE_iNS9_10multipliesIiEENS9_8equal_toIiEEiEE10hipError_tPvRmT2_T3_T4_T5_mT6_T7_P12ihipStream_tbENKUlT_T0_E_clISt17integral_constantIbLb0EESY_IbLb1EEEEDaSU_SV_EUlSU_E_NS1_11comp_targetILNS1_3genE10ELNS1_11target_archE1200ELNS1_3gpuE4ELNS1_3repE0EEENS1_30default_config_static_selectorELNS0_4arch9wavefront6targetE0EEEvT1_.kd
    .uniform_work_group_size: 1
    .uses_dynamic_stack: false
    .vgpr_count:     0
    .vgpr_spill_count: 0
    .wavefront_size: 32
    .workgroup_processor_mode: 1
  - .args:
      - .offset:         0
        .size:           112
        .value_kind:     by_value
    .group_segment_fixed_size: 0
    .kernarg_segment_align: 8
    .kernarg_segment_size: 112
    .language:       OpenCL C
    .language_version:
      - 2
      - 0
    .max_flat_workgroup_size: 256
    .name:           _ZN7rocprim17ROCPRIM_400000_NS6detail17trampoline_kernelINS0_14default_configENS1_27scan_by_key_config_selectorIiiEEZZNS1_16scan_by_key_implILNS1_25lookback_scan_determinismE0ELb0ES3_N6thrust23THRUST_200600_302600_NS6detail15normal_iteratorINS9_10device_ptrIiEEEESE_SE_iNS9_10multipliesIiEENS9_8equal_toIiEEiEE10hipError_tPvRmT2_T3_T4_T5_mT6_T7_P12ihipStream_tbENKUlT_T0_E_clISt17integral_constantIbLb0EESY_IbLb1EEEEDaSU_SV_EUlSU_E_NS1_11comp_targetILNS1_3genE9ELNS1_11target_archE1100ELNS1_3gpuE3ELNS1_3repE0EEENS1_30default_config_static_selectorELNS0_4arch9wavefront6targetE0EEEvT1_
    .private_segment_fixed_size: 0
    .sgpr_count:     0
    .sgpr_spill_count: 0
    .symbol:         _ZN7rocprim17ROCPRIM_400000_NS6detail17trampoline_kernelINS0_14default_configENS1_27scan_by_key_config_selectorIiiEEZZNS1_16scan_by_key_implILNS1_25lookback_scan_determinismE0ELb0ES3_N6thrust23THRUST_200600_302600_NS6detail15normal_iteratorINS9_10device_ptrIiEEEESE_SE_iNS9_10multipliesIiEENS9_8equal_toIiEEiEE10hipError_tPvRmT2_T3_T4_T5_mT6_T7_P12ihipStream_tbENKUlT_T0_E_clISt17integral_constantIbLb0EESY_IbLb1EEEEDaSU_SV_EUlSU_E_NS1_11comp_targetILNS1_3genE9ELNS1_11target_archE1100ELNS1_3gpuE3ELNS1_3repE0EEENS1_30default_config_static_selectorELNS0_4arch9wavefront6targetE0EEEvT1_.kd
    .uniform_work_group_size: 1
    .uses_dynamic_stack: false
    .vgpr_count:     0
    .vgpr_spill_count: 0
    .wavefront_size: 32
    .workgroup_processor_mode: 1
  - .args:
      - .offset:         0
        .size:           112
        .value_kind:     by_value
    .group_segment_fixed_size: 5120
    .kernarg_segment_align: 8
    .kernarg_segment_size: 112
    .language:       OpenCL C
    .language_version:
      - 2
      - 0
    .max_flat_workgroup_size: 256
    .name:           _ZN7rocprim17ROCPRIM_400000_NS6detail17trampoline_kernelINS0_14default_configENS1_27scan_by_key_config_selectorIiiEEZZNS1_16scan_by_key_implILNS1_25lookback_scan_determinismE0ELb0ES3_N6thrust23THRUST_200600_302600_NS6detail15normal_iteratorINS9_10device_ptrIiEEEESE_SE_iNS9_10multipliesIiEENS9_8equal_toIiEEiEE10hipError_tPvRmT2_T3_T4_T5_mT6_T7_P12ihipStream_tbENKUlT_T0_E_clISt17integral_constantIbLb0EESY_IbLb1EEEEDaSU_SV_EUlSU_E_NS1_11comp_targetILNS1_3genE8ELNS1_11target_archE1030ELNS1_3gpuE2ELNS1_3repE0EEENS1_30default_config_static_selectorELNS0_4arch9wavefront6targetE0EEEvT1_
    .private_segment_fixed_size: 0
    .sgpr_count:     36
    .sgpr_spill_count: 0
    .symbol:         _ZN7rocprim17ROCPRIM_400000_NS6detail17trampoline_kernelINS0_14default_configENS1_27scan_by_key_config_selectorIiiEEZZNS1_16scan_by_key_implILNS1_25lookback_scan_determinismE0ELb0ES3_N6thrust23THRUST_200600_302600_NS6detail15normal_iteratorINS9_10device_ptrIiEEEESE_SE_iNS9_10multipliesIiEENS9_8equal_toIiEEiEE10hipError_tPvRmT2_T3_T4_T5_mT6_T7_P12ihipStream_tbENKUlT_T0_E_clISt17integral_constantIbLb0EESY_IbLb1EEEEDaSU_SV_EUlSU_E_NS1_11comp_targetILNS1_3genE8ELNS1_11target_archE1030ELNS1_3gpuE2ELNS1_3repE0EEENS1_30default_config_static_selectorELNS0_4arch9wavefront6targetE0EEEvT1_.kd
    .uniform_work_group_size: 1
    .uses_dynamic_stack: false
    .vgpr_count:     39
    .vgpr_spill_count: 0
    .wavefront_size: 32
    .workgroup_processor_mode: 1
  - .args:
      - .offset:         0
        .size:           112
        .value_kind:     by_value
    .group_segment_fixed_size: 0
    .kernarg_segment_align: 8
    .kernarg_segment_size: 112
    .language:       OpenCL C
    .language_version:
      - 2
      - 0
    .max_flat_workgroup_size: 256
    .name:           _ZN7rocprim17ROCPRIM_400000_NS6detail17trampoline_kernelINS0_14default_configENS1_27scan_by_key_config_selectorIiiEEZZNS1_16scan_by_key_implILNS1_25lookback_scan_determinismE0ELb0ES3_N6thrust23THRUST_200600_302600_NS6detail15normal_iteratorINS9_10device_ptrIiEEEESE_SE_iNS9_4plusIvEENS9_8equal_toIiEEiEE10hipError_tPvRmT2_T3_T4_T5_mT6_T7_P12ihipStream_tbENKUlT_T0_E_clISt17integral_constantIbLb0EESZ_EEDaSU_SV_EUlSU_E_NS1_11comp_targetILNS1_3genE0ELNS1_11target_archE4294967295ELNS1_3gpuE0ELNS1_3repE0EEENS1_30default_config_static_selectorELNS0_4arch9wavefront6targetE0EEEvT1_
    .private_segment_fixed_size: 0
    .sgpr_count:     0
    .sgpr_spill_count: 0
    .symbol:         _ZN7rocprim17ROCPRIM_400000_NS6detail17trampoline_kernelINS0_14default_configENS1_27scan_by_key_config_selectorIiiEEZZNS1_16scan_by_key_implILNS1_25lookback_scan_determinismE0ELb0ES3_N6thrust23THRUST_200600_302600_NS6detail15normal_iteratorINS9_10device_ptrIiEEEESE_SE_iNS9_4plusIvEENS9_8equal_toIiEEiEE10hipError_tPvRmT2_T3_T4_T5_mT6_T7_P12ihipStream_tbENKUlT_T0_E_clISt17integral_constantIbLb0EESZ_EEDaSU_SV_EUlSU_E_NS1_11comp_targetILNS1_3genE0ELNS1_11target_archE4294967295ELNS1_3gpuE0ELNS1_3repE0EEENS1_30default_config_static_selectorELNS0_4arch9wavefront6targetE0EEEvT1_.kd
    .uniform_work_group_size: 1
    .uses_dynamic_stack: false
    .vgpr_count:     0
    .vgpr_spill_count: 0
    .wavefront_size: 32
    .workgroup_processor_mode: 1
  - .args:
      - .offset:         0
        .size:           112
        .value_kind:     by_value
    .group_segment_fixed_size: 0
    .kernarg_segment_align: 8
    .kernarg_segment_size: 112
    .language:       OpenCL C
    .language_version:
      - 2
      - 0
    .max_flat_workgroup_size: 256
    .name:           _ZN7rocprim17ROCPRIM_400000_NS6detail17trampoline_kernelINS0_14default_configENS1_27scan_by_key_config_selectorIiiEEZZNS1_16scan_by_key_implILNS1_25lookback_scan_determinismE0ELb0ES3_N6thrust23THRUST_200600_302600_NS6detail15normal_iteratorINS9_10device_ptrIiEEEESE_SE_iNS9_4plusIvEENS9_8equal_toIiEEiEE10hipError_tPvRmT2_T3_T4_T5_mT6_T7_P12ihipStream_tbENKUlT_T0_E_clISt17integral_constantIbLb0EESZ_EEDaSU_SV_EUlSU_E_NS1_11comp_targetILNS1_3genE10ELNS1_11target_archE1201ELNS1_3gpuE5ELNS1_3repE0EEENS1_30default_config_static_selectorELNS0_4arch9wavefront6targetE0EEEvT1_
    .private_segment_fixed_size: 0
    .sgpr_count:     0
    .sgpr_spill_count: 0
    .symbol:         _ZN7rocprim17ROCPRIM_400000_NS6detail17trampoline_kernelINS0_14default_configENS1_27scan_by_key_config_selectorIiiEEZZNS1_16scan_by_key_implILNS1_25lookback_scan_determinismE0ELb0ES3_N6thrust23THRUST_200600_302600_NS6detail15normal_iteratorINS9_10device_ptrIiEEEESE_SE_iNS9_4plusIvEENS9_8equal_toIiEEiEE10hipError_tPvRmT2_T3_T4_T5_mT6_T7_P12ihipStream_tbENKUlT_T0_E_clISt17integral_constantIbLb0EESZ_EEDaSU_SV_EUlSU_E_NS1_11comp_targetILNS1_3genE10ELNS1_11target_archE1201ELNS1_3gpuE5ELNS1_3repE0EEENS1_30default_config_static_selectorELNS0_4arch9wavefront6targetE0EEEvT1_.kd
    .uniform_work_group_size: 1
    .uses_dynamic_stack: false
    .vgpr_count:     0
    .vgpr_spill_count: 0
    .wavefront_size: 32
    .workgroup_processor_mode: 1
  - .args:
      - .offset:         0
        .size:           112
        .value_kind:     by_value
    .group_segment_fixed_size: 0
    .kernarg_segment_align: 8
    .kernarg_segment_size: 112
    .language:       OpenCL C
    .language_version:
      - 2
      - 0
    .max_flat_workgroup_size: 256
    .name:           _ZN7rocprim17ROCPRIM_400000_NS6detail17trampoline_kernelINS0_14default_configENS1_27scan_by_key_config_selectorIiiEEZZNS1_16scan_by_key_implILNS1_25lookback_scan_determinismE0ELb0ES3_N6thrust23THRUST_200600_302600_NS6detail15normal_iteratorINS9_10device_ptrIiEEEESE_SE_iNS9_4plusIvEENS9_8equal_toIiEEiEE10hipError_tPvRmT2_T3_T4_T5_mT6_T7_P12ihipStream_tbENKUlT_T0_E_clISt17integral_constantIbLb0EESZ_EEDaSU_SV_EUlSU_E_NS1_11comp_targetILNS1_3genE5ELNS1_11target_archE942ELNS1_3gpuE9ELNS1_3repE0EEENS1_30default_config_static_selectorELNS0_4arch9wavefront6targetE0EEEvT1_
    .private_segment_fixed_size: 0
    .sgpr_count:     0
    .sgpr_spill_count: 0
    .symbol:         _ZN7rocprim17ROCPRIM_400000_NS6detail17trampoline_kernelINS0_14default_configENS1_27scan_by_key_config_selectorIiiEEZZNS1_16scan_by_key_implILNS1_25lookback_scan_determinismE0ELb0ES3_N6thrust23THRUST_200600_302600_NS6detail15normal_iteratorINS9_10device_ptrIiEEEESE_SE_iNS9_4plusIvEENS9_8equal_toIiEEiEE10hipError_tPvRmT2_T3_T4_T5_mT6_T7_P12ihipStream_tbENKUlT_T0_E_clISt17integral_constantIbLb0EESZ_EEDaSU_SV_EUlSU_E_NS1_11comp_targetILNS1_3genE5ELNS1_11target_archE942ELNS1_3gpuE9ELNS1_3repE0EEENS1_30default_config_static_selectorELNS0_4arch9wavefront6targetE0EEEvT1_.kd
    .uniform_work_group_size: 1
    .uses_dynamic_stack: false
    .vgpr_count:     0
    .vgpr_spill_count: 0
    .wavefront_size: 32
    .workgroup_processor_mode: 1
  - .args:
      - .offset:         0
        .size:           112
        .value_kind:     by_value
    .group_segment_fixed_size: 0
    .kernarg_segment_align: 8
    .kernarg_segment_size: 112
    .language:       OpenCL C
    .language_version:
      - 2
      - 0
    .max_flat_workgroup_size: 256
    .name:           _ZN7rocprim17ROCPRIM_400000_NS6detail17trampoline_kernelINS0_14default_configENS1_27scan_by_key_config_selectorIiiEEZZNS1_16scan_by_key_implILNS1_25lookback_scan_determinismE0ELb0ES3_N6thrust23THRUST_200600_302600_NS6detail15normal_iteratorINS9_10device_ptrIiEEEESE_SE_iNS9_4plusIvEENS9_8equal_toIiEEiEE10hipError_tPvRmT2_T3_T4_T5_mT6_T7_P12ihipStream_tbENKUlT_T0_E_clISt17integral_constantIbLb0EESZ_EEDaSU_SV_EUlSU_E_NS1_11comp_targetILNS1_3genE4ELNS1_11target_archE910ELNS1_3gpuE8ELNS1_3repE0EEENS1_30default_config_static_selectorELNS0_4arch9wavefront6targetE0EEEvT1_
    .private_segment_fixed_size: 0
    .sgpr_count:     0
    .sgpr_spill_count: 0
    .symbol:         _ZN7rocprim17ROCPRIM_400000_NS6detail17trampoline_kernelINS0_14default_configENS1_27scan_by_key_config_selectorIiiEEZZNS1_16scan_by_key_implILNS1_25lookback_scan_determinismE0ELb0ES3_N6thrust23THRUST_200600_302600_NS6detail15normal_iteratorINS9_10device_ptrIiEEEESE_SE_iNS9_4plusIvEENS9_8equal_toIiEEiEE10hipError_tPvRmT2_T3_T4_T5_mT6_T7_P12ihipStream_tbENKUlT_T0_E_clISt17integral_constantIbLb0EESZ_EEDaSU_SV_EUlSU_E_NS1_11comp_targetILNS1_3genE4ELNS1_11target_archE910ELNS1_3gpuE8ELNS1_3repE0EEENS1_30default_config_static_selectorELNS0_4arch9wavefront6targetE0EEEvT1_.kd
    .uniform_work_group_size: 1
    .uses_dynamic_stack: false
    .vgpr_count:     0
    .vgpr_spill_count: 0
    .wavefront_size: 32
    .workgroup_processor_mode: 1
  - .args:
      - .offset:         0
        .size:           112
        .value_kind:     by_value
    .group_segment_fixed_size: 0
    .kernarg_segment_align: 8
    .kernarg_segment_size: 112
    .language:       OpenCL C
    .language_version:
      - 2
      - 0
    .max_flat_workgroup_size: 256
    .name:           _ZN7rocprim17ROCPRIM_400000_NS6detail17trampoline_kernelINS0_14default_configENS1_27scan_by_key_config_selectorIiiEEZZNS1_16scan_by_key_implILNS1_25lookback_scan_determinismE0ELb0ES3_N6thrust23THRUST_200600_302600_NS6detail15normal_iteratorINS9_10device_ptrIiEEEESE_SE_iNS9_4plusIvEENS9_8equal_toIiEEiEE10hipError_tPvRmT2_T3_T4_T5_mT6_T7_P12ihipStream_tbENKUlT_T0_E_clISt17integral_constantIbLb0EESZ_EEDaSU_SV_EUlSU_E_NS1_11comp_targetILNS1_3genE3ELNS1_11target_archE908ELNS1_3gpuE7ELNS1_3repE0EEENS1_30default_config_static_selectorELNS0_4arch9wavefront6targetE0EEEvT1_
    .private_segment_fixed_size: 0
    .sgpr_count:     0
    .sgpr_spill_count: 0
    .symbol:         _ZN7rocprim17ROCPRIM_400000_NS6detail17trampoline_kernelINS0_14default_configENS1_27scan_by_key_config_selectorIiiEEZZNS1_16scan_by_key_implILNS1_25lookback_scan_determinismE0ELb0ES3_N6thrust23THRUST_200600_302600_NS6detail15normal_iteratorINS9_10device_ptrIiEEEESE_SE_iNS9_4plusIvEENS9_8equal_toIiEEiEE10hipError_tPvRmT2_T3_T4_T5_mT6_T7_P12ihipStream_tbENKUlT_T0_E_clISt17integral_constantIbLb0EESZ_EEDaSU_SV_EUlSU_E_NS1_11comp_targetILNS1_3genE3ELNS1_11target_archE908ELNS1_3gpuE7ELNS1_3repE0EEENS1_30default_config_static_selectorELNS0_4arch9wavefront6targetE0EEEvT1_.kd
    .uniform_work_group_size: 1
    .uses_dynamic_stack: false
    .vgpr_count:     0
    .vgpr_spill_count: 0
    .wavefront_size: 32
    .workgroup_processor_mode: 1
  - .args:
      - .offset:         0
        .size:           112
        .value_kind:     by_value
    .group_segment_fixed_size: 0
    .kernarg_segment_align: 8
    .kernarg_segment_size: 112
    .language:       OpenCL C
    .language_version:
      - 2
      - 0
    .max_flat_workgroup_size: 256
    .name:           _ZN7rocprim17ROCPRIM_400000_NS6detail17trampoline_kernelINS0_14default_configENS1_27scan_by_key_config_selectorIiiEEZZNS1_16scan_by_key_implILNS1_25lookback_scan_determinismE0ELb0ES3_N6thrust23THRUST_200600_302600_NS6detail15normal_iteratorINS9_10device_ptrIiEEEESE_SE_iNS9_4plusIvEENS9_8equal_toIiEEiEE10hipError_tPvRmT2_T3_T4_T5_mT6_T7_P12ihipStream_tbENKUlT_T0_E_clISt17integral_constantIbLb0EESZ_EEDaSU_SV_EUlSU_E_NS1_11comp_targetILNS1_3genE2ELNS1_11target_archE906ELNS1_3gpuE6ELNS1_3repE0EEENS1_30default_config_static_selectorELNS0_4arch9wavefront6targetE0EEEvT1_
    .private_segment_fixed_size: 0
    .sgpr_count:     0
    .sgpr_spill_count: 0
    .symbol:         _ZN7rocprim17ROCPRIM_400000_NS6detail17trampoline_kernelINS0_14default_configENS1_27scan_by_key_config_selectorIiiEEZZNS1_16scan_by_key_implILNS1_25lookback_scan_determinismE0ELb0ES3_N6thrust23THRUST_200600_302600_NS6detail15normal_iteratorINS9_10device_ptrIiEEEESE_SE_iNS9_4plusIvEENS9_8equal_toIiEEiEE10hipError_tPvRmT2_T3_T4_T5_mT6_T7_P12ihipStream_tbENKUlT_T0_E_clISt17integral_constantIbLb0EESZ_EEDaSU_SV_EUlSU_E_NS1_11comp_targetILNS1_3genE2ELNS1_11target_archE906ELNS1_3gpuE6ELNS1_3repE0EEENS1_30default_config_static_selectorELNS0_4arch9wavefront6targetE0EEEvT1_.kd
    .uniform_work_group_size: 1
    .uses_dynamic_stack: false
    .vgpr_count:     0
    .vgpr_spill_count: 0
    .wavefront_size: 32
    .workgroup_processor_mode: 1
  - .args:
      - .offset:         0
        .size:           112
        .value_kind:     by_value
    .group_segment_fixed_size: 0
    .kernarg_segment_align: 8
    .kernarg_segment_size: 112
    .language:       OpenCL C
    .language_version:
      - 2
      - 0
    .max_flat_workgroup_size: 256
    .name:           _ZN7rocprim17ROCPRIM_400000_NS6detail17trampoline_kernelINS0_14default_configENS1_27scan_by_key_config_selectorIiiEEZZNS1_16scan_by_key_implILNS1_25lookback_scan_determinismE0ELb0ES3_N6thrust23THRUST_200600_302600_NS6detail15normal_iteratorINS9_10device_ptrIiEEEESE_SE_iNS9_4plusIvEENS9_8equal_toIiEEiEE10hipError_tPvRmT2_T3_T4_T5_mT6_T7_P12ihipStream_tbENKUlT_T0_E_clISt17integral_constantIbLb0EESZ_EEDaSU_SV_EUlSU_E_NS1_11comp_targetILNS1_3genE10ELNS1_11target_archE1200ELNS1_3gpuE4ELNS1_3repE0EEENS1_30default_config_static_selectorELNS0_4arch9wavefront6targetE0EEEvT1_
    .private_segment_fixed_size: 0
    .sgpr_count:     0
    .sgpr_spill_count: 0
    .symbol:         _ZN7rocprim17ROCPRIM_400000_NS6detail17trampoline_kernelINS0_14default_configENS1_27scan_by_key_config_selectorIiiEEZZNS1_16scan_by_key_implILNS1_25lookback_scan_determinismE0ELb0ES3_N6thrust23THRUST_200600_302600_NS6detail15normal_iteratorINS9_10device_ptrIiEEEESE_SE_iNS9_4plusIvEENS9_8equal_toIiEEiEE10hipError_tPvRmT2_T3_T4_T5_mT6_T7_P12ihipStream_tbENKUlT_T0_E_clISt17integral_constantIbLb0EESZ_EEDaSU_SV_EUlSU_E_NS1_11comp_targetILNS1_3genE10ELNS1_11target_archE1200ELNS1_3gpuE4ELNS1_3repE0EEENS1_30default_config_static_selectorELNS0_4arch9wavefront6targetE0EEEvT1_.kd
    .uniform_work_group_size: 1
    .uses_dynamic_stack: false
    .vgpr_count:     0
    .vgpr_spill_count: 0
    .wavefront_size: 32
    .workgroup_processor_mode: 1
  - .args:
      - .offset:         0
        .size:           112
        .value_kind:     by_value
    .group_segment_fixed_size: 0
    .kernarg_segment_align: 8
    .kernarg_segment_size: 112
    .language:       OpenCL C
    .language_version:
      - 2
      - 0
    .max_flat_workgroup_size: 256
    .name:           _ZN7rocprim17ROCPRIM_400000_NS6detail17trampoline_kernelINS0_14default_configENS1_27scan_by_key_config_selectorIiiEEZZNS1_16scan_by_key_implILNS1_25lookback_scan_determinismE0ELb0ES3_N6thrust23THRUST_200600_302600_NS6detail15normal_iteratorINS9_10device_ptrIiEEEESE_SE_iNS9_4plusIvEENS9_8equal_toIiEEiEE10hipError_tPvRmT2_T3_T4_T5_mT6_T7_P12ihipStream_tbENKUlT_T0_E_clISt17integral_constantIbLb0EESZ_EEDaSU_SV_EUlSU_E_NS1_11comp_targetILNS1_3genE9ELNS1_11target_archE1100ELNS1_3gpuE3ELNS1_3repE0EEENS1_30default_config_static_selectorELNS0_4arch9wavefront6targetE0EEEvT1_
    .private_segment_fixed_size: 0
    .sgpr_count:     0
    .sgpr_spill_count: 0
    .symbol:         _ZN7rocprim17ROCPRIM_400000_NS6detail17trampoline_kernelINS0_14default_configENS1_27scan_by_key_config_selectorIiiEEZZNS1_16scan_by_key_implILNS1_25lookback_scan_determinismE0ELb0ES3_N6thrust23THRUST_200600_302600_NS6detail15normal_iteratorINS9_10device_ptrIiEEEESE_SE_iNS9_4plusIvEENS9_8equal_toIiEEiEE10hipError_tPvRmT2_T3_T4_T5_mT6_T7_P12ihipStream_tbENKUlT_T0_E_clISt17integral_constantIbLb0EESZ_EEDaSU_SV_EUlSU_E_NS1_11comp_targetILNS1_3genE9ELNS1_11target_archE1100ELNS1_3gpuE3ELNS1_3repE0EEENS1_30default_config_static_selectorELNS0_4arch9wavefront6targetE0EEEvT1_.kd
    .uniform_work_group_size: 1
    .uses_dynamic_stack: false
    .vgpr_count:     0
    .vgpr_spill_count: 0
    .wavefront_size: 32
    .workgroup_processor_mode: 1
  - .args:
      - .offset:         0
        .size:           112
        .value_kind:     by_value
    .group_segment_fixed_size: 5120
    .kernarg_segment_align: 8
    .kernarg_segment_size: 112
    .language:       OpenCL C
    .language_version:
      - 2
      - 0
    .max_flat_workgroup_size: 256
    .name:           _ZN7rocprim17ROCPRIM_400000_NS6detail17trampoline_kernelINS0_14default_configENS1_27scan_by_key_config_selectorIiiEEZZNS1_16scan_by_key_implILNS1_25lookback_scan_determinismE0ELb0ES3_N6thrust23THRUST_200600_302600_NS6detail15normal_iteratorINS9_10device_ptrIiEEEESE_SE_iNS9_4plusIvEENS9_8equal_toIiEEiEE10hipError_tPvRmT2_T3_T4_T5_mT6_T7_P12ihipStream_tbENKUlT_T0_E_clISt17integral_constantIbLb0EESZ_EEDaSU_SV_EUlSU_E_NS1_11comp_targetILNS1_3genE8ELNS1_11target_archE1030ELNS1_3gpuE2ELNS1_3repE0EEENS1_30default_config_static_selectorELNS0_4arch9wavefront6targetE0EEEvT1_
    .private_segment_fixed_size: 0
    .sgpr_count:     33
    .sgpr_spill_count: 0
    .symbol:         _ZN7rocprim17ROCPRIM_400000_NS6detail17trampoline_kernelINS0_14default_configENS1_27scan_by_key_config_selectorIiiEEZZNS1_16scan_by_key_implILNS1_25lookback_scan_determinismE0ELb0ES3_N6thrust23THRUST_200600_302600_NS6detail15normal_iteratorINS9_10device_ptrIiEEEESE_SE_iNS9_4plusIvEENS9_8equal_toIiEEiEE10hipError_tPvRmT2_T3_T4_T5_mT6_T7_P12ihipStream_tbENKUlT_T0_E_clISt17integral_constantIbLb0EESZ_EEDaSU_SV_EUlSU_E_NS1_11comp_targetILNS1_3genE8ELNS1_11target_archE1030ELNS1_3gpuE2ELNS1_3repE0EEENS1_30default_config_static_selectorELNS0_4arch9wavefront6targetE0EEEvT1_.kd
    .uniform_work_group_size: 1
    .uses_dynamic_stack: false
    .vgpr_count:     42
    .vgpr_spill_count: 0
    .wavefront_size: 32
    .workgroup_processor_mode: 1
  - .args:
      - .offset:         0
        .size:           112
        .value_kind:     by_value
    .group_segment_fixed_size: 0
    .kernarg_segment_align: 8
    .kernarg_segment_size: 112
    .language:       OpenCL C
    .language_version:
      - 2
      - 0
    .max_flat_workgroup_size: 256
    .name:           _ZN7rocprim17ROCPRIM_400000_NS6detail17trampoline_kernelINS0_14default_configENS1_27scan_by_key_config_selectorIiiEEZZNS1_16scan_by_key_implILNS1_25lookback_scan_determinismE0ELb0ES3_N6thrust23THRUST_200600_302600_NS6detail15normal_iteratorINS9_10device_ptrIiEEEESE_SE_iNS9_4plusIvEENS9_8equal_toIiEEiEE10hipError_tPvRmT2_T3_T4_T5_mT6_T7_P12ihipStream_tbENKUlT_T0_E_clISt17integral_constantIbLb1EESZ_EEDaSU_SV_EUlSU_E_NS1_11comp_targetILNS1_3genE0ELNS1_11target_archE4294967295ELNS1_3gpuE0ELNS1_3repE0EEENS1_30default_config_static_selectorELNS0_4arch9wavefront6targetE0EEEvT1_
    .private_segment_fixed_size: 0
    .sgpr_count:     0
    .sgpr_spill_count: 0
    .symbol:         _ZN7rocprim17ROCPRIM_400000_NS6detail17trampoline_kernelINS0_14default_configENS1_27scan_by_key_config_selectorIiiEEZZNS1_16scan_by_key_implILNS1_25lookback_scan_determinismE0ELb0ES3_N6thrust23THRUST_200600_302600_NS6detail15normal_iteratorINS9_10device_ptrIiEEEESE_SE_iNS9_4plusIvEENS9_8equal_toIiEEiEE10hipError_tPvRmT2_T3_T4_T5_mT6_T7_P12ihipStream_tbENKUlT_T0_E_clISt17integral_constantIbLb1EESZ_EEDaSU_SV_EUlSU_E_NS1_11comp_targetILNS1_3genE0ELNS1_11target_archE4294967295ELNS1_3gpuE0ELNS1_3repE0EEENS1_30default_config_static_selectorELNS0_4arch9wavefront6targetE0EEEvT1_.kd
    .uniform_work_group_size: 1
    .uses_dynamic_stack: false
    .vgpr_count:     0
    .vgpr_spill_count: 0
    .wavefront_size: 32
    .workgroup_processor_mode: 1
  - .args:
      - .offset:         0
        .size:           112
        .value_kind:     by_value
    .group_segment_fixed_size: 0
    .kernarg_segment_align: 8
    .kernarg_segment_size: 112
    .language:       OpenCL C
    .language_version:
      - 2
      - 0
    .max_flat_workgroup_size: 256
    .name:           _ZN7rocprim17ROCPRIM_400000_NS6detail17trampoline_kernelINS0_14default_configENS1_27scan_by_key_config_selectorIiiEEZZNS1_16scan_by_key_implILNS1_25lookback_scan_determinismE0ELb0ES3_N6thrust23THRUST_200600_302600_NS6detail15normal_iteratorINS9_10device_ptrIiEEEESE_SE_iNS9_4plusIvEENS9_8equal_toIiEEiEE10hipError_tPvRmT2_T3_T4_T5_mT6_T7_P12ihipStream_tbENKUlT_T0_E_clISt17integral_constantIbLb1EESZ_EEDaSU_SV_EUlSU_E_NS1_11comp_targetILNS1_3genE10ELNS1_11target_archE1201ELNS1_3gpuE5ELNS1_3repE0EEENS1_30default_config_static_selectorELNS0_4arch9wavefront6targetE0EEEvT1_
    .private_segment_fixed_size: 0
    .sgpr_count:     0
    .sgpr_spill_count: 0
    .symbol:         _ZN7rocprim17ROCPRIM_400000_NS6detail17trampoline_kernelINS0_14default_configENS1_27scan_by_key_config_selectorIiiEEZZNS1_16scan_by_key_implILNS1_25lookback_scan_determinismE0ELb0ES3_N6thrust23THRUST_200600_302600_NS6detail15normal_iteratorINS9_10device_ptrIiEEEESE_SE_iNS9_4plusIvEENS9_8equal_toIiEEiEE10hipError_tPvRmT2_T3_T4_T5_mT6_T7_P12ihipStream_tbENKUlT_T0_E_clISt17integral_constantIbLb1EESZ_EEDaSU_SV_EUlSU_E_NS1_11comp_targetILNS1_3genE10ELNS1_11target_archE1201ELNS1_3gpuE5ELNS1_3repE0EEENS1_30default_config_static_selectorELNS0_4arch9wavefront6targetE0EEEvT1_.kd
    .uniform_work_group_size: 1
    .uses_dynamic_stack: false
    .vgpr_count:     0
    .vgpr_spill_count: 0
    .wavefront_size: 32
    .workgroup_processor_mode: 1
  - .args:
      - .offset:         0
        .size:           112
        .value_kind:     by_value
    .group_segment_fixed_size: 0
    .kernarg_segment_align: 8
    .kernarg_segment_size: 112
    .language:       OpenCL C
    .language_version:
      - 2
      - 0
    .max_flat_workgroup_size: 256
    .name:           _ZN7rocprim17ROCPRIM_400000_NS6detail17trampoline_kernelINS0_14default_configENS1_27scan_by_key_config_selectorIiiEEZZNS1_16scan_by_key_implILNS1_25lookback_scan_determinismE0ELb0ES3_N6thrust23THRUST_200600_302600_NS6detail15normal_iteratorINS9_10device_ptrIiEEEESE_SE_iNS9_4plusIvEENS9_8equal_toIiEEiEE10hipError_tPvRmT2_T3_T4_T5_mT6_T7_P12ihipStream_tbENKUlT_T0_E_clISt17integral_constantIbLb1EESZ_EEDaSU_SV_EUlSU_E_NS1_11comp_targetILNS1_3genE5ELNS1_11target_archE942ELNS1_3gpuE9ELNS1_3repE0EEENS1_30default_config_static_selectorELNS0_4arch9wavefront6targetE0EEEvT1_
    .private_segment_fixed_size: 0
    .sgpr_count:     0
    .sgpr_spill_count: 0
    .symbol:         _ZN7rocprim17ROCPRIM_400000_NS6detail17trampoline_kernelINS0_14default_configENS1_27scan_by_key_config_selectorIiiEEZZNS1_16scan_by_key_implILNS1_25lookback_scan_determinismE0ELb0ES3_N6thrust23THRUST_200600_302600_NS6detail15normal_iteratorINS9_10device_ptrIiEEEESE_SE_iNS9_4plusIvEENS9_8equal_toIiEEiEE10hipError_tPvRmT2_T3_T4_T5_mT6_T7_P12ihipStream_tbENKUlT_T0_E_clISt17integral_constantIbLb1EESZ_EEDaSU_SV_EUlSU_E_NS1_11comp_targetILNS1_3genE5ELNS1_11target_archE942ELNS1_3gpuE9ELNS1_3repE0EEENS1_30default_config_static_selectorELNS0_4arch9wavefront6targetE0EEEvT1_.kd
    .uniform_work_group_size: 1
    .uses_dynamic_stack: false
    .vgpr_count:     0
    .vgpr_spill_count: 0
    .wavefront_size: 32
    .workgroup_processor_mode: 1
  - .args:
      - .offset:         0
        .size:           112
        .value_kind:     by_value
    .group_segment_fixed_size: 0
    .kernarg_segment_align: 8
    .kernarg_segment_size: 112
    .language:       OpenCL C
    .language_version:
      - 2
      - 0
    .max_flat_workgroup_size: 256
    .name:           _ZN7rocprim17ROCPRIM_400000_NS6detail17trampoline_kernelINS0_14default_configENS1_27scan_by_key_config_selectorIiiEEZZNS1_16scan_by_key_implILNS1_25lookback_scan_determinismE0ELb0ES3_N6thrust23THRUST_200600_302600_NS6detail15normal_iteratorINS9_10device_ptrIiEEEESE_SE_iNS9_4plusIvEENS9_8equal_toIiEEiEE10hipError_tPvRmT2_T3_T4_T5_mT6_T7_P12ihipStream_tbENKUlT_T0_E_clISt17integral_constantIbLb1EESZ_EEDaSU_SV_EUlSU_E_NS1_11comp_targetILNS1_3genE4ELNS1_11target_archE910ELNS1_3gpuE8ELNS1_3repE0EEENS1_30default_config_static_selectorELNS0_4arch9wavefront6targetE0EEEvT1_
    .private_segment_fixed_size: 0
    .sgpr_count:     0
    .sgpr_spill_count: 0
    .symbol:         _ZN7rocprim17ROCPRIM_400000_NS6detail17trampoline_kernelINS0_14default_configENS1_27scan_by_key_config_selectorIiiEEZZNS1_16scan_by_key_implILNS1_25lookback_scan_determinismE0ELb0ES3_N6thrust23THRUST_200600_302600_NS6detail15normal_iteratorINS9_10device_ptrIiEEEESE_SE_iNS9_4plusIvEENS9_8equal_toIiEEiEE10hipError_tPvRmT2_T3_T4_T5_mT6_T7_P12ihipStream_tbENKUlT_T0_E_clISt17integral_constantIbLb1EESZ_EEDaSU_SV_EUlSU_E_NS1_11comp_targetILNS1_3genE4ELNS1_11target_archE910ELNS1_3gpuE8ELNS1_3repE0EEENS1_30default_config_static_selectorELNS0_4arch9wavefront6targetE0EEEvT1_.kd
    .uniform_work_group_size: 1
    .uses_dynamic_stack: false
    .vgpr_count:     0
    .vgpr_spill_count: 0
    .wavefront_size: 32
    .workgroup_processor_mode: 1
  - .args:
      - .offset:         0
        .size:           112
        .value_kind:     by_value
    .group_segment_fixed_size: 0
    .kernarg_segment_align: 8
    .kernarg_segment_size: 112
    .language:       OpenCL C
    .language_version:
      - 2
      - 0
    .max_flat_workgroup_size: 256
    .name:           _ZN7rocprim17ROCPRIM_400000_NS6detail17trampoline_kernelINS0_14default_configENS1_27scan_by_key_config_selectorIiiEEZZNS1_16scan_by_key_implILNS1_25lookback_scan_determinismE0ELb0ES3_N6thrust23THRUST_200600_302600_NS6detail15normal_iteratorINS9_10device_ptrIiEEEESE_SE_iNS9_4plusIvEENS9_8equal_toIiEEiEE10hipError_tPvRmT2_T3_T4_T5_mT6_T7_P12ihipStream_tbENKUlT_T0_E_clISt17integral_constantIbLb1EESZ_EEDaSU_SV_EUlSU_E_NS1_11comp_targetILNS1_3genE3ELNS1_11target_archE908ELNS1_3gpuE7ELNS1_3repE0EEENS1_30default_config_static_selectorELNS0_4arch9wavefront6targetE0EEEvT1_
    .private_segment_fixed_size: 0
    .sgpr_count:     0
    .sgpr_spill_count: 0
    .symbol:         _ZN7rocprim17ROCPRIM_400000_NS6detail17trampoline_kernelINS0_14default_configENS1_27scan_by_key_config_selectorIiiEEZZNS1_16scan_by_key_implILNS1_25lookback_scan_determinismE0ELb0ES3_N6thrust23THRUST_200600_302600_NS6detail15normal_iteratorINS9_10device_ptrIiEEEESE_SE_iNS9_4plusIvEENS9_8equal_toIiEEiEE10hipError_tPvRmT2_T3_T4_T5_mT6_T7_P12ihipStream_tbENKUlT_T0_E_clISt17integral_constantIbLb1EESZ_EEDaSU_SV_EUlSU_E_NS1_11comp_targetILNS1_3genE3ELNS1_11target_archE908ELNS1_3gpuE7ELNS1_3repE0EEENS1_30default_config_static_selectorELNS0_4arch9wavefront6targetE0EEEvT1_.kd
    .uniform_work_group_size: 1
    .uses_dynamic_stack: false
    .vgpr_count:     0
    .vgpr_spill_count: 0
    .wavefront_size: 32
    .workgroup_processor_mode: 1
  - .args:
      - .offset:         0
        .size:           112
        .value_kind:     by_value
    .group_segment_fixed_size: 0
    .kernarg_segment_align: 8
    .kernarg_segment_size: 112
    .language:       OpenCL C
    .language_version:
      - 2
      - 0
    .max_flat_workgroup_size: 256
    .name:           _ZN7rocprim17ROCPRIM_400000_NS6detail17trampoline_kernelINS0_14default_configENS1_27scan_by_key_config_selectorIiiEEZZNS1_16scan_by_key_implILNS1_25lookback_scan_determinismE0ELb0ES3_N6thrust23THRUST_200600_302600_NS6detail15normal_iteratorINS9_10device_ptrIiEEEESE_SE_iNS9_4plusIvEENS9_8equal_toIiEEiEE10hipError_tPvRmT2_T3_T4_T5_mT6_T7_P12ihipStream_tbENKUlT_T0_E_clISt17integral_constantIbLb1EESZ_EEDaSU_SV_EUlSU_E_NS1_11comp_targetILNS1_3genE2ELNS1_11target_archE906ELNS1_3gpuE6ELNS1_3repE0EEENS1_30default_config_static_selectorELNS0_4arch9wavefront6targetE0EEEvT1_
    .private_segment_fixed_size: 0
    .sgpr_count:     0
    .sgpr_spill_count: 0
    .symbol:         _ZN7rocprim17ROCPRIM_400000_NS6detail17trampoline_kernelINS0_14default_configENS1_27scan_by_key_config_selectorIiiEEZZNS1_16scan_by_key_implILNS1_25lookback_scan_determinismE0ELb0ES3_N6thrust23THRUST_200600_302600_NS6detail15normal_iteratorINS9_10device_ptrIiEEEESE_SE_iNS9_4plusIvEENS9_8equal_toIiEEiEE10hipError_tPvRmT2_T3_T4_T5_mT6_T7_P12ihipStream_tbENKUlT_T0_E_clISt17integral_constantIbLb1EESZ_EEDaSU_SV_EUlSU_E_NS1_11comp_targetILNS1_3genE2ELNS1_11target_archE906ELNS1_3gpuE6ELNS1_3repE0EEENS1_30default_config_static_selectorELNS0_4arch9wavefront6targetE0EEEvT1_.kd
    .uniform_work_group_size: 1
    .uses_dynamic_stack: false
    .vgpr_count:     0
    .vgpr_spill_count: 0
    .wavefront_size: 32
    .workgroup_processor_mode: 1
  - .args:
      - .offset:         0
        .size:           112
        .value_kind:     by_value
    .group_segment_fixed_size: 0
    .kernarg_segment_align: 8
    .kernarg_segment_size: 112
    .language:       OpenCL C
    .language_version:
      - 2
      - 0
    .max_flat_workgroup_size: 256
    .name:           _ZN7rocprim17ROCPRIM_400000_NS6detail17trampoline_kernelINS0_14default_configENS1_27scan_by_key_config_selectorIiiEEZZNS1_16scan_by_key_implILNS1_25lookback_scan_determinismE0ELb0ES3_N6thrust23THRUST_200600_302600_NS6detail15normal_iteratorINS9_10device_ptrIiEEEESE_SE_iNS9_4plusIvEENS9_8equal_toIiEEiEE10hipError_tPvRmT2_T3_T4_T5_mT6_T7_P12ihipStream_tbENKUlT_T0_E_clISt17integral_constantIbLb1EESZ_EEDaSU_SV_EUlSU_E_NS1_11comp_targetILNS1_3genE10ELNS1_11target_archE1200ELNS1_3gpuE4ELNS1_3repE0EEENS1_30default_config_static_selectorELNS0_4arch9wavefront6targetE0EEEvT1_
    .private_segment_fixed_size: 0
    .sgpr_count:     0
    .sgpr_spill_count: 0
    .symbol:         _ZN7rocprim17ROCPRIM_400000_NS6detail17trampoline_kernelINS0_14default_configENS1_27scan_by_key_config_selectorIiiEEZZNS1_16scan_by_key_implILNS1_25lookback_scan_determinismE0ELb0ES3_N6thrust23THRUST_200600_302600_NS6detail15normal_iteratorINS9_10device_ptrIiEEEESE_SE_iNS9_4plusIvEENS9_8equal_toIiEEiEE10hipError_tPvRmT2_T3_T4_T5_mT6_T7_P12ihipStream_tbENKUlT_T0_E_clISt17integral_constantIbLb1EESZ_EEDaSU_SV_EUlSU_E_NS1_11comp_targetILNS1_3genE10ELNS1_11target_archE1200ELNS1_3gpuE4ELNS1_3repE0EEENS1_30default_config_static_selectorELNS0_4arch9wavefront6targetE0EEEvT1_.kd
    .uniform_work_group_size: 1
    .uses_dynamic_stack: false
    .vgpr_count:     0
    .vgpr_spill_count: 0
    .wavefront_size: 32
    .workgroup_processor_mode: 1
  - .args:
      - .offset:         0
        .size:           112
        .value_kind:     by_value
    .group_segment_fixed_size: 0
    .kernarg_segment_align: 8
    .kernarg_segment_size: 112
    .language:       OpenCL C
    .language_version:
      - 2
      - 0
    .max_flat_workgroup_size: 256
    .name:           _ZN7rocprim17ROCPRIM_400000_NS6detail17trampoline_kernelINS0_14default_configENS1_27scan_by_key_config_selectorIiiEEZZNS1_16scan_by_key_implILNS1_25lookback_scan_determinismE0ELb0ES3_N6thrust23THRUST_200600_302600_NS6detail15normal_iteratorINS9_10device_ptrIiEEEESE_SE_iNS9_4plusIvEENS9_8equal_toIiEEiEE10hipError_tPvRmT2_T3_T4_T5_mT6_T7_P12ihipStream_tbENKUlT_T0_E_clISt17integral_constantIbLb1EESZ_EEDaSU_SV_EUlSU_E_NS1_11comp_targetILNS1_3genE9ELNS1_11target_archE1100ELNS1_3gpuE3ELNS1_3repE0EEENS1_30default_config_static_selectorELNS0_4arch9wavefront6targetE0EEEvT1_
    .private_segment_fixed_size: 0
    .sgpr_count:     0
    .sgpr_spill_count: 0
    .symbol:         _ZN7rocprim17ROCPRIM_400000_NS6detail17trampoline_kernelINS0_14default_configENS1_27scan_by_key_config_selectorIiiEEZZNS1_16scan_by_key_implILNS1_25lookback_scan_determinismE0ELb0ES3_N6thrust23THRUST_200600_302600_NS6detail15normal_iteratorINS9_10device_ptrIiEEEESE_SE_iNS9_4plusIvEENS9_8equal_toIiEEiEE10hipError_tPvRmT2_T3_T4_T5_mT6_T7_P12ihipStream_tbENKUlT_T0_E_clISt17integral_constantIbLb1EESZ_EEDaSU_SV_EUlSU_E_NS1_11comp_targetILNS1_3genE9ELNS1_11target_archE1100ELNS1_3gpuE3ELNS1_3repE0EEENS1_30default_config_static_selectorELNS0_4arch9wavefront6targetE0EEEvT1_.kd
    .uniform_work_group_size: 1
    .uses_dynamic_stack: false
    .vgpr_count:     0
    .vgpr_spill_count: 0
    .wavefront_size: 32
    .workgroup_processor_mode: 1
  - .args:
      - .offset:         0
        .size:           112
        .value_kind:     by_value
    .group_segment_fixed_size: 0
    .kernarg_segment_align: 8
    .kernarg_segment_size: 112
    .language:       OpenCL C
    .language_version:
      - 2
      - 0
    .max_flat_workgroup_size: 256
    .name:           _ZN7rocprim17ROCPRIM_400000_NS6detail17trampoline_kernelINS0_14default_configENS1_27scan_by_key_config_selectorIiiEEZZNS1_16scan_by_key_implILNS1_25lookback_scan_determinismE0ELb0ES3_N6thrust23THRUST_200600_302600_NS6detail15normal_iteratorINS9_10device_ptrIiEEEESE_SE_iNS9_4plusIvEENS9_8equal_toIiEEiEE10hipError_tPvRmT2_T3_T4_T5_mT6_T7_P12ihipStream_tbENKUlT_T0_E_clISt17integral_constantIbLb1EESZ_EEDaSU_SV_EUlSU_E_NS1_11comp_targetILNS1_3genE8ELNS1_11target_archE1030ELNS1_3gpuE2ELNS1_3repE0EEENS1_30default_config_static_selectorELNS0_4arch9wavefront6targetE0EEEvT1_
    .private_segment_fixed_size: 0
    .sgpr_count:     0
    .sgpr_spill_count: 0
    .symbol:         _ZN7rocprim17ROCPRIM_400000_NS6detail17trampoline_kernelINS0_14default_configENS1_27scan_by_key_config_selectorIiiEEZZNS1_16scan_by_key_implILNS1_25lookback_scan_determinismE0ELb0ES3_N6thrust23THRUST_200600_302600_NS6detail15normal_iteratorINS9_10device_ptrIiEEEESE_SE_iNS9_4plusIvEENS9_8equal_toIiEEiEE10hipError_tPvRmT2_T3_T4_T5_mT6_T7_P12ihipStream_tbENKUlT_T0_E_clISt17integral_constantIbLb1EESZ_EEDaSU_SV_EUlSU_E_NS1_11comp_targetILNS1_3genE8ELNS1_11target_archE1030ELNS1_3gpuE2ELNS1_3repE0EEENS1_30default_config_static_selectorELNS0_4arch9wavefront6targetE0EEEvT1_.kd
    .uniform_work_group_size: 1
    .uses_dynamic_stack: false
    .vgpr_count:     0
    .vgpr_spill_count: 0
    .wavefront_size: 32
    .workgroup_processor_mode: 1
  - .args:
      - .offset:         0
        .size:           112
        .value_kind:     by_value
    .group_segment_fixed_size: 0
    .kernarg_segment_align: 8
    .kernarg_segment_size: 112
    .language:       OpenCL C
    .language_version:
      - 2
      - 0
    .max_flat_workgroup_size: 256
    .name:           _ZN7rocprim17ROCPRIM_400000_NS6detail17trampoline_kernelINS0_14default_configENS1_27scan_by_key_config_selectorIiiEEZZNS1_16scan_by_key_implILNS1_25lookback_scan_determinismE0ELb0ES3_N6thrust23THRUST_200600_302600_NS6detail15normal_iteratorINS9_10device_ptrIiEEEESE_SE_iNS9_4plusIvEENS9_8equal_toIiEEiEE10hipError_tPvRmT2_T3_T4_T5_mT6_T7_P12ihipStream_tbENKUlT_T0_E_clISt17integral_constantIbLb1EESY_IbLb0EEEEDaSU_SV_EUlSU_E_NS1_11comp_targetILNS1_3genE0ELNS1_11target_archE4294967295ELNS1_3gpuE0ELNS1_3repE0EEENS1_30default_config_static_selectorELNS0_4arch9wavefront6targetE0EEEvT1_
    .private_segment_fixed_size: 0
    .sgpr_count:     0
    .sgpr_spill_count: 0
    .symbol:         _ZN7rocprim17ROCPRIM_400000_NS6detail17trampoline_kernelINS0_14default_configENS1_27scan_by_key_config_selectorIiiEEZZNS1_16scan_by_key_implILNS1_25lookback_scan_determinismE0ELb0ES3_N6thrust23THRUST_200600_302600_NS6detail15normal_iteratorINS9_10device_ptrIiEEEESE_SE_iNS9_4plusIvEENS9_8equal_toIiEEiEE10hipError_tPvRmT2_T3_T4_T5_mT6_T7_P12ihipStream_tbENKUlT_T0_E_clISt17integral_constantIbLb1EESY_IbLb0EEEEDaSU_SV_EUlSU_E_NS1_11comp_targetILNS1_3genE0ELNS1_11target_archE4294967295ELNS1_3gpuE0ELNS1_3repE0EEENS1_30default_config_static_selectorELNS0_4arch9wavefront6targetE0EEEvT1_.kd
    .uniform_work_group_size: 1
    .uses_dynamic_stack: false
    .vgpr_count:     0
    .vgpr_spill_count: 0
    .wavefront_size: 32
    .workgroup_processor_mode: 1
  - .args:
      - .offset:         0
        .size:           112
        .value_kind:     by_value
    .group_segment_fixed_size: 0
    .kernarg_segment_align: 8
    .kernarg_segment_size: 112
    .language:       OpenCL C
    .language_version:
      - 2
      - 0
    .max_flat_workgroup_size: 256
    .name:           _ZN7rocprim17ROCPRIM_400000_NS6detail17trampoline_kernelINS0_14default_configENS1_27scan_by_key_config_selectorIiiEEZZNS1_16scan_by_key_implILNS1_25lookback_scan_determinismE0ELb0ES3_N6thrust23THRUST_200600_302600_NS6detail15normal_iteratorINS9_10device_ptrIiEEEESE_SE_iNS9_4plusIvEENS9_8equal_toIiEEiEE10hipError_tPvRmT2_T3_T4_T5_mT6_T7_P12ihipStream_tbENKUlT_T0_E_clISt17integral_constantIbLb1EESY_IbLb0EEEEDaSU_SV_EUlSU_E_NS1_11comp_targetILNS1_3genE10ELNS1_11target_archE1201ELNS1_3gpuE5ELNS1_3repE0EEENS1_30default_config_static_selectorELNS0_4arch9wavefront6targetE0EEEvT1_
    .private_segment_fixed_size: 0
    .sgpr_count:     0
    .sgpr_spill_count: 0
    .symbol:         _ZN7rocprim17ROCPRIM_400000_NS6detail17trampoline_kernelINS0_14default_configENS1_27scan_by_key_config_selectorIiiEEZZNS1_16scan_by_key_implILNS1_25lookback_scan_determinismE0ELb0ES3_N6thrust23THRUST_200600_302600_NS6detail15normal_iteratorINS9_10device_ptrIiEEEESE_SE_iNS9_4plusIvEENS9_8equal_toIiEEiEE10hipError_tPvRmT2_T3_T4_T5_mT6_T7_P12ihipStream_tbENKUlT_T0_E_clISt17integral_constantIbLb1EESY_IbLb0EEEEDaSU_SV_EUlSU_E_NS1_11comp_targetILNS1_3genE10ELNS1_11target_archE1201ELNS1_3gpuE5ELNS1_3repE0EEENS1_30default_config_static_selectorELNS0_4arch9wavefront6targetE0EEEvT1_.kd
    .uniform_work_group_size: 1
    .uses_dynamic_stack: false
    .vgpr_count:     0
    .vgpr_spill_count: 0
    .wavefront_size: 32
    .workgroup_processor_mode: 1
  - .args:
      - .offset:         0
        .size:           112
        .value_kind:     by_value
    .group_segment_fixed_size: 0
    .kernarg_segment_align: 8
    .kernarg_segment_size: 112
    .language:       OpenCL C
    .language_version:
      - 2
      - 0
    .max_flat_workgroup_size: 256
    .name:           _ZN7rocprim17ROCPRIM_400000_NS6detail17trampoline_kernelINS0_14default_configENS1_27scan_by_key_config_selectorIiiEEZZNS1_16scan_by_key_implILNS1_25lookback_scan_determinismE0ELb0ES3_N6thrust23THRUST_200600_302600_NS6detail15normal_iteratorINS9_10device_ptrIiEEEESE_SE_iNS9_4plusIvEENS9_8equal_toIiEEiEE10hipError_tPvRmT2_T3_T4_T5_mT6_T7_P12ihipStream_tbENKUlT_T0_E_clISt17integral_constantIbLb1EESY_IbLb0EEEEDaSU_SV_EUlSU_E_NS1_11comp_targetILNS1_3genE5ELNS1_11target_archE942ELNS1_3gpuE9ELNS1_3repE0EEENS1_30default_config_static_selectorELNS0_4arch9wavefront6targetE0EEEvT1_
    .private_segment_fixed_size: 0
    .sgpr_count:     0
    .sgpr_spill_count: 0
    .symbol:         _ZN7rocprim17ROCPRIM_400000_NS6detail17trampoline_kernelINS0_14default_configENS1_27scan_by_key_config_selectorIiiEEZZNS1_16scan_by_key_implILNS1_25lookback_scan_determinismE0ELb0ES3_N6thrust23THRUST_200600_302600_NS6detail15normal_iteratorINS9_10device_ptrIiEEEESE_SE_iNS9_4plusIvEENS9_8equal_toIiEEiEE10hipError_tPvRmT2_T3_T4_T5_mT6_T7_P12ihipStream_tbENKUlT_T0_E_clISt17integral_constantIbLb1EESY_IbLb0EEEEDaSU_SV_EUlSU_E_NS1_11comp_targetILNS1_3genE5ELNS1_11target_archE942ELNS1_3gpuE9ELNS1_3repE0EEENS1_30default_config_static_selectorELNS0_4arch9wavefront6targetE0EEEvT1_.kd
    .uniform_work_group_size: 1
    .uses_dynamic_stack: false
    .vgpr_count:     0
    .vgpr_spill_count: 0
    .wavefront_size: 32
    .workgroup_processor_mode: 1
  - .args:
      - .offset:         0
        .size:           112
        .value_kind:     by_value
    .group_segment_fixed_size: 0
    .kernarg_segment_align: 8
    .kernarg_segment_size: 112
    .language:       OpenCL C
    .language_version:
      - 2
      - 0
    .max_flat_workgroup_size: 256
    .name:           _ZN7rocprim17ROCPRIM_400000_NS6detail17trampoline_kernelINS0_14default_configENS1_27scan_by_key_config_selectorIiiEEZZNS1_16scan_by_key_implILNS1_25lookback_scan_determinismE0ELb0ES3_N6thrust23THRUST_200600_302600_NS6detail15normal_iteratorINS9_10device_ptrIiEEEESE_SE_iNS9_4plusIvEENS9_8equal_toIiEEiEE10hipError_tPvRmT2_T3_T4_T5_mT6_T7_P12ihipStream_tbENKUlT_T0_E_clISt17integral_constantIbLb1EESY_IbLb0EEEEDaSU_SV_EUlSU_E_NS1_11comp_targetILNS1_3genE4ELNS1_11target_archE910ELNS1_3gpuE8ELNS1_3repE0EEENS1_30default_config_static_selectorELNS0_4arch9wavefront6targetE0EEEvT1_
    .private_segment_fixed_size: 0
    .sgpr_count:     0
    .sgpr_spill_count: 0
    .symbol:         _ZN7rocprim17ROCPRIM_400000_NS6detail17trampoline_kernelINS0_14default_configENS1_27scan_by_key_config_selectorIiiEEZZNS1_16scan_by_key_implILNS1_25lookback_scan_determinismE0ELb0ES3_N6thrust23THRUST_200600_302600_NS6detail15normal_iteratorINS9_10device_ptrIiEEEESE_SE_iNS9_4plusIvEENS9_8equal_toIiEEiEE10hipError_tPvRmT2_T3_T4_T5_mT6_T7_P12ihipStream_tbENKUlT_T0_E_clISt17integral_constantIbLb1EESY_IbLb0EEEEDaSU_SV_EUlSU_E_NS1_11comp_targetILNS1_3genE4ELNS1_11target_archE910ELNS1_3gpuE8ELNS1_3repE0EEENS1_30default_config_static_selectorELNS0_4arch9wavefront6targetE0EEEvT1_.kd
    .uniform_work_group_size: 1
    .uses_dynamic_stack: false
    .vgpr_count:     0
    .vgpr_spill_count: 0
    .wavefront_size: 32
    .workgroup_processor_mode: 1
  - .args:
      - .offset:         0
        .size:           112
        .value_kind:     by_value
    .group_segment_fixed_size: 0
    .kernarg_segment_align: 8
    .kernarg_segment_size: 112
    .language:       OpenCL C
    .language_version:
      - 2
      - 0
    .max_flat_workgroup_size: 256
    .name:           _ZN7rocprim17ROCPRIM_400000_NS6detail17trampoline_kernelINS0_14default_configENS1_27scan_by_key_config_selectorIiiEEZZNS1_16scan_by_key_implILNS1_25lookback_scan_determinismE0ELb0ES3_N6thrust23THRUST_200600_302600_NS6detail15normal_iteratorINS9_10device_ptrIiEEEESE_SE_iNS9_4plusIvEENS9_8equal_toIiEEiEE10hipError_tPvRmT2_T3_T4_T5_mT6_T7_P12ihipStream_tbENKUlT_T0_E_clISt17integral_constantIbLb1EESY_IbLb0EEEEDaSU_SV_EUlSU_E_NS1_11comp_targetILNS1_3genE3ELNS1_11target_archE908ELNS1_3gpuE7ELNS1_3repE0EEENS1_30default_config_static_selectorELNS0_4arch9wavefront6targetE0EEEvT1_
    .private_segment_fixed_size: 0
    .sgpr_count:     0
    .sgpr_spill_count: 0
    .symbol:         _ZN7rocprim17ROCPRIM_400000_NS6detail17trampoline_kernelINS0_14default_configENS1_27scan_by_key_config_selectorIiiEEZZNS1_16scan_by_key_implILNS1_25lookback_scan_determinismE0ELb0ES3_N6thrust23THRUST_200600_302600_NS6detail15normal_iteratorINS9_10device_ptrIiEEEESE_SE_iNS9_4plusIvEENS9_8equal_toIiEEiEE10hipError_tPvRmT2_T3_T4_T5_mT6_T7_P12ihipStream_tbENKUlT_T0_E_clISt17integral_constantIbLb1EESY_IbLb0EEEEDaSU_SV_EUlSU_E_NS1_11comp_targetILNS1_3genE3ELNS1_11target_archE908ELNS1_3gpuE7ELNS1_3repE0EEENS1_30default_config_static_selectorELNS0_4arch9wavefront6targetE0EEEvT1_.kd
    .uniform_work_group_size: 1
    .uses_dynamic_stack: false
    .vgpr_count:     0
    .vgpr_spill_count: 0
    .wavefront_size: 32
    .workgroup_processor_mode: 1
  - .args:
      - .offset:         0
        .size:           112
        .value_kind:     by_value
    .group_segment_fixed_size: 0
    .kernarg_segment_align: 8
    .kernarg_segment_size: 112
    .language:       OpenCL C
    .language_version:
      - 2
      - 0
    .max_flat_workgroup_size: 256
    .name:           _ZN7rocprim17ROCPRIM_400000_NS6detail17trampoline_kernelINS0_14default_configENS1_27scan_by_key_config_selectorIiiEEZZNS1_16scan_by_key_implILNS1_25lookback_scan_determinismE0ELb0ES3_N6thrust23THRUST_200600_302600_NS6detail15normal_iteratorINS9_10device_ptrIiEEEESE_SE_iNS9_4plusIvEENS9_8equal_toIiEEiEE10hipError_tPvRmT2_T3_T4_T5_mT6_T7_P12ihipStream_tbENKUlT_T0_E_clISt17integral_constantIbLb1EESY_IbLb0EEEEDaSU_SV_EUlSU_E_NS1_11comp_targetILNS1_3genE2ELNS1_11target_archE906ELNS1_3gpuE6ELNS1_3repE0EEENS1_30default_config_static_selectorELNS0_4arch9wavefront6targetE0EEEvT1_
    .private_segment_fixed_size: 0
    .sgpr_count:     0
    .sgpr_spill_count: 0
    .symbol:         _ZN7rocprim17ROCPRIM_400000_NS6detail17trampoline_kernelINS0_14default_configENS1_27scan_by_key_config_selectorIiiEEZZNS1_16scan_by_key_implILNS1_25lookback_scan_determinismE0ELb0ES3_N6thrust23THRUST_200600_302600_NS6detail15normal_iteratorINS9_10device_ptrIiEEEESE_SE_iNS9_4plusIvEENS9_8equal_toIiEEiEE10hipError_tPvRmT2_T3_T4_T5_mT6_T7_P12ihipStream_tbENKUlT_T0_E_clISt17integral_constantIbLb1EESY_IbLb0EEEEDaSU_SV_EUlSU_E_NS1_11comp_targetILNS1_3genE2ELNS1_11target_archE906ELNS1_3gpuE6ELNS1_3repE0EEENS1_30default_config_static_selectorELNS0_4arch9wavefront6targetE0EEEvT1_.kd
    .uniform_work_group_size: 1
    .uses_dynamic_stack: false
    .vgpr_count:     0
    .vgpr_spill_count: 0
    .wavefront_size: 32
    .workgroup_processor_mode: 1
  - .args:
      - .offset:         0
        .size:           112
        .value_kind:     by_value
    .group_segment_fixed_size: 0
    .kernarg_segment_align: 8
    .kernarg_segment_size: 112
    .language:       OpenCL C
    .language_version:
      - 2
      - 0
    .max_flat_workgroup_size: 256
    .name:           _ZN7rocprim17ROCPRIM_400000_NS6detail17trampoline_kernelINS0_14default_configENS1_27scan_by_key_config_selectorIiiEEZZNS1_16scan_by_key_implILNS1_25lookback_scan_determinismE0ELb0ES3_N6thrust23THRUST_200600_302600_NS6detail15normal_iteratorINS9_10device_ptrIiEEEESE_SE_iNS9_4plusIvEENS9_8equal_toIiEEiEE10hipError_tPvRmT2_T3_T4_T5_mT6_T7_P12ihipStream_tbENKUlT_T0_E_clISt17integral_constantIbLb1EESY_IbLb0EEEEDaSU_SV_EUlSU_E_NS1_11comp_targetILNS1_3genE10ELNS1_11target_archE1200ELNS1_3gpuE4ELNS1_3repE0EEENS1_30default_config_static_selectorELNS0_4arch9wavefront6targetE0EEEvT1_
    .private_segment_fixed_size: 0
    .sgpr_count:     0
    .sgpr_spill_count: 0
    .symbol:         _ZN7rocprim17ROCPRIM_400000_NS6detail17trampoline_kernelINS0_14default_configENS1_27scan_by_key_config_selectorIiiEEZZNS1_16scan_by_key_implILNS1_25lookback_scan_determinismE0ELb0ES3_N6thrust23THRUST_200600_302600_NS6detail15normal_iteratorINS9_10device_ptrIiEEEESE_SE_iNS9_4plusIvEENS9_8equal_toIiEEiEE10hipError_tPvRmT2_T3_T4_T5_mT6_T7_P12ihipStream_tbENKUlT_T0_E_clISt17integral_constantIbLb1EESY_IbLb0EEEEDaSU_SV_EUlSU_E_NS1_11comp_targetILNS1_3genE10ELNS1_11target_archE1200ELNS1_3gpuE4ELNS1_3repE0EEENS1_30default_config_static_selectorELNS0_4arch9wavefront6targetE0EEEvT1_.kd
    .uniform_work_group_size: 1
    .uses_dynamic_stack: false
    .vgpr_count:     0
    .vgpr_spill_count: 0
    .wavefront_size: 32
    .workgroup_processor_mode: 1
  - .args:
      - .offset:         0
        .size:           112
        .value_kind:     by_value
    .group_segment_fixed_size: 0
    .kernarg_segment_align: 8
    .kernarg_segment_size: 112
    .language:       OpenCL C
    .language_version:
      - 2
      - 0
    .max_flat_workgroup_size: 256
    .name:           _ZN7rocprim17ROCPRIM_400000_NS6detail17trampoline_kernelINS0_14default_configENS1_27scan_by_key_config_selectorIiiEEZZNS1_16scan_by_key_implILNS1_25lookback_scan_determinismE0ELb0ES3_N6thrust23THRUST_200600_302600_NS6detail15normal_iteratorINS9_10device_ptrIiEEEESE_SE_iNS9_4plusIvEENS9_8equal_toIiEEiEE10hipError_tPvRmT2_T3_T4_T5_mT6_T7_P12ihipStream_tbENKUlT_T0_E_clISt17integral_constantIbLb1EESY_IbLb0EEEEDaSU_SV_EUlSU_E_NS1_11comp_targetILNS1_3genE9ELNS1_11target_archE1100ELNS1_3gpuE3ELNS1_3repE0EEENS1_30default_config_static_selectorELNS0_4arch9wavefront6targetE0EEEvT1_
    .private_segment_fixed_size: 0
    .sgpr_count:     0
    .sgpr_spill_count: 0
    .symbol:         _ZN7rocprim17ROCPRIM_400000_NS6detail17trampoline_kernelINS0_14default_configENS1_27scan_by_key_config_selectorIiiEEZZNS1_16scan_by_key_implILNS1_25lookback_scan_determinismE0ELb0ES3_N6thrust23THRUST_200600_302600_NS6detail15normal_iteratorINS9_10device_ptrIiEEEESE_SE_iNS9_4plusIvEENS9_8equal_toIiEEiEE10hipError_tPvRmT2_T3_T4_T5_mT6_T7_P12ihipStream_tbENKUlT_T0_E_clISt17integral_constantIbLb1EESY_IbLb0EEEEDaSU_SV_EUlSU_E_NS1_11comp_targetILNS1_3genE9ELNS1_11target_archE1100ELNS1_3gpuE3ELNS1_3repE0EEENS1_30default_config_static_selectorELNS0_4arch9wavefront6targetE0EEEvT1_.kd
    .uniform_work_group_size: 1
    .uses_dynamic_stack: false
    .vgpr_count:     0
    .vgpr_spill_count: 0
    .wavefront_size: 32
    .workgroup_processor_mode: 1
  - .args:
      - .offset:         0
        .size:           112
        .value_kind:     by_value
    .group_segment_fixed_size: 0
    .kernarg_segment_align: 8
    .kernarg_segment_size: 112
    .language:       OpenCL C
    .language_version:
      - 2
      - 0
    .max_flat_workgroup_size: 256
    .name:           _ZN7rocprim17ROCPRIM_400000_NS6detail17trampoline_kernelINS0_14default_configENS1_27scan_by_key_config_selectorIiiEEZZNS1_16scan_by_key_implILNS1_25lookback_scan_determinismE0ELb0ES3_N6thrust23THRUST_200600_302600_NS6detail15normal_iteratorINS9_10device_ptrIiEEEESE_SE_iNS9_4plusIvEENS9_8equal_toIiEEiEE10hipError_tPvRmT2_T3_T4_T5_mT6_T7_P12ihipStream_tbENKUlT_T0_E_clISt17integral_constantIbLb1EESY_IbLb0EEEEDaSU_SV_EUlSU_E_NS1_11comp_targetILNS1_3genE8ELNS1_11target_archE1030ELNS1_3gpuE2ELNS1_3repE0EEENS1_30default_config_static_selectorELNS0_4arch9wavefront6targetE0EEEvT1_
    .private_segment_fixed_size: 0
    .sgpr_count:     0
    .sgpr_spill_count: 0
    .symbol:         _ZN7rocprim17ROCPRIM_400000_NS6detail17trampoline_kernelINS0_14default_configENS1_27scan_by_key_config_selectorIiiEEZZNS1_16scan_by_key_implILNS1_25lookback_scan_determinismE0ELb0ES3_N6thrust23THRUST_200600_302600_NS6detail15normal_iteratorINS9_10device_ptrIiEEEESE_SE_iNS9_4plusIvEENS9_8equal_toIiEEiEE10hipError_tPvRmT2_T3_T4_T5_mT6_T7_P12ihipStream_tbENKUlT_T0_E_clISt17integral_constantIbLb1EESY_IbLb0EEEEDaSU_SV_EUlSU_E_NS1_11comp_targetILNS1_3genE8ELNS1_11target_archE1030ELNS1_3gpuE2ELNS1_3repE0EEENS1_30default_config_static_selectorELNS0_4arch9wavefront6targetE0EEEvT1_.kd
    .uniform_work_group_size: 1
    .uses_dynamic_stack: false
    .vgpr_count:     0
    .vgpr_spill_count: 0
    .wavefront_size: 32
    .workgroup_processor_mode: 1
  - .args:
      - .offset:         0
        .size:           112
        .value_kind:     by_value
    .group_segment_fixed_size: 0
    .kernarg_segment_align: 8
    .kernarg_segment_size: 112
    .language:       OpenCL C
    .language_version:
      - 2
      - 0
    .max_flat_workgroup_size: 256
    .name:           _ZN7rocprim17ROCPRIM_400000_NS6detail17trampoline_kernelINS0_14default_configENS1_27scan_by_key_config_selectorIiiEEZZNS1_16scan_by_key_implILNS1_25lookback_scan_determinismE0ELb0ES3_N6thrust23THRUST_200600_302600_NS6detail15normal_iteratorINS9_10device_ptrIiEEEESE_SE_iNS9_4plusIvEENS9_8equal_toIiEEiEE10hipError_tPvRmT2_T3_T4_T5_mT6_T7_P12ihipStream_tbENKUlT_T0_E_clISt17integral_constantIbLb0EESY_IbLb1EEEEDaSU_SV_EUlSU_E_NS1_11comp_targetILNS1_3genE0ELNS1_11target_archE4294967295ELNS1_3gpuE0ELNS1_3repE0EEENS1_30default_config_static_selectorELNS0_4arch9wavefront6targetE0EEEvT1_
    .private_segment_fixed_size: 0
    .sgpr_count:     0
    .sgpr_spill_count: 0
    .symbol:         _ZN7rocprim17ROCPRIM_400000_NS6detail17trampoline_kernelINS0_14default_configENS1_27scan_by_key_config_selectorIiiEEZZNS1_16scan_by_key_implILNS1_25lookback_scan_determinismE0ELb0ES3_N6thrust23THRUST_200600_302600_NS6detail15normal_iteratorINS9_10device_ptrIiEEEESE_SE_iNS9_4plusIvEENS9_8equal_toIiEEiEE10hipError_tPvRmT2_T3_T4_T5_mT6_T7_P12ihipStream_tbENKUlT_T0_E_clISt17integral_constantIbLb0EESY_IbLb1EEEEDaSU_SV_EUlSU_E_NS1_11comp_targetILNS1_3genE0ELNS1_11target_archE4294967295ELNS1_3gpuE0ELNS1_3repE0EEENS1_30default_config_static_selectorELNS0_4arch9wavefront6targetE0EEEvT1_.kd
    .uniform_work_group_size: 1
    .uses_dynamic_stack: false
    .vgpr_count:     0
    .vgpr_spill_count: 0
    .wavefront_size: 32
    .workgroup_processor_mode: 1
  - .args:
      - .offset:         0
        .size:           112
        .value_kind:     by_value
    .group_segment_fixed_size: 0
    .kernarg_segment_align: 8
    .kernarg_segment_size: 112
    .language:       OpenCL C
    .language_version:
      - 2
      - 0
    .max_flat_workgroup_size: 256
    .name:           _ZN7rocprim17ROCPRIM_400000_NS6detail17trampoline_kernelINS0_14default_configENS1_27scan_by_key_config_selectorIiiEEZZNS1_16scan_by_key_implILNS1_25lookback_scan_determinismE0ELb0ES3_N6thrust23THRUST_200600_302600_NS6detail15normal_iteratorINS9_10device_ptrIiEEEESE_SE_iNS9_4plusIvEENS9_8equal_toIiEEiEE10hipError_tPvRmT2_T3_T4_T5_mT6_T7_P12ihipStream_tbENKUlT_T0_E_clISt17integral_constantIbLb0EESY_IbLb1EEEEDaSU_SV_EUlSU_E_NS1_11comp_targetILNS1_3genE10ELNS1_11target_archE1201ELNS1_3gpuE5ELNS1_3repE0EEENS1_30default_config_static_selectorELNS0_4arch9wavefront6targetE0EEEvT1_
    .private_segment_fixed_size: 0
    .sgpr_count:     0
    .sgpr_spill_count: 0
    .symbol:         _ZN7rocprim17ROCPRIM_400000_NS6detail17trampoline_kernelINS0_14default_configENS1_27scan_by_key_config_selectorIiiEEZZNS1_16scan_by_key_implILNS1_25lookback_scan_determinismE0ELb0ES3_N6thrust23THRUST_200600_302600_NS6detail15normal_iteratorINS9_10device_ptrIiEEEESE_SE_iNS9_4plusIvEENS9_8equal_toIiEEiEE10hipError_tPvRmT2_T3_T4_T5_mT6_T7_P12ihipStream_tbENKUlT_T0_E_clISt17integral_constantIbLb0EESY_IbLb1EEEEDaSU_SV_EUlSU_E_NS1_11comp_targetILNS1_3genE10ELNS1_11target_archE1201ELNS1_3gpuE5ELNS1_3repE0EEENS1_30default_config_static_selectorELNS0_4arch9wavefront6targetE0EEEvT1_.kd
    .uniform_work_group_size: 1
    .uses_dynamic_stack: false
    .vgpr_count:     0
    .vgpr_spill_count: 0
    .wavefront_size: 32
    .workgroup_processor_mode: 1
  - .args:
      - .offset:         0
        .size:           112
        .value_kind:     by_value
    .group_segment_fixed_size: 0
    .kernarg_segment_align: 8
    .kernarg_segment_size: 112
    .language:       OpenCL C
    .language_version:
      - 2
      - 0
    .max_flat_workgroup_size: 256
    .name:           _ZN7rocprim17ROCPRIM_400000_NS6detail17trampoline_kernelINS0_14default_configENS1_27scan_by_key_config_selectorIiiEEZZNS1_16scan_by_key_implILNS1_25lookback_scan_determinismE0ELb0ES3_N6thrust23THRUST_200600_302600_NS6detail15normal_iteratorINS9_10device_ptrIiEEEESE_SE_iNS9_4plusIvEENS9_8equal_toIiEEiEE10hipError_tPvRmT2_T3_T4_T5_mT6_T7_P12ihipStream_tbENKUlT_T0_E_clISt17integral_constantIbLb0EESY_IbLb1EEEEDaSU_SV_EUlSU_E_NS1_11comp_targetILNS1_3genE5ELNS1_11target_archE942ELNS1_3gpuE9ELNS1_3repE0EEENS1_30default_config_static_selectorELNS0_4arch9wavefront6targetE0EEEvT1_
    .private_segment_fixed_size: 0
    .sgpr_count:     0
    .sgpr_spill_count: 0
    .symbol:         _ZN7rocprim17ROCPRIM_400000_NS6detail17trampoline_kernelINS0_14default_configENS1_27scan_by_key_config_selectorIiiEEZZNS1_16scan_by_key_implILNS1_25lookback_scan_determinismE0ELb0ES3_N6thrust23THRUST_200600_302600_NS6detail15normal_iteratorINS9_10device_ptrIiEEEESE_SE_iNS9_4plusIvEENS9_8equal_toIiEEiEE10hipError_tPvRmT2_T3_T4_T5_mT6_T7_P12ihipStream_tbENKUlT_T0_E_clISt17integral_constantIbLb0EESY_IbLb1EEEEDaSU_SV_EUlSU_E_NS1_11comp_targetILNS1_3genE5ELNS1_11target_archE942ELNS1_3gpuE9ELNS1_3repE0EEENS1_30default_config_static_selectorELNS0_4arch9wavefront6targetE0EEEvT1_.kd
    .uniform_work_group_size: 1
    .uses_dynamic_stack: false
    .vgpr_count:     0
    .vgpr_spill_count: 0
    .wavefront_size: 32
    .workgroup_processor_mode: 1
  - .args:
      - .offset:         0
        .size:           112
        .value_kind:     by_value
    .group_segment_fixed_size: 0
    .kernarg_segment_align: 8
    .kernarg_segment_size: 112
    .language:       OpenCL C
    .language_version:
      - 2
      - 0
    .max_flat_workgroup_size: 256
    .name:           _ZN7rocprim17ROCPRIM_400000_NS6detail17trampoline_kernelINS0_14default_configENS1_27scan_by_key_config_selectorIiiEEZZNS1_16scan_by_key_implILNS1_25lookback_scan_determinismE0ELb0ES3_N6thrust23THRUST_200600_302600_NS6detail15normal_iteratorINS9_10device_ptrIiEEEESE_SE_iNS9_4plusIvEENS9_8equal_toIiEEiEE10hipError_tPvRmT2_T3_T4_T5_mT6_T7_P12ihipStream_tbENKUlT_T0_E_clISt17integral_constantIbLb0EESY_IbLb1EEEEDaSU_SV_EUlSU_E_NS1_11comp_targetILNS1_3genE4ELNS1_11target_archE910ELNS1_3gpuE8ELNS1_3repE0EEENS1_30default_config_static_selectorELNS0_4arch9wavefront6targetE0EEEvT1_
    .private_segment_fixed_size: 0
    .sgpr_count:     0
    .sgpr_spill_count: 0
    .symbol:         _ZN7rocprim17ROCPRIM_400000_NS6detail17trampoline_kernelINS0_14default_configENS1_27scan_by_key_config_selectorIiiEEZZNS1_16scan_by_key_implILNS1_25lookback_scan_determinismE0ELb0ES3_N6thrust23THRUST_200600_302600_NS6detail15normal_iteratorINS9_10device_ptrIiEEEESE_SE_iNS9_4plusIvEENS9_8equal_toIiEEiEE10hipError_tPvRmT2_T3_T4_T5_mT6_T7_P12ihipStream_tbENKUlT_T0_E_clISt17integral_constantIbLb0EESY_IbLb1EEEEDaSU_SV_EUlSU_E_NS1_11comp_targetILNS1_3genE4ELNS1_11target_archE910ELNS1_3gpuE8ELNS1_3repE0EEENS1_30default_config_static_selectorELNS0_4arch9wavefront6targetE0EEEvT1_.kd
    .uniform_work_group_size: 1
    .uses_dynamic_stack: false
    .vgpr_count:     0
    .vgpr_spill_count: 0
    .wavefront_size: 32
    .workgroup_processor_mode: 1
  - .args:
      - .offset:         0
        .size:           112
        .value_kind:     by_value
    .group_segment_fixed_size: 0
    .kernarg_segment_align: 8
    .kernarg_segment_size: 112
    .language:       OpenCL C
    .language_version:
      - 2
      - 0
    .max_flat_workgroup_size: 256
    .name:           _ZN7rocprim17ROCPRIM_400000_NS6detail17trampoline_kernelINS0_14default_configENS1_27scan_by_key_config_selectorIiiEEZZNS1_16scan_by_key_implILNS1_25lookback_scan_determinismE0ELb0ES3_N6thrust23THRUST_200600_302600_NS6detail15normal_iteratorINS9_10device_ptrIiEEEESE_SE_iNS9_4plusIvEENS9_8equal_toIiEEiEE10hipError_tPvRmT2_T3_T4_T5_mT6_T7_P12ihipStream_tbENKUlT_T0_E_clISt17integral_constantIbLb0EESY_IbLb1EEEEDaSU_SV_EUlSU_E_NS1_11comp_targetILNS1_3genE3ELNS1_11target_archE908ELNS1_3gpuE7ELNS1_3repE0EEENS1_30default_config_static_selectorELNS0_4arch9wavefront6targetE0EEEvT1_
    .private_segment_fixed_size: 0
    .sgpr_count:     0
    .sgpr_spill_count: 0
    .symbol:         _ZN7rocprim17ROCPRIM_400000_NS6detail17trampoline_kernelINS0_14default_configENS1_27scan_by_key_config_selectorIiiEEZZNS1_16scan_by_key_implILNS1_25lookback_scan_determinismE0ELb0ES3_N6thrust23THRUST_200600_302600_NS6detail15normal_iteratorINS9_10device_ptrIiEEEESE_SE_iNS9_4plusIvEENS9_8equal_toIiEEiEE10hipError_tPvRmT2_T3_T4_T5_mT6_T7_P12ihipStream_tbENKUlT_T0_E_clISt17integral_constantIbLb0EESY_IbLb1EEEEDaSU_SV_EUlSU_E_NS1_11comp_targetILNS1_3genE3ELNS1_11target_archE908ELNS1_3gpuE7ELNS1_3repE0EEENS1_30default_config_static_selectorELNS0_4arch9wavefront6targetE0EEEvT1_.kd
    .uniform_work_group_size: 1
    .uses_dynamic_stack: false
    .vgpr_count:     0
    .vgpr_spill_count: 0
    .wavefront_size: 32
    .workgroup_processor_mode: 1
  - .args:
      - .offset:         0
        .size:           112
        .value_kind:     by_value
    .group_segment_fixed_size: 0
    .kernarg_segment_align: 8
    .kernarg_segment_size: 112
    .language:       OpenCL C
    .language_version:
      - 2
      - 0
    .max_flat_workgroup_size: 256
    .name:           _ZN7rocprim17ROCPRIM_400000_NS6detail17trampoline_kernelINS0_14default_configENS1_27scan_by_key_config_selectorIiiEEZZNS1_16scan_by_key_implILNS1_25lookback_scan_determinismE0ELb0ES3_N6thrust23THRUST_200600_302600_NS6detail15normal_iteratorINS9_10device_ptrIiEEEESE_SE_iNS9_4plusIvEENS9_8equal_toIiEEiEE10hipError_tPvRmT2_T3_T4_T5_mT6_T7_P12ihipStream_tbENKUlT_T0_E_clISt17integral_constantIbLb0EESY_IbLb1EEEEDaSU_SV_EUlSU_E_NS1_11comp_targetILNS1_3genE2ELNS1_11target_archE906ELNS1_3gpuE6ELNS1_3repE0EEENS1_30default_config_static_selectorELNS0_4arch9wavefront6targetE0EEEvT1_
    .private_segment_fixed_size: 0
    .sgpr_count:     0
    .sgpr_spill_count: 0
    .symbol:         _ZN7rocprim17ROCPRIM_400000_NS6detail17trampoline_kernelINS0_14default_configENS1_27scan_by_key_config_selectorIiiEEZZNS1_16scan_by_key_implILNS1_25lookback_scan_determinismE0ELb0ES3_N6thrust23THRUST_200600_302600_NS6detail15normal_iteratorINS9_10device_ptrIiEEEESE_SE_iNS9_4plusIvEENS9_8equal_toIiEEiEE10hipError_tPvRmT2_T3_T4_T5_mT6_T7_P12ihipStream_tbENKUlT_T0_E_clISt17integral_constantIbLb0EESY_IbLb1EEEEDaSU_SV_EUlSU_E_NS1_11comp_targetILNS1_3genE2ELNS1_11target_archE906ELNS1_3gpuE6ELNS1_3repE0EEENS1_30default_config_static_selectorELNS0_4arch9wavefront6targetE0EEEvT1_.kd
    .uniform_work_group_size: 1
    .uses_dynamic_stack: false
    .vgpr_count:     0
    .vgpr_spill_count: 0
    .wavefront_size: 32
    .workgroup_processor_mode: 1
  - .args:
      - .offset:         0
        .size:           112
        .value_kind:     by_value
    .group_segment_fixed_size: 0
    .kernarg_segment_align: 8
    .kernarg_segment_size: 112
    .language:       OpenCL C
    .language_version:
      - 2
      - 0
    .max_flat_workgroup_size: 256
    .name:           _ZN7rocprim17ROCPRIM_400000_NS6detail17trampoline_kernelINS0_14default_configENS1_27scan_by_key_config_selectorIiiEEZZNS1_16scan_by_key_implILNS1_25lookback_scan_determinismE0ELb0ES3_N6thrust23THRUST_200600_302600_NS6detail15normal_iteratorINS9_10device_ptrIiEEEESE_SE_iNS9_4plusIvEENS9_8equal_toIiEEiEE10hipError_tPvRmT2_T3_T4_T5_mT6_T7_P12ihipStream_tbENKUlT_T0_E_clISt17integral_constantIbLb0EESY_IbLb1EEEEDaSU_SV_EUlSU_E_NS1_11comp_targetILNS1_3genE10ELNS1_11target_archE1200ELNS1_3gpuE4ELNS1_3repE0EEENS1_30default_config_static_selectorELNS0_4arch9wavefront6targetE0EEEvT1_
    .private_segment_fixed_size: 0
    .sgpr_count:     0
    .sgpr_spill_count: 0
    .symbol:         _ZN7rocprim17ROCPRIM_400000_NS6detail17trampoline_kernelINS0_14default_configENS1_27scan_by_key_config_selectorIiiEEZZNS1_16scan_by_key_implILNS1_25lookback_scan_determinismE0ELb0ES3_N6thrust23THRUST_200600_302600_NS6detail15normal_iteratorINS9_10device_ptrIiEEEESE_SE_iNS9_4plusIvEENS9_8equal_toIiEEiEE10hipError_tPvRmT2_T3_T4_T5_mT6_T7_P12ihipStream_tbENKUlT_T0_E_clISt17integral_constantIbLb0EESY_IbLb1EEEEDaSU_SV_EUlSU_E_NS1_11comp_targetILNS1_3genE10ELNS1_11target_archE1200ELNS1_3gpuE4ELNS1_3repE0EEENS1_30default_config_static_selectorELNS0_4arch9wavefront6targetE0EEEvT1_.kd
    .uniform_work_group_size: 1
    .uses_dynamic_stack: false
    .vgpr_count:     0
    .vgpr_spill_count: 0
    .wavefront_size: 32
    .workgroup_processor_mode: 1
  - .args:
      - .offset:         0
        .size:           112
        .value_kind:     by_value
    .group_segment_fixed_size: 0
    .kernarg_segment_align: 8
    .kernarg_segment_size: 112
    .language:       OpenCL C
    .language_version:
      - 2
      - 0
    .max_flat_workgroup_size: 256
    .name:           _ZN7rocprim17ROCPRIM_400000_NS6detail17trampoline_kernelINS0_14default_configENS1_27scan_by_key_config_selectorIiiEEZZNS1_16scan_by_key_implILNS1_25lookback_scan_determinismE0ELb0ES3_N6thrust23THRUST_200600_302600_NS6detail15normal_iteratorINS9_10device_ptrIiEEEESE_SE_iNS9_4plusIvEENS9_8equal_toIiEEiEE10hipError_tPvRmT2_T3_T4_T5_mT6_T7_P12ihipStream_tbENKUlT_T0_E_clISt17integral_constantIbLb0EESY_IbLb1EEEEDaSU_SV_EUlSU_E_NS1_11comp_targetILNS1_3genE9ELNS1_11target_archE1100ELNS1_3gpuE3ELNS1_3repE0EEENS1_30default_config_static_selectorELNS0_4arch9wavefront6targetE0EEEvT1_
    .private_segment_fixed_size: 0
    .sgpr_count:     0
    .sgpr_spill_count: 0
    .symbol:         _ZN7rocprim17ROCPRIM_400000_NS6detail17trampoline_kernelINS0_14default_configENS1_27scan_by_key_config_selectorIiiEEZZNS1_16scan_by_key_implILNS1_25lookback_scan_determinismE0ELb0ES3_N6thrust23THRUST_200600_302600_NS6detail15normal_iteratorINS9_10device_ptrIiEEEESE_SE_iNS9_4plusIvEENS9_8equal_toIiEEiEE10hipError_tPvRmT2_T3_T4_T5_mT6_T7_P12ihipStream_tbENKUlT_T0_E_clISt17integral_constantIbLb0EESY_IbLb1EEEEDaSU_SV_EUlSU_E_NS1_11comp_targetILNS1_3genE9ELNS1_11target_archE1100ELNS1_3gpuE3ELNS1_3repE0EEENS1_30default_config_static_selectorELNS0_4arch9wavefront6targetE0EEEvT1_.kd
    .uniform_work_group_size: 1
    .uses_dynamic_stack: false
    .vgpr_count:     0
    .vgpr_spill_count: 0
    .wavefront_size: 32
    .workgroup_processor_mode: 1
  - .args:
      - .offset:         0
        .size:           112
        .value_kind:     by_value
    .group_segment_fixed_size: 5120
    .kernarg_segment_align: 8
    .kernarg_segment_size: 112
    .language:       OpenCL C
    .language_version:
      - 2
      - 0
    .max_flat_workgroup_size: 256
    .name:           _ZN7rocprim17ROCPRIM_400000_NS6detail17trampoline_kernelINS0_14default_configENS1_27scan_by_key_config_selectorIiiEEZZNS1_16scan_by_key_implILNS1_25lookback_scan_determinismE0ELb0ES3_N6thrust23THRUST_200600_302600_NS6detail15normal_iteratorINS9_10device_ptrIiEEEESE_SE_iNS9_4plusIvEENS9_8equal_toIiEEiEE10hipError_tPvRmT2_T3_T4_T5_mT6_T7_P12ihipStream_tbENKUlT_T0_E_clISt17integral_constantIbLb0EESY_IbLb1EEEEDaSU_SV_EUlSU_E_NS1_11comp_targetILNS1_3genE8ELNS1_11target_archE1030ELNS1_3gpuE2ELNS1_3repE0EEENS1_30default_config_static_selectorELNS0_4arch9wavefront6targetE0EEEvT1_
    .private_segment_fixed_size: 0
    .sgpr_count:     36
    .sgpr_spill_count: 0
    .symbol:         _ZN7rocprim17ROCPRIM_400000_NS6detail17trampoline_kernelINS0_14default_configENS1_27scan_by_key_config_selectorIiiEEZZNS1_16scan_by_key_implILNS1_25lookback_scan_determinismE0ELb0ES3_N6thrust23THRUST_200600_302600_NS6detail15normal_iteratorINS9_10device_ptrIiEEEESE_SE_iNS9_4plusIvEENS9_8equal_toIiEEiEE10hipError_tPvRmT2_T3_T4_T5_mT6_T7_P12ihipStream_tbENKUlT_T0_E_clISt17integral_constantIbLb0EESY_IbLb1EEEEDaSU_SV_EUlSU_E_NS1_11comp_targetILNS1_3genE8ELNS1_11target_archE1030ELNS1_3gpuE2ELNS1_3repE0EEENS1_30default_config_static_selectorELNS0_4arch9wavefront6targetE0EEEvT1_.kd
    .uniform_work_group_size: 1
    .uses_dynamic_stack: false
    .vgpr_count:     42
    .vgpr_spill_count: 0
    .wavefront_size: 32
    .workgroup_processor_mode: 1
  - .args:
      - .offset:         0
        .size:           16
        .value_kind:     by_value
      - .offset:         16
        .size:           8
        .value_kind:     by_value
      - .offset:         24
        .size:           8
        .value_kind:     by_value
    .group_segment_fixed_size: 0
    .kernarg_segment_align: 8
    .kernarg_segment_size: 32
    .language:       OpenCL C
    .language_version:
      - 2
      - 0
    .max_flat_workgroup_size: 256
    .name:           _ZN6thrust23THRUST_200600_302600_NS11hip_rocprim14__parallel_for6kernelILj256ENS1_20__uninitialized_fill7functorINS0_10device_ptrIsEEsEEmLj1EEEvT0_T1_SA_
    .private_segment_fixed_size: 0
    .sgpr_count:     14
    .sgpr_spill_count: 0
    .symbol:         _ZN6thrust23THRUST_200600_302600_NS11hip_rocprim14__parallel_for6kernelILj256ENS1_20__uninitialized_fill7functorINS0_10device_ptrIsEEsEEmLj1EEEvT0_T1_SA_.kd
    .uniform_work_group_size: 1
    .uses_dynamic_stack: false
    .vgpr_count:     4
    .vgpr_spill_count: 0
    .wavefront_size: 32
    .workgroup_processor_mode: 1
  - .args:
      - .address_space:  global
        .offset:         0
        .size:           8
        .value_kind:     global_buffer
      - .offset:         8
        .size:           4
        .value_kind:     by_value
      - .offset:         12
        .size:           4
        .value_kind:     by_value
      - .address_space:  global
        .offset:         16
        .size:           8
        .value_kind:     global_buffer
      - .address_space:  global
        .offset:         24
        .size:           8
        .value_kind:     global_buffer
      - .actual_access:  write_only
        .address_space:  global
        .offset:         32
        .size:           8
        .value_kind:     global_buffer
      - .offset:         40
        .size:           8
        .value_kind:     by_value
      - .offset:         48
        .size:           4
        .value_kind:     by_value
      - .offset:         52
        .size:           1
        .value_kind:     by_value
      - .offset:         56
        .size:           4
        .value_kind:     hidden_block_count_x
      - .offset:         60
        .size:           4
        .value_kind:     hidden_block_count_y
      - .offset:         64
        .size:           4
        .value_kind:     hidden_block_count_z
      - .offset:         68
        .size:           2
        .value_kind:     hidden_group_size_x
      - .offset:         70
        .size:           2
        .value_kind:     hidden_group_size_y
      - .offset:         72
        .size:           2
        .value_kind:     hidden_group_size_z
      - .offset:         74
        .size:           2
        .value_kind:     hidden_remainder_x
      - .offset:         76
        .size:           2
        .value_kind:     hidden_remainder_y
      - .offset:         78
        .size:           2
        .value_kind:     hidden_remainder_z
      - .offset:         96
        .size:           8
        .value_kind:     hidden_global_offset_x
      - .offset:         104
        .size:           8
        .value_kind:     hidden_global_offset_y
      - .offset:         112
        .size:           8
        .value_kind:     hidden_global_offset_z
      - .offset:         120
        .size:           2
        .value_kind:     hidden_grid_dims
    .group_segment_fixed_size: 0
    .kernarg_segment_align: 8
    .kernarg_segment_size: 312
    .language:       OpenCL C
    .language_version:
      - 2
      - 0
    .max_flat_workgroup_size: 256
    .name:           _ZN7rocprim17ROCPRIM_400000_NS6detail30init_device_scan_by_key_kernelINS1_19lookback_scan_stateINS0_5tupleIJsbEEELb0ELb1EEEN6thrust23THRUST_200600_302600_NS6detail15normal_iteratorINS8_10device_ptrIsEEEEjNS1_16block_id_wrapperIjLb0EEEEEvT_jjPNSG_10value_typeET0_PNSt15iterator_traitsISJ_E10value_typeEmT1_T2_
    .private_segment_fixed_size: 0
    .sgpr_count:     19
    .sgpr_spill_count: 0
    .symbol:         _ZN7rocprim17ROCPRIM_400000_NS6detail30init_device_scan_by_key_kernelINS1_19lookback_scan_stateINS0_5tupleIJsbEEELb0ELb1EEEN6thrust23THRUST_200600_302600_NS6detail15normal_iteratorINS8_10device_ptrIsEEEEjNS1_16block_id_wrapperIjLb0EEEEEvT_jjPNSG_10value_typeET0_PNSt15iterator_traitsISJ_E10value_typeEmT1_T2_.kd
    .uniform_work_group_size: 1
    .uses_dynamic_stack: false
    .vgpr_count:     7
    .vgpr_spill_count: 0
    .wavefront_size: 32
    .workgroup_processor_mode: 1
  - .args:
      - .address_space:  global
        .offset:         0
        .size:           8
        .value_kind:     global_buffer
      - .offset:         8
        .size:           4
        .value_kind:     by_value
      - .offset:         12
        .size:           4
        .value_kind:     by_value
      - .address_space:  global
        .offset:         16
        .size:           8
        .value_kind:     global_buffer
      - .offset:         24
        .size:           1
        .value_kind:     by_value
      - .offset:         32
        .size:           4
        .value_kind:     hidden_block_count_x
      - .offset:         36
        .size:           4
        .value_kind:     hidden_block_count_y
      - .offset:         40
        .size:           4
        .value_kind:     hidden_block_count_z
      - .offset:         44
        .size:           2
        .value_kind:     hidden_group_size_x
      - .offset:         46
        .size:           2
        .value_kind:     hidden_group_size_y
      - .offset:         48
        .size:           2
        .value_kind:     hidden_group_size_z
      - .offset:         50
        .size:           2
        .value_kind:     hidden_remainder_x
      - .offset:         52
        .size:           2
        .value_kind:     hidden_remainder_y
      - .offset:         54
        .size:           2
        .value_kind:     hidden_remainder_z
      - .offset:         72
        .size:           8
        .value_kind:     hidden_global_offset_x
      - .offset:         80
        .size:           8
        .value_kind:     hidden_global_offset_y
      - .offset:         88
        .size:           8
        .value_kind:     hidden_global_offset_z
      - .offset:         96
        .size:           2
        .value_kind:     hidden_grid_dims
    .group_segment_fixed_size: 0
    .kernarg_segment_align: 8
    .kernarg_segment_size: 288
    .language:       OpenCL C
    .language_version:
      - 2
      - 0
    .max_flat_workgroup_size: 256
    .name:           _ZN7rocprim17ROCPRIM_400000_NS6detail30init_device_scan_by_key_kernelINS1_19lookback_scan_stateINS0_5tupleIJsbEEELb0ELb1EEENS1_16block_id_wrapperIjLb0EEEEEvT_jjPNS9_10value_typeET0_
    .private_segment_fixed_size: 0
    .sgpr_count:     12
    .sgpr_spill_count: 0
    .symbol:         _ZN7rocprim17ROCPRIM_400000_NS6detail30init_device_scan_by_key_kernelINS1_19lookback_scan_stateINS0_5tupleIJsbEEELb0ELb1EEENS1_16block_id_wrapperIjLb0EEEEEvT_jjPNS9_10value_typeET0_.kd
    .uniform_work_group_size: 1
    .uses_dynamic_stack: false
    .vgpr_count:     7
    .vgpr_spill_count: 0
    .wavefront_size: 32
    .workgroup_processor_mode: 1
  - .args:
      - .offset:         0
        .size:           112
        .value_kind:     by_value
    .group_segment_fixed_size: 0
    .kernarg_segment_align: 8
    .kernarg_segment_size: 112
    .language:       OpenCL C
    .language_version:
      - 2
      - 0
    .max_flat_workgroup_size: 256
    .name:           _ZN7rocprim17ROCPRIM_400000_NS6detail17trampoline_kernelINS0_14default_configENS1_27scan_by_key_config_selectorIssEEZZNS1_16scan_by_key_implILNS1_25lookback_scan_determinismE0ELb0ES3_N6thrust23THRUST_200600_302600_NS6detail15normal_iteratorINS9_10device_ptrIsEEEESE_SE_sNS9_4plusIvEENS9_8equal_toIvEEsEE10hipError_tPvRmT2_T3_T4_T5_mT6_T7_P12ihipStream_tbENKUlT_T0_E_clISt17integral_constantIbLb0EESZ_EEDaSU_SV_EUlSU_E_NS1_11comp_targetILNS1_3genE0ELNS1_11target_archE4294967295ELNS1_3gpuE0ELNS1_3repE0EEENS1_30default_config_static_selectorELNS0_4arch9wavefront6targetE0EEEvT1_
    .private_segment_fixed_size: 0
    .sgpr_count:     0
    .sgpr_spill_count: 0
    .symbol:         _ZN7rocprim17ROCPRIM_400000_NS6detail17trampoline_kernelINS0_14default_configENS1_27scan_by_key_config_selectorIssEEZZNS1_16scan_by_key_implILNS1_25lookback_scan_determinismE0ELb0ES3_N6thrust23THRUST_200600_302600_NS6detail15normal_iteratorINS9_10device_ptrIsEEEESE_SE_sNS9_4plusIvEENS9_8equal_toIvEEsEE10hipError_tPvRmT2_T3_T4_T5_mT6_T7_P12ihipStream_tbENKUlT_T0_E_clISt17integral_constantIbLb0EESZ_EEDaSU_SV_EUlSU_E_NS1_11comp_targetILNS1_3genE0ELNS1_11target_archE4294967295ELNS1_3gpuE0ELNS1_3repE0EEENS1_30default_config_static_selectorELNS0_4arch9wavefront6targetE0EEEvT1_.kd
    .uniform_work_group_size: 1
    .uses_dynamic_stack: false
    .vgpr_count:     0
    .vgpr_spill_count: 0
    .wavefront_size: 32
    .workgroup_processor_mode: 1
  - .args:
      - .offset:         0
        .size:           112
        .value_kind:     by_value
    .group_segment_fixed_size: 0
    .kernarg_segment_align: 8
    .kernarg_segment_size: 112
    .language:       OpenCL C
    .language_version:
      - 2
      - 0
    .max_flat_workgroup_size: 128
    .name:           _ZN7rocprim17ROCPRIM_400000_NS6detail17trampoline_kernelINS0_14default_configENS1_27scan_by_key_config_selectorIssEEZZNS1_16scan_by_key_implILNS1_25lookback_scan_determinismE0ELb0ES3_N6thrust23THRUST_200600_302600_NS6detail15normal_iteratorINS9_10device_ptrIsEEEESE_SE_sNS9_4plusIvEENS9_8equal_toIvEEsEE10hipError_tPvRmT2_T3_T4_T5_mT6_T7_P12ihipStream_tbENKUlT_T0_E_clISt17integral_constantIbLb0EESZ_EEDaSU_SV_EUlSU_E_NS1_11comp_targetILNS1_3genE10ELNS1_11target_archE1201ELNS1_3gpuE5ELNS1_3repE0EEENS1_30default_config_static_selectorELNS0_4arch9wavefront6targetE0EEEvT1_
    .private_segment_fixed_size: 0
    .sgpr_count:     0
    .sgpr_spill_count: 0
    .symbol:         _ZN7rocprim17ROCPRIM_400000_NS6detail17trampoline_kernelINS0_14default_configENS1_27scan_by_key_config_selectorIssEEZZNS1_16scan_by_key_implILNS1_25lookback_scan_determinismE0ELb0ES3_N6thrust23THRUST_200600_302600_NS6detail15normal_iteratorINS9_10device_ptrIsEEEESE_SE_sNS9_4plusIvEENS9_8equal_toIvEEsEE10hipError_tPvRmT2_T3_T4_T5_mT6_T7_P12ihipStream_tbENKUlT_T0_E_clISt17integral_constantIbLb0EESZ_EEDaSU_SV_EUlSU_E_NS1_11comp_targetILNS1_3genE10ELNS1_11target_archE1201ELNS1_3gpuE5ELNS1_3repE0EEENS1_30default_config_static_selectorELNS0_4arch9wavefront6targetE0EEEvT1_.kd
    .uniform_work_group_size: 1
    .uses_dynamic_stack: false
    .vgpr_count:     0
    .vgpr_spill_count: 0
    .wavefront_size: 32
    .workgroup_processor_mode: 1
  - .args:
      - .offset:         0
        .size:           112
        .value_kind:     by_value
    .group_segment_fixed_size: 0
    .kernarg_segment_align: 8
    .kernarg_segment_size: 112
    .language:       OpenCL C
    .language_version:
      - 2
      - 0
    .max_flat_workgroup_size: 256
    .name:           _ZN7rocprim17ROCPRIM_400000_NS6detail17trampoline_kernelINS0_14default_configENS1_27scan_by_key_config_selectorIssEEZZNS1_16scan_by_key_implILNS1_25lookback_scan_determinismE0ELb0ES3_N6thrust23THRUST_200600_302600_NS6detail15normal_iteratorINS9_10device_ptrIsEEEESE_SE_sNS9_4plusIvEENS9_8equal_toIvEEsEE10hipError_tPvRmT2_T3_T4_T5_mT6_T7_P12ihipStream_tbENKUlT_T0_E_clISt17integral_constantIbLb0EESZ_EEDaSU_SV_EUlSU_E_NS1_11comp_targetILNS1_3genE5ELNS1_11target_archE942ELNS1_3gpuE9ELNS1_3repE0EEENS1_30default_config_static_selectorELNS0_4arch9wavefront6targetE0EEEvT1_
    .private_segment_fixed_size: 0
    .sgpr_count:     0
    .sgpr_spill_count: 0
    .symbol:         _ZN7rocprim17ROCPRIM_400000_NS6detail17trampoline_kernelINS0_14default_configENS1_27scan_by_key_config_selectorIssEEZZNS1_16scan_by_key_implILNS1_25lookback_scan_determinismE0ELb0ES3_N6thrust23THRUST_200600_302600_NS6detail15normal_iteratorINS9_10device_ptrIsEEEESE_SE_sNS9_4plusIvEENS9_8equal_toIvEEsEE10hipError_tPvRmT2_T3_T4_T5_mT6_T7_P12ihipStream_tbENKUlT_T0_E_clISt17integral_constantIbLb0EESZ_EEDaSU_SV_EUlSU_E_NS1_11comp_targetILNS1_3genE5ELNS1_11target_archE942ELNS1_3gpuE9ELNS1_3repE0EEENS1_30default_config_static_selectorELNS0_4arch9wavefront6targetE0EEEvT1_.kd
    .uniform_work_group_size: 1
    .uses_dynamic_stack: false
    .vgpr_count:     0
    .vgpr_spill_count: 0
    .wavefront_size: 32
    .workgroup_processor_mode: 1
  - .args:
      - .offset:         0
        .size:           112
        .value_kind:     by_value
    .group_segment_fixed_size: 0
    .kernarg_segment_align: 8
    .kernarg_segment_size: 112
    .language:       OpenCL C
    .language_version:
      - 2
      - 0
    .max_flat_workgroup_size: 256
    .name:           _ZN7rocprim17ROCPRIM_400000_NS6detail17trampoline_kernelINS0_14default_configENS1_27scan_by_key_config_selectorIssEEZZNS1_16scan_by_key_implILNS1_25lookback_scan_determinismE0ELb0ES3_N6thrust23THRUST_200600_302600_NS6detail15normal_iteratorINS9_10device_ptrIsEEEESE_SE_sNS9_4plusIvEENS9_8equal_toIvEEsEE10hipError_tPvRmT2_T3_T4_T5_mT6_T7_P12ihipStream_tbENKUlT_T0_E_clISt17integral_constantIbLb0EESZ_EEDaSU_SV_EUlSU_E_NS1_11comp_targetILNS1_3genE4ELNS1_11target_archE910ELNS1_3gpuE8ELNS1_3repE0EEENS1_30default_config_static_selectorELNS0_4arch9wavefront6targetE0EEEvT1_
    .private_segment_fixed_size: 0
    .sgpr_count:     0
    .sgpr_spill_count: 0
    .symbol:         _ZN7rocprim17ROCPRIM_400000_NS6detail17trampoline_kernelINS0_14default_configENS1_27scan_by_key_config_selectorIssEEZZNS1_16scan_by_key_implILNS1_25lookback_scan_determinismE0ELb0ES3_N6thrust23THRUST_200600_302600_NS6detail15normal_iteratorINS9_10device_ptrIsEEEESE_SE_sNS9_4plusIvEENS9_8equal_toIvEEsEE10hipError_tPvRmT2_T3_T4_T5_mT6_T7_P12ihipStream_tbENKUlT_T0_E_clISt17integral_constantIbLb0EESZ_EEDaSU_SV_EUlSU_E_NS1_11comp_targetILNS1_3genE4ELNS1_11target_archE910ELNS1_3gpuE8ELNS1_3repE0EEENS1_30default_config_static_selectorELNS0_4arch9wavefront6targetE0EEEvT1_.kd
    .uniform_work_group_size: 1
    .uses_dynamic_stack: false
    .vgpr_count:     0
    .vgpr_spill_count: 0
    .wavefront_size: 32
    .workgroup_processor_mode: 1
  - .args:
      - .offset:         0
        .size:           112
        .value_kind:     by_value
    .group_segment_fixed_size: 0
    .kernarg_segment_align: 8
    .kernarg_segment_size: 112
    .language:       OpenCL C
    .language_version:
      - 2
      - 0
    .max_flat_workgroup_size: 256
    .name:           _ZN7rocprim17ROCPRIM_400000_NS6detail17trampoline_kernelINS0_14default_configENS1_27scan_by_key_config_selectorIssEEZZNS1_16scan_by_key_implILNS1_25lookback_scan_determinismE0ELb0ES3_N6thrust23THRUST_200600_302600_NS6detail15normal_iteratorINS9_10device_ptrIsEEEESE_SE_sNS9_4plusIvEENS9_8equal_toIvEEsEE10hipError_tPvRmT2_T3_T4_T5_mT6_T7_P12ihipStream_tbENKUlT_T0_E_clISt17integral_constantIbLb0EESZ_EEDaSU_SV_EUlSU_E_NS1_11comp_targetILNS1_3genE3ELNS1_11target_archE908ELNS1_3gpuE7ELNS1_3repE0EEENS1_30default_config_static_selectorELNS0_4arch9wavefront6targetE0EEEvT1_
    .private_segment_fixed_size: 0
    .sgpr_count:     0
    .sgpr_spill_count: 0
    .symbol:         _ZN7rocprim17ROCPRIM_400000_NS6detail17trampoline_kernelINS0_14default_configENS1_27scan_by_key_config_selectorIssEEZZNS1_16scan_by_key_implILNS1_25lookback_scan_determinismE0ELb0ES3_N6thrust23THRUST_200600_302600_NS6detail15normal_iteratorINS9_10device_ptrIsEEEESE_SE_sNS9_4plusIvEENS9_8equal_toIvEEsEE10hipError_tPvRmT2_T3_T4_T5_mT6_T7_P12ihipStream_tbENKUlT_T0_E_clISt17integral_constantIbLb0EESZ_EEDaSU_SV_EUlSU_E_NS1_11comp_targetILNS1_3genE3ELNS1_11target_archE908ELNS1_3gpuE7ELNS1_3repE0EEENS1_30default_config_static_selectorELNS0_4arch9wavefront6targetE0EEEvT1_.kd
    .uniform_work_group_size: 1
    .uses_dynamic_stack: false
    .vgpr_count:     0
    .vgpr_spill_count: 0
    .wavefront_size: 32
    .workgroup_processor_mode: 1
  - .args:
      - .offset:         0
        .size:           112
        .value_kind:     by_value
    .group_segment_fixed_size: 0
    .kernarg_segment_align: 8
    .kernarg_segment_size: 112
    .language:       OpenCL C
    .language_version:
      - 2
      - 0
    .max_flat_workgroup_size: 64
    .name:           _ZN7rocprim17ROCPRIM_400000_NS6detail17trampoline_kernelINS0_14default_configENS1_27scan_by_key_config_selectorIssEEZZNS1_16scan_by_key_implILNS1_25lookback_scan_determinismE0ELb0ES3_N6thrust23THRUST_200600_302600_NS6detail15normal_iteratorINS9_10device_ptrIsEEEESE_SE_sNS9_4plusIvEENS9_8equal_toIvEEsEE10hipError_tPvRmT2_T3_T4_T5_mT6_T7_P12ihipStream_tbENKUlT_T0_E_clISt17integral_constantIbLb0EESZ_EEDaSU_SV_EUlSU_E_NS1_11comp_targetILNS1_3genE2ELNS1_11target_archE906ELNS1_3gpuE6ELNS1_3repE0EEENS1_30default_config_static_selectorELNS0_4arch9wavefront6targetE0EEEvT1_
    .private_segment_fixed_size: 0
    .sgpr_count:     0
    .sgpr_spill_count: 0
    .symbol:         _ZN7rocprim17ROCPRIM_400000_NS6detail17trampoline_kernelINS0_14default_configENS1_27scan_by_key_config_selectorIssEEZZNS1_16scan_by_key_implILNS1_25lookback_scan_determinismE0ELb0ES3_N6thrust23THRUST_200600_302600_NS6detail15normal_iteratorINS9_10device_ptrIsEEEESE_SE_sNS9_4plusIvEENS9_8equal_toIvEEsEE10hipError_tPvRmT2_T3_T4_T5_mT6_T7_P12ihipStream_tbENKUlT_T0_E_clISt17integral_constantIbLb0EESZ_EEDaSU_SV_EUlSU_E_NS1_11comp_targetILNS1_3genE2ELNS1_11target_archE906ELNS1_3gpuE6ELNS1_3repE0EEENS1_30default_config_static_selectorELNS0_4arch9wavefront6targetE0EEEvT1_.kd
    .uniform_work_group_size: 1
    .uses_dynamic_stack: false
    .vgpr_count:     0
    .vgpr_spill_count: 0
    .wavefront_size: 32
    .workgroup_processor_mode: 1
  - .args:
      - .offset:         0
        .size:           112
        .value_kind:     by_value
    .group_segment_fixed_size: 0
    .kernarg_segment_align: 8
    .kernarg_segment_size: 112
    .language:       OpenCL C
    .language_version:
      - 2
      - 0
    .max_flat_workgroup_size: 256
    .name:           _ZN7rocprim17ROCPRIM_400000_NS6detail17trampoline_kernelINS0_14default_configENS1_27scan_by_key_config_selectorIssEEZZNS1_16scan_by_key_implILNS1_25lookback_scan_determinismE0ELb0ES3_N6thrust23THRUST_200600_302600_NS6detail15normal_iteratorINS9_10device_ptrIsEEEESE_SE_sNS9_4plusIvEENS9_8equal_toIvEEsEE10hipError_tPvRmT2_T3_T4_T5_mT6_T7_P12ihipStream_tbENKUlT_T0_E_clISt17integral_constantIbLb0EESZ_EEDaSU_SV_EUlSU_E_NS1_11comp_targetILNS1_3genE10ELNS1_11target_archE1200ELNS1_3gpuE4ELNS1_3repE0EEENS1_30default_config_static_selectorELNS0_4arch9wavefront6targetE0EEEvT1_
    .private_segment_fixed_size: 0
    .sgpr_count:     0
    .sgpr_spill_count: 0
    .symbol:         _ZN7rocprim17ROCPRIM_400000_NS6detail17trampoline_kernelINS0_14default_configENS1_27scan_by_key_config_selectorIssEEZZNS1_16scan_by_key_implILNS1_25lookback_scan_determinismE0ELb0ES3_N6thrust23THRUST_200600_302600_NS6detail15normal_iteratorINS9_10device_ptrIsEEEESE_SE_sNS9_4plusIvEENS9_8equal_toIvEEsEE10hipError_tPvRmT2_T3_T4_T5_mT6_T7_P12ihipStream_tbENKUlT_T0_E_clISt17integral_constantIbLb0EESZ_EEDaSU_SV_EUlSU_E_NS1_11comp_targetILNS1_3genE10ELNS1_11target_archE1200ELNS1_3gpuE4ELNS1_3repE0EEENS1_30default_config_static_selectorELNS0_4arch9wavefront6targetE0EEEvT1_.kd
    .uniform_work_group_size: 1
    .uses_dynamic_stack: false
    .vgpr_count:     0
    .vgpr_spill_count: 0
    .wavefront_size: 32
    .workgroup_processor_mode: 1
  - .args:
      - .offset:         0
        .size:           112
        .value_kind:     by_value
    .group_segment_fixed_size: 0
    .kernarg_segment_align: 8
    .kernarg_segment_size: 112
    .language:       OpenCL C
    .language_version:
      - 2
      - 0
    .max_flat_workgroup_size: 256
    .name:           _ZN7rocprim17ROCPRIM_400000_NS6detail17trampoline_kernelINS0_14default_configENS1_27scan_by_key_config_selectorIssEEZZNS1_16scan_by_key_implILNS1_25lookback_scan_determinismE0ELb0ES3_N6thrust23THRUST_200600_302600_NS6detail15normal_iteratorINS9_10device_ptrIsEEEESE_SE_sNS9_4plusIvEENS9_8equal_toIvEEsEE10hipError_tPvRmT2_T3_T4_T5_mT6_T7_P12ihipStream_tbENKUlT_T0_E_clISt17integral_constantIbLb0EESZ_EEDaSU_SV_EUlSU_E_NS1_11comp_targetILNS1_3genE9ELNS1_11target_archE1100ELNS1_3gpuE3ELNS1_3repE0EEENS1_30default_config_static_selectorELNS0_4arch9wavefront6targetE0EEEvT1_
    .private_segment_fixed_size: 0
    .sgpr_count:     0
    .sgpr_spill_count: 0
    .symbol:         _ZN7rocprim17ROCPRIM_400000_NS6detail17trampoline_kernelINS0_14default_configENS1_27scan_by_key_config_selectorIssEEZZNS1_16scan_by_key_implILNS1_25lookback_scan_determinismE0ELb0ES3_N6thrust23THRUST_200600_302600_NS6detail15normal_iteratorINS9_10device_ptrIsEEEESE_SE_sNS9_4plusIvEENS9_8equal_toIvEEsEE10hipError_tPvRmT2_T3_T4_T5_mT6_T7_P12ihipStream_tbENKUlT_T0_E_clISt17integral_constantIbLb0EESZ_EEDaSU_SV_EUlSU_E_NS1_11comp_targetILNS1_3genE9ELNS1_11target_archE1100ELNS1_3gpuE3ELNS1_3repE0EEENS1_30default_config_static_selectorELNS0_4arch9wavefront6targetE0EEEvT1_.kd
    .uniform_work_group_size: 1
    .uses_dynamic_stack: false
    .vgpr_count:     0
    .vgpr_spill_count: 0
    .wavefront_size: 32
    .workgroup_processor_mode: 1
  - .args:
      - .offset:         0
        .size:           112
        .value_kind:     by_value
    .group_segment_fixed_size: 1536
    .kernarg_segment_align: 8
    .kernarg_segment_size: 112
    .language:       OpenCL C
    .language_version:
      - 2
      - 0
    .max_flat_workgroup_size: 64
    .name:           _ZN7rocprim17ROCPRIM_400000_NS6detail17trampoline_kernelINS0_14default_configENS1_27scan_by_key_config_selectorIssEEZZNS1_16scan_by_key_implILNS1_25lookback_scan_determinismE0ELb0ES3_N6thrust23THRUST_200600_302600_NS6detail15normal_iteratorINS9_10device_ptrIsEEEESE_SE_sNS9_4plusIvEENS9_8equal_toIvEEsEE10hipError_tPvRmT2_T3_T4_T5_mT6_T7_P12ihipStream_tbENKUlT_T0_E_clISt17integral_constantIbLb0EESZ_EEDaSU_SV_EUlSU_E_NS1_11comp_targetILNS1_3genE8ELNS1_11target_archE1030ELNS1_3gpuE2ELNS1_3repE0EEENS1_30default_config_static_selectorELNS0_4arch9wavefront6targetE0EEEvT1_
    .private_segment_fixed_size: 0
    .sgpr_count:     41
    .sgpr_spill_count: 0
    .symbol:         _ZN7rocprim17ROCPRIM_400000_NS6detail17trampoline_kernelINS0_14default_configENS1_27scan_by_key_config_selectorIssEEZZNS1_16scan_by_key_implILNS1_25lookback_scan_determinismE0ELb0ES3_N6thrust23THRUST_200600_302600_NS6detail15normal_iteratorINS9_10device_ptrIsEEEESE_SE_sNS9_4plusIvEENS9_8equal_toIvEEsEE10hipError_tPvRmT2_T3_T4_T5_mT6_T7_P12ihipStream_tbENKUlT_T0_E_clISt17integral_constantIbLb0EESZ_EEDaSU_SV_EUlSU_E_NS1_11comp_targetILNS1_3genE8ELNS1_11target_archE1030ELNS1_3gpuE2ELNS1_3repE0EEENS1_30default_config_static_selectorELNS0_4arch9wavefront6targetE0EEEvT1_.kd
    .uniform_work_group_size: 1
    .uses_dynamic_stack: false
    .vgpr_count:     42
    .vgpr_spill_count: 0
    .wavefront_size: 32
    .workgroup_processor_mode: 1
  - .args:
      - .address_space:  global
        .offset:         0
        .size:           8
        .value_kind:     global_buffer
      - .offset:         8
        .size:           4
        .value_kind:     by_value
      - .offset:         12
        .size:           4
        .value_kind:     by_value
      - .address_space:  global
        .offset:         16
        .size:           8
        .value_kind:     global_buffer
      - .address_space:  global
        .offset:         24
        .size:           8
        .value_kind:     global_buffer
      - .actual_access:  write_only
        .address_space:  global
        .offset:         32
        .size:           8
        .value_kind:     global_buffer
      - .offset:         40
        .size:           8
        .value_kind:     by_value
      - .offset:         48
        .size:           4
        .value_kind:     by_value
      - .address_space:  global
        .offset:         56
        .size:           8
        .value_kind:     global_buffer
      - .offset:         64
        .size:           4
        .value_kind:     hidden_block_count_x
      - .offset:         68
        .size:           4
        .value_kind:     hidden_block_count_y
      - .offset:         72
        .size:           4
        .value_kind:     hidden_block_count_z
      - .offset:         76
        .size:           2
        .value_kind:     hidden_group_size_x
      - .offset:         78
        .size:           2
        .value_kind:     hidden_group_size_y
      - .offset:         80
        .size:           2
        .value_kind:     hidden_group_size_z
      - .offset:         82
        .size:           2
        .value_kind:     hidden_remainder_x
      - .offset:         84
        .size:           2
        .value_kind:     hidden_remainder_y
      - .offset:         86
        .size:           2
        .value_kind:     hidden_remainder_z
      - .offset:         104
        .size:           8
        .value_kind:     hidden_global_offset_x
      - .offset:         112
        .size:           8
        .value_kind:     hidden_global_offset_y
      - .offset:         120
        .size:           8
        .value_kind:     hidden_global_offset_z
      - .offset:         128
        .size:           2
        .value_kind:     hidden_grid_dims
    .group_segment_fixed_size: 0
    .kernarg_segment_align: 8
    .kernarg_segment_size: 320
    .language:       OpenCL C
    .language_version:
      - 2
      - 0
    .max_flat_workgroup_size: 256
    .name:           _ZN7rocprim17ROCPRIM_400000_NS6detail30init_device_scan_by_key_kernelINS1_19lookback_scan_stateINS0_5tupleIJsbEEELb1ELb1EEEN6thrust23THRUST_200600_302600_NS6detail15normal_iteratorINS8_10device_ptrIsEEEEjNS1_16block_id_wrapperIjLb1EEEEEvT_jjPNSG_10value_typeET0_PNSt15iterator_traitsISJ_E10value_typeEmT1_T2_
    .private_segment_fixed_size: 0
    .sgpr_count:     19
    .sgpr_spill_count: 0
    .symbol:         _ZN7rocprim17ROCPRIM_400000_NS6detail30init_device_scan_by_key_kernelINS1_19lookback_scan_stateINS0_5tupleIJsbEEELb1ELb1EEEN6thrust23THRUST_200600_302600_NS6detail15normal_iteratorINS8_10device_ptrIsEEEEjNS1_16block_id_wrapperIjLb1EEEEEvT_jjPNSG_10value_typeET0_PNSt15iterator_traitsISJ_E10value_typeEmT1_T2_.kd
    .uniform_work_group_size: 1
    .uses_dynamic_stack: false
    .vgpr_count:     7
    .vgpr_spill_count: 0
    .wavefront_size: 32
    .workgroup_processor_mode: 1
  - .args:
      - .address_space:  global
        .offset:         0
        .size:           8
        .value_kind:     global_buffer
      - .offset:         8
        .size:           4
        .value_kind:     by_value
      - .offset:         12
        .size:           4
        .value_kind:     by_value
      - .address_space:  global
        .offset:         16
        .size:           8
        .value_kind:     global_buffer
      - .address_space:  global
        .offset:         24
        .size:           8
        .value_kind:     global_buffer
      - .offset:         32
        .size:           4
        .value_kind:     hidden_block_count_x
      - .offset:         36
        .size:           4
        .value_kind:     hidden_block_count_y
      - .offset:         40
        .size:           4
        .value_kind:     hidden_block_count_z
      - .offset:         44
        .size:           2
        .value_kind:     hidden_group_size_x
      - .offset:         46
        .size:           2
        .value_kind:     hidden_group_size_y
      - .offset:         48
        .size:           2
        .value_kind:     hidden_group_size_z
      - .offset:         50
        .size:           2
        .value_kind:     hidden_remainder_x
      - .offset:         52
        .size:           2
        .value_kind:     hidden_remainder_y
      - .offset:         54
        .size:           2
        .value_kind:     hidden_remainder_z
      - .offset:         72
        .size:           8
        .value_kind:     hidden_global_offset_x
      - .offset:         80
        .size:           8
        .value_kind:     hidden_global_offset_y
      - .offset:         88
        .size:           8
        .value_kind:     hidden_global_offset_z
      - .offset:         96
        .size:           2
        .value_kind:     hidden_grid_dims
    .group_segment_fixed_size: 0
    .kernarg_segment_align: 8
    .kernarg_segment_size: 288
    .language:       OpenCL C
    .language_version:
      - 2
      - 0
    .max_flat_workgroup_size: 256
    .name:           _ZN7rocprim17ROCPRIM_400000_NS6detail30init_device_scan_by_key_kernelINS1_19lookback_scan_stateINS0_5tupleIJsbEEELb1ELb1EEENS1_16block_id_wrapperIjLb1EEEEEvT_jjPNS9_10value_typeET0_
    .private_segment_fixed_size: 0
    .sgpr_count:     18
    .sgpr_spill_count: 0
    .symbol:         _ZN7rocprim17ROCPRIM_400000_NS6detail30init_device_scan_by_key_kernelINS1_19lookback_scan_stateINS0_5tupleIJsbEEELb1ELb1EEENS1_16block_id_wrapperIjLb1EEEEEvT_jjPNS9_10value_typeET0_.kd
    .uniform_work_group_size: 1
    .uses_dynamic_stack: false
    .vgpr_count:     7
    .vgpr_spill_count: 0
    .wavefront_size: 32
    .workgroup_processor_mode: 1
  - .args:
      - .offset:         0
        .size:           112
        .value_kind:     by_value
    .group_segment_fixed_size: 0
    .kernarg_segment_align: 8
    .kernarg_segment_size: 112
    .language:       OpenCL C
    .language_version:
      - 2
      - 0
    .max_flat_workgroup_size: 256
    .name:           _ZN7rocprim17ROCPRIM_400000_NS6detail17trampoline_kernelINS0_14default_configENS1_27scan_by_key_config_selectorIssEEZZNS1_16scan_by_key_implILNS1_25lookback_scan_determinismE0ELb0ES3_N6thrust23THRUST_200600_302600_NS6detail15normal_iteratorINS9_10device_ptrIsEEEESE_SE_sNS9_4plusIvEENS9_8equal_toIvEEsEE10hipError_tPvRmT2_T3_T4_T5_mT6_T7_P12ihipStream_tbENKUlT_T0_E_clISt17integral_constantIbLb1EESZ_EEDaSU_SV_EUlSU_E_NS1_11comp_targetILNS1_3genE0ELNS1_11target_archE4294967295ELNS1_3gpuE0ELNS1_3repE0EEENS1_30default_config_static_selectorELNS0_4arch9wavefront6targetE0EEEvT1_
    .private_segment_fixed_size: 0
    .sgpr_count:     0
    .sgpr_spill_count: 0
    .symbol:         _ZN7rocprim17ROCPRIM_400000_NS6detail17trampoline_kernelINS0_14default_configENS1_27scan_by_key_config_selectorIssEEZZNS1_16scan_by_key_implILNS1_25lookback_scan_determinismE0ELb0ES3_N6thrust23THRUST_200600_302600_NS6detail15normal_iteratorINS9_10device_ptrIsEEEESE_SE_sNS9_4plusIvEENS9_8equal_toIvEEsEE10hipError_tPvRmT2_T3_T4_T5_mT6_T7_P12ihipStream_tbENKUlT_T0_E_clISt17integral_constantIbLb1EESZ_EEDaSU_SV_EUlSU_E_NS1_11comp_targetILNS1_3genE0ELNS1_11target_archE4294967295ELNS1_3gpuE0ELNS1_3repE0EEENS1_30default_config_static_selectorELNS0_4arch9wavefront6targetE0EEEvT1_.kd
    .uniform_work_group_size: 1
    .uses_dynamic_stack: false
    .vgpr_count:     0
    .vgpr_spill_count: 0
    .wavefront_size: 32
    .workgroup_processor_mode: 1
  - .args:
      - .offset:         0
        .size:           112
        .value_kind:     by_value
    .group_segment_fixed_size: 0
    .kernarg_segment_align: 8
    .kernarg_segment_size: 112
    .language:       OpenCL C
    .language_version:
      - 2
      - 0
    .max_flat_workgroup_size: 128
    .name:           _ZN7rocprim17ROCPRIM_400000_NS6detail17trampoline_kernelINS0_14default_configENS1_27scan_by_key_config_selectorIssEEZZNS1_16scan_by_key_implILNS1_25lookback_scan_determinismE0ELb0ES3_N6thrust23THRUST_200600_302600_NS6detail15normal_iteratorINS9_10device_ptrIsEEEESE_SE_sNS9_4plusIvEENS9_8equal_toIvEEsEE10hipError_tPvRmT2_T3_T4_T5_mT6_T7_P12ihipStream_tbENKUlT_T0_E_clISt17integral_constantIbLb1EESZ_EEDaSU_SV_EUlSU_E_NS1_11comp_targetILNS1_3genE10ELNS1_11target_archE1201ELNS1_3gpuE5ELNS1_3repE0EEENS1_30default_config_static_selectorELNS0_4arch9wavefront6targetE0EEEvT1_
    .private_segment_fixed_size: 0
    .sgpr_count:     0
    .sgpr_spill_count: 0
    .symbol:         _ZN7rocprim17ROCPRIM_400000_NS6detail17trampoline_kernelINS0_14default_configENS1_27scan_by_key_config_selectorIssEEZZNS1_16scan_by_key_implILNS1_25lookback_scan_determinismE0ELb0ES3_N6thrust23THRUST_200600_302600_NS6detail15normal_iteratorINS9_10device_ptrIsEEEESE_SE_sNS9_4plusIvEENS9_8equal_toIvEEsEE10hipError_tPvRmT2_T3_T4_T5_mT6_T7_P12ihipStream_tbENKUlT_T0_E_clISt17integral_constantIbLb1EESZ_EEDaSU_SV_EUlSU_E_NS1_11comp_targetILNS1_3genE10ELNS1_11target_archE1201ELNS1_3gpuE5ELNS1_3repE0EEENS1_30default_config_static_selectorELNS0_4arch9wavefront6targetE0EEEvT1_.kd
    .uniform_work_group_size: 1
    .uses_dynamic_stack: false
    .vgpr_count:     0
    .vgpr_spill_count: 0
    .wavefront_size: 32
    .workgroup_processor_mode: 1
  - .args:
      - .offset:         0
        .size:           112
        .value_kind:     by_value
    .group_segment_fixed_size: 0
    .kernarg_segment_align: 8
    .kernarg_segment_size: 112
    .language:       OpenCL C
    .language_version:
      - 2
      - 0
    .max_flat_workgroup_size: 256
    .name:           _ZN7rocprim17ROCPRIM_400000_NS6detail17trampoline_kernelINS0_14default_configENS1_27scan_by_key_config_selectorIssEEZZNS1_16scan_by_key_implILNS1_25lookback_scan_determinismE0ELb0ES3_N6thrust23THRUST_200600_302600_NS6detail15normal_iteratorINS9_10device_ptrIsEEEESE_SE_sNS9_4plusIvEENS9_8equal_toIvEEsEE10hipError_tPvRmT2_T3_T4_T5_mT6_T7_P12ihipStream_tbENKUlT_T0_E_clISt17integral_constantIbLb1EESZ_EEDaSU_SV_EUlSU_E_NS1_11comp_targetILNS1_3genE5ELNS1_11target_archE942ELNS1_3gpuE9ELNS1_3repE0EEENS1_30default_config_static_selectorELNS0_4arch9wavefront6targetE0EEEvT1_
    .private_segment_fixed_size: 0
    .sgpr_count:     0
    .sgpr_spill_count: 0
    .symbol:         _ZN7rocprim17ROCPRIM_400000_NS6detail17trampoline_kernelINS0_14default_configENS1_27scan_by_key_config_selectorIssEEZZNS1_16scan_by_key_implILNS1_25lookback_scan_determinismE0ELb0ES3_N6thrust23THRUST_200600_302600_NS6detail15normal_iteratorINS9_10device_ptrIsEEEESE_SE_sNS9_4plusIvEENS9_8equal_toIvEEsEE10hipError_tPvRmT2_T3_T4_T5_mT6_T7_P12ihipStream_tbENKUlT_T0_E_clISt17integral_constantIbLb1EESZ_EEDaSU_SV_EUlSU_E_NS1_11comp_targetILNS1_3genE5ELNS1_11target_archE942ELNS1_3gpuE9ELNS1_3repE0EEENS1_30default_config_static_selectorELNS0_4arch9wavefront6targetE0EEEvT1_.kd
    .uniform_work_group_size: 1
    .uses_dynamic_stack: false
    .vgpr_count:     0
    .vgpr_spill_count: 0
    .wavefront_size: 32
    .workgroup_processor_mode: 1
  - .args:
      - .offset:         0
        .size:           112
        .value_kind:     by_value
    .group_segment_fixed_size: 0
    .kernarg_segment_align: 8
    .kernarg_segment_size: 112
    .language:       OpenCL C
    .language_version:
      - 2
      - 0
    .max_flat_workgroup_size: 256
    .name:           _ZN7rocprim17ROCPRIM_400000_NS6detail17trampoline_kernelINS0_14default_configENS1_27scan_by_key_config_selectorIssEEZZNS1_16scan_by_key_implILNS1_25lookback_scan_determinismE0ELb0ES3_N6thrust23THRUST_200600_302600_NS6detail15normal_iteratorINS9_10device_ptrIsEEEESE_SE_sNS9_4plusIvEENS9_8equal_toIvEEsEE10hipError_tPvRmT2_T3_T4_T5_mT6_T7_P12ihipStream_tbENKUlT_T0_E_clISt17integral_constantIbLb1EESZ_EEDaSU_SV_EUlSU_E_NS1_11comp_targetILNS1_3genE4ELNS1_11target_archE910ELNS1_3gpuE8ELNS1_3repE0EEENS1_30default_config_static_selectorELNS0_4arch9wavefront6targetE0EEEvT1_
    .private_segment_fixed_size: 0
    .sgpr_count:     0
    .sgpr_spill_count: 0
    .symbol:         _ZN7rocprim17ROCPRIM_400000_NS6detail17trampoline_kernelINS0_14default_configENS1_27scan_by_key_config_selectorIssEEZZNS1_16scan_by_key_implILNS1_25lookback_scan_determinismE0ELb0ES3_N6thrust23THRUST_200600_302600_NS6detail15normal_iteratorINS9_10device_ptrIsEEEESE_SE_sNS9_4plusIvEENS9_8equal_toIvEEsEE10hipError_tPvRmT2_T3_T4_T5_mT6_T7_P12ihipStream_tbENKUlT_T0_E_clISt17integral_constantIbLb1EESZ_EEDaSU_SV_EUlSU_E_NS1_11comp_targetILNS1_3genE4ELNS1_11target_archE910ELNS1_3gpuE8ELNS1_3repE0EEENS1_30default_config_static_selectorELNS0_4arch9wavefront6targetE0EEEvT1_.kd
    .uniform_work_group_size: 1
    .uses_dynamic_stack: false
    .vgpr_count:     0
    .vgpr_spill_count: 0
    .wavefront_size: 32
    .workgroup_processor_mode: 1
  - .args:
      - .offset:         0
        .size:           112
        .value_kind:     by_value
    .group_segment_fixed_size: 0
    .kernarg_segment_align: 8
    .kernarg_segment_size: 112
    .language:       OpenCL C
    .language_version:
      - 2
      - 0
    .max_flat_workgroup_size: 256
    .name:           _ZN7rocprim17ROCPRIM_400000_NS6detail17trampoline_kernelINS0_14default_configENS1_27scan_by_key_config_selectorIssEEZZNS1_16scan_by_key_implILNS1_25lookback_scan_determinismE0ELb0ES3_N6thrust23THRUST_200600_302600_NS6detail15normal_iteratorINS9_10device_ptrIsEEEESE_SE_sNS9_4plusIvEENS9_8equal_toIvEEsEE10hipError_tPvRmT2_T3_T4_T5_mT6_T7_P12ihipStream_tbENKUlT_T0_E_clISt17integral_constantIbLb1EESZ_EEDaSU_SV_EUlSU_E_NS1_11comp_targetILNS1_3genE3ELNS1_11target_archE908ELNS1_3gpuE7ELNS1_3repE0EEENS1_30default_config_static_selectorELNS0_4arch9wavefront6targetE0EEEvT1_
    .private_segment_fixed_size: 0
    .sgpr_count:     0
    .sgpr_spill_count: 0
    .symbol:         _ZN7rocprim17ROCPRIM_400000_NS6detail17trampoline_kernelINS0_14default_configENS1_27scan_by_key_config_selectorIssEEZZNS1_16scan_by_key_implILNS1_25lookback_scan_determinismE0ELb0ES3_N6thrust23THRUST_200600_302600_NS6detail15normal_iteratorINS9_10device_ptrIsEEEESE_SE_sNS9_4plusIvEENS9_8equal_toIvEEsEE10hipError_tPvRmT2_T3_T4_T5_mT6_T7_P12ihipStream_tbENKUlT_T0_E_clISt17integral_constantIbLb1EESZ_EEDaSU_SV_EUlSU_E_NS1_11comp_targetILNS1_3genE3ELNS1_11target_archE908ELNS1_3gpuE7ELNS1_3repE0EEENS1_30default_config_static_selectorELNS0_4arch9wavefront6targetE0EEEvT1_.kd
    .uniform_work_group_size: 1
    .uses_dynamic_stack: false
    .vgpr_count:     0
    .vgpr_spill_count: 0
    .wavefront_size: 32
    .workgroup_processor_mode: 1
  - .args:
      - .offset:         0
        .size:           112
        .value_kind:     by_value
    .group_segment_fixed_size: 0
    .kernarg_segment_align: 8
    .kernarg_segment_size: 112
    .language:       OpenCL C
    .language_version:
      - 2
      - 0
    .max_flat_workgroup_size: 64
    .name:           _ZN7rocprim17ROCPRIM_400000_NS6detail17trampoline_kernelINS0_14default_configENS1_27scan_by_key_config_selectorIssEEZZNS1_16scan_by_key_implILNS1_25lookback_scan_determinismE0ELb0ES3_N6thrust23THRUST_200600_302600_NS6detail15normal_iteratorINS9_10device_ptrIsEEEESE_SE_sNS9_4plusIvEENS9_8equal_toIvEEsEE10hipError_tPvRmT2_T3_T4_T5_mT6_T7_P12ihipStream_tbENKUlT_T0_E_clISt17integral_constantIbLb1EESZ_EEDaSU_SV_EUlSU_E_NS1_11comp_targetILNS1_3genE2ELNS1_11target_archE906ELNS1_3gpuE6ELNS1_3repE0EEENS1_30default_config_static_selectorELNS0_4arch9wavefront6targetE0EEEvT1_
    .private_segment_fixed_size: 0
    .sgpr_count:     0
    .sgpr_spill_count: 0
    .symbol:         _ZN7rocprim17ROCPRIM_400000_NS6detail17trampoline_kernelINS0_14default_configENS1_27scan_by_key_config_selectorIssEEZZNS1_16scan_by_key_implILNS1_25lookback_scan_determinismE0ELb0ES3_N6thrust23THRUST_200600_302600_NS6detail15normal_iteratorINS9_10device_ptrIsEEEESE_SE_sNS9_4plusIvEENS9_8equal_toIvEEsEE10hipError_tPvRmT2_T3_T4_T5_mT6_T7_P12ihipStream_tbENKUlT_T0_E_clISt17integral_constantIbLb1EESZ_EEDaSU_SV_EUlSU_E_NS1_11comp_targetILNS1_3genE2ELNS1_11target_archE906ELNS1_3gpuE6ELNS1_3repE0EEENS1_30default_config_static_selectorELNS0_4arch9wavefront6targetE0EEEvT1_.kd
    .uniform_work_group_size: 1
    .uses_dynamic_stack: false
    .vgpr_count:     0
    .vgpr_spill_count: 0
    .wavefront_size: 32
    .workgroup_processor_mode: 1
  - .args:
      - .offset:         0
        .size:           112
        .value_kind:     by_value
    .group_segment_fixed_size: 0
    .kernarg_segment_align: 8
    .kernarg_segment_size: 112
    .language:       OpenCL C
    .language_version:
      - 2
      - 0
    .max_flat_workgroup_size: 256
    .name:           _ZN7rocprim17ROCPRIM_400000_NS6detail17trampoline_kernelINS0_14default_configENS1_27scan_by_key_config_selectorIssEEZZNS1_16scan_by_key_implILNS1_25lookback_scan_determinismE0ELb0ES3_N6thrust23THRUST_200600_302600_NS6detail15normal_iteratorINS9_10device_ptrIsEEEESE_SE_sNS9_4plusIvEENS9_8equal_toIvEEsEE10hipError_tPvRmT2_T3_T4_T5_mT6_T7_P12ihipStream_tbENKUlT_T0_E_clISt17integral_constantIbLb1EESZ_EEDaSU_SV_EUlSU_E_NS1_11comp_targetILNS1_3genE10ELNS1_11target_archE1200ELNS1_3gpuE4ELNS1_3repE0EEENS1_30default_config_static_selectorELNS0_4arch9wavefront6targetE0EEEvT1_
    .private_segment_fixed_size: 0
    .sgpr_count:     0
    .sgpr_spill_count: 0
    .symbol:         _ZN7rocprim17ROCPRIM_400000_NS6detail17trampoline_kernelINS0_14default_configENS1_27scan_by_key_config_selectorIssEEZZNS1_16scan_by_key_implILNS1_25lookback_scan_determinismE0ELb0ES3_N6thrust23THRUST_200600_302600_NS6detail15normal_iteratorINS9_10device_ptrIsEEEESE_SE_sNS9_4plusIvEENS9_8equal_toIvEEsEE10hipError_tPvRmT2_T3_T4_T5_mT6_T7_P12ihipStream_tbENKUlT_T0_E_clISt17integral_constantIbLb1EESZ_EEDaSU_SV_EUlSU_E_NS1_11comp_targetILNS1_3genE10ELNS1_11target_archE1200ELNS1_3gpuE4ELNS1_3repE0EEENS1_30default_config_static_selectorELNS0_4arch9wavefront6targetE0EEEvT1_.kd
    .uniform_work_group_size: 1
    .uses_dynamic_stack: false
    .vgpr_count:     0
    .vgpr_spill_count: 0
    .wavefront_size: 32
    .workgroup_processor_mode: 1
  - .args:
      - .offset:         0
        .size:           112
        .value_kind:     by_value
    .group_segment_fixed_size: 0
    .kernarg_segment_align: 8
    .kernarg_segment_size: 112
    .language:       OpenCL C
    .language_version:
      - 2
      - 0
    .max_flat_workgroup_size: 256
    .name:           _ZN7rocprim17ROCPRIM_400000_NS6detail17trampoline_kernelINS0_14default_configENS1_27scan_by_key_config_selectorIssEEZZNS1_16scan_by_key_implILNS1_25lookback_scan_determinismE0ELb0ES3_N6thrust23THRUST_200600_302600_NS6detail15normal_iteratorINS9_10device_ptrIsEEEESE_SE_sNS9_4plusIvEENS9_8equal_toIvEEsEE10hipError_tPvRmT2_T3_T4_T5_mT6_T7_P12ihipStream_tbENKUlT_T0_E_clISt17integral_constantIbLb1EESZ_EEDaSU_SV_EUlSU_E_NS1_11comp_targetILNS1_3genE9ELNS1_11target_archE1100ELNS1_3gpuE3ELNS1_3repE0EEENS1_30default_config_static_selectorELNS0_4arch9wavefront6targetE0EEEvT1_
    .private_segment_fixed_size: 0
    .sgpr_count:     0
    .sgpr_spill_count: 0
    .symbol:         _ZN7rocprim17ROCPRIM_400000_NS6detail17trampoline_kernelINS0_14default_configENS1_27scan_by_key_config_selectorIssEEZZNS1_16scan_by_key_implILNS1_25lookback_scan_determinismE0ELb0ES3_N6thrust23THRUST_200600_302600_NS6detail15normal_iteratorINS9_10device_ptrIsEEEESE_SE_sNS9_4plusIvEENS9_8equal_toIvEEsEE10hipError_tPvRmT2_T3_T4_T5_mT6_T7_P12ihipStream_tbENKUlT_T0_E_clISt17integral_constantIbLb1EESZ_EEDaSU_SV_EUlSU_E_NS1_11comp_targetILNS1_3genE9ELNS1_11target_archE1100ELNS1_3gpuE3ELNS1_3repE0EEENS1_30default_config_static_selectorELNS0_4arch9wavefront6targetE0EEEvT1_.kd
    .uniform_work_group_size: 1
    .uses_dynamic_stack: false
    .vgpr_count:     0
    .vgpr_spill_count: 0
    .wavefront_size: 32
    .workgroup_processor_mode: 1
  - .args:
      - .offset:         0
        .size:           112
        .value_kind:     by_value
    .group_segment_fixed_size: 0
    .kernarg_segment_align: 8
    .kernarg_segment_size: 112
    .language:       OpenCL C
    .language_version:
      - 2
      - 0
    .max_flat_workgroup_size: 64
    .name:           _ZN7rocprim17ROCPRIM_400000_NS6detail17trampoline_kernelINS0_14default_configENS1_27scan_by_key_config_selectorIssEEZZNS1_16scan_by_key_implILNS1_25lookback_scan_determinismE0ELb0ES3_N6thrust23THRUST_200600_302600_NS6detail15normal_iteratorINS9_10device_ptrIsEEEESE_SE_sNS9_4plusIvEENS9_8equal_toIvEEsEE10hipError_tPvRmT2_T3_T4_T5_mT6_T7_P12ihipStream_tbENKUlT_T0_E_clISt17integral_constantIbLb1EESZ_EEDaSU_SV_EUlSU_E_NS1_11comp_targetILNS1_3genE8ELNS1_11target_archE1030ELNS1_3gpuE2ELNS1_3repE0EEENS1_30default_config_static_selectorELNS0_4arch9wavefront6targetE0EEEvT1_
    .private_segment_fixed_size: 0
    .sgpr_count:     0
    .sgpr_spill_count: 0
    .symbol:         _ZN7rocprim17ROCPRIM_400000_NS6detail17trampoline_kernelINS0_14default_configENS1_27scan_by_key_config_selectorIssEEZZNS1_16scan_by_key_implILNS1_25lookback_scan_determinismE0ELb0ES3_N6thrust23THRUST_200600_302600_NS6detail15normal_iteratorINS9_10device_ptrIsEEEESE_SE_sNS9_4plusIvEENS9_8equal_toIvEEsEE10hipError_tPvRmT2_T3_T4_T5_mT6_T7_P12ihipStream_tbENKUlT_T0_E_clISt17integral_constantIbLb1EESZ_EEDaSU_SV_EUlSU_E_NS1_11comp_targetILNS1_3genE8ELNS1_11target_archE1030ELNS1_3gpuE2ELNS1_3repE0EEENS1_30default_config_static_selectorELNS0_4arch9wavefront6targetE0EEEvT1_.kd
    .uniform_work_group_size: 1
    .uses_dynamic_stack: false
    .vgpr_count:     0
    .vgpr_spill_count: 0
    .wavefront_size: 32
    .workgroup_processor_mode: 1
  - .args:
      - .address_space:  global
        .offset:         0
        .size:           8
        .value_kind:     global_buffer
      - .offset:         8
        .size:           4
        .value_kind:     by_value
      - .offset:         12
        .size:           4
        .value_kind:     by_value
      - .address_space:  global
        .offset:         16
        .size:           8
        .value_kind:     global_buffer
      - .address_space:  global
        .offset:         24
        .size:           8
        .value_kind:     global_buffer
      - .actual_access:  write_only
        .address_space:  global
        .offset:         32
        .size:           8
        .value_kind:     global_buffer
      - .offset:         40
        .size:           8
        .value_kind:     by_value
      - .offset:         48
        .size:           4
        .value_kind:     by_value
      - .offset:         52
        .size:           1
        .value_kind:     by_value
      - .offset:         56
        .size:           4
        .value_kind:     hidden_block_count_x
      - .offset:         60
        .size:           4
        .value_kind:     hidden_block_count_y
      - .offset:         64
        .size:           4
        .value_kind:     hidden_block_count_z
      - .offset:         68
        .size:           2
        .value_kind:     hidden_group_size_x
      - .offset:         70
        .size:           2
        .value_kind:     hidden_group_size_y
      - .offset:         72
        .size:           2
        .value_kind:     hidden_group_size_z
      - .offset:         74
        .size:           2
        .value_kind:     hidden_remainder_x
      - .offset:         76
        .size:           2
        .value_kind:     hidden_remainder_y
      - .offset:         78
        .size:           2
        .value_kind:     hidden_remainder_z
      - .offset:         96
        .size:           8
        .value_kind:     hidden_global_offset_x
      - .offset:         104
        .size:           8
        .value_kind:     hidden_global_offset_y
      - .offset:         112
        .size:           8
        .value_kind:     hidden_global_offset_z
      - .offset:         120
        .size:           2
        .value_kind:     hidden_grid_dims
    .group_segment_fixed_size: 0
    .kernarg_segment_align: 8
    .kernarg_segment_size: 312
    .language:       OpenCL C
    .language_version:
      - 2
      - 0
    .max_flat_workgroup_size: 256
    .name:           _ZN7rocprim17ROCPRIM_400000_NS6detail30init_device_scan_by_key_kernelINS1_19lookback_scan_stateINS0_5tupleIJsbEEELb1ELb1EEEN6thrust23THRUST_200600_302600_NS6detail15normal_iteratorINS8_10device_ptrIsEEEEjNS1_16block_id_wrapperIjLb0EEEEEvT_jjPNSG_10value_typeET0_PNSt15iterator_traitsISJ_E10value_typeEmT1_T2_
    .private_segment_fixed_size: 0
    .sgpr_count:     19
    .sgpr_spill_count: 0
    .symbol:         _ZN7rocprim17ROCPRIM_400000_NS6detail30init_device_scan_by_key_kernelINS1_19lookback_scan_stateINS0_5tupleIJsbEEELb1ELb1EEEN6thrust23THRUST_200600_302600_NS6detail15normal_iteratorINS8_10device_ptrIsEEEEjNS1_16block_id_wrapperIjLb0EEEEEvT_jjPNSG_10value_typeET0_PNSt15iterator_traitsISJ_E10value_typeEmT1_T2_.kd
    .uniform_work_group_size: 1
    .uses_dynamic_stack: false
    .vgpr_count:     7
    .vgpr_spill_count: 0
    .wavefront_size: 32
    .workgroup_processor_mode: 1
  - .args:
      - .address_space:  global
        .offset:         0
        .size:           8
        .value_kind:     global_buffer
      - .offset:         8
        .size:           4
        .value_kind:     by_value
      - .offset:         12
        .size:           4
        .value_kind:     by_value
      - .address_space:  global
        .offset:         16
        .size:           8
        .value_kind:     global_buffer
      - .offset:         24
        .size:           1
        .value_kind:     by_value
      - .offset:         32
        .size:           4
        .value_kind:     hidden_block_count_x
      - .offset:         36
        .size:           4
        .value_kind:     hidden_block_count_y
      - .offset:         40
        .size:           4
        .value_kind:     hidden_block_count_z
      - .offset:         44
        .size:           2
        .value_kind:     hidden_group_size_x
      - .offset:         46
        .size:           2
        .value_kind:     hidden_group_size_y
      - .offset:         48
        .size:           2
        .value_kind:     hidden_group_size_z
      - .offset:         50
        .size:           2
        .value_kind:     hidden_remainder_x
      - .offset:         52
        .size:           2
        .value_kind:     hidden_remainder_y
      - .offset:         54
        .size:           2
        .value_kind:     hidden_remainder_z
      - .offset:         72
        .size:           8
        .value_kind:     hidden_global_offset_x
      - .offset:         80
        .size:           8
        .value_kind:     hidden_global_offset_y
      - .offset:         88
        .size:           8
        .value_kind:     hidden_global_offset_z
      - .offset:         96
        .size:           2
        .value_kind:     hidden_grid_dims
    .group_segment_fixed_size: 0
    .kernarg_segment_align: 8
    .kernarg_segment_size: 288
    .language:       OpenCL C
    .language_version:
      - 2
      - 0
    .max_flat_workgroup_size: 256
    .name:           _ZN7rocprim17ROCPRIM_400000_NS6detail30init_device_scan_by_key_kernelINS1_19lookback_scan_stateINS0_5tupleIJsbEEELb1ELb1EEENS1_16block_id_wrapperIjLb0EEEEEvT_jjPNS9_10value_typeET0_
    .private_segment_fixed_size: 0
    .sgpr_count:     12
    .sgpr_spill_count: 0
    .symbol:         _ZN7rocprim17ROCPRIM_400000_NS6detail30init_device_scan_by_key_kernelINS1_19lookback_scan_stateINS0_5tupleIJsbEEELb1ELb1EEENS1_16block_id_wrapperIjLb0EEEEEvT_jjPNS9_10value_typeET0_.kd
    .uniform_work_group_size: 1
    .uses_dynamic_stack: false
    .vgpr_count:     7
    .vgpr_spill_count: 0
    .wavefront_size: 32
    .workgroup_processor_mode: 1
  - .args:
      - .offset:         0
        .size:           112
        .value_kind:     by_value
    .group_segment_fixed_size: 0
    .kernarg_segment_align: 8
    .kernarg_segment_size: 112
    .language:       OpenCL C
    .language_version:
      - 2
      - 0
    .max_flat_workgroup_size: 256
    .name:           _ZN7rocprim17ROCPRIM_400000_NS6detail17trampoline_kernelINS0_14default_configENS1_27scan_by_key_config_selectorIssEEZZNS1_16scan_by_key_implILNS1_25lookback_scan_determinismE0ELb0ES3_N6thrust23THRUST_200600_302600_NS6detail15normal_iteratorINS9_10device_ptrIsEEEESE_SE_sNS9_4plusIvEENS9_8equal_toIvEEsEE10hipError_tPvRmT2_T3_T4_T5_mT6_T7_P12ihipStream_tbENKUlT_T0_E_clISt17integral_constantIbLb1EESY_IbLb0EEEEDaSU_SV_EUlSU_E_NS1_11comp_targetILNS1_3genE0ELNS1_11target_archE4294967295ELNS1_3gpuE0ELNS1_3repE0EEENS1_30default_config_static_selectorELNS0_4arch9wavefront6targetE0EEEvT1_
    .private_segment_fixed_size: 0
    .sgpr_count:     0
    .sgpr_spill_count: 0
    .symbol:         _ZN7rocprim17ROCPRIM_400000_NS6detail17trampoline_kernelINS0_14default_configENS1_27scan_by_key_config_selectorIssEEZZNS1_16scan_by_key_implILNS1_25lookback_scan_determinismE0ELb0ES3_N6thrust23THRUST_200600_302600_NS6detail15normal_iteratorINS9_10device_ptrIsEEEESE_SE_sNS9_4plusIvEENS9_8equal_toIvEEsEE10hipError_tPvRmT2_T3_T4_T5_mT6_T7_P12ihipStream_tbENKUlT_T0_E_clISt17integral_constantIbLb1EESY_IbLb0EEEEDaSU_SV_EUlSU_E_NS1_11comp_targetILNS1_3genE0ELNS1_11target_archE4294967295ELNS1_3gpuE0ELNS1_3repE0EEENS1_30default_config_static_selectorELNS0_4arch9wavefront6targetE0EEEvT1_.kd
    .uniform_work_group_size: 1
    .uses_dynamic_stack: false
    .vgpr_count:     0
    .vgpr_spill_count: 0
    .wavefront_size: 32
    .workgroup_processor_mode: 1
  - .args:
      - .offset:         0
        .size:           112
        .value_kind:     by_value
    .group_segment_fixed_size: 0
    .kernarg_segment_align: 8
    .kernarg_segment_size: 112
    .language:       OpenCL C
    .language_version:
      - 2
      - 0
    .max_flat_workgroup_size: 128
    .name:           _ZN7rocprim17ROCPRIM_400000_NS6detail17trampoline_kernelINS0_14default_configENS1_27scan_by_key_config_selectorIssEEZZNS1_16scan_by_key_implILNS1_25lookback_scan_determinismE0ELb0ES3_N6thrust23THRUST_200600_302600_NS6detail15normal_iteratorINS9_10device_ptrIsEEEESE_SE_sNS9_4plusIvEENS9_8equal_toIvEEsEE10hipError_tPvRmT2_T3_T4_T5_mT6_T7_P12ihipStream_tbENKUlT_T0_E_clISt17integral_constantIbLb1EESY_IbLb0EEEEDaSU_SV_EUlSU_E_NS1_11comp_targetILNS1_3genE10ELNS1_11target_archE1201ELNS1_3gpuE5ELNS1_3repE0EEENS1_30default_config_static_selectorELNS0_4arch9wavefront6targetE0EEEvT1_
    .private_segment_fixed_size: 0
    .sgpr_count:     0
    .sgpr_spill_count: 0
    .symbol:         _ZN7rocprim17ROCPRIM_400000_NS6detail17trampoline_kernelINS0_14default_configENS1_27scan_by_key_config_selectorIssEEZZNS1_16scan_by_key_implILNS1_25lookback_scan_determinismE0ELb0ES3_N6thrust23THRUST_200600_302600_NS6detail15normal_iteratorINS9_10device_ptrIsEEEESE_SE_sNS9_4plusIvEENS9_8equal_toIvEEsEE10hipError_tPvRmT2_T3_T4_T5_mT6_T7_P12ihipStream_tbENKUlT_T0_E_clISt17integral_constantIbLb1EESY_IbLb0EEEEDaSU_SV_EUlSU_E_NS1_11comp_targetILNS1_3genE10ELNS1_11target_archE1201ELNS1_3gpuE5ELNS1_3repE0EEENS1_30default_config_static_selectorELNS0_4arch9wavefront6targetE0EEEvT1_.kd
    .uniform_work_group_size: 1
    .uses_dynamic_stack: false
    .vgpr_count:     0
    .vgpr_spill_count: 0
    .wavefront_size: 32
    .workgroup_processor_mode: 1
  - .args:
      - .offset:         0
        .size:           112
        .value_kind:     by_value
    .group_segment_fixed_size: 0
    .kernarg_segment_align: 8
    .kernarg_segment_size: 112
    .language:       OpenCL C
    .language_version:
      - 2
      - 0
    .max_flat_workgroup_size: 256
    .name:           _ZN7rocprim17ROCPRIM_400000_NS6detail17trampoline_kernelINS0_14default_configENS1_27scan_by_key_config_selectorIssEEZZNS1_16scan_by_key_implILNS1_25lookback_scan_determinismE0ELb0ES3_N6thrust23THRUST_200600_302600_NS6detail15normal_iteratorINS9_10device_ptrIsEEEESE_SE_sNS9_4plusIvEENS9_8equal_toIvEEsEE10hipError_tPvRmT2_T3_T4_T5_mT6_T7_P12ihipStream_tbENKUlT_T0_E_clISt17integral_constantIbLb1EESY_IbLb0EEEEDaSU_SV_EUlSU_E_NS1_11comp_targetILNS1_3genE5ELNS1_11target_archE942ELNS1_3gpuE9ELNS1_3repE0EEENS1_30default_config_static_selectorELNS0_4arch9wavefront6targetE0EEEvT1_
    .private_segment_fixed_size: 0
    .sgpr_count:     0
    .sgpr_spill_count: 0
    .symbol:         _ZN7rocprim17ROCPRIM_400000_NS6detail17trampoline_kernelINS0_14default_configENS1_27scan_by_key_config_selectorIssEEZZNS1_16scan_by_key_implILNS1_25lookback_scan_determinismE0ELb0ES3_N6thrust23THRUST_200600_302600_NS6detail15normal_iteratorINS9_10device_ptrIsEEEESE_SE_sNS9_4plusIvEENS9_8equal_toIvEEsEE10hipError_tPvRmT2_T3_T4_T5_mT6_T7_P12ihipStream_tbENKUlT_T0_E_clISt17integral_constantIbLb1EESY_IbLb0EEEEDaSU_SV_EUlSU_E_NS1_11comp_targetILNS1_3genE5ELNS1_11target_archE942ELNS1_3gpuE9ELNS1_3repE0EEENS1_30default_config_static_selectorELNS0_4arch9wavefront6targetE0EEEvT1_.kd
    .uniform_work_group_size: 1
    .uses_dynamic_stack: false
    .vgpr_count:     0
    .vgpr_spill_count: 0
    .wavefront_size: 32
    .workgroup_processor_mode: 1
  - .args:
      - .offset:         0
        .size:           112
        .value_kind:     by_value
    .group_segment_fixed_size: 0
    .kernarg_segment_align: 8
    .kernarg_segment_size: 112
    .language:       OpenCL C
    .language_version:
      - 2
      - 0
    .max_flat_workgroup_size: 256
    .name:           _ZN7rocprim17ROCPRIM_400000_NS6detail17trampoline_kernelINS0_14default_configENS1_27scan_by_key_config_selectorIssEEZZNS1_16scan_by_key_implILNS1_25lookback_scan_determinismE0ELb0ES3_N6thrust23THRUST_200600_302600_NS6detail15normal_iteratorINS9_10device_ptrIsEEEESE_SE_sNS9_4plusIvEENS9_8equal_toIvEEsEE10hipError_tPvRmT2_T3_T4_T5_mT6_T7_P12ihipStream_tbENKUlT_T0_E_clISt17integral_constantIbLb1EESY_IbLb0EEEEDaSU_SV_EUlSU_E_NS1_11comp_targetILNS1_3genE4ELNS1_11target_archE910ELNS1_3gpuE8ELNS1_3repE0EEENS1_30default_config_static_selectorELNS0_4arch9wavefront6targetE0EEEvT1_
    .private_segment_fixed_size: 0
    .sgpr_count:     0
    .sgpr_spill_count: 0
    .symbol:         _ZN7rocprim17ROCPRIM_400000_NS6detail17trampoline_kernelINS0_14default_configENS1_27scan_by_key_config_selectorIssEEZZNS1_16scan_by_key_implILNS1_25lookback_scan_determinismE0ELb0ES3_N6thrust23THRUST_200600_302600_NS6detail15normal_iteratorINS9_10device_ptrIsEEEESE_SE_sNS9_4plusIvEENS9_8equal_toIvEEsEE10hipError_tPvRmT2_T3_T4_T5_mT6_T7_P12ihipStream_tbENKUlT_T0_E_clISt17integral_constantIbLb1EESY_IbLb0EEEEDaSU_SV_EUlSU_E_NS1_11comp_targetILNS1_3genE4ELNS1_11target_archE910ELNS1_3gpuE8ELNS1_3repE0EEENS1_30default_config_static_selectorELNS0_4arch9wavefront6targetE0EEEvT1_.kd
    .uniform_work_group_size: 1
    .uses_dynamic_stack: false
    .vgpr_count:     0
    .vgpr_spill_count: 0
    .wavefront_size: 32
    .workgroup_processor_mode: 1
  - .args:
      - .offset:         0
        .size:           112
        .value_kind:     by_value
    .group_segment_fixed_size: 0
    .kernarg_segment_align: 8
    .kernarg_segment_size: 112
    .language:       OpenCL C
    .language_version:
      - 2
      - 0
    .max_flat_workgroup_size: 256
    .name:           _ZN7rocprim17ROCPRIM_400000_NS6detail17trampoline_kernelINS0_14default_configENS1_27scan_by_key_config_selectorIssEEZZNS1_16scan_by_key_implILNS1_25lookback_scan_determinismE0ELb0ES3_N6thrust23THRUST_200600_302600_NS6detail15normal_iteratorINS9_10device_ptrIsEEEESE_SE_sNS9_4plusIvEENS9_8equal_toIvEEsEE10hipError_tPvRmT2_T3_T4_T5_mT6_T7_P12ihipStream_tbENKUlT_T0_E_clISt17integral_constantIbLb1EESY_IbLb0EEEEDaSU_SV_EUlSU_E_NS1_11comp_targetILNS1_3genE3ELNS1_11target_archE908ELNS1_3gpuE7ELNS1_3repE0EEENS1_30default_config_static_selectorELNS0_4arch9wavefront6targetE0EEEvT1_
    .private_segment_fixed_size: 0
    .sgpr_count:     0
    .sgpr_spill_count: 0
    .symbol:         _ZN7rocprim17ROCPRIM_400000_NS6detail17trampoline_kernelINS0_14default_configENS1_27scan_by_key_config_selectorIssEEZZNS1_16scan_by_key_implILNS1_25lookback_scan_determinismE0ELb0ES3_N6thrust23THRUST_200600_302600_NS6detail15normal_iteratorINS9_10device_ptrIsEEEESE_SE_sNS9_4plusIvEENS9_8equal_toIvEEsEE10hipError_tPvRmT2_T3_T4_T5_mT6_T7_P12ihipStream_tbENKUlT_T0_E_clISt17integral_constantIbLb1EESY_IbLb0EEEEDaSU_SV_EUlSU_E_NS1_11comp_targetILNS1_3genE3ELNS1_11target_archE908ELNS1_3gpuE7ELNS1_3repE0EEENS1_30default_config_static_selectorELNS0_4arch9wavefront6targetE0EEEvT1_.kd
    .uniform_work_group_size: 1
    .uses_dynamic_stack: false
    .vgpr_count:     0
    .vgpr_spill_count: 0
    .wavefront_size: 32
    .workgroup_processor_mode: 1
  - .args:
      - .offset:         0
        .size:           112
        .value_kind:     by_value
    .group_segment_fixed_size: 0
    .kernarg_segment_align: 8
    .kernarg_segment_size: 112
    .language:       OpenCL C
    .language_version:
      - 2
      - 0
    .max_flat_workgroup_size: 64
    .name:           _ZN7rocprim17ROCPRIM_400000_NS6detail17trampoline_kernelINS0_14default_configENS1_27scan_by_key_config_selectorIssEEZZNS1_16scan_by_key_implILNS1_25lookback_scan_determinismE0ELb0ES3_N6thrust23THRUST_200600_302600_NS6detail15normal_iteratorINS9_10device_ptrIsEEEESE_SE_sNS9_4plusIvEENS9_8equal_toIvEEsEE10hipError_tPvRmT2_T3_T4_T5_mT6_T7_P12ihipStream_tbENKUlT_T0_E_clISt17integral_constantIbLb1EESY_IbLb0EEEEDaSU_SV_EUlSU_E_NS1_11comp_targetILNS1_3genE2ELNS1_11target_archE906ELNS1_3gpuE6ELNS1_3repE0EEENS1_30default_config_static_selectorELNS0_4arch9wavefront6targetE0EEEvT1_
    .private_segment_fixed_size: 0
    .sgpr_count:     0
    .sgpr_spill_count: 0
    .symbol:         _ZN7rocprim17ROCPRIM_400000_NS6detail17trampoline_kernelINS0_14default_configENS1_27scan_by_key_config_selectorIssEEZZNS1_16scan_by_key_implILNS1_25lookback_scan_determinismE0ELb0ES3_N6thrust23THRUST_200600_302600_NS6detail15normal_iteratorINS9_10device_ptrIsEEEESE_SE_sNS9_4plusIvEENS9_8equal_toIvEEsEE10hipError_tPvRmT2_T3_T4_T5_mT6_T7_P12ihipStream_tbENKUlT_T0_E_clISt17integral_constantIbLb1EESY_IbLb0EEEEDaSU_SV_EUlSU_E_NS1_11comp_targetILNS1_3genE2ELNS1_11target_archE906ELNS1_3gpuE6ELNS1_3repE0EEENS1_30default_config_static_selectorELNS0_4arch9wavefront6targetE0EEEvT1_.kd
    .uniform_work_group_size: 1
    .uses_dynamic_stack: false
    .vgpr_count:     0
    .vgpr_spill_count: 0
    .wavefront_size: 32
    .workgroup_processor_mode: 1
  - .args:
      - .offset:         0
        .size:           112
        .value_kind:     by_value
    .group_segment_fixed_size: 0
    .kernarg_segment_align: 8
    .kernarg_segment_size: 112
    .language:       OpenCL C
    .language_version:
      - 2
      - 0
    .max_flat_workgroup_size: 256
    .name:           _ZN7rocprim17ROCPRIM_400000_NS6detail17trampoline_kernelINS0_14default_configENS1_27scan_by_key_config_selectorIssEEZZNS1_16scan_by_key_implILNS1_25lookback_scan_determinismE0ELb0ES3_N6thrust23THRUST_200600_302600_NS6detail15normal_iteratorINS9_10device_ptrIsEEEESE_SE_sNS9_4plusIvEENS9_8equal_toIvEEsEE10hipError_tPvRmT2_T3_T4_T5_mT6_T7_P12ihipStream_tbENKUlT_T0_E_clISt17integral_constantIbLb1EESY_IbLb0EEEEDaSU_SV_EUlSU_E_NS1_11comp_targetILNS1_3genE10ELNS1_11target_archE1200ELNS1_3gpuE4ELNS1_3repE0EEENS1_30default_config_static_selectorELNS0_4arch9wavefront6targetE0EEEvT1_
    .private_segment_fixed_size: 0
    .sgpr_count:     0
    .sgpr_spill_count: 0
    .symbol:         _ZN7rocprim17ROCPRIM_400000_NS6detail17trampoline_kernelINS0_14default_configENS1_27scan_by_key_config_selectorIssEEZZNS1_16scan_by_key_implILNS1_25lookback_scan_determinismE0ELb0ES3_N6thrust23THRUST_200600_302600_NS6detail15normal_iteratorINS9_10device_ptrIsEEEESE_SE_sNS9_4plusIvEENS9_8equal_toIvEEsEE10hipError_tPvRmT2_T3_T4_T5_mT6_T7_P12ihipStream_tbENKUlT_T0_E_clISt17integral_constantIbLb1EESY_IbLb0EEEEDaSU_SV_EUlSU_E_NS1_11comp_targetILNS1_3genE10ELNS1_11target_archE1200ELNS1_3gpuE4ELNS1_3repE0EEENS1_30default_config_static_selectorELNS0_4arch9wavefront6targetE0EEEvT1_.kd
    .uniform_work_group_size: 1
    .uses_dynamic_stack: false
    .vgpr_count:     0
    .vgpr_spill_count: 0
    .wavefront_size: 32
    .workgroup_processor_mode: 1
  - .args:
      - .offset:         0
        .size:           112
        .value_kind:     by_value
    .group_segment_fixed_size: 0
    .kernarg_segment_align: 8
    .kernarg_segment_size: 112
    .language:       OpenCL C
    .language_version:
      - 2
      - 0
    .max_flat_workgroup_size: 256
    .name:           _ZN7rocprim17ROCPRIM_400000_NS6detail17trampoline_kernelINS0_14default_configENS1_27scan_by_key_config_selectorIssEEZZNS1_16scan_by_key_implILNS1_25lookback_scan_determinismE0ELb0ES3_N6thrust23THRUST_200600_302600_NS6detail15normal_iteratorINS9_10device_ptrIsEEEESE_SE_sNS9_4plusIvEENS9_8equal_toIvEEsEE10hipError_tPvRmT2_T3_T4_T5_mT6_T7_P12ihipStream_tbENKUlT_T0_E_clISt17integral_constantIbLb1EESY_IbLb0EEEEDaSU_SV_EUlSU_E_NS1_11comp_targetILNS1_3genE9ELNS1_11target_archE1100ELNS1_3gpuE3ELNS1_3repE0EEENS1_30default_config_static_selectorELNS0_4arch9wavefront6targetE0EEEvT1_
    .private_segment_fixed_size: 0
    .sgpr_count:     0
    .sgpr_spill_count: 0
    .symbol:         _ZN7rocprim17ROCPRIM_400000_NS6detail17trampoline_kernelINS0_14default_configENS1_27scan_by_key_config_selectorIssEEZZNS1_16scan_by_key_implILNS1_25lookback_scan_determinismE0ELb0ES3_N6thrust23THRUST_200600_302600_NS6detail15normal_iteratorINS9_10device_ptrIsEEEESE_SE_sNS9_4plusIvEENS9_8equal_toIvEEsEE10hipError_tPvRmT2_T3_T4_T5_mT6_T7_P12ihipStream_tbENKUlT_T0_E_clISt17integral_constantIbLb1EESY_IbLb0EEEEDaSU_SV_EUlSU_E_NS1_11comp_targetILNS1_3genE9ELNS1_11target_archE1100ELNS1_3gpuE3ELNS1_3repE0EEENS1_30default_config_static_selectorELNS0_4arch9wavefront6targetE0EEEvT1_.kd
    .uniform_work_group_size: 1
    .uses_dynamic_stack: false
    .vgpr_count:     0
    .vgpr_spill_count: 0
    .wavefront_size: 32
    .workgroup_processor_mode: 1
  - .args:
      - .offset:         0
        .size:           112
        .value_kind:     by_value
    .group_segment_fixed_size: 0
    .kernarg_segment_align: 8
    .kernarg_segment_size: 112
    .language:       OpenCL C
    .language_version:
      - 2
      - 0
    .max_flat_workgroup_size: 64
    .name:           _ZN7rocprim17ROCPRIM_400000_NS6detail17trampoline_kernelINS0_14default_configENS1_27scan_by_key_config_selectorIssEEZZNS1_16scan_by_key_implILNS1_25lookback_scan_determinismE0ELb0ES3_N6thrust23THRUST_200600_302600_NS6detail15normal_iteratorINS9_10device_ptrIsEEEESE_SE_sNS9_4plusIvEENS9_8equal_toIvEEsEE10hipError_tPvRmT2_T3_T4_T5_mT6_T7_P12ihipStream_tbENKUlT_T0_E_clISt17integral_constantIbLb1EESY_IbLb0EEEEDaSU_SV_EUlSU_E_NS1_11comp_targetILNS1_3genE8ELNS1_11target_archE1030ELNS1_3gpuE2ELNS1_3repE0EEENS1_30default_config_static_selectorELNS0_4arch9wavefront6targetE0EEEvT1_
    .private_segment_fixed_size: 0
    .sgpr_count:     0
    .sgpr_spill_count: 0
    .symbol:         _ZN7rocprim17ROCPRIM_400000_NS6detail17trampoline_kernelINS0_14default_configENS1_27scan_by_key_config_selectorIssEEZZNS1_16scan_by_key_implILNS1_25lookback_scan_determinismE0ELb0ES3_N6thrust23THRUST_200600_302600_NS6detail15normal_iteratorINS9_10device_ptrIsEEEESE_SE_sNS9_4plusIvEENS9_8equal_toIvEEsEE10hipError_tPvRmT2_T3_T4_T5_mT6_T7_P12ihipStream_tbENKUlT_T0_E_clISt17integral_constantIbLb1EESY_IbLb0EEEEDaSU_SV_EUlSU_E_NS1_11comp_targetILNS1_3genE8ELNS1_11target_archE1030ELNS1_3gpuE2ELNS1_3repE0EEENS1_30default_config_static_selectorELNS0_4arch9wavefront6targetE0EEEvT1_.kd
    .uniform_work_group_size: 1
    .uses_dynamic_stack: false
    .vgpr_count:     0
    .vgpr_spill_count: 0
    .wavefront_size: 32
    .workgroup_processor_mode: 1
  - .args:
      - .address_space:  global
        .offset:         0
        .size:           8
        .value_kind:     global_buffer
      - .offset:         8
        .size:           4
        .value_kind:     by_value
      - .offset:         12
        .size:           4
        .value_kind:     by_value
      - .address_space:  global
        .offset:         16
        .size:           8
        .value_kind:     global_buffer
      - .address_space:  global
        .offset:         24
        .size:           8
        .value_kind:     global_buffer
      - .actual_access:  write_only
        .address_space:  global
        .offset:         32
        .size:           8
        .value_kind:     global_buffer
      - .offset:         40
        .size:           8
        .value_kind:     by_value
      - .offset:         48
        .size:           4
        .value_kind:     by_value
      - .address_space:  global
        .offset:         56
        .size:           8
        .value_kind:     global_buffer
      - .offset:         64
        .size:           4
        .value_kind:     hidden_block_count_x
      - .offset:         68
        .size:           4
        .value_kind:     hidden_block_count_y
      - .offset:         72
        .size:           4
        .value_kind:     hidden_block_count_z
      - .offset:         76
        .size:           2
        .value_kind:     hidden_group_size_x
      - .offset:         78
        .size:           2
        .value_kind:     hidden_group_size_y
      - .offset:         80
        .size:           2
        .value_kind:     hidden_group_size_z
      - .offset:         82
        .size:           2
        .value_kind:     hidden_remainder_x
      - .offset:         84
        .size:           2
        .value_kind:     hidden_remainder_y
      - .offset:         86
        .size:           2
        .value_kind:     hidden_remainder_z
      - .offset:         104
        .size:           8
        .value_kind:     hidden_global_offset_x
      - .offset:         112
        .size:           8
        .value_kind:     hidden_global_offset_y
      - .offset:         120
        .size:           8
        .value_kind:     hidden_global_offset_z
      - .offset:         128
        .size:           2
        .value_kind:     hidden_grid_dims
    .group_segment_fixed_size: 0
    .kernarg_segment_align: 8
    .kernarg_segment_size: 320
    .language:       OpenCL C
    .language_version:
      - 2
      - 0
    .max_flat_workgroup_size: 256
    .name:           _ZN7rocprim17ROCPRIM_400000_NS6detail30init_device_scan_by_key_kernelINS1_19lookback_scan_stateINS0_5tupleIJsbEEELb0ELb1EEEN6thrust23THRUST_200600_302600_NS6detail15normal_iteratorINS8_10device_ptrIsEEEEjNS1_16block_id_wrapperIjLb1EEEEEvT_jjPNSG_10value_typeET0_PNSt15iterator_traitsISJ_E10value_typeEmT1_T2_
    .private_segment_fixed_size: 0
    .sgpr_count:     19
    .sgpr_spill_count: 0
    .symbol:         _ZN7rocprim17ROCPRIM_400000_NS6detail30init_device_scan_by_key_kernelINS1_19lookback_scan_stateINS0_5tupleIJsbEEELb0ELb1EEEN6thrust23THRUST_200600_302600_NS6detail15normal_iteratorINS8_10device_ptrIsEEEEjNS1_16block_id_wrapperIjLb1EEEEEvT_jjPNSG_10value_typeET0_PNSt15iterator_traitsISJ_E10value_typeEmT1_T2_.kd
    .uniform_work_group_size: 1
    .uses_dynamic_stack: false
    .vgpr_count:     7
    .vgpr_spill_count: 0
    .wavefront_size: 32
    .workgroup_processor_mode: 1
  - .args:
      - .address_space:  global
        .offset:         0
        .size:           8
        .value_kind:     global_buffer
      - .offset:         8
        .size:           4
        .value_kind:     by_value
      - .offset:         12
        .size:           4
        .value_kind:     by_value
      - .address_space:  global
        .offset:         16
        .size:           8
        .value_kind:     global_buffer
      - .address_space:  global
        .offset:         24
        .size:           8
        .value_kind:     global_buffer
      - .offset:         32
        .size:           4
        .value_kind:     hidden_block_count_x
      - .offset:         36
        .size:           4
        .value_kind:     hidden_block_count_y
      - .offset:         40
        .size:           4
        .value_kind:     hidden_block_count_z
      - .offset:         44
        .size:           2
        .value_kind:     hidden_group_size_x
      - .offset:         46
        .size:           2
        .value_kind:     hidden_group_size_y
      - .offset:         48
        .size:           2
        .value_kind:     hidden_group_size_z
      - .offset:         50
        .size:           2
        .value_kind:     hidden_remainder_x
      - .offset:         52
        .size:           2
        .value_kind:     hidden_remainder_y
      - .offset:         54
        .size:           2
        .value_kind:     hidden_remainder_z
      - .offset:         72
        .size:           8
        .value_kind:     hidden_global_offset_x
      - .offset:         80
        .size:           8
        .value_kind:     hidden_global_offset_y
      - .offset:         88
        .size:           8
        .value_kind:     hidden_global_offset_z
      - .offset:         96
        .size:           2
        .value_kind:     hidden_grid_dims
    .group_segment_fixed_size: 0
    .kernarg_segment_align: 8
    .kernarg_segment_size: 288
    .language:       OpenCL C
    .language_version:
      - 2
      - 0
    .max_flat_workgroup_size: 256
    .name:           _ZN7rocprim17ROCPRIM_400000_NS6detail30init_device_scan_by_key_kernelINS1_19lookback_scan_stateINS0_5tupleIJsbEEELb0ELb1EEENS1_16block_id_wrapperIjLb1EEEEEvT_jjPNS9_10value_typeET0_
    .private_segment_fixed_size: 0
    .sgpr_count:     18
    .sgpr_spill_count: 0
    .symbol:         _ZN7rocprim17ROCPRIM_400000_NS6detail30init_device_scan_by_key_kernelINS1_19lookback_scan_stateINS0_5tupleIJsbEEELb0ELb1EEENS1_16block_id_wrapperIjLb1EEEEEvT_jjPNS9_10value_typeET0_.kd
    .uniform_work_group_size: 1
    .uses_dynamic_stack: false
    .vgpr_count:     7
    .vgpr_spill_count: 0
    .wavefront_size: 32
    .workgroup_processor_mode: 1
  - .args:
      - .offset:         0
        .size:           112
        .value_kind:     by_value
    .group_segment_fixed_size: 0
    .kernarg_segment_align: 8
    .kernarg_segment_size: 112
    .language:       OpenCL C
    .language_version:
      - 2
      - 0
    .max_flat_workgroup_size: 256
    .name:           _ZN7rocprim17ROCPRIM_400000_NS6detail17trampoline_kernelINS0_14default_configENS1_27scan_by_key_config_selectorIssEEZZNS1_16scan_by_key_implILNS1_25lookback_scan_determinismE0ELb0ES3_N6thrust23THRUST_200600_302600_NS6detail15normal_iteratorINS9_10device_ptrIsEEEESE_SE_sNS9_4plusIvEENS9_8equal_toIvEEsEE10hipError_tPvRmT2_T3_T4_T5_mT6_T7_P12ihipStream_tbENKUlT_T0_E_clISt17integral_constantIbLb0EESY_IbLb1EEEEDaSU_SV_EUlSU_E_NS1_11comp_targetILNS1_3genE0ELNS1_11target_archE4294967295ELNS1_3gpuE0ELNS1_3repE0EEENS1_30default_config_static_selectorELNS0_4arch9wavefront6targetE0EEEvT1_
    .private_segment_fixed_size: 0
    .sgpr_count:     0
    .sgpr_spill_count: 0
    .symbol:         _ZN7rocprim17ROCPRIM_400000_NS6detail17trampoline_kernelINS0_14default_configENS1_27scan_by_key_config_selectorIssEEZZNS1_16scan_by_key_implILNS1_25lookback_scan_determinismE0ELb0ES3_N6thrust23THRUST_200600_302600_NS6detail15normal_iteratorINS9_10device_ptrIsEEEESE_SE_sNS9_4plusIvEENS9_8equal_toIvEEsEE10hipError_tPvRmT2_T3_T4_T5_mT6_T7_P12ihipStream_tbENKUlT_T0_E_clISt17integral_constantIbLb0EESY_IbLb1EEEEDaSU_SV_EUlSU_E_NS1_11comp_targetILNS1_3genE0ELNS1_11target_archE4294967295ELNS1_3gpuE0ELNS1_3repE0EEENS1_30default_config_static_selectorELNS0_4arch9wavefront6targetE0EEEvT1_.kd
    .uniform_work_group_size: 1
    .uses_dynamic_stack: false
    .vgpr_count:     0
    .vgpr_spill_count: 0
    .wavefront_size: 32
    .workgroup_processor_mode: 1
  - .args:
      - .offset:         0
        .size:           112
        .value_kind:     by_value
    .group_segment_fixed_size: 0
    .kernarg_segment_align: 8
    .kernarg_segment_size: 112
    .language:       OpenCL C
    .language_version:
      - 2
      - 0
    .max_flat_workgroup_size: 128
    .name:           _ZN7rocprim17ROCPRIM_400000_NS6detail17trampoline_kernelINS0_14default_configENS1_27scan_by_key_config_selectorIssEEZZNS1_16scan_by_key_implILNS1_25lookback_scan_determinismE0ELb0ES3_N6thrust23THRUST_200600_302600_NS6detail15normal_iteratorINS9_10device_ptrIsEEEESE_SE_sNS9_4plusIvEENS9_8equal_toIvEEsEE10hipError_tPvRmT2_T3_T4_T5_mT6_T7_P12ihipStream_tbENKUlT_T0_E_clISt17integral_constantIbLb0EESY_IbLb1EEEEDaSU_SV_EUlSU_E_NS1_11comp_targetILNS1_3genE10ELNS1_11target_archE1201ELNS1_3gpuE5ELNS1_3repE0EEENS1_30default_config_static_selectorELNS0_4arch9wavefront6targetE0EEEvT1_
    .private_segment_fixed_size: 0
    .sgpr_count:     0
    .sgpr_spill_count: 0
    .symbol:         _ZN7rocprim17ROCPRIM_400000_NS6detail17trampoline_kernelINS0_14default_configENS1_27scan_by_key_config_selectorIssEEZZNS1_16scan_by_key_implILNS1_25lookback_scan_determinismE0ELb0ES3_N6thrust23THRUST_200600_302600_NS6detail15normal_iteratorINS9_10device_ptrIsEEEESE_SE_sNS9_4plusIvEENS9_8equal_toIvEEsEE10hipError_tPvRmT2_T3_T4_T5_mT6_T7_P12ihipStream_tbENKUlT_T0_E_clISt17integral_constantIbLb0EESY_IbLb1EEEEDaSU_SV_EUlSU_E_NS1_11comp_targetILNS1_3genE10ELNS1_11target_archE1201ELNS1_3gpuE5ELNS1_3repE0EEENS1_30default_config_static_selectorELNS0_4arch9wavefront6targetE0EEEvT1_.kd
    .uniform_work_group_size: 1
    .uses_dynamic_stack: false
    .vgpr_count:     0
    .vgpr_spill_count: 0
    .wavefront_size: 32
    .workgroup_processor_mode: 1
  - .args:
      - .offset:         0
        .size:           112
        .value_kind:     by_value
    .group_segment_fixed_size: 0
    .kernarg_segment_align: 8
    .kernarg_segment_size: 112
    .language:       OpenCL C
    .language_version:
      - 2
      - 0
    .max_flat_workgroup_size: 256
    .name:           _ZN7rocprim17ROCPRIM_400000_NS6detail17trampoline_kernelINS0_14default_configENS1_27scan_by_key_config_selectorIssEEZZNS1_16scan_by_key_implILNS1_25lookback_scan_determinismE0ELb0ES3_N6thrust23THRUST_200600_302600_NS6detail15normal_iteratorINS9_10device_ptrIsEEEESE_SE_sNS9_4plusIvEENS9_8equal_toIvEEsEE10hipError_tPvRmT2_T3_T4_T5_mT6_T7_P12ihipStream_tbENKUlT_T0_E_clISt17integral_constantIbLb0EESY_IbLb1EEEEDaSU_SV_EUlSU_E_NS1_11comp_targetILNS1_3genE5ELNS1_11target_archE942ELNS1_3gpuE9ELNS1_3repE0EEENS1_30default_config_static_selectorELNS0_4arch9wavefront6targetE0EEEvT1_
    .private_segment_fixed_size: 0
    .sgpr_count:     0
    .sgpr_spill_count: 0
    .symbol:         _ZN7rocprim17ROCPRIM_400000_NS6detail17trampoline_kernelINS0_14default_configENS1_27scan_by_key_config_selectorIssEEZZNS1_16scan_by_key_implILNS1_25lookback_scan_determinismE0ELb0ES3_N6thrust23THRUST_200600_302600_NS6detail15normal_iteratorINS9_10device_ptrIsEEEESE_SE_sNS9_4plusIvEENS9_8equal_toIvEEsEE10hipError_tPvRmT2_T3_T4_T5_mT6_T7_P12ihipStream_tbENKUlT_T0_E_clISt17integral_constantIbLb0EESY_IbLb1EEEEDaSU_SV_EUlSU_E_NS1_11comp_targetILNS1_3genE5ELNS1_11target_archE942ELNS1_3gpuE9ELNS1_3repE0EEENS1_30default_config_static_selectorELNS0_4arch9wavefront6targetE0EEEvT1_.kd
    .uniform_work_group_size: 1
    .uses_dynamic_stack: false
    .vgpr_count:     0
    .vgpr_spill_count: 0
    .wavefront_size: 32
    .workgroup_processor_mode: 1
  - .args:
      - .offset:         0
        .size:           112
        .value_kind:     by_value
    .group_segment_fixed_size: 0
    .kernarg_segment_align: 8
    .kernarg_segment_size: 112
    .language:       OpenCL C
    .language_version:
      - 2
      - 0
    .max_flat_workgroup_size: 256
    .name:           _ZN7rocprim17ROCPRIM_400000_NS6detail17trampoline_kernelINS0_14default_configENS1_27scan_by_key_config_selectorIssEEZZNS1_16scan_by_key_implILNS1_25lookback_scan_determinismE0ELb0ES3_N6thrust23THRUST_200600_302600_NS6detail15normal_iteratorINS9_10device_ptrIsEEEESE_SE_sNS9_4plusIvEENS9_8equal_toIvEEsEE10hipError_tPvRmT2_T3_T4_T5_mT6_T7_P12ihipStream_tbENKUlT_T0_E_clISt17integral_constantIbLb0EESY_IbLb1EEEEDaSU_SV_EUlSU_E_NS1_11comp_targetILNS1_3genE4ELNS1_11target_archE910ELNS1_3gpuE8ELNS1_3repE0EEENS1_30default_config_static_selectorELNS0_4arch9wavefront6targetE0EEEvT1_
    .private_segment_fixed_size: 0
    .sgpr_count:     0
    .sgpr_spill_count: 0
    .symbol:         _ZN7rocprim17ROCPRIM_400000_NS6detail17trampoline_kernelINS0_14default_configENS1_27scan_by_key_config_selectorIssEEZZNS1_16scan_by_key_implILNS1_25lookback_scan_determinismE0ELb0ES3_N6thrust23THRUST_200600_302600_NS6detail15normal_iteratorINS9_10device_ptrIsEEEESE_SE_sNS9_4plusIvEENS9_8equal_toIvEEsEE10hipError_tPvRmT2_T3_T4_T5_mT6_T7_P12ihipStream_tbENKUlT_T0_E_clISt17integral_constantIbLb0EESY_IbLb1EEEEDaSU_SV_EUlSU_E_NS1_11comp_targetILNS1_3genE4ELNS1_11target_archE910ELNS1_3gpuE8ELNS1_3repE0EEENS1_30default_config_static_selectorELNS0_4arch9wavefront6targetE0EEEvT1_.kd
    .uniform_work_group_size: 1
    .uses_dynamic_stack: false
    .vgpr_count:     0
    .vgpr_spill_count: 0
    .wavefront_size: 32
    .workgroup_processor_mode: 1
  - .args:
      - .offset:         0
        .size:           112
        .value_kind:     by_value
    .group_segment_fixed_size: 0
    .kernarg_segment_align: 8
    .kernarg_segment_size: 112
    .language:       OpenCL C
    .language_version:
      - 2
      - 0
    .max_flat_workgroup_size: 256
    .name:           _ZN7rocprim17ROCPRIM_400000_NS6detail17trampoline_kernelINS0_14default_configENS1_27scan_by_key_config_selectorIssEEZZNS1_16scan_by_key_implILNS1_25lookback_scan_determinismE0ELb0ES3_N6thrust23THRUST_200600_302600_NS6detail15normal_iteratorINS9_10device_ptrIsEEEESE_SE_sNS9_4plusIvEENS9_8equal_toIvEEsEE10hipError_tPvRmT2_T3_T4_T5_mT6_T7_P12ihipStream_tbENKUlT_T0_E_clISt17integral_constantIbLb0EESY_IbLb1EEEEDaSU_SV_EUlSU_E_NS1_11comp_targetILNS1_3genE3ELNS1_11target_archE908ELNS1_3gpuE7ELNS1_3repE0EEENS1_30default_config_static_selectorELNS0_4arch9wavefront6targetE0EEEvT1_
    .private_segment_fixed_size: 0
    .sgpr_count:     0
    .sgpr_spill_count: 0
    .symbol:         _ZN7rocprim17ROCPRIM_400000_NS6detail17trampoline_kernelINS0_14default_configENS1_27scan_by_key_config_selectorIssEEZZNS1_16scan_by_key_implILNS1_25lookback_scan_determinismE0ELb0ES3_N6thrust23THRUST_200600_302600_NS6detail15normal_iteratorINS9_10device_ptrIsEEEESE_SE_sNS9_4plusIvEENS9_8equal_toIvEEsEE10hipError_tPvRmT2_T3_T4_T5_mT6_T7_P12ihipStream_tbENKUlT_T0_E_clISt17integral_constantIbLb0EESY_IbLb1EEEEDaSU_SV_EUlSU_E_NS1_11comp_targetILNS1_3genE3ELNS1_11target_archE908ELNS1_3gpuE7ELNS1_3repE0EEENS1_30default_config_static_selectorELNS0_4arch9wavefront6targetE0EEEvT1_.kd
    .uniform_work_group_size: 1
    .uses_dynamic_stack: false
    .vgpr_count:     0
    .vgpr_spill_count: 0
    .wavefront_size: 32
    .workgroup_processor_mode: 1
  - .args:
      - .offset:         0
        .size:           112
        .value_kind:     by_value
    .group_segment_fixed_size: 0
    .kernarg_segment_align: 8
    .kernarg_segment_size: 112
    .language:       OpenCL C
    .language_version:
      - 2
      - 0
    .max_flat_workgroup_size: 64
    .name:           _ZN7rocprim17ROCPRIM_400000_NS6detail17trampoline_kernelINS0_14default_configENS1_27scan_by_key_config_selectorIssEEZZNS1_16scan_by_key_implILNS1_25lookback_scan_determinismE0ELb0ES3_N6thrust23THRUST_200600_302600_NS6detail15normal_iteratorINS9_10device_ptrIsEEEESE_SE_sNS9_4plusIvEENS9_8equal_toIvEEsEE10hipError_tPvRmT2_T3_T4_T5_mT6_T7_P12ihipStream_tbENKUlT_T0_E_clISt17integral_constantIbLb0EESY_IbLb1EEEEDaSU_SV_EUlSU_E_NS1_11comp_targetILNS1_3genE2ELNS1_11target_archE906ELNS1_3gpuE6ELNS1_3repE0EEENS1_30default_config_static_selectorELNS0_4arch9wavefront6targetE0EEEvT1_
    .private_segment_fixed_size: 0
    .sgpr_count:     0
    .sgpr_spill_count: 0
    .symbol:         _ZN7rocprim17ROCPRIM_400000_NS6detail17trampoline_kernelINS0_14default_configENS1_27scan_by_key_config_selectorIssEEZZNS1_16scan_by_key_implILNS1_25lookback_scan_determinismE0ELb0ES3_N6thrust23THRUST_200600_302600_NS6detail15normal_iteratorINS9_10device_ptrIsEEEESE_SE_sNS9_4plusIvEENS9_8equal_toIvEEsEE10hipError_tPvRmT2_T3_T4_T5_mT6_T7_P12ihipStream_tbENKUlT_T0_E_clISt17integral_constantIbLb0EESY_IbLb1EEEEDaSU_SV_EUlSU_E_NS1_11comp_targetILNS1_3genE2ELNS1_11target_archE906ELNS1_3gpuE6ELNS1_3repE0EEENS1_30default_config_static_selectorELNS0_4arch9wavefront6targetE0EEEvT1_.kd
    .uniform_work_group_size: 1
    .uses_dynamic_stack: false
    .vgpr_count:     0
    .vgpr_spill_count: 0
    .wavefront_size: 32
    .workgroup_processor_mode: 1
  - .args:
      - .offset:         0
        .size:           112
        .value_kind:     by_value
    .group_segment_fixed_size: 0
    .kernarg_segment_align: 8
    .kernarg_segment_size: 112
    .language:       OpenCL C
    .language_version:
      - 2
      - 0
    .max_flat_workgroup_size: 256
    .name:           _ZN7rocprim17ROCPRIM_400000_NS6detail17trampoline_kernelINS0_14default_configENS1_27scan_by_key_config_selectorIssEEZZNS1_16scan_by_key_implILNS1_25lookback_scan_determinismE0ELb0ES3_N6thrust23THRUST_200600_302600_NS6detail15normal_iteratorINS9_10device_ptrIsEEEESE_SE_sNS9_4plusIvEENS9_8equal_toIvEEsEE10hipError_tPvRmT2_T3_T4_T5_mT6_T7_P12ihipStream_tbENKUlT_T0_E_clISt17integral_constantIbLb0EESY_IbLb1EEEEDaSU_SV_EUlSU_E_NS1_11comp_targetILNS1_3genE10ELNS1_11target_archE1200ELNS1_3gpuE4ELNS1_3repE0EEENS1_30default_config_static_selectorELNS0_4arch9wavefront6targetE0EEEvT1_
    .private_segment_fixed_size: 0
    .sgpr_count:     0
    .sgpr_spill_count: 0
    .symbol:         _ZN7rocprim17ROCPRIM_400000_NS6detail17trampoline_kernelINS0_14default_configENS1_27scan_by_key_config_selectorIssEEZZNS1_16scan_by_key_implILNS1_25lookback_scan_determinismE0ELb0ES3_N6thrust23THRUST_200600_302600_NS6detail15normal_iteratorINS9_10device_ptrIsEEEESE_SE_sNS9_4plusIvEENS9_8equal_toIvEEsEE10hipError_tPvRmT2_T3_T4_T5_mT6_T7_P12ihipStream_tbENKUlT_T0_E_clISt17integral_constantIbLb0EESY_IbLb1EEEEDaSU_SV_EUlSU_E_NS1_11comp_targetILNS1_3genE10ELNS1_11target_archE1200ELNS1_3gpuE4ELNS1_3repE0EEENS1_30default_config_static_selectorELNS0_4arch9wavefront6targetE0EEEvT1_.kd
    .uniform_work_group_size: 1
    .uses_dynamic_stack: false
    .vgpr_count:     0
    .vgpr_spill_count: 0
    .wavefront_size: 32
    .workgroup_processor_mode: 1
  - .args:
      - .offset:         0
        .size:           112
        .value_kind:     by_value
    .group_segment_fixed_size: 0
    .kernarg_segment_align: 8
    .kernarg_segment_size: 112
    .language:       OpenCL C
    .language_version:
      - 2
      - 0
    .max_flat_workgroup_size: 256
    .name:           _ZN7rocprim17ROCPRIM_400000_NS6detail17trampoline_kernelINS0_14default_configENS1_27scan_by_key_config_selectorIssEEZZNS1_16scan_by_key_implILNS1_25lookback_scan_determinismE0ELb0ES3_N6thrust23THRUST_200600_302600_NS6detail15normal_iteratorINS9_10device_ptrIsEEEESE_SE_sNS9_4plusIvEENS9_8equal_toIvEEsEE10hipError_tPvRmT2_T3_T4_T5_mT6_T7_P12ihipStream_tbENKUlT_T0_E_clISt17integral_constantIbLb0EESY_IbLb1EEEEDaSU_SV_EUlSU_E_NS1_11comp_targetILNS1_3genE9ELNS1_11target_archE1100ELNS1_3gpuE3ELNS1_3repE0EEENS1_30default_config_static_selectorELNS0_4arch9wavefront6targetE0EEEvT1_
    .private_segment_fixed_size: 0
    .sgpr_count:     0
    .sgpr_spill_count: 0
    .symbol:         _ZN7rocprim17ROCPRIM_400000_NS6detail17trampoline_kernelINS0_14default_configENS1_27scan_by_key_config_selectorIssEEZZNS1_16scan_by_key_implILNS1_25lookback_scan_determinismE0ELb0ES3_N6thrust23THRUST_200600_302600_NS6detail15normal_iteratorINS9_10device_ptrIsEEEESE_SE_sNS9_4plusIvEENS9_8equal_toIvEEsEE10hipError_tPvRmT2_T3_T4_T5_mT6_T7_P12ihipStream_tbENKUlT_T0_E_clISt17integral_constantIbLb0EESY_IbLb1EEEEDaSU_SV_EUlSU_E_NS1_11comp_targetILNS1_3genE9ELNS1_11target_archE1100ELNS1_3gpuE3ELNS1_3repE0EEENS1_30default_config_static_selectorELNS0_4arch9wavefront6targetE0EEEvT1_.kd
    .uniform_work_group_size: 1
    .uses_dynamic_stack: false
    .vgpr_count:     0
    .vgpr_spill_count: 0
    .wavefront_size: 32
    .workgroup_processor_mode: 1
  - .args:
      - .offset:         0
        .size:           112
        .value_kind:     by_value
    .group_segment_fixed_size: 1536
    .kernarg_segment_align: 8
    .kernarg_segment_size: 112
    .language:       OpenCL C
    .language_version:
      - 2
      - 0
    .max_flat_workgroup_size: 64
    .name:           _ZN7rocprim17ROCPRIM_400000_NS6detail17trampoline_kernelINS0_14default_configENS1_27scan_by_key_config_selectorIssEEZZNS1_16scan_by_key_implILNS1_25lookback_scan_determinismE0ELb0ES3_N6thrust23THRUST_200600_302600_NS6detail15normal_iteratorINS9_10device_ptrIsEEEESE_SE_sNS9_4plusIvEENS9_8equal_toIvEEsEE10hipError_tPvRmT2_T3_T4_T5_mT6_T7_P12ihipStream_tbENKUlT_T0_E_clISt17integral_constantIbLb0EESY_IbLb1EEEEDaSU_SV_EUlSU_E_NS1_11comp_targetILNS1_3genE8ELNS1_11target_archE1030ELNS1_3gpuE2ELNS1_3repE0EEENS1_30default_config_static_selectorELNS0_4arch9wavefront6targetE0EEEvT1_
    .private_segment_fixed_size: 0
    .sgpr_count:     43
    .sgpr_spill_count: 0
    .symbol:         _ZN7rocprim17ROCPRIM_400000_NS6detail17trampoline_kernelINS0_14default_configENS1_27scan_by_key_config_selectorIssEEZZNS1_16scan_by_key_implILNS1_25lookback_scan_determinismE0ELb0ES3_N6thrust23THRUST_200600_302600_NS6detail15normal_iteratorINS9_10device_ptrIsEEEESE_SE_sNS9_4plusIvEENS9_8equal_toIvEEsEE10hipError_tPvRmT2_T3_T4_T5_mT6_T7_P12ihipStream_tbENKUlT_T0_E_clISt17integral_constantIbLb0EESY_IbLb1EEEEDaSU_SV_EUlSU_E_NS1_11comp_targetILNS1_3genE8ELNS1_11target_archE1030ELNS1_3gpuE2ELNS1_3repE0EEENS1_30default_config_static_selectorELNS0_4arch9wavefront6targetE0EEEvT1_.kd
    .uniform_work_group_size: 1
    .uses_dynamic_stack: false
    .vgpr_count:     42
    .vgpr_spill_count: 0
    .wavefront_size: 32
    .workgroup_processor_mode: 1
  - .args:
      - .offset:         0
        .size:           112
        .value_kind:     by_value
    .group_segment_fixed_size: 0
    .kernarg_segment_align: 8
    .kernarg_segment_size: 112
    .language:       OpenCL C
    .language_version:
      - 2
      - 0
    .max_flat_workgroup_size: 256
    .name:           _ZN7rocprim17ROCPRIM_400000_NS6detail17trampoline_kernelINS0_14default_configENS1_27scan_by_key_config_selectorIssEEZZNS1_16scan_by_key_implILNS1_25lookback_scan_determinismE0ELb0ES3_N6thrust23THRUST_200600_302600_NS6detail15normal_iteratorINS9_10device_ptrIsEEEESE_SE_sNS9_10multipliesIsEENS9_8equal_toIsEEsEE10hipError_tPvRmT2_T3_T4_T5_mT6_T7_P12ihipStream_tbENKUlT_T0_E_clISt17integral_constantIbLb0EESZ_EEDaSU_SV_EUlSU_E_NS1_11comp_targetILNS1_3genE0ELNS1_11target_archE4294967295ELNS1_3gpuE0ELNS1_3repE0EEENS1_30default_config_static_selectorELNS0_4arch9wavefront6targetE0EEEvT1_
    .private_segment_fixed_size: 0
    .sgpr_count:     0
    .sgpr_spill_count: 0
    .symbol:         _ZN7rocprim17ROCPRIM_400000_NS6detail17trampoline_kernelINS0_14default_configENS1_27scan_by_key_config_selectorIssEEZZNS1_16scan_by_key_implILNS1_25lookback_scan_determinismE0ELb0ES3_N6thrust23THRUST_200600_302600_NS6detail15normal_iteratorINS9_10device_ptrIsEEEESE_SE_sNS9_10multipliesIsEENS9_8equal_toIsEEsEE10hipError_tPvRmT2_T3_T4_T5_mT6_T7_P12ihipStream_tbENKUlT_T0_E_clISt17integral_constantIbLb0EESZ_EEDaSU_SV_EUlSU_E_NS1_11comp_targetILNS1_3genE0ELNS1_11target_archE4294967295ELNS1_3gpuE0ELNS1_3repE0EEENS1_30default_config_static_selectorELNS0_4arch9wavefront6targetE0EEEvT1_.kd
    .uniform_work_group_size: 1
    .uses_dynamic_stack: false
    .vgpr_count:     0
    .vgpr_spill_count: 0
    .wavefront_size: 32
    .workgroup_processor_mode: 1
  - .args:
      - .offset:         0
        .size:           112
        .value_kind:     by_value
    .group_segment_fixed_size: 0
    .kernarg_segment_align: 8
    .kernarg_segment_size: 112
    .language:       OpenCL C
    .language_version:
      - 2
      - 0
    .max_flat_workgroup_size: 128
    .name:           _ZN7rocprim17ROCPRIM_400000_NS6detail17trampoline_kernelINS0_14default_configENS1_27scan_by_key_config_selectorIssEEZZNS1_16scan_by_key_implILNS1_25lookback_scan_determinismE0ELb0ES3_N6thrust23THRUST_200600_302600_NS6detail15normal_iteratorINS9_10device_ptrIsEEEESE_SE_sNS9_10multipliesIsEENS9_8equal_toIsEEsEE10hipError_tPvRmT2_T3_T4_T5_mT6_T7_P12ihipStream_tbENKUlT_T0_E_clISt17integral_constantIbLb0EESZ_EEDaSU_SV_EUlSU_E_NS1_11comp_targetILNS1_3genE10ELNS1_11target_archE1201ELNS1_3gpuE5ELNS1_3repE0EEENS1_30default_config_static_selectorELNS0_4arch9wavefront6targetE0EEEvT1_
    .private_segment_fixed_size: 0
    .sgpr_count:     0
    .sgpr_spill_count: 0
    .symbol:         _ZN7rocprim17ROCPRIM_400000_NS6detail17trampoline_kernelINS0_14default_configENS1_27scan_by_key_config_selectorIssEEZZNS1_16scan_by_key_implILNS1_25lookback_scan_determinismE0ELb0ES3_N6thrust23THRUST_200600_302600_NS6detail15normal_iteratorINS9_10device_ptrIsEEEESE_SE_sNS9_10multipliesIsEENS9_8equal_toIsEEsEE10hipError_tPvRmT2_T3_T4_T5_mT6_T7_P12ihipStream_tbENKUlT_T0_E_clISt17integral_constantIbLb0EESZ_EEDaSU_SV_EUlSU_E_NS1_11comp_targetILNS1_3genE10ELNS1_11target_archE1201ELNS1_3gpuE5ELNS1_3repE0EEENS1_30default_config_static_selectorELNS0_4arch9wavefront6targetE0EEEvT1_.kd
    .uniform_work_group_size: 1
    .uses_dynamic_stack: false
    .vgpr_count:     0
    .vgpr_spill_count: 0
    .wavefront_size: 32
    .workgroup_processor_mode: 1
  - .args:
      - .offset:         0
        .size:           112
        .value_kind:     by_value
    .group_segment_fixed_size: 0
    .kernarg_segment_align: 8
    .kernarg_segment_size: 112
    .language:       OpenCL C
    .language_version:
      - 2
      - 0
    .max_flat_workgroup_size: 256
    .name:           _ZN7rocprim17ROCPRIM_400000_NS6detail17trampoline_kernelINS0_14default_configENS1_27scan_by_key_config_selectorIssEEZZNS1_16scan_by_key_implILNS1_25lookback_scan_determinismE0ELb0ES3_N6thrust23THRUST_200600_302600_NS6detail15normal_iteratorINS9_10device_ptrIsEEEESE_SE_sNS9_10multipliesIsEENS9_8equal_toIsEEsEE10hipError_tPvRmT2_T3_T4_T5_mT6_T7_P12ihipStream_tbENKUlT_T0_E_clISt17integral_constantIbLb0EESZ_EEDaSU_SV_EUlSU_E_NS1_11comp_targetILNS1_3genE5ELNS1_11target_archE942ELNS1_3gpuE9ELNS1_3repE0EEENS1_30default_config_static_selectorELNS0_4arch9wavefront6targetE0EEEvT1_
    .private_segment_fixed_size: 0
    .sgpr_count:     0
    .sgpr_spill_count: 0
    .symbol:         _ZN7rocprim17ROCPRIM_400000_NS6detail17trampoline_kernelINS0_14default_configENS1_27scan_by_key_config_selectorIssEEZZNS1_16scan_by_key_implILNS1_25lookback_scan_determinismE0ELb0ES3_N6thrust23THRUST_200600_302600_NS6detail15normal_iteratorINS9_10device_ptrIsEEEESE_SE_sNS9_10multipliesIsEENS9_8equal_toIsEEsEE10hipError_tPvRmT2_T3_T4_T5_mT6_T7_P12ihipStream_tbENKUlT_T0_E_clISt17integral_constantIbLb0EESZ_EEDaSU_SV_EUlSU_E_NS1_11comp_targetILNS1_3genE5ELNS1_11target_archE942ELNS1_3gpuE9ELNS1_3repE0EEENS1_30default_config_static_selectorELNS0_4arch9wavefront6targetE0EEEvT1_.kd
    .uniform_work_group_size: 1
    .uses_dynamic_stack: false
    .vgpr_count:     0
    .vgpr_spill_count: 0
    .wavefront_size: 32
    .workgroup_processor_mode: 1
  - .args:
      - .offset:         0
        .size:           112
        .value_kind:     by_value
    .group_segment_fixed_size: 0
    .kernarg_segment_align: 8
    .kernarg_segment_size: 112
    .language:       OpenCL C
    .language_version:
      - 2
      - 0
    .max_flat_workgroup_size: 256
    .name:           _ZN7rocprim17ROCPRIM_400000_NS6detail17trampoline_kernelINS0_14default_configENS1_27scan_by_key_config_selectorIssEEZZNS1_16scan_by_key_implILNS1_25lookback_scan_determinismE0ELb0ES3_N6thrust23THRUST_200600_302600_NS6detail15normal_iteratorINS9_10device_ptrIsEEEESE_SE_sNS9_10multipliesIsEENS9_8equal_toIsEEsEE10hipError_tPvRmT2_T3_T4_T5_mT6_T7_P12ihipStream_tbENKUlT_T0_E_clISt17integral_constantIbLb0EESZ_EEDaSU_SV_EUlSU_E_NS1_11comp_targetILNS1_3genE4ELNS1_11target_archE910ELNS1_3gpuE8ELNS1_3repE0EEENS1_30default_config_static_selectorELNS0_4arch9wavefront6targetE0EEEvT1_
    .private_segment_fixed_size: 0
    .sgpr_count:     0
    .sgpr_spill_count: 0
    .symbol:         _ZN7rocprim17ROCPRIM_400000_NS6detail17trampoline_kernelINS0_14default_configENS1_27scan_by_key_config_selectorIssEEZZNS1_16scan_by_key_implILNS1_25lookback_scan_determinismE0ELb0ES3_N6thrust23THRUST_200600_302600_NS6detail15normal_iteratorINS9_10device_ptrIsEEEESE_SE_sNS9_10multipliesIsEENS9_8equal_toIsEEsEE10hipError_tPvRmT2_T3_T4_T5_mT6_T7_P12ihipStream_tbENKUlT_T0_E_clISt17integral_constantIbLb0EESZ_EEDaSU_SV_EUlSU_E_NS1_11comp_targetILNS1_3genE4ELNS1_11target_archE910ELNS1_3gpuE8ELNS1_3repE0EEENS1_30default_config_static_selectorELNS0_4arch9wavefront6targetE0EEEvT1_.kd
    .uniform_work_group_size: 1
    .uses_dynamic_stack: false
    .vgpr_count:     0
    .vgpr_spill_count: 0
    .wavefront_size: 32
    .workgroup_processor_mode: 1
  - .args:
      - .offset:         0
        .size:           112
        .value_kind:     by_value
    .group_segment_fixed_size: 0
    .kernarg_segment_align: 8
    .kernarg_segment_size: 112
    .language:       OpenCL C
    .language_version:
      - 2
      - 0
    .max_flat_workgroup_size: 256
    .name:           _ZN7rocprim17ROCPRIM_400000_NS6detail17trampoline_kernelINS0_14default_configENS1_27scan_by_key_config_selectorIssEEZZNS1_16scan_by_key_implILNS1_25lookback_scan_determinismE0ELb0ES3_N6thrust23THRUST_200600_302600_NS6detail15normal_iteratorINS9_10device_ptrIsEEEESE_SE_sNS9_10multipliesIsEENS9_8equal_toIsEEsEE10hipError_tPvRmT2_T3_T4_T5_mT6_T7_P12ihipStream_tbENKUlT_T0_E_clISt17integral_constantIbLb0EESZ_EEDaSU_SV_EUlSU_E_NS1_11comp_targetILNS1_3genE3ELNS1_11target_archE908ELNS1_3gpuE7ELNS1_3repE0EEENS1_30default_config_static_selectorELNS0_4arch9wavefront6targetE0EEEvT1_
    .private_segment_fixed_size: 0
    .sgpr_count:     0
    .sgpr_spill_count: 0
    .symbol:         _ZN7rocprim17ROCPRIM_400000_NS6detail17trampoline_kernelINS0_14default_configENS1_27scan_by_key_config_selectorIssEEZZNS1_16scan_by_key_implILNS1_25lookback_scan_determinismE0ELb0ES3_N6thrust23THRUST_200600_302600_NS6detail15normal_iteratorINS9_10device_ptrIsEEEESE_SE_sNS9_10multipliesIsEENS9_8equal_toIsEEsEE10hipError_tPvRmT2_T3_T4_T5_mT6_T7_P12ihipStream_tbENKUlT_T0_E_clISt17integral_constantIbLb0EESZ_EEDaSU_SV_EUlSU_E_NS1_11comp_targetILNS1_3genE3ELNS1_11target_archE908ELNS1_3gpuE7ELNS1_3repE0EEENS1_30default_config_static_selectorELNS0_4arch9wavefront6targetE0EEEvT1_.kd
    .uniform_work_group_size: 1
    .uses_dynamic_stack: false
    .vgpr_count:     0
    .vgpr_spill_count: 0
    .wavefront_size: 32
    .workgroup_processor_mode: 1
  - .args:
      - .offset:         0
        .size:           112
        .value_kind:     by_value
    .group_segment_fixed_size: 0
    .kernarg_segment_align: 8
    .kernarg_segment_size: 112
    .language:       OpenCL C
    .language_version:
      - 2
      - 0
    .max_flat_workgroup_size: 64
    .name:           _ZN7rocprim17ROCPRIM_400000_NS6detail17trampoline_kernelINS0_14default_configENS1_27scan_by_key_config_selectorIssEEZZNS1_16scan_by_key_implILNS1_25lookback_scan_determinismE0ELb0ES3_N6thrust23THRUST_200600_302600_NS6detail15normal_iteratorINS9_10device_ptrIsEEEESE_SE_sNS9_10multipliesIsEENS9_8equal_toIsEEsEE10hipError_tPvRmT2_T3_T4_T5_mT6_T7_P12ihipStream_tbENKUlT_T0_E_clISt17integral_constantIbLb0EESZ_EEDaSU_SV_EUlSU_E_NS1_11comp_targetILNS1_3genE2ELNS1_11target_archE906ELNS1_3gpuE6ELNS1_3repE0EEENS1_30default_config_static_selectorELNS0_4arch9wavefront6targetE0EEEvT1_
    .private_segment_fixed_size: 0
    .sgpr_count:     0
    .sgpr_spill_count: 0
    .symbol:         _ZN7rocprim17ROCPRIM_400000_NS6detail17trampoline_kernelINS0_14default_configENS1_27scan_by_key_config_selectorIssEEZZNS1_16scan_by_key_implILNS1_25lookback_scan_determinismE0ELb0ES3_N6thrust23THRUST_200600_302600_NS6detail15normal_iteratorINS9_10device_ptrIsEEEESE_SE_sNS9_10multipliesIsEENS9_8equal_toIsEEsEE10hipError_tPvRmT2_T3_T4_T5_mT6_T7_P12ihipStream_tbENKUlT_T0_E_clISt17integral_constantIbLb0EESZ_EEDaSU_SV_EUlSU_E_NS1_11comp_targetILNS1_3genE2ELNS1_11target_archE906ELNS1_3gpuE6ELNS1_3repE0EEENS1_30default_config_static_selectorELNS0_4arch9wavefront6targetE0EEEvT1_.kd
    .uniform_work_group_size: 1
    .uses_dynamic_stack: false
    .vgpr_count:     0
    .vgpr_spill_count: 0
    .wavefront_size: 32
    .workgroup_processor_mode: 1
  - .args:
      - .offset:         0
        .size:           112
        .value_kind:     by_value
    .group_segment_fixed_size: 0
    .kernarg_segment_align: 8
    .kernarg_segment_size: 112
    .language:       OpenCL C
    .language_version:
      - 2
      - 0
    .max_flat_workgroup_size: 256
    .name:           _ZN7rocprim17ROCPRIM_400000_NS6detail17trampoline_kernelINS0_14default_configENS1_27scan_by_key_config_selectorIssEEZZNS1_16scan_by_key_implILNS1_25lookback_scan_determinismE0ELb0ES3_N6thrust23THRUST_200600_302600_NS6detail15normal_iteratorINS9_10device_ptrIsEEEESE_SE_sNS9_10multipliesIsEENS9_8equal_toIsEEsEE10hipError_tPvRmT2_T3_T4_T5_mT6_T7_P12ihipStream_tbENKUlT_T0_E_clISt17integral_constantIbLb0EESZ_EEDaSU_SV_EUlSU_E_NS1_11comp_targetILNS1_3genE10ELNS1_11target_archE1200ELNS1_3gpuE4ELNS1_3repE0EEENS1_30default_config_static_selectorELNS0_4arch9wavefront6targetE0EEEvT1_
    .private_segment_fixed_size: 0
    .sgpr_count:     0
    .sgpr_spill_count: 0
    .symbol:         _ZN7rocprim17ROCPRIM_400000_NS6detail17trampoline_kernelINS0_14default_configENS1_27scan_by_key_config_selectorIssEEZZNS1_16scan_by_key_implILNS1_25lookback_scan_determinismE0ELb0ES3_N6thrust23THRUST_200600_302600_NS6detail15normal_iteratorINS9_10device_ptrIsEEEESE_SE_sNS9_10multipliesIsEENS9_8equal_toIsEEsEE10hipError_tPvRmT2_T3_T4_T5_mT6_T7_P12ihipStream_tbENKUlT_T0_E_clISt17integral_constantIbLb0EESZ_EEDaSU_SV_EUlSU_E_NS1_11comp_targetILNS1_3genE10ELNS1_11target_archE1200ELNS1_3gpuE4ELNS1_3repE0EEENS1_30default_config_static_selectorELNS0_4arch9wavefront6targetE0EEEvT1_.kd
    .uniform_work_group_size: 1
    .uses_dynamic_stack: false
    .vgpr_count:     0
    .vgpr_spill_count: 0
    .wavefront_size: 32
    .workgroup_processor_mode: 1
  - .args:
      - .offset:         0
        .size:           112
        .value_kind:     by_value
    .group_segment_fixed_size: 0
    .kernarg_segment_align: 8
    .kernarg_segment_size: 112
    .language:       OpenCL C
    .language_version:
      - 2
      - 0
    .max_flat_workgroup_size: 256
    .name:           _ZN7rocprim17ROCPRIM_400000_NS6detail17trampoline_kernelINS0_14default_configENS1_27scan_by_key_config_selectorIssEEZZNS1_16scan_by_key_implILNS1_25lookback_scan_determinismE0ELb0ES3_N6thrust23THRUST_200600_302600_NS6detail15normal_iteratorINS9_10device_ptrIsEEEESE_SE_sNS9_10multipliesIsEENS9_8equal_toIsEEsEE10hipError_tPvRmT2_T3_T4_T5_mT6_T7_P12ihipStream_tbENKUlT_T0_E_clISt17integral_constantIbLb0EESZ_EEDaSU_SV_EUlSU_E_NS1_11comp_targetILNS1_3genE9ELNS1_11target_archE1100ELNS1_3gpuE3ELNS1_3repE0EEENS1_30default_config_static_selectorELNS0_4arch9wavefront6targetE0EEEvT1_
    .private_segment_fixed_size: 0
    .sgpr_count:     0
    .sgpr_spill_count: 0
    .symbol:         _ZN7rocprim17ROCPRIM_400000_NS6detail17trampoline_kernelINS0_14default_configENS1_27scan_by_key_config_selectorIssEEZZNS1_16scan_by_key_implILNS1_25lookback_scan_determinismE0ELb0ES3_N6thrust23THRUST_200600_302600_NS6detail15normal_iteratorINS9_10device_ptrIsEEEESE_SE_sNS9_10multipliesIsEENS9_8equal_toIsEEsEE10hipError_tPvRmT2_T3_T4_T5_mT6_T7_P12ihipStream_tbENKUlT_T0_E_clISt17integral_constantIbLb0EESZ_EEDaSU_SV_EUlSU_E_NS1_11comp_targetILNS1_3genE9ELNS1_11target_archE1100ELNS1_3gpuE3ELNS1_3repE0EEENS1_30default_config_static_selectorELNS0_4arch9wavefront6targetE0EEEvT1_.kd
    .uniform_work_group_size: 1
    .uses_dynamic_stack: false
    .vgpr_count:     0
    .vgpr_spill_count: 0
    .wavefront_size: 32
    .workgroup_processor_mode: 1
  - .args:
      - .offset:         0
        .size:           112
        .value_kind:     by_value
    .group_segment_fixed_size: 1536
    .kernarg_segment_align: 8
    .kernarg_segment_size: 112
    .language:       OpenCL C
    .language_version:
      - 2
      - 0
    .max_flat_workgroup_size: 64
    .name:           _ZN7rocprim17ROCPRIM_400000_NS6detail17trampoline_kernelINS0_14default_configENS1_27scan_by_key_config_selectorIssEEZZNS1_16scan_by_key_implILNS1_25lookback_scan_determinismE0ELb0ES3_N6thrust23THRUST_200600_302600_NS6detail15normal_iteratorINS9_10device_ptrIsEEEESE_SE_sNS9_10multipliesIsEENS9_8equal_toIsEEsEE10hipError_tPvRmT2_T3_T4_T5_mT6_T7_P12ihipStream_tbENKUlT_T0_E_clISt17integral_constantIbLb0EESZ_EEDaSU_SV_EUlSU_E_NS1_11comp_targetILNS1_3genE8ELNS1_11target_archE1030ELNS1_3gpuE2ELNS1_3repE0EEENS1_30default_config_static_selectorELNS0_4arch9wavefront6targetE0EEEvT1_
    .private_segment_fixed_size: 0
    .sgpr_count:     41
    .sgpr_spill_count: 0
    .symbol:         _ZN7rocprim17ROCPRIM_400000_NS6detail17trampoline_kernelINS0_14default_configENS1_27scan_by_key_config_selectorIssEEZZNS1_16scan_by_key_implILNS1_25lookback_scan_determinismE0ELb0ES3_N6thrust23THRUST_200600_302600_NS6detail15normal_iteratorINS9_10device_ptrIsEEEESE_SE_sNS9_10multipliesIsEENS9_8equal_toIsEEsEE10hipError_tPvRmT2_T3_T4_T5_mT6_T7_P12ihipStream_tbENKUlT_T0_E_clISt17integral_constantIbLb0EESZ_EEDaSU_SV_EUlSU_E_NS1_11comp_targetILNS1_3genE8ELNS1_11target_archE1030ELNS1_3gpuE2ELNS1_3repE0EEENS1_30default_config_static_selectorELNS0_4arch9wavefront6targetE0EEEvT1_.kd
    .uniform_work_group_size: 1
    .uses_dynamic_stack: false
    .vgpr_count:     42
    .vgpr_spill_count: 0
    .wavefront_size: 32
    .workgroup_processor_mode: 1
  - .args:
      - .offset:         0
        .size:           112
        .value_kind:     by_value
    .group_segment_fixed_size: 0
    .kernarg_segment_align: 8
    .kernarg_segment_size: 112
    .language:       OpenCL C
    .language_version:
      - 2
      - 0
    .max_flat_workgroup_size: 256
    .name:           _ZN7rocprim17ROCPRIM_400000_NS6detail17trampoline_kernelINS0_14default_configENS1_27scan_by_key_config_selectorIssEEZZNS1_16scan_by_key_implILNS1_25lookback_scan_determinismE0ELb0ES3_N6thrust23THRUST_200600_302600_NS6detail15normal_iteratorINS9_10device_ptrIsEEEESE_SE_sNS9_10multipliesIsEENS9_8equal_toIsEEsEE10hipError_tPvRmT2_T3_T4_T5_mT6_T7_P12ihipStream_tbENKUlT_T0_E_clISt17integral_constantIbLb1EESZ_EEDaSU_SV_EUlSU_E_NS1_11comp_targetILNS1_3genE0ELNS1_11target_archE4294967295ELNS1_3gpuE0ELNS1_3repE0EEENS1_30default_config_static_selectorELNS0_4arch9wavefront6targetE0EEEvT1_
    .private_segment_fixed_size: 0
    .sgpr_count:     0
    .sgpr_spill_count: 0
    .symbol:         _ZN7rocprim17ROCPRIM_400000_NS6detail17trampoline_kernelINS0_14default_configENS1_27scan_by_key_config_selectorIssEEZZNS1_16scan_by_key_implILNS1_25lookback_scan_determinismE0ELb0ES3_N6thrust23THRUST_200600_302600_NS6detail15normal_iteratorINS9_10device_ptrIsEEEESE_SE_sNS9_10multipliesIsEENS9_8equal_toIsEEsEE10hipError_tPvRmT2_T3_T4_T5_mT6_T7_P12ihipStream_tbENKUlT_T0_E_clISt17integral_constantIbLb1EESZ_EEDaSU_SV_EUlSU_E_NS1_11comp_targetILNS1_3genE0ELNS1_11target_archE4294967295ELNS1_3gpuE0ELNS1_3repE0EEENS1_30default_config_static_selectorELNS0_4arch9wavefront6targetE0EEEvT1_.kd
    .uniform_work_group_size: 1
    .uses_dynamic_stack: false
    .vgpr_count:     0
    .vgpr_spill_count: 0
    .wavefront_size: 32
    .workgroup_processor_mode: 1
  - .args:
      - .offset:         0
        .size:           112
        .value_kind:     by_value
    .group_segment_fixed_size: 0
    .kernarg_segment_align: 8
    .kernarg_segment_size: 112
    .language:       OpenCL C
    .language_version:
      - 2
      - 0
    .max_flat_workgroup_size: 128
    .name:           _ZN7rocprim17ROCPRIM_400000_NS6detail17trampoline_kernelINS0_14default_configENS1_27scan_by_key_config_selectorIssEEZZNS1_16scan_by_key_implILNS1_25lookback_scan_determinismE0ELb0ES3_N6thrust23THRUST_200600_302600_NS6detail15normal_iteratorINS9_10device_ptrIsEEEESE_SE_sNS9_10multipliesIsEENS9_8equal_toIsEEsEE10hipError_tPvRmT2_T3_T4_T5_mT6_T7_P12ihipStream_tbENKUlT_T0_E_clISt17integral_constantIbLb1EESZ_EEDaSU_SV_EUlSU_E_NS1_11comp_targetILNS1_3genE10ELNS1_11target_archE1201ELNS1_3gpuE5ELNS1_3repE0EEENS1_30default_config_static_selectorELNS0_4arch9wavefront6targetE0EEEvT1_
    .private_segment_fixed_size: 0
    .sgpr_count:     0
    .sgpr_spill_count: 0
    .symbol:         _ZN7rocprim17ROCPRIM_400000_NS6detail17trampoline_kernelINS0_14default_configENS1_27scan_by_key_config_selectorIssEEZZNS1_16scan_by_key_implILNS1_25lookback_scan_determinismE0ELb0ES3_N6thrust23THRUST_200600_302600_NS6detail15normal_iteratorINS9_10device_ptrIsEEEESE_SE_sNS9_10multipliesIsEENS9_8equal_toIsEEsEE10hipError_tPvRmT2_T3_T4_T5_mT6_T7_P12ihipStream_tbENKUlT_T0_E_clISt17integral_constantIbLb1EESZ_EEDaSU_SV_EUlSU_E_NS1_11comp_targetILNS1_3genE10ELNS1_11target_archE1201ELNS1_3gpuE5ELNS1_3repE0EEENS1_30default_config_static_selectorELNS0_4arch9wavefront6targetE0EEEvT1_.kd
    .uniform_work_group_size: 1
    .uses_dynamic_stack: false
    .vgpr_count:     0
    .vgpr_spill_count: 0
    .wavefront_size: 32
    .workgroup_processor_mode: 1
  - .args:
      - .offset:         0
        .size:           112
        .value_kind:     by_value
    .group_segment_fixed_size: 0
    .kernarg_segment_align: 8
    .kernarg_segment_size: 112
    .language:       OpenCL C
    .language_version:
      - 2
      - 0
    .max_flat_workgroup_size: 256
    .name:           _ZN7rocprim17ROCPRIM_400000_NS6detail17trampoline_kernelINS0_14default_configENS1_27scan_by_key_config_selectorIssEEZZNS1_16scan_by_key_implILNS1_25lookback_scan_determinismE0ELb0ES3_N6thrust23THRUST_200600_302600_NS6detail15normal_iteratorINS9_10device_ptrIsEEEESE_SE_sNS9_10multipliesIsEENS9_8equal_toIsEEsEE10hipError_tPvRmT2_T3_T4_T5_mT6_T7_P12ihipStream_tbENKUlT_T0_E_clISt17integral_constantIbLb1EESZ_EEDaSU_SV_EUlSU_E_NS1_11comp_targetILNS1_3genE5ELNS1_11target_archE942ELNS1_3gpuE9ELNS1_3repE0EEENS1_30default_config_static_selectorELNS0_4arch9wavefront6targetE0EEEvT1_
    .private_segment_fixed_size: 0
    .sgpr_count:     0
    .sgpr_spill_count: 0
    .symbol:         _ZN7rocprim17ROCPRIM_400000_NS6detail17trampoline_kernelINS0_14default_configENS1_27scan_by_key_config_selectorIssEEZZNS1_16scan_by_key_implILNS1_25lookback_scan_determinismE0ELb0ES3_N6thrust23THRUST_200600_302600_NS6detail15normal_iteratorINS9_10device_ptrIsEEEESE_SE_sNS9_10multipliesIsEENS9_8equal_toIsEEsEE10hipError_tPvRmT2_T3_T4_T5_mT6_T7_P12ihipStream_tbENKUlT_T0_E_clISt17integral_constantIbLb1EESZ_EEDaSU_SV_EUlSU_E_NS1_11comp_targetILNS1_3genE5ELNS1_11target_archE942ELNS1_3gpuE9ELNS1_3repE0EEENS1_30default_config_static_selectorELNS0_4arch9wavefront6targetE0EEEvT1_.kd
    .uniform_work_group_size: 1
    .uses_dynamic_stack: false
    .vgpr_count:     0
    .vgpr_spill_count: 0
    .wavefront_size: 32
    .workgroup_processor_mode: 1
  - .args:
      - .offset:         0
        .size:           112
        .value_kind:     by_value
    .group_segment_fixed_size: 0
    .kernarg_segment_align: 8
    .kernarg_segment_size: 112
    .language:       OpenCL C
    .language_version:
      - 2
      - 0
    .max_flat_workgroup_size: 256
    .name:           _ZN7rocprim17ROCPRIM_400000_NS6detail17trampoline_kernelINS0_14default_configENS1_27scan_by_key_config_selectorIssEEZZNS1_16scan_by_key_implILNS1_25lookback_scan_determinismE0ELb0ES3_N6thrust23THRUST_200600_302600_NS6detail15normal_iteratorINS9_10device_ptrIsEEEESE_SE_sNS9_10multipliesIsEENS9_8equal_toIsEEsEE10hipError_tPvRmT2_T3_T4_T5_mT6_T7_P12ihipStream_tbENKUlT_T0_E_clISt17integral_constantIbLb1EESZ_EEDaSU_SV_EUlSU_E_NS1_11comp_targetILNS1_3genE4ELNS1_11target_archE910ELNS1_3gpuE8ELNS1_3repE0EEENS1_30default_config_static_selectorELNS0_4arch9wavefront6targetE0EEEvT1_
    .private_segment_fixed_size: 0
    .sgpr_count:     0
    .sgpr_spill_count: 0
    .symbol:         _ZN7rocprim17ROCPRIM_400000_NS6detail17trampoline_kernelINS0_14default_configENS1_27scan_by_key_config_selectorIssEEZZNS1_16scan_by_key_implILNS1_25lookback_scan_determinismE0ELb0ES3_N6thrust23THRUST_200600_302600_NS6detail15normal_iteratorINS9_10device_ptrIsEEEESE_SE_sNS9_10multipliesIsEENS9_8equal_toIsEEsEE10hipError_tPvRmT2_T3_T4_T5_mT6_T7_P12ihipStream_tbENKUlT_T0_E_clISt17integral_constantIbLb1EESZ_EEDaSU_SV_EUlSU_E_NS1_11comp_targetILNS1_3genE4ELNS1_11target_archE910ELNS1_3gpuE8ELNS1_3repE0EEENS1_30default_config_static_selectorELNS0_4arch9wavefront6targetE0EEEvT1_.kd
    .uniform_work_group_size: 1
    .uses_dynamic_stack: false
    .vgpr_count:     0
    .vgpr_spill_count: 0
    .wavefront_size: 32
    .workgroup_processor_mode: 1
  - .args:
      - .offset:         0
        .size:           112
        .value_kind:     by_value
    .group_segment_fixed_size: 0
    .kernarg_segment_align: 8
    .kernarg_segment_size: 112
    .language:       OpenCL C
    .language_version:
      - 2
      - 0
    .max_flat_workgroup_size: 256
    .name:           _ZN7rocprim17ROCPRIM_400000_NS6detail17trampoline_kernelINS0_14default_configENS1_27scan_by_key_config_selectorIssEEZZNS1_16scan_by_key_implILNS1_25lookback_scan_determinismE0ELb0ES3_N6thrust23THRUST_200600_302600_NS6detail15normal_iteratorINS9_10device_ptrIsEEEESE_SE_sNS9_10multipliesIsEENS9_8equal_toIsEEsEE10hipError_tPvRmT2_T3_T4_T5_mT6_T7_P12ihipStream_tbENKUlT_T0_E_clISt17integral_constantIbLb1EESZ_EEDaSU_SV_EUlSU_E_NS1_11comp_targetILNS1_3genE3ELNS1_11target_archE908ELNS1_3gpuE7ELNS1_3repE0EEENS1_30default_config_static_selectorELNS0_4arch9wavefront6targetE0EEEvT1_
    .private_segment_fixed_size: 0
    .sgpr_count:     0
    .sgpr_spill_count: 0
    .symbol:         _ZN7rocprim17ROCPRIM_400000_NS6detail17trampoline_kernelINS0_14default_configENS1_27scan_by_key_config_selectorIssEEZZNS1_16scan_by_key_implILNS1_25lookback_scan_determinismE0ELb0ES3_N6thrust23THRUST_200600_302600_NS6detail15normal_iteratorINS9_10device_ptrIsEEEESE_SE_sNS9_10multipliesIsEENS9_8equal_toIsEEsEE10hipError_tPvRmT2_T3_T4_T5_mT6_T7_P12ihipStream_tbENKUlT_T0_E_clISt17integral_constantIbLb1EESZ_EEDaSU_SV_EUlSU_E_NS1_11comp_targetILNS1_3genE3ELNS1_11target_archE908ELNS1_3gpuE7ELNS1_3repE0EEENS1_30default_config_static_selectorELNS0_4arch9wavefront6targetE0EEEvT1_.kd
    .uniform_work_group_size: 1
    .uses_dynamic_stack: false
    .vgpr_count:     0
    .vgpr_spill_count: 0
    .wavefront_size: 32
    .workgroup_processor_mode: 1
  - .args:
      - .offset:         0
        .size:           112
        .value_kind:     by_value
    .group_segment_fixed_size: 0
    .kernarg_segment_align: 8
    .kernarg_segment_size: 112
    .language:       OpenCL C
    .language_version:
      - 2
      - 0
    .max_flat_workgroup_size: 64
    .name:           _ZN7rocprim17ROCPRIM_400000_NS6detail17trampoline_kernelINS0_14default_configENS1_27scan_by_key_config_selectorIssEEZZNS1_16scan_by_key_implILNS1_25lookback_scan_determinismE0ELb0ES3_N6thrust23THRUST_200600_302600_NS6detail15normal_iteratorINS9_10device_ptrIsEEEESE_SE_sNS9_10multipliesIsEENS9_8equal_toIsEEsEE10hipError_tPvRmT2_T3_T4_T5_mT6_T7_P12ihipStream_tbENKUlT_T0_E_clISt17integral_constantIbLb1EESZ_EEDaSU_SV_EUlSU_E_NS1_11comp_targetILNS1_3genE2ELNS1_11target_archE906ELNS1_3gpuE6ELNS1_3repE0EEENS1_30default_config_static_selectorELNS0_4arch9wavefront6targetE0EEEvT1_
    .private_segment_fixed_size: 0
    .sgpr_count:     0
    .sgpr_spill_count: 0
    .symbol:         _ZN7rocprim17ROCPRIM_400000_NS6detail17trampoline_kernelINS0_14default_configENS1_27scan_by_key_config_selectorIssEEZZNS1_16scan_by_key_implILNS1_25lookback_scan_determinismE0ELb0ES3_N6thrust23THRUST_200600_302600_NS6detail15normal_iteratorINS9_10device_ptrIsEEEESE_SE_sNS9_10multipliesIsEENS9_8equal_toIsEEsEE10hipError_tPvRmT2_T3_T4_T5_mT6_T7_P12ihipStream_tbENKUlT_T0_E_clISt17integral_constantIbLb1EESZ_EEDaSU_SV_EUlSU_E_NS1_11comp_targetILNS1_3genE2ELNS1_11target_archE906ELNS1_3gpuE6ELNS1_3repE0EEENS1_30default_config_static_selectorELNS0_4arch9wavefront6targetE0EEEvT1_.kd
    .uniform_work_group_size: 1
    .uses_dynamic_stack: false
    .vgpr_count:     0
    .vgpr_spill_count: 0
    .wavefront_size: 32
    .workgroup_processor_mode: 1
  - .args:
      - .offset:         0
        .size:           112
        .value_kind:     by_value
    .group_segment_fixed_size: 0
    .kernarg_segment_align: 8
    .kernarg_segment_size: 112
    .language:       OpenCL C
    .language_version:
      - 2
      - 0
    .max_flat_workgroup_size: 256
    .name:           _ZN7rocprim17ROCPRIM_400000_NS6detail17trampoline_kernelINS0_14default_configENS1_27scan_by_key_config_selectorIssEEZZNS1_16scan_by_key_implILNS1_25lookback_scan_determinismE0ELb0ES3_N6thrust23THRUST_200600_302600_NS6detail15normal_iteratorINS9_10device_ptrIsEEEESE_SE_sNS9_10multipliesIsEENS9_8equal_toIsEEsEE10hipError_tPvRmT2_T3_T4_T5_mT6_T7_P12ihipStream_tbENKUlT_T0_E_clISt17integral_constantIbLb1EESZ_EEDaSU_SV_EUlSU_E_NS1_11comp_targetILNS1_3genE10ELNS1_11target_archE1200ELNS1_3gpuE4ELNS1_3repE0EEENS1_30default_config_static_selectorELNS0_4arch9wavefront6targetE0EEEvT1_
    .private_segment_fixed_size: 0
    .sgpr_count:     0
    .sgpr_spill_count: 0
    .symbol:         _ZN7rocprim17ROCPRIM_400000_NS6detail17trampoline_kernelINS0_14default_configENS1_27scan_by_key_config_selectorIssEEZZNS1_16scan_by_key_implILNS1_25lookback_scan_determinismE0ELb0ES3_N6thrust23THRUST_200600_302600_NS6detail15normal_iteratorINS9_10device_ptrIsEEEESE_SE_sNS9_10multipliesIsEENS9_8equal_toIsEEsEE10hipError_tPvRmT2_T3_T4_T5_mT6_T7_P12ihipStream_tbENKUlT_T0_E_clISt17integral_constantIbLb1EESZ_EEDaSU_SV_EUlSU_E_NS1_11comp_targetILNS1_3genE10ELNS1_11target_archE1200ELNS1_3gpuE4ELNS1_3repE0EEENS1_30default_config_static_selectorELNS0_4arch9wavefront6targetE0EEEvT1_.kd
    .uniform_work_group_size: 1
    .uses_dynamic_stack: false
    .vgpr_count:     0
    .vgpr_spill_count: 0
    .wavefront_size: 32
    .workgroup_processor_mode: 1
  - .args:
      - .offset:         0
        .size:           112
        .value_kind:     by_value
    .group_segment_fixed_size: 0
    .kernarg_segment_align: 8
    .kernarg_segment_size: 112
    .language:       OpenCL C
    .language_version:
      - 2
      - 0
    .max_flat_workgroup_size: 256
    .name:           _ZN7rocprim17ROCPRIM_400000_NS6detail17trampoline_kernelINS0_14default_configENS1_27scan_by_key_config_selectorIssEEZZNS1_16scan_by_key_implILNS1_25lookback_scan_determinismE0ELb0ES3_N6thrust23THRUST_200600_302600_NS6detail15normal_iteratorINS9_10device_ptrIsEEEESE_SE_sNS9_10multipliesIsEENS9_8equal_toIsEEsEE10hipError_tPvRmT2_T3_T4_T5_mT6_T7_P12ihipStream_tbENKUlT_T0_E_clISt17integral_constantIbLb1EESZ_EEDaSU_SV_EUlSU_E_NS1_11comp_targetILNS1_3genE9ELNS1_11target_archE1100ELNS1_3gpuE3ELNS1_3repE0EEENS1_30default_config_static_selectorELNS0_4arch9wavefront6targetE0EEEvT1_
    .private_segment_fixed_size: 0
    .sgpr_count:     0
    .sgpr_spill_count: 0
    .symbol:         _ZN7rocprim17ROCPRIM_400000_NS6detail17trampoline_kernelINS0_14default_configENS1_27scan_by_key_config_selectorIssEEZZNS1_16scan_by_key_implILNS1_25lookback_scan_determinismE0ELb0ES3_N6thrust23THRUST_200600_302600_NS6detail15normal_iteratorINS9_10device_ptrIsEEEESE_SE_sNS9_10multipliesIsEENS9_8equal_toIsEEsEE10hipError_tPvRmT2_T3_T4_T5_mT6_T7_P12ihipStream_tbENKUlT_T0_E_clISt17integral_constantIbLb1EESZ_EEDaSU_SV_EUlSU_E_NS1_11comp_targetILNS1_3genE9ELNS1_11target_archE1100ELNS1_3gpuE3ELNS1_3repE0EEENS1_30default_config_static_selectorELNS0_4arch9wavefront6targetE0EEEvT1_.kd
    .uniform_work_group_size: 1
    .uses_dynamic_stack: false
    .vgpr_count:     0
    .vgpr_spill_count: 0
    .wavefront_size: 32
    .workgroup_processor_mode: 1
  - .args:
      - .offset:         0
        .size:           112
        .value_kind:     by_value
    .group_segment_fixed_size: 0
    .kernarg_segment_align: 8
    .kernarg_segment_size: 112
    .language:       OpenCL C
    .language_version:
      - 2
      - 0
    .max_flat_workgroup_size: 64
    .name:           _ZN7rocprim17ROCPRIM_400000_NS6detail17trampoline_kernelINS0_14default_configENS1_27scan_by_key_config_selectorIssEEZZNS1_16scan_by_key_implILNS1_25lookback_scan_determinismE0ELb0ES3_N6thrust23THRUST_200600_302600_NS6detail15normal_iteratorINS9_10device_ptrIsEEEESE_SE_sNS9_10multipliesIsEENS9_8equal_toIsEEsEE10hipError_tPvRmT2_T3_T4_T5_mT6_T7_P12ihipStream_tbENKUlT_T0_E_clISt17integral_constantIbLb1EESZ_EEDaSU_SV_EUlSU_E_NS1_11comp_targetILNS1_3genE8ELNS1_11target_archE1030ELNS1_3gpuE2ELNS1_3repE0EEENS1_30default_config_static_selectorELNS0_4arch9wavefront6targetE0EEEvT1_
    .private_segment_fixed_size: 0
    .sgpr_count:     0
    .sgpr_spill_count: 0
    .symbol:         _ZN7rocprim17ROCPRIM_400000_NS6detail17trampoline_kernelINS0_14default_configENS1_27scan_by_key_config_selectorIssEEZZNS1_16scan_by_key_implILNS1_25lookback_scan_determinismE0ELb0ES3_N6thrust23THRUST_200600_302600_NS6detail15normal_iteratorINS9_10device_ptrIsEEEESE_SE_sNS9_10multipliesIsEENS9_8equal_toIsEEsEE10hipError_tPvRmT2_T3_T4_T5_mT6_T7_P12ihipStream_tbENKUlT_T0_E_clISt17integral_constantIbLb1EESZ_EEDaSU_SV_EUlSU_E_NS1_11comp_targetILNS1_3genE8ELNS1_11target_archE1030ELNS1_3gpuE2ELNS1_3repE0EEENS1_30default_config_static_selectorELNS0_4arch9wavefront6targetE0EEEvT1_.kd
    .uniform_work_group_size: 1
    .uses_dynamic_stack: false
    .vgpr_count:     0
    .vgpr_spill_count: 0
    .wavefront_size: 32
    .workgroup_processor_mode: 1
  - .args:
      - .offset:         0
        .size:           112
        .value_kind:     by_value
    .group_segment_fixed_size: 0
    .kernarg_segment_align: 8
    .kernarg_segment_size: 112
    .language:       OpenCL C
    .language_version:
      - 2
      - 0
    .max_flat_workgroup_size: 256
    .name:           _ZN7rocprim17ROCPRIM_400000_NS6detail17trampoline_kernelINS0_14default_configENS1_27scan_by_key_config_selectorIssEEZZNS1_16scan_by_key_implILNS1_25lookback_scan_determinismE0ELb0ES3_N6thrust23THRUST_200600_302600_NS6detail15normal_iteratorINS9_10device_ptrIsEEEESE_SE_sNS9_10multipliesIsEENS9_8equal_toIsEEsEE10hipError_tPvRmT2_T3_T4_T5_mT6_T7_P12ihipStream_tbENKUlT_T0_E_clISt17integral_constantIbLb1EESY_IbLb0EEEEDaSU_SV_EUlSU_E_NS1_11comp_targetILNS1_3genE0ELNS1_11target_archE4294967295ELNS1_3gpuE0ELNS1_3repE0EEENS1_30default_config_static_selectorELNS0_4arch9wavefront6targetE0EEEvT1_
    .private_segment_fixed_size: 0
    .sgpr_count:     0
    .sgpr_spill_count: 0
    .symbol:         _ZN7rocprim17ROCPRIM_400000_NS6detail17trampoline_kernelINS0_14default_configENS1_27scan_by_key_config_selectorIssEEZZNS1_16scan_by_key_implILNS1_25lookback_scan_determinismE0ELb0ES3_N6thrust23THRUST_200600_302600_NS6detail15normal_iteratorINS9_10device_ptrIsEEEESE_SE_sNS9_10multipliesIsEENS9_8equal_toIsEEsEE10hipError_tPvRmT2_T3_T4_T5_mT6_T7_P12ihipStream_tbENKUlT_T0_E_clISt17integral_constantIbLb1EESY_IbLb0EEEEDaSU_SV_EUlSU_E_NS1_11comp_targetILNS1_3genE0ELNS1_11target_archE4294967295ELNS1_3gpuE0ELNS1_3repE0EEENS1_30default_config_static_selectorELNS0_4arch9wavefront6targetE0EEEvT1_.kd
    .uniform_work_group_size: 1
    .uses_dynamic_stack: false
    .vgpr_count:     0
    .vgpr_spill_count: 0
    .wavefront_size: 32
    .workgroup_processor_mode: 1
  - .args:
      - .offset:         0
        .size:           112
        .value_kind:     by_value
    .group_segment_fixed_size: 0
    .kernarg_segment_align: 8
    .kernarg_segment_size: 112
    .language:       OpenCL C
    .language_version:
      - 2
      - 0
    .max_flat_workgroup_size: 128
    .name:           _ZN7rocprim17ROCPRIM_400000_NS6detail17trampoline_kernelINS0_14default_configENS1_27scan_by_key_config_selectorIssEEZZNS1_16scan_by_key_implILNS1_25lookback_scan_determinismE0ELb0ES3_N6thrust23THRUST_200600_302600_NS6detail15normal_iteratorINS9_10device_ptrIsEEEESE_SE_sNS9_10multipliesIsEENS9_8equal_toIsEEsEE10hipError_tPvRmT2_T3_T4_T5_mT6_T7_P12ihipStream_tbENKUlT_T0_E_clISt17integral_constantIbLb1EESY_IbLb0EEEEDaSU_SV_EUlSU_E_NS1_11comp_targetILNS1_3genE10ELNS1_11target_archE1201ELNS1_3gpuE5ELNS1_3repE0EEENS1_30default_config_static_selectorELNS0_4arch9wavefront6targetE0EEEvT1_
    .private_segment_fixed_size: 0
    .sgpr_count:     0
    .sgpr_spill_count: 0
    .symbol:         _ZN7rocprim17ROCPRIM_400000_NS6detail17trampoline_kernelINS0_14default_configENS1_27scan_by_key_config_selectorIssEEZZNS1_16scan_by_key_implILNS1_25lookback_scan_determinismE0ELb0ES3_N6thrust23THRUST_200600_302600_NS6detail15normal_iteratorINS9_10device_ptrIsEEEESE_SE_sNS9_10multipliesIsEENS9_8equal_toIsEEsEE10hipError_tPvRmT2_T3_T4_T5_mT6_T7_P12ihipStream_tbENKUlT_T0_E_clISt17integral_constantIbLb1EESY_IbLb0EEEEDaSU_SV_EUlSU_E_NS1_11comp_targetILNS1_3genE10ELNS1_11target_archE1201ELNS1_3gpuE5ELNS1_3repE0EEENS1_30default_config_static_selectorELNS0_4arch9wavefront6targetE0EEEvT1_.kd
    .uniform_work_group_size: 1
    .uses_dynamic_stack: false
    .vgpr_count:     0
    .vgpr_spill_count: 0
    .wavefront_size: 32
    .workgroup_processor_mode: 1
  - .args:
      - .offset:         0
        .size:           112
        .value_kind:     by_value
    .group_segment_fixed_size: 0
    .kernarg_segment_align: 8
    .kernarg_segment_size: 112
    .language:       OpenCL C
    .language_version:
      - 2
      - 0
    .max_flat_workgroup_size: 256
    .name:           _ZN7rocprim17ROCPRIM_400000_NS6detail17trampoline_kernelINS0_14default_configENS1_27scan_by_key_config_selectorIssEEZZNS1_16scan_by_key_implILNS1_25lookback_scan_determinismE0ELb0ES3_N6thrust23THRUST_200600_302600_NS6detail15normal_iteratorINS9_10device_ptrIsEEEESE_SE_sNS9_10multipliesIsEENS9_8equal_toIsEEsEE10hipError_tPvRmT2_T3_T4_T5_mT6_T7_P12ihipStream_tbENKUlT_T0_E_clISt17integral_constantIbLb1EESY_IbLb0EEEEDaSU_SV_EUlSU_E_NS1_11comp_targetILNS1_3genE5ELNS1_11target_archE942ELNS1_3gpuE9ELNS1_3repE0EEENS1_30default_config_static_selectorELNS0_4arch9wavefront6targetE0EEEvT1_
    .private_segment_fixed_size: 0
    .sgpr_count:     0
    .sgpr_spill_count: 0
    .symbol:         _ZN7rocprim17ROCPRIM_400000_NS6detail17trampoline_kernelINS0_14default_configENS1_27scan_by_key_config_selectorIssEEZZNS1_16scan_by_key_implILNS1_25lookback_scan_determinismE0ELb0ES3_N6thrust23THRUST_200600_302600_NS6detail15normal_iteratorINS9_10device_ptrIsEEEESE_SE_sNS9_10multipliesIsEENS9_8equal_toIsEEsEE10hipError_tPvRmT2_T3_T4_T5_mT6_T7_P12ihipStream_tbENKUlT_T0_E_clISt17integral_constantIbLb1EESY_IbLb0EEEEDaSU_SV_EUlSU_E_NS1_11comp_targetILNS1_3genE5ELNS1_11target_archE942ELNS1_3gpuE9ELNS1_3repE0EEENS1_30default_config_static_selectorELNS0_4arch9wavefront6targetE0EEEvT1_.kd
    .uniform_work_group_size: 1
    .uses_dynamic_stack: false
    .vgpr_count:     0
    .vgpr_spill_count: 0
    .wavefront_size: 32
    .workgroup_processor_mode: 1
  - .args:
      - .offset:         0
        .size:           112
        .value_kind:     by_value
    .group_segment_fixed_size: 0
    .kernarg_segment_align: 8
    .kernarg_segment_size: 112
    .language:       OpenCL C
    .language_version:
      - 2
      - 0
    .max_flat_workgroup_size: 256
    .name:           _ZN7rocprim17ROCPRIM_400000_NS6detail17trampoline_kernelINS0_14default_configENS1_27scan_by_key_config_selectorIssEEZZNS1_16scan_by_key_implILNS1_25lookback_scan_determinismE0ELb0ES3_N6thrust23THRUST_200600_302600_NS6detail15normal_iteratorINS9_10device_ptrIsEEEESE_SE_sNS9_10multipliesIsEENS9_8equal_toIsEEsEE10hipError_tPvRmT2_T3_T4_T5_mT6_T7_P12ihipStream_tbENKUlT_T0_E_clISt17integral_constantIbLb1EESY_IbLb0EEEEDaSU_SV_EUlSU_E_NS1_11comp_targetILNS1_3genE4ELNS1_11target_archE910ELNS1_3gpuE8ELNS1_3repE0EEENS1_30default_config_static_selectorELNS0_4arch9wavefront6targetE0EEEvT1_
    .private_segment_fixed_size: 0
    .sgpr_count:     0
    .sgpr_spill_count: 0
    .symbol:         _ZN7rocprim17ROCPRIM_400000_NS6detail17trampoline_kernelINS0_14default_configENS1_27scan_by_key_config_selectorIssEEZZNS1_16scan_by_key_implILNS1_25lookback_scan_determinismE0ELb0ES3_N6thrust23THRUST_200600_302600_NS6detail15normal_iteratorINS9_10device_ptrIsEEEESE_SE_sNS9_10multipliesIsEENS9_8equal_toIsEEsEE10hipError_tPvRmT2_T3_T4_T5_mT6_T7_P12ihipStream_tbENKUlT_T0_E_clISt17integral_constantIbLb1EESY_IbLb0EEEEDaSU_SV_EUlSU_E_NS1_11comp_targetILNS1_3genE4ELNS1_11target_archE910ELNS1_3gpuE8ELNS1_3repE0EEENS1_30default_config_static_selectorELNS0_4arch9wavefront6targetE0EEEvT1_.kd
    .uniform_work_group_size: 1
    .uses_dynamic_stack: false
    .vgpr_count:     0
    .vgpr_spill_count: 0
    .wavefront_size: 32
    .workgroup_processor_mode: 1
  - .args:
      - .offset:         0
        .size:           112
        .value_kind:     by_value
    .group_segment_fixed_size: 0
    .kernarg_segment_align: 8
    .kernarg_segment_size: 112
    .language:       OpenCL C
    .language_version:
      - 2
      - 0
    .max_flat_workgroup_size: 256
    .name:           _ZN7rocprim17ROCPRIM_400000_NS6detail17trampoline_kernelINS0_14default_configENS1_27scan_by_key_config_selectorIssEEZZNS1_16scan_by_key_implILNS1_25lookback_scan_determinismE0ELb0ES3_N6thrust23THRUST_200600_302600_NS6detail15normal_iteratorINS9_10device_ptrIsEEEESE_SE_sNS9_10multipliesIsEENS9_8equal_toIsEEsEE10hipError_tPvRmT2_T3_T4_T5_mT6_T7_P12ihipStream_tbENKUlT_T0_E_clISt17integral_constantIbLb1EESY_IbLb0EEEEDaSU_SV_EUlSU_E_NS1_11comp_targetILNS1_3genE3ELNS1_11target_archE908ELNS1_3gpuE7ELNS1_3repE0EEENS1_30default_config_static_selectorELNS0_4arch9wavefront6targetE0EEEvT1_
    .private_segment_fixed_size: 0
    .sgpr_count:     0
    .sgpr_spill_count: 0
    .symbol:         _ZN7rocprim17ROCPRIM_400000_NS6detail17trampoline_kernelINS0_14default_configENS1_27scan_by_key_config_selectorIssEEZZNS1_16scan_by_key_implILNS1_25lookback_scan_determinismE0ELb0ES3_N6thrust23THRUST_200600_302600_NS6detail15normal_iteratorINS9_10device_ptrIsEEEESE_SE_sNS9_10multipliesIsEENS9_8equal_toIsEEsEE10hipError_tPvRmT2_T3_T4_T5_mT6_T7_P12ihipStream_tbENKUlT_T0_E_clISt17integral_constantIbLb1EESY_IbLb0EEEEDaSU_SV_EUlSU_E_NS1_11comp_targetILNS1_3genE3ELNS1_11target_archE908ELNS1_3gpuE7ELNS1_3repE0EEENS1_30default_config_static_selectorELNS0_4arch9wavefront6targetE0EEEvT1_.kd
    .uniform_work_group_size: 1
    .uses_dynamic_stack: false
    .vgpr_count:     0
    .vgpr_spill_count: 0
    .wavefront_size: 32
    .workgroup_processor_mode: 1
  - .args:
      - .offset:         0
        .size:           112
        .value_kind:     by_value
    .group_segment_fixed_size: 0
    .kernarg_segment_align: 8
    .kernarg_segment_size: 112
    .language:       OpenCL C
    .language_version:
      - 2
      - 0
    .max_flat_workgroup_size: 64
    .name:           _ZN7rocprim17ROCPRIM_400000_NS6detail17trampoline_kernelINS0_14default_configENS1_27scan_by_key_config_selectorIssEEZZNS1_16scan_by_key_implILNS1_25lookback_scan_determinismE0ELb0ES3_N6thrust23THRUST_200600_302600_NS6detail15normal_iteratorINS9_10device_ptrIsEEEESE_SE_sNS9_10multipliesIsEENS9_8equal_toIsEEsEE10hipError_tPvRmT2_T3_T4_T5_mT6_T7_P12ihipStream_tbENKUlT_T0_E_clISt17integral_constantIbLb1EESY_IbLb0EEEEDaSU_SV_EUlSU_E_NS1_11comp_targetILNS1_3genE2ELNS1_11target_archE906ELNS1_3gpuE6ELNS1_3repE0EEENS1_30default_config_static_selectorELNS0_4arch9wavefront6targetE0EEEvT1_
    .private_segment_fixed_size: 0
    .sgpr_count:     0
    .sgpr_spill_count: 0
    .symbol:         _ZN7rocprim17ROCPRIM_400000_NS6detail17trampoline_kernelINS0_14default_configENS1_27scan_by_key_config_selectorIssEEZZNS1_16scan_by_key_implILNS1_25lookback_scan_determinismE0ELb0ES3_N6thrust23THRUST_200600_302600_NS6detail15normal_iteratorINS9_10device_ptrIsEEEESE_SE_sNS9_10multipliesIsEENS9_8equal_toIsEEsEE10hipError_tPvRmT2_T3_T4_T5_mT6_T7_P12ihipStream_tbENKUlT_T0_E_clISt17integral_constantIbLb1EESY_IbLb0EEEEDaSU_SV_EUlSU_E_NS1_11comp_targetILNS1_3genE2ELNS1_11target_archE906ELNS1_3gpuE6ELNS1_3repE0EEENS1_30default_config_static_selectorELNS0_4arch9wavefront6targetE0EEEvT1_.kd
    .uniform_work_group_size: 1
    .uses_dynamic_stack: false
    .vgpr_count:     0
    .vgpr_spill_count: 0
    .wavefront_size: 32
    .workgroup_processor_mode: 1
  - .args:
      - .offset:         0
        .size:           112
        .value_kind:     by_value
    .group_segment_fixed_size: 0
    .kernarg_segment_align: 8
    .kernarg_segment_size: 112
    .language:       OpenCL C
    .language_version:
      - 2
      - 0
    .max_flat_workgroup_size: 256
    .name:           _ZN7rocprim17ROCPRIM_400000_NS6detail17trampoline_kernelINS0_14default_configENS1_27scan_by_key_config_selectorIssEEZZNS1_16scan_by_key_implILNS1_25lookback_scan_determinismE0ELb0ES3_N6thrust23THRUST_200600_302600_NS6detail15normal_iteratorINS9_10device_ptrIsEEEESE_SE_sNS9_10multipliesIsEENS9_8equal_toIsEEsEE10hipError_tPvRmT2_T3_T4_T5_mT6_T7_P12ihipStream_tbENKUlT_T0_E_clISt17integral_constantIbLb1EESY_IbLb0EEEEDaSU_SV_EUlSU_E_NS1_11comp_targetILNS1_3genE10ELNS1_11target_archE1200ELNS1_3gpuE4ELNS1_3repE0EEENS1_30default_config_static_selectorELNS0_4arch9wavefront6targetE0EEEvT1_
    .private_segment_fixed_size: 0
    .sgpr_count:     0
    .sgpr_spill_count: 0
    .symbol:         _ZN7rocprim17ROCPRIM_400000_NS6detail17trampoline_kernelINS0_14default_configENS1_27scan_by_key_config_selectorIssEEZZNS1_16scan_by_key_implILNS1_25lookback_scan_determinismE0ELb0ES3_N6thrust23THRUST_200600_302600_NS6detail15normal_iteratorINS9_10device_ptrIsEEEESE_SE_sNS9_10multipliesIsEENS9_8equal_toIsEEsEE10hipError_tPvRmT2_T3_T4_T5_mT6_T7_P12ihipStream_tbENKUlT_T0_E_clISt17integral_constantIbLb1EESY_IbLb0EEEEDaSU_SV_EUlSU_E_NS1_11comp_targetILNS1_3genE10ELNS1_11target_archE1200ELNS1_3gpuE4ELNS1_3repE0EEENS1_30default_config_static_selectorELNS0_4arch9wavefront6targetE0EEEvT1_.kd
    .uniform_work_group_size: 1
    .uses_dynamic_stack: false
    .vgpr_count:     0
    .vgpr_spill_count: 0
    .wavefront_size: 32
    .workgroup_processor_mode: 1
  - .args:
      - .offset:         0
        .size:           112
        .value_kind:     by_value
    .group_segment_fixed_size: 0
    .kernarg_segment_align: 8
    .kernarg_segment_size: 112
    .language:       OpenCL C
    .language_version:
      - 2
      - 0
    .max_flat_workgroup_size: 256
    .name:           _ZN7rocprim17ROCPRIM_400000_NS6detail17trampoline_kernelINS0_14default_configENS1_27scan_by_key_config_selectorIssEEZZNS1_16scan_by_key_implILNS1_25lookback_scan_determinismE0ELb0ES3_N6thrust23THRUST_200600_302600_NS6detail15normal_iteratorINS9_10device_ptrIsEEEESE_SE_sNS9_10multipliesIsEENS9_8equal_toIsEEsEE10hipError_tPvRmT2_T3_T4_T5_mT6_T7_P12ihipStream_tbENKUlT_T0_E_clISt17integral_constantIbLb1EESY_IbLb0EEEEDaSU_SV_EUlSU_E_NS1_11comp_targetILNS1_3genE9ELNS1_11target_archE1100ELNS1_3gpuE3ELNS1_3repE0EEENS1_30default_config_static_selectorELNS0_4arch9wavefront6targetE0EEEvT1_
    .private_segment_fixed_size: 0
    .sgpr_count:     0
    .sgpr_spill_count: 0
    .symbol:         _ZN7rocprim17ROCPRIM_400000_NS6detail17trampoline_kernelINS0_14default_configENS1_27scan_by_key_config_selectorIssEEZZNS1_16scan_by_key_implILNS1_25lookback_scan_determinismE0ELb0ES3_N6thrust23THRUST_200600_302600_NS6detail15normal_iteratorINS9_10device_ptrIsEEEESE_SE_sNS9_10multipliesIsEENS9_8equal_toIsEEsEE10hipError_tPvRmT2_T3_T4_T5_mT6_T7_P12ihipStream_tbENKUlT_T0_E_clISt17integral_constantIbLb1EESY_IbLb0EEEEDaSU_SV_EUlSU_E_NS1_11comp_targetILNS1_3genE9ELNS1_11target_archE1100ELNS1_3gpuE3ELNS1_3repE0EEENS1_30default_config_static_selectorELNS0_4arch9wavefront6targetE0EEEvT1_.kd
    .uniform_work_group_size: 1
    .uses_dynamic_stack: false
    .vgpr_count:     0
    .vgpr_spill_count: 0
    .wavefront_size: 32
    .workgroup_processor_mode: 1
  - .args:
      - .offset:         0
        .size:           112
        .value_kind:     by_value
    .group_segment_fixed_size: 0
    .kernarg_segment_align: 8
    .kernarg_segment_size: 112
    .language:       OpenCL C
    .language_version:
      - 2
      - 0
    .max_flat_workgroup_size: 64
    .name:           _ZN7rocprim17ROCPRIM_400000_NS6detail17trampoline_kernelINS0_14default_configENS1_27scan_by_key_config_selectorIssEEZZNS1_16scan_by_key_implILNS1_25lookback_scan_determinismE0ELb0ES3_N6thrust23THRUST_200600_302600_NS6detail15normal_iteratorINS9_10device_ptrIsEEEESE_SE_sNS9_10multipliesIsEENS9_8equal_toIsEEsEE10hipError_tPvRmT2_T3_T4_T5_mT6_T7_P12ihipStream_tbENKUlT_T0_E_clISt17integral_constantIbLb1EESY_IbLb0EEEEDaSU_SV_EUlSU_E_NS1_11comp_targetILNS1_3genE8ELNS1_11target_archE1030ELNS1_3gpuE2ELNS1_3repE0EEENS1_30default_config_static_selectorELNS0_4arch9wavefront6targetE0EEEvT1_
    .private_segment_fixed_size: 0
    .sgpr_count:     0
    .sgpr_spill_count: 0
    .symbol:         _ZN7rocprim17ROCPRIM_400000_NS6detail17trampoline_kernelINS0_14default_configENS1_27scan_by_key_config_selectorIssEEZZNS1_16scan_by_key_implILNS1_25lookback_scan_determinismE0ELb0ES3_N6thrust23THRUST_200600_302600_NS6detail15normal_iteratorINS9_10device_ptrIsEEEESE_SE_sNS9_10multipliesIsEENS9_8equal_toIsEEsEE10hipError_tPvRmT2_T3_T4_T5_mT6_T7_P12ihipStream_tbENKUlT_T0_E_clISt17integral_constantIbLb1EESY_IbLb0EEEEDaSU_SV_EUlSU_E_NS1_11comp_targetILNS1_3genE8ELNS1_11target_archE1030ELNS1_3gpuE2ELNS1_3repE0EEENS1_30default_config_static_selectorELNS0_4arch9wavefront6targetE0EEEvT1_.kd
    .uniform_work_group_size: 1
    .uses_dynamic_stack: false
    .vgpr_count:     0
    .vgpr_spill_count: 0
    .wavefront_size: 32
    .workgroup_processor_mode: 1
  - .args:
      - .offset:         0
        .size:           112
        .value_kind:     by_value
    .group_segment_fixed_size: 0
    .kernarg_segment_align: 8
    .kernarg_segment_size: 112
    .language:       OpenCL C
    .language_version:
      - 2
      - 0
    .max_flat_workgroup_size: 256
    .name:           _ZN7rocprim17ROCPRIM_400000_NS6detail17trampoline_kernelINS0_14default_configENS1_27scan_by_key_config_selectorIssEEZZNS1_16scan_by_key_implILNS1_25lookback_scan_determinismE0ELb0ES3_N6thrust23THRUST_200600_302600_NS6detail15normal_iteratorINS9_10device_ptrIsEEEESE_SE_sNS9_10multipliesIsEENS9_8equal_toIsEEsEE10hipError_tPvRmT2_T3_T4_T5_mT6_T7_P12ihipStream_tbENKUlT_T0_E_clISt17integral_constantIbLb0EESY_IbLb1EEEEDaSU_SV_EUlSU_E_NS1_11comp_targetILNS1_3genE0ELNS1_11target_archE4294967295ELNS1_3gpuE0ELNS1_3repE0EEENS1_30default_config_static_selectorELNS0_4arch9wavefront6targetE0EEEvT1_
    .private_segment_fixed_size: 0
    .sgpr_count:     0
    .sgpr_spill_count: 0
    .symbol:         _ZN7rocprim17ROCPRIM_400000_NS6detail17trampoline_kernelINS0_14default_configENS1_27scan_by_key_config_selectorIssEEZZNS1_16scan_by_key_implILNS1_25lookback_scan_determinismE0ELb0ES3_N6thrust23THRUST_200600_302600_NS6detail15normal_iteratorINS9_10device_ptrIsEEEESE_SE_sNS9_10multipliesIsEENS9_8equal_toIsEEsEE10hipError_tPvRmT2_T3_T4_T5_mT6_T7_P12ihipStream_tbENKUlT_T0_E_clISt17integral_constantIbLb0EESY_IbLb1EEEEDaSU_SV_EUlSU_E_NS1_11comp_targetILNS1_3genE0ELNS1_11target_archE4294967295ELNS1_3gpuE0ELNS1_3repE0EEENS1_30default_config_static_selectorELNS0_4arch9wavefront6targetE0EEEvT1_.kd
    .uniform_work_group_size: 1
    .uses_dynamic_stack: false
    .vgpr_count:     0
    .vgpr_spill_count: 0
    .wavefront_size: 32
    .workgroup_processor_mode: 1
  - .args:
      - .offset:         0
        .size:           112
        .value_kind:     by_value
    .group_segment_fixed_size: 0
    .kernarg_segment_align: 8
    .kernarg_segment_size: 112
    .language:       OpenCL C
    .language_version:
      - 2
      - 0
    .max_flat_workgroup_size: 128
    .name:           _ZN7rocprim17ROCPRIM_400000_NS6detail17trampoline_kernelINS0_14default_configENS1_27scan_by_key_config_selectorIssEEZZNS1_16scan_by_key_implILNS1_25lookback_scan_determinismE0ELb0ES3_N6thrust23THRUST_200600_302600_NS6detail15normal_iteratorINS9_10device_ptrIsEEEESE_SE_sNS9_10multipliesIsEENS9_8equal_toIsEEsEE10hipError_tPvRmT2_T3_T4_T5_mT6_T7_P12ihipStream_tbENKUlT_T0_E_clISt17integral_constantIbLb0EESY_IbLb1EEEEDaSU_SV_EUlSU_E_NS1_11comp_targetILNS1_3genE10ELNS1_11target_archE1201ELNS1_3gpuE5ELNS1_3repE0EEENS1_30default_config_static_selectorELNS0_4arch9wavefront6targetE0EEEvT1_
    .private_segment_fixed_size: 0
    .sgpr_count:     0
    .sgpr_spill_count: 0
    .symbol:         _ZN7rocprim17ROCPRIM_400000_NS6detail17trampoline_kernelINS0_14default_configENS1_27scan_by_key_config_selectorIssEEZZNS1_16scan_by_key_implILNS1_25lookback_scan_determinismE0ELb0ES3_N6thrust23THRUST_200600_302600_NS6detail15normal_iteratorINS9_10device_ptrIsEEEESE_SE_sNS9_10multipliesIsEENS9_8equal_toIsEEsEE10hipError_tPvRmT2_T3_T4_T5_mT6_T7_P12ihipStream_tbENKUlT_T0_E_clISt17integral_constantIbLb0EESY_IbLb1EEEEDaSU_SV_EUlSU_E_NS1_11comp_targetILNS1_3genE10ELNS1_11target_archE1201ELNS1_3gpuE5ELNS1_3repE0EEENS1_30default_config_static_selectorELNS0_4arch9wavefront6targetE0EEEvT1_.kd
    .uniform_work_group_size: 1
    .uses_dynamic_stack: false
    .vgpr_count:     0
    .vgpr_spill_count: 0
    .wavefront_size: 32
    .workgroup_processor_mode: 1
  - .args:
      - .offset:         0
        .size:           112
        .value_kind:     by_value
    .group_segment_fixed_size: 0
    .kernarg_segment_align: 8
    .kernarg_segment_size: 112
    .language:       OpenCL C
    .language_version:
      - 2
      - 0
    .max_flat_workgroup_size: 256
    .name:           _ZN7rocprim17ROCPRIM_400000_NS6detail17trampoline_kernelINS0_14default_configENS1_27scan_by_key_config_selectorIssEEZZNS1_16scan_by_key_implILNS1_25lookback_scan_determinismE0ELb0ES3_N6thrust23THRUST_200600_302600_NS6detail15normal_iteratorINS9_10device_ptrIsEEEESE_SE_sNS9_10multipliesIsEENS9_8equal_toIsEEsEE10hipError_tPvRmT2_T3_T4_T5_mT6_T7_P12ihipStream_tbENKUlT_T0_E_clISt17integral_constantIbLb0EESY_IbLb1EEEEDaSU_SV_EUlSU_E_NS1_11comp_targetILNS1_3genE5ELNS1_11target_archE942ELNS1_3gpuE9ELNS1_3repE0EEENS1_30default_config_static_selectorELNS0_4arch9wavefront6targetE0EEEvT1_
    .private_segment_fixed_size: 0
    .sgpr_count:     0
    .sgpr_spill_count: 0
    .symbol:         _ZN7rocprim17ROCPRIM_400000_NS6detail17trampoline_kernelINS0_14default_configENS1_27scan_by_key_config_selectorIssEEZZNS1_16scan_by_key_implILNS1_25lookback_scan_determinismE0ELb0ES3_N6thrust23THRUST_200600_302600_NS6detail15normal_iteratorINS9_10device_ptrIsEEEESE_SE_sNS9_10multipliesIsEENS9_8equal_toIsEEsEE10hipError_tPvRmT2_T3_T4_T5_mT6_T7_P12ihipStream_tbENKUlT_T0_E_clISt17integral_constantIbLb0EESY_IbLb1EEEEDaSU_SV_EUlSU_E_NS1_11comp_targetILNS1_3genE5ELNS1_11target_archE942ELNS1_3gpuE9ELNS1_3repE0EEENS1_30default_config_static_selectorELNS0_4arch9wavefront6targetE0EEEvT1_.kd
    .uniform_work_group_size: 1
    .uses_dynamic_stack: false
    .vgpr_count:     0
    .vgpr_spill_count: 0
    .wavefront_size: 32
    .workgroup_processor_mode: 1
  - .args:
      - .offset:         0
        .size:           112
        .value_kind:     by_value
    .group_segment_fixed_size: 0
    .kernarg_segment_align: 8
    .kernarg_segment_size: 112
    .language:       OpenCL C
    .language_version:
      - 2
      - 0
    .max_flat_workgroup_size: 256
    .name:           _ZN7rocprim17ROCPRIM_400000_NS6detail17trampoline_kernelINS0_14default_configENS1_27scan_by_key_config_selectorIssEEZZNS1_16scan_by_key_implILNS1_25lookback_scan_determinismE0ELb0ES3_N6thrust23THRUST_200600_302600_NS6detail15normal_iteratorINS9_10device_ptrIsEEEESE_SE_sNS9_10multipliesIsEENS9_8equal_toIsEEsEE10hipError_tPvRmT2_T3_T4_T5_mT6_T7_P12ihipStream_tbENKUlT_T0_E_clISt17integral_constantIbLb0EESY_IbLb1EEEEDaSU_SV_EUlSU_E_NS1_11comp_targetILNS1_3genE4ELNS1_11target_archE910ELNS1_3gpuE8ELNS1_3repE0EEENS1_30default_config_static_selectorELNS0_4arch9wavefront6targetE0EEEvT1_
    .private_segment_fixed_size: 0
    .sgpr_count:     0
    .sgpr_spill_count: 0
    .symbol:         _ZN7rocprim17ROCPRIM_400000_NS6detail17trampoline_kernelINS0_14default_configENS1_27scan_by_key_config_selectorIssEEZZNS1_16scan_by_key_implILNS1_25lookback_scan_determinismE0ELb0ES3_N6thrust23THRUST_200600_302600_NS6detail15normal_iteratorINS9_10device_ptrIsEEEESE_SE_sNS9_10multipliesIsEENS9_8equal_toIsEEsEE10hipError_tPvRmT2_T3_T4_T5_mT6_T7_P12ihipStream_tbENKUlT_T0_E_clISt17integral_constantIbLb0EESY_IbLb1EEEEDaSU_SV_EUlSU_E_NS1_11comp_targetILNS1_3genE4ELNS1_11target_archE910ELNS1_3gpuE8ELNS1_3repE0EEENS1_30default_config_static_selectorELNS0_4arch9wavefront6targetE0EEEvT1_.kd
    .uniform_work_group_size: 1
    .uses_dynamic_stack: false
    .vgpr_count:     0
    .vgpr_spill_count: 0
    .wavefront_size: 32
    .workgroup_processor_mode: 1
  - .args:
      - .offset:         0
        .size:           112
        .value_kind:     by_value
    .group_segment_fixed_size: 0
    .kernarg_segment_align: 8
    .kernarg_segment_size: 112
    .language:       OpenCL C
    .language_version:
      - 2
      - 0
    .max_flat_workgroup_size: 256
    .name:           _ZN7rocprim17ROCPRIM_400000_NS6detail17trampoline_kernelINS0_14default_configENS1_27scan_by_key_config_selectorIssEEZZNS1_16scan_by_key_implILNS1_25lookback_scan_determinismE0ELb0ES3_N6thrust23THRUST_200600_302600_NS6detail15normal_iteratorINS9_10device_ptrIsEEEESE_SE_sNS9_10multipliesIsEENS9_8equal_toIsEEsEE10hipError_tPvRmT2_T3_T4_T5_mT6_T7_P12ihipStream_tbENKUlT_T0_E_clISt17integral_constantIbLb0EESY_IbLb1EEEEDaSU_SV_EUlSU_E_NS1_11comp_targetILNS1_3genE3ELNS1_11target_archE908ELNS1_3gpuE7ELNS1_3repE0EEENS1_30default_config_static_selectorELNS0_4arch9wavefront6targetE0EEEvT1_
    .private_segment_fixed_size: 0
    .sgpr_count:     0
    .sgpr_spill_count: 0
    .symbol:         _ZN7rocprim17ROCPRIM_400000_NS6detail17trampoline_kernelINS0_14default_configENS1_27scan_by_key_config_selectorIssEEZZNS1_16scan_by_key_implILNS1_25lookback_scan_determinismE0ELb0ES3_N6thrust23THRUST_200600_302600_NS6detail15normal_iteratorINS9_10device_ptrIsEEEESE_SE_sNS9_10multipliesIsEENS9_8equal_toIsEEsEE10hipError_tPvRmT2_T3_T4_T5_mT6_T7_P12ihipStream_tbENKUlT_T0_E_clISt17integral_constantIbLb0EESY_IbLb1EEEEDaSU_SV_EUlSU_E_NS1_11comp_targetILNS1_3genE3ELNS1_11target_archE908ELNS1_3gpuE7ELNS1_3repE0EEENS1_30default_config_static_selectorELNS0_4arch9wavefront6targetE0EEEvT1_.kd
    .uniform_work_group_size: 1
    .uses_dynamic_stack: false
    .vgpr_count:     0
    .vgpr_spill_count: 0
    .wavefront_size: 32
    .workgroup_processor_mode: 1
  - .args:
      - .offset:         0
        .size:           112
        .value_kind:     by_value
    .group_segment_fixed_size: 0
    .kernarg_segment_align: 8
    .kernarg_segment_size: 112
    .language:       OpenCL C
    .language_version:
      - 2
      - 0
    .max_flat_workgroup_size: 64
    .name:           _ZN7rocprim17ROCPRIM_400000_NS6detail17trampoline_kernelINS0_14default_configENS1_27scan_by_key_config_selectorIssEEZZNS1_16scan_by_key_implILNS1_25lookback_scan_determinismE0ELb0ES3_N6thrust23THRUST_200600_302600_NS6detail15normal_iteratorINS9_10device_ptrIsEEEESE_SE_sNS9_10multipliesIsEENS9_8equal_toIsEEsEE10hipError_tPvRmT2_T3_T4_T5_mT6_T7_P12ihipStream_tbENKUlT_T0_E_clISt17integral_constantIbLb0EESY_IbLb1EEEEDaSU_SV_EUlSU_E_NS1_11comp_targetILNS1_3genE2ELNS1_11target_archE906ELNS1_3gpuE6ELNS1_3repE0EEENS1_30default_config_static_selectorELNS0_4arch9wavefront6targetE0EEEvT1_
    .private_segment_fixed_size: 0
    .sgpr_count:     0
    .sgpr_spill_count: 0
    .symbol:         _ZN7rocprim17ROCPRIM_400000_NS6detail17trampoline_kernelINS0_14default_configENS1_27scan_by_key_config_selectorIssEEZZNS1_16scan_by_key_implILNS1_25lookback_scan_determinismE0ELb0ES3_N6thrust23THRUST_200600_302600_NS6detail15normal_iteratorINS9_10device_ptrIsEEEESE_SE_sNS9_10multipliesIsEENS9_8equal_toIsEEsEE10hipError_tPvRmT2_T3_T4_T5_mT6_T7_P12ihipStream_tbENKUlT_T0_E_clISt17integral_constantIbLb0EESY_IbLb1EEEEDaSU_SV_EUlSU_E_NS1_11comp_targetILNS1_3genE2ELNS1_11target_archE906ELNS1_3gpuE6ELNS1_3repE0EEENS1_30default_config_static_selectorELNS0_4arch9wavefront6targetE0EEEvT1_.kd
    .uniform_work_group_size: 1
    .uses_dynamic_stack: false
    .vgpr_count:     0
    .vgpr_spill_count: 0
    .wavefront_size: 32
    .workgroup_processor_mode: 1
  - .args:
      - .offset:         0
        .size:           112
        .value_kind:     by_value
    .group_segment_fixed_size: 0
    .kernarg_segment_align: 8
    .kernarg_segment_size: 112
    .language:       OpenCL C
    .language_version:
      - 2
      - 0
    .max_flat_workgroup_size: 256
    .name:           _ZN7rocprim17ROCPRIM_400000_NS6detail17trampoline_kernelINS0_14default_configENS1_27scan_by_key_config_selectorIssEEZZNS1_16scan_by_key_implILNS1_25lookback_scan_determinismE0ELb0ES3_N6thrust23THRUST_200600_302600_NS6detail15normal_iteratorINS9_10device_ptrIsEEEESE_SE_sNS9_10multipliesIsEENS9_8equal_toIsEEsEE10hipError_tPvRmT2_T3_T4_T5_mT6_T7_P12ihipStream_tbENKUlT_T0_E_clISt17integral_constantIbLb0EESY_IbLb1EEEEDaSU_SV_EUlSU_E_NS1_11comp_targetILNS1_3genE10ELNS1_11target_archE1200ELNS1_3gpuE4ELNS1_3repE0EEENS1_30default_config_static_selectorELNS0_4arch9wavefront6targetE0EEEvT1_
    .private_segment_fixed_size: 0
    .sgpr_count:     0
    .sgpr_spill_count: 0
    .symbol:         _ZN7rocprim17ROCPRIM_400000_NS6detail17trampoline_kernelINS0_14default_configENS1_27scan_by_key_config_selectorIssEEZZNS1_16scan_by_key_implILNS1_25lookback_scan_determinismE0ELb0ES3_N6thrust23THRUST_200600_302600_NS6detail15normal_iteratorINS9_10device_ptrIsEEEESE_SE_sNS9_10multipliesIsEENS9_8equal_toIsEEsEE10hipError_tPvRmT2_T3_T4_T5_mT6_T7_P12ihipStream_tbENKUlT_T0_E_clISt17integral_constantIbLb0EESY_IbLb1EEEEDaSU_SV_EUlSU_E_NS1_11comp_targetILNS1_3genE10ELNS1_11target_archE1200ELNS1_3gpuE4ELNS1_3repE0EEENS1_30default_config_static_selectorELNS0_4arch9wavefront6targetE0EEEvT1_.kd
    .uniform_work_group_size: 1
    .uses_dynamic_stack: false
    .vgpr_count:     0
    .vgpr_spill_count: 0
    .wavefront_size: 32
    .workgroup_processor_mode: 1
  - .args:
      - .offset:         0
        .size:           112
        .value_kind:     by_value
    .group_segment_fixed_size: 0
    .kernarg_segment_align: 8
    .kernarg_segment_size: 112
    .language:       OpenCL C
    .language_version:
      - 2
      - 0
    .max_flat_workgroup_size: 256
    .name:           _ZN7rocprim17ROCPRIM_400000_NS6detail17trampoline_kernelINS0_14default_configENS1_27scan_by_key_config_selectorIssEEZZNS1_16scan_by_key_implILNS1_25lookback_scan_determinismE0ELb0ES3_N6thrust23THRUST_200600_302600_NS6detail15normal_iteratorINS9_10device_ptrIsEEEESE_SE_sNS9_10multipliesIsEENS9_8equal_toIsEEsEE10hipError_tPvRmT2_T3_T4_T5_mT6_T7_P12ihipStream_tbENKUlT_T0_E_clISt17integral_constantIbLb0EESY_IbLb1EEEEDaSU_SV_EUlSU_E_NS1_11comp_targetILNS1_3genE9ELNS1_11target_archE1100ELNS1_3gpuE3ELNS1_3repE0EEENS1_30default_config_static_selectorELNS0_4arch9wavefront6targetE0EEEvT1_
    .private_segment_fixed_size: 0
    .sgpr_count:     0
    .sgpr_spill_count: 0
    .symbol:         _ZN7rocprim17ROCPRIM_400000_NS6detail17trampoline_kernelINS0_14default_configENS1_27scan_by_key_config_selectorIssEEZZNS1_16scan_by_key_implILNS1_25lookback_scan_determinismE0ELb0ES3_N6thrust23THRUST_200600_302600_NS6detail15normal_iteratorINS9_10device_ptrIsEEEESE_SE_sNS9_10multipliesIsEENS9_8equal_toIsEEsEE10hipError_tPvRmT2_T3_T4_T5_mT6_T7_P12ihipStream_tbENKUlT_T0_E_clISt17integral_constantIbLb0EESY_IbLb1EEEEDaSU_SV_EUlSU_E_NS1_11comp_targetILNS1_3genE9ELNS1_11target_archE1100ELNS1_3gpuE3ELNS1_3repE0EEENS1_30default_config_static_selectorELNS0_4arch9wavefront6targetE0EEEvT1_.kd
    .uniform_work_group_size: 1
    .uses_dynamic_stack: false
    .vgpr_count:     0
    .vgpr_spill_count: 0
    .wavefront_size: 32
    .workgroup_processor_mode: 1
  - .args:
      - .offset:         0
        .size:           112
        .value_kind:     by_value
    .group_segment_fixed_size: 1536
    .kernarg_segment_align: 8
    .kernarg_segment_size: 112
    .language:       OpenCL C
    .language_version:
      - 2
      - 0
    .max_flat_workgroup_size: 64
    .name:           _ZN7rocprim17ROCPRIM_400000_NS6detail17trampoline_kernelINS0_14default_configENS1_27scan_by_key_config_selectorIssEEZZNS1_16scan_by_key_implILNS1_25lookback_scan_determinismE0ELb0ES3_N6thrust23THRUST_200600_302600_NS6detail15normal_iteratorINS9_10device_ptrIsEEEESE_SE_sNS9_10multipliesIsEENS9_8equal_toIsEEsEE10hipError_tPvRmT2_T3_T4_T5_mT6_T7_P12ihipStream_tbENKUlT_T0_E_clISt17integral_constantIbLb0EESY_IbLb1EEEEDaSU_SV_EUlSU_E_NS1_11comp_targetILNS1_3genE8ELNS1_11target_archE1030ELNS1_3gpuE2ELNS1_3repE0EEENS1_30default_config_static_selectorELNS0_4arch9wavefront6targetE0EEEvT1_
    .private_segment_fixed_size: 0
    .sgpr_count:     43
    .sgpr_spill_count: 0
    .symbol:         _ZN7rocprim17ROCPRIM_400000_NS6detail17trampoline_kernelINS0_14default_configENS1_27scan_by_key_config_selectorIssEEZZNS1_16scan_by_key_implILNS1_25lookback_scan_determinismE0ELb0ES3_N6thrust23THRUST_200600_302600_NS6detail15normal_iteratorINS9_10device_ptrIsEEEESE_SE_sNS9_10multipliesIsEENS9_8equal_toIsEEsEE10hipError_tPvRmT2_T3_T4_T5_mT6_T7_P12ihipStream_tbENKUlT_T0_E_clISt17integral_constantIbLb0EESY_IbLb1EEEEDaSU_SV_EUlSU_E_NS1_11comp_targetILNS1_3genE8ELNS1_11target_archE1030ELNS1_3gpuE2ELNS1_3repE0EEENS1_30default_config_static_selectorELNS0_4arch9wavefront6targetE0EEEvT1_.kd
    .uniform_work_group_size: 1
    .uses_dynamic_stack: false
    .vgpr_count:     42
    .vgpr_spill_count: 0
    .wavefront_size: 32
    .workgroup_processor_mode: 1
  - .args:
      - .offset:         0
        .size:           112
        .value_kind:     by_value
    .group_segment_fixed_size: 0
    .kernarg_segment_align: 8
    .kernarg_segment_size: 112
    .language:       OpenCL C
    .language_version:
      - 2
      - 0
    .max_flat_workgroup_size: 256
    .name:           _ZN7rocprim17ROCPRIM_400000_NS6detail17trampoline_kernelINS0_14default_configENS1_27scan_by_key_config_selectorIssEEZZNS1_16scan_by_key_implILNS1_25lookback_scan_determinismE0ELb0ES3_N6thrust23THRUST_200600_302600_NS6detail15normal_iteratorINS9_10device_ptrIsEEEESE_SE_sNS9_4plusIvEENS9_8equal_toIsEEsEE10hipError_tPvRmT2_T3_T4_T5_mT6_T7_P12ihipStream_tbENKUlT_T0_E_clISt17integral_constantIbLb0EESZ_EEDaSU_SV_EUlSU_E_NS1_11comp_targetILNS1_3genE0ELNS1_11target_archE4294967295ELNS1_3gpuE0ELNS1_3repE0EEENS1_30default_config_static_selectorELNS0_4arch9wavefront6targetE0EEEvT1_
    .private_segment_fixed_size: 0
    .sgpr_count:     0
    .sgpr_spill_count: 0
    .symbol:         _ZN7rocprim17ROCPRIM_400000_NS6detail17trampoline_kernelINS0_14default_configENS1_27scan_by_key_config_selectorIssEEZZNS1_16scan_by_key_implILNS1_25lookback_scan_determinismE0ELb0ES3_N6thrust23THRUST_200600_302600_NS6detail15normal_iteratorINS9_10device_ptrIsEEEESE_SE_sNS9_4plusIvEENS9_8equal_toIsEEsEE10hipError_tPvRmT2_T3_T4_T5_mT6_T7_P12ihipStream_tbENKUlT_T0_E_clISt17integral_constantIbLb0EESZ_EEDaSU_SV_EUlSU_E_NS1_11comp_targetILNS1_3genE0ELNS1_11target_archE4294967295ELNS1_3gpuE0ELNS1_3repE0EEENS1_30default_config_static_selectorELNS0_4arch9wavefront6targetE0EEEvT1_.kd
    .uniform_work_group_size: 1
    .uses_dynamic_stack: false
    .vgpr_count:     0
    .vgpr_spill_count: 0
    .wavefront_size: 32
    .workgroup_processor_mode: 1
  - .args:
      - .offset:         0
        .size:           112
        .value_kind:     by_value
    .group_segment_fixed_size: 0
    .kernarg_segment_align: 8
    .kernarg_segment_size: 112
    .language:       OpenCL C
    .language_version:
      - 2
      - 0
    .max_flat_workgroup_size: 128
    .name:           _ZN7rocprim17ROCPRIM_400000_NS6detail17trampoline_kernelINS0_14default_configENS1_27scan_by_key_config_selectorIssEEZZNS1_16scan_by_key_implILNS1_25lookback_scan_determinismE0ELb0ES3_N6thrust23THRUST_200600_302600_NS6detail15normal_iteratorINS9_10device_ptrIsEEEESE_SE_sNS9_4plusIvEENS9_8equal_toIsEEsEE10hipError_tPvRmT2_T3_T4_T5_mT6_T7_P12ihipStream_tbENKUlT_T0_E_clISt17integral_constantIbLb0EESZ_EEDaSU_SV_EUlSU_E_NS1_11comp_targetILNS1_3genE10ELNS1_11target_archE1201ELNS1_3gpuE5ELNS1_3repE0EEENS1_30default_config_static_selectorELNS0_4arch9wavefront6targetE0EEEvT1_
    .private_segment_fixed_size: 0
    .sgpr_count:     0
    .sgpr_spill_count: 0
    .symbol:         _ZN7rocprim17ROCPRIM_400000_NS6detail17trampoline_kernelINS0_14default_configENS1_27scan_by_key_config_selectorIssEEZZNS1_16scan_by_key_implILNS1_25lookback_scan_determinismE0ELb0ES3_N6thrust23THRUST_200600_302600_NS6detail15normal_iteratorINS9_10device_ptrIsEEEESE_SE_sNS9_4plusIvEENS9_8equal_toIsEEsEE10hipError_tPvRmT2_T3_T4_T5_mT6_T7_P12ihipStream_tbENKUlT_T0_E_clISt17integral_constantIbLb0EESZ_EEDaSU_SV_EUlSU_E_NS1_11comp_targetILNS1_3genE10ELNS1_11target_archE1201ELNS1_3gpuE5ELNS1_3repE0EEENS1_30default_config_static_selectorELNS0_4arch9wavefront6targetE0EEEvT1_.kd
    .uniform_work_group_size: 1
    .uses_dynamic_stack: false
    .vgpr_count:     0
    .vgpr_spill_count: 0
    .wavefront_size: 32
    .workgroup_processor_mode: 1
  - .args:
      - .offset:         0
        .size:           112
        .value_kind:     by_value
    .group_segment_fixed_size: 0
    .kernarg_segment_align: 8
    .kernarg_segment_size: 112
    .language:       OpenCL C
    .language_version:
      - 2
      - 0
    .max_flat_workgroup_size: 256
    .name:           _ZN7rocprim17ROCPRIM_400000_NS6detail17trampoline_kernelINS0_14default_configENS1_27scan_by_key_config_selectorIssEEZZNS1_16scan_by_key_implILNS1_25lookback_scan_determinismE0ELb0ES3_N6thrust23THRUST_200600_302600_NS6detail15normal_iteratorINS9_10device_ptrIsEEEESE_SE_sNS9_4plusIvEENS9_8equal_toIsEEsEE10hipError_tPvRmT2_T3_T4_T5_mT6_T7_P12ihipStream_tbENKUlT_T0_E_clISt17integral_constantIbLb0EESZ_EEDaSU_SV_EUlSU_E_NS1_11comp_targetILNS1_3genE5ELNS1_11target_archE942ELNS1_3gpuE9ELNS1_3repE0EEENS1_30default_config_static_selectorELNS0_4arch9wavefront6targetE0EEEvT1_
    .private_segment_fixed_size: 0
    .sgpr_count:     0
    .sgpr_spill_count: 0
    .symbol:         _ZN7rocprim17ROCPRIM_400000_NS6detail17trampoline_kernelINS0_14default_configENS1_27scan_by_key_config_selectorIssEEZZNS1_16scan_by_key_implILNS1_25lookback_scan_determinismE0ELb0ES3_N6thrust23THRUST_200600_302600_NS6detail15normal_iteratorINS9_10device_ptrIsEEEESE_SE_sNS9_4plusIvEENS9_8equal_toIsEEsEE10hipError_tPvRmT2_T3_T4_T5_mT6_T7_P12ihipStream_tbENKUlT_T0_E_clISt17integral_constantIbLb0EESZ_EEDaSU_SV_EUlSU_E_NS1_11comp_targetILNS1_3genE5ELNS1_11target_archE942ELNS1_3gpuE9ELNS1_3repE0EEENS1_30default_config_static_selectorELNS0_4arch9wavefront6targetE0EEEvT1_.kd
    .uniform_work_group_size: 1
    .uses_dynamic_stack: false
    .vgpr_count:     0
    .vgpr_spill_count: 0
    .wavefront_size: 32
    .workgroup_processor_mode: 1
  - .args:
      - .offset:         0
        .size:           112
        .value_kind:     by_value
    .group_segment_fixed_size: 0
    .kernarg_segment_align: 8
    .kernarg_segment_size: 112
    .language:       OpenCL C
    .language_version:
      - 2
      - 0
    .max_flat_workgroup_size: 256
    .name:           _ZN7rocprim17ROCPRIM_400000_NS6detail17trampoline_kernelINS0_14default_configENS1_27scan_by_key_config_selectorIssEEZZNS1_16scan_by_key_implILNS1_25lookback_scan_determinismE0ELb0ES3_N6thrust23THRUST_200600_302600_NS6detail15normal_iteratorINS9_10device_ptrIsEEEESE_SE_sNS9_4plusIvEENS9_8equal_toIsEEsEE10hipError_tPvRmT2_T3_T4_T5_mT6_T7_P12ihipStream_tbENKUlT_T0_E_clISt17integral_constantIbLb0EESZ_EEDaSU_SV_EUlSU_E_NS1_11comp_targetILNS1_3genE4ELNS1_11target_archE910ELNS1_3gpuE8ELNS1_3repE0EEENS1_30default_config_static_selectorELNS0_4arch9wavefront6targetE0EEEvT1_
    .private_segment_fixed_size: 0
    .sgpr_count:     0
    .sgpr_spill_count: 0
    .symbol:         _ZN7rocprim17ROCPRIM_400000_NS6detail17trampoline_kernelINS0_14default_configENS1_27scan_by_key_config_selectorIssEEZZNS1_16scan_by_key_implILNS1_25lookback_scan_determinismE0ELb0ES3_N6thrust23THRUST_200600_302600_NS6detail15normal_iteratorINS9_10device_ptrIsEEEESE_SE_sNS9_4plusIvEENS9_8equal_toIsEEsEE10hipError_tPvRmT2_T3_T4_T5_mT6_T7_P12ihipStream_tbENKUlT_T0_E_clISt17integral_constantIbLb0EESZ_EEDaSU_SV_EUlSU_E_NS1_11comp_targetILNS1_3genE4ELNS1_11target_archE910ELNS1_3gpuE8ELNS1_3repE0EEENS1_30default_config_static_selectorELNS0_4arch9wavefront6targetE0EEEvT1_.kd
    .uniform_work_group_size: 1
    .uses_dynamic_stack: false
    .vgpr_count:     0
    .vgpr_spill_count: 0
    .wavefront_size: 32
    .workgroup_processor_mode: 1
  - .args:
      - .offset:         0
        .size:           112
        .value_kind:     by_value
    .group_segment_fixed_size: 0
    .kernarg_segment_align: 8
    .kernarg_segment_size: 112
    .language:       OpenCL C
    .language_version:
      - 2
      - 0
    .max_flat_workgroup_size: 256
    .name:           _ZN7rocprim17ROCPRIM_400000_NS6detail17trampoline_kernelINS0_14default_configENS1_27scan_by_key_config_selectorIssEEZZNS1_16scan_by_key_implILNS1_25lookback_scan_determinismE0ELb0ES3_N6thrust23THRUST_200600_302600_NS6detail15normal_iteratorINS9_10device_ptrIsEEEESE_SE_sNS9_4plusIvEENS9_8equal_toIsEEsEE10hipError_tPvRmT2_T3_T4_T5_mT6_T7_P12ihipStream_tbENKUlT_T0_E_clISt17integral_constantIbLb0EESZ_EEDaSU_SV_EUlSU_E_NS1_11comp_targetILNS1_3genE3ELNS1_11target_archE908ELNS1_3gpuE7ELNS1_3repE0EEENS1_30default_config_static_selectorELNS0_4arch9wavefront6targetE0EEEvT1_
    .private_segment_fixed_size: 0
    .sgpr_count:     0
    .sgpr_spill_count: 0
    .symbol:         _ZN7rocprim17ROCPRIM_400000_NS6detail17trampoline_kernelINS0_14default_configENS1_27scan_by_key_config_selectorIssEEZZNS1_16scan_by_key_implILNS1_25lookback_scan_determinismE0ELb0ES3_N6thrust23THRUST_200600_302600_NS6detail15normal_iteratorINS9_10device_ptrIsEEEESE_SE_sNS9_4plusIvEENS9_8equal_toIsEEsEE10hipError_tPvRmT2_T3_T4_T5_mT6_T7_P12ihipStream_tbENKUlT_T0_E_clISt17integral_constantIbLb0EESZ_EEDaSU_SV_EUlSU_E_NS1_11comp_targetILNS1_3genE3ELNS1_11target_archE908ELNS1_3gpuE7ELNS1_3repE0EEENS1_30default_config_static_selectorELNS0_4arch9wavefront6targetE0EEEvT1_.kd
    .uniform_work_group_size: 1
    .uses_dynamic_stack: false
    .vgpr_count:     0
    .vgpr_spill_count: 0
    .wavefront_size: 32
    .workgroup_processor_mode: 1
  - .args:
      - .offset:         0
        .size:           112
        .value_kind:     by_value
    .group_segment_fixed_size: 0
    .kernarg_segment_align: 8
    .kernarg_segment_size: 112
    .language:       OpenCL C
    .language_version:
      - 2
      - 0
    .max_flat_workgroup_size: 64
    .name:           _ZN7rocprim17ROCPRIM_400000_NS6detail17trampoline_kernelINS0_14default_configENS1_27scan_by_key_config_selectorIssEEZZNS1_16scan_by_key_implILNS1_25lookback_scan_determinismE0ELb0ES3_N6thrust23THRUST_200600_302600_NS6detail15normal_iteratorINS9_10device_ptrIsEEEESE_SE_sNS9_4plusIvEENS9_8equal_toIsEEsEE10hipError_tPvRmT2_T3_T4_T5_mT6_T7_P12ihipStream_tbENKUlT_T0_E_clISt17integral_constantIbLb0EESZ_EEDaSU_SV_EUlSU_E_NS1_11comp_targetILNS1_3genE2ELNS1_11target_archE906ELNS1_3gpuE6ELNS1_3repE0EEENS1_30default_config_static_selectorELNS0_4arch9wavefront6targetE0EEEvT1_
    .private_segment_fixed_size: 0
    .sgpr_count:     0
    .sgpr_spill_count: 0
    .symbol:         _ZN7rocprim17ROCPRIM_400000_NS6detail17trampoline_kernelINS0_14default_configENS1_27scan_by_key_config_selectorIssEEZZNS1_16scan_by_key_implILNS1_25lookback_scan_determinismE0ELb0ES3_N6thrust23THRUST_200600_302600_NS6detail15normal_iteratorINS9_10device_ptrIsEEEESE_SE_sNS9_4plusIvEENS9_8equal_toIsEEsEE10hipError_tPvRmT2_T3_T4_T5_mT6_T7_P12ihipStream_tbENKUlT_T0_E_clISt17integral_constantIbLb0EESZ_EEDaSU_SV_EUlSU_E_NS1_11comp_targetILNS1_3genE2ELNS1_11target_archE906ELNS1_3gpuE6ELNS1_3repE0EEENS1_30default_config_static_selectorELNS0_4arch9wavefront6targetE0EEEvT1_.kd
    .uniform_work_group_size: 1
    .uses_dynamic_stack: false
    .vgpr_count:     0
    .vgpr_spill_count: 0
    .wavefront_size: 32
    .workgroup_processor_mode: 1
  - .args:
      - .offset:         0
        .size:           112
        .value_kind:     by_value
    .group_segment_fixed_size: 0
    .kernarg_segment_align: 8
    .kernarg_segment_size: 112
    .language:       OpenCL C
    .language_version:
      - 2
      - 0
    .max_flat_workgroup_size: 256
    .name:           _ZN7rocprim17ROCPRIM_400000_NS6detail17trampoline_kernelINS0_14default_configENS1_27scan_by_key_config_selectorIssEEZZNS1_16scan_by_key_implILNS1_25lookback_scan_determinismE0ELb0ES3_N6thrust23THRUST_200600_302600_NS6detail15normal_iteratorINS9_10device_ptrIsEEEESE_SE_sNS9_4plusIvEENS9_8equal_toIsEEsEE10hipError_tPvRmT2_T3_T4_T5_mT6_T7_P12ihipStream_tbENKUlT_T0_E_clISt17integral_constantIbLb0EESZ_EEDaSU_SV_EUlSU_E_NS1_11comp_targetILNS1_3genE10ELNS1_11target_archE1200ELNS1_3gpuE4ELNS1_3repE0EEENS1_30default_config_static_selectorELNS0_4arch9wavefront6targetE0EEEvT1_
    .private_segment_fixed_size: 0
    .sgpr_count:     0
    .sgpr_spill_count: 0
    .symbol:         _ZN7rocprim17ROCPRIM_400000_NS6detail17trampoline_kernelINS0_14default_configENS1_27scan_by_key_config_selectorIssEEZZNS1_16scan_by_key_implILNS1_25lookback_scan_determinismE0ELb0ES3_N6thrust23THRUST_200600_302600_NS6detail15normal_iteratorINS9_10device_ptrIsEEEESE_SE_sNS9_4plusIvEENS9_8equal_toIsEEsEE10hipError_tPvRmT2_T3_T4_T5_mT6_T7_P12ihipStream_tbENKUlT_T0_E_clISt17integral_constantIbLb0EESZ_EEDaSU_SV_EUlSU_E_NS1_11comp_targetILNS1_3genE10ELNS1_11target_archE1200ELNS1_3gpuE4ELNS1_3repE0EEENS1_30default_config_static_selectorELNS0_4arch9wavefront6targetE0EEEvT1_.kd
    .uniform_work_group_size: 1
    .uses_dynamic_stack: false
    .vgpr_count:     0
    .vgpr_spill_count: 0
    .wavefront_size: 32
    .workgroup_processor_mode: 1
  - .args:
      - .offset:         0
        .size:           112
        .value_kind:     by_value
    .group_segment_fixed_size: 0
    .kernarg_segment_align: 8
    .kernarg_segment_size: 112
    .language:       OpenCL C
    .language_version:
      - 2
      - 0
    .max_flat_workgroup_size: 256
    .name:           _ZN7rocprim17ROCPRIM_400000_NS6detail17trampoline_kernelINS0_14default_configENS1_27scan_by_key_config_selectorIssEEZZNS1_16scan_by_key_implILNS1_25lookback_scan_determinismE0ELb0ES3_N6thrust23THRUST_200600_302600_NS6detail15normal_iteratorINS9_10device_ptrIsEEEESE_SE_sNS9_4plusIvEENS9_8equal_toIsEEsEE10hipError_tPvRmT2_T3_T4_T5_mT6_T7_P12ihipStream_tbENKUlT_T0_E_clISt17integral_constantIbLb0EESZ_EEDaSU_SV_EUlSU_E_NS1_11comp_targetILNS1_3genE9ELNS1_11target_archE1100ELNS1_3gpuE3ELNS1_3repE0EEENS1_30default_config_static_selectorELNS0_4arch9wavefront6targetE0EEEvT1_
    .private_segment_fixed_size: 0
    .sgpr_count:     0
    .sgpr_spill_count: 0
    .symbol:         _ZN7rocprim17ROCPRIM_400000_NS6detail17trampoline_kernelINS0_14default_configENS1_27scan_by_key_config_selectorIssEEZZNS1_16scan_by_key_implILNS1_25lookback_scan_determinismE0ELb0ES3_N6thrust23THRUST_200600_302600_NS6detail15normal_iteratorINS9_10device_ptrIsEEEESE_SE_sNS9_4plusIvEENS9_8equal_toIsEEsEE10hipError_tPvRmT2_T3_T4_T5_mT6_T7_P12ihipStream_tbENKUlT_T0_E_clISt17integral_constantIbLb0EESZ_EEDaSU_SV_EUlSU_E_NS1_11comp_targetILNS1_3genE9ELNS1_11target_archE1100ELNS1_3gpuE3ELNS1_3repE0EEENS1_30default_config_static_selectorELNS0_4arch9wavefront6targetE0EEEvT1_.kd
    .uniform_work_group_size: 1
    .uses_dynamic_stack: false
    .vgpr_count:     0
    .vgpr_spill_count: 0
    .wavefront_size: 32
    .workgroup_processor_mode: 1
  - .args:
      - .offset:         0
        .size:           112
        .value_kind:     by_value
    .group_segment_fixed_size: 1536
    .kernarg_segment_align: 8
    .kernarg_segment_size: 112
    .language:       OpenCL C
    .language_version:
      - 2
      - 0
    .max_flat_workgroup_size: 64
    .name:           _ZN7rocprim17ROCPRIM_400000_NS6detail17trampoline_kernelINS0_14default_configENS1_27scan_by_key_config_selectorIssEEZZNS1_16scan_by_key_implILNS1_25lookback_scan_determinismE0ELb0ES3_N6thrust23THRUST_200600_302600_NS6detail15normal_iteratorINS9_10device_ptrIsEEEESE_SE_sNS9_4plusIvEENS9_8equal_toIsEEsEE10hipError_tPvRmT2_T3_T4_T5_mT6_T7_P12ihipStream_tbENKUlT_T0_E_clISt17integral_constantIbLb0EESZ_EEDaSU_SV_EUlSU_E_NS1_11comp_targetILNS1_3genE8ELNS1_11target_archE1030ELNS1_3gpuE2ELNS1_3repE0EEENS1_30default_config_static_selectorELNS0_4arch9wavefront6targetE0EEEvT1_
    .private_segment_fixed_size: 0
    .sgpr_count:     41
    .sgpr_spill_count: 0
    .symbol:         _ZN7rocprim17ROCPRIM_400000_NS6detail17trampoline_kernelINS0_14default_configENS1_27scan_by_key_config_selectorIssEEZZNS1_16scan_by_key_implILNS1_25lookback_scan_determinismE0ELb0ES3_N6thrust23THRUST_200600_302600_NS6detail15normal_iteratorINS9_10device_ptrIsEEEESE_SE_sNS9_4plusIvEENS9_8equal_toIsEEsEE10hipError_tPvRmT2_T3_T4_T5_mT6_T7_P12ihipStream_tbENKUlT_T0_E_clISt17integral_constantIbLb0EESZ_EEDaSU_SV_EUlSU_E_NS1_11comp_targetILNS1_3genE8ELNS1_11target_archE1030ELNS1_3gpuE2ELNS1_3repE0EEENS1_30default_config_static_selectorELNS0_4arch9wavefront6targetE0EEEvT1_.kd
    .uniform_work_group_size: 1
    .uses_dynamic_stack: false
    .vgpr_count:     42
    .vgpr_spill_count: 0
    .wavefront_size: 32
    .workgroup_processor_mode: 1
  - .args:
      - .offset:         0
        .size:           112
        .value_kind:     by_value
    .group_segment_fixed_size: 0
    .kernarg_segment_align: 8
    .kernarg_segment_size: 112
    .language:       OpenCL C
    .language_version:
      - 2
      - 0
    .max_flat_workgroup_size: 256
    .name:           _ZN7rocprim17ROCPRIM_400000_NS6detail17trampoline_kernelINS0_14default_configENS1_27scan_by_key_config_selectorIssEEZZNS1_16scan_by_key_implILNS1_25lookback_scan_determinismE0ELb0ES3_N6thrust23THRUST_200600_302600_NS6detail15normal_iteratorINS9_10device_ptrIsEEEESE_SE_sNS9_4plusIvEENS9_8equal_toIsEEsEE10hipError_tPvRmT2_T3_T4_T5_mT6_T7_P12ihipStream_tbENKUlT_T0_E_clISt17integral_constantIbLb1EESZ_EEDaSU_SV_EUlSU_E_NS1_11comp_targetILNS1_3genE0ELNS1_11target_archE4294967295ELNS1_3gpuE0ELNS1_3repE0EEENS1_30default_config_static_selectorELNS0_4arch9wavefront6targetE0EEEvT1_
    .private_segment_fixed_size: 0
    .sgpr_count:     0
    .sgpr_spill_count: 0
    .symbol:         _ZN7rocprim17ROCPRIM_400000_NS6detail17trampoline_kernelINS0_14default_configENS1_27scan_by_key_config_selectorIssEEZZNS1_16scan_by_key_implILNS1_25lookback_scan_determinismE0ELb0ES3_N6thrust23THRUST_200600_302600_NS6detail15normal_iteratorINS9_10device_ptrIsEEEESE_SE_sNS9_4plusIvEENS9_8equal_toIsEEsEE10hipError_tPvRmT2_T3_T4_T5_mT6_T7_P12ihipStream_tbENKUlT_T0_E_clISt17integral_constantIbLb1EESZ_EEDaSU_SV_EUlSU_E_NS1_11comp_targetILNS1_3genE0ELNS1_11target_archE4294967295ELNS1_3gpuE0ELNS1_3repE0EEENS1_30default_config_static_selectorELNS0_4arch9wavefront6targetE0EEEvT1_.kd
    .uniform_work_group_size: 1
    .uses_dynamic_stack: false
    .vgpr_count:     0
    .vgpr_spill_count: 0
    .wavefront_size: 32
    .workgroup_processor_mode: 1
  - .args:
      - .offset:         0
        .size:           112
        .value_kind:     by_value
    .group_segment_fixed_size: 0
    .kernarg_segment_align: 8
    .kernarg_segment_size: 112
    .language:       OpenCL C
    .language_version:
      - 2
      - 0
    .max_flat_workgroup_size: 128
    .name:           _ZN7rocprim17ROCPRIM_400000_NS6detail17trampoline_kernelINS0_14default_configENS1_27scan_by_key_config_selectorIssEEZZNS1_16scan_by_key_implILNS1_25lookback_scan_determinismE0ELb0ES3_N6thrust23THRUST_200600_302600_NS6detail15normal_iteratorINS9_10device_ptrIsEEEESE_SE_sNS9_4plusIvEENS9_8equal_toIsEEsEE10hipError_tPvRmT2_T3_T4_T5_mT6_T7_P12ihipStream_tbENKUlT_T0_E_clISt17integral_constantIbLb1EESZ_EEDaSU_SV_EUlSU_E_NS1_11comp_targetILNS1_3genE10ELNS1_11target_archE1201ELNS1_3gpuE5ELNS1_3repE0EEENS1_30default_config_static_selectorELNS0_4arch9wavefront6targetE0EEEvT1_
    .private_segment_fixed_size: 0
    .sgpr_count:     0
    .sgpr_spill_count: 0
    .symbol:         _ZN7rocprim17ROCPRIM_400000_NS6detail17trampoline_kernelINS0_14default_configENS1_27scan_by_key_config_selectorIssEEZZNS1_16scan_by_key_implILNS1_25lookback_scan_determinismE0ELb0ES3_N6thrust23THRUST_200600_302600_NS6detail15normal_iteratorINS9_10device_ptrIsEEEESE_SE_sNS9_4plusIvEENS9_8equal_toIsEEsEE10hipError_tPvRmT2_T3_T4_T5_mT6_T7_P12ihipStream_tbENKUlT_T0_E_clISt17integral_constantIbLb1EESZ_EEDaSU_SV_EUlSU_E_NS1_11comp_targetILNS1_3genE10ELNS1_11target_archE1201ELNS1_3gpuE5ELNS1_3repE0EEENS1_30default_config_static_selectorELNS0_4arch9wavefront6targetE0EEEvT1_.kd
    .uniform_work_group_size: 1
    .uses_dynamic_stack: false
    .vgpr_count:     0
    .vgpr_spill_count: 0
    .wavefront_size: 32
    .workgroup_processor_mode: 1
  - .args:
      - .offset:         0
        .size:           112
        .value_kind:     by_value
    .group_segment_fixed_size: 0
    .kernarg_segment_align: 8
    .kernarg_segment_size: 112
    .language:       OpenCL C
    .language_version:
      - 2
      - 0
    .max_flat_workgroup_size: 256
    .name:           _ZN7rocprim17ROCPRIM_400000_NS6detail17trampoline_kernelINS0_14default_configENS1_27scan_by_key_config_selectorIssEEZZNS1_16scan_by_key_implILNS1_25lookback_scan_determinismE0ELb0ES3_N6thrust23THRUST_200600_302600_NS6detail15normal_iteratorINS9_10device_ptrIsEEEESE_SE_sNS9_4plusIvEENS9_8equal_toIsEEsEE10hipError_tPvRmT2_T3_T4_T5_mT6_T7_P12ihipStream_tbENKUlT_T0_E_clISt17integral_constantIbLb1EESZ_EEDaSU_SV_EUlSU_E_NS1_11comp_targetILNS1_3genE5ELNS1_11target_archE942ELNS1_3gpuE9ELNS1_3repE0EEENS1_30default_config_static_selectorELNS0_4arch9wavefront6targetE0EEEvT1_
    .private_segment_fixed_size: 0
    .sgpr_count:     0
    .sgpr_spill_count: 0
    .symbol:         _ZN7rocprim17ROCPRIM_400000_NS6detail17trampoline_kernelINS0_14default_configENS1_27scan_by_key_config_selectorIssEEZZNS1_16scan_by_key_implILNS1_25lookback_scan_determinismE0ELb0ES3_N6thrust23THRUST_200600_302600_NS6detail15normal_iteratorINS9_10device_ptrIsEEEESE_SE_sNS9_4plusIvEENS9_8equal_toIsEEsEE10hipError_tPvRmT2_T3_T4_T5_mT6_T7_P12ihipStream_tbENKUlT_T0_E_clISt17integral_constantIbLb1EESZ_EEDaSU_SV_EUlSU_E_NS1_11comp_targetILNS1_3genE5ELNS1_11target_archE942ELNS1_3gpuE9ELNS1_3repE0EEENS1_30default_config_static_selectorELNS0_4arch9wavefront6targetE0EEEvT1_.kd
    .uniform_work_group_size: 1
    .uses_dynamic_stack: false
    .vgpr_count:     0
    .vgpr_spill_count: 0
    .wavefront_size: 32
    .workgroup_processor_mode: 1
  - .args:
      - .offset:         0
        .size:           112
        .value_kind:     by_value
    .group_segment_fixed_size: 0
    .kernarg_segment_align: 8
    .kernarg_segment_size: 112
    .language:       OpenCL C
    .language_version:
      - 2
      - 0
    .max_flat_workgroup_size: 256
    .name:           _ZN7rocprim17ROCPRIM_400000_NS6detail17trampoline_kernelINS0_14default_configENS1_27scan_by_key_config_selectorIssEEZZNS1_16scan_by_key_implILNS1_25lookback_scan_determinismE0ELb0ES3_N6thrust23THRUST_200600_302600_NS6detail15normal_iteratorINS9_10device_ptrIsEEEESE_SE_sNS9_4plusIvEENS9_8equal_toIsEEsEE10hipError_tPvRmT2_T3_T4_T5_mT6_T7_P12ihipStream_tbENKUlT_T0_E_clISt17integral_constantIbLb1EESZ_EEDaSU_SV_EUlSU_E_NS1_11comp_targetILNS1_3genE4ELNS1_11target_archE910ELNS1_3gpuE8ELNS1_3repE0EEENS1_30default_config_static_selectorELNS0_4arch9wavefront6targetE0EEEvT1_
    .private_segment_fixed_size: 0
    .sgpr_count:     0
    .sgpr_spill_count: 0
    .symbol:         _ZN7rocprim17ROCPRIM_400000_NS6detail17trampoline_kernelINS0_14default_configENS1_27scan_by_key_config_selectorIssEEZZNS1_16scan_by_key_implILNS1_25lookback_scan_determinismE0ELb0ES3_N6thrust23THRUST_200600_302600_NS6detail15normal_iteratorINS9_10device_ptrIsEEEESE_SE_sNS9_4plusIvEENS9_8equal_toIsEEsEE10hipError_tPvRmT2_T3_T4_T5_mT6_T7_P12ihipStream_tbENKUlT_T0_E_clISt17integral_constantIbLb1EESZ_EEDaSU_SV_EUlSU_E_NS1_11comp_targetILNS1_3genE4ELNS1_11target_archE910ELNS1_3gpuE8ELNS1_3repE0EEENS1_30default_config_static_selectorELNS0_4arch9wavefront6targetE0EEEvT1_.kd
    .uniform_work_group_size: 1
    .uses_dynamic_stack: false
    .vgpr_count:     0
    .vgpr_spill_count: 0
    .wavefront_size: 32
    .workgroup_processor_mode: 1
  - .args:
      - .offset:         0
        .size:           112
        .value_kind:     by_value
    .group_segment_fixed_size: 0
    .kernarg_segment_align: 8
    .kernarg_segment_size: 112
    .language:       OpenCL C
    .language_version:
      - 2
      - 0
    .max_flat_workgroup_size: 256
    .name:           _ZN7rocprim17ROCPRIM_400000_NS6detail17trampoline_kernelINS0_14default_configENS1_27scan_by_key_config_selectorIssEEZZNS1_16scan_by_key_implILNS1_25lookback_scan_determinismE0ELb0ES3_N6thrust23THRUST_200600_302600_NS6detail15normal_iteratorINS9_10device_ptrIsEEEESE_SE_sNS9_4plusIvEENS9_8equal_toIsEEsEE10hipError_tPvRmT2_T3_T4_T5_mT6_T7_P12ihipStream_tbENKUlT_T0_E_clISt17integral_constantIbLb1EESZ_EEDaSU_SV_EUlSU_E_NS1_11comp_targetILNS1_3genE3ELNS1_11target_archE908ELNS1_3gpuE7ELNS1_3repE0EEENS1_30default_config_static_selectorELNS0_4arch9wavefront6targetE0EEEvT1_
    .private_segment_fixed_size: 0
    .sgpr_count:     0
    .sgpr_spill_count: 0
    .symbol:         _ZN7rocprim17ROCPRIM_400000_NS6detail17trampoline_kernelINS0_14default_configENS1_27scan_by_key_config_selectorIssEEZZNS1_16scan_by_key_implILNS1_25lookback_scan_determinismE0ELb0ES3_N6thrust23THRUST_200600_302600_NS6detail15normal_iteratorINS9_10device_ptrIsEEEESE_SE_sNS9_4plusIvEENS9_8equal_toIsEEsEE10hipError_tPvRmT2_T3_T4_T5_mT6_T7_P12ihipStream_tbENKUlT_T0_E_clISt17integral_constantIbLb1EESZ_EEDaSU_SV_EUlSU_E_NS1_11comp_targetILNS1_3genE3ELNS1_11target_archE908ELNS1_3gpuE7ELNS1_3repE0EEENS1_30default_config_static_selectorELNS0_4arch9wavefront6targetE0EEEvT1_.kd
    .uniform_work_group_size: 1
    .uses_dynamic_stack: false
    .vgpr_count:     0
    .vgpr_spill_count: 0
    .wavefront_size: 32
    .workgroup_processor_mode: 1
  - .args:
      - .offset:         0
        .size:           112
        .value_kind:     by_value
    .group_segment_fixed_size: 0
    .kernarg_segment_align: 8
    .kernarg_segment_size: 112
    .language:       OpenCL C
    .language_version:
      - 2
      - 0
    .max_flat_workgroup_size: 64
    .name:           _ZN7rocprim17ROCPRIM_400000_NS6detail17trampoline_kernelINS0_14default_configENS1_27scan_by_key_config_selectorIssEEZZNS1_16scan_by_key_implILNS1_25lookback_scan_determinismE0ELb0ES3_N6thrust23THRUST_200600_302600_NS6detail15normal_iteratorINS9_10device_ptrIsEEEESE_SE_sNS9_4plusIvEENS9_8equal_toIsEEsEE10hipError_tPvRmT2_T3_T4_T5_mT6_T7_P12ihipStream_tbENKUlT_T0_E_clISt17integral_constantIbLb1EESZ_EEDaSU_SV_EUlSU_E_NS1_11comp_targetILNS1_3genE2ELNS1_11target_archE906ELNS1_3gpuE6ELNS1_3repE0EEENS1_30default_config_static_selectorELNS0_4arch9wavefront6targetE0EEEvT1_
    .private_segment_fixed_size: 0
    .sgpr_count:     0
    .sgpr_spill_count: 0
    .symbol:         _ZN7rocprim17ROCPRIM_400000_NS6detail17trampoline_kernelINS0_14default_configENS1_27scan_by_key_config_selectorIssEEZZNS1_16scan_by_key_implILNS1_25lookback_scan_determinismE0ELb0ES3_N6thrust23THRUST_200600_302600_NS6detail15normal_iteratorINS9_10device_ptrIsEEEESE_SE_sNS9_4plusIvEENS9_8equal_toIsEEsEE10hipError_tPvRmT2_T3_T4_T5_mT6_T7_P12ihipStream_tbENKUlT_T0_E_clISt17integral_constantIbLb1EESZ_EEDaSU_SV_EUlSU_E_NS1_11comp_targetILNS1_3genE2ELNS1_11target_archE906ELNS1_3gpuE6ELNS1_3repE0EEENS1_30default_config_static_selectorELNS0_4arch9wavefront6targetE0EEEvT1_.kd
    .uniform_work_group_size: 1
    .uses_dynamic_stack: false
    .vgpr_count:     0
    .vgpr_spill_count: 0
    .wavefront_size: 32
    .workgroup_processor_mode: 1
  - .args:
      - .offset:         0
        .size:           112
        .value_kind:     by_value
    .group_segment_fixed_size: 0
    .kernarg_segment_align: 8
    .kernarg_segment_size: 112
    .language:       OpenCL C
    .language_version:
      - 2
      - 0
    .max_flat_workgroup_size: 256
    .name:           _ZN7rocprim17ROCPRIM_400000_NS6detail17trampoline_kernelINS0_14default_configENS1_27scan_by_key_config_selectorIssEEZZNS1_16scan_by_key_implILNS1_25lookback_scan_determinismE0ELb0ES3_N6thrust23THRUST_200600_302600_NS6detail15normal_iteratorINS9_10device_ptrIsEEEESE_SE_sNS9_4plusIvEENS9_8equal_toIsEEsEE10hipError_tPvRmT2_T3_T4_T5_mT6_T7_P12ihipStream_tbENKUlT_T0_E_clISt17integral_constantIbLb1EESZ_EEDaSU_SV_EUlSU_E_NS1_11comp_targetILNS1_3genE10ELNS1_11target_archE1200ELNS1_3gpuE4ELNS1_3repE0EEENS1_30default_config_static_selectorELNS0_4arch9wavefront6targetE0EEEvT1_
    .private_segment_fixed_size: 0
    .sgpr_count:     0
    .sgpr_spill_count: 0
    .symbol:         _ZN7rocprim17ROCPRIM_400000_NS6detail17trampoline_kernelINS0_14default_configENS1_27scan_by_key_config_selectorIssEEZZNS1_16scan_by_key_implILNS1_25lookback_scan_determinismE0ELb0ES3_N6thrust23THRUST_200600_302600_NS6detail15normal_iteratorINS9_10device_ptrIsEEEESE_SE_sNS9_4plusIvEENS9_8equal_toIsEEsEE10hipError_tPvRmT2_T3_T4_T5_mT6_T7_P12ihipStream_tbENKUlT_T0_E_clISt17integral_constantIbLb1EESZ_EEDaSU_SV_EUlSU_E_NS1_11comp_targetILNS1_3genE10ELNS1_11target_archE1200ELNS1_3gpuE4ELNS1_3repE0EEENS1_30default_config_static_selectorELNS0_4arch9wavefront6targetE0EEEvT1_.kd
    .uniform_work_group_size: 1
    .uses_dynamic_stack: false
    .vgpr_count:     0
    .vgpr_spill_count: 0
    .wavefront_size: 32
    .workgroup_processor_mode: 1
  - .args:
      - .offset:         0
        .size:           112
        .value_kind:     by_value
    .group_segment_fixed_size: 0
    .kernarg_segment_align: 8
    .kernarg_segment_size: 112
    .language:       OpenCL C
    .language_version:
      - 2
      - 0
    .max_flat_workgroup_size: 256
    .name:           _ZN7rocprim17ROCPRIM_400000_NS6detail17trampoline_kernelINS0_14default_configENS1_27scan_by_key_config_selectorIssEEZZNS1_16scan_by_key_implILNS1_25lookback_scan_determinismE0ELb0ES3_N6thrust23THRUST_200600_302600_NS6detail15normal_iteratorINS9_10device_ptrIsEEEESE_SE_sNS9_4plusIvEENS9_8equal_toIsEEsEE10hipError_tPvRmT2_T3_T4_T5_mT6_T7_P12ihipStream_tbENKUlT_T0_E_clISt17integral_constantIbLb1EESZ_EEDaSU_SV_EUlSU_E_NS1_11comp_targetILNS1_3genE9ELNS1_11target_archE1100ELNS1_3gpuE3ELNS1_3repE0EEENS1_30default_config_static_selectorELNS0_4arch9wavefront6targetE0EEEvT1_
    .private_segment_fixed_size: 0
    .sgpr_count:     0
    .sgpr_spill_count: 0
    .symbol:         _ZN7rocprim17ROCPRIM_400000_NS6detail17trampoline_kernelINS0_14default_configENS1_27scan_by_key_config_selectorIssEEZZNS1_16scan_by_key_implILNS1_25lookback_scan_determinismE0ELb0ES3_N6thrust23THRUST_200600_302600_NS6detail15normal_iteratorINS9_10device_ptrIsEEEESE_SE_sNS9_4plusIvEENS9_8equal_toIsEEsEE10hipError_tPvRmT2_T3_T4_T5_mT6_T7_P12ihipStream_tbENKUlT_T0_E_clISt17integral_constantIbLb1EESZ_EEDaSU_SV_EUlSU_E_NS1_11comp_targetILNS1_3genE9ELNS1_11target_archE1100ELNS1_3gpuE3ELNS1_3repE0EEENS1_30default_config_static_selectorELNS0_4arch9wavefront6targetE0EEEvT1_.kd
    .uniform_work_group_size: 1
    .uses_dynamic_stack: false
    .vgpr_count:     0
    .vgpr_spill_count: 0
    .wavefront_size: 32
    .workgroup_processor_mode: 1
  - .args:
      - .offset:         0
        .size:           112
        .value_kind:     by_value
    .group_segment_fixed_size: 0
    .kernarg_segment_align: 8
    .kernarg_segment_size: 112
    .language:       OpenCL C
    .language_version:
      - 2
      - 0
    .max_flat_workgroup_size: 64
    .name:           _ZN7rocprim17ROCPRIM_400000_NS6detail17trampoline_kernelINS0_14default_configENS1_27scan_by_key_config_selectorIssEEZZNS1_16scan_by_key_implILNS1_25lookback_scan_determinismE0ELb0ES3_N6thrust23THRUST_200600_302600_NS6detail15normal_iteratorINS9_10device_ptrIsEEEESE_SE_sNS9_4plusIvEENS9_8equal_toIsEEsEE10hipError_tPvRmT2_T3_T4_T5_mT6_T7_P12ihipStream_tbENKUlT_T0_E_clISt17integral_constantIbLb1EESZ_EEDaSU_SV_EUlSU_E_NS1_11comp_targetILNS1_3genE8ELNS1_11target_archE1030ELNS1_3gpuE2ELNS1_3repE0EEENS1_30default_config_static_selectorELNS0_4arch9wavefront6targetE0EEEvT1_
    .private_segment_fixed_size: 0
    .sgpr_count:     0
    .sgpr_spill_count: 0
    .symbol:         _ZN7rocprim17ROCPRIM_400000_NS6detail17trampoline_kernelINS0_14default_configENS1_27scan_by_key_config_selectorIssEEZZNS1_16scan_by_key_implILNS1_25lookback_scan_determinismE0ELb0ES3_N6thrust23THRUST_200600_302600_NS6detail15normal_iteratorINS9_10device_ptrIsEEEESE_SE_sNS9_4plusIvEENS9_8equal_toIsEEsEE10hipError_tPvRmT2_T3_T4_T5_mT6_T7_P12ihipStream_tbENKUlT_T0_E_clISt17integral_constantIbLb1EESZ_EEDaSU_SV_EUlSU_E_NS1_11comp_targetILNS1_3genE8ELNS1_11target_archE1030ELNS1_3gpuE2ELNS1_3repE0EEENS1_30default_config_static_selectorELNS0_4arch9wavefront6targetE0EEEvT1_.kd
    .uniform_work_group_size: 1
    .uses_dynamic_stack: false
    .vgpr_count:     0
    .vgpr_spill_count: 0
    .wavefront_size: 32
    .workgroup_processor_mode: 1
  - .args:
      - .offset:         0
        .size:           112
        .value_kind:     by_value
    .group_segment_fixed_size: 0
    .kernarg_segment_align: 8
    .kernarg_segment_size: 112
    .language:       OpenCL C
    .language_version:
      - 2
      - 0
    .max_flat_workgroup_size: 256
    .name:           _ZN7rocprim17ROCPRIM_400000_NS6detail17trampoline_kernelINS0_14default_configENS1_27scan_by_key_config_selectorIssEEZZNS1_16scan_by_key_implILNS1_25lookback_scan_determinismE0ELb0ES3_N6thrust23THRUST_200600_302600_NS6detail15normal_iteratorINS9_10device_ptrIsEEEESE_SE_sNS9_4plusIvEENS9_8equal_toIsEEsEE10hipError_tPvRmT2_T3_T4_T5_mT6_T7_P12ihipStream_tbENKUlT_T0_E_clISt17integral_constantIbLb1EESY_IbLb0EEEEDaSU_SV_EUlSU_E_NS1_11comp_targetILNS1_3genE0ELNS1_11target_archE4294967295ELNS1_3gpuE0ELNS1_3repE0EEENS1_30default_config_static_selectorELNS0_4arch9wavefront6targetE0EEEvT1_
    .private_segment_fixed_size: 0
    .sgpr_count:     0
    .sgpr_spill_count: 0
    .symbol:         _ZN7rocprim17ROCPRIM_400000_NS6detail17trampoline_kernelINS0_14default_configENS1_27scan_by_key_config_selectorIssEEZZNS1_16scan_by_key_implILNS1_25lookback_scan_determinismE0ELb0ES3_N6thrust23THRUST_200600_302600_NS6detail15normal_iteratorINS9_10device_ptrIsEEEESE_SE_sNS9_4plusIvEENS9_8equal_toIsEEsEE10hipError_tPvRmT2_T3_T4_T5_mT6_T7_P12ihipStream_tbENKUlT_T0_E_clISt17integral_constantIbLb1EESY_IbLb0EEEEDaSU_SV_EUlSU_E_NS1_11comp_targetILNS1_3genE0ELNS1_11target_archE4294967295ELNS1_3gpuE0ELNS1_3repE0EEENS1_30default_config_static_selectorELNS0_4arch9wavefront6targetE0EEEvT1_.kd
    .uniform_work_group_size: 1
    .uses_dynamic_stack: false
    .vgpr_count:     0
    .vgpr_spill_count: 0
    .wavefront_size: 32
    .workgroup_processor_mode: 1
  - .args:
      - .offset:         0
        .size:           112
        .value_kind:     by_value
    .group_segment_fixed_size: 0
    .kernarg_segment_align: 8
    .kernarg_segment_size: 112
    .language:       OpenCL C
    .language_version:
      - 2
      - 0
    .max_flat_workgroup_size: 128
    .name:           _ZN7rocprim17ROCPRIM_400000_NS6detail17trampoline_kernelINS0_14default_configENS1_27scan_by_key_config_selectorIssEEZZNS1_16scan_by_key_implILNS1_25lookback_scan_determinismE0ELb0ES3_N6thrust23THRUST_200600_302600_NS6detail15normal_iteratorINS9_10device_ptrIsEEEESE_SE_sNS9_4plusIvEENS9_8equal_toIsEEsEE10hipError_tPvRmT2_T3_T4_T5_mT6_T7_P12ihipStream_tbENKUlT_T0_E_clISt17integral_constantIbLb1EESY_IbLb0EEEEDaSU_SV_EUlSU_E_NS1_11comp_targetILNS1_3genE10ELNS1_11target_archE1201ELNS1_3gpuE5ELNS1_3repE0EEENS1_30default_config_static_selectorELNS0_4arch9wavefront6targetE0EEEvT1_
    .private_segment_fixed_size: 0
    .sgpr_count:     0
    .sgpr_spill_count: 0
    .symbol:         _ZN7rocprim17ROCPRIM_400000_NS6detail17trampoline_kernelINS0_14default_configENS1_27scan_by_key_config_selectorIssEEZZNS1_16scan_by_key_implILNS1_25lookback_scan_determinismE0ELb0ES3_N6thrust23THRUST_200600_302600_NS6detail15normal_iteratorINS9_10device_ptrIsEEEESE_SE_sNS9_4plusIvEENS9_8equal_toIsEEsEE10hipError_tPvRmT2_T3_T4_T5_mT6_T7_P12ihipStream_tbENKUlT_T0_E_clISt17integral_constantIbLb1EESY_IbLb0EEEEDaSU_SV_EUlSU_E_NS1_11comp_targetILNS1_3genE10ELNS1_11target_archE1201ELNS1_3gpuE5ELNS1_3repE0EEENS1_30default_config_static_selectorELNS0_4arch9wavefront6targetE0EEEvT1_.kd
    .uniform_work_group_size: 1
    .uses_dynamic_stack: false
    .vgpr_count:     0
    .vgpr_spill_count: 0
    .wavefront_size: 32
    .workgroup_processor_mode: 1
  - .args:
      - .offset:         0
        .size:           112
        .value_kind:     by_value
    .group_segment_fixed_size: 0
    .kernarg_segment_align: 8
    .kernarg_segment_size: 112
    .language:       OpenCL C
    .language_version:
      - 2
      - 0
    .max_flat_workgroup_size: 256
    .name:           _ZN7rocprim17ROCPRIM_400000_NS6detail17trampoline_kernelINS0_14default_configENS1_27scan_by_key_config_selectorIssEEZZNS1_16scan_by_key_implILNS1_25lookback_scan_determinismE0ELb0ES3_N6thrust23THRUST_200600_302600_NS6detail15normal_iteratorINS9_10device_ptrIsEEEESE_SE_sNS9_4plusIvEENS9_8equal_toIsEEsEE10hipError_tPvRmT2_T3_T4_T5_mT6_T7_P12ihipStream_tbENKUlT_T0_E_clISt17integral_constantIbLb1EESY_IbLb0EEEEDaSU_SV_EUlSU_E_NS1_11comp_targetILNS1_3genE5ELNS1_11target_archE942ELNS1_3gpuE9ELNS1_3repE0EEENS1_30default_config_static_selectorELNS0_4arch9wavefront6targetE0EEEvT1_
    .private_segment_fixed_size: 0
    .sgpr_count:     0
    .sgpr_spill_count: 0
    .symbol:         _ZN7rocprim17ROCPRIM_400000_NS6detail17trampoline_kernelINS0_14default_configENS1_27scan_by_key_config_selectorIssEEZZNS1_16scan_by_key_implILNS1_25lookback_scan_determinismE0ELb0ES3_N6thrust23THRUST_200600_302600_NS6detail15normal_iteratorINS9_10device_ptrIsEEEESE_SE_sNS9_4plusIvEENS9_8equal_toIsEEsEE10hipError_tPvRmT2_T3_T4_T5_mT6_T7_P12ihipStream_tbENKUlT_T0_E_clISt17integral_constantIbLb1EESY_IbLb0EEEEDaSU_SV_EUlSU_E_NS1_11comp_targetILNS1_3genE5ELNS1_11target_archE942ELNS1_3gpuE9ELNS1_3repE0EEENS1_30default_config_static_selectorELNS0_4arch9wavefront6targetE0EEEvT1_.kd
    .uniform_work_group_size: 1
    .uses_dynamic_stack: false
    .vgpr_count:     0
    .vgpr_spill_count: 0
    .wavefront_size: 32
    .workgroup_processor_mode: 1
  - .args:
      - .offset:         0
        .size:           112
        .value_kind:     by_value
    .group_segment_fixed_size: 0
    .kernarg_segment_align: 8
    .kernarg_segment_size: 112
    .language:       OpenCL C
    .language_version:
      - 2
      - 0
    .max_flat_workgroup_size: 256
    .name:           _ZN7rocprim17ROCPRIM_400000_NS6detail17trampoline_kernelINS0_14default_configENS1_27scan_by_key_config_selectorIssEEZZNS1_16scan_by_key_implILNS1_25lookback_scan_determinismE0ELb0ES3_N6thrust23THRUST_200600_302600_NS6detail15normal_iteratorINS9_10device_ptrIsEEEESE_SE_sNS9_4plusIvEENS9_8equal_toIsEEsEE10hipError_tPvRmT2_T3_T4_T5_mT6_T7_P12ihipStream_tbENKUlT_T0_E_clISt17integral_constantIbLb1EESY_IbLb0EEEEDaSU_SV_EUlSU_E_NS1_11comp_targetILNS1_3genE4ELNS1_11target_archE910ELNS1_3gpuE8ELNS1_3repE0EEENS1_30default_config_static_selectorELNS0_4arch9wavefront6targetE0EEEvT1_
    .private_segment_fixed_size: 0
    .sgpr_count:     0
    .sgpr_spill_count: 0
    .symbol:         _ZN7rocprim17ROCPRIM_400000_NS6detail17trampoline_kernelINS0_14default_configENS1_27scan_by_key_config_selectorIssEEZZNS1_16scan_by_key_implILNS1_25lookback_scan_determinismE0ELb0ES3_N6thrust23THRUST_200600_302600_NS6detail15normal_iteratorINS9_10device_ptrIsEEEESE_SE_sNS9_4plusIvEENS9_8equal_toIsEEsEE10hipError_tPvRmT2_T3_T4_T5_mT6_T7_P12ihipStream_tbENKUlT_T0_E_clISt17integral_constantIbLb1EESY_IbLb0EEEEDaSU_SV_EUlSU_E_NS1_11comp_targetILNS1_3genE4ELNS1_11target_archE910ELNS1_3gpuE8ELNS1_3repE0EEENS1_30default_config_static_selectorELNS0_4arch9wavefront6targetE0EEEvT1_.kd
    .uniform_work_group_size: 1
    .uses_dynamic_stack: false
    .vgpr_count:     0
    .vgpr_spill_count: 0
    .wavefront_size: 32
    .workgroup_processor_mode: 1
  - .args:
      - .offset:         0
        .size:           112
        .value_kind:     by_value
    .group_segment_fixed_size: 0
    .kernarg_segment_align: 8
    .kernarg_segment_size: 112
    .language:       OpenCL C
    .language_version:
      - 2
      - 0
    .max_flat_workgroup_size: 256
    .name:           _ZN7rocprim17ROCPRIM_400000_NS6detail17trampoline_kernelINS0_14default_configENS1_27scan_by_key_config_selectorIssEEZZNS1_16scan_by_key_implILNS1_25lookback_scan_determinismE0ELb0ES3_N6thrust23THRUST_200600_302600_NS6detail15normal_iteratorINS9_10device_ptrIsEEEESE_SE_sNS9_4plusIvEENS9_8equal_toIsEEsEE10hipError_tPvRmT2_T3_T4_T5_mT6_T7_P12ihipStream_tbENKUlT_T0_E_clISt17integral_constantIbLb1EESY_IbLb0EEEEDaSU_SV_EUlSU_E_NS1_11comp_targetILNS1_3genE3ELNS1_11target_archE908ELNS1_3gpuE7ELNS1_3repE0EEENS1_30default_config_static_selectorELNS0_4arch9wavefront6targetE0EEEvT1_
    .private_segment_fixed_size: 0
    .sgpr_count:     0
    .sgpr_spill_count: 0
    .symbol:         _ZN7rocprim17ROCPRIM_400000_NS6detail17trampoline_kernelINS0_14default_configENS1_27scan_by_key_config_selectorIssEEZZNS1_16scan_by_key_implILNS1_25lookback_scan_determinismE0ELb0ES3_N6thrust23THRUST_200600_302600_NS6detail15normal_iteratorINS9_10device_ptrIsEEEESE_SE_sNS9_4plusIvEENS9_8equal_toIsEEsEE10hipError_tPvRmT2_T3_T4_T5_mT6_T7_P12ihipStream_tbENKUlT_T0_E_clISt17integral_constantIbLb1EESY_IbLb0EEEEDaSU_SV_EUlSU_E_NS1_11comp_targetILNS1_3genE3ELNS1_11target_archE908ELNS1_3gpuE7ELNS1_3repE0EEENS1_30default_config_static_selectorELNS0_4arch9wavefront6targetE0EEEvT1_.kd
    .uniform_work_group_size: 1
    .uses_dynamic_stack: false
    .vgpr_count:     0
    .vgpr_spill_count: 0
    .wavefront_size: 32
    .workgroup_processor_mode: 1
  - .args:
      - .offset:         0
        .size:           112
        .value_kind:     by_value
    .group_segment_fixed_size: 0
    .kernarg_segment_align: 8
    .kernarg_segment_size: 112
    .language:       OpenCL C
    .language_version:
      - 2
      - 0
    .max_flat_workgroup_size: 64
    .name:           _ZN7rocprim17ROCPRIM_400000_NS6detail17trampoline_kernelINS0_14default_configENS1_27scan_by_key_config_selectorIssEEZZNS1_16scan_by_key_implILNS1_25lookback_scan_determinismE0ELb0ES3_N6thrust23THRUST_200600_302600_NS6detail15normal_iteratorINS9_10device_ptrIsEEEESE_SE_sNS9_4plusIvEENS9_8equal_toIsEEsEE10hipError_tPvRmT2_T3_T4_T5_mT6_T7_P12ihipStream_tbENKUlT_T0_E_clISt17integral_constantIbLb1EESY_IbLb0EEEEDaSU_SV_EUlSU_E_NS1_11comp_targetILNS1_3genE2ELNS1_11target_archE906ELNS1_3gpuE6ELNS1_3repE0EEENS1_30default_config_static_selectorELNS0_4arch9wavefront6targetE0EEEvT1_
    .private_segment_fixed_size: 0
    .sgpr_count:     0
    .sgpr_spill_count: 0
    .symbol:         _ZN7rocprim17ROCPRIM_400000_NS6detail17trampoline_kernelINS0_14default_configENS1_27scan_by_key_config_selectorIssEEZZNS1_16scan_by_key_implILNS1_25lookback_scan_determinismE0ELb0ES3_N6thrust23THRUST_200600_302600_NS6detail15normal_iteratorINS9_10device_ptrIsEEEESE_SE_sNS9_4plusIvEENS9_8equal_toIsEEsEE10hipError_tPvRmT2_T3_T4_T5_mT6_T7_P12ihipStream_tbENKUlT_T0_E_clISt17integral_constantIbLb1EESY_IbLb0EEEEDaSU_SV_EUlSU_E_NS1_11comp_targetILNS1_3genE2ELNS1_11target_archE906ELNS1_3gpuE6ELNS1_3repE0EEENS1_30default_config_static_selectorELNS0_4arch9wavefront6targetE0EEEvT1_.kd
    .uniform_work_group_size: 1
    .uses_dynamic_stack: false
    .vgpr_count:     0
    .vgpr_spill_count: 0
    .wavefront_size: 32
    .workgroup_processor_mode: 1
  - .args:
      - .offset:         0
        .size:           112
        .value_kind:     by_value
    .group_segment_fixed_size: 0
    .kernarg_segment_align: 8
    .kernarg_segment_size: 112
    .language:       OpenCL C
    .language_version:
      - 2
      - 0
    .max_flat_workgroup_size: 256
    .name:           _ZN7rocprim17ROCPRIM_400000_NS6detail17trampoline_kernelINS0_14default_configENS1_27scan_by_key_config_selectorIssEEZZNS1_16scan_by_key_implILNS1_25lookback_scan_determinismE0ELb0ES3_N6thrust23THRUST_200600_302600_NS6detail15normal_iteratorINS9_10device_ptrIsEEEESE_SE_sNS9_4plusIvEENS9_8equal_toIsEEsEE10hipError_tPvRmT2_T3_T4_T5_mT6_T7_P12ihipStream_tbENKUlT_T0_E_clISt17integral_constantIbLb1EESY_IbLb0EEEEDaSU_SV_EUlSU_E_NS1_11comp_targetILNS1_3genE10ELNS1_11target_archE1200ELNS1_3gpuE4ELNS1_3repE0EEENS1_30default_config_static_selectorELNS0_4arch9wavefront6targetE0EEEvT1_
    .private_segment_fixed_size: 0
    .sgpr_count:     0
    .sgpr_spill_count: 0
    .symbol:         _ZN7rocprim17ROCPRIM_400000_NS6detail17trampoline_kernelINS0_14default_configENS1_27scan_by_key_config_selectorIssEEZZNS1_16scan_by_key_implILNS1_25lookback_scan_determinismE0ELb0ES3_N6thrust23THRUST_200600_302600_NS6detail15normal_iteratorINS9_10device_ptrIsEEEESE_SE_sNS9_4plusIvEENS9_8equal_toIsEEsEE10hipError_tPvRmT2_T3_T4_T5_mT6_T7_P12ihipStream_tbENKUlT_T0_E_clISt17integral_constantIbLb1EESY_IbLb0EEEEDaSU_SV_EUlSU_E_NS1_11comp_targetILNS1_3genE10ELNS1_11target_archE1200ELNS1_3gpuE4ELNS1_3repE0EEENS1_30default_config_static_selectorELNS0_4arch9wavefront6targetE0EEEvT1_.kd
    .uniform_work_group_size: 1
    .uses_dynamic_stack: false
    .vgpr_count:     0
    .vgpr_spill_count: 0
    .wavefront_size: 32
    .workgroup_processor_mode: 1
  - .args:
      - .offset:         0
        .size:           112
        .value_kind:     by_value
    .group_segment_fixed_size: 0
    .kernarg_segment_align: 8
    .kernarg_segment_size: 112
    .language:       OpenCL C
    .language_version:
      - 2
      - 0
    .max_flat_workgroup_size: 256
    .name:           _ZN7rocprim17ROCPRIM_400000_NS6detail17trampoline_kernelINS0_14default_configENS1_27scan_by_key_config_selectorIssEEZZNS1_16scan_by_key_implILNS1_25lookback_scan_determinismE0ELb0ES3_N6thrust23THRUST_200600_302600_NS6detail15normal_iteratorINS9_10device_ptrIsEEEESE_SE_sNS9_4plusIvEENS9_8equal_toIsEEsEE10hipError_tPvRmT2_T3_T4_T5_mT6_T7_P12ihipStream_tbENKUlT_T0_E_clISt17integral_constantIbLb1EESY_IbLb0EEEEDaSU_SV_EUlSU_E_NS1_11comp_targetILNS1_3genE9ELNS1_11target_archE1100ELNS1_3gpuE3ELNS1_3repE0EEENS1_30default_config_static_selectorELNS0_4arch9wavefront6targetE0EEEvT1_
    .private_segment_fixed_size: 0
    .sgpr_count:     0
    .sgpr_spill_count: 0
    .symbol:         _ZN7rocprim17ROCPRIM_400000_NS6detail17trampoline_kernelINS0_14default_configENS1_27scan_by_key_config_selectorIssEEZZNS1_16scan_by_key_implILNS1_25lookback_scan_determinismE0ELb0ES3_N6thrust23THRUST_200600_302600_NS6detail15normal_iteratorINS9_10device_ptrIsEEEESE_SE_sNS9_4plusIvEENS9_8equal_toIsEEsEE10hipError_tPvRmT2_T3_T4_T5_mT6_T7_P12ihipStream_tbENKUlT_T0_E_clISt17integral_constantIbLb1EESY_IbLb0EEEEDaSU_SV_EUlSU_E_NS1_11comp_targetILNS1_3genE9ELNS1_11target_archE1100ELNS1_3gpuE3ELNS1_3repE0EEENS1_30default_config_static_selectorELNS0_4arch9wavefront6targetE0EEEvT1_.kd
    .uniform_work_group_size: 1
    .uses_dynamic_stack: false
    .vgpr_count:     0
    .vgpr_spill_count: 0
    .wavefront_size: 32
    .workgroup_processor_mode: 1
  - .args:
      - .offset:         0
        .size:           112
        .value_kind:     by_value
    .group_segment_fixed_size: 0
    .kernarg_segment_align: 8
    .kernarg_segment_size: 112
    .language:       OpenCL C
    .language_version:
      - 2
      - 0
    .max_flat_workgroup_size: 64
    .name:           _ZN7rocprim17ROCPRIM_400000_NS6detail17trampoline_kernelINS0_14default_configENS1_27scan_by_key_config_selectorIssEEZZNS1_16scan_by_key_implILNS1_25lookback_scan_determinismE0ELb0ES3_N6thrust23THRUST_200600_302600_NS6detail15normal_iteratorINS9_10device_ptrIsEEEESE_SE_sNS9_4plusIvEENS9_8equal_toIsEEsEE10hipError_tPvRmT2_T3_T4_T5_mT6_T7_P12ihipStream_tbENKUlT_T0_E_clISt17integral_constantIbLb1EESY_IbLb0EEEEDaSU_SV_EUlSU_E_NS1_11comp_targetILNS1_3genE8ELNS1_11target_archE1030ELNS1_3gpuE2ELNS1_3repE0EEENS1_30default_config_static_selectorELNS0_4arch9wavefront6targetE0EEEvT1_
    .private_segment_fixed_size: 0
    .sgpr_count:     0
    .sgpr_spill_count: 0
    .symbol:         _ZN7rocprim17ROCPRIM_400000_NS6detail17trampoline_kernelINS0_14default_configENS1_27scan_by_key_config_selectorIssEEZZNS1_16scan_by_key_implILNS1_25lookback_scan_determinismE0ELb0ES3_N6thrust23THRUST_200600_302600_NS6detail15normal_iteratorINS9_10device_ptrIsEEEESE_SE_sNS9_4plusIvEENS9_8equal_toIsEEsEE10hipError_tPvRmT2_T3_T4_T5_mT6_T7_P12ihipStream_tbENKUlT_T0_E_clISt17integral_constantIbLb1EESY_IbLb0EEEEDaSU_SV_EUlSU_E_NS1_11comp_targetILNS1_3genE8ELNS1_11target_archE1030ELNS1_3gpuE2ELNS1_3repE0EEENS1_30default_config_static_selectorELNS0_4arch9wavefront6targetE0EEEvT1_.kd
    .uniform_work_group_size: 1
    .uses_dynamic_stack: false
    .vgpr_count:     0
    .vgpr_spill_count: 0
    .wavefront_size: 32
    .workgroup_processor_mode: 1
  - .args:
      - .offset:         0
        .size:           112
        .value_kind:     by_value
    .group_segment_fixed_size: 0
    .kernarg_segment_align: 8
    .kernarg_segment_size: 112
    .language:       OpenCL C
    .language_version:
      - 2
      - 0
    .max_flat_workgroup_size: 256
    .name:           _ZN7rocprim17ROCPRIM_400000_NS6detail17trampoline_kernelINS0_14default_configENS1_27scan_by_key_config_selectorIssEEZZNS1_16scan_by_key_implILNS1_25lookback_scan_determinismE0ELb0ES3_N6thrust23THRUST_200600_302600_NS6detail15normal_iteratorINS9_10device_ptrIsEEEESE_SE_sNS9_4plusIvEENS9_8equal_toIsEEsEE10hipError_tPvRmT2_T3_T4_T5_mT6_T7_P12ihipStream_tbENKUlT_T0_E_clISt17integral_constantIbLb0EESY_IbLb1EEEEDaSU_SV_EUlSU_E_NS1_11comp_targetILNS1_3genE0ELNS1_11target_archE4294967295ELNS1_3gpuE0ELNS1_3repE0EEENS1_30default_config_static_selectorELNS0_4arch9wavefront6targetE0EEEvT1_
    .private_segment_fixed_size: 0
    .sgpr_count:     0
    .sgpr_spill_count: 0
    .symbol:         _ZN7rocprim17ROCPRIM_400000_NS6detail17trampoline_kernelINS0_14default_configENS1_27scan_by_key_config_selectorIssEEZZNS1_16scan_by_key_implILNS1_25lookback_scan_determinismE0ELb0ES3_N6thrust23THRUST_200600_302600_NS6detail15normal_iteratorINS9_10device_ptrIsEEEESE_SE_sNS9_4plusIvEENS9_8equal_toIsEEsEE10hipError_tPvRmT2_T3_T4_T5_mT6_T7_P12ihipStream_tbENKUlT_T0_E_clISt17integral_constantIbLb0EESY_IbLb1EEEEDaSU_SV_EUlSU_E_NS1_11comp_targetILNS1_3genE0ELNS1_11target_archE4294967295ELNS1_3gpuE0ELNS1_3repE0EEENS1_30default_config_static_selectorELNS0_4arch9wavefront6targetE0EEEvT1_.kd
    .uniform_work_group_size: 1
    .uses_dynamic_stack: false
    .vgpr_count:     0
    .vgpr_spill_count: 0
    .wavefront_size: 32
    .workgroup_processor_mode: 1
  - .args:
      - .offset:         0
        .size:           112
        .value_kind:     by_value
    .group_segment_fixed_size: 0
    .kernarg_segment_align: 8
    .kernarg_segment_size: 112
    .language:       OpenCL C
    .language_version:
      - 2
      - 0
    .max_flat_workgroup_size: 128
    .name:           _ZN7rocprim17ROCPRIM_400000_NS6detail17trampoline_kernelINS0_14default_configENS1_27scan_by_key_config_selectorIssEEZZNS1_16scan_by_key_implILNS1_25lookback_scan_determinismE0ELb0ES3_N6thrust23THRUST_200600_302600_NS6detail15normal_iteratorINS9_10device_ptrIsEEEESE_SE_sNS9_4plusIvEENS9_8equal_toIsEEsEE10hipError_tPvRmT2_T3_T4_T5_mT6_T7_P12ihipStream_tbENKUlT_T0_E_clISt17integral_constantIbLb0EESY_IbLb1EEEEDaSU_SV_EUlSU_E_NS1_11comp_targetILNS1_3genE10ELNS1_11target_archE1201ELNS1_3gpuE5ELNS1_3repE0EEENS1_30default_config_static_selectorELNS0_4arch9wavefront6targetE0EEEvT1_
    .private_segment_fixed_size: 0
    .sgpr_count:     0
    .sgpr_spill_count: 0
    .symbol:         _ZN7rocprim17ROCPRIM_400000_NS6detail17trampoline_kernelINS0_14default_configENS1_27scan_by_key_config_selectorIssEEZZNS1_16scan_by_key_implILNS1_25lookback_scan_determinismE0ELb0ES3_N6thrust23THRUST_200600_302600_NS6detail15normal_iteratorINS9_10device_ptrIsEEEESE_SE_sNS9_4plusIvEENS9_8equal_toIsEEsEE10hipError_tPvRmT2_T3_T4_T5_mT6_T7_P12ihipStream_tbENKUlT_T0_E_clISt17integral_constantIbLb0EESY_IbLb1EEEEDaSU_SV_EUlSU_E_NS1_11comp_targetILNS1_3genE10ELNS1_11target_archE1201ELNS1_3gpuE5ELNS1_3repE0EEENS1_30default_config_static_selectorELNS0_4arch9wavefront6targetE0EEEvT1_.kd
    .uniform_work_group_size: 1
    .uses_dynamic_stack: false
    .vgpr_count:     0
    .vgpr_spill_count: 0
    .wavefront_size: 32
    .workgroup_processor_mode: 1
  - .args:
      - .offset:         0
        .size:           112
        .value_kind:     by_value
    .group_segment_fixed_size: 0
    .kernarg_segment_align: 8
    .kernarg_segment_size: 112
    .language:       OpenCL C
    .language_version:
      - 2
      - 0
    .max_flat_workgroup_size: 256
    .name:           _ZN7rocprim17ROCPRIM_400000_NS6detail17trampoline_kernelINS0_14default_configENS1_27scan_by_key_config_selectorIssEEZZNS1_16scan_by_key_implILNS1_25lookback_scan_determinismE0ELb0ES3_N6thrust23THRUST_200600_302600_NS6detail15normal_iteratorINS9_10device_ptrIsEEEESE_SE_sNS9_4plusIvEENS9_8equal_toIsEEsEE10hipError_tPvRmT2_T3_T4_T5_mT6_T7_P12ihipStream_tbENKUlT_T0_E_clISt17integral_constantIbLb0EESY_IbLb1EEEEDaSU_SV_EUlSU_E_NS1_11comp_targetILNS1_3genE5ELNS1_11target_archE942ELNS1_3gpuE9ELNS1_3repE0EEENS1_30default_config_static_selectorELNS0_4arch9wavefront6targetE0EEEvT1_
    .private_segment_fixed_size: 0
    .sgpr_count:     0
    .sgpr_spill_count: 0
    .symbol:         _ZN7rocprim17ROCPRIM_400000_NS6detail17trampoline_kernelINS0_14default_configENS1_27scan_by_key_config_selectorIssEEZZNS1_16scan_by_key_implILNS1_25lookback_scan_determinismE0ELb0ES3_N6thrust23THRUST_200600_302600_NS6detail15normal_iteratorINS9_10device_ptrIsEEEESE_SE_sNS9_4plusIvEENS9_8equal_toIsEEsEE10hipError_tPvRmT2_T3_T4_T5_mT6_T7_P12ihipStream_tbENKUlT_T0_E_clISt17integral_constantIbLb0EESY_IbLb1EEEEDaSU_SV_EUlSU_E_NS1_11comp_targetILNS1_3genE5ELNS1_11target_archE942ELNS1_3gpuE9ELNS1_3repE0EEENS1_30default_config_static_selectorELNS0_4arch9wavefront6targetE0EEEvT1_.kd
    .uniform_work_group_size: 1
    .uses_dynamic_stack: false
    .vgpr_count:     0
    .vgpr_spill_count: 0
    .wavefront_size: 32
    .workgroup_processor_mode: 1
  - .args:
      - .offset:         0
        .size:           112
        .value_kind:     by_value
    .group_segment_fixed_size: 0
    .kernarg_segment_align: 8
    .kernarg_segment_size: 112
    .language:       OpenCL C
    .language_version:
      - 2
      - 0
    .max_flat_workgroup_size: 256
    .name:           _ZN7rocprim17ROCPRIM_400000_NS6detail17trampoline_kernelINS0_14default_configENS1_27scan_by_key_config_selectorIssEEZZNS1_16scan_by_key_implILNS1_25lookback_scan_determinismE0ELb0ES3_N6thrust23THRUST_200600_302600_NS6detail15normal_iteratorINS9_10device_ptrIsEEEESE_SE_sNS9_4plusIvEENS9_8equal_toIsEEsEE10hipError_tPvRmT2_T3_T4_T5_mT6_T7_P12ihipStream_tbENKUlT_T0_E_clISt17integral_constantIbLb0EESY_IbLb1EEEEDaSU_SV_EUlSU_E_NS1_11comp_targetILNS1_3genE4ELNS1_11target_archE910ELNS1_3gpuE8ELNS1_3repE0EEENS1_30default_config_static_selectorELNS0_4arch9wavefront6targetE0EEEvT1_
    .private_segment_fixed_size: 0
    .sgpr_count:     0
    .sgpr_spill_count: 0
    .symbol:         _ZN7rocprim17ROCPRIM_400000_NS6detail17trampoline_kernelINS0_14default_configENS1_27scan_by_key_config_selectorIssEEZZNS1_16scan_by_key_implILNS1_25lookback_scan_determinismE0ELb0ES3_N6thrust23THRUST_200600_302600_NS6detail15normal_iteratorINS9_10device_ptrIsEEEESE_SE_sNS9_4plusIvEENS9_8equal_toIsEEsEE10hipError_tPvRmT2_T3_T4_T5_mT6_T7_P12ihipStream_tbENKUlT_T0_E_clISt17integral_constantIbLb0EESY_IbLb1EEEEDaSU_SV_EUlSU_E_NS1_11comp_targetILNS1_3genE4ELNS1_11target_archE910ELNS1_3gpuE8ELNS1_3repE0EEENS1_30default_config_static_selectorELNS0_4arch9wavefront6targetE0EEEvT1_.kd
    .uniform_work_group_size: 1
    .uses_dynamic_stack: false
    .vgpr_count:     0
    .vgpr_spill_count: 0
    .wavefront_size: 32
    .workgroup_processor_mode: 1
  - .args:
      - .offset:         0
        .size:           112
        .value_kind:     by_value
    .group_segment_fixed_size: 0
    .kernarg_segment_align: 8
    .kernarg_segment_size: 112
    .language:       OpenCL C
    .language_version:
      - 2
      - 0
    .max_flat_workgroup_size: 256
    .name:           _ZN7rocprim17ROCPRIM_400000_NS6detail17trampoline_kernelINS0_14default_configENS1_27scan_by_key_config_selectorIssEEZZNS1_16scan_by_key_implILNS1_25lookback_scan_determinismE0ELb0ES3_N6thrust23THRUST_200600_302600_NS6detail15normal_iteratorINS9_10device_ptrIsEEEESE_SE_sNS9_4plusIvEENS9_8equal_toIsEEsEE10hipError_tPvRmT2_T3_T4_T5_mT6_T7_P12ihipStream_tbENKUlT_T0_E_clISt17integral_constantIbLb0EESY_IbLb1EEEEDaSU_SV_EUlSU_E_NS1_11comp_targetILNS1_3genE3ELNS1_11target_archE908ELNS1_3gpuE7ELNS1_3repE0EEENS1_30default_config_static_selectorELNS0_4arch9wavefront6targetE0EEEvT1_
    .private_segment_fixed_size: 0
    .sgpr_count:     0
    .sgpr_spill_count: 0
    .symbol:         _ZN7rocprim17ROCPRIM_400000_NS6detail17trampoline_kernelINS0_14default_configENS1_27scan_by_key_config_selectorIssEEZZNS1_16scan_by_key_implILNS1_25lookback_scan_determinismE0ELb0ES3_N6thrust23THRUST_200600_302600_NS6detail15normal_iteratorINS9_10device_ptrIsEEEESE_SE_sNS9_4plusIvEENS9_8equal_toIsEEsEE10hipError_tPvRmT2_T3_T4_T5_mT6_T7_P12ihipStream_tbENKUlT_T0_E_clISt17integral_constantIbLb0EESY_IbLb1EEEEDaSU_SV_EUlSU_E_NS1_11comp_targetILNS1_3genE3ELNS1_11target_archE908ELNS1_3gpuE7ELNS1_3repE0EEENS1_30default_config_static_selectorELNS0_4arch9wavefront6targetE0EEEvT1_.kd
    .uniform_work_group_size: 1
    .uses_dynamic_stack: false
    .vgpr_count:     0
    .vgpr_spill_count: 0
    .wavefront_size: 32
    .workgroup_processor_mode: 1
  - .args:
      - .offset:         0
        .size:           112
        .value_kind:     by_value
    .group_segment_fixed_size: 0
    .kernarg_segment_align: 8
    .kernarg_segment_size: 112
    .language:       OpenCL C
    .language_version:
      - 2
      - 0
    .max_flat_workgroup_size: 64
    .name:           _ZN7rocprim17ROCPRIM_400000_NS6detail17trampoline_kernelINS0_14default_configENS1_27scan_by_key_config_selectorIssEEZZNS1_16scan_by_key_implILNS1_25lookback_scan_determinismE0ELb0ES3_N6thrust23THRUST_200600_302600_NS6detail15normal_iteratorINS9_10device_ptrIsEEEESE_SE_sNS9_4plusIvEENS9_8equal_toIsEEsEE10hipError_tPvRmT2_T3_T4_T5_mT6_T7_P12ihipStream_tbENKUlT_T0_E_clISt17integral_constantIbLb0EESY_IbLb1EEEEDaSU_SV_EUlSU_E_NS1_11comp_targetILNS1_3genE2ELNS1_11target_archE906ELNS1_3gpuE6ELNS1_3repE0EEENS1_30default_config_static_selectorELNS0_4arch9wavefront6targetE0EEEvT1_
    .private_segment_fixed_size: 0
    .sgpr_count:     0
    .sgpr_spill_count: 0
    .symbol:         _ZN7rocprim17ROCPRIM_400000_NS6detail17trampoline_kernelINS0_14default_configENS1_27scan_by_key_config_selectorIssEEZZNS1_16scan_by_key_implILNS1_25lookback_scan_determinismE0ELb0ES3_N6thrust23THRUST_200600_302600_NS6detail15normal_iteratorINS9_10device_ptrIsEEEESE_SE_sNS9_4plusIvEENS9_8equal_toIsEEsEE10hipError_tPvRmT2_T3_T4_T5_mT6_T7_P12ihipStream_tbENKUlT_T0_E_clISt17integral_constantIbLb0EESY_IbLb1EEEEDaSU_SV_EUlSU_E_NS1_11comp_targetILNS1_3genE2ELNS1_11target_archE906ELNS1_3gpuE6ELNS1_3repE0EEENS1_30default_config_static_selectorELNS0_4arch9wavefront6targetE0EEEvT1_.kd
    .uniform_work_group_size: 1
    .uses_dynamic_stack: false
    .vgpr_count:     0
    .vgpr_spill_count: 0
    .wavefront_size: 32
    .workgroup_processor_mode: 1
  - .args:
      - .offset:         0
        .size:           112
        .value_kind:     by_value
    .group_segment_fixed_size: 0
    .kernarg_segment_align: 8
    .kernarg_segment_size: 112
    .language:       OpenCL C
    .language_version:
      - 2
      - 0
    .max_flat_workgroup_size: 256
    .name:           _ZN7rocprim17ROCPRIM_400000_NS6detail17trampoline_kernelINS0_14default_configENS1_27scan_by_key_config_selectorIssEEZZNS1_16scan_by_key_implILNS1_25lookback_scan_determinismE0ELb0ES3_N6thrust23THRUST_200600_302600_NS6detail15normal_iteratorINS9_10device_ptrIsEEEESE_SE_sNS9_4plusIvEENS9_8equal_toIsEEsEE10hipError_tPvRmT2_T3_T4_T5_mT6_T7_P12ihipStream_tbENKUlT_T0_E_clISt17integral_constantIbLb0EESY_IbLb1EEEEDaSU_SV_EUlSU_E_NS1_11comp_targetILNS1_3genE10ELNS1_11target_archE1200ELNS1_3gpuE4ELNS1_3repE0EEENS1_30default_config_static_selectorELNS0_4arch9wavefront6targetE0EEEvT1_
    .private_segment_fixed_size: 0
    .sgpr_count:     0
    .sgpr_spill_count: 0
    .symbol:         _ZN7rocprim17ROCPRIM_400000_NS6detail17trampoline_kernelINS0_14default_configENS1_27scan_by_key_config_selectorIssEEZZNS1_16scan_by_key_implILNS1_25lookback_scan_determinismE0ELb0ES3_N6thrust23THRUST_200600_302600_NS6detail15normal_iteratorINS9_10device_ptrIsEEEESE_SE_sNS9_4plusIvEENS9_8equal_toIsEEsEE10hipError_tPvRmT2_T3_T4_T5_mT6_T7_P12ihipStream_tbENKUlT_T0_E_clISt17integral_constantIbLb0EESY_IbLb1EEEEDaSU_SV_EUlSU_E_NS1_11comp_targetILNS1_3genE10ELNS1_11target_archE1200ELNS1_3gpuE4ELNS1_3repE0EEENS1_30default_config_static_selectorELNS0_4arch9wavefront6targetE0EEEvT1_.kd
    .uniform_work_group_size: 1
    .uses_dynamic_stack: false
    .vgpr_count:     0
    .vgpr_spill_count: 0
    .wavefront_size: 32
    .workgroup_processor_mode: 1
  - .args:
      - .offset:         0
        .size:           112
        .value_kind:     by_value
    .group_segment_fixed_size: 0
    .kernarg_segment_align: 8
    .kernarg_segment_size: 112
    .language:       OpenCL C
    .language_version:
      - 2
      - 0
    .max_flat_workgroup_size: 256
    .name:           _ZN7rocprim17ROCPRIM_400000_NS6detail17trampoline_kernelINS0_14default_configENS1_27scan_by_key_config_selectorIssEEZZNS1_16scan_by_key_implILNS1_25lookback_scan_determinismE0ELb0ES3_N6thrust23THRUST_200600_302600_NS6detail15normal_iteratorINS9_10device_ptrIsEEEESE_SE_sNS9_4plusIvEENS9_8equal_toIsEEsEE10hipError_tPvRmT2_T3_T4_T5_mT6_T7_P12ihipStream_tbENKUlT_T0_E_clISt17integral_constantIbLb0EESY_IbLb1EEEEDaSU_SV_EUlSU_E_NS1_11comp_targetILNS1_3genE9ELNS1_11target_archE1100ELNS1_3gpuE3ELNS1_3repE0EEENS1_30default_config_static_selectorELNS0_4arch9wavefront6targetE0EEEvT1_
    .private_segment_fixed_size: 0
    .sgpr_count:     0
    .sgpr_spill_count: 0
    .symbol:         _ZN7rocprim17ROCPRIM_400000_NS6detail17trampoline_kernelINS0_14default_configENS1_27scan_by_key_config_selectorIssEEZZNS1_16scan_by_key_implILNS1_25lookback_scan_determinismE0ELb0ES3_N6thrust23THRUST_200600_302600_NS6detail15normal_iteratorINS9_10device_ptrIsEEEESE_SE_sNS9_4plusIvEENS9_8equal_toIsEEsEE10hipError_tPvRmT2_T3_T4_T5_mT6_T7_P12ihipStream_tbENKUlT_T0_E_clISt17integral_constantIbLb0EESY_IbLb1EEEEDaSU_SV_EUlSU_E_NS1_11comp_targetILNS1_3genE9ELNS1_11target_archE1100ELNS1_3gpuE3ELNS1_3repE0EEENS1_30default_config_static_selectorELNS0_4arch9wavefront6targetE0EEEvT1_.kd
    .uniform_work_group_size: 1
    .uses_dynamic_stack: false
    .vgpr_count:     0
    .vgpr_spill_count: 0
    .wavefront_size: 32
    .workgroup_processor_mode: 1
  - .args:
      - .offset:         0
        .size:           112
        .value_kind:     by_value
    .group_segment_fixed_size: 1536
    .kernarg_segment_align: 8
    .kernarg_segment_size: 112
    .language:       OpenCL C
    .language_version:
      - 2
      - 0
    .max_flat_workgroup_size: 64
    .name:           _ZN7rocprim17ROCPRIM_400000_NS6detail17trampoline_kernelINS0_14default_configENS1_27scan_by_key_config_selectorIssEEZZNS1_16scan_by_key_implILNS1_25lookback_scan_determinismE0ELb0ES3_N6thrust23THRUST_200600_302600_NS6detail15normal_iteratorINS9_10device_ptrIsEEEESE_SE_sNS9_4plusIvEENS9_8equal_toIsEEsEE10hipError_tPvRmT2_T3_T4_T5_mT6_T7_P12ihipStream_tbENKUlT_T0_E_clISt17integral_constantIbLb0EESY_IbLb1EEEEDaSU_SV_EUlSU_E_NS1_11comp_targetILNS1_3genE8ELNS1_11target_archE1030ELNS1_3gpuE2ELNS1_3repE0EEENS1_30default_config_static_selectorELNS0_4arch9wavefront6targetE0EEEvT1_
    .private_segment_fixed_size: 0
    .sgpr_count:     43
    .sgpr_spill_count: 0
    .symbol:         _ZN7rocprim17ROCPRIM_400000_NS6detail17trampoline_kernelINS0_14default_configENS1_27scan_by_key_config_selectorIssEEZZNS1_16scan_by_key_implILNS1_25lookback_scan_determinismE0ELb0ES3_N6thrust23THRUST_200600_302600_NS6detail15normal_iteratorINS9_10device_ptrIsEEEESE_SE_sNS9_4plusIvEENS9_8equal_toIsEEsEE10hipError_tPvRmT2_T3_T4_T5_mT6_T7_P12ihipStream_tbENKUlT_T0_E_clISt17integral_constantIbLb0EESY_IbLb1EEEEDaSU_SV_EUlSU_E_NS1_11comp_targetILNS1_3genE8ELNS1_11target_archE1030ELNS1_3gpuE2ELNS1_3repE0EEENS1_30default_config_static_selectorELNS0_4arch9wavefront6targetE0EEEvT1_.kd
    .uniform_work_group_size: 1
    .uses_dynamic_stack: false
    .vgpr_count:     42
    .vgpr_spill_count: 0
    .wavefront_size: 32
    .workgroup_processor_mode: 1
  - .args:
      - .offset:         0
        .size:           136
        .value_kind:     by_value
    .group_segment_fixed_size: 0
    .kernarg_segment_align: 8
    .kernarg_segment_size: 136
    .language:       OpenCL C
    .language_version:
      - 2
      - 0
    .max_flat_workgroup_size: 256
    .name:           _ZN7rocprim17ROCPRIM_400000_NS6detail17trampoline_kernelINS0_14default_configENS1_27scan_by_key_config_selectorIxxEEZZNS1_16scan_by_key_implILNS1_25lookback_scan_determinismE0ELb1ES3_N6thrust23THRUST_200600_302600_NS6detail15normal_iteratorINS9_10device_ptrIxEEEESE_SE_xNS9_4plusIvEENS9_8equal_toIvEExEE10hipError_tPvRmT2_T3_T4_T5_mT6_T7_P12ihipStream_tbENKUlT_T0_E_clISt17integral_constantIbLb0EESZ_EEDaSU_SV_EUlSU_E_NS1_11comp_targetILNS1_3genE0ELNS1_11target_archE4294967295ELNS1_3gpuE0ELNS1_3repE0EEENS1_30default_config_static_selectorELNS0_4arch9wavefront6targetE0EEEvT1_
    .private_segment_fixed_size: 0
    .sgpr_count:     0
    .sgpr_spill_count: 0
    .symbol:         _ZN7rocprim17ROCPRIM_400000_NS6detail17trampoline_kernelINS0_14default_configENS1_27scan_by_key_config_selectorIxxEEZZNS1_16scan_by_key_implILNS1_25lookback_scan_determinismE0ELb1ES3_N6thrust23THRUST_200600_302600_NS6detail15normal_iteratorINS9_10device_ptrIxEEEESE_SE_xNS9_4plusIvEENS9_8equal_toIvEExEE10hipError_tPvRmT2_T3_T4_T5_mT6_T7_P12ihipStream_tbENKUlT_T0_E_clISt17integral_constantIbLb0EESZ_EEDaSU_SV_EUlSU_E_NS1_11comp_targetILNS1_3genE0ELNS1_11target_archE4294967295ELNS1_3gpuE0ELNS1_3repE0EEENS1_30default_config_static_selectorELNS0_4arch9wavefront6targetE0EEEvT1_.kd
    .uniform_work_group_size: 1
    .uses_dynamic_stack: false
    .vgpr_count:     0
    .vgpr_spill_count: 0
    .wavefront_size: 32
    .workgroup_processor_mode: 1
  - .args:
      - .offset:         0
        .size:           136
        .value_kind:     by_value
    .group_segment_fixed_size: 0
    .kernarg_segment_align: 8
    .kernarg_segment_size: 136
    .language:       OpenCL C
    .language_version:
      - 2
      - 0
    .max_flat_workgroup_size: 256
    .name:           _ZN7rocprim17ROCPRIM_400000_NS6detail17trampoline_kernelINS0_14default_configENS1_27scan_by_key_config_selectorIxxEEZZNS1_16scan_by_key_implILNS1_25lookback_scan_determinismE0ELb1ES3_N6thrust23THRUST_200600_302600_NS6detail15normal_iteratorINS9_10device_ptrIxEEEESE_SE_xNS9_4plusIvEENS9_8equal_toIvEExEE10hipError_tPvRmT2_T3_T4_T5_mT6_T7_P12ihipStream_tbENKUlT_T0_E_clISt17integral_constantIbLb0EESZ_EEDaSU_SV_EUlSU_E_NS1_11comp_targetILNS1_3genE10ELNS1_11target_archE1201ELNS1_3gpuE5ELNS1_3repE0EEENS1_30default_config_static_selectorELNS0_4arch9wavefront6targetE0EEEvT1_
    .private_segment_fixed_size: 0
    .sgpr_count:     0
    .sgpr_spill_count: 0
    .symbol:         _ZN7rocprim17ROCPRIM_400000_NS6detail17trampoline_kernelINS0_14default_configENS1_27scan_by_key_config_selectorIxxEEZZNS1_16scan_by_key_implILNS1_25lookback_scan_determinismE0ELb1ES3_N6thrust23THRUST_200600_302600_NS6detail15normal_iteratorINS9_10device_ptrIxEEEESE_SE_xNS9_4plusIvEENS9_8equal_toIvEExEE10hipError_tPvRmT2_T3_T4_T5_mT6_T7_P12ihipStream_tbENKUlT_T0_E_clISt17integral_constantIbLb0EESZ_EEDaSU_SV_EUlSU_E_NS1_11comp_targetILNS1_3genE10ELNS1_11target_archE1201ELNS1_3gpuE5ELNS1_3repE0EEENS1_30default_config_static_selectorELNS0_4arch9wavefront6targetE0EEEvT1_.kd
    .uniform_work_group_size: 1
    .uses_dynamic_stack: false
    .vgpr_count:     0
    .vgpr_spill_count: 0
    .wavefront_size: 32
    .workgroup_processor_mode: 1
  - .args:
      - .offset:         0
        .size:           136
        .value_kind:     by_value
    .group_segment_fixed_size: 0
    .kernarg_segment_align: 8
    .kernarg_segment_size: 136
    .language:       OpenCL C
    .language_version:
      - 2
      - 0
    .max_flat_workgroup_size: 256
    .name:           _ZN7rocprim17ROCPRIM_400000_NS6detail17trampoline_kernelINS0_14default_configENS1_27scan_by_key_config_selectorIxxEEZZNS1_16scan_by_key_implILNS1_25lookback_scan_determinismE0ELb1ES3_N6thrust23THRUST_200600_302600_NS6detail15normal_iteratorINS9_10device_ptrIxEEEESE_SE_xNS9_4plusIvEENS9_8equal_toIvEExEE10hipError_tPvRmT2_T3_T4_T5_mT6_T7_P12ihipStream_tbENKUlT_T0_E_clISt17integral_constantIbLb0EESZ_EEDaSU_SV_EUlSU_E_NS1_11comp_targetILNS1_3genE5ELNS1_11target_archE942ELNS1_3gpuE9ELNS1_3repE0EEENS1_30default_config_static_selectorELNS0_4arch9wavefront6targetE0EEEvT1_
    .private_segment_fixed_size: 0
    .sgpr_count:     0
    .sgpr_spill_count: 0
    .symbol:         _ZN7rocprim17ROCPRIM_400000_NS6detail17trampoline_kernelINS0_14default_configENS1_27scan_by_key_config_selectorIxxEEZZNS1_16scan_by_key_implILNS1_25lookback_scan_determinismE0ELb1ES3_N6thrust23THRUST_200600_302600_NS6detail15normal_iteratorINS9_10device_ptrIxEEEESE_SE_xNS9_4plusIvEENS9_8equal_toIvEExEE10hipError_tPvRmT2_T3_T4_T5_mT6_T7_P12ihipStream_tbENKUlT_T0_E_clISt17integral_constantIbLb0EESZ_EEDaSU_SV_EUlSU_E_NS1_11comp_targetILNS1_3genE5ELNS1_11target_archE942ELNS1_3gpuE9ELNS1_3repE0EEENS1_30default_config_static_selectorELNS0_4arch9wavefront6targetE0EEEvT1_.kd
    .uniform_work_group_size: 1
    .uses_dynamic_stack: false
    .vgpr_count:     0
    .vgpr_spill_count: 0
    .wavefront_size: 32
    .workgroup_processor_mode: 1
  - .args:
      - .offset:         0
        .size:           136
        .value_kind:     by_value
    .group_segment_fixed_size: 0
    .kernarg_segment_align: 8
    .kernarg_segment_size: 136
    .language:       OpenCL C
    .language_version:
      - 2
      - 0
    .max_flat_workgroup_size: 64
    .name:           _ZN7rocprim17ROCPRIM_400000_NS6detail17trampoline_kernelINS0_14default_configENS1_27scan_by_key_config_selectorIxxEEZZNS1_16scan_by_key_implILNS1_25lookback_scan_determinismE0ELb1ES3_N6thrust23THRUST_200600_302600_NS6detail15normal_iteratorINS9_10device_ptrIxEEEESE_SE_xNS9_4plusIvEENS9_8equal_toIvEExEE10hipError_tPvRmT2_T3_T4_T5_mT6_T7_P12ihipStream_tbENKUlT_T0_E_clISt17integral_constantIbLb0EESZ_EEDaSU_SV_EUlSU_E_NS1_11comp_targetILNS1_3genE4ELNS1_11target_archE910ELNS1_3gpuE8ELNS1_3repE0EEENS1_30default_config_static_selectorELNS0_4arch9wavefront6targetE0EEEvT1_
    .private_segment_fixed_size: 0
    .sgpr_count:     0
    .sgpr_spill_count: 0
    .symbol:         _ZN7rocprim17ROCPRIM_400000_NS6detail17trampoline_kernelINS0_14default_configENS1_27scan_by_key_config_selectorIxxEEZZNS1_16scan_by_key_implILNS1_25lookback_scan_determinismE0ELb1ES3_N6thrust23THRUST_200600_302600_NS6detail15normal_iteratorINS9_10device_ptrIxEEEESE_SE_xNS9_4plusIvEENS9_8equal_toIvEExEE10hipError_tPvRmT2_T3_T4_T5_mT6_T7_P12ihipStream_tbENKUlT_T0_E_clISt17integral_constantIbLb0EESZ_EEDaSU_SV_EUlSU_E_NS1_11comp_targetILNS1_3genE4ELNS1_11target_archE910ELNS1_3gpuE8ELNS1_3repE0EEENS1_30default_config_static_selectorELNS0_4arch9wavefront6targetE0EEEvT1_.kd
    .uniform_work_group_size: 1
    .uses_dynamic_stack: false
    .vgpr_count:     0
    .vgpr_spill_count: 0
    .wavefront_size: 32
    .workgroup_processor_mode: 1
  - .args:
      - .offset:         0
        .size:           136
        .value_kind:     by_value
    .group_segment_fixed_size: 0
    .kernarg_segment_align: 8
    .kernarg_segment_size: 136
    .language:       OpenCL C
    .language_version:
      - 2
      - 0
    .max_flat_workgroup_size: 256
    .name:           _ZN7rocprim17ROCPRIM_400000_NS6detail17trampoline_kernelINS0_14default_configENS1_27scan_by_key_config_selectorIxxEEZZNS1_16scan_by_key_implILNS1_25lookback_scan_determinismE0ELb1ES3_N6thrust23THRUST_200600_302600_NS6detail15normal_iteratorINS9_10device_ptrIxEEEESE_SE_xNS9_4plusIvEENS9_8equal_toIvEExEE10hipError_tPvRmT2_T3_T4_T5_mT6_T7_P12ihipStream_tbENKUlT_T0_E_clISt17integral_constantIbLb0EESZ_EEDaSU_SV_EUlSU_E_NS1_11comp_targetILNS1_3genE3ELNS1_11target_archE908ELNS1_3gpuE7ELNS1_3repE0EEENS1_30default_config_static_selectorELNS0_4arch9wavefront6targetE0EEEvT1_
    .private_segment_fixed_size: 0
    .sgpr_count:     0
    .sgpr_spill_count: 0
    .symbol:         _ZN7rocprim17ROCPRIM_400000_NS6detail17trampoline_kernelINS0_14default_configENS1_27scan_by_key_config_selectorIxxEEZZNS1_16scan_by_key_implILNS1_25lookback_scan_determinismE0ELb1ES3_N6thrust23THRUST_200600_302600_NS6detail15normal_iteratorINS9_10device_ptrIxEEEESE_SE_xNS9_4plusIvEENS9_8equal_toIvEExEE10hipError_tPvRmT2_T3_T4_T5_mT6_T7_P12ihipStream_tbENKUlT_T0_E_clISt17integral_constantIbLb0EESZ_EEDaSU_SV_EUlSU_E_NS1_11comp_targetILNS1_3genE3ELNS1_11target_archE908ELNS1_3gpuE7ELNS1_3repE0EEENS1_30default_config_static_selectorELNS0_4arch9wavefront6targetE0EEEvT1_.kd
    .uniform_work_group_size: 1
    .uses_dynamic_stack: false
    .vgpr_count:     0
    .vgpr_spill_count: 0
    .wavefront_size: 32
    .workgroup_processor_mode: 1
  - .args:
      - .offset:         0
        .size:           136
        .value_kind:     by_value
    .group_segment_fixed_size: 0
    .kernarg_segment_align: 8
    .kernarg_segment_size: 136
    .language:       OpenCL C
    .language_version:
      - 2
      - 0
    .max_flat_workgroup_size: 256
    .name:           _ZN7rocprim17ROCPRIM_400000_NS6detail17trampoline_kernelINS0_14default_configENS1_27scan_by_key_config_selectorIxxEEZZNS1_16scan_by_key_implILNS1_25lookback_scan_determinismE0ELb1ES3_N6thrust23THRUST_200600_302600_NS6detail15normal_iteratorINS9_10device_ptrIxEEEESE_SE_xNS9_4plusIvEENS9_8equal_toIvEExEE10hipError_tPvRmT2_T3_T4_T5_mT6_T7_P12ihipStream_tbENKUlT_T0_E_clISt17integral_constantIbLb0EESZ_EEDaSU_SV_EUlSU_E_NS1_11comp_targetILNS1_3genE2ELNS1_11target_archE906ELNS1_3gpuE6ELNS1_3repE0EEENS1_30default_config_static_selectorELNS0_4arch9wavefront6targetE0EEEvT1_
    .private_segment_fixed_size: 0
    .sgpr_count:     0
    .sgpr_spill_count: 0
    .symbol:         _ZN7rocprim17ROCPRIM_400000_NS6detail17trampoline_kernelINS0_14default_configENS1_27scan_by_key_config_selectorIxxEEZZNS1_16scan_by_key_implILNS1_25lookback_scan_determinismE0ELb1ES3_N6thrust23THRUST_200600_302600_NS6detail15normal_iteratorINS9_10device_ptrIxEEEESE_SE_xNS9_4plusIvEENS9_8equal_toIvEExEE10hipError_tPvRmT2_T3_T4_T5_mT6_T7_P12ihipStream_tbENKUlT_T0_E_clISt17integral_constantIbLb0EESZ_EEDaSU_SV_EUlSU_E_NS1_11comp_targetILNS1_3genE2ELNS1_11target_archE906ELNS1_3gpuE6ELNS1_3repE0EEENS1_30default_config_static_selectorELNS0_4arch9wavefront6targetE0EEEvT1_.kd
    .uniform_work_group_size: 1
    .uses_dynamic_stack: false
    .vgpr_count:     0
    .vgpr_spill_count: 0
    .wavefront_size: 32
    .workgroup_processor_mode: 1
  - .args:
      - .offset:         0
        .size:           136
        .value_kind:     by_value
    .group_segment_fixed_size: 0
    .kernarg_segment_align: 8
    .kernarg_segment_size: 136
    .language:       OpenCL C
    .language_version:
      - 2
      - 0
    .max_flat_workgroup_size: 256
    .name:           _ZN7rocprim17ROCPRIM_400000_NS6detail17trampoline_kernelINS0_14default_configENS1_27scan_by_key_config_selectorIxxEEZZNS1_16scan_by_key_implILNS1_25lookback_scan_determinismE0ELb1ES3_N6thrust23THRUST_200600_302600_NS6detail15normal_iteratorINS9_10device_ptrIxEEEESE_SE_xNS9_4plusIvEENS9_8equal_toIvEExEE10hipError_tPvRmT2_T3_T4_T5_mT6_T7_P12ihipStream_tbENKUlT_T0_E_clISt17integral_constantIbLb0EESZ_EEDaSU_SV_EUlSU_E_NS1_11comp_targetILNS1_3genE10ELNS1_11target_archE1200ELNS1_3gpuE4ELNS1_3repE0EEENS1_30default_config_static_selectorELNS0_4arch9wavefront6targetE0EEEvT1_
    .private_segment_fixed_size: 0
    .sgpr_count:     0
    .sgpr_spill_count: 0
    .symbol:         _ZN7rocprim17ROCPRIM_400000_NS6detail17trampoline_kernelINS0_14default_configENS1_27scan_by_key_config_selectorIxxEEZZNS1_16scan_by_key_implILNS1_25lookback_scan_determinismE0ELb1ES3_N6thrust23THRUST_200600_302600_NS6detail15normal_iteratorINS9_10device_ptrIxEEEESE_SE_xNS9_4plusIvEENS9_8equal_toIvEExEE10hipError_tPvRmT2_T3_T4_T5_mT6_T7_P12ihipStream_tbENKUlT_T0_E_clISt17integral_constantIbLb0EESZ_EEDaSU_SV_EUlSU_E_NS1_11comp_targetILNS1_3genE10ELNS1_11target_archE1200ELNS1_3gpuE4ELNS1_3repE0EEENS1_30default_config_static_selectorELNS0_4arch9wavefront6targetE0EEEvT1_.kd
    .uniform_work_group_size: 1
    .uses_dynamic_stack: false
    .vgpr_count:     0
    .vgpr_spill_count: 0
    .wavefront_size: 32
    .workgroup_processor_mode: 1
  - .args:
      - .offset:         0
        .size:           136
        .value_kind:     by_value
    .group_segment_fixed_size: 0
    .kernarg_segment_align: 8
    .kernarg_segment_size: 136
    .language:       OpenCL C
    .language_version:
      - 2
      - 0
    .max_flat_workgroup_size: 256
    .name:           _ZN7rocprim17ROCPRIM_400000_NS6detail17trampoline_kernelINS0_14default_configENS1_27scan_by_key_config_selectorIxxEEZZNS1_16scan_by_key_implILNS1_25lookback_scan_determinismE0ELb1ES3_N6thrust23THRUST_200600_302600_NS6detail15normal_iteratorINS9_10device_ptrIxEEEESE_SE_xNS9_4plusIvEENS9_8equal_toIvEExEE10hipError_tPvRmT2_T3_T4_T5_mT6_T7_P12ihipStream_tbENKUlT_T0_E_clISt17integral_constantIbLb0EESZ_EEDaSU_SV_EUlSU_E_NS1_11comp_targetILNS1_3genE9ELNS1_11target_archE1100ELNS1_3gpuE3ELNS1_3repE0EEENS1_30default_config_static_selectorELNS0_4arch9wavefront6targetE0EEEvT1_
    .private_segment_fixed_size: 0
    .sgpr_count:     0
    .sgpr_spill_count: 0
    .symbol:         _ZN7rocprim17ROCPRIM_400000_NS6detail17trampoline_kernelINS0_14default_configENS1_27scan_by_key_config_selectorIxxEEZZNS1_16scan_by_key_implILNS1_25lookback_scan_determinismE0ELb1ES3_N6thrust23THRUST_200600_302600_NS6detail15normal_iteratorINS9_10device_ptrIxEEEESE_SE_xNS9_4plusIvEENS9_8equal_toIvEExEE10hipError_tPvRmT2_T3_T4_T5_mT6_T7_P12ihipStream_tbENKUlT_T0_E_clISt17integral_constantIbLb0EESZ_EEDaSU_SV_EUlSU_E_NS1_11comp_targetILNS1_3genE9ELNS1_11target_archE1100ELNS1_3gpuE3ELNS1_3repE0EEENS1_30default_config_static_selectorELNS0_4arch9wavefront6targetE0EEEvT1_.kd
    .uniform_work_group_size: 1
    .uses_dynamic_stack: false
    .vgpr_count:     0
    .vgpr_spill_count: 0
    .wavefront_size: 32
    .workgroup_processor_mode: 1
  - .args:
      - .offset:         0
        .size:           136
        .value_kind:     by_value
    .group_segment_fixed_size: 30720
    .kernarg_segment_align: 8
    .kernarg_segment_size: 136
    .language:       OpenCL C
    .language_version:
      - 2
      - 0
    .max_flat_workgroup_size: 256
    .name:           _ZN7rocprim17ROCPRIM_400000_NS6detail17trampoline_kernelINS0_14default_configENS1_27scan_by_key_config_selectorIxxEEZZNS1_16scan_by_key_implILNS1_25lookback_scan_determinismE0ELb1ES3_N6thrust23THRUST_200600_302600_NS6detail15normal_iteratorINS9_10device_ptrIxEEEESE_SE_xNS9_4plusIvEENS9_8equal_toIvEExEE10hipError_tPvRmT2_T3_T4_T5_mT6_T7_P12ihipStream_tbENKUlT_T0_E_clISt17integral_constantIbLb0EESZ_EEDaSU_SV_EUlSU_E_NS1_11comp_targetILNS1_3genE8ELNS1_11target_archE1030ELNS1_3gpuE2ELNS1_3repE0EEENS1_30default_config_static_selectorELNS0_4arch9wavefront6targetE0EEEvT1_
    .private_segment_fixed_size: 0
    .sgpr_count:     57
    .sgpr_spill_count: 0
    .symbol:         _ZN7rocprim17ROCPRIM_400000_NS6detail17trampoline_kernelINS0_14default_configENS1_27scan_by_key_config_selectorIxxEEZZNS1_16scan_by_key_implILNS1_25lookback_scan_determinismE0ELb1ES3_N6thrust23THRUST_200600_302600_NS6detail15normal_iteratorINS9_10device_ptrIxEEEESE_SE_xNS9_4plusIvEENS9_8equal_toIvEExEE10hipError_tPvRmT2_T3_T4_T5_mT6_T7_P12ihipStream_tbENKUlT_T0_E_clISt17integral_constantIbLb0EESZ_EEDaSU_SV_EUlSU_E_NS1_11comp_targetILNS1_3genE8ELNS1_11target_archE1030ELNS1_3gpuE2ELNS1_3repE0EEENS1_30default_config_static_selectorELNS0_4arch9wavefront6targetE0EEEvT1_.kd
    .uniform_work_group_size: 1
    .uses_dynamic_stack: false
    .vgpr_count:     103
    .vgpr_spill_count: 0
    .wavefront_size: 32
    .workgroup_processor_mode: 1
  - .args:
      - .offset:         0
        .size:           136
        .value_kind:     by_value
    .group_segment_fixed_size: 0
    .kernarg_segment_align: 8
    .kernarg_segment_size: 136
    .language:       OpenCL C
    .language_version:
      - 2
      - 0
    .max_flat_workgroup_size: 256
    .name:           _ZN7rocprim17ROCPRIM_400000_NS6detail17trampoline_kernelINS0_14default_configENS1_27scan_by_key_config_selectorIxxEEZZNS1_16scan_by_key_implILNS1_25lookback_scan_determinismE0ELb1ES3_N6thrust23THRUST_200600_302600_NS6detail15normal_iteratorINS9_10device_ptrIxEEEESE_SE_xNS9_4plusIvEENS9_8equal_toIvEExEE10hipError_tPvRmT2_T3_T4_T5_mT6_T7_P12ihipStream_tbENKUlT_T0_E_clISt17integral_constantIbLb1EESZ_EEDaSU_SV_EUlSU_E_NS1_11comp_targetILNS1_3genE0ELNS1_11target_archE4294967295ELNS1_3gpuE0ELNS1_3repE0EEENS1_30default_config_static_selectorELNS0_4arch9wavefront6targetE0EEEvT1_
    .private_segment_fixed_size: 0
    .sgpr_count:     0
    .sgpr_spill_count: 0
    .symbol:         _ZN7rocprim17ROCPRIM_400000_NS6detail17trampoline_kernelINS0_14default_configENS1_27scan_by_key_config_selectorIxxEEZZNS1_16scan_by_key_implILNS1_25lookback_scan_determinismE0ELb1ES3_N6thrust23THRUST_200600_302600_NS6detail15normal_iteratorINS9_10device_ptrIxEEEESE_SE_xNS9_4plusIvEENS9_8equal_toIvEExEE10hipError_tPvRmT2_T3_T4_T5_mT6_T7_P12ihipStream_tbENKUlT_T0_E_clISt17integral_constantIbLb1EESZ_EEDaSU_SV_EUlSU_E_NS1_11comp_targetILNS1_3genE0ELNS1_11target_archE4294967295ELNS1_3gpuE0ELNS1_3repE0EEENS1_30default_config_static_selectorELNS0_4arch9wavefront6targetE0EEEvT1_.kd
    .uniform_work_group_size: 1
    .uses_dynamic_stack: false
    .vgpr_count:     0
    .vgpr_spill_count: 0
    .wavefront_size: 32
    .workgroup_processor_mode: 1
  - .args:
      - .offset:         0
        .size:           136
        .value_kind:     by_value
    .group_segment_fixed_size: 0
    .kernarg_segment_align: 8
    .kernarg_segment_size: 136
    .language:       OpenCL C
    .language_version:
      - 2
      - 0
    .max_flat_workgroup_size: 256
    .name:           _ZN7rocprim17ROCPRIM_400000_NS6detail17trampoline_kernelINS0_14default_configENS1_27scan_by_key_config_selectorIxxEEZZNS1_16scan_by_key_implILNS1_25lookback_scan_determinismE0ELb1ES3_N6thrust23THRUST_200600_302600_NS6detail15normal_iteratorINS9_10device_ptrIxEEEESE_SE_xNS9_4plusIvEENS9_8equal_toIvEExEE10hipError_tPvRmT2_T3_T4_T5_mT6_T7_P12ihipStream_tbENKUlT_T0_E_clISt17integral_constantIbLb1EESZ_EEDaSU_SV_EUlSU_E_NS1_11comp_targetILNS1_3genE10ELNS1_11target_archE1201ELNS1_3gpuE5ELNS1_3repE0EEENS1_30default_config_static_selectorELNS0_4arch9wavefront6targetE0EEEvT1_
    .private_segment_fixed_size: 0
    .sgpr_count:     0
    .sgpr_spill_count: 0
    .symbol:         _ZN7rocprim17ROCPRIM_400000_NS6detail17trampoline_kernelINS0_14default_configENS1_27scan_by_key_config_selectorIxxEEZZNS1_16scan_by_key_implILNS1_25lookback_scan_determinismE0ELb1ES3_N6thrust23THRUST_200600_302600_NS6detail15normal_iteratorINS9_10device_ptrIxEEEESE_SE_xNS9_4plusIvEENS9_8equal_toIvEExEE10hipError_tPvRmT2_T3_T4_T5_mT6_T7_P12ihipStream_tbENKUlT_T0_E_clISt17integral_constantIbLb1EESZ_EEDaSU_SV_EUlSU_E_NS1_11comp_targetILNS1_3genE10ELNS1_11target_archE1201ELNS1_3gpuE5ELNS1_3repE0EEENS1_30default_config_static_selectorELNS0_4arch9wavefront6targetE0EEEvT1_.kd
    .uniform_work_group_size: 1
    .uses_dynamic_stack: false
    .vgpr_count:     0
    .vgpr_spill_count: 0
    .wavefront_size: 32
    .workgroup_processor_mode: 1
  - .args:
      - .offset:         0
        .size:           136
        .value_kind:     by_value
    .group_segment_fixed_size: 0
    .kernarg_segment_align: 8
    .kernarg_segment_size: 136
    .language:       OpenCL C
    .language_version:
      - 2
      - 0
    .max_flat_workgroup_size: 256
    .name:           _ZN7rocprim17ROCPRIM_400000_NS6detail17trampoline_kernelINS0_14default_configENS1_27scan_by_key_config_selectorIxxEEZZNS1_16scan_by_key_implILNS1_25lookback_scan_determinismE0ELb1ES3_N6thrust23THRUST_200600_302600_NS6detail15normal_iteratorINS9_10device_ptrIxEEEESE_SE_xNS9_4plusIvEENS9_8equal_toIvEExEE10hipError_tPvRmT2_T3_T4_T5_mT6_T7_P12ihipStream_tbENKUlT_T0_E_clISt17integral_constantIbLb1EESZ_EEDaSU_SV_EUlSU_E_NS1_11comp_targetILNS1_3genE5ELNS1_11target_archE942ELNS1_3gpuE9ELNS1_3repE0EEENS1_30default_config_static_selectorELNS0_4arch9wavefront6targetE0EEEvT1_
    .private_segment_fixed_size: 0
    .sgpr_count:     0
    .sgpr_spill_count: 0
    .symbol:         _ZN7rocprim17ROCPRIM_400000_NS6detail17trampoline_kernelINS0_14default_configENS1_27scan_by_key_config_selectorIxxEEZZNS1_16scan_by_key_implILNS1_25lookback_scan_determinismE0ELb1ES3_N6thrust23THRUST_200600_302600_NS6detail15normal_iteratorINS9_10device_ptrIxEEEESE_SE_xNS9_4plusIvEENS9_8equal_toIvEExEE10hipError_tPvRmT2_T3_T4_T5_mT6_T7_P12ihipStream_tbENKUlT_T0_E_clISt17integral_constantIbLb1EESZ_EEDaSU_SV_EUlSU_E_NS1_11comp_targetILNS1_3genE5ELNS1_11target_archE942ELNS1_3gpuE9ELNS1_3repE0EEENS1_30default_config_static_selectorELNS0_4arch9wavefront6targetE0EEEvT1_.kd
    .uniform_work_group_size: 1
    .uses_dynamic_stack: false
    .vgpr_count:     0
    .vgpr_spill_count: 0
    .wavefront_size: 32
    .workgroup_processor_mode: 1
  - .args:
      - .offset:         0
        .size:           136
        .value_kind:     by_value
    .group_segment_fixed_size: 0
    .kernarg_segment_align: 8
    .kernarg_segment_size: 136
    .language:       OpenCL C
    .language_version:
      - 2
      - 0
    .max_flat_workgroup_size: 64
    .name:           _ZN7rocprim17ROCPRIM_400000_NS6detail17trampoline_kernelINS0_14default_configENS1_27scan_by_key_config_selectorIxxEEZZNS1_16scan_by_key_implILNS1_25lookback_scan_determinismE0ELb1ES3_N6thrust23THRUST_200600_302600_NS6detail15normal_iteratorINS9_10device_ptrIxEEEESE_SE_xNS9_4plusIvEENS9_8equal_toIvEExEE10hipError_tPvRmT2_T3_T4_T5_mT6_T7_P12ihipStream_tbENKUlT_T0_E_clISt17integral_constantIbLb1EESZ_EEDaSU_SV_EUlSU_E_NS1_11comp_targetILNS1_3genE4ELNS1_11target_archE910ELNS1_3gpuE8ELNS1_3repE0EEENS1_30default_config_static_selectorELNS0_4arch9wavefront6targetE0EEEvT1_
    .private_segment_fixed_size: 0
    .sgpr_count:     0
    .sgpr_spill_count: 0
    .symbol:         _ZN7rocprim17ROCPRIM_400000_NS6detail17trampoline_kernelINS0_14default_configENS1_27scan_by_key_config_selectorIxxEEZZNS1_16scan_by_key_implILNS1_25lookback_scan_determinismE0ELb1ES3_N6thrust23THRUST_200600_302600_NS6detail15normal_iteratorINS9_10device_ptrIxEEEESE_SE_xNS9_4plusIvEENS9_8equal_toIvEExEE10hipError_tPvRmT2_T3_T4_T5_mT6_T7_P12ihipStream_tbENKUlT_T0_E_clISt17integral_constantIbLb1EESZ_EEDaSU_SV_EUlSU_E_NS1_11comp_targetILNS1_3genE4ELNS1_11target_archE910ELNS1_3gpuE8ELNS1_3repE0EEENS1_30default_config_static_selectorELNS0_4arch9wavefront6targetE0EEEvT1_.kd
    .uniform_work_group_size: 1
    .uses_dynamic_stack: false
    .vgpr_count:     0
    .vgpr_spill_count: 0
    .wavefront_size: 32
    .workgroup_processor_mode: 1
  - .args:
      - .offset:         0
        .size:           136
        .value_kind:     by_value
    .group_segment_fixed_size: 0
    .kernarg_segment_align: 8
    .kernarg_segment_size: 136
    .language:       OpenCL C
    .language_version:
      - 2
      - 0
    .max_flat_workgroup_size: 256
    .name:           _ZN7rocprim17ROCPRIM_400000_NS6detail17trampoline_kernelINS0_14default_configENS1_27scan_by_key_config_selectorIxxEEZZNS1_16scan_by_key_implILNS1_25lookback_scan_determinismE0ELb1ES3_N6thrust23THRUST_200600_302600_NS6detail15normal_iteratorINS9_10device_ptrIxEEEESE_SE_xNS9_4plusIvEENS9_8equal_toIvEExEE10hipError_tPvRmT2_T3_T4_T5_mT6_T7_P12ihipStream_tbENKUlT_T0_E_clISt17integral_constantIbLb1EESZ_EEDaSU_SV_EUlSU_E_NS1_11comp_targetILNS1_3genE3ELNS1_11target_archE908ELNS1_3gpuE7ELNS1_3repE0EEENS1_30default_config_static_selectorELNS0_4arch9wavefront6targetE0EEEvT1_
    .private_segment_fixed_size: 0
    .sgpr_count:     0
    .sgpr_spill_count: 0
    .symbol:         _ZN7rocprim17ROCPRIM_400000_NS6detail17trampoline_kernelINS0_14default_configENS1_27scan_by_key_config_selectorIxxEEZZNS1_16scan_by_key_implILNS1_25lookback_scan_determinismE0ELb1ES3_N6thrust23THRUST_200600_302600_NS6detail15normal_iteratorINS9_10device_ptrIxEEEESE_SE_xNS9_4plusIvEENS9_8equal_toIvEExEE10hipError_tPvRmT2_T3_T4_T5_mT6_T7_P12ihipStream_tbENKUlT_T0_E_clISt17integral_constantIbLb1EESZ_EEDaSU_SV_EUlSU_E_NS1_11comp_targetILNS1_3genE3ELNS1_11target_archE908ELNS1_3gpuE7ELNS1_3repE0EEENS1_30default_config_static_selectorELNS0_4arch9wavefront6targetE0EEEvT1_.kd
    .uniform_work_group_size: 1
    .uses_dynamic_stack: false
    .vgpr_count:     0
    .vgpr_spill_count: 0
    .wavefront_size: 32
    .workgroup_processor_mode: 1
  - .args:
      - .offset:         0
        .size:           136
        .value_kind:     by_value
    .group_segment_fixed_size: 0
    .kernarg_segment_align: 8
    .kernarg_segment_size: 136
    .language:       OpenCL C
    .language_version:
      - 2
      - 0
    .max_flat_workgroup_size: 256
    .name:           _ZN7rocprim17ROCPRIM_400000_NS6detail17trampoline_kernelINS0_14default_configENS1_27scan_by_key_config_selectorIxxEEZZNS1_16scan_by_key_implILNS1_25lookback_scan_determinismE0ELb1ES3_N6thrust23THRUST_200600_302600_NS6detail15normal_iteratorINS9_10device_ptrIxEEEESE_SE_xNS9_4plusIvEENS9_8equal_toIvEExEE10hipError_tPvRmT2_T3_T4_T5_mT6_T7_P12ihipStream_tbENKUlT_T0_E_clISt17integral_constantIbLb1EESZ_EEDaSU_SV_EUlSU_E_NS1_11comp_targetILNS1_3genE2ELNS1_11target_archE906ELNS1_3gpuE6ELNS1_3repE0EEENS1_30default_config_static_selectorELNS0_4arch9wavefront6targetE0EEEvT1_
    .private_segment_fixed_size: 0
    .sgpr_count:     0
    .sgpr_spill_count: 0
    .symbol:         _ZN7rocprim17ROCPRIM_400000_NS6detail17trampoline_kernelINS0_14default_configENS1_27scan_by_key_config_selectorIxxEEZZNS1_16scan_by_key_implILNS1_25lookback_scan_determinismE0ELb1ES3_N6thrust23THRUST_200600_302600_NS6detail15normal_iteratorINS9_10device_ptrIxEEEESE_SE_xNS9_4plusIvEENS9_8equal_toIvEExEE10hipError_tPvRmT2_T3_T4_T5_mT6_T7_P12ihipStream_tbENKUlT_T0_E_clISt17integral_constantIbLb1EESZ_EEDaSU_SV_EUlSU_E_NS1_11comp_targetILNS1_3genE2ELNS1_11target_archE906ELNS1_3gpuE6ELNS1_3repE0EEENS1_30default_config_static_selectorELNS0_4arch9wavefront6targetE0EEEvT1_.kd
    .uniform_work_group_size: 1
    .uses_dynamic_stack: false
    .vgpr_count:     0
    .vgpr_spill_count: 0
    .wavefront_size: 32
    .workgroup_processor_mode: 1
  - .args:
      - .offset:         0
        .size:           136
        .value_kind:     by_value
    .group_segment_fixed_size: 0
    .kernarg_segment_align: 8
    .kernarg_segment_size: 136
    .language:       OpenCL C
    .language_version:
      - 2
      - 0
    .max_flat_workgroup_size: 256
    .name:           _ZN7rocprim17ROCPRIM_400000_NS6detail17trampoline_kernelINS0_14default_configENS1_27scan_by_key_config_selectorIxxEEZZNS1_16scan_by_key_implILNS1_25lookback_scan_determinismE0ELb1ES3_N6thrust23THRUST_200600_302600_NS6detail15normal_iteratorINS9_10device_ptrIxEEEESE_SE_xNS9_4plusIvEENS9_8equal_toIvEExEE10hipError_tPvRmT2_T3_T4_T5_mT6_T7_P12ihipStream_tbENKUlT_T0_E_clISt17integral_constantIbLb1EESZ_EEDaSU_SV_EUlSU_E_NS1_11comp_targetILNS1_3genE10ELNS1_11target_archE1200ELNS1_3gpuE4ELNS1_3repE0EEENS1_30default_config_static_selectorELNS0_4arch9wavefront6targetE0EEEvT1_
    .private_segment_fixed_size: 0
    .sgpr_count:     0
    .sgpr_spill_count: 0
    .symbol:         _ZN7rocprim17ROCPRIM_400000_NS6detail17trampoline_kernelINS0_14default_configENS1_27scan_by_key_config_selectorIxxEEZZNS1_16scan_by_key_implILNS1_25lookback_scan_determinismE0ELb1ES3_N6thrust23THRUST_200600_302600_NS6detail15normal_iteratorINS9_10device_ptrIxEEEESE_SE_xNS9_4plusIvEENS9_8equal_toIvEExEE10hipError_tPvRmT2_T3_T4_T5_mT6_T7_P12ihipStream_tbENKUlT_T0_E_clISt17integral_constantIbLb1EESZ_EEDaSU_SV_EUlSU_E_NS1_11comp_targetILNS1_3genE10ELNS1_11target_archE1200ELNS1_3gpuE4ELNS1_3repE0EEENS1_30default_config_static_selectorELNS0_4arch9wavefront6targetE0EEEvT1_.kd
    .uniform_work_group_size: 1
    .uses_dynamic_stack: false
    .vgpr_count:     0
    .vgpr_spill_count: 0
    .wavefront_size: 32
    .workgroup_processor_mode: 1
  - .args:
      - .offset:         0
        .size:           136
        .value_kind:     by_value
    .group_segment_fixed_size: 0
    .kernarg_segment_align: 8
    .kernarg_segment_size: 136
    .language:       OpenCL C
    .language_version:
      - 2
      - 0
    .max_flat_workgroup_size: 256
    .name:           _ZN7rocprim17ROCPRIM_400000_NS6detail17trampoline_kernelINS0_14default_configENS1_27scan_by_key_config_selectorIxxEEZZNS1_16scan_by_key_implILNS1_25lookback_scan_determinismE0ELb1ES3_N6thrust23THRUST_200600_302600_NS6detail15normal_iteratorINS9_10device_ptrIxEEEESE_SE_xNS9_4plusIvEENS9_8equal_toIvEExEE10hipError_tPvRmT2_T3_T4_T5_mT6_T7_P12ihipStream_tbENKUlT_T0_E_clISt17integral_constantIbLb1EESZ_EEDaSU_SV_EUlSU_E_NS1_11comp_targetILNS1_3genE9ELNS1_11target_archE1100ELNS1_3gpuE3ELNS1_3repE0EEENS1_30default_config_static_selectorELNS0_4arch9wavefront6targetE0EEEvT1_
    .private_segment_fixed_size: 0
    .sgpr_count:     0
    .sgpr_spill_count: 0
    .symbol:         _ZN7rocprim17ROCPRIM_400000_NS6detail17trampoline_kernelINS0_14default_configENS1_27scan_by_key_config_selectorIxxEEZZNS1_16scan_by_key_implILNS1_25lookback_scan_determinismE0ELb1ES3_N6thrust23THRUST_200600_302600_NS6detail15normal_iteratorINS9_10device_ptrIxEEEESE_SE_xNS9_4plusIvEENS9_8equal_toIvEExEE10hipError_tPvRmT2_T3_T4_T5_mT6_T7_P12ihipStream_tbENKUlT_T0_E_clISt17integral_constantIbLb1EESZ_EEDaSU_SV_EUlSU_E_NS1_11comp_targetILNS1_3genE9ELNS1_11target_archE1100ELNS1_3gpuE3ELNS1_3repE0EEENS1_30default_config_static_selectorELNS0_4arch9wavefront6targetE0EEEvT1_.kd
    .uniform_work_group_size: 1
    .uses_dynamic_stack: false
    .vgpr_count:     0
    .vgpr_spill_count: 0
    .wavefront_size: 32
    .workgroup_processor_mode: 1
  - .args:
      - .offset:         0
        .size:           136
        .value_kind:     by_value
    .group_segment_fixed_size: 0
    .kernarg_segment_align: 8
    .kernarg_segment_size: 136
    .language:       OpenCL C
    .language_version:
      - 2
      - 0
    .max_flat_workgroup_size: 256
    .name:           _ZN7rocprim17ROCPRIM_400000_NS6detail17trampoline_kernelINS0_14default_configENS1_27scan_by_key_config_selectorIxxEEZZNS1_16scan_by_key_implILNS1_25lookback_scan_determinismE0ELb1ES3_N6thrust23THRUST_200600_302600_NS6detail15normal_iteratorINS9_10device_ptrIxEEEESE_SE_xNS9_4plusIvEENS9_8equal_toIvEExEE10hipError_tPvRmT2_T3_T4_T5_mT6_T7_P12ihipStream_tbENKUlT_T0_E_clISt17integral_constantIbLb1EESZ_EEDaSU_SV_EUlSU_E_NS1_11comp_targetILNS1_3genE8ELNS1_11target_archE1030ELNS1_3gpuE2ELNS1_3repE0EEENS1_30default_config_static_selectorELNS0_4arch9wavefront6targetE0EEEvT1_
    .private_segment_fixed_size: 0
    .sgpr_count:     0
    .sgpr_spill_count: 0
    .symbol:         _ZN7rocprim17ROCPRIM_400000_NS6detail17trampoline_kernelINS0_14default_configENS1_27scan_by_key_config_selectorIxxEEZZNS1_16scan_by_key_implILNS1_25lookback_scan_determinismE0ELb1ES3_N6thrust23THRUST_200600_302600_NS6detail15normal_iteratorINS9_10device_ptrIxEEEESE_SE_xNS9_4plusIvEENS9_8equal_toIvEExEE10hipError_tPvRmT2_T3_T4_T5_mT6_T7_P12ihipStream_tbENKUlT_T0_E_clISt17integral_constantIbLb1EESZ_EEDaSU_SV_EUlSU_E_NS1_11comp_targetILNS1_3genE8ELNS1_11target_archE1030ELNS1_3gpuE2ELNS1_3repE0EEENS1_30default_config_static_selectorELNS0_4arch9wavefront6targetE0EEEvT1_.kd
    .uniform_work_group_size: 1
    .uses_dynamic_stack: false
    .vgpr_count:     0
    .vgpr_spill_count: 0
    .wavefront_size: 32
    .workgroup_processor_mode: 1
  - .args:
      - .offset:         0
        .size:           136
        .value_kind:     by_value
    .group_segment_fixed_size: 0
    .kernarg_segment_align: 8
    .kernarg_segment_size: 136
    .language:       OpenCL C
    .language_version:
      - 2
      - 0
    .max_flat_workgroup_size: 256
    .name:           _ZN7rocprim17ROCPRIM_400000_NS6detail17trampoline_kernelINS0_14default_configENS1_27scan_by_key_config_selectorIxxEEZZNS1_16scan_by_key_implILNS1_25lookback_scan_determinismE0ELb1ES3_N6thrust23THRUST_200600_302600_NS6detail15normal_iteratorINS9_10device_ptrIxEEEESE_SE_xNS9_4plusIvEENS9_8equal_toIvEExEE10hipError_tPvRmT2_T3_T4_T5_mT6_T7_P12ihipStream_tbENKUlT_T0_E_clISt17integral_constantIbLb1EESY_IbLb0EEEEDaSU_SV_EUlSU_E_NS1_11comp_targetILNS1_3genE0ELNS1_11target_archE4294967295ELNS1_3gpuE0ELNS1_3repE0EEENS1_30default_config_static_selectorELNS0_4arch9wavefront6targetE0EEEvT1_
    .private_segment_fixed_size: 0
    .sgpr_count:     0
    .sgpr_spill_count: 0
    .symbol:         _ZN7rocprim17ROCPRIM_400000_NS6detail17trampoline_kernelINS0_14default_configENS1_27scan_by_key_config_selectorIxxEEZZNS1_16scan_by_key_implILNS1_25lookback_scan_determinismE0ELb1ES3_N6thrust23THRUST_200600_302600_NS6detail15normal_iteratorINS9_10device_ptrIxEEEESE_SE_xNS9_4plusIvEENS9_8equal_toIvEExEE10hipError_tPvRmT2_T3_T4_T5_mT6_T7_P12ihipStream_tbENKUlT_T0_E_clISt17integral_constantIbLb1EESY_IbLb0EEEEDaSU_SV_EUlSU_E_NS1_11comp_targetILNS1_3genE0ELNS1_11target_archE4294967295ELNS1_3gpuE0ELNS1_3repE0EEENS1_30default_config_static_selectorELNS0_4arch9wavefront6targetE0EEEvT1_.kd
    .uniform_work_group_size: 1
    .uses_dynamic_stack: false
    .vgpr_count:     0
    .vgpr_spill_count: 0
    .wavefront_size: 32
    .workgroup_processor_mode: 1
  - .args:
      - .offset:         0
        .size:           136
        .value_kind:     by_value
    .group_segment_fixed_size: 0
    .kernarg_segment_align: 8
    .kernarg_segment_size: 136
    .language:       OpenCL C
    .language_version:
      - 2
      - 0
    .max_flat_workgroup_size: 256
    .name:           _ZN7rocprim17ROCPRIM_400000_NS6detail17trampoline_kernelINS0_14default_configENS1_27scan_by_key_config_selectorIxxEEZZNS1_16scan_by_key_implILNS1_25lookback_scan_determinismE0ELb1ES3_N6thrust23THRUST_200600_302600_NS6detail15normal_iteratorINS9_10device_ptrIxEEEESE_SE_xNS9_4plusIvEENS9_8equal_toIvEExEE10hipError_tPvRmT2_T3_T4_T5_mT6_T7_P12ihipStream_tbENKUlT_T0_E_clISt17integral_constantIbLb1EESY_IbLb0EEEEDaSU_SV_EUlSU_E_NS1_11comp_targetILNS1_3genE10ELNS1_11target_archE1201ELNS1_3gpuE5ELNS1_3repE0EEENS1_30default_config_static_selectorELNS0_4arch9wavefront6targetE0EEEvT1_
    .private_segment_fixed_size: 0
    .sgpr_count:     0
    .sgpr_spill_count: 0
    .symbol:         _ZN7rocprim17ROCPRIM_400000_NS6detail17trampoline_kernelINS0_14default_configENS1_27scan_by_key_config_selectorIxxEEZZNS1_16scan_by_key_implILNS1_25lookback_scan_determinismE0ELb1ES3_N6thrust23THRUST_200600_302600_NS6detail15normal_iteratorINS9_10device_ptrIxEEEESE_SE_xNS9_4plusIvEENS9_8equal_toIvEExEE10hipError_tPvRmT2_T3_T4_T5_mT6_T7_P12ihipStream_tbENKUlT_T0_E_clISt17integral_constantIbLb1EESY_IbLb0EEEEDaSU_SV_EUlSU_E_NS1_11comp_targetILNS1_3genE10ELNS1_11target_archE1201ELNS1_3gpuE5ELNS1_3repE0EEENS1_30default_config_static_selectorELNS0_4arch9wavefront6targetE0EEEvT1_.kd
    .uniform_work_group_size: 1
    .uses_dynamic_stack: false
    .vgpr_count:     0
    .vgpr_spill_count: 0
    .wavefront_size: 32
    .workgroup_processor_mode: 1
  - .args:
      - .offset:         0
        .size:           136
        .value_kind:     by_value
    .group_segment_fixed_size: 0
    .kernarg_segment_align: 8
    .kernarg_segment_size: 136
    .language:       OpenCL C
    .language_version:
      - 2
      - 0
    .max_flat_workgroup_size: 256
    .name:           _ZN7rocprim17ROCPRIM_400000_NS6detail17trampoline_kernelINS0_14default_configENS1_27scan_by_key_config_selectorIxxEEZZNS1_16scan_by_key_implILNS1_25lookback_scan_determinismE0ELb1ES3_N6thrust23THRUST_200600_302600_NS6detail15normal_iteratorINS9_10device_ptrIxEEEESE_SE_xNS9_4plusIvEENS9_8equal_toIvEExEE10hipError_tPvRmT2_T3_T4_T5_mT6_T7_P12ihipStream_tbENKUlT_T0_E_clISt17integral_constantIbLb1EESY_IbLb0EEEEDaSU_SV_EUlSU_E_NS1_11comp_targetILNS1_3genE5ELNS1_11target_archE942ELNS1_3gpuE9ELNS1_3repE0EEENS1_30default_config_static_selectorELNS0_4arch9wavefront6targetE0EEEvT1_
    .private_segment_fixed_size: 0
    .sgpr_count:     0
    .sgpr_spill_count: 0
    .symbol:         _ZN7rocprim17ROCPRIM_400000_NS6detail17trampoline_kernelINS0_14default_configENS1_27scan_by_key_config_selectorIxxEEZZNS1_16scan_by_key_implILNS1_25lookback_scan_determinismE0ELb1ES3_N6thrust23THRUST_200600_302600_NS6detail15normal_iteratorINS9_10device_ptrIxEEEESE_SE_xNS9_4plusIvEENS9_8equal_toIvEExEE10hipError_tPvRmT2_T3_T4_T5_mT6_T7_P12ihipStream_tbENKUlT_T0_E_clISt17integral_constantIbLb1EESY_IbLb0EEEEDaSU_SV_EUlSU_E_NS1_11comp_targetILNS1_3genE5ELNS1_11target_archE942ELNS1_3gpuE9ELNS1_3repE0EEENS1_30default_config_static_selectorELNS0_4arch9wavefront6targetE0EEEvT1_.kd
    .uniform_work_group_size: 1
    .uses_dynamic_stack: false
    .vgpr_count:     0
    .vgpr_spill_count: 0
    .wavefront_size: 32
    .workgroup_processor_mode: 1
  - .args:
      - .offset:         0
        .size:           136
        .value_kind:     by_value
    .group_segment_fixed_size: 0
    .kernarg_segment_align: 8
    .kernarg_segment_size: 136
    .language:       OpenCL C
    .language_version:
      - 2
      - 0
    .max_flat_workgroup_size: 64
    .name:           _ZN7rocprim17ROCPRIM_400000_NS6detail17trampoline_kernelINS0_14default_configENS1_27scan_by_key_config_selectorIxxEEZZNS1_16scan_by_key_implILNS1_25lookback_scan_determinismE0ELb1ES3_N6thrust23THRUST_200600_302600_NS6detail15normal_iteratorINS9_10device_ptrIxEEEESE_SE_xNS9_4plusIvEENS9_8equal_toIvEExEE10hipError_tPvRmT2_T3_T4_T5_mT6_T7_P12ihipStream_tbENKUlT_T0_E_clISt17integral_constantIbLb1EESY_IbLb0EEEEDaSU_SV_EUlSU_E_NS1_11comp_targetILNS1_3genE4ELNS1_11target_archE910ELNS1_3gpuE8ELNS1_3repE0EEENS1_30default_config_static_selectorELNS0_4arch9wavefront6targetE0EEEvT1_
    .private_segment_fixed_size: 0
    .sgpr_count:     0
    .sgpr_spill_count: 0
    .symbol:         _ZN7rocprim17ROCPRIM_400000_NS6detail17trampoline_kernelINS0_14default_configENS1_27scan_by_key_config_selectorIxxEEZZNS1_16scan_by_key_implILNS1_25lookback_scan_determinismE0ELb1ES3_N6thrust23THRUST_200600_302600_NS6detail15normal_iteratorINS9_10device_ptrIxEEEESE_SE_xNS9_4plusIvEENS9_8equal_toIvEExEE10hipError_tPvRmT2_T3_T4_T5_mT6_T7_P12ihipStream_tbENKUlT_T0_E_clISt17integral_constantIbLb1EESY_IbLb0EEEEDaSU_SV_EUlSU_E_NS1_11comp_targetILNS1_3genE4ELNS1_11target_archE910ELNS1_3gpuE8ELNS1_3repE0EEENS1_30default_config_static_selectorELNS0_4arch9wavefront6targetE0EEEvT1_.kd
    .uniform_work_group_size: 1
    .uses_dynamic_stack: false
    .vgpr_count:     0
    .vgpr_spill_count: 0
    .wavefront_size: 32
    .workgroup_processor_mode: 1
  - .args:
      - .offset:         0
        .size:           136
        .value_kind:     by_value
    .group_segment_fixed_size: 0
    .kernarg_segment_align: 8
    .kernarg_segment_size: 136
    .language:       OpenCL C
    .language_version:
      - 2
      - 0
    .max_flat_workgroup_size: 256
    .name:           _ZN7rocprim17ROCPRIM_400000_NS6detail17trampoline_kernelINS0_14default_configENS1_27scan_by_key_config_selectorIxxEEZZNS1_16scan_by_key_implILNS1_25lookback_scan_determinismE0ELb1ES3_N6thrust23THRUST_200600_302600_NS6detail15normal_iteratorINS9_10device_ptrIxEEEESE_SE_xNS9_4plusIvEENS9_8equal_toIvEExEE10hipError_tPvRmT2_T3_T4_T5_mT6_T7_P12ihipStream_tbENKUlT_T0_E_clISt17integral_constantIbLb1EESY_IbLb0EEEEDaSU_SV_EUlSU_E_NS1_11comp_targetILNS1_3genE3ELNS1_11target_archE908ELNS1_3gpuE7ELNS1_3repE0EEENS1_30default_config_static_selectorELNS0_4arch9wavefront6targetE0EEEvT1_
    .private_segment_fixed_size: 0
    .sgpr_count:     0
    .sgpr_spill_count: 0
    .symbol:         _ZN7rocprim17ROCPRIM_400000_NS6detail17trampoline_kernelINS0_14default_configENS1_27scan_by_key_config_selectorIxxEEZZNS1_16scan_by_key_implILNS1_25lookback_scan_determinismE0ELb1ES3_N6thrust23THRUST_200600_302600_NS6detail15normal_iteratorINS9_10device_ptrIxEEEESE_SE_xNS9_4plusIvEENS9_8equal_toIvEExEE10hipError_tPvRmT2_T3_T4_T5_mT6_T7_P12ihipStream_tbENKUlT_T0_E_clISt17integral_constantIbLb1EESY_IbLb0EEEEDaSU_SV_EUlSU_E_NS1_11comp_targetILNS1_3genE3ELNS1_11target_archE908ELNS1_3gpuE7ELNS1_3repE0EEENS1_30default_config_static_selectorELNS0_4arch9wavefront6targetE0EEEvT1_.kd
    .uniform_work_group_size: 1
    .uses_dynamic_stack: false
    .vgpr_count:     0
    .vgpr_spill_count: 0
    .wavefront_size: 32
    .workgroup_processor_mode: 1
  - .args:
      - .offset:         0
        .size:           136
        .value_kind:     by_value
    .group_segment_fixed_size: 0
    .kernarg_segment_align: 8
    .kernarg_segment_size: 136
    .language:       OpenCL C
    .language_version:
      - 2
      - 0
    .max_flat_workgroup_size: 256
    .name:           _ZN7rocprim17ROCPRIM_400000_NS6detail17trampoline_kernelINS0_14default_configENS1_27scan_by_key_config_selectorIxxEEZZNS1_16scan_by_key_implILNS1_25lookback_scan_determinismE0ELb1ES3_N6thrust23THRUST_200600_302600_NS6detail15normal_iteratorINS9_10device_ptrIxEEEESE_SE_xNS9_4plusIvEENS9_8equal_toIvEExEE10hipError_tPvRmT2_T3_T4_T5_mT6_T7_P12ihipStream_tbENKUlT_T0_E_clISt17integral_constantIbLb1EESY_IbLb0EEEEDaSU_SV_EUlSU_E_NS1_11comp_targetILNS1_3genE2ELNS1_11target_archE906ELNS1_3gpuE6ELNS1_3repE0EEENS1_30default_config_static_selectorELNS0_4arch9wavefront6targetE0EEEvT1_
    .private_segment_fixed_size: 0
    .sgpr_count:     0
    .sgpr_spill_count: 0
    .symbol:         _ZN7rocprim17ROCPRIM_400000_NS6detail17trampoline_kernelINS0_14default_configENS1_27scan_by_key_config_selectorIxxEEZZNS1_16scan_by_key_implILNS1_25lookback_scan_determinismE0ELb1ES3_N6thrust23THRUST_200600_302600_NS6detail15normal_iteratorINS9_10device_ptrIxEEEESE_SE_xNS9_4plusIvEENS9_8equal_toIvEExEE10hipError_tPvRmT2_T3_T4_T5_mT6_T7_P12ihipStream_tbENKUlT_T0_E_clISt17integral_constantIbLb1EESY_IbLb0EEEEDaSU_SV_EUlSU_E_NS1_11comp_targetILNS1_3genE2ELNS1_11target_archE906ELNS1_3gpuE6ELNS1_3repE0EEENS1_30default_config_static_selectorELNS0_4arch9wavefront6targetE0EEEvT1_.kd
    .uniform_work_group_size: 1
    .uses_dynamic_stack: false
    .vgpr_count:     0
    .vgpr_spill_count: 0
    .wavefront_size: 32
    .workgroup_processor_mode: 1
  - .args:
      - .offset:         0
        .size:           136
        .value_kind:     by_value
    .group_segment_fixed_size: 0
    .kernarg_segment_align: 8
    .kernarg_segment_size: 136
    .language:       OpenCL C
    .language_version:
      - 2
      - 0
    .max_flat_workgroup_size: 256
    .name:           _ZN7rocprim17ROCPRIM_400000_NS6detail17trampoline_kernelINS0_14default_configENS1_27scan_by_key_config_selectorIxxEEZZNS1_16scan_by_key_implILNS1_25lookback_scan_determinismE0ELb1ES3_N6thrust23THRUST_200600_302600_NS6detail15normal_iteratorINS9_10device_ptrIxEEEESE_SE_xNS9_4plusIvEENS9_8equal_toIvEExEE10hipError_tPvRmT2_T3_T4_T5_mT6_T7_P12ihipStream_tbENKUlT_T0_E_clISt17integral_constantIbLb1EESY_IbLb0EEEEDaSU_SV_EUlSU_E_NS1_11comp_targetILNS1_3genE10ELNS1_11target_archE1200ELNS1_3gpuE4ELNS1_3repE0EEENS1_30default_config_static_selectorELNS0_4arch9wavefront6targetE0EEEvT1_
    .private_segment_fixed_size: 0
    .sgpr_count:     0
    .sgpr_spill_count: 0
    .symbol:         _ZN7rocprim17ROCPRIM_400000_NS6detail17trampoline_kernelINS0_14default_configENS1_27scan_by_key_config_selectorIxxEEZZNS1_16scan_by_key_implILNS1_25lookback_scan_determinismE0ELb1ES3_N6thrust23THRUST_200600_302600_NS6detail15normal_iteratorINS9_10device_ptrIxEEEESE_SE_xNS9_4plusIvEENS9_8equal_toIvEExEE10hipError_tPvRmT2_T3_T4_T5_mT6_T7_P12ihipStream_tbENKUlT_T0_E_clISt17integral_constantIbLb1EESY_IbLb0EEEEDaSU_SV_EUlSU_E_NS1_11comp_targetILNS1_3genE10ELNS1_11target_archE1200ELNS1_3gpuE4ELNS1_3repE0EEENS1_30default_config_static_selectorELNS0_4arch9wavefront6targetE0EEEvT1_.kd
    .uniform_work_group_size: 1
    .uses_dynamic_stack: false
    .vgpr_count:     0
    .vgpr_spill_count: 0
    .wavefront_size: 32
    .workgroup_processor_mode: 1
  - .args:
      - .offset:         0
        .size:           136
        .value_kind:     by_value
    .group_segment_fixed_size: 0
    .kernarg_segment_align: 8
    .kernarg_segment_size: 136
    .language:       OpenCL C
    .language_version:
      - 2
      - 0
    .max_flat_workgroup_size: 256
    .name:           _ZN7rocprim17ROCPRIM_400000_NS6detail17trampoline_kernelINS0_14default_configENS1_27scan_by_key_config_selectorIxxEEZZNS1_16scan_by_key_implILNS1_25lookback_scan_determinismE0ELb1ES3_N6thrust23THRUST_200600_302600_NS6detail15normal_iteratorINS9_10device_ptrIxEEEESE_SE_xNS9_4plusIvEENS9_8equal_toIvEExEE10hipError_tPvRmT2_T3_T4_T5_mT6_T7_P12ihipStream_tbENKUlT_T0_E_clISt17integral_constantIbLb1EESY_IbLb0EEEEDaSU_SV_EUlSU_E_NS1_11comp_targetILNS1_3genE9ELNS1_11target_archE1100ELNS1_3gpuE3ELNS1_3repE0EEENS1_30default_config_static_selectorELNS0_4arch9wavefront6targetE0EEEvT1_
    .private_segment_fixed_size: 0
    .sgpr_count:     0
    .sgpr_spill_count: 0
    .symbol:         _ZN7rocprim17ROCPRIM_400000_NS6detail17trampoline_kernelINS0_14default_configENS1_27scan_by_key_config_selectorIxxEEZZNS1_16scan_by_key_implILNS1_25lookback_scan_determinismE0ELb1ES3_N6thrust23THRUST_200600_302600_NS6detail15normal_iteratorINS9_10device_ptrIxEEEESE_SE_xNS9_4plusIvEENS9_8equal_toIvEExEE10hipError_tPvRmT2_T3_T4_T5_mT6_T7_P12ihipStream_tbENKUlT_T0_E_clISt17integral_constantIbLb1EESY_IbLb0EEEEDaSU_SV_EUlSU_E_NS1_11comp_targetILNS1_3genE9ELNS1_11target_archE1100ELNS1_3gpuE3ELNS1_3repE0EEENS1_30default_config_static_selectorELNS0_4arch9wavefront6targetE0EEEvT1_.kd
    .uniform_work_group_size: 1
    .uses_dynamic_stack: false
    .vgpr_count:     0
    .vgpr_spill_count: 0
    .wavefront_size: 32
    .workgroup_processor_mode: 1
  - .args:
      - .offset:         0
        .size:           136
        .value_kind:     by_value
    .group_segment_fixed_size: 0
    .kernarg_segment_align: 8
    .kernarg_segment_size: 136
    .language:       OpenCL C
    .language_version:
      - 2
      - 0
    .max_flat_workgroup_size: 256
    .name:           _ZN7rocprim17ROCPRIM_400000_NS6detail17trampoline_kernelINS0_14default_configENS1_27scan_by_key_config_selectorIxxEEZZNS1_16scan_by_key_implILNS1_25lookback_scan_determinismE0ELb1ES3_N6thrust23THRUST_200600_302600_NS6detail15normal_iteratorINS9_10device_ptrIxEEEESE_SE_xNS9_4plusIvEENS9_8equal_toIvEExEE10hipError_tPvRmT2_T3_T4_T5_mT6_T7_P12ihipStream_tbENKUlT_T0_E_clISt17integral_constantIbLb1EESY_IbLb0EEEEDaSU_SV_EUlSU_E_NS1_11comp_targetILNS1_3genE8ELNS1_11target_archE1030ELNS1_3gpuE2ELNS1_3repE0EEENS1_30default_config_static_selectorELNS0_4arch9wavefront6targetE0EEEvT1_
    .private_segment_fixed_size: 0
    .sgpr_count:     0
    .sgpr_spill_count: 0
    .symbol:         _ZN7rocprim17ROCPRIM_400000_NS6detail17trampoline_kernelINS0_14default_configENS1_27scan_by_key_config_selectorIxxEEZZNS1_16scan_by_key_implILNS1_25lookback_scan_determinismE0ELb1ES3_N6thrust23THRUST_200600_302600_NS6detail15normal_iteratorINS9_10device_ptrIxEEEESE_SE_xNS9_4plusIvEENS9_8equal_toIvEExEE10hipError_tPvRmT2_T3_T4_T5_mT6_T7_P12ihipStream_tbENKUlT_T0_E_clISt17integral_constantIbLb1EESY_IbLb0EEEEDaSU_SV_EUlSU_E_NS1_11comp_targetILNS1_3genE8ELNS1_11target_archE1030ELNS1_3gpuE2ELNS1_3repE0EEENS1_30default_config_static_selectorELNS0_4arch9wavefront6targetE0EEEvT1_.kd
    .uniform_work_group_size: 1
    .uses_dynamic_stack: false
    .vgpr_count:     0
    .vgpr_spill_count: 0
    .wavefront_size: 32
    .workgroup_processor_mode: 1
  - .args:
      - .offset:         0
        .size:           136
        .value_kind:     by_value
    .group_segment_fixed_size: 0
    .kernarg_segment_align: 8
    .kernarg_segment_size: 136
    .language:       OpenCL C
    .language_version:
      - 2
      - 0
    .max_flat_workgroup_size: 256
    .name:           _ZN7rocprim17ROCPRIM_400000_NS6detail17trampoline_kernelINS0_14default_configENS1_27scan_by_key_config_selectorIxxEEZZNS1_16scan_by_key_implILNS1_25lookback_scan_determinismE0ELb1ES3_N6thrust23THRUST_200600_302600_NS6detail15normal_iteratorINS9_10device_ptrIxEEEESE_SE_xNS9_4plusIvEENS9_8equal_toIvEExEE10hipError_tPvRmT2_T3_T4_T5_mT6_T7_P12ihipStream_tbENKUlT_T0_E_clISt17integral_constantIbLb0EESY_IbLb1EEEEDaSU_SV_EUlSU_E_NS1_11comp_targetILNS1_3genE0ELNS1_11target_archE4294967295ELNS1_3gpuE0ELNS1_3repE0EEENS1_30default_config_static_selectorELNS0_4arch9wavefront6targetE0EEEvT1_
    .private_segment_fixed_size: 0
    .sgpr_count:     0
    .sgpr_spill_count: 0
    .symbol:         _ZN7rocprim17ROCPRIM_400000_NS6detail17trampoline_kernelINS0_14default_configENS1_27scan_by_key_config_selectorIxxEEZZNS1_16scan_by_key_implILNS1_25lookback_scan_determinismE0ELb1ES3_N6thrust23THRUST_200600_302600_NS6detail15normal_iteratorINS9_10device_ptrIxEEEESE_SE_xNS9_4plusIvEENS9_8equal_toIvEExEE10hipError_tPvRmT2_T3_T4_T5_mT6_T7_P12ihipStream_tbENKUlT_T0_E_clISt17integral_constantIbLb0EESY_IbLb1EEEEDaSU_SV_EUlSU_E_NS1_11comp_targetILNS1_3genE0ELNS1_11target_archE4294967295ELNS1_3gpuE0ELNS1_3repE0EEENS1_30default_config_static_selectorELNS0_4arch9wavefront6targetE0EEEvT1_.kd
    .uniform_work_group_size: 1
    .uses_dynamic_stack: false
    .vgpr_count:     0
    .vgpr_spill_count: 0
    .wavefront_size: 32
    .workgroup_processor_mode: 1
  - .args:
      - .offset:         0
        .size:           136
        .value_kind:     by_value
    .group_segment_fixed_size: 0
    .kernarg_segment_align: 8
    .kernarg_segment_size: 136
    .language:       OpenCL C
    .language_version:
      - 2
      - 0
    .max_flat_workgroup_size: 256
    .name:           _ZN7rocprim17ROCPRIM_400000_NS6detail17trampoline_kernelINS0_14default_configENS1_27scan_by_key_config_selectorIxxEEZZNS1_16scan_by_key_implILNS1_25lookback_scan_determinismE0ELb1ES3_N6thrust23THRUST_200600_302600_NS6detail15normal_iteratorINS9_10device_ptrIxEEEESE_SE_xNS9_4plusIvEENS9_8equal_toIvEExEE10hipError_tPvRmT2_T3_T4_T5_mT6_T7_P12ihipStream_tbENKUlT_T0_E_clISt17integral_constantIbLb0EESY_IbLb1EEEEDaSU_SV_EUlSU_E_NS1_11comp_targetILNS1_3genE10ELNS1_11target_archE1201ELNS1_3gpuE5ELNS1_3repE0EEENS1_30default_config_static_selectorELNS0_4arch9wavefront6targetE0EEEvT1_
    .private_segment_fixed_size: 0
    .sgpr_count:     0
    .sgpr_spill_count: 0
    .symbol:         _ZN7rocprim17ROCPRIM_400000_NS6detail17trampoline_kernelINS0_14default_configENS1_27scan_by_key_config_selectorIxxEEZZNS1_16scan_by_key_implILNS1_25lookback_scan_determinismE0ELb1ES3_N6thrust23THRUST_200600_302600_NS6detail15normal_iteratorINS9_10device_ptrIxEEEESE_SE_xNS9_4plusIvEENS9_8equal_toIvEExEE10hipError_tPvRmT2_T3_T4_T5_mT6_T7_P12ihipStream_tbENKUlT_T0_E_clISt17integral_constantIbLb0EESY_IbLb1EEEEDaSU_SV_EUlSU_E_NS1_11comp_targetILNS1_3genE10ELNS1_11target_archE1201ELNS1_3gpuE5ELNS1_3repE0EEENS1_30default_config_static_selectorELNS0_4arch9wavefront6targetE0EEEvT1_.kd
    .uniform_work_group_size: 1
    .uses_dynamic_stack: false
    .vgpr_count:     0
    .vgpr_spill_count: 0
    .wavefront_size: 32
    .workgroup_processor_mode: 1
  - .args:
      - .offset:         0
        .size:           136
        .value_kind:     by_value
    .group_segment_fixed_size: 0
    .kernarg_segment_align: 8
    .kernarg_segment_size: 136
    .language:       OpenCL C
    .language_version:
      - 2
      - 0
    .max_flat_workgroup_size: 256
    .name:           _ZN7rocprim17ROCPRIM_400000_NS6detail17trampoline_kernelINS0_14default_configENS1_27scan_by_key_config_selectorIxxEEZZNS1_16scan_by_key_implILNS1_25lookback_scan_determinismE0ELb1ES3_N6thrust23THRUST_200600_302600_NS6detail15normal_iteratorINS9_10device_ptrIxEEEESE_SE_xNS9_4plusIvEENS9_8equal_toIvEExEE10hipError_tPvRmT2_T3_T4_T5_mT6_T7_P12ihipStream_tbENKUlT_T0_E_clISt17integral_constantIbLb0EESY_IbLb1EEEEDaSU_SV_EUlSU_E_NS1_11comp_targetILNS1_3genE5ELNS1_11target_archE942ELNS1_3gpuE9ELNS1_3repE0EEENS1_30default_config_static_selectorELNS0_4arch9wavefront6targetE0EEEvT1_
    .private_segment_fixed_size: 0
    .sgpr_count:     0
    .sgpr_spill_count: 0
    .symbol:         _ZN7rocprim17ROCPRIM_400000_NS6detail17trampoline_kernelINS0_14default_configENS1_27scan_by_key_config_selectorIxxEEZZNS1_16scan_by_key_implILNS1_25lookback_scan_determinismE0ELb1ES3_N6thrust23THRUST_200600_302600_NS6detail15normal_iteratorINS9_10device_ptrIxEEEESE_SE_xNS9_4plusIvEENS9_8equal_toIvEExEE10hipError_tPvRmT2_T3_T4_T5_mT6_T7_P12ihipStream_tbENKUlT_T0_E_clISt17integral_constantIbLb0EESY_IbLb1EEEEDaSU_SV_EUlSU_E_NS1_11comp_targetILNS1_3genE5ELNS1_11target_archE942ELNS1_3gpuE9ELNS1_3repE0EEENS1_30default_config_static_selectorELNS0_4arch9wavefront6targetE0EEEvT1_.kd
    .uniform_work_group_size: 1
    .uses_dynamic_stack: false
    .vgpr_count:     0
    .vgpr_spill_count: 0
    .wavefront_size: 32
    .workgroup_processor_mode: 1
  - .args:
      - .offset:         0
        .size:           136
        .value_kind:     by_value
    .group_segment_fixed_size: 0
    .kernarg_segment_align: 8
    .kernarg_segment_size: 136
    .language:       OpenCL C
    .language_version:
      - 2
      - 0
    .max_flat_workgroup_size: 64
    .name:           _ZN7rocprim17ROCPRIM_400000_NS6detail17trampoline_kernelINS0_14default_configENS1_27scan_by_key_config_selectorIxxEEZZNS1_16scan_by_key_implILNS1_25lookback_scan_determinismE0ELb1ES3_N6thrust23THRUST_200600_302600_NS6detail15normal_iteratorINS9_10device_ptrIxEEEESE_SE_xNS9_4plusIvEENS9_8equal_toIvEExEE10hipError_tPvRmT2_T3_T4_T5_mT6_T7_P12ihipStream_tbENKUlT_T0_E_clISt17integral_constantIbLb0EESY_IbLb1EEEEDaSU_SV_EUlSU_E_NS1_11comp_targetILNS1_3genE4ELNS1_11target_archE910ELNS1_3gpuE8ELNS1_3repE0EEENS1_30default_config_static_selectorELNS0_4arch9wavefront6targetE0EEEvT1_
    .private_segment_fixed_size: 0
    .sgpr_count:     0
    .sgpr_spill_count: 0
    .symbol:         _ZN7rocprim17ROCPRIM_400000_NS6detail17trampoline_kernelINS0_14default_configENS1_27scan_by_key_config_selectorIxxEEZZNS1_16scan_by_key_implILNS1_25lookback_scan_determinismE0ELb1ES3_N6thrust23THRUST_200600_302600_NS6detail15normal_iteratorINS9_10device_ptrIxEEEESE_SE_xNS9_4plusIvEENS9_8equal_toIvEExEE10hipError_tPvRmT2_T3_T4_T5_mT6_T7_P12ihipStream_tbENKUlT_T0_E_clISt17integral_constantIbLb0EESY_IbLb1EEEEDaSU_SV_EUlSU_E_NS1_11comp_targetILNS1_3genE4ELNS1_11target_archE910ELNS1_3gpuE8ELNS1_3repE0EEENS1_30default_config_static_selectorELNS0_4arch9wavefront6targetE0EEEvT1_.kd
    .uniform_work_group_size: 1
    .uses_dynamic_stack: false
    .vgpr_count:     0
    .vgpr_spill_count: 0
    .wavefront_size: 32
    .workgroup_processor_mode: 1
  - .args:
      - .offset:         0
        .size:           136
        .value_kind:     by_value
    .group_segment_fixed_size: 0
    .kernarg_segment_align: 8
    .kernarg_segment_size: 136
    .language:       OpenCL C
    .language_version:
      - 2
      - 0
    .max_flat_workgroup_size: 256
    .name:           _ZN7rocprim17ROCPRIM_400000_NS6detail17trampoline_kernelINS0_14default_configENS1_27scan_by_key_config_selectorIxxEEZZNS1_16scan_by_key_implILNS1_25lookback_scan_determinismE0ELb1ES3_N6thrust23THRUST_200600_302600_NS6detail15normal_iteratorINS9_10device_ptrIxEEEESE_SE_xNS9_4plusIvEENS9_8equal_toIvEExEE10hipError_tPvRmT2_T3_T4_T5_mT6_T7_P12ihipStream_tbENKUlT_T0_E_clISt17integral_constantIbLb0EESY_IbLb1EEEEDaSU_SV_EUlSU_E_NS1_11comp_targetILNS1_3genE3ELNS1_11target_archE908ELNS1_3gpuE7ELNS1_3repE0EEENS1_30default_config_static_selectorELNS0_4arch9wavefront6targetE0EEEvT1_
    .private_segment_fixed_size: 0
    .sgpr_count:     0
    .sgpr_spill_count: 0
    .symbol:         _ZN7rocprim17ROCPRIM_400000_NS6detail17trampoline_kernelINS0_14default_configENS1_27scan_by_key_config_selectorIxxEEZZNS1_16scan_by_key_implILNS1_25lookback_scan_determinismE0ELb1ES3_N6thrust23THRUST_200600_302600_NS6detail15normal_iteratorINS9_10device_ptrIxEEEESE_SE_xNS9_4plusIvEENS9_8equal_toIvEExEE10hipError_tPvRmT2_T3_T4_T5_mT6_T7_P12ihipStream_tbENKUlT_T0_E_clISt17integral_constantIbLb0EESY_IbLb1EEEEDaSU_SV_EUlSU_E_NS1_11comp_targetILNS1_3genE3ELNS1_11target_archE908ELNS1_3gpuE7ELNS1_3repE0EEENS1_30default_config_static_selectorELNS0_4arch9wavefront6targetE0EEEvT1_.kd
    .uniform_work_group_size: 1
    .uses_dynamic_stack: false
    .vgpr_count:     0
    .vgpr_spill_count: 0
    .wavefront_size: 32
    .workgroup_processor_mode: 1
  - .args:
      - .offset:         0
        .size:           136
        .value_kind:     by_value
    .group_segment_fixed_size: 0
    .kernarg_segment_align: 8
    .kernarg_segment_size: 136
    .language:       OpenCL C
    .language_version:
      - 2
      - 0
    .max_flat_workgroup_size: 256
    .name:           _ZN7rocprim17ROCPRIM_400000_NS6detail17trampoline_kernelINS0_14default_configENS1_27scan_by_key_config_selectorIxxEEZZNS1_16scan_by_key_implILNS1_25lookback_scan_determinismE0ELb1ES3_N6thrust23THRUST_200600_302600_NS6detail15normal_iteratorINS9_10device_ptrIxEEEESE_SE_xNS9_4plusIvEENS9_8equal_toIvEExEE10hipError_tPvRmT2_T3_T4_T5_mT6_T7_P12ihipStream_tbENKUlT_T0_E_clISt17integral_constantIbLb0EESY_IbLb1EEEEDaSU_SV_EUlSU_E_NS1_11comp_targetILNS1_3genE2ELNS1_11target_archE906ELNS1_3gpuE6ELNS1_3repE0EEENS1_30default_config_static_selectorELNS0_4arch9wavefront6targetE0EEEvT1_
    .private_segment_fixed_size: 0
    .sgpr_count:     0
    .sgpr_spill_count: 0
    .symbol:         _ZN7rocprim17ROCPRIM_400000_NS6detail17trampoline_kernelINS0_14default_configENS1_27scan_by_key_config_selectorIxxEEZZNS1_16scan_by_key_implILNS1_25lookback_scan_determinismE0ELb1ES3_N6thrust23THRUST_200600_302600_NS6detail15normal_iteratorINS9_10device_ptrIxEEEESE_SE_xNS9_4plusIvEENS9_8equal_toIvEExEE10hipError_tPvRmT2_T3_T4_T5_mT6_T7_P12ihipStream_tbENKUlT_T0_E_clISt17integral_constantIbLb0EESY_IbLb1EEEEDaSU_SV_EUlSU_E_NS1_11comp_targetILNS1_3genE2ELNS1_11target_archE906ELNS1_3gpuE6ELNS1_3repE0EEENS1_30default_config_static_selectorELNS0_4arch9wavefront6targetE0EEEvT1_.kd
    .uniform_work_group_size: 1
    .uses_dynamic_stack: false
    .vgpr_count:     0
    .vgpr_spill_count: 0
    .wavefront_size: 32
    .workgroup_processor_mode: 1
  - .args:
      - .offset:         0
        .size:           136
        .value_kind:     by_value
    .group_segment_fixed_size: 0
    .kernarg_segment_align: 8
    .kernarg_segment_size: 136
    .language:       OpenCL C
    .language_version:
      - 2
      - 0
    .max_flat_workgroup_size: 256
    .name:           _ZN7rocprim17ROCPRIM_400000_NS6detail17trampoline_kernelINS0_14default_configENS1_27scan_by_key_config_selectorIxxEEZZNS1_16scan_by_key_implILNS1_25lookback_scan_determinismE0ELb1ES3_N6thrust23THRUST_200600_302600_NS6detail15normal_iteratorINS9_10device_ptrIxEEEESE_SE_xNS9_4plusIvEENS9_8equal_toIvEExEE10hipError_tPvRmT2_T3_T4_T5_mT6_T7_P12ihipStream_tbENKUlT_T0_E_clISt17integral_constantIbLb0EESY_IbLb1EEEEDaSU_SV_EUlSU_E_NS1_11comp_targetILNS1_3genE10ELNS1_11target_archE1200ELNS1_3gpuE4ELNS1_3repE0EEENS1_30default_config_static_selectorELNS0_4arch9wavefront6targetE0EEEvT1_
    .private_segment_fixed_size: 0
    .sgpr_count:     0
    .sgpr_spill_count: 0
    .symbol:         _ZN7rocprim17ROCPRIM_400000_NS6detail17trampoline_kernelINS0_14default_configENS1_27scan_by_key_config_selectorIxxEEZZNS1_16scan_by_key_implILNS1_25lookback_scan_determinismE0ELb1ES3_N6thrust23THRUST_200600_302600_NS6detail15normal_iteratorINS9_10device_ptrIxEEEESE_SE_xNS9_4plusIvEENS9_8equal_toIvEExEE10hipError_tPvRmT2_T3_T4_T5_mT6_T7_P12ihipStream_tbENKUlT_T0_E_clISt17integral_constantIbLb0EESY_IbLb1EEEEDaSU_SV_EUlSU_E_NS1_11comp_targetILNS1_3genE10ELNS1_11target_archE1200ELNS1_3gpuE4ELNS1_3repE0EEENS1_30default_config_static_selectorELNS0_4arch9wavefront6targetE0EEEvT1_.kd
    .uniform_work_group_size: 1
    .uses_dynamic_stack: false
    .vgpr_count:     0
    .vgpr_spill_count: 0
    .wavefront_size: 32
    .workgroup_processor_mode: 1
  - .args:
      - .offset:         0
        .size:           136
        .value_kind:     by_value
    .group_segment_fixed_size: 0
    .kernarg_segment_align: 8
    .kernarg_segment_size: 136
    .language:       OpenCL C
    .language_version:
      - 2
      - 0
    .max_flat_workgroup_size: 256
    .name:           _ZN7rocprim17ROCPRIM_400000_NS6detail17trampoline_kernelINS0_14default_configENS1_27scan_by_key_config_selectorIxxEEZZNS1_16scan_by_key_implILNS1_25lookback_scan_determinismE0ELb1ES3_N6thrust23THRUST_200600_302600_NS6detail15normal_iteratorINS9_10device_ptrIxEEEESE_SE_xNS9_4plusIvEENS9_8equal_toIvEExEE10hipError_tPvRmT2_T3_T4_T5_mT6_T7_P12ihipStream_tbENKUlT_T0_E_clISt17integral_constantIbLb0EESY_IbLb1EEEEDaSU_SV_EUlSU_E_NS1_11comp_targetILNS1_3genE9ELNS1_11target_archE1100ELNS1_3gpuE3ELNS1_3repE0EEENS1_30default_config_static_selectorELNS0_4arch9wavefront6targetE0EEEvT1_
    .private_segment_fixed_size: 0
    .sgpr_count:     0
    .sgpr_spill_count: 0
    .symbol:         _ZN7rocprim17ROCPRIM_400000_NS6detail17trampoline_kernelINS0_14default_configENS1_27scan_by_key_config_selectorIxxEEZZNS1_16scan_by_key_implILNS1_25lookback_scan_determinismE0ELb1ES3_N6thrust23THRUST_200600_302600_NS6detail15normal_iteratorINS9_10device_ptrIxEEEESE_SE_xNS9_4plusIvEENS9_8equal_toIvEExEE10hipError_tPvRmT2_T3_T4_T5_mT6_T7_P12ihipStream_tbENKUlT_T0_E_clISt17integral_constantIbLb0EESY_IbLb1EEEEDaSU_SV_EUlSU_E_NS1_11comp_targetILNS1_3genE9ELNS1_11target_archE1100ELNS1_3gpuE3ELNS1_3repE0EEENS1_30default_config_static_selectorELNS0_4arch9wavefront6targetE0EEEvT1_.kd
    .uniform_work_group_size: 1
    .uses_dynamic_stack: false
    .vgpr_count:     0
    .vgpr_spill_count: 0
    .wavefront_size: 32
    .workgroup_processor_mode: 1
  - .args:
      - .offset:         0
        .size:           136
        .value_kind:     by_value
    .group_segment_fixed_size: 30720
    .kernarg_segment_align: 8
    .kernarg_segment_size: 136
    .language:       OpenCL C
    .language_version:
      - 2
      - 0
    .max_flat_workgroup_size: 256
    .name:           _ZN7rocprim17ROCPRIM_400000_NS6detail17trampoline_kernelINS0_14default_configENS1_27scan_by_key_config_selectorIxxEEZZNS1_16scan_by_key_implILNS1_25lookback_scan_determinismE0ELb1ES3_N6thrust23THRUST_200600_302600_NS6detail15normal_iteratorINS9_10device_ptrIxEEEESE_SE_xNS9_4plusIvEENS9_8equal_toIvEExEE10hipError_tPvRmT2_T3_T4_T5_mT6_T7_P12ihipStream_tbENKUlT_T0_E_clISt17integral_constantIbLb0EESY_IbLb1EEEEDaSU_SV_EUlSU_E_NS1_11comp_targetILNS1_3genE8ELNS1_11target_archE1030ELNS1_3gpuE2ELNS1_3repE0EEENS1_30default_config_static_selectorELNS0_4arch9wavefront6targetE0EEEvT1_
    .private_segment_fixed_size: 0
    .sgpr_count:     53
    .sgpr_spill_count: 0
    .symbol:         _ZN7rocprim17ROCPRIM_400000_NS6detail17trampoline_kernelINS0_14default_configENS1_27scan_by_key_config_selectorIxxEEZZNS1_16scan_by_key_implILNS1_25lookback_scan_determinismE0ELb1ES3_N6thrust23THRUST_200600_302600_NS6detail15normal_iteratorINS9_10device_ptrIxEEEESE_SE_xNS9_4plusIvEENS9_8equal_toIvEExEE10hipError_tPvRmT2_T3_T4_T5_mT6_T7_P12ihipStream_tbENKUlT_T0_E_clISt17integral_constantIbLb0EESY_IbLb1EEEEDaSU_SV_EUlSU_E_NS1_11comp_targetILNS1_3genE8ELNS1_11target_archE1030ELNS1_3gpuE2ELNS1_3repE0EEENS1_30default_config_static_selectorELNS0_4arch9wavefront6targetE0EEEvT1_.kd
    .uniform_work_group_size: 1
    .uses_dynamic_stack: false
    .vgpr_count:     109
    .vgpr_spill_count: 0
    .wavefront_size: 32
    .workgroup_processor_mode: 1
  - .args:
      - .offset:         0
        .size:           136
        .value_kind:     by_value
    .group_segment_fixed_size: 0
    .kernarg_segment_align: 8
    .kernarg_segment_size: 136
    .language:       OpenCL C
    .language_version:
      - 2
      - 0
    .max_flat_workgroup_size: 256
    .name:           _ZN7rocprim17ROCPRIM_400000_NS6detail17trampoline_kernelINS0_14default_configENS1_27scan_by_key_config_selectorIxxEEZZNS1_16scan_by_key_implILNS1_25lookback_scan_determinismE0ELb1ES3_N6thrust23THRUST_200600_302600_NS6detail15normal_iteratorINS9_10device_ptrIxEEEESE_SE_xNS9_10multipliesIxEENS9_8equal_toIxEExEE10hipError_tPvRmT2_T3_T4_T5_mT6_T7_P12ihipStream_tbENKUlT_T0_E_clISt17integral_constantIbLb0EESZ_EEDaSU_SV_EUlSU_E_NS1_11comp_targetILNS1_3genE0ELNS1_11target_archE4294967295ELNS1_3gpuE0ELNS1_3repE0EEENS1_30default_config_static_selectorELNS0_4arch9wavefront6targetE0EEEvT1_
    .private_segment_fixed_size: 0
    .sgpr_count:     0
    .sgpr_spill_count: 0
    .symbol:         _ZN7rocprim17ROCPRIM_400000_NS6detail17trampoline_kernelINS0_14default_configENS1_27scan_by_key_config_selectorIxxEEZZNS1_16scan_by_key_implILNS1_25lookback_scan_determinismE0ELb1ES3_N6thrust23THRUST_200600_302600_NS6detail15normal_iteratorINS9_10device_ptrIxEEEESE_SE_xNS9_10multipliesIxEENS9_8equal_toIxEExEE10hipError_tPvRmT2_T3_T4_T5_mT6_T7_P12ihipStream_tbENKUlT_T0_E_clISt17integral_constantIbLb0EESZ_EEDaSU_SV_EUlSU_E_NS1_11comp_targetILNS1_3genE0ELNS1_11target_archE4294967295ELNS1_3gpuE0ELNS1_3repE0EEENS1_30default_config_static_selectorELNS0_4arch9wavefront6targetE0EEEvT1_.kd
    .uniform_work_group_size: 1
    .uses_dynamic_stack: false
    .vgpr_count:     0
    .vgpr_spill_count: 0
    .wavefront_size: 32
    .workgroup_processor_mode: 1
  - .args:
      - .offset:         0
        .size:           136
        .value_kind:     by_value
    .group_segment_fixed_size: 0
    .kernarg_segment_align: 8
    .kernarg_segment_size: 136
    .language:       OpenCL C
    .language_version:
      - 2
      - 0
    .max_flat_workgroup_size: 256
    .name:           _ZN7rocprim17ROCPRIM_400000_NS6detail17trampoline_kernelINS0_14default_configENS1_27scan_by_key_config_selectorIxxEEZZNS1_16scan_by_key_implILNS1_25lookback_scan_determinismE0ELb1ES3_N6thrust23THRUST_200600_302600_NS6detail15normal_iteratorINS9_10device_ptrIxEEEESE_SE_xNS9_10multipliesIxEENS9_8equal_toIxEExEE10hipError_tPvRmT2_T3_T4_T5_mT6_T7_P12ihipStream_tbENKUlT_T0_E_clISt17integral_constantIbLb0EESZ_EEDaSU_SV_EUlSU_E_NS1_11comp_targetILNS1_3genE10ELNS1_11target_archE1201ELNS1_3gpuE5ELNS1_3repE0EEENS1_30default_config_static_selectorELNS0_4arch9wavefront6targetE0EEEvT1_
    .private_segment_fixed_size: 0
    .sgpr_count:     0
    .sgpr_spill_count: 0
    .symbol:         _ZN7rocprim17ROCPRIM_400000_NS6detail17trampoline_kernelINS0_14default_configENS1_27scan_by_key_config_selectorIxxEEZZNS1_16scan_by_key_implILNS1_25lookback_scan_determinismE0ELb1ES3_N6thrust23THRUST_200600_302600_NS6detail15normal_iteratorINS9_10device_ptrIxEEEESE_SE_xNS9_10multipliesIxEENS9_8equal_toIxEExEE10hipError_tPvRmT2_T3_T4_T5_mT6_T7_P12ihipStream_tbENKUlT_T0_E_clISt17integral_constantIbLb0EESZ_EEDaSU_SV_EUlSU_E_NS1_11comp_targetILNS1_3genE10ELNS1_11target_archE1201ELNS1_3gpuE5ELNS1_3repE0EEENS1_30default_config_static_selectorELNS0_4arch9wavefront6targetE0EEEvT1_.kd
    .uniform_work_group_size: 1
    .uses_dynamic_stack: false
    .vgpr_count:     0
    .vgpr_spill_count: 0
    .wavefront_size: 32
    .workgroup_processor_mode: 1
  - .args:
      - .offset:         0
        .size:           136
        .value_kind:     by_value
    .group_segment_fixed_size: 0
    .kernarg_segment_align: 8
    .kernarg_segment_size: 136
    .language:       OpenCL C
    .language_version:
      - 2
      - 0
    .max_flat_workgroup_size: 256
    .name:           _ZN7rocprim17ROCPRIM_400000_NS6detail17trampoline_kernelINS0_14default_configENS1_27scan_by_key_config_selectorIxxEEZZNS1_16scan_by_key_implILNS1_25lookback_scan_determinismE0ELb1ES3_N6thrust23THRUST_200600_302600_NS6detail15normal_iteratorINS9_10device_ptrIxEEEESE_SE_xNS9_10multipliesIxEENS9_8equal_toIxEExEE10hipError_tPvRmT2_T3_T4_T5_mT6_T7_P12ihipStream_tbENKUlT_T0_E_clISt17integral_constantIbLb0EESZ_EEDaSU_SV_EUlSU_E_NS1_11comp_targetILNS1_3genE5ELNS1_11target_archE942ELNS1_3gpuE9ELNS1_3repE0EEENS1_30default_config_static_selectorELNS0_4arch9wavefront6targetE0EEEvT1_
    .private_segment_fixed_size: 0
    .sgpr_count:     0
    .sgpr_spill_count: 0
    .symbol:         _ZN7rocprim17ROCPRIM_400000_NS6detail17trampoline_kernelINS0_14default_configENS1_27scan_by_key_config_selectorIxxEEZZNS1_16scan_by_key_implILNS1_25lookback_scan_determinismE0ELb1ES3_N6thrust23THRUST_200600_302600_NS6detail15normal_iteratorINS9_10device_ptrIxEEEESE_SE_xNS9_10multipliesIxEENS9_8equal_toIxEExEE10hipError_tPvRmT2_T3_T4_T5_mT6_T7_P12ihipStream_tbENKUlT_T0_E_clISt17integral_constantIbLb0EESZ_EEDaSU_SV_EUlSU_E_NS1_11comp_targetILNS1_3genE5ELNS1_11target_archE942ELNS1_3gpuE9ELNS1_3repE0EEENS1_30default_config_static_selectorELNS0_4arch9wavefront6targetE0EEEvT1_.kd
    .uniform_work_group_size: 1
    .uses_dynamic_stack: false
    .vgpr_count:     0
    .vgpr_spill_count: 0
    .wavefront_size: 32
    .workgroup_processor_mode: 1
  - .args:
      - .offset:         0
        .size:           136
        .value_kind:     by_value
    .group_segment_fixed_size: 0
    .kernarg_segment_align: 8
    .kernarg_segment_size: 136
    .language:       OpenCL C
    .language_version:
      - 2
      - 0
    .max_flat_workgroup_size: 64
    .name:           _ZN7rocprim17ROCPRIM_400000_NS6detail17trampoline_kernelINS0_14default_configENS1_27scan_by_key_config_selectorIxxEEZZNS1_16scan_by_key_implILNS1_25lookback_scan_determinismE0ELb1ES3_N6thrust23THRUST_200600_302600_NS6detail15normal_iteratorINS9_10device_ptrIxEEEESE_SE_xNS9_10multipliesIxEENS9_8equal_toIxEExEE10hipError_tPvRmT2_T3_T4_T5_mT6_T7_P12ihipStream_tbENKUlT_T0_E_clISt17integral_constantIbLb0EESZ_EEDaSU_SV_EUlSU_E_NS1_11comp_targetILNS1_3genE4ELNS1_11target_archE910ELNS1_3gpuE8ELNS1_3repE0EEENS1_30default_config_static_selectorELNS0_4arch9wavefront6targetE0EEEvT1_
    .private_segment_fixed_size: 0
    .sgpr_count:     0
    .sgpr_spill_count: 0
    .symbol:         _ZN7rocprim17ROCPRIM_400000_NS6detail17trampoline_kernelINS0_14default_configENS1_27scan_by_key_config_selectorIxxEEZZNS1_16scan_by_key_implILNS1_25lookback_scan_determinismE0ELb1ES3_N6thrust23THRUST_200600_302600_NS6detail15normal_iteratorINS9_10device_ptrIxEEEESE_SE_xNS9_10multipliesIxEENS9_8equal_toIxEExEE10hipError_tPvRmT2_T3_T4_T5_mT6_T7_P12ihipStream_tbENKUlT_T0_E_clISt17integral_constantIbLb0EESZ_EEDaSU_SV_EUlSU_E_NS1_11comp_targetILNS1_3genE4ELNS1_11target_archE910ELNS1_3gpuE8ELNS1_3repE0EEENS1_30default_config_static_selectorELNS0_4arch9wavefront6targetE0EEEvT1_.kd
    .uniform_work_group_size: 1
    .uses_dynamic_stack: false
    .vgpr_count:     0
    .vgpr_spill_count: 0
    .wavefront_size: 32
    .workgroup_processor_mode: 1
  - .args:
      - .offset:         0
        .size:           136
        .value_kind:     by_value
    .group_segment_fixed_size: 0
    .kernarg_segment_align: 8
    .kernarg_segment_size: 136
    .language:       OpenCL C
    .language_version:
      - 2
      - 0
    .max_flat_workgroup_size: 256
    .name:           _ZN7rocprim17ROCPRIM_400000_NS6detail17trampoline_kernelINS0_14default_configENS1_27scan_by_key_config_selectorIxxEEZZNS1_16scan_by_key_implILNS1_25lookback_scan_determinismE0ELb1ES3_N6thrust23THRUST_200600_302600_NS6detail15normal_iteratorINS9_10device_ptrIxEEEESE_SE_xNS9_10multipliesIxEENS9_8equal_toIxEExEE10hipError_tPvRmT2_T3_T4_T5_mT6_T7_P12ihipStream_tbENKUlT_T0_E_clISt17integral_constantIbLb0EESZ_EEDaSU_SV_EUlSU_E_NS1_11comp_targetILNS1_3genE3ELNS1_11target_archE908ELNS1_3gpuE7ELNS1_3repE0EEENS1_30default_config_static_selectorELNS0_4arch9wavefront6targetE0EEEvT1_
    .private_segment_fixed_size: 0
    .sgpr_count:     0
    .sgpr_spill_count: 0
    .symbol:         _ZN7rocprim17ROCPRIM_400000_NS6detail17trampoline_kernelINS0_14default_configENS1_27scan_by_key_config_selectorIxxEEZZNS1_16scan_by_key_implILNS1_25lookback_scan_determinismE0ELb1ES3_N6thrust23THRUST_200600_302600_NS6detail15normal_iteratorINS9_10device_ptrIxEEEESE_SE_xNS9_10multipliesIxEENS9_8equal_toIxEExEE10hipError_tPvRmT2_T3_T4_T5_mT6_T7_P12ihipStream_tbENKUlT_T0_E_clISt17integral_constantIbLb0EESZ_EEDaSU_SV_EUlSU_E_NS1_11comp_targetILNS1_3genE3ELNS1_11target_archE908ELNS1_3gpuE7ELNS1_3repE0EEENS1_30default_config_static_selectorELNS0_4arch9wavefront6targetE0EEEvT1_.kd
    .uniform_work_group_size: 1
    .uses_dynamic_stack: false
    .vgpr_count:     0
    .vgpr_spill_count: 0
    .wavefront_size: 32
    .workgroup_processor_mode: 1
  - .args:
      - .offset:         0
        .size:           136
        .value_kind:     by_value
    .group_segment_fixed_size: 0
    .kernarg_segment_align: 8
    .kernarg_segment_size: 136
    .language:       OpenCL C
    .language_version:
      - 2
      - 0
    .max_flat_workgroup_size: 256
    .name:           _ZN7rocprim17ROCPRIM_400000_NS6detail17trampoline_kernelINS0_14default_configENS1_27scan_by_key_config_selectorIxxEEZZNS1_16scan_by_key_implILNS1_25lookback_scan_determinismE0ELb1ES3_N6thrust23THRUST_200600_302600_NS6detail15normal_iteratorINS9_10device_ptrIxEEEESE_SE_xNS9_10multipliesIxEENS9_8equal_toIxEExEE10hipError_tPvRmT2_T3_T4_T5_mT6_T7_P12ihipStream_tbENKUlT_T0_E_clISt17integral_constantIbLb0EESZ_EEDaSU_SV_EUlSU_E_NS1_11comp_targetILNS1_3genE2ELNS1_11target_archE906ELNS1_3gpuE6ELNS1_3repE0EEENS1_30default_config_static_selectorELNS0_4arch9wavefront6targetE0EEEvT1_
    .private_segment_fixed_size: 0
    .sgpr_count:     0
    .sgpr_spill_count: 0
    .symbol:         _ZN7rocprim17ROCPRIM_400000_NS6detail17trampoline_kernelINS0_14default_configENS1_27scan_by_key_config_selectorIxxEEZZNS1_16scan_by_key_implILNS1_25lookback_scan_determinismE0ELb1ES3_N6thrust23THRUST_200600_302600_NS6detail15normal_iteratorINS9_10device_ptrIxEEEESE_SE_xNS9_10multipliesIxEENS9_8equal_toIxEExEE10hipError_tPvRmT2_T3_T4_T5_mT6_T7_P12ihipStream_tbENKUlT_T0_E_clISt17integral_constantIbLb0EESZ_EEDaSU_SV_EUlSU_E_NS1_11comp_targetILNS1_3genE2ELNS1_11target_archE906ELNS1_3gpuE6ELNS1_3repE0EEENS1_30default_config_static_selectorELNS0_4arch9wavefront6targetE0EEEvT1_.kd
    .uniform_work_group_size: 1
    .uses_dynamic_stack: false
    .vgpr_count:     0
    .vgpr_spill_count: 0
    .wavefront_size: 32
    .workgroup_processor_mode: 1
  - .args:
      - .offset:         0
        .size:           136
        .value_kind:     by_value
    .group_segment_fixed_size: 0
    .kernarg_segment_align: 8
    .kernarg_segment_size: 136
    .language:       OpenCL C
    .language_version:
      - 2
      - 0
    .max_flat_workgroup_size: 256
    .name:           _ZN7rocprim17ROCPRIM_400000_NS6detail17trampoline_kernelINS0_14default_configENS1_27scan_by_key_config_selectorIxxEEZZNS1_16scan_by_key_implILNS1_25lookback_scan_determinismE0ELb1ES3_N6thrust23THRUST_200600_302600_NS6detail15normal_iteratorINS9_10device_ptrIxEEEESE_SE_xNS9_10multipliesIxEENS9_8equal_toIxEExEE10hipError_tPvRmT2_T3_T4_T5_mT6_T7_P12ihipStream_tbENKUlT_T0_E_clISt17integral_constantIbLb0EESZ_EEDaSU_SV_EUlSU_E_NS1_11comp_targetILNS1_3genE10ELNS1_11target_archE1200ELNS1_3gpuE4ELNS1_3repE0EEENS1_30default_config_static_selectorELNS0_4arch9wavefront6targetE0EEEvT1_
    .private_segment_fixed_size: 0
    .sgpr_count:     0
    .sgpr_spill_count: 0
    .symbol:         _ZN7rocprim17ROCPRIM_400000_NS6detail17trampoline_kernelINS0_14default_configENS1_27scan_by_key_config_selectorIxxEEZZNS1_16scan_by_key_implILNS1_25lookback_scan_determinismE0ELb1ES3_N6thrust23THRUST_200600_302600_NS6detail15normal_iteratorINS9_10device_ptrIxEEEESE_SE_xNS9_10multipliesIxEENS9_8equal_toIxEExEE10hipError_tPvRmT2_T3_T4_T5_mT6_T7_P12ihipStream_tbENKUlT_T0_E_clISt17integral_constantIbLb0EESZ_EEDaSU_SV_EUlSU_E_NS1_11comp_targetILNS1_3genE10ELNS1_11target_archE1200ELNS1_3gpuE4ELNS1_3repE0EEENS1_30default_config_static_selectorELNS0_4arch9wavefront6targetE0EEEvT1_.kd
    .uniform_work_group_size: 1
    .uses_dynamic_stack: false
    .vgpr_count:     0
    .vgpr_spill_count: 0
    .wavefront_size: 32
    .workgroup_processor_mode: 1
  - .args:
      - .offset:         0
        .size:           136
        .value_kind:     by_value
    .group_segment_fixed_size: 0
    .kernarg_segment_align: 8
    .kernarg_segment_size: 136
    .language:       OpenCL C
    .language_version:
      - 2
      - 0
    .max_flat_workgroup_size: 256
    .name:           _ZN7rocprim17ROCPRIM_400000_NS6detail17trampoline_kernelINS0_14default_configENS1_27scan_by_key_config_selectorIxxEEZZNS1_16scan_by_key_implILNS1_25lookback_scan_determinismE0ELb1ES3_N6thrust23THRUST_200600_302600_NS6detail15normal_iteratorINS9_10device_ptrIxEEEESE_SE_xNS9_10multipliesIxEENS9_8equal_toIxEExEE10hipError_tPvRmT2_T3_T4_T5_mT6_T7_P12ihipStream_tbENKUlT_T0_E_clISt17integral_constantIbLb0EESZ_EEDaSU_SV_EUlSU_E_NS1_11comp_targetILNS1_3genE9ELNS1_11target_archE1100ELNS1_3gpuE3ELNS1_3repE0EEENS1_30default_config_static_selectorELNS0_4arch9wavefront6targetE0EEEvT1_
    .private_segment_fixed_size: 0
    .sgpr_count:     0
    .sgpr_spill_count: 0
    .symbol:         _ZN7rocprim17ROCPRIM_400000_NS6detail17trampoline_kernelINS0_14default_configENS1_27scan_by_key_config_selectorIxxEEZZNS1_16scan_by_key_implILNS1_25lookback_scan_determinismE0ELb1ES3_N6thrust23THRUST_200600_302600_NS6detail15normal_iteratorINS9_10device_ptrIxEEEESE_SE_xNS9_10multipliesIxEENS9_8equal_toIxEExEE10hipError_tPvRmT2_T3_T4_T5_mT6_T7_P12ihipStream_tbENKUlT_T0_E_clISt17integral_constantIbLb0EESZ_EEDaSU_SV_EUlSU_E_NS1_11comp_targetILNS1_3genE9ELNS1_11target_archE1100ELNS1_3gpuE3ELNS1_3repE0EEENS1_30default_config_static_selectorELNS0_4arch9wavefront6targetE0EEEvT1_.kd
    .uniform_work_group_size: 1
    .uses_dynamic_stack: false
    .vgpr_count:     0
    .vgpr_spill_count: 0
    .wavefront_size: 32
    .workgroup_processor_mode: 1
  - .args:
      - .offset:         0
        .size:           136
        .value_kind:     by_value
    .group_segment_fixed_size: 30720
    .kernarg_segment_align: 8
    .kernarg_segment_size: 136
    .language:       OpenCL C
    .language_version:
      - 2
      - 0
    .max_flat_workgroup_size: 256
    .name:           _ZN7rocprim17ROCPRIM_400000_NS6detail17trampoline_kernelINS0_14default_configENS1_27scan_by_key_config_selectorIxxEEZZNS1_16scan_by_key_implILNS1_25lookback_scan_determinismE0ELb1ES3_N6thrust23THRUST_200600_302600_NS6detail15normal_iteratorINS9_10device_ptrIxEEEESE_SE_xNS9_10multipliesIxEENS9_8equal_toIxEExEE10hipError_tPvRmT2_T3_T4_T5_mT6_T7_P12ihipStream_tbENKUlT_T0_E_clISt17integral_constantIbLb0EESZ_EEDaSU_SV_EUlSU_E_NS1_11comp_targetILNS1_3genE8ELNS1_11target_archE1030ELNS1_3gpuE2ELNS1_3repE0EEENS1_30default_config_static_selectorELNS0_4arch9wavefront6targetE0EEEvT1_
    .private_segment_fixed_size: 0
    .sgpr_count:     57
    .sgpr_spill_count: 0
    .symbol:         _ZN7rocprim17ROCPRIM_400000_NS6detail17trampoline_kernelINS0_14default_configENS1_27scan_by_key_config_selectorIxxEEZZNS1_16scan_by_key_implILNS1_25lookback_scan_determinismE0ELb1ES3_N6thrust23THRUST_200600_302600_NS6detail15normal_iteratorINS9_10device_ptrIxEEEESE_SE_xNS9_10multipliesIxEENS9_8equal_toIxEExEE10hipError_tPvRmT2_T3_T4_T5_mT6_T7_P12ihipStream_tbENKUlT_T0_E_clISt17integral_constantIbLb0EESZ_EEDaSU_SV_EUlSU_E_NS1_11comp_targetILNS1_3genE8ELNS1_11target_archE1030ELNS1_3gpuE2ELNS1_3repE0EEENS1_30default_config_static_selectorELNS0_4arch9wavefront6targetE0EEEvT1_.kd
    .uniform_work_group_size: 1
    .uses_dynamic_stack: false
    .vgpr_count:     103
    .vgpr_spill_count: 0
    .wavefront_size: 32
    .workgroup_processor_mode: 1
  - .args:
      - .offset:         0
        .size:           136
        .value_kind:     by_value
    .group_segment_fixed_size: 0
    .kernarg_segment_align: 8
    .kernarg_segment_size: 136
    .language:       OpenCL C
    .language_version:
      - 2
      - 0
    .max_flat_workgroup_size: 256
    .name:           _ZN7rocprim17ROCPRIM_400000_NS6detail17trampoline_kernelINS0_14default_configENS1_27scan_by_key_config_selectorIxxEEZZNS1_16scan_by_key_implILNS1_25lookback_scan_determinismE0ELb1ES3_N6thrust23THRUST_200600_302600_NS6detail15normal_iteratorINS9_10device_ptrIxEEEESE_SE_xNS9_10multipliesIxEENS9_8equal_toIxEExEE10hipError_tPvRmT2_T3_T4_T5_mT6_T7_P12ihipStream_tbENKUlT_T0_E_clISt17integral_constantIbLb1EESZ_EEDaSU_SV_EUlSU_E_NS1_11comp_targetILNS1_3genE0ELNS1_11target_archE4294967295ELNS1_3gpuE0ELNS1_3repE0EEENS1_30default_config_static_selectorELNS0_4arch9wavefront6targetE0EEEvT1_
    .private_segment_fixed_size: 0
    .sgpr_count:     0
    .sgpr_spill_count: 0
    .symbol:         _ZN7rocprim17ROCPRIM_400000_NS6detail17trampoline_kernelINS0_14default_configENS1_27scan_by_key_config_selectorIxxEEZZNS1_16scan_by_key_implILNS1_25lookback_scan_determinismE0ELb1ES3_N6thrust23THRUST_200600_302600_NS6detail15normal_iteratorINS9_10device_ptrIxEEEESE_SE_xNS9_10multipliesIxEENS9_8equal_toIxEExEE10hipError_tPvRmT2_T3_T4_T5_mT6_T7_P12ihipStream_tbENKUlT_T0_E_clISt17integral_constantIbLb1EESZ_EEDaSU_SV_EUlSU_E_NS1_11comp_targetILNS1_3genE0ELNS1_11target_archE4294967295ELNS1_3gpuE0ELNS1_3repE0EEENS1_30default_config_static_selectorELNS0_4arch9wavefront6targetE0EEEvT1_.kd
    .uniform_work_group_size: 1
    .uses_dynamic_stack: false
    .vgpr_count:     0
    .vgpr_spill_count: 0
    .wavefront_size: 32
    .workgroup_processor_mode: 1
  - .args:
      - .offset:         0
        .size:           136
        .value_kind:     by_value
    .group_segment_fixed_size: 0
    .kernarg_segment_align: 8
    .kernarg_segment_size: 136
    .language:       OpenCL C
    .language_version:
      - 2
      - 0
    .max_flat_workgroup_size: 256
    .name:           _ZN7rocprim17ROCPRIM_400000_NS6detail17trampoline_kernelINS0_14default_configENS1_27scan_by_key_config_selectorIxxEEZZNS1_16scan_by_key_implILNS1_25lookback_scan_determinismE0ELb1ES3_N6thrust23THRUST_200600_302600_NS6detail15normal_iteratorINS9_10device_ptrIxEEEESE_SE_xNS9_10multipliesIxEENS9_8equal_toIxEExEE10hipError_tPvRmT2_T3_T4_T5_mT6_T7_P12ihipStream_tbENKUlT_T0_E_clISt17integral_constantIbLb1EESZ_EEDaSU_SV_EUlSU_E_NS1_11comp_targetILNS1_3genE10ELNS1_11target_archE1201ELNS1_3gpuE5ELNS1_3repE0EEENS1_30default_config_static_selectorELNS0_4arch9wavefront6targetE0EEEvT1_
    .private_segment_fixed_size: 0
    .sgpr_count:     0
    .sgpr_spill_count: 0
    .symbol:         _ZN7rocprim17ROCPRIM_400000_NS6detail17trampoline_kernelINS0_14default_configENS1_27scan_by_key_config_selectorIxxEEZZNS1_16scan_by_key_implILNS1_25lookback_scan_determinismE0ELb1ES3_N6thrust23THRUST_200600_302600_NS6detail15normal_iteratorINS9_10device_ptrIxEEEESE_SE_xNS9_10multipliesIxEENS9_8equal_toIxEExEE10hipError_tPvRmT2_T3_T4_T5_mT6_T7_P12ihipStream_tbENKUlT_T0_E_clISt17integral_constantIbLb1EESZ_EEDaSU_SV_EUlSU_E_NS1_11comp_targetILNS1_3genE10ELNS1_11target_archE1201ELNS1_3gpuE5ELNS1_3repE0EEENS1_30default_config_static_selectorELNS0_4arch9wavefront6targetE0EEEvT1_.kd
    .uniform_work_group_size: 1
    .uses_dynamic_stack: false
    .vgpr_count:     0
    .vgpr_spill_count: 0
    .wavefront_size: 32
    .workgroup_processor_mode: 1
  - .args:
      - .offset:         0
        .size:           136
        .value_kind:     by_value
    .group_segment_fixed_size: 0
    .kernarg_segment_align: 8
    .kernarg_segment_size: 136
    .language:       OpenCL C
    .language_version:
      - 2
      - 0
    .max_flat_workgroup_size: 256
    .name:           _ZN7rocprim17ROCPRIM_400000_NS6detail17trampoline_kernelINS0_14default_configENS1_27scan_by_key_config_selectorIxxEEZZNS1_16scan_by_key_implILNS1_25lookback_scan_determinismE0ELb1ES3_N6thrust23THRUST_200600_302600_NS6detail15normal_iteratorINS9_10device_ptrIxEEEESE_SE_xNS9_10multipliesIxEENS9_8equal_toIxEExEE10hipError_tPvRmT2_T3_T4_T5_mT6_T7_P12ihipStream_tbENKUlT_T0_E_clISt17integral_constantIbLb1EESZ_EEDaSU_SV_EUlSU_E_NS1_11comp_targetILNS1_3genE5ELNS1_11target_archE942ELNS1_3gpuE9ELNS1_3repE0EEENS1_30default_config_static_selectorELNS0_4arch9wavefront6targetE0EEEvT1_
    .private_segment_fixed_size: 0
    .sgpr_count:     0
    .sgpr_spill_count: 0
    .symbol:         _ZN7rocprim17ROCPRIM_400000_NS6detail17trampoline_kernelINS0_14default_configENS1_27scan_by_key_config_selectorIxxEEZZNS1_16scan_by_key_implILNS1_25lookback_scan_determinismE0ELb1ES3_N6thrust23THRUST_200600_302600_NS6detail15normal_iteratorINS9_10device_ptrIxEEEESE_SE_xNS9_10multipliesIxEENS9_8equal_toIxEExEE10hipError_tPvRmT2_T3_T4_T5_mT6_T7_P12ihipStream_tbENKUlT_T0_E_clISt17integral_constantIbLb1EESZ_EEDaSU_SV_EUlSU_E_NS1_11comp_targetILNS1_3genE5ELNS1_11target_archE942ELNS1_3gpuE9ELNS1_3repE0EEENS1_30default_config_static_selectorELNS0_4arch9wavefront6targetE0EEEvT1_.kd
    .uniform_work_group_size: 1
    .uses_dynamic_stack: false
    .vgpr_count:     0
    .vgpr_spill_count: 0
    .wavefront_size: 32
    .workgroup_processor_mode: 1
  - .args:
      - .offset:         0
        .size:           136
        .value_kind:     by_value
    .group_segment_fixed_size: 0
    .kernarg_segment_align: 8
    .kernarg_segment_size: 136
    .language:       OpenCL C
    .language_version:
      - 2
      - 0
    .max_flat_workgroup_size: 64
    .name:           _ZN7rocprim17ROCPRIM_400000_NS6detail17trampoline_kernelINS0_14default_configENS1_27scan_by_key_config_selectorIxxEEZZNS1_16scan_by_key_implILNS1_25lookback_scan_determinismE0ELb1ES3_N6thrust23THRUST_200600_302600_NS6detail15normal_iteratorINS9_10device_ptrIxEEEESE_SE_xNS9_10multipliesIxEENS9_8equal_toIxEExEE10hipError_tPvRmT2_T3_T4_T5_mT6_T7_P12ihipStream_tbENKUlT_T0_E_clISt17integral_constantIbLb1EESZ_EEDaSU_SV_EUlSU_E_NS1_11comp_targetILNS1_3genE4ELNS1_11target_archE910ELNS1_3gpuE8ELNS1_3repE0EEENS1_30default_config_static_selectorELNS0_4arch9wavefront6targetE0EEEvT1_
    .private_segment_fixed_size: 0
    .sgpr_count:     0
    .sgpr_spill_count: 0
    .symbol:         _ZN7rocprim17ROCPRIM_400000_NS6detail17trampoline_kernelINS0_14default_configENS1_27scan_by_key_config_selectorIxxEEZZNS1_16scan_by_key_implILNS1_25lookback_scan_determinismE0ELb1ES3_N6thrust23THRUST_200600_302600_NS6detail15normal_iteratorINS9_10device_ptrIxEEEESE_SE_xNS9_10multipliesIxEENS9_8equal_toIxEExEE10hipError_tPvRmT2_T3_T4_T5_mT6_T7_P12ihipStream_tbENKUlT_T0_E_clISt17integral_constantIbLb1EESZ_EEDaSU_SV_EUlSU_E_NS1_11comp_targetILNS1_3genE4ELNS1_11target_archE910ELNS1_3gpuE8ELNS1_3repE0EEENS1_30default_config_static_selectorELNS0_4arch9wavefront6targetE0EEEvT1_.kd
    .uniform_work_group_size: 1
    .uses_dynamic_stack: false
    .vgpr_count:     0
    .vgpr_spill_count: 0
    .wavefront_size: 32
    .workgroup_processor_mode: 1
  - .args:
      - .offset:         0
        .size:           136
        .value_kind:     by_value
    .group_segment_fixed_size: 0
    .kernarg_segment_align: 8
    .kernarg_segment_size: 136
    .language:       OpenCL C
    .language_version:
      - 2
      - 0
    .max_flat_workgroup_size: 256
    .name:           _ZN7rocprim17ROCPRIM_400000_NS6detail17trampoline_kernelINS0_14default_configENS1_27scan_by_key_config_selectorIxxEEZZNS1_16scan_by_key_implILNS1_25lookback_scan_determinismE0ELb1ES3_N6thrust23THRUST_200600_302600_NS6detail15normal_iteratorINS9_10device_ptrIxEEEESE_SE_xNS9_10multipliesIxEENS9_8equal_toIxEExEE10hipError_tPvRmT2_T3_T4_T5_mT6_T7_P12ihipStream_tbENKUlT_T0_E_clISt17integral_constantIbLb1EESZ_EEDaSU_SV_EUlSU_E_NS1_11comp_targetILNS1_3genE3ELNS1_11target_archE908ELNS1_3gpuE7ELNS1_3repE0EEENS1_30default_config_static_selectorELNS0_4arch9wavefront6targetE0EEEvT1_
    .private_segment_fixed_size: 0
    .sgpr_count:     0
    .sgpr_spill_count: 0
    .symbol:         _ZN7rocprim17ROCPRIM_400000_NS6detail17trampoline_kernelINS0_14default_configENS1_27scan_by_key_config_selectorIxxEEZZNS1_16scan_by_key_implILNS1_25lookback_scan_determinismE0ELb1ES3_N6thrust23THRUST_200600_302600_NS6detail15normal_iteratorINS9_10device_ptrIxEEEESE_SE_xNS9_10multipliesIxEENS9_8equal_toIxEExEE10hipError_tPvRmT2_T3_T4_T5_mT6_T7_P12ihipStream_tbENKUlT_T0_E_clISt17integral_constantIbLb1EESZ_EEDaSU_SV_EUlSU_E_NS1_11comp_targetILNS1_3genE3ELNS1_11target_archE908ELNS1_3gpuE7ELNS1_3repE0EEENS1_30default_config_static_selectorELNS0_4arch9wavefront6targetE0EEEvT1_.kd
    .uniform_work_group_size: 1
    .uses_dynamic_stack: false
    .vgpr_count:     0
    .vgpr_spill_count: 0
    .wavefront_size: 32
    .workgroup_processor_mode: 1
  - .args:
      - .offset:         0
        .size:           136
        .value_kind:     by_value
    .group_segment_fixed_size: 0
    .kernarg_segment_align: 8
    .kernarg_segment_size: 136
    .language:       OpenCL C
    .language_version:
      - 2
      - 0
    .max_flat_workgroup_size: 256
    .name:           _ZN7rocprim17ROCPRIM_400000_NS6detail17trampoline_kernelINS0_14default_configENS1_27scan_by_key_config_selectorIxxEEZZNS1_16scan_by_key_implILNS1_25lookback_scan_determinismE0ELb1ES3_N6thrust23THRUST_200600_302600_NS6detail15normal_iteratorINS9_10device_ptrIxEEEESE_SE_xNS9_10multipliesIxEENS9_8equal_toIxEExEE10hipError_tPvRmT2_T3_T4_T5_mT6_T7_P12ihipStream_tbENKUlT_T0_E_clISt17integral_constantIbLb1EESZ_EEDaSU_SV_EUlSU_E_NS1_11comp_targetILNS1_3genE2ELNS1_11target_archE906ELNS1_3gpuE6ELNS1_3repE0EEENS1_30default_config_static_selectorELNS0_4arch9wavefront6targetE0EEEvT1_
    .private_segment_fixed_size: 0
    .sgpr_count:     0
    .sgpr_spill_count: 0
    .symbol:         _ZN7rocprim17ROCPRIM_400000_NS6detail17trampoline_kernelINS0_14default_configENS1_27scan_by_key_config_selectorIxxEEZZNS1_16scan_by_key_implILNS1_25lookback_scan_determinismE0ELb1ES3_N6thrust23THRUST_200600_302600_NS6detail15normal_iteratorINS9_10device_ptrIxEEEESE_SE_xNS9_10multipliesIxEENS9_8equal_toIxEExEE10hipError_tPvRmT2_T3_T4_T5_mT6_T7_P12ihipStream_tbENKUlT_T0_E_clISt17integral_constantIbLb1EESZ_EEDaSU_SV_EUlSU_E_NS1_11comp_targetILNS1_3genE2ELNS1_11target_archE906ELNS1_3gpuE6ELNS1_3repE0EEENS1_30default_config_static_selectorELNS0_4arch9wavefront6targetE0EEEvT1_.kd
    .uniform_work_group_size: 1
    .uses_dynamic_stack: false
    .vgpr_count:     0
    .vgpr_spill_count: 0
    .wavefront_size: 32
    .workgroup_processor_mode: 1
  - .args:
      - .offset:         0
        .size:           136
        .value_kind:     by_value
    .group_segment_fixed_size: 0
    .kernarg_segment_align: 8
    .kernarg_segment_size: 136
    .language:       OpenCL C
    .language_version:
      - 2
      - 0
    .max_flat_workgroup_size: 256
    .name:           _ZN7rocprim17ROCPRIM_400000_NS6detail17trampoline_kernelINS0_14default_configENS1_27scan_by_key_config_selectorIxxEEZZNS1_16scan_by_key_implILNS1_25lookback_scan_determinismE0ELb1ES3_N6thrust23THRUST_200600_302600_NS6detail15normal_iteratorINS9_10device_ptrIxEEEESE_SE_xNS9_10multipliesIxEENS9_8equal_toIxEExEE10hipError_tPvRmT2_T3_T4_T5_mT6_T7_P12ihipStream_tbENKUlT_T0_E_clISt17integral_constantIbLb1EESZ_EEDaSU_SV_EUlSU_E_NS1_11comp_targetILNS1_3genE10ELNS1_11target_archE1200ELNS1_3gpuE4ELNS1_3repE0EEENS1_30default_config_static_selectorELNS0_4arch9wavefront6targetE0EEEvT1_
    .private_segment_fixed_size: 0
    .sgpr_count:     0
    .sgpr_spill_count: 0
    .symbol:         _ZN7rocprim17ROCPRIM_400000_NS6detail17trampoline_kernelINS0_14default_configENS1_27scan_by_key_config_selectorIxxEEZZNS1_16scan_by_key_implILNS1_25lookback_scan_determinismE0ELb1ES3_N6thrust23THRUST_200600_302600_NS6detail15normal_iteratorINS9_10device_ptrIxEEEESE_SE_xNS9_10multipliesIxEENS9_8equal_toIxEExEE10hipError_tPvRmT2_T3_T4_T5_mT6_T7_P12ihipStream_tbENKUlT_T0_E_clISt17integral_constantIbLb1EESZ_EEDaSU_SV_EUlSU_E_NS1_11comp_targetILNS1_3genE10ELNS1_11target_archE1200ELNS1_3gpuE4ELNS1_3repE0EEENS1_30default_config_static_selectorELNS0_4arch9wavefront6targetE0EEEvT1_.kd
    .uniform_work_group_size: 1
    .uses_dynamic_stack: false
    .vgpr_count:     0
    .vgpr_spill_count: 0
    .wavefront_size: 32
    .workgroup_processor_mode: 1
  - .args:
      - .offset:         0
        .size:           136
        .value_kind:     by_value
    .group_segment_fixed_size: 0
    .kernarg_segment_align: 8
    .kernarg_segment_size: 136
    .language:       OpenCL C
    .language_version:
      - 2
      - 0
    .max_flat_workgroup_size: 256
    .name:           _ZN7rocprim17ROCPRIM_400000_NS6detail17trampoline_kernelINS0_14default_configENS1_27scan_by_key_config_selectorIxxEEZZNS1_16scan_by_key_implILNS1_25lookback_scan_determinismE0ELb1ES3_N6thrust23THRUST_200600_302600_NS6detail15normal_iteratorINS9_10device_ptrIxEEEESE_SE_xNS9_10multipliesIxEENS9_8equal_toIxEExEE10hipError_tPvRmT2_T3_T4_T5_mT6_T7_P12ihipStream_tbENKUlT_T0_E_clISt17integral_constantIbLb1EESZ_EEDaSU_SV_EUlSU_E_NS1_11comp_targetILNS1_3genE9ELNS1_11target_archE1100ELNS1_3gpuE3ELNS1_3repE0EEENS1_30default_config_static_selectorELNS0_4arch9wavefront6targetE0EEEvT1_
    .private_segment_fixed_size: 0
    .sgpr_count:     0
    .sgpr_spill_count: 0
    .symbol:         _ZN7rocprim17ROCPRIM_400000_NS6detail17trampoline_kernelINS0_14default_configENS1_27scan_by_key_config_selectorIxxEEZZNS1_16scan_by_key_implILNS1_25lookback_scan_determinismE0ELb1ES3_N6thrust23THRUST_200600_302600_NS6detail15normal_iteratorINS9_10device_ptrIxEEEESE_SE_xNS9_10multipliesIxEENS9_8equal_toIxEExEE10hipError_tPvRmT2_T3_T4_T5_mT6_T7_P12ihipStream_tbENKUlT_T0_E_clISt17integral_constantIbLb1EESZ_EEDaSU_SV_EUlSU_E_NS1_11comp_targetILNS1_3genE9ELNS1_11target_archE1100ELNS1_3gpuE3ELNS1_3repE0EEENS1_30default_config_static_selectorELNS0_4arch9wavefront6targetE0EEEvT1_.kd
    .uniform_work_group_size: 1
    .uses_dynamic_stack: false
    .vgpr_count:     0
    .vgpr_spill_count: 0
    .wavefront_size: 32
    .workgroup_processor_mode: 1
  - .args:
      - .offset:         0
        .size:           136
        .value_kind:     by_value
    .group_segment_fixed_size: 0
    .kernarg_segment_align: 8
    .kernarg_segment_size: 136
    .language:       OpenCL C
    .language_version:
      - 2
      - 0
    .max_flat_workgroup_size: 256
    .name:           _ZN7rocprim17ROCPRIM_400000_NS6detail17trampoline_kernelINS0_14default_configENS1_27scan_by_key_config_selectorIxxEEZZNS1_16scan_by_key_implILNS1_25lookback_scan_determinismE0ELb1ES3_N6thrust23THRUST_200600_302600_NS6detail15normal_iteratorINS9_10device_ptrIxEEEESE_SE_xNS9_10multipliesIxEENS9_8equal_toIxEExEE10hipError_tPvRmT2_T3_T4_T5_mT6_T7_P12ihipStream_tbENKUlT_T0_E_clISt17integral_constantIbLb1EESZ_EEDaSU_SV_EUlSU_E_NS1_11comp_targetILNS1_3genE8ELNS1_11target_archE1030ELNS1_3gpuE2ELNS1_3repE0EEENS1_30default_config_static_selectorELNS0_4arch9wavefront6targetE0EEEvT1_
    .private_segment_fixed_size: 0
    .sgpr_count:     0
    .sgpr_spill_count: 0
    .symbol:         _ZN7rocprim17ROCPRIM_400000_NS6detail17trampoline_kernelINS0_14default_configENS1_27scan_by_key_config_selectorIxxEEZZNS1_16scan_by_key_implILNS1_25lookback_scan_determinismE0ELb1ES3_N6thrust23THRUST_200600_302600_NS6detail15normal_iteratorINS9_10device_ptrIxEEEESE_SE_xNS9_10multipliesIxEENS9_8equal_toIxEExEE10hipError_tPvRmT2_T3_T4_T5_mT6_T7_P12ihipStream_tbENKUlT_T0_E_clISt17integral_constantIbLb1EESZ_EEDaSU_SV_EUlSU_E_NS1_11comp_targetILNS1_3genE8ELNS1_11target_archE1030ELNS1_3gpuE2ELNS1_3repE0EEENS1_30default_config_static_selectorELNS0_4arch9wavefront6targetE0EEEvT1_.kd
    .uniform_work_group_size: 1
    .uses_dynamic_stack: false
    .vgpr_count:     0
    .vgpr_spill_count: 0
    .wavefront_size: 32
    .workgroup_processor_mode: 1
  - .args:
      - .offset:         0
        .size:           136
        .value_kind:     by_value
    .group_segment_fixed_size: 0
    .kernarg_segment_align: 8
    .kernarg_segment_size: 136
    .language:       OpenCL C
    .language_version:
      - 2
      - 0
    .max_flat_workgroup_size: 256
    .name:           _ZN7rocprim17ROCPRIM_400000_NS6detail17trampoline_kernelINS0_14default_configENS1_27scan_by_key_config_selectorIxxEEZZNS1_16scan_by_key_implILNS1_25lookback_scan_determinismE0ELb1ES3_N6thrust23THRUST_200600_302600_NS6detail15normal_iteratorINS9_10device_ptrIxEEEESE_SE_xNS9_10multipliesIxEENS9_8equal_toIxEExEE10hipError_tPvRmT2_T3_T4_T5_mT6_T7_P12ihipStream_tbENKUlT_T0_E_clISt17integral_constantIbLb1EESY_IbLb0EEEEDaSU_SV_EUlSU_E_NS1_11comp_targetILNS1_3genE0ELNS1_11target_archE4294967295ELNS1_3gpuE0ELNS1_3repE0EEENS1_30default_config_static_selectorELNS0_4arch9wavefront6targetE0EEEvT1_
    .private_segment_fixed_size: 0
    .sgpr_count:     0
    .sgpr_spill_count: 0
    .symbol:         _ZN7rocprim17ROCPRIM_400000_NS6detail17trampoline_kernelINS0_14default_configENS1_27scan_by_key_config_selectorIxxEEZZNS1_16scan_by_key_implILNS1_25lookback_scan_determinismE0ELb1ES3_N6thrust23THRUST_200600_302600_NS6detail15normal_iteratorINS9_10device_ptrIxEEEESE_SE_xNS9_10multipliesIxEENS9_8equal_toIxEExEE10hipError_tPvRmT2_T3_T4_T5_mT6_T7_P12ihipStream_tbENKUlT_T0_E_clISt17integral_constantIbLb1EESY_IbLb0EEEEDaSU_SV_EUlSU_E_NS1_11comp_targetILNS1_3genE0ELNS1_11target_archE4294967295ELNS1_3gpuE0ELNS1_3repE0EEENS1_30default_config_static_selectorELNS0_4arch9wavefront6targetE0EEEvT1_.kd
    .uniform_work_group_size: 1
    .uses_dynamic_stack: false
    .vgpr_count:     0
    .vgpr_spill_count: 0
    .wavefront_size: 32
    .workgroup_processor_mode: 1
  - .args:
      - .offset:         0
        .size:           136
        .value_kind:     by_value
    .group_segment_fixed_size: 0
    .kernarg_segment_align: 8
    .kernarg_segment_size: 136
    .language:       OpenCL C
    .language_version:
      - 2
      - 0
    .max_flat_workgroup_size: 256
    .name:           _ZN7rocprim17ROCPRIM_400000_NS6detail17trampoline_kernelINS0_14default_configENS1_27scan_by_key_config_selectorIxxEEZZNS1_16scan_by_key_implILNS1_25lookback_scan_determinismE0ELb1ES3_N6thrust23THRUST_200600_302600_NS6detail15normal_iteratorINS9_10device_ptrIxEEEESE_SE_xNS9_10multipliesIxEENS9_8equal_toIxEExEE10hipError_tPvRmT2_T3_T4_T5_mT6_T7_P12ihipStream_tbENKUlT_T0_E_clISt17integral_constantIbLb1EESY_IbLb0EEEEDaSU_SV_EUlSU_E_NS1_11comp_targetILNS1_3genE10ELNS1_11target_archE1201ELNS1_3gpuE5ELNS1_3repE0EEENS1_30default_config_static_selectorELNS0_4arch9wavefront6targetE0EEEvT1_
    .private_segment_fixed_size: 0
    .sgpr_count:     0
    .sgpr_spill_count: 0
    .symbol:         _ZN7rocprim17ROCPRIM_400000_NS6detail17trampoline_kernelINS0_14default_configENS1_27scan_by_key_config_selectorIxxEEZZNS1_16scan_by_key_implILNS1_25lookback_scan_determinismE0ELb1ES3_N6thrust23THRUST_200600_302600_NS6detail15normal_iteratorINS9_10device_ptrIxEEEESE_SE_xNS9_10multipliesIxEENS9_8equal_toIxEExEE10hipError_tPvRmT2_T3_T4_T5_mT6_T7_P12ihipStream_tbENKUlT_T0_E_clISt17integral_constantIbLb1EESY_IbLb0EEEEDaSU_SV_EUlSU_E_NS1_11comp_targetILNS1_3genE10ELNS1_11target_archE1201ELNS1_3gpuE5ELNS1_3repE0EEENS1_30default_config_static_selectorELNS0_4arch9wavefront6targetE0EEEvT1_.kd
    .uniform_work_group_size: 1
    .uses_dynamic_stack: false
    .vgpr_count:     0
    .vgpr_spill_count: 0
    .wavefront_size: 32
    .workgroup_processor_mode: 1
  - .args:
      - .offset:         0
        .size:           136
        .value_kind:     by_value
    .group_segment_fixed_size: 0
    .kernarg_segment_align: 8
    .kernarg_segment_size: 136
    .language:       OpenCL C
    .language_version:
      - 2
      - 0
    .max_flat_workgroup_size: 256
    .name:           _ZN7rocprim17ROCPRIM_400000_NS6detail17trampoline_kernelINS0_14default_configENS1_27scan_by_key_config_selectorIxxEEZZNS1_16scan_by_key_implILNS1_25lookback_scan_determinismE0ELb1ES3_N6thrust23THRUST_200600_302600_NS6detail15normal_iteratorINS9_10device_ptrIxEEEESE_SE_xNS9_10multipliesIxEENS9_8equal_toIxEExEE10hipError_tPvRmT2_T3_T4_T5_mT6_T7_P12ihipStream_tbENKUlT_T0_E_clISt17integral_constantIbLb1EESY_IbLb0EEEEDaSU_SV_EUlSU_E_NS1_11comp_targetILNS1_3genE5ELNS1_11target_archE942ELNS1_3gpuE9ELNS1_3repE0EEENS1_30default_config_static_selectorELNS0_4arch9wavefront6targetE0EEEvT1_
    .private_segment_fixed_size: 0
    .sgpr_count:     0
    .sgpr_spill_count: 0
    .symbol:         _ZN7rocprim17ROCPRIM_400000_NS6detail17trampoline_kernelINS0_14default_configENS1_27scan_by_key_config_selectorIxxEEZZNS1_16scan_by_key_implILNS1_25lookback_scan_determinismE0ELb1ES3_N6thrust23THRUST_200600_302600_NS6detail15normal_iteratorINS9_10device_ptrIxEEEESE_SE_xNS9_10multipliesIxEENS9_8equal_toIxEExEE10hipError_tPvRmT2_T3_T4_T5_mT6_T7_P12ihipStream_tbENKUlT_T0_E_clISt17integral_constantIbLb1EESY_IbLb0EEEEDaSU_SV_EUlSU_E_NS1_11comp_targetILNS1_3genE5ELNS1_11target_archE942ELNS1_3gpuE9ELNS1_3repE0EEENS1_30default_config_static_selectorELNS0_4arch9wavefront6targetE0EEEvT1_.kd
    .uniform_work_group_size: 1
    .uses_dynamic_stack: false
    .vgpr_count:     0
    .vgpr_spill_count: 0
    .wavefront_size: 32
    .workgroup_processor_mode: 1
  - .args:
      - .offset:         0
        .size:           136
        .value_kind:     by_value
    .group_segment_fixed_size: 0
    .kernarg_segment_align: 8
    .kernarg_segment_size: 136
    .language:       OpenCL C
    .language_version:
      - 2
      - 0
    .max_flat_workgroup_size: 64
    .name:           _ZN7rocprim17ROCPRIM_400000_NS6detail17trampoline_kernelINS0_14default_configENS1_27scan_by_key_config_selectorIxxEEZZNS1_16scan_by_key_implILNS1_25lookback_scan_determinismE0ELb1ES3_N6thrust23THRUST_200600_302600_NS6detail15normal_iteratorINS9_10device_ptrIxEEEESE_SE_xNS9_10multipliesIxEENS9_8equal_toIxEExEE10hipError_tPvRmT2_T3_T4_T5_mT6_T7_P12ihipStream_tbENKUlT_T0_E_clISt17integral_constantIbLb1EESY_IbLb0EEEEDaSU_SV_EUlSU_E_NS1_11comp_targetILNS1_3genE4ELNS1_11target_archE910ELNS1_3gpuE8ELNS1_3repE0EEENS1_30default_config_static_selectorELNS0_4arch9wavefront6targetE0EEEvT1_
    .private_segment_fixed_size: 0
    .sgpr_count:     0
    .sgpr_spill_count: 0
    .symbol:         _ZN7rocprim17ROCPRIM_400000_NS6detail17trampoline_kernelINS0_14default_configENS1_27scan_by_key_config_selectorIxxEEZZNS1_16scan_by_key_implILNS1_25lookback_scan_determinismE0ELb1ES3_N6thrust23THRUST_200600_302600_NS6detail15normal_iteratorINS9_10device_ptrIxEEEESE_SE_xNS9_10multipliesIxEENS9_8equal_toIxEExEE10hipError_tPvRmT2_T3_T4_T5_mT6_T7_P12ihipStream_tbENKUlT_T0_E_clISt17integral_constantIbLb1EESY_IbLb0EEEEDaSU_SV_EUlSU_E_NS1_11comp_targetILNS1_3genE4ELNS1_11target_archE910ELNS1_3gpuE8ELNS1_3repE0EEENS1_30default_config_static_selectorELNS0_4arch9wavefront6targetE0EEEvT1_.kd
    .uniform_work_group_size: 1
    .uses_dynamic_stack: false
    .vgpr_count:     0
    .vgpr_spill_count: 0
    .wavefront_size: 32
    .workgroup_processor_mode: 1
  - .args:
      - .offset:         0
        .size:           136
        .value_kind:     by_value
    .group_segment_fixed_size: 0
    .kernarg_segment_align: 8
    .kernarg_segment_size: 136
    .language:       OpenCL C
    .language_version:
      - 2
      - 0
    .max_flat_workgroup_size: 256
    .name:           _ZN7rocprim17ROCPRIM_400000_NS6detail17trampoline_kernelINS0_14default_configENS1_27scan_by_key_config_selectorIxxEEZZNS1_16scan_by_key_implILNS1_25lookback_scan_determinismE0ELb1ES3_N6thrust23THRUST_200600_302600_NS6detail15normal_iteratorINS9_10device_ptrIxEEEESE_SE_xNS9_10multipliesIxEENS9_8equal_toIxEExEE10hipError_tPvRmT2_T3_T4_T5_mT6_T7_P12ihipStream_tbENKUlT_T0_E_clISt17integral_constantIbLb1EESY_IbLb0EEEEDaSU_SV_EUlSU_E_NS1_11comp_targetILNS1_3genE3ELNS1_11target_archE908ELNS1_3gpuE7ELNS1_3repE0EEENS1_30default_config_static_selectorELNS0_4arch9wavefront6targetE0EEEvT1_
    .private_segment_fixed_size: 0
    .sgpr_count:     0
    .sgpr_spill_count: 0
    .symbol:         _ZN7rocprim17ROCPRIM_400000_NS6detail17trampoline_kernelINS0_14default_configENS1_27scan_by_key_config_selectorIxxEEZZNS1_16scan_by_key_implILNS1_25lookback_scan_determinismE0ELb1ES3_N6thrust23THRUST_200600_302600_NS6detail15normal_iteratorINS9_10device_ptrIxEEEESE_SE_xNS9_10multipliesIxEENS9_8equal_toIxEExEE10hipError_tPvRmT2_T3_T4_T5_mT6_T7_P12ihipStream_tbENKUlT_T0_E_clISt17integral_constantIbLb1EESY_IbLb0EEEEDaSU_SV_EUlSU_E_NS1_11comp_targetILNS1_3genE3ELNS1_11target_archE908ELNS1_3gpuE7ELNS1_3repE0EEENS1_30default_config_static_selectorELNS0_4arch9wavefront6targetE0EEEvT1_.kd
    .uniform_work_group_size: 1
    .uses_dynamic_stack: false
    .vgpr_count:     0
    .vgpr_spill_count: 0
    .wavefront_size: 32
    .workgroup_processor_mode: 1
  - .args:
      - .offset:         0
        .size:           136
        .value_kind:     by_value
    .group_segment_fixed_size: 0
    .kernarg_segment_align: 8
    .kernarg_segment_size: 136
    .language:       OpenCL C
    .language_version:
      - 2
      - 0
    .max_flat_workgroup_size: 256
    .name:           _ZN7rocprim17ROCPRIM_400000_NS6detail17trampoline_kernelINS0_14default_configENS1_27scan_by_key_config_selectorIxxEEZZNS1_16scan_by_key_implILNS1_25lookback_scan_determinismE0ELb1ES3_N6thrust23THRUST_200600_302600_NS6detail15normal_iteratorINS9_10device_ptrIxEEEESE_SE_xNS9_10multipliesIxEENS9_8equal_toIxEExEE10hipError_tPvRmT2_T3_T4_T5_mT6_T7_P12ihipStream_tbENKUlT_T0_E_clISt17integral_constantIbLb1EESY_IbLb0EEEEDaSU_SV_EUlSU_E_NS1_11comp_targetILNS1_3genE2ELNS1_11target_archE906ELNS1_3gpuE6ELNS1_3repE0EEENS1_30default_config_static_selectorELNS0_4arch9wavefront6targetE0EEEvT1_
    .private_segment_fixed_size: 0
    .sgpr_count:     0
    .sgpr_spill_count: 0
    .symbol:         _ZN7rocprim17ROCPRIM_400000_NS6detail17trampoline_kernelINS0_14default_configENS1_27scan_by_key_config_selectorIxxEEZZNS1_16scan_by_key_implILNS1_25lookback_scan_determinismE0ELb1ES3_N6thrust23THRUST_200600_302600_NS6detail15normal_iteratorINS9_10device_ptrIxEEEESE_SE_xNS9_10multipliesIxEENS9_8equal_toIxEExEE10hipError_tPvRmT2_T3_T4_T5_mT6_T7_P12ihipStream_tbENKUlT_T0_E_clISt17integral_constantIbLb1EESY_IbLb0EEEEDaSU_SV_EUlSU_E_NS1_11comp_targetILNS1_3genE2ELNS1_11target_archE906ELNS1_3gpuE6ELNS1_3repE0EEENS1_30default_config_static_selectorELNS0_4arch9wavefront6targetE0EEEvT1_.kd
    .uniform_work_group_size: 1
    .uses_dynamic_stack: false
    .vgpr_count:     0
    .vgpr_spill_count: 0
    .wavefront_size: 32
    .workgroup_processor_mode: 1
  - .args:
      - .offset:         0
        .size:           136
        .value_kind:     by_value
    .group_segment_fixed_size: 0
    .kernarg_segment_align: 8
    .kernarg_segment_size: 136
    .language:       OpenCL C
    .language_version:
      - 2
      - 0
    .max_flat_workgroup_size: 256
    .name:           _ZN7rocprim17ROCPRIM_400000_NS6detail17trampoline_kernelINS0_14default_configENS1_27scan_by_key_config_selectorIxxEEZZNS1_16scan_by_key_implILNS1_25lookback_scan_determinismE0ELb1ES3_N6thrust23THRUST_200600_302600_NS6detail15normal_iteratorINS9_10device_ptrIxEEEESE_SE_xNS9_10multipliesIxEENS9_8equal_toIxEExEE10hipError_tPvRmT2_T3_T4_T5_mT6_T7_P12ihipStream_tbENKUlT_T0_E_clISt17integral_constantIbLb1EESY_IbLb0EEEEDaSU_SV_EUlSU_E_NS1_11comp_targetILNS1_3genE10ELNS1_11target_archE1200ELNS1_3gpuE4ELNS1_3repE0EEENS1_30default_config_static_selectorELNS0_4arch9wavefront6targetE0EEEvT1_
    .private_segment_fixed_size: 0
    .sgpr_count:     0
    .sgpr_spill_count: 0
    .symbol:         _ZN7rocprim17ROCPRIM_400000_NS6detail17trampoline_kernelINS0_14default_configENS1_27scan_by_key_config_selectorIxxEEZZNS1_16scan_by_key_implILNS1_25lookback_scan_determinismE0ELb1ES3_N6thrust23THRUST_200600_302600_NS6detail15normal_iteratorINS9_10device_ptrIxEEEESE_SE_xNS9_10multipliesIxEENS9_8equal_toIxEExEE10hipError_tPvRmT2_T3_T4_T5_mT6_T7_P12ihipStream_tbENKUlT_T0_E_clISt17integral_constantIbLb1EESY_IbLb0EEEEDaSU_SV_EUlSU_E_NS1_11comp_targetILNS1_3genE10ELNS1_11target_archE1200ELNS1_3gpuE4ELNS1_3repE0EEENS1_30default_config_static_selectorELNS0_4arch9wavefront6targetE0EEEvT1_.kd
    .uniform_work_group_size: 1
    .uses_dynamic_stack: false
    .vgpr_count:     0
    .vgpr_spill_count: 0
    .wavefront_size: 32
    .workgroup_processor_mode: 1
  - .args:
      - .offset:         0
        .size:           136
        .value_kind:     by_value
    .group_segment_fixed_size: 0
    .kernarg_segment_align: 8
    .kernarg_segment_size: 136
    .language:       OpenCL C
    .language_version:
      - 2
      - 0
    .max_flat_workgroup_size: 256
    .name:           _ZN7rocprim17ROCPRIM_400000_NS6detail17trampoline_kernelINS0_14default_configENS1_27scan_by_key_config_selectorIxxEEZZNS1_16scan_by_key_implILNS1_25lookback_scan_determinismE0ELb1ES3_N6thrust23THRUST_200600_302600_NS6detail15normal_iteratorINS9_10device_ptrIxEEEESE_SE_xNS9_10multipliesIxEENS9_8equal_toIxEExEE10hipError_tPvRmT2_T3_T4_T5_mT6_T7_P12ihipStream_tbENKUlT_T0_E_clISt17integral_constantIbLb1EESY_IbLb0EEEEDaSU_SV_EUlSU_E_NS1_11comp_targetILNS1_3genE9ELNS1_11target_archE1100ELNS1_3gpuE3ELNS1_3repE0EEENS1_30default_config_static_selectorELNS0_4arch9wavefront6targetE0EEEvT1_
    .private_segment_fixed_size: 0
    .sgpr_count:     0
    .sgpr_spill_count: 0
    .symbol:         _ZN7rocprim17ROCPRIM_400000_NS6detail17trampoline_kernelINS0_14default_configENS1_27scan_by_key_config_selectorIxxEEZZNS1_16scan_by_key_implILNS1_25lookback_scan_determinismE0ELb1ES3_N6thrust23THRUST_200600_302600_NS6detail15normal_iteratorINS9_10device_ptrIxEEEESE_SE_xNS9_10multipliesIxEENS9_8equal_toIxEExEE10hipError_tPvRmT2_T3_T4_T5_mT6_T7_P12ihipStream_tbENKUlT_T0_E_clISt17integral_constantIbLb1EESY_IbLb0EEEEDaSU_SV_EUlSU_E_NS1_11comp_targetILNS1_3genE9ELNS1_11target_archE1100ELNS1_3gpuE3ELNS1_3repE0EEENS1_30default_config_static_selectorELNS0_4arch9wavefront6targetE0EEEvT1_.kd
    .uniform_work_group_size: 1
    .uses_dynamic_stack: false
    .vgpr_count:     0
    .vgpr_spill_count: 0
    .wavefront_size: 32
    .workgroup_processor_mode: 1
  - .args:
      - .offset:         0
        .size:           136
        .value_kind:     by_value
    .group_segment_fixed_size: 0
    .kernarg_segment_align: 8
    .kernarg_segment_size: 136
    .language:       OpenCL C
    .language_version:
      - 2
      - 0
    .max_flat_workgroup_size: 256
    .name:           _ZN7rocprim17ROCPRIM_400000_NS6detail17trampoline_kernelINS0_14default_configENS1_27scan_by_key_config_selectorIxxEEZZNS1_16scan_by_key_implILNS1_25lookback_scan_determinismE0ELb1ES3_N6thrust23THRUST_200600_302600_NS6detail15normal_iteratorINS9_10device_ptrIxEEEESE_SE_xNS9_10multipliesIxEENS9_8equal_toIxEExEE10hipError_tPvRmT2_T3_T4_T5_mT6_T7_P12ihipStream_tbENKUlT_T0_E_clISt17integral_constantIbLb1EESY_IbLb0EEEEDaSU_SV_EUlSU_E_NS1_11comp_targetILNS1_3genE8ELNS1_11target_archE1030ELNS1_3gpuE2ELNS1_3repE0EEENS1_30default_config_static_selectorELNS0_4arch9wavefront6targetE0EEEvT1_
    .private_segment_fixed_size: 0
    .sgpr_count:     0
    .sgpr_spill_count: 0
    .symbol:         _ZN7rocprim17ROCPRIM_400000_NS6detail17trampoline_kernelINS0_14default_configENS1_27scan_by_key_config_selectorIxxEEZZNS1_16scan_by_key_implILNS1_25lookback_scan_determinismE0ELb1ES3_N6thrust23THRUST_200600_302600_NS6detail15normal_iteratorINS9_10device_ptrIxEEEESE_SE_xNS9_10multipliesIxEENS9_8equal_toIxEExEE10hipError_tPvRmT2_T3_T4_T5_mT6_T7_P12ihipStream_tbENKUlT_T0_E_clISt17integral_constantIbLb1EESY_IbLb0EEEEDaSU_SV_EUlSU_E_NS1_11comp_targetILNS1_3genE8ELNS1_11target_archE1030ELNS1_3gpuE2ELNS1_3repE0EEENS1_30default_config_static_selectorELNS0_4arch9wavefront6targetE0EEEvT1_.kd
    .uniform_work_group_size: 1
    .uses_dynamic_stack: false
    .vgpr_count:     0
    .vgpr_spill_count: 0
    .wavefront_size: 32
    .workgroup_processor_mode: 1
  - .args:
      - .offset:         0
        .size:           136
        .value_kind:     by_value
    .group_segment_fixed_size: 0
    .kernarg_segment_align: 8
    .kernarg_segment_size: 136
    .language:       OpenCL C
    .language_version:
      - 2
      - 0
    .max_flat_workgroup_size: 256
    .name:           _ZN7rocprim17ROCPRIM_400000_NS6detail17trampoline_kernelINS0_14default_configENS1_27scan_by_key_config_selectorIxxEEZZNS1_16scan_by_key_implILNS1_25lookback_scan_determinismE0ELb1ES3_N6thrust23THRUST_200600_302600_NS6detail15normal_iteratorINS9_10device_ptrIxEEEESE_SE_xNS9_10multipliesIxEENS9_8equal_toIxEExEE10hipError_tPvRmT2_T3_T4_T5_mT6_T7_P12ihipStream_tbENKUlT_T0_E_clISt17integral_constantIbLb0EESY_IbLb1EEEEDaSU_SV_EUlSU_E_NS1_11comp_targetILNS1_3genE0ELNS1_11target_archE4294967295ELNS1_3gpuE0ELNS1_3repE0EEENS1_30default_config_static_selectorELNS0_4arch9wavefront6targetE0EEEvT1_
    .private_segment_fixed_size: 0
    .sgpr_count:     0
    .sgpr_spill_count: 0
    .symbol:         _ZN7rocprim17ROCPRIM_400000_NS6detail17trampoline_kernelINS0_14default_configENS1_27scan_by_key_config_selectorIxxEEZZNS1_16scan_by_key_implILNS1_25lookback_scan_determinismE0ELb1ES3_N6thrust23THRUST_200600_302600_NS6detail15normal_iteratorINS9_10device_ptrIxEEEESE_SE_xNS9_10multipliesIxEENS9_8equal_toIxEExEE10hipError_tPvRmT2_T3_T4_T5_mT6_T7_P12ihipStream_tbENKUlT_T0_E_clISt17integral_constantIbLb0EESY_IbLb1EEEEDaSU_SV_EUlSU_E_NS1_11comp_targetILNS1_3genE0ELNS1_11target_archE4294967295ELNS1_3gpuE0ELNS1_3repE0EEENS1_30default_config_static_selectorELNS0_4arch9wavefront6targetE0EEEvT1_.kd
    .uniform_work_group_size: 1
    .uses_dynamic_stack: false
    .vgpr_count:     0
    .vgpr_spill_count: 0
    .wavefront_size: 32
    .workgroup_processor_mode: 1
  - .args:
      - .offset:         0
        .size:           136
        .value_kind:     by_value
    .group_segment_fixed_size: 0
    .kernarg_segment_align: 8
    .kernarg_segment_size: 136
    .language:       OpenCL C
    .language_version:
      - 2
      - 0
    .max_flat_workgroup_size: 256
    .name:           _ZN7rocprim17ROCPRIM_400000_NS6detail17trampoline_kernelINS0_14default_configENS1_27scan_by_key_config_selectorIxxEEZZNS1_16scan_by_key_implILNS1_25lookback_scan_determinismE0ELb1ES3_N6thrust23THRUST_200600_302600_NS6detail15normal_iteratorINS9_10device_ptrIxEEEESE_SE_xNS9_10multipliesIxEENS9_8equal_toIxEExEE10hipError_tPvRmT2_T3_T4_T5_mT6_T7_P12ihipStream_tbENKUlT_T0_E_clISt17integral_constantIbLb0EESY_IbLb1EEEEDaSU_SV_EUlSU_E_NS1_11comp_targetILNS1_3genE10ELNS1_11target_archE1201ELNS1_3gpuE5ELNS1_3repE0EEENS1_30default_config_static_selectorELNS0_4arch9wavefront6targetE0EEEvT1_
    .private_segment_fixed_size: 0
    .sgpr_count:     0
    .sgpr_spill_count: 0
    .symbol:         _ZN7rocprim17ROCPRIM_400000_NS6detail17trampoline_kernelINS0_14default_configENS1_27scan_by_key_config_selectorIxxEEZZNS1_16scan_by_key_implILNS1_25lookback_scan_determinismE0ELb1ES3_N6thrust23THRUST_200600_302600_NS6detail15normal_iteratorINS9_10device_ptrIxEEEESE_SE_xNS9_10multipliesIxEENS9_8equal_toIxEExEE10hipError_tPvRmT2_T3_T4_T5_mT6_T7_P12ihipStream_tbENKUlT_T0_E_clISt17integral_constantIbLb0EESY_IbLb1EEEEDaSU_SV_EUlSU_E_NS1_11comp_targetILNS1_3genE10ELNS1_11target_archE1201ELNS1_3gpuE5ELNS1_3repE0EEENS1_30default_config_static_selectorELNS0_4arch9wavefront6targetE0EEEvT1_.kd
    .uniform_work_group_size: 1
    .uses_dynamic_stack: false
    .vgpr_count:     0
    .vgpr_spill_count: 0
    .wavefront_size: 32
    .workgroup_processor_mode: 1
  - .args:
      - .offset:         0
        .size:           136
        .value_kind:     by_value
    .group_segment_fixed_size: 0
    .kernarg_segment_align: 8
    .kernarg_segment_size: 136
    .language:       OpenCL C
    .language_version:
      - 2
      - 0
    .max_flat_workgroup_size: 256
    .name:           _ZN7rocprim17ROCPRIM_400000_NS6detail17trampoline_kernelINS0_14default_configENS1_27scan_by_key_config_selectorIxxEEZZNS1_16scan_by_key_implILNS1_25lookback_scan_determinismE0ELb1ES3_N6thrust23THRUST_200600_302600_NS6detail15normal_iteratorINS9_10device_ptrIxEEEESE_SE_xNS9_10multipliesIxEENS9_8equal_toIxEExEE10hipError_tPvRmT2_T3_T4_T5_mT6_T7_P12ihipStream_tbENKUlT_T0_E_clISt17integral_constantIbLb0EESY_IbLb1EEEEDaSU_SV_EUlSU_E_NS1_11comp_targetILNS1_3genE5ELNS1_11target_archE942ELNS1_3gpuE9ELNS1_3repE0EEENS1_30default_config_static_selectorELNS0_4arch9wavefront6targetE0EEEvT1_
    .private_segment_fixed_size: 0
    .sgpr_count:     0
    .sgpr_spill_count: 0
    .symbol:         _ZN7rocprim17ROCPRIM_400000_NS6detail17trampoline_kernelINS0_14default_configENS1_27scan_by_key_config_selectorIxxEEZZNS1_16scan_by_key_implILNS1_25lookback_scan_determinismE0ELb1ES3_N6thrust23THRUST_200600_302600_NS6detail15normal_iteratorINS9_10device_ptrIxEEEESE_SE_xNS9_10multipliesIxEENS9_8equal_toIxEExEE10hipError_tPvRmT2_T3_T4_T5_mT6_T7_P12ihipStream_tbENKUlT_T0_E_clISt17integral_constantIbLb0EESY_IbLb1EEEEDaSU_SV_EUlSU_E_NS1_11comp_targetILNS1_3genE5ELNS1_11target_archE942ELNS1_3gpuE9ELNS1_3repE0EEENS1_30default_config_static_selectorELNS0_4arch9wavefront6targetE0EEEvT1_.kd
    .uniform_work_group_size: 1
    .uses_dynamic_stack: false
    .vgpr_count:     0
    .vgpr_spill_count: 0
    .wavefront_size: 32
    .workgroup_processor_mode: 1
  - .args:
      - .offset:         0
        .size:           136
        .value_kind:     by_value
    .group_segment_fixed_size: 0
    .kernarg_segment_align: 8
    .kernarg_segment_size: 136
    .language:       OpenCL C
    .language_version:
      - 2
      - 0
    .max_flat_workgroup_size: 64
    .name:           _ZN7rocprim17ROCPRIM_400000_NS6detail17trampoline_kernelINS0_14default_configENS1_27scan_by_key_config_selectorIxxEEZZNS1_16scan_by_key_implILNS1_25lookback_scan_determinismE0ELb1ES3_N6thrust23THRUST_200600_302600_NS6detail15normal_iteratorINS9_10device_ptrIxEEEESE_SE_xNS9_10multipliesIxEENS9_8equal_toIxEExEE10hipError_tPvRmT2_T3_T4_T5_mT6_T7_P12ihipStream_tbENKUlT_T0_E_clISt17integral_constantIbLb0EESY_IbLb1EEEEDaSU_SV_EUlSU_E_NS1_11comp_targetILNS1_3genE4ELNS1_11target_archE910ELNS1_3gpuE8ELNS1_3repE0EEENS1_30default_config_static_selectorELNS0_4arch9wavefront6targetE0EEEvT1_
    .private_segment_fixed_size: 0
    .sgpr_count:     0
    .sgpr_spill_count: 0
    .symbol:         _ZN7rocprim17ROCPRIM_400000_NS6detail17trampoline_kernelINS0_14default_configENS1_27scan_by_key_config_selectorIxxEEZZNS1_16scan_by_key_implILNS1_25lookback_scan_determinismE0ELb1ES3_N6thrust23THRUST_200600_302600_NS6detail15normal_iteratorINS9_10device_ptrIxEEEESE_SE_xNS9_10multipliesIxEENS9_8equal_toIxEExEE10hipError_tPvRmT2_T3_T4_T5_mT6_T7_P12ihipStream_tbENKUlT_T0_E_clISt17integral_constantIbLb0EESY_IbLb1EEEEDaSU_SV_EUlSU_E_NS1_11comp_targetILNS1_3genE4ELNS1_11target_archE910ELNS1_3gpuE8ELNS1_3repE0EEENS1_30default_config_static_selectorELNS0_4arch9wavefront6targetE0EEEvT1_.kd
    .uniform_work_group_size: 1
    .uses_dynamic_stack: false
    .vgpr_count:     0
    .vgpr_spill_count: 0
    .wavefront_size: 32
    .workgroup_processor_mode: 1
  - .args:
      - .offset:         0
        .size:           136
        .value_kind:     by_value
    .group_segment_fixed_size: 0
    .kernarg_segment_align: 8
    .kernarg_segment_size: 136
    .language:       OpenCL C
    .language_version:
      - 2
      - 0
    .max_flat_workgroup_size: 256
    .name:           _ZN7rocprim17ROCPRIM_400000_NS6detail17trampoline_kernelINS0_14default_configENS1_27scan_by_key_config_selectorIxxEEZZNS1_16scan_by_key_implILNS1_25lookback_scan_determinismE0ELb1ES3_N6thrust23THRUST_200600_302600_NS6detail15normal_iteratorINS9_10device_ptrIxEEEESE_SE_xNS9_10multipliesIxEENS9_8equal_toIxEExEE10hipError_tPvRmT2_T3_T4_T5_mT6_T7_P12ihipStream_tbENKUlT_T0_E_clISt17integral_constantIbLb0EESY_IbLb1EEEEDaSU_SV_EUlSU_E_NS1_11comp_targetILNS1_3genE3ELNS1_11target_archE908ELNS1_3gpuE7ELNS1_3repE0EEENS1_30default_config_static_selectorELNS0_4arch9wavefront6targetE0EEEvT1_
    .private_segment_fixed_size: 0
    .sgpr_count:     0
    .sgpr_spill_count: 0
    .symbol:         _ZN7rocprim17ROCPRIM_400000_NS6detail17trampoline_kernelINS0_14default_configENS1_27scan_by_key_config_selectorIxxEEZZNS1_16scan_by_key_implILNS1_25lookback_scan_determinismE0ELb1ES3_N6thrust23THRUST_200600_302600_NS6detail15normal_iteratorINS9_10device_ptrIxEEEESE_SE_xNS9_10multipliesIxEENS9_8equal_toIxEExEE10hipError_tPvRmT2_T3_T4_T5_mT6_T7_P12ihipStream_tbENKUlT_T0_E_clISt17integral_constantIbLb0EESY_IbLb1EEEEDaSU_SV_EUlSU_E_NS1_11comp_targetILNS1_3genE3ELNS1_11target_archE908ELNS1_3gpuE7ELNS1_3repE0EEENS1_30default_config_static_selectorELNS0_4arch9wavefront6targetE0EEEvT1_.kd
    .uniform_work_group_size: 1
    .uses_dynamic_stack: false
    .vgpr_count:     0
    .vgpr_spill_count: 0
    .wavefront_size: 32
    .workgroup_processor_mode: 1
  - .args:
      - .offset:         0
        .size:           136
        .value_kind:     by_value
    .group_segment_fixed_size: 0
    .kernarg_segment_align: 8
    .kernarg_segment_size: 136
    .language:       OpenCL C
    .language_version:
      - 2
      - 0
    .max_flat_workgroup_size: 256
    .name:           _ZN7rocprim17ROCPRIM_400000_NS6detail17trampoline_kernelINS0_14default_configENS1_27scan_by_key_config_selectorIxxEEZZNS1_16scan_by_key_implILNS1_25lookback_scan_determinismE0ELb1ES3_N6thrust23THRUST_200600_302600_NS6detail15normal_iteratorINS9_10device_ptrIxEEEESE_SE_xNS9_10multipliesIxEENS9_8equal_toIxEExEE10hipError_tPvRmT2_T3_T4_T5_mT6_T7_P12ihipStream_tbENKUlT_T0_E_clISt17integral_constantIbLb0EESY_IbLb1EEEEDaSU_SV_EUlSU_E_NS1_11comp_targetILNS1_3genE2ELNS1_11target_archE906ELNS1_3gpuE6ELNS1_3repE0EEENS1_30default_config_static_selectorELNS0_4arch9wavefront6targetE0EEEvT1_
    .private_segment_fixed_size: 0
    .sgpr_count:     0
    .sgpr_spill_count: 0
    .symbol:         _ZN7rocprim17ROCPRIM_400000_NS6detail17trampoline_kernelINS0_14default_configENS1_27scan_by_key_config_selectorIxxEEZZNS1_16scan_by_key_implILNS1_25lookback_scan_determinismE0ELb1ES3_N6thrust23THRUST_200600_302600_NS6detail15normal_iteratorINS9_10device_ptrIxEEEESE_SE_xNS9_10multipliesIxEENS9_8equal_toIxEExEE10hipError_tPvRmT2_T3_T4_T5_mT6_T7_P12ihipStream_tbENKUlT_T0_E_clISt17integral_constantIbLb0EESY_IbLb1EEEEDaSU_SV_EUlSU_E_NS1_11comp_targetILNS1_3genE2ELNS1_11target_archE906ELNS1_3gpuE6ELNS1_3repE0EEENS1_30default_config_static_selectorELNS0_4arch9wavefront6targetE0EEEvT1_.kd
    .uniform_work_group_size: 1
    .uses_dynamic_stack: false
    .vgpr_count:     0
    .vgpr_spill_count: 0
    .wavefront_size: 32
    .workgroup_processor_mode: 1
  - .args:
      - .offset:         0
        .size:           136
        .value_kind:     by_value
    .group_segment_fixed_size: 0
    .kernarg_segment_align: 8
    .kernarg_segment_size: 136
    .language:       OpenCL C
    .language_version:
      - 2
      - 0
    .max_flat_workgroup_size: 256
    .name:           _ZN7rocprim17ROCPRIM_400000_NS6detail17trampoline_kernelINS0_14default_configENS1_27scan_by_key_config_selectorIxxEEZZNS1_16scan_by_key_implILNS1_25lookback_scan_determinismE0ELb1ES3_N6thrust23THRUST_200600_302600_NS6detail15normal_iteratorINS9_10device_ptrIxEEEESE_SE_xNS9_10multipliesIxEENS9_8equal_toIxEExEE10hipError_tPvRmT2_T3_T4_T5_mT6_T7_P12ihipStream_tbENKUlT_T0_E_clISt17integral_constantIbLb0EESY_IbLb1EEEEDaSU_SV_EUlSU_E_NS1_11comp_targetILNS1_3genE10ELNS1_11target_archE1200ELNS1_3gpuE4ELNS1_3repE0EEENS1_30default_config_static_selectorELNS0_4arch9wavefront6targetE0EEEvT1_
    .private_segment_fixed_size: 0
    .sgpr_count:     0
    .sgpr_spill_count: 0
    .symbol:         _ZN7rocprim17ROCPRIM_400000_NS6detail17trampoline_kernelINS0_14default_configENS1_27scan_by_key_config_selectorIxxEEZZNS1_16scan_by_key_implILNS1_25lookback_scan_determinismE0ELb1ES3_N6thrust23THRUST_200600_302600_NS6detail15normal_iteratorINS9_10device_ptrIxEEEESE_SE_xNS9_10multipliesIxEENS9_8equal_toIxEExEE10hipError_tPvRmT2_T3_T4_T5_mT6_T7_P12ihipStream_tbENKUlT_T0_E_clISt17integral_constantIbLb0EESY_IbLb1EEEEDaSU_SV_EUlSU_E_NS1_11comp_targetILNS1_3genE10ELNS1_11target_archE1200ELNS1_3gpuE4ELNS1_3repE0EEENS1_30default_config_static_selectorELNS0_4arch9wavefront6targetE0EEEvT1_.kd
    .uniform_work_group_size: 1
    .uses_dynamic_stack: false
    .vgpr_count:     0
    .vgpr_spill_count: 0
    .wavefront_size: 32
    .workgroup_processor_mode: 1
  - .args:
      - .offset:         0
        .size:           136
        .value_kind:     by_value
    .group_segment_fixed_size: 0
    .kernarg_segment_align: 8
    .kernarg_segment_size: 136
    .language:       OpenCL C
    .language_version:
      - 2
      - 0
    .max_flat_workgroup_size: 256
    .name:           _ZN7rocprim17ROCPRIM_400000_NS6detail17trampoline_kernelINS0_14default_configENS1_27scan_by_key_config_selectorIxxEEZZNS1_16scan_by_key_implILNS1_25lookback_scan_determinismE0ELb1ES3_N6thrust23THRUST_200600_302600_NS6detail15normal_iteratorINS9_10device_ptrIxEEEESE_SE_xNS9_10multipliesIxEENS9_8equal_toIxEExEE10hipError_tPvRmT2_T3_T4_T5_mT6_T7_P12ihipStream_tbENKUlT_T0_E_clISt17integral_constantIbLb0EESY_IbLb1EEEEDaSU_SV_EUlSU_E_NS1_11comp_targetILNS1_3genE9ELNS1_11target_archE1100ELNS1_3gpuE3ELNS1_3repE0EEENS1_30default_config_static_selectorELNS0_4arch9wavefront6targetE0EEEvT1_
    .private_segment_fixed_size: 0
    .sgpr_count:     0
    .sgpr_spill_count: 0
    .symbol:         _ZN7rocprim17ROCPRIM_400000_NS6detail17trampoline_kernelINS0_14default_configENS1_27scan_by_key_config_selectorIxxEEZZNS1_16scan_by_key_implILNS1_25lookback_scan_determinismE0ELb1ES3_N6thrust23THRUST_200600_302600_NS6detail15normal_iteratorINS9_10device_ptrIxEEEESE_SE_xNS9_10multipliesIxEENS9_8equal_toIxEExEE10hipError_tPvRmT2_T3_T4_T5_mT6_T7_P12ihipStream_tbENKUlT_T0_E_clISt17integral_constantIbLb0EESY_IbLb1EEEEDaSU_SV_EUlSU_E_NS1_11comp_targetILNS1_3genE9ELNS1_11target_archE1100ELNS1_3gpuE3ELNS1_3repE0EEENS1_30default_config_static_selectorELNS0_4arch9wavefront6targetE0EEEvT1_.kd
    .uniform_work_group_size: 1
    .uses_dynamic_stack: false
    .vgpr_count:     0
    .vgpr_spill_count: 0
    .wavefront_size: 32
    .workgroup_processor_mode: 1
  - .args:
      - .offset:         0
        .size:           136
        .value_kind:     by_value
    .group_segment_fixed_size: 30720
    .kernarg_segment_align: 8
    .kernarg_segment_size: 136
    .language:       OpenCL C
    .language_version:
      - 2
      - 0
    .max_flat_workgroup_size: 256
    .name:           _ZN7rocprim17ROCPRIM_400000_NS6detail17trampoline_kernelINS0_14default_configENS1_27scan_by_key_config_selectorIxxEEZZNS1_16scan_by_key_implILNS1_25lookback_scan_determinismE0ELb1ES3_N6thrust23THRUST_200600_302600_NS6detail15normal_iteratorINS9_10device_ptrIxEEEESE_SE_xNS9_10multipliesIxEENS9_8equal_toIxEExEE10hipError_tPvRmT2_T3_T4_T5_mT6_T7_P12ihipStream_tbENKUlT_T0_E_clISt17integral_constantIbLb0EESY_IbLb1EEEEDaSU_SV_EUlSU_E_NS1_11comp_targetILNS1_3genE8ELNS1_11target_archE1030ELNS1_3gpuE2ELNS1_3repE0EEENS1_30default_config_static_selectorELNS0_4arch9wavefront6targetE0EEEvT1_
    .private_segment_fixed_size: 0
    .sgpr_count:     53
    .sgpr_spill_count: 0
    .symbol:         _ZN7rocprim17ROCPRIM_400000_NS6detail17trampoline_kernelINS0_14default_configENS1_27scan_by_key_config_selectorIxxEEZZNS1_16scan_by_key_implILNS1_25lookback_scan_determinismE0ELb1ES3_N6thrust23THRUST_200600_302600_NS6detail15normal_iteratorINS9_10device_ptrIxEEEESE_SE_xNS9_10multipliesIxEENS9_8equal_toIxEExEE10hipError_tPvRmT2_T3_T4_T5_mT6_T7_P12ihipStream_tbENKUlT_T0_E_clISt17integral_constantIbLb0EESY_IbLb1EEEEDaSU_SV_EUlSU_E_NS1_11comp_targetILNS1_3genE8ELNS1_11target_archE1030ELNS1_3gpuE2ELNS1_3repE0EEENS1_30default_config_static_selectorELNS0_4arch9wavefront6targetE0EEEvT1_.kd
    .uniform_work_group_size: 1
    .uses_dynamic_stack: false
    .vgpr_count:     109
    .vgpr_spill_count: 0
    .wavefront_size: 32
    .workgroup_processor_mode: 1
  - .args:
      - .offset:         0
        .size:           136
        .value_kind:     by_value
    .group_segment_fixed_size: 0
    .kernarg_segment_align: 8
    .kernarg_segment_size: 136
    .language:       OpenCL C
    .language_version:
      - 2
      - 0
    .max_flat_workgroup_size: 256
    .name:           _ZN7rocprim17ROCPRIM_400000_NS6detail17trampoline_kernelINS0_14default_configENS1_27scan_by_key_config_selectorIxxEEZZNS1_16scan_by_key_implILNS1_25lookback_scan_determinismE0ELb1ES3_N6thrust23THRUST_200600_302600_NS6detail15normal_iteratorINS9_10device_ptrIxEEEESE_SE_xNS9_4plusIvEENS9_8equal_toIxEExEE10hipError_tPvRmT2_T3_T4_T5_mT6_T7_P12ihipStream_tbENKUlT_T0_E_clISt17integral_constantIbLb0EESZ_EEDaSU_SV_EUlSU_E_NS1_11comp_targetILNS1_3genE0ELNS1_11target_archE4294967295ELNS1_3gpuE0ELNS1_3repE0EEENS1_30default_config_static_selectorELNS0_4arch9wavefront6targetE0EEEvT1_
    .private_segment_fixed_size: 0
    .sgpr_count:     0
    .sgpr_spill_count: 0
    .symbol:         _ZN7rocprim17ROCPRIM_400000_NS6detail17trampoline_kernelINS0_14default_configENS1_27scan_by_key_config_selectorIxxEEZZNS1_16scan_by_key_implILNS1_25lookback_scan_determinismE0ELb1ES3_N6thrust23THRUST_200600_302600_NS6detail15normal_iteratorINS9_10device_ptrIxEEEESE_SE_xNS9_4plusIvEENS9_8equal_toIxEExEE10hipError_tPvRmT2_T3_T4_T5_mT6_T7_P12ihipStream_tbENKUlT_T0_E_clISt17integral_constantIbLb0EESZ_EEDaSU_SV_EUlSU_E_NS1_11comp_targetILNS1_3genE0ELNS1_11target_archE4294967295ELNS1_3gpuE0ELNS1_3repE0EEENS1_30default_config_static_selectorELNS0_4arch9wavefront6targetE0EEEvT1_.kd
    .uniform_work_group_size: 1
    .uses_dynamic_stack: false
    .vgpr_count:     0
    .vgpr_spill_count: 0
    .wavefront_size: 32
    .workgroup_processor_mode: 1
  - .args:
      - .offset:         0
        .size:           136
        .value_kind:     by_value
    .group_segment_fixed_size: 0
    .kernarg_segment_align: 8
    .kernarg_segment_size: 136
    .language:       OpenCL C
    .language_version:
      - 2
      - 0
    .max_flat_workgroup_size: 256
    .name:           _ZN7rocprim17ROCPRIM_400000_NS6detail17trampoline_kernelINS0_14default_configENS1_27scan_by_key_config_selectorIxxEEZZNS1_16scan_by_key_implILNS1_25lookback_scan_determinismE0ELb1ES3_N6thrust23THRUST_200600_302600_NS6detail15normal_iteratorINS9_10device_ptrIxEEEESE_SE_xNS9_4plusIvEENS9_8equal_toIxEExEE10hipError_tPvRmT2_T3_T4_T5_mT6_T7_P12ihipStream_tbENKUlT_T0_E_clISt17integral_constantIbLb0EESZ_EEDaSU_SV_EUlSU_E_NS1_11comp_targetILNS1_3genE10ELNS1_11target_archE1201ELNS1_3gpuE5ELNS1_3repE0EEENS1_30default_config_static_selectorELNS0_4arch9wavefront6targetE0EEEvT1_
    .private_segment_fixed_size: 0
    .sgpr_count:     0
    .sgpr_spill_count: 0
    .symbol:         _ZN7rocprim17ROCPRIM_400000_NS6detail17trampoline_kernelINS0_14default_configENS1_27scan_by_key_config_selectorIxxEEZZNS1_16scan_by_key_implILNS1_25lookback_scan_determinismE0ELb1ES3_N6thrust23THRUST_200600_302600_NS6detail15normal_iteratorINS9_10device_ptrIxEEEESE_SE_xNS9_4plusIvEENS9_8equal_toIxEExEE10hipError_tPvRmT2_T3_T4_T5_mT6_T7_P12ihipStream_tbENKUlT_T0_E_clISt17integral_constantIbLb0EESZ_EEDaSU_SV_EUlSU_E_NS1_11comp_targetILNS1_3genE10ELNS1_11target_archE1201ELNS1_3gpuE5ELNS1_3repE0EEENS1_30default_config_static_selectorELNS0_4arch9wavefront6targetE0EEEvT1_.kd
    .uniform_work_group_size: 1
    .uses_dynamic_stack: false
    .vgpr_count:     0
    .vgpr_spill_count: 0
    .wavefront_size: 32
    .workgroup_processor_mode: 1
  - .args:
      - .offset:         0
        .size:           136
        .value_kind:     by_value
    .group_segment_fixed_size: 0
    .kernarg_segment_align: 8
    .kernarg_segment_size: 136
    .language:       OpenCL C
    .language_version:
      - 2
      - 0
    .max_flat_workgroup_size: 256
    .name:           _ZN7rocprim17ROCPRIM_400000_NS6detail17trampoline_kernelINS0_14default_configENS1_27scan_by_key_config_selectorIxxEEZZNS1_16scan_by_key_implILNS1_25lookback_scan_determinismE0ELb1ES3_N6thrust23THRUST_200600_302600_NS6detail15normal_iteratorINS9_10device_ptrIxEEEESE_SE_xNS9_4plusIvEENS9_8equal_toIxEExEE10hipError_tPvRmT2_T3_T4_T5_mT6_T7_P12ihipStream_tbENKUlT_T0_E_clISt17integral_constantIbLb0EESZ_EEDaSU_SV_EUlSU_E_NS1_11comp_targetILNS1_3genE5ELNS1_11target_archE942ELNS1_3gpuE9ELNS1_3repE0EEENS1_30default_config_static_selectorELNS0_4arch9wavefront6targetE0EEEvT1_
    .private_segment_fixed_size: 0
    .sgpr_count:     0
    .sgpr_spill_count: 0
    .symbol:         _ZN7rocprim17ROCPRIM_400000_NS6detail17trampoline_kernelINS0_14default_configENS1_27scan_by_key_config_selectorIxxEEZZNS1_16scan_by_key_implILNS1_25lookback_scan_determinismE0ELb1ES3_N6thrust23THRUST_200600_302600_NS6detail15normal_iteratorINS9_10device_ptrIxEEEESE_SE_xNS9_4plusIvEENS9_8equal_toIxEExEE10hipError_tPvRmT2_T3_T4_T5_mT6_T7_P12ihipStream_tbENKUlT_T0_E_clISt17integral_constantIbLb0EESZ_EEDaSU_SV_EUlSU_E_NS1_11comp_targetILNS1_3genE5ELNS1_11target_archE942ELNS1_3gpuE9ELNS1_3repE0EEENS1_30default_config_static_selectorELNS0_4arch9wavefront6targetE0EEEvT1_.kd
    .uniform_work_group_size: 1
    .uses_dynamic_stack: false
    .vgpr_count:     0
    .vgpr_spill_count: 0
    .wavefront_size: 32
    .workgroup_processor_mode: 1
  - .args:
      - .offset:         0
        .size:           136
        .value_kind:     by_value
    .group_segment_fixed_size: 0
    .kernarg_segment_align: 8
    .kernarg_segment_size: 136
    .language:       OpenCL C
    .language_version:
      - 2
      - 0
    .max_flat_workgroup_size: 64
    .name:           _ZN7rocprim17ROCPRIM_400000_NS6detail17trampoline_kernelINS0_14default_configENS1_27scan_by_key_config_selectorIxxEEZZNS1_16scan_by_key_implILNS1_25lookback_scan_determinismE0ELb1ES3_N6thrust23THRUST_200600_302600_NS6detail15normal_iteratorINS9_10device_ptrIxEEEESE_SE_xNS9_4plusIvEENS9_8equal_toIxEExEE10hipError_tPvRmT2_T3_T4_T5_mT6_T7_P12ihipStream_tbENKUlT_T0_E_clISt17integral_constantIbLb0EESZ_EEDaSU_SV_EUlSU_E_NS1_11comp_targetILNS1_3genE4ELNS1_11target_archE910ELNS1_3gpuE8ELNS1_3repE0EEENS1_30default_config_static_selectorELNS0_4arch9wavefront6targetE0EEEvT1_
    .private_segment_fixed_size: 0
    .sgpr_count:     0
    .sgpr_spill_count: 0
    .symbol:         _ZN7rocprim17ROCPRIM_400000_NS6detail17trampoline_kernelINS0_14default_configENS1_27scan_by_key_config_selectorIxxEEZZNS1_16scan_by_key_implILNS1_25lookback_scan_determinismE0ELb1ES3_N6thrust23THRUST_200600_302600_NS6detail15normal_iteratorINS9_10device_ptrIxEEEESE_SE_xNS9_4plusIvEENS9_8equal_toIxEExEE10hipError_tPvRmT2_T3_T4_T5_mT6_T7_P12ihipStream_tbENKUlT_T0_E_clISt17integral_constantIbLb0EESZ_EEDaSU_SV_EUlSU_E_NS1_11comp_targetILNS1_3genE4ELNS1_11target_archE910ELNS1_3gpuE8ELNS1_3repE0EEENS1_30default_config_static_selectorELNS0_4arch9wavefront6targetE0EEEvT1_.kd
    .uniform_work_group_size: 1
    .uses_dynamic_stack: false
    .vgpr_count:     0
    .vgpr_spill_count: 0
    .wavefront_size: 32
    .workgroup_processor_mode: 1
  - .args:
      - .offset:         0
        .size:           136
        .value_kind:     by_value
    .group_segment_fixed_size: 0
    .kernarg_segment_align: 8
    .kernarg_segment_size: 136
    .language:       OpenCL C
    .language_version:
      - 2
      - 0
    .max_flat_workgroup_size: 256
    .name:           _ZN7rocprim17ROCPRIM_400000_NS6detail17trampoline_kernelINS0_14default_configENS1_27scan_by_key_config_selectorIxxEEZZNS1_16scan_by_key_implILNS1_25lookback_scan_determinismE0ELb1ES3_N6thrust23THRUST_200600_302600_NS6detail15normal_iteratorINS9_10device_ptrIxEEEESE_SE_xNS9_4plusIvEENS9_8equal_toIxEExEE10hipError_tPvRmT2_T3_T4_T5_mT6_T7_P12ihipStream_tbENKUlT_T0_E_clISt17integral_constantIbLb0EESZ_EEDaSU_SV_EUlSU_E_NS1_11comp_targetILNS1_3genE3ELNS1_11target_archE908ELNS1_3gpuE7ELNS1_3repE0EEENS1_30default_config_static_selectorELNS0_4arch9wavefront6targetE0EEEvT1_
    .private_segment_fixed_size: 0
    .sgpr_count:     0
    .sgpr_spill_count: 0
    .symbol:         _ZN7rocprim17ROCPRIM_400000_NS6detail17trampoline_kernelINS0_14default_configENS1_27scan_by_key_config_selectorIxxEEZZNS1_16scan_by_key_implILNS1_25lookback_scan_determinismE0ELb1ES3_N6thrust23THRUST_200600_302600_NS6detail15normal_iteratorINS9_10device_ptrIxEEEESE_SE_xNS9_4plusIvEENS9_8equal_toIxEExEE10hipError_tPvRmT2_T3_T4_T5_mT6_T7_P12ihipStream_tbENKUlT_T0_E_clISt17integral_constantIbLb0EESZ_EEDaSU_SV_EUlSU_E_NS1_11comp_targetILNS1_3genE3ELNS1_11target_archE908ELNS1_3gpuE7ELNS1_3repE0EEENS1_30default_config_static_selectorELNS0_4arch9wavefront6targetE0EEEvT1_.kd
    .uniform_work_group_size: 1
    .uses_dynamic_stack: false
    .vgpr_count:     0
    .vgpr_spill_count: 0
    .wavefront_size: 32
    .workgroup_processor_mode: 1
  - .args:
      - .offset:         0
        .size:           136
        .value_kind:     by_value
    .group_segment_fixed_size: 0
    .kernarg_segment_align: 8
    .kernarg_segment_size: 136
    .language:       OpenCL C
    .language_version:
      - 2
      - 0
    .max_flat_workgroup_size: 256
    .name:           _ZN7rocprim17ROCPRIM_400000_NS6detail17trampoline_kernelINS0_14default_configENS1_27scan_by_key_config_selectorIxxEEZZNS1_16scan_by_key_implILNS1_25lookback_scan_determinismE0ELb1ES3_N6thrust23THRUST_200600_302600_NS6detail15normal_iteratorINS9_10device_ptrIxEEEESE_SE_xNS9_4plusIvEENS9_8equal_toIxEExEE10hipError_tPvRmT2_T3_T4_T5_mT6_T7_P12ihipStream_tbENKUlT_T0_E_clISt17integral_constantIbLb0EESZ_EEDaSU_SV_EUlSU_E_NS1_11comp_targetILNS1_3genE2ELNS1_11target_archE906ELNS1_3gpuE6ELNS1_3repE0EEENS1_30default_config_static_selectorELNS0_4arch9wavefront6targetE0EEEvT1_
    .private_segment_fixed_size: 0
    .sgpr_count:     0
    .sgpr_spill_count: 0
    .symbol:         _ZN7rocprim17ROCPRIM_400000_NS6detail17trampoline_kernelINS0_14default_configENS1_27scan_by_key_config_selectorIxxEEZZNS1_16scan_by_key_implILNS1_25lookback_scan_determinismE0ELb1ES3_N6thrust23THRUST_200600_302600_NS6detail15normal_iteratorINS9_10device_ptrIxEEEESE_SE_xNS9_4plusIvEENS9_8equal_toIxEExEE10hipError_tPvRmT2_T3_T4_T5_mT6_T7_P12ihipStream_tbENKUlT_T0_E_clISt17integral_constantIbLb0EESZ_EEDaSU_SV_EUlSU_E_NS1_11comp_targetILNS1_3genE2ELNS1_11target_archE906ELNS1_3gpuE6ELNS1_3repE0EEENS1_30default_config_static_selectorELNS0_4arch9wavefront6targetE0EEEvT1_.kd
    .uniform_work_group_size: 1
    .uses_dynamic_stack: false
    .vgpr_count:     0
    .vgpr_spill_count: 0
    .wavefront_size: 32
    .workgroup_processor_mode: 1
  - .args:
      - .offset:         0
        .size:           136
        .value_kind:     by_value
    .group_segment_fixed_size: 0
    .kernarg_segment_align: 8
    .kernarg_segment_size: 136
    .language:       OpenCL C
    .language_version:
      - 2
      - 0
    .max_flat_workgroup_size: 256
    .name:           _ZN7rocprim17ROCPRIM_400000_NS6detail17trampoline_kernelINS0_14default_configENS1_27scan_by_key_config_selectorIxxEEZZNS1_16scan_by_key_implILNS1_25lookback_scan_determinismE0ELb1ES3_N6thrust23THRUST_200600_302600_NS6detail15normal_iteratorINS9_10device_ptrIxEEEESE_SE_xNS9_4plusIvEENS9_8equal_toIxEExEE10hipError_tPvRmT2_T3_T4_T5_mT6_T7_P12ihipStream_tbENKUlT_T0_E_clISt17integral_constantIbLb0EESZ_EEDaSU_SV_EUlSU_E_NS1_11comp_targetILNS1_3genE10ELNS1_11target_archE1200ELNS1_3gpuE4ELNS1_3repE0EEENS1_30default_config_static_selectorELNS0_4arch9wavefront6targetE0EEEvT1_
    .private_segment_fixed_size: 0
    .sgpr_count:     0
    .sgpr_spill_count: 0
    .symbol:         _ZN7rocprim17ROCPRIM_400000_NS6detail17trampoline_kernelINS0_14default_configENS1_27scan_by_key_config_selectorIxxEEZZNS1_16scan_by_key_implILNS1_25lookback_scan_determinismE0ELb1ES3_N6thrust23THRUST_200600_302600_NS6detail15normal_iteratorINS9_10device_ptrIxEEEESE_SE_xNS9_4plusIvEENS9_8equal_toIxEExEE10hipError_tPvRmT2_T3_T4_T5_mT6_T7_P12ihipStream_tbENKUlT_T0_E_clISt17integral_constantIbLb0EESZ_EEDaSU_SV_EUlSU_E_NS1_11comp_targetILNS1_3genE10ELNS1_11target_archE1200ELNS1_3gpuE4ELNS1_3repE0EEENS1_30default_config_static_selectorELNS0_4arch9wavefront6targetE0EEEvT1_.kd
    .uniform_work_group_size: 1
    .uses_dynamic_stack: false
    .vgpr_count:     0
    .vgpr_spill_count: 0
    .wavefront_size: 32
    .workgroup_processor_mode: 1
  - .args:
      - .offset:         0
        .size:           136
        .value_kind:     by_value
    .group_segment_fixed_size: 0
    .kernarg_segment_align: 8
    .kernarg_segment_size: 136
    .language:       OpenCL C
    .language_version:
      - 2
      - 0
    .max_flat_workgroup_size: 256
    .name:           _ZN7rocprim17ROCPRIM_400000_NS6detail17trampoline_kernelINS0_14default_configENS1_27scan_by_key_config_selectorIxxEEZZNS1_16scan_by_key_implILNS1_25lookback_scan_determinismE0ELb1ES3_N6thrust23THRUST_200600_302600_NS6detail15normal_iteratorINS9_10device_ptrIxEEEESE_SE_xNS9_4plusIvEENS9_8equal_toIxEExEE10hipError_tPvRmT2_T3_T4_T5_mT6_T7_P12ihipStream_tbENKUlT_T0_E_clISt17integral_constantIbLb0EESZ_EEDaSU_SV_EUlSU_E_NS1_11comp_targetILNS1_3genE9ELNS1_11target_archE1100ELNS1_3gpuE3ELNS1_3repE0EEENS1_30default_config_static_selectorELNS0_4arch9wavefront6targetE0EEEvT1_
    .private_segment_fixed_size: 0
    .sgpr_count:     0
    .sgpr_spill_count: 0
    .symbol:         _ZN7rocprim17ROCPRIM_400000_NS6detail17trampoline_kernelINS0_14default_configENS1_27scan_by_key_config_selectorIxxEEZZNS1_16scan_by_key_implILNS1_25lookback_scan_determinismE0ELb1ES3_N6thrust23THRUST_200600_302600_NS6detail15normal_iteratorINS9_10device_ptrIxEEEESE_SE_xNS9_4plusIvEENS9_8equal_toIxEExEE10hipError_tPvRmT2_T3_T4_T5_mT6_T7_P12ihipStream_tbENKUlT_T0_E_clISt17integral_constantIbLb0EESZ_EEDaSU_SV_EUlSU_E_NS1_11comp_targetILNS1_3genE9ELNS1_11target_archE1100ELNS1_3gpuE3ELNS1_3repE0EEENS1_30default_config_static_selectorELNS0_4arch9wavefront6targetE0EEEvT1_.kd
    .uniform_work_group_size: 1
    .uses_dynamic_stack: false
    .vgpr_count:     0
    .vgpr_spill_count: 0
    .wavefront_size: 32
    .workgroup_processor_mode: 1
  - .args:
      - .offset:         0
        .size:           136
        .value_kind:     by_value
    .group_segment_fixed_size: 30720
    .kernarg_segment_align: 8
    .kernarg_segment_size: 136
    .language:       OpenCL C
    .language_version:
      - 2
      - 0
    .max_flat_workgroup_size: 256
    .name:           _ZN7rocprim17ROCPRIM_400000_NS6detail17trampoline_kernelINS0_14default_configENS1_27scan_by_key_config_selectorIxxEEZZNS1_16scan_by_key_implILNS1_25lookback_scan_determinismE0ELb1ES3_N6thrust23THRUST_200600_302600_NS6detail15normal_iteratorINS9_10device_ptrIxEEEESE_SE_xNS9_4plusIvEENS9_8equal_toIxEExEE10hipError_tPvRmT2_T3_T4_T5_mT6_T7_P12ihipStream_tbENKUlT_T0_E_clISt17integral_constantIbLb0EESZ_EEDaSU_SV_EUlSU_E_NS1_11comp_targetILNS1_3genE8ELNS1_11target_archE1030ELNS1_3gpuE2ELNS1_3repE0EEENS1_30default_config_static_selectorELNS0_4arch9wavefront6targetE0EEEvT1_
    .private_segment_fixed_size: 0
    .sgpr_count:     57
    .sgpr_spill_count: 0
    .symbol:         _ZN7rocprim17ROCPRIM_400000_NS6detail17trampoline_kernelINS0_14default_configENS1_27scan_by_key_config_selectorIxxEEZZNS1_16scan_by_key_implILNS1_25lookback_scan_determinismE0ELb1ES3_N6thrust23THRUST_200600_302600_NS6detail15normal_iteratorINS9_10device_ptrIxEEEESE_SE_xNS9_4plusIvEENS9_8equal_toIxEExEE10hipError_tPvRmT2_T3_T4_T5_mT6_T7_P12ihipStream_tbENKUlT_T0_E_clISt17integral_constantIbLb0EESZ_EEDaSU_SV_EUlSU_E_NS1_11comp_targetILNS1_3genE8ELNS1_11target_archE1030ELNS1_3gpuE2ELNS1_3repE0EEENS1_30default_config_static_selectorELNS0_4arch9wavefront6targetE0EEEvT1_.kd
    .uniform_work_group_size: 1
    .uses_dynamic_stack: false
    .vgpr_count:     103
    .vgpr_spill_count: 0
    .wavefront_size: 32
    .workgroup_processor_mode: 1
  - .args:
      - .offset:         0
        .size:           136
        .value_kind:     by_value
    .group_segment_fixed_size: 0
    .kernarg_segment_align: 8
    .kernarg_segment_size: 136
    .language:       OpenCL C
    .language_version:
      - 2
      - 0
    .max_flat_workgroup_size: 256
    .name:           _ZN7rocprim17ROCPRIM_400000_NS6detail17trampoline_kernelINS0_14default_configENS1_27scan_by_key_config_selectorIxxEEZZNS1_16scan_by_key_implILNS1_25lookback_scan_determinismE0ELb1ES3_N6thrust23THRUST_200600_302600_NS6detail15normal_iteratorINS9_10device_ptrIxEEEESE_SE_xNS9_4plusIvEENS9_8equal_toIxEExEE10hipError_tPvRmT2_T3_T4_T5_mT6_T7_P12ihipStream_tbENKUlT_T0_E_clISt17integral_constantIbLb1EESZ_EEDaSU_SV_EUlSU_E_NS1_11comp_targetILNS1_3genE0ELNS1_11target_archE4294967295ELNS1_3gpuE0ELNS1_3repE0EEENS1_30default_config_static_selectorELNS0_4arch9wavefront6targetE0EEEvT1_
    .private_segment_fixed_size: 0
    .sgpr_count:     0
    .sgpr_spill_count: 0
    .symbol:         _ZN7rocprim17ROCPRIM_400000_NS6detail17trampoline_kernelINS0_14default_configENS1_27scan_by_key_config_selectorIxxEEZZNS1_16scan_by_key_implILNS1_25lookback_scan_determinismE0ELb1ES3_N6thrust23THRUST_200600_302600_NS6detail15normal_iteratorINS9_10device_ptrIxEEEESE_SE_xNS9_4plusIvEENS9_8equal_toIxEExEE10hipError_tPvRmT2_T3_T4_T5_mT6_T7_P12ihipStream_tbENKUlT_T0_E_clISt17integral_constantIbLb1EESZ_EEDaSU_SV_EUlSU_E_NS1_11comp_targetILNS1_3genE0ELNS1_11target_archE4294967295ELNS1_3gpuE0ELNS1_3repE0EEENS1_30default_config_static_selectorELNS0_4arch9wavefront6targetE0EEEvT1_.kd
    .uniform_work_group_size: 1
    .uses_dynamic_stack: false
    .vgpr_count:     0
    .vgpr_spill_count: 0
    .wavefront_size: 32
    .workgroup_processor_mode: 1
  - .args:
      - .offset:         0
        .size:           136
        .value_kind:     by_value
    .group_segment_fixed_size: 0
    .kernarg_segment_align: 8
    .kernarg_segment_size: 136
    .language:       OpenCL C
    .language_version:
      - 2
      - 0
    .max_flat_workgroup_size: 256
    .name:           _ZN7rocprim17ROCPRIM_400000_NS6detail17trampoline_kernelINS0_14default_configENS1_27scan_by_key_config_selectorIxxEEZZNS1_16scan_by_key_implILNS1_25lookback_scan_determinismE0ELb1ES3_N6thrust23THRUST_200600_302600_NS6detail15normal_iteratorINS9_10device_ptrIxEEEESE_SE_xNS9_4plusIvEENS9_8equal_toIxEExEE10hipError_tPvRmT2_T3_T4_T5_mT6_T7_P12ihipStream_tbENKUlT_T0_E_clISt17integral_constantIbLb1EESZ_EEDaSU_SV_EUlSU_E_NS1_11comp_targetILNS1_3genE10ELNS1_11target_archE1201ELNS1_3gpuE5ELNS1_3repE0EEENS1_30default_config_static_selectorELNS0_4arch9wavefront6targetE0EEEvT1_
    .private_segment_fixed_size: 0
    .sgpr_count:     0
    .sgpr_spill_count: 0
    .symbol:         _ZN7rocprim17ROCPRIM_400000_NS6detail17trampoline_kernelINS0_14default_configENS1_27scan_by_key_config_selectorIxxEEZZNS1_16scan_by_key_implILNS1_25lookback_scan_determinismE0ELb1ES3_N6thrust23THRUST_200600_302600_NS6detail15normal_iteratorINS9_10device_ptrIxEEEESE_SE_xNS9_4plusIvEENS9_8equal_toIxEExEE10hipError_tPvRmT2_T3_T4_T5_mT6_T7_P12ihipStream_tbENKUlT_T0_E_clISt17integral_constantIbLb1EESZ_EEDaSU_SV_EUlSU_E_NS1_11comp_targetILNS1_3genE10ELNS1_11target_archE1201ELNS1_3gpuE5ELNS1_3repE0EEENS1_30default_config_static_selectorELNS0_4arch9wavefront6targetE0EEEvT1_.kd
    .uniform_work_group_size: 1
    .uses_dynamic_stack: false
    .vgpr_count:     0
    .vgpr_spill_count: 0
    .wavefront_size: 32
    .workgroup_processor_mode: 1
  - .args:
      - .offset:         0
        .size:           136
        .value_kind:     by_value
    .group_segment_fixed_size: 0
    .kernarg_segment_align: 8
    .kernarg_segment_size: 136
    .language:       OpenCL C
    .language_version:
      - 2
      - 0
    .max_flat_workgroup_size: 256
    .name:           _ZN7rocprim17ROCPRIM_400000_NS6detail17trampoline_kernelINS0_14default_configENS1_27scan_by_key_config_selectorIxxEEZZNS1_16scan_by_key_implILNS1_25lookback_scan_determinismE0ELb1ES3_N6thrust23THRUST_200600_302600_NS6detail15normal_iteratorINS9_10device_ptrIxEEEESE_SE_xNS9_4plusIvEENS9_8equal_toIxEExEE10hipError_tPvRmT2_T3_T4_T5_mT6_T7_P12ihipStream_tbENKUlT_T0_E_clISt17integral_constantIbLb1EESZ_EEDaSU_SV_EUlSU_E_NS1_11comp_targetILNS1_3genE5ELNS1_11target_archE942ELNS1_3gpuE9ELNS1_3repE0EEENS1_30default_config_static_selectorELNS0_4arch9wavefront6targetE0EEEvT1_
    .private_segment_fixed_size: 0
    .sgpr_count:     0
    .sgpr_spill_count: 0
    .symbol:         _ZN7rocprim17ROCPRIM_400000_NS6detail17trampoline_kernelINS0_14default_configENS1_27scan_by_key_config_selectorIxxEEZZNS1_16scan_by_key_implILNS1_25lookback_scan_determinismE0ELb1ES3_N6thrust23THRUST_200600_302600_NS6detail15normal_iteratorINS9_10device_ptrIxEEEESE_SE_xNS9_4plusIvEENS9_8equal_toIxEExEE10hipError_tPvRmT2_T3_T4_T5_mT6_T7_P12ihipStream_tbENKUlT_T0_E_clISt17integral_constantIbLb1EESZ_EEDaSU_SV_EUlSU_E_NS1_11comp_targetILNS1_3genE5ELNS1_11target_archE942ELNS1_3gpuE9ELNS1_3repE0EEENS1_30default_config_static_selectorELNS0_4arch9wavefront6targetE0EEEvT1_.kd
    .uniform_work_group_size: 1
    .uses_dynamic_stack: false
    .vgpr_count:     0
    .vgpr_spill_count: 0
    .wavefront_size: 32
    .workgroup_processor_mode: 1
  - .args:
      - .offset:         0
        .size:           136
        .value_kind:     by_value
    .group_segment_fixed_size: 0
    .kernarg_segment_align: 8
    .kernarg_segment_size: 136
    .language:       OpenCL C
    .language_version:
      - 2
      - 0
    .max_flat_workgroup_size: 64
    .name:           _ZN7rocprim17ROCPRIM_400000_NS6detail17trampoline_kernelINS0_14default_configENS1_27scan_by_key_config_selectorIxxEEZZNS1_16scan_by_key_implILNS1_25lookback_scan_determinismE0ELb1ES3_N6thrust23THRUST_200600_302600_NS6detail15normal_iteratorINS9_10device_ptrIxEEEESE_SE_xNS9_4plusIvEENS9_8equal_toIxEExEE10hipError_tPvRmT2_T3_T4_T5_mT6_T7_P12ihipStream_tbENKUlT_T0_E_clISt17integral_constantIbLb1EESZ_EEDaSU_SV_EUlSU_E_NS1_11comp_targetILNS1_3genE4ELNS1_11target_archE910ELNS1_3gpuE8ELNS1_3repE0EEENS1_30default_config_static_selectorELNS0_4arch9wavefront6targetE0EEEvT1_
    .private_segment_fixed_size: 0
    .sgpr_count:     0
    .sgpr_spill_count: 0
    .symbol:         _ZN7rocprim17ROCPRIM_400000_NS6detail17trampoline_kernelINS0_14default_configENS1_27scan_by_key_config_selectorIxxEEZZNS1_16scan_by_key_implILNS1_25lookback_scan_determinismE0ELb1ES3_N6thrust23THRUST_200600_302600_NS6detail15normal_iteratorINS9_10device_ptrIxEEEESE_SE_xNS9_4plusIvEENS9_8equal_toIxEExEE10hipError_tPvRmT2_T3_T4_T5_mT6_T7_P12ihipStream_tbENKUlT_T0_E_clISt17integral_constantIbLb1EESZ_EEDaSU_SV_EUlSU_E_NS1_11comp_targetILNS1_3genE4ELNS1_11target_archE910ELNS1_3gpuE8ELNS1_3repE0EEENS1_30default_config_static_selectorELNS0_4arch9wavefront6targetE0EEEvT1_.kd
    .uniform_work_group_size: 1
    .uses_dynamic_stack: false
    .vgpr_count:     0
    .vgpr_spill_count: 0
    .wavefront_size: 32
    .workgroup_processor_mode: 1
  - .args:
      - .offset:         0
        .size:           136
        .value_kind:     by_value
    .group_segment_fixed_size: 0
    .kernarg_segment_align: 8
    .kernarg_segment_size: 136
    .language:       OpenCL C
    .language_version:
      - 2
      - 0
    .max_flat_workgroup_size: 256
    .name:           _ZN7rocprim17ROCPRIM_400000_NS6detail17trampoline_kernelINS0_14default_configENS1_27scan_by_key_config_selectorIxxEEZZNS1_16scan_by_key_implILNS1_25lookback_scan_determinismE0ELb1ES3_N6thrust23THRUST_200600_302600_NS6detail15normal_iteratorINS9_10device_ptrIxEEEESE_SE_xNS9_4plusIvEENS9_8equal_toIxEExEE10hipError_tPvRmT2_T3_T4_T5_mT6_T7_P12ihipStream_tbENKUlT_T0_E_clISt17integral_constantIbLb1EESZ_EEDaSU_SV_EUlSU_E_NS1_11comp_targetILNS1_3genE3ELNS1_11target_archE908ELNS1_3gpuE7ELNS1_3repE0EEENS1_30default_config_static_selectorELNS0_4arch9wavefront6targetE0EEEvT1_
    .private_segment_fixed_size: 0
    .sgpr_count:     0
    .sgpr_spill_count: 0
    .symbol:         _ZN7rocprim17ROCPRIM_400000_NS6detail17trampoline_kernelINS0_14default_configENS1_27scan_by_key_config_selectorIxxEEZZNS1_16scan_by_key_implILNS1_25lookback_scan_determinismE0ELb1ES3_N6thrust23THRUST_200600_302600_NS6detail15normal_iteratorINS9_10device_ptrIxEEEESE_SE_xNS9_4plusIvEENS9_8equal_toIxEExEE10hipError_tPvRmT2_T3_T4_T5_mT6_T7_P12ihipStream_tbENKUlT_T0_E_clISt17integral_constantIbLb1EESZ_EEDaSU_SV_EUlSU_E_NS1_11comp_targetILNS1_3genE3ELNS1_11target_archE908ELNS1_3gpuE7ELNS1_3repE0EEENS1_30default_config_static_selectorELNS0_4arch9wavefront6targetE0EEEvT1_.kd
    .uniform_work_group_size: 1
    .uses_dynamic_stack: false
    .vgpr_count:     0
    .vgpr_spill_count: 0
    .wavefront_size: 32
    .workgroup_processor_mode: 1
  - .args:
      - .offset:         0
        .size:           136
        .value_kind:     by_value
    .group_segment_fixed_size: 0
    .kernarg_segment_align: 8
    .kernarg_segment_size: 136
    .language:       OpenCL C
    .language_version:
      - 2
      - 0
    .max_flat_workgroup_size: 256
    .name:           _ZN7rocprim17ROCPRIM_400000_NS6detail17trampoline_kernelINS0_14default_configENS1_27scan_by_key_config_selectorIxxEEZZNS1_16scan_by_key_implILNS1_25lookback_scan_determinismE0ELb1ES3_N6thrust23THRUST_200600_302600_NS6detail15normal_iteratorINS9_10device_ptrIxEEEESE_SE_xNS9_4plusIvEENS9_8equal_toIxEExEE10hipError_tPvRmT2_T3_T4_T5_mT6_T7_P12ihipStream_tbENKUlT_T0_E_clISt17integral_constantIbLb1EESZ_EEDaSU_SV_EUlSU_E_NS1_11comp_targetILNS1_3genE2ELNS1_11target_archE906ELNS1_3gpuE6ELNS1_3repE0EEENS1_30default_config_static_selectorELNS0_4arch9wavefront6targetE0EEEvT1_
    .private_segment_fixed_size: 0
    .sgpr_count:     0
    .sgpr_spill_count: 0
    .symbol:         _ZN7rocprim17ROCPRIM_400000_NS6detail17trampoline_kernelINS0_14default_configENS1_27scan_by_key_config_selectorIxxEEZZNS1_16scan_by_key_implILNS1_25lookback_scan_determinismE0ELb1ES3_N6thrust23THRUST_200600_302600_NS6detail15normal_iteratorINS9_10device_ptrIxEEEESE_SE_xNS9_4plusIvEENS9_8equal_toIxEExEE10hipError_tPvRmT2_T3_T4_T5_mT6_T7_P12ihipStream_tbENKUlT_T0_E_clISt17integral_constantIbLb1EESZ_EEDaSU_SV_EUlSU_E_NS1_11comp_targetILNS1_3genE2ELNS1_11target_archE906ELNS1_3gpuE6ELNS1_3repE0EEENS1_30default_config_static_selectorELNS0_4arch9wavefront6targetE0EEEvT1_.kd
    .uniform_work_group_size: 1
    .uses_dynamic_stack: false
    .vgpr_count:     0
    .vgpr_spill_count: 0
    .wavefront_size: 32
    .workgroup_processor_mode: 1
  - .args:
      - .offset:         0
        .size:           136
        .value_kind:     by_value
    .group_segment_fixed_size: 0
    .kernarg_segment_align: 8
    .kernarg_segment_size: 136
    .language:       OpenCL C
    .language_version:
      - 2
      - 0
    .max_flat_workgroup_size: 256
    .name:           _ZN7rocprim17ROCPRIM_400000_NS6detail17trampoline_kernelINS0_14default_configENS1_27scan_by_key_config_selectorIxxEEZZNS1_16scan_by_key_implILNS1_25lookback_scan_determinismE0ELb1ES3_N6thrust23THRUST_200600_302600_NS6detail15normal_iteratorINS9_10device_ptrIxEEEESE_SE_xNS9_4plusIvEENS9_8equal_toIxEExEE10hipError_tPvRmT2_T3_T4_T5_mT6_T7_P12ihipStream_tbENKUlT_T0_E_clISt17integral_constantIbLb1EESZ_EEDaSU_SV_EUlSU_E_NS1_11comp_targetILNS1_3genE10ELNS1_11target_archE1200ELNS1_3gpuE4ELNS1_3repE0EEENS1_30default_config_static_selectorELNS0_4arch9wavefront6targetE0EEEvT1_
    .private_segment_fixed_size: 0
    .sgpr_count:     0
    .sgpr_spill_count: 0
    .symbol:         _ZN7rocprim17ROCPRIM_400000_NS6detail17trampoline_kernelINS0_14default_configENS1_27scan_by_key_config_selectorIxxEEZZNS1_16scan_by_key_implILNS1_25lookback_scan_determinismE0ELb1ES3_N6thrust23THRUST_200600_302600_NS6detail15normal_iteratorINS9_10device_ptrIxEEEESE_SE_xNS9_4plusIvEENS9_8equal_toIxEExEE10hipError_tPvRmT2_T3_T4_T5_mT6_T7_P12ihipStream_tbENKUlT_T0_E_clISt17integral_constantIbLb1EESZ_EEDaSU_SV_EUlSU_E_NS1_11comp_targetILNS1_3genE10ELNS1_11target_archE1200ELNS1_3gpuE4ELNS1_3repE0EEENS1_30default_config_static_selectorELNS0_4arch9wavefront6targetE0EEEvT1_.kd
    .uniform_work_group_size: 1
    .uses_dynamic_stack: false
    .vgpr_count:     0
    .vgpr_spill_count: 0
    .wavefront_size: 32
    .workgroup_processor_mode: 1
  - .args:
      - .offset:         0
        .size:           136
        .value_kind:     by_value
    .group_segment_fixed_size: 0
    .kernarg_segment_align: 8
    .kernarg_segment_size: 136
    .language:       OpenCL C
    .language_version:
      - 2
      - 0
    .max_flat_workgroup_size: 256
    .name:           _ZN7rocprim17ROCPRIM_400000_NS6detail17trampoline_kernelINS0_14default_configENS1_27scan_by_key_config_selectorIxxEEZZNS1_16scan_by_key_implILNS1_25lookback_scan_determinismE0ELb1ES3_N6thrust23THRUST_200600_302600_NS6detail15normal_iteratorINS9_10device_ptrIxEEEESE_SE_xNS9_4plusIvEENS9_8equal_toIxEExEE10hipError_tPvRmT2_T3_T4_T5_mT6_T7_P12ihipStream_tbENKUlT_T0_E_clISt17integral_constantIbLb1EESZ_EEDaSU_SV_EUlSU_E_NS1_11comp_targetILNS1_3genE9ELNS1_11target_archE1100ELNS1_3gpuE3ELNS1_3repE0EEENS1_30default_config_static_selectorELNS0_4arch9wavefront6targetE0EEEvT1_
    .private_segment_fixed_size: 0
    .sgpr_count:     0
    .sgpr_spill_count: 0
    .symbol:         _ZN7rocprim17ROCPRIM_400000_NS6detail17trampoline_kernelINS0_14default_configENS1_27scan_by_key_config_selectorIxxEEZZNS1_16scan_by_key_implILNS1_25lookback_scan_determinismE0ELb1ES3_N6thrust23THRUST_200600_302600_NS6detail15normal_iteratorINS9_10device_ptrIxEEEESE_SE_xNS9_4plusIvEENS9_8equal_toIxEExEE10hipError_tPvRmT2_T3_T4_T5_mT6_T7_P12ihipStream_tbENKUlT_T0_E_clISt17integral_constantIbLb1EESZ_EEDaSU_SV_EUlSU_E_NS1_11comp_targetILNS1_3genE9ELNS1_11target_archE1100ELNS1_3gpuE3ELNS1_3repE0EEENS1_30default_config_static_selectorELNS0_4arch9wavefront6targetE0EEEvT1_.kd
    .uniform_work_group_size: 1
    .uses_dynamic_stack: false
    .vgpr_count:     0
    .vgpr_spill_count: 0
    .wavefront_size: 32
    .workgroup_processor_mode: 1
  - .args:
      - .offset:         0
        .size:           136
        .value_kind:     by_value
    .group_segment_fixed_size: 0
    .kernarg_segment_align: 8
    .kernarg_segment_size: 136
    .language:       OpenCL C
    .language_version:
      - 2
      - 0
    .max_flat_workgroup_size: 256
    .name:           _ZN7rocprim17ROCPRIM_400000_NS6detail17trampoline_kernelINS0_14default_configENS1_27scan_by_key_config_selectorIxxEEZZNS1_16scan_by_key_implILNS1_25lookback_scan_determinismE0ELb1ES3_N6thrust23THRUST_200600_302600_NS6detail15normal_iteratorINS9_10device_ptrIxEEEESE_SE_xNS9_4plusIvEENS9_8equal_toIxEExEE10hipError_tPvRmT2_T3_T4_T5_mT6_T7_P12ihipStream_tbENKUlT_T0_E_clISt17integral_constantIbLb1EESZ_EEDaSU_SV_EUlSU_E_NS1_11comp_targetILNS1_3genE8ELNS1_11target_archE1030ELNS1_3gpuE2ELNS1_3repE0EEENS1_30default_config_static_selectorELNS0_4arch9wavefront6targetE0EEEvT1_
    .private_segment_fixed_size: 0
    .sgpr_count:     0
    .sgpr_spill_count: 0
    .symbol:         _ZN7rocprim17ROCPRIM_400000_NS6detail17trampoline_kernelINS0_14default_configENS1_27scan_by_key_config_selectorIxxEEZZNS1_16scan_by_key_implILNS1_25lookback_scan_determinismE0ELb1ES3_N6thrust23THRUST_200600_302600_NS6detail15normal_iteratorINS9_10device_ptrIxEEEESE_SE_xNS9_4plusIvEENS9_8equal_toIxEExEE10hipError_tPvRmT2_T3_T4_T5_mT6_T7_P12ihipStream_tbENKUlT_T0_E_clISt17integral_constantIbLb1EESZ_EEDaSU_SV_EUlSU_E_NS1_11comp_targetILNS1_3genE8ELNS1_11target_archE1030ELNS1_3gpuE2ELNS1_3repE0EEENS1_30default_config_static_selectorELNS0_4arch9wavefront6targetE0EEEvT1_.kd
    .uniform_work_group_size: 1
    .uses_dynamic_stack: false
    .vgpr_count:     0
    .vgpr_spill_count: 0
    .wavefront_size: 32
    .workgroup_processor_mode: 1
  - .args:
      - .offset:         0
        .size:           136
        .value_kind:     by_value
    .group_segment_fixed_size: 0
    .kernarg_segment_align: 8
    .kernarg_segment_size: 136
    .language:       OpenCL C
    .language_version:
      - 2
      - 0
    .max_flat_workgroup_size: 256
    .name:           _ZN7rocprim17ROCPRIM_400000_NS6detail17trampoline_kernelINS0_14default_configENS1_27scan_by_key_config_selectorIxxEEZZNS1_16scan_by_key_implILNS1_25lookback_scan_determinismE0ELb1ES3_N6thrust23THRUST_200600_302600_NS6detail15normal_iteratorINS9_10device_ptrIxEEEESE_SE_xNS9_4plusIvEENS9_8equal_toIxEExEE10hipError_tPvRmT2_T3_T4_T5_mT6_T7_P12ihipStream_tbENKUlT_T0_E_clISt17integral_constantIbLb1EESY_IbLb0EEEEDaSU_SV_EUlSU_E_NS1_11comp_targetILNS1_3genE0ELNS1_11target_archE4294967295ELNS1_3gpuE0ELNS1_3repE0EEENS1_30default_config_static_selectorELNS0_4arch9wavefront6targetE0EEEvT1_
    .private_segment_fixed_size: 0
    .sgpr_count:     0
    .sgpr_spill_count: 0
    .symbol:         _ZN7rocprim17ROCPRIM_400000_NS6detail17trampoline_kernelINS0_14default_configENS1_27scan_by_key_config_selectorIxxEEZZNS1_16scan_by_key_implILNS1_25lookback_scan_determinismE0ELb1ES3_N6thrust23THRUST_200600_302600_NS6detail15normal_iteratorINS9_10device_ptrIxEEEESE_SE_xNS9_4plusIvEENS9_8equal_toIxEExEE10hipError_tPvRmT2_T3_T4_T5_mT6_T7_P12ihipStream_tbENKUlT_T0_E_clISt17integral_constantIbLb1EESY_IbLb0EEEEDaSU_SV_EUlSU_E_NS1_11comp_targetILNS1_3genE0ELNS1_11target_archE4294967295ELNS1_3gpuE0ELNS1_3repE0EEENS1_30default_config_static_selectorELNS0_4arch9wavefront6targetE0EEEvT1_.kd
    .uniform_work_group_size: 1
    .uses_dynamic_stack: false
    .vgpr_count:     0
    .vgpr_spill_count: 0
    .wavefront_size: 32
    .workgroup_processor_mode: 1
  - .args:
      - .offset:         0
        .size:           136
        .value_kind:     by_value
    .group_segment_fixed_size: 0
    .kernarg_segment_align: 8
    .kernarg_segment_size: 136
    .language:       OpenCL C
    .language_version:
      - 2
      - 0
    .max_flat_workgroup_size: 256
    .name:           _ZN7rocprim17ROCPRIM_400000_NS6detail17trampoline_kernelINS0_14default_configENS1_27scan_by_key_config_selectorIxxEEZZNS1_16scan_by_key_implILNS1_25lookback_scan_determinismE0ELb1ES3_N6thrust23THRUST_200600_302600_NS6detail15normal_iteratorINS9_10device_ptrIxEEEESE_SE_xNS9_4plusIvEENS9_8equal_toIxEExEE10hipError_tPvRmT2_T3_T4_T5_mT6_T7_P12ihipStream_tbENKUlT_T0_E_clISt17integral_constantIbLb1EESY_IbLb0EEEEDaSU_SV_EUlSU_E_NS1_11comp_targetILNS1_3genE10ELNS1_11target_archE1201ELNS1_3gpuE5ELNS1_3repE0EEENS1_30default_config_static_selectorELNS0_4arch9wavefront6targetE0EEEvT1_
    .private_segment_fixed_size: 0
    .sgpr_count:     0
    .sgpr_spill_count: 0
    .symbol:         _ZN7rocprim17ROCPRIM_400000_NS6detail17trampoline_kernelINS0_14default_configENS1_27scan_by_key_config_selectorIxxEEZZNS1_16scan_by_key_implILNS1_25lookback_scan_determinismE0ELb1ES3_N6thrust23THRUST_200600_302600_NS6detail15normal_iteratorINS9_10device_ptrIxEEEESE_SE_xNS9_4plusIvEENS9_8equal_toIxEExEE10hipError_tPvRmT2_T3_T4_T5_mT6_T7_P12ihipStream_tbENKUlT_T0_E_clISt17integral_constantIbLb1EESY_IbLb0EEEEDaSU_SV_EUlSU_E_NS1_11comp_targetILNS1_3genE10ELNS1_11target_archE1201ELNS1_3gpuE5ELNS1_3repE0EEENS1_30default_config_static_selectorELNS0_4arch9wavefront6targetE0EEEvT1_.kd
    .uniform_work_group_size: 1
    .uses_dynamic_stack: false
    .vgpr_count:     0
    .vgpr_spill_count: 0
    .wavefront_size: 32
    .workgroup_processor_mode: 1
  - .args:
      - .offset:         0
        .size:           136
        .value_kind:     by_value
    .group_segment_fixed_size: 0
    .kernarg_segment_align: 8
    .kernarg_segment_size: 136
    .language:       OpenCL C
    .language_version:
      - 2
      - 0
    .max_flat_workgroup_size: 256
    .name:           _ZN7rocprim17ROCPRIM_400000_NS6detail17trampoline_kernelINS0_14default_configENS1_27scan_by_key_config_selectorIxxEEZZNS1_16scan_by_key_implILNS1_25lookback_scan_determinismE0ELb1ES3_N6thrust23THRUST_200600_302600_NS6detail15normal_iteratorINS9_10device_ptrIxEEEESE_SE_xNS9_4plusIvEENS9_8equal_toIxEExEE10hipError_tPvRmT2_T3_T4_T5_mT6_T7_P12ihipStream_tbENKUlT_T0_E_clISt17integral_constantIbLb1EESY_IbLb0EEEEDaSU_SV_EUlSU_E_NS1_11comp_targetILNS1_3genE5ELNS1_11target_archE942ELNS1_3gpuE9ELNS1_3repE0EEENS1_30default_config_static_selectorELNS0_4arch9wavefront6targetE0EEEvT1_
    .private_segment_fixed_size: 0
    .sgpr_count:     0
    .sgpr_spill_count: 0
    .symbol:         _ZN7rocprim17ROCPRIM_400000_NS6detail17trampoline_kernelINS0_14default_configENS1_27scan_by_key_config_selectorIxxEEZZNS1_16scan_by_key_implILNS1_25lookback_scan_determinismE0ELb1ES3_N6thrust23THRUST_200600_302600_NS6detail15normal_iteratorINS9_10device_ptrIxEEEESE_SE_xNS9_4plusIvEENS9_8equal_toIxEExEE10hipError_tPvRmT2_T3_T4_T5_mT6_T7_P12ihipStream_tbENKUlT_T0_E_clISt17integral_constantIbLb1EESY_IbLb0EEEEDaSU_SV_EUlSU_E_NS1_11comp_targetILNS1_3genE5ELNS1_11target_archE942ELNS1_3gpuE9ELNS1_3repE0EEENS1_30default_config_static_selectorELNS0_4arch9wavefront6targetE0EEEvT1_.kd
    .uniform_work_group_size: 1
    .uses_dynamic_stack: false
    .vgpr_count:     0
    .vgpr_spill_count: 0
    .wavefront_size: 32
    .workgroup_processor_mode: 1
  - .args:
      - .offset:         0
        .size:           136
        .value_kind:     by_value
    .group_segment_fixed_size: 0
    .kernarg_segment_align: 8
    .kernarg_segment_size: 136
    .language:       OpenCL C
    .language_version:
      - 2
      - 0
    .max_flat_workgroup_size: 64
    .name:           _ZN7rocprim17ROCPRIM_400000_NS6detail17trampoline_kernelINS0_14default_configENS1_27scan_by_key_config_selectorIxxEEZZNS1_16scan_by_key_implILNS1_25lookback_scan_determinismE0ELb1ES3_N6thrust23THRUST_200600_302600_NS6detail15normal_iteratorINS9_10device_ptrIxEEEESE_SE_xNS9_4plusIvEENS9_8equal_toIxEExEE10hipError_tPvRmT2_T3_T4_T5_mT6_T7_P12ihipStream_tbENKUlT_T0_E_clISt17integral_constantIbLb1EESY_IbLb0EEEEDaSU_SV_EUlSU_E_NS1_11comp_targetILNS1_3genE4ELNS1_11target_archE910ELNS1_3gpuE8ELNS1_3repE0EEENS1_30default_config_static_selectorELNS0_4arch9wavefront6targetE0EEEvT1_
    .private_segment_fixed_size: 0
    .sgpr_count:     0
    .sgpr_spill_count: 0
    .symbol:         _ZN7rocprim17ROCPRIM_400000_NS6detail17trampoline_kernelINS0_14default_configENS1_27scan_by_key_config_selectorIxxEEZZNS1_16scan_by_key_implILNS1_25lookback_scan_determinismE0ELb1ES3_N6thrust23THRUST_200600_302600_NS6detail15normal_iteratorINS9_10device_ptrIxEEEESE_SE_xNS9_4plusIvEENS9_8equal_toIxEExEE10hipError_tPvRmT2_T3_T4_T5_mT6_T7_P12ihipStream_tbENKUlT_T0_E_clISt17integral_constantIbLb1EESY_IbLb0EEEEDaSU_SV_EUlSU_E_NS1_11comp_targetILNS1_3genE4ELNS1_11target_archE910ELNS1_3gpuE8ELNS1_3repE0EEENS1_30default_config_static_selectorELNS0_4arch9wavefront6targetE0EEEvT1_.kd
    .uniform_work_group_size: 1
    .uses_dynamic_stack: false
    .vgpr_count:     0
    .vgpr_spill_count: 0
    .wavefront_size: 32
    .workgroup_processor_mode: 1
  - .args:
      - .offset:         0
        .size:           136
        .value_kind:     by_value
    .group_segment_fixed_size: 0
    .kernarg_segment_align: 8
    .kernarg_segment_size: 136
    .language:       OpenCL C
    .language_version:
      - 2
      - 0
    .max_flat_workgroup_size: 256
    .name:           _ZN7rocprim17ROCPRIM_400000_NS6detail17trampoline_kernelINS0_14default_configENS1_27scan_by_key_config_selectorIxxEEZZNS1_16scan_by_key_implILNS1_25lookback_scan_determinismE0ELb1ES3_N6thrust23THRUST_200600_302600_NS6detail15normal_iteratorINS9_10device_ptrIxEEEESE_SE_xNS9_4plusIvEENS9_8equal_toIxEExEE10hipError_tPvRmT2_T3_T4_T5_mT6_T7_P12ihipStream_tbENKUlT_T0_E_clISt17integral_constantIbLb1EESY_IbLb0EEEEDaSU_SV_EUlSU_E_NS1_11comp_targetILNS1_3genE3ELNS1_11target_archE908ELNS1_3gpuE7ELNS1_3repE0EEENS1_30default_config_static_selectorELNS0_4arch9wavefront6targetE0EEEvT1_
    .private_segment_fixed_size: 0
    .sgpr_count:     0
    .sgpr_spill_count: 0
    .symbol:         _ZN7rocprim17ROCPRIM_400000_NS6detail17trampoline_kernelINS0_14default_configENS1_27scan_by_key_config_selectorIxxEEZZNS1_16scan_by_key_implILNS1_25lookback_scan_determinismE0ELb1ES3_N6thrust23THRUST_200600_302600_NS6detail15normal_iteratorINS9_10device_ptrIxEEEESE_SE_xNS9_4plusIvEENS9_8equal_toIxEExEE10hipError_tPvRmT2_T3_T4_T5_mT6_T7_P12ihipStream_tbENKUlT_T0_E_clISt17integral_constantIbLb1EESY_IbLb0EEEEDaSU_SV_EUlSU_E_NS1_11comp_targetILNS1_3genE3ELNS1_11target_archE908ELNS1_3gpuE7ELNS1_3repE0EEENS1_30default_config_static_selectorELNS0_4arch9wavefront6targetE0EEEvT1_.kd
    .uniform_work_group_size: 1
    .uses_dynamic_stack: false
    .vgpr_count:     0
    .vgpr_spill_count: 0
    .wavefront_size: 32
    .workgroup_processor_mode: 1
  - .args:
      - .offset:         0
        .size:           136
        .value_kind:     by_value
    .group_segment_fixed_size: 0
    .kernarg_segment_align: 8
    .kernarg_segment_size: 136
    .language:       OpenCL C
    .language_version:
      - 2
      - 0
    .max_flat_workgroup_size: 256
    .name:           _ZN7rocprim17ROCPRIM_400000_NS6detail17trampoline_kernelINS0_14default_configENS1_27scan_by_key_config_selectorIxxEEZZNS1_16scan_by_key_implILNS1_25lookback_scan_determinismE0ELb1ES3_N6thrust23THRUST_200600_302600_NS6detail15normal_iteratorINS9_10device_ptrIxEEEESE_SE_xNS9_4plusIvEENS9_8equal_toIxEExEE10hipError_tPvRmT2_T3_T4_T5_mT6_T7_P12ihipStream_tbENKUlT_T0_E_clISt17integral_constantIbLb1EESY_IbLb0EEEEDaSU_SV_EUlSU_E_NS1_11comp_targetILNS1_3genE2ELNS1_11target_archE906ELNS1_3gpuE6ELNS1_3repE0EEENS1_30default_config_static_selectorELNS0_4arch9wavefront6targetE0EEEvT1_
    .private_segment_fixed_size: 0
    .sgpr_count:     0
    .sgpr_spill_count: 0
    .symbol:         _ZN7rocprim17ROCPRIM_400000_NS6detail17trampoline_kernelINS0_14default_configENS1_27scan_by_key_config_selectorIxxEEZZNS1_16scan_by_key_implILNS1_25lookback_scan_determinismE0ELb1ES3_N6thrust23THRUST_200600_302600_NS6detail15normal_iteratorINS9_10device_ptrIxEEEESE_SE_xNS9_4plusIvEENS9_8equal_toIxEExEE10hipError_tPvRmT2_T3_T4_T5_mT6_T7_P12ihipStream_tbENKUlT_T0_E_clISt17integral_constantIbLb1EESY_IbLb0EEEEDaSU_SV_EUlSU_E_NS1_11comp_targetILNS1_3genE2ELNS1_11target_archE906ELNS1_3gpuE6ELNS1_3repE0EEENS1_30default_config_static_selectorELNS0_4arch9wavefront6targetE0EEEvT1_.kd
    .uniform_work_group_size: 1
    .uses_dynamic_stack: false
    .vgpr_count:     0
    .vgpr_spill_count: 0
    .wavefront_size: 32
    .workgroup_processor_mode: 1
  - .args:
      - .offset:         0
        .size:           136
        .value_kind:     by_value
    .group_segment_fixed_size: 0
    .kernarg_segment_align: 8
    .kernarg_segment_size: 136
    .language:       OpenCL C
    .language_version:
      - 2
      - 0
    .max_flat_workgroup_size: 256
    .name:           _ZN7rocprim17ROCPRIM_400000_NS6detail17trampoline_kernelINS0_14default_configENS1_27scan_by_key_config_selectorIxxEEZZNS1_16scan_by_key_implILNS1_25lookback_scan_determinismE0ELb1ES3_N6thrust23THRUST_200600_302600_NS6detail15normal_iteratorINS9_10device_ptrIxEEEESE_SE_xNS9_4plusIvEENS9_8equal_toIxEExEE10hipError_tPvRmT2_T3_T4_T5_mT6_T7_P12ihipStream_tbENKUlT_T0_E_clISt17integral_constantIbLb1EESY_IbLb0EEEEDaSU_SV_EUlSU_E_NS1_11comp_targetILNS1_3genE10ELNS1_11target_archE1200ELNS1_3gpuE4ELNS1_3repE0EEENS1_30default_config_static_selectorELNS0_4arch9wavefront6targetE0EEEvT1_
    .private_segment_fixed_size: 0
    .sgpr_count:     0
    .sgpr_spill_count: 0
    .symbol:         _ZN7rocprim17ROCPRIM_400000_NS6detail17trampoline_kernelINS0_14default_configENS1_27scan_by_key_config_selectorIxxEEZZNS1_16scan_by_key_implILNS1_25lookback_scan_determinismE0ELb1ES3_N6thrust23THRUST_200600_302600_NS6detail15normal_iteratorINS9_10device_ptrIxEEEESE_SE_xNS9_4plusIvEENS9_8equal_toIxEExEE10hipError_tPvRmT2_T3_T4_T5_mT6_T7_P12ihipStream_tbENKUlT_T0_E_clISt17integral_constantIbLb1EESY_IbLb0EEEEDaSU_SV_EUlSU_E_NS1_11comp_targetILNS1_3genE10ELNS1_11target_archE1200ELNS1_3gpuE4ELNS1_3repE0EEENS1_30default_config_static_selectorELNS0_4arch9wavefront6targetE0EEEvT1_.kd
    .uniform_work_group_size: 1
    .uses_dynamic_stack: false
    .vgpr_count:     0
    .vgpr_spill_count: 0
    .wavefront_size: 32
    .workgroup_processor_mode: 1
  - .args:
      - .offset:         0
        .size:           136
        .value_kind:     by_value
    .group_segment_fixed_size: 0
    .kernarg_segment_align: 8
    .kernarg_segment_size: 136
    .language:       OpenCL C
    .language_version:
      - 2
      - 0
    .max_flat_workgroup_size: 256
    .name:           _ZN7rocprim17ROCPRIM_400000_NS6detail17trampoline_kernelINS0_14default_configENS1_27scan_by_key_config_selectorIxxEEZZNS1_16scan_by_key_implILNS1_25lookback_scan_determinismE0ELb1ES3_N6thrust23THRUST_200600_302600_NS6detail15normal_iteratorINS9_10device_ptrIxEEEESE_SE_xNS9_4plusIvEENS9_8equal_toIxEExEE10hipError_tPvRmT2_T3_T4_T5_mT6_T7_P12ihipStream_tbENKUlT_T0_E_clISt17integral_constantIbLb1EESY_IbLb0EEEEDaSU_SV_EUlSU_E_NS1_11comp_targetILNS1_3genE9ELNS1_11target_archE1100ELNS1_3gpuE3ELNS1_3repE0EEENS1_30default_config_static_selectorELNS0_4arch9wavefront6targetE0EEEvT1_
    .private_segment_fixed_size: 0
    .sgpr_count:     0
    .sgpr_spill_count: 0
    .symbol:         _ZN7rocprim17ROCPRIM_400000_NS6detail17trampoline_kernelINS0_14default_configENS1_27scan_by_key_config_selectorIxxEEZZNS1_16scan_by_key_implILNS1_25lookback_scan_determinismE0ELb1ES3_N6thrust23THRUST_200600_302600_NS6detail15normal_iteratorINS9_10device_ptrIxEEEESE_SE_xNS9_4plusIvEENS9_8equal_toIxEExEE10hipError_tPvRmT2_T3_T4_T5_mT6_T7_P12ihipStream_tbENKUlT_T0_E_clISt17integral_constantIbLb1EESY_IbLb0EEEEDaSU_SV_EUlSU_E_NS1_11comp_targetILNS1_3genE9ELNS1_11target_archE1100ELNS1_3gpuE3ELNS1_3repE0EEENS1_30default_config_static_selectorELNS0_4arch9wavefront6targetE0EEEvT1_.kd
    .uniform_work_group_size: 1
    .uses_dynamic_stack: false
    .vgpr_count:     0
    .vgpr_spill_count: 0
    .wavefront_size: 32
    .workgroup_processor_mode: 1
  - .args:
      - .offset:         0
        .size:           136
        .value_kind:     by_value
    .group_segment_fixed_size: 0
    .kernarg_segment_align: 8
    .kernarg_segment_size: 136
    .language:       OpenCL C
    .language_version:
      - 2
      - 0
    .max_flat_workgroup_size: 256
    .name:           _ZN7rocprim17ROCPRIM_400000_NS6detail17trampoline_kernelINS0_14default_configENS1_27scan_by_key_config_selectorIxxEEZZNS1_16scan_by_key_implILNS1_25lookback_scan_determinismE0ELb1ES3_N6thrust23THRUST_200600_302600_NS6detail15normal_iteratorINS9_10device_ptrIxEEEESE_SE_xNS9_4plusIvEENS9_8equal_toIxEExEE10hipError_tPvRmT2_T3_T4_T5_mT6_T7_P12ihipStream_tbENKUlT_T0_E_clISt17integral_constantIbLb1EESY_IbLb0EEEEDaSU_SV_EUlSU_E_NS1_11comp_targetILNS1_3genE8ELNS1_11target_archE1030ELNS1_3gpuE2ELNS1_3repE0EEENS1_30default_config_static_selectorELNS0_4arch9wavefront6targetE0EEEvT1_
    .private_segment_fixed_size: 0
    .sgpr_count:     0
    .sgpr_spill_count: 0
    .symbol:         _ZN7rocprim17ROCPRIM_400000_NS6detail17trampoline_kernelINS0_14default_configENS1_27scan_by_key_config_selectorIxxEEZZNS1_16scan_by_key_implILNS1_25lookback_scan_determinismE0ELb1ES3_N6thrust23THRUST_200600_302600_NS6detail15normal_iteratorINS9_10device_ptrIxEEEESE_SE_xNS9_4plusIvEENS9_8equal_toIxEExEE10hipError_tPvRmT2_T3_T4_T5_mT6_T7_P12ihipStream_tbENKUlT_T0_E_clISt17integral_constantIbLb1EESY_IbLb0EEEEDaSU_SV_EUlSU_E_NS1_11comp_targetILNS1_3genE8ELNS1_11target_archE1030ELNS1_3gpuE2ELNS1_3repE0EEENS1_30default_config_static_selectorELNS0_4arch9wavefront6targetE0EEEvT1_.kd
    .uniform_work_group_size: 1
    .uses_dynamic_stack: false
    .vgpr_count:     0
    .vgpr_spill_count: 0
    .wavefront_size: 32
    .workgroup_processor_mode: 1
  - .args:
      - .offset:         0
        .size:           136
        .value_kind:     by_value
    .group_segment_fixed_size: 0
    .kernarg_segment_align: 8
    .kernarg_segment_size: 136
    .language:       OpenCL C
    .language_version:
      - 2
      - 0
    .max_flat_workgroup_size: 256
    .name:           _ZN7rocprim17ROCPRIM_400000_NS6detail17trampoline_kernelINS0_14default_configENS1_27scan_by_key_config_selectorIxxEEZZNS1_16scan_by_key_implILNS1_25lookback_scan_determinismE0ELb1ES3_N6thrust23THRUST_200600_302600_NS6detail15normal_iteratorINS9_10device_ptrIxEEEESE_SE_xNS9_4plusIvEENS9_8equal_toIxEExEE10hipError_tPvRmT2_T3_T4_T5_mT6_T7_P12ihipStream_tbENKUlT_T0_E_clISt17integral_constantIbLb0EESY_IbLb1EEEEDaSU_SV_EUlSU_E_NS1_11comp_targetILNS1_3genE0ELNS1_11target_archE4294967295ELNS1_3gpuE0ELNS1_3repE0EEENS1_30default_config_static_selectorELNS0_4arch9wavefront6targetE0EEEvT1_
    .private_segment_fixed_size: 0
    .sgpr_count:     0
    .sgpr_spill_count: 0
    .symbol:         _ZN7rocprim17ROCPRIM_400000_NS6detail17trampoline_kernelINS0_14default_configENS1_27scan_by_key_config_selectorIxxEEZZNS1_16scan_by_key_implILNS1_25lookback_scan_determinismE0ELb1ES3_N6thrust23THRUST_200600_302600_NS6detail15normal_iteratorINS9_10device_ptrIxEEEESE_SE_xNS9_4plusIvEENS9_8equal_toIxEExEE10hipError_tPvRmT2_T3_T4_T5_mT6_T7_P12ihipStream_tbENKUlT_T0_E_clISt17integral_constantIbLb0EESY_IbLb1EEEEDaSU_SV_EUlSU_E_NS1_11comp_targetILNS1_3genE0ELNS1_11target_archE4294967295ELNS1_3gpuE0ELNS1_3repE0EEENS1_30default_config_static_selectorELNS0_4arch9wavefront6targetE0EEEvT1_.kd
    .uniform_work_group_size: 1
    .uses_dynamic_stack: false
    .vgpr_count:     0
    .vgpr_spill_count: 0
    .wavefront_size: 32
    .workgroup_processor_mode: 1
  - .args:
      - .offset:         0
        .size:           136
        .value_kind:     by_value
    .group_segment_fixed_size: 0
    .kernarg_segment_align: 8
    .kernarg_segment_size: 136
    .language:       OpenCL C
    .language_version:
      - 2
      - 0
    .max_flat_workgroup_size: 256
    .name:           _ZN7rocprim17ROCPRIM_400000_NS6detail17trampoline_kernelINS0_14default_configENS1_27scan_by_key_config_selectorIxxEEZZNS1_16scan_by_key_implILNS1_25lookback_scan_determinismE0ELb1ES3_N6thrust23THRUST_200600_302600_NS6detail15normal_iteratorINS9_10device_ptrIxEEEESE_SE_xNS9_4plusIvEENS9_8equal_toIxEExEE10hipError_tPvRmT2_T3_T4_T5_mT6_T7_P12ihipStream_tbENKUlT_T0_E_clISt17integral_constantIbLb0EESY_IbLb1EEEEDaSU_SV_EUlSU_E_NS1_11comp_targetILNS1_3genE10ELNS1_11target_archE1201ELNS1_3gpuE5ELNS1_3repE0EEENS1_30default_config_static_selectorELNS0_4arch9wavefront6targetE0EEEvT1_
    .private_segment_fixed_size: 0
    .sgpr_count:     0
    .sgpr_spill_count: 0
    .symbol:         _ZN7rocprim17ROCPRIM_400000_NS6detail17trampoline_kernelINS0_14default_configENS1_27scan_by_key_config_selectorIxxEEZZNS1_16scan_by_key_implILNS1_25lookback_scan_determinismE0ELb1ES3_N6thrust23THRUST_200600_302600_NS6detail15normal_iteratorINS9_10device_ptrIxEEEESE_SE_xNS9_4plusIvEENS9_8equal_toIxEExEE10hipError_tPvRmT2_T3_T4_T5_mT6_T7_P12ihipStream_tbENKUlT_T0_E_clISt17integral_constantIbLb0EESY_IbLb1EEEEDaSU_SV_EUlSU_E_NS1_11comp_targetILNS1_3genE10ELNS1_11target_archE1201ELNS1_3gpuE5ELNS1_3repE0EEENS1_30default_config_static_selectorELNS0_4arch9wavefront6targetE0EEEvT1_.kd
    .uniform_work_group_size: 1
    .uses_dynamic_stack: false
    .vgpr_count:     0
    .vgpr_spill_count: 0
    .wavefront_size: 32
    .workgroup_processor_mode: 1
  - .args:
      - .offset:         0
        .size:           136
        .value_kind:     by_value
    .group_segment_fixed_size: 0
    .kernarg_segment_align: 8
    .kernarg_segment_size: 136
    .language:       OpenCL C
    .language_version:
      - 2
      - 0
    .max_flat_workgroup_size: 256
    .name:           _ZN7rocprim17ROCPRIM_400000_NS6detail17trampoline_kernelINS0_14default_configENS1_27scan_by_key_config_selectorIxxEEZZNS1_16scan_by_key_implILNS1_25lookback_scan_determinismE0ELb1ES3_N6thrust23THRUST_200600_302600_NS6detail15normal_iteratorINS9_10device_ptrIxEEEESE_SE_xNS9_4plusIvEENS9_8equal_toIxEExEE10hipError_tPvRmT2_T3_T4_T5_mT6_T7_P12ihipStream_tbENKUlT_T0_E_clISt17integral_constantIbLb0EESY_IbLb1EEEEDaSU_SV_EUlSU_E_NS1_11comp_targetILNS1_3genE5ELNS1_11target_archE942ELNS1_3gpuE9ELNS1_3repE0EEENS1_30default_config_static_selectorELNS0_4arch9wavefront6targetE0EEEvT1_
    .private_segment_fixed_size: 0
    .sgpr_count:     0
    .sgpr_spill_count: 0
    .symbol:         _ZN7rocprim17ROCPRIM_400000_NS6detail17trampoline_kernelINS0_14default_configENS1_27scan_by_key_config_selectorIxxEEZZNS1_16scan_by_key_implILNS1_25lookback_scan_determinismE0ELb1ES3_N6thrust23THRUST_200600_302600_NS6detail15normal_iteratorINS9_10device_ptrIxEEEESE_SE_xNS9_4plusIvEENS9_8equal_toIxEExEE10hipError_tPvRmT2_T3_T4_T5_mT6_T7_P12ihipStream_tbENKUlT_T0_E_clISt17integral_constantIbLb0EESY_IbLb1EEEEDaSU_SV_EUlSU_E_NS1_11comp_targetILNS1_3genE5ELNS1_11target_archE942ELNS1_3gpuE9ELNS1_3repE0EEENS1_30default_config_static_selectorELNS0_4arch9wavefront6targetE0EEEvT1_.kd
    .uniform_work_group_size: 1
    .uses_dynamic_stack: false
    .vgpr_count:     0
    .vgpr_spill_count: 0
    .wavefront_size: 32
    .workgroup_processor_mode: 1
  - .args:
      - .offset:         0
        .size:           136
        .value_kind:     by_value
    .group_segment_fixed_size: 0
    .kernarg_segment_align: 8
    .kernarg_segment_size: 136
    .language:       OpenCL C
    .language_version:
      - 2
      - 0
    .max_flat_workgroup_size: 64
    .name:           _ZN7rocprim17ROCPRIM_400000_NS6detail17trampoline_kernelINS0_14default_configENS1_27scan_by_key_config_selectorIxxEEZZNS1_16scan_by_key_implILNS1_25lookback_scan_determinismE0ELb1ES3_N6thrust23THRUST_200600_302600_NS6detail15normal_iteratorINS9_10device_ptrIxEEEESE_SE_xNS9_4plusIvEENS9_8equal_toIxEExEE10hipError_tPvRmT2_T3_T4_T5_mT6_T7_P12ihipStream_tbENKUlT_T0_E_clISt17integral_constantIbLb0EESY_IbLb1EEEEDaSU_SV_EUlSU_E_NS1_11comp_targetILNS1_3genE4ELNS1_11target_archE910ELNS1_3gpuE8ELNS1_3repE0EEENS1_30default_config_static_selectorELNS0_4arch9wavefront6targetE0EEEvT1_
    .private_segment_fixed_size: 0
    .sgpr_count:     0
    .sgpr_spill_count: 0
    .symbol:         _ZN7rocprim17ROCPRIM_400000_NS6detail17trampoline_kernelINS0_14default_configENS1_27scan_by_key_config_selectorIxxEEZZNS1_16scan_by_key_implILNS1_25lookback_scan_determinismE0ELb1ES3_N6thrust23THRUST_200600_302600_NS6detail15normal_iteratorINS9_10device_ptrIxEEEESE_SE_xNS9_4plusIvEENS9_8equal_toIxEExEE10hipError_tPvRmT2_T3_T4_T5_mT6_T7_P12ihipStream_tbENKUlT_T0_E_clISt17integral_constantIbLb0EESY_IbLb1EEEEDaSU_SV_EUlSU_E_NS1_11comp_targetILNS1_3genE4ELNS1_11target_archE910ELNS1_3gpuE8ELNS1_3repE0EEENS1_30default_config_static_selectorELNS0_4arch9wavefront6targetE0EEEvT1_.kd
    .uniform_work_group_size: 1
    .uses_dynamic_stack: false
    .vgpr_count:     0
    .vgpr_spill_count: 0
    .wavefront_size: 32
    .workgroup_processor_mode: 1
  - .args:
      - .offset:         0
        .size:           136
        .value_kind:     by_value
    .group_segment_fixed_size: 0
    .kernarg_segment_align: 8
    .kernarg_segment_size: 136
    .language:       OpenCL C
    .language_version:
      - 2
      - 0
    .max_flat_workgroup_size: 256
    .name:           _ZN7rocprim17ROCPRIM_400000_NS6detail17trampoline_kernelINS0_14default_configENS1_27scan_by_key_config_selectorIxxEEZZNS1_16scan_by_key_implILNS1_25lookback_scan_determinismE0ELb1ES3_N6thrust23THRUST_200600_302600_NS6detail15normal_iteratorINS9_10device_ptrIxEEEESE_SE_xNS9_4plusIvEENS9_8equal_toIxEExEE10hipError_tPvRmT2_T3_T4_T5_mT6_T7_P12ihipStream_tbENKUlT_T0_E_clISt17integral_constantIbLb0EESY_IbLb1EEEEDaSU_SV_EUlSU_E_NS1_11comp_targetILNS1_3genE3ELNS1_11target_archE908ELNS1_3gpuE7ELNS1_3repE0EEENS1_30default_config_static_selectorELNS0_4arch9wavefront6targetE0EEEvT1_
    .private_segment_fixed_size: 0
    .sgpr_count:     0
    .sgpr_spill_count: 0
    .symbol:         _ZN7rocprim17ROCPRIM_400000_NS6detail17trampoline_kernelINS0_14default_configENS1_27scan_by_key_config_selectorIxxEEZZNS1_16scan_by_key_implILNS1_25lookback_scan_determinismE0ELb1ES3_N6thrust23THRUST_200600_302600_NS6detail15normal_iteratorINS9_10device_ptrIxEEEESE_SE_xNS9_4plusIvEENS9_8equal_toIxEExEE10hipError_tPvRmT2_T3_T4_T5_mT6_T7_P12ihipStream_tbENKUlT_T0_E_clISt17integral_constantIbLb0EESY_IbLb1EEEEDaSU_SV_EUlSU_E_NS1_11comp_targetILNS1_3genE3ELNS1_11target_archE908ELNS1_3gpuE7ELNS1_3repE0EEENS1_30default_config_static_selectorELNS0_4arch9wavefront6targetE0EEEvT1_.kd
    .uniform_work_group_size: 1
    .uses_dynamic_stack: false
    .vgpr_count:     0
    .vgpr_spill_count: 0
    .wavefront_size: 32
    .workgroup_processor_mode: 1
  - .args:
      - .offset:         0
        .size:           136
        .value_kind:     by_value
    .group_segment_fixed_size: 0
    .kernarg_segment_align: 8
    .kernarg_segment_size: 136
    .language:       OpenCL C
    .language_version:
      - 2
      - 0
    .max_flat_workgroup_size: 256
    .name:           _ZN7rocprim17ROCPRIM_400000_NS6detail17trampoline_kernelINS0_14default_configENS1_27scan_by_key_config_selectorIxxEEZZNS1_16scan_by_key_implILNS1_25lookback_scan_determinismE0ELb1ES3_N6thrust23THRUST_200600_302600_NS6detail15normal_iteratorINS9_10device_ptrIxEEEESE_SE_xNS9_4plusIvEENS9_8equal_toIxEExEE10hipError_tPvRmT2_T3_T4_T5_mT6_T7_P12ihipStream_tbENKUlT_T0_E_clISt17integral_constantIbLb0EESY_IbLb1EEEEDaSU_SV_EUlSU_E_NS1_11comp_targetILNS1_3genE2ELNS1_11target_archE906ELNS1_3gpuE6ELNS1_3repE0EEENS1_30default_config_static_selectorELNS0_4arch9wavefront6targetE0EEEvT1_
    .private_segment_fixed_size: 0
    .sgpr_count:     0
    .sgpr_spill_count: 0
    .symbol:         _ZN7rocprim17ROCPRIM_400000_NS6detail17trampoline_kernelINS0_14default_configENS1_27scan_by_key_config_selectorIxxEEZZNS1_16scan_by_key_implILNS1_25lookback_scan_determinismE0ELb1ES3_N6thrust23THRUST_200600_302600_NS6detail15normal_iteratorINS9_10device_ptrIxEEEESE_SE_xNS9_4plusIvEENS9_8equal_toIxEExEE10hipError_tPvRmT2_T3_T4_T5_mT6_T7_P12ihipStream_tbENKUlT_T0_E_clISt17integral_constantIbLb0EESY_IbLb1EEEEDaSU_SV_EUlSU_E_NS1_11comp_targetILNS1_3genE2ELNS1_11target_archE906ELNS1_3gpuE6ELNS1_3repE0EEENS1_30default_config_static_selectorELNS0_4arch9wavefront6targetE0EEEvT1_.kd
    .uniform_work_group_size: 1
    .uses_dynamic_stack: false
    .vgpr_count:     0
    .vgpr_spill_count: 0
    .wavefront_size: 32
    .workgroup_processor_mode: 1
  - .args:
      - .offset:         0
        .size:           136
        .value_kind:     by_value
    .group_segment_fixed_size: 0
    .kernarg_segment_align: 8
    .kernarg_segment_size: 136
    .language:       OpenCL C
    .language_version:
      - 2
      - 0
    .max_flat_workgroup_size: 256
    .name:           _ZN7rocprim17ROCPRIM_400000_NS6detail17trampoline_kernelINS0_14default_configENS1_27scan_by_key_config_selectorIxxEEZZNS1_16scan_by_key_implILNS1_25lookback_scan_determinismE0ELb1ES3_N6thrust23THRUST_200600_302600_NS6detail15normal_iteratorINS9_10device_ptrIxEEEESE_SE_xNS9_4plusIvEENS9_8equal_toIxEExEE10hipError_tPvRmT2_T3_T4_T5_mT6_T7_P12ihipStream_tbENKUlT_T0_E_clISt17integral_constantIbLb0EESY_IbLb1EEEEDaSU_SV_EUlSU_E_NS1_11comp_targetILNS1_3genE10ELNS1_11target_archE1200ELNS1_3gpuE4ELNS1_3repE0EEENS1_30default_config_static_selectorELNS0_4arch9wavefront6targetE0EEEvT1_
    .private_segment_fixed_size: 0
    .sgpr_count:     0
    .sgpr_spill_count: 0
    .symbol:         _ZN7rocprim17ROCPRIM_400000_NS6detail17trampoline_kernelINS0_14default_configENS1_27scan_by_key_config_selectorIxxEEZZNS1_16scan_by_key_implILNS1_25lookback_scan_determinismE0ELb1ES3_N6thrust23THRUST_200600_302600_NS6detail15normal_iteratorINS9_10device_ptrIxEEEESE_SE_xNS9_4plusIvEENS9_8equal_toIxEExEE10hipError_tPvRmT2_T3_T4_T5_mT6_T7_P12ihipStream_tbENKUlT_T0_E_clISt17integral_constantIbLb0EESY_IbLb1EEEEDaSU_SV_EUlSU_E_NS1_11comp_targetILNS1_3genE10ELNS1_11target_archE1200ELNS1_3gpuE4ELNS1_3repE0EEENS1_30default_config_static_selectorELNS0_4arch9wavefront6targetE0EEEvT1_.kd
    .uniform_work_group_size: 1
    .uses_dynamic_stack: false
    .vgpr_count:     0
    .vgpr_spill_count: 0
    .wavefront_size: 32
    .workgroup_processor_mode: 1
  - .args:
      - .offset:         0
        .size:           136
        .value_kind:     by_value
    .group_segment_fixed_size: 0
    .kernarg_segment_align: 8
    .kernarg_segment_size: 136
    .language:       OpenCL C
    .language_version:
      - 2
      - 0
    .max_flat_workgroup_size: 256
    .name:           _ZN7rocprim17ROCPRIM_400000_NS6detail17trampoline_kernelINS0_14default_configENS1_27scan_by_key_config_selectorIxxEEZZNS1_16scan_by_key_implILNS1_25lookback_scan_determinismE0ELb1ES3_N6thrust23THRUST_200600_302600_NS6detail15normal_iteratorINS9_10device_ptrIxEEEESE_SE_xNS9_4plusIvEENS9_8equal_toIxEExEE10hipError_tPvRmT2_T3_T4_T5_mT6_T7_P12ihipStream_tbENKUlT_T0_E_clISt17integral_constantIbLb0EESY_IbLb1EEEEDaSU_SV_EUlSU_E_NS1_11comp_targetILNS1_3genE9ELNS1_11target_archE1100ELNS1_3gpuE3ELNS1_3repE0EEENS1_30default_config_static_selectorELNS0_4arch9wavefront6targetE0EEEvT1_
    .private_segment_fixed_size: 0
    .sgpr_count:     0
    .sgpr_spill_count: 0
    .symbol:         _ZN7rocprim17ROCPRIM_400000_NS6detail17trampoline_kernelINS0_14default_configENS1_27scan_by_key_config_selectorIxxEEZZNS1_16scan_by_key_implILNS1_25lookback_scan_determinismE0ELb1ES3_N6thrust23THRUST_200600_302600_NS6detail15normal_iteratorINS9_10device_ptrIxEEEESE_SE_xNS9_4plusIvEENS9_8equal_toIxEExEE10hipError_tPvRmT2_T3_T4_T5_mT6_T7_P12ihipStream_tbENKUlT_T0_E_clISt17integral_constantIbLb0EESY_IbLb1EEEEDaSU_SV_EUlSU_E_NS1_11comp_targetILNS1_3genE9ELNS1_11target_archE1100ELNS1_3gpuE3ELNS1_3repE0EEENS1_30default_config_static_selectorELNS0_4arch9wavefront6targetE0EEEvT1_.kd
    .uniform_work_group_size: 1
    .uses_dynamic_stack: false
    .vgpr_count:     0
    .vgpr_spill_count: 0
    .wavefront_size: 32
    .workgroup_processor_mode: 1
  - .args:
      - .offset:         0
        .size:           136
        .value_kind:     by_value
    .group_segment_fixed_size: 30720
    .kernarg_segment_align: 8
    .kernarg_segment_size: 136
    .language:       OpenCL C
    .language_version:
      - 2
      - 0
    .max_flat_workgroup_size: 256
    .name:           _ZN7rocprim17ROCPRIM_400000_NS6detail17trampoline_kernelINS0_14default_configENS1_27scan_by_key_config_selectorIxxEEZZNS1_16scan_by_key_implILNS1_25lookback_scan_determinismE0ELb1ES3_N6thrust23THRUST_200600_302600_NS6detail15normal_iteratorINS9_10device_ptrIxEEEESE_SE_xNS9_4plusIvEENS9_8equal_toIxEExEE10hipError_tPvRmT2_T3_T4_T5_mT6_T7_P12ihipStream_tbENKUlT_T0_E_clISt17integral_constantIbLb0EESY_IbLb1EEEEDaSU_SV_EUlSU_E_NS1_11comp_targetILNS1_3genE8ELNS1_11target_archE1030ELNS1_3gpuE2ELNS1_3repE0EEENS1_30default_config_static_selectorELNS0_4arch9wavefront6targetE0EEEvT1_
    .private_segment_fixed_size: 0
    .sgpr_count:     53
    .sgpr_spill_count: 0
    .symbol:         _ZN7rocprim17ROCPRIM_400000_NS6detail17trampoline_kernelINS0_14default_configENS1_27scan_by_key_config_selectorIxxEEZZNS1_16scan_by_key_implILNS1_25lookback_scan_determinismE0ELb1ES3_N6thrust23THRUST_200600_302600_NS6detail15normal_iteratorINS9_10device_ptrIxEEEESE_SE_xNS9_4plusIvEENS9_8equal_toIxEExEE10hipError_tPvRmT2_T3_T4_T5_mT6_T7_P12ihipStream_tbENKUlT_T0_E_clISt17integral_constantIbLb0EESY_IbLb1EEEEDaSU_SV_EUlSU_E_NS1_11comp_targetILNS1_3genE8ELNS1_11target_archE1030ELNS1_3gpuE2ELNS1_3repE0EEENS1_30default_config_static_selectorELNS0_4arch9wavefront6targetE0EEEvT1_.kd
    .uniform_work_group_size: 1
    .uses_dynamic_stack: false
    .vgpr_count:     109
    .vgpr_spill_count: 0
    .wavefront_size: 32
    .workgroup_processor_mode: 1
  - .args:
      - .offset:         0
        .size:           112
        .value_kind:     by_value
    .group_segment_fixed_size: 0
    .kernarg_segment_align: 8
    .kernarg_segment_size: 112
    .language:       OpenCL C
    .language_version:
      - 2
      - 0
    .max_flat_workgroup_size: 256
    .name:           _ZN7rocprim17ROCPRIM_400000_NS6detail17trampoline_kernelINS0_14default_configENS1_27scan_by_key_config_selectorIiiEEZZNS1_16scan_by_key_implILNS1_25lookback_scan_determinismE0ELb1ES3_N6thrust23THRUST_200600_302600_NS6detail15normal_iteratorINS9_10device_ptrIiEEEESE_SE_iNS9_4plusIvEENS9_8equal_toIvEEiEE10hipError_tPvRmT2_T3_T4_T5_mT6_T7_P12ihipStream_tbENKUlT_T0_E_clISt17integral_constantIbLb0EESZ_EEDaSU_SV_EUlSU_E_NS1_11comp_targetILNS1_3genE0ELNS1_11target_archE4294967295ELNS1_3gpuE0ELNS1_3repE0EEENS1_30default_config_static_selectorELNS0_4arch9wavefront6targetE0EEEvT1_
    .private_segment_fixed_size: 0
    .sgpr_count:     0
    .sgpr_spill_count: 0
    .symbol:         _ZN7rocprim17ROCPRIM_400000_NS6detail17trampoline_kernelINS0_14default_configENS1_27scan_by_key_config_selectorIiiEEZZNS1_16scan_by_key_implILNS1_25lookback_scan_determinismE0ELb1ES3_N6thrust23THRUST_200600_302600_NS6detail15normal_iteratorINS9_10device_ptrIiEEEESE_SE_iNS9_4plusIvEENS9_8equal_toIvEEiEE10hipError_tPvRmT2_T3_T4_T5_mT6_T7_P12ihipStream_tbENKUlT_T0_E_clISt17integral_constantIbLb0EESZ_EEDaSU_SV_EUlSU_E_NS1_11comp_targetILNS1_3genE0ELNS1_11target_archE4294967295ELNS1_3gpuE0ELNS1_3repE0EEENS1_30default_config_static_selectorELNS0_4arch9wavefront6targetE0EEEvT1_.kd
    .uniform_work_group_size: 1
    .uses_dynamic_stack: false
    .vgpr_count:     0
    .vgpr_spill_count: 0
    .wavefront_size: 32
    .workgroup_processor_mode: 1
  - .args:
      - .offset:         0
        .size:           112
        .value_kind:     by_value
    .group_segment_fixed_size: 0
    .kernarg_segment_align: 8
    .kernarg_segment_size: 112
    .language:       OpenCL C
    .language_version:
      - 2
      - 0
    .max_flat_workgroup_size: 256
    .name:           _ZN7rocprim17ROCPRIM_400000_NS6detail17trampoline_kernelINS0_14default_configENS1_27scan_by_key_config_selectorIiiEEZZNS1_16scan_by_key_implILNS1_25lookback_scan_determinismE0ELb1ES3_N6thrust23THRUST_200600_302600_NS6detail15normal_iteratorINS9_10device_ptrIiEEEESE_SE_iNS9_4plusIvEENS9_8equal_toIvEEiEE10hipError_tPvRmT2_T3_T4_T5_mT6_T7_P12ihipStream_tbENKUlT_T0_E_clISt17integral_constantIbLb0EESZ_EEDaSU_SV_EUlSU_E_NS1_11comp_targetILNS1_3genE10ELNS1_11target_archE1201ELNS1_3gpuE5ELNS1_3repE0EEENS1_30default_config_static_selectorELNS0_4arch9wavefront6targetE0EEEvT1_
    .private_segment_fixed_size: 0
    .sgpr_count:     0
    .sgpr_spill_count: 0
    .symbol:         _ZN7rocprim17ROCPRIM_400000_NS6detail17trampoline_kernelINS0_14default_configENS1_27scan_by_key_config_selectorIiiEEZZNS1_16scan_by_key_implILNS1_25lookback_scan_determinismE0ELb1ES3_N6thrust23THRUST_200600_302600_NS6detail15normal_iteratorINS9_10device_ptrIiEEEESE_SE_iNS9_4plusIvEENS9_8equal_toIvEEiEE10hipError_tPvRmT2_T3_T4_T5_mT6_T7_P12ihipStream_tbENKUlT_T0_E_clISt17integral_constantIbLb0EESZ_EEDaSU_SV_EUlSU_E_NS1_11comp_targetILNS1_3genE10ELNS1_11target_archE1201ELNS1_3gpuE5ELNS1_3repE0EEENS1_30default_config_static_selectorELNS0_4arch9wavefront6targetE0EEEvT1_.kd
    .uniform_work_group_size: 1
    .uses_dynamic_stack: false
    .vgpr_count:     0
    .vgpr_spill_count: 0
    .wavefront_size: 32
    .workgroup_processor_mode: 1
  - .args:
      - .offset:         0
        .size:           112
        .value_kind:     by_value
    .group_segment_fixed_size: 0
    .kernarg_segment_align: 8
    .kernarg_segment_size: 112
    .language:       OpenCL C
    .language_version:
      - 2
      - 0
    .max_flat_workgroup_size: 256
    .name:           _ZN7rocprim17ROCPRIM_400000_NS6detail17trampoline_kernelINS0_14default_configENS1_27scan_by_key_config_selectorIiiEEZZNS1_16scan_by_key_implILNS1_25lookback_scan_determinismE0ELb1ES3_N6thrust23THRUST_200600_302600_NS6detail15normal_iteratorINS9_10device_ptrIiEEEESE_SE_iNS9_4plusIvEENS9_8equal_toIvEEiEE10hipError_tPvRmT2_T3_T4_T5_mT6_T7_P12ihipStream_tbENKUlT_T0_E_clISt17integral_constantIbLb0EESZ_EEDaSU_SV_EUlSU_E_NS1_11comp_targetILNS1_3genE5ELNS1_11target_archE942ELNS1_3gpuE9ELNS1_3repE0EEENS1_30default_config_static_selectorELNS0_4arch9wavefront6targetE0EEEvT1_
    .private_segment_fixed_size: 0
    .sgpr_count:     0
    .sgpr_spill_count: 0
    .symbol:         _ZN7rocprim17ROCPRIM_400000_NS6detail17trampoline_kernelINS0_14default_configENS1_27scan_by_key_config_selectorIiiEEZZNS1_16scan_by_key_implILNS1_25lookback_scan_determinismE0ELb1ES3_N6thrust23THRUST_200600_302600_NS6detail15normal_iteratorINS9_10device_ptrIiEEEESE_SE_iNS9_4plusIvEENS9_8equal_toIvEEiEE10hipError_tPvRmT2_T3_T4_T5_mT6_T7_P12ihipStream_tbENKUlT_T0_E_clISt17integral_constantIbLb0EESZ_EEDaSU_SV_EUlSU_E_NS1_11comp_targetILNS1_3genE5ELNS1_11target_archE942ELNS1_3gpuE9ELNS1_3repE0EEENS1_30default_config_static_selectorELNS0_4arch9wavefront6targetE0EEEvT1_.kd
    .uniform_work_group_size: 1
    .uses_dynamic_stack: false
    .vgpr_count:     0
    .vgpr_spill_count: 0
    .wavefront_size: 32
    .workgroup_processor_mode: 1
  - .args:
      - .offset:         0
        .size:           112
        .value_kind:     by_value
    .group_segment_fixed_size: 0
    .kernarg_segment_align: 8
    .kernarg_segment_size: 112
    .language:       OpenCL C
    .language_version:
      - 2
      - 0
    .max_flat_workgroup_size: 256
    .name:           _ZN7rocprim17ROCPRIM_400000_NS6detail17trampoline_kernelINS0_14default_configENS1_27scan_by_key_config_selectorIiiEEZZNS1_16scan_by_key_implILNS1_25lookback_scan_determinismE0ELb1ES3_N6thrust23THRUST_200600_302600_NS6detail15normal_iteratorINS9_10device_ptrIiEEEESE_SE_iNS9_4plusIvEENS9_8equal_toIvEEiEE10hipError_tPvRmT2_T3_T4_T5_mT6_T7_P12ihipStream_tbENKUlT_T0_E_clISt17integral_constantIbLb0EESZ_EEDaSU_SV_EUlSU_E_NS1_11comp_targetILNS1_3genE4ELNS1_11target_archE910ELNS1_3gpuE8ELNS1_3repE0EEENS1_30default_config_static_selectorELNS0_4arch9wavefront6targetE0EEEvT1_
    .private_segment_fixed_size: 0
    .sgpr_count:     0
    .sgpr_spill_count: 0
    .symbol:         _ZN7rocprim17ROCPRIM_400000_NS6detail17trampoline_kernelINS0_14default_configENS1_27scan_by_key_config_selectorIiiEEZZNS1_16scan_by_key_implILNS1_25lookback_scan_determinismE0ELb1ES3_N6thrust23THRUST_200600_302600_NS6detail15normal_iteratorINS9_10device_ptrIiEEEESE_SE_iNS9_4plusIvEENS9_8equal_toIvEEiEE10hipError_tPvRmT2_T3_T4_T5_mT6_T7_P12ihipStream_tbENKUlT_T0_E_clISt17integral_constantIbLb0EESZ_EEDaSU_SV_EUlSU_E_NS1_11comp_targetILNS1_3genE4ELNS1_11target_archE910ELNS1_3gpuE8ELNS1_3repE0EEENS1_30default_config_static_selectorELNS0_4arch9wavefront6targetE0EEEvT1_.kd
    .uniform_work_group_size: 1
    .uses_dynamic_stack: false
    .vgpr_count:     0
    .vgpr_spill_count: 0
    .wavefront_size: 32
    .workgroup_processor_mode: 1
  - .args:
      - .offset:         0
        .size:           112
        .value_kind:     by_value
    .group_segment_fixed_size: 0
    .kernarg_segment_align: 8
    .kernarg_segment_size: 112
    .language:       OpenCL C
    .language_version:
      - 2
      - 0
    .max_flat_workgroup_size: 256
    .name:           _ZN7rocprim17ROCPRIM_400000_NS6detail17trampoline_kernelINS0_14default_configENS1_27scan_by_key_config_selectorIiiEEZZNS1_16scan_by_key_implILNS1_25lookback_scan_determinismE0ELb1ES3_N6thrust23THRUST_200600_302600_NS6detail15normal_iteratorINS9_10device_ptrIiEEEESE_SE_iNS9_4plusIvEENS9_8equal_toIvEEiEE10hipError_tPvRmT2_T3_T4_T5_mT6_T7_P12ihipStream_tbENKUlT_T0_E_clISt17integral_constantIbLb0EESZ_EEDaSU_SV_EUlSU_E_NS1_11comp_targetILNS1_3genE3ELNS1_11target_archE908ELNS1_3gpuE7ELNS1_3repE0EEENS1_30default_config_static_selectorELNS0_4arch9wavefront6targetE0EEEvT1_
    .private_segment_fixed_size: 0
    .sgpr_count:     0
    .sgpr_spill_count: 0
    .symbol:         _ZN7rocprim17ROCPRIM_400000_NS6detail17trampoline_kernelINS0_14default_configENS1_27scan_by_key_config_selectorIiiEEZZNS1_16scan_by_key_implILNS1_25lookback_scan_determinismE0ELb1ES3_N6thrust23THRUST_200600_302600_NS6detail15normal_iteratorINS9_10device_ptrIiEEEESE_SE_iNS9_4plusIvEENS9_8equal_toIvEEiEE10hipError_tPvRmT2_T3_T4_T5_mT6_T7_P12ihipStream_tbENKUlT_T0_E_clISt17integral_constantIbLb0EESZ_EEDaSU_SV_EUlSU_E_NS1_11comp_targetILNS1_3genE3ELNS1_11target_archE908ELNS1_3gpuE7ELNS1_3repE0EEENS1_30default_config_static_selectorELNS0_4arch9wavefront6targetE0EEEvT1_.kd
    .uniform_work_group_size: 1
    .uses_dynamic_stack: false
    .vgpr_count:     0
    .vgpr_spill_count: 0
    .wavefront_size: 32
    .workgroup_processor_mode: 1
  - .args:
      - .offset:         0
        .size:           112
        .value_kind:     by_value
    .group_segment_fixed_size: 0
    .kernarg_segment_align: 8
    .kernarg_segment_size: 112
    .language:       OpenCL C
    .language_version:
      - 2
      - 0
    .max_flat_workgroup_size: 256
    .name:           _ZN7rocprim17ROCPRIM_400000_NS6detail17trampoline_kernelINS0_14default_configENS1_27scan_by_key_config_selectorIiiEEZZNS1_16scan_by_key_implILNS1_25lookback_scan_determinismE0ELb1ES3_N6thrust23THRUST_200600_302600_NS6detail15normal_iteratorINS9_10device_ptrIiEEEESE_SE_iNS9_4plusIvEENS9_8equal_toIvEEiEE10hipError_tPvRmT2_T3_T4_T5_mT6_T7_P12ihipStream_tbENKUlT_T0_E_clISt17integral_constantIbLb0EESZ_EEDaSU_SV_EUlSU_E_NS1_11comp_targetILNS1_3genE2ELNS1_11target_archE906ELNS1_3gpuE6ELNS1_3repE0EEENS1_30default_config_static_selectorELNS0_4arch9wavefront6targetE0EEEvT1_
    .private_segment_fixed_size: 0
    .sgpr_count:     0
    .sgpr_spill_count: 0
    .symbol:         _ZN7rocprim17ROCPRIM_400000_NS6detail17trampoline_kernelINS0_14default_configENS1_27scan_by_key_config_selectorIiiEEZZNS1_16scan_by_key_implILNS1_25lookback_scan_determinismE0ELb1ES3_N6thrust23THRUST_200600_302600_NS6detail15normal_iteratorINS9_10device_ptrIiEEEESE_SE_iNS9_4plusIvEENS9_8equal_toIvEEiEE10hipError_tPvRmT2_T3_T4_T5_mT6_T7_P12ihipStream_tbENKUlT_T0_E_clISt17integral_constantIbLb0EESZ_EEDaSU_SV_EUlSU_E_NS1_11comp_targetILNS1_3genE2ELNS1_11target_archE906ELNS1_3gpuE6ELNS1_3repE0EEENS1_30default_config_static_selectorELNS0_4arch9wavefront6targetE0EEEvT1_.kd
    .uniform_work_group_size: 1
    .uses_dynamic_stack: false
    .vgpr_count:     0
    .vgpr_spill_count: 0
    .wavefront_size: 32
    .workgroup_processor_mode: 1
  - .args:
      - .offset:         0
        .size:           112
        .value_kind:     by_value
    .group_segment_fixed_size: 0
    .kernarg_segment_align: 8
    .kernarg_segment_size: 112
    .language:       OpenCL C
    .language_version:
      - 2
      - 0
    .max_flat_workgroup_size: 256
    .name:           _ZN7rocprim17ROCPRIM_400000_NS6detail17trampoline_kernelINS0_14default_configENS1_27scan_by_key_config_selectorIiiEEZZNS1_16scan_by_key_implILNS1_25lookback_scan_determinismE0ELb1ES3_N6thrust23THRUST_200600_302600_NS6detail15normal_iteratorINS9_10device_ptrIiEEEESE_SE_iNS9_4plusIvEENS9_8equal_toIvEEiEE10hipError_tPvRmT2_T3_T4_T5_mT6_T7_P12ihipStream_tbENKUlT_T0_E_clISt17integral_constantIbLb0EESZ_EEDaSU_SV_EUlSU_E_NS1_11comp_targetILNS1_3genE10ELNS1_11target_archE1200ELNS1_3gpuE4ELNS1_3repE0EEENS1_30default_config_static_selectorELNS0_4arch9wavefront6targetE0EEEvT1_
    .private_segment_fixed_size: 0
    .sgpr_count:     0
    .sgpr_spill_count: 0
    .symbol:         _ZN7rocprim17ROCPRIM_400000_NS6detail17trampoline_kernelINS0_14default_configENS1_27scan_by_key_config_selectorIiiEEZZNS1_16scan_by_key_implILNS1_25lookback_scan_determinismE0ELb1ES3_N6thrust23THRUST_200600_302600_NS6detail15normal_iteratorINS9_10device_ptrIiEEEESE_SE_iNS9_4plusIvEENS9_8equal_toIvEEiEE10hipError_tPvRmT2_T3_T4_T5_mT6_T7_P12ihipStream_tbENKUlT_T0_E_clISt17integral_constantIbLb0EESZ_EEDaSU_SV_EUlSU_E_NS1_11comp_targetILNS1_3genE10ELNS1_11target_archE1200ELNS1_3gpuE4ELNS1_3repE0EEENS1_30default_config_static_selectorELNS0_4arch9wavefront6targetE0EEEvT1_.kd
    .uniform_work_group_size: 1
    .uses_dynamic_stack: false
    .vgpr_count:     0
    .vgpr_spill_count: 0
    .wavefront_size: 32
    .workgroup_processor_mode: 1
  - .args:
      - .offset:         0
        .size:           112
        .value_kind:     by_value
    .group_segment_fixed_size: 0
    .kernarg_segment_align: 8
    .kernarg_segment_size: 112
    .language:       OpenCL C
    .language_version:
      - 2
      - 0
    .max_flat_workgroup_size: 256
    .name:           _ZN7rocprim17ROCPRIM_400000_NS6detail17trampoline_kernelINS0_14default_configENS1_27scan_by_key_config_selectorIiiEEZZNS1_16scan_by_key_implILNS1_25lookback_scan_determinismE0ELb1ES3_N6thrust23THRUST_200600_302600_NS6detail15normal_iteratorINS9_10device_ptrIiEEEESE_SE_iNS9_4plusIvEENS9_8equal_toIvEEiEE10hipError_tPvRmT2_T3_T4_T5_mT6_T7_P12ihipStream_tbENKUlT_T0_E_clISt17integral_constantIbLb0EESZ_EEDaSU_SV_EUlSU_E_NS1_11comp_targetILNS1_3genE9ELNS1_11target_archE1100ELNS1_3gpuE3ELNS1_3repE0EEENS1_30default_config_static_selectorELNS0_4arch9wavefront6targetE0EEEvT1_
    .private_segment_fixed_size: 0
    .sgpr_count:     0
    .sgpr_spill_count: 0
    .symbol:         _ZN7rocprim17ROCPRIM_400000_NS6detail17trampoline_kernelINS0_14default_configENS1_27scan_by_key_config_selectorIiiEEZZNS1_16scan_by_key_implILNS1_25lookback_scan_determinismE0ELb1ES3_N6thrust23THRUST_200600_302600_NS6detail15normal_iteratorINS9_10device_ptrIiEEEESE_SE_iNS9_4plusIvEENS9_8equal_toIvEEiEE10hipError_tPvRmT2_T3_T4_T5_mT6_T7_P12ihipStream_tbENKUlT_T0_E_clISt17integral_constantIbLb0EESZ_EEDaSU_SV_EUlSU_E_NS1_11comp_targetILNS1_3genE9ELNS1_11target_archE1100ELNS1_3gpuE3ELNS1_3repE0EEENS1_30default_config_static_selectorELNS0_4arch9wavefront6targetE0EEEvT1_.kd
    .uniform_work_group_size: 1
    .uses_dynamic_stack: false
    .vgpr_count:     0
    .vgpr_spill_count: 0
    .wavefront_size: 32
    .workgroup_processor_mode: 1
  - .args:
      - .offset:         0
        .size:           112
        .value_kind:     by_value
    .group_segment_fixed_size: 5120
    .kernarg_segment_align: 8
    .kernarg_segment_size: 112
    .language:       OpenCL C
    .language_version:
      - 2
      - 0
    .max_flat_workgroup_size: 256
    .name:           _ZN7rocprim17ROCPRIM_400000_NS6detail17trampoline_kernelINS0_14default_configENS1_27scan_by_key_config_selectorIiiEEZZNS1_16scan_by_key_implILNS1_25lookback_scan_determinismE0ELb1ES3_N6thrust23THRUST_200600_302600_NS6detail15normal_iteratorINS9_10device_ptrIiEEEESE_SE_iNS9_4plusIvEENS9_8equal_toIvEEiEE10hipError_tPvRmT2_T3_T4_T5_mT6_T7_P12ihipStream_tbENKUlT_T0_E_clISt17integral_constantIbLb0EESZ_EEDaSU_SV_EUlSU_E_NS1_11comp_targetILNS1_3genE8ELNS1_11target_archE1030ELNS1_3gpuE2ELNS1_3repE0EEENS1_30default_config_static_selectorELNS0_4arch9wavefront6targetE0EEEvT1_
    .private_segment_fixed_size: 0
    .sgpr_count:     32
    .sgpr_spill_count: 0
    .symbol:         _ZN7rocprim17ROCPRIM_400000_NS6detail17trampoline_kernelINS0_14default_configENS1_27scan_by_key_config_selectorIiiEEZZNS1_16scan_by_key_implILNS1_25lookback_scan_determinismE0ELb1ES3_N6thrust23THRUST_200600_302600_NS6detail15normal_iteratorINS9_10device_ptrIiEEEESE_SE_iNS9_4plusIvEENS9_8equal_toIvEEiEE10hipError_tPvRmT2_T3_T4_T5_mT6_T7_P12ihipStream_tbENKUlT_T0_E_clISt17integral_constantIbLb0EESZ_EEDaSU_SV_EUlSU_E_NS1_11comp_targetILNS1_3genE8ELNS1_11target_archE1030ELNS1_3gpuE2ELNS1_3repE0EEENS1_30default_config_static_selectorELNS0_4arch9wavefront6targetE0EEEvT1_.kd
    .uniform_work_group_size: 1
    .uses_dynamic_stack: false
    .vgpr_count:     42
    .vgpr_spill_count: 0
    .wavefront_size: 32
    .workgroup_processor_mode: 1
  - .args:
      - .offset:         0
        .size:           112
        .value_kind:     by_value
    .group_segment_fixed_size: 0
    .kernarg_segment_align: 8
    .kernarg_segment_size: 112
    .language:       OpenCL C
    .language_version:
      - 2
      - 0
    .max_flat_workgroup_size: 256
    .name:           _ZN7rocprim17ROCPRIM_400000_NS6detail17trampoline_kernelINS0_14default_configENS1_27scan_by_key_config_selectorIiiEEZZNS1_16scan_by_key_implILNS1_25lookback_scan_determinismE0ELb1ES3_N6thrust23THRUST_200600_302600_NS6detail15normal_iteratorINS9_10device_ptrIiEEEESE_SE_iNS9_4plusIvEENS9_8equal_toIvEEiEE10hipError_tPvRmT2_T3_T4_T5_mT6_T7_P12ihipStream_tbENKUlT_T0_E_clISt17integral_constantIbLb1EESZ_EEDaSU_SV_EUlSU_E_NS1_11comp_targetILNS1_3genE0ELNS1_11target_archE4294967295ELNS1_3gpuE0ELNS1_3repE0EEENS1_30default_config_static_selectorELNS0_4arch9wavefront6targetE0EEEvT1_
    .private_segment_fixed_size: 0
    .sgpr_count:     0
    .sgpr_spill_count: 0
    .symbol:         _ZN7rocprim17ROCPRIM_400000_NS6detail17trampoline_kernelINS0_14default_configENS1_27scan_by_key_config_selectorIiiEEZZNS1_16scan_by_key_implILNS1_25lookback_scan_determinismE0ELb1ES3_N6thrust23THRUST_200600_302600_NS6detail15normal_iteratorINS9_10device_ptrIiEEEESE_SE_iNS9_4plusIvEENS9_8equal_toIvEEiEE10hipError_tPvRmT2_T3_T4_T5_mT6_T7_P12ihipStream_tbENKUlT_T0_E_clISt17integral_constantIbLb1EESZ_EEDaSU_SV_EUlSU_E_NS1_11comp_targetILNS1_3genE0ELNS1_11target_archE4294967295ELNS1_3gpuE0ELNS1_3repE0EEENS1_30default_config_static_selectorELNS0_4arch9wavefront6targetE0EEEvT1_.kd
    .uniform_work_group_size: 1
    .uses_dynamic_stack: false
    .vgpr_count:     0
    .vgpr_spill_count: 0
    .wavefront_size: 32
    .workgroup_processor_mode: 1
  - .args:
      - .offset:         0
        .size:           112
        .value_kind:     by_value
    .group_segment_fixed_size: 0
    .kernarg_segment_align: 8
    .kernarg_segment_size: 112
    .language:       OpenCL C
    .language_version:
      - 2
      - 0
    .max_flat_workgroup_size: 256
    .name:           _ZN7rocprim17ROCPRIM_400000_NS6detail17trampoline_kernelINS0_14default_configENS1_27scan_by_key_config_selectorIiiEEZZNS1_16scan_by_key_implILNS1_25lookback_scan_determinismE0ELb1ES3_N6thrust23THRUST_200600_302600_NS6detail15normal_iteratorINS9_10device_ptrIiEEEESE_SE_iNS9_4plusIvEENS9_8equal_toIvEEiEE10hipError_tPvRmT2_T3_T4_T5_mT6_T7_P12ihipStream_tbENKUlT_T0_E_clISt17integral_constantIbLb1EESZ_EEDaSU_SV_EUlSU_E_NS1_11comp_targetILNS1_3genE10ELNS1_11target_archE1201ELNS1_3gpuE5ELNS1_3repE0EEENS1_30default_config_static_selectorELNS0_4arch9wavefront6targetE0EEEvT1_
    .private_segment_fixed_size: 0
    .sgpr_count:     0
    .sgpr_spill_count: 0
    .symbol:         _ZN7rocprim17ROCPRIM_400000_NS6detail17trampoline_kernelINS0_14default_configENS1_27scan_by_key_config_selectorIiiEEZZNS1_16scan_by_key_implILNS1_25lookback_scan_determinismE0ELb1ES3_N6thrust23THRUST_200600_302600_NS6detail15normal_iteratorINS9_10device_ptrIiEEEESE_SE_iNS9_4plusIvEENS9_8equal_toIvEEiEE10hipError_tPvRmT2_T3_T4_T5_mT6_T7_P12ihipStream_tbENKUlT_T0_E_clISt17integral_constantIbLb1EESZ_EEDaSU_SV_EUlSU_E_NS1_11comp_targetILNS1_3genE10ELNS1_11target_archE1201ELNS1_3gpuE5ELNS1_3repE0EEENS1_30default_config_static_selectorELNS0_4arch9wavefront6targetE0EEEvT1_.kd
    .uniform_work_group_size: 1
    .uses_dynamic_stack: false
    .vgpr_count:     0
    .vgpr_spill_count: 0
    .wavefront_size: 32
    .workgroup_processor_mode: 1
  - .args:
      - .offset:         0
        .size:           112
        .value_kind:     by_value
    .group_segment_fixed_size: 0
    .kernarg_segment_align: 8
    .kernarg_segment_size: 112
    .language:       OpenCL C
    .language_version:
      - 2
      - 0
    .max_flat_workgroup_size: 256
    .name:           _ZN7rocprim17ROCPRIM_400000_NS6detail17trampoline_kernelINS0_14default_configENS1_27scan_by_key_config_selectorIiiEEZZNS1_16scan_by_key_implILNS1_25lookback_scan_determinismE0ELb1ES3_N6thrust23THRUST_200600_302600_NS6detail15normal_iteratorINS9_10device_ptrIiEEEESE_SE_iNS9_4plusIvEENS9_8equal_toIvEEiEE10hipError_tPvRmT2_T3_T4_T5_mT6_T7_P12ihipStream_tbENKUlT_T0_E_clISt17integral_constantIbLb1EESZ_EEDaSU_SV_EUlSU_E_NS1_11comp_targetILNS1_3genE5ELNS1_11target_archE942ELNS1_3gpuE9ELNS1_3repE0EEENS1_30default_config_static_selectorELNS0_4arch9wavefront6targetE0EEEvT1_
    .private_segment_fixed_size: 0
    .sgpr_count:     0
    .sgpr_spill_count: 0
    .symbol:         _ZN7rocprim17ROCPRIM_400000_NS6detail17trampoline_kernelINS0_14default_configENS1_27scan_by_key_config_selectorIiiEEZZNS1_16scan_by_key_implILNS1_25lookback_scan_determinismE0ELb1ES3_N6thrust23THRUST_200600_302600_NS6detail15normal_iteratorINS9_10device_ptrIiEEEESE_SE_iNS9_4plusIvEENS9_8equal_toIvEEiEE10hipError_tPvRmT2_T3_T4_T5_mT6_T7_P12ihipStream_tbENKUlT_T0_E_clISt17integral_constantIbLb1EESZ_EEDaSU_SV_EUlSU_E_NS1_11comp_targetILNS1_3genE5ELNS1_11target_archE942ELNS1_3gpuE9ELNS1_3repE0EEENS1_30default_config_static_selectorELNS0_4arch9wavefront6targetE0EEEvT1_.kd
    .uniform_work_group_size: 1
    .uses_dynamic_stack: false
    .vgpr_count:     0
    .vgpr_spill_count: 0
    .wavefront_size: 32
    .workgroup_processor_mode: 1
  - .args:
      - .offset:         0
        .size:           112
        .value_kind:     by_value
    .group_segment_fixed_size: 0
    .kernarg_segment_align: 8
    .kernarg_segment_size: 112
    .language:       OpenCL C
    .language_version:
      - 2
      - 0
    .max_flat_workgroup_size: 256
    .name:           _ZN7rocprim17ROCPRIM_400000_NS6detail17trampoline_kernelINS0_14default_configENS1_27scan_by_key_config_selectorIiiEEZZNS1_16scan_by_key_implILNS1_25lookback_scan_determinismE0ELb1ES3_N6thrust23THRUST_200600_302600_NS6detail15normal_iteratorINS9_10device_ptrIiEEEESE_SE_iNS9_4plusIvEENS9_8equal_toIvEEiEE10hipError_tPvRmT2_T3_T4_T5_mT6_T7_P12ihipStream_tbENKUlT_T0_E_clISt17integral_constantIbLb1EESZ_EEDaSU_SV_EUlSU_E_NS1_11comp_targetILNS1_3genE4ELNS1_11target_archE910ELNS1_3gpuE8ELNS1_3repE0EEENS1_30default_config_static_selectorELNS0_4arch9wavefront6targetE0EEEvT1_
    .private_segment_fixed_size: 0
    .sgpr_count:     0
    .sgpr_spill_count: 0
    .symbol:         _ZN7rocprim17ROCPRIM_400000_NS6detail17trampoline_kernelINS0_14default_configENS1_27scan_by_key_config_selectorIiiEEZZNS1_16scan_by_key_implILNS1_25lookback_scan_determinismE0ELb1ES3_N6thrust23THRUST_200600_302600_NS6detail15normal_iteratorINS9_10device_ptrIiEEEESE_SE_iNS9_4plusIvEENS9_8equal_toIvEEiEE10hipError_tPvRmT2_T3_T4_T5_mT6_T7_P12ihipStream_tbENKUlT_T0_E_clISt17integral_constantIbLb1EESZ_EEDaSU_SV_EUlSU_E_NS1_11comp_targetILNS1_3genE4ELNS1_11target_archE910ELNS1_3gpuE8ELNS1_3repE0EEENS1_30default_config_static_selectorELNS0_4arch9wavefront6targetE0EEEvT1_.kd
    .uniform_work_group_size: 1
    .uses_dynamic_stack: false
    .vgpr_count:     0
    .vgpr_spill_count: 0
    .wavefront_size: 32
    .workgroup_processor_mode: 1
  - .args:
      - .offset:         0
        .size:           112
        .value_kind:     by_value
    .group_segment_fixed_size: 0
    .kernarg_segment_align: 8
    .kernarg_segment_size: 112
    .language:       OpenCL C
    .language_version:
      - 2
      - 0
    .max_flat_workgroup_size: 256
    .name:           _ZN7rocprim17ROCPRIM_400000_NS6detail17trampoline_kernelINS0_14default_configENS1_27scan_by_key_config_selectorIiiEEZZNS1_16scan_by_key_implILNS1_25lookback_scan_determinismE0ELb1ES3_N6thrust23THRUST_200600_302600_NS6detail15normal_iteratorINS9_10device_ptrIiEEEESE_SE_iNS9_4plusIvEENS9_8equal_toIvEEiEE10hipError_tPvRmT2_T3_T4_T5_mT6_T7_P12ihipStream_tbENKUlT_T0_E_clISt17integral_constantIbLb1EESZ_EEDaSU_SV_EUlSU_E_NS1_11comp_targetILNS1_3genE3ELNS1_11target_archE908ELNS1_3gpuE7ELNS1_3repE0EEENS1_30default_config_static_selectorELNS0_4arch9wavefront6targetE0EEEvT1_
    .private_segment_fixed_size: 0
    .sgpr_count:     0
    .sgpr_spill_count: 0
    .symbol:         _ZN7rocprim17ROCPRIM_400000_NS6detail17trampoline_kernelINS0_14default_configENS1_27scan_by_key_config_selectorIiiEEZZNS1_16scan_by_key_implILNS1_25lookback_scan_determinismE0ELb1ES3_N6thrust23THRUST_200600_302600_NS6detail15normal_iteratorINS9_10device_ptrIiEEEESE_SE_iNS9_4plusIvEENS9_8equal_toIvEEiEE10hipError_tPvRmT2_T3_T4_T5_mT6_T7_P12ihipStream_tbENKUlT_T0_E_clISt17integral_constantIbLb1EESZ_EEDaSU_SV_EUlSU_E_NS1_11comp_targetILNS1_3genE3ELNS1_11target_archE908ELNS1_3gpuE7ELNS1_3repE0EEENS1_30default_config_static_selectorELNS0_4arch9wavefront6targetE0EEEvT1_.kd
    .uniform_work_group_size: 1
    .uses_dynamic_stack: false
    .vgpr_count:     0
    .vgpr_spill_count: 0
    .wavefront_size: 32
    .workgroup_processor_mode: 1
  - .args:
      - .offset:         0
        .size:           112
        .value_kind:     by_value
    .group_segment_fixed_size: 0
    .kernarg_segment_align: 8
    .kernarg_segment_size: 112
    .language:       OpenCL C
    .language_version:
      - 2
      - 0
    .max_flat_workgroup_size: 256
    .name:           _ZN7rocprim17ROCPRIM_400000_NS6detail17trampoline_kernelINS0_14default_configENS1_27scan_by_key_config_selectorIiiEEZZNS1_16scan_by_key_implILNS1_25lookback_scan_determinismE0ELb1ES3_N6thrust23THRUST_200600_302600_NS6detail15normal_iteratorINS9_10device_ptrIiEEEESE_SE_iNS9_4plusIvEENS9_8equal_toIvEEiEE10hipError_tPvRmT2_T3_T4_T5_mT6_T7_P12ihipStream_tbENKUlT_T0_E_clISt17integral_constantIbLb1EESZ_EEDaSU_SV_EUlSU_E_NS1_11comp_targetILNS1_3genE2ELNS1_11target_archE906ELNS1_3gpuE6ELNS1_3repE0EEENS1_30default_config_static_selectorELNS0_4arch9wavefront6targetE0EEEvT1_
    .private_segment_fixed_size: 0
    .sgpr_count:     0
    .sgpr_spill_count: 0
    .symbol:         _ZN7rocprim17ROCPRIM_400000_NS6detail17trampoline_kernelINS0_14default_configENS1_27scan_by_key_config_selectorIiiEEZZNS1_16scan_by_key_implILNS1_25lookback_scan_determinismE0ELb1ES3_N6thrust23THRUST_200600_302600_NS6detail15normal_iteratorINS9_10device_ptrIiEEEESE_SE_iNS9_4plusIvEENS9_8equal_toIvEEiEE10hipError_tPvRmT2_T3_T4_T5_mT6_T7_P12ihipStream_tbENKUlT_T0_E_clISt17integral_constantIbLb1EESZ_EEDaSU_SV_EUlSU_E_NS1_11comp_targetILNS1_3genE2ELNS1_11target_archE906ELNS1_3gpuE6ELNS1_3repE0EEENS1_30default_config_static_selectorELNS0_4arch9wavefront6targetE0EEEvT1_.kd
    .uniform_work_group_size: 1
    .uses_dynamic_stack: false
    .vgpr_count:     0
    .vgpr_spill_count: 0
    .wavefront_size: 32
    .workgroup_processor_mode: 1
  - .args:
      - .offset:         0
        .size:           112
        .value_kind:     by_value
    .group_segment_fixed_size: 0
    .kernarg_segment_align: 8
    .kernarg_segment_size: 112
    .language:       OpenCL C
    .language_version:
      - 2
      - 0
    .max_flat_workgroup_size: 256
    .name:           _ZN7rocprim17ROCPRIM_400000_NS6detail17trampoline_kernelINS0_14default_configENS1_27scan_by_key_config_selectorIiiEEZZNS1_16scan_by_key_implILNS1_25lookback_scan_determinismE0ELb1ES3_N6thrust23THRUST_200600_302600_NS6detail15normal_iteratorINS9_10device_ptrIiEEEESE_SE_iNS9_4plusIvEENS9_8equal_toIvEEiEE10hipError_tPvRmT2_T3_T4_T5_mT6_T7_P12ihipStream_tbENKUlT_T0_E_clISt17integral_constantIbLb1EESZ_EEDaSU_SV_EUlSU_E_NS1_11comp_targetILNS1_3genE10ELNS1_11target_archE1200ELNS1_3gpuE4ELNS1_3repE0EEENS1_30default_config_static_selectorELNS0_4arch9wavefront6targetE0EEEvT1_
    .private_segment_fixed_size: 0
    .sgpr_count:     0
    .sgpr_spill_count: 0
    .symbol:         _ZN7rocprim17ROCPRIM_400000_NS6detail17trampoline_kernelINS0_14default_configENS1_27scan_by_key_config_selectorIiiEEZZNS1_16scan_by_key_implILNS1_25lookback_scan_determinismE0ELb1ES3_N6thrust23THRUST_200600_302600_NS6detail15normal_iteratorINS9_10device_ptrIiEEEESE_SE_iNS9_4plusIvEENS9_8equal_toIvEEiEE10hipError_tPvRmT2_T3_T4_T5_mT6_T7_P12ihipStream_tbENKUlT_T0_E_clISt17integral_constantIbLb1EESZ_EEDaSU_SV_EUlSU_E_NS1_11comp_targetILNS1_3genE10ELNS1_11target_archE1200ELNS1_3gpuE4ELNS1_3repE0EEENS1_30default_config_static_selectorELNS0_4arch9wavefront6targetE0EEEvT1_.kd
    .uniform_work_group_size: 1
    .uses_dynamic_stack: false
    .vgpr_count:     0
    .vgpr_spill_count: 0
    .wavefront_size: 32
    .workgroup_processor_mode: 1
  - .args:
      - .offset:         0
        .size:           112
        .value_kind:     by_value
    .group_segment_fixed_size: 0
    .kernarg_segment_align: 8
    .kernarg_segment_size: 112
    .language:       OpenCL C
    .language_version:
      - 2
      - 0
    .max_flat_workgroup_size: 256
    .name:           _ZN7rocprim17ROCPRIM_400000_NS6detail17trampoline_kernelINS0_14default_configENS1_27scan_by_key_config_selectorIiiEEZZNS1_16scan_by_key_implILNS1_25lookback_scan_determinismE0ELb1ES3_N6thrust23THRUST_200600_302600_NS6detail15normal_iteratorINS9_10device_ptrIiEEEESE_SE_iNS9_4plusIvEENS9_8equal_toIvEEiEE10hipError_tPvRmT2_T3_T4_T5_mT6_T7_P12ihipStream_tbENKUlT_T0_E_clISt17integral_constantIbLb1EESZ_EEDaSU_SV_EUlSU_E_NS1_11comp_targetILNS1_3genE9ELNS1_11target_archE1100ELNS1_3gpuE3ELNS1_3repE0EEENS1_30default_config_static_selectorELNS0_4arch9wavefront6targetE0EEEvT1_
    .private_segment_fixed_size: 0
    .sgpr_count:     0
    .sgpr_spill_count: 0
    .symbol:         _ZN7rocprim17ROCPRIM_400000_NS6detail17trampoline_kernelINS0_14default_configENS1_27scan_by_key_config_selectorIiiEEZZNS1_16scan_by_key_implILNS1_25lookback_scan_determinismE0ELb1ES3_N6thrust23THRUST_200600_302600_NS6detail15normal_iteratorINS9_10device_ptrIiEEEESE_SE_iNS9_4plusIvEENS9_8equal_toIvEEiEE10hipError_tPvRmT2_T3_T4_T5_mT6_T7_P12ihipStream_tbENKUlT_T0_E_clISt17integral_constantIbLb1EESZ_EEDaSU_SV_EUlSU_E_NS1_11comp_targetILNS1_3genE9ELNS1_11target_archE1100ELNS1_3gpuE3ELNS1_3repE0EEENS1_30default_config_static_selectorELNS0_4arch9wavefront6targetE0EEEvT1_.kd
    .uniform_work_group_size: 1
    .uses_dynamic_stack: false
    .vgpr_count:     0
    .vgpr_spill_count: 0
    .wavefront_size: 32
    .workgroup_processor_mode: 1
  - .args:
      - .offset:         0
        .size:           112
        .value_kind:     by_value
    .group_segment_fixed_size: 0
    .kernarg_segment_align: 8
    .kernarg_segment_size: 112
    .language:       OpenCL C
    .language_version:
      - 2
      - 0
    .max_flat_workgroup_size: 256
    .name:           _ZN7rocprim17ROCPRIM_400000_NS6detail17trampoline_kernelINS0_14default_configENS1_27scan_by_key_config_selectorIiiEEZZNS1_16scan_by_key_implILNS1_25lookback_scan_determinismE0ELb1ES3_N6thrust23THRUST_200600_302600_NS6detail15normal_iteratorINS9_10device_ptrIiEEEESE_SE_iNS9_4plusIvEENS9_8equal_toIvEEiEE10hipError_tPvRmT2_T3_T4_T5_mT6_T7_P12ihipStream_tbENKUlT_T0_E_clISt17integral_constantIbLb1EESZ_EEDaSU_SV_EUlSU_E_NS1_11comp_targetILNS1_3genE8ELNS1_11target_archE1030ELNS1_3gpuE2ELNS1_3repE0EEENS1_30default_config_static_selectorELNS0_4arch9wavefront6targetE0EEEvT1_
    .private_segment_fixed_size: 0
    .sgpr_count:     0
    .sgpr_spill_count: 0
    .symbol:         _ZN7rocprim17ROCPRIM_400000_NS6detail17trampoline_kernelINS0_14default_configENS1_27scan_by_key_config_selectorIiiEEZZNS1_16scan_by_key_implILNS1_25lookback_scan_determinismE0ELb1ES3_N6thrust23THRUST_200600_302600_NS6detail15normal_iteratorINS9_10device_ptrIiEEEESE_SE_iNS9_4plusIvEENS9_8equal_toIvEEiEE10hipError_tPvRmT2_T3_T4_T5_mT6_T7_P12ihipStream_tbENKUlT_T0_E_clISt17integral_constantIbLb1EESZ_EEDaSU_SV_EUlSU_E_NS1_11comp_targetILNS1_3genE8ELNS1_11target_archE1030ELNS1_3gpuE2ELNS1_3repE0EEENS1_30default_config_static_selectorELNS0_4arch9wavefront6targetE0EEEvT1_.kd
    .uniform_work_group_size: 1
    .uses_dynamic_stack: false
    .vgpr_count:     0
    .vgpr_spill_count: 0
    .wavefront_size: 32
    .workgroup_processor_mode: 1
  - .args:
      - .offset:         0
        .size:           112
        .value_kind:     by_value
    .group_segment_fixed_size: 0
    .kernarg_segment_align: 8
    .kernarg_segment_size: 112
    .language:       OpenCL C
    .language_version:
      - 2
      - 0
    .max_flat_workgroup_size: 256
    .name:           _ZN7rocprim17ROCPRIM_400000_NS6detail17trampoline_kernelINS0_14default_configENS1_27scan_by_key_config_selectorIiiEEZZNS1_16scan_by_key_implILNS1_25lookback_scan_determinismE0ELb1ES3_N6thrust23THRUST_200600_302600_NS6detail15normal_iteratorINS9_10device_ptrIiEEEESE_SE_iNS9_4plusIvEENS9_8equal_toIvEEiEE10hipError_tPvRmT2_T3_T4_T5_mT6_T7_P12ihipStream_tbENKUlT_T0_E_clISt17integral_constantIbLb1EESY_IbLb0EEEEDaSU_SV_EUlSU_E_NS1_11comp_targetILNS1_3genE0ELNS1_11target_archE4294967295ELNS1_3gpuE0ELNS1_3repE0EEENS1_30default_config_static_selectorELNS0_4arch9wavefront6targetE0EEEvT1_
    .private_segment_fixed_size: 0
    .sgpr_count:     0
    .sgpr_spill_count: 0
    .symbol:         _ZN7rocprim17ROCPRIM_400000_NS6detail17trampoline_kernelINS0_14default_configENS1_27scan_by_key_config_selectorIiiEEZZNS1_16scan_by_key_implILNS1_25lookback_scan_determinismE0ELb1ES3_N6thrust23THRUST_200600_302600_NS6detail15normal_iteratorINS9_10device_ptrIiEEEESE_SE_iNS9_4plusIvEENS9_8equal_toIvEEiEE10hipError_tPvRmT2_T3_T4_T5_mT6_T7_P12ihipStream_tbENKUlT_T0_E_clISt17integral_constantIbLb1EESY_IbLb0EEEEDaSU_SV_EUlSU_E_NS1_11comp_targetILNS1_3genE0ELNS1_11target_archE4294967295ELNS1_3gpuE0ELNS1_3repE0EEENS1_30default_config_static_selectorELNS0_4arch9wavefront6targetE0EEEvT1_.kd
    .uniform_work_group_size: 1
    .uses_dynamic_stack: false
    .vgpr_count:     0
    .vgpr_spill_count: 0
    .wavefront_size: 32
    .workgroup_processor_mode: 1
  - .args:
      - .offset:         0
        .size:           112
        .value_kind:     by_value
    .group_segment_fixed_size: 0
    .kernarg_segment_align: 8
    .kernarg_segment_size: 112
    .language:       OpenCL C
    .language_version:
      - 2
      - 0
    .max_flat_workgroup_size: 256
    .name:           _ZN7rocprim17ROCPRIM_400000_NS6detail17trampoline_kernelINS0_14default_configENS1_27scan_by_key_config_selectorIiiEEZZNS1_16scan_by_key_implILNS1_25lookback_scan_determinismE0ELb1ES3_N6thrust23THRUST_200600_302600_NS6detail15normal_iteratorINS9_10device_ptrIiEEEESE_SE_iNS9_4plusIvEENS9_8equal_toIvEEiEE10hipError_tPvRmT2_T3_T4_T5_mT6_T7_P12ihipStream_tbENKUlT_T0_E_clISt17integral_constantIbLb1EESY_IbLb0EEEEDaSU_SV_EUlSU_E_NS1_11comp_targetILNS1_3genE10ELNS1_11target_archE1201ELNS1_3gpuE5ELNS1_3repE0EEENS1_30default_config_static_selectorELNS0_4arch9wavefront6targetE0EEEvT1_
    .private_segment_fixed_size: 0
    .sgpr_count:     0
    .sgpr_spill_count: 0
    .symbol:         _ZN7rocprim17ROCPRIM_400000_NS6detail17trampoline_kernelINS0_14default_configENS1_27scan_by_key_config_selectorIiiEEZZNS1_16scan_by_key_implILNS1_25lookback_scan_determinismE0ELb1ES3_N6thrust23THRUST_200600_302600_NS6detail15normal_iteratorINS9_10device_ptrIiEEEESE_SE_iNS9_4plusIvEENS9_8equal_toIvEEiEE10hipError_tPvRmT2_T3_T4_T5_mT6_T7_P12ihipStream_tbENKUlT_T0_E_clISt17integral_constantIbLb1EESY_IbLb0EEEEDaSU_SV_EUlSU_E_NS1_11comp_targetILNS1_3genE10ELNS1_11target_archE1201ELNS1_3gpuE5ELNS1_3repE0EEENS1_30default_config_static_selectorELNS0_4arch9wavefront6targetE0EEEvT1_.kd
    .uniform_work_group_size: 1
    .uses_dynamic_stack: false
    .vgpr_count:     0
    .vgpr_spill_count: 0
    .wavefront_size: 32
    .workgroup_processor_mode: 1
  - .args:
      - .offset:         0
        .size:           112
        .value_kind:     by_value
    .group_segment_fixed_size: 0
    .kernarg_segment_align: 8
    .kernarg_segment_size: 112
    .language:       OpenCL C
    .language_version:
      - 2
      - 0
    .max_flat_workgroup_size: 256
    .name:           _ZN7rocprim17ROCPRIM_400000_NS6detail17trampoline_kernelINS0_14default_configENS1_27scan_by_key_config_selectorIiiEEZZNS1_16scan_by_key_implILNS1_25lookback_scan_determinismE0ELb1ES3_N6thrust23THRUST_200600_302600_NS6detail15normal_iteratorINS9_10device_ptrIiEEEESE_SE_iNS9_4plusIvEENS9_8equal_toIvEEiEE10hipError_tPvRmT2_T3_T4_T5_mT6_T7_P12ihipStream_tbENKUlT_T0_E_clISt17integral_constantIbLb1EESY_IbLb0EEEEDaSU_SV_EUlSU_E_NS1_11comp_targetILNS1_3genE5ELNS1_11target_archE942ELNS1_3gpuE9ELNS1_3repE0EEENS1_30default_config_static_selectorELNS0_4arch9wavefront6targetE0EEEvT1_
    .private_segment_fixed_size: 0
    .sgpr_count:     0
    .sgpr_spill_count: 0
    .symbol:         _ZN7rocprim17ROCPRIM_400000_NS6detail17trampoline_kernelINS0_14default_configENS1_27scan_by_key_config_selectorIiiEEZZNS1_16scan_by_key_implILNS1_25lookback_scan_determinismE0ELb1ES3_N6thrust23THRUST_200600_302600_NS6detail15normal_iteratorINS9_10device_ptrIiEEEESE_SE_iNS9_4plusIvEENS9_8equal_toIvEEiEE10hipError_tPvRmT2_T3_T4_T5_mT6_T7_P12ihipStream_tbENKUlT_T0_E_clISt17integral_constantIbLb1EESY_IbLb0EEEEDaSU_SV_EUlSU_E_NS1_11comp_targetILNS1_3genE5ELNS1_11target_archE942ELNS1_3gpuE9ELNS1_3repE0EEENS1_30default_config_static_selectorELNS0_4arch9wavefront6targetE0EEEvT1_.kd
    .uniform_work_group_size: 1
    .uses_dynamic_stack: false
    .vgpr_count:     0
    .vgpr_spill_count: 0
    .wavefront_size: 32
    .workgroup_processor_mode: 1
  - .args:
      - .offset:         0
        .size:           112
        .value_kind:     by_value
    .group_segment_fixed_size: 0
    .kernarg_segment_align: 8
    .kernarg_segment_size: 112
    .language:       OpenCL C
    .language_version:
      - 2
      - 0
    .max_flat_workgroup_size: 256
    .name:           _ZN7rocprim17ROCPRIM_400000_NS6detail17trampoline_kernelINS0_14default_configENS1_27scan_by_key_config_selectorIiiEEZZNS1_16scan_by_key_implILNS1_25lookback_scan_determinismE0ELb1ES3_N6thrust23THRUST_200600_302600_NS6detail15normal_iteratorINS9_10device_ptrIiEEEESE_SE_iNS9_4plusIvEENS9_8equal_toIvEEiEE10hipError_tPvRmT2_T3_T4_T5_mT6_T7_P12ihipStream_tbENKUlT_T0_E_clISt17integral_constantIbLb1EESY_IbLb0EEEEDaSU_SV_EUlSU_E_NS1_11comp_targetILNS1_3genE4ELNS1_11target_archE910ELNS1_3gpuE8ELNS1_3repE0EEENS1_30default_config_static_selectorELNS0_4arch9wavefront6targetE0EEEvT1_
    .private_segment_fixed_size: 0
    .sgpr_count:     0
    .sgpr_spill_count: 0
    .symbol:         _ZN7rocprim17ROCPRIM_400000_NS6detail17trampoline_kernelINS0_14default_configENS1_27scan_by_key_config_selectorIiiEEZZNS1_16scan_by_key_implILNS1_25lookback_scan_determinismE0ELb1ES3_N6thrust23THRUST_200600_302600_NS6detail15normal_iteratorINS9_10device_ptrIiEEEESE_SE_iNS9_4plusIvEENS9_8equal_toIvEEiEE10hipError_tPvRmT2_T3_T4_T5_mT6_T7_P12ihipStream_tbENKUlT_T0_E_clISt17integral_constantIbLb1EESY_IbLb0EEEEDaSU_SV_EUlSU_E_NS1_11comp_targetILNS1_3genE4ELNS1_11target_archE910ELNS1_3gpuE8ELNS1_3repE0EEENS1_30default_config_static_selectorELNS0_4arch9wavefront6targetE0EEEvT1_.kd
    .uniform_work_group_size: 1
    .uses_dynamic_stack: false
    .vgpr_count:     0
    .vgpr_spill_count: 0
    .wavefront_size: 32
    .workgroup_processor_mode: 1
  - .args:
      - .offset:         0
        .size:           112
        .value_kind:     by_value
    .group_segment_fixed_size: 0
    .kernarg_segment_align: 8
    .kernarg_segment_size: 112
    .language:       OpenCL C
    .language_version:
      - 2
      - 0
    .max_flat_workgroup_size: 256
    .name:           _ZN7rocprim17ROCPRIM_400000_NS6detail17trampoline_kernelINS0_14default_configENS1_27scan_by_key_config_selectorIiiEEZZNS1_16scan_by_key_implILNS1_25lookback_scan_determinismE0ELb1ES3_N6thrust23THRUST_200600_302600_NS6detail15normal_iteratorINS9_10device_ptrIiEEEESE_SE_iNS9_4plusIvEENS9_8equal_toIvEEiEE10hipError_tPvRmT2_T3_T4_T5_mT6_T7_P12ihipStream_tbENKUlT_T0_E_clISt17integral_constantIbLb1EESY_IbLb0EEEEDaSU_SV_EUlSU_E_NS1_11comp_targetILNS1_3genE3ELNS1_11target_archE908ELNS1_3gpuE7ELNS1_3repE0EEENS1_30default_config_static_selectorELNS0_4arch9wavefront6targetE0EEEvT1_
    .private_segment_fixed_size: 0
    .sgpr_count:     0
    .sgpr_spill_count: 0
    .symbol:         _ZN7rocprim17ROCPRIM_400000_NS6detail17trampoline_kernelINS0_14default_configENS1_27scan_by_key_config_selectorIiiEEZZNS1_16scan_by_key_implILNS1_25lookback_scan_determinismE0ELb1ES3_N6thrust23THRUST_200600_302600_NS6detail15normal_iteratorINS9_10device_ptrIiEEEESE_SE_iNS9_4plusIvEENS9_8equal_toIvEEiEE10hipError_tPvRmT2_T3_T4_T5_mT6_T7_P12ihipStream_tbENKUlT_T0_E_clISt17integral_constantIbLb1EESY_IbLb0EEEEDaSU_SV_EUlSU_E_NS1_11comp_targetILNS1_3genE3ELNS1_11target_archE908ELNS1_3gpuE7ELNS1_3repE0EEENS1_30default_config_static_selectorELNS0_4arch9wavefront6targetE0EEEvT1_.kd
    .uniform_work_group_size: 1
    .uses_dynamic_stack: false
    .vgpr_count:     0
    .vgpr_spill_count: 0
    .wavefront_size: 32
    .workgroup_processor_mode: 1
  - .args:
      - .offset:         0
        .size:           112
        .value_kind:     by_value
    .group_segment_fixed_size: 0
    .kernarg_segment_align: 8
    .kernarg_segment_size: 112
    .language:       OpenCL C
    .language_version:
      - 2
      - 0
    .max_flat_workgroup_size: 256
    .name:           _ZN7rocprim17ROCPRIM_400000_NS6detail17trampoline_kernelINS0_14default_configENS1_27scan_by_key_config_selectorIiiEEZZNS1_16scan_by_key_implILNS1_25lookback_scan_determinismE0ELb1ES3_N6thrust23THRUST_200600_302600_NS6detail15normal_iteratorINS9_10device_ptrIiEEEESE_SE_iNS9_4plusIvEENS9_8equal_toIvEEiEE10hipError_tPvRmT2_T3_T4_T5_mT6_T7_P12ihipStream_tbENKUlT_T0_E_clISt17integral_constantIbLb1EESY_IbLb0EEEEDaSU_SV_EUlSU_E_NS1_11comp_targetILNS1_3genE2ELNS1_11target_archE906ELNS1_3gpuE6ELNS1_3repE0EEENS1_30default_config_static_selectorELNS0_4arch9wavefront6targetE0EEEvT1_
    .private_segment_fixed_size: 0
    .sgpr_count:     0
    .sgpr_spill_count: 0
    .symbol:         _ZN7rocprim17ROCPRIM_400000_NS6detail17trampoline_kernelINS0_14default_configENS1_27scan_by_key_config_selectorIiiEEZZNS1_16scan_by_key_implILNS1_25lookback_scan_determinismE0ELb1ES3_N6thrust23THRUST_200600_302600_NS6detail15normal_iteratorINS9_10device_ptrIiEEEESE_SE_iNS9_4plusIvEENS9_8equal_toIvEEiEE10hipError_tPvRmT2_T3_T4_T5_mT6_T7_P12ihipStream_tbENKUlT_T0_E_clISt17integral_constantIbLb1EESY_IbLb0EEEEDaSU_SV_EUlSU_E_NS1_11comp_targetILNS1_3genE2ELNS1_11target_archE906ELNS1_3gpuE6ELNS1_3repE0EEENS1_30default_config_static_selectorELNS0_4arch9wavefront6targetE0EEEvT1_.kd
    .uniform_work_group_size: 1
    .uses_dynamic_stack: false
    .vgpr_count:     0
    .vgpr_spill_count: 0
    .wavefront_size: 32
    .workgroup_processor_mode: 1
  - .args:
      - .offset:         0
        .size:           112
        .value_kind:     by_value
    .group_segment_fixed_size: 0
    .kernarg_segment_align: 8
    .kernarg_segment_size: 112
    .language:       OpenCL C
    .language_version:
      - 2
      - 0
    .max_flat_workgroup_size: 256
    .name:           _ZN7rocprim17ROCPRIM_400000_NS6detail17trampoline_kernelINS0_14default_configENS1_27scan_by_key_config_selectorIiiEEZZNS1_16scan_by_key_implILNS1_25lookback_scan_determinismE0ELb1ES3_N6thrust23THRUST_200600_302600_NS6detail15normal_iteratorINS9_10device_ptrIiEEEESE_SE_iNS9_4plusIvEENS9_8equal_toIvEEiEE10hipError_tPvRmT2_T3_T4_T5_mT6_T7_P12ihipStream_tbENKUlT_T0_E_clISt17integral_constantIbLb1EESY_IbLb0EEEEDaSU_SV_EUlSU_E_NS1_11comp_targetILNS1_3genE10ELNS1_11target_archE1200ELNS1_3gpuE4ELNS1_3repE0EEENS1_30default_config_static_selectorELNS0_4arch9wavefront6targetE0EEEvT1_
    .private_segment_fixed_size: 0
    .sgpr_count:     0
    .sgpr_spill_count: 0
    .symbol:         _ZN7rocprim17ROCPRIM_400000_NS6detail17trampoline_kernelINS0_14default_configENS1_27scan_by_key_config_selectorIiiEEZZNS1_16scan_by_key_implILNS1_25lookback_scan_determinismE0ELb1ES3_N6thrust23THRUST_200600_302600_NS6detail15normal_iteratorINS9_10device_ptrIiEEEESE_SE_iNS9_4plusIvEENS9_8equal_toIvEEiEE10hipError_tPvRmT2_T3_T4_T5_mT6_T7_P12ihipStream_tbENKUlT_T0_E_clISt17integral_constantIbLb1EESY_IbLb0EEEEDaSU_SV_EUlSU_E_NS1_11comp_targetILNS1_3genE10ELNS1_11target_archE1200ELNS1_3gpuE4ELNS1_3repE0EEENS1_30default_config_static_selectorELNS0_4arch9wavefront6targetE0EEEvT1_.kd
    .uniform_work_group_size: 1
    .uses_dynamic_stack: false
    .vgpr_count:     0
    .vgpr_spill_count: 0
    .wavefront_size: 32
    .workgroup_processor_mode: 1
  - .args:
      - .offset:         0
        .size:           112
        .value_kind:     by_value
    .group_segment_fixed_size: 0
    .kernarg_segment_align: 8
    .kernarg_segment_size: 112
    .language:       OpenCL C
    .language_version:
      - 2
      - 0
    .max_flat_workgroup_size: 256
    .name:           _ZN7rocprim17ROCPRIM_400000_NS6detail17trampoline_kernelINS0_14default_configENS1_27scan_by_key_config_selectorIiiEEZZNS1_16scan_by_key_implILNS1_25lookback_scan_determinismE0ELb1ES3_N6thrust23THRUST_200600_302600_NS6detail15normal_iteratorINS9_10device_ptrIiEEEESE_SE_iNS9_4plusIvEENS9_8equal_toIvEEiEE10hipError_tPvRmT2_T3_T4_T5_mT6_T7_P12ihipStream_tbENKUlT_T0_E_clISt17integral_constantIbLb1EESY_IbLb0EEEEDaSU_SV_EUlSU_E_NS1_11comp_targetILNS1_3genE9ELNS1_11target_archE1100ELNS1_3gpuE3ELNS1_3repE0EEENS1_30default_config_static_selectorELNS0_4arch9wavefront6targetE0EEEvT1_
    .private_segment_fixed_size: 0
    .sgpr_count:     0
    .sgpr_spill_count: 0
    .symbol:         _ZN7rocprim17ROCPRIM_400000_NS6detail17trampoline_kernelINS0_14default_configENS1_27scan_by_key_config_selectorIiiEEZZNS1_16scan_by_key_implILNS1_25lookback_scan_determinismE0ELb1ES3_N6thrust23THRUST_200600_302600_NS6detail15normal_iteratorINS9_10device_ptrIiEEEESE_SE_iNS9_4plusIvEENS9_8equal_toIvEEiEE10hipError_tPvRmT2_T3_T4_T5_mT6_T7_P12ihipStream_tbENKUlT_T0_E_clISt17integral_constantIbLb1EESY_IbLb0EEEEDaSU_SV_EUlSU_E_NS1_11comp_targetILNS1_3genE9ELNS1_11target_archE1100ELNS1_3gpuE3ELNS1_3repE0EEENS1_30default_config_static_selectorELNS0_4arch9wavefront6targetE0EEEvT1_.kd
    .uniform_work_group_size: 1
    .uses_dynamic_stack: false
    .vgpr_count:     0
    .vgpr_spill_count: 0
    .wavefront_size: 32
    .workgroup_processor_mode: 1
  - .args:
      - .offset:         0
        .size:           112
        .value_kind:     by_value
    .group_segment_fixed_size: 0
    .kernarg_segment_align: 8
    .kernarg_segment_size: 112
    .language:       OpenCL C
    .language_version:
      - 2
      - 0
    .max_flat_workgroup_size: 256
    .name:           _ZN7rocprim17ROCPRIM_400000_NS6detail17trampoline_kernelINS0_14default_configENS1_27scan_by_key_config_selectorIiiEEZZNS1_16scan_by_key_implILNS1_25lookback_scan_determinismE0ELb1ES3_N6thrust23THRUST_200600_302600_NS6detail15normal_iteratorINS9_10device_ptrIiEEEESE_SE_iNS9_4plusIvEENS9_8equal_toIvEEiEE10hipError_tPvRmT2_T3_T4_T5_mT6_T7_P12ihipStream_tbENKUlT_T0_E_clISt17integral_constantIbLb1EESY_IbLb0EEEEDaSU_SV_EUlSU_E_NS1_11comp_targetILNS1_3genE8ELNS1_11target_archE1030ELNS1_3gpuE2ELNS1_3repE0EEENS1_30default_config_static_selectorELNS0_4arch9wavefront6targetE0EEEvT1_
    .private_segment_fixed_size: 0
    .sgpr_count:     0
    .sgpr_spill_count: 0
    .symbol:         _ZN7rocprim17ROCPRIM_400000_NS6detail17trampoline_kernelINS0_14default_configENS1_27scan_by_key_config_selectorIiiEEZZNS1_16scan_by_key_implILNS1_25lookback_scan_determinismE0ELb1ES3_N6thrust23THRUST_200600_302600_NS6detail15normal_iteratorINS9_10device_ptrIiEEEESE_SE_iNS9_4plusIvEENS9_8equal_toIvEEiEE10hipError_tPvRmT2_T3_T4_T5_mT6_T7_P12ihipStream_tbENKUlT_T0_E_clISt17integral_constantIbLb1EESY_IbLb0EEEEDaSU_SV_EUlSU_E_NS1_11comp_targetILNS1_3genE8ELNS1_11target_archE1030ELNS1_3gpuE2ELNS1_3repE0EEENS1_30default_config_static_selectorELNS0_4arch9wavefront6targetE0EEEvT1_.kd
    .uniform_work_group_size: 1
    .uses_dynamic_stack: false
    .vgpr_count:     0
    .vgpr_spill_count: 0
    .wavefront_size: 32
    .workgroup_processor_mode: 1
  - .args:
      - .offset:         0
        .size:           112
        .value_kind:     by_value
    .group_segment_fixed_size: 0
    .kernarg_segment_align: 8
    .kernarg_segment_size: 112
    .language:       OpenCL C
    .language_version:
      - 2
      - 0
    .max_flat_workgroup_size: 256
    .name:           _ZN7rocprim17ROCPRIM_400000_NS6detail17trampoline_kernelINS0_14default_configENS1_27scan_by_key_config_selectorIiiEEZZNS1_16scan_by_key_implILNS1_25lookback_scan_determinismE0ELb1ES3_N6thrust23THRUST_200600_302600_NS6detail15normal_iteratorINS9_10device_ptrIiEEEESE_SE_iNS9_4plusIvEENS9_8equal_toIvEEiEE10hipError_tPvRmT2_T3_T4_T5_mT6_T7_P12ihipStream_tbENKUlT_T0_E_clISt17integral_constantIbLb0EESY_IbLb1EEEEDaSU_SV_EUlSU_E_NS1_11comp_targetILNS1_3genE0ELNS1_11target_archE4294967295ELNS1_3gpuE0ELNS1_3repE0EEENS1_30default_config_static_selectorELNS0_4arch9wavefront6targetE0EEEvT1_
    .private_segment_fixed_size: 0
    .sgpr_count:     0
    .sgpr_spill_count: 0
    .symbol:         _ZN7rocprim17ROCPRIM_400000_NS6detail17trampoline_kernelINS0_14default_configENS1_27scan_by_key_config_selectorIiiEEZZNS1_16scan_by_key_implILNS1_25lookback_scan_determinismE0ELb1ES3_N6thrust23THRUST_200600_302600_NS6detail15normal_iteratorINS9_10device_ptrIiEEEESE_SE_iNS9_4plusIvEENS9_8equal_toIvEEiEE10hipError_tPvRmT2_T3_T4_T5_mT6_T7_P12ihipStream_tbENKUlT_T0_E_clISt17integral_constantIbLb0EESY_IbLb1EEEEDaSU_SV_EUlSU_E_NS1_11comp_targetILNS1_3genE0ELNS1_11target_archE4294967295ELNS1_3gpuE0ELNS1_3repE0EEENS1_30default_config_static_selectorELNS0_4arch9wavefront6targetE0EEEvT1_.kd
    .uniform_work_group_size: 1
    .uses_dynamic_stack: false
    .vgpr_count:     0
    .vgpr_spill_count: 0
    .wavefront_size: 32
    .workgroup_processor_mode: 1
  - .args:
      - .offset:         0
        .size:           112
        .value_kind:     by_value
    .group_segment_fixed_size: 0
    .kernarg_segment_align: 8
    .kernarg_segment_size: 112
    .language:       OpenCL C
    .language_version:
      - 2
      - 0
    .max_flat_workgroup_size: 256
    .name:           _ZN7rocprim17ROCPRIM_400000_NS6detail17trampoline_kernelINS0_14default_configENS1_27scan_by_key_config_selectorIiiEEZZNS1_16scan_by_key_implILNS1_25lookback_scan_determinismE0ELb1ES3_N6thrust23THRUST_200600_302600_NS6detail15normal_iteratorINS9_10device_ptrIiEEEESE_SE_iNS9_4plusIvEENS9_8equal_toIvEEiEE10hipError_tPvRmT2_T3_T4_T5_mT6_T7_P12ihipStream_tbENKUlT_T0_E_clISt17integral_constantIbLb0EESY_IbLb1EEEEDaSU_SV_EUlSU_E_NS1_11comp_targetILNS1_3genE10ELNS1_11target_archE1201ELNS1_3gpuE5ELNS1_3repE0EEENS1_30default_config_static_selectorELNS0_4arch9wavefront6targetE0EEEvT1_
    .private_segment_fixed_size: 0
    .sgpr_count:     0
    .sgpr_spill_count: 0
    .symbol:         _ZN7rocprim17ROCPRIM_400000_NS6detail17trampoline_kernelINS0_14default_configENS1_27scan_by_key_config_selectorIiiEEZZNS1_16scan_by_key_implILNS1_25lookback_scan_determinismE0ELb1ES3_N6thrust23THRUST_200600_302600_NS6detail15normal_iteratorINS9_10device_ptrIiEEEESE_SE_iNS9_4plusIvEENS9_8equal_toIvEEiEE10hipError_tPvRmT2_T3_T4_T5_mT6_T7_P12ihipStream_tbENKUlT_T0_E_clISt17integral_constantIbLb0EESY_IbLb1EEEEDaSU_SV_EUlSU_E_NS1_11comp_targetILNS1_3genE10ELNS1_11target_archE1201ELNS1_3gpuE5ELNS1_3repE0EEENS1_30default_config_static_selectorELNS0_4arch9wavefront6targetE0EEEvT1_.kd
    .uniform_work_group_size: 1
    .uses_dynamic_stack: false
    .vgpr_count:     0
    .vgpr_spill_count: 0
    .wavefront_size: 32
    .workgroup_processor_mode: 1
  - .args:
      - .offset:         0
        .size:           112
        .value_kind:     by_value
    .group_segment_fixed_size: 0
    .kernarg_segment_align: 8
    .kernarg_segment_size: 112
    .language:       OpenCL C
    .language_version:
      - 2
      - 0
    .max_flat_workgroup_size: 256
    .name:           _ZN7rocprim17ROCPRIM_400000_NS6detail17trampoline_kernelINS0_14default_configENS1_27scan_by_key_config_selectorIiiEEZZNS1_16scan_by_key_implILNS1_25lookback_scan_determinismE0ELb1ES3_N6thrust23THRUST_200600_302600_NS6detail15normal_iteratorINS9_10device_ptrIiEEEESE_SE_iNS9_4plusIvEENS9_8equal_toIvEEiEE10hipError_tPvRmT2_T3_T4_T5_mT6_T7_P12ihipStream_tbENKUlT_T0_E_clISt17integral_constantIbLb0EESY_IbLb1EEEEDaSU_SV_EUlSU_E_NS1_11comp_targetILNS1_3genE5ELNS1_11target_archE942ELNS1_3gpuE9ELNS1_3repE0EEENS1_30default_config_static_selectorELNS0_4arch9wavefront6targetE0EEEvT1_
    .private_segment_fixed_size: 0
    .sgpr_count:     0
    .sgpr_spill_count: 0
    .symbol:         _ZN7rocprim17ROCPRIM_400000_NS6detail17trampoline_kernelINS0_14default_configENS1_27scan_by_key_config_selectorIiiEEZZNS1_16scan_by_key_implILNS1_25lookback_scan_determinismE0ELb1ES3_N6thrust23THRUST_200600_302600_NS6detail15normal_iteratorINS9_10device_ptrIiEEEESE_SE_iNS9_4plusIvEENS9_8equal_toIvEEiEE10hipError_tPvRmT2_T3_T4_T5_mT6_T7_P12ihipStream_tbENKUlT_T0_E_clISt17integral_constantIbLb0EESY_IbLb1EEEEDaSU_SV_EUlSU_E_NS1_11comp_targetILNS1_3genE5ELNS1_11target_archE942ELNS1_3gpuE9ELNS1_3repE0EEENS1_30default_config_static_selectorELNS0_4arch9wavefront6targetE0EEEvT1_.kd
    .uniform_work_group_size: 1
    .uses_dynamic_stack: false
    .vgpr_count:     0
    .vgpr_spill_count: 0
    .wavefront_size: 32
    .workgroup_processor_mode: 1
  - .args:
      - .offset:         0
        .size:           112
        .value_kind:     by_value
    .group_segment_fixed_size: 0
    .kernarg_segment_align: 8
    .kernarg_segment_size: 112
    .language:       OpenCL C
    .language_version:
      - 2
      - 0
    .max_flat_workgroup_size: 256
    .name:           _ZN7rocprim17ROCPRIM_400000_NS6detail17trampoline_kernelINS0_14default_configENS1_27scan_by_key_config_selectorIiiEEZZNS1_16scan_by_key_implILNS1_25lookback_scan_determinismE0ELb1ES3_N6thrust23THRUST_200600_302600_NS6detail15normal_iteratorINS9_10device_ptrIiEEEESE_SE_iNS9_4plusIvEENS9_8equal_toIvEEiEE10hipError_tPvRmT2_T3_T4_T5_mT6_T7_P12ihipStream_tbENKUlT_T0_E_clISt17integral_constantIbLb0EESY_IbLb1EEEEDaSU_SV_EUlSU_E_NS1_11comp_targetILNS1_3genE4ELNS1_11target_archE910ELNS1_3gpuE8ELNS1_3repE0EEENS1_30default_config_static_selectorELNS0_4arch9wavefront6targetE0EEEvT1_
    .private_segment_fixed_size: 0
    .sgpr_count:     0
    .sgpr_spill_count: 0
    .symbol:         _ZN7rocprim17ROCPRIM_400000_NS6detail17trampoline_kernelINS0_14default_configENS1_27scan_by_key_config_selectorIiiEEZZNS1_16scan_by_key_implILNS1_25lookback_scan_determinismE0ELb1ES3_N6thrust23THRUST_200600_302600_NS6detail15normal_iteratorINS9_10device_ptrIiEEEESE_SE_iNS9_4plusIvEENS9_8equal_toIvEEiEE10hipError_tPvRmT2_T3_T4_T5_mT6_T7_P12ihipStream_tbENKUlT_T0_E_clISt17integral_constantIbLb0EESY_IbLb1EEEEDaSU_SV_EUlSU_E_NS1_11comp_targetILNS1_3genE4ELNS1_11target_archE910ELNS1_3gpuE8ELNS1_3repE0EEENS1_30default_config_static_selectorELNS0_4arch9wavefront6targetE0EEEvT1_.kd
    .uniform_work_group_size: 1
    .uses_dynamic_stack: false
    .vgpr_count:     0
    .vgpr_spill_count: 0
    .wavefront_size: 32
    .workgroup_processor_mode: 1
  - .args:
      - .offset:         0
        .size:           112
        .value_kind:     by_value
    .group_segment_fixed_size: 0
    .kernarg_segment_align: 8
    .kernarg_segment_size: 112
    .language:       OpenCL C
    .language_version:
      - 2
      - 0
    .max_flat_workgroup_size: 256
    .name:           _ZN7rocprim17ROCPRIM_400000_NS6detail17trampoline_kernelINS0_14default_configENS1_27scan_by_key_config_selectorIiiEEZZNS1_16scan_by_key_implILNS1_25lookback_scan_determinismE0ELb1ES3_N6thrust23THRUST_200600_302600_NS6detail15normal_iteratorINS9_10device_ptrIiEEEESE_SE_iNS9_4plusIvEENS9_8equal_toIvEEiEE10hipError_tPvRmT2_T3_T4_T5_mT6_T7_P12ihipStream_tbENKUlT_T0_E_clISt17integral_constantIbLb0EESY_IbLb1EEEEDaSU_SV_EUlSU_E_NS1_11comp_targetILNS1_3genE3ELNS1_11target_archE908ELNS1_3gpuE7ELNS1_3repE0EEENS1_30default_config_static_selectorELNS0_4arch9wavefront6targetE0EEEvT1_
    .private_segment_fixed_size: 0
    .sgpr_count:     0
    .sgpr_spill_count: 0
    .symbol:         _ZN7rocprim17ROCPRIM_400000_NS6detail17trampoline_kernelINS0_14default_configENS1_27scan_by_key_config_selectorIiiEEZZNS1_16scan_by_key_implILNS1_25lookback_scan_determinismE0ELb1ES3_N6thrust23THRUST_200600_302600_NS6detail15normal_iteratorINS9_10device_ptrIiEEEESE_SE_iNS9_4plusIvEENS9_8equal_toIvEEiEE10hipError_tPvRmT2_T3_T4_T5_mT6_T7_P12ihipStream_tbENKUlT_T0_E_clISt17integral_constantIbLb0EESY_IbLb1EEEEDaSU_SV_EUlSU_E_NS1_11comp_targetILNS1_3genE3ELNS1_11target_archE908ELNS1_3gpuE7ELNS1_3repE0EEENS1_30default_config_static_selectorELNS0_4arch9wavefront6targetE0EEEvT1_.kd
    .uniform_work_group_size: 1
    .uses_dynamic_stack: false
    .vgpr_count:     0
    .vgpr_spill_count: 0
    .wavefront_size: 32
    .workgroup_processor_mode: 1
  - .args:
      - .offset:         0
        .size:           112
        .value_kind:     by_value
    .group_segment_fixed_size: 0
    .kernarg_segment_align: 8
    .kernarg_segment_size: 112
    .language:       OpenCL C
    .language_version:
      - 2
      - 0
    .max_flat_workgroup_size: 256
    .name:           _ZN7rocprim17ROCPRIM_400000_NS6detail17trampoline_kernelINS0_14default_configENS1_27scan_by_key_config_selectorIiiEEZZNS1_16scan_by_key_implILNS1_25lookback_scan_determinismE0ELb1ES3_N6thrust23THRUST_200600_302600_NS6detail15normal_iteratorINS9_10device_ptrIiEEEESE_SE_iNS9_4plusIvEENS9_8equal_toIvEEiEE10hipError_tPvRmT2_T3_T4_T5_mT6_T7_P12ihipStream_tbENKUlT_T0_E_clISt17integral_constantIbLb0EESY_IbLb1EEEEDaSU_SV_EUlSU_E_NS1_11comp_targetILNS1_3genE2ELNS1_11target_archE906ELNS1_3gpuE6ELNS1_3repE0EEENS1_30default_config_static_selectorELNS0_4arch9wavefront6targetE0EEEvT1_
    .private_segment_fixed_size: 0
    .sgpr_count:     0
    .sgpr_spill_count: 0
    .symbol:         _ZN7rocprim17ROCPRIM_400000_NS6detail17trampoline_kernelINS0_14default_configENS1_27scan_by_key_config_selectorIiiEEZZNS1_16scan_by_key_implILNS1_25lookback_scan_determinismE0ELb1ES3_N6thrust23THRUST_200600_302600_NS6detail15normal_iteratorINS9_10device_ptrIiEEEESE_SE_iNS9_4plusIvEENS9_8equal_toIvEEiEE10hipError_tPvRmT2_T3_T4_T5_mT6_T7_P12ihipStream_tbENKUlT_T0_E_clISt17integral_constantIbLb0EESY_IbLb1EEEEDaSU_SV_EUlSU_E_NS1_11comp_targetILNS1_3genE2ELNS1_11target_archE906ELNS1_3gpuE6ELNS1_3repE0EEENS1_30default_config_static_selectorELNS0_4arch9wavefront6targetE0EEEvT1_.kd
    .uniform_work_group_size: 1
    .uses_dynamic_stack: false
    .vgpr_count:     0
    .vgpr_spill_count: 0
    .wavefront_size: 32
    .workgroup_processor_mode: 1
  - .args:
      - .offset:         0
        .size:           112
        .value_kind:     by_value
    .group_segment_fixed_size: 0
    .kernarg_segment_align: 8
    .kernarg_segment_size: 112
    .language:       OpenCL C
    .language_version:
      - 2
      - 0
    .max_flat_workgroup_size: 256
    .name:           _ZN7rocprim17ROCPRIM_400000_NS6detail17trampoline_kernelINS0_14default_configENS1_27scan_by_key_config_selectorIiiEEZZNS1_16scan_by_key_implILNS1_25lookback_scan_determinismE0ELb1ES3_N6thrust23THRUST_200600_302600_NS6detail15normal_iteratorINS9_10device_ptrIiEEEESE_SE_iNS9_4plusIvEENS9_8equal_toIvEEiEE10hipError_tPvRmT2_T3_T4_T5_mT6_T7_P12ihipStream_tbENKUlT_T0_E_clISt17integral_constantIbLb0EESY_IbLb1EEEEDaSU_SV_EUlSU_E_NS1_11comp_targetILNS1_3genE10ELNS1_11target_archE1200ELNS1_3gpuE4ELNS1_3repE0EEENS1_30default_config_static_selectorELNS0_4arch9wavefront6targetE0EEEvT1_
    .private_segment_fixed_size: 0
    .sgpr_count:     0
    .sgpr_spill_count: 0
    .symbol:         _ZN7rocprim17ROCPRIM_400000_NS6detail17trampoline_kernelINS0_14default_configENS1_27scan_by_key_config_selectorIiiEEZZNS1_16scan_by_key_implILNS1_25lookback_scan_determinismE0ELb1ES3_N6thrust23THRUST_200600_302600_NS6detail15normal_iteratorINS9_10device_ptrIiEEEESE_SE_iNS9_4plusIvEENS9_8equal_toIvEEiEE10hipError_tPvRmT2_T3_T4_T5_mT6_T7_P12ihipStream_tbENKUlT_T0_E_clISt17integral_constantIbLb0EESY_IbLb1EEEEDaSU_SV_EUlSU_E_NS1_11comp_targetILNS1_3genE10ELNS1_11target_archE1200ELNS1_3gpuE4ELNS1_3repE0EEENS1_30default_config_static_selectorELNS0_4arch9wavefront6targetE0EEEvT1_.kd
    .uniform_work_group_size: 1
    .uses_dynamic_stack: false
    .vgpr_count:     0
    .vgpr_spill_count: 0
    .wavefront_size: 32
    .workgroup_processor_mode: 1
  - .args:
      - .offset:         0
        .size:           112
        .value_kind:     by_value
    .group_segment_fixed_size: 0
    .kernarg_segment_align: 8
    .kernarg_segment_size: 112
    .language:       OpenCL C
    .language_version:
      - 2
      - 0
    .max_flat_workgroup_size: 256
    .name:           _ZN7rocprim17ROCPRIM_400000_NS6detail17trampoline_kernelINS0_14default_configENS1_27scan_by_key_config_selectorIiiEEZZNS1_16scan_by_key_implILNS1_25lookback_scan_determinismE0ELb1ES3_N6thrust23THRUST_200600_302600_NS6detail15normal_iteratorINS9_10device_ptrIiEEEESE_SE_iNS9_4plusIvEENS9_8equal_toIvEEiEE10hipError_tPvRmT2_T3_T4_T5_mT6_T7_P12ihipStream_tbENKUlT_T0_E_clISt17integral_constantIbLb0EESY_IbLb1EEEEDaSU_SV_EUlSU_E_NS1_11comp_targetILNS1_3genE9ELNS1_11target_archE1100ELNS1_3gpuE3ELNS1_3repE0EEENS1_30default_config_static_selectorELNS0_4arch9wavefront6targetE0EEEvT1_
    .private_segment_fixed_size: 0
    .sgpr_count:     0
    .sgpr_spill_count: 0
    .symbol:         _ZN7rocprim17ROCPRIM_400000_NS6detail17trampoline_kernelINS0_14default_configENS1_27scan_by_key_config_selectorIiiEEZZNS1_16scan_by_key_implILNS1_25lookback_scan_determinismE0ELb1ES3_N6thrust23THRUST_200600_302600_NS6detail15normal_iteratorINS9_10device_ptrIiEEEESE_SE_iNS9_4plusIvEENS9_8equal_toIvEEiEE10hipError_tPvRmT2_T3_T4_T5_mT6_T7_P12ihipStream_tbENKUlT_T0_E_clISt17integral_constantIbLb0EESY_IbLb1EEEEDaSU_SV_EUlSU_E_NS1_11comp_targetILNS1_3genE9ELNS1_11target_archE1100ELNS1_3gpuE3ELNS1_3repE0EEENS1_30default_config_static_selectorELNS0_4arch9wavefront6targetE0EEEvT1_.kd
    .uniform_work_group_size: 1
    .uses_dynamic_stack: false
    .vgpr_count:     0
    .vgpr_spill_count: 0
    .wavefront_size: 32
    .workgroup_processor_mode: 1
  - .args:
      - .offset:         0
        .size:           112
        .value_kind:     by_value
    .group_segment_fixed_size: 5120
    .kernarg_segment_align: 8
    .kernarg_segment_size: 112
    .language:       OpenCL C
    .language_version:
      - 2
      - 0
    .max_flat_workgroup_size: 256
    .name:           _ZN7rocprim17ROCPRIM_400000_NS6detail17trampoline_kernelINS0_14default_configENS1_27scan_by_key_config_selectorIiiEEZZNS1_16scan_by_key_implILNS1_25lookback_scan_determinismE0ELb1ES3_N6thrust23THRUST_200600_302600_NS6detail15normal_iteratorINS9_10device_ptrIiEEEESE_SE_iNS9_4plusIvEENS9_8equal_toIvEEiEE10hipError_tPvRmT2_T3_T4_T5_mT6_T7_P12ihipStream_tbENKUlT_T0_E_clISt17integral_constantIbLb0EESY_IbLb1EEEEDaSU_SV_EUlSU_E_NS1_11comp_targetILNS1_3genE8ELNS1_11target_archE1030ELNS1_3gpuE2ELNS1_3repE0EEENS1_30default_config_static_selectorELNS0_4arch9wavefront6targetE0EEEvT1_
    .private_segment_fixed_size: 0
    .sgpr_count:     26
    .sgpr_spill_count: 0
    .symbol:         _ZN7rocprim17ROCPRIM_400000_NS6detail17trampoline_kernelINS0_14default_configENS1_27scan_by_key_config_selectorIiiEEZZNS1_16scan_by_key_implILNS1_25lookback_scan_determinismE0ELb1ES3_N6thrust23THRUST_200600_302600_NS6detail15normal_iteratorINS9_10device_ptrIiEEEESE_SE_iNS9_4plusIvEENS9_8equal_toIvEEiEE10hipError_tPvRmT2_T3_T4_T5_mT6_T7_P12ihipStream_tbENKUlT_T0_E_clISt17integral_constantIbLb0EESY_IbLb1EEEEDaSU_SV_EUlSU_E_NS1_11comp_targetILNS1_3genE8ELNS1_11target_archE1030ELNS1_3gpuE2ELNS1_3repE0EEENS1_30default_config_static_selectorELNS0_4arch9wavefront6targetE0EEEvT1_.kd
    .uniform_work_group_size: 1
    .uses_dynamic_stack: false
    .vgpr_count:     44
    .vgpr_spill_count: 0
    .wavefront_size: 32
    .workgroup_processor_mode: 1
  - .args:
      - .offset:         0
        .size:           112
        .value_kind:     by_value
    .group_segment_fixed_size: 0
    .kernarg_segment_align: 8
    .kernarg_segment_size: 112
    .language:       OpenCL C
    .language_version:
      - 2
      - 0
    .max_flat_workgroup_size: 256
    .name:           _ZN7rocprim17ROCPRIM_400000_NS6detail17trampoline_kernelINS0_14default_configENS1_27scan_by_key_config_selectorIiiEEZZNS1_16scan_by_key_implILNS1_25lookback_scan_determinismE0ELb1ES3_N6thrust23THRUST_200600_302600_NS6detail15normal_iteratorINS9_10device_ptrIiEEEESE_SE_iNS9_10multipliesIiEENS9_8equal_toIiEEiEE10hipError_tPvRmT2_T3_T4_T5_mT6_T7_P12ihipStream_tbENKUlT_T0_E_clISt17integral_constantIbLb0EESZ_EEDaSU_SV_EUlSU_E_NS1_11comp_targetILNS1_3genE0ELNS1_11target_archE4294967295ELNS1_3gpuE0ELNS1_3repE0EEENS1_30default_config_static_selectorELNS0_4arch9wavefront6targetE0EEEvT1_
    .private_segment_fixed_size: 0
    .sgpr_count:     0
    .sgpr_spill_count: 0
    .symbol:         _ZN7rocprim17ROCPRIM_400000_NS6detail17trampoline_kernelINS0_14default_configENS1_27scan_by_key_config_selectorIiiEEZZNS1_16scan_by_key_implILNS1_25lookback_scan_determinismE0ELb1ES3_N6thrust23THRUST_200600_302600_NS6detail15normal_iteratorINS9_10device_ptrIiEEEESE_SE_iNS9_10multipliesIiEENS9_8equal_toIiEEiEE10hipError_tPvRmT2_T3_T4_T5_mT6_T7_P12ihipStream_tbENKUlT_T0_E_clISt17integral_constantIbLb0EESZ_EEDaSU_SV_EUlSU_E_NS1_11comp_targetILNS1_3genE0ELNS1_11target_archE4294967295ELNS1_3gpuE0ELNS1_3repE0EEENS1_30default_config_static_selectorELNS0_4arch9wavefront6targetE0EEEvT1_.kd
    .uniform_work_group_size: 1
    .uses_dynamic_stack: false
    .vgpr_count:     0
    .vgpr_spill_count: 0
    .wavefront_size: 32
    .workgroup_processor_mode: 1
  - .args:
      - .offset:         0
        .size:           112
        .value_kind:     by_value
    .group_segment_fixed_size: 0
    .kernarg_segment_align: 8
    .kernarg_segment_size: 112
    .language:       OpenCL C
    .language_version:
      - 2
      - 0
    .max_flat_workgroup_size: 256
    .name:           _ZN7rocprim17ROCPRIM_400000_NS6detail17trampoline_kernelINS0_14default_configENS1_27scan_by_key_config_selectorIiiEEZZNS1_16scan_by_key_implILNS1_25lookback_scan_determinismE0ELb1ES3_N6thrust23THRUST_200600_302600_NS6detail15normal_iteratorINS9_10device_ptrIiEEEESE_SE_iNS9_10multipliesIiEENS9_8equal_toIiEEiEE10hipError_tPvRmT2_T3_T4_T5_mT6_T7_P12ihipStream_tbENKUlT_T0_E_clISt17integral_constantIbLb0EESZ_EEDaSU_SV_EUlSU_E_NS1_11comp_targetILNS1_3genE10ELNS1_11target_archE1201ELNS1_3gpuE5ELNS1_3repE0EEENS1_30default_config_static_selectorELNS0_4arch9wavefront6targetE0EEEvT1_
    .private_segment_fixed_size: 0
    .sgpr_count:     0
    .sgpr_spill_count: 0
    .symbol:         _ZN7rocprim17ROCPRIM_400000_NS6detail17trampoline_kernelINS0_14default_configENS1_27scan_by_key_config_selectorIiiEEZZNS1_16scan_by_key_implILNS1_25lookback_scan_determinismE0ELb1ES3_N6thrust23THRUST_200600_302600_NS6detail15normal_iteratorINS9_10device_ptrIiEEEESE_SE_iNS9_10multipliesIiEENS9_8equal_toIiEEiEE10hipError_tPvRmT2_T3_T4_T5_mT6_T7_P12ihipStream_tbENKUlT_T0_E_clISt17integral_constantIbLb0EESZ_EEDaSU_SV_EUlSU_E_NS1_11comp_targetILNS1_3genE10ELNS1_11target_archE1201ELNS1_3gpuE5ELNS1_3repE0EEENS1_30default_config_static_selectorELNS0_4arch9wavefront6targetE0EEEvT1_.kd
    .uniform_work_group_size: 1
    .uses_dynamic_stack: false
    .vgpr_count:     0
    .vgpr_spill_count: 0
    .wavefront_size: 32
    .workgroup_processor_mode: 1
  - .args:
      - .offset:         0
        .size:           112
        .value_kind:     by_value
    .group_segment_fixed_size: 0
    .kernarg_segment_align: 8
    .kernarg_segment_size: 112
    .language:       OpenCL C
    .language_version:
      - 2
      - 0
    .max_flat_workgroup_size: 256
    .name:           _ZN7rocprim17ROCPRIM_400000_NS6detail17trampoline_kernelINS0_14default_configENS1_27scan_by_key_config_selectorIiiEEZZNS1_16scan_by_key_implILNS1_25lookback_scan_determinismE0ELb1ES3_N6thrust23THRUST_200600_302600_NS6detail15normal_iteratorINS9_10device_ptrIiEEEESE_SE_iNS9_10multipliesIiEENS9_8equal_toIiEEiEE10hipError_tPvRmT2_T3_T4_T5_mT6_T7_P12ihipStream_tbENKUlT_T0_E_clISt17integral_constantIbLb0EESZ_EEDaSU_SV_EUlSU_E_NS1_11comp_targetILNS1_3genE5ELNS1_11target_archE942ELNS1_3gpuE9ELNS1_3repE0EEENS1_30default_config_static_selectorELNS0_4arch9wavefront6targetE0EEEvT1_
    .private_segment_fixed_size: 0
    .sgpr_count:     0
    .sgpr_spill_count: 0
    .symbol:         _ZN7rocprim17ROCPRIM_400000_NS6detail17trampoline_kernelINS0_14default_configENS1_27scan_by_key_config_selectorIiiEEZZNS1_16scan_by_key_implILNS1_25lookback_scan_determinismE0ELb1ES3_N6thrust23THRUST_200600_302600_NS6detail15normal_iteratorINS9_10device_ptrIiEEEESE_SE_iNS9_10multipliesIiEENS9_8equal_toIiEEiEE10hipError_tPvRmT2_T3_T4_T5_mT6_T7_P12ihipStream_tbENKUlT_T0_E_clISt17integral_constantIbLb0EESZ_EEDaSU_SV_EUlSU_E_NS1_11comp_targetILNS1_3genE5ELNS1_11target_archE942ELNS1_3gpuE9ELNS1_3repE0EEENS1_30default_config_static_selectorELNS0_4arch9wavefront6targetE0EEEvT1_.kd
    .uniform_work_group_size: 1
    .uses_dynamic_stack: false
    .vgpr_count:     0
    .vgpr_spill_count: 0
    .wavefront_size: 32
    .workgroup_processor_mode: 1
  - .args:
      - .offset:         0
        .size:           112
        .value_kind:     by_value
    .group_segment_fixed_size: 0
    .kernarg_segment_align: 8
    .kernarg_segment_size: 112
    .language:       OpenCL C
    .language_version:
      - 2
      - 0
    .max_flat_workgroup_size: 256
    .name:           _ZN7rocprim17ROCPRIM_400000_NS6detail17trampoline_kernelINS0_14default_configENS1_27scan_by_key_config_selectorIiiEEZZNS1_16scan_by_key_implILNS1_25lookback_scan_determinismE0ELb1ES3_N6thrust23THRUST_200600_302600_NS6detail15normal_iteratorINS9_10device_ptrIiEEEESE_SE_iNS9_10multipliesIiEENS9_8equal_toIiEEiEE10hipError_tPvRmT2_T3_T4_T5_mT6_T7_P12ihipStream_tbENKUlT_T0_E_clISt17integral_constantIbLb0EESZ_EEDaSU_SV_EUlSU_E_NS1_11comp_targetILNS1_3genE4ELNS1_11target_archE910ELNS1_3gpuE8ELNS1_3repE0EEENS1_30default_config_static_selectorELNS0_4arch9wavefront6targetE0EEEvT1_
    .private_segment_fixed_size: 0
    .sgpr_count:     0
    .sgpr_spill_count: 0
    .symbol:         _ZN7rocprim17ROCPRIM_400000_NS6detail17trampoline_kernelINS0_14default_configENS1_27scan_by_key_config_selectorIiiEEZZNS1_16scan_by_key_implILNS1_25lookback_scan_determinismE0ELb1ES3_N6thrust23THRUST_200600_302600_NS6detail15normal_iteratorINS9_10device_ptrIiEEEESE_SE_iNS9_10multipliesIiEENS9_8equal_toIiEEiEE10hipError_tPvRmT2_T3_T4_T5_mT6_T7_P12ihipStream_tbENKUlT_T0_E_clISt17integral_constantIbLb0EESZ_EEDaSU_SV_EUlSU_E_NS1_11comp_targetILNS1_3genE4ELNS1_11target_archE910ELNS1_3gpuE8ELNS1_3repE0EEENS1_30default_config_static_selectorELNS0_4arch9wavefront6targetE0EEEvT1_.kd
    .uniform_work_group_size: 1
    .uses_dynamic_stack: false
    .vgpr_count:     0
    .vgpr_spill_count: 0
    .wavefront_size: 32
    .workgroup_processor_mode: 1
  - .args:
      - .offset:         0
        .size:           112
        .value_kind:     by_value
    .group_segment_fixed_size: 0
    .kernarg_segment_align: 8
    .kernarg_segment_size: 112
    .language:       OpenCL C
    .language_version:
      - 2
      - 0
    .max_flat_workgroup_size: 256
    .name:           _ZN7rocprim17ROCPRIM_400000_NS6detail17trampoline_kernelINS0_14default_configENS1_27scan_by_key_config_selectorIiiEEZZNS1_16scan_by_key_implILNS1_25lookback_scan_determinismE0ELb1ES3_N6thrust23THRUST_200600_302600_NS6detail15normal_iteratorINS9_10device_ptrIiEEEESE_SE_iNS9_10multipliesIiEENS9_8equal_toIiEEiEE10hipError_tPvRmT2_T3_T4_T5_mT6_T7_P12ihipStream_tbENKUlT_T0_E_clISt17integral_constantIbLb0EESZ_EEDaSU_SV_EUlSU_E_NS1_11comp_targetILNS1_3genE3ELNS1_11target_archE908ELNS1_3gpuE7ELNS1_3repE0EEENS1_30default_config_static_selectorELNS0_4arch9wavefront6targetE0EEEvT1_
    .private_segment_fixed_size: 0
    .sgpr_count:     0
    .sgpr_spill_count: 0
    .symbol:         _ZN7rocprim17ROCPRIM_400000_NS6detail17trampoline_kernelINS0_14default_configENS1_27scan_by_key_config_selectorIiiEEZZNS1_16scan_by_key_implILNS1_25lookback_scan_determinismE0ELb1ES3_N6thrust23THRUST_200600_302600_NS6detail15normal_iteratorINS9_10device_ptrIiEEEESE_SE_iNS9_10multipliesIiEENS9_8equal_toIiEEiEE10hipError_tPvRmT2_T3_T4_T5_mT6_T7_P12ihipStream_tbENKUlT_T0_E_clISt17integral_constantIbLb0EESZ_EEDaSU_SV_EUlSU_E_NS1_11comp_targetILNS1_3genE3ELNS1_11target_archE908ELNS1_3gpuE7ELNS1_3repE0EEENS1_30default_config_static_selectorELNS0_4arch9wavefront6targetE0EEEvT1_.kd
    .uniform_work_group_size: 1
    .uses_dynamic_stack: false
    .vgpr_count:     0
    .vgpr_spill_count: 0
    .wavefront_size: 32
    .workgroup_processor_mode: 1
  - .args:
      - .offset:         0
        .size:           112
        .value_kind:     by_value
    .group_segment_fixed_size: 0
    .kernarg_segment_align: 8
    .kernarg_segment_size: 112
    .language:       OpenCL C
    .language_version:
      - 2
      - 0
    .max_flat_workgroup_size: 256
    .name:           _ZN7rocprim17ROCPRIM_400000_NS6detail17trampoline_kernelINS0_14default_configENS1_27scan_by_key_config_selectorIiiEEZZNS1_16scan_by_key_implILNS1_25lookback_scan_determinismE0ELb1ES3_N6thrust23THRUST_200600_302600_NS6detail15normal_iteratorINS9_10device_ptrIiEEEESE_SE_iNS9_10multipliesIiEENS9_8equal_toIiEEiEE10hipError_tPvRmT2_T3_T4_T5_mT6_T7_P12ihipStream_tbENKUlT_T0_E_clISt17integral_constantIbLb0EESZ_EEDaSU_SV_EUlSU_E_NS1_11comp_targetILNS1_3genE2ELNS1_11target_archE906ELNS1_3gpuE6ELNS1_3repE0EEENS1_30default_config_static_selectorELNS0_4arch9wavefront6targetE0EEEvT1_
    .private_segment_fixed_size: 0
    .sgpr_count:     0
    .sgpr_spill_count: 0
    .symbol:         _ZN7rocprim17ROCPRIM_400000_NS6detail17trampoline_kernelINS0_14default_configENS1_27scan_by_key_config_selectorIiiEEZZNS1_16scan_by_key_implILNS1_25lookback_scan_determinismE0ELb1ES3_N6thrust23THRUST_200600_302600_NS6detail15normal_iteratorINS9_10device_ptrIiEEEESE_SE_iNS9_10multipliesIiEENS9_8equal_toIiEEiEE10hipError_tPvRmT2_T3_T4_T5_mT6_T7_P12ihipStream_tbENKUlT_T0_E_clISt17integral_constantIbLb0EESZ_EEDaSU_SV_EUlSU_E_NS1_11comp_targetILNS1_3genE2ELNS1_11target_archE906ELNS1_3gpuE6ELNS1_3repE0EEENS1_30default_config_static_selectorELNS0_4arch9wavefront6targetE0EEEvT1_.kd
    .uniform_work_group_size: 1
    .uses_dynamic_stack: false
    .vgpr_count:     0
    .vgpr_spill_count: 0
    .wavefront_size: 32
    .workgroup_processor_mode: 1
  - .args:
      - .offset:         0
        .size:           112
        .value_kind:     by_value
    .group_segment_fixed_size: 0
    .kernarg_segment_align: 8
    .kernarg_segment_size: 112
    .language:       OpenCL C
    .language_version:
      - 2
      - 0
    .max_flat_workgroup_size: 256
    .name:           _ZN7rocprim17ROCPRIM_400000_NS6detail17trampoline_kernelINS0_14default_configENS1_27scan_by_key_config_selectorIiiEEZZNS1_16scan_by_key_implILNS1_25lookback_scan_determinismE0ELb1ES3_N6thrust23THRUST_200600_302600_NS6detail15normal_iteratorINS9_10device_ptrIiEEEESE_SE_iNS9_10multipliesIiEENS9_8equal_toIiEEiEE10hipError_tPvRmT2_T3_T4_T5_mT6_T7_P12ihipStream_tbENKUlT_T0_E_clISt17integral_constantIbLb0EESZ_EEDaSU_SV_EUlSU_E_NS1_11comp_targetILNS1_3genE10ELNS1_11target_archE1200ELNS1_3gpuE4ELNS1_3repE0EEENS1_30default_config_static_selectorELNS0_4arch9wavefront6targetE0EEEvT1_
    .private_segment_fixed_size: 0
    .sgpr_count:     0
    .sgpr_spill_count: 0
    .symbol:         _ZN7rocprim17ROCPRIM_400000_NS6detail17trampoline_kernelINS0_14default_configENS1_27scan_by_key_config_selectorIiiEEZZNS1_16scan_by_key_implILNS1_25lookback_scan_determinismE0ELb1ES3_N6thrust23THRUST_200600_302600_NS6detail15normal_iteratorINS9_10device_ptrIiEEEESE_SE_iNS9_10multipliesIiEENS9_8equal_toIiEEiEE10hipError_tPvRmT2_T3_T4_T5_mT6_T7_P12ihipStream_tbENKUlT_T0_E_clISt17integral_constantIbLb0EESZ_EEDaSU_SV_EUlSU_E_NS1_11comp_targetILNS1_3genE10ELNS1_11target_archE1200ELNS1_3gpuE4ELNS1_3repE0EEENS1_30default_config_static_selectorELNS0_4arch9wavefront6targetE0EEEvT1_.kd
    .uniform_work_group_size: 1
    .uses_dynamic_stack: false
    .vgpr_count:     0
    .vgpr_spill_count: 0
    .wavefront_size: 32
    .workgroup_processor_mode: 1
  - .args:
      - .offset:         0
        .size:           112
        .value_kind:     by_value
    .group_segment_fixed_size: 0
    .kernarg_segment_align: 8
    .kernarg_segment_size: 112
    .language:       OpenCL C
    .language_version:
      - 2
      - 0
    .max_flat_workgroup_size: 256
    .name:           _ZN7rocprim17ROCPRIM_400000_NS6detail17trampoline_kernelINS0_14default_configENS1_27scan_by_key_config_selectorIiiEEZZNS1_16scan_by_key_implILNS1_25lookback_scan_determinismE0ELb1ES3_N6thrust23THRUST_200600_302600_NS6detail15normal_iteratorINS9_10device_ptrIiEEEESE_SE_iNS9_10multipliesIiEENS9_8equal_toIiEEiEE10hipError_tPvRmT2_T3_T4_T5_mT6_T7_P12ihipStream_tbENKUlT_T0_E_clISt17integral_constantIbLb0EESZ_EEDaSU_SV_EUlSU_E_NS1_11comp_targetILNS1_3genE9ELNS1_11target_archE1100ELNS1_3gpuE3ELNS1_3repE0EEENS1_30default_config_static_selectorELNS0_4arch9wavefront6targetE0EEEvT1_
    .private_segment_fixed_size: 0
    .sgpr_count:     0
    .sgpr_spill_count: 0
    .symbol:         _ZN7rocprim17ROCPRIM_400000_NS6detail17trampoline_kernelINS0_14default_configENS1_27scan_by_key_config_selectorIiiEEZZNS1_16scan_by_key_implILNS1_25lookback_scan_determinismE0ELb1ES3_N6thrust23THRUST_200600_302600_NS6detail15normal_iteratorINS9_10device_ptrIiEEEESE_SE_iNS9_10multipliesIiEENS9_8equal_toIiEEiEE10hipError_tPvRmT2_T3_T4_T5_mT6_T7_P12ihipStream_tbENKUlT_T0_E_clISt17integral_constantIbLb0EESZ_EEDaSU_SV_EUlSU_E_NS1_11comp_targetILNS1_3genE9ELNS1_11target_archE1100ELNS1_3gpuE3ELNS1_3repE0EEENS1_30default_config_static_selectorELNS0_4arch9wavefront6targetE0EEEvT1_.kd
    .uniform_work_group_size: 1
    .uses_dynamic_stack: false
    .vgpr_count:     0
    .vgpr_spill_count: 0
    .wavefront_size: 32
    .workgroup_processor_mode: 1
  - .args:
      - .offset:         0
        .size:           112
        .value_kind:     by_value
    .group_segment_fixed_size: 5120
    .kernarg_segment_align: 8
    .kernarg_segment_size: 112
    .language:       OpenCL C
    .language_version:
      - 2
      - 0
    .max_flat_workgroup_size: 256
    .name:           _ZN7rocprim17ROCPRIM_400000_NS6detail17trampoline_kernelINS0_14default_configENS1_27scan_by_key_config_selectorIiiEEZZNS1_16scan_by_key_implILNS1_25lookback_scan_determinismE0ELb1ES3_N6thrust23THRUST_200600_302600_NS6detail15normal_iteratorINS9_10device_ptrIiEEEESE_SE_iNS9_10multipliesIiEENS9_8equal_toIiEEiEE10hipError_tPvRmT2_T3_T4_T5_mT6_T7_P12ihipStream_tbENKUlT_T0_E_clISt17integral_constantIbLb0EESZ_EEDaSU_SV_EUlSU_E_NS1_11comp_targetILNS1_3genE8ELNS1_11target_archE1030ELNS1_3gpuE2ELNS1_3repE0EEENS1_30default_config_static_selectorELNS0_4arch9wavefront6targetE0EEEvT1_
    .private_segment_fixed_size: 0
    .sgpr_count:     32
    .sgpr_spill_count: 0
    .symbol:         _ZN7rocprim17ROCPRIM_400000_NS6detail17trampoline_kernelINS0_14default_configENS1_27scan_by_key_config_selectorIiiEEZZNS1_16scan_by_key_implILNS1_25lookback_scan_determinismE0ELb1ES3_N6thrust23THRUST_200600_302600_NS6detail15normal_iteratorINS9_10device_ptrIiEEEESE_SE_iNS9_10multipliesIiEENS9_8equal_toIiEEiEE10hipError_tPvRmT2_T3_T4_T5_mT6_T7_P12ihipStream_tbENKUlT_T0_E_clISt17integral_constantIbLb0EESZ_EEDaSU_SV_EUlSU_E_NS1_11comp_targetILNS1_3genE8ELNS1_11target_archE1030ELNS1_3gpuE2ELNS1_3repE0EEENS1_30default_config_static_selectorELNS0_4arch9wavefront6targetE0EEEvT1_.kd
    .uniform_work_group_size: 1
    .uses_dynamic_stack: false
    .vgpr_count:     39
    .vgpr_spill_count: 0
    .wavefront_size: 32
    .workgroup_processor_mode: 1
  - .args:
      - .offset:         0
        .size:           112
        .value_kind:     by_value
    .group_segment_fixed_size: 0
    .kernarg_segment_align: 8
    .kernarg_segment_size: 112
    .language:       OpenCL C
    .language_version:
      - 2
      - 0
    .max_flat_workgroup_size: 256
    .name:           _ZN7rocprim17ROCPRIM_400000_NS6detail17trampoline_kernelINS0_14default_configENS1_27scan_by_key_config_selectorIiiEEZZNS1_16scan_by_key_implILNS1_25lookback_scan_determinismE0ELb1ES3_N6thrust23THRUST_200600_302600_NS6detail15normal_iteratorINS9_10device_ptrIiEEEESE_SE_iNS9_10multipliesIiEENS9_8equal_toIiEEiEE10hipError_tPvRmT2_T3_T4_T5_mT6_T7_P12ihipStream_tbENKUlT_T0_E_clISt17integral_constantIbLb1EESZ_EEDaSU_SV_EUlSU_E_NS1_11comp_targetILNS1_3genE0ELNS1_11target_archE4294967295ELNS1_3gpuE0ELNS1_3repE0EEENS1_30default_config_static_selectorELNS0_4arch9wavefront6targetE0EEEvT1_
    .private_segment_fixed_size: 0
    .sgpr_count:     0
    .sgpr_spill_count: 0
    .symbol:         _ZN7rocprim17ROCPRIM_400000_NS6detail17trampoline_kernelINS0_14default_configENS1_27scan_by_key_config_selectorIiiEEZZNS1_16scan_by_key_implILNS1_25lookback_scan_determinismE0ELb1ES3_N6thrust23THRUST_200600_302600_NS6detail15normal_iteratorINS9_10device_ptrIiEEEESE_SE_iNS9_10multipliesIiEENS9_8equal_toIiEEiEE10hipError_tPvRmT2_T3_T4_T5_mT6_T7_P12ihipStream_tbENKUlT_T0_E_clISt17integral_constantIbLb1EESZ_EEDaSU_SV_EUlSU_E_NS1_11comp_targetILNS1_3genE0ELNS1_11target_archE4294967295ELNS1_3gpuE0ELNS1_3repE0EEENS1_30default_config_static_selectorELNS0_4arch9wavefront6targetE0EEEvT1_.kd
    .uniform_work_group_size: 1
    .uses_dynamic_stack: false
    .vgpr_count:     0
    .vgpr_spill_count: 0
    .wavefront_size: 32
    .workgroup_processor_mode: 1
  - .args:
      - .offset:         0
        .size:           112
        .value_kind:     by_value
    .group_segment_fixed_size: 0
    .kernarg_segment_align: 8
    .kernarg_segment_size: 112
    .language:       OpenCL C
    .language_version:
      - 2
      - 0
    .max_flat_workgroup_size: 256
    .name:           _ZN7rocprim17ROCPRIM_400000_NS6detail17trampoline_kernelINS0_14default_configENS1_27scan_by_key_config_selectorIiiEEZZNS1_16scan_by_key_implILNS1_25lookback_scan_determinismE0ELb1ES3_N6thrust23THRUST_200600_302600_NS6detail15normal_iteratorINS9_10device_ptrIiEEEESE_SE_iNS9_10multipliesIiEENS9_8equal_toIiEEiEE10hipError_tPvRmT2_T3_T4_T5_mT6_T7_P12ihipStream_tbENKUlT_T0_E_clISt17integral_constantIbLb1EESZ_EEDaSU_SV_EUlSU_E_NS1_11comp_targetILNS1_3genE10ELNS1_11target_archE1201ELNS1_3gpuE5ELNS1_3repE0EEENS1_30default_config_static_selectorELNS0_4arch9wavefront6targetE0EEEvT1_
    .private_segment_fixed_size: 0
    .sgpr_count:     0
    .sgpr_spill_count: 0
    .symbol:         _ZN7rocprim17ROCPRIM_400000_NS6detail17trampoline_kernelINS0_14default_configENS1_27scan_by_key_config_selectorIiiEEZZNS1_16scan_by_key_implILNS1_25lookback_scan_determinismE0ELb1ES3_N6thrust23THRUST_200600_302600_NS6detail15normal_iteratorINS9_10device_ptrIiEEEESE_SE_iNS9_10multipliesIiEENS9_8equal_toIiEEiEE10hipError_tPvRmT2_T3_T4_T5_mT6_T7_P12ihipStream_tbENKUlT_T0_E_clISt17integral_constantIbLb1EESZ_EEDaSU_SV_EUlSU_E_NS1_11comp_targetILNS1_3genE10ELNS1_11target_archE1201ELNS1_3gpuE5ELNS1_3repE0EEENS1_30default_config_static_selectorELNS0_4arch9wavefront6targetE0EEEvT1_.kd
    .uniform_work_group_size: 1
    .uses_dynamic_stack: false
    .vgpr_count:     0
    .vgpr_spill_count: 0
    .wavefront_size: 32
    .workgroup_processor_mode: 1
  - .args:
      - .offset:         0
        .size:           112
        .value_kind:     by_value
    .group_segment_fixed_size: 0
    .kernarg_segment_align: 8
    .kernarg_segment_size: 112
    .language:       OpenCL C
    .language_version:
      - 2
      - 0
    .max_flat_workgroup_size: 256
    .name:           _ZN7rocprim17ROCPRIM_400000_NS6detail17trampoline_kernelINS0_14default_configENS1_27scan_by_key_config_selectorIiiEEZZNS1_16scan_by_key_implILNS1_25lookback_scan_determinismE0ELb1ES3_N6thrust23THRUST_200600_302600_NS6detail15normal_iteratorINS9_10device_ptrIiEEEESE_SE_iNS9_10multipliesIiEENS9_8equal_toIiEEiEE10hipError_tPvRmT2_T3_T4_T5_mT6_T7_P12ihipStream_tbENKUlT_T0_E_clISt17integral_constantIbLb1EESZ_EEDaSU_SV_EUlSU_E_NS1_11comp_targetILNS1_3genE5ELNS1_11target_archE942ELNS1_3gpuE9ELNS1_3repE0EEENS1_30default_config_static_selectorELNS0_4arch9wavefront6targetE0EEEvT1_
    .private_segment_fixed_size: 0
    .sgpr_count:     0
    .sgpr_spill_count: 0
    .symbol:         _ZN7rocprim17ROCPRIM_400000_NS6detail17trampoline_kernelINS0_14default_configENS1_27scan_by_key_config_selectorIiiEEZZNS1_16scan_by_key_implILNS1_25lookback_scan_determinismE0ELb1ES3_N6thrust23THRUST_200600_302600_NS6detail15normal_iteratorINS9_10device_ptrIiEEEESE_SE_iNS9_10multipliesIiEENS9_8equal_toIiEEiEE10hipError_tPvRmT2_T3_T4_T5_mT6_T7_P12ihipStream_tbENKUlT_T0_E_clISt17integral_constantIbLb1EESZ_EEDaSU_SV_EUlSU_E_NS1_11comp_targetILNS1_3genE5ELNS1_11target_archE942ELNS1_3gpuE9ELNS1_3repE0EEENS1_30default_config_static_selectorELNS0_4arch9wavefront6targetE0EEEvT1_.kd
    .uniform_work_group_size: 1
    .uses_dynamic_stack: false
    .vgpr_count:     0
    .vgpr_spill_count: 0
    .wavefront_size: 32
    .workgroup_processor_mode: 1
  - .args:
      - .offset:         0
        .size:           112
        .value_kind:     by_value
    .group_segment_fixed_size: 0
    .kernarg_segment_align: 8
    .kernarg_segment_size: 112
    .language:       OpenCL C
    .language_version:
      - 2
      - 0
    .max_flat_workgroup_size: 256
    .name:           _ZN7rocprim17ROCPRIM_400000_NS6detail17trampoline_kernelINS0_14default_configENS1_27scan_by_key_config_selectorIiiEEZZNS1_16scan_by_key_implILNS1_25lookback_scan_determinismE0ELb1ES3_N6thrust23THRUST_200600_302600_NS6detail15normal_iteratorINS9_10device_ptrIiEEEESE_SE_iNS9_10multipliesIiEENS9_8equal_toIiEEiEE10hipError_tPvRmT2_T3_T4_T5_mT6_T7_P12ihipStream_tbENKUlT_T0_E_clISt17integral_constantIbLb1EESZ_EEDaSU_SV_EUlSU_E_NS1_11comp_targetILNS1_3genE4ELNS1_11target_archE910ELNS1_3gpuE8ELNS1_3repE0EEENS1_30default_config_static_selectorELNS0_4arch9wavefront6targetE0EEEvT1_
    .private_segment_fixed_size: 0
    .sgpr_count:     0
    .sgpr_spill_count: 0
    .symbol:         _ZN7rocprim17ROCPRIM_400000_NS6detail17trampoline_kernelINS0_14default_configENS1_27scan_by_key_config_selectorIiiEEZZNS1_16scan_by_key_implILNS1_25lookback_scan_determinismE0ELb1ES3_N6thrust23THRUST_200600_302600_NS6detail15normal_iteratorINS9_10device_ptrIiEEEESE_SE_iNS9_10multipliesIiEENS9_8equal_toIiEEiEE10hipError_tPvRmT2_T3_T4_T5_mT6_T7_P12ihipStream_tbENKUlT_T0_E_clISt17integral_constantIbLb1EESZ_EEDaSU_SV_EUlSU_E_NS1_11comp_targetILNS1_3genE4ELNS1_11target_archE910ELNS1_3gpuE8ELNS1_3repE0EEENS1_30default_config_static_selectorELNS0_4arch9wavefront6targetE0EEEvT1_.kd
    .uniform_work_group_size: 1
    .uses_dynamic_stack: false
    .vgpr_count:     0
    .vgpr_spill_count: 0
    .wavefront_size: 32
    .workgroup_processor_mode: 1
  - .args:
      - .offset:         0
        .size:           112
        .value_kind:     by_value
    .group_segment_fixed_size: 0
    .kernarg_segment_align: 8
    .kernarg_segment_size: 112
    .language:       OpenCL C
    .language_version:
      - 2
      - 0
    .max_flat_workgroup_size: 256
    .name:           _ZN7rocprim17ROCPRIM_400000_NS6detail17trampoline_kernelINS0_14default_configENS1_27scan_by_key_config_selectorIiiEEZZNS1_16scan_by_key_implILNS1_25lookback_scan_determinismE0ELb1ES3_N6thrust23THRUST_200600_302600_NS6detail15normal_iteratorINS9_10device_ptrIiEEEESE_SE_iNS9_10multipliesIiEENS9_8equal_toIiEEiEE10hipError_tPvRmT2_T3_T4_T5_mT6_T7_P12ihipStream_tbENKUlT_T0_E_clISt17integral_constantIbLb1EESZ_EEDaSU_SV_EUlSU_E_NS1_11comp_targetILNS1_3genE3ELNS1_11target_archE908ELNS1_3gpuE7ELNS1_3repE0EEENS1_30default_config_static_selectorELNS0_4arch9wavefront6targetE0EEEvT1_
    .private_segment_fixed_size: 0
    .sgpr_count:     0
    .sgpr_spill_count: 0
    .symbol:         _ZN7rocprim17ROCPRIM_400000_NS6detail17trampoline_kernelINS0_14default_configENS1_27scan_by_key_config_selectorIiiEEZZNS1_16scan_by_key_implILNS1_25lookback_scan_determinismE0ELb1ES3_N6thrust23THRUST_200600_302600_NS6detail15normal_iteratorINS9_10device_ptrIiEEEESE_SE_iNS9_10multipliesIiEENS9_8equal_toIiEEiEE10hipError_tPvRmT2_T3_T4_T5_mT6_T7_P12ihipStream_tbENKUlT_T0_E_clISt17integral_constantIbLb1EESZ_EEDaSU_SV_EUlSU_E_NS1_11comp_targetILNS1_3genE3ELNS1_11target_archE908ELNS1_3gpuE7ELNS1_3repE0EEENS1_30default_config_static_selectorELNS0_4arch9wavefront6targetE0EEEvT1_.kd
    .uniform_work_group_size: 1
    .uses_dynamic_stack: false
    .vgpr_count:     0
    .vgpr_spill_count: 0
    .wavefront_size: 32
    .workgroup_processor_mode: 1
  - .args:
      - .offset:         0
        .size:           112
        .value_kind:     by_value
    .group_segment_fixed_size: 0
    .kernarg_segment_align: 8
    .kernarg_segment_size: 112
    .language:       OpenCL C
    .language_version:
      - 2
      - 0
    .max_flat_workgroup_size: 256
    .name:           _ZN7rocprim17ROCPRIM_400000_NS6detail17trampoline_kernelINS0_14default_configENS1_27scan_by_key_config_selectorIiiEEZZNS1_16scan_by_key_implILNS1_25lookback_scan_determinismE0ELb1ES3_N6thrust23THRUST_200600_302600_NS6detail15normal_iteratorINS9_10device_ptrIiEEEESE_SE_iNS9_10multipliesIiEENS9_8equal_toIiEEiEE10hipError_tPvRmT2_T3_T4_T5_mT6_T7_P12ihipStream_tbENKUlT_T0_E_clISt17integral_constantIbLb1EESZ_EEDaSU_SV_EUlSU_E_NS1_11comp_targetILNS1_3genE2ELNS1_11target_archE906ELNS1_3gpuE6ELNS1_3repE0EEENS1_30default_config_static_selectorELNS0_4arch9wavefront6targetE0EEEvT1_
    .private_segment_fixed_size: 0
    .sgpr_count:     0
    .sgpr_spill_count: 0
    .symbol:         _ZN7rocprim17ROCPRIM_400000_NS6detail17trampoline_kernelINS0_14default_configENS1_27scan_by_key_config_selectorIiiEEZZNS1_16scan_by_key_implILNS1_25lookback_scan_determinismE0ELb1ES3_N6thrust23THRUST_200600_302600_NS6detail15normal_iteratorINS9_10device_ptrIiEEEESE_SE_iNS9_10multipliesIiEENS9_8equal_toIiEEiEE10hipError_tPvRmT2_T3_T4_T5_mT6_T7_P12ihipStream_tbENKUlT_T0_E_clISt17integral_constantIbLb1EESZ_EEDaSU_SV_EUlSU_E_NS1_11comp_targetILNS1_3genE2ELNS1_11target_archE906ELNS1_3gpuE6ELNS1_3repE0EEENS1_30default_config_static_selectorELNS0_4arch9wavefront6targetE0EEEvT1_.kd
    .uniform_work_group_size: 1
    .uses_dynamic_stack: false
    .vgpr_count:     0
    .vgpr_spill_count: 0
    .wavefront_size: 32
    .workgroup_processor_mode: 1
  - .args:
      - .offset:         0
        .size:           112
        .value_kind:     by_value
    .group_segment_fixed_size: 0
    .kernarg_segment_align: 8
    .kernarg_segment_size: 112
    .language:       OpenCL C
    .language_version:
      - 2
      - 0
    .max_flat_workgroup_size: 256
    .name:           _ZN7rocprim17ROCPRIM_400000_NS6detail17trampoline_kernelINS0_14default_configENS1_27scan_by_key_config_selectorIiiEEZZNS1_16scan_by_key_implILNS1_25lookback_scan_determinismE0ELb1ES3_N6thrust23THRUST_200600_302600_NS6detail15normal_iteratorINS9_10device_ptrIiEEEESE_SE_iNS9_10multipliesIiEENS9_8equal_toIiEEiEE10hipError_tPvRmT2_T3_T4_T5_mT6_T7_P12ihipStream_tbENKUlT_T0_E_clISt17integral_constantIbLb1EESZ_EEDaSU_SV_EUlSU_E_NS1_11comp_targetILNS1_3genE10ELNS1_11target_archE1200ELNS1_3gpuE4ELNS1_3repE0EEENS1_30default_config_static_selectorELNS0_4arch9wavefront6targetE0EEEvT1_
    .private_segment_fixed_size: 0
    .sgpr_count:     0
    .sgpr_spill_count: 0
    .symbol:         _ZN7rocprim17ROCPRIM_400000_NS6detail17trampoline_kernelINS0_14default_configENS1_27scan_by_key_config_selectorIiiEEZZNS1_16scan_by_key_implILNS1_25lookback_scan_determinismE0ELb1ES3_N6thrust23THRUST_200600_302600_NS6detail15normal_iteratorINS9_10device_ptrIiEEEESE_SE_iNS9_10multipliesIiEENS9_8equal_toIiEEiEE10hipError_tPvRmT2_T3_T4_T5_mT6_T7_P12ihipStream_tbENKUlT_T0_E_clISt17integral_constantIbLb1EESZ_EEDaSU_SV_EUlSU_E_NS1_11comp_targetILNS1_3genE10ELNS1_11target_archE1200ELNS1_3gpuE4ELNS1_3repE0EEENS1_30default_config_static_selectorELNS0_4arch9wavefront6targetE0EEEvT1_.kd
    .uniform_work_group_size: 1
    .uses_dynamic_stack: false
    .vgpr_count:     0
    .vgpr_spill_count: 0
    .wavefront_size: 32
    .workgroup_processor_mode: 1
  - .args:
      - .offset:         0
        .size:           112
        .value_kind:     by_value
    .group_segment_fixed_size: 0
    .kernarg_segment_align: 8
    .kernarg_segment_size: 112
    .language:       OpenCL C
    .language_version:
      - 2
      - 0
    .max_flat_workgroup_size: 256
    .name:           _ZN7rocprim17ROCPRIM_400000_NS6detail17trampoline_kernelINS0_14default_configENS1_27scan_by_key_config_selectorIiiEEZZNS1_16scan_by_key_implILNS1_25lookback_scan_determinismE0ELb1ES3_N6thrust23THRUST_200600_302600_NS6detail15normal_iteratorINS9_10device_ptrIiEEEESE_SE_iNS9_10multipliesIiEENS9_8equal_toIiEEiEE10hipError_tPvRmT2_T3_T4_T5_mT6_T7_P12ihipStream_tbENKUlT_T0_E_clISt17integral_constantIbLb1EESZ_EEDaSU_SV_EUlSU_E_NS1_11comp_targetILNS1_3genE9ELNS1_11target_archE1100ELNS1_3gpuE3ELNS1_3repE0EEENS1_30default_config_static_selectorELNS0_4arch9wavefront6targetE0EEEvT1_
    .private_segment_fixed_size: 0
    .sgpr_count:     0
    .sgpr_spill_count: 0
    .symbol:         _ZN7rocprim17ROCPRIM_400000_NS6detail17trampoline_kernelINS0_14default_configENS1_27scan_by_key_config_selectorIiiEEZZNS1_16scan_by_key_implILNS1_25lookback_scan_determinismE0ELb1ES3_N6thrust23THRUST_200600_302600_NS6detail15normal_iteratorINS9_10device_ptrIiEEEESE_SE_iNS9_10multipliesIiEENS9_8equal_toIiEEiEE10hipError_tPvRmT2_T3_T4_T5_mT6_T7_P12ihipStream_tbENKUlT_T0_E_clISt17integral_constantIbLb1EESZ_EEDaSU_SV_EUlSU_E_NS1_11comp_targetILNS1_3genE9ELNS1_11target_archE1100ELNS1_3gpuE3ELNS1_3repE0EEENS1_30default_config_static_selectorELNS0_4arch9wavefront6targetE0EEEvT1_.kd
    .uniform_work_group_size: 1
    .uses_dynamic_stack: false
    .vgpr_count:     0
    .vgpr_spill_count: 0
    .wavefront_size: 32
    .workgroup_processor_mode: 1
  - .args:
      - .offset:         0
        .size:           112
        .value_kind:     by_value
    .group_segment_fixed_size: 0
    .kernarg_segment_align: 8
    .kernarg_segment_size: 112
    .language:       OpenCL C
    .language_version:
      - 2
      - 0
    .max_flat_workgroup_size: 256
    .name:           _ZN7rocprim17ROCPRIM_400000_NS6detail17trampoline_kernelINS0_14default_configENS1_27scan_by_key_config_selectorIiiEEZZNS1_16scan_by_key_implILNS1_25lookback_scan_determinismE0ELb1ES3_N6thrust23THRUST_200600_302600_NS6detail15normal_iteratorINS9_10device_ptrIiEEEESE_SE_iNS9_10multipliesIiEENS9_8equal_toIiEEiEE10hipError_tPvRmT2_T3_T4_T5_mT6_T7_P12ihipStream_tbENKUlT_T0_E_clISt17integral_constantIbLb1EESZ_EEDaSU_SV_EUlSU_E_NS1_11comp_targetILNS1_3genE8ELNS1_11target_archE1030ELNS1_3gpuE2ELNS1_3repE0EEENS1_30default_config_static_selectorELNS0_4arch9wavefront6targetE0EEEvT1_
    .private_segment_fixed_size: 0
    .sgpr_count:     0
    .sgpr_spill_count: 0
    .symbol:         _ZN7rocprim17ROCPRIM_400000_NS6detail17trampoline_kernelINS0_14default_configENS1_27scan_by_key_config_selectorIiiEEZZNS1_16scan_by_key_implILNS1_25lookback_scan_determinismE0ELb1ES3_N6thrust23THRUST_200600_302600_NS6detail15normal_iteratorINS9_10device_ptrIiEEEESE_SE_iNS9_10multipliesIiEENS9_8equal_toIiEEiEE10hipError_tPvRmT2_T3_T4_T5_mT6_T7_P12ihipStream_tbENKUlT_T0_E_clISt17integral_constantIbLb1EESZ_EEDaSU_SV_EUlSU_E_NS1_11comp_targetILNS1_3genE8ELNS1_11target_archE1030ELNS1_3gpuE2ELNS1_3repE0EEENS1_30default_config_static_selectorELNS0_4arch9wavefront6targetE0EEEvT1_.kd
    .uniform_work_group_size: 1
    .uses_dynamic_stack: false
    .vgpr_count:     0
    .vgpr_spill_count: 0
    .wavefront_size: 32
    .workgroup_processor_mode: 1
  - .args:
      - .offset:         0
        .size:           112
        .value_kind:     by_value
    .group_segment_fixed_size: 0
    .kernarg_segment_align: 8
    .kernarg_segment_size: 112
    .language:       OpenCL C
    .language_version:
      - 2
      - 0
    .max_flat_workgroup_size: 256
    .name:           _ZN7rocprim17ROCPRIM_400000_NS6detail17trampoline_kernelINS0_14default_configENS1_27scan_by_key_config_selectorIiiEEZZNS1_16scan_by_key_implILNS1_25lookback_scan_determinismE0ELb1ES3_N6thrust23THRUST_200600_302600_NS6detail15normal_iteratorINS9_10device_ptrIiEEEESE_SE_iNS9_10multipliesIiEENS9_8equal_toIiEEiEE10hipError_tPvRmT2_T3_T4_T5_mT6_T7_P12ihipStream_tbENKUlT_T0_E_clISt17integral_constantIbLb1EESY_IbLb0EEEEDaSU_SV_EUlSU_E_NS1_11comp_targetILNS1_3genE0ELNS1_11target_archE4294967295ELNS1_3gpuE0ELNS1_3repE0EEENS1_30default_config_static_selectorELNS0_4arch9wavefront6targetE0EEEvT1_
    .private_segment_fixed_size: 0
    .sgpr_count:     0
    .sgpr_spill_count: 0
    .symbol:         _ZN7rocprim17ROCPRIM_400000_NS6detail17trampoline_kernelINS0_14default_configENS1_27scan_by_key_config_selectorIiiEEZZNS1_16scan_by_key_implILNS1_25lookback_scan_determinismE0ELb1ES3_N6thrust23THRUST_200600_302600_NS6detail15normal_iteratorINS9_10device_ptrIiEEEESE_SE_iNS9_10multipliesIiEENS9_8equal_toIiEEiEE10hipError_tPvRmT2_T3_T4_T5_mT6_T7_P12ihipStream_tbENKUlT_T0_E_clISt17integral_constantIbLb1EESY_IbLb0EEEEDaSU_SV_EUlSU_E_NS1_11comp_targetILNS1_3genE0ELNS1_11target_archE4294967295ELNS1_3gpuE0ELNS1_3repE0EEENS1_30default_config_static_selectorELNS0_4arch9wavefront6targetE0EEEvT1_.kd
    .uniform_work_group_size: 1
    .uses_dynamic_stack: false
    .vgpr_count:     0
    .vgpr_spill_count: 0
    .wavefront_size: 32
    .workgroup_processor_mode: 1
  - .args:
      - .offset:         0
        .size:           112
        .value_kind:     by_value
    .group_segment_fixed_size: 0
    .kernarg_segment_align: 8
    .kernarg_segment_size: 112
    .language:       OpenCL C
    .language_version:
      - 2
      - 0
    .max_flat_workgroup_size: 256
    .name:           _ZN7rocprim17ROCPRIM_400000_NS6detail17trampoline_kernelINS0_14default_configENS1_27scan_by_key_config_selectorIiiEEZZNS1_16scan_by_key_implILNS1_25lookback_scan_determinismE0ELb1ES3_N6thrust23THRUST_200600_302600_NS6detail15normal_iteratorINS9_10device_ptrIiEEEESE_SE_iNS9_10multipliesIiEENS9_8equal_toIiEEiEE10hipError_tPvRmT2_T3_T4_T5_mT6_T7_P12ihipStream_tbENKUlT_T0_E_clISt17integral_constantIbLb1EESY_IbLb0EEEEDaSU_SV_EUlSU_E_NS1_11comp_targetILNS1_3genE10ELNS1_11target_archE1201ELNS1_3gpuE5ELNS1_3repE0EEENS1_30default_config_static_selectorELNS0_4arch9wavefront6targetE0EEEvT1_
    .private_segment_fixed_size: 0
    .sgpr_count:     0
    .sgpr_spill_count: 0
    .symbol:         _ZN7rocprim17ROCPRIM_400000_NS6detail17trampoline_kernelINS0_14default_configENS1_27scan_by_key_config_selectorIiiEEZZNS1_16scan_by_key_implILNS1_25lookback_scan_determinismE0ELb1ES3_N6thrust23THRUST_200600_302600_NS6detail15normal_iteratorINS9_10device_ptrIiEEEESE_SE_iNS9_10multipliesIiEENS9_8equal_toIiEEiEE10hipError_tPvRmT2_T3_T4_T5_mT6_T7_P12ihipStream_tbENKUlT_T0_E_clISt17integral_constantIbLb1EESY_IbLb0EEEEDaSU_SV_EUlSU_E_NS1_11comp_targetILNS1_3genE10ELNS1_11target_archE1201ELNS1_3gpuE5ELNS1_3repE0EEENS1_30default_config_static_selectorELNS0_4arch9wavefront6targetE0EEEvT1_.kd
    .uniform_work_group_size: 1
    .uses_dynamic_stack: false
    .vgpr_count:     0
    .vgpr_spill_count: 0
    .wavefront_size: 32
    .workgroup_processor_mode: 1
  - .args:
      - .offset:         0
        .size:           112
        .value_kind:     by_value
    .group_segment_fixed_size: 0
    .kernarg_segment_align: 8
    .kernarg_segment_size: 112
    .language:       OpenCL C
    .language_version:
      - 2
      - 0
    .max_flat_workgroup_size: 256
    .name:           _ZN7rocprim17ROCPRIM_400000_NS6detail17trampoline_kernelINS0_14default_configENS1_27scan_by_key_config_selectorIiiEEZZNS1_16scan_by_key_implILNS1_25lookback_scan_determinismE0ELb1ES3_N6thrust23THRUST_200600_302600_NS6detail15normal_iteratorINS9_10device_ptrIiEEEESE_SE_iNS9_10multipliesIiEENS9_8equal_toIiEEiEE10hipError_tPvRmT2_T3_T4_T5_mT6_T7_P12ihipStream_tbENKUlT_T0_E_clISt17integral_constantIbLb1EESY_IbLb0EEEEDaSU_SV_EUlSU_E_NS1_11comp_targetILNS1_3genE5ELNS1_11target_archE942ELNS1_3gpuE9ELNS1_3repE0EEENS1_30default_config_static_selectorELNS0_4arch9wavefront6targetE0EEEvT1_
    .private_segment_fixed_size: 0
    .sgpr_count:     0
    .sgpr_spill_count: 0
    .symbol:         _ZN7rocprim17ROCPRIM_400000_NS6detail17trampoline_kernelINS0_14default_configENS1_27scan_by_key_config_selectorIiiEEZZNS1_16scan_by_key_implILNS1_25lookback_scan_determinismE0ELb1ES3_N6thrust23THRUST_200600_302600_NS6detail15normal_iteratorINS9_10device_ptrIiEEEESE_SE_iNS9_10multipliesIiEENS9_8equal_toIiEEiEE10hipError_tPvRmT2_T3_T4_T5_mT6_T7_P12ihipStream_tbENKUlT_T0_E_clISt17integral_constantIbLb1EESY_IbLb0EEEEDaSU_SV_EUlSU_E_NS1_11comp_targetILNS1_3genE5ELNS1_11target_archE942ELNS1_3gpuE9ELNS1_3repE0EEENS1_30default_config_static_selectorELNS0_4arch9wavefront6targetE0EEEvT1_.kd
    .uniform_work_group_size: 1
    .uses_dynamic_stack: false
    .vgpr_count:     0
    .vgpr_spill_count: 0
    .wavefront_size: 32
    .workgroup_processor_mode: 1
  - .args:
      - .offset:         0
        .size:           112
        .value_kind:     by_value
    .group_segment_fixed_size: 0
    .kernarg_segment_align: 8
    .kernarg_segment_size: 112
    .language:       OpenCL C
    .language_version:
      - 2
      - 0
    .max_flat_workgroup_size: 256
    .name:           _ZN7rocprim17ROCPRIM_400000_NS6detail17trampoline_kernelINS0_14default_configENS1_27scan_by_key_config_selectorIiiEEZZNS1_16scan_by_key_implILNS1_25lookback_scan_determinismE0ELb1ES3_N6thrust23THRUST_200600_302600_NS6detail15normal_iteratorINS9_10device_ptrIiEEEESE_SE_iNS9_10multipliesIiEENS9_8equal_toIiEEiEE10hipError_tPvRmT2_T3_T4_T5_mT6_T7_P12ihipStream_tbENKUlT_T0_E_clISt17integral_constantIbLb1EESY_IbLb0EEEEDaSU_SV_EUlSU_E_NS1_11comp_targetILNS1_3genE4ELNS1_11target_archE910ELNS1_3gpuE8ELNS1_3repE0EEENS1_30default_config_static_selectorELNS0_4arch9wavefront6targetE0EEEvT1_
    .private_segment_fixed_size: 0
    .sgpr_count:     0
    .sgpr_spill_count: 0
    .symbol:         _ZN7rocprim17ROCPRIM_400000_NS6detail17trampoline_kernelINS0_14default_configENS1_27scan_by_key_config_selectorIiiEEZZNS1_16scan_by_key_implILNS1_25lookback_scan_determinismE0ELb1ES3_N6thrust23THRUST_200600_302600_NS6detail15normal_iteratorINS9_10device_ptrIiEEEESE_SE_iNS9_10multipliesIiEENS9_8equal_toIiEEiEE10hipError_tPvRmT2_T3_T4_T5_mT6_T7_P12ihipStream_tbENKUlT_T0_E_clISt17integral_constantIbLb1EESY_IbLb0EEEEDaSU_SV_EUlSU_E_NS1_11comp_targetILNS1_3genE4ELNS1_11target_archE910ELNS1_3gpuE8ELNS1_3repE0EEENS1_30default_config_static_selectorELNS0_4arch9wavefront6targetE0EEEvT1_.kd
    .uniform_work_group_size: 1
    .uses_dynamic_stack: false
    .vgpr_count:     0
    .vgpr_spill_count: 0
    .wavefront_size: 32
    .workgroup_processor_mode: 1
  - .args:
      - .offset:         0
        .size:           112
        .value_kind:     by_value
    .group_segment_fixed_size: 0
    .kernarg_segment_align: 8
    .kernarg_segment_size: 112
    .language:       OpenCL C
    .language_version:
      - 2
      - 0
    .max_flat_workgroup_size: 256
    .name:           _ZN7rocprim17ROCPRIM_400000_NS6detail17trampoline_kernelINS0_14default_configENS1_27scan_by_key_config_selectorIiiEEZZNS1_16scan_by_key_implILNS1_25lookback_scan_determinismE0ELb1ES3_N6thrust23THRUST_200600_302600_NS6detail15normal_iteratorINS9_10device_ptrIiEEEESE_SE_iNS9_10multipliesIiEENS9_8equal_toIiEEiEE10hipError_tPvRmT2_T3_T4_T5_mT6_T7_P12ihipStream_tbENKUlT_T0_E_clISt17integral_constantIbLb1EESY_IbLb0EEEEDaSU_SV_EUlSU_E_NS1_11comp_targetILNS1_3genE3ELNS1_11target_archE908ELNS1_3gpuE7ELNS1_3repE0EEENS1_30default_config_static_selectorELNS0_4arch9wavefront6targetE0EEEvT1_
    .private_segment_fixed_size: 0
    .sgpr_count:     0
    .sgpr_spill_count: 0
    .symbol:         _ZN7rocprim17ROCPRIM_400000_NS6detail17trampoline_kernelINS0_14default_configENS1_27scan_by_key_config_selectorIiiEEZZNS1_16scan_by_key_implILNS1_25lookback_scan_determinismE0ELb1ES3_N6thrust23THRUST_200600_302600_NS6detail15normal_iteratorINS9_10device_ptrIiEEEESE_SE_iNS9_10multipliesIiEENS9_8equal_toIiEEiEE10hipError_tPvRmT2_T3_T4_T5_mT6_T7_P12ihipStream_tbENKUlT_T0_E_clISt17integral_constantIbLb1EESY_IbLb0EEEEDaSU_SV_EUlSU_E_NS1_11comp_targetILNS1_3genE3ELNS1_11target_archE908ELNS1_3gpuE7ELNS1_3repE0EEENS1_30default_config_static_selectorELNS0_4arch9wavefront6targetE0EEEvT1_.kd
    .uniform_work_group_size: 1
    .uses_dynamic_stack: false
    .vgpr_count:     0
    .vgpr_spill_count: 0
    .wavefront_size: 32
    .workgroup_processor_mode: 1
  - .args:
      - .offset:         0
        .size:           112
        .value_kind:     by_value
    .group_segment_fixed_size: 0
    .kernarg_segment_align: 8
    .kernarg_segment_size: 112
    .language:       OpenCL C
    .language_version:
      - 2
      - 0
    .max_flat_workgroup_size: 256
    .name:           _ZN7rocprim17ROCPRIM_400000_NS6detail17trampoline_kernelINS0_14default_configENS1_27scan_by_key_config_selectorIiiEEZZNS1_16scan_by_key_implILNS1_25lookback_scan_determinismE0ELb1ES3_N6thrust23THRUST_200600_302600_NS6detail15normal_iteratorINS9_10device_ptrIiEEEESE_SE_iNS9_10multipliesIiEENS9_8equal_toIiEEiEE10hipError_tPvRmT2_T3_T4_T5_mT6_T7_P12ihipStream_tbENKUlT_T0_E_clISt17integral_constantIbLb1EESY_IbLb0EEEEDaSU_SV_EUlSU_E_NS1_11comp_targetILNS1_3genE2ELNS1_11target_archE906ELNS1_3gpuE6ELNS1_3repE0EEENS1_30default_config_static_selectorELNS0_4arch9wavefront6targetE0EEEvT1_
    .private_segment_fixed_size: 0
    .sgpr_count:     0
    .sgpr_spill_count: 0
    .symbol:         _ZN7rocprim17ROCPRIM_400000_NS6detail17trampoline_kernelINS0_14default_configENS1_27scan_by_key_config_selectorIiiEEZZNS1_16scan_by_key_implILNS1_25lookback_scan_determinismE0ELb1ES3_N6thrust23THRUST_200600_302600_NS6detail15normal_iteratorINS9_10device_ptrIiEEEESE_SE_iNS9_10multipliesIiEENS9_8equal_toIiEEiEE10hipError_tPvRmT2_T3_T4_T5_mT6_T7_P12ihipStream_tbENKUlT_T0_E_clISt17integral_constantIbLb1EESY_IbLb0EEEEDaSU_SV_EUlSU_E_NS1_11comp_targetILNS1_3genE2ELNS1_11target_archE906ELNS1_3gpuE6ELNS1_3repE0EEENS1_30default_config_static_selectorELNS0_4arch9wavefront6targetE0EEEvT1_.kd
    .uniform_work_group_size: 1
    .uses_dynamic_stack: false
    .vgpr_count:     0
    .vgpr_spill_count: 0
    .wavefront_size: 32
    .workgroup_processor_mode: 1
  - .args:
      - .offset:         0
        .size:           112
        .value_kind:     by_value
    .group_segment_fixed_size: 0
    .kernarg_segment_align: 8
    .kernarg_segment_size: 112
    .language:       OpenCL C
    .language_version:
      - 2
      - 0
    .max_flat_workgroup_size: 256
    .name:           _ZN7rocprim17ROCPRIM_400000_NS6detail17trampoline_kernelINS0_14default_configENS1_27scan_by_key_config_selectorIiiEEZZNS1_16scan_by_key_implILNS1_25lookback_scan_determinismE0ELb1ES3_N6thrust23THRUST_200600_302600_NS6detail15normal_iteratorINS9_10device_ptrIiEEEESE_SE_iNS9_10multipliesIiEENS9_8equal_toIiEEiEE10hipError_tPvRmT2_T3_T4_T5_mT6_T7_P12ihipStream_tbENKUlT_T0_E_clISt17integral_constantIbLb1EESY_IbLb0EEEEDaSU_SV_EUlSU_E_NS1_11comp_targetILNS1_3genE10ELNS1_11target_archE1200ELNS1_3gpuE4ELNS1_3repE0EEENS1_30default_config_static_selectorELNS0_4arch9wavefront6targetE0EEEvT1_
    .private_segment_fixed_size: 0
    .sgpr_count:     0
    .sgpr_spill_count: 0
    .symbol:         _ZN7rocprim17ROCPRIM_400000_NS6detail17trampoline_kernelINS0_14default_configENS1_27scan_by_key_config_selectorIiiEEZZNS1_16scan_by_key_implILNS1_25lookback_scan_determinismE0ELb1ES3_N6thrust23THRUST_200600_302600_NS6detail15normal_iteratorINS9_10device_ptrIiEEEESE_SE_iNS9_10multipliesIiEENS9_8equal_toIiEEiEE10hipError_tPvRmT2_T3_T4_T5_mT6_T7_P12ihipStream_tbENKUlT_T0_E_clISt17integral_constantIbLb1EESY_IbLb0EEEEDaSU_SV_EUlSU_E_NS1_11comp_targetILNS1_3genE10ELNS1_11target_archE1200ELNS1_3gpuE4ELNS1_3repE0EEENS1_30default_config_static_selectorELNS0_4arch9wavefront6targetE0EEEvT1_.kd
    .uniform_work_group_size: 1
    .uses_dynamic_stack: false
    .vgpr_count:     0
    .vgpr_spill_count: 0
    .wavefront_size: 32
    .workgroup_processor_mode: 1
  - .args:
      - .offset:         0
        .size:           112
        .value_kind:     by_value
    .group_segment_fixed_size: 0
    .kernarg_segment_align: 8
    .kernarg_segment_size: 112
    .language:       OpenCL C
    .language_version:
      - 2
      - 0
    .max_flat_workgroup_size: 256
    .name:           _ZN7rocprim17ROCPRIM_400000_NS6detail17trampoline_kernelINS0_14default_configENS1_27scan_by_key_config_selectorIiiEEZZNS1_16scan_by_key_implILNS1_25lookback_scan_determinismE0ELb1ES3_N6thrust23THRUST_200600_302600_NS6detail15normal_iteratorINS9_10device_ptrIiEEEESE_SE_iNS9_10multipliesIiEENS9_8equal_toIiEEiEE10hipError_tPvRmT2_T3_T4_T5_mT6_T7_P12ihipStream_tbENKUlT_T0_E_clISt17integral_constantIbLb1EESY_IbLb0EEEEDaSU_SV_EUlSU_E_NS1_11comp_targetILNS1_3genE9ELNS1_11target_archE1100ELNS1_3gpuE3ELNS1_3repE0EEENS1_30default_config_static_selectorELNS0_4arch9wavefront6targetE0EEEvT1_
    .private_segment_fixed_size: 0
    .sgpr_count:     0
    .sgpr_spill_count: 0
    .symbol:         _ZN7rocprim17ROCPRIM_400000_NS6detail17trampoline_kernelINS0_14default_configENS1_27scan_by_key_config_selectorIiiEEZZNS1_16scan_by_key_implILNS1_25lookback_scan_determinismE0ELb1ES3_N6thrust23THRUST_200600_302600_NS6detail15normal_iteratorINS9_10device_ptrIiEEEESE_SE_iNS9_10multipliesIiEENS9_8equal_toIiEEiEE10hipError_tPvRmT2_T3_T4_T5_mT6_T7_P12ihipStream_tbENKUlT_T0_E_clISt17integral_constantIbLb1EESY_IbLb0EEEEDaSU_SV_EUlSU_E_NS1_11comp_targetILNS1_3genE9ELNS1_11target_archE1100ELNS1_3gpuE3ELNS1_3repE0EEENS1_30default_config_static_selectorELNS0_4arch9wavefront6targetE0EEEvT1_.kd
    .uniform_work_group_size: 1
    .uses_dynamic_stack: false
    .vgpr_count:     0
    .vgpr_spill_count: 0
    .wavefront_size: 32
    .workgroup_processor_mode: 1
  - .args:
      - .offset:         0
        .size:           112
        .value_kind:     by_value
    .group_segment_fixed_size: 0
    .kernarg_segment_align: 8
    .kernarg_segment_size: 112
    .language:       OpenCL C
    .language_version:
      - 2
      - 0
    .max_flat_workgroup_size: 256
    .name:           _ZN7rocprim17ROCPRIM_400000_NS6detail17trampoline_kernelINS0_14default_configENS1_27scan_by_key_config_selectorIiiEEZZNS1_16scan_by_key_implILNS1_25lookback_scan_determinismE0ELb1ES3_N6thrust23THRUST_200600_302600_NS6detail15normal_iteratorINS9_10device_ptrIiEEEESE_SE_iNS9_10multipliesIiEENS9_8equal_toIiEEiEE10hipError_tPvRmT2_T3_T4_T5_mT6_T7_P12ihipStream_tbENKUlT_T0_E_clISt17integral_constantIbLb1EESY_IbLb0EEEEDaSU_SV_EUlSU_E_NS1_11comp_targetILNS1_3genE8ELNS1_11target_archE1030ELNS1_3gpuE2ELNS1_3repE0EEENS1_30default_config_static_selectorELNS0_4arch9wavefront6targetE0EEEvT1_
    .private_segment_fixed_size: 0
    .sgpr_count:     0
    .sgpr_spill_count: 0
    .symbol:         _ZN7rocprim17ROCPRIM_400000_NS6detail17trampoline_kernelINS0_14default_configENS1_27scan_by_key_config_selectorIiiEEZZNS1_16scan_by_key_implILNS1_25lookback_scan_determinismE0ELb1ES3_N6thrust23THRUST_200600_302600_NS6detail15normal_iteratorINS9_10device_ptrIiEEEESE_SE_iNS9_10multipliesIiEENS9_8equal_toIiEEiEE10hipError_tPvRmT2_T3_T4_T5_mT6_T7_P12ihipStream_tbENKUlT_T0_E_clISt17integral_constantIbLb1EESY_IbLb0EEEEDaSU_SV_EUlSU_E_NS1_11comp_targetILNS1_3genE8ELNS1_11target_archE1030ELNS1_3gpuE2ELNS1_3repE0EEENS1_30default_config_static_selectorELNS0_4arch9wavefront6targetE0EEEvT1_.kd
    .uniform_work_group_size: 1
    .uses_dynamic_stack: false
    .vgpr_count:     0
    .vgpr_spill_count: 0
    .wavefront_size: 32
    .workgroup_processor_mode: 1
  - .args:
      - .offset:         0
        .size:           112
        .value_kind:     by_value
    .group_segment_fixed_size: 0
    .kernarg_segment_align: 8
    .kernarg_segment_size: 112
    .language:       OpenCL C
    .language_version:
      - 2
      - 0
    .max_flat_workgroup_size: 256
    .name:           _ZN7rocprim17ROCPRIM_400000_NS6detail17trampoline_kernelINS0_14default_configENS1_27scan_by_key_config_selectorIiiEEZZNS1_16scan_by_key_implILNS1_25lookback_scan_determinismE0ELb1ES3_N6thrust23THRUST_200600_302600_NS6detail15normal_iteratorINS9_10device_ptrIiEEEESE_SE_iNS9_10multipliesIiEENS9_8equal_toIiEEiEE10hipError_tPvRmT2_T3_T4_T5_mT6_T7_P12ihipStream_tbENKUlT_T0_E_clISt17integral_constantIbLb0EESY_IbLb1EEEEDaSU_SV_EUlSU_E_NS1_11comp_targetILNS1_3genE0ELNS1_11target_archE4294967295ELNS1_3gpuE0ELNS1_3repE0EEENS1_30default_config_static_selectorELNS0_4arch9wavefront6targetE0EEEvT1_
    .private_segment_fixed_size: 0
    .sgpr_count:     0
    .sgpr_spill_count: 0
    .symbol:         _ZN7rocprim17ROCPRIM_400000_NS6detail17trampoline_kernelINS0_14default_configENS1_27scan_by_key_config_selectorIiiEEZZNS1_16scan_by_key_implILNS1_25lookback_scan_determinismE0ELb1ES3_N6thrust23THRUST_200600_302600_NS6detail15normal_iteratorINS9_10device_ptrIiEEEESE_SE_iNS9_10multipliesIiEENS9_8equal_toIiEEiEE10hipError_tPvRmT2_T3_T4_T5_mT6_T7_P12ihipStream_tbENKUlT_T0_E_clISt17integral_constantIbLb0EESY_IbLb1EEEEDaSU_SV_EUlSU_E_NS1_11comp_targetILNS1_3genE0ELNS1_11target_archE4294967295ELNS1_3gpuE0ELNS1_3repE0EEENS1_30default_config_static_selectorELNS0_4arch9wavefront6targetE0EEEvT1_.kd
    .uniform_work_group_size: 1
    .uses_dynamic_stack: false
    .vgpr_count:     0
    .vgpr_spill_count: 0
    .wavefront_size: 32
    .workgroup_processor_mode: 1
  - .args:
      - .offset:         0
        .size:           112
        .value_kind:     by_value
    .group_segment_fixed_size: 0
    .kernarg_segment_align: 8
    .kernarg_segment_size: 112
    .language:       OpenCL C
    .language_version:
      - 2
      - 0
    .max_flat_workgroup_size: 256
    .name:           _ZN7rocprim17ROCPRIM_400000_NS6detail17trampoline_kernelINS0_14default_configENS1_27scan_by_key_config_selectorIiiEEZZNS1_16scan_by_key_implILNS1_25lookback_scan_determinismE0ELb1ES3_N6thrust23THRUST_200600_302600_NS6detail15normal_iteratorINS9_10device_ptrIiEEEESE_SE_iNS9_10multipliesIiEENS9_8equal_toIiEEiEE10hipError_tPvRmT2_T3_T4_T5_mT6_T7_P12ihipStream_tbENKUlT_T0_E_clISt17integral_constantIbLb0EESY_IbLb1EEEEDaSU_SV_EUlSU_E_NS1_11comp_targetILNS1_3genE10ELNS1_11target_archE1201ELNS1_3gpuE5ELNS1_3repE0EEENS1_30default_config_static_selectorELNS0_4arch9wavefront6targetE0EEEvT1_
    .private_segment_fixed_size: 0
    .sgpr_count:     0
    .sgpr_spill_count: 0
    .symbol:         _ZN7rocprim17ROCPRIM_400000_NS6detail17trampoline_kernelINS0_14default_configENS1_27scan_by_key_config_selectorIiiEEZZNS1_16scan_by_key_implILNS1_25lookback_scan_determinismE0ELb1ES3_N6thrust23THRUST_200600_302600_NS6detail15normal_iteratorINS9_10device_ptrIiEEEESE_SE_iNS9_10multipliesIiEENS9_8equal_toIiEEiEE10hipError_tPvRmT2_T3_T4_T5_mT6_T7_P12ihipStream_tbENKUlT_T0_E_clISt17integral_constantIbLb0EESY_IbLb1EEEEDaSU_SV_EUlSU_E_NS1_11comp_targetILNS1_3genE10ELNS1_11target_archE1201ELNS1_3gpuE5ELNS1_3repE0EEENS1_30default_config_static_selectorELNS0_4arch9wavefront6targetE0EEEvT1_.kd
    .uniform_work_group_size: 1
    .uses_dynamic_stack: false
    .vgpr_count:     0
    .vgpr_spill_count: 0
    .wavefront_size: 32
    .workgroup_processor_mode: 1
  - .args:
      - .offset:         0
        .size:           112
        .value_kind:     by_value
    .group_segment_fixed_size: 0
    .kernarg_segment_align: 8
    .kernarg_segment_size: 112
    .language:       OpenCL C
    .language_version:
      - 2
      - 0
    .max_flat_workgroup_size: 256
    .name:           _ZN7rocprim17ROCPRIM_400000_NS6detail17trampoline_kernelINS0_14default_configENS1_27scan_by_key_config_selectorIiiEEZZNS1_16scan_by_key_implILNS1_25lookback_scan_determinismE0ELb1ES3_N6thrust23THRUST_200600_302600_NS6detail15normal_iteratorINS9_10device_ptrIiEEEESE_SE_iNS9_10multipliesIiEENS9_8equal_toIiEEiEE10hipError_tPvRmT2_T3_T4_T5_mT6_T7_P12ihipStream_tbENKUlT_T0_E_clISt17integral_constantIbLb0EESY_IbLb1EEEEDaSU_SV_EUlSU_E_NS1_11comp_targetILNS1_3genE5ELNS1_11target_archE942ELNS1_3gpuE9ELNS1_3repE0EEENS1_30default_config_static_selectorELNS0_4arch9wavefront6targetE0EEEvT1_
    .private_segment_fixed_size: 0
    .sgpr_count:     0
    .sgpr_spill_count: 0
    .symbol:         _ZN7rocprim17ROCPRIM_400000_NS6detail17trampoline_kernelINS0_14default_configENS1_27scan_by_key_config_selectorIiiEEZZNS1_16scan_by_key_implILNS1_25lookback_scan_determinismE0ELb1ES3_N6thrust23THRUST_200600_302600_NS6detail15normal_iteratorINS9_10device_ptrIiEEEESE_SE_iNS9_10multipliesIiEENS9_8equal_toIiEEiEE10hipError_tPvRmT2_T3_T4_T5_mT6_T7_P12ihipStream_tbENKUlT_T0_E_clISt17integral_constantIbLb0EESY_IbLb1EEEEDaSU_SV_EUlSU_E_NS1_11comp_targetILNS1_3genE5ELNS1_11target_archE942ELNS1_3gpuE9ELNS1_3repE0EEENS1_30default_config_static_selectorELNS0_4arch9wavefront6targetE0EEEvT1_.kd
    .uniform_work_group_size: 1
    .uses_dynamic_stack: false
    .vgpr_count:     0
    .vgpr_spill_count: 0
    .wavefront_size: 32
    .workgroup_processor_mode: 1
  - .args:
      - .offset:         0
        .size:           112
        .value_kind:     by_value
    .group_segment_fixed_size: 0
    .kernarg_segment_align: 8
    .kernarg_segment_size: 112
    .language:       OpenCL C
    .language_version:
      - 2
      - 0
    .max_flat_workgroup_size: 256
    .name:           _ZN7rocprim17ROCPRIM_400000_NS6detail17trampoline_kernelINS0_14default_configENS1_27scan_by_key_config_selectorIiiEEZZNS1_16scan_by_key_implILNS1_25lookback_scan_determinismE0ELb1ES3_N6thrust23THRUST_200600_302600_NS6detail15normal_iteratorINS9_10device_ptrIiEEEESE_SE_iNS9_10multipliesIiEENS9_8equal_toIiEEiEE10hipError_tPvRmT2_T3_T4_T5_mT6_T7_P12ihipStream_tbENKUlT_T0_E_clISt17integral_constantIbLb0EESY_IbLb1EEEEDaSU_SV_EUlSU_E_NS1_11comp_targetILNS1_3genE4ELNS1_11target_archE910ELNS1_3gpuE8ELNS1_3repE0EEENS1_30default_config_static_selectorELNS0_4arch9wavefront6targetE0EEEvT1_
    .private_segment_fixed_size: 0
    .sgpr_count:     0
    .sgpr_spill_count: 0
    .symbol:         _ZN7rocprim17ROCPRIM_400000_NS6detail17trampoline_kernelINS0_14default_configENS1_27scan_by_key_config_selectorIiiEEZZNS1_16scan_by_key_implILNS1_25lookback_scan_determinismE0ELb1ES3_N6thrust23THRUST_200600_302600_NS6detail15normal_iteratorINS9_10device_ptrIiEEEESE_SE_iNS9_10multipliesIiEENS9_8equal_toIiEEiEE10hipError_tPvRmT2_T3_T4_T5_mT6_T7_P12ihipStream_tbENKUlT_T0_E_clISt17integral_constantIbLb0EESY_IbLb1EEEEDaSU_SV_EUlSU_E_NS1_11comp_targetILNS1_3genE4ELNS1_11target_archE910ELNS1_3gpuE8ELNS1_3repE0EEENS1_30default_config_static_selectorELNS0_4arch9wavefront6targetE0EEEvT1_.kd
    .uniform_work_group_size: 1
    .uses_dynamic_stack: false
    .vgpr_count:     0
    .vgpr_spill_count: 0
    .wavefront_size: 32
    .workgroup_processor_mode: 1
  - .args:
      - .offset:         0
        .size:           112
        .value_kind:     by_value
    .group_segment_fixed_size: 0
    .kernarg_segment_align: 8
    .kernarg_segment_size: 112
    .language:       OpenCL C
    .language_version:
      - 2
      - 0
    .max_flat_workgroup_size: 256
    .name:           _ZN7rocprim17ROCPRIM_400000_NS6detail17trampoline_kernelINS0_14default_configENS1_27scan_by_key_config_selectorIiiEEZZNS1_16scan_by_key_implILNS1_25lookback_scan_determinismE0ELb1ES3_N6thrust23THRUST_200600_302600_NS6detail15normal_iteratorINS9_10device_ptrIiEEEESE_SE_iNS9_10multipliesIiEENS9_8equal_toIiEEiEE10hipError_tPvRmT2_T3_T4_T5_mT6_T7_P12ihipStream_tbENKUlT_T0_E_clISt17integral_constantIbLb0EESY_IbLb1EEEEDaSU_SV_EUlSU_E_NS1_11comp_targetILNS1_3genE3ELNS1_11target_archE908ELNS1_3gpuE7ELNS1_3repE0EEENS1_30default_config_static_selectorELNS0_4arch9wavefront6targetE0EEEvT1_
    .private_segment_fixed_size: 0
    .sgpr_count:     0
    .sgpr_spill_count: 0
    .symbol:         _ZN7rocprim17ROCPRIM_400000_NS6detail17trampoline_kernelINS0_14default_configENS1_27scan_by_key_config_selectorIiiEEZZNS1_16scan_by_key_implILNS1_25lookback_scan_determinismE0ELb1ES3_N6thrust23THRUST_200600_302600_NS6detail15normal_iteratorINS9_10device_ptrIiEEEESE_SE_iNS9_10multipliesIiEENS9_8equal_toIiEEiEE10hipError_tPvRmT2_T3_T4_T5_mT6_T7_P12ihipStream_tbENKUlT_T0_E_clISt17integral_constantIbLb0EESY_IbLb1EEEEDaSU_SV_EUlSU_E_NS1_11comp_targetILNS1_3genE3ELNS1_11target_archE908ELNS1_3gpuE7ELNS1_3repE0EEENS1_30default_config_static_selectorELNS0_4arch9wavefront6targetE0EEEvT1_.kd
    .uniform_work_group_size: 1
    .uses_dynamic_stack: false
    .vgpr_count:     0
    .vgpr_spill_count: 0
    .wavefront_size: 32
    .workgroup_processor_mode: 1
  - .args:
      - .offset:         0
        .size:           112
        .value_kind:     by_value
    .group_segment_fixed_size: 0
    .kernarg_segment_align: 8
    .kernarg_segment_size: 112
    .language:       OpenCL C
    .language_version:
      - 2
      - 0
    .max_flat_workgroup_size: 256
    .name:           _ZN7rocprim17ROCPRIM_400000_NS6detail17trampoline_kernelINS0_14default_configENS1_27scan_by_key_config_selectorIiiEEZZNS1_16scan_by_key_implILNS1_25lookback_scan_determinismE0ELb1ES3_N6thrust23THRUST_200600_302600_NS6detail15normal_iteratorINS9_10device_ptrIiEEEESE_SE_iNS9_10multipliesIiEENS9_8equal_toIiEEiEE10hipError_tPvRmT2_T3_T4_T5_mT6_T7_P12ihipStream_tbENKUlT_T0_E_clISt17integral_constantIbLb0EESY_IbLb1EEEEDaSU_SV_EUlSU_E_NS1_11comp_targetILNS1_3genE2ELNS1_11target_archE906ELNS1_3gpuE6ELNS1_3repE0EEENS1_30default_config_static_selectorELNS0_4arch9wavefront6targetE0EEEvT1_
    .private_segment_fixed_size: 0
    .sgpr_count:     0
    .sgpr_spill_count: 0
    .symbol:         _ZN7rocprim17ROCPRIM_400000_NS6detail17trampoline_kernelINS0_14default_configENS1_27scan_by_key_config_selectorIiiEEZZNS1_16scan_by_key_implILNS1_25lookback_scan_determinismE0ELb1ES3_N6thrust23THRUST_200600_302600_NS6detail15normal_iteratorINS9_10device_ptrIiEEEESE_SE_iNS9_10multipliesIiEENS9_8equal_toIiEEiEE10hipError_tPvRmT2_T3_T4_T5_mT6_T7_P12ihipStream_tbENKUlT_T0_E_clISt17integral_constantIbLb0EESY_IbLb1EEEEDaSU_SV_EUlSU_E_NS1_11comp_targetILNS1_3genE2ELNS1_11target_archE906ELNS1_3gpuE6ELNS1_3repE0EEENS1_30default_config_static_selectorELNS0_4arch9wavefront6targetE0EEEvT1_.kd
    .uniform_work_group_size: 1
    .uses_dynamic_stack: false
    .vgpr_count:     0
    .vgpr_spill_count: 0
    .wavefront_size: 32
    .workgroup_processor_mode: 1
  - .args:
      - .offset:         0
        .size:           112
        .value_kind:     by_value
    .group_segment_fixed_size: 0
    .kernarg_segment_align: 8
    .kernarg_segment_size: 112
    .language:       OpenCL C
    .language_version:
      - 2
      - 0
    .max_flat_workgroup_size: 256
    .name:           _ZN7rocprim17ROCPRIM_400000_NS6detail17trampoline_kernelINS0_14default_configENS1_27scan_by_key_config_selectorIiiEEZZNS1_16scan_by_key_implILNS1_25lookback_scan_determinismE0ELb1ES3_N6thrust23THRUST_200600_302600_NS6detail15normal_iteratorINS9_10device_ptrIiEEEESE_SE_iNS9_10multipliesIiEENS9_8equal_toIiEEiEE10hipError_tPvRmT2_T3_T4_T5_mT6_T7_P12ihipStream_tbENKUlT_T0_E_clISt17integral_constantIbLb0EESY_IbLb1EEEEDaSU_SV_EUlSU_E_NS1_11comp_targetILNS1_3genE10ELNS1_11target_archE1200ELNS1_3gpuE4ELNS1_3repE0EEENS1_30default_config_static_selectorELNS0_4arch9wavefront6targetE0EEEvT1_
    .private_segment_fixed_size: 0
    .sgpr_count:     0
    .sgpr_spill_count: 0
    .symbol:         _ZN7rocprim17ROCPRIM_400000_NS6detail17trampoline_kernelINS0_14default_configENS1_27scan_by_key_config_selectorIiiEEZZNS1_16scan_by_key_implILNS1_25lookback_scan_determinismE0ELb1ES3_N6thrust23THRUST_200600_302600_NS6detail15normal_iteratorINS9_10device_ptrIiEEEESE_SE_iNS9_10multipliesIiEENS9_8equal_toIiEEiEE10hipError_tPvRmT2_T3_T4_T5_mT6_T7_P12ihipStream_tbENKUlT_T0_E_clISt17integral_constantIbLb0EESY_IbLb1EEEEDaSU_SV_EUlSU_E_NS1_11comp_targetILNS1_3genE10ELNS1_11target_archE1200ELNS1_3gpuE4ELNS1_3repE0EEENS1_30default_config_static_selectorELNS0_4arch9wavefront6targetE0EEEvT1_.kd
    .uniform_work_group_size: 1
    .uses_dynamic_stack: false
    .vgpr_count:     0
    .vgpr_spill_count: 0
    .wavefront_size: 32
    .workgroup_processor_mode: 1
  - .args:
      - .offset:         0
        .size:           112
        .value_kind:     by_value
    .group_segment_fixed_size: 0
    .kernarg_segment_align: 8
    .kernarg_segment_size: 112
    .language:       OpenCL C
    .language_version:
      - 2
      - 0
    .max_flat_workgroup_size: 256
    .name:           _ZN7rocprim17ROCPRIM_400000_NS6detail17trampoline_kernelINS0_14default_configENS1_27scan_by_key_config_selectorIiiEEZZNS1_16scan_by_key_implILNS1_25lookback_scan_determinismE0ELb1ES3_N6thrust23THRUST_200600_302600_NS6detail15normal_iteratorINS9_10device_ptrIiEEEESE_SE_iNS9_10multipliesIiEENS9_8equal_toIiEEiEE10hipError_tPvRmT2_T3_T4_T5_mT6_T7_P12ihipStream_tbENKUlT_T0_E_clISt17integral_constantIbLb0EESY_IbLb1EEEEDaSU_SV_EUlSU_E_NS1_11comp_targetILNS1_3genE9ELNS1_11target_archE1100ELNS1_3gpuE3ELNS1_3repE0EEENS1_30default_config_static_selectorELNS0_4arch9wavefront6targetE0EEEvT1_
    .private_segment_fixed_size: 0
    .sgpr_count:     0
    .sgpr_spill_count: 0
    .symbol:         _ZN7rocprim17ROCPRIM_400000_NS6detail17trampoline_kernelINS0_14default_configENS1_27scan_by_key_config_selectorIiiEEZZNS1_16scan_by_key_implILNS1_25lookback_scan_determinismE0ELb1ES3_N6thrust23THRUST_200600_302600_NS6detail15normal_iteratorINS9_10device_ptrIiEEEESE_SE_iNS9_10multipliesIiEENS9_8equal_toIiEEiEE10hipError_tPvRmT2_T3_T4_T5_mT6_T7_P12ihipStream_tbENKUlT_T0_E_clISt17integral_constantIbLb0EESY_IbLb1EEEEDaSU_SV_EUlSU_E_NS1_11comp_targetILNS1_3genE9ELNS1_11target_archE1100ELNS1_3gpuE3ELNS1_3repE0EEENS1_30default_config_static_selectorELNS0_4arch9wavefront6targetE0EEEvT1_.kd
    .uniform_work_group_size: 1
    .uses_dynamic_stack: false
    .vgpr_count:     0
    .vgpr_spill_count: 0
    .wavefront_size: 32
    .workgroup_processor_mode: 1
  - .args:
      - .offset:         0
        .size:           112
        .value_kind:     by_value
    .group_segment_fixed_size: 5120
    .kernarg_segment_align: 8
    .kernarg_segment_size: 112
    .language:       OpenCL C
    .language_version:
      - 2
      - 0
    .max_flat_workgroup_size: 256
    .name:           _ZN7rocprim17ROCPRIM_400000_NS6detail17trampoline_kernelINS0_14default_configENS1_27scan_by_key_config_selectorIiiEEZZNS1_16scan_by_key_implILNS1_25lookback_scan_determinismE0ELb1ES3_N6thrust23THRUST_200600_302600_NS6detail15normal_iteratorINS9_10device_ptrIiEEEESE_SE_iNS9_10multipliesIiEENS9_8equal_toIiEEiEE10hipError_tPvRmT2_T3_T4_T5_mT6_T7_P12ihipStream_tbENKUlT_T0_E_clISt17integral_constantIbLb0EESY_IbLb1EEEEDaSU_SV_EUlSU_E_NS1_11comp_targetILNS1_3genE8ELNS1_11target_archE1030ELNS1_3gpuE2ELNS1_3repE0EEENS1_30default_config_static_selectorELNS0_4arch9wavefront6targetE0EEEvT1_
    .private_segment_fixed_size: 0
    .sgpr_count:     28
    .sgpr_spill_count: 0
    .symbol:         _ZN7rocprim17ROCPRIM_400000_NS6detail17trampoline_kernelINS0_14default_configENS1_27scan_by_key_config_selectorIiiEEZZNS1_16scan_by_key_implILNS1_25lookback_scan_determinismE0ELb1ES3_N6thrust23THRUST_200600_302600_NS6detail15normal_iteratorINS9_10device_ptrIiEEEESE_SE_iNS9_10multipliesIiEENS9_8equal_toIiEEiEE10hipError_tPvRmT2_T3_T4_T5_mT6_T7_P12ihipStream_tbENKUlT_T0_E_clISt17integral_constantIbLb0EESY_IbLb1EEEEDaSU_SV_EUlSU_E_NS1_11comp_targetILNS1_3genE8ELNS1_11target_archE1030ELNS1_3gpuE2ELNS1_3repE0EEENS1_30default_config_static_selectorELNS0_4arch9wavefront6targetE0EEEvT1_.kd
    .uniform_work_group_size: 1
    .uses_dynamic_stack: false
    .vgpr_count:     41
    .vgpr_spill_count: 0
    .wavefront_size: 32
    .workgroup_processor_mode: 1
  - .args:
      - .offset:         0
        .size:           112
        .value_kind:     by_value
    .group_segment_fixed_size: 0
    .kernarg_segment_align: 8
    .kernarg_segment_size: 112
    .language:       OpenCL C
    .language_version:
      - 2
      - 0
    .max_flat_workgroup_size: 256
    .name:           _ZN7rocprim17ROCPRIM_400000_NS6detail17trampoline_kernelINS0_14default_configENS1_27scan_by_key_config_selectorIiiEEZZNS1_16scan_by_key_implILNS1_25lookback_scan_determinismE0ELb1ES3_N6thrust23THRUST_200600_302600_NS6detail15normal_iteratorINS9_10device_ptrIiEEEESE_SE_iNS9_4plusIvEENS9_8equal_toIiEEiEE10hipError_tPvRmT2_T3_T4_T5_mT6_T7_P12ihipStream_tbENKUlT_T0_E_clISt17integral_constantIbLb0EESZ_EEDaSU_SV_EUlSU_E_NS1_11comp_targetILNS1_3genE0ELNS1_11target_archE4294967295ELNS1_3gpuE0ELNS1_3repE0EEENS1_30default_config_static_selectorELNS0_4arch9wavefront6targetE0EEEvT1_
    .private_segment_fixed_size: 0
    .sgpr_count:     0
    .sgpr_spill_count: 0
    .symbol:         _ZN7rocprim17ROCPRIM_400000_NS6detail17trampoline_kernelINS0_14default_configENS1_27scan_by_key_config_selectorIiiEEZZNS1_16scan_by_key_implILNS1_25lookback_scan_determinismE0ELb1ES3_N6thrust23THRUST_200600_302600_NS6detail15normal_iteratorINS9_10device_ptrIiEEEESE_SE_iNS9_4plusIvEENS9_8equal_toIiEEiEE10hipError_tPvRmT2_T3_T4_T5_mT6_T7_P12ihipStream_tbENKUlT_T0_E_clISt17integral_constantIbLb0EESZ_EEDaSU_SV_EUlSU_E_NS1_11comp_targetILNS1_3genE0ELNS1_11target_archE4294967295ELNS1_3gpuE0ELNS1_3repE0EEENS1_30default_config_static_selectorELNS0_4arch9wavefront6targetE0EEEvT1_.kd
    .uniform_work_group_size: 1
    .uses_dynamic_stack: false
    .vgpr_count:     0
    .vgpr_spill_count: 0
    .wavefront_size: 32
    .workgroup_processor_mode: 1
  - .args:
      - .offset:         0
        .size:           112
        .value_kind:     by_value
    .group_segment_fixed_size: 0
    .kernarg_segment_align: 8
    .kernarg_segment_size: 112
    .language:       OpenCL C
    .language_version:
      - 2
      - 0
    .max_flat_workgroup_size: 256
    .name:           _ZN7rocprim17ROCPRIM_400000_NS6detail17trampoline_kernelINS0_14default_configENS1_27scan_by_key_config_selectorIiiEEZZNS1_16scan_by_key_implILNS1_25lookback_scan_determinismE0ELb1ES3_N6thrust23THRUST_200600_302600_NS6detail15normal_iteratorINS9_10device_ptrIiEEEESE_SE_iNS9_4plusIvEENS9_8equal_toIiEEiEE10hipError_tPvRmT2_T3_T4_T5_mT6_T7_P12ihipStream_tbENKUlT_T0_E_clISt17integral_constantIbLb0EESZ_EEDaSU_SV_EUlSU_E_NS1_11comp_targetILNS1_3genE10ELNS1_11target_archE1201ELNS1_3gpuE5ELNS1_3repE0EEENS1_30default_config_static_selectorELNS0_4arch9wavefront6targetE0EEEvT1_
    .private_segment_fixed_size: 0
    .sgpr_count:     0
    .sgpr_spill_count: 0
    .symbol:         _ZN7rocprim17ROCPRIM_400000_NS6detail17trampoline_kernelINS0_14default_configENS1_27scan_by_key_config_selectorIiiEEZZNS1_16scan_by_key_implILNS1_25lookback_scan_determinismE0ELb1ES3_N6thrust23THRUST_200600_302600_NS6detail15normal_iteratorINS9_10device_ptrIiEEEESE_SE_iNS9_4plusIvEENS9_8equal_toIiEEiEE10hipError_tPvRmT2_T3_T4_T5_mT6_T7_P12ihipStream_tbENKUlT_T0_E_clISt17integral_constantIbLb0EESZ_EEDaSU_SV_EUlSU_E_NS1_11comp_targetILNS1_3genE10ELNS1_11target_archE1201ELNS1_3gpuE5ELNS1_3repE0EEENS1_30default_config_static_selectorELNS0_4arch9wavefront6targetE0EEEvT1_.kd
    .uniform_work_group_size: 1
    .uses_dynamic_stack: false
    .vgpr_count:     0
    .vgpr_spill_count: 0
    .wavefront_size: 32
    .workgroup_processor_mode: 1
  - .args:
      - .offset:         0
        .size:           112
        .value_kind:     by_value
    .group_segment_fixed_size: 0
    .kernarg_segment_align: 8
    .kernarg_segment_size: 112
    .language:       OpenCL C
    .language_version:
      - 2
      - 0
    .max_flat_workgroup_size: 256
    .name:           _ZN7rocprim17ROCPRIM_400000_NS6detail17trampoline_kernelINS0_14default_configENS1_27scan_by_key_config_selectorIiiEEZZNS1_16scan_by_key_implILNS1_25lookback_scan_determinismE0ELb1ES3_N6thrust23THRUST_200600_302600_NS6detail15normal_iteratorINS9_10device_ptrIiEEEESE_SE_iNS9_4plusIvEENS9_8equal_toIiEEiEE10hipError_tPvRmT2_T3_T4_T5_mT6_T7_P12ihipStream_tbENKUlT_T0_E_clISt17integral_constantIbLb0EESZ_EEDaSU_SV_EUlSU_E_NS1_11comp_targetILNS1_3genE5ELNS1_11target_archE942ELNS1_3gpuE9ELNS1_3repE0EEENS1_30default_config_static_selectorELNS0_4arch9wavefront6targetE0EEEvT1_
    .private_segment_fixed_size: 0
    .sgpr_count:     0
    .sgpr_spill_count: 0
    .symbol:         _ZN7rocprim17ROCPRIM_400000_NS6detail17trampoline_kernelINS0_14default_configENS1_27scan_by_key_config_selectorIiiEEZZNS1_16scan_by_key_implILNS1_25lookback_scan_determinismE0ELb1ES3_N6thrust23THRUST_200600_302600_NS6detail15normal_iteratorINS9_10device_ptrIiEEEESE_SE_iNS9_4plusIvEENS9_8equal_toIiEEiEE10hipError_tPvRmT2_T3_T4_T5_mT6_T7_P12ihipStream_tbENKUlT_T0_E_clISt17integral_constantIbLb0EESZ_EEDaSU_SV_EUlSU_E_NS1_11comp_targetILNS1_3genE5ELNS1_11target_archE942ELNS1_3gpuE9ELNS1_3repE0EEENS1_30default_config_static_selectorELNS0_4arch9wavefront6targetE0EEEvT1_.kd
    .uniform_work_group_size: 1
    .uses_dynamic_stack: false
    .vgpr_count:     0
    .vgpr_spill_count: 0
    .wavefront_size: 32
    .workgroup_processor_mode: 1
  - .args:
      - .offset:         0
        .size:           112
        .value_kind:     by_value
    .group_segment_fixed_size: 0
    .kernarg_segment_align: 8
    .kernarg_segment_size: 112
    .language:       OpenCL C
    .language_version:
      - 2
      - 0
    .max_flat_workgroup_size: 256
    .name:           _ZN7rocprim17ROCPRIM_400000_NS6detail17trampoline_kernelINS0_14default_configENS1_27scan_by_key_config_selectorIiiEEZZNS1_16scan_by_key_implILNS1_25lookback_scan_determinismE0ELb1ES3_N6thrust23THRUST_200600_302600_NS6detail15normal_iteratorINS9_10device_ptrIiEEEESE_SE_iNS9_4plusIvEENS9_8equal_toIiEEiEE10hipError_tPvRmT2_T3_T4_T5_mT6_T7_P12ihipStream_tbENKUlT_T0_E_clISt17integral_constantIbLb0EESZ_EEDaSU_SV_EUlSU_E_NS1_11comp_targetILNS1_3genE4ELNS1_11target_archE910ELNS1_3gpuE8ELNS1_3repE0EEENS1_30default_config_static_selectorELNS0_4arch9wavefront6targetE0EEEvT1_
    .private_segment_fixed_size: 0
    .sgpr_count:     0
    .sgpr_spill_count: 0
    .symbol:         _ZN7rocprim17ROCPRIM_400000_NS6detail17trampoline_kernelINS0_14default_configENS1_27scan_by_key_config_selectorIiiEEZZNS1_16scan_by_key_implILNS1_25lookback_scan_determinismE0ELb1ES3_N6thrust23THRUST_200600_302600_NS6detail15normal_iteratorINS9_10device_ptrIiEEEESE_SE_iNS9_4plusIvEENS9_8equal_toIiEEiEE10hipError_tPvRmT2_T3_T4_T5_mT6_T7_P12ihipStream_tbENKUlT_T0_E_clISt17integral_constantIbLb0EESZ_EEDaSU_SV_EUlSU_E_NS1_11comp_targetILNS1_3genE4ELNS1_11target_archE910ELNS1_3gpuE8ELNS1_3repE0EEENS1_30default_config_static_selectorELNS0_4arch9wavefront6targetE0EEEvT1_.kd
    .uniform_work_group_size: 1
    .uses_dynamic_stack: false
    .vgpr_count:     0
    .vgpr_spill_count: 0
    .wavefront_size: 32
    .workgroup_processor_mode: 1
  - .args:
      - .offset:         0
        .size:           112
        .value_kind:     by_value
    .group_segment_fixed_size: 0
    .kernarg_segment_align: 8
    .kernarg_segment_size: 112
    .language:       OpenCL C
    .language_version:
      - 2
      - 0
    .max_flat_workgroup_size: 256
    .name:           _ZN7rocprim17ROCPRIM_400000_NS6detail17trampoline_kernelINS0_14default_configENS1_27scan_by_key_config_selectorIiiEEZZNS1_16scan_by_key_implILNS1_25lookback_scan_determinismE0ELb1ES3_N6thrust23THRUST_200600_302600_NS6detail15normal_iteratorINS9_10device_ptrIiEEEESE_SE_iNS9_4plusIvEENS9_8equal_toIiEEiEE10hipError_tPvRmT2_T3_T4_T5_mT6_T7_P12ihipStream_tbENKUlT_T0_E_clISt17integral_constantIbLb0EESZ_EEDaSU_SV_EUlSU_E_NS1_11comp_targetILNS1_3genE3ELNS1_11target_archE908ELNS1_3gpuE7ELNS1_3repE0EEENS1_30default_config_static_selectorELNS0_4arch9wavefront6targetE0EEEvT1_
    .private_segment_fixed_size: 0
    .sgpr_count:     0
    .sgpr_spill_count: 0
    .symbol:         _ZN7rocprim17ROCPRIM_400000_NS6detail17trampoline_kernelINS0_14default_configENS1_27scan_by_key_config_selectorIiiEEZZNS1_16scan_by_key_implILNS1_25lookback_scan_determinismE0ELb1ES3_N6thrust23THRUST_200600_302600_NS6detail15normal_iteratorINS9_10device_ptrIiEEEESE_SE_iNS9_4plusIvEENS9_8equal_toIiEEiEE10hipError_tPvRmT2_T3_T4_T5_mT6_T7_P12ihipStream_tbENKUlT_T0_E_clISt17integral_constantIbLb0EESZ_EEDaSU_SV_EUlSU_E_NS1_11comp_targetILNS1_3genE3ELNS1_11target_archE908ELNS1_3gpuE7ELNS1_3repE0EEENS1_30default_config_static_selectorELNS0_4arch9wavefront6targetE0EEEvT1_.kd
    .uniform_work_group_size: 1
    .uses_dynamic_stack: false
    .vgpr_count:     0
    .vgpr_spill_count: 0
    .wavefront_size: 32
    .workgroup_processor_mode: 1
  - .args:
      - .offset:         0
        .size:           112
        .value_kind:     by_value
    .group_segment_fixed_size: 0
    .kernarg_segment_align: 8
    .kernarg_segment_size: 112
    .language:       OpenCL C
    .language_version:
      - 2
      - 0
    .max_flat_workgroup_size: 256
    .name:           _ZN7rocprim17ROCPRIM_400000_NS6detail17trampoline_kernelINS0_14default_configENS1_27scan_by_key_config_selectorIiiEEZZNS1_16scan_by_key_implILNS1_25lookback_scan_determinismE0ELb1ES3_N6thrust23THRUST_200600_302600_NS6detail15normal_iteratorINS9_10device_ptrIiEEEESE_SE_iNS9_4plusIvEENS9_8equal_toIiEEiEE10hipError_tPvRmT2_T3_T4_T5_mT6_T7_P12ihipStream_tbENKUlT_T0_E_clISt17integral_constantIbLb0EESZ_EEDaSU_SV_EUlSU_E_NS1_11comp_targetILNS1_3genE2ELNS1_11target_archE906ELNS1_3gpuE6ELNS1_3repE0EEENS1_30default_config_static_selectorELNS0_4arch9wavefront6targetE0EEEvT1_
    .private_segment_fixed_size: 0
    .sgpr_count:     0
    .sgpr_spill_count: 0
    .symbol:         _ZN7rocprim17ROCPRIM_400000_NS6detail17trampoline_kernelINS0_14default_configENS1_27scan_by_key_config_selectorIiiEEZZNS1_16scan_by_key_implILNS1_25lookback_scan_determinismE0ELb1ES3_N6thrust23THRUST_200600_302600_NS6detail15normal_iteratorINS9_10device_ptrIiEEEESE_SE_iNS9_4plusIvEENS9_8equal_toIiEEiEE10hipError_tPvRmT2_T3_T4_T5_mT6_T7_P12ihipStream_tbENKUlT_T0_E_clISt17integral_constantIbLb0EESZ_EEDaSU_SV_EUlSU_E_NS1_11comp_targetILNS1_3genE2ELNS1_11target_archE906ELNS1_3gpuE6ELNS1_3repE0EEENS1_30default_config_static_selectorELNS0_4arch9wavefront6targetE0EEEvT1_.kd
    .uniform_work_group_size: 1
    .uses_dynamic_stack: false
    .vgpr_count:     0
    .vgpr_spill_count: 0
    .wavefront_size: 32
    .workgroup_processor_mode: 1
  - .args:
      - .offset:         0
        .size:           112
        .value_kind:     by_value
    .group_segment_fixed_size: 0
    .kernarg_segment_align: 8
    .kernarg_segment_size: 112
    .language:       OpenCL C
    .language_version:
      - 2
      - 0
    .max_flat_workgroup_size: 256
    .name:           _ZN7rocprim17ROCPRIM_400000_NS6detail17trampoline_kernelINS0_14default_configENS1_27scan_by_key_config_selectorIiiEEZZNS1_16scan_by_key_implILNS1_25lookback_scan_determinismE0ELb1ES3_N6thrust23THRUST_200600_302600_NS6detail15normal_iteratorINS9_10device_ptrIiEEEESE_SE_iNS9_4plusIvEENS9_8equal_toIiEEiEE10hipError_tPvRmT2_T3_T4_T5_mT6_T7_P12ihipStream_tbENKUlT_T0_E_clISt17integral_constantIbLb0EESZ_EEDaSU_SV_EUlSU_E_NS1_11comp_targetILNS1_3genE10ELNS1_11target_archE1200ELNS1_3gpuE4ELNS1_3repE0EEENS1_30default_config_static_selectorELNS0_4arch9wavefront6targetE0EEEvT1_
    .private_segment_fixed_size: 0
    .sgpr_count:     0
    .sgpr_spill_count: 0
    .symbol:         _ZN7rocprim17ROCPRIM_400000_NS6detail17trampoline_kernelINS0_14default_configENS1_27scan_by_key_config_selectorIiiEEZZNS1_16scan_by_key_implILNS1_25lookback_scan_determinismE0ELb1ES3_N6thrust23THRUST_200600_302600_NS6detail15normal_iteratorINS9_10device_ptrIiEEEESE_SE_iNS9_4plusIvEENS9_8equal_toIiEEiEE10hipError_tPvRmT2_T3_T4_T5_mT6_T7_P12ihipStream_tbENKUlT_T0_E_clISt17integral_constantIbLb0EESZ_EEDaSU_SV_EUlSU_E_NS1_11comp_targetILNS1_3genE10ELNS1_11target_archE1200ELNS1_3gpuE4ELNS1_3repE0EEENS1_30default_config_static_selectorELNS0_4arch9wavefront6targetE0EEEvT1_.kd
    .uniform_work_group_size: 1
    .uses_dynamic_stack: false
    .vgpr_count:     0
    .vgpr_spill_count: 0
    .wavefront_size: 32
    .workgroup_processor_mode: 1
  - .args:
      - .offset:         0
        .size:           112
        .value_kind:     by_value
    .group_segment_fixed_size: 0
    .kernarg_segment_align: 8
    .kernarg_segment_size: 112
    .language:       OpenCL C
    .language_version:
      - 2
      - 0
    .max_flat_workgroup_size: 256
    .name:           _ZN7rocprim17ROCPRIM_400000_NS6detail17trampoline_kernelINS0_14default_configENS1_27scan_by_key_config_selectorIiiEEZZNS1_16scan_by_key_implILNS1_25lookback_scan_determinismE0ELb1ES3_N6thrust23THRUST_200600_302600_NS6detail15normal_iteratorINS9_10device_ptrIiEEEESE_SE_iNS9_4plusIvEENS9_8equal_toIiEEiEE10hipError_tPvRmT2_T3_T4_T5_mT6_T7_P12ihipStream_tbENKUlT_T0_E_clISt17integral_constantIbLb0EESZ_EEDaSU_SV_EUlSU_E_NS1_11comp_targetILNS1_3genE9ELNS1_11target_archE1100ELNS1_3gpuE3ELNS1_3repE0EEENS1_30default_config_static_selectorELNS0_4arch9wavefront6targetE0EEEvT1_
    .private_segment_fixed_size: 0
    .sgpr_count:     0
    .sgpr_spill_count: 0
    .symbol:         _ZN7rocprim17ROCPRIM_400000_NS6detail17trampoline_kernelINS0_14default_configENS1_27scan_by_key_config_selectorIiiEEZZNS1_16scan_by_key_implILNS1_25lookback_scan_determinismE0ELb1ES3_N6thrust23THRUST_200600_302600_NS6detail15normal_iteratorINS9_10device_ptrIiEEEESE_SE_iNS9_4plusIvEENS9_8equal_toIiEEiEE10hipError_tPvRmT2_T3_T4_T5_mT6_T7_P12ihipStream_tbENKUlT_T0_E_clISt17integral_constantIbLb0EESZ_EEDaSU_SV_EUlSU_E_NS1_11comp_targetILNS1_3genE9ELNS1_11target_archE1100ELNS1_3gpuE3ELNS1_3repE0EEENS1_30default_config_static_selectorELNS0_4arch9wavefront6targetE0EEEvT1_.kd
    .uniform_work_group_size: 1
    .uses_dynamic_stack: false
    .vgpr_count:     0
    .vgpr_spill_count: 0
    .wavefront_size: 32
    .workgroup_processor_mode: 1
  - .args:
      - .offset:         0
        .size:           112
        .value_kind:     by_value
    .group_segment_fixed_size: 5120
    .kernarg_segment_align: 8
    .kernarg_segment_size: 112
    .language:       OpenCL C
    .language_version:
      - 2
      - 0
    .max_flat_workgroup_size: 256
    .name:           _ZN7rocprim17ROCPRIM_400000_NS6detail17trampoline_kernelINS0_14default_configENS1_27scan_by_key_config_selectorIiiEEZZNS1_16scan_by_key_implILNS1_25lookback_scan_determinismE0ELb1ES3_N6thrust23THRUST_200600_302600_NS6detail15normal_iteratorINS9_10device_ptrIiEEEESE_SE_iNS9_4plusIvEENS9_8equal_toIiEEiEE10hipError_tPvRmT2_T3_T4_T5_mT6_T7_P12ihipStream_tbENKUlT_T0_E_clISt17integral_constantIbLb0EESZ_EEDaSU_SV_EUlSU_E_NS1_11comp_targetILNS1_3genE8ELNS1_11target_archE1030ELNS1_3gpuE2ELNS1_3repE0EEENS1_30default_config_static_selectorELNS0_4arch9wavefront6targetE0EEEvT1_
    .private_segment_fixed_size: 0
    .sgpr_count:     32
    .sgpr_spill_count: 0
    .symbol:         _ZN7rocprim17ROCPRIM_400000_NS6detail17trampoline_kernelINS0_14default_configENS1_27scan_by_key_config_selectorIiiEEZZNS1_16scan_by_key_implILNS1_25lookback_scan_determinismE0ELb1ES3_N6thrust23THRUST_200600_302600_NS6detail15normal_iteratorINS9_10device_ptrIiEEEESE_SE_iNS9_4plusIvEENS9_8equal_toIiEEiEE10hipError_tPvRmT2_T3_T4_T5_mT6_T7_P12ihipStream_tbENKUlT_T0_E_clISt17integral_constantIbLb0EESZ_EEDaSU_SV_EUlSU_E_NS1_11comp_targetILNS1_3genE8ELNS1_11target_archE1030ELNS1_3gpuE2ELNS1_3repE0EEENS1_30default_config_static_selectorELNS0_4arch9wavefront6targetE0EEEvT1_.kd
    .uniform_work_group_size: 1
    .uses_dynamic_stack: false
    .vgpr_count:     42
    .vgpr_spill_count: 0
    .wavefront_size: 32
    .workgroup_processor_mode: 1
  - .args:
      - .offset:         0
        .size:           112
        .value_kind:     by_value
    .group_segment_fixed_size: 0
    .kernarg_segment_align: 8
    .kernarg_segment_size: 112
    .language:       OpenCL C
    .language_version:
      - 2
      - 0
    .max_flat_workgroup_size: 256
    .name:           _ZN7rocprim17ROCPRIM_400000_NS6detail17trampoline_kernelINS0_14default_configENS1_27scan_by_key_config_selectorIiiEEZZNS1_16scan_by_key_implILNS1_25lookback_scan_determinismE0ELb1ES3_N6thrust23THRUST_200600_302600_NS6detail15normal_iteratorINS9_10device_ptrIiEEEESE_SE_iNS9_4plusIvEENS9_8equal_toIiEEiEE10hipError_tPvRmT2_T3_T4_T5_mT6_T7_P12ihipStream_tbENKUlT_T0_E_clISt17integral_constantIbLb1EESZ_EEDaSU_SV_EUlSU_E_NS1_11comp_targetILNS1_3genE0ELNS1_11target_archE4294967295ELNS1_3gpuE0ELNS1_3repE0EEENS1_30default_config_static_selectorELNS0_4arch9wavefront6targetE0EEEvT1_
    .private_segment_fixed_size: 0
    .sgpr_count:     0
    .sgpr_spill_count: 0
    .symbol:         _ZN7rocprim17ROCPRIM_400000_NS6detail17trampoline_kernelINS0_14default_configENS1_27scan_by_key_config_selectorIiiEEZZNS1_16scan_by_key_implILNS1_25lookback_scan_determinismE0ELb1ES3_N6thrust23THRUST_200600_302600_NS6detail15normal_iteratorINS9_10device_ptrIiEEEESE_SE_iNS9_4plusIvEENS9_8equal_toIiEEiEE10hipError_tPvRmT2_T3_T4_T5_mT6_T7_P12ihipStream_tbENKUlT_T0_E_clISt17integral_constantIbLb1EESZ_EEDaSU_SV_EUlSU_E_NS1_11comp_targetILNS1_3genE0ELNS1_11target_archE4294967295ELNS1_3gpuE0ELNS1_3repE0EEENS1_30default_config_static_selectorELNS0_4arch9wavefront6targetE0EEEvT1_.kd
    .uniform_work_group_size: 1
    .uses_dynamic_stack: false
    .vgpr_count:     0
    .vgpr_spill_count: 0
    .wavefront_size: 32
    .workgroup_processor_mode: 1
  - .args:
      - .offset:         0
        .size:           112
        .value_kind:     by_value
    .group_segment_fixed_size: 0
    .kernarg_segment_align: 8
    .kernarg_segment_size: 112
    .language:       OpenCL C
    .language_version:
      - 2
      - 0
    .max_flat_workgroup_size: 256
    .name:           _ZN7rocprim17ROCPRIM_400000_NS6detail17trampoline_kernelINS0_14default_configENS1_27scan_by_key_config_selectorIiiEEZZNS1_16scan_by_key_implILNS1_25lookback_scan_determinismE0ELb1ES3_N6thrust23THRUST_200600_302600_NS6detail15normal_iteratorINS9_10device_ptrIiEEEESE_SE_iNS9_4plusIvEENS9_8equal_toIiEEiEE10hipError_tPvRmT2_T3_T4_T5_mT6_T7_P12ihipStream_tbENKUlT_T0_E_clISt17integral_constantIbLb1EESZ_EEDaSU_SV_EUlSU_E_NS1_11comp_targetILNS1_3genE10ELNS1_11target_archE1201ELNS1_3gpuE5ELNS1_3repE0EEENS1_30default_config_static_selectorELNS0_4arch9wavefront6targetE0EEEvT1_
    .private_segment_fixed_size: 0
    .sgpr_count:     0
    .sgpr_spill_count: 0
    .symbol:         _ZN7rocprim17ROCPRIM_400000_NS6detail17trampoline_kernelINS0_14default_configENS1_27scan_by_key_config_selectorIiiEEZZNS1_16scan_by_key_implILNS1_25lookback_scan_determinismE0ELb1ES3_N6thrust23THRUST_200600_302600_NS6detail15normal_iteratorINS9_10device_ptrIiEEEESE_SE_iNS9_4plusIvEENS9_8equal_toIiEEiEE10hipError_tPvRmT2_T3_T4_T5_mT6_T7_P12ihipStream_tbENKUlT_T0_E_clISt17integral_constantIbLb1EESZ_EEDaSU_SV_EUlSU_E_NS1_11comp_targetILNS1_3genE10ELNS1_11target_archE1201ELNS1_3gpuE5ELNS1_3repE0EEENS1_30default_config_static_selectorELNS0_4arch9wavefront6targetE0EEEvT1_.kd
    .uniform_work_group_size: 1
    .uses_dynamic_stack: false
    .vgpr_count:     0
    .vgpr_spill_count: 0
    .wavefront_size: 32
    .workgroup_processor_mode: 1
  - .args:
      - .offset:         0
        .size:           112
        .value_kind:     by_value
    .group_segment_fixed_size: 0
    .kernarg_segment_align: 8
    .kernarg_segment_size: 112
    .language:       OpenCL C
    .language_version:
      - 2
      - 0
    .max_flat_workgroup_size: 256
    .name:           _ZN7rocprim17ROCPRIM_400000_NS6detail17trampoline_kernelINS0_14default_configENS1_27scan_by_key_config_selectorIiiEEZZNS1_16scan_by_key_implILNS1_25lookback_scan_determinismE0ELb1ES3_N6thrust23THRUST_200600_302600_NS6detail15normal_iteratorINS9_10device_ptrIiEEEESE_SE_iNS9_4plusIvEENS9_8equal_toIiEEiEE10hipError_tPvRmT2_T3_T4_T5_mT6_T7_P12ihipStream_tbENKUlT_T0_E_clISt17integral_constantIbLb1EESZ_EEDaSU_SV_EUlSU_E_NS1_11comp_targetILNS1_3genE5ELNS1_11target_archE942ELNS1_3gpuE9ELNS1_3repE0EEENS1_30default_config_static_selectorELNS0_4arch9wavefront6targetE0EEEvT1_
    .private_segment_fixed_size: 0
    .sgpr_count:     0
    .sgpr_spill_count: 0
    .symbol:         _ZN7rocprim17ROCPRIM_400000_NS6detail17trampoline_kernelINS0_14default_configENS1_27scan_by_key_config_selectorIiiEEZZNS1_16scan_by_key_implILNS1_25lookback_scan_determinismE0ELb1ES3_N6thrust23THRUST_200600_302600_NS6detail15normal_iteratorINS9_10device_ptrIiEEEESE_SE_iNS9_4plusIvEENS9_8equal_toIiEEiEE10hipError_tPvRmT2_T3_T4_T5_mT6_T7_P12ihipStream_tbENKUlT_T0_E_clISt17integral_constantIbLb1EESZ_EEDaSU_SV_EUlSU_E_NS1_11comp_targetILNS1_3genE5ELNS1_11target_archE942ELNS1_3gpuE9ELNS1_3repE0EEENS1_30default_config_static_selectorELNS0_4arch9wavefront6targetE0EEEvT1_.kd
    .uniform_work_group_size: 1
    .uses_dynamic_stack: false
    .vgpr_count:     0
    .vgpr_spill_count: 0
    .wavefront_size: 32
    .workgroup_processor_mode: 1
  - .args:
      - .offset:         0
        .size:           112
        .value_kind:     by_value
    .group_segment_fixed_size: 0
    .kernarg_segment_align: 8
    .kernarg_segment_size: 112
    .language:       OpenCL C
    .language_version:
      - 2
      - 0
    .max_flat_workgroup_size: 256
    .name:           _ZN7rocprim17ROCPRIM_400000_NS6detail17trampoline_kernelINS0_14default_configENS1_27scan_by_key_config_selectorIiiEEZZNS1_16scan_by_key_implILNS1_25lookback_scan_determinismE0ELb1ES3_N6thrust23THRUST_200600_302600_NS6detail15normal_iteratorINS9_10device_ptrIiEEEESE_SE_iNS9_4plusIvEENS9_8equal_toIiEEiEE10hipError_tPvRmT2_T3_T4_T5_mT6_T7_P12ihipStream_tbENKUlT_T0_E_clISt17integral_constantIbLb1EESZ_EEDaSU_SV_EUlSU_E_NS1_11comp_targetILNS1_3genE4ELNS1_11target_archE910ELNS1_3gpuE8ELNS1_3repE0EEENS1_30default_config_static_selectorELNS0_4arch9wavefront6targetE0EEEvT1_
    .private_segment_fixed_size: 0
    .sgpr_count:     0
    .sgpr_spill_count: 0
    .symbol:         _ZN7rocprim17ROCPRIM_400000_NS6detail17trampoline_kernelINS0_14default_configENS1_27scan_by_key_config_selectorIiiEEZZNS1_16scan_by_key_implILNS1_25lookback_scan_determinismE0ELb1ES3_N6thrust23THRUST_200600_302600_NS6detail15normal_iteratorINS9_10device_ptrIiEEEESE_SE_iNS9_4plusIvEENS9_8equal_toIiEEiEE10hipError_tPvRmT2_T3_T4_T5_mT6_T7_P12ihipStream_tbENKUlT_T0_E_clISt17integral_constantIbLb1EESZ_EEDaSU_SV_EUlSU_E_NS1_11comp_targetILNS1_3genE4ELNS1_11target_archE910ELNS1_3gpuE8ELNS1_3repE0EEENS1_30default_config_static_selectorELNS0_4arch9wavefront6targetE0EEEvT1_.kd
    .uniform_work_group_size: 1
    .uses_dynamic_stack: false
    .vgpr_count:     0
    .vgpr_spill_count: 0
    .wavefront_size: 32
    .workgroup_processor_mode: 1
  - .args:
      - .offset:         0
        .size:           112
        .value_kind:     by_value
    .group_segment_fixed_size: 0
    .kernarg_segment_align: 8
    .kernarg_segment_size: 112
    .language:       OpenCL C
    .language_version:
      - 2
      - 0
    .max_flat_workgroup_size: 256
    .name:           _ZN7rocprim17ROCPRIM_400000_NS6detail17trampoline_kernelINS0_14default_configENS1_27scan_by_key_config_selectorIiiEEZZNS1_16scan_by_key_implILNS1_25lookback_scan_determinismE0ELb1ES3_N6thrust23THRUST_200600_302600_NS6detail15normal_iteratorINS9_10device_ptrIiEEEESE_SE_iNS9_4plusIvEENS9_8equal_toIiEEiEE10hipError_tPvRmT2_T3_T4_T5_mT6_T7_P12ihipStream_tbENKUlT_T0_E_clISt17integral_constantIbLb1EESZ_EEDaSU_SV_EUlSU_E_NS1_11comp_targetILNS1_3genE3ELNS1_11target_archE908ELNS1_3gpuE7ELNS1_3repE0EEENS1_30default_config_static_selectorELNS0_4arch9wavefront6targetE0EEEvT1_
    .private_segment_fixed_size: 0
    .sgpr_count:     0
    .sgpr_spill_count: 0
    .symbol:         _ZN7rocprim17ROCPRIM_400000_NS6detail17trampoline_kernelINS0_14default_configENS1_27scan_by_key_config_selectorIiiEEZZNS1_16scan_by_key_implILNS1_25lookback_scan_determinismE0ELb1ES3_N6thrust23THRUST_200600_302600_NS6detail15normal_iteratorINS9_10device_ptrIiEEEESE_SE_iNS9_4plusIvEENS9_8equal_toIiEEiEE10hipError_tPvRmT2_T3_T4_T5_mT6_T7_P12ihipStream_tbENKUlT_T0_E_clISt17integral_constantIbLb1EESZ_EEDaSU_SV_EUlSU_E_NS1_11comp_targetILNS1_3genE3ELNS1_11target_archE908ELNS1_3gpuE7ELNS1_3repE0EEENS1_30default_config_static_selectorELNS0_4arch9wavefront6targetE0EEEvT1_.kd
    .uniform_work_group_size: 1
    .uses_dynamic_stack: false
    .vgpr_count:     0
    .vgpr_spill_count: 0
    .wavefront_size: 32
    .workgroup_processor_mode: 1
  - .args:
      - .offset:         0
        .size:           112
        .value_kind:     by_value
    .group_segment_fixed_size: 0
    .kernarg_segment_align: 8
    .kernarg_segment_size: 112
    .language:       OpenCL C
    .language_version:
      - 2
      - 0
    .max_flat_workgroup_size: 256
    .name:           _ZN7rocprim17ROCPRIM_400000_NS6detail17trampoline_kernelINS0_14default_configENS1_27scan_by_key_config_selectorIiiEEZZNS1_16scan_by_key_implILNS1_25lookback_scan_determinismE0ELb1ES3_N6thrust23THRUST_200600_302600_NS6detail15normal_iteratorINS9_10device_ptrIiEEEESE_SE_iNS9_4plusIvEENS9_8equal_toIiEEiEE10hipError_tPvRmT2_T3_T4_T5_mT6_T7_P12ihipStream_tbENKUlT_T0_E_clISt17integral_constantIbLb1EESZ_EEDaSU_SV_EUlSU_E_NS1_11comp_targetILNS1_3genE2ELNS1_11target_archE906ELNS1_3gpuE6ELNS1_3repE0EEENS1_30default_config_static_selectorELNS0_4arch9wavefront6targetE0EEEvT1_
    .private_segment_fixed_size: 0
    .sgpr_count:     0
    .sgpr_spill_count: 0
    .symbol:         _ZN7rocprim17ROCPRIM_400000_NS6detail17trampoline_kernelINS0_14default_configENS1_27scan_by_key_config_selectorIiiEEZZNS1_16scan_by_key_implILNS1_25lookback_scan_determinismE0ELb1ES3_N6thrust23THRUST_200600_302600_NS6detail15normal_iteratorINS9_10device_ptrIiEEEESE_SE_iNS9_4plusIvEENS9_8equal_toIiEEiEE10hipError_tPvRmT2_T3_T4_T5_mT6_T7_P12ihipStream_tbENKUlT_T0_E_clISt17integral_constantIbLb1EESZ_EEDaSU_SV_EUlSU_E_NS1_11comp_targetILNS1_3genE2ELNS1_11target_archE906ELNS1_3gpuE6ELNS1_3repE0EEENS1_30default_config_static_selectorELNS0_4arch9wavefront6targetE0EEEvT1_.kd
    .uniform_work_group_size: 1
    .uses_dynamic_stack: false
    .vgpr_count:     0
    .vgpr_spill_count: 0
    .wavefront_size: 32
    .workgroup_processor_mode: 1
  - .args:
      - .offset:         0
        .size:           112
        .value_kind:     by_value
    .group_segment_fixed_size: 0
    .kernarg_segment_align: 8
    .kernarg_segment_size: 112
    .language:       OpenCL C
    .language_version:
      - 2
      - 0
    .max_flat_workgroup_size: 256
    .name:           _ZN7rocprim17ROCPRIM_400000_NS6detail17trampoline_kernelINS0_14default_configENS1_27scan_by_key_config_selectorIiiEEZZNS1_16scan_by_key_implILNS1_25lookback_scan_determinismE0ELb1ES3_N6thrust23THRUST_200600_302600_NS6detail15normal_iteratorINS9_10device_ptrIiEEEESE_SE_iNS9_4plusIvEENS9_8equal_toIiEEiEE10hipError_tPvRmT2_T3_T4_T5_mT6_T7_P12ihipStream_tbENKUlT_T0_E_clISt17integral_constantIbLb1EESZ_EEDaSU_SV_EUlSU_E_NS1_11comp_targetILNS1_3genE10ELNS1_11target_archE1200ELNS1_3gpuE4ELNS1_3repE0EEENS1_30default_config_static_selectorELNS0_4arch9wavefront6targetE0EEEvT1_
    .private_segment_fixed_size: 0
    .sgpr_count:     0
    .sgpr_spill_count: 0
    .symbol:         _ZN7rocprim17ROCPRIM_400000_NS6detail17trampoline_kernelINS0_14default_configENS1_27scan_by_key_config_selectorIiiEEZZNS1_16scan_by_key_implILNS1_25lookback_scan_determinismE0ELb1ES3_N6thrust23THRUST_200600_302600_NS6detail15normal_iteratorINS9_10device_ptrIiEEEESE_SE_iNS9_4plusIvEENS9_8equal_toIiEEiEE10hipError_tPvRmT2_T3_T4_T5_mT6_T7_P12ihipStream_tbENKUlT_T0_E_clISt17integral_constantIbLb1EESZ_EEDaSU_SV_EUlSU_E_NS1_11comp_targetILNS1_3genE10ELNS1_11target_archE1200ELNS1_3gpuE4ELNS1_3repE0EEENS1_30default_config_static_selectorELNS0_4arch9wavefront6targetE0EEEvT1_.kd
    .uniform_work_group_size: 1
    .uses_dynamic_stack: false
    .vgpr_count:     0
    .vgpr_spill_count: 0
    .wavefront_size: 32
    .workgroup_processor_mode: 1
  - .args:
      - .offset:         0
        .size:           112
        .value_kind:     by_value
    .group_segment_fixed_size: 0
    .kernarg_segment_align: 8
    .kernarg_segment_size: 112
    .language:       OpenCL C
    .language_version:
      - 2
      - 0
    .max_flat_workgroup_size: 256
    .name:           _ZN7rocprim17ROCPRIM_400000_NS6detail17trampoline_kernelINS0_14default_configENS1_27scan_by_key_config_selectorIiiEEZZNS1_16scan_by_key_implILNS1_25lookback_scan_determinismE0ELb1ES3_N6thrust23THRUST_200600_302600_NS6detail15normal_iteratorINS9_10device_ptrIiEEEESE_SE_iNS9_4plusIvEENS9_8equal_toIiEEiEE10hipError_tPvRmT2_T3_T4_T5_mT6_T7_P12ihipStream_tbENKUlT_T0_E_clISt17integral_constantIbLb1EESZ_EEDaSU_SV_EUlSU_E_NS1_11comp_targetILNS1_3genE9ELNS1_11target_archE1100ELNS1_3gpuE3ELNS1_3repE0EEENS1_30default_config_static_selectorELNS0_4arch9wavefront6targetE0EEEvT1_
    .private_segment_fixed_size: 0
    .sgpr_count:     0
    .sgpr_spill_count: 0
    .symbol:         _ZN7rocprim17ROCPRIM_400000_NS6detail17trampoline_kernelINS0_14default_configENS1_27scan_by_key_config_selectorIiiEEZZNS1_16scan_by_key_implILNS1_25lookback_scan_determinismE0ELb1ES3_N6thrust23THRUST_200600_302600_NS6detail15normal_iteratorINS9_10device_ptrIiEEEESE_SE_iNS9_4plusIvEENS9_8equal_toIiEEiEE10hipError_tPvRmT2_T3_T4_T5_mT6_T7_P12ihipStream_tbENKUlT_T0_E_clISt17integral_constantIbLb1EESZ_EEDaSU_SV_EUlSU_E_NS1_11comp_targetILNS1_3genE9ELNS1_11target_archE1100ELNS1_3gpuE3ELNS1_3repE0EEENS1_30default_config_static_selectorELNS0_4arch9wavefront6targetE0EEEvT1_.kd
    .uniform_work_group_size: 1
    .uses_dynamic_stack: false
    .vgpr_count:     0
    .vgpr_spill_count: 0
    .wavefront_size: 32
    .workgroup_processor_mode: 1
  - .args:
      - .offset:         0
        .size:           112
        .value_kind:     by_value
    .group_segment_fixed_size: 0
    .kernarg_segment_align: 8
    .kernarg_segment_size: 112
    .language:       OpenCL C
    .language_version:
      - 2
      - 0
    .max_flat_workgroup_size: 256
    .name:           _ZN7rocprim17ROCPRIM_400000_NS6detail17trampoline_kernelINS0_14default_configENS1_27scan_by_key_config_selectorIiiEEZZNS1_16scan_by_key_implILNS1_25lookback_scan_determinismE0ELb1ES3_N6thrust23THRUST_200600_302600_NS6detail15normal_iteratorINS9_10device_ptrIiEEEESE_SE_iNS9_4plusIvEENS9_8equal_toIiEEiEE10hipError_tPvRmT2_T3_T4_T5_mT6_T7_P12ihipStream_tbENKUlT_T0_E_clISt17integral_constantIbLb1EESZ_EEDaSU_SV_EUlSU_E_NS1_11comp_targetILNS1_3genE8ELNS1_11target_archE1030ELNS1_3gpuE2ELNS1_3repE0EEENS1_30default_config_static_selectorELNS0_4arch9wavefront6targetE0EEEvT1_
    .private_segment_fixed_size: 0
    .sgpr_count:     0
    .sgpr_spill_count: 0
    .symbol:         _ZN7rocprim17ROCPRIM_400000_NS6detail17trampoline_kernelINS0_14default_configENS1_27scan_by_key_config_selectorIiiEEZZNS1_16scan_by_key_implILNS1_25lookback_scan_determinismE0ELb1ES3_N6thrust23THRUST_200600_302600_NS6detail15normal_iteratorINS9_10device_ptrIiEEEESE_SE_iNS9_4plusIvEENS9_8equal_toIiEEiEE10hipError_tPvRmT2_T3_T4_T5_mT6_T7_P12ihipStream_tbENKUlT_T0_E_clISt17integral_constantIbLb1EESZ_EEDaSU_SV_EUlSU_E_NS1_11comp_targetILNS1_3genE8ELNS1_11target_archE1030ELNS1_3gpuE2ELNS1_3repE0EEENS1_30default_config_static_selectorELNS0_4arch9wavefront6targetE0EEEvT1_.kd
    .uniform_work_group_size: 1
    .uses_dynamic_stack: false
    .vgpr_count:     0
    .vgpr_spill_count: 0
    .wavefront_size: 32
    .workgroup_processor_mode: 1
  - .args:
      - .offset:         0
        .size:           112
        .value_kind:     by_value
    .group_segment_fixed_size: 0
    .kernarg_segment_align: 8
    .kernarg_segment_size: 112
    .language:       OpenCL C
    .language_version:
      - 2
      - 0
    .max_flat_workgroup_size: 256
    .name:           _ZN7rocprim17ROCPRIM_400000_NS6detail17trampoline_kernelINS0_14default_configENS1_27scan_by_key_config_selectorIiiEEZZNS1_16scan_by_key_implILNS1_25lookback_scan_determinismE0ELb1ES3_N6thrust23THRUST_200600_302600_NS6detail15normal_iteratorINS9_10device_ptrIiEEEESE_SE_iNS9_4plusIvEENS9_8equal_toIiEEiEE10hipError_tPvRmT2_T3_T4_T5_mT6_T7_P12ihipStream_tbENKUlT_T0_E_clISt17integral_constantIbLb1EESY_IbLb0EEEEDaSU_SV_EUlSU_E_NS1_11comp_targetILNS1_3genE0ELNS1_11target_archE4294967295ELNS1_3gpuE0ELNS1_3repE0EEENS1_30default_config_static_selectorELNS0_4arch9wavefront6targetE0EEEvT1_
    .private_segment_fixed_size: 0
    .sgpr_count:     0
    .sgpr_spill_count: 0
    .symbol:         _ZN7rocprim17ROCPRIM_400000_NS6detail17trampoline_kernelINS0_14default_configENS1_27scan_by_key_config_selectorIiiEEZZNS1_16scan_by_key_implILNS1_25lookback_scan_determinismE0ELb1ES3_N6thrust23THRUST_200600_302600_NS6detail15normal_iteratorINS9_10device_ptrIiEEEESE_SE_iNS9_4plusIvEENS9_8equal_toIiEEiEE10hipError_tPvRmT2_T3_T4_T5_mT6_T7_P12ihipStream_tbENKUlT_T0_E_clISt17integral_constantIbLb1EESY_IbLb0EEEEDaSU_SV_EUlSU_E_NS1_11comp_targetILNS1_3genE0ELNS1_11target_archE4294967295ELNS1_3gpuE0ELNS1_3repE0EEENS1_30default_config_static_selectorELNS0_4arch9wavefront6targetE0EEEvT1_.kd
    .uniform_work_group_size: 1
    .uses_dynamic_stack: false
    .vgpr_count:     0
    .vgpr_spill_count: 0
    .wavefront_size: 32
    .workgroup_processor_mode: 1
  - .args:
      - .offset:         0
        .size:           112
        .value_kind:     by_value
    .group_segment_fixed_size: 0
    .kernarg_segment_align: 8
    .kernarg_segment_size: 112
    .language:       OpenCL C
    .language_version:
      - 2
      - 0
    .max_flat_workgroup_size: 256
    .name:           _ZN7rocprim17ROCPRIM_400000_NS6detail17trampoline_kernelINS0_14default_configENS1_27scan_by_key_config_selectorIiiEEZZNS1_16scan_by_key_implILNS1_25lookback_scan_determinismE0ELb1ES3_N6thrust23THRUST_200600_302600_NS6detail15normal_iteratorINS9_10device_ptrIiEEEESE_SE_iNS9_4plusIvEENS9_8equal_toIiEEiEE10hipError_tPvRmT2_T3_T4_T5_mT6_T7_P12ihipStream_tbENKUlT_T0_E_clISt17integral_constantIbLb1EESY_IbLb0EEEEDaSU_SV_EUlSU_E_NS1_11comp_targetILNS1_3genE10ELNS1_11target_archE1201ELNS1_3gpuE5ELNS1_3repE0EEENS1_30default_config_static_selectorELNS0_4arch9wavefront6targetE0EEEvT1_
    .private_segment_fixed_size: 0
    .sgpr_count:     0
    .sgpr_spill_count: 0
    .symbol:         _ZN7rocprim17ROCPRIM_400000_NS6detail17trampoline_kernelINS0_14default_configENS1_27scan_by_key_config_selectorIiiEEZZNS1_16scan_by_key_implILNS1_25lookback_scan_determinismE0ELb1ES3_N6thrust23THRUST_200600_302600_NS6detail15normal_iteratorINS9_10device_ptrIiEEEESE_SE_iNS9_4plusIvEENS9_8equal_toIiEEiEE10hipError_tPvRmT2_T3_T4_T5_mT6_T7_P12ihipStream_tbENKUlT_T0_E_clISt17integral_constantIbLb1EESY_IbLb0EEEEDaSU_SV_EUlSU_E_NS1_11comp_targetILNS1_3genE10ELNS1_11target_archE1201ELNS1_3gpuE5ELNS1_3repE0EEENS1_30default_config_static_selectorELNS0_4arch9wavefront6targetE0EEEvT1_.kd
    .uniform_work_group_size: 1
    .uses_dynamic_stack: false
    .vgpr_count:     0
    .vgpr_spill_count: 0
    .wavefront_size: 32
    .workgroup_processor_mode: 1
  - .args:
      - .offset:         0
        .size:           112
        .value_kind:     by_value
    .group_segment_fixed_size: 0
    .kernarg_segment_align: 8
    .kernarg_segment_size: 112
    .language:       OpenCL C
    .language_version:
      - 2
      - 0
    .max_flat_workgroup_size: 256
    .name:           _ZN7rocprim17ROCPRIM_400000_NS6detail17trampoline_kernelINS0_14default_configENS1_27scan_by_key_config_selectorIiiEEZZNS1_16scan_by_key_implILNS1_25lookback_scan_determinismE0ELb1ES3_N6thrust23THRUST_200600_302600_NS6detail15normal_iteratorINS9_10device_ptrIiEEEESE_SE_iNS9_4plusIvEENS9_8equal_toIiEEiEE10hipError_tPvRmT2_T3_T4_T5_mT6_T7_P12ihipStream_tbENKUlT_T0_E_clISt17integral_constantIbLb1EESY_IbLb0EEEEDaSU_SV_EUlSU_E_NS1_11comp_targetILNS1_3genE5ELNS1_11target_archE942ELNS1_3gpuE9ELNS1_3repE0EEENS1_30default_config_static_selectorELNS0_4arch9wavefront6targetE0EEEvT1_
    .private_segment_fixed_size: 0
    .sgpr_count:     0
    .sgpr_spill_count: 0
    .symbol:         _ZN7rocprim17ROCPRIM_400000_NS6detail17trampoline_kernelINS0_14default_configENS1_27scan_by_key_config_selectorIiiEEZZNS1_16scan_by_key_implILNS1_25lookback_scan_determinismE0ELb1ES3_N6thrust23THRUST_200600_302600_NS6detail15normal_iteratorINS9_10device_ptrIiEEEESE_SE_iNS9_4plusIvEENS9_8equal_toIiEEiEE10hipError_tPvRmT2_T3_T4_T5_mT6_T7_P12ihipStream_tbENKUlT_T0_E_clISt17integral_constantIbLb1EESY_IbLb0EEEEDaSU_SV_EUlSU_E_NS1_11comp_targetILNS1_3genE5ELNS1_11target_archE942ELNS1_3gpuE9ELNS1_3repE0EEENS1_30default_config_static_selectorELNS0_4arch9wavefront6targetE0EEEvT1_.kd
    .uniform_work_group_size: 1
    .uses_dynamic_stack: false
    .vgpr_count:     0
    .vgpr_spill_count: 0
    .wavefront_size: 32
    .workgroup_processor_mode: 1
  - .args:
      - .offset:         0
        .size:           112
        .value_kind:     by_value
    .group_segment_fixed_size: 0
    .kernarg_segment_align: 8
    .kernarg_segment_size: 112
    .language:       OpenCL C
    .language_version:
      - 2
      - 0
    .max_flat_workgroup_size: 256
    .name:           _ZN7rocprim17ROCPRIM_400000_NS6detail17trampoline_kernelINS0_14default_configENS1_27scan_by_key_config_selectorIiiEEZZNS1_16scan_by_key_implILNS1_25lookback_scan_determinismE0ELb1ES3_N6thrust23THRUST_200600_302600_NS6detail15normal_iteratorINS9_10device_ptrIiEEEESE_SE_iNS9_4plusIvEENS9_8equal_toIiEEiEE10hipError_tPvRmT2_T3_T4_T5_mT6_T7_P12ihipStream_tbENKUlT_T0_E_clISt17integral_constantIbLb1EESY_IbLb0EEEEDaSU_SV_EUlSU_E_NS1_11comp_targetILNS1_3genE4ELNS1_11target_archE910ELNS1_3gpuE8ELNS1_3repE0EEENS1_30default_config_static_selectorELNS0_4arch9wavefront6targetE0EEEvT1_
    .private_segment_fixed_size: 0
    .sgpr_count:     0
    .sgpr_spill_count: 0
    .symbol:         _ZN7rocprim17ROCPRIM_400000_NS6detail17trampoline_kernelINS0_14default_configENS1_27scan_by_key_config_selectorIiiEEZZNS1_16scan_by_key_implILNS1_25lookback_scan_determinismE0ELb1ES3_N6thrust23THRUST_200600_302600_NS6detail15normal_iteratorINS9_10device_ptrIiEEEESE_SE_iNS9_4plusIvEENS9_8equal_toIiEEiEE10hipError_tPvRmT2_T3_T4_T5_mT6_T7_P12ihipStream_tbENKUlT_T0_E_clISt17integral_constantIbLb1EESY_IbLb0EEEEDaSU_SV_EUlSU_E_NS1_11comp_targetILNS1_3genE4ELNS1_11target_archE910ELNS1_3gpuE8ELNS1_3repE0EEENS1_30default_config_static_selectorELNS0_4arch9wavefront6targetE0EEEvT1_.kd
    .uniform_work_group_size: 1
    .uses_dynamic_stack: false
    .vgpr_count:     0
    .vgpr_spill_count: 0
    .wavefront_size: 32
    .workgroup_processor_mode: 1
  - .args:
      - .offset:         0
        .size:           112
        .value_kind:     by_value
    .group_segment_fixed_size: 0
    .kernarg_segment_align: 8
    .kernarg_segment_size: 112
    .language:       OpenCL C
    .language_version:
      - 2
      - 0
    .max_flat_workgroup_size: 256
    .name:           _ZN7rocprim17ROCPRIM_400000_NS6detail17trampoline_kernelINS0_14default_configENS1_27scan_by_key_config_selectorIiiEEZZNS1_16scan_by_key_implILNS1_25lookback_scan_determinismE0ELb1ES3_N6thrust23THRUST_200600_302600_NS6detail15normal_iteratorINS9_10device_ptrIiEEEESE_SE_iNS9_4plusIvEENS9_8equal_toIiEEiEE10hipError_tPvRmT2_T3_T4_T5_mT6_T7_P12ihipStream_tbENKUlT_T0_E_clISt17integral_constantIbLb1EESY_IbLb0EEEEDaSU_SV_EUlSU_E_NS1_11comp_targetILNS1_3genE3ELNS1_11target_archE908ELNS1_3gpuE7ELNS1_3repE0EEENS1_30default_config_static_selectorELNS0_4arch9wavefront6targetE0EEEvT1_
    .private_segment_fixed_size: 0
    .sgpr_count:     0
    .sgpr_spill_count: 0
    .symbol:         _ZN7rocprim17ROCPRIM_400000_NS6detail17trampoline_kernelINS0_14default_configENS1_27scan_by_key_config_selectorIiiEEZZNS1_16scan_by_key_implILNS1_25lookback_scan_determinismE0ELb1ES3_N6thrust23THRUST_200600_302600_NS6detail15normal_iteratorINS9_10device_ptrIiEEEESE_SE_iNS9_4plusIvEENS9_8equal_toIiEEiEE10hipError_tPvRmT2_T3_T4_T5_mT6_T7_P12ihipStream_tbENKUlT_T0_E_clISt17integral_constantIbLb1EESY_IbLb0EEEEDaSU_SV_EUlSU_E_NS1_11comp_targetILNS1_3genE3ELNS1_11target_archE908ELNS1_3gpuE7ELNS1_3repE0EEENS1_30default_config_static_selectorELNS0_4arch9wavefront6targetE0EEEvT1_.kd
    .uniform_work_group_size: 1
    .uses_dynamic_stack: false
    .vgpr_count:     0
    .vgpr_spill_count: 0
    .wavefront_size: 32
    .workgroup_processor_mode: 1
  - .args:
      - .offset:         0
        .size:           112
        .value_kind:     by_value
    .group_segment_fixed_size: 0
    .kernarg_segment_align: 8
    .kernarg_segment_size: 112
    .language:       OpenCL C
    .language_version:
      - 2
      - 0
    .max_flat_workgroup_size: 256
    .name:           _ZN7rocprim17ROCPRIM_400000_NS6detail17trampoline_kernelINS0_14default_configENS1_27scan_by_key_config_selectorIiiEEZZNS1_16scan_by_key_implILNS1_25lookback_scan_determinismE0ELb1ES3_N6thrust23THRUST_200600_302600_NS6detail15normal_iteratorINS9_10device_ptrIiEEEESE_SE_iNS9_4plusIvEENS9_8equal_toIiEEiEE10hipError_tPvRmT2_T3_T4_T5_mT6_T7_P12ihipStream_tbENKUlT_T0_E_clISt17integral_constantIbLb1EESY_IbLb0EEEEDaSU_SV_EUlSU_E_NS1_11comp_targetILNS1_3genE2ELNS1_11target_archE906ELNS1_3gpuE6ELNS1_3repE0EEENS1_30default_config_static_selectorELNS0_4arch9wavefront6targetE0EEEvT1_
    .private_segment_fixed_size: 0
    .sgpr_count:     0
    .sgpr_spill_count: 0
    .symbol:         _ZN7rocprim17ROCPRIM_400000_NS6detail17trampoline_kernelINS0_14default_configENS1_27scan_by_key_config_selectorIiiEEZZNS1_16scan_by_key_implILNS1_25lookback_scan_determinismE0ELb1ES3_N6thrust23THRUST_200600_302600_NS6detail15normal_iteratorINS9_10device_ptrIiEEEESE_SE_iNS9_4plusIvEENS9_8equal_toIiEEiEE10hipError_tPvRmT2_T3_T4_T5_mT6_T7_P12ihipStream_tbENKUlT_T0_E_clISt17integral_constantIbLb1EESY_IbLb0EEEEDaSU_SV_EUlSU_E_NS1_11comp_targetILNS1_3genE2ELNS1_11target_archE906ELNS1_3gpuE6ELNS1_3repE0EEENS1_30default_config_static_selectorELNS0_4arch9wavefront6targetE0EEEvT1_.kd
    .uniform_work_group_size: 1
    .uses_dynamic_stack: false
    .vgpr_count:     0
    .vgpr_spill_count: 0
    .wavefront_size: 32
    .workgroup_processor_mode: 1
  - .args:
      - .offset:         0
        .size:           112
        .value_kind:     by_value
    .group_segment_fixed_size: 0
    .kernarg_segment_align: 8
    .kernarg_segment_size: 112
    .language:       OpenCL C
    .language_version:
      - 2
      - 0
    .max_flat_workgroup_size: 256
    .name:           _ZN7rocprim17ROCPRIM_400000_NS6detail17trampoline_kernelINS0_14default_configENS1_27scan_by_key_config_selectorIiiEEZZNS1_16scan_by_key_implILNS1_25lookback_scan_determinismE0ELb1ES3_N6thrust23THRUST_200600_302600_NS6detail15normal_iteratorINS9_10device_ptrIiEEEESE_SE_iNS9_4plusIvEENS9_8equal_toIiEEiEE10hipError_tPvRmT2_T3_T4_T5_mT6_T7_P12ihipStream_tbENKUlT_T0_E_clISt17integral_constantIbLb1EESY_IbLb0EEEEDaSU_SV_EUlSU_E_NS1_11comp_targetILNS1_3genE10ELNS1_11target_archE1200ELNS1_3gpuE4ELNS1_3repE0EEENS1_30default_config_static_selectorELNS0_4arch9wavefront6targetE0EEEvT1_
    .private_segment_fixed_size: 0
    .sgpr_count:     0
    .sgpr_spill_count: 0
    .symbol:         _ZN7rocprim17ROCPRIM_400000_NS6detail17trampoline_kernelINS0_14default_configENS1_27scan_by_key_config_selectorIiiEEZZNS1_16scan_by_key_implILNS1_25lookback_scan_determinismE0ELb1ES3_N6thrust23THRUST_200600_302600_NS6detail15normal_iteratorINS9_10device_ptrIiEEEESE_SE_iNS9_4plusIvEENS9_8equal_toIiEEiEE10hipError_tPvRmT2_T3_T4_T5_mT6_T7_P12ihipStream_tbENKUlT_T0_E_clISt17integral_constantIbLb1EESY_IbLb0EEEEDaSU_SV_EUlSU_E_NS1_11comp_targetILNS1_3genE10ELNS1_11target_archE1200ELNS1_3gpuE4ELNS1_3repE0EEENS1_30default_config_static_selectorELNS0_4arch9wavefront6targetE0EEEvT1_.kd
    .uniform_work_group_size: 1
    .uses_dynamic_stack: false
    .vgpr_count:     0
    .vgpr_spill_count: 0
    .wavefront_size: 32
    .workgroup_processor_mode: 1
  - .args:
      - .offset:         0
        .size:           112
        .value_kind:     by_value
    .group_segment_fixed_size: 0
    .kernarg_segment_align: 8
    .kernarg_segment_size: 112
    .language:       OpenCL C
    .language_version:
      - 2
      - 0
    .max_flat_workgroup_size: 256
    .name:           _ZN7rocprim17ROCPRIM_400000_NS6detail17trampoline_kernelINS0_14default_configENS1_27scan_by_key_config_selectorIiiEEZZNS1_16scan_by_key_implILNS1_25lookback_scan_determinismE0ELb1ES3_N6thrust23THRUST_200600_302600_NS6detail15normal_iteratorINS9_10device_ptrIiEEEESE_SE_iNS9_4plusIvEENS9_8equal_toIiEEiEE10hipError_tPvRmT2_T3_T4_T5_mT6_T7_P12ihipStream_tbENKUlT_T0_E_clISt17integral_constantIbLb1EESY_IbLb0EEEEDaSU_SV_EUlSU_E_NS1_11comp_targetILNS1_3genE9ELNS1_11target_archE1100ELNS1_3gpuE3ELNS1_3repE0EEENS1_30default_config_static_selectorELNS0_4arch9wavefront6targetE0EEEvT1_
    .private_segment_fixed_size: 0
    .sgpr_count:     0
    .sgpr_spill_count: 0
    .symbol:         _ZN7rocprim17ROCPRIM_400000_NS6detail17trampoline_kernelINS0_14default_configENS1_27scan_by_key_config_selectorIiiEEZZNS1_16scan_by_key_implILNS1_25lookback_scan_determinismE0ELb1ES3_N6thrust23THRUST_200600_302600_NS6detail15normal_iteratorINS9_10device_ptrIiEEEESE_SE_iNS9_4plusIvEENS9_8equal_toIiEEiEE10hipError_tPvRmT2_T3_T4_T5_mT6_T7_P12ihipStream_tbENKUlT_T0_E_clISt17integral_constantIbLb1EESY_IbLb0EEEEDaSU_SV_EUlSU_E_NS1_11comp_targetILNS1_3genE9ELNS1_11target_archE1100ELNS1_3gpuE3ELNS1_3repE0EEENS1_30default_config_static_selectorELNS0_4arch9wavefront6targetE0EEEvT1_.kd
    .uniform_work_group_size: 1
    .uses_dynamic_stack: false
    .vgpr_count:     0
    .vgpr_spill_count: 0
    .wavefront_size: 32
    .workgroup_processor_mode: 1
  - .args:
      - .offset:         0
        .size:           112
        .value_kind:     by_value
    .group_segment_fixed_size: 0
    .kernarg_segment_align: 8
    .kernarg_segment_size: 112
    .language:       OpenCL C
    .language_version:
      - 2
      - 0
    .max_flat_workgroup_size: 256
    .name:           _ZN7rocprim17ROCPRIM_400000_NS6detail17trampoline_kernelINS0_14default_configENS1_27scan_by_key_config_selectorIiiEEZZNS1_16scan_by_key_implILNS1_25lookback_scan_determinismE0ELb1ES3_N6thrust23THRUST_200600_302600_NS6detail15normal_iteratorINS9_10device_ptrIiEEEESE_SE_iNS9_4plusIvEENS9_8equal_toIiEEiEE10hipError_tPvRmT2_T3_T4_T5_mT6_T7_P12ihipStream_tbENKUlT_T0_E_clISt17integral_constantIbLb1EESY_IbLb0EEEEDaSU_SV_EUlSU_E_NS1_11comp_targetILNS1_3genE8ELNS1_11target_archE1030ELNS1_3gpuE2ELNS1_3repE0EEENS1_30default_config_static_selectorELNS0_4arch9wavefront6targetE0EEEvT1_
    .private_segment_fixed_size: 0
    .sgpr_count:     0
    .sgpr_spill_count: 0
    .symbol:         _ZN7rocprim17ROCPRIM_400000_NS6detail17trampoline_kernelINS0_14default_configENS1_27scan_by_key_config_selectorIiiEEZZNS1_16scan_by_key_implILNS1_25lookback_scan_determinismE0ELb1ES3_N6thrust23THRUST_200600_302600_NS6detail15normal_iteratorINS9_10device_ptrIiEEEESE_SE_iNS9_4plusIvEENS9_8equal_toIiEEiEE10hipError_tPvRmT2_T3_T4_T5_mT6_T7_P12ihipStream_tbENKUlT_T0_E_clISt17integral_constantIbLb1EESY_IbLb0EEEEDaSU_SV_EUlSU_E_NS1_11comp_targetILNS1_3genE8ELNS1_11target_archE1030ELNS1_3gpuE2ELNS1_3repE0EEENS1_30default_config_static_selectorELNS0_4arch9wavefront6targetE0EEEvT1_.kd
    .uniform_work_group_size: 1
    .uses_dynamic_stack: false
    .vgpr_count:     0
    .vgpr_spill_count: 0
    .wavefront_size: 32
    .workgroup_processor_mode: 1
  - .args:
      - .offset:         0
        .size:           112
        .value_kind:     by_value
    .group_segment_fixed_size: 0
    .kernarg_segment_align: 8
    .kernarg_segment_size: 112
    .language:       OpenCL C
    .language_version:
      - 2
      - 0
    .max_flat_workgroup_size: 256
    .name:           _ZN7rocprim17ROCPRIM_400000_NS6detail17trampoline_kernelINS0_14default_configENS1_27scan_by_key_config_selectorIiiEEZZNS1_16scan_by_key_implILNS1_25lookback_scan_determinismE0ELb1ES3_N6thrust23THRUST_200600_302600_NS6detail15normal_iteratorINS9_10device_ptrIiEEEESE_SE_iNS9_4plusIvEENS9_8equal_toIiEEiEE10hipError_tPvRmT2_T3_T4_T5_mT6_T7_P12ihipStream_tbENKUlT_T0_E_clISt17integral_constantIbLb0EESY_IbLb1EEEEDaSU_SV_EUlSU_E_NS1_11comp_targetILNS1_3genE0ELNS1_11target_archE4294967295ELNS1_3gpuE0ELNS1_3repE0EEENS1_30default_config_static_selectorELNS0_4arch9wavefront6targetE0EEEvT1_
    .private_segment_fixed_size: 0
    .sgpr_count:     0
    .sgpr_spill_count: 0
    .symbol:         _ZN7rocprim17ROCPRIM_400000_NS6detail17trampoline_kernelINS0_14default_configENS1_27scan_by_key_config_selectorIiiEEZZNS1_16scan_by_key_implILNS1_25lookback_scan_determinismE0ELb1ES3_N6thrust23THRUST_200600_302600_NS6detail15normal_iteratorINS9_10device_ptrIiEEEESE_SE_iNS9_4plusIvEENS9_8equal_toIiEEiEE10hipError_tPvRmT2_T3_T4_T5_mT6_T7_P12ihipStream_tbENKUlT_T0_E_clISt17integral_constantIbLb0EESY_IbLb1EEEEDaSU_SV_EUlSU_E_NS1_11comp_targetILNS1_3genE0ELNS1_11target_archE4294967295ELNS1_3gpuE0ELNS1_3repE0EEENS1_30default_config_static_selectorELNS0_4arch9wavefront6targetE0EEEvT1_.kd
    .uniform_work_group_size: 1
    .uses_dynamic_stack: false
    .vgpr_count:     0
    .vgpr_spill_count: 0
    .wavefront_size: 32
    .workgroup_processor_mode: 1
  - .args:
      - .offset:         0
        .size:           112
        .value_kind:     by_value
    .group_segment_fixed_size: 0
    .kernarg_segment_align: 8
    .kernarg_segment_size: 112
    .language:       OpenCL C
    .language_version:
      - 2
      - 0
    .max_flat_workgroup_size: 256
    .name:           _ZN7rocprim17ROCPRIM_400000_NS6detail17trampoline_kernelINS0_14default_configENS1_27scan_by_key_config_selectorIiiEEZZNS1_16scan_by_key_implILNS1_25lookback_scan_determinismE0ELb1ES3_N6thrust23THRUST_200600_302600_NS6detail15normal_iteratorINS9_10device_ptrIiEEEESE_SE_iNS9_4plusIvEENS9_8equal_toIiEEiEE10hipError_tPvRmT2_T3_T4_T5_mT6_T7_P12ihipStream_tbENKUlT_T0_E_clISt17integral_constantIbLb0EESY_IbLb1EEEEDaSU_SV_EUlSU_E_NS1_11comp_targetILNS1_3genE10ELNS1_11target_archE1201ELNS1_3gpuE5ELNS1_3repE0EEENS1_30default_config_static_selectorELNS0_4arch9wavefront6targetE0EEEvT1_
    .private_segment_fixed_size: 0
    .sgpr_count:     0
    .sgpr_spill_count: 0
    .symbol:         _ZN7rocprim17ROCPRIM_400000_NS6detail17trampoline_kernelINS0_14default_configENS1_27scan_by_key_config_selectorIiiEEZZNS1_16scan_by_key_implILNS1_25lookback_scan_determinismE0ELb1ES3_N6thrust23THRUST_200600_302600_NS6detail15normal_iteratorINS9_10device_ptrIiEEEESE_SE_iNS9_4plusIvEENS9_8equal_toIiEEiEE10hipError_tPvRmT2_T3_T4_T5_mT6_T7_P12ihipStream_tbENKUlT_T0_E_clISt17integral_constantIbLb0EESY_IbLb1EEEEDaSU_SV_EUlSU_E_NS1_11comp_targetILNS1_3genE10ELNS1_11target_archE1201ELNS1_3gpuE5ELNS1_3repE0EEENS1_30default_config_static_selectorELNS0_4arch9wavefront6targetE0EEEvT1_.kd
    .uniform_work_group_size: 1
    .uses_dynamic_stack: false
    .vgpr_count:     0
    .vgpr_spill_count: 0
    .wavefront_size: 32
    .workgroup_processor_mode: 1
  - .args:
      - .offset:         0
        .size:           112
        .value_kind:     by_value
    .group_segment_fixed_size: 0
    .kernarg_segment_align: 8
    .kernarg_segment_size: 112
    .language:       OpenCL C
    .language_version:
      - 2
      - 0
    .max_flat_workgroup_size: 256
    .name:           _ZN7rocprim17ROCPRIM_400000_NS6detail17trampoline_kernelINS0_14default_configENS1_27scan_by_key_config_selectorIiiEEZZNS1_16scan_by_key_implILNS1_25lookback_scan_determinismE0ELb1ES3_N6thrust23THRUST_200600_302600_NS6detail15normal_iteratorINS9_10device_ptrIiEEEESE_SE_iNS9_4plusIvEENS9_8equal_toIiEEiEE10hipError_tPvRmT2_T3_T4_T5_mT6_T7_P12ihipStream_tbENKUlT_T0_E_clISt17integral_constantIbLb0EESY_IbLb1EEEEDaSU_SV_EUlSU_E_NS1_11comp_targetILNS1_3genE5ELNS1_11target_archE942ELNS1_3gpuE9ELNS1_3repE0EEENS1_30default_config_static_selectorELNS0_4arch9wavefront6targetE0EEEvT1_
    .private_segment_fixed_size: 0
    .sgpr_count:     0
    .sgpr_spill_count: 0
    .symbol:         _ZN7rocprim17ROCPRIM_400000_NS6detail17trampoline_kernelINS0_14default_configENS1_27scan_by_key_config_selectorIiiEEZZNS1_16scan_by_key_implILNS1_25lookback_scan_determinismE0ELb1ES3_N6thrust23THRUST_200600_302600_NS6detail15normal_iteratorINS9_10device_ptrIiEEEESE_SE_iNS9_4plusIvEENS9_8equal_toIiEEiEE10hipError_tPvRmT2_T3_T4_T5_mT6_T7_P12ihipStream_tbENKUlT_T0_E_clISt17integral_constantIbLb0EESY_IbLb1EEEEDaSU_SV_EUlSU_E_NS1_11comp_targetILNS1_3genE5ELNS1_11target_archE942ELNS1_3gpuE9ELNS1_3repE0EEENS1_30default_config_static_selectorELNS0_4arch9wavefront6targetE0EEEvT1_.kd
    .uniform_work_group_size: 1
    .uses_dynamic_stack: false
    .vgpr_count:     0
    .vgpr_spill_count: 0
    .wavefront_size: 32
    .workgroup_processor_mode: 1
  - .args:
      - .offset:         0
        .size:           112
        .value_kind:     by_value
    .group_segment_fixed_size: 0
    .kernarg_segment_align: 8
    .kernarg_segment_size: 112
    .language:       OpenCL C
    .language_version:
      - 2
      - 0
    .max_flat_workgroup_size: 256
    .name:           _ZN7rocprim17ROCPRIM_400000_NS6detail17trampoline_kernelINS0_14default_configENS1_27scan_by_key_config_selectorIiiEEZZNS1_16scan_by_key_implILNS1_25lookback_scan_determinismE0ELb1ES3_N6thrust23THRUST_200600_302600_NS6detail15normal_iteratorINS9_10device_ptrIiEEEESE_SE_iNS9_4plusIvEENS9_8equal_toIiEEiEE10hipError_tPvRmT2_T3_T4_T5_mT6_T7_P12ihipStream_tbENKUlT_T0_E_clISt17integral_constantIbLb0EESY_IbLb1EEEEDaSU_SV_EUlSU_E_NS1_11comp_targetILNS1_3genE4ELNS1_11target_archE910ELNS1_3gpuE8ELNS1_3repE0EEENS1_30default_config_static_selectorELNS0_4arch9wavefront6targetE0EEEvT1_
    .private_segment_fixed_size: 0
    .sgpr_count:     0
    .sgpr_spill_count: 0
    .symbol:         _ZN7rocprim17ROCPRIM_400000_NS6detail17trampoline_kernelINS0_14default_configENS1_27scan_by_key_config_selectorIiiEEZZNS1_16scan_by_key_implILNS1_25lookback_scan_determinismE0ELb1ES3_N6thrust23THRUST_200600_302600_NS6detail15normal_iteratorINS9_10device_ptrIiEEEESE_SE_iNS9_4plusIvEENS9_8equal_toIiEEiEE10hipError_tPvRmT2_T3_T4_T5_mT6_T7_P12ihipStream_tbENKUlT_T0_E_clISt17integral_constantIbLb0EESY_IbLb1EEEEDaSU_SV_EUlSU_E_NS1_11comp_targetILNS1_3genE4ELNS1_11target_archE910ELNS1_3gpuE8ELNS1_3repE0EEENS1_30default_config_static_selectorELNS0_4arch9wavefront6targetE0EEEvT1_.kd
    .uniform_work_group_size: 1
    .uses_dynamic_stack: false
    .vgpr_count:     0
    .vgpr_spill_count: 0
    .wavefront_size: 32
    .workgroup_processor_mode: 1
  - .args:
      - .offset:         0
        .size:           112
        .value_kind:     by_value
    .group_segment_fixed_size: 0
    .kernarg_segment_align: 8
    .kernarg_segment_size: 112
    .language:       OpenCL C
    .language_version:
      - 2
      - 0
    .max_flat_workgroup_size: 256
    .name:           _ZN7rocprim17ROCPRIM_400000_NS6detail17trampoline_kernelINS0_14default_configENS1_27scan_by_key_config_selectorIiiEEZZNS1_16scan_by_key_implILNS1_25lookback_scan_determinismE0ELb1ES3_N6thrust23THRUST_200600_302600_NS6detail15normal_iteratorINS9_10device_ptrIiEEEESE_SE_iNS9_4plusIvEENS9_8equal_toIiEEiEE10hipError_tPvRmT2_T3_T4_T5_mT6_T7_P12ihipStream_tbENKUlT_T0_E_clISt17integral_constantIbLb0EESY_IbLb1EEEEDaSU_SV_EUlSU_E_NS1_11comp_targetILNS1_3genE3ELNS1_11target_archE908ELNS1_3gpuE7ELNS1_3repE0EEENS1_30default_config_static_selectorELNS0_4arch9wavefront6targetE0EEEvT1_
    .private_segment_fixed_size: 0
    .sgpr_count:     0
    .sgpr_spill_count: 0
    .symbol:         _ZN7rocprim17ROCPRIM_400000_NS6detail17trampoline_kernelINS0_14default_configENS1_27scan_by_key_config_selectorIiiEEZZNS1_16scan_by_key_implILNS1_25lookback_scan_determinismE0ELb1ES3_N6thrust23THRUST_200600_302600_NS6detail15normal_iteratorINS9_10device_ptrIiEEEESE_SE_iNS9_4plusIvEENS9_8equal_toIiEEiEE10hipError_tPvRmT2_T3_T4_T5_mT6_T7_P12ihipStream_tbENKUlT_T0_E_clISt17integral_constantIbLb0EESY_IbLb1EEEEDaSU_SV_EUlSU_E_NS1_11comp_targetILNS1_3genE3ELNS1_11target_archE908ELNS1_3gpuE7ELNS1_3repE0EEENS1_30default_config_static_selectorELNS0_4arch9wavefront6targetE0EEEvT1_.kd
    .uniform_work_group_size: 1
    .uses_dynamic_stack: false
    .vgpr_count:     0
    .vgpr_spill_count: 0
    .wavefront_size: 32
    .workgroup_processor_mode: 1
  - .args:
      - .offset:         0
        .size:           112
        .value_kind:     by_value
    .group_segment_fixed_size: 0
    .kernarg_segment_align: 8
    .kernarg_segment_size: 112
    .language:       OpenCL C
    .language_version:
      - 2
      - 0
    .max_flat_workgroup_size: 256
    .name:           _ZN7rocprim17ROCPRIM_400000_NS6detail17trampoline_kernelINS0_14default_configENS1_27scan_by_key_config_selectorIiiEEZZNS1_16scan_by_key_implILNS1_25lookback_scan_determinismE0ELb1ES3_N6thrust23THRUST_200600_302600_NS6detail15normal_iteratorINS9_10device_ptrIiEEEESE_SE_iNS9_4plusIvEENS9_8equal_toIiEEiEE10hipError_tPvRmT2_T3_T4_T5_mT6_T7_P12ihipStream_tbENKUlT_T0_E_clISt17integral_constantIbLb0EESY_IbLb1EEEEDaSU_SV_EUlSU_E_NS1_11comp_targetILNS1_3genE2ELNS1_11target_archE906ELNS1_3gpuE6ELNS1_3repE0EEENS1_30default_config_static_selectorELNS0_4arch9wavefront6targetE0EEEvT1_
    .private_segment_fixed_size: 0
    .sgpr_count:     0
    .sgpr_spill_count: 0
    .symbol:         _ZN7rocprim17ROCPRIM_400000_NS6detail17trampoline_kernelINS0_14default_configENS1_27scan_by_key_config_selectorIiiEEZZNS1_16scan_by_key_implILNS1_25lookback_scan_determinismE0ELb1ES3_N6thrust23THRUST_200600_302600_NS6detail15normal_iteratorINS9_10device_ptrIiEEEESE_SE_iNS9_4plusIvEENS9_8equal_toIiEEiEE10hipError_tPvRmT2_T3_T4_T5_mT6_T7_P12ihipStream_tbENKUlT_T0_E_clISt17integral_constantIbLb0EESY_IbLb1EEEEDaSU_SV_EUlSU_E_NS1_11comp_targetILNS1_3genE2ELNS1_11target_archE906ELNS1_3gpuE6ELNS1_3repE0EEENS1_30default_config_static_selectorELNS0_4arch9wavefront6targetE0EEEvT1_.kd
    .uniform_work_group_size: 1
    .uses_dynamic_stack: false
    .vgpr_count:     0
    .vgpr_spill_count: 0
    .wavefront_size: 32
    .workgroup_processor_mode: 1
  - .args:
      - .offset:         0
        .size:           112
        .value_kind:     by_value
    .group_segment_fixed_size: 0
    .kernarg_segment_align: 8
    .kernarg_segment_size: 112
    .language:       OpenCL C
    .language_version:
      - 2
      - 0
    .max_flat_workgroup_size: 256
    .name:           _ZN7rocprim17ROCPRIM_400000_NS6detail17trampoline_kernelINS0_14default_configENS1_27scan_by_key_config_selectorIiiEEZZNS1_16scan_by_key_implILNS1_25lookback_scan_determinismE0ELb1ES3_N6thrust23THRUST_200600_302600_NS6detail15normal_iteratorINS9_10device_ptrIiEEEESE_SE_iNS9_4plusIvEENS9_8equal_toIiEEiEE10hipError_tPvRmT2_T3_T4_T5_mT6_T7_P12ihipStream_tbENKUlT_T0_E_clISt17integral_constantIbLb0EESY_IbLb1EEEEDaSU_SV_EUlSU_E_NS1_11comp_targetILNS1_3genE10ELNS1_11target_archE1200ELNS1_3gpuE4ELNS1_3repE0EEENS1_30default_config_static_selectorELNS0_4arch9wavefront6targetE0EEEvT1_
    .private_segment_fixed_size: 0
    .sgpr_count:     0
    .sgpr_spill_count: 0
    .symbol:         _ZN7rocprim17ROCPRIM_400000_NS6detail17trampoline_kernelINS0_14default_configENS1_27scan_by_key_config_selectorIiiEEZZNS1_16scan_by_key_implILNS1_25lookback_scan_determinismE0ELb1ES3_N6thrust23THRUST_200600_302600_NS6detail15normal_iteratorINS9_10device_ptrIiEEEESE_SE_iNS9_4plusIvEENS9_8equal_toIiEEiEE10hipError_tPvRmT2_T3_T4_T5_mT6_T7_P12ihipStream_tbENKUlT_T0_E_clISt17integral_constantIbLb0EESY_IbLb1EEEEDaSU_SV_EUlSU_E_NS1_11comp_targetILNS1_3genE10ELNS1_11target_archE1200ELNS1_3gpuE4ELNS1_3repE0EEENS1_30default_config_static_selectorELNS0_4arch9wavefront6targetE0EEEvT1_.kd
    .uniform_work_group_size: 1
    .uses_dynamic_stack: false
    .vgpr_count:     0
    .vgpr_spill_count: 0
    .wavefront_size: 32
    .workgroup_processor_mode: 1
  - .args:
      - .offset:         0
        .size:           112
        .value_kind:     by_value
    .group_segment_fixed_size: 0
    .kernarg_segment_align: 8
    .kernarg_segment_size: 112
    .language:       OpenCL C
    .language_version:
      - 2
      - 0
    .max_flat_workgroup_size: 256
    .name:           _ZN7rocprim17ROCPRIM_400000_NS6detail17trampoline_kernelINS0_14default_configENS1_27scan_by_key_config_selectorIiiEEZZNS1_16scan_by_key_implILNS1_25lookback_scan_determinismE0ELb1ES3_N6thrust23THRUST_200600_302600_NS6detail15normal_iteratorINS9_10device_ptrIiEEEESE_SE_iNS9_4plusIvEENS9_8equal_toIiEEiEE10hipError_tPvRmT2_T3_T4_T5_mT6_T7_P12ihipStream_tbENKUlT_T0_E_clISt17integral_constantIbLb0EESY_IbLb1EEEEDaSU_SV_EUlSU_E_NS1_11comp_targetILNS1_3genE9ELNS1_11target_archE1100ELNS1_3gpuE3ELNS1_3repE0EEENS1_30default_config_static_selectorELNS0_4arch9wavefront6targetE0EEEvT1_
    .private_segment_fixed_size: 0
    .sgpr_count:     0
    .sgpr_spill_count: 0
    .symbol:         _ZN7rocprim17ROCPRIM_400000_NS6detail17trampoline_kernelINS0_14default_configENS1_27scan_by_key_config_selectorIiiEEZZNS1_16scan_by_key_implILNS1_25lookback_scan_determinismE0ELb1ES3_N6thrust23THRUST_200600_302600_NS6detail15normal_iteratorINS9_10device_ptrIiEEEESE_SE_iNS9_4plusIvEENS9_8equal_toIiEEiEE10hipError_tPvRmT2_T3_T4_T5_mT6_T7_P12ihipStream_tbENKUlT_T0_E_clISt17integral_constantIbLb0EESY_IbLb1EEEEDaSU_SV_EUlSU_E_NS1_11comp_targetILNS1_3genE9ELNS1_11target_archE1100ELNS1_3gpuE3ELNS1_3repE0EEENS1_30default_config_static_selectorELNS0_4arch9wavefront6targetE0EEEvT1_.kd
    .uniform_work_group_size: 1
    .uses_dynamic_stack: false
    .vgpr_count:     0
    .vgpr_spill_count: 0
    .wavefront_size: 32
    .workgroup_processor_mode: 1
  - .args:
      - .offset:         0
        .size:           112
        .value_kind:     by_value
    .group_segment_fixed_size: 5120
    .kernarg_segment_align: 8
    .kernarg_segment_size: 112
    .language:       OpenCL C
    .language_version:
      - 2
      - 0
    .max_flat_workgroup_size: 256
    .name:           _ZN7rocprim17ROCPRIM_400000_NS6detail17trampoline_kernelINS0_14default_configENS1_27scan_by_key_config_selectorIiiEEZZNS1_16scan_by_key_implILNS1_25lookback_scan_determinismE0ELb1ES3_N6thrust23THRUST_200600_302600_NS6detail15normal_iteratorINS9_10device_ptrIiEEEESE_SE_iNS9_4plusIvEENS9_8equal_toIiEEiEE10hipError_tPvRmT2_T3_T4_T5_mT6_T7_P12ihipStream_tbENKUlT_T0_E_clISt17integral_constantIbLb0EESY_IbLb1EEEEDaSU_SV_EUlSU_E_NS1_11comp_targetILNS1_3genE8ELNS1_11target_archE1030ELNS1_3gpuE2ELNS1_3repE0EEENS1_30default_config_static_selectorELNS0_4arch9wavefront6targetE0EEEvT1_
    .private_segment_fixed_size: 0
    .sgpr_count:     26
    .sgpr_spill_count: 0
    .symbol:         _ZN7rocprim17ROCPRIM_400000_NS6detail17trampoline_kernelINS0_14default_configENS1_27scan_by_key_config_selectorIiiEEZZNS1_16scan_by_key_implILNS1_25lookback_scan_determinismE0ELb1ES3_N6thrust23THRUST_200600_302600_NS6detail15normal_iteratorINS9_10device_ptrIiEEEESE_SE_iNS9_4plusIvEENS9_8equal_toIiEEiEE10hipError_tPvRmT2_T3_T4_T5_mT6_T7_P12ihipStream_tbENKUlT_T0_E_clISt17integral_constantIbLb0EESY_IbLb1EEEEDaSU_SV_EUlSU_E_NS1_11comp_targetILNS1_3genE8ELNS1_11target_archE1030ELNS1_3gpuE2ELNS1_3repE0EEENS1_30default_config_static_selectorELNS0_4arch9wavefront6targetE0EEEvT1_.kd
    .uniform_work_group_size: 1
    .uses_dynamic_stack: false
    .vgpr_count:     44
    .vgpr_spill_count: 0
    .wavefront_size: 32
    .workgroup_processor_mode: 1
  - .args:
      - .offset:         0
        .size:           112
        .value_kind:     by_value
    .group_segment_fixed_size: 0
    .kernarg_segment_align: 8
    .kernarg_segment_size: 112
    .language:       OpenCL C
    .language_version:
      - 2
      - 0
    .max_flat_workgroup_size: 256
    .name:           _ZN7rocprim17ROCPRIM_400000_NS6detail17trampoline_kernelINS0_14default_configENS1_27scan_by_key_config_selectorIssEEZZNS1_16scan_by_key_implILNS1_25lookback_scan_determinismE0ELb1ES3_N6thrust23THRUST_200600_302600_NS6detail15normal_iteratorINS9_10device_ptrIsEEEESE_SE_sNS9_4plusIvEENS9_8equal_toIvEEsEE10hipError_tPvRmT2_T3_T4_T5_mT6_T7_P12ihipStream_tbENKUlT_T0_E_clISt17integral_constantIbLb0EESZ_EEDaSU_SV_EUlSU_E_NS1_11comp_targetILNS1_3genE0ELNS1_11target_archE4294967295ELNS1_3gpuE0ELNS1_3repE0EEENS1_30default_config_static_selectorELNS0_4arch9wavefront6targetE0EEEvT1_
    .private_segment_fixed_size: 0
    .sgpr_count:     0
    .sgpr_spill_count: 0
    .symbol:         _ZN7rocprim17ROCPRIM_400000_NS6detail17trampoline_kernelINS0_14default_configENS1_27scan_by_key_config_selectorIssEEZZNS1_16scan_by_key_implILNS1_25lookback_scan_determinismE0ELb1ES3_N6thrust23THRUST_200600_302600_NS6detail15normal_iteratorINS9_10device_ptrIsEEEESE_SE_sNS9_4plusIvEENS9_8equal_toIvEEsEE10hipError_tPvRmT2_T3_T4_T5_mT6_T7_P12ihipStream_tbENKUlT_T0_E_clISt17integral_constantIbLb0EESZ_EEDaSU_SV_EUlSU_E_NS1_11comp_targetILNS1_3genE0ELNS1_11target_archE4294967295ELNS1_3gpuE0ELNS1_3repE0EEENS1_30default_config_static_selectorELNS0_4arch9wavefront6targetE0EEEvT1_.kd
    .uniform_work_group_size: 1
    .uses_dynamic_stack: false
    .vgpr_count:     0
    .vgpr_spill_count: 0
    .wavefront_size: 32
    .workgroup_processor_mode: 1
  - .args:
      - .offset:         0
        .size:           112
        .value_kind:     by_value
    .group_segment_fixed_size: 0
    .kernarg_segment_align: 8
    .kernarg_segment_size: 112
    .language:       OpenCL C
    .language_version:
      - 2
      - 0
    .max_flat_workgroup_size: 128
    .name:           _ZN7rocprim17ROCPRIM_400000_NS6detail17trampoline_kernelINS0_14default_configENS1_27scan_by_key_config_selectorIssEEZZNS1_16scan_by_key_implILNS1_25lookback_scan_determinismE0ELb1ES3_N6thrust23THRUST_200600_302600_NS6detail15normal_iteratorINS9_10device_ptrIsEEEESE_SE_sNS9_4plusIvEENS9_8equal_toIvEEsEE10hipError_tPvRmT2_T3_T4_T5_mT6_T7_P12ihipStream_tbENKUlT_T0_E_clISt17integral_constantIbLb0EESZ_EEDaSU_SV_EUlSU_E_NS1_11comp_targetILNS1_3genE10ELNS1_11target_archE1201ELNS1_3gpuE5ELNS1_3repE0EEENS1_30default_config_static_selectorELNS0_4arch9wavefront6targetE0EEEvT1_
    .private_segment_fixed_size: 0
    .sgpr_count:     0
    .sgpr_spill_count: 0
    .symbol:         _ZN7rocprim17ROCPRIM_400000_NS6detail17trampoline_kernelINS0_14default_configENS1_27scan_by_key_config_selectorIssEEZZNS1_16scan_by_key_implILNS1_25lookback_scan_determinismE0ELb1ES3_N6thrust23THRUST_200600_302600_NS6detail15normal_iteratorINS9_10device_ptrIsEEEESE_SE_sNS9_4plusIvEENS9_8equal_toIvEEsEE10hipError_tPvRmT2_T3_T4_T5_mT6_T7_P12ihipStream_tbENKUlT_T0_E_clISt17integral_constantIbLb0EESZ_EEDaSU_SV_EUlSU_E_NS1_11comp_targetILNS1_3genE10ELNS1_11target_archE1201ELNS1_3gpuE5ELNS1_3repE0EEENS1_30default_config_static_selectorELNS0_4arch9wavefront6targetE0EEEvT1_.kd
    .uniform_work_group_size: 1
    .uses_dynamic_stack: false
    .vgpr_count:     0
    .vgpr_spill_count: 0
    .wavefront_size: 32
    .workgroup_processor_mode: 1
  - .args:
      - .offset:         0
        .size:           112
        .value_kind:     by_value
    .group_segment_fixed_size: 0
    .kernarg_segment_align: 8
    .kernarg_segment_size: 112
    .language:       OpenCL C
    .language_version:
      - 2
      - 0
    .max_flat_workgroup_size: 256
    .name:           _ZN7rocprim17ROCPRIM_400000_NS6detail17trampoline_kernelINS0_14default_configENS1_27scan_by_key_config_selectorIssEEZZNS1_16scan_by_key_implILNS1_25lookback_scan_determinismE0ELb1ES3_N6thrust23THRUST_200600_302600_NS6detail15normal_iteratorINS9_10device_ptrIsEEEESE_SE_sNS9_4plusIvEENS9_8equal_toIvEEsEE10hipError_tPvRmT2_T3_T4_T5_mT6_T7_P12ihipStream_tbENKUlT_T0_E_clISt17integral_constantIbLb0EESZ_EEDaSU_SV_EUlSU_E_NS1_11comp_targetILNS1_3genE5ELNS1_11target_archE942ELNS1_3gpuE9ELNS1_3repE0EEENS1_30default_config_static_selectorELNS0_4arch9wavefront6targetE0EEEvT1_
    .private_segment_fixed_size: 0
    .sgpr_count:     0
    .sgpr_spill_count: 0
    .symbol:         _ZN7rocprim17ROCPRIM_400000_NS6detail17trampoline_kernelINS0_14default_configENS1_27scan_by_key_config_selectorIssEEZZNS1_16scan_by_key_implILNS1_25lookback_scan_determinismE0ELb1ES3_N6thrust23THRUST_200600_302600_NS6detail15normal_iteratorINS9_10device_ptrIsEEEESE_SE_sNS9_4plusIvEENS9_8equal_toIvEEsEE10hipError_tPvRmT2_T3_T4_T5_mT6_T7_P12ihipStream_tbENKUlT_T0_E_clISt17integral_constantIbLb0EESZ_EEDaSU_SV_EUlSU_E_NS1_11comp_targetILNS1_3genE5ELNS1_11target_archE942ELNS1_3gpuE9ELNS1_3repE0EEENS1_30default_config_static_selectorELNS0_4arch9wavefront6targetE0EEEvT1_.kd
    .uniform_work_group_size: 1
    .uses_dynamic_stack: false
    .vgpr_count:     0
    .vgpr_spill_count: 0
    .wavefront_size: 32
    .workgroup_processor_mode: 1
  - .args:
      - .offset:         0
        .size:           112
        .value_kind:     by_value
    .group_segment_fixed_size: 0
    .kernarg_segment_align: 8
    .kernarg_segment_size: 112
    .language:       OpenCL C
    .language_version:
      - 2
      - 0
    .max_flat_workgroup_size: 256
    .name:           _ZN7rocprim17ROCPRIM_400000_NS6detail17trampoline_kernelINS0_14default_configENS1_27scan_by_key_config_selectorIssEEZZNS1_16scan_by_key_implILNS1_25lookback_scan_determinismE0ELb1ES3_N6thrust23THRUST_200600_302600_NS6detail15normal_iteratorINS9_10device_ptrIsEEEESE_SE_sNS9_4plusIvEENS9_8equal_toIvEEsEE10hipError_tPvRmT2_T3_T4_T5_mT6_T7_P12ihipStream_tbENKUlT_T0_E_clISt17integral_constantIbLb0EESZ_EEDaSU_SV_EUlSU_E_NS1_11comp_targetILNS1_3genE4ELNS1_11target_archE910ELNS1_3gpuE8ELNS1_3repE0EEENS1_30default_config_static_selectorELNS0_4arch9wavefront6targetE0EEEvT1_
    .private_segment_fixed_size: 0
    .sgpr_count:     0
    .sgpr_spill_count: 0
    .symbol:         _ZN7rocprim17ROCPRIM_400000_NS6detail17trampoline_kernelINS0_14default_configENS1_27scan_by_key_config_selectorIssEEZZNS1_16scan_by_key_implILNS1_25lookback_scan_determinismE0ELb1ES3_N6thrust23THRUST_200600_302600_NS6detail15normal_iteratorINS9_10device_ptrIsEEEESE_SE_sNS9_4plusIvEENS9_8equal_toIvEEsEE10hipError_tPvRmT2_T3_T4_T5_mT6_T7_P12ihipStream_tbENKUlT_T0_E_clISt17integral_constantIbLb0EESZ_EEDaSU_SV_EUlSU_E_NS1_11comp_targetILNS1_3genE4ELNS1_11target_archE910ELNS1_3gpuE8ELNS1_3repE0EEENS1_30default_config_static_selectorELNS0_4arch9wavefront6targetE0EEEvT1_.kd
    .uniform_work_group_size: 1
    .uses_dynamic_stack: false
    .vgpr_count:     0
    .vgpr_spill_count: 0
    .wavefront_size: 32
    .workgroup_processor_mode: 1
  - .args:
      - .offset:         0
        .size:           112
        .value_kind:     by_value
    .group_segment_fixed_size: 0
    .kernarg_segment_align: 8
    .kernarg_segment_size: 112
    .language:       OpenCL C
    .language_version:
      - 2
      - 0
    .max_flat_workgroup_size: 256
    .name:           _ZN7rocprim17ROCPRIM_400000_NS6detail17trampoline_kernelINS0_14default_configENS1_27scan_by_key_config_selectorIssEEZZNS1_16scan_by_key_implILNS1_25lookback_scan_determinismE0ELb1ES3_N6thrust23THRUST_200600_302600_NS6detail15normal_iteratorINS9_10device_ptrIsEEEESE_SE_sNS9_4plusIvEENS9_8equal_toIvEEsEE10hipError_tPvRmT2_T3_T4_T5_mT6_T7_P12ihipStream_tbENKUlT_T0_E_clISt17integral_constantIbLb0EESZ_EEDaSU_SV_EUlSU_E_NS1_11comp_targetILNS1_3genE3ELNS1_11target_archE908ELNS1_3gpuE7ELNS1_3repE0EEENS1_30default_config_static_selectorELNS0_4arch9wavefront6targetE0EEEvT1_
    .private_segment_fixed_size: 0
    .sgpr_count:     0
    .sgpr_spill_count: 0
    .symbol:         _ZN7rocprim17ROCPRIM_400000_NS6detail17trampoline_kernelINS0_14default_configENS1_27scan_by_key_config_selectorIssEEZZNS1_16scan_by_key_implILNS1_25lookback_scan_determinismE0ELb1ES3_N6thrust23THRUST_200600_302600_NS6detail15normal_iteratorINS9_10device_ptrIsEEEESE_SE_sNS9_4plusIvEENS9_8equal_toIvEEsEE10hipError_tPvRmT2_T3_T4_T5_mT6_T7_P12ihipStream_tbENKUlT_T0_E_clISt17integral_constantIbLb0EESZ_EEDaSU_SV_EUlSU_E_NS1_11comp_targetILNS1_3genE3ELNS1_11target_archE908ELNS1_3gpuE7ELNS1_3repE0EEENS1_30default_config_static_selectorELNS0_4arch9wavefront6targetE0EEEvT1_.kd
    .uniform_work_group_size: 1
    .uses_dynamic_stack: false
    .vgpr_count:     0
    .vgpr_spill_count: 0
    .wavefront_size: 32
    .workgroup_processor_mode: 1
  - .args:
      - .offset:         0
        .size:           112
        .value_kind:     by_value
    .group_segment_fixed_size: 0
    .kernarg_segment_align: 8
    .kernarg_segment_size: 112
    .language:       OpenCL C
    .language_version:
      - 2
      - 0
    .max_flat_workgroup_size: 64
    .name:           _ZN7rocprim17ROCPRIM_400000_NS6detail17trampoline_kernelINS0_14default_configENS1_27scan_by_key_config_selectorIssEEZZNS1_16scan_by_key_implILNS1_25lookback_scan_determinismE0ELb1ES3_N6thrust23THRUST_200600_302600_NS6detail15normal_iteratorINS9_10device_ptrIsEEEESE_SE_sNS9_4plusIvEENS9_8equal_toIvEEsEE10hipError_tPvRmT2_T3_T4_T5_mT6_T7_P12ihipStream_tbENKUlT_T0_E_clISt17integral_constantIbLb0EESZ_EEDaSU_SV_EUlSU_E_NS1_11comp_targetILNS1_3genE2ELNS1_11target_archE906ELNS1_3gpuE6ELNS1_3repE0EEENS1_30default_config_static_selectorELNS0_4arch9wavefront6targetE0EEEvT1_
    .private_segment_fixed_size: 0
    .sgpr_count:     0
    .sgpr_spill_count: 0
    .symbol:         _ZN7rocprim17ROCPRIM_400000_NS6detail17trampoline_kernelINS0_14default_configENS1_27scan_by_key_config_selectorIssEEZZNS1_16scan_by_key_implILNS1_25lookback_scan_determinismE0ELb1ES3_N6thrust23THRUST_200600_302600_NS6detail15normal_iteratorINS9_10device_ptrIsEEEESE_SE_sNS9_4plusIvEENS9_8equal_toIvEEsEE10hipError_tPvRmT2_T3_T4_T5_mT6_T7_P12ihipStream_tbENKUlT_T0_E_clISt17integral_constantIbLb0EESZ_EEDaSU_SV_EUlSU_E_NS1_11comp_targetILNS1_3genE2ELNS1_11target_archE906ELNS1_3gpuE6ELNS1_3repE0EEENS1_30default_config_static_selectorELNS0_4arch9wavefront6targetE0EEEvT1_.kd
    .uniform_work_group_size: 1
    .uses_dynamic_stack: false
    .vgpr_count:     0
    .vgpr_spill_count: 0
    .wavefront_size: 32
    .workgroup_processor_mode: 1
  - .args:
      - .offset:         0
        .size:           112
        .value_kind:     by_value
    .group_segment_fixed_size: 0
    .kernarg_segment_align: 8
    .kernarg_segment_size: 112
    .language:       OpenCL C
    .language_version:
      - 2
      - 0
    .max_flat_workgroup_size: 256
    .name:           _ZN7rocprim17ROCPRIM_400000_NS6detail17trampoline_kernelINS0_14default_configENS1_27scan_by_key_config_selectorIssEEZZNS1_16scan_by_key_implILNS1_25lookback_scan_determinismE0ELb1ES3_N6thrust23THRUST_200600_302600_NS6detail15normal_iteratorINS9_10device_ptrIsEEEESE_SE_sNS9_4plusIvEENS9_8equal_toIvEEsEE10hipError_tPvRmT2_T3_T4_T5_mT6_T7_P12ihipStream_tbENKUlT_T0_E_clISt17integral_constantIbLb0EESZ_EEDaSU_SV_EUlSU_E_NS1_11comp_targetILNS1_3genE10ELNS1_11target_archE1200ELNS1_3gpuE4ELNS1_3repE0EEENS1_30default_config_static_selectorELNS0_4arch9wavefront6targetE0EEEvT1_
    .private_segment_fixed_size: 0
    .sgpr_count:     0
    .sgpr_spill_count: 0
    .symbol:         _ZN7rocprim17ROCPRIM_400000_NS6detail17trampoline_kernelINS0_14default_configENS1_27scan_by_key_config_selectorIssEEZZNS1_16scan_by_key_implILNS1_25lookback_scan_determinismE0ELb1ES3_N6thrust23THRUST_200600_302600_NS6detail15normal_iteratorINS9_10device_ptrIsEEEESE_SE_sNS9_4plusIvEENS9_8equal_toIvEEsEE10hipError_tPvRmT2_T3_T4_T5_mT6_T7_P12ihipStream_tbENKUlT_T0_E_clISt17integral_constantIbLb0EESZ_EEDaSU_SV_EUlSU_E_NS1_11comp_targetILNS1_3genE10ELNS1_11target_archE1200ELNS1_3gpuE4ELNS1_3repE0EEENS1_30default_config_static_selectorELNS0_4arch9wavefront6targetE0EEEvT1_.kd
    .uniform_work_group_size: 1
    .uses_dynamic_stack: false
    .vgpr_count:     0
    .vgpr_spill_count: 0
    .wavefront_size: 32
    .workgroup_processor_mode: 1
  - .args:
      - .offset:         0
        .size:           112
        .value_kind:     by_value
    .group_segment_fixed_size: 0
    .kernarg_segment_align: 8
    .kernarg_segment_size: 112
    .language:       OpenCL C
    .language_version:
      - 2
      - 0
    .max_flat_workgroup_size: 256
    .name:           _ZN7rocprim17ROCPRIM_400000_NS6detail17trampoline_kernelINS0_14default_configENS1_27scan_by_key_config_selectorIssEEZZNS1_16scan_by_key_implILNS1_25lookback_scan_determinismE0ELb1ES3_N6thrust23THRUST_200600_302600_NS6detail15normal_iteratorINS9_10device_ptrIsEEEESE_SE_sNS9_4plusIvEENS9_8equal_toIvEEsEE10hipError_tPvRmT2_T3_T4_T5_mT6_T7_P12ihipStream_tbENKUlT_T0_E_clISt17integral_constantIbLb0EESZ_EEDaSU_SV_EUlSU_E_NS1_11comp_targetILNS1_3genE9ELNS1_11target_archE1100ELNS1_3gpuE3ELNS1_3repE0EEENS1_30default_config_static_selectorELNS0_4arch9wavefront6targetE0EEEvT1_
    .private_segment_fixed_size: 0
    .sgpr_count:     0
    .sgpr_spill_count: 0
    .symbol:         _ZN7rocprim17ROCPRIM_400000_NS6detail17trampoline_kernelINS0_14default_configENS1_27scan_by_key_config_selectorIssEEZZNS1_16scan_by_key_implILNS1_25lookback_scan_determinismE0ELb1ES3_N6thrust23THRUST_200600_302600_NS6detail15normal_iteratorINS9_10device_ptrIsEEEESE_SE_sNS9_4plusIvEENS9_8equal_toIvEEsEE10hipError_tPvRmT2_T3_T4_T5_mT6_T7_P12ihipStream_tbENKUlT_T0_E_clISt17integral_constantIbLb0EESZ_EEDaSU_SV_EUlSU_E_NS1_11comp_targetILNS1_3genE9ELNS1_11target_archE1100ELNS1_3gpuE3ELNS1_3repE0EEENS1_30default_config_static_selectorELNS0_4arch9wavefront6targetE0EEEvT1_.kd
    .uniform_work_group_size: 1
    .uses_dynamic_stack: false
    .vgpr_count:     0
    .vgpr_spill_count: 0
    .wavefront_size: 32
    .workgroup_processor_mode: 1
  - .args:
      - .offset:         0
        .size:           112
        .value_kind:     by_value
    .group_segment_fixed_size: 1536
    .kernarg_segment_align: 8
    .kernarg_segment_size: 112
    .language:       OpenCL C
    .language_version:
      - 2
      - 0
    .max_flat_workgroup_size: 64
    .name:           _ZN7rocprim17ROCPRIM_400000_NS6detail17trampoline_kernelINS0_14default_configENS1_27scan_by_key_config_selectorIssEEZZNS1_16scan_by_key_implILNS1_25lookback_scan_determinismE0ELb1ES3_N6thrust23THRUST_200600_302600_NS6detail15normal_iteratorINS9_10device_ptrIsEEEESE_SE_sNS9_4plusIvEENS9_8equal_toIvEEsEE10hipError_tPvRmT2_T3_T4_T5_mT6_T7_P12ihipStream_tbENKUlT_T0_E_clISt17integral_constantIbLb0EESZ_EEDaSU_SV_EUlSU_E_NS1_11comp_targetILNS1_3genE8ELNS1_11target_archE1030ELNS1_3gpuE2ELNS1_3repE0EEENS1_30default_config_static_selectorELNS0_4arch9wavefront6targetE0EEEvT1_
    .private_segment_fixed_size: 0
    .sgpr_count:     38
    .sgpr_spill_count: 0
    .symbol:         _ZN7rocprim17ROCPRIM_400000_NS6detail17trampoline_kernelINS0_14default_configENS1_27scan_by_key_config_selectorIssEEZZNS1_16scan_by_key_implILNS1_25lookback_scan_determinismE0ELb1ES3_N6thrust23THRUST_200600_302600_NS6detail15normal_iteratorINS9_10device_ptrIsEEEESE_SE_sNS9_4plusIvEENS9_8equal_toIvEEsEE10hipError_tPvRmT2_T3_T4_T5_mT6_T7_P12ihipStream_tbENKUlT_T0_E_clISt17integral_constantIbLb0EESZ_EEDaSU_SV_EUlSU_E_NS1_11comp_targetILNS1_3genE8ELNS1_11target_archE1030ELNS1_3gpuE2ELNS1_3repE0EEENS1_30default_config_static_selectorELNS0_4arch9wavefront6targetE0EEEvT1_.kd
    .uniform_work_group_size: 1
    .uses_dynamic_stack: false
    .vgpr_count:     42
    .vgpr_spill_count: 0
    .wavefront_size: 32
    .workgroup_processor_mode: 1
  - .args:
      - .offset:         0
        .size:           112
        .value_kind:     by_value
    .group_segment_fixed_size: 0
    .kernarg_segment_align: 8
    .kernarg_segment_size: 112
    .language:       OpenCL C
    .language_version:
      - 2
      - 0
    .max_flat_workgroup_size: 256
    .name:           _ZN7rocprim17ROCPRIM_400000_NS6detail17trampoline_kernelINS0_14default_configENS1_27scan_by_key_config_selectorIssEEZZNS1_16scan_by_key_implILNS1_25lookback_scan_determinismE0ELb1ES3_N6thrust23THRUST_200600_302600_NS6detail15normal_iteratorINS9_10device_ptrIsEEEESE_SE_sNS9_4plusIvEENS9_8equal_toIvEEsEE10hipError_tPvRmT2_T3_T4_T5_mT6_T7_P12ihipStream_tbENKUlT_T0_E_clISt17integral_constantIbLb1EESZ_EEDaSU_SV_EUlSU_E_NS1_11comp_targetILNS1_3genE0ELNS1_11target_archE4294967295ELNS1_3gpuE0ELNS1_3repE0EEENS1_30default_config_static_selectorELNS0_4arch9wavefront6targetE0EEEvT1_
    .private_segment_fixed_size: 0
    .sgpr_count:     0
    .sgpr_spill_count: 0
    .symbol:         _ZN7rocprim17ROCPRIM_400000_NS6detail17trampoline_kernelINS0_14default_configENS1_27scan_by_key_config_selectorIssEEZZNS1_16scan_by_key_implILNS1_25lookback_scan_determinismE0ELb1ES3_N6thrust23THRUST_200600_302600_NS6detail15normal_iteratorINS9_10device_ptrIsEEEESE_SE_sNS9_4plusIvEENS9_8equal_toIvEEsEE10hipError_tPvRmT2_T3_T4_T5_mT6_T7_P12ihipStream_tbENKUlT_T0_E_clISt17integral_constantIbLb1EESZ_EEDaSU_SV_EUlSU_E_NS1_11comp_targetILNS1_3genE0ELNS1_11target_archE4294967295ELNS1_3gpuE0ELNS1_3repE0EEENS1_30default_config_static_selectorELNS0_4arch9wavefront6targetE0EEEvT1_.kd
    .uniform_work_group_size: 1
    .uses_dynamic_stack: false
    .vgpr_count:     0
    .vgpr_spill_count: 0
    .wavefront_size: 32
    .workgroup_processor_mode: 1
  - .args:
      - .offset:         0
        .size:           112
        .value_kind:     by_value
    .group_segment_fixed_size: 0
    .kernarg_segment_align: 8
    .kernarg_segment_size: 112
    .language:       OpenCL C
    .language_version:
      - 2
      - 0
    .max_flat_workgroup_size: 128
    .name:           _ZN7rocprim17ROCPRIM_400000_NS6detail17trampoline_kernelINS0_14default_configENS1_27scan_by_key_config_selectorIssEEZZNS1_16scan_by_key_implILNS1_25lookback_scan_determinismE0ELb1ES3_N6thrust23THRUST_200600_302600_NS6detail15normal_iteratorINS9_10device_ptrIsEEEESE_SE_sNS9_4plusIvEENS9_8equal_toIvEEsEE10hipError_tPvRmT2_T3_T4_T5_mT6_T7_P12ihipStream_tbENKUlT_T0_E_clISt17integral_constantIbLb1EESZ_EEDaSU_SV_EUlSU_E_NS1_11comp_targetILNS1_3genE10ELNS1_11target_archE1201ELNS1_3gpuE5ELNS1_3repE0EEENS1_30default_config_static_selectorELNS0_4arch9wavefront6targetE0EEEvT1_
    .private_segment_fixed_size: 0
    .sgpr_count:     0
    .sgpr_spill_count: 0
    .symbol:         _ZN7rocprim17ROCPRIM_400000_NS6detail17trampoline_kernelINS0_14default_configENS1_27scan_by_key_config_selectorIssEEZZNS1_16scan_by_key_implILNS1_25lookback_scan_determinismE0ELb1ES3_N6thrust23THRUST_200600_302600_NS6detail15normal_iteratorINS9_10device_ptrIsEEEESE_SE_sNS9_4plusIvEENS9_8equal_toIvEEsEE10hipError_tPvRmT2_T3_T4_T5_mT6_T7_P12ihipStream_tbENKUlT_T0_E_clISt17integral_constantIbLb1EESZ_EEDaSU_SV_EUlSU_E_NS1_11comp_targetILNS1_3genE10ELNS1_11target_archE1201ELNS1_3gpuE5ELNS1_3repE0EEENS1_30default_config_static_selectorELNS0_4arch9wavefront6targetE0EEEvT1_.kd
    .uniform_work_group_size: 1
    .uses_dynamic_stack: false
    .vgpr_count:     0
    .vgpr_spill_count: 0
    .wavefront_size: 32
    .workgroup_processor_mode: 1
  - .args:
      - .offset:         0
        .size:           112
        .value_kind:     by_value
    .group_segment_fixed_size: 0
    .kernarg_segment_align: 8
    .kernarg_segment_size: 112
    .language:       OpenCL C
    .language_version:
      - 2
      - 0
    .max_flat_workgroup_size: 256
    .name:           _ZN7rocprim17ROCPRIM_400000_NS6detail17trampoline_kernelINS0_14default_configENS1_27scan_by_key_config_selectorIssEEZZNS1_16scan_by_key_implILNS1_25lookback_scan_determinismE0ELb1ES3_N6thrust23THRUST_200600_302600_NS6detail15normal_iteratorINS9_10device_ptrIsEEEESE_SE_sNS9_4plusIvEENS9_8equal_toIvEEsEE10hipError_tPvRmT2_T3_T4_T5_mT6_T7_P12ihipStream_tbENKUlT_T0_E_clISt17integral_constantIbLb1EESZ_EEDaSU_SV_EUlSU_E_NS1_11comp_targetILNS1_3genE5ELNS1_11target_archE942ELNS1_3gpuE9ELNS1_3repE0EEENS1_30default_config_static_selectorELNS0_4arch9wavefront6targetE0EEEvT1_
    .private_segment_fixed_size: 0
    .sgpr_count:     0
    .sgpr_spill_count: 0
    .symbol:         _ZN7rocprim17ROCPRIM_400000_NS6detail17trampoline_kernelINS0_14default_configENS1_27scan_by_key_config_selectorIssEEZZNS1_16scan_by_key_implILNS1_25lookback_scan_determinismE0ELb1ES3_N6thrust23THRUST_200600_302600_NS6detail15normal_iteratorINS9_10device_ptrIsEEEESE_SE_sNS9_4plusIvEENS9_8equal_toIvEEsEE10hipError_tPvRmT2_T3_T4_T5_mT6_T7_P12ihipStream_tbENKUlT_T0_E_clISt17integral_constantIbLb1EESZ_EEDaSU_SV_EUlSU_E_NS1_11comp_targetILNS1_3genE5ELNS1_11target_archE942ELNS1_3gpuE9ELNS1_3repE0EEENS1_30default_config_static_selectorELNS0_4arch9wavefront6targetE0EEEvT1_.kd
    .uniform_work_group_size: 1
    .uses_dynamic_stack: false
    .vgpr_count:     0
    .vgpr_spill_count: 0
    .wavefront_size: 32
    .workgroup_processor_mode: 1
  - .args:
      - .offset:         0
        .size:           112
        .value_kind:     by_value
    .group_segment_fixed_size: 0
    .kernarg_segment_align: 8
    .kernarg_segment_size: 112
    .language:       OpenCL C
    .language_version:
      - 2
      - 0
    .max_flat_workgroup_size: 256
    .name:           _ZN7rocprim17ROCPRIM_400000_NS6detail17trampoline_kernelINS0_14default_configENS1_27scan_by_key_config_selectorIssEEZZNS1_16scan_by_key_implILNS1_25lookback_scan_determinismE0ELb1ES3_N6thrust23THRUST_200600_302600_NS6detail15normal_iteratorINS9_10device_ptrIsEEEESE_SE_sNS9_4plusIvEENS9_8equal_toIvEEsEE10hipError_tPvRmT2_T3_T4_T5_mT6_T7_P12ihipStream_tbENKUlT_T0_E_clISt17integral_constantIbLb1EESZ_EEDaSU_SV_EUlSU_E_NS1_11comp_targetILNS1_3genE4ELNS1_11target_archE910ELNS1_3gpuE8ELNS1_3repE0EEENS1_30default_config_static_selectorELNS0_4arch9wavefront6targetE0EEEvT1_
    .private_segment_fixed_size: 0
    .sgpr_count:     0
    .sgpr_spill_count: 0
    .symbol:         _ZN7rocprim17ROCPRIM_400000_NS6detail17trampoline_kernelINS0_14default_configENS1_27scan_by_key_config_selectorIssEEZZNS1_16scan_by_key_implILNS1_25lookback_scan_determinismE0ELb1ES3_N6thrust23THRUST_200600_302600_NS6detail15normal_iteratorINS9_10device_ptrIsEEEESE_SE_sNS9_4plusIvEENS9_8equal_toIvEEsEE10hipError_tPvRmT2_T3_T4_T5_mT6_T7_P12ihipStream_tbENKUlT_T0_E_clISt17integral_constantIbLb1EESZ_EEDaSU_SV_EUlSU_E_NS1_11comp_targetILNS1_3genE4ELNS1_11target_archE910ELNS1_3gpuE8ELNS1_3repE0EEENS1_30default_config_static_selectorELNS0_4arch9wavefront6targetE0EEEvT1_.kd
    .uniform_work_group_size: 1
    .uses_dynamic_stack: false
    .vgpr_count:     0
    .vgpr_spill_count: 0
    .wavefront_size: 32
    .workgroup_processor_mode: 1
  - .args:
      - .offset:         0
        .size:           112
        .value_kind:     by_value
    .group_segment_fixed_size: 0
    .kernarg_segment_align: 8
    .kernarg_segment_size: 112
    .language:       OpenCL C
    .language_version:
      - 2
      - 0
    .max_flat_workgroup_size: 256
    .name:           _ZN7rocprim17ROCPRIM_400000_NS6detail17trampoline_kernelINS0_14default_configENS1_27scan_by_key_config_selectorIssEEZZNS1_16scan_by_key_implILNS1_25lookback_scan_determinismE0ELb1ES3_N6thrust23THRUST_200600_302600_NS6detail15normal_iteratorINS9_10device_ptrIsEEEESE_SE_sNS9_4plusIvEENS9_8equal_toIvEEsEE10hipError_tPvRmT2_T3_T4_T5_mT6_T7_P12ihipStream_tbENKUlT_T0_E_clISt17integral_constantIbLb1EESZ_EEDaSU_SV_EUlSU_E_NS1_11comp_targetILNS1_3genE3ELNS1_11target_archE908ELNS1_3gpuE7ELNS1_3repE0EEENS1_30default_config_static_selectorELNS0_4arch9wavefront6targetE0EEEvT1_
    .private_segment_fixed_size: 0
    .sgpr_count:     0
    .sgpr_spill_count: 0
    .symbol:         _ZN7rocprim17ROCPRIM_400000_NS6detail17trampoline_kernelINS0_14default_configENS1_27scan_by_key_config_selectorIssEEZZNS1_16scan_by_key_implILNS1_25lookback_scan_determinismE0ELb1ES3_N6thrust23THRUST_200600_302600_NS6detail15normal_iteratorINS9_10device_ptrIsEEEESE_SE_sNS9_4plusIvEENS9_8equal_toIvEEsEE10hipError_tPvRmT2_T3_T4_T5_mT6_T7_P12ihipStream_tbENKUlT_T0_E_clISt17integral_constantIbLb1EESZ_EEDaSU_SV_EUlSU_E_NS1_11comp_targetILNS1_3genE3ELNS1_11target_archE908ELNS1_3gpuE7ELNS1_3repE0EEENS1_30default_config_static_selectorELNS0_4arch9wavefront6targetE0EEEvT1_.kd
    .uniform_work_group_size: 1
    .uses_dynamic_stack: false
    .vgpr_count:     0
    .vgpr_spill_count: 0
    .wavefront_size: 32
    .workgroup_processor_mode: 1
  - .args:
      - .offset:         0
        .size:           112
        .value_kind:     by_value
    .group_segment_fixed_size: 0
    .kernarg_segment_align: 8
    .kernarg_segment_size: 112
    .language:       OpenCL C
    .language_version:
      - 2
      - 0
    .max_flat_workgroup_size: 64
    .name:           _ZN7rocprim17ROCPRIM_400000_NS6detail17trampoline_kernelINS0_14default_configENS1_27scan_by_key_config_selectorIssEEZZNS1_16scan_by_key_implILNS1_25lookback_scan_determinismE0ELb1ES3_N6thrust23THRUST_200600_302600_NS6detail15normal_iteratorINS9_10device_ptrIsEEEESE_SE_sNS9_4plusIvEENS9_8equal_toIvEEsEE10hipError_tPvRmT2_T3_T4_T5_mT6_T7_P12ihipStream_tbENKUlT_T0_E_clISt17integral_constantIbLb1EESZ_EEDaSU_SV_EUlSU_E_NS1_11comp_targetILNS1_3genE2ELNS1_11target_archE906ELNS1_3gpuE6ELNS1_3repE0EEENS1_30default_config_static_selectorELNS0_4arch9wavefront6targetE0EEEvT1_
    .private_segment_fixed_size: 0
    .sgpr_count:     0
    .sgpr_spill_count: 0
    .symbol:         _ZN7rocprim17ROCPRIM_400000_NS6detail17trampoline_kernelINS0_14default_configENS1_27scan_by_key_config_selectorIssEEZZNS1_16scan_by_key_implILNS1_25lookback_scan_determinismE0ELb1ES3_N6thrust23THRUST_200600_302600_NS6detail15normal_iteratorINS9_10device_ptrIsEEEESE_SE_sNS9_4plusIvEENS9_8equal_toIvEEsEE10hipError_tPvRmT2_T3_T4_T5_mT6_T7_P12ihipStream_tbENKUlT_T0_E_clISt17integral_constantIbLb1EESZ_EEDaSU_SV_EUlSU_E_NS1_11comp_targetILNS1_3genE2ELNS1_11target_archE906ELNS1_3gpuE6ELNS1_3repE0EEENS1_30default_config_static_selectorELNS0_4arch9wavefront6targetE0EEEvT1_.kd
    .uniform_work_group_size: 1
    .uses_dynamic_stack: false
    .vgpr_count:     0
    .vgpr_spill_count: 0
    .wavefront_size: 32
    .workgroup_processor_mode: 1
  - .args:
      - .offset:         0
        .size:           112
        .value_kind:     by_value
    .group_segment_fixed_size: 0
    .kernarg_segment_align: 8
    .kernarg_segment_size: 112
    .language:       OpenCL C
    .language_version:
      - 2
      - 0
    .max_flat_workgroup_size: 256
    .name:           _ZN7rocprim17ROCPRIM_400000_NS6detail17trampoline_kernelINS0_14default_configENS1_27scan_by_key_config_selectorIssEEZZNS1_16scan_by_key_implILNS1_25lookback_scan_determinismE0ELb1ES3_N6thrust23THRUST_200600_302600_NS6detail15normal_iteratorINS9_10device_ptrIsEEEESE_SE_sNS9_4plusIvEENS9_8equal_toIvEEsEE10hipError_tPvRmT2_T3_T4_T5_mT6_T7_P12ihipStream_tbENKUlT_T0_E_clISt17integral_constantIbLb1EESZ_EEDaSU_SV_EUlSU_E_NS1_11comp_targetILNS1_3genE10ELNS1_11target_archE1200ELNS1_3gpuE4ELNS1_3repE0EEENS1_30default_config_static_selectorELNS0_4arch9wavefront6targetE0EEEvT1_
    .private_segment_fixed_size: 0
    .sgpr_count:     0
    .sgpr_spill_count: 0
    .symbol:         _ZN7rocprim17ROCPRIM_400000_NS6detail17trampoline_kernelINS0_14default_configENS1_27scan_by_key_config_selectorIssEEZZNS1_16scan_by_key_implILNS1_25lookback_scan_determinismE0ELb1ES3_N6thrust23THRUST_200600_302600_NS6detail15normal_iteratorINS9_10device_ptrIsEEEESE_SE_sNS9_4plusIvEENS9_8equal_toIvEEsEE10hipError_tPvRmT2_T3_T4_T5_mT6_T7_P12ihipStream_tbENKUlT_T0_E_clISt17integral_constantIbLb1EESZ_EEDaSU_SV_EUlSU_E_NS1_11comp_targetILNS1_3genE10ELNS1_11target_archE1200ELNS1_3gpuE4ELNS1_3repE0EEENS1_30default_config_static_selectorELNS0_4arch9wavefront6targetE0EEEvT1_.kd
    .uniform_work_group_size: 1
    .uses_dynamic_stack: false
    .vgpr_count:     0
    .vgpr_spill_count: 0
    .wavefront_size: 32
    .workgroup_processor_mode: 1
  - .args:
      - .offset:         0
        .size:           112
        .value_kind:     by_value
    .group_segment_fixed_size: 0
    .kernarg_segment_align: 8
    .kernarg_segment_size: 112
    .language:       OpenCL C
    .language_version:
      - 2
      - 0
    .max_flat_workgroup_size: 256
    .name:           _ZN7rocprim17ROCPRIM_400000_NS6detail17trampoline_kernelINS0_14default_configENS1_27scan_by_key_config_selectorIssEEZZNS1_16scan_by_key_implILNS1_25lookback_scan_determinismE0ELb1ES3_N6thrust23THRUST_200600_302600_NS6detail15normal_iteratorINS9_10device_ptrIsEEEESE_SE_sNS9_4plusIvEENS9_8equal_toIvEEsEE10hipError_tPvRmT2_T3_T4_T5_mT6_T7_P12ihipStream_tbENKUlT_T0_E_clISt17integral_constantIbLb1EESZ_EEDaSU_SV_EUlSU_E_NS1_11comp_targetILNS1_3genE9ELNS1_11target_archE1100ELNS1_3gpuE3ELNS1_3repE0EEENS1_30default_config_static_selectorELNS0_4arch9wavefront6targetE0EEEvT1_
    .private_segment_fixed_size: 0
    .sgpr_count:     0
    .sgpr_spill_count: 0
    .symbol:         _ZN7rocprim17ROCPRIM_400000_NS6detail17trampoline_kernelINS0_14default_configENS1_27scan_by_key_config_selectorIssEEZZNS1_16scan_by_key_implILNS1_25lookback_scan_determinismE0ELb1ES3_N6thrust23THRUST_200600_302600_NS6detail15normal_iteratorINS9_10device_ptrIsEEEESE_SE_sNS9_4plusIvEENS9_8equal_toIvEEsEE10hipError_tPvRmT2_T3_T4_T5_mT6_T7_P12ihipStream_tbENKUlT_T0_E_clISt17integral_constantIbLb1EESZ_EEDaSU_SV_EUlSU_E_NS1_11comp_targetILNS1_3genE9ELNS1_11target_archE1100ELNS1_3gpuE3ELNS1_3repE0EEENS1_30default_config_static_selectorELNS0_4arch9wavefront6targetE0EEEvT1_.kd
    .uniform_work_group_size: 1
    .uses_dynamic_stack: false
    .vgpr_count:     0
    .vgpr_spill_count: 0
    .wavefront_size: 32
    .workgroup_processor_mode: 1
  - .args:
      - .offset:         0
        .size:           112
        .value_kind:     by_value
    .group_segment_fixed_size: 0
    .kernarg_segment_align: 8
    .kernarg_segment_size: 112
    .language:       OpenCL C
    .language_version:
      - 2
      - 0
    .max_flat_workgroup_size: 64
    .name:           _ZN7rocprim17ROCPRIM_400000_NS6detail17trampoline_kernelINS0_14default_configENS1_27scan_by_key_config_selectorIssEEZZNS1_16scan_by_key_implILNS1_25lookback_scan_determinismE0ELb1ES3_N6thrust23THRUST_200600_302600_NS6detail15normal_iteratorINS9_10device_ptrIsEEEESE_SE_sNS9_4plusIvEENS9_8equal_toIvEEsEE10hipError_tPvRmT2_T3_T4_T5_mT6_T7_P12ihipStream_tbENKUlT_T0_E_clISt17integral_constantIbLb1EESZ_EEDaSU_SV_EUlSU_E_NS1_11comp_targetILNS1_3genE8ELNS1_11target_archE1030ELNS1_3gpuE2ELNS1_3repE0EEENS1_30default_config_static_selectorELNS0_4arch9wavefront6targetE0EEEvT1_
    .private_segment_fixed_size: 0
    .sgpr_count:     0
    .sgpr_spill_count: 0
    .symbol:         _ZN7rocprim17ROCPRIM_400000_NS6detail17trampoline_kernelINS0_14default_configENS1_27scan_by_key_config_selectorIssEEZZNS1_16scan_by_key_implILNS1_25lookback_scan_determinismE0ELb1ES3_N6thrust23THRUST_200600_302600_NS6detail15normal_iteratorINS9_10device_ptrIsEEEESE_SE_sNS9_4plusIvEENS9_8equal_toIvEEsEE10hipError_tPvRmT2_T3_T4_T5_mT6_T7_P12ihipStream_tbENKUlT_T0_E_clISt17integral_constantIbLb1EESZ_EEDaSU_SV_EUlSU_E_NS1_11comp_targetILNS1_3genE8ELNS1_11target_archE1030ELNS1_3gpuE2ELNS1_3repE0EEENS1_30default_config_static_selectorELNS0_4arch9wavefront6targetE0EEEvT1_.kd
    .uniform_work_group_size: 1
    .uses_dynamic_stack: false
    .vgpr_count:     0
    .vgpr_spill_count: 0
    .wavefront_size: 32
    .workgroup_processor_mode: 1
  - .args:
      - .offset:         0
        .size:           112
        .value_kind:     by_value
    .group_segment_fixed_size: 0
    .kernarg_segment_align: 8
    .kernarg_segment_size: 112
    .language:       OpenCL C
    .language_version:
      - 2
      - 0
    .max_flat_workgroup_size: 256
    .name:           _ZN7rocprim17ROCPRIM_400000_NS6detail17trampoline_kernelINS0_14default_configENS1_27scan_by_key_config_selectorIssEEZZNS1_16scan_by_key_implILNS1_25lookback_scan_determinismE0ELb1ES3_N6thrust23THRUST_200600_302600_NS6detail15normal_iteratorINS9_10device_ptrIsEEEESE_SE_sNS9_4plusIvEENS9_8equal_toIvEEsEE10hipError_tPvRmT2_T3_T4_T5_mT6_T7_P12ihipStream_tbENKUlT_T0_E_clISt17integral_constantIbLb1EESY_IbLb0EEEEDaSU_SV_EUlSU_E_NS1_11comp_targetILNS1_3genE0ELNS1_11target_archE4294967295ELNS1_3gpuE0ELNS1_3repE0EEENS1_30default_config_static_selectorELNS0_4arch9wavefront6targetE0EEEvT1_
    .private_segment_fixed_size: 0
    .sgpr_count:     0
    .sgpr_spill_count: 0
    .symbol:         _ZN7rocprim17ROCPRIM_400000_NS6detail17trampoline_kernelINS0_14default_configENS1_27scan_by_key_config_selectorIssEEZZNS1_16scan_by_key_implILNS1_25lookback_scan_determinismE0ELb1ES3_N6thrust23THRUST_200600_302600_NS6detail15normal_iteratorINS9_10device_ptrIsEEEESE_SE_sNS9_4plusIvEENS9_8equal_toIvEEsEE10hipError_tPvRmT2_T3_T4_T5_mT6_T7_P12ihipStream_tbENKUlT_T0_E_clISt17integral_constantIbLb1EESY_IbLb0EEEEDaSU_SV_EUlSU_E_NS1_11comp_targetILNS1_3genE0ELNS1_11target_archE4294967295ELNS1_3gpuE0ELNS1_3repE0EEENS1_30default_config_static_selectorELNS0_4arch9wavefront6targetE0EEEvT1_.kd
    .uniform_work_group_size: 1
    .uses_dynamic_stack: false
    .vgpr_count:     0
    .vgpr_spill_count: 0
    .wavefront_size: 32
    .workgroup_processor_mode: 1
  - .args:
      - .offset:         0
        .size:           112
        .value_kind:     by_value
    .group_segment_fixed_size: 0
    .kernarg_segment_align: 8
    .kernarg_segment_size: 112
    .language:       OpenCL C
    .language_version:
      - 2
      - 0
    .max_flat_workgroup_size: 128
    .name:           _ZN7rocprim17ROCPRIM_400000_NS6detail17trampoline_kernelINS0_14default_configENS1_27scan_by_key_config_selectorIssEEZZNS1_16scan_by_key_implILNS1_25lookback_scan_determinismE0ELb1ES3_N6thrust23THRUST_200600_302600_NS6detail15normal_iteratorINS9_10device_ptrIsEEEESE_SE_sNS9_4plusIvEENS9_8equal_toIvEEsEE10hipError_tPvRmT2_T3_T4_T5_mT6_T7_P12ihipStream_tbENKUlT_T0_E_clISt17integral_constantIbLb1EESY_IbLb0EEEEDaSU_SV_EUlSU_E_NS1_11comp_targetILNS1_3genE10ELNS1_11target_archE1201ELNS1_3gpuE5ELNS1_3repE0EEENS1_30default_config_static_selectorELNS0_4arch9wavefront6targetE0EEEvT1_
    .private_segment_fixed_size: 0
    .sgpr_count:     0
    .sgpr_spill_count: 0
    .symbol:         _ZN7rocprim17ROCPRIM_400000_NS6detail17trampoline_kernelINS0_14default_configENS1_27scan_by_key_config_selectorIssEEZZNS1_16scan_by_key_implILNS1_25lookback_scan_determinismE0ELb1ES3_N6thrust23THRUST_200600_302600_NS6detail15normal_iteratorINS9_10device_ptrIsEEEESE_SE_sNS9_4plusIvEENS9_8equal_toIvEEsEE10hipError_tPvRmT2_T3_T4_T5_mT6_T7_P12ihipStream_tbENKUlT_T0_E_clISt17integral_constantIbLb1EESY_IbLb0EEEEDaSU_SV_EUlSU_E_NS1_11comp_targetILNS1_3genE10ELNS1_11target_archE1201ELNS1_3gpuE5ELNS1_3repE0EEENS1_30default_config_static_selectorELNS0_4arch9wavefront6targetE0EEEvT1_.kd
    .uniform_work_group_size: 1
    .uses_dynamic_stack: false
    .vgpr_count:     0
    .vgpr_spill_count: 0
    .wavefront_size: 32
    .workgroup_processor_mode: 1
  - .args:
      - .offset:         0
        .size:           112
        .value_kind:     by_value
    .group_segment_fixed_size: 0
    .kernarg_segment_align: 8
    .kernarg_segment_size: 112
    .language:       OpenCL C
    .language_version:
      - 2
      - 0
    .max_flat_workgroup_size: 256
    .name:           _ZN7rocprim17ROCPRIM_400000_NS6detail17trampoline_kernelINS0_14default_configENS1_27scan_by_key_config_selectorIssEEZZNS1_16scan_by_key_implILNS1_25lookback_scan_determinismE0ELb1ES3_N6thrust23THRUST_200600_302600_NS6detail15normal_iteratorINS9_10device_ptrIsEEEESE_SE_sNS9_4plusIvEENS9_8equal_toIvEEsEE10hipError_tPvRmT2_T3_T4_T5_mT6_T7_P12ihipStream_tbENKUlT_T0_E_clISt17integral_constantIbLb1EESY_IbLb0EEEEDaSU_SV_EUlSU_E_NS1_11comp_targetILNS1_3genE5ELNS1_11target_archE942ELNS1_3gpuE9ELNS1_3repE0EEENS1_30default_config_static_selectorELNS0_4arch9wavefront6targetE0EEEvT1_
    .private_segment_fixed_size: 0
    .sgpr_count:     0
    .sgpr_spill_count: 0
    .symbol:         _ZN7rocprim17ROCPRIM_400000_NS6detail17trampoline_kernelINS0_14default_configENS1_27scan_by_key_config_selectorIssEEZZNS1_16scan_by_key_implILNS1_25lookback_scan_determinismE0ELb1ES3_N6thrust23THRUST_200600_302600_NS6detail15normal_iteratorINS9_10device_ptrIsEEEESE_SE_sNS9_4plusIvEENS9_8equal_toIvEEsEE10hipError_tPvRmT2_T3_T4_T5_mT6_T7_P12ihipStream_tbENKUlT_T0_E_clISt17integral_constantIbLb1EESY_IbLb0EEEEDaSU_SV_EUlSU_E_NS1_11comp_targetILNS1_3genE5ELNS1_11target_archE942ELNS1_3gpuE9ELNS1_3repE0EEENS1_30default_config_static_selectorELNS0_4arch9wavefront6targetE0EEEvT1_.kd
    .uniform_work_group_size: 1
    .uses_dynamic_stack: false
    .vgpr_count:     0
    .vgpr_spill_count: 0
    .wavefront_size: 32
    .workgroup_processor_mode: 1
  - .args:
      - .offset:         0
        .size:           112
        .value_kind:     by_value
    .group_segment_fixed_size: 0
    .kernarg_segment_align: 8
    .kernarg_segment_size: 112
    .language:       OpenCL C
    .language_version:
      - 2
      - 0
    .max_flat_workgroup_size: 256
    .name:           _ZN7rocprim17ROCPRIM_400000_NS6detail17trampoline_kernelINS0_14default_configENS1_27scan_by_key_config_selectorIssEEZZNS1_16scan_by_key_implILNS1_25lookback_scan_determinismE0ELb1ES3_N6thrust23THRUST_200600_302600_NS6detail15normal_iteratorINS9_10device_ptrIsEEEESE_SE_sNS9_4plusIvEENS9_8equal_toIvEEsEE10hipError_tPvRmT2_T3_T4_T5_mT6_T7_P12ihipStream_tbENKUlT_T0_E_clISt17integral_constantIbLb1EESY_IbLb0EEEEDaSU_SV_EUlSU_E_NS1_11comp_targetILNS1_3genE4ELNS1_11target_archE910ELNS1_3gpuE8ELNS1_3repE0EEENS1_30default_config_static_selectorELNS0_4arch9wavefront6targetE0EEEvT1_
    .private_segment_fixed_size: 0
    .sgpr_count:     0
    .sgpr_spill_count: 0
    .symbol:         _ZN7rocprim17ROCPRIM_400000_NS6detail17trampoline_kernelINS0_14default_configENS1_27scan_by_key_config_selectorIssEEZZNS1_16scan_by_key_implILNS1_25lookback_scan_determinismE0ELb1ES3_N6thrust23THRUST_200600_302600_NS6detail15normal_iteratorINS9_10device_ptrIsEEEESE_SE_sNS9_4plusIvEENS9_8equal_toIvEEsEE10hipError_tPvRmT2_T3_T4_T5_mT6_T7_P12ihipStream_tbENKUlT_T0_E_clISt17integral_constantIbLb1EESY_IbLb0EEEEDaSU_SV_EUlSU_E_NS1_11comp_targetILNS1_3genE4ELNS1_11target_archE910ELNS1_3gpuE8ELNS1_3repE0EEENS1_30default_config_static_selectorELNS0_4arch9wavefront6targetE0EEEvT1_.kd
    .uniform_work_group_size: 1
    .uses_dynamic_stack: false
    .vgpr_count:     0
    .vgpr_spill_count: 0
    .wavefront_size: 32
    .workgroup_processor_mode: 1
  - .args:
      - .offset:         0
        .size:           112
        .value_kind:     by_value
    .group_segment_fixed_size: 0
    .kernarg_segment_align: 8
    .kernarg_segment_size: 112
    .language:       OpenCL C
    .language_version:
      - 2
      - 0
    .max_flat_workgroup_size: 256
    .name:           _ZN7rocprim17ROCPRIM_400000_NS6detail17trampoline_kernelINS0_14default_configENS1_27scan_by_key_config_selectorIssEEZZNS1_16scan_by_key_implILNS1_25lookback_scan_determinismE0ELb1ES3_N6thrust23THRUST_200600_302600_NS6detail15normal_iteratorINS9_10device_ptrIsEEEESE_SE_sNS9_4plusIvEENS9_8equal_toIvEEsEE10hipError_tPvRmT2_T3_T4_T5_mT6_T7_P12ihipStream_tbENKUlT_T0_E_clISt17integral_constantIbLb1EESY_IbLb0EEEEDaSU_SV_EUlSU_E_NS1_11comp_targetILNS1_3genE3ELNS1_11target_archE908ELNS1_3gpuE7ELNS1_3repE0EEENS1_30default_config_static_selectorELNS0_4arch9wavefront6targetE0EEEvT1_
    .private_segment_fixed_size: 0
    .sgpr_count:     0
    .sgpr_spill_count: 0
    .symbol:         _ZN7rocprim17ROCPRIM_400000_NS6detail17trampoline_kernelINS0_14default_configENS1_27scan_by_key_config_selectorIssEEZZNS1_16scan_by_key_implILNS1_25lookback_scan_determinismE0ELb1ES3_N6thrust23THRUST_200600_302600_NS6detail15normal_iteratorINS9_10device_ptrIsEEEESE_SE_sNS9_4plusIvEENS9_8equal_toIvEEsEE10hipError_tPvRmT2_T3_T4_T5_mT6_T7_P12ihipStream_tbENKUlT_T0_E_clISt17integral_constantIbLb1EESY_IbLb0EEEEDaSU_SV_EUlSU_E_NS1_11comp_targetILNS1_3genE3ELNS1_11target_archE908ELNS1_3gpuE7ELNS1_3repE0EEENS1_30default_config_static_selectorELNS0_4arch9wavefront6targetE0EEEvT1_.kd
    .uniform_work_group_size: 1
    .uses_dynamic_stack: false
    .vgpr_count:     0
    .vgpr_spill_count: 0
    .wavefront_size: 32
    .workgroup_processor_mode: 1
  - .args:
      - .offset:         0
        .size:           112
        .value_kind:     by_value
    .group_segment_fixed_size: 0
    .kernarg_segment_align: 8
    .kernarg_segment_size: 112
    .language:       OpenCL C
    .language_version:
      - 2
      - 0
    .max_flat_workgroup_size: 64
    .name:           _ZN7rocprim17ROCPRIM_400000_NS6detail17trampoline_kernelINS0_14default_configENS1_27scan_by_key_config_selectorIssEEZZNS1_16scan_by_key_implILNS1_25lookback_scan_determinismE0ELb1ES3_N6thrust23THRUST_200600_302600_NS6detail15normal_iteratorINS9_10device_ptrIsEEEESE_SE_sNS9_4plusIvEENS9_8equal_toIvEEsEE10hipError_tPvRmT2_T3_T4_T5_mT6_T7_P12ihipStream_tbENKUlT_T0_E_clISt17integral_constantIbLb1EESY_IbLb0EEEEDaSU_SV_EUlSU_E_NS1_11comp_targetILNS1_3genE2ELNS1_11target_archE906ELNS1_3gpuE6ELNS1_3repE0EEENS1_30default_config_static_selectorELNS0_4arch9wavefront6targetE0EEEvT1_
    .private_segment_fixed_size: 0
    .sgpr_count:     0
    .sgpr_spill_count: 0
    .symbol:         _ZN7rocprim17ROCPRIM_400000_NS6detail17trampoline_kernelINS0_14default_configENS1_27scan_by_key_config_selectorIssEEZZNS1_16scan_by_key_implILNS1_25lookback_scan_determinismE0ELb1ES3_N6thrust23THRUST_200600_302600_NS6detail15normal_iteratorINS9_10device_ptrIsEEEESE_SE_sNS9_4plusIvEENS9_8equal_toIvEEsEE10hipError_tPvRmT2_T3_T4_T5_mT6_T7_P12ihipStream_tbENKUlT_T0_E_clISt17integral_constantIbLb1EESY_IbLb0EEEEDaSU_SV_EUlSU_E_NS1_11comp_targetILNS1_3genE2ELNS1_11target_archE906ELNS1_3gpuE6ELNS1_3repE0EEENS1_30default_config_static_selectorELNS0_4arch9wavefront6targetE0EEEvT1_.kd
    .uniform_work_group_size: 1
    .uses_dynamic_stack: false
    .vgpr_count:     0
    .vgpr_spill_count: 0
    .wavefront_size: 32
    .workgroup_processor_mode: 1
  - .args:
      - .offset:         0
        .size:           112
        .value_kind:     by_value
    .group_segment_fixed_size: 0
    .kernarg_segment_align: 8
    .kernarg_segment_size: 112
    .language:       OpenCL C
    .language_version:
      - 2
      - 0
    .max_flat_workgroup_size: 256
    .name:           _ZN7rocprim17ROCPRIM_400000_NS6detail17trampoline_kernelINS0_14default_configENS1_27scan_by_key_config_selectorIssEEZZNS1_16scan_by_key_implILNS1_25lookback_scan_determinismE0ELb1ES3_N6thrust23THRUST_200600_302600_NS6detail15normal_iteratorINS9_10device_ptrIsEEEESE_SE_sNS9_4plusIvEENS9_8equal_toIvEEsEE10hipError_tPvRmT2_T3_T4_T5_mT6_T7_P12ihipStream_tbENKUlT_T0_E_clISt17integral_constantIbLb1EESY_IbLb0EEEEDaSU_SV_EUlSU_E_NS1_11comp_targetILNS1_3genE10ELNS1_11target_archE1200ELNS1_3gpuE4ELNS1_3repE0EEENS1_30default_config_static_selectorELNS0_4arch9wavefront6targetE0EEEvT1_
    .private_segment_fixed_size: 0
    .sgpr_count:     0
    .sgpr_spill_count: 0
    .symbol:         _ZN7rocprim17ROCPRIM_400000_NS6detail17trampoline_kernelINS0_14default_configENS1_27scan_by_key_config_selectorIssEEZZNS1_16scan_by_key_implILNS1_25lookback_scan_determinismE0ELb1ES3_N6thrust23THRUST_200600_302600_NS6detail15normal_iteratorINS9_10device_ptrIsEEEESE_SE_sNS9_4plusIvEENS9_8equal_toIvEEsEE10hipError_tPvRmT2_T3_T4_T5_mT6_T7_P12ihipStream_tbENKUlT_T0_E_clISt17integral_constantIbLb1EESY_IbLb0EEEEDaSU_SV_EUlSU_E_NS1_11comp_targetILNS1_3genE10ELNS1_11target_archE1200ELNS1_3gpuE4ELNS1_3repE0EEENS1_30default_config_static_selectorELNS0_4arch9wavefront6targetE0EEEvT1_.kd
    .uniform_work_group_size: 1
    .uses_dynamic_stack: false
    .vgpr_count:     0
    .vgpr_spill_count: 0
    .wavefront_size: 32
    .workgroup_processor_mode: 1
  - .args:
      - .offset:         0
        .size:           112
        .value_kind:     by_value
    .group_segment_fixed_size: 0
    .kernarg_segment_align: 8
    .kernarg_segment_size: 112
    .language:       OpenCL C
    .language_version:
      - 2
      - 0
    .max_flat_workgroup_size: 256
    .name:           _ZN7rocprim17ROCPRIM_400000_NS6detail17trampoline_kernelINS0_14default_configENS1_27scan_by_key_config_selectorIssEEZZNS1_16scan_by_key_implILNS1_25lookback_scan_determinismE0ELb1ES3_N6thrust23THRUST_200600_302600_NS6detail15normal_iteratorINS9_10device_ptrIsEEEESE_SE_sNS9_4plusIvEENS9_8equal_toIvEEsEE10hipError_tPvRmT2_T3_T4_T5_mT6_T7_P12ihipStream_tbENKUlT_T0_E_clISt17integral_constantIbLb1EESY_IbLb0EEEEDaSU_SV_EUlSU_E_NS1_11comp_targetILNS1_3genE9ELNS1_11target_archE1100ELNS1_3gpuE3ELNS1_3repE0EEENS1_30default_config_static_selectorELNS0_4arch9wavefront6targetE0EEEvT1_
    .private_segment_fixed_size: 0
    .sgpr_count:     0
    .sgpr_spill_count: 0
    .symbol:         _ZN7rocprim17ROCPRIM_400000_NS6detail17trampoline_kernelINS0_14default_configENS1_27scan_by_key_config_selectorIssEEZZNS1_16scan_by_key_implILNS1_25lookback_scan_determinismE0ELb1ES3_N6thrust23THRUST_200600_302600_NS6detail15normal_iteratorINS9_10device_ptrIsEEEESE_SE_sNS9_4plusIvEENS9_8equal_toIvEEsEE10hipError_tPvRmT2_T3_T4_T5_mT6_T7_P12ihipStream_tbENKUlT_T0_E_clISt17integral_constantIbLb1EESY_IbLb0EEEEDaSU_SV_EUlSU_E_NS1_11comp_targetILNS1_3genE9ELNS1_11target_archE1100ELNS1_3gpuE3ELNS1_3repE0EEENS1_30default_config_static_selectorELNS0_4arch9wavefront6targetE0EEEvT1_.kd
    .uniform_work_group_size: 1
    .uses_dynamic_stack: false
    .vgpr_count:     0
    .vgpr_spill_count: 0
    .wavefront_size: 32
    .workgroup_processor_mode: 1
  - .args:
      - .offset:         0
        .size:           112
        .value_kind:     by_value
    .group_segment_fixed_size: 0
    .kernarg_segment_align: 8
    .kernarg_segment_size: 112
    .language:       OpenCL C
    .language_version:
      - 2
      - 0
    .max_flat_workgroup_size: 64
    .name:           _ZN7rocprim17ROCPRIM_400000_NS6detail17trampoline_kernelINS0_14default_configENS1_27scan_by_key_config_selectorIssEEZZNS1_16scan_by_key_implILNS1_25lookback_scan_determinismE0ELb1ES3_N6thrust23THRUST_200600_302600_NS6detail15normal_iteratorINS9_10device_ptrIsEEEESE_SE_sNS9_4plusIvEENS9_8equal_toIvEEsEE10hipError_tPvRmT2_T3_T4_T5_mT6_T7_P12ihipStream_tbENKUlT_T0_E_clISt17integral_constantIbLb1EESY_IbLb0EEEEDaSU_SV_EUlSU_E_NS1_11comp_targetILNS1_3genE8ELNS1_11target_archE1030ELNS1_3gpuE2ELNS1_3repE0EEENS1_30default_config_static_selectorELNS0_4arch9wavefront6targetE0EEEvT1_
    .private_segment_fixed_size: 0
    .sgpr_count:     0
    .sgpr_spill_count: 0
    .symbol:         _ZN7rocprim17ROCPRIM_400000_NS6detail17trampoline_kernelINS0_14default_configENS1_27scan_by_key_config_selectorIssEEZZNS1_16scan_by_key_implILNS1_25lookback_scan_determinismE0ELb1ES3_N6thrust23THRUST_200600_302600_NS6detail15normal_iteratorINS9_10device_ptrIsEEEESE_SE_sNS9_4plusIvEENS9_8equal_toIvEEsEE10hipError_tPvRmT2_T3_T4_T5_mT6_T7_P12ihipStream_tbENKUlT_T0_E_clISt17integral_constantIbLb1EESY_IbLb0EEEEDaSU_SV_EUlSU_E_NS1_11comp_targetILNS1_3genE8ELNS1_11target_archE1030ELNS1_3gpuE2ELNS1_3repE0EEENS1_30default_config_static_selectorELNS0_4arch9wavefront6targetE0EEEvT1_.kd
    .uniform_work_group_size: 1
    .uses_dynamic_stack: false
    .vgpr_count:     0
    .vgpr_spill_count: 0
    .wavefront_size: 32
    .workgroup_processor_mode: 1
  - .args:
      - .offset:         0
        .size:           112
        .value_kind:     by_value
    .group_segment_fixed_size: 0
    .kernarg_segment_align: 8
    .kernarg_segment_size: 112
    .language:       OpenCL C
    .language_version:
      - 2
      - 0
    .max_flat_workgroup_size: 256
    .name:           _ZN7rocprim17ROCPRIM_400000_NS6detail17trampoline_kernelINS0_14default_configENS1_27scan_by_key_config_selectorIssEEZZNS1_16scan_by_key_implILNS1_25lookback_scan_determinismE0ELb1ES3_N6thrust23THRUST_200600_302600_NS6detail15normal_iteratorINS9_10device_ptrIsEEEESE_SE_sNS9_4plusIvEENS9_8equal_toIvEEsEE10hipError_tPvRmT2_T3_T4_T5_mT6_T7_P12ihipStream_tbENKUlT_T0_E_clISt17integral_constantIbLb0EESY_IbLb1EEEEDaSU_SV_EUlSU_E_NS1_11comp_targetILNS1_3genE0ELNS1_11target_archE4294967295ELNS1_3gpuE0ELNS1_3repE0EEENS1_30default_config_static_selectorELNS0_4arch9wavefront6targetE0EEEvT1_
    .private_segment_fixed_size: 0
    .sgpr_count:     0
    .sgpr_spill_count: 0
    .symbol:         _ZN7rocprim17ROCPRIM_400000_NS6detail17trampoline_kernelINS0_14default_configENS1_27scan_by_key_config_selectorIssEEZZNS1_16scan_by_key_implILNS1_25lookback_scan_determinismE0ELb1ES3_N6thrust23THRUST_200600_302600_NS6detail15normal_iteratorINS9_10device_ptrIsEEEESE_SE_sNS9_4plusIvEENS9_8equal_toIvEEsEE10hipError_tPvRmT2_T3_T4_T5_mT6_T7_P12ihipStream_tbENKUlT_T0_E_clISt17integral_constantIbLb0EESY_IbLb1EEEEDaSU_SV_EUlSU_E_NS1_11comp_targetILNS1_3genE0ELNS1_11target_archE4294967295ELNS1_3gpuE0ELNS1_3repE0EEENS1_30default_config_static_selectorELNS0_4arch9wavefront6targetE0EEEvT1_.kd
    .uniform_work_group_size: 1
    .uses_dynamic_stack: false
    .vgpr_count:     0
    .vgpr_spill_count: 0
    .wavefront_size: 32
    .workgroup_processor_mode: 1
  - .args:
      - .offset:         0
        .size:           112
        .value_kind:     by_value
    .group_segment_fixed_size: 0
    .kernarg_segment_align: 8
    .kernarg_segment_size: 112
    .language:       OpenCL C
    .language_version:
      - 2
      - 0
    .max_flat_workgroup_size: 128
    .name:           _ZN7rocprim17ROCPRIM_400000_NS6detail17trampoline_kernelINS0_14default_configENS1_27scan_by_key_config_selectorIssEEZZNS1_16scan_by_key_implILNS1_25lookback_scan_determinismE0ELb1ES3_N6thrust23THRUST_200600_302600_NS6detail15normal_iteratorINS9_10device_ptrIsEEEESE_SE_sNS9_4plusIvEENS9_8equal_toIvEEsEE10hipError_tPvRmT2_T3_T4_T5_mT6_T7_P12ihipStream_tbENKUlT_T0_E_clISt17integral_constantIbLb0EESY_IbLb1EEEEDaSU_SV_EUlSU_E_NS1_11comp_targetILNS1_3genE10ELNS1_11target_archE1201ELNS1_3gpuE5ELNS1_3repE0EEENS1_30default_config_static_selectorELNS0_4arch9wavefront6targetE0EEEvT1_
    .private_segment_fixed_size: 0
    .sgpr_count:     0
    .sgpr_spill_count: 0
    .symbol:         _ZN7rocprim17ROCPRIM_400000_NS6detail17trampoline_kernelINS0_14default_configENS1_27scan_by_key_config_selectorIssEEZZNS1_16scan_by_key_implILNS1_25lookback_scan_determinismE0ELb1ES3_N6thrust23THRUST_200600_302600_NS6detail15normal_iteratorINS9_10device_ptrIsEEEESE_SE_sNS9_4plusIvEENS9_8equal_toIvEEsEE10hipError_tPvRmT2_T3_T4_T5_mT6_T7_P12ihipStream_tbENKUlT_T0_E_clISt17integral_constantIbLb0EESY_IbLb1EEEEDaSU_SV_EUlSU_E_NS1_11comp_targetILNS1_3genE10ELNS1_11target_archE1201ELNS1_3gpuE5ELNS1_3repE0EEENS1_30default_config_static_selectorELNS0_4arch9wavefront6targetE0EEEvT1_.kd
    .uniform_work_group_size: 1
    .uses_dynamic_stack: false
    .vgpr_count:     0
    .vgpr_spill_count: 0
    .wavefront_size: 32
    .workgroup_processor_mode: 1
  - .args:
      - .offset:         0
        .size:           112
        .value_kind:     by_value
    .group_segment_fixed_size: 0
    .kernarg_segment_align: 8
    .kernarg_segment_size: 112
    .language:       OpenCL C
    .language_version:
      - 2
      - 0
    .max_flat_workgroup_size: 256
    .name:           _ZN7rocprim17ROCPRIM_400000_NS6detail17trampoline_kernelINS0_14default_configENS1_27scan_by_key_config_selectorIssEEZZNS1_16scan_by_key_implILNS1_25lookback_scan_determinismE0ELb1ES3_N6thrust23THRUST_200600_302600_NS6detail15normal_iteratorINS9_10device_ptrIsEEEESE_SE_sNS9_4plusIvEENS9_8equal_toIvEEsEE10hipError_tPvRmT2_T3_T4_T5_mT6_T7_P12ihipStream_tbENKUlT_T0_E_clISt17integral_constantIbLb0EESY_IbLb1EEEEDaSU_SV_EUlSU_E_NS1_11comp_targetILNS1_3genE5ELNS1_11target_archE942ELNS1_3gpuE9ELNS1_3repE0EEENS1_30default_config_static_selectorELNS0_4arch9wavefront6targetE0EEEvT1_
    .private_segment_fixed_size: 0
    .sgpr_count:     0
    .sgpr_spill_count: 0
    .symbol:         _ZN7rocprim17ROCPRIM_400000_NS6detail17trampoline_kernelINS0_14default_configENS1_27scan_by_key_config_selectorIssEEZZNS1_16scan_by_key_implILNS1_25lookback_scan_determinismE0ELb1ES3_N6thrust23THRUST_200600_302600_NS6detail15normal_iteratorINS9_10device_ptrIsEEEESE_SE_sNS9_4plusIvEENS9_8equal_toIvEEsEE10hipError_tPvRmT2_T3_T4_T5_mT6_T7_P12ihipStream_tbENKUlT_T0_E_clISt17integral_constantIbLb0EESY_IbLb1EEEEDaSU_SV_EUlSU_E_NS1_11comp_targetILNS1_3genE5ELNS1_11target_archE942ELNS1_3gpuE9ELNS1_3repE0EEENS1_30default_config_static_selectorELNS0_4arch9wavefront6targetE0EEEvT1_.kd
    .uniform_work_group_size: 1
    .uses_dynamic_stack: false
    .vgpr_count:     0
    .vgpr_spill_count: 0
    .wavefront_size: 32
    .workgroup_processor_mode: 1
  - .args:
      - .offset:         0
        .size:           112
        .value_kind:     by_value
    .group_segment_fixed_size: 0
    .kernarg_segment_align: 8
    .kernarg_segment_size: 112
    .language:       OpenCL C
    .language_version:
      - 2
      - 0
    .max_flat_workgroup_size: 256
    .name:           _ZN7rocprim17ROCPRIM_400000_NS6detail17trampoline_kernelINS0_14default_configENS1_27scan_by_key_config_selectorIssEEZZNS1_16scan_by_key_implILNS1_25lookback_scan_determinismE0ELb1ES3_N6thrust23THRUST_200600_302600_NS6detail15normal_iteratorINS9_10device_ptrIsEEEESE_SE_sNS9_4plusIvEENS9_8equal_toIvEEsEE10hipError_tPvRmT2_T3_T4_T5_mT6_T7_P12ihipStream_tbENKUlT_T0_E_clISt17integral_constantIbLb0EESY_IbLb1EEEEDaSU_SV_EUlSU_E_NS1_11comp_targetILNS1_3genE4ELNS1_11target_archE910ELNS1_3gpuE8ELNS1_3repE0EEENS1_30default_config_static_selectorELNS0_4arch9wavefront6targetE0EEEvT1_
    .private_segment_fixed_size: 0
    .sgpr_count:     0
    .sgpr_spill_count: 0
    .symbol:         _ZN7rocprim17ROCPRIM_400000_NS6detail17trampoline_kernelINS0_14default_configENS1_27scan_by_key_config_selectorIssEEZZNS1_16scan_by_key_implILNS1_25lookback_scan_determinismE0ELb1ES3_N6thrust23THRUST_200600_302600_NS6detail15normal_iteratorINS9_10device_ptrIsEEEESE_SE_sNS9_4plusIvEENS9_8equal_toIvEEsEE10hipError_tPvRmT2_T3_T4_T5_mT6_T7_P12ihipStream_tbENKUlT_T0_E_clISt17integral_constantIbLb0EESY_IbLb1EEEEDaSU_SV_EUlSU_E_NS1_11comp_targetILNS1_3genE4ELNS1_11target_archE910ELNS1_3gpuE8ELNS1_3repE0EEENS1_30default_config_static_selectorELNS0_4arch9wavefront6targetE0EEEvT1_.kd
    .uniform_work_group_size: 1
    .uses_dynamic_stack: false
    .vgpr_count:     0
    .vgpr_spill_count: 0
    .wavefront_size: 32
    .workgroup_processor_mode: 1
  - .args:
      - .offset:         0
        .size:           112
        .value_kind:     by_value
    .group_segment_fixed_size: 0
    .kernarg_segment_align: 8
    .kernarg_segment_size: 112
    .language:       OpenCL C
    .language_version:
      - 2
      - 0
    .max_flat_workgroup_size: 256
    .name:           _ZN7rocprim17ROCPRIM_400000_NS6detail17trampoline_kernelINS0_14default_configENS1_27scan_by_key_config_selectorIssEEZZNS1_16scan_by_key_implILNS1_25lookback_scan_determinismE0ELb1ES3_N6thrust23THRUST_200600_302600_NS6detail15normal_iteratorINS9_10device_ptrIsEEEESE_SE_sNS9_4plusIvEENS9_8equal_toIvEEsEE10hipError_tPvRmT2_T3_T4_T5_mT6_T7_P12ihipStream_tbENKUlT_T0_E_clISt17integral_constantIbLb0EESY_IbLb1EEEEDaSU_SV_EUlSU_E_NS1_11comp_targetILNS1_3genE3ELNS1_11target_archE908ELNS1_3gpuE7ELNS1_3repE0EEENS1_30default_config_static_selectorELNS0_4arch9wavefront6targetE0EEEvT1_
    .private_segment_fixed_size: 0
    .sgpr_count:     0
    .sgpr_spill_count: 0
    .symbol:         _ZN7rocprim17ROCPRIM_400000_NS6detail17trampoline_kernelINS0_14default_configENS1_27scan_by_key_config_selectorIssEEZZNS1_16scan_by_key_implILNS1_25lookback_scan_determinismE0ELb1ES3_N6thrust23THRUST_200600_302600_NS6detail15normal_iteratorINS9_10device_ptrIsEEEESE_SE_sNS9_4plusIvEENS9_8equal_toIvEEsEE10hipError_tPvRmT2_T3_T4_T5_mT6_T7_P12ihipStream_tbENKUlT_T0_E_clISt17integral_constantIbLb0EESY_IbLb1EEEEDaSU_SV_EUlSU_E_NS1_11comp_targetILNS1_3genE3ELNS1_11target_archE908ELNS1_3gpuE7ELNS1_3repE0EEENS1_30default_config_static_selectorELNS0_4arch9wavefront6targetE0EEEvT1_.kd
    .uniform_work_group_size: 1
    .uses_dynamic_stack: false
    .vgpr_count:     0
    .vgpr_spill_count: 0
    .wavefront_size: 32
    .workgroup_processor_mode: 1
  - .args:
      - .offset:         0
        .size:           112
        .value_kind:     by_value
    .group_segment_fixed_size: 0
    .kernarg_segment_align: 8
    .kernarg_segment_size: 112
    .language:       OpenCL C
    .language_version:
      - 2
      - 0
    .max_flat_workgroup_size: 64
    .name:           _ZN7rocprim17ROCPRIM_400000_NS6detail17trampoline_kernelINS0_14default_configENS1_27scan_by_key_config_selectorIssEEZZNS1_16scan_by_key_implILNS1_25lookback_scan_determinismE0ELb1ES3_N6thrust23THRUST_200600_302600_NS6detail15normal_iteratorINS9_10device_ptrIsEEEESE_SE_sNS9_4plusIvEENS9_8equal_toIvEEsEE10hipError_tPvRmT2_T3_T4_T5_mT6_T7_P12ihipStream_tbENKUlT_T0_E_clISt17integral_constantIbLb0EESY_IbLb1EEEEDaSU_SV_EUlSU_E_NS1_11comp_targetILNS1_3genE2ELNS1_11target_archE906ELNS1_3gpuE6ELNS1_3repE0EEENS1_30default_config_static_selectorELNS0_4arch9wavefront6targetE0EEEvT1_
    .private_segment_fixed_size: 0
    .sgpr_count:     0
    .sgpr_spill_count: 0
    .symbol:         _ZN7rocprim17ROCPRIM_400000_NS6detail17trampoline_kernelINS0_14default_configENS1_27scan_by_key_config_selectorIssEEZZNS1_16scan_by_key_implILNS1_25lookback_scan_determinismE0ELb1ES3_N6thrust23THRUST_200600_302600_NS6detail15normal_iteratorINS9_10device_ptrIsEEEESE_SE_sNS9_4plusIvEENS9_8equal_toIvEEsEE10hipError_tPvRmT2_T3_T4_T5_mT6_T7_P12ihipStream_tbENKUlT_T0_E_clISt17integral_constantIbLb0EESY_IbLb1EEEEDaSU_SV_EUlSU_E_NS1_11comp_targetILNS1_3genE2ELNS1_11target_archE906ELNS1_3gpuE6ELNS1_3repE0EEENS1_30default_config_static_selectorELNS0_4arch9wavefront6targetE0EEEvT1_.kd
    .uniform_work_group_size: 1
    .uses_dynamic_stack: false
    .vgpr_count:     0
    .vgpr_spill_count: 0
    .wavefront_size: 32
    .workgroup_processor_mode: 1
  - .args:
      - .offset:         0
        .size:           112
        .value_kind:     by_value
    .group_segment_fixed_size: 0
    .kernarg_segment_align: 8
    .kernarg_segment_size: 112
    .language:       OpenCL C
    .language_version:
      - 2
      - 0
    .max_flat_workgroup_size: 256
    .name:           _ZN7rocprim17ROCPRIM_400000_NS6detail17trampoline_kernelINS0_14default_configENS1_27scan_by_key_config_selectorIssEEZZNS1_16scan_by_key_implILNS1_25lookback_scan_determinismE0ELb1ES3_N6thrust23THRUST_200600_302600_NS6detail15normal_iteratorINS9_10device_ptrIsEEEESE_SE_sNS9_4plusIvEENS9_8equal_toIvEEsEE10hipError_tPvRmT2_T3_T4_T5_mT6_T7_P12ihipStream_tbENKUlT_T0_E_clISt17integral_constantIbLb0EESY_IbLb1EEEEDaSU_SV_EUlSU_E_NS1_11comp_targetILNS1_3genE10ELNS1_11target_archE1200ELNS1_3gpuE4ELNS1_3repE0EEENS1_30default_config_static_selectorELNS0_4arch9wavefront6targetE0EEEvT1_
    .private_segment_fixed_size: 0
    .sgpr_count:     0
    .sgpr_spill_count: 0
    .symbol:         _ZN7rocprim17ROCPRIM_400000_NS6detail17trampoline_kernelINS0_14default_configENS1_27scan_by_key_config_selectorIssEEZZNS1_16scan_by_key_implILNS1_25lookback_scan_determinismE0ELb1ES3_N6thrust23THRUST_200600_302600_NS6detail15normal_iteratorINS9_10device_ptrIsEEEESE_SE_sNS9_4plusIvEENS9_8equal_toIvEEsEE10hipError_tPvRmT2_T3_T4_T5_mT6_T7_P12ihipStream_tbENKUlT_T0_E_clISt17integral_constantIbLb0EESY_IbLb1EEEEDaSU_SV_EUlSU_E_NS1_11comp_targetILNS1_3genE10ELNS1_11target_archE1200ELNS1_3gpuE4ELNS1_3repE0EEENS1_30default_config_static_selectorELNS0_4arch9wavefront6targetE0EEEvT1_.kd
    .uniform_work_group_size: 1
    .uses_dynamic_stack: false
    .vgpr_count:     0
    .vgpr_spill_count: 0
    .wavefront_size: 32
    .workgroup_processor_mode: 1
  - .args:
      - .offset:         0
        .size:           112
        .value_kind:     by_value
    .group_segment_fixed_size: 0
    .kernarg_segment_align: 8
    .kernarg_segment_size: 112
    .language:       OpenCL C
    .language_version:
      - 2
      - 0
    .max_flat_workgroup_size: 256
    .name:           _ZN7rocprim17ROCPRIM_400000_NS6detail17trampoline_kernelINS0_14default_configENS1_27scan_by_key_config_selectorIssEEZZNS1_16scan_by_key_implILNS1_25lookback_scan_determinismE0ELb1ES3_N6thrust23THRUST_200600_302600_NS6detail15normal_iteratorINS9_10device_ptrIsEEEESE_SE_sNS9_4plusIvEENS9_8equal_toIvEEsEE10hipError_tPvRmT2_T3_T4_T5_mT6_T7_P12ihipStream_tbENKUlT_T0_E_clISt17integral_constantIbLb0EESY_IbLb1EEEEDaSU_SV_EUlSU_E_NS1_11comp_targetILNS1_3genE9ELNS1_11target_archE1100ELNS1_3gpuE3ELNS1_3repE0EEENS1_30default_config_static_selectorELNS0_4arch9wavefront6targetE0EEEvT1_
    .private_segment_fixed_size: 0
    .sgpr_count:     0
    .sgpr_spill_count: 0
    .symbol:         _ZN7rocprim17ROCPRIM_400000_NS6detail17trampoline_kernelINS0_14default_configENS1_27scan_by_key_config_selectorIssEEZZNS1_16scan_by_key_implILNS1_25lookback_scan_determinismE0ELb1ES3_N6thrust23THRUST_200600_302600_NS6detail15normal_iteratorINS9_10device_ptrIsEEEESE_SE_sNS9_4plusIvEENS9_8equal_toIvEEsEE10hipError_tPvRmT2_T3_T4_T5_mT6_T7_P12ihipStream_tbENKUlT_T0_E_clISt17integral_constantIbLb0EESY_IbLb1EEEEDaSU_SV_EUlSU_E_NS1_11comp_targetILNS1_3genE9ELNS1_11target_archE1100ELNS1_3gpuE3ELNS1_3repE0EEENS1_30default_config_static_selectorELNS0_4arch9wavefront6targetE0EEEvT1_.kd
    .uniform_work_group_size: 1
    .uses_dynamic_stack: false
    .vgpr_count:     0
    .vgpr_spill_count: 0
    .wavefront_size: 32
    .workgroup_processor_mode: 1
  - .args:
      - .offset:         0
        .size:           112
        .value_kind:     by_value
    .group_segment_fixed_size: 1536
    .kernarg_segment_align: 8
    .kernarg_segment_size: 112
    .language:       OpenCL C
    .language_version:
      - 2
      - 0
    .max_flat_workgroup_size: 64
    .name:           _ZN7rocprim17ROCPRIM_400000_NS6detail17trampoline_kernelINS0_14default_configENS1_27scan_by_key_config_selectorIssEEZZNS1_16scan_by_key_implILNS1_25lookback_scan_determinismE0ELb1ES3_N6thrust23THRUST_200600_302600_NS6detail15normal_iteratorINS9_10device_ptrIsEEEESE_SE_sNS9_4plusIvEENS9_8equal_toIvEEsEE10hipError_tPvRmT2_T3_T4_T5_mT6_T7_P12ihipStream_tbENKUlT_T0_E_clISt17integral_constantIbLb0EESY_IbLb1EEEEDaSU_SV_EUlSU_E_NS1_11comp_targetILNS1_3genE8ELNS1_11target_archE1030ELNS1_3gpuE2ELNS1_3repE0EEENS1_30default_config_static_selectorELNS0_4arch9wavefront6targetE0EEEvT1_
    .private_segment_fixed_size: 0
    .sgpr_count:     34
    .sgpr_spill_count: 0
    .symbol:         _ZN7rocprim17ROCPRIM_400000_NS6detail17trampoline_kernelINS0_14default_configENS1_27scan_by_key_config_selectorIssEEZZNS1_16scan_by_key_implILNS1_25lookback_scan_determinismE0ELb1ES3_N6thrust23THRUST_200600_302600_NS6detail15normal_iteratorINS9_10device_ptrIsEEEESE_SE_sNS9_4plusIvEENS9_8equal_toIvEEsEE10hipError_tPvRmT2_T3_T4_T5_mT6_T7_P12ihipStream_tbENKUlT_T0_E_clISt17integral_constantIbLb0EESY_IbLb1EEEEDaSU_SV_EUlSU_E_NS1_11comp_targetILNS1_3genE8ELNS1_11target_archE1030ELNS1_3gpuE2ELNS1_3repE0EEENS1_30default_config_static_selectorELNS0_4arch9wavefront6targetE0EEEvT1_.kd
    .uniform_work_group_size: 1
    .uses_dynamic_stack: false
    .vgpr_count:     44
    .vgpr_spill_count: 0
    .wavefront_size: 32
    .workgroup_processor_mode: 1
  - .args:
      - .offset:         0
        .size:           112
        .value_kind:     by_value
    .group_segment_fixed_size: 0
    .kernarg_segment_align: 8
    .kernarg_segment_size: 112
    .language:       OpenCL C
    .language_version:
      - 2
      - 0
    .max_flat_workgroup_size: 256
    .name:           _ZN7rocprim17ROCPRIM_400000_NS6detail17trampoline_kernelINS0_14default_configENS1_27scan_by_key_config_selectorIssEEZZNS1_16scan_by_key_implILNS1_25lookback_scan_determinismE0ELb1ES3_N6thrust23THRUST_200600_302600_NS6detail15normal_iteratorINS9_10device_ptrIsEEEESE_SE_sNS9_10multipliesIsEENS9_8equal_toIsEEsEE10hipError_tPvRmT2_T3_T4_T5_mT6_T7_P12ihipStream_tbENKUlT_T0_E_clISt17integral_constantIbLb0EESZ_EEDaSU_SV_EUlSU_E_NS1_11comp_targetILNS1_3genE0ELNS1_11target_archE4294967295ELNS1_3gpuE0ELNS1_3repE0EEENS1_30default_config_static_selectorELNS0_4arch9wavefront6targetE0EEEvT1_
    .private_segment_fixed_size: 0
    .sgpr_count:     0
    .sgpr_spill_count: 0
    .symbol:         _ZN7rocprim17ROCPRIM_400000_NS6detail17trampoline_kernelINS0_14default_configENS1_27scan_by_key_config_selectorIssEEZZNS1_16scan_by_key_implILNS1_25lookback_scan_determinismE0ELb1ES3_N6thrust23THRUST_200600_302600_NS6detail15normal_iteratorINS9_10device_ptrIsEEEESE_SE_sNS9_10multipliesIsEENS9_8equal_toIsEEsEE10hipError_tPvRmT2_T3_T4_T5_mT6_T7_P12ihipStream_tbENKUlT_T0_E_clISt17integral_constantIbLb0EESZ_EEDaSU_SV_EUlSU_E_NS1_11comp_targetILNS1_3genE0ELNS1_11target_archE4294967295ELNS1_3gpuE0ELNS1_3repE0EEENS1_30default_config_static_selectorELNS0_4arch9wavefront6targetE0EEEvT1_.kd
    .uniform_work_group_size: 1
    .uses_dynamic_stack: false
    .vgpr_count:     0
    .vgpr_spill_count: 0
    .wavefront_size: 32
    .workgroup_processor_mode: 1
  - .args:
      - .offset:         0
        .size:           112
        .value_kind:     by_value
    .group_segment_fixed_size: 0
    .kernarg_segment_align: 8
    .kernarg_segment_size: 112
    .language:       OpenCL C
    .language_version:
      - 2
      - 0
    .max_flat_workgroup_size: 128
    .name:           _ZN7rocprim17ROCPRIM_400000_NS6detail17trampoline_kernelINS0_14default_configENS1_27scan_by_key_config_selectorIssEEZZNS1_16scan_by_key_implILNS1_25lookback_scan_determinismE0ELb1ES3_N6thrust23THRUST_200600_302600_NS6detail15normal_iteratorINS9_10device_ptrIsEEEESE_SE_sNS9_10multipliesIsEENS9_8equal_toIsEEsEE10hipError_tPvRmT2_T3_T4_T5_mT6_T7_P12ihipStream_tbENKUlT_T0_E_clISt17integral_constantIbLb0EESZ_EEDaSU_SV_EUlSU_E_NS1_11comp_targetILNS1_3genE10ELNS1_11target_archE1201ELNS1_3gpuE5ELNS1_3repE0EEENS1_30default_config_static_selectorELNS0_4arch9wavefront6targetE0EEEvT1_
    .private_segment_fixed_size: 0
    .sgpr_count:     0
    .sgpr_spill_count: 0
    .symbol:         _ZN7rocprim17ROCPRIM_400000_NS6detail17trampoline_kernelINS0_14default_configENS1_27scan_by_key_config_selectorIssEEZZNS1_16scan_by_key_implILNS1_25lookback_scan_determinismE0ELb1ES3_N6thrust23THRUST_200600_302600_NS6detail15normal_iteratorINS9_10device_ptrIsEEEESE_SE_sNS9_10multipliesIsEENS9_8equal_toIsEEsEE10hipError_tPvRmT2_T3_T4_T5_mT6_T7_P12ihipStream_tbENKUlT_T0_E_clISt17integral_constantIbLb0EESZ_EEDaSU_SV_EUlSU_E_NS1_11comp_targetILNS1_3genE10ELNS1_11target_archE1201ELNS1_3gpuE5ELNS1_3repE0EEENS1_30default_config_static_selectorELNS0_4arch9wavefront6targetE0EEEvT1_.kd
    .uniform_work_group_size: 1
    .uses_dynamic_stack: false
    .vgpr_count:     0
    .vgpr_spill_count: 0
    .wavefront_size: 32
    .workgroup_processor_mode: 1
  - .args:
      - .offset:         0
        .size:           112
        .value_kind:     by_value
    .group_segment_fixed_size: 0
    .kernarg_segment_align: 8
    .kernarg_segment_size: 112
    .language:       OpenCL C
    .language_version:
      - 2
      - 0
    .max_flat_workgroup_size: 256
    .name:           _ZN7rocprim17ROCPRIM_400000_NS6detail17trampoline_kernelINS0_14default_configENS1_27scan_by_key_config_selectorIssEEZZNS1_16scan_by_key_implILNS1_25lookback_scan_determinismE0ELb1ES3_N6thrust23THRUST_200600_302600_NS6detail15normal_iteratorINS9_10device_ptrIsEEEESE_SE_sNS9_10multipliesIsEENS9_8equal_toIsEEsEE10hipError_tPvRmT2_T3_T4_T5_mT6_T7_P12ihipStream_tbENKUlT_T0_E_clISt17integral_constantIbLb0EESZ_EEDaSU_SV_EUlSU_E_NS1_11comp_targetILNS1_3genE5ELNS1_11target_archE942ELNS1_3gpuE9ELNS1_3repE0EEENS1_30default_config_static_selectorELNS0_4arch9wavefront6targetE0EEEvT1_
    .private_segment_fixed_size: 0
    .sgpr_count:     0
    .sgpr_spill_count: 0
    .symbol:         _ZN7rocprim17ROCPRIM_400000_NS6detail17trampoline_kernelINS0_14default_configENS1_27scan_by_key_config_selectorIssEEZZNS1_16scan_by_key_implILNS1_25lookback_scan_determinismE0ELb1ES3_N6thrust23THRUST_200600_302600_NS6detail15normal_iteratorINS9_10device_ptrIsEEEESE_SE_sNS9_10multipliesIsEENS9_8equal_toIsEEsEE10hipError_tPvRmT2_T3_T4_T5_mT6_T7_P12ihipStream_tbENKUlT_T0_E_clISt17integral_constantIbLb0EESZ_EEDaSU_SV_EUlSU_E_NS1_11comp_targetILNS1_3genE5ELNS1_11target_archE942ELNS1_3gpuE9ELNS1_3repE0EEENS1_30default_config_static_selectorELNS0_4arch9wavefront6targetE0EEEvT1_.kd
    .uniform_work_group_size: 1
    .uses_dynamic_stack: false
    .vgpr_count:     0
    .vgpr_spill_count: 0
    .wavefront_size: 32
    .workgroup_processor_mode: 1
  - .args:
      - .offset:         0
        .size:           112
        .value_kind:     by_value
    .group_segment_fixed_size: 0
    .kernarg_segment_align: 8
    .kernarg_segment_size: 112
    .language:       OpenCL C
    .language_version:
      - 2
      - 0
    .max_flat_workgroup_size: 256
    .name:           _ZN7rocprim17ROCPRIM_400000_NS6detail17trampoline_kernelINS0_14default_configENS1_27scan_by_key_config_selectorIssEEZZNS1_16scan_by_key_implILNS1_25lookback_scan_determinismE0ELb1ES3_N6thrust23THRUST_200600_302600_NS6detail15normal_iteratorINS9_10device_ptrIsEEEESE_SE_sNS9_10multipliesIsEENS9_8equal_toIsEEsEE10hipError_tPvRmT2_T3_T4_T5_mT6_T7_P12ihipStream_tbENKUlT_T0_E_clISt17integral_constantIbLb0EESZ_EEDaSU_SV_EUlSU_E_NS1_11comp_targetILNS1_3genE4ELNS1_11target_archE910ELNS1_3gpuE8ELNS1_3repE0EEENS1_30default_config_static_selectorELNS0_4arch9wavefront6targetE0EEEvT1_
    .private_segment_fixed_size: 0
    .sgpr_count:     0
    .sgpr_spill_count: 0
    .symbol:         _ZN7rocprim17ROCPRIM_400000_NS6detail17trampoline_kernelINS0_14default_configENS1_27scan_by_key_config_selectorIssEEZZNS1_16scan_by_key_implILNS1_25lookback_scan_determinismE0ELb1ES3_N6thrust23THRUST_200600_302600_NS6detail15normal_iteratorINS9_10device_ptrIsEEEESE_SE_sNS9_10multipliesIsEENS9_8equal_toIsEEsEE10hipError_tPvRmT2_T3_T4_T5_mT6_T7_P12ihipStream_tbENKUlT_T0_E_clISt17integral_constantIbLb0EESZ_EEDaSU_SV_EUlSU_E_NS1_11comp_targetILNS1_3genE4ELNS1_11target_archE910ELNS1_3gpuE8ELNS1_3repE0EEENS1_30default_config_static_selectorELNS0_4arch9wavefront6targetE0EEEvT1_.kd
    .uniform_work_group_size: 1
    .uses_dynamic_stack: false
    .vgpr_count:     0
    .vgpr_spill_count: 0
    .wavefront_size: 32
    .workgroup_processor_mode: 1
  - .args:
      - .offset:         0
        .size:           112
        .value_kind:     by_value
    .group_segment_fixed_size: 0
    .kernarg_segment_align: 8
    .kernarg_segment_size: 112
    .language:       OpenCL C
    .language_version:
      - 2
      - 0
    .max_flat_workgroup_size: 256
    .name:           _ZN7rocprim17ROCPRIM_400000_NS6detail17trampoline_kernelINS0_14default_configENS1_27scan_by_key_config_selectorIssEEZZNS1_16scan_by_key_implILNS1_25lookback_scan_determinismE0ELb1ES3_N6thrust23THRUST_200600_302600_NS6detail15normal_iteratorINS9_10device_ptrIsEEEESE_SE_sNS9_10multipliesIsEENS9_8equal_toIsEEsEE10hipError_tPvRmT2_T3_T4_T5_mT6_T7_P12ihipStream_tbENKUlT_T0_E_clISt17integral_constantIbLb0EESZ_EEDaSU_SV_EUlSU_E_NS1_11comp_targetILNS1_3genE3ELNS1_11target_archE908ELNS1_3gpuE7ELNS1_3repE0EEENS1_30default_config_static_selectorELNS0_4arch9wavefront6targetE0EEEvT1_
    .private_segment_fixed_size: 0
    .sgpr_count:     0
    .sgpr_spill_count: 0
    .symbol:         _ZN7rocprim17ROCPRIM_400000_NS6detail17trampoline_kernelINS0_14default_configENS1_27scan_by_key_config_selectorIssEEZZNS1_16scan_by_key_implILNS1_25lookback_scan_determinismE0ELb1ES3_N6thrust23THRUST_200600_302600_NS6detail15normal_iteratorINS9_10device_ptrIsEEEESE_SE_sNS9_10multipliesIsEENS9_8equal_toIsEEsEE10hipError_tPvRmT2_T3_T4_T5_mT6_T7_P12ihipStream_tbENKUlT_T0_E_clISt17integral_constantIbLb0EESZ_EEDaSU_SV_EUlSU_E_NS1_11comp_targetILNS1_3genE3ELNS1_11target_archE908ELNS1_3gpuE7ELNS1_3repE0EEENS1_30default_config_static_selectorELNS0_4arch9wavefront6targetE0EEEvT1_.kd
    .uniform_work_group_size: 1
    .uses_dynamic_stack: false
    .vgpr_count:     0
    .vgpr_spill_count: 0
    .wavefront_size: 32
    .workgroup_processor_mode: 1
  - .args:
      - .offset:         0
        .size:           112
        .value_kind:     by_value
    .group_segment_fixed_size: 0
    .kernarg_segment_align: 8
    .kernarg_segment_size: 112
    .language:       OpenCL C
    .language_version:
      - 2
      - 0
    .max_flat_workgroup_size: 64
    .name:           _ZN7rocprim17ROCPRIM_400000_NS6detail17trampoline_kernelINS0_14default_configENS1_27scan_by_key_config_selectorIssEEZZNS1_16scan_by_key_implILNS1_25lookback_scan_determinismE0ELb1ES3_N6thrust23THRUST_200600_302600_NS6detail15normal_iteratorINS9_10device_ptrIsEEEESE_SE_sNS9_10multipliesIsEENS9_8equal_toIsEEsEE10hipError_tPvRmT2_T3_T4_T5_mT6_T7_P12ihipStream_tbENKUlT_T0_E_clISt17integral_constantIbLb0EESZ_EEDaSU_SV_EUlSU_E_NS1_11comp_targetILNS1_3genE2ELNS1_11target_archE906ELNS1_3gpuE6ELNS1_3repE0EEENS1_30default_config_static_selectorELNS0_4arch9wavefront6targetE0EEEvT1_
    .private_segment_fixed_size: 0
    .sgpr_count:     0
    .sgpr_spill_count: 0
    .symbol:         _ZN7rocprim17ROCPRIM_400000_NS6detail17trampoline_kernelINS0_14default_configENS1_27scan_by_key_config_selectorIssEEZZNS1_16scan_by_key_implILNS1_25lookback_scan_determinismE0ELb1ES3_N6thrust23THRUST_200600_302600_NS6detail15normal_iteratorINS9_10device_ptrIsEEEESE_SE_sNS9_10multipliesIsEENS9_8equal_toIsEEsEE10hipError_tPvRmT2_T3_T4_T5_mT6_T7_P12ihipStream_tbENKUlT_T0_E_clISt17integral_constantIbLb0EESZ_EEDaSU_SV_EUlSU_E_NS1_11comp_targetILNS1_3genE2ELNS1_11target_archE906ELNS1_3gpuE6ELNS1_3repE0EEENS1_30default_config_static_selectorELNS0_4arch9wavefront6targetE0EEEvT1_.kd
    .uniform_work_group_size: 1
    .uses_dynamic_stack: false
    .vgpr_count:     0
    .vgpr_spill_count: 0
    .wavefront_size: 32
    .workgroup_processor_mode: 1
  - .args:
      - .offset:         0
        .size:           112
        .value_kind:     by_value
    .group_segment_fixed_size: 0
    .kernarg_segment_align: 8
    .kernarg_segment_size: 112
    .language:       OpenCL C
    .language_version:
      - 2
      - 0
    .max_flat_workgroup_size: 256
    .name:           _ZN7rocprim17ROCPRIM_400000_NS6detail17trampoline_kernelINS0_14default_configENS1_27scan_by_key_config_selectorIssEEZZNS1_16scan_by_key_implILNS1_25lookback_scan_determinismE0ELb1ES3_N6thrust23THRUST_200600_302600_NS6detail15normal_iteratorINS9_10device_ptrIsEEEESE_SE_sNS9_10multipliesIsEENS9_8equal_toIsEEsEE10hipError_tPvRmT2_T3_T4_T5_mT6_T7_P12ihipStream_tbENKUlT_T0_E_clISt17integral_constantIbLb0EESZ_EEDaSU_SV_EUlSU_E_NS1_11comp_targetILNS1_3genE10ELNS1_11target_archE1200ELNS1_3gpuE4ELNS1_3repE0EEENS1_30default_config_static_selectorELNS0_4arch9wavefront6targetE0EEEvT1_
    .private_segment_fixed_size: 0
    .sgpr_count:     0
    .sgpr_spill_count: 0
    .symbol:         _ZN7rocprim17ROCPRIM_400000_NS6detail17trampoline_kernelINS0_14default_configENS1_27scan_by_key_config_selectorIssEEZZNS1_16scan_by_key_implILNS1_25lookback_scan_determinismE0ELb1ES3_N6thrust23THRUST_200600_302600_NS6detail15normal_iteratorINS9_10device_ptrIsEEEESE_SE_sNS9_10multipliesIsEENS9_8equal_toIsEEsEE10hipError_tPvRmT2_T3_T4_T5_mT6_T7_P12ihipStream_tbENKUlT_T0_E_clISt17integral_constantIbLb0EESZ_EEDaSU_SV_EUlSU_E_NS1_11comp_targetILNS1_3genE10ELNS1_11target_archE1200ELNS1_3gpuE4ELNS1_3repE0EEENS1_30default_config_static_selectorELNS0_4arch9wavefront6targetE0EEEvT1_.kd
    .uniform_work_group_size: 1
    .uses_dynamic_stack: false
    .vgpr_count:     0
    .vgpr_spill_count: 0
    .wavefront_size: 32
    .workgroup_processor_mode: 1
  - .args:
      - .offset:         0
        .size:           112
        .value_kind:     by_value
    .group_segment_fixed_size: 0
    .kernarg_segment_align: 8
    .kernarg_segment_size: 112
    .language:       OpenCL C
    .language_version:
      - 2
      - 0
    .max_flat_workgroup_size: 256
    .name:           _ZN7rocprim17ROCPRIM_400000_NS6detail17trampoline_kernelINS0_14default_configENS1_27scan_by_key_config_selectorIssEEZZNS1_16scan_by_key_implILNS1_25lookback_scan_determinismE0ELb1ES3_N6thrust23THRUST_200600_302600_NS6detail15normal_iteratorINS9_10device_ptrIsEEEESE_SE_sNS9_10multipliesIsEENS9_8equal_toIsEEsEE10hipError_tPvRmT2_T3_T4_T5_mT6_T7_P12ihipStream_tbENKUlT_T0_E_clISt17integral_constantIbLb0EESZ_EEDaSU_SV_EUlSU_E_NS1_11comp_targetILNS1_3genE9ELNS1_11target_archE1100ELNS1_3gpuE3ELNS1_3repE0EEENS1_30default_config_static_selectorELNS0_4arch9wavefront6targetE0EEEvT1_
    .private_segment_fixed_size: 0
    .sgpr_count:     0
    .sgpr_spill_count: 0
    .symbol:         _ZN7rocprim17ROCPRIM_400000_NS6detail17trampoline_kernelINS0_14default_configENS1_27scan_by_key_config_selectorIssEEZZNS1_16scan_by_key_implILNS1_25lookback_scan_determinismE0ELb1ES3_N6thrust23THRUST_200600_302600_NS6detail15normal_iteratorINS9_10device_ptrIsEEEESE_SE_sNS9_10multipliesIsEENS9_8equal_toIsEEsEE10hipError_tPvRmT2_T3_T4_T5_mT6_T7_P12ihipStream_tbENKUlT_T0_E_clISt17integral_constantIbLb0EESZ_EEDaSU_SV_EUlSU_E_NS1_11comp_targetILNS1_3genE9ELNS1_11target_archE1100ELNS1_3gpuE3ELNS1_3repE0EEENS1_30default_config_static_selectorELNS0_4arch9wavefront6targetE0EEEvT1_.kd
    .uniform_work_group_size: 1
    .uses_dynamic_stack: false
    .vgpr_count:     0
    .vgpr_spill_count: 0
    .wavefront_size: 32
    .workgroup_processor_mode: 1
  - .args:
      - .offset:         0
        .size:           112
        .value_kind:     by_value
    .group_segment_fixed_size: 1536
    .kernarg_segment_align: 8
    .kernarg_segment_size: 112
    .language:       OpenCL C
    .language_version:
      - 2
      - 0
    .max_flat_workgroup_size: 64
    .name:           _ZN7rocprim17ROCPRIM_400000_NS6detail17trampoline_kernelINS0_14default_configENS1_27scan_by_key_config_selectorIssEEZZNS1_16scan_by_key_implILNS1_25lookback_scan_determinismE0ELb1ES3_N6thrust23THRUST_200600_302600_NS6detail15normal_iteratorINS9_10device_ptrIsEEEESE_SE_sNS9_10multipliesIsEENS9_8equal_toIsEEsEE10hipError_tPvRmT2_T3_T4_T5_mT6_T7_P12ihipStream_tbENKUlT_T0_E_clISt17integral_constantIbLb0EESZ_EEDaSU_SV_EUlSU_E_NS1_11comp_targetILNS1_3genE8ELNS1_11target_archE1030ELNS1_3gpuE2ELNS1_3repE0EEENS1_30default_config_static_selectorELNS0_4arch9wavefront6targetE0EEEvT1_
    .private_segment_fixed_size: 0
    .sgpr_count:     38
    .sgpr_spill_count: 0
    .symbol:         _ZN7rocprim17ROCPRIM_400000_NS6detail17trampoline_kernelINS0_14default_configENS1_27scan_by_key_config_selectorIssEEZZNS1_16scan_by_key_implILNS1_25lookback_scan_determinismE0ELb1ES3_N6thrust23THRUST_200600_302600_NS6detail15normal_iteratorINS9_10device_ptrIsEEEESE_SE_sNS9_10multipliesIsEENS9_8equal_toIsEEsEE10hipError_tPvRmT2_T3_T4_T5_mT6_T7_P12ihipStream_tbENKUlT_T0_E_clISt17integral_constantIbLb0EESZ_EEDaSU_SV_EUlSU_E_NS1_11comp_targetILNS1_3genE8ELNS1_11target_archE1030ELNS1_3gpuE2ELNS1_3repE0EEENS1_30default_config_static_selectorELNS0_4arch9wavefront6targetE0EEEvT1_.kd
    .uniform_work_group_size: 1
    .uses_dynamic_stack: false
    .vgpr_count:     42
    .vgpr_spill_count: 0
    .wavefront_size: 32
    .workgroup_processor_mode: 1
  - .args:
      - .offset:         0
        .size:           112
        .value_kind:     by_value
    .group_segment_fixed_size: 0
    .kernarg_segment_align: 8
    .kernarg_segment_size: 112
    .language:       OpenCL C
    .language_version:
      - 2
      - 0
    .max_flat_workgroup_size: 256
    .name:           _ZN7rocprim17ROCPRIM_400000_NS6detail17trampoline_kernelINS0_14default_configENS1_27scan_by_key_config_selectorIssEEZZNS1_16scan_by_key_implILNS1_25lookback_scan_determinismE0ELb1ES3_N6thrust23THRUST_200600_302600_NS6detail15normal_iteratorINS9_10device_ptrIsEEEESE_SE_sNS9_10multipliesIsEENS9_8equal_toIsEEsEE10hipError_tPvRmT2_T3_T4_T5_mT6_T7_P12ihipStream_tbENKUlT_T0_E_clISt17integral_constantIbLb1EESZ_EEDaSU_SV_EUlSU_E_NS1_11comp_targetILNS1_3genE0ELNS1_11target_archE4294967295ELNS1_3gpuE0ELNS1_3repE0EEENS1_30default_config_static_selectorELNS0_4arch9wavefront6targetE0EEEvT1_
    .private_segment_fixed_size: 0
    .sgpr_count:     0
    .sgpr_spill_count: 0
    .symbol:         _ZN7rocprim17ROCPRIM_400000_NS6detail17trampoline_kernelINS0_14default_configENS1_27scan_by_key_config_selectorIssEEZZNS1_16scan_by_key_implILNS1_25lookback_scan_determinismE0ELb1ES3_N6thrust23THRUST_200600_302600_NS6detail15normal_iteratorINS9_10device_ptrIsEEEESE_SE_sNS9_10multipliesIsEENS9_8equal_toIsEEsEE10hipError_tPvRmT2_T3_T4_T5_mT6_T7_P12ihipStream_tbENKUlT_T0_E_clISt17integral_constantIbLb1EESZ_EEDaSU_SV_EUlSU_E_NS1_11comp_targetILNS1_3genE0ELNS1_11target_archE4294967295ELNS1_3gpuE0ELNS1_3repE0EEENS1_30default_config_static_selectorELNS0_4arch9wavefront6targetE0EEEvT1_.kd
    .uniform_work_group_size: 1
    .uses_dynamic_stack: false
    .vgpr_count:     0
    .vgpr_spill_count: 0
    .wavefront_size: 32
    .workgroup_processor_mode: 1
  - .args:
      - .offset:         0
        .size:           112
        .value_kind:     by_value
    .group_segment_fixed_size: 0
    .kernarg_segment_align: 8
    .kernarg_segment_size: 112
    .language:       OpenCL C
    .language_version:
      - 2
      - 0
    .max_flat_workgroup_size: 128
    .name:           _ZN7rocprim17ROCPRIM_400000_NS6detail17trampoline_kernelINS0_14default_configENS1_27scan_by_key_config_selectorIssEEZZNS1_16scan_by_key_implILNS1_25lookback_scan_determinismE0ELb1ES3_N6thrust23THRUST_200600_302600_NS6detail15normal_iteratorINS9_10device_ptrIsEEEESE_SE_sNS9_10multipliesIsEENS9_8equal_toIsEEsEE10hipError_tPvRmT2_T3_T4_T5_mT6_T7_P12ihipStream_tbENKUlT_T0_E_clISt17integral_constantIbLb1EESZ_EEDaSU_SV_EUlSU_E_NS1_11comp_targetILNS1_3genE10ELNS1_11target_archE1201ELNS1_3gpuE5ELNS1_3repE0EEENS1_30default_config_static_selectorELNS0_4arch9wavefront6targetE0EEEvT1_
    .private_segment_fixed_size: 0
    .sgpr_count:     0
    .sgpr_spill_count: 0
    .symbol:         _ZN7rocprim17ROCPRIM_400000_NS6detail17trampoline_kernelINS0_14default_configENS1_27scan_by_key_config_selectorIssEEZZNS1_16scan_by_key_implILNS1_25lookback_scan_determinismE0ELb1ES3_N6thrust23THRUST_200600_302600_NS6detail15normal_iteratorINS9_10device_ptrIsEEEESE_SE_sNS9_10multipliesIsEENS9_8equal_toIsEEsEE10hipError_tPvRmT2_T3_T4_T5_mT6_T7_P12ihipStream_tbENKUlT_T0_E_clISt17integral_constantIbLb1EESZ_EEDaSU_SV_EUlSU_E_NS1_11comp_targetILNS1_3genE10ELNS1_11target_archE1201ELNS1_3gpuE5ELNS1_3repE0EEENS1_30default_config_static_selectorELNS0_4arch9wavefront6targetE0EEEvT1_.kd
    .uniform_work_group_size: 1
    .uses_dynamic_stack: false
    .vgpr_count:     0
    .vgpr_spill_count: 0
    .wavefront_size: 32
    .workgroup_processor_mode: 1
  - .args:
      - .offset:         0
        .size:           112
        .value_kind:     by_value
    .group_segment_fixed_size: 0
    .kernarg_segment_align: 8
    .kernarg_segment_size: 112
    .language:       OpenCL C
    .language_version:
      - 2
      - 0
    .max_flat_workgroup_size: 256
    .name:           _ZN7rocprim17ROCPRIM_400000_NS6detail17trampoline_kernelINS0_14default_configENS1_27scan_by_key_config_selectorIssEEZZNS1_16scan_by_key_implILNS1_25lookback_scan_determinismE0ELb1ES3_N6thrust23THRUST_200600_302600_NS6detail15normal_iteratorINS9_10device_ptrIsEEEESE_SE_sNS9_10multipliesIsEENS9_8equal_toIsEEsEE10hipError_tPvRmT2_T3_T4_T5_mT6_T7_P12ihipStream_tbENKUlT_T0_E_clISt17integral_constantIbLb1EESZ_EEDaSU_SV_EUlSU_E_NS1_11comp_targetILNS1_3genE5ELNS1_11target_archE942ELNS1_3gpuE9ELNS1_3repE0EEENS1_30default_config_static_selectorELNS0_4arch9wavefront6targetE0EEEvT1_
    .private_segment_fixed_size: 0
    .sgpr_count:     0
    .sgpr_spill_count: 0
    .symbol:         _ZN7rocprim17ROCPRIM_400000_NS6detail17trampoline_kernelINS0_14default_configENS1_27scan_by_key_config_selectorIssEEZZNS1_16scan_by_key_implILNS1_25lookback_scan_determinismE0ELb1ES3_N6thrust23THRUST_200600_302600_NS6detail15normal_iteratorINS9_10device_ptrIsEEEESE_SE_sNS9_10multipliesIsEENS9_8equal_toIsEEsEE10hipError_tPvRmT2_T3_T4_T5_mT6_T7_P12ihipStream_tbENKUlT_T0_E_clISt17integral_constantIbLb1EESZ_EEDaSU_SV_EUlSU_E_NS1_11comp_targetILNS1_3genE5ELNS1_11target_archE942ELNS1_3gpuE9ELNS1_3repE0EEENS1_30default_config_static_selectorELNS0_4arch9wavefront6targetE0EEEvT1_.kd
    .uniform_work_group_size: 1
    .uses_dynamic_stack: false
    .vgpr_count:     0
    .vgpr_spill_count: 0
    .wavefront_size: 32
    .workgroup_processor_mode: 1
  - .args:
      - .offset:         0
        .size:           112
        .value_kind:     by_value
    .group_segment_fixed_size: 0
    .kernarg_segment_align: 8
    .kernarg_segment_size: 112
    .language:       OpenCL C
    .language_version:
      - 2
      - 0
    .max_flat_workgroup_size: 256
    .name:           _ZN7rocprim17ROCPRIM_400000_NS6detail17trampoline_kernelINS0_14default_configENS1_27scan_by_key_config_selectorIssEEZZNS1_16scan_by_key_implILNS1_25lookback_scan_determinismE0ELb1ES3_N6thrust23THRUST_200600_302600_NS6detail15normal_iteratorINS9_10device_ptrIsEEEESE_SE_sNS9_10multipliesIsEENS9_8equal_toIsEEsEE10hipError_tPvRmT2_T3_T4_T5_mT6_T7_P12ihipStream_tbENKUlT_T0_E_clISt17integral_constantIbLb1EESZ_EEDaSU_SV_EUlSU_E_NS1_11comp_targetILNS1_3genE4ELNS1_11target_archE910ELNS1_3gpuE8ELNS1_3repE0EEENS1_30default_config_static_selectorELNS0_4arch9wavefront6targetE0EEEvT1_
    .private_segment_fixed_size: 0
    .sgpr_count:     0
    .sgpr_spill_count: 0
    .symbol:         _ZN7rocprim17ROCPRIM_400000_NS6detail17trampoline_kernelINS0_14default_configENS1_27scan_by_key_config_selectorIssEEZZNS1_16scan_by_key_implILNS1_25lookback_scan_determinismE0ELb1ES3_N6thrust23THRUST_200600_302600_NS6detail15normal_iteratorINS9_10device_ptrIsEEEESE_SE_sNS9_10multipliesIsEENS9_8equal_toIsEEsEE10hipError_tPvRmT2_T3_T4_T5_mT6_T7_P12ihipStream_tbENKUlT_T0_E_clISt17integral_constantIbLb1EESZ_EEDaSU_SV_EUlSU_E_NS1_11comp_targetILNS1_3genE4ELNS1_11target_archE910ELNS1_3gpuE8ELNS1_3repE0EEENS1_30default_config_static_selectorELNS0_4arch9wavefront6targetE0EEEvT1_.kd
    .uniform_work_group_size: 1
    .uses_dynamic_stack: false
    .vgpr_count:     0
    .vgpr_spill_count: 0
    .wavefront_size: 32
    .workgroup_processor_mode: 1
  - .args:
      - .offset:         0
        .size:           112
        .value_kind:     by_value
    .group_segment_fixed_size: 0
    .kernarg_segment_align: 8
    .kernarg_segment_size: 112
    .language:       OpenCL C
    .language_version:
      - 2
      - 0
    .max_flat_workgroup_size: 256
    .name:           _ZN7rocprim17ROCPRIM_400000_NS6detail17trampoline_kernelINS0_14default_configENS1_27scan_by_key_config_selectorIssEEZZNS1_16scan_by_key_implILNS1_25lookback_scan_determinismE0ELb1ES3_N6thrust23THRUST_200600_302600_NS6detail15normal_iteratorINS9_10device_ptrIsEEEESE_SE_sNS9_10multipliesIsEENS9_8equal_toIsEEsEE10hipError_tPvRmT2_T3_T4_T5_mT6_T7_P12ihipStream_tbENKUlT_T0_E_clISt17integral_constantIbLb1EESZ_EEDaSU_SV_EUlSU_E_NS1_11comp_targetILNS1_3genE3ELNS1_11target_archE908ELNS1_3gpuE7ELNS1_3repE0EEENS1_30default_config_static_selectorELNS0_4arch9wavefront6targetE0EEEvT1_
    .private_segment_fixed_size: 0
    .sgpr_count:     0
    .sgpr_spill_count: 0
    .symbol:         _ZN7rocprim17ROCPRIM_400000_NS6detail17trampoline_kernelINS0_14default_configENS1_27scan_by_key_config_selectorIssEEZZNS1_16scan_by_key_implILNS1_25lookback_scan_determinismE0ELb1ES3_N6thrust23THRUST_200600_302600_NS6detail15normal_iteratorINS9_10device_ptrIsEEEESE_SE_sNS9_10multipliesIsEENS9_8equal_toIsEEsEE10hipError_tPvRmT2_T3_T4_T5_mT6_T7_P12ihipStream_tbENKUlT_T0_E_clISt17integral_constantIbLb1EESZ_EEDaSU_SV_EUlSU_E_NS1_11comp_targetILNS1_3genE3ELNS1_11target_archE908ELNS1_3gpuE7ELNS1_3repE0EEENS1_30default_config_static_selectorELNS0_4arch9wavefront6targetE0EEEvT1_.kd
    .uniform_work_group_size: 1
    .uses_dynamic_stack: false
    .vgpr_count:     0
    .vgpr_spill_count: 0
    .wavefront_size: 32
    .workgroup_processor_mode: 1
  - .args:
      - .offset:         0
        .size:           112
        .value_kind:     by_value
    .group_segment_fixed_size: 0
    .kernarg_segment_align: 8
    .kernarg_segment_size: 112
    .language:       OpenCL C
    .language_version:
      - 2
      - 0
    .max_flat_workgroup_size: 64
    .name:           _ZN7rocprim17ROCPRIM_400000_NS6detail17trampoline_kernelINS0_14default_configENS1_27scan_by_key_config_selectorIssEEZZNS1_16scan_by_key_implILNS1_25lookback_scan_determinismE0ELb1ES3_N6thrust23THRUST_200600_302600_NS6detail15normal_iteratorINS9_10device_ptrIsEEEESE_SE_sNS9_10multipliesIsEENS9_8equal_toIsEEsEE10hipError_tPvRmT2_T3_T4_T5_mT6_T7_P12ihipStream_tbENKUlT_T0_E_clISt17integral_constantIbLb1EESZ_EEDaSU_SV_EUlSU_E_NS1_11comp_targetILNS1_3genE2ELNS1_11target_archE906ELNS1_3gpuE6ELNS1_3repE0EEENS1_30default_config_static_selectorELNS0_4arch9wavefront6targetE0EEEvT1_
    .private_segment_fixed_size: 0
    .sgpr_count:     0
    .sgpr_spill_count: 0
    .symbol:         _ZN7rocprim17ROCPRIM_400000_NS6detail17trampoline_kernelINS0_14default_configENS1_27scan_by_key_config_selectorIssEEZZNS1_16scan_by_key_implILNS1_25lookback_scan_determinismE0ELb1ES3_N6thrust23THRUST_200600_302600_NS6detail15normal_iteratorINS9_10device_ptrIsEEEESE_SE_sNS9_10multipliesIsEENS9_8equal_toIsEEsEE10hipError_tPvRmT2_T3_T4_T5_mT6_T7_P12ihipStream_tbENKUlT_T0_E_clISt17integral_constantIbLb1EESZ_EEDaSU_SV_EUlSU_E_NS1_11comp_targetILNS1_3genE2ELNS1_11target_archE906ELNS1_3gpuE6ELNS1_3repE0EEENS1_30default_config_static_selectorELNS0_4arch9wavefront6targetE0EEEvT1_.kd
    .uniform_work_group_size: 1
    .uses_dynamic_stack: false
    .vgpr_count:     0
    .vgpr_spill_count: 0
    .wavefront_size: 32
    .workgroup_processor_mode: 1
  - .args:
      - .offset:         0
        .size:           112
        .value_kind:     by_value
    .group_segment_fixed_size: 0
    .kernarg_segment_align: 8
    .kernarg_segment_size: 112
    .language:       OpenCL C
    .language_version:
      - 2
      - 0
    .max_flat_workgroup_size: 256
    .name:           _ZN7rocprim17ROCPRIM_400000_NS6detail17trampoline_kernelINS0_14default_configENS1_27scan_by_key_config_selectorIssEEZZNS1_16scan_by_key_implILNS1_25lookback_scan_determinismE0ELb1ES3_N6thrust23THRUST_200600_302600_NS6detail15normal_iteratorINS9_10device_ptrIsEEEESE_SE_sNS9_10multipliesIsEENS9_8equal_toIsEEsEE10hipError_tPvRmT2_T3_T4_T5_mT6_T7_P12ihipStream_tbENKUlT_T0_E_clISt17integral_constantIbLb1EESZ_EEDaSU_SV_EUlSU_E_NS1_11comp_targetILNS1_3genE10ELNS1_11target_archE1200ELNS1_3gpuE4ELNS1_3repE0EEENS1_30default_config_static_selectorELNS0_4arch9wavefront6targetE0EEEvT1_
    .private_segment_fixed_size: 0
    .sgpr_count:     0
    .sgpr_spill_count: 0
    .symbol:         _ZN7rocprim17ROCPRIM_400000_NS6detail17trampoline_kernelINS0_14default_configENS1_27scan_by_key_config_selectorIssEEZZNS1_16scan_by_key_implILNS1_25lookback_scan_determinismE0ELb1ES3_N6thrust23THRUST_200600_302600_NS6detail15normal_iteratorINS9_10device_ptrIsEEEESE_SE_sNS9_10multipliesIsEENS9_8equal_toIsEEsEE10hipError_tPvRmT2_T3_T4_T5_mT6_T7_P12ihipStream_tbENKUlT_T0_E_clISt17integral_constantIbLb1EESZ_EEDaSU_SV_EUlSU_E_NS1_11comp_targetILNS1_3genE10ELNS1_11target_archE1200ELNS1_3gpuE4ELNS1_3repE0EEENS1_30default_config_static_selectorELNS0_4arch9wavefront6targetE0EEEvT1_.kd
    .uniform_work_group_size: 1
    .uses_dynamic_stack: false
    .vgpr_count:     0
    .vgpr_spill_count: 0
    .wavefront_size: 32
    .workgroup_processor_mode: 1
  - .args:
      - .offset:         0
        .size:           112
        .value_kind:     by_value
    .group_segment_fixed_size: 0
    .kernarg_segment_align: 8
    .kernarg_segment_size: 112
    .language:       OpenCL C
    .language_version:
      - 2
      - 0
    .max_flat_workgroup_size: 256
    .name:           _ZN7rocprim17ROCPRIM_400000_NS6detail17trampoline_kernelINS0_14default_configENS1_27scan_by_key_config_selectorIssEEZZNS1_16scan_by_key_implILNS1_25lookback_scan_determinismE0ELb1ES3_N6thrust23THRUST_200600_302600_NS6detail15normal_iteratorINS9_10device_ptrIsEEEESE_SE_sNS9_10multipliesIsEENS9_8equal_toIsEEsEE10hipError_tPvRmT2_T3_T4_T5_mT6_T7_P12ihipStream_tbENKUlT_T0_E_clISt17integral_constantIbLb1EESZ_EEDaSU_SV_EUlSU_E_NS1_11comp_targetILNS1_3genE9ELNS1_11target_archE1100ELNS1_3gpuE3ELNS1_3repE0EEENS1_30default_config_static_selectorELNS0_4arch9wavefront6targetE0EEEvT1_
    .private_segment_fixed_size: 0
    .sgpr_count:     0
    .sgpr_spill_count: 0
    .symbol:         _ZN7rocprim17ROCPRIM_400000_NS6detail17trampoline_kernelINS0_14default_configENS1_27scan_by_key_config_selectorIssEEZZNS1_16scan_by_key_implILNS1_25lookback_scan_determinismE0ELb1ES3_N6thrust23THRUST_200600_302600_NS6detail15normal_iteratorINS9_10device_ptrIsEEEESE_SE_sNS9_10multipliesIsEENS9_8equal_toIsEEsEE10hipError_tPvRmT2_T3_T4_T5_mT6_T7_P12ihipStream_tbENKUlT_T0_E_clISt17integral_constantIbLb1EESZ_EEDaSU_SV_EUlSU_E_NS1_11comp_targetILNS1_3genE9ELNS1_11target_archE1100ELNS1_3gpuE3ELNS1_3repE0EEENS1_30default_config_static_selectorELNS0_4arch9wavefront6targetE0EEEvT1_.kd
    .uniform_work_group_size: 1
    .uses_dynamic_stack: false
    .vgpr_count:     0
    .vgpr_spill_count: 0
    .wavefront_size: 32
    .workgroup_processor_mode: 1
  - .args:
      - .offset:         0
        .size:           112
        .value_kind:     by_value
    .group_segment_fixed_size: 0
    .kernarg_segment_align: 8
    .kernarg_segment_size: 112
    .language:       OpenCL C
    .language_version:
      - 2
      - 0
    .max_flat_workgroup_size: 64
    .name:           _ZN7rocprim17ROCPRIM_400000_NS6detail17trampoline_kernelINS0_14default_configENS1_27scan_by_key_config_selectorIssEEZZNS1_16scan_by_key_implILNS1_25lookback_scan_determinismE0ELb1ES3_N6thrust23THRUST_200600_302600_NS6detail15normal_iteratorINS9_10device_ptrIsEEEESE_SE_sNS9_10multipliesIsEENS9_8equal_toIsEEsEE10hipError_tPvRmT2_T3_T4_T5_mT6_T7_P12ihipStream_tbENKUlT_T0_E_clISt17integral_constantIbLb1EESZ_EEDaSU_SV_EUlSU_E_NS1_11comp_targetILNS1_3genE8ELNS1_11target_archE1030ELNS1_3gpuE2ELNS1_3repE0EEENS1_30default_config_static_selectorELNS0_4arch9wavefront6targetE0EEEvT1_
    .private_segment_fixed_size: 0
    .sgpr_count:     0
    .sgpr_spill_count: 0
    .symbol:         _ZN7rocprim17ROCPRIM_400000_NS6detail17trampoline_kernelINS0_14default_configENS1_27scan_by_key_config_selectorIssEEZZNS1_16scan_by_key_implILNS1_25lookback_scan_determinismE0ELb1ES3_N6thrust23THRUST_200600_302600_NS6detail15normal_iteratorINS9_10device_ptrIsEEEESE_SE_sNS9_10multipliesIsEENS9_8equal_toIsEEsEE10hipError_tPvRmT2_T3_T4_T5_mT6_T7_P12ihipStream_tbENKUlT_T0_E_clISt17integral_constantIbLb1EESZ_EEDaSU_SV_EUlSU_E_NS1_11comp_targetILNS1_3genE8ELNS1_11target_archE1030ELNS1_3gpuE2ELNS1_3repE0EEENS1_30default_config_static_selectorELNS0_4arch9wavefront6targetE0EEEvT1_.kd
    .uniform_work_group_size: 1
    .uses_dynamic_stack: false
    .vgpr_count:     0
    .vgpr_spill_count: 0
    .wavefront_size: 32
    .workgroup_processor_mode: 1
  - .args:
      - .offset:         0
        .size:           112
        .value_kind:     by_value
    .group_segment_fixed_size: 0
    .kernarg_segment_align: 8
    .kernarg_segment_size: 112
    .language:       OpenCL C
    .language_version:
      - 2
      - 0
    .max_flat_workgroup_size: 256
    .name:           _ZN7rocprim17ROCPRIM_400000_NS6detail17trampoline_kernelINS0_14default_configENS1_27scan_by_key_config_selectorIssEEZZNS1_16scan_by_key_implILNS1_25lookback_scan_determinismE0ELb1ES3_N6thrust23THRUST_200600_302600_NS6detail15normal_iteratorINS9_10device_ptrIsEEEESE_SE_sNS9_10multipliesIsEENS9_8equal_toIsEEsEE10hipError_tPvRmT2_T3_T4_T5_mT6_T7_P12ihipStream_tbENKUlT_T0_E_clISt17integral_constantIbLb1EESY_IbLb0EEEEDaSU_SV_EUlSU_E_NS1_11comp_targetILNS1_3genE0ELNS1_11target_archE4294967295ELNS1_3gpuE0ELNS1_3repE0EEENS1_30default_config_static_selectorELNS0_4arch9wavefront6targetE0EEEvT1_
    .private_segment_fixed_size: 0
    .sgpr_count:     0
    .sgpr_spill_count: 0
    .symbol:         _ZN7rocprim17ROCPRIM_400000_NS6detail17trampoline_kernelINS0_14default_configENS1_27scan_by_key_config_selectorIssEEZZNS1_16scan_by_key_implILNS1_25lookback_scan_determinismE0ELb1ES3_N6thrust23THRUST_200600_302600_NS6detail15normal_iteratorINS9_10device_ptrIsEEEESE_SE_sNS9_10multipliesIsEENS9_8equal_toIsEEsEE10hipError_tPvRmT2_T3_T4_T5_mT6_T7_P12ihipStream_tbENKUlT_T0_E_clISt17integral_constantIbLb1EESY_IbLb0EEEEDaSU_SV_EUlSU_E_NS1_11comp_targetILNS1_3genE0ELNS1_11target_archE4294967295ELNS1_3gpuE0ELNS1_3repE0EEENS1_30default_config_static_selectorELNS0_4arch9wavefront6targetE0EEEvT1_.kd
    .uniform_work_group_size: 1
    .uses_dynamic_stack: false
    .vgpr_count:     0
    .vgpr_spill_count: 0
    .wavefront_size: 32
    .workgroup_processor_mode: 1
  - .args:
      - .offset:         0
        .size:           112
        .value_kind:     by_value
    .group_segment_fixed_size: 0
    .kernarg_segment_align: 8
    .kernarg_segment_size: 112
    .language:       OpenCL C
    .language_version:
      - 2
      - 0
    .max_flat_workgroup_size: 128
    .name:           _ZN7rocprim17ROCPRIM_400000_NS6detail17trampoline_kernelINS0_14default_configENS1_27scan_by_key_config_selectorIssEEZZNS1_16scan_by_key_implILNS1_25lookback_scan_determinismE0ELb1ES3_N6thrust23THRUST_200600_302600_NS6detail15normal_iteratorINS9_10device_ptrIsEEEESE_SE_sNS9_10multipliesIsEENS9_8equal_toIsEEsEE10hipError_tPvRmT2_T3_T4_T5_mT6_T7_P12ihipStream_tbENKUlT_T0_E_clISt17integral_constantIbLb1EESY_IbLb0EEEEDaSU_SV_EUlSU_E_NS1_11comp_targetILNS1_3genE10ELNS1_11target_archE1201ELNS1_3gpuE5ELNS1_3repE0EEENS1_30default_config_static_selectorELNS0_4arch9wavefront6targetE0EEEvT1_
    .private_segment_fixed_size: 0
    .sgpr_count:     0
    .sgpr_spill_count: 0
    .symbol:         _ZN7rocprim17ROCPRIM_400000_NS6detail17trampoline_kernelINS0_14default_configENS1_27scan_by_key_config_selectorIssEEZZNS1_16scan_by_key_implILNS1_25lookback_scan_determinismE0ELb1ES3_N6thrust23THRUST_200600_302600_NS6detail15normal_iteratorINS9_10device_ptrIsEEEESE_SE_sNS9_10multipliesIsEENS9_8equal_toIsEEsEE10hipError_tPvRmT2_T3_T4_T5_mT6_T7_P12ihipStream_tbENKUlT_T0_E_clISt17integral_constantIbLb1EESY_IbLb0EEEEDaSU_SV_EUlSU_E_NS1_11comp_targetILNS1_3genE10ELNS1_11target_archE1201ELNS1_3gpuE5ELNS1_3repE0EEENS1_30default_config_static_selectorELNS0_4arch9wavefront6targetE0EEEvT1_.kd
    .uniform_work_group_size: 1
    .uses_dynamic_stack: false
    .vgpr_count:     0
    .vgpr_spill_count: 0
    .wavefront_size: 32
    .workgroup_processor_mode: 1
  - .args:
      - .offset:         0
        .size:           112
        .value_kind:     by_value
    .group_segment_fixed_size: 0
    .kernarg_segment_align: 8
    .kernarg_segment_size: 112
    .language:       OpenCL C
    .language_version:
      - 2
      - 0
    .max_flat_workgroup_size: 256
    .name:           _ZN7rocprim17ROCPRIM_400000_NS6detail17trampoline_kernelINS0_14default_configENS1_27scan_by_key_config_selectorIssEEZZNS1_16scan_by_key_implILNS1_25lookback_scan_determinismE0ELb1ES3_N6thrust23THRUST_200600_302600_NS6detail15normal_iteratorINS9_10device_ptrIsEEEESE_SE_sNS9_10multipliesIsEENS9_8equal_toIsEEsEE10hipError_tPvRmT2_T3_T4_T5_mT6_T7_P12ihipStream_tbENKUlT_T0_E_clISt17integral_constantIbLb1EESY_IbLb0EEEEDaSU_SV_EUlSU_E_NS1_11comp_targetILNS1_3genE5ELNS1_11target_archE942ELNS1_3gpuE9ELNS1_3repE0EEENS1_30default_config_static_selectorELNS0_4arch9wavefront6targetE0EEEvT1_
    .private_segment_fixed_size: 0
    .sgpr_count:     0
    .sgpr_spill_count: 0
    .symbol:         _ZN7rocprim17ROCPRIM_400000_NS6detail17trampoline_kernelINS0_14default_configENS1_27scan_by_key_config_selectorIssEEZZNS1_16scan_by_key_implILNS1_25lookback_scan_determinismE0ELb1ES3_N6thrust23THRUST_200600_302600_NS6detail15normal_iteratorINS9_10device_ptrIsEEEESE_SE_sNS9_10multipliesIsEENS9_8equal_toIsEEsEE10hipError_tPvRmT2_T3_T4_T5_mT6_T7_P12ihipStream_tbENKUlT_T0_E_clISt17integral_constantIbLb1EESY_IbLb0EEEEDaSU_SV_EUlSU_E_NS1_11comp_targetILNS1_3genE5ELNS1_11target_archE942ELNS1_3gpuE9ELNS1_3repE0EEENS1_30default_config_static_selectorELNS0_4arch9wavefront6targetE0EEEvT1_.kd
    .uniform_work_group_size: 1
    .uses_dynamic_stack: false
    .vgpr_count:     0
    .vgpr_spill_count: 0
    .wavefront_size: 32
    .workgroup_processor_mode: 1
  - .args:
      - .offset:         0
        .size:           112
        .value_kind:     by_value
    .group_segment_fixed_size: 0
    .kernarg_segment_align: 8
    .kernarg_segment_size: 112
    .language:       OpenCL C
    .language_version:
      - 2
      - 0
    .max_flat_workgroup_size: 256
    .name:           _ZN7rocprim17ROCPRIM_400000_NS6detail17trampoline_kernelINS0_14default_configENS1_27scan_by_key_config_selectorIssEEZZNS1_16scan_by_key_implILNS1_25lookback_scan_determinismE0ELb1ES3_N6thrust23THRUST_200600_302600_NS6detail15normal_iteratorINS9_10device_ptrIsEEEESE_SE_sNS9_10multipliesIsEENS9_8equal_toIsEEsEE10hipError_tPvRmT2_T3_T4_T5_mT6_T7_P12ihipStream_tbENKUlT_T0_E_clISt17integral_constantIbLb1EESY_IbLb0EEEEDaSU_SV_EUlSU_E_NS1_11comp_targetILNS1_3genE4ELNS1_11target_archE910ELNS1_3gpuE8ELNS1_3repE0EEENS1_30default_config_static_selectorELNS0_4arch9wavefront6targetE0EEEvT1_
    .private_segment_fixed_size: 0
    .sgpr_count:     0
    .sgpr_spill_count: 0
    .symbol:         _ZN7rocprim17ROCPRIM_400000_NS6detail17trampoline_kernelINS0_14default_configENS1_27scan_by_key_config_selectorIssEEZZNS1_16scan_by_key_implILNS1_25lookback_scan_determinismE0ELb1ES3_N6thrust23THRUST_200600_302600_NS6detail15normal_iteratorINS9_10device_ptrIsEEEESE_SE_sNS9_10multipliesIsEENS9_8equal_toIsEEsEE10hipError_tPvRmT2_T3_T4_T5_mT6_T7_P12ihipStream_tbENKUlT_T0_E_clISt17integral_constantIbLb1EESY_IbLb0EEEEDaSU_SV_EUlSU_E_NS1_11comp_targetILNS1_3genE4ELNS1_11target_archE910ELNS1_3gpuE8ELNS1_3repE0EEENS1_30default_config_static_selectorELNS0_4arch9wavefront6targetE0EEEvT1_.kd
    .uniform_work_group_size: 1
    .uses_dynamic_stack: false
    .vgpr_count:     0
    .vgpr_spill_count: 0
    .wavefront_size: 32
    .workgroup_processor_mode: 1
  - .args:
      - .offset:         0
        .size:           112
        .value_kind:     by_value
    .group_segment_fixed_size: 0
    .kernarg_segment_align: 8
    .kernarg_segment_size: 112
    .language:       OpenCL C
    .language_version:
      - 2
      - 0
    .max_flat_workgroup_size: 256
    .name:           _ZN7rocprim17ROCPRIM_400000_NS6detail17trampoline_kernelINS0_14default_configENS1_27scan_by_key_config_selectorIssEEZZNS1_16scan_by_key_implILNS1_25lookback_scan_determinismE0ELb1ES3_N6thrust23THRUST_200600_302600_NS6detail15normal_iteratorINS9_10device_ptrIsEEEESE_SE_sNS9_10multipliesIsEENS9_8equal_toIsEEsEE10hipError_tPvRmT2_T3_T4_T5_mT6_T7_P12ihipStream_tbENKUlT_T0_E_clISt17integral_constantIbLb1EESY_IbLb0EEEEDaSU_SV_EUlSU_E_NS1_11comp_targetILNS1_3genE3ELNS1_11target_archE908ELNS1_3gpuE7ELNS1_3repE0EEENS1_30default_config_static_selectorELNS0_4arch9wavefront6targetE0EEEvT1_
    .private_segment_fixed_size: 0
    .sgpr_count:     0
    .sgpr_spill_count: 0
    .symbol:         _ZN7rocprim17ROCPRIM_400000_NS6detail17trampoline_kernelINS0_14default_configENS1_27scan_by_key_config_selectorIssEEZZNS1_16scan_by_key_implILNS1_25lookback_scan_determinismE0ELb1ES3_N6thrust23THRUST_200600_302600_NS6detail15normal_iteratorINS9_10device_ptrIsEEEESE_SE_sNS9_10multipliesIsEENS9_8equal_toIsEEsEE10hipError_tPvRmT2_T3_T4_T5_mT6_T7_P12ihipStream_tbENKUlT_T0_E_clISt17integral_constantIbLb1EESY_IbLb0EEEEDaSU_SV_EUlSU_E_NS1_11comp_targetILNS1_3genE3ELNS1_11target_archE908ELNS1_3gpuE7ELNS1_3repE0EEENS1_30default_config_static_selectorELNS0_4arch9wavefront6targetE0EEEvT1_.kd
    .uniform_work_group_size: 1
    .uses_dynamic_stack: false
    .vgpr_count:     0
    .vgpr_spill_count: 0
    .wavefront_size: 32
    .workgroup_processor_mode: 1
  - .args:
      - .offset:         0
        .size:           112
        .value_kind:     by_value
    .group_segment_fixed_size: 0
    .kernarg_segment_align: 8
    .kernarg_segment_size: 112
    .language:       OpenCL C
    .language_version:
      - 2
      - 0
    .max_flat_workgroup_size: 64
    .name:           _ZN7rocprim17ROCPRIM_400000_NS6detail17trampoline_kernelINS0_14default_configENS1_27scan_by_key_config_selectorIssEEZZNS1_16scan_by_key_implILNS1_25lookback_scan_determinismE0ELb1ES3_N6thrust23THRUST_200600_302600_NS6detail15normal_iteratorINS9_10device_ptrIsEEEESE_SE_sNS9_10multipliesIsEENS9_8equal_toIsEEsEE10hipError_tPvRmT2_T3_T4_T5_mT6_T7_P12ihipStream_tbENKUlT_T0_E_clISt17integral_constantIbLb1EESY_IbLb0EEEEDaSU_SV_EUlSU_E_NS1_11comp_targetILNS1_3genE2ELNS1_11target_archE906ELNS1_3gpuE6ELNS1_3repE0EEENS1_30default_config_static_selectorELNS0_4arch9wavefront6targetE0EEEvT1_
    .private_segment_fixed_size: 0
    .sgpr_count:     0
    .sgpr_spill_count: 0
    .symbol:         _ZN7rocprim17ROCPRIM_400000_NS6detail17trampoline_kernelINS0_14default_configENS1_27scan_by_key_config_selectorIssEEZZNS1_16scan_by_key_implILNS1_25lookback_scan_determinismE0ELb1ES3_N6thrust23THRUST_200600_302600_NS6detail15normal_iteratorINS9_10device_ptrIsEEEESE_SE_sNS9_10multipliesIsEENS9_8equal_toIsEEsEE10hipError_tPvRmT2_T3_T4_T5_mT6_T7_P12ihipStream_tbENKUlT_T0_E_clISt17integral_constantIbLb1EESY_IbLb0EEEEDaSU_SV_EUlSU_E_NS1_11comp_targetILNS1_3genE2ELNS1_11target_archE906ELNS1_3gpuE6ELNS1_3repE0EEENS1_30default_config_static_selectorELNS0_4arch9wavefront6targetE0EEEvT1_.kd
    .uniform_work_group_size: 1
    .uses_dynamic_stack: false
    .vgpr_count:     0
    .vgpr_spill_count: 0
    .wavefront_size: 32
    .workgroup_processor_mode: 1
  - .args:
      - .offset:         0
        .size:           112
        .value_kind:     by_value
    .group_segment_fixed_size: 0
    .kernarg_segment_align: 8
    .kernarg_segment_size: 112
    .language:       OpenCL C
    .language_version:
      - 2
      - 0
    .max_flat_workgroup_size: 256
    .name:           _ZN7rocprim17ROCPRIM_400000_NS6detail17trampoline_kernelINS0_14default_configENS1_27scan_by_key_config_selectorIssEEZZNS1_16scan_by_key_implILNS1_25lookback_scan_determinismE0ELb1ES3_N6thrust23THRUST_200600_302600_NS6detail15normal_iteratorINS9_10device_ptrIsEEEESE_SE_sNS9_10multipliesIsEENS9_8equal_toIsEEsEE10hipError_tPvRmT2_T3_T4_T5_mT6_T7_P12ihipStream_tbENKUlT_T0_E_clISt17integral_constantIbLb1EESY_IbLb0EEEEDaSU_SV_EUlSU_E_NS1_11comp_targetILNS1_3genE10ELNS1_11target_archE1200ELNS1_3gpuE4ELNS1_3repE0EEENS1_30default_config_static_selectorELNS0_4arch9wavefront6targetE0EEEvT1_
    .private_segment_fixed_size: 0
    .sgpr_count:     0
    .sgpr_spill_count: 0
    .symbol:         _ZN7rocprim17ROCPRIM_400000_NS6detail17trampoline_kernelINS0_14default_configENS1_27scan_by_key_config_selectorIssEEZZNS1_16scan_by_key_implILNS1_25lookback_scan_determinismE0ELb1ES3_N6thrust23THRUST_200600_302600_NS6detail15normal_iteratorINS9_10device_ptrIsEEEESE_SE_sNS9_10multipliesIsEENS9_8equal_toIsEEsEE10hipError_tPvRmT2_T3_T4_T5_mT6_T7_P12ihipStream_tbENKUlT_T0_E_clISt17integral_constantIbLb1EESY_IbLb0EEEEDaSU_SV_EUlSU_E_NS1_11comp_targetILNS1_3genE10ELNS1_11target_archE1200ELNS1_3gpuE4ELNS1_3repE0EEENS1_30default_config_static_selectorELNS0_4arch9wavefront6targetE0EEEvT1_.kd
    .uniform_work_group_size: 1
    .uses_dynamic_stack: false
    .vgpr_count:     0
    .vgpr_spill_count: 0
    .wavefront_size: 32
    .workgroup_processor_mode: 1
  - .args:
      - .offset:         0
        .size:           112
        .value_kind:     by_value
    .group_segment_fixed_size: 0
    .kernarg_segment_align: 8
    .kernarg_segment_size: 112
    .language:       OpenCL C
    .language_version:
      - 2
      - 0
    .max_flat_workgroup_size: 256
    .name:           _ZN7rocprim17ROCPRIM_400000_NS6detail17trampoline_kernelINS0_14default_configENS1_27scan_by_key_config_selectorIssEEZZNS1_16scan_by_key_implILNS1_25lookback_scan_determinismE0ELb1ES3_N6thrust23THRUST_200600_302600_NS6detail15normal_iteratorINS9_10device_ptrIsEEEESE_SE_sNS9_10multipliesIsEENS9_8equal_toIsEEsEE10hipError_tPvRmT2_T3_T4_T5_mT6_T7_P12ihipStream_tbENKUlT_T0_E_clISt17integral_constantIbLb1EESY_IbLb0EEEEDaSU_SV_EUlSU_E_NS1_11comp_targetILNS1_3genE9ELNS1_11target_archE1100ELNS1_3gpuE3ELNS1_3repE0EEENS1_30default_config_static_selectorELNS0_4arch9wavefront6targetE0EEEvT1_
    .private_segment_fixed_size: 0
    .sgpr_count:     0
    .sgpr_spill_count: 0
    .symbol:         _ZN7rocprim17ROCPRIM_400000_NS6detail17trampoline_kernelINS0_14default_configENS1_27scan_by_key_config_selectorIssEEZZNS1_16scan_by_key_implILNS1_25lookback_scan_determinismE0ELb1ES3_N6thrust23THRUST_200600_302600_NS6detail15normal_iteratorINS9_10device_ptrIsEEEESE_SE_sNS9_10multipliesIsEENS9_8equal_toIsEEsEE10hipError_tPvRmT2_T3_T4_T5_mT6_T7_P12ihipStream_tbENKUlT_T0_E_clISt17integral_constantIbLb1EESY_IbLb0EEEEDaSU_SV_EUlSU_E_NS1_11comp_targetILNS1_3genE9ELNS1_11target_archE1100ELNS1_3gpuE3ELNS1_3repE0EEENS1_30default_config_static_selectorELNS0_4arch9wavefront6targetE0EEEvT1_.kd
    .uniform_work_group_size: 1
    .uses_dynamic_stack: false
    .vgpr_count:     0
    .vgpr_spill_count: 0
    .wavefront_size: 32
    .workgroup_processor_mode: 1
  - .args:
      - .offset:         0
        .size:           112
        .value_kind:     by_value
    .group_segment_fixed_size: 0
    .kernarg_segment_align: 8
    .kernarg_segment_size: 112
    .language:       OpenCL C
    .language_version:
      - 2
      - 0
    .max_flat_workgroup_size: 64
    .name:           _ZN7rocprim17ROCPRIM_400000_NS6detail17trampoline_kernelINS0_14default_configENS1_27scan_by_key_config_selectorIssEEZZNS1_16scan_by_key_implILNS1_25lookback_scan_determinismE0ELb1ES3_N6thrust23THRUST_200600_302600_NS6detail15normal_iteratorINS9_10device_ptrIsEEEESE_SE_sNS9_10multipliesIsEENS9_8equal_toIsEEsEE10hipError_tPvRmT2_T3_T4_T5_mT6_T7_P12ihipStream_tbENKUlT_T0_E_clISt17integral_constantIbLb1EESY_IbLb0EEEEDaSU_SV_EUlSU_E_NS1_11comp_targetILNS1_3genE8ELNS1_11target_archE1030ELNS1_3gpuE2ELNS1_3repE0EEENS1_30default_config_static_selectorELNS0_4arch9wavefront6targetE0EEEvT1_
    .private_segment_fixed_size: 0
    .sgpr_count:     0
    .sgpr_spill_count: 0
    .symbol:         _ZN7rocprim17ROCPRIM_400000_NS6detail17trampoline_kernelINS0_14default_configENS1_27scan_by_key_config_selectorIssEEZZNS1_16scan_by_key_implILNS1_25lookback_scan_determinismE0ELb1ES3_N6thrust23THRUST_200600_302600_NS6detail15normal_iteratorINS9_10device_ptrIsEEEESE_SE_sNS9_10multipliesIsEENS9_8equal_toIsEEsEE10hipError_tPvRmT2_T3_T4_T5_mT6_T7_P12ihipStream_tbENKUlT_T0_E_clISt17integral_constantIbLb1EESY_IbLb0EEEEDaSU_SV_EUlSU_E_NS1_11comp_targetILNS1_3genE8ELNS1_11target_archE1030ELNS1_3gpuE2ELNS1_3repE0EEENS1_30default_config_static_selectorELNS0_4arch9wavefront6targetE0EEEvT1_.kd
    .uniform_work_group_size: 1
    .uses_dynamic_stack: false
    .vgpr_count:     0
    .vgpr_spill_count: 0
    .wavefront_size: 32
    .workgroup_processor_mode: 1
  - .args:
      - .offset:         0
        .size:           112
        .value_kind:     by_value
    .group_segment_fixed_size: 0
    .kernarg_segment_align: 8
    .kernarg_segment_size: 112
    .language:       OpenCL C
    .language_version:
      - 2
      - 0
    .max_flat_workgroup_size: 256
    .name:           _ZN7rocprim17ROCPRIM_400000_NS6detail17trampoline_kernelINS0_14default_configENS1_27scan_by_key_config_selectorIssEEZZNS1_16scan_by_key_implILNS1_25lookback_scan_determinismE0ELb1ES3_N6thrust23THRUST_200600_302600_NS6detail15normal_iteratorINS9_10device_ptrIsEEEESE_SE_sNS9_10multipliesIsEENS9_8equal_toIsEEsEE10hipError_tPvRmT2_T3_T4_T5_mT6_T7_P12ihipStream_tbENKUlT_T0_E_clISt17integral_constantIbLb0EESY_IbLb1EEEEDaSU_SV_EUlSU_E_NS1_11comp_targetILNS1_3genE0ELNS1_11target_archE4294967295ELNS1_3gpuE0ELNS1_3repE0EEENS1_30default_config_static_selectorELNS0_4arch9wavefront6targetE0EEEvT1_
    .private_segment_fixed_size: 0
    .sgpr_count:     0
    .sgpr_spill_count: 0
    .symbol:         _ZN7rocprim17ROCPRIM_400000_NS6detail17trampoline_kernelINS0_14default_configENS1_27scan_by_key_config_selectorIssEEZZNS1_16scan_by_key_implILNS1_25lookback_scan_determinismE0ELb1ES3_N6thrust23THRUST_200600_302600_NS6detail15normal_iteratorINS9_10device_ptrIsEEEESE_SE_sNS9_10multipliesIsEENS9_8equal_toIsEEsEE10hipError_tPvRmT2_T3_T4_T5_mT6_T7_P12ihipStream_tbENKUlT_T0_E_clISt17integral_constantIbLb0EESY_IbLb1EEEEDaSU_SV_EUlSU_E_NS1_11comp_targetILNS1_3genE0ELNS1_11target_archE4294967295ELNS1_3gpuE0ELNS1_3repE0EEENS1_30default_config_static_selectorELNS0_4arch9wavefront6targetE0EEEvT1_.kd
    .uniform_work_group_size: 1
    .uses_dynamic_stack: false
    .vgpr_count:     0
    .vgpr_spill_count: 0
    .wavefront_size: 32
    .workgroup_processor_mode: 1
  - .args:
      - .offset:         0
        .size:           112
        .value_kind:     by_value
    .group_segment_fixed_size: 0
    .kernarg_segment_align: 8
    .kernarg_segment_size: 112
    .language:       OpenCL C
    .language_version:
      - 2
      - 0
    .max_flat_workgroup_size: 128
    .name:           _ZN7rocprim17ROCPRIM_400000_NS6detail17trampoline_kernelINS0_14default_configENS1_27scan_by_key_config_selectorIssEEZZNS1_16scan_by_key_implILNS1_25lookback_scan_determinismE0ELb1ES3_N6thrust23THRUST_200600_302600_NS6detail15normal_iteratorINS9_10device_ptrIsEEEESE_SE_sNS9_10multipliesIsEENS9_8equal_toIsEEsEE10hipError_tPvRmT2_T3_T4_T5_mT6_T7_P12ihipStream_tbENKUlT_T0_E_clISt17integral_constantIbLb0EESY_IbLb1EEEEDaSU_SV_EUlSU_E_NS1_11comp_targetILNS1_3genE10ELNS1_11target_archE1201ELNS1_3gpuE5ELNS1_3repE0EEENS1_30default_config_static_selectorELNS0_4arch9wavefront6targetE0EEEvT1_
    .private_segment_fixed_size: 0
    .sgpr_count:     0
    .sgpr_spill_count: 0
    .symbol:         _ZN7rocprim17ROCPRIM_400000_NS6detail17trampoline_kernelINS0_14default_configENS1_27scan_by_key_config_selectorIssEEZZNS1_16scan_by_key_implILNS1_25lookback_scan_determinismE0ELb1ES3_N6thrust23THRUST_200600_302600_NS6detail15normal_iteratorINS9_10device_ptrIsEEEESE_SE_sNS9_10multipliesIsEENS9_8equal_toIsEEsEE10hipError_tPvRmT2_T3_T4_T5_mT6_T7_P12ihipStream_tbENKUlT_T0_E_clISt17integral_constantIbLb0EESY_IbLb1EEEEDaSU_SV_EUlSU_E_NS1_11comp_targetILNS1_3genE10ELNS1_11target_archE1201ELNS1_3gpuE5ELNS1_3repE0EEENS1_30default_config_static_selectorELNS0_4arch9wavefront6targetE0EEEvT1_.kd
    .uniform_work_group_size: 1
    .uses_dynamic_stack: false
    .vgpr_count:     0
    .vgpr_spill_count: 0
    .wavefront_size: 32
    .workgroup_processor_mode: 1
  - .args:
      - .offset:         0
        .size:           112
        .value_kind:     by_value
    .group_segment_fixed_size: 0
    .kernarg_segment_align: 8
    .kernarg_segment_size: 112
    .language:       OpenCL C
    .language_version:
      - 2
      - 0
    .max_flat_workgroup_size: 256
    .name:           _ZN7rocprim17ROCPRIM_400000_NS6detail17trampoline_kernelINS0_14default_configENS1_27scan_by_key_config_selectorIssEEZZNS1_16scan_by_key_implILNS1_25lookback_scan_determinismE0ELb1ES3_N6thrust23THRUST_200600_302600_NS6detail15normal_iteratorINS9_10device_ptrIsEEEESE_SE_sNS9_10multipliesIsEENS9_8equal_toIsEEsEE10hipError_tPvRmT2_T3_T4_T5_mT6_T7_P12ihipStream_tbENKUlT_T0_E_clISt17integral_constantIbLb0EESY_IbLb1EEEEDaSU_SV_EUlSU_E_NS1_11comp_targetILNS1_3genE5ELNS1_11target_archE942ELNS1_3gpuE9ELNS1_3repE0EEENS1_30default_config_static_selectorELNS0_4arch9wavefront6targetE0EEEvT1_
    .private_segment_fixed_size: 0
    .sgpr_count:     0
    .sgpr_spill_count: 0
    .symbol:         _ZN7rocprim17ROCPRIM_400000_NS6detail17trampoline_kernelINS0_14default_configENS1_27scan_by_key_config_selectorIssEEZZNS1_16scan_by_key_implILNS1_25lookback_scan_determinismE0ELb1ES3_N6thrust23THRUST_200600_302600_NS6detail15normal_iteratorINS9_10device_ptrIsEEEESE_SE_sNS9_10multipliesIsEENS9_8equal_toIsEEsEE10hipError_tPvRmT2_T3_T4_T5_mT6_T7_P12ihipStream_tbENKUlT_T0_E_clISt17integral_constantIbLb0EESY_IbLb1EEEEDaSU_SV_EUlSU_E_NS1_11comp_targetILNS1_3genE5ELNS1_11target_archE942ELNS1_3gpuE9ELNS1_3repE0EEENS1_30default_config_static_selectorELNS0_4arch9wavefront6targetE0EEEvT1_.kd
    .uniform_work_group_size: 1
    .uses_dynamic_stack: false
    .vgpr_count:     0
    .vgpr_spill_count: 0
    .wavefront_size: 32
    .workgroup_processor_mode: 1
  - .args:
      - .offset:         0
        .size:           112
        .value_kind:     by_value
    .group_segment_fixed_size: 0
    .kernarg_segment_align: 8
    .kernarg_segment_size: 112
    .language:       OpenCL C
    .language_version:
      - 2
      - 0
    .max_flat_workgroup_size: 256
    .name:           _ZN7rocprim17ROCPRIM_400000_NS6detail17trampoline_kernelINS0_14default_configENS1_27scan_by_key_config_selectorIssEEZZNS1_16scan_by_key_implILNS1_25lookback_scan_determinismE0ELb1ES3_N6thrust23THRUST_200600_302600_NS6detail15normal_iteratorINS9_10device_ptrIsEEEESE_SE_sNS9_10multipliesIsEENS9_8equal_toIsEEsEE10hipError_tPvRmT2_T3_T4_T5_mT6_T7_P12ihipStream_tbENKUlT_T0_E_clISt17integral_constantIbLb0EESY_IbLb1EEEEDaSU_SV_EUlSU_E_NS1_11comp_targetILNS1_3genE4ELNS1_11target_archE910ELNS1_3gpuE8ELNS1_3repE0EEENS1_30default_config_static_selectorELNS0_4arch9wavefront6targetE0EEEvT1_
    .private_segment_fixed_size: 0
    .sgpr_count:     0
    .sgpr_spill_count: 0
    .symbol:         _ZN7rocprim17ROCPRIM_400000_NS6detail17trampoline_kernelINS0_14default_configENS1_27scan_by_key_config_selectorIssEEZZNS1_16scan_by_key_implILNS1_25lookback_scan_determinismE0ELb1ES3_N6thrust23THRUST_200600_302600_NS6detail15normal_iteratorINS9_10device_ptrIsEEEESE_SE_sNS9_10multipliesIsEENS9_8equal_toIsEEsEE10hipError_tPvRmT2_T3_T4_T5_mT6_T7_P12ihipStream_tbENKUlT_T0_E_clISt17integral_constantIbLb0EESY_IbLb1EEEEDaSU_SV_EUlSU_E_NS1_11comp_targetILNS1_3genE4ELNS1_11target_archE910ELNS1_3gpuE8ELNS1_3repE0EEENS1_30default_config_static_selectorELNS0_4arch9wavefront6targetE0EEEvT1_.kd
    .uniform_work_group_size: 1
    .uses_dynamic_stack: false
    .vgpr_count:     0
    .vgpr_spill_count: 0
    .wavefront_size: 32
    .workgroup_processor_mode: 1
  - .args:
      - .offset:         0
        .size:           112
        .value_kind:     by_value
    .group_segment_fixed_size: 0
    .kernarg_segment_align: 8
    .kernarg_segment_size: 112
    .language:       OpenCL C
    .language_version:
      - 2
      - 0
    .max_flat_workgroup_size: 256
    .name:           _ZN7rocprim17ROCPRIM_400000_NS6detail17trampoline_kernelINS0_14default_configENS1_27scan_by_key_config_selectorIssEEZZNS1_16scan_by_key_implILNS1_25lookback_scan_determinismE0ELb1ES3_N6thrust23THRUST_200600_302600_NS6detail15normal_iteratorINS9_10device_ptrIsEEEESE_SE_sNS9_10multipliesIsEENS9_8equal_toIsEEsEE10hipError_tPvRmT2_T3_T4_T5_mT6_T7_P12ihipStream_tbENKUlT_T0_E_clISt17integral_constantIbLb0EESY_IbLb1EEEEDaSU_SV_EUlSU_E_NS1_11comp_targetILNS1_3genE3ELNS1_11target_archE908ELNS1_3gpuE7ELNS1_3repE0EEENS1_30default_config_static_selectorELNS0_4arch9wavefront6targetE0EEEvT1_
    .private_segment_fixed_size: 0
    .sgpr_count:     0
    .sgpr_spill_count: 0
    .symbol:         _ZN7rocprim17ROCPRIM_400000_NS6detail17trampoline_kernelINS0_14default_configENS1_27scan_by_key_config_selectorIssEEZZNS1_16scan_by_key_implILNS1_25lookback_scan_determinismE0ELb1ES3_N6thrust23THRUST_200600_302600_NS6detail15normal_iteratorINS9_10device_ptrIsEEEESE_SE_sNS9_10multipliesIsEENS9_8equal_toIsEEsEE10hipError_tPvRmT2_T3_T4_T5_mT6_T7_P12ihipStream_tbENKUlT_T0_E_clISt17integral_constantIbLb0EESY_IbLb1EEEEDaSU_SV_EUlSU_E_NS1_11comp_targetILNS1_3genE3ELNS1_11target_archE908ELNS1_3gpuE7ELNS1_3repE0EEENS1_30default_config_static_selectorELNS0_4arch9wavefront6targetE0EEEvT1_.kd
    .uniform_work_group_size: 1
    .uses_dynamic_stack: false
    .vgpr_count:     0
    .vgpr_spill_count: 0
    .wavefront_size: 32
    .workgroup_processor_mode: 1
  - .args:
      - .offset:         0
        .size:           112
        .value_kind:     by_value
    .group_segment_fixed_size: 0
    .kernarg_segment_align: 8
    .kernarg_segment_size: 112
    .language:       OpenCL C
    .language_version:
      - 2
      - 0
    .max_flat_workgroup_size: 64
    .name:           _ZN7rocprim17ROCPRIM_400000_NS6detail17trampoline_kernelINS0_14default_configENS1_27scan_by_key_config_selectorIssEEZZNS1_16scan_by_key_implILNS1_25lookback_scan_determinismE0ELb1ES3_N6thrust23THRUST_200600_302600_NS6detail15normal_iteratorINS9_10device_ptrIsEEEESE_SE_sNS9_10multipliesIsEENS9_8equal_toIsEEsEE10hipError_tPvRmT2_T3_T4_T5_mT6_T7_P12ihipStream_tbENKUlT_T0_E_clISt17integral_constantIbLb0EESY_IbLb1EEEEDaSU_SV_EUlSU_E_NS1_11comp_targetILNS1_3genE2ELNS1_11target_archE906ELNS1_3gpuE6ELNS1_3repE0EEENS1_30default_config_static_selectorELNS0_4arch9wavefront6targetE0EEEvT1_
    .private_segment_fixed_size: 0
    .sgpr_count:     0
    .sgpr_spill_count: 0
    .symbol:         _ZN7rocprim17ROCPRIM_400000_NS6detail17trampoline_kernelINS0_14default_configENS1_27scan_by_key_config_selectorIssEEZZNS1_16scan_by_key_implILNS1_25lookback_scan_determinismE0ELb1ES3_N6thrust23THRUST_200600_302600_NS6detail15normal_iteratorINS9_10device_ptrIsEEEESE_SE_sNS9_10multipliesIsEENS9_8equal_toIsEEsEE10hipError_tPvRmT2_T3_T4_T5_mT6_T7_P12ihipStream_tbENKUlT_T0_E_clISt17integral_constantIbLb0EESY_IbLb1EEEEDaSU_SV_EUlSU_E_NS1_11comp_targetILNS1_3genE2ELNS1_11target_archE906ELNS1_3gpuE6ELNS1_3repE0EEENS1_30default_config_static_selectorELNS0_4arch9wavefront6targetE0EEEvT1_.kd
    .uniform_work_group_size: 1
    .uses_dynamic_stack: false
    .vgpr_count:     0
    .vgpr_spill_count: 0
    .wavefront_size: 32
    .workgroup_processor_mode: 1
  - .args:
      - .offset:         0
        .size:           112
        .value_kind:     by_value
    .group_segment_fixed_size: 0
    .kernarg_segment_align: 8
    .kernarg_segment_size: 112
    .language:       OpenCL C
    .language_version:
      - 2
      - 0
    .max_flat_workgroup_size: 256
    .name:           _ZN7rocprim17ROCPRIM_400000_NS6detail17trampoline_kernelINS0_14default_configENS1_27scan_by_key_config_selectorIssEEZZNS1_16scan_by_key_implILNS1_25lookback_scan_determinismE0ELb1ES3_N6thrust23THRUST_200600_302600_NS6detail15normal_iteratorINS9_10device_ptrIsEEEESE_SE_sNS9_10multipliesIsEENS9_8equal_toIsEEsEE10hipError_tPvRmT2_T3_T4_T5_mT6_T7_P12ihipStream_tbENKUlT_T0_E_clISt17integral_constantIbLb0EESY_IbLb1EEEEDaSU_SV_EUlSU_E_NS1_11comp_targetILNS1_3genE10ELNS1_11target_archE1200ELNS1_3gpuE4ELNS1_3repE0EEENS1_30default_config_static_selectorELNS0_4arch9wavefront6targetE0EEEvT1_
    .private_segment_fixed_size: 0
    .sgpr_count:     0
    .sgpr_spill_count: 0
    .symbol:         _ZN7rocprim17ROCPRIM_400000_NS6detail17trampoline_kernelINS0_14default_configENS1_27scan_by_key_config_selectorIssEEZZNS1_16scan_by_key_implILNS1_25lookback_scan_determinismE0ELb1ES3_N6thrust23THRUST_200600_302600_NS6detail15normal_iteratorINS9_10device_ptrIsEEEESE_SE_sNS9_10multipliesIsEENS9_8equal_toIsEEsEE10hipError_tPvRmT2_T3_T4_T5_mT6_T7_P12ihipStream_tbENKUlT_T0_E_clISt17integral_constantIbLb0EESY_IbLb1EEEEDaSU_SV_EUlSU_E_NS1_11comp_targetILNS1_3genE10ELNS1_11target_archE1200ELNS1_3gpuE4ELNS1_3repE0EEENS1_30default_config_static_selectorELNS0_4arch9wavefront6targetE0EEEvT1_.kd
    .uniform_work_group_size: 1
    .uses_dynamic_stack: false
    .vgpr_count:     0
    .vgpr_spill_count: 0
    .wavefront_size: 32
    .workgroup_processor_mode: 1
  - .args:
      - .offset:         0
        .size:           112
        .value_kind:     by_value
    .group_segment_fixed_size: 0
    .kernarg_segment_align: 8
    .kernarg_segment_size: 112
    .language:       OpenCL C
    .language_version:
      - 2
      - 0
    .max_flat_workgroup_size: 256
    .name:           _ZN7rocprim17ROCPRIM_400000_NS6detail17trampoline_kernelINS0_14default_configENS1_27scan_by_key_config_selectorIssEEZZNS1_16scan_by_key_implILNS1_25lookback_scan_determinismE0ELb1ES3_N6thrust23THRUST_200600_302600_NS6detail15normal_iteratorINS9_10device_ptrIsEEEESE_SE_sNS9_10multipliesIsEENS9_8equal_toIsEEsEE10hipError_tPvRmT2_T3_T4_T5_mT6_T7_P12ihipStream_tbENKUlT_T0_E_clISt17integral_constantIbLb0EESY_IbLb1EEEEDaSU_SV_EUlSU_E_NS1_11comp_targetILNS1_3genE9ELNS1_11target_archE1100ELNS1_3gpuE3ELNS1_3repE0EEENS1_30default_config_static_selectorELNS0_4arch9wavefront6targetE0EEEvT1_
    .private_segment_fixed_size: 0
    .sgpr_count:     0
    .sgpr_spill_count: 0
    .symbol:         _ZN7rocprim17ROCPRIM_400000_NS6detail17trampoline_kernelINS0_14default_configENS1_27scan_by_key_config_selectorIssEEZZNS1_16scan_by_key_implILNS1_25lookback_scan_determinismE0ELb1ES3_N6thrust23THRUST_200600_302600_NS6detail15normal_iteratorINS9_10device_ptrIsEEEESE_SE_sNS9_10multipliesIsEENS9_8equal_toIsEEsEE10hipError_tPvRmT2_T3_T4_T5_mT6_T7_P12ihipStream_tbENKUlT_T0_E_clISt17integral_constantIbLb0EESY_IbLb1EEEEDaSU_SV_EUlSU_E_NS1_11comp_targetILNS1_3genE9ELNS1_11target_archE1100ELNS1_3gpuE3ELNS1_3repE0EEENS1_30default_config_static_selectorELNS0_4arch9wavefront6targetE0EEEvT1_.kd
    .uniform_work_group_size: 1
    .uses_dynamic_stack: false
    .vgpr_count:     0
    .vgpr_spill_count: 0
    .wavefront_size: 32
    .workgroup_processor_mode: 1
  - .args:
      - .offset:         0
        .size:           112
        .value_kind:     by_value
    .group_segment_fixed_size: 1536
    .kernarg_segment_align: 8
    .kernarg_segment_size: 112
    .language:       OpenCL C
    .language_version:
      - 2
      - 0
    .max_flat_workgroup_size: 64
    .name:           _ZN7rocprim17ROCPRIM_400000_NS6detail17trampoline_kernelINS0_14default_configENS1_27scan_by_key_config_selectorIssEEZZNS1_16scan_by_key_implILNS1_25lookback_scan_determinismE0ELb1ES3_N6thrust23THRUST_200600_302600_NS6detail15normal_iteratorINS9_10device_ptrIsEEEESE_SE_sNS9_10multipliesIsEENS9_8equal_toIsEEsEE10hipError_tPvRmT2_T3_T4_T5_mT6_T7_P12ihipStream_tbENKUlT_T0_E_clISt17integral_constantIbLb0EESY_IbLb1EEEEDaSU_SV_EUlSU_E_NS1_11comp_targetILNS1_3genE8ELNS1_11target_archE1030ELNS1_3gpuE2ELNS1_3repE0EEENS1_30default_config_static_selectorELNS0_4arch9wavefront6targetE0EEEvT1_
    .private_segment_fixed_size: 0
    .sgpr_count:     34
    .sgpr_spill_count: 0
    .symbol:         _ZN7rocprim17ROCPRIM_400000_NS6detail17trampoline_kernelINS0_14default_configENS1_27scan_by_key_config_selectorIssEEZZNS1_16scan_by_key_implILNS1_25lookback_scan_determinismE0ELb1ES3_N6thrust23THRUST_200600_302600_NS6detail15normal_iteratorINS9_10device_ptrIsEEEESE_SE_sNS9_10multipliesIsEENS9_8equal_toIsEEsEE10hipError_tPvRmT2_T3_T4_T5_mT6_T7_P12ihipStream_tbENKUlT_T0_E_clISt17integral_constantIbLb0EESY_IbLb1EEEEDaSU_SV_EUlSU_E_NS1_11comp_targetILNS1_3genE8ELNS1_11target_archE1030ELNS1_3gpuE2ELNS1_3repE0EEENS1_30default_config_static_selectorELNS0_4arch9wavefront6targetE0EEEvT1_.kd
    .uniform_work_group_size: 1
    .uses_dynamic_stack: false
    .vgpr_count:     44
    .vgpr_spill_count: 0
    .wavefront_size: 32
    .workgroup_processor_mode: 1
  - .args:
      - .offset:         0
        .size:           112
        .value_kind:     by_value
    .group_segment_fixed_size: 0
    .kernarg_segment_align: 8
    .kernarg_segment_size: 112
    .language:       OpenCL C
    .language_version:
      - 2
      - 0
    .max_flat_workgroup_size: 256
    .name:           _ZN7rocprim17ROCPRIM_400000_NS6detail17trampoline_kernelINS0_14default_configENS1_27scan_by_key_config_selectorIssEEZZNS1_16scan_by_key_implILNS1_25lookback_scan_determinismE0ELb1ES3_N6thrust23THRUST_200600_302600_NS6detail15normal_iteratorINS9_10device_ptrIsEEEESE_SE_sNS9_4plusIvEENS9_8equal_toIsEEsEE10hipError_tPvRmT2_T3_T4_T5_mT6_T7_P12ihipStream_tbENKUlT_T0_E_clISt17integral_constantIbLb0EESZ_EEDaSU_SV_EUlSU_E_NS1_11comp_targetILNS1_3genE0ELNS1_11target_archE4294967295ELNS1_3gpuE0ELNS1_3repE0EEENS1_30default_config_static_selectorELNS0_4arch9wavefront6targetE0EEEvT1_
    .private_segment_fixed_size: 0
    .sgpr_count:     0
    .sgpr_spill_count: 0
    .symbol:         _ZN7rocprim17ROCPRIM_400000_NS6detail17trampoline_kernelINS0_14default_configENS1_27scan_by_key_config_selectorIssEEZZNS1_16scan_by_key_implILNS1_25lookback_scan_determinismE0ELb1ES3_N6thrust23THRUST_200600_302600_NS6detail15normal_iteratorINS9_10device_ptrIsEEEESE_SE_sNS9_4plusIvEENS9_8equal_toIsEEsEE10hipError_tPvRmT2_T3_T4_T5_mT6_T7_P12ihipStream_tbENKUlT_T0_E_clISt17integral_constantIbLb0EESZ_EEDaSU_SV_EUlSU_E_NS1_11comp_targetILNS1_3genE0ELNS1_11target_archE4294967295ELNS1_3gpuE0ELNS1_3repE0EEENS1_30default_config_static_selectorELNS0_4arch9wavefront6targetE0EEEvT1_.kd
    .uniform_work_group_size: 1
    .uses_dynamic_stack: false
    .vgpr_count:     0
    .vgpr_spill_count: 0
    .wavefront_size: 32
    .workgroup_processor_mode: 1
  - .args:
      - .offset:         0
        .size:           112
        .value_kind:     by_value
    .group_segment_fixed_size: 0
    .kernarg_segment_align: 8
    .kernarg_segment_size: 112
    .language:       OpenCL C
    .language_version:
      - 2
      - 0
    .max_flat_workgroup_size: 128
    .name:           _ZN7rocprim17ROCPRIM_400000_NS6detail17trampoline_kernelINS0_14default_configENS1_27scan_by_key_config_selectorIssEEZZNS1_16scan_by_key_implILNS1_25lookback_scan_determinismE0ELb1ES3_N6thrust23THRUST_200600_302600_NS6detail15normal_iteratorINS9_10device_ptrIsEEEESE_SE_sNS9_4plusIvEENS9_8equal_toIsEEsEE10hipError_tPvRmT2_T3_T4_T5_mT6_T7_P12ihipStream_tbENKUlT_T0_E_clISt17integral_constantIbLb0EESZ_EEDaSU_SV_EUlSU_E_NS1_11comp_targetILNS1_3genE10ELNS1_11target_archE1201ELNS1_3gpuE5ELNS1_3repE0EEENS1_30default_config_static_selectorELNS0_4arch9wavefront6targetE0EEEvT1_
    .private_segment_fixed_size: 0
    .sgpr_count:     0
    .sgpr_spill_count: 0
    .symbol:         _ZN7rocprim17ROCPRIM_400000_NS6detail17trampoline_kernelINS0_14default_configENS1_27scan_by_key_config_selectorIssEEZZNS1_16scan_by_key_implILNS1_25lookback_scan_determinismE0ELb1ES3_N6thrust23THRUST_200600_302600_NS6detail15normal_iteratorINS9_10device_ptrIsEEEESE_SE_sNS9_4plusIvEENS9_8equal_toIsEEsEE10hipError_tPvRmT2_T3_T4_T5_mT6_T7_P12ihipStream_tbENKUlT_T0_E_clISt17integral_constantIbLb0EESZ_EEDaSU_SV_EUlSU_E_NS1_11comp_targetILNS1_3genE10ELNS1_11target_archE1201ELNS1_3gpuE5ELNS1_3repE0EEENS1_30default_config_static_selectorELNS0_4arch9wavefront6targetE0EEEvT1_.kd
    .uniform_work_group_size: 1
    .uses_dynamic_stack: false
    .vgpr_count:     0
    .vgpr_spill_count: 0
    .wavefront_size: 32
    .workgroup_processor_mode: 1
  - .args:
      - .offset:         0
        .size:           112
        .value_kind:     by_value
    .group_segment_fixed_size: 0
    .kernarg_segment_align: 8
    .kernarg_segment_size: 112
    .language:       OpenCL C
    .language_version:
      - 2
      - 0
    .max_flat_workgroup_size: 256
    .name:           _ZN7rocprim17ROCPRIM_400000_NS6detail17trampoline_kernelINS0_14default_configENS1_27scan_by_key_config_selectorIssEEZZNS1_16scan_by_key_implILNS1_25lookback_scan_determinismE0ELb1ES3_N6thrust23THRUST_200600_302600_NS6detail15normal_iteratorINS9_10device_ptrIsEEEESE_SE_sNS9_4plusIvEENS9_8equal_toIsEEsEE10hipError_tPvRmT2_T3_T4_T5_mT6_T7_P12ihipStream_tbENKUlT_T0_E_clISt17integral_constantIbLb0EESZ_EEDaSU_SV_EUlSU_E_NS1_11comp_targetILNS1_3genE5ELNS1_11target_archE942ELNS1_3gpuE9ELNS1_3repE0EEENS1_30default_config_static_selectorELNS0_4arch9wavefront6targetE0EEEvT1_
    .private_segment_fixed_size: 0
    .sgpr_count:     0
    .sgpr_spill_count: 0
    .symbol:         _ZN7rocprim17ROCPRIM_400000_NS6detail17trampoline_kernelINS0_14default_configENS1_27scan_by_key_config_selectorIssEEZZNS1_16scan_by_key_implILNS1_25lookback_scan_determinismE0ELb1ES3_N6thrust23THRUST_200600_302600_NS6detail15normal_iteratorINS9_10device_ptrIsEEEESE_SE_sNS9_4plusIvEENS9_8equal_toIsEEsEE10hipError_tPvRmT2_T3_T4_T5_mT6_T7_P12ihipStream_tbENKUlT_T0_E_clISt17integral_constantIbLb0EESZ_EEDaSU_SV_EUlSU_E_NS1_11comp_targetILNS1_3genE5ELNS1_11target_archE942ELNS1_3gpuE9ELNS1_3repE0EEENS1_30default_config_static_selectorELNS0_4arch9wavefront6targetE0EEEvT1_.kd
    .uniform_work_group_size: 1
    .uses_dynamic_stack: false
    .vgpr_count:     0
    .vgpr_spill_count: 0
    .wavefront_size: 32
    .workgroup_processor_mode: 1
  - .args:
      - .offset:         0
        .size:           112
        .value_kind:     by_value
    .group_segment_fixed_size: 0
    .kernarg_segment_align: 8
    .kernarg_segment_size: 112
    .language:       OpenCL C
    .language_version:
      - 2
      - 0
    .max_flat_workgroup_size: 256
    .name:           _ZN7rocprim17ROCPRIM_400000_NS6detail17trampoline_kernelINS0_14default_configENS1_27scan_by_key_config_selectorIssEEZZNS1_16scan_by_key_implILNS1_25lookback_scan_determinismE0ELb1ES3_N6thrust23THRUST_200600_302600_NS6detail15normal_iteratorINS9_10device_ptrIsEEEESE_SE_sNS9_4plusIvEENS9_8equal_toIsEEsEE10hipError_tPvRmT2_T3_T4_T5_mT6_T7_P12ihipStream_tbENKUlT_T0_E_clISt17integral_constantIbLb0EESZ_EEDaSU_SV_EUlSU_E_NS1_11comp_targetILNS1_3genE4ELNS1_11target_archE910ELNS1_3gpuE8ELNS1_3repE0EEENS1_30default_config_static_selectorELNS0_4arch9wavefront6targetE0EEEvT1_
    .private_segment_fixed_size: 0
    .sgpr_count:     0
    .sgpr_spill_count: 0
    .symbol:         _ZN7rocprim17ROCPRIM_400000_NS6detail17trampoline_kernelINS0_14default_configENS1_27scan_by_key_config_selectorIssEEZZNS1_16scan_by_key_implILNS1_25lookback_scan_determinismE0ELb1ES3_N6thrust23THRUST_200600_302600_NS6detail15normal_iteratorINS9_10device_ptrIsEEEESE_SE_sNS9_4plusIvEENS9_8equal_toIsEEsEE10hipError_tPvRmT2_T3_T4_T5_mT6_T7_P12ihipStream_tbENKUlT_T0_E_clISt17integral_constantIbLb0EESZ_EEDaSU_SV_EUlSU_E_NS1_11comp_targetILNS1_3genE4ELNS1_11target_archE910ELNS1_3gpuE8ELNS1_3repE0EEENS1_30default_config_static_selectorELNS0_4arch9wavefront6targetE0EEEvT1_.kd
    .uniform_work_group_size: 1
    .uses_dynamic_stack: false
    .vgpr_count:     0
    .vgpr_spill_count: 0
    .wavefront_size: 32
    .workgroup_processor_mode: 1
  - .args:
      - .offset:         0
        .size:           112
        .value_kind:     by_value
    .group_segment_fixed_size: 0
    .kernarg_segment_align: 8
    .kernarg_segment_size: 112
    .language:       OpenCL C
    .language_version:
      - 2
      - 0
    .max_flat_workgroup_size: 256
    .name:           _ZN7rocprim17ROCPRIM_400000_NS6detail17trampoline_kernelINS0_14default_configENS1_27scan_by_key_config_selectorIssEEZZNS1_16scan_by_key_implILNS1_25lookback_scan_determinismE0ELb1ES3_N6thrust23THRUST_200600_302600_NS6detail15normal_iteratorINS9_10device_ptrIsEEEESE_SE_sNS9_4plusIvEENS9_8equal_toIsEEsEE10hipError_tPvRmT2_T3_T4_T5_mT6_T7_P12ihipStream_tbENKUlT_T0_E_clISt17integral_constantIbLb0EESZ_EEDaSU_SV_EUlSU_E_NS1_11comp_targetILNS1_3genE3ELNS1_11target_archE908ELNS1_3gpuE7ELNS1_3repE0EEENS1_30default_config_static_selectorELNS0_4arch9wavefront6targetE0EEEvT1_
    .private_segment_fixed_size: 0
    .sgpr_count:     0
    .sgpr_spill_count: 0
    .symbol:         _ZN7rocprim17ROCPRIM_400000_NS6detail17trampoline_kernelINS0_14default_configENS1_27scan_by_key_config_selectorIssEEZZNS1_16scan_by_key_implILNS1_25lookback_scan_determinismE0ELb1ES3_N6thrust23THRUST_200600_302600_NS6detail15normal_iteratorINS9_10device_ptrIsEEEESE_SE_sNS9_4plusIvEENS9_8equal_toIsEEsEE10hipError_tPvRmT2_T3_T4_T5_mT6_T7_P12ihipStream_tbENKUlT_T0_E_clISt17integral_constantIbLb0EESZ_EEDaSU_SV_EUlSU_E_NS1_11comp_targetILNS1_3genE3ELNS1_11target_archE908ELNS1_3gpuE7ELNS1_3repE0EEENS1_30default_config_static_selectorELNS0_4arch9wavefront6targetE0EEEvT1_.kd
    .uniform_work_group_size: 1
    .uses_dynamic_stack: false
    .vgpr_count:     0
    .vgpr_spill_count: 0
    .wavefront_size: 32
    .workgroup_processor_mode: 1
  - .args:
      - .offset:         0
        .size:           112
        .value_kind:     by_value
    .group_segment_fixed_size: 0
    .kernarg_segment_align: 8
    .kernarg_segment_size: 112
    .language:       OpenCL C
    .language_version:
      - 2
      - 0
    .max_flat_workgroup_size: 64
    .name:           _ZN7rocprim17ROCPRIM_400000_NS6detail17trampoline_kernelINS0_14default_configENS1_27scan_by_key_config_selectorIssEEZZNS1_16scan_by_key_implILNS1_25lookback_scan_determinismE0ELb1ES3_N6thrust23THRUST_200600_302600_NS6detail15normal_iteratorINS9_10device_ptrIsEEEESE_SE_sNS9_4plusIvEENS9_8equal_toIsEEsEE10hipError_tPvRmT2_T3_T4_T5_mT6_T7_P12ihipStream_tbENKUlT_T0_E_clISt17integral_constantIbLb0EESZ_EEDaSU_SV_EUlSU_E_NS1_11comp_targetILNS1_3genE2ELNS1_11target_archE906ELNS1_3gpuE6ELNS1_3repE0EEENS1_30default_config_static_selectorELNS0_4arch9wavefront6targetE0EEEvT1_
    .private_segment_fixed_size: 0
    .sgpr_count:     0
    .sgpr_spill_count: 0
    .symbol:         _ZN7rocprim17ROCPRIM_400000_NS6detail17trampoline_kernelINS0_14default_configENS1_27scan_by_key_config_selectorIssEEZZNS1_16scan_by_key_implILNS1_25lookback_scan_determinismE0ELb1ES3_N6thrust23THRUST_200600_302600_NS6detail15normal_iteratorINS9_10device_ptrIsEEEESE_SE_sNS9_4plusIvEENS9_8equal_toIsEEsEE10hipError_tPvRmT2_T3_T4_T5_mT6_T7_P12ihipStream_tbENKUlT_T0_E_clISt17integral_constantIbLb0EESZ_EEDaSU_SV_EUlSU_E_NS1_11comp_targetILNS1_3genE2ELNS1_11target_archE906ELNS1_3gpuE6ELNS1_3repE0EEENS1_30default_config_static_selectorELNS0_4arch9wavefront6targetE0EEEvT1_.kd
    .uniform_work_group_size: 1
    .uses_dynamic_stack: false
    .vgpr_count:     0
    .vgpr_spill_count: 0
    .wavefront_size: 32
    .workgroup_processor_mode: 1
  - .args:
      - .offset:         0
        .size:           112
        .value_kind:     by_value
    .group_segment_fixed_size: 0
    .kernarg_segment_align: 8
    .kernarg_segment_size: 112
    .language:       OpenCL C
    .language_version:
      - 2
      - 0
    .max_flat_workgroup_size: 256
    .name:           _ZN7rocprim17ROCPRIM_400000_NS6detail17trampoline_kernelINS0_14default_configENS1_27scan_by_key_config_selectorIssEEZZNS1_16scan_by_key_implILNS1_25lookback_scan_determinismE0ELb1ES3_N6thrust23THRUST_200600_302600_NS6detail15normal_iteratorINS9_10device_ptrIsEEEESE_SE_sNS9_4plusIvEENS9_8equal_toIsEEsEE10hipError_tPvRmT2_T3_T4_T5_mT6_T7_P12ihipStream_tbENKUlT_T0_E_clISt17integral_constantIbLb0EESZ_EEDaSU_SV_EUlSU_E_NS1_11comp_targetILNS1_3genE10ELNS1_11target_archE1200ELNS1_3gpuE4ELNS1_3repE0EEENS1_30default_config_static_selectorELNS0_4arch9wavefront6targetE0EEEvT1_
    .private_segment_fixed_size: 0
    .sgpr_count:     0
    .sgpr_spill_count: 0
    .symbol:         _ZN7rocprim17ROCPRIM_400000_NS6detail17trampoline_kernelINS0_14default_configENS1_27scan_by_key_config_selectorIssEEZZNS1_16scan_by_key_implILNS1_25lookback_scan_determinismE0ELb1ES3_N6thrust23THRUST_200600_302600_NS6detail15normal_iteratorINS9_10device_ptrIsEEEESE_SE_sNS9_4plusIvEENS9_8equal_toIsEEsEE10hipError_tPvRmT2_T3_T4_T5_mT6_T7_P12ihipStream_tbENKUlT_T0_E_clISt17integral_constantIbLb0EESZ_EEDaSU_SV_EUlSU_E_NS1_11comp_targetILNS1_3genE10ELNS1_11target_archE1200ELNS1_3gpuE4ELNS1_3repE0EEENS1_30default_config_static_selectorELNS0_4arch9wavefront6targetE0EEEvT1_.kd
    .uniform_work_group_size: 1
    .uses_dynamic_stack: false
    .vgpr_count:     0
    .vgpr_spill_count: 0
    .wavefront_size: 32
    .workgroup_processor_mode: 1
  - .args:
      - .offset:         0
        .size:           112
        .value_kind:     by_value
    .group_segment_fixed_size: 0
    .kernarg_segment_align: 8
    .kernarg_segment_size: 112
    .language:       OpenCL C
    .language_version:
      - 2
      - 0
    .max_flat_workgroup_size: 256
    .name:           _ZN7rocprim17ROCPRIM_400000_NS6detail17trampoline_kernelINS0_14default_configENS1_27scan_by_key_config_selectorIssEEZZNS1_16scan_by_key_implILNS1_25lookback_scan_determinismE0ELb1ES3_N6thrust23THRUST_200600_302600_NS6detail15normal_iteratorINS9_10device_ptrIsEEEESE_SE_sNS9_4plusIvEENS9_8equal_toIsEEsEE10hipError_tPvRmT2_T3_T4_T5_mT6_T7_P12ihipStream_tbENKUlT_T0_E_clISt17integral_constantIbLb0EESZ_EEDaSU_SV_EUlSU_E_NS1_11comp_targetILNS1_3genE9ELNS1_11target_archE1100ELNS1_3gpuE3ELNS1_3repE0EEENS1_30default_config_static_selectorELNS0_4arch9wavefront6targetE0EEEvT1_
    .private_segment_fixed_size: 0
    .sgpr_count:     0
    .sgpr_spill_count: 0
    .symbol:         _ZN7rocprim17ROCPRIM_400000_NS6detail17trampoline_kernelINS0_14default_configENS1_27scan_by_key_config_selectorIssEEZZNS1_16scan_by_key_implILNS1_25lookback_scan_determinismE0ELb1ES3_N6thrust23THRUST_200600_302600_NS6detail15normal_iteratorINS9_10device_ptrIsEEEESE_SE_sNS9_4plusIvEENS9_8equal_toIsEEsEE10hipError_tPvRmT2_T3_T4_T5_mT6_T7_P12ihipStream_tbENKUlT_T0_E_clISt17integral_constantIbLb0EESZ_EEDaSU_SV_EUlSU_E_NS1_11comp_targetILNS1_3genE9ELNS1_11target_archE1100ELNS1_3gpuE3ELNS1_3repE0EEENS1_30default_config_static_selectorELNS0_4arch9wavefront6targetE0EEEvT1_.kd
    .uniform_work_group_size: 1
    .uses_dynamic_stack: false
    .vgpr_count:     0
    .vgpr_spill_count: 0
    .wavefront_size: 32
    .workgroup_processor_mode: 1
  - .args:
      - .offset:         0
        .size:           112
        .value_kind:     by_value
    .group_segment_fixed_size: 1536
    .kernarg_segment_align: 8
    .kernarg_segment_size: 112
    .language:       OpenCL C
    .language_version:
      - 2
      - 0
    .max_flat_workgroup_size: 64
    .name:           _ZN7rocprim17ROCPRIM_400000_NS6detail17trampoline_kernelINS0_14default_configENS1_27scan_by_key_config_selectorIssEEZZNS1_16scan_by_key_implILNS1_25lookback_scan_determinismE0ELb1ES3_N6thrust23THRUST_200600_302600_NS6detail15normal_iteratorINS9_10device_ptrIsEEEESE_SE_sNS9_4plusIvEENS9_8equal_toIsEEsEE10hipError_tPvRmT2_T3_T4_T5_mT6_T7_P12ihipStream_tbENKUlT_T0_E_clISt17integral_constantIbLb0EESZ_EEDaSU_SV_EUlSU_E_NS1_11comp_targetILNS1_3genE8ELNS1_11target_archE1030ELNS1_3gpuE2ELNS1_3repE0EEENS1_30default_config_static_selectorELNS0_4arch9wavefront6targetE0EEEvT1_
    .private_segment_fixed_size: 0
    .sgpr_count:     38
    .sgpr_spill_count: 0
    .symbol:         _ZN7rocprim17ROCPRIM_400000_NS6detail17trampoline_kernelINS0_14default_configENS1_27scan_by_key_config_selectorIssEEZZNS1_16scan_by_key_implILNS1_25lookback_scan_determinismE0ELb1ES3_N6thrust23THRUST_200600_302600_NS6detail15normal_iteratorINS9_10device_ptrIsEEEESE_SE_sNS9_4plusIvEENS9_8equal_toIsEEsEE10hipError_tPvRmT2_T3_T4_T5_mT6_T7_P12ihipStream_tbENKUlT_T0_E_clISt17integral_constantIbLb0EESZ_EEDaSU_SV_EUlSU_E_NS1_11comp_targetILNS1_3genE8ELNS1_11target_archE1030ELNS1_3gpuE2ELNS1_3repE0EEENS1_30default_config_static_selectorELNS0_4arch9wavefront6targetE0EEEvT1_.kd
    .uniform_work_group_size: 1
    .uses_dynamic_stack: false
    .vgpr_count:     42
    .vgpr_spill_count: 0
    .wavefront_size: 32
    .workgroup_processor_mode: 1
  - .args:
      - .offset:         0
        .size:           112
        .value_kind:     by_value
    .group_segment_fixed_size: 0
    .kernarg_segment_align: 8
    .kernarg_segment_size: 112
    .language:       OpenCL C
    .language_version:
      - 2
      - 0
    .max_flat_workgroup_size: 256
    .name:           _ZN7rocprim17ROCPRIM_400000_NS6detail17trampoline_kernelINS0_14default_configENS1_27scan_by_key_config_selectorIssEEZZNS1_16scan_by_key_implILNS1_25lookback_scan_determinismE0ELb1ES3_N6thrust23THRUST_200600_302600_NS6detail15normal_iteratorINS9_10device_ptrIsEEEESE_SE_sNS9_4plusIvEENS9_8equal_toIsEEsEE10hipError_tPvRmT2_T3_T4_T5_mT6_T7_P12ihipStream_tbENKUlT_T0_E_clISt17integral_constantIbLb1EESZ_EEDaSU_SV_EUlSU_E_NS1_11comp_targetILNS1_3genE0ELNS1_11target_archE4294967295ELNS1_3gpuE0ELNS1_3repE0EEENS1_30default_config_static_selectorELNS0_4arch9wavefront6targetE0EEEvT1_
    .private_segment_fixed_size: 0
    .sgpr_count:     0
    .sgpr_spill_count: 0
    .symbol:         _ZN7rocprim17ROCPRIM_400000_NS6detail17trampoline_kernelINS0_14default_configENS1_27scan_by_key_config_selectorIssEEZZNS1_16scan_by_key_implILNS1_25lookback_scan_determinismE0ELb1ES3_N6thrust23THRUST_200600_302600_NS6detail15normal_iteratorINS9_10device_ptrIsEEEESE_SE_sNS9_4plusIvEENS9_8equal_toIsEEsEE10hipError_tPvRmT2_T3_T4_T5_mT6_T7_P12ihipStream_tbENKUlT_T0_E_clISt17integral_constantIbLb1EESZ_EEDaSU_SV_EUlSU_E_NS1_11comp_targetILNS1_3genE0ELNS1_11target_archE4294967295ELNS1_3gpuE0ELNS1_3repE0EEENS1_30default_config_static_selectorELNS0_4arch9wavefront6targetE0EEEvT1_.kd
    .uniform_work_group_size: 1
    .uses_dynamic_stack: false
    .vgpr_count:     0
    .vgpr_spill_count: 0
    .wavefront_size: 32
    .workgroup_processor_mode: 1
  - .args:
      - .offset:         0
        .size:           112
        .value_kind:     by_value
    .group_segment_fixed_size: 0
    .kernarg_segment_align: 8
    .kernarg_segment_size: 112
    .language:       OpenCL C
    .language_version:
      - 2
      - 0
    .max_flat_workgroup_size: 128
    .name:           _ZN7rocprim17ROCPRIM_400000_NS6detail17trampoline_kernelINS0_14default_configENS1_27scan_by_key_config_selectorIssEEZZNS1_16scan_by_key_implILNS1_25lookback_scan_determinismE0ELb1ES3_N6thrust23THRUST_200600_302600_NS6detail15normal_iteratorINS9_10device_ptrIsEEEESE_SE_sNS9_4plusIvEENS9_8equal_toIsEEsEE10hipError_tPvRmT2_T3_T4_T5_mT6_T7_P12ihipStream_tbENKUlT_T0_E_clISt17integral_constantIbLb1EESZ_EEDaSU_SV_EUlSU_E_NS1_11comp_targetILNS1_3genE10ELNS1_11target_archE1201ELNS1_3gpuE5ELNS1_3repE0EEENS1_30default_config_static_selectorELNS0_4arch9wavefront6targetE0EEEvT1_
    .private_segment_fixed_size: 0
    .sgpr_count:     0
    .sgpr_spill_count: 0
    .symbol:         _ZN7rocprim17ROCPRIM_400000_NS6detail17trampoline_kernelINS0_14default_configENS1_27scan_by_key_config_selectorIssEEZZNS1_16scan_by_key_implILNS1_25lookback_scan_determinismE0ELb1ES3_N6thrust23THRUST_200600_302600_NS6detail15normal_iteratorINS9_10device_ptrIsEEEESE_SE_sNS9_4plusIvEENS9_8equal_toIsEEsEE10hipError_tPvRmT2_T3_T4_T5_mT6_T7_P12ihipStream_tbENKUlT_T0_E_clISt17integral_constantIbLb1EESZ_EEDaSU_SV_EUlSU_E_NS1_11comp_targetILNS1_3genE10ELNS1_11target_archE1201ELNS1_3gpuE5ELNS1_3repE0EEENS1_30default_config_static_selectorELNS0_4arch9wavefront6targetE0EEEvT1_.kd
    .uniform_work_group_size: 1
    .uses_dynamic_stack: false
    .vgpr_count:     0
    .vgpr_spill_count: 0
    .wavefront_size: 32
    .workgroup_processor_mode: 1
  - .args:
      - .offset:         0
        .size:           112
        .value_kind:     by_value
    .group_segment_fixed_size: 0
    .kernarg_segment_align: 8
    .kernarg_segment_size: 112
    .language:       OpenCL C
    .language_version:
      - 2
      - 0
    .max_flat_workgroup_size: 256
    .name:           _ZN7rocprim17ROCPRIM_400000_NS6detail17trampoline_kernelINS0_14default_configENS1_27scan_by_key_config_selectorIssEEZZNS1_16scan_by_key_implILNS1_25lookback_scan_determinismE0ELb1ES3_N6thrust23THRUST_200600_302600_NS6detail15normal_iteratorINS9_10device_ptrIsEEEESE_SE_sNS9_4plusIvEENS9_8equal_toIsEEsEE10hipError_tPvRmT2_T3_T4_T5_mT6_T7_P12ihipStream_tbENKUlT_T0_E_clISt17integral_constantIbLb1EESZ_EEDaSU_SV_EUlSU_E_NS1_11comp_targetILNS1_3genE5ELNS1_11target_archE942ELNS1_3gpuE9ELNS1_3repE0EEENS1_30default_config_static_selectorELNS0_4arch9wavefront6targetE0EEEvT1_
    .private_segment_fixed_size: 0
    .sgpr_count:     0
    .sgpr_spill_count: 0
    .symbol:         _ZN7rocprim17ROCPRIM_400000_NS6detail17trampoline_kernelINS0_14default_configENS1_27scan_by_key_config_selectorIssEEZZNS1_16scan_by_key_implILNS1_25lookback_scan_determinismE0ELb1ES3_N6thrust23THRUST_200600_302600_NS6detail15normal_iteratorINS9_10device_ptrIsEEEESE_SE_sNS9_4plusIvEENS9_8equal_toIsEEsEE10hipError_tPvRmT2_T3_T4_T5_mT6_T7_P12ihipStream_tbENKUlT_T0_E_clISt17integral_constantIbLb1EESZ_EEDaSU_SV_EUlSU_E_NS1_11comp_targetILNS1_3genE5ELNS1_11target_archE942ELNS1_3gpuE9ELNS1_3repE0EEENS1_30default_config_static_selectorELNS0_4arch9wavefront6targetE0EEEvT1_.kd
    .uniform_work_group_size: 1
    .uses_dynamic_stack: false
    .vgpr_count:     0
    .vgpr_spill_count: 0
    .wavefront_size: 32
    .workgroup_processor_mode: 1
  - .args:
      - .offset:         0
        .size:           112
        .value_kind:     by_value
    .group_segment_fixed_size: 0
    .kernarg_segment_align: 8
    .kernarg_segment_size: 112
    .language:       OpenCL C
    .language_version:
      - 2
      - 0
    .max_flat_workgroup_size: 256
    .name:           _ZN7rocprim17ROCPRIM_400000_NS6detail17trampoline_kernelINS0_14default_configENS1_27scan_by_key_config_selectorIssEEZZNS1_16scan_by_key_implILNS1_25lookback_scan_determinismE0ELb1ES3_N6thrust23THRUST_200600_302600_NS6detail15normal_iteratorINS9_10device_ptrIsEEEESE_SE_sNS9_4plusIvEENS9_8equal_toIsEEsEE10hipError_tPvRmT2_T3_T4_T5_mT6_T7_P12ihipStream_tbENKUlT_T0_E_clISt17integral_constantIbLb1EESZ_EEDaSU_SV_EUlSU_E_NS1_11comp_targetILNS1_3genE4ELNS1_11target_archE910ELNS1_3gpuE8ELNS1_3repE0EEENS1_30default_config_static_selectorELNS0_4arch9wavefront6targetE0EEEvT1_
    .private_segment_fixed_size: 0
    .sgpr_count:     0
    .sgpr_spill_count: 0
    .symbol:         _ZN7rocprim17ROCPRIM_400000_NS6detail17trampoline_kernelINS0_14default_configENS1_27scan_by_key_config_selectorIssEEZZNS1_16scan_by_key_implILNS1_25lookback_scan_determinismE0ELb1ES3_N6thrust23THRUST_200600_302600_NS6detail15normal_iteratorINS9_10device_ptrIsEEEESE_SE_sNS9_4plusIvEENS9_8equal_toIsEEsEE10hipError_tPvRmT2_T3_T4_T5_mT6_T7_P12ihipStream_tbENKUlT_T0_E_clISt17integral_constantIbLb1EESZ_EEDaSU_SV_EUlSU_E_NS1_11comp_targetILNS1_3genE4ELNS1_11target_archE910ELNS1_3gpuE8ELNS1_3repE0EEENS1_30default_config_static_selectorELNS0_4arch9wavefront6targetE0EEEvT1_.kd
    .uniform_work_group_size: 1
    .uses_dynamic_stack: false
    .vgpr_count:     0
    .vgpr_spill_count: 0
    .wavefront_size: 32
    .workgroup_processor_mode: 1
  - .args:
      - .offset:         0
        .size:           112
        .value_kind:     by_value
    .group_segment_fixed_size: 0
    .kernarg_segment_align: 8
    .kernarg_segment_size: 112
    .language:       OpenCL C
    .language_version:
      - 2
      - 0
    .max_flat_workgroup_size: 256
    .name:           _ZN7rocprim17ROCPRIM_400000_NS6detail17trampoline_kernelINS0_14default_configENS1_27scan_by_key_config_selectorIssEEZZNS1_16scan_by_key_implILNS1_25lookback_scan_determinismE0ELb1ES3_N6thrust23THRUST_200600_302600_NS6detail15normal_iteratorINS9_10device_ptrIsEEEESE_SE_sNS9_4plusIvEENS9_8equal_toIsEEsEE10hipError_tPvRmT2_T3_T4_T5_mT6_T7_P12ihipStream_tbENKUlT_T0_E_clISt17integral_constantIbLb1EESZ_EEDaSU_SV_EUlSU_E_NS1_11comp_targetILNS1_3genE3ELNS1_11target_archE908ELNS1_3gpuE7ELNS1_3repE0EEENS1_30default_config_static_selectorELNS0_4arch9wavefront6targetE0EEEvT1_
    .private_segment_fixed_size: 0
    .sgpr_count:     0
    .sgpr_spill_count: 0
    .symbol:         _ZN7rocprim17ROCPRIM_400000_NS6detail17trampoline_kernelINS0_14default_configENS1_27scan_by_key_config_selectorIssEEZZNS1_16scan_by_key_implILNS1_25lookback_scan_determinismE0ELb1ES3_N6thrust23THRUST_200600_302600_NS6detail15normal_iteratorINS9_10device_ptrIsEEEESE_SE_sNS9_4plusIvEENS9_8equal_toIsEEsEE10hipError_tPvRmT2_T3_T4_T5_mT6_T7_P12ihipStream_tbENKUlT_T0_E_clISt17integral_constantIbLb1EESZ_EEDaSU_SV_EUlSU_E_NS1_11comp_targetILNS1_3genE3ELNS1_11target_archE908ELNS1_3gpuE7ELNS1_3repE0EEENS1_30default_config_static_selectorELNS0_4arch9wavefront6targetE0EEEvT1_.kd
    .uniform_work_group_size: 1
    .uses_dynamic_stack: false
    .vgpr_count:     0
    .vgpr_spill_count: 0
    .wavefront_size: 32
    .workgroup_processor_mode: 1
  - .args:
      - .offset:         0
        .size:           112
        .value_kind:     by_value
    .group_segment_fixed_size: 0
    .kernarg_segment_align: 8
    .kernarg_segment_size: 112
    .language:       OpenCL C
    .language_version:
      - 2
      - 0
    .max_flat_workgroup_size: 64
    .name:           _ZN7rocprim17ROCPRIM_400000_NS6detail17trampoline_kernelINS0_14default_configENS1_27scan_by_key_config_selectorIssEEZZNS1_16scan_by_key_implILNS1_25lookback_scan_determinismE0ELb1ES3_N6thrust23THRUST_200600_302600_NS6detail15normal_iteratorINS9_10device_ptrIsEEEESE_SE_sNS9_4plusIvEENS9_8equal_toIsEEsEE10hipError_tPvRmT2_T3_T4_T5_mT6_T7_P12ihipStream_tbENKUlT_T0_E_clISt17integral_constantIbLb1EESZ_EEDaSU_SV_EUlSU_E_NS1_11comp_targetILNS1_3genE2ELNS1_11target_archE906ELNS1_3gpuE6ELNS1_3repE0EEENS1_30default_config_static_selectorELNS0_4arch9wavefront6targetE0EEEvT1_
    .private_segment_fixed_size: 0
    .sgpr_count:     0
    .sgpr_spill_count: 0
    .symbol:         _ZN7rocprim17ROCPRIM_400000_NS6detail17trampoline_kernelINS0_14default_configENS1_27scan_by_key_config_selectorIssEEZZNS1_16scan_by_key_implILNS1_25lookback_scan_determinismE0ELb1ES3_N6thrust23THRUST_200600_302600_NS6detail15normal_iteratorINS9_10device_ptrIsEEEESE_SE_sNS9_4plusIvEENS9_8equal_toIsEEsEE10hipError_tPvRmT2_T3_T4_T5_mT6_T7_P12ihipStream_tbENKUlT_T0_E_clISt17integral_constantIbLb1EESZ_EEDaSU_SV_EUlSU_E_NS1_11comp_targetILNS1_3genE2ELNS1_11target_archE906ELNS1_3gpuE6ELNS1_3repE0EEENS1_30default_config_static_selectorELNS0_4arch9wavefront6targetE0EEEvT1_.kd
    .uniform_work_group_size: 1
    .uses_dynamic_stack: false
    .vgpr_count:     0
    .vgpr_spill_count: 0
    .wavefront_size: 32
    .workgroup_processor_mode: 1
  - .args:
      - .offset:         0
        .size:           112
        .value_kind:     by_value
    .group_segment_fixed_size: 0
    .kernarg_segment_align: 8
    .kernarg_segment_size: 112
    .language:       OpenCL C
    .language_version:
      - 2
      - 0
    .max_flat_workgroup_size: 256
    .name:           _ZN7rocprim17ROCPRIM_400000_NS6detail17trampoline_kernelINS0_14default_configENS1_27scan_by_key_config_selectorIssEEZZNS1_16scan_by_key_implILNS1_25lookback_scan_determinismE0ELb1ES3_N6thrust23THRUST_200600_302600_NS6detail15normal_iteratorINS9_10device_ptrIsEEEESE_SE_sNS9_4plusIvEENS9_8equal_toIsEEsEE10hipError_tPvRmT2_T3_T4_T5_mT6_T7_P12ihipStream_tbENKUlT_T0_E_clISt17integral_constantIbLb1EESZ_EEDaSU_SV_EUlSU_E_NS1_11comp_targetILNS1_3genE10ELNS1_11target_archE1200ELNS1_3gpuE4ELNS1_3repE0EEENS1_30default_config_static_selectorELNS0_4arch9wavefront6targetE0EEEvT1_
    .private_segment_fixed_size: 0
    .sgpr_count:     0
    .sgpr_spill_count: 0
    .symbol:         _ZN7rocprim17ROCPRIM_400000_NS6detail17trampoline_kernelINS0_14default_configENS1_27scan_by_key_config_selectorIssEEZZNS1_16scan_by_key_implILNS1_25lookback_scan_determinismE0ELb1ES3_N6thrust23THRUST_200600_302600_NS6detail15normal_iteratorINS9_10device_ptrIsEEEESE_SE_sNS9_4plusIvEENS9_8equal_toIsEEsEE10hipError_tPvRmT2_T3_T4_T5_mT6_T7_P12ihipStream_tbENKUlT_T0_E_clISt17integral_constantIbLb1EESZ_EEDaSU_SV_EUlSU_E_NS1_11comp_targetILNS1_3genE10ELNS1_11target_archE1200ELNS1_3gpuE4ELNS1_3repE0EEENS1_30default_config_static_selectorELNS0_4arch9wavefront6targetE0EEEvT1_.kd
    .uniform_work_group_size: 1
    .uses_dynamic_stack: false
    .vgpr_count:     0
    .vgpr_spill_count: 0
    .wavefront_size: 32
    .workgroup_processor_mode: 1
  - .args:
      - .offset:         0
        .size:           112
        .value_kind:     by_value
    .group_segment_fixed_size: 0
    .kernarg_segment_align: 8
    .kernarg_segment_size: 112
    .language:       OpenCL C
    .language_version:
      - 2
      - 0
    .max_flat_workgroup_size: 256
    .name:           _ZN7rocprim17ROCPRIM_400000_NS6detail17trampoline_kernelINS0_14default_configENS1_27scan_by_key_config_selectorIssEEZZNS1_16scan_by_key_implILNS1_25lookback_scan_determinismE0ELb1ES3_N6thrust23THRUST_200600_302600_NS6detail15normal_iteratorINS9_10device_ptrIsEEEESE_SE_sNS9_4plusIvEENS9_8equal_toIsEEsEE10hipError_tPvRmT2_T3_T4_T5_mT6_T7_P12ihipStream_tbENKUlT_T0_E_clISt17integral_constantIbLb1EESZ_EEDaSU_SV_EUlSU_E_NS1_11comp_targetILNS1_3genE9ELNS1_11target_archE1100ELNS1_3gpuE3ELNS1_3repE0EEENS1_30default_config_static_selectorELNS0_4arch9wavefront6targetE0EEEvT1_
    .private_segment_fixed_size: 0
    .sgpr_count:     0
    .sgpr_spill_count: 0
    .symbol:         _ZN7rocprim17ROCPRIM_400000_NS6detail17trampoline_kernelINS0_14default_configENS1_27scan_by_key_config_selectorIssEEZZNS1_16scan_by_key_implILNS1_25lookback_scan_determinismE0ELb1ES3_N6thrust23THRUST_200600_302600_NS6detail15normal_iteratorINS9_10device_ptrIsEEEESE_SE_sNS9_4plusIvEENS9_8equal_toIsEEsEE10hipError_tPvRmT2_T3_T4_T5_mT6_T7_P12ihipStream_tbENKUlT_T0_E_clISt17integral_constantIbLb1EESZ_EEDaSU_SV_EUlSU_E_NS1_11comp_targetILNS1_3genE9ELNS1_11target_archE1100ELNS1_3gpuE3ELNS1_3repE0EEENS1_30default_config_static_selectorELNS0_4arch9wavefront6targetE0EEEvT1_.kd
    .uniform_work_group_size: 1
    .uses_dynamic_stack: false
    .vgpr_count:     0
    .vgpr_spill_count: 0
    .wavefront_size: 32
    .workgroup_processor_mode: 1
  - .args:
      - .offset:         0
        .size:           112
        .value_kind:     by_value
    .group_segment_fixed_size: 0
    .kernarg_segment_align: 8
    .kernarg_segment_size: 112
    .language:       OpenCL C
    .language_version:
      - 2
      - 0
    .max_flat_workgroup_size: 64
    .name:           _ZN7rocprim17ROCPRIM_400000_NS6detail17trampoline_kernelINS0_14default_configENS1_27scan_by_key_config_selectorIssEEZZNS1_16scan_by_key_implILNS1_25lookback_scan_determinismE0ELb1ES3_N6thrust23THRUST_200600_302600_NS6detail15normal_iteratorINS9_10device_ptrIsEEEESE_SE_sNS9_4plusIvEENS9_8equal_toIsEEsEE10hipError_tPvRmT2_T3_T4_T5_mT6_T7_P12ihipStream_tbENKUlT_T0_E_clISt17integral_constantIbLb1EESZ_EEDaSU_SV_EUlSU_E_NS1_11comp_targetILNS1_3genE8ELNS1_11target_archE1030ELNS1_3gpuE2ELNS1_3repE0EEENS1_30default_config_static_selectorELNS0_4arch9wavefront6targetE0EEEvT1_
    .private_segment_fixed_size: 0
    .sgpr_count:     0
    .sgpr_spill_count: 0
    .symbol:         _ZN7rocprim17ROCPRIM_400000_NS6detail17trampoline_kernelINS0_14default_configENS1_27scan_by_key_config_selectorIssEEZZNS1_16scan_by_key_implILNS1_25lookback_scan_determinismE0ELb1ES3_N6thrust23THRUST_200600_302600_NS6detail15normal_iteratorINS9_10device_ptrIsEEEESE_SE_sNS9_4plusIvEENS9_8equal_toIsEEsEE10hipError_tPvRmT2_T3_T4_T5_mT6_T7_P12ihipStream_tbENKUlT_T0_E_clISt17integral_constantIbLb1EESZ_EEDaSU_SV_EUlSU_E_NS1_11comp_targetILNS1_3genE8ELNS1_11target_archE1030ELNS1_3gpuE2ELNS1_3repE0EEENS1_30default_config_static_selectorELNS0_4arch9wavefront6targetE0EEEvT1_.kd
    .uniform_work_group_size: 1
    .uses_dynamic_stack: false
    .vgpr_count:     0
    .vgpr_spill_count: 0
    .wavefront_size: 32
    .workgroup_processor_mode: 1
  - .args:
      - .offset:         0
        .size:           112
        .value_kind:     by_value
    .group_segment_fixed_size: 0
    .kernarg_segment_align: 8
    .kernarg_segment_size: 112
    .language:       OpenCL C
    .language_version:
      - 2
      - 0
    .max_flat_workgroup_size: 256
    .name:           _ZN7rocprim17ROCPRIM_400000_NS6detail17trampoline_kernelINS0_14default_configENS1_27scan_by_key_config_selectorIssEEZZNS1_16scan_by_key_implILNS1_25lookback_scan_determinismE0ELb1ES3_N6thrust23THRUST_200600_302600_NS6detail15normal_iteratorINS9_10device_ptrIsEEEESE_SE_sNS9_4plusIvEENS9_8equal_toIsEEsEE10hipError_tPvRmT2_T3_T4_T5_mT6_T7_P12ihipStream_tbENKUlT_T0_E_clISt17integral_constantIbLb1EESY_IbLb0EEEEDaSU_SV_EUlSU_E_NS1_11comp_targetILNS1_3genE0ELNS1_11target_archE4294967295ELNS1_3gpuE0ELNS1_3repE0EEENS1_30default_config_static_selectorELNS0_4arch9wavefront6targetE0EEEvT1_
    .private_segment_fixed_size: 0
    .sgpr_count:     0
    .sgpr_spill_count: 0
    .symbol:         _ZN7rocprim17ROCPRIM_400000_NS6detail17trampoline_kernelINS0_14default_configENS1_27scan_by_key_config_selectorIssEEZZNS1_16scan_by_key_implILNS1_25lookback_scan_determinismE0ELb1ES3_N6thrust23THRUST_200600_302600_NS6detail15normal_iteratorINS9_10device_ptrIsEEEESE_SE_sNS9_4plusIvEENS9_8equal_toIsEEsEE10hipError_tPvRmT2_T3_T4_T5_mT6_T7_P12ihipStream_tbENKUlT_T0_E_clISt17integral_constantIbLb1EESY_IbLb0EEEEDaSU_SV_EUlSU_E_NS1_11comp_targetILNS1_3genE0ELNS1_11target_archE4294967295ELNS1_3gpuE0ELNS1_3repE0EEENS1_30default_config_static_selectorELNS0_4arch9wavefront6targetE0EEEvT1_.kd
    .uniform_work_group_size: 1
    .uses_dynamic_stack: false
    .vgpr_count:     0
    .vgpr_spill_count: 0
    .wavefront_size: 32
    .workgroup_processor_mode: 1
  - .args:
      - .offset:         0
        .size:           112
        .value_kind:     by_value
    .group_segment_fixed_size: 0
    .kernarg_segment_align: 8
    .kernarg_segment_size: 112
    .language:       OpenCL C
    .language_version:
      - 2
      - 0
    .max_flat_workgroup_size: 128
    .name:           _ZN7rocprim17ROCPRIM_400000_NS6detail17trampoline_kernelINS0_14default_configENS1_27scan_by_key_config_selectorIssEEZZNS1_16scan_by_key_implILNS1_25lookback_scan_determinismE0ELb1ES3_N6thrust23THRUST_200600_302600_NS6detail15normal_iteratorINS9_10device_ptrIsEEEESE_SE_sNS9_4plusIvEENS9_8equal_toIsEEsEE10hipError_tPvRmT2_T3_T4_T5_mT6_T7_P12ihipStream_tbENKUlT_T0_E_clISt17integral_constantIbLb1EESY_IbLb0EEEEDaSU_SV_EUlSU_E_NS1_11comp_targetILNS1_3genE10ELNS1_11target_archE1201ELNS1_3gpuE5ELNS1_3repE0EEENS1_30default_config_static_selectorELNS0_4arch9wavefront6targetE0EEEvT1_
    .private_segment_fixed_size: 0
    .sgpr_count:     0
    .sgpr_spill_count: 0
    .symbol:         _ZN7rocprim17ROCPRIM_400000_NS6detail17trampoline_kernelINS0_14default_configENS1_27scan_by_key_config_selectorIssEEZZNS1_16scan_by_key_implILNS1_25lookback_scan_determinismE0ELb1ES3_N6thrust23THRUST_200600_302600_NS6detail15normal_iteratorINS9_10device_ptrIsEEEESE_SE_sNS9_4plusIvEENS9_8equal_toIsEEsEE10hipError_tPvRmT2_T3_T4_T5_mT6_T7_P12ihipStream_tbENKUlT_T0_E_clISt17integral_constantIbLb1EESY_IbLb0EEEEDaSU_SV_EUlSU_E_NS1_11comp_targetILNS1_3genE10ELNS1_11target_archE1201ELNS1_3gpuE5ELNS1_3repE0EEENS1_30default_config_static_selectorELNS0_4arch9wavefront6targetE0EEEvT1_.kd
    .uniform_work_group_size: 1
    .uses_dynamic_stack: false
    .vgpr_count:     0
    .vgpr_spill_count: 0
    .wavefront_size: 32
    .workgroup_processor_mode: 1
  - .args:
      - .offset:         0
        .size:           112
        .value_kind:     by_value
    .group_segment_fixed_size: 0
    .kernarg_segment_align: 8
    .kernarg_segment_size: 112
    .language:       OpenCL C
    .language_version:
      - 2
      - 0
    .max_flat_workgroup_size: 256
    .name:           _ZN7rocprim17ROCPRIM_400000_NS6detail17trampoline_kernelINS0_14default_configENS1_27scan_by_key_config_selectorIssEEZZNS1_16scan_by_key_implILNS1_25lookback_scan_determinismE0ELb1ES3_N6thrust23THRUST_200600_302600_NS6detail15normal_iteratorINS9_10device_ptrIsEEEESE_SE_sNS9_4plusIvEENS9_8equal_toIsEEsEE10hipError_tPvRmT2_T3_T4_T5_mT6_T7_P12ihipStream_tbENKUlT_T0_E_clISt17integral_constantIbLb1EESY_IbLb0EEEEDaSU_SV_EUlSU_E_NS1_11comp_targetILNS1_3genE5ELNS1_11target_archE942ELNS1_3gpuE9ELNS1_3repE0EEENS1_30default_config_static_selectorELNS0_4arch9wavefront6targetE0EEEvT1_
    .private_segment_fixed_size: 0
    .sgpr_count:     0
    .sgpr_spill_count: 0
    .symbol:         _ZN7rocprim17ROCPRIM_400000_NS6detail17trampoline_kernelINS0_14default_configENS1_27scan_by_key_config_selectorIssEEZZNS1_16scan_by_key_implILNS1_25lookback_scan_determinismE0ELb1ES3_N6thrust23THRUST_200600_302600_NS6detail15normal_iteratorINS9_10device_ptrIsEEEESE_SE_sNS9_4plusIvEENS9_8equal_toIsEEsEE10hipError_tPvRmT2_T3_T4_T5_mT6_T7_P12ihipStream_tbENKUlT_T0_E_clISt17integral_constantIbLb1EESY_IbLb0EEEEDaSU_SV_EUlSU_E_NS1_11comp_targetILNS1_3genE5ELNS1_11target_archE942ELNS1_3gpuE9ELNS1_3repE0EEENS1_30default_config_static_selectorELNS0_4arch9wavefront6targetE0EEEvT1_.kd
    .uniform_work_group_size: 1
    .uses_dynamic_stack: false
    .vgpr_count:     0
    .vgpr_spill_count: 0
    .wavefront_size: 32
    .workgroup_processor_mode: 1
  - .args:
      - .offset:         0
        .size:           112
        .value_kind:     by_value
    .group_segment_fixed_size: 0
    .kernarg_segment_align: 8
    .kernarg_segment_size: 112
    .language:       OpenCL C
    .language_version:
      - 2
      - 0
    .max_flat_workgroup_size: 256
    .name:           _ZN7rocprim17ROCPRIM_400000_NS6detail17trampoline_kernelINS0_14default_configENS1_27scan_by_key_config_selectorIssEEZZNS1_16scan_by_key_implILNS1_25lookback_scan_determinismE0ELb1ES3_N6thrust23THRUST_200600_302600_NS6detail15normal_iteratorINS9_10device_ptrIsEEEESE_SE_sNS9_4plusIvEENS9_8equal_toIsEEsEE10hipError_tPvRmT2_T3_T4_T5_mT6_T7_P12ihipStream_tbENKUlT_T0_E_clISt17integral_constantIbLb1EESY_IbLb0EEEEDaSU_SV_EUlSU_E_NS1_11comp_targetILNS1_3genE4ELNS1_11target_archE910ELNS1_3gpuE8ELNS1_3repE0EEENS1_30default_config_static_selectorELNS0_4arch9wavefront6targetE0EEEvT1_
    .private_segment_fixed_size: 0
    .sgpr_count:     0
    .sgpr_spill_count: 0
    .symbol:         _ZN7rocprim17ROCPRIM_400000_NS6detail17trampoline_kernelINS0_14default_configENS1_27scan_by_key_config_selectorIssEEZZNS1_16scan_by_key_implILNS1_25lookback_scan_determinismE0ELb1ES3_N6thrust23THRUST_200600_302600_NS6detail15normal_iteratorINS9_10device_ptrIsEEEESE_SE_sNS9_4plusIvEENS9_8equal_toIsEEsEE10hipError_tPvRmT2_T3_T4_T5_mT6_T7_P12ihipStream_tbENKUlT_T0_E_clISt17integral_constantIbLb1EESY_IbLb0EEEEDaSU_SV_EUlSU_E_NS1_11comp_targetILNS1_3genE4ELNS1_11target_archE910ELNS1_3gpuE8ELNS1_3repE0EEENS1_30default_config_static_selectorELNS0_4arch9wavefront6targetE0EEEvT1_.kd
    .uniform_work_group_size: 1
    .uses_dynamic_stack: false
    .vgpr_count:     0
    .vgpr_spill_count: 0
    .wavefront_size: 32
    .workgroup_processor_mode: 1
  - .args:
      - .offset:         0
        .size:           112
        .value_kind:     by_value
    .group_segment_fixed_size: 0
    .kernarg_segment_align: 8
    .kernarg_segment_size: 112
    .language:       OpenCL C
    .language_version:
      - 2
      - 0
    .max_flat_workgroup_size: 256
    .name:           _ZN7rocprim17ROCPRIM_400000_NS6detail17trampoline_kernelINS0_14default_configENS1_27scan_by_key_config_selectorIssEEZZNS1_16scan_by_key_implILNS1_25lookback_scan_determinismE0ELb1ES3_N6thrust23THRUST_200600_302600_NS6detail15normal_iteratorINS9_10device_ptrIsEEEESE_SE_sNS9_4plusIvEENS9_8equal_toIsEEsEE10hipError_tPvRmT2_T3_T4_T5_mT6_T7_P12ihipStream_tbENKUlT_T0_E_clISt17integral_constantIbLb1EESY_IbLb0EEEEDaSU_SV_EUlSU_E_NS1_11comp_targetILNS1_3genE3ELNS1_11target_archE908ELNS1_3gpuE7ELNS1_3repE0EEENS1_30default_config_static_selectorELNS0_4arch9wavefront6targetE0EEEvT1_
    .private_segment_fixed_size: 0
    .sgpr_count:     0
    .sgpr_spill_count: 0
    .symbol:         _ZN7rocprim17ROCPRIM_400000_NS6detail17trampoline_kernelINS0_14default_configENS1_27scan_by_key_config_selectorIssEEZZNS1_16scan_by_key_implILNS1_25lookback_scan_determinismE0ELb1ES3_N6thrust23THRUST_200600_302600_NS6detail15normal_iteratorINS9_10device_ptrIsEEEESE_SE_sNS9_4plusIvEENS9_8equal_toIsEEsEE10hipError_tPvRmT2_T3_T4_T5_mT6_T7_P12ihipStream_tbENKUlT_T0_E_clISt17integral_constantIbLb1EESY_IbLb0EEEEDaSU_SV_EUlSU_E_NS1_11comp_targetILNS1_3genE3ELNS1_11target_archE908ELNS1_3gpuE7ELNS1_3repE0EEENS1_30default_config_static_selectorELNS0_4arch9wavefront6targetE0EEEvT1_.kd
    .uniform_work_group_size: 1
    .uses_dynamic_stack: false
    .vgpr_count:     0
    .vgpr_spill_count: 0
    .wavefront_size: 32
    .workgroup_processor_mode: 1
  - .args:
      - .offset:         0
        .size:           112
        .value_kind:     by_value
    .group_segment_fixed_size: 0
    .kernarg_segment_align: 8
    .kernarg_segment_size: 112
    .language:       OpenCL C
    .language_version:
      - 2
      - 0
    .max_flat_workgroup_size: 64
    .name:           _ZN7rocprim17ROCPRIM_400000_NS6detail17trampoline_kernelINS0_14default_configENS1_27scan_by_key_config_selectorIssEEZZNS1_16scan_by_key_implILNS1_25lookback_scan_determinismE0ELb1ES3_N6thrust23THRUST_200600_302600_NS6detail15normal_iteratorINS9_10device_ptrIsEEEESE_SE_sNS9_4plusIvEENS9_8equal_toIsEEsEE10hipError_tPvRmT2_T3_T4_T5_mT6_T7_P12ihipStream_tbENKUlT_T0_E_clISt17integral_constantIbLb1EESY_IbLb0EEEEDaSU_SV_EUlSU_E_NS1_11comp_targetILNS1_3genE2ELNS1_11target_archE906ELNS1_3gpuE6ELNS1_3repE0EEENS1_30default_config_static_selectorELNS0_4arch9wavefront6targetE0EEEvT1_
    .private_segment_fixed_size: 0
    .sgpr_count:     0
    .sgpr_spill_count: 0
    .symbol:         _ZN7rocprim17ROCPRIM_400000_NS6detail17trampoline_kernelINS0_14default_configENS1_27scan_by_key_config_selectorIssEEZZNS1_16scan_by_key_implILNS1_25lookback_scan_determinismE0ELb1ES3_N6thrust23THRUST_200600_302600_NS6detail15normal_iteratorINS9_10device_ptrIsEEEESE_SE_sNS9_4plusIvEENS9_8equal_toIsEEsEE10hipError_tPvRmT2_T3_T4_T5_mT6_T7_P12ihipStream_tbENKUlT_T0_E_clISt17integral_constantIbLb1EESY_IbLb0EEEEDaSU_SV_EUlSU_E_NS1_11comp_targetILNS1_3genE2ELNS1_11target_archE906ELNS1_3gpuE6ELNS1_3repE0EEENS1_30default_config_static_selectorELNS0_4arch9wavefront6targetE0EEEvT1_.kd
    .uniform_work_group_size: 1
    .uses_dynamic_stack: false
    .vgpr_count:     0
    .vgpr_spill_count: 0
    .wavefront_size: 32
    .workgroup_processor_mode: 1
  - .args:
      - .offset:         0
        .size:           112
        .value_kind:     by_value
    .group_segment_fixed_size: 0
    .kernarg_segment_align: 8
    .kernarg_segment_size: 112
    .language:       OpenCL C
    .language_version:
      - 2
      - 0
    .max_flat_workgroup_size: 256
    .name:           _ZN7rocprim17ROCPRIM_400000_NS6detail17trampoline_kernelINS0_14default_configENS1_27scan_by_key_config_selectorIssEEZZNS1_16scan_by_key_implILNS1_25lookback_scan_determinismE0ELb1ES3_N6thrust23THRUST_200600_302600_NS6detail15normal_iteratorINS9_10device_ptrIsEEEESE_SE_sNS9_4plusIvEENS9_8equal_toIsEEsEE10hipError_tPvRmT2_T3_T4_T5_mT6_T7_P12ihipStream_tbENKUlT_T0_E_clISt17integral_constantIbLb1EESY_IbLb0EEEEDaSU_SV_EUlSU_E_NS1_11comp_targetILNS1_3genE10ELNS1_11target_archE1200ELNS1_3gpuE4ELNS1_3repE0EEENS1_30default_config_static_selectorELNS0_4arch9wavefront6targetE0EEEvT1_
    .private_segment_fixed_size: 0
    .sgpr_count:     0
    .sgpr_spill_count: 0
    .symbol:         _ZN7rocprim17ROCPRIM_400000_NS6detail17trampoline_kernelINS0_14default_configENS1_27scan_by_key_config_selectorIssEEZZNS1_16scan_by_key_implILNS1_25lookback_scan_determinismE0ELb1ES3_N6thrust23THRUST_200600_302600_NS6detail15normal_iteratorINS9_10device_ptrIsEEEESE_SE_sNS9_4plusIvEENS9_8equal_toIsEEsEE10hipError_tPvRmT2_T3_T4_T5_mT6_T7_P12ihipStream_tbENKUlT_T0_E_clISt17integral_constantIbLb1EESY_IbLb0EEEEDaSU_SV_EUlSU_E_NS1_11comp_targetILNS1_3genE10ELNS1_11target_archE1200ELNS1_3gpuE4ELNS1_3repE0EEENS1_30default_config_static_selectorELNS0_4arch9wavefront6targetE0EEEvT1_.kd
    .uniform_work_group_size: 1
    .uses_dynamic_stack: false
    .vgpr_count:     0
    .vgpr_spill_count: 0
    .wavefront_size: 32
    .workgroup_processor_mode: 1
  - .args:
      - .offset:         0
        .size:           112
        .value_kind:     by_value
    .group_segment_fixed_size: 0
    .kernarg_segment_align: 8
    .kernarg_segment_size: 112
    .language:       OpenCL C
    .language_version:
      - 2
      - 0
    .max_flat_workgroup_size: 256
    .name:           _ZN7rocprim17ROCPRIM_400000_NS6detail17trampoline_kernelINS0_14default_configENS1_27scan_by_key_config_selectorIssEEZZNS1_16scan_by_key_implILNS1_25lookback_scan_determinismE0ELb1ES3_N6thrust23THRUST_200600_302600_NS6detail15normal_iteratorINS9_10device_ptrIsEEEESE_SE_sNS9_4plusIvEENS9_8equal_toIsEEsEE10hipError_tPvRmT2_T3_T4_T5_mT6_T7_P12ihipStream_tbENKUlT_T0_E_clISt17integral_constantIbLb1EESY_IbLb0EEEEDaSU_SV_EUlSU_E_NS1_11comp_targetILNS1_3genE9ELNS1_11target_archE1100ELNS1_3gpuE3ELNS1_3repE0EEENS1_30default_config_static_selectorELNS0_4arch9wavefront6targetE0EEEvT1_
    .private_segment_fixed_size: 0
    .sgpr_count:     0
    .sgpr_spill_count: 0
    .symbol:         _ZN7rocprim17ROCPRIM_400000_NS6detail17trampoline_kernelINS0_14default_configENS1_27scan_by_key_config_selectorIssEEZZNS1_16scan_by_key_implILNS1_25lookback_scan_determinismE0ELb1ES3_N6thrust23THRUST_200600_302600_NS6detail15normal_iteratorINS9_10device_ptrIsEEEESE_SE_sNS9_4plusIvEENS9_8equal_toIsEEsEE10hipError_tPvRmT2_T3_T4_T5_mT6_T7_P12ihipStream_tbENKUlT_T0_E_clISt17integral_constantIbLb1EESY_IbLb0EEEEDaSU_SV_EUlSU_E_NS1_11comp_targetILNS1_3genE9ELNS1_11target_archE1100ELNS1_3gpuE3ELNS1_3repE0EEENS1_30default_config_static_selectorELNS0_4arch9wavefront6targetE0EEEvT1_.kd
    .uniform_work_group_size: 1
    .uses_dynamic_stack: false
    .vgpr_count:     0
    .vgpr_spill_count: 0
    .wavefront_size: 32
    .workgroup_processor_mode: 1
  - .args:
      - .offset:         0
        .size:           112
        .value_kind:     by_value
    .group_segment_fixed_size: 0
    .kernarg_segment_align: 8
    .kernarg_segment_size: 112
    .language:       OpenCL C
    .language_version:
      - 2
      - 0
    .max_flat_workgroup_size: 64
    .name:           _ZN7rocprim17ROCPRIM_400000_NS6detail17trampoline_kernelINS0_14default_configENS1_27scan_by_key_config_selectorIssEEZZNS1_16scan_by_key_implILNS1_25lookback_scan_determinismE0ELb1ES3_N6thrust23THRUST_200600_302600_NS6detail15normal_iteratorINS9_10device_ptrIsEEEESE_SE_sNS9_4plusIvEENS9_8equal_toIsEEsEE10hipError_tPvRmT2_T3_T4_T5_mT6_T7_P12ihipStream_tbENKUlT_T0_E_clISt17integral_constantIbLb1EESY_IbLb0EEEEDaSU_SV_EUlSU_E_NS1_11comp_targetILNS1_3genE8ELNS1_11target_archE1030ELNS1_3gpuE2ELNS1_3repE0EEENS1_30default_config_static_selectorELNS0_4arch9wavefront6targetE0EEEvT1_
    .private_segment_fixed_size: 0
    .sgpr_count:     0
    .sgpr_spill_count: 0
    .symbol:         _ZN7rocprim17ROCPRIM_400000_NS6detail17trampoline_kernelINS0_14default_configENS1_27scan_by_key_config_selectorIssEEZZNS1_16scan_by_key_implILNS1_25lookback_scan_determinismE0ELb1ES3_N6thrust23THRUST_200600_302600_NS6detail15normal_iteratorINS9_10device_ptrIsEEEESE_SE_sNS9_4plusIvEENS9_8equal_toIsEEsEE10hipError_tPvRmT2_T3_T4_T5_mT6_T7_P12ihipStream_tbENKUlT_T0_E_clISt17integral_constantIbLb1EESY_IbLb0EEEEDaSU_SV_EUlSU_E_NS1_11comp_targetILNS1_3genE8ELNS1_11target_archE1030ELNS1_3gpuE2ELNS1_3repE0EEENS1_30default_config_static_selectorELNS0_4arch9wavefront6targetE0EEEvT1_.kd
    .uniform_work_group_size: 1
    .uses_dynamic_stack: false
    .vgpr_count:     0
    .vgpr_spill_count: 0
    .wavefront_size: 32
    .workgroup_processor_mode: 1
  - .args:
      - .offset:         0
        .size:           112
        .value_kind:     by_value
    .group_segment_fixed_size: 0
    .kernarg_segment_align: 8
    .kernarg_segment_size: 112
    .language:       OpenCL C
    .language_version:
      - 2
      - 0
    .max_flat_workgroup_size: 256
    .name:           _ZN7rocprim17ROCPRIM_400000_NS6detail17trampoline_kernelINS0_14default_configENS1_27scan_by_key_config_selectorIssEEZZNS1_16scan_by_key_implILNS1_25lookback_scan_determinismE0ELb1ES3_N6thrust23THRUST_200600_302600_NS6detail15normal_iteratorINS9_10device_ptrIsEEEESE_SE_sNS9_4plusIvEENS9_8equal_toIsEEsEE10hipError_tPvRmT2_T3_T4_T5_mT6_T7_P12ihipStream_tbENKUlT_T0_E_clISt17integral_constantIbLb0EESY_IbLb1EEEEDaSU_SV_EUlSU_E_NS1_11comp_targetILNS1_3genE0ELNS1_11target_archE4294967295ELNS1_3gpuE0ELNS1_3repE0EEENS1_30default_config_static_selectorELNS0_4arch9wavefront6targetE0EEEvT1_
    .private_segment_fixed_size: 0
    .sgpr_count:     0
    .sgpr_spill_count: 0
    .symbol:         _ZN7rocprim17ROCPRIM_400000_NS6detail17trampoline_kernelINS0_14default_configENS1_27scan_by_key_config_selectorIssEEZZNS1_16scan_by_key_implILNS1_25lookback_scan_determinismE0ELb1ES3_N6thrust23THRUST_200600_302600_NS6detail15normal_iteratorINS9_10device_ptrIsEEEESE_SE_sNS9_4plusIvEENS9_8equal_toIsEEsEE10hipError_tPvRmT2_T3_T4_T5_mT6_T7_P12ihipStream_tbENKUlT_T0_E_clISt17integral_constantIbLb0EESY_IbLb1EEEEDaSU_SV_EUlSU_E_NS1_11comp_targetILNS1_3genE0ELNS1_11target_archE4294967295ELNS1_3gpuE0ELNS1_3repE0EEENS1_30default_config_static_selectorELNS0_4arch9wavefront6targetE0EEEvT1_.kd
    .uniform_work_group_size: 1
    .uses_dynamic_stack: false
    .vgpr_count:     0
    .vgpr_spill_count: 0
    .wavefront_size: 32
    .workgroup_processor_mode: 1
  - .args:
      - .offset:         0
        .size:           112
        .value_kind:     by_value
    .group_segment_fixed_size: 0
    .kernarg_segment_align: 8
    .kernarg_segment_size: 112
    .language:       OpenCL C
    .language_version:
      - 2
      - 0
    .max_flat_workgroup_size: 128
    .name:           _ZN7rocprim17ROCPRIM_400000_NS6detail17trampoline_kernelINS0_14default_configENS1_27scan_by_key_config_selectorIssEEZZNS1_16scan_by_key_implILNS1_25lookback_scan_determinismE0ELb1ES3_N6thrust23THRUST_200600_302600_NS6detail15normal_iteratorINS9_10device_ptrIsEEEESE_SE_sNS9_4plusIvEENS9_8equal_toIsEEsEE10hipError_tPvRmT2_T3_T4_T5_mT6_T7_P12ihipStream_tbENKUlT_T0_E_clISt17integral_constantIbLb0EESY_IbLb1EEEEDaSU_SV_EUlSU_E_NS1_11comp_targetILNS1_3genE10ELNS1_11target_archE1201ELNS1_3gpuE5ELNS1_3repE0EEENS1_30default_config_static_selectorELNS0_4arch9wavefront6targetE0EEEvT1_
    .private_segment_fixed_size: 0
    .sgpr_count:     0
    .sgpr_spill_count: 0
    .symbol:         _ZN7rocprim17ROCPRIM_400000_NS6detail17trampoline_kernelINS0_14default_configENS1_27scan_by_key_config_selectorIssEEZZNS1_16scan_by_key_implILNS1_25lookback_scan_determinismE0ELb1ES3_N6thrust23THRUST_200600_302600_NS6detail15normal_iteratorINS9_10device_ptrIsEEEESE_SE_sNS9_4plusIvEENS9_8equal_toIsEEsEE10hipError_tPvRmT2_T3_T4_T5_mT6_T7_P12ihipStream_tbENKUlT_T0_E_clISt17integral_constantIbLb0EESY_IbLb1EEEEDaSU_SV_EUlSU_E_NS1_11comp_targetILNS1_3genE10ELNS1_11target_archE1201ELNS1_3gpuE5ELNS1_3repE0EEENS1_30default_config_static_selectorELNS0_4arch9wavefront6targetE0EEEvT1_.kd
    .uniform_work_group_size: 1
    .uses_dynamic_stack: false
    .vgpr_count:     0
    .vgpr_spill_count: 0
    .wavefront_size: 32
    .workgroup_processor_mode: 1
  - .args:
      - .offset:         0
        .size:           112
        .value_kind:     by_value
    .group_segment_fixed_size: 0
    .kernarg_segment_align: 8
    .kernarg_segment_size: 112
    .language:       OpenCL C
    .language_version:
      - 2
      - 0
    .max_flat_workgroup_size: 256
    .name:           _ZN7rocprim17ROCPRIM_400000_NS6detail17trampoline_kernelINS0_14default_configENS1_27scan_by_key_config_selectorIssEEZZNS1_16scan_by_key_implILNS1_25lookback_scan_determinismE0ELb1ES3_N6thrust23THRUST_200600_302600_NS6detail15normal_iteratorINS9_10device_ptrIsEEEESE_SE_sNS9_4plusIvEENS9_8equal_toIsEEsEE10hipError_tPvRmT2_T3_T4_T5_mT6_T7_P12ihipStream_tbENKUlT_T0_E_clISt17integral_constantIbLb0EESY_IbLb1EEEEDaSU_SV_EUlSU_E_NS1_11comp_targetILNS1_3genE5ELNS1_11target_archE942ELNS1_3gpuE9ELNS1_3repE0EEENS1_30default_config_static_selectorELNS0_4arch9wavefront6targetE0EEEvT1_
    .private_segment_fixed_size: 0
    .sgpr_count:     0
    .sgpr_spill_count: 0
    .symbol:         _ZN7rocprim17ROCPRIM_400000_NS6detail17trampoline_kernelINS0_14default_configENS1_27scan_by_key_config_selectorIssEEZZNS1_16scan_by_key_implILNS1_25lookback_scan_determinismE0ELb1ES3_N6thrust23THRUST_200600_302600_NS6detail15normal_iteratorINS9_10device_ptrIsEEEESE_SE_sNS9_4plusIvEENS9_8equal_toIsEEsEE10hipError_tPvRmT2_T3_T4_T5_mT6_T7_P12ihipStream_tbENKUlT_T0_E_clISt17integral_constantIbLb0EESY_IbLb1EEEEDaSU_SV_EUlSU_E_NS1_11comp_targetILNS1_3genE5ELNS1_11target_archE942ELNS1_3gpuE9ELNS1_3repE0EEENS1_30default_config_static_selectorELNS0_4arch9wavefront6targetE0EEEvT1_.kd
    .uniform_work_group_size: 1
    .uses_dynamic_stack: false
    .vgpr_count:     0
    .vgpr_spill_count: 0
    .wavefront_size: 32
    .workgroup_processor_mode: 1
  - .args:
      - .offset:         0
        .size:           112
        .value_kind:     by_value
    .group_segment_fixed_size: 0
    .kernarg_segment_align: 8
    .kernarg_segment_size: 112
    .language:       OpenCL C
    .language_version:
      - 2
      - 0
    .max_flat_workgroup_size: 256
    .name:           _ZN7rocprim17ROCPRIM_400000_NS6detail17trampoline_kernelINS0_14default_configENS1_27scan_by_key_config_selectorIssEEZZNS1_16scan_by_key_implILNS1_25lookback_scan_determinismE0ELb1ES3_N6thrust23THRUST_200600_302600_NS6detail15normal_iteratorINS9_10device_ptrIsEEEESE_SE_sNS9_4plusIvEENS9_8equal_toIsEEsEE10hipError_tPvRmT2_T3_T4_T5_mT6_T7_P12ihipStream_tbENKUlT_T0_E_clISt17integral_constantIbLb0EESY_IbLb1EEEEDaSU_SV_EUlSU_E_NS1_11comp_targetILNS1_3genE4ELNS1_11target_archE910ELNS1_3gpuE8ELNS1_3repE0EEENS1_30default_config_static_selectorELNS0_4arch9wavefront6targetE0EEEvT1_
    .private_segment_fixed_size: 0
    .sgpr_count:     0
    .sgpr_spill_count: 0
    .symbol:         _ZN7rocprim17ROCPRIM_400000_NS6detail17trampoline_kernelINS0_14default_configENS1_27scan_by_key_config_selectorIssEEZZNS1_16scan_by_key_implILNS1_25lookback_scan_determinismE0ELb1ES3_N6thrust23THRUST_200600_302600_NS6detail15normal_iteratorINS9_10device_ptrIsEEEESE_SE_sNS9_4plusIvEENS9_8equal_toIsEEsEE10hipError_tPvRmT2_T3_T4_T5_mT6_T7_P12ihipStream_tbENKUlT_T0_E_clISt17integral_constantIbLb0EESY_IbLb1EEEEDaSU_SV_EUlSU_E_NS1_11comp_targetILNS1_3genE4ELNS1_11target_archE910ELNS1_3gpuE8ELNS1_3repE0EEENS1_30default_config_static_selectorELNS0_4arch9wavefront6targetE0EEEvT1_.kd
    .uniform_work_group_size: 1
    .uses_dynamic_stack: false
    .vgpr_count:     0
    .vgpr_spill_count: 0
    .wavefront_size: 32
    .workgroup_processor_mode: 1
  - .args:
      - .offset:         0
        .size:           112
        .value_kind:     by_value
    .group_segment_fixed_size: 0
    .kernarg_segment_align: 8
    .kernarg_segment_size: 112
    .language:       OpenCL C
    .language_version:
      - 2
      - 0
    .max_flat_workgroup_size: 256
    .name:           _ZN7rocprim17ROCPRIM_400000_NS6detail17trampoline_kernelINS0_14default_configENS1_27scan_by_key_config_selectorIssEEZZNS1_16scan_by_key_implILNS1_25lookback_scan_determinismE0ELb1ES3_N6thrust23THRUST_200600_302600_NS6detail15normal_iteratorINS9_10device_ptrIsEEEESE_SE_sNS9_4plusIvEENS9_8equal_toIsEEsEE10hipError_tPvRmT2_T3_T4_T5_mT6_T7_P12ihipStream_tbENKUlT_T0_E_clISt17integral_constantIbLb0EESY_IbLb1EEEEDaSU_SV_EUlSU_E_NS1_11comp_targetILNS1_3genE3ELNS1_11target_archE908ELNS1_3gpuE7ELNS1_3repE0EEENS1_30default_config_static_selectorELNS0_4arch9wavefront6targetE0EEEvT1_
    .private_segment_fixed_size: 0
    .sgpr_count:     0
    .sgpr_spill_count: 0
    .symbol:         _ZN7rocprim17ROCPRIM_400000_NS6detail17trampoline_kernelINS0_14default_configENS1_27scan_by_key_config_selectorIssEEZZNS1_16scan_by_key_implILNS1_25lookback_scan_determinismE0ELb1ES3_N6thrust23THRUST_200600_302600_NS6detail15normal_iteratorINS9_10device_ptrIsEEEESE_SE_sNS9_4plusIvEENS9_8equal_toIsEEsEE10hipError_tPvRmT2_T3_T4_T5_mT6_T7_P12ihipStream_tbENKUlT_T0_E_clISt17integral_constantIbLb0EESY_IbLb1EEEEDaSU_SV_EUlSU_E_NS1_11comp_targetILNS1_3genE3ELNS1_11target_archE908ELNS1_3gpuE7ELNS1_3repE0EEENS1_30default_config_static_selectorELNS0_4arch9wavefront6targetE0EEEvT1_.kd
    .uniform_work_group_size: 1
    .uses_dynamic_stack: false
    .vgpr_count:     0
    .vgpr_spill_count: 0
    .wavefront_size: 32
    .workgroup_processor_mode: 1
  - .args:
      - .offset:         0
        .size:           112
        .value_kind:     by_value
    .group_segment_fixed_size: 0
    .kernarg_segment_align: 8
    .kernarg_segment_size: 112
    .language:       OpenCL C
    .language_version:
      - 2
      - 0
    .max_flat_workgroup_size: 64
    .name:           _ZN7rocprim17ROCPRIM_400000_NS6detail17trampoline_kernelINS0_14default_configENS1_27scan_by_key_config_selectorIssEEZZNS1_16scan_by_key_implILNS1_25lookback_scan_determinismE0ELb1ES3_N6thrust23THRUST_200600_302600_NS6detail15normal_iteratorINS9_10device_ptrIsEEEESE_SE_sNS9_4plusIvEENS9_8equal_toIsEEsEE10hipError_tPvRmT2_T3_T4_T5_mT6_T7_P12ihipStream_tbENKUlT_T0_E_clISt17integral_constantIbLb0EESY_IbLb1EEEEDaSU_SV_EUlSU_E_NS1_11comp_targetILNS1_3genE2ELNS1_11target_archE906ELNS1_3gpuE6ELNS1_3repE0EEENS1_30default_config_static_selectorELNS0_4arch9wavefront6targetE0EEEvT1_
    .private_segment_fixed_size: 0
    .sgpr_count:     0
    .sgpr_spill_count: 0
    .symbol:         _ZN7rocprim17ROCPRIM_400000_NS6detail17trampoline_kernelINS0_14default_configENS1_27scan_by_key_config_selectorIssEEZZNS1_16scan_by_key_implILNS1_25lookback_scan_determinismE0ELb1ES3_N6thrust23THRUST_200600_302600_NS6detail15normal_iteratorINS9_10device_ptrIsEEEESE_SE_sNS9_4plusIvEENS9_8equal_toIsEEsEE10hipError_tPvRmT2_T3_T4_T5_mT6_T7_P12ihipStream_tbENKUlT_T0_E_clISt17integral_constantIbLb0EESY_IbLb1EEEEDaSU_SV_EUlSU_E_NS1_11comp_targetILNS1_3genE2ELNS1_11target_archE906ELNS1_3gpuE6ELNS1_3repE0EEENS1_30default_config_static_selectorELNS0_4arch9wavefront6targetE0EEEvT1_.kd
    .uniform_work_group_size: 1
    .uses_dynamic_stack: false
    .vgpr_count:     0
    .vgpr_spill_count: 0
    .wavefront_size: 32
    .workgroup_processor_mode: 1
  - .args:
      - .offset:         0
        .size:           112
        .value_kind:     by_value
    .group_segment_fixed_size: 0
    .kernarg_segment_align: 8
    .kernarg_segment_size: 112
    .language:       OpenCL C
    .language_version:
      - 2
      - 0
    .max_flat_workgroup_size: 256
    .name:           _ZN7rocprim17ROCPRIM_400000_NS6detail17trampoline_kernelINS0_14default_configENS1_27scan_by_key_config_selectorIssEEZZNS1_16scan_by_key_implILNS1_25lookback_scan_determinismE0ELb1ES3_N6thrust23THRUST_200600_302600_NS6detail15normal_iteratorINS9_10device_ptrIsEEEESE_SE_sNS9_4plusIvEENS9_8equal_toIsEEsEE10hipError_tPvRmT2_T3_T4_T5_mT6_T7_P12ihipStream_tbENKUlT_T0_E_clISt17integral_constantIbLb0EESY_IbLb1EEEEDaSU_SV_EUlSU_E_NS1_11comp_targetILNS1_3genE10ELNS1_11target_archE1200ELNS1_3gpuE4ELNS1_3repE0EEENS1_30default_config_static_selectorELNS0_4arch9wavefront6targetE0EEEvT1_
    .private_segment_fixed_size: 0
    .sgpr_count:     0
    .sgpr_spill_count: 0
    .symbol:         _ZN7rocprim17ROCPRIM_400000_NS6detail17trampoline_kernelINS0_14default_configENS1_27scan_by_key_config_selectorIssEEZZNS1_16scan_by_key_implILNS1_25lookback_scan_determinismE0ELb1ES3_N6thrust23THRUST_200600_302600_NS6detail15normal_iteratorINS9_10device_ptrIsEEEESE_SE_sNS9_4plusIvEENS9_8equal_toIsEEsEE10hipError_tPvRmT2_T3_T4_T5_mT6_T7_P12ihipStream_tbENKUlT_T0_E_clISt17integral_constantIbLb0EESY_IbLb1EEEEDaSU_SV_EUlSU_E_NS1_11comp_targetILNS1_3genE10ELNS1_11target_archE1200ELNS1_3gpuE4ELNS1_3repE0EEENS1_30default_config_static_selectorELNS0_4arch9wavefront6targetE0EEEvT1_.kd
    .uniform_work_group_size: 1
    .uses_dynamic_stack: false
    .vgpr_count:     0
    .vgpr_spill_count: 0
    .wavefront_size: 32
    .workgroup_processor_mode: 1
  - .args:
      - .offset:         0
        .size:           112
        .value_kind:     by_value
    .group_segment_fixed_size: 0
    .kernarg_segment_align: 8
    .kernarg_segment_size: 112
    .language:       OpenCL C
    .language_version:
      - 2
      - 0
    .max_flat_workgroup_size: 256
    .name:           _ZN7rocprim17ROCPRIM_400000_NS6detail17trampoline_kernelINS0_14default_configENS1_27scan_by_key_config_selectorIssEEZZNS1_16scan_by_key_implILNS1_25lookback_scan_determinismE0ELb1ES3_N6thrust23THRUST_200600_302600_NS6detail15normal_iteratorINS9_10device_ptrIsEEEESE_SE_sNS9_4plusIvEENS9_8equal_toIsEEsEE10hipError_tPvRmT2_T3_T4_T5_mT6_T7_P12ihipStream_tbENKUlT_T0_E_clISt17integral_constantIbLb0EESY_IbLb1EEEEDaSU_SV_EUlSU_E_NS1_11comp_targetILNS1_3genE9ELNS1_11target_archE1100ELNS1_3gpuE3ELNS1_3repE0EEENS1_30default_config_static_selectorELNS0_4arch9wavefront6targetE0EEEvT1_
    .private_segment_fixed_size: 0
    .sgpr_count:     0
    .sgpr_spill_count: 0
    .symbol:         _ZN7rocprim17ROCPRIM_400000_NS6detail17trampoline_kernelINS0_14default_configENS1_27scan_by_key_config_selectorIssEEZZNS1_16scan_by_key_implILNS1_25lookback_scan_determinismE0ELb1ES3_N6thrust23THRUST_200600_302600_NS6detail15normal_iteratorINS9_10device_ptrIsEEEESE_SE_sNS9_4plusIvEENS9_8equal_toIsEEsEE10hipError_tPvRmT2_T3_T4_T5_mT6_T7_P12ihipStream_tbENKUlT_T0_E_clISt17integral_constantIbLb0EESY_IbLb1EEEEDaSU_SV_EUlSU_E_NS1_11comp_targetILNS1_3genE9ELNS1_11target_archE1100ELNS1_3gpuE3ELNS1_3repE0EEENS1_30default_config_static_selectorELNS0_4arch9wavefront6targetE0EEEvT1_.kd
    .uniform_work_group_size: 1
    .uses_dynamic_stack: false
    .vgpr_count:     0
    .vgpr_spill_count: 0
    .wavefront_size: 32
    .workgroup_processor_mode: 1
  - .args:
      - .offset:         0
        .size:           112
        .value_kind:     by_value
    .group_segment_fixed_size: 1536
    .kernarg_segment_align: 8
    .kernarg_segment_size: 112
    .language:       OpenCL C
    .language_version:
      - 2
      - 0
    .max_flat_workgroup_size: 64
    .name:           _ZN7rocprim17ROCPRIM_400000_NS6detail17trampoline_kernelINS0_14default_configENS1_27scan_by_key_config_selectorIssEEZZNS1_16scan_by_key_implILNS1_25lookback_scan_determinismE0ELb1ES3_N6thrust23THRUST_200600_302600_NS6detail15normal_iteratorINS9_10device_ptrIsEEEESE_SE_sNS9_4plusIvEENS9_8equal_toIsEEsEE10hipError_tPvRmT2_T3_T4_T5_mT6_T7_P12ihipStream_tbENKUlT_T0_E_clISt17integral_constantIbLb0EESY_IbLb1EEEEDaSU_SV_EUlSU_E_NS1_11comp_targetILNS1_3genE8ELNS1_11target_archE1030ELNS1_3gpuE2ELNS1_3repE0EEENS1_30default_config_static_selectorELNS0_4arch9wavefront6targetE0EEEvT1_
    .private_segment_fixed_size: 0
    .sgpr_count:     34
    .sgpr_spill_count: 0
    .symbol:         _ZN7rocprim17ROCPRIM_400000_NS6detail17trampoline_kernelINS0_14default_configENS1_27scan_by_key_config_selectorIssEEZZNS1_16scan_by_key_implILNS1_25lookback_scan_determinismE0ELb1ES3_N6thrust23THRUST_200600_302600_NS6detail15normal_iteratorINS9_10device_ptrIsEEEESE_SE_sNS9_4plusIvEENS9_8equal_toIsEEsEE10hipError_tPvRmT2_T3_T4_T5_mT6_T7_P12ihipStream_tbENKUlT_T0_E_clISt17integral_constantIbLb0EESY_IbLb1EEEEDaSU_SV_EUlSU_E_NS1_11comp_targetILNS1_3genE8ELNS1_11target_archE1030ELNS1_3gpuE2ELNS1_3repE0EEENS1_30default_config_static_selectorELNS0_4arch9wavefront6targetE0EEEvT1_.kd
    .uniform_work_group_size: 1
    .uses_dynamic_stack: false
    .vgpr_count:     44
    .vgpr_spill_count: 0
    .wavefront_size: 32
    .workgroup_processor_mode: 1
  - .args:
      - .offset:         0
        .size:           136
        .value_kind:     by_value
    .group_segment_fixed_size: 0
    .kernarg_segment_align: 8
    .kernarg_segment_size: 136
    .language:       OpenCL C
    .language_version:
      - 2
      - 0
    .max_flat_workgroup_size: 256
    .name:           _ZN7rocprim17ROCPRIM_400000_NS6detail17trampoline_kernelINS0_14default_configENS1_27scan_by_key_config_selectorIxxEEZZNS1_16scan_by_key_implILNS1_25lookback_scan_determinismE0ELb0ES3_N6thrust23THRUST_200600_302600_NS6detail15normal_iteratorINS9_10device_ptrIxEEEESE_SE_xNS9_4plusIxEE19head_flag_predicatexEE10hipError_tPvRmT2_T3_T4_T5_mT6_T7_P12ihipStream_tbENKUlT_T0_E_clISt17integral_constantIbLb0EESY_EEDaST_SU_EUlST_E_NS1_11comp_targetILNS1_3genE0ELNS1_11target_archE4294967295ELNS1_3gpuE0ELNS1_3repE0EEENS1_30default_config_static_selectorELNS0_4arch9wavefront6targetE0EEEvT1_
    .private_segment_fixed_size: 0
    .sgpr_count:     0
    .sgpr_spill_count: 0
    .symbol:         _ZN7rocprim17ROCPRIM_400000_NS6detail17trampoline_kernelINS0_14default_configENS1_27scan_by_key_config_selectorIxxEEZZNS1_16scan_by_key_implILNS1_25lookback_scan_determinismE0ELb0ES3_N6thrust23THRUST_200600_302600_NS6detail15normal_iteratorINS9_10device_ptrIxEEEESE_SE_xNS9_4plusIxEE19head_flag_predicatexEE10hipError_tPvRmT2_T3_T4_T5_mT6_T7_P12ihipStream_tbENKUlT_T0_E_clISt17integral_constantIbLb0EESY_EEDaST_SU_EUlST_E_NS1_11comp_targetILNS1_3genE0ELNS1_11target_archE4294967295ELNS1_3gpuE0ELNS1_3repE0EEENS1_30default_config_static_selectorELNS0_4arch9wavefront6targetE0EEEvT1_.kd
    .uniform_work_group_size: 1
    .uses_dynamic_stack: false
    .vgpr_count:     0
    .vgpr_spill_count: 0
    .wavefront_size: 32
    .workgroup_processor_mode: 1
  - .args:
      - .offset:         0
        .size:           136
        .value_kind:     by_value
    .group_segment_fixed_size: 0
    .kernarg_segment_align: 8
    .kernarg_segment_size: 136
    .language:       OpenCL C
    .language_version:
      - 2
      - 0
    .max_flat_workgroup_size: 256
    .name:           _ZN7rocprim17ROCPRIM_400000_NS6detail17trampoline_kernelINS0_14default_configENS1_27scan_by_key_config_selectorIxxEEZZNS1_16scan_by_key_implILNS1_25lookback_scan_determinismE0ELb0ES3_N6thrust23THRUST_200600_302600_NS6detail15normal_iteratorINS9_10device_ptrIxEEEESE_SE_xNS9_4plusIxEE19head_flag_predicatexEE10hipError_tPvRmT2_T3_T4_T5_mT6_T7_P12ihipStream_tbENKUlT_T0_E_clISt17integral_constantIbLb0EESY_EEDaST_SU_EUlST_E_NS1_11comp_targetILNS1_3genE10ELNS1_11target_archE1201ELNS1_3gpuE5ELNS1_3repE0EEENS1_30default_config_static_selectorELNS0_4arch9wavefront6targetE0EEEvT1_
    .private_segment_fixed_size: 0
    .sgpr_count:     0
    .sgpr_spill_count: 0
    .symbol:         _ZN7rocprim17ROCPRIM_400000_NS6detail17trampoline_kernelINS0_14default_configENS1_27scan_by_key_config_selectorIxxEEZZNS1_16scan_by_key_implILNS1_25lookback_scan_determinismE0ELb0ES3_N6thrust23THRUST_200600_302600_NS6detail15normal_iteratorINS9_10device_ptrIxEEEESE_SE_xNS9_4plusIxEE19head_flag_predicatexEE10hipError_tPvRmT2_T3_T4_T5_mT6_T7_P12ihipStream_tbENKUlT_T0_E_clISt17integral_constantIbLb0EESY_EEDaST_SU_EUlST_E_NS1_11comp_targetILNS1_3genE10ELNS1_11target_archE1201ELNS1_3gpuE5ELNS1_3repE0EEENS1_30default_config_static_selectorELNS0_4arch9wavefront6targetE0EEEvT1_.kd
    .uniform_work_group_size: 1
    .uses_dynamic_stack: false
    .vgpr_count:     0
    .vgpr_spill_count: 0
    .wavefront_size: 32
    .workgroup_processor_mode: 1
  - .args:
      - .offset:         0
        .size:           136
        .value_kind:     by_value
    .group_segment_fixed_size: 0
    .kernarg_segment_align: 8
    .kernarg_segment_size: 136
    .language:       OpenCL C
    .language_version:
      - 2
      - 0
    .max_flat_workgroup_size: 256
    .name:           _ZN7rocprim17ROCPRIM_400000_NS6detail17trampoline_kernelINS0_14default_configENS1_27scan_by_key_config_selectorIxxEEZZNS1_16scan_by_key_implILNS1_25lookback_scan_determinismE0ELb0ES3_N6thrust23THRUST_200600_302600_NS6detail15normal_iteratorINS9_10device_ptrIxEEEESE_SE_xNS9_4plusIxEE19head_flag_predicatexEE10hipError_tPvRmT2_T3_T4_T5_mT6_T7_P12ihipStream_tbENKUlT_T0_E_clISt17integral_constantIbLb0EESY_EEDaST_SU_EUlST_E_NS1_11comp_targetILNS1_3genE5ELNS1_11target_archE942ELNS1_3gpuE9ELNS1_3repE0EEENS1_30default_config_static_selectorELNS0_4arch9wavefront6targetE0EEEvT1_
    .private_segment_fixed_size: 0
    .sgpr_count:     0
    .sgpr_spill_count: 0
    .symbol:         _ZN7rocprim17ROCPRIM_400000_NS6detail17trampoline_kernelINS0_14default_configENS1_27scan_by_key_config_selectorIxxEEZZNS1_16scan_by_key_implILNS1_25lookback_scan_determinismE0ELb0ES3_N6thrust23THRUST_200600_302600_NS6detail15normal_iteratorINS9_10device_ptrIxEEEESE_SE_xNS9_4plusIxEE19head_flag_predicatexEE10hipError_tPvRmT2_T3_T4_T5_mT6_T7_P12ihipStream_tbENKUlT_T0_E_clISt17integral_constantIbLb0EESY_EEDaST_SU_EUlST_E_NS1_11comp_targetILNS1_3genE5ELNS1_11target_archE942ELNS1_3gpuE9ELNS1_3repE0EEENS1_30default_config_static_selectorELNS0_4arch9wavefront6targetE0EEEvT1_.kd
    .uniform_work_group_size: 1
    .uses_dynamic_stack: false
    .vgpr_count:     0
    .vgpr_spill_count: 0
    .wavefront_size: 32
    .workgroup_processor_mode: 1
  - .args:
      - .offset:         0
        .size:           136
        .value_kind:     by_value
    .group_segment_fixed_size: 0
    .kernarg_segment_align: 8
    .kernarg_segment_size: 136
    .language:       OpenCL C
    .language_version:
      - 2
      - 0
    .max_flat_workgroup_size: 64
    .name:           _ZN7rocprim17ROCPRIM_400000_NS6detail17trampoline_kernelINS0_14default_configENS1_27scan_by_key_config_selectorIxxEEZZNS1_16scan_by_key_implILNS1_25lookback_scan_determinismE0ELb0ES3_N6thrust23THRUST_200600_302600_NS6detail15normal_iteratorINS9_10device_ptrIxEEEESE_SE_xNS9_4plusIxEE19head_flag_predicatexEE10hipError_tPvRmT2_T3_T4_T5_mT6_T7_P12ihipStream_tbENKUlT_T0_E_clISt17integral_constantIbLb0EESY_EEDaST_SU_EUlST_E_NS1_11comp_targetILNS1_3genE4ELNS1_11target_archE910ELNS1_3gpuE8ELNS1_3repE0EEENS1_30default_config_static_selectorELNS0_4arch9wavefront6targetE0EEEvT1_
    .private_segment_fixed_size: 0
    .sgpr_count:     0
    .sgpr_spill_count: 0
    .symbol:         _ZN7rocprim17ROCPRIM_400000_NS6detail17trampoline_kernelINS0_14default_configENS1_27scan_by_key_config_selectorIxxEEZZNS1_16scan_by_key_implILNS1_25lookback_scan_determinismE0ELb0ES3_N6thrust23THRUST_200600_302600_NS6detail15normal_iteratorINS9_10device_ptrIxEEEESE_SE_xNS9_4plusIxEE19head_flag_predicatexEE10hipError_tPvRmT2_T3_T4_T5_mT6_T7_P12ihipStream_tbENKUlT_T0_E_clISt17integral_constantIbLb0EESY_EEDaST_SU_EUlST_E_NS1_11comp_targetILNS1_3genE4ELNS1_11target_archE910ELNS1_3gpuE8ELNS1_3repE0EEENS1_30default_config_static_selectorELNS0_4arch9wavefront6targetE0EEEvT1_.kd
    .uniform_work_group_size: 1
    .uses_dynamic_stack: false
    .vgpr_count:     0
    .vgpr_spill_count: 0
    .wavefront_size: 32
    .workgroup_processor_mode: 1
  - .args:
      - .offset:         0
        .size:           136
        .value_kind:     by_value
    .group_segment_fixed_size: 0
    .kernarg_segment_align: 8
    .kernarg_segment_size: 136
    .language:       OpenCL C
    .language_version:
      - 2
      - 0
    .max_flat_workgroup_size: 256
    .name:           _ZN7rocprim17ROCPRIM_400000_NS6detail17trampoline_kernelINS0_14default_configENS1_27scan_by_key_config_selectorIxxEEZZNS1_16scan_by_key_implILNS1_25lookback_scan_determinismE0ELb0ES3_N6thrust23THRUST_200600_302600_NS6detail15normal_iteratorINS9_10device_ptrIxEEEESE_SE_xNS9_4plusIxEE19head_flag_predicatexEE10hipError_tPvRmT2_T3_T4_T5_mT6_T7_P12ihipStream_tbENKUlT_T0_E_clISt17integral_constantIbLb0EESY_EEDaST_SU_EUlST_E_NS1_11comp_targetILNS1_3genE3ELNS1_11target_archE908ELNS1_3gpuE7ELNS1_3repE0EEENS1_30default_config_static_selectorELNS0_4arch9wavefront6targetE0EEEvT1_
    .private_segment_fixed_size: 0
    .sgpr_count:     0
    .sgpr_spill_count: 0
    .symbol:         _ZN7rocprim17ROCPRIM_400000_NS6detail17trampoline_kernelINS0_14default_configENS1_27scan_by_key_config_selectorIxxEEZZNS1_16scan_by_key_implILNS1_25lookback_scan_determinismE0ELb0ES3_N6thrust23THRUST_200600_302600_NS6detail15normal_iteratorINS9_10device_ptrIxEEEESE_SE_xNS9_4plusIxEE19head_flag_predicatexEE10hipError_tPvRmT2_T3_T4_T5_mT6_T7_P12ihipStream_tbENKUlT_T0_E_clISt17integral_constantIbLb0EESY_EEDaST_SU_EUlST_E_NS1_11comp_targetILNS1_3genE3ELNS1_11target_archE908ELNS1_3gpuE7ELNS1_3repE0EEENS1_30default_config_static_selectorELNS0_4arch9wavefront6targetE0EEEvT1_.kd
    .uniform_work_group_size: 1
    .uses_dynamic_stack: false
    .vgpr_count:     0
    .vgpr_spill_count: 0
    .wavefront_size: 32
    .workgroup_processor_mode: 1
  - .args:
      - .offset:         0
        .size:           136
        .value_kind:     by_value
    .group_segment_fixed_size: 0
    .kernarg_segment_align: 8
    .kernarg_segment_size: 136
    .language:       OpenCL C
    .language_version:
      - 2
      - 0
    .max_flat_workgroup_size: 256
    .name:           _ZN7rocprim17ROCPRIM_400000_NS6detail17trampoline_kernelINS0_14default_configENS1_27scan_by_key_config_selectorIxxEEZZNS1_16scan_by_key_implILNS1_25lookback_scan_determinismE0ELb0ES3_N6thrust23THRUST_200600_302600_NS6detail15normal_iteratorINS9_10device_ptrIxEEEESE_SE_xNS9_4plusIxEE19head_flag_predicatexEE10hipError_tPvRmT2_T3_T4_T5_mT6_T7_P12ihipStream_tbENKUlT_T0_E_clISt17integral_constantIbLb0EESY_EEDaST_SU_EUlST_E_NS1_11comp_targetILNS1_3genE2ELNS1_11target_archE906ELNS1_3gpuE6ELNS1_3repE0EEENS1_30default_config_static_selectorELNS0_4arch9wavefront6targetE0EEEvT1_
    .private_segment_fixed_size: 0
    .sgpr_count:     0
    .sgpr_spill_count: 0
    .symbol:         _ZN7rocprim17ROCPRIM_400000_NS6detail17trampoline_kernelINS0_14default_configENS1_27scan_by_key_config_selectorIxxEEZZNS1_16scan_by_key_implILNS1_25lookback_scan_determinismE0ELb0ES3_N6thrust23THRUST_200600_302600_NS6detail15normal_iteratorINS9_10device_ptrIxEEEESE_SE_xNS9_4plusIxEE19head_flag_predicatexEE10hipError_tPvRmT2_T3_T4_T5_mT6_T7_P12ihipStream_tbENKUlT_T0_E_clISt17integral_constantIbLb0EESY_EEDaST_SU_EUlST_E_NS1_11comp_targetILNS1_3genE2ELNS1_11target_archE906ELNS1_3gpuE6ELNS1_3repE0EEENS1_30default_config_static_selectorELNS0_4arch9wavefront6targetE0EEEvT1_.kd
    .uniform_work_group_size: 1
    .uses_dynamic_stack: false
    .vgpr_count:     0
    .vgpr_spill_count: 0
    .wavefront_size: 32
    .workgroup_processor_mode: 1
  - .args:
      - .offset:         0
        .size:           136
        .value_kind:     by_value
    .group_segment_fixed_size: 0
    .kernarg_segment_align: 8
    .kernarg_segment_size: 136
    .language:       OpenCL C
    .language_version:
      - 2
      - 0
    .max_flat_workgroup_size: 256
    .name:           _ZN7rocprim17ROCPRIM_400000_NS6detail17trampoline_kernelINS0_14default_configENS1_27scan_by_key_config_selectorIxxEEZZNS1_16scan_by_key_implILNS1_25lookback_scan_determinismE0ELb0ES3_N6thrust23THRUST_200600_302600_NS6detail15normal_iteratorINS9_10device_ptrIxEEEESE_SE_xNS9_4plusIxEE19head_flag_predicatexEE10hipError_tPvRmT2_T3_T4_T5_mT6_T7_P12ihipStream_tbENKUlT_T0_E_clISt17integral_constantIbLb0EESY_EEDaST_SU_EUlST_E_NS1_11comp_targetILNS1_3genE10ELNS1_11target_archE1200ELNS1_3gpuE4ELNS1_3repE0EEENS1_30default_config_static_selectorELNS0_4arch9wavefront6targetE0EEEvT1_
    .private_segment_fixed_size: 0
    .sgpr_count:     0
    .sgpr_spill_count: 0
    .symbol:         _ZN7rocprim17ROCPRIM_400000_NS6detail17trampoline_kernelINS0_14default_configENS1_27scan_by_key_config_selectorIxxEEZZNS1_16scan_by_key_implILNS1_25lookback_scan_determinismE0ELb0ES3_N6thrust23THRUST_200600_302600_NS6detail15normal_iteratorINS9_10device_ptrIxEEEESE_SE_xNS9_4plusIxEE19head_flag_predicatexEE10hipError_tPvRmT2_T3_T4_T5_mT6_T7_P12ihipStream_tbENKUlT_T0_E_clISt17integral_constantIbLb0EESY_EEDaST_SU_EUlST_E_NS1_11comp_targetILNS1_3genE10ELNS1_11target_archE1200ELNS1_3gpuE4ELNS1_3repE0EEENS1_30default_config_static_selectorELNS0_4arch9wavefront6targetE0EEEvT1_.kd
    .uniform_work_group_size: 1
    .uses_dynamic_stack: false
    .vgpr_count:     0
    .vgpr_spill_count: 0
    .wavefront_size: 32
    .workgroup_processor_mode: 1
  - .args:
      - .offset:         0
        .size:           136
        .value_kind:     by_value
    .group_segment_fixed_size: 0
    .kernarg_segment_align: 8
    .kernarg_segment_size: 136
    .language:       OpenCL C
    .language_version:
      - 2
      - 0
    .max_flat_workgroup_size: 256
    .name:           _ZN7rocprim17ROCPRIM_400000_NS6detail17trampoline_kernelINS0_14default_configENS1_27scan_by_key_config_selectorIxxEEZZNS1_16scan_by_key_implILNS1_25lookback_scan_determinismE0ELb0ES3_N6thrust23THRUST_200600_302600_NS6detail15normal_iteratorINS9_10device_ptrIxEEEESE_SE_xNS9_4plusIxEE19head_flag_predicatexEE10hipError_tPvRmT2_T3_T4_T5_mT6_T7_P12ihipStream_tbENKUlT_T0_E_clISt17integral_constantIbLb0EESY_EEDaST_SU_EUlST_E_NS1_11comp_targetILNS1_3genE9ELNS1_11target_archE1100ELNS1_3gpuE3ELNS1_3repE0EEENS1_30default_config_static_selectorELNS0_4arch9wavefront6targetE0EEEvT1_
    .private_segment_fixed_size: 0
    .sgpr_count:     0
    .sgpr_spill_count: 0
    .symbol:         _ZN7rocprim17ROCPRIM_400000_NS6detail17trampoline_kernelINS0_14default_configENS1_27scan_by_key_config_selectorIxxEEZZNS1_16scan_by_key_implILNS1_25lookback_scan_determinismE0ELb0ES3_N6thrust23THRUST_200600_302600_NS6detail15normal_iteratorINS9_10device_ptrIxEEEESE_SE_xNS9_4plusIxEE19head_flag_predicatexEE10hipError_tPvRmT2_T3_T4_T5_mT6_T7_P12ihipStream_tbENKUlT_T0_E_clISt17integral_constantIbLb0EESY_EEDaST_SU_EUlST_E_NS1_11comp_targetILNS1_3genE9ELNS1_11target_archE1100ELNS1_3gpuE3ELNS1_3repE0EEENS1_30default_config_static_selectorELNS0_4arch9wavefront6targetE0EEEvT1_.kd
    .uniform_work_group_size: 1
    .uses_dynamic_stack: false
    .vgpr_count:     0
    .vgpr_spill_count: 0
    .wavefront_size: 32
    .workgroup_processor_mode: 1
  - .args:
      - .offset:         0
        .size:           136
        .value_kind:     by_value
    .group_segment_fixed_size: 30720
    .kernarg_segment_align: 8
    .kernarg_segment_size: 136
    .language:       OpenCL C
    .language_version:
      - 2
      - 0
    .max_flat_workgroup_size: 256
    .name:           _ZN7rocprim17ROCPRIM_400000_NS6detail17trampoline_kernelINS0_14default_configENS1_27scan_by_key_config_selectorIxxEEZZNS1_16scan_by_key_implILNS1_25lookback_scan_determinismE0ELb0ES3_N6thrust23THRUST_200600_302600_NS6detail15normal_iteratorINS9_10device_ptrIxEEEESE_SE_xNS9_4plusIxEE19head_flag_predicatexEE10hipError_tPvRmT2_T3_T4_T5_mT6_T7_P12ihipStream_tbENKUlT_T0_E_clISt17integral_constantIbLb0EESY_EEDaST_SU_EUlST_E_NS1_11comp_targetILNS1_3genE8ELNS1_11target_archE1030ELNS1_3gpuE2ELNS1_3repE0EEENS1_30default_config_static_selectorELNS0_4arch9wavefront6targetE0EEEvT1_
    .private_segment_fixed_size: 0
    .sgpr_count:     53
    .sgpr_spill_count: 0
    .symbol:         _ZN7rocprim17ROCPRIM_400000_NS6detail17trampoline_kernelINS0_14default_configENS1_27scan_by_key_config_selectorIxxEEZZNS1_16scan_by_key_implILNS1_25lookback_scan_determinismE0ELb0ES3_N6thrust23THRUST_200600_302600_NS6detail15normal_iteratorINS9_10device_ptrIxEEEESE_SE_xNS9_4plusIxEE19head_flag_predicatexEE10hipError_tPvRmT2_T3_T4_T5_mT6_T7_P12ihipStream_tbENKUlT_T0_E_clISt17integral_constantIbLb0EESY_EEDaST_SU_EUlST_E_NS1_11comp_targetILNS1_3genE8ELNS1_11target_archE1030ELNS1_3gpuE2ELNS1_3repE0EEENS1_30default_config_static_selectorELNS0_4arch9wavefront6targetE0EEEvT1_.kd
    .uniform_work_group_size: 1
    .uses_dynamic_stack: false
    .vgpr_count:     100
    .vgpr_spill_count: 0
    .wavefront_size: 32
    .workgroup_processor_mode: 1
  - .args:
      - .offset:         0
        .size:           136
        .value_kind:     by_value
    .group_segment_fixed_size: 0
    .kernarg_segment_align: 8
    .kernarg_segment_size: 136
    .language:       OpenCL C
    .language_version:
      - 2
      - 0
    .max_flat_workgroup_size: 256
    .name:           _ZN7rocprim17ROCPRIM_400000_NS6detail17trampoline_kernelINS0_14default_configENS1_27scan_by_key_config_selectorIxxEEZZNS1_16scan_by_key_implILNS1_25lookback_scan_determinismE0ELb0ES3_N6thrust23THRUST_200600_302600_NS6detail15normal_iteratorINS9_10device_ptrIxEEEESE_SE_xNS9_4plusIxEE19head_flag_predicatexEE10hipError_tPvRmT2_T3_T4_T5_mT6_T7_P12ihipStream_tbENKUlT_T0_E_clISt17integral_constantIbLb1EESY_EEDaST_SU_EUlST_E_NS1_11comp_targetILNS1_3genE0ELNS1_11target_archE4294967295ELNS1_3gpuE0ELNS1_3repE0EEENS1_30default_config_static_selectorELNS0_4arch9wavefront6targetE0EEEvT1_
    .private_segment_fixed_size: 0
    .sgpr_count:     0
    .sgpr_spill_count: 0
    .symbol:         _ZN7rocprim17ROCPRIM_400000_NS6detail17trampoline_kernelINS0_14default_configENS1_27scan_by_key_config_selectorIxxEEZZNS1_16scan_by_key_implILNS1_25lookback_scan_determinismE0ELb0ES3_N6thrust23THRUST_200600_302600_NS6detail15normal_iteratorINS9_10device_ptrIxEEEESE_SE_xNS9_4plusIxEE19head_flag_predicatexEE10hipError_tPvRmT2_T3_T4_T5_mT6_T7_P12ihipStream_tbENKUlT_T0_E_clISt17integral_constantIbLb1EESY_EEDaST_SU_EUlST_E_NS1_11comp_targetILNS1_3genE0ELNS1_11target_archE4294967295ELNS1_3gpuE0ELNS1_3repE0EEENS1_30default_config_static_selectorELNS0_4arch9wavefront6targetE0EEEvT1_.kd
    .uniform_work_group_size: 1
    .uses_dynamic_stack: false
    .vgpr_count:     0
    .vgpr_spill_count: 0
    .wavefront_size: 32
    .workgroup_processor_mode: 1
  - .args:
      - .offset:         0
        .size:           136
        .value_kind:     by_value
    .group_segment_fixed_size: 0
    .kernarg_segment_align: 8
    .kernarg_segment_size: 136
    .language:       OpenCL C
    .language_version:
      - 2
      - 0
    .max_flat_workgroup_size: 256
    .name:           _ZN7rocprim17ROCPRIM_400000_NS6detail17trampoline_kernelINS0_14default_configENS1_27scan_by_key_config_selectorIxxEEZZNS1_16scan_by_key_implILNS1_25lookback_scan_determinismE0ELb0ES3_N6thrust23THRUST_200600_302600_NS6detail15normal_iteratorINS9_10device_ptrIxEEEESE_SE_xNS9_4plusIxEE19head_flag_predicatexEE10hipError_tPvRmT2_T3_T4_T5_mT6_T7_P12ihipStream_tbENKUlT_T0_E_clISt17integral_constantIbLb1EESY_EEDaST_SU_EUlST_E_NS1_11comp_targetILNS1_3genE10ELNS1_11target_archE1201ELNS1_3gpuE5ELNS1_3repE0EEENS1_30default_config_static_selectorELNS0_4arch9wavefront6targetE0EEEvT1_
    .private_segment_fixed_size: 0
    .sgpr_count:     0
    .sgpr_spill_count: 0
    .symbol:         _ZN7rocprim17ROCPRIM_400000_NS6detail17trampoline_kernelINS0_14default_configENS1_27scan_by_key_config_selectorIxxEEZZNS1_16scan_by_key_implILNS1_25lookback_scan_determinismE0ELb0ES3_N6thrust23THRUST_200600_302600_NS6detail15normal_iteratorINS9_10device_ptrIxEEEESE_SE_xNS9_4plusIxEE19head_flag_predicatexEE10hipError_tPvRmT2_T3_T4_T5_mT6_T7_P12ihipStream_tbENKUlT_T0_E_clISt17integral_constantIbLb1EESY_EEDaST_SU_EUlST_E_NS1_11comp_targetILNS1_3genE10ELNS1_11target_archE1201ELNS1_3gpuE5ELNS1_3repE0EEENS1_30default_config_static_selectorELNS0_4arch9wavefront6targetE0EEEvT1_.kd
    .uniform_work_group_size: 1
    .uses_dynamic_stack: false
    .vgpr_count:     0
    .vgpr_spill_count: 0
    .wavefront_size: 32
    .workgroup_processor_mode: 1
  - .args:
      - .offset:         0
        .size:           136
        .value_kind:     by_value
    .group_segment_fixed_size: 0
    .kernarg_segment_align: 8
    .kernarg_segment_size: 136
    .language:       OpenCL C
    .language_version:
      - 2
      - 0
    .max_flat_workgroup_size: 256
    .name:           _ZN7rocprim17ROCPRIM_400000_NS6detail17trampoline_kernelINS0_14default_configENS1_27scan_by_key_config_selectorIxxEEZZNS1_16scan_by_key_implILNS1_25lookback_scan_determinismE0ELb0ES3_N6thrust23THRUST_200600_302600_NS6detail15normal_iteratorINS9_10device_ptrIxEEEESE_SE_xNS9_4plusIxEE19head_flag_predicatexEE10hipError_tPvRmT2_T3_T4_T5_mT6_T7_P12ihipStream_tbENKUlT_T0_E_clISt17integral_constantIbLb1EESY_EEDaST_SU_EUlST_E_NS1_11comp_targetILNS1_3genE5ELNS1_11target_archE942ELNS1_3gpuE9ELNS1_3repE0EEENS1_30default_config_static_selectorELNS0_4arch9wavefront6targetE0EEEvT1_
    .private_segment_fixed_size: 0
    .sgpr_count:     0
    .sgpr_spill_count: 0
    .symbol:         _ZN7rocprim17ROCPRIM_400000_NS6detail17trampoline_kernelINS0_14default_configENS1_27scan_by_key_config_selectorIxxEEZZNS1_16scan_by_key_implILNS1_25lookback_scan_determinismE0ELb0ES3_N6thrust23THRUST_200600_302600_NS6detail15normal_iteratorINS9_10device_ptrIxEEEESE_SE_xNS9_4plusIxEE19head_flag_predicatexEE10hipError_tPvRmT2_T3_T4_T5_mT6_T7_P12ihipStream_tbENKUlT_T0_E_clISt17integral_constantIbLb1EESY_EEDaST_SU_EUlST_E_NS1_11comp_targetILNS1_3genE5ELNS1_11target_archE942ELNS1_3gpuE9ELNS1_3repE0EEENS1_30default_config_static_selectorELNS0_4arch9wavefront6targetE0EEEvT1_.kd
    .uniform_work_group_size: 1
    .uses_dynamic_stack: false
    .vgpr_count:     0
    .vgpr_spill_count: 0
    .wavefront_size: 32
    .workgroup_processor_mode: 1
  - .args:
      - .offset:         0
        .size:           136
        .value_kind:     by_value
    .group_segment_fixed_size: 0
    .kernarg_segment_align: 8
    .kernarg_segment_size: 136
    .language:       OpenCL C
    .language_version:
      - 2
      - 0
    .max_flat_workgroup_size: 64
    .name:           _ZN7rocprim17ROCPRIM_400000_NS6detail17trampoline_kernelINS0_14default_configENS1_27scan_by_key_config_selectorIxxEEZZNS1_16scan_by_key_implILNS1_25lookback_scan_determinismE0ELb0ES3_N6thrust23THRUST_200600_302600_NS6detail15normal_iteratorINS9_10device_ptrIxEEEESE_SE_xNS9_4plusIxEE19head_flag_predicatexEE10hipError_tPvRmT2_T3_T4_T5_mT6_T7_P12ihipStream_tbENKUlT_T0_E_clISt17integral_constantIbLb1EESY_EEDaST_SU_EUlST_E_NS1_11comp_targetILNS1_3genE4ELNS1_11target_archE910ELNS1_3gpuE8ELNS1_3repE0EEENS1_30default_config_static_selectorELNS0_4arch9wavefront6targetE0EEEvT1_
    .private_segment_fixed_size: 0
    .sgpr_count:     0
    .sgpr_spill_count: 0
    .symbol:         _ZN7rocprim17ROCPRIM_400000_NS6detail17trampoline_kernelINS0_14default_configENS1_27scan_by_key_config_selectorIxxEEZZNS1_16scan_by_key_implILNS1_25lookback_scan_determinismE0ELb0ES3_N6thrust23THRUST_200600_302600_NS6detail15normal_iteratorINS9_10device_ptrIxEEEESE_SE_xNS9_4plusIxEE19head_flag_predicatexEE10hipError_tPvRmT2_T3_T4_T5_mT6_T7_P12ihipStream_tbENKUlT_T0_E_clISt17integral_constantIbLb1EESY_EEDaST_SU_EUlST_E_NS1_11comp_targetILNS1_3genE4ELNS1_11target_archE910ELNS1_3gpuE8ELNS1_3repE0EEENS1_30default_config_static_selectorELNS0_4arch9wavefront6targetE0EEEvT1_.kd
    .uniform_work_group_size: 1
    .uses_dynamic_stack: false
    .vgpr_count:     0
    .vgpr_spill_count: 0
    .wavefront_size: 32
    .workgroup_processor_mode: 1
  - .args:
      - .offset:         0
        .size:           136
        .value_kind:     by_value
    .group_segment_fixed_size: 0
    .kernarg_segment_align: 8
    .kernarg_segment_size: 136
    .language:       OpenCL C
    .language_version:
      - 2
      - 0
    .max_flat_workgroup_size: 256
    .name:           _ZN7rocprim17ROCPRIM_400000_NS6detail17trampoline_kernelINS0_14default_configENS1_27scan_by_key_config_selectorIxxEEZZNS1_16scan_by_key_implILNS1_25lookback_scan_determinismE0ELb0ES3_N6thrust23THRUST_200600_302600_NS6detail15normal_iteratorINS9_10device_ptrIxEEEESE_SE_xNS9_4plusIxEE19head_flag_predicatexEE10hipError_tPvRmT2_T3_T4_T5_mT6_T7_P12ihipStream_tbENKUlT_T0_E_clISt17integral_constantIbLb1EESY_EEDaST_SU_EUlST_E_NS1_11comp_targetILNS1_3genE3ELNS1_11target_archE908ELNS1_3gpuE7ELNS1_3repE0EEENS1_30default_config_static_selectorELNS0_4arch9wavefront6targetE0EEEvT1_
    .private_segment_fixed_size: 0
    .sgpr_count:     0
    .sgpr_spill_count: 0
    .symbol:         _ZN7rocprim17ROCPRIM_400000_NS6detail17trampoline_kernelINS0_14default_configENS1_27scan_by_key_config_selectorIxxEEZZNS1_16scan_by_key_implILNS1_25lookback_scan_determinismE0ELb0ES3_N6thrust23THRUST_200600_302600_NS6detail15normal_iteratorINS9_10device_ptrIxEEEESE_SE_xNS9_4plusIxEE19head_flag_predicatexEE10hipError_tPvRmT2_T3_T4_T5_mT6_T7_P12ihipStream_tbENKUlT_T0_E_clISt17integral_constantIbLb1EESY_EEDaST_SU_EUlST_E_NS1_11comp_targetILNS1_3genE3ELNS1_11target_archE908ELNS1_3gpuE7ELNS1_3repE0EEENS1_30default_config_static_selectorELNS0_4arch9wavefront6targetE0EEEvT1_.kd
    .uniform_work_group_size: 1
    .uses_dynamic_stack: false
    .vgpr_count:     0
    .vgpr_spill_count: 0
    .wavefront_size: 32
    .workgroup_processor_mode: 1
  - .args:
      - .offset:         0
        .size:           136
        .value_kind:     by_value
    .group_segment_fixed_size: 0
    .kernarg_segment_align: 8
    .kernarg_segment_size: 136
    .language:       OpenCL C
    .language_version:
      - 2
      - 0
    .max_flat_workgroup_size: 256
    .name:           _ZN7rocprim17ROCPRIM_400000_NS6detail17trampoline_kernelINS0_14default_configENS1_27scan_by_key_config_selectorIxxEEZZNS1_16scan_by_key_implILNS1_25lookback_scan_determinismE0ELb0ES3_N6thrust23THRUST_200600_302600_NS6detail15normal_iteratorINS9_10device_ptrIxEEEESE_SE_xNS9_4plusIxEE19head_flag_predicatexEE10hipError_tPvRmT2_T3_T4_T5_mT6_T7_P12ihipStream_tbENKUlT_T0_E_clISt17integral_constantIbLb1EESY_EEDaST_SU_EUlST_E_NS1_11comp_targetILNS1_3genE2ELNS1_11target_archE906ELNS1_3gpuE6ELNS1_3repE0EEENS1_30default_config_static_selectorELNS0_4arch9wavefront6targetE0EEEvT1_
    .private_segment_fixed_size: 0
    .sgpr_count:     0
    .sgpr_spill_count: 0
    .symbol:         _ZN7rocprim17ROCPRIM_400000_NS6detail17trampoline_kernelINS0_14default_configENS1_27scan_by_key_config_selectorIxxEEZZNS1_16scan_by_key_implILNS1_25lookback_scan_determinismE0ELb0ES3_N6thrust23THRUST_200600_302600_NS6detail15normal_iteratorINS9_10device_ptrIxEEEESE_SE_xNS9_4plusIxEE19head_flag_predicatexEE10hipError_tPvRmT2_T3_T4_T5_mT6_T7_P12ihipStream_tbENKUlT_T0_E_clISt17integral_constantIbLb1EESY_EEDaST_SU_EUlST_E_NS1_11comp_targetILNS1_3genE2ELNS1_11target_archE906ELNS1_3gpuE6ELNS1_3repE0EEENS1_30default_config_static_selectorELNS0_4arch9wavefront6targetE0EEEvT1_.kd
    .uniform_work_group_size: 1
    .uses_dynamic_stack: false
    .vgpr_count:     0
    .vgpr_spill_count: 0
    .wavefront_size: 32
    .workgroup_processor_mode: 1
  - .args:
      - .offset:         0
        .size:           136
        .value_kind:     by_value
    .group_segment_fixed_size: 0
    .kernarg_segment_align: 8
    .kernarg_segment_size: 136
    .language:       OpenCL C
    .language_version:
      - 2
      - 0
    .max_flat_workgroup_size: 256
    .name:           _ZN7rocprim17ROCPRIM_400000_NS6detail17trampoline_kernelINS0_14default_configENS1_27scan_by_key_config_selectorIxxEEZZNS1_16scan_by_key_implILNS1_25lookback_scan_determinismE0ELb0ES3_N6thrust23THRUST_200600_302600_NS6detail15normal_iteratorINS9_10device_ptrIxEEEESE_SE_xNS9_4plusIxEE19head_flag_predicatexEE10hipError_tPvRmT2_T3_T4_T5_mT6_T7_P12ihipStream_tbENKUlT_T0_E_clISt17integral_constantIbLb1EESY_EEDaST_SU_EUlST_E_NS1_11comp_targetILNS1_3genE10ELNS1_11target_archE1200ELNS1_3gpuE4ELNS1_3repE0EEENS1_30default_config_static_selectorELNS0_4arch9wavefront6targetE0EEEvT1_
    .private_segment_fixed_size: 0
    .sgpr_count:     0
    .sgpr_spill_count: 0
    .symbol:         _ZN7rocprim17ROCPRIM_400000_NS6detail17trampoline_kernelINS0_14default_configENS1_27scan_by_key_config_selectorIxxEEZZNS1_16scan_by_key_implILNS1_25lookback_scan_determinismE0ELb0ES3_N6thrust23THRUST_200600_302600_NS6detail15normal_iteratorINS9_10device_ptrIxEEEESE_SE_xNS9_4plusIxEE19head_flag_predicatexEE10hipError_tPvRmT2_T3_T4_T5_mT6_T7_P12ihipStream_tbENKUlT_T0_E_clISt17integral_constantIbLb1EESY_EEDaST_SU_EUlST_E_NS1_11comp_targetILNS1_3genE10ELNS1_11target_archE1200ELNS1_3gpuE4ELNS1_3repE0EEENS1_30default_config_static_selectorELNS0_4arch9wavefront6targetE0EEEvT1_.kd
    .uniform_work_group_size: 1
    .uses_dynamic_stack: false
    .vgpr_count:     0
    .vgpr_spill_count: 0
    .wavefront_size: 32
    .workgroup_processor_mode: 1
  - .args:
      - .offset:         0
        .size:           136
        .value_kind:     by_value
    .group_segment_fixed_size: 0
    .kernarg_segment_align: 8
    .kernarg_segment_size: 136
    .language:       OpenCL C
    .language_version:
      - 2
      - 0
    .max_flat_workgroup_size: 256
    .name:           _ZN7rocprim17ROCPRIM_400000_NS6detail17trampoline_kernelINS0_14default_configENS1_27scan_by_key_config_selectorIxxEEZZNS1_16scan_by_key_implILNS1_25lookback_scan_determinismE0ELb0ES3_N6thrust23THRUST_200600_302600_NS6detail15normal_iteratorINS9_10device_ptrIxEEEESE_SE_xNS9_4plusIxEE19head_flag_predicatexEE10hipError_tPvRmT2_T3_T4_T5_mT6_T7_P12ihipStream_tbENKUlT_T0_E_clISt17integral_constantIbLb1EESY_EEDaST_SU_EUlST_E_NS1_11comp_targetILNS1_3genE9ELNS1_11target_archE1100ELNS1_3gpuE3ELNS1_3repE0EEENS1_30default_config_static_selectorELNS0_4arch9wavefront6targetE0EEEvT1_
    .private_segment_fixed_size: 0
    .sgpr_count:     0
    .sgpr_spill_count: 0
    .symbol:         _ZN7rocprim17ROCPRIM_400000_NS6detail17trampoline_kernelINS0_14default_configENS1_27scan_by_key_config_selectorIxxEEZZNS1_16scan_by_key_implILNS1_25lookback_scan_determinismE0ELb0ES3_N6thrust23THRUST_200600_302600_NS6detail15normal_iteratorINS9_10device_ptrIxEEEESE_SE_xNS9_4plusIxEE19head_flag_predicatexEE10hipError_tPvRmT2_T3_T4_T5_mT6_T7_P12ihipStream_tbENKUlT_T0_E_clISt17integral_constantIbLb1EESY_EEDaST_SU_EUlST_E_NS1_11comp_targetILNS1_3genE9ELNS1_11target_archE1100ELNS1_3gpuE3ELNS1_3repE0EEENS1_30default_config_static_selectorELNS0_4arch9wavefront6targetE0EEEvT1_.kd
    .uniform_work_group_size: 1
    .uses_dynamic_stack: false
    .vgpr_count:     0
    .vgpr_spill_count: 0
    .wavefront_size: 32
    .workgroup_processor_mode: 1
  - .args:
      - .offset:         0
        .size:           136
        .value_kind:     by_value
    .group_segment_fixed_size: 0
    .kernarg_segment_align: 8
    .kernarg_segment_size: 136
    .language:       OpenCL C
    .language_version:
      - 2
      - 0
    .max_flat_workgroup_size: 256
    .name:           _ZN7rocprim17ROCPRIM_400000_NS6detail17trampoline_kernelINS0_14default_configENS1_27scan_by_key_config_selectorIxxEEZZNS1_16scan_by_key_implILNS1_25lookback_scan_determinismE0ELb0ES3_N6thrust23THRUST_200600_302600_NS6detail15normal_iteratorINS9_10device_ptrIxEEEESE_SE_xNS9_4plusIxEE19head_flag_predicatexEE10hipError_tPvRmT2_T3_T4_T5_mT6_T7_P12ihipStream_tbENKUlT_T0_E_clISt17integral_constantIbLb1EESY_EEDaST_SU_EUlST_E_NS1_11comp_targetILNS1_3genE8ELNS1_11target_archE1030ELNS1_3gpuE2ELNS1_3repE0EEENS1_30default_config_static_selectorELNS0_4arch9wavefront6targetE0EEEvT1_
    .private_segment_fixed_size: 0
    .sgpr_count:     0
    .sgpr_spill_count: 0
    .symbol:         _ZN7rocprim17ROCPRIM_400000_NS6detail17trampoline_kernelINS0_14default_configENS1_27scan_by_key_config_selectorIxxEEZZNS1_16scan_by_key_implILNS1_25lookback_scan_determinismE0ELb0ES3_N6thrust23THRUST_200600_302600_NS6detail15normal_iteratorINS9_10device_ptrIxEEEESE_SE_xNS9_4plusIxEE19head_flag_predicatexEE10hipError_tPvRmT2_T3_T4_T5_mT6_T7_P12ihipStream_tbENKUlT_T0_E_clISt17integral_constantIbLb1EESY_EEDaST_SU_EUlST_E_NS1_11comp_targetILNS1_3genE8ELNS1_11target_archE1030ELNS1_3gpuE2ELNS1_3repE0EEENS1_30default_config_static_selectorELNS0_4arch9wavefront6targetE0EEEvT1_.kd
    .uniform_work_group_size: 1
    .uses_dynamic_stack: false
    .vgpr_count:     0
    .vgpr_spill_count: 0
    .wavefront_size: 32
    .workgroup_processor_mode: 1
  - .args:
      - .offset:         0
        .size:           136
        .value_kind:     by_value
    .group_segment_fixed_size: 0
    .kernarg_segment_align: 8
    .kernarg_segment_size: 136
    .language:       OpenCL C
    .language_version:
      - 2
      - 0
    .max_flat_workgroup_size: 256
    .name:           _ZN7rocprim17ROCPRIM_400000_NS6detail17trampoline_kernelINS0_14default_configENS1_27scan_by_key_config_selectorIxxEEZZNS1_16scan_by_key_implILNS1_25lookback_scan_determinismE0ELb0ES3_N6thrust23THRUST_200600_302600_NS6detail15normal_iteratorINS9_10device_ptrIxEEEESE_SE_xNS9_4plusIxEE19head_flag_predicatexEE10hipError_tPvRmT2_T3_T4_T5_mT6_T7_P12ihipStream_tbENKUlT_T0_E_clISt17integral_constantIbLb1EESX_IbLb0EEEEDaST_SU_EUlST_E_NS1_11comp_targetILNS1_3genE0ELNS1_11target_archE4294967295ELNS1_3gpuE0ELNS1_3repE0EEENS1_30default_config_static_selectorELNS0_4arch9wavefront6targetE0EEEvT1_
    .private_segment_fixed_size: 0
    .sgpr_count:     0
    .sgpr_spill_count: 0
    .symbol:         _ZN7rocprim17ROCPRIM_400000_NS6detail17trampoline_kernelINS0_14default_configENS1_27scan_by_key_config_selectorIxxEEZZNS1_16scan_by_key_implILNS1_25lookback_scan_determinismE0ELb0ES3_N6thrust23THRUST_200600_302600_NS6detail15normal_iteratorINS9_10device_ptrIxEEEESE_SE_xNS9_4plusIxEE19head_flag_predicatexEE10hipError_tPvRmT2_T3_T4_T5_mT6_T7_P12ihipStream_tbENKUlT_T0_E_clISt17integral_constantIbLb1EESX_IbLb0EEEEDaST_SU_EUlST_E_NS1_11comp_targetILNS1_3genE0ELNS1_11target_archE4294967295ELNS1_3gpuE0ELNS1_3repE0EEENS1_30default_config_static_selectorELNS0_4arch9wavefront6targetE0EEEvT1_.kd
    .uniform_work_group_size: 1
    .uses_dynamic_stack: false
    .vgpr_count:     0
    .vgpr_spill_count: 0
    .wavefront_size: 32
    .workgroup_processor_mode: 1
  - .args:
      - .offset:         0
        .size:           136
        .value_kind:     by_value
    .group_segment_fixed_size: 0
    .kernarg_segment_align: 8
    .kernarg_segment_size: 136
    .language:       OpenCL C
    .language_version:
      - 2
      - 0
    .max_flat_workgroup_size: 256
    .name:           _ZN7rocprim17ROCPRIM_400000_NS6detail17trampoline_kernelINS0_14default_configENS1_27scan_by_key_config_selectorIxxEEZZNS1_16scan_by_key_implILNS1_25lookback_scan_determinismE0ELb0ES3_N6thrust23THRUST_200600_302600_NS6detail15normal_iteratorINS9_10device_ptrIxEEEESE_SE_xNS9_4plusIxEE19head_flag_predicatexEE10hipError_tPvRmT2_T3_T4_T5_mT6_T7_P12ihipStream_tbENKUlT_T0_E_clISt17integral_constantIbLb1EESX_IbLb0EEEEDaST_SU_EUlST_E_NS1_11comp_targetILNS1_3genE10ELNS1_11target_archE1201ELNS1_3gpuE5ELNS1_3repE0EEENS1_30default_config_static_selectorELNS0_4arch9wavefront6targetE0EEEvT1_
    .private_segment_fixed_size: 0
    .sgpr_count:     0
    .sgpr_spill_count: 0
    .symbol:         _ZN7rocprim17ROCPRIM_400000_NS6detail17trampoline_kernelINS0_14default_configENS1_27scan_by_key_config_selectorIxxEEZZNS1_16scan_by_key_implILNS1_25lookback_scan_determinismE0ELb0ES3_N6thrust23THRUST_200600_302600_NS6detail15normal_iteratorINS9_10device_ptrIxEEEESE_SE_xNS9_4plusIxEE19head_flag_predicatexEE10hipError_tPvRmT2_T3_T4_T5_mT6_T7_P12ihipStream_tbENKUlT_T0_E_clISt17integral_constantIbLb1EESX_IbLb0EEEEDaST_SU_EUlST_E_NS1_11comp_targetILNS1_3genE10ELNS1_11target_archE1201ELNS1_3gpuE5ELNS1_3repE0EEENS1_30default_config_static_selectorELNS0_4arch9wavefront6targetE0EEEvT1_.kd
    .uniform_work_group_size: 1
    .uses_dynamic_stack: false
    .vgpr_count:     0
    .vgpr_spill_count: 0
    .wavefront_size: 32
    .workgroup_processor_mode: 1
  - .args:
      - .offset:         0
        .size:           136
        .value_kind:     by_value
    .group_segment_fixed_size: 0
    .kernarg_segment_align: 8
    .kernarg_segment_size: 136
    .language:       OpenCL C
    .language_version:
      - 2
      - 0
    .max_flat_workgroup_size: 256
    .name:           _ZN7rocprim17ROCPRIM_400000_NS6detail17trampoline_kernelINS0_14default_configENS1_27scan_by_key_config_selectorIxxEEZZNS1_16scan_by_key_implILNS1_25lookback_scan_determinismE0ELb0ES3_N6thrust23THRUST_200600_302600_NS6detail15normal_iteratorINS9_10device_ptrIxEEEESE_SE_xNS9_4plusIxEE19head_flag_predicatexEE10hipError_tPvRmT2_T3_T4_T5_mT6_T7_P12ihipStream_tbENKUlT_T0_E_clISt17integral_constantIbLb1EESX_IbLb0EEEEDaST_SU_EUlST_E_NS1_11comp_targetILNS1_3genE5ELNS1_11target_archE942ELNS1_3gpuE9ELNS1_3repE0EEENS1_30default_config_static_selectorELNS0_4arch9wavefront6targetE0EEEvT1_
    .private_segment_fixed_size: 0
    .sgpr_count:     0
    .sgpr_spill_count: 0
    .symbol:         _ZN7rocprim17ROCPRIM_400000_NS6detail17trampoline_kernelINS0_14default_configENS1_27scan_by_key_config_selectorIxxEEZZNS1_16scan_by_key_implILNS1_25lookback_scan_determinismE0ELb0ES3_N6thrust23THRUST_200600_302600_NS6detail15normal_iteratorINS9_10device_ptrIxEEEESE_SE_xNS9_4plusIxEE19head_flag_predicatexEE10hipError_tPvRmT2_T3_T4_T5_mT6_T7_P12ihipStream_tbENKUlT_T0_E_clISt17integral_constantIbLb1EESX_IbLb0EEEEDaST_SU_EUlST_E_NS1_11comp_targetILNS1_3genE5ELNS1_11target_archE942ELNS1_3gpuE9ELNS1_3repE0EEENS1_30default_config_static_selectorELNS0_4arch9wavefront6targetE0EEEvT1_.kd
    .uniform_work_group_size: 1
    .uses_dynamic_stack: false
    .vgpr_count:     0
    .vgpr_spill_count: 0
    .wavefront_size: 32
    .workgroup_processor_mode: 1
  - .args:
      - .offset:         0
        .size:           136
        .value_kind:     by_value
    .group_segment_fixed_size: 0
    .kernarg_segment_align: 8
    .kernarg_segment_size: 136
    .language:       OpenCL C
    .language_version:
      - 2
      - 0
    .max_flat_workgroup_size: 64
    .name:           _ZN7rocprim17ROCPRIM_400000_NS6detail17trampoline_kernelINS0_14default_configENS1_27scan_by_key_config_selectorIxxEEZZNS1_16scan_by_key_implILNS1_25lookback_scan_determinismE0ELb0ES3_N6thrust23THRUST_200600_302600_NS6detail15normal_iteratorINS9_10device_ptrIxEEEESE_SE_xNS9_4plusIxEE19head_flag_predicatexEE10hipError_tPvRmT2_T3_T4_T5_mT6_T7_P12ihipStream_tbENKUlT_T0_E_clISt17integral_constantIbLb1EESX_IbLb0EEEEDaST_SU_EUlST_E_NS1_11comp_targetILNS1_3genE4ELNS1_11target_archE910ELNS1_3gpuE8ELNS1_3repE0EEENS1_30default_config_static_selectorELNS0_4arch9wavefront6targetE0EEEvT1_
    .private_segment_fixed_size: 0
    .sgpr_count:     0
    .sgpr_spill_count: 0
    .symbol:         _ZN7rocprim17ROCPRIM_400000_NS6detail17trampoline_kernelINS0_14default_configENS1_27scan_by_key_config_selectorIxxEEZZNS1_16scan_by_key_implILNS1_25lookback_scan_determinismE0ELb0ES3_N6thrust23THRUST_200600_302600_NS6detail15normal_iteratorINS9_10device_ptrIxEEEESE_SE_xNS9_4plusIxEE19head_flag_predicatexEE10hipError_tPvRmT2_T3_T4_T5_mT6_T7_P12ihipStream_tbENKUlT_T0_E_clISt17integral_constantIbLb1EESX_IbLb0EEEEDaST_SU_EUlST_E_NS1_11comp_targetILNS1_3genE4ELNS1_11target_archE910ELNS1_3gpuE8ELNS1_3repE0EEENS1_30default_config_static_selectorELNS0_4arch9wavefront6targetE0EEEvT1_.kd
    .uniform_work_group_size: 1
    .uses_dynamic_stack: false
    .vgpr_count:     0
    .vgpr_spill_count: 0
    .wavefront_size: 32
    .workgroup_processor_mode: 1
  - .args:
      - .offset:         0
        .size:           136
        .value_kind:     by_value
    .group_segment_fixed_size: 0
    .kernarg_segment_align: 8
    .kernarg_segment_size: 136
    .language:       OpenCL C
    .language_version:
      - 2
      - 0
    .max_flat_workgroup_size: 256
    .name:           _ZN7rocprim17ROCPRIM_400000_NS6detail17trampoline_kernelINS0_14default_configENS1_27scan_by_key_config_selectorIxxEEZZNS1_16scan_by_key_implILNS1_25lookback_scan_determinismE0ELb0ES3_N6thrust23THRUST_200600_302600_NS6detail15normal_iteratorINS9_10device_ptrIxEEEESE_SE_xNS9_4plusIxEE19head_flag_predicatexEE10hipError_tPvRmT2_T3_T4_T5_mT6_T7_P12ihipStream_tbENKUlT_T0_E_clISt17integral_constantIbLb1EESX_IbLb0EEEEDaST_SU_EUlST_E_NS1_11comp_targetILNS1_3genE3ELNS1_11target_archE908ELNS1_3gpuE7ELNS1_3repE0EEENS1_30default_config_static_selectorELNS0_4arch9wavefront6targetE0EEEvT1_
    .private_segment_fixed_size: 0
    .sgpr_count:     0
    .sgpr_spill_count: 0
    .symbol:         _ZN7rocprim17ROCPRIM_400000_NS6detail17trampoline_kernelINS0_14default_configENS1_27scan_by_key_config_selectorIxxEEZZNS1_16scan_by_key_implILNS1_25lookback_scan_determinismE0ELb0ES3_N6thrust23THRUST_200600_302600_NS6detail15normal_iteratorINS9_10device_ptrIxEEEESE_SE_xNS9_4plusIxEE19head_flag_predicatexEE10hipError_tPvRmT2_T3_T4_T5_mT6_T7_P12ihipStream_tbENKUlT_T0_E_clISt17integral_constantIbLb1EESX_IbLb0EEEEDaST_SU_EUlST_E_NS1_11comp_targetILNS1_3genE3ELNS1_11target_archE908ELNS1_3gpuE7ELNS1_3repE0EEENS1_30default_config_static_selectorELNS0_4arch9wavefront6targetE0EEEvT1_.kd
    .uniform_work_group_size: 1
    .uses_dynamic_stack: false
    .vgpr_count:     0
    .vgpr_spill_count: 0
    .wavefront_size: 32
    .workgroup_processor_mode: 1
  - .args:
      - .offset:         0
        .size:           136
        .value_kind:     by_value
    .group_segment_fixed_size: 0
    .kernarg_segment_align: 8
    .kernarg_segment_size: 136
    .language:       OpenCL C
    .language_version:
      - 2
      - 0
    .max_flat_workgroup_size: 256
    .name:           _ZN7rocprim17ROCPRIM_400000_NS6detail17trampoline_kernelINS0_14default_configENS1_27scan_by_key_config_selectorIxxEEZZNS1_16scan_by_key_implILNS1_25lookback_scan_determinismE0ELb0ES3_N6thrust23THRUST_200600_302600_NS6detail15normal_iteratorINS9_10device_ptrIxEEEESE_SE_xNS9_4plusIxEE19head_flag_predicatexEE10hipError_tPvRmT2_T3_T4_T5_mT6_T7_P12ihipStream_tbENKUlT_T0_E_clISt17integral_constantIbLb1EESX_IbLb0EEEEDaST_SU_EUlST_E_NS1_11comp_targetILNS1_3genE2ELNS1_11target_archE906ELNS1_3gpuE6ELNS1_3repE0EEENS1_30default_config_static_selectorELNS0_4arch9wavefront6targetE0EEEvT1_
    .private_segment_fixed_size: 0
    .sgpr_count:     0
    .sgpr_spill_count: 0
    .symbol:         _ZN7rocprim17ROCPRIM_400000_NS6detail17trampoline_kernelINS0_14default_configENS1_27scan_by_key_config_selectorIxxEEZZNS1_16scan_by_key_implILNS1_25lookback_scan_determinismE0ELb0ES3_N6thrust23THRUST_200600_302600_NS6detail15normal_iteratorINS9_10device_ptrIxEEEESE_SE_xNS9_4plusIxEE19head_flag_predicatexEE10hipError_tPvRmT2_T3_T4_T5_mT6_T7_P12ihipStream_tbENKUlT_T0_E_clISt17integral_constantIbLb1EESX_IbLb0EEEEDaST_SU_EUlST_E_NS1_11comp_targetILNS1_3genE2ELNS1_11target_archE906ELNS1_3gpuE6ELNS1_3repE0EEENS1_30default_config_static_selectorELNS0_4arch9wavefront6targetE0EEEvT1_.kd
    .uniform_work_group_size: 1
    .uses_dynamic_stack: false
    .vgpr_count:     0
    .vgpr_spill_count: 0
    .wavefront_size: 32
    .workgroup_processor_mode: 1
  - .args:
      - .offset:         0
        .size:           136
        .value_kind:     by_value
    .group_segment_fixed_size: 0
    .kernarg_segment_align: 8
    .kernarg_segment_size: 136
    .language:       OpenCL C
    .language_version:
      - 2
      - 0
    .max_flat_workgroup_size: 256
    .name:           _ZN7rocprim17ROCPRIM_400000_NS6detail17trampoline_kernelINS0_14default_configENS1_27scan_by_key_config_selectorIxxEEZZNS1_16scan_by_key_implILNS1_25lookback_scan_determinismE0ELb0ES3_N6thrust23THRUST_200600_302600_NS6detail15normal_iteratorINS9_10device_ptrIxEEEESE_SE_xNS9_4plusIxEE19head_flag_predicatexEE10hipError_tPvRmT2_T3_T4_T5_mT6_T7_P12ihipStream_tbENKUlT_T0_E_clISt17integral_constantIbLb1EESX_IbLb0EEEEDaST_SU_EUlST_E_NS1_11comp_targetILNS1_3genE10ELNS1_11target_archE1200ELNS1_3gpuE4ELNS1_3repE0EEENS1_30default_config_static_selectorELNS0_4arch9wavefront6targetE0EEEvT1_
    .private_segment_fixed_size: 0
    .sgpr_count:     0
    .sgpr_spill_count: 0
    .symbol:         _ZN7rocprim17ROCPRIM_400000_NS6detail17trampoline_kernelINS0_14default_configENS1_27scan_by_key_config_selectorIxxEEZZNS1_16scan_by_key_implILNS1_25lookback_scan_determinismE0ELb0ES3_N6thrust23THRUST_200600_302600_NS6detail15normal_iteratorINS9_10device_ptrIxEEEESE_SE_xNS9_4plusIxEE19head_flag_predicatexEE10hipError_tPvRmT2_T3_T4_T5_mT6_T7_P12ihipStream_tbENKUlT_T0_E_clISt17integral_constantIbLb1EESX_IbLb0EEEEDaST_SU_EUlST_E_NS1_11comp_targetILNS1_3genE10ELNS1_11target_archE1200ELNS1_3gpuE4ELNS1_3repE0EEENS1_30default_config_static_selectorELNS0_4arch9wavefront6targetE0EEEvT1_.kd
    .uniform_work_group_size: 1
    .uses_dynamic_stack: false
    .vgpr_count:     0
    .vgpr_spill_count: 0
    .wavefront_size: 32
    .workgroup_processor_mode: 1
  - .args:
      - .offset:         0
        .size:           136
        .value_kind:     by_value
    .group_segment_fixed_size: 0
    .kernarg_segment_align: 8
    .kernarg_segment_size: 136
    .language:       OpenCL C
    .language_version:
      - 2
      - 0
    .max_flat_workgroup_size: 256
    .name:           _ZN7rocprim17ROCPRIM_400000_NS6detail17trampoline_kernelINS0_14default_configENS1_27scan_by_key_config_selectorIxxEEZZNS1_16scan_by_key_implILNS1_25lookback_scan_determinismE0ELb0ES3_N6thrust23THRUST_200600_302600_NS6detail15normal_iteratorINS9_10device_ptrIxEEEESE_SE_xNS9_4plusIxEE19head_flag_predicatexEE10hipError_tPvRmT2_T3_T4_T5_mT6_T7_P12ihipStream_tbENKUlT_T0_E_clISt17integral_constantIbLb1EESX_IbLb0EEEEDaST_SU_EUlST_E_NS1_11comp_targetILNS1_3genE9ELNS1_11target_archE1100ELNS1_3gpuE3ELNS1_3repE0EEENS1_30default_config_static_selectorELNS0_4arch9wavefront6targetE0EEEvT1_
    .private_segment_fixed_size: 0
    .sgpr_count:     0
    .sgpr_spill_count: 0
    .symbol:         _ZN7rocprim17ROCPRIM_400000_NS6detail17trampoline_kernelINS0_14default_configENS1_27scan_by_key_config_selectorIxxEEZZNS1_16scan_by_key_implILNS1_25lookback_scan_determinismE0ELb0ES3_N6thrust23THRUST_200600_302600_NS6detail15normal_iteratorINS9_10device_ptrIxEEEESE_SE_xNS9_4plusIxEE19head_flag_predicatexEE10hipError_tPvRmT2_T3_T4_T5_mT6_T7_P12ihipStream_tbENKUlT_T0_E_clISt17integral_constantIbLb1EESX_IbLb0EEEEDaST_SU_EUlST_E_NS1_11comp_targetILNS1_3genE9ELNS1_11target_archE1100ELNS1_3gpuE3ELNS1_3repE0EEENS1_30default_config_static_selectorELNS0_4arch9wavefront6targetE0EEEvT1_.kd
    .uniform_work_group_size: 1
    .uses_dynamic_stack: false
    .vgpr_count:     0
    .vgpr_spill_count: 0
    .wavefront_size: 32
    .workgroup_processor_mode: 1
  - .args:
      - .offset:         0
        .size:           136
        .value_kind:     by_value
    .group_segment_fixed_size: 0
    .kernarg_segment_align: 8
    .kernarg_segment_size: 136
    .language:       OpenCL C
    .language_version:
      - 2
      - 0
    .max_flat_workgroup_size: 256
    .name:           _ZN7rocprim17ROCPRIM_400000_NS6detail17trampoline_kernelINS0_14default_configENS1_27scan_by_key_config_selectorIxxEEZZNS1_16scan_by_key_implILNS1_25lookback_scan_determinismE0ELb0ES3_N6thrust23THRUST_200600_302600_NS6detail15normal_iteratorINS9_10device_ptrIxEEEESE_SE_xNS9_4plusIxEE19head_flag_predicatexEE10hipError_tPvRmT2_T3_T4_T5_mT6_T7_P12ihipStream_tbENKUlT_T0_E_clISt17integral_constantIbLb1EESX_IbLb0EEEEDaST_SU_EUlST_E_NS1_11comp_targetILNS1_3genE8ELNS1_11target_archE1030ELNS1_3gpuE2ELNS1_3repE0EEENS1_30default_config_static_selectorELNS0_4arch9wavefront6targetE0EEEvT1_
    .private_segment_fixed_size: 0
    .sgpr_count:     0
    .sgpr_spill_count: 0
    .symbol:         _ZN7rocprim17ROCPRIM_400000_NS6detail17trampoline_kernelINS0_14default_configENS1_27scan_by_key_config_selectorIxxEEZZNS1_16scan_by_key_implILNS1_25lookback_scan_determinismE0ELb0ES3_N6thrust23THRUST_200600_302600_NS6detail15normal_iteratorINS9_10device_ptrIxEEEESE_SE_xNS9_4plusIxEE19head_flag_predicatexEE10hipError_tPvRmT2_T3_T4_T5_mT6_T7_P12ihipStream_tbENKUlT_T0_E_clISt17integral_constantIbLb1EESX_IbLb0EEEEDaST_SU_EUlST_E_NS1_11comp_targetILNS1_3genE8ELNS1_11target_archE1030ELNS1_3gpuE2ELNS1_3repE0EEENS1_30default_config_static_selectorELNS0_4arch9wavefront6targetE0EEEvT1_.kd
    .uniform_work_group_size: 1
    .uses_dynamic_stack: false
    .vgpr_count:     0
    .vgpr_spill_count: 0
    .wavefront_size: 32
    .workgroup_processor_mode: 1
  - .args:
      - .offset:         0
        .size:           136
        .value_kind:     by_value
    .group_segment_fixed_size: 0
    .kernarg_segment_align: 8
    .kernarg_segment_size: 136
    .language:       OpenCL C
    .language_version:
      - 2
      - 0
    .max_flat_workgroup_size: 256
    .name:           _ZN7rocprim17ROCPRIM_400000_NS6detail17trampoline_kernelINS0_14default_configENS1_27scan_by_key_config_selectorIxxEEZZNS1_16scan_by_key_implILNS1_25lookback_scan_determinismE0ELb0ES3_N6thrust23THRUST_200600_302600_NS6detail15normal_iteratorINS9_10device_ptrIxEEEESE_SE_xNS9_4plusIxEE19head_flag_predicatexEE10hipError_tPvRmT2_T3_T4_T5_mT6_T7_P12ihipStream_tbENKUlT_T0_E_clISt17integral_constantIbLb0EESX_IbLb1EEEEDaST_SU_EUlST_E_NS1_11comp_targetILNS1_3genE0ELNS1_11target_archE4294967295ELNS1_3gpuE0ELNS1_3repE0EEENS1_30default_config_static_selectorELNS0_4arch9wavefront6targetE0EEEvT1_
    .private_segment_fixed_size: 0
    .sgpr_count:     0
    .sgpr_spill_count: 0
    .symbol:         _ZN7rocprim17ROCPRIM_400000_NS6detail17trampoline_kernelINS0_14default_configENS1_27scan_by_key_config_selectorIxxEEZZNS1_16scan_by_key_implILNS1_25lookback_scan_determinismE0ELb0ES3_N6thrust23THRUST_200600_302600_NS6detail15normal_iteratorINS9_10device_ptrIxEEEESE_SE_xNS9_4plusIxEE19head_flag_predicatexEE10hipError_tPvRmT2_T3_T4_T5_mT6_T7_P12ihipStream_tbENKUlT_T0_E_clISt17integral_constantIbLb0EESX_IbLb1EEEEDaST_SU_EUlST_E_NS1_11comp_targetILNS1_3genE0ELNS1_11target_archE4294967295ELNS1_3gpuE0ELNS1_3repE0EEENS1_30default_config_static_selectorELNS0_4arch9wavefront6targetE0EEEvT1_.kd
    .uniform_work_group_size: 1
    .uses_dynamic_stack: false
    .vgpr_count:     0
    .vgpr_spill_count: 0
    .wavefront_size: 32
    .workgroup_processor_mode: 1
  - .args:
      - .offset:         0
        .size:           136
        .value_kind:     by_value
    .group_segment_fixed_size: 0
    .kernarg_segment_align: 8
    .kernarg_segment_size: 136
    .language:       OpenCL C
    .language_version:
      - 2
      - 0
    .max_flat_workgroup_size: 256
    .name:           _ZN7rocprim17ROCPRIM_400000_NS6detail17trampoline_kernelINS0_14default_configENS1_27scan_by_key_config_selectorIxxEEZZNS1_16scan_by_key_implILNS1_25lookback_scan_determinismE0ELb0ES3_N6thrust23THRUST_200600_302600_NS6detail15normal_iteratorINS9_10device_ptrIxEEEESE_SE_xNS9_4plusIxEE19head_flag_predicatexEE10hipError_tPvRmT2_T3_T4_T5_mT6_T7_P12ihipStream_tbENKUlT_T0_E_clISt17integral_constantIbLb0EESX_IbLb1EEEEDaST_SU_EUlST_E_NS1_11comp_targetILNS1_3genE10ELNS1_11target_archE1201ELNS1_3gpuE5ELNS1_3repE0EEENS1_30default_config_static_selectorELNS0_4arch9wavefront6targetE0EEEvT1_
    .private_segment_fixed_size: 0
    .sgpr_count:     0
    .sgpr_spill_count: 0
    .symbol:         _ZN7rocprim17ROCPRIM_400000_NS6detail17trampoline_kernelINS0_14default_configENS1_27scan_by_key_config_selectorIxxEEZZNS1_16scan_by_key_implILNS1_25lookback_scan_determinismE0ELb0ES3_N6thrust23THRUST_200600_302600_NS6detail15normal_iteratorINS9_10device_ptrIxEEEESE_SE_xNS9_4plusIxEE19head_flag_predicatexEE10hipError_tPvRmT2_T3_T4_T5_mT6_T7_P12ihipStream_tbENKUlT_T0_E_clISt17integral_constantIbLb0EESX_IbLb1EEEEDaST_SU_EUlST_E_NS1_11comp_targetILNS1_3genE10ELNS1_11target_archE1201ELNS1_3gpuE5ELNS1_3repE0EEENS1_30default_config_static_selectorELNS0_4arch9wavefront6targetE0EEEvT1_.kd
    .uniform_work_group_size: 1
    .uses_dynamic_stack: false
    .vgpr_count:     0
    .vgpr_spill_count: 0
    .wavefront_size: 32
    .workgroup_processor_mode: 1
  - .args:
      - .offset:         0
        .size:           136
        .value_kind:     by_value
    .group_segment_fixed_size: 0
    .kernarg_segment_align: 8
    .kernarg_segment_size: 136
    .language:       OpenCL C
    .language_version:
      - 2
      - 0
    .max_flat_workgroup_size: 256
    .name:           _ZN7rocprim17ROCPRIM_400000_NS6detail17trampoline_kernelINS0_14default_configENS1_27scan_by_key_config_selectorIxxEEZZNS1_16scan_by_key_implILNS1_25lookback_scan_determinismE0ELb0ES3_N6thrust23THRUST_200600_302600_NS6detail15normal_iteratorINS9_10device_ptrIxEEEESE_SE_xNS9_4plusIxEE19head_flag_predicatexEE10hipError_tPvRmT2_T3_T4_T5_mT6_T7_P12ihipStream_tbENKUlT_T0_E_clISt17integral_constantIbLb0EESX_IbLb1EEEEDaST_SU_EUlST_E_NS1_11comp_targetILNS1_3genE5ELNS1_11target_archE942ELNS1_3gpuE9ELNS1_3repE0EEENS1_30default_config_static_selectorELNS0_4arch9wavefront6targetE0EEEvT1_
    .private_segment_fixed_size: 0
    .sgpr_count:     0
    .sgpr_spill_count: 0
    .symbol:         _ZN7rocprim17ROCPRIM_400000_NS6detail17trampoline_kernelINS0_14default_configENS1_27scan_by_key_config_selectorIxxEEZZNS1_16scan_by_key_implILNS1_25lookback_scan_determinismE0ELb0ES3_N6thrust23THRUST_200600_302600_NS6detail15normal_iteratorINS9_10device_ptrIxEEEESE_SE_xNS9_4plusIxEE19head_flag_predicatexEE10hipError_tPvRmT2_T3_T4_T5_mT6_T7_P12ihipStream_tbENKUlT_T0_E_clISt17integral_constantIbLb0EESX_IbLb1EEEEDaST_SU_EUlST_E_NS1_11comp_targetILNS1_3genE5ELNS1_11target_archE942ELNS1_3gpuE9ELNS1_3repE0EEENS1_30default_config_static_selectorELNS0_4arch9wavefront6targetE0EEEvT1_.kd
    .uniform_work_group_size: 1
    .uses_dynamic_stack: false
    .vgpr_count:     0
    .vgpr_spill_count: 0
    .wavefront_size: 32
    .workgroup_processor_mode: 1
  - .args:
      - .offset:         0
        .size:           136
        .value_kind:     by_value
    .group_segment_fixed_size: 0
    .kernarg_segment_align: 8
    .kernarg_segment_size: 136
    .language:       OpenCL C
    .language_version:
      - 2
      - 0
    .max_flat_workgroup_size: 64
    .name:           _ZN7rocprim17ROCPRIM_400000_NS6detail17trampoline_kernelINS0_14default_configENS1_27scan_by_key_config_selectorIxxEEZZNS1_16scan_by_key_implILNS1_25lookback_scan_determinismE0ELb0ES3_N6thrust23THRUST_200600_302600_NS6detail15normal_iteratorINS9_10device_ptrIxEEEESE_SE_xNS9_4plusIxEE19head_flag_predicatexEE10hipError_tPvRmT2_T3_T4_T5_mT6_T7_P12ihipStream_tbENKUlT_T0_E_clISt17integral_constantIbLb0EESX_IbLb1EEEEDaST_SU_EUlST_E_NS1_11comp_targetILNS1_3genE4ELNS1_11target_archE910ELNS1_3gpuE8ELNS1_3repE0EEENS1_30default_config_static_selectorELNS0_4arch9wavefront6targetE0EEEvT1_
    .private_segment_fixed_size: 0
    .sgpr_count:     0
    .sgpr_spill_count: 0
    .symbol:         _ZN7rocprim17ROCPRIM_400000_NS6detail17trampoline_kernelINS0_14default_configENS1_27scan_by_key_config_selectorIxxEEZZNS1_16scan_by_key_implILNS1_25lookback_scan_determinismE0ELb0ES3_N6thrust23THRUST_200600_302600_NS6detail15normal_iteratorINS9_10device_ptrIxEEEESE_SE_xNS9_4plusIxEE19head_flag_predicatexEE10hipError_tPvRmT2_T3_T4_T5_mT6_T7_P12ihipStream_tbENKUlT_T0_E_clISt17integral_constantIbLb0EESX_IbLb1EEEEDaST_SU_EUlST_E_NS1_11comp_targetILNS1_3genE4ELNS1_11target_archE910ELNS1_3gpuE8ELNS1_3repE0EEENS1_30default_config_static_selectorELNS0_4arch9wavefront6targetE0EEEvT1_.kd
    .uniform_work_group_size: 1
    .uses_dynamic_stack: false
    .vgpr_count:     0
    .vgpr_spill_count: 0
    .wavefront_size: 32
    .workgroup_processor_mode: 1
  - .args:
      - .offset:         0
        .size:           136
        .value_kind:     by_value
    .group_segment_fixed_size: 0
    .kernarg_segment_align: 8
    .kernarg_segment_size: 136
    .language:       OpenCL C
    .language_version:
      - 2
      - 0
    .max_flat_workgroup_size: 256
    .name:           _ZN7rocprim17ROCPRIM_400000_NS6detail17trampoline_kernelINS0_14default_configENS1_27scan_by_key_config_selectorIxxEEZZNS1_16scan_by_key_implILNS1_25lookback_scan_determinismE0ELb0ES3_N6thrust23THRUST_200600_302600_NS6detail15normal_iteratorINS9_10device_ptrIxEEEESE_SE_xNS9_4plusIxEE19head_flag_predicatexEE10hipError_tPvRmT2_T3_T4_T5_mT6_T7_P12ihipStream_tbENKUlT_T0_E_clISt17integral_constantIbLb0EESX_IbLb1EEEEDaST_SU_EUlST_E_NS1_11comp_targetILNS1_3genE3ELNS1_11target_archE908ELNS1_3gpuE7ELNS1_3repE0EEENS1_30default_config_static_selectorELNS0_4arch9wavefront6targetE0EEEvT1_
    .private_segment_fixed_size: 0
    .sgpr_count:     0
    .sgpr_spill_count: 0
    .symbol:         _ZN7rocprim17ROCPRIM_400000_NS6detail17trampoline_kernelINS0_14default_configENS1_27scan_by_key_config_selectorIxxEEZZNS1_16scan_by_key_implILNS1_25lookback_scan_determinismE0ELb0ES3_N6thrust23THRUST_200600_302600_NS6detail15normal_iteratorINS9_10device_ptrIxEEEESE_SE_xNS9_4plusIxEE19head_flag_predicatexEE10hipError_tPvRmT2_T3_T4_T5_mT6_T7_P12ihipStream_tbENKUlT_T0_E_clISt17integral_constantIbLb0EESX_IbLb1EEEEDaST_SU_EUlST_E_NS1_11comp_targetILNS1_3genE3ELNS1_11target_archE908ELNS1_3gpuE7ELNS1_3repE0EEENS1_30default_config_static_selectorELNS0_4arch9wavefront6targetE0EEEvT1_.kd
    .uniform_work_group_size: 1
    .uses_dynamic_stack: false
    .vgpr_count:     0
    .vgpr_spill_count: 0
    .wavefront_size: 32
    .workgroup_processor_mode: 1
  - .args:
      - .offset:         0
        .size:           136
        .value_kind:     by_value
    .group_segment_fixed_size: 0
    .kernarg_segment_align: 8
    .kernarg_segment_size: 136
    .language:       OpenCL C
    .language_version:
      - 2
      - 0
    .max_flat_workgroup_size: 256
    .name:           _ZN7rocprim17ROCPRIM_400000_NS6detail17trampoline_kernelINS0_14default_configENS1_27scan_by_key_config_selectorIxxEEZZNS1_16scan_by_key_implILNS1_25lookback_scan_determinismE0ELb0ES3_N6thrust23THRUST_200600_302600_NS6detail15normal_iteratorINS9_10device_ptrIxEEEESE_SE_xNS9_4plusIxEE19head_flag_predicatexEE10hipError_tPvRmT2_T3_T4_T5_mT6_T7_P12ihipStream_tbENKUlT_T0_E_clISt17integral_constantIbLb0EESX_IbLb1EEEEDaST_SU_EUlST_E_NS1_11comp_targetILNS1_3genE2ELNS1_11target_archE906ELNS1_3gpuE6ELNS1_3repE0EEENS1_30default_config_static_selectorELNS0_4arch9wavefront6targetE0EEEvT1_
    .private_segment_fixed_size: 0
    .sgpr_count:     0
    .sgpr_spill_count: 0
    .symbol:         _ZN7rocprim17ROCPRIM_400000_NS6detail17trampoline_kernelINS0_14default_configENS1_27scan_by_key_config_selectorIxxEEZZNS1_16scan_by_key_implILNS1_25lookback_scan_determinismE0ELb0ES3_N6thrust23THRUST_200600_302600_NS6detail15normal_iteratorINS9_10device_ptrIxEEEESE_SE_xNS9_4plusIxEE19head_flag_predicatexEE10hipError_tPvRmT2_T3_T4_T5_mT6_T7_P12ihipStream_tbENKUlT_T0_E_clISt17integral_constantIbLb0EESX_IbLb1EEEEDaST_SU_EUlST_E_NS1_11comp_targetILNS1_3genE2ELNS1_11target_archE906ELNS1_3gpuE6ELNS1_3repE0EEENS1_30default_config_static_selectorELNS0_4arch9wavefront6targetE0EEEvT1_.kd
    .uniform_work_group_size: 1
    .uses_dynamic_stack: false
    .vgpr_count:     0
    .vgpr_spill_count: 0
    .wavefront_size: 32
    .workgroup_processor_mode: 1
  - .args:
      - .offset:         0
        .size:           136
        .value_kind:     by_value
    .group_segment_fixed_size: 0
    .kernarg_segment_align: 8
    .kernarg_segment_size: 136
    .language:       OpenCL C
    .language_version:
      - 2
      - 0
    .max_flat_workgroup_size: 256
    .name:           _ZN7rocprim17ROCPRIM_400000_NS6detail17trampoline_kernelINS0_14default_configENS1_27scan_by_key_config_selectorIxxEEZZNS1_16scan_by_key_implILNS1_25lookback_scan_determinismE0ELb0ES3_N6thrust23THRUST_200600_302600_NS6detail15normal_iteratorINS9_10device_ptrIxEEEESE_SE_xNS9_4plusIxEE19head_flag_predicatexEE10hipError_tPvRmT2_T3_T4_T5_mT6_T7_P12ihipStream_tbENKUlT_T0_E_clISt17integral_constantIbLb0EESX_IbLb1EEEEDaST_SU_EUlST_E_NS1_11comp_targetILNS1_3genE10ELNS1_11target_archE1200ELNS1_3gpuE4ELNS1_3repE0EEENS1_30default_config_static_selectorELNS0_4arch9wavefront6targetE0EEEvT1_
    .private_segment_fixed_size: 0
    .sgpr_count:     0
    .sgpr_spill_count: 0
    .symbol:         _ZN7rocprim17ROCPRIM_400000_NS6detail17trampoline_kernelINS0_14default_configENS1_27scan_by_key_config_selectorIxxEEZZNS1_16scan_by_key_implILNS1_25lookback_scan_determinismE0ELb0ES3_N6thrust23THRUST_200600_302600_NS6detail15normal_iteratorINS9_10device_ptrIxEEEESE_SE_xNS9_4plusIxEE19head_flag_predicatexEE10hipError_tPvRmT2_T3_T4_T5_mT6_T7_P12ihipStream_tbENKUlT_T0_E_clISt17integral_constantIbLb0EESX_IbLb1EEEEDaST_SU_EUlST_E_NS1_11comp_targetILNS1_3genE10ELNS1_11target_archE1200ELNS1_3gpuE4ELNS1_3repE0EEENS1_30default_config_static_selectorELNS0_4arch9wavefront6targetE0EEEvT1_.kd
    .uniform_work_group_size: 1
    .uses_dynamic_stack: false
    .vgpr_count:     0
    .vgpr_spill_count: 0
    .wavefront_size: 32
    .workgroup_processor_mode: 1
  - .args:
      - .offset:         0
        .size:           136
        .value_kind:     by_value
    .group_segment_fixed_size: 0
    .kernarg_segment_align: 8
    .kernarg_segment_size: 136
    .language:       OpenCL C
    .language_version:
      - 2
      - 0
    .max_flat_workgroup_size: 256
    .name:           _ZN7rocprim17ROCPRIM_400000_NS6detail17trampoline_kernelINS0_14default_configENS1_27scan_by_key_config_selectorIxxEEZZNS1_16scan_by_key_implILNS1_25lookback_scan_determinismE0ELb0ES3_N6thrust23THRUST_200600_302600_NS6detail15normal_iteratorINS9_10device_ptrIxEEEESE_SE_xNS9_4plusIxEE19head_flag_predicatexEE10hipError_tPvRmT2_T3_T4_T5_mT6_T7_P12ihipStream_tbENKUlT_T0_E_clISt17integral_constantIbLb0EESX_IbLb1EEEEDaST_SU_EUlST_E_NS1_11comp_targetILNS1_3genE9ELNS1_11target_archE1100ELNS1_3gpuE3ELNS1_3repE0EEENS1_30default_config_static_selectorELNS0_4arch9wavefront6targetE0EEEvT1_
    .private_segment_fixed_size: 0
    .sgpr_count:     0
    .sgpr_spill_count: 0
    .symbol:         _ZN7rocprim17ROCPRIM_400000_NS6detail17trampoline_kernelINS0_14default_configENS1_27scan_by_key_config_selectorIxxEEZZNS1_16scan_by_key_implILNS1_25lookback_scan_determinismE0ELb0ES3_N6thrust23THRUST_200600_302600_NS6detail15normal_iteratorINS9_10device_ptrIxEEEESE_SE_xNS9_4plusIxEE19head_flag_predicatexEE10hipError_tPvRmT2_T3_T4_T5_mT6_T7_P12ihipStream_tbENKUlT_T0_E_clISt17integral_constantIbLb0EESX_IbLb1EEEEDaST_SU_EUlST_E_NS1_11comp_targetILNS1_3genE9ELNS1_11target_archE1100ELNS1_3gpuE3ELNS1_3repE0EEENS1_30default_config_static_selectorELNS0_4arch9wavefront6targetE0EEEvT1_.kd
    .uniform_work_group_size: 1
    .uses_dynamic_stack: false
    .vgpr_count:     0
    .vgpr_spill_count: 0
    .wavefront_size: 32
    .workgroup_processor_mode: 1
  - .args:
      - .offset:         0
        .size:           136
        .value_kind:     by_value
    .group_segment_fixed_size: 30720
    .kernarg_segment_align: 8
    .kernarg_segment_size: 136
    .language:       OpenCL C
    .language_version:
      - 2
      - 0
    .max_flat_workgroup_size: 256
    .name:           _ZN7rocprim17ROCPRIM_400000_NS6detail17trampoline_kernelINS0_14default_configENS1_27scan_by_key_config_selectorIxxEEZZNS1_16scan_by_key_implILNS1_25lookback_scan_determinismE0ELb0ES3_N6thrust23THRUST_200600_302600_NS6detail15normal_iteratorINS9_10device_ptrIxEEEESE_SE_xNS9_4plusIxEE19head_flag_predicatexEE10hipError_tPvRmT2_T3_T4_T5_mT6_T7_P12ihipStream_tbENKUlT_T0_E_clISt17integral_constantIbLb0EESX_IbLb1EEEEDaST_SU_EUlST_E_NS1_11comp_targetILNS1_3genE8ELNS1_11target_archE1030ELNS1_3gpuE2ELNS1_3repE0EEENS1_30default_config_static_selectorELNS0_4arch9wavefront6targetE0EEEvT1_
    .private_segment_fixed_size: 0
    .sgpr_count:     55
    .sgpr_spill_count: 0
    .symbol:         _ZN7rocprim17ROCPRIM_400000_NS6detail17trampoline_kernelINS0_14default_configENS1_27scan_by_key_config_selectorIxxEEZZNS1_16scan_by_key_implILNS1_25lookback_scan_determinismE0ELb0ES3_N6thrust23THRUST_200600_302600_NS6detail15normal_iteratorINS9_10device_ptrIxEEEESE_SE_xNS9_4plusIxEE19head_flag_predicatexEE10hipError_tPvRmT2_T3_T4_T5_mT6_T7_P12ihipStream_tbENKUlT_T0_E_clISt17integral_constantIbLb0EESX_IbLb1EEEEDaST_SU_EUlST_E_NS1_11comp_targetILNS1_3genE8ELNS1_11target_archE1030ELNS1_3gpuE2ELNS1_3repE0EEENS1_30default_config_static_selectorELNS0_4arch9wavefront6targetE0EEEvT1_.kd
    .uniform_work_group_size: 1
    .uses_dynamic_stack: false
    .vgpr_count:     100
    .vgpr_spill_count: 0
    .wavefront_size: 32
    .workgroup_processor_mode: 1
  - .args:
      - .offset:         0
        .size:           136
        .value_kind:     by_value
    .group_segment_fixed_size: 0
    .kernarg_segment_align: 8
    .kernarg_segment_size: 136
    .language:       OpenCL C
    .language_version:
      - 2
      - 0
    .max_flat_workgroup_size: 256
    .name:           _ZN7rocprim17ROCPRIM_400000_NS6detail17trampoline_kernelINS0_14default_configENS1_27scan_by_key_config_selectorIxxEEZZNS1_16scan_by_key_implILNS1_25lookback_scan_determinismE0ELb1ES3_N6thrust23THRUST_200600_302600_NS6detail15normal_iteratorINS9_10device_ptrIxEEEESE_SE_xNS9_4plusIxEE19head_flag_predicatexEE10hipError_tPvRmT2_T3_T4_T5_mT6_T7_P12ihipStream_tbENKUlT_T0_E_clISt17integral_constantIbLb0EESY_EEDaST_SU_EUlST_E_NS1_11comp_targetILNS1_3genE0ELNS1_11target_archE4294967295ELNS1_3gpuE0ELNS1_3repE0EEENS1_30default_config_static_selectorELNS0_4arch9wavefront6targetE0EEEvT1_
    .private_segment_fixed_size: 0
    .sgpr_count:     0
    .sgpr_spill_count: 0
    .symbol:         _ZN7rocprim17ROCPRIM_400000_NS6detail17trampoline_kernelINS0_14default_configENS1_27scan_by_key_config_selectorIxxEEZZNS1_16scan_by_key_implILNS1_25lookback_scan_determinismE0ELb1ES3_N6thrust23THRUST_200600_302600_NS6detail15normal_iteratorINS9_10device_ptrIxEEEESE_SE_xNS9_4plusIxEE19head_flag_predicatexEE10hipError_tPvRmT2_T3_T4_T5_mT6_T7_P12ihipStream_tbENKUlT_T0_E_clISt17integral_constantIbLb0EESY_EEDaST_SU_EUlST_E_NS1_11comp_targetILNS1_3genE0ELNS1_11target_archE4294967295ELNS1_3gpuE0ELNS1_3repE0EEENS1_30default_config_static_selectorELNS0_4arch9wavefront6targetE0EEEvT1_.kd
    .uniform_work_group_size: 1
    .uses_dynamic_stack: false
    .vgpr_count:     0
    .vgpr_spill_count: 0
    .wavefront_size: 32
    .workgroup_processor_mode: 1
  - .args:
      - .offset:         0
        .size:           136
        .value_kind:     by_value
    .group_segment_fixed_size: 0
    .kernarg_segment_align: 8
    .kernarg_segment_size: 136
    .language:       OpenCL C
    .language_version:
      - 2
      - 0
    .max_flat_workgroup_size: 256
    .name:           _ZN7rocprim17ROCPRIM_400000_NS6detail17trampoline_kernelINS0_14default_configENS1_27scan_by_key_config_selectorIxxEEZZNS1_16scan_by_key_implILNS1_25lookback_scan_determinismE0ELb1ES3_N6thrust23THRUST_200600_302600_NS6detail15normal_iteratorINS9_10device_ptrIxEEEESE_SE_xNS9_4plusIxEE19head_flag_predicatexEE10hipError_tPvRmT2_T3_T4_T5_mT6_T7_P12ihipStream_tbENKUlT_T0_E_clISt17integral_constantIbLb0EESY_EEDaST_SU_EUlST_E_NS1_11comp_targetILNS1_3genE10ELNS1_11target_archE1201ELNS1_3gpuE5ELNS1_3repE0EEENS1_30default_config_static_selectorELNS0_4arch9wavefront6targetE0EEEvT1_
    .private_segment_fixed_size: 0
    .sgpr_count:     0
    .sgpr_spill_count: 0
    .symbol:         _ZN7rocprim17ROCPRIM_400000_NS6detail17trampoline_kernelINS0_14default_configENS1_27scan_by_key_config_selectorIxxEEZZNS1_16scan_by_key_implILNS1_25lookback_scan_determinismE0ELb1ES3_N6thrust23THRUST_200600_302600_NS6detail15normal_iteratorINS9_10device_ptrIxEEEESE_SE_xNS9_4plusIxEE19head_flag_predicatexEE10hipError_tPvRmT2_T3_T4_T5_mT6_T7_P12ihipStream_tbENKUlT_T0_E_clISt17integral_constantIbLb0EESY_EEDaST_SU_EUlST_E_NS1_11comp_targetILNS1_3genE10ELNS1_11target_archE1201ELNS1_3gpuE5ELNS1_3repE0EEENS1_30default_config_static_selectorELNS0_4arch9wavefront6targetE0EEEvT1_.kd
    .uniform_work_group_size: 1
    .uses_dynamic_stack: false
    .vgpr_count:     0
    .vgpr_spill_count: 0
    .wavefront_size: 32
    .workgroup_processor_mode: 1
  - .args:
      - .offset:         0
        .size:           136
        .value_kind:     by_value
    .group_segment_fixed_size: 0
    .kernarg_segment_align: 8
    .kernarg_segment_size: 136
    .language:       OpenCL C
    .language_version:
      - 2
      - 0
    .max_flat_workgroup_size: 256
    .name:           _ZN7rocprim17ROCPRIM_400000_NS6detail17trampoline_kernelINS0_14default_configENS1_27scan_by_key_config_selectorIxxEEZZNS1_16scan_by_key_implILNS1_25lookback_scan_determinismE0ELb1ES3_N6thrust23THRUST_200600_302600_NS6detail15normal_iteratorINS9_10device_ptrIxEEEESE_SE_xNS9_4plusIxEE19head_flag_predicatexEE10hipError_tPvRmT2_T3_T4_T5_mT6_T7_P12ihipStream_tbENKUlT_T0_E_clISt17integral_constantIbLb0EESY_EEDaST_SU_EUlST_E_NS1_11comp_targetILNS1_3genE5ELNS1_11target_archE942ELNS1_3gpuE9ELNS1_3repE0EEENS1_30default_config_static_selectorELNS0_4arch9wavefront6targetE0EEEvT1_
    .private_segment_fixed_size: 0
    .sgpr_count:     0
    .sgpr_spill_count: 0
    .symbol:         _ZN7rocprim17ROCPRIM_400000_NS6detail17trampoline_kernelINS0_14default_configENS1_27scan_by_key_config_selectorIxxEEZZNS1_16scan_by_key_implILNS1_25lookback_scan_determinismE0ELb1ES3_N6thrust23THRUST_200600_302600_NS6detail15normal_iteratorINS9_10device_ptrIxEEEESE_SE_xNS9_4plusIxEE19head_flag_predicatexEE10hipError_tPvRmT2_T3_T4_T5_mT6_T7_P12ihipStream_tbENKUlT_T0_E_clISt17integral_constantIbLb0EESY_EEDaST_SU_EUlST_E_NS1_11comp_targetILNS1_3genE5ELNS1_11target_archE942ELNS1_3gpuE9ELNS1_3repE0EEENS1_30default_config_static_selectorELNS0_4arch9wavefront6targetE0EEEvT1_.kd
    .uniform_work_group_size: 1
    .uses_dynamic_stack: false
    .vgpr_count:     0
    .vgpr_spill_count: 0
    .wavefront_size: 32
    .workgroup_processor_mode: 1
  - .args:
      - .offset:         0
        .size:           136
        .value_kind:     by_value
    .group_segment_fixed_size: 0
    .kernarg_segment_align: 8
    .kernarg_segment_size: 136
    .language:       OpenCL C
    .language_version:
      - 2
      - 0
    .max_flat_workgroup_size: 64
    .name:           _ZN7rocprim17ROCPRIM_400000_NS6detail17trampoline_kernelINS0_14default_configENS1_27scan_by_key_config_selectorIxxEEZZNS1_16scan_by_key_implILNS1_25lookback_scan_determinismE0ELb1ES3_N6thrust23THRUST_200600_302600_NS6detail15normal_iteratorINS9_10device_ptrIxEEEESE_SE_xNS9_4plusIxEE19head_flag_predicatexEE10hipError_tPvRmT2_T3_T4_T5_mT6_T7_P12ihipStream_tbENKUlT_T0_E_clISt17integral_constantIbLb0EESY_EEDaST_SU_EUlST_E_NS1_11comp_targetILNS1_3genE4ELNS1_11target_archE910ELNS1_3gpuE8ELNS1_3repE0EEENS1_30default_config_static_selectorELNS0_4arch9wavefront6targetE0EEEvT1_
    .private_segment_fixed_size: 0
    .sgpr_count:     0
    .sgpr_spill_count: 0
    .symbol:         _ZN7rocprim17ROCPRIM_400000_NS6detail17trampoline_kernelINS0_14default_configENS1_27scan_by_key_config_selectorIxxEEZZNS1_16scan_by_key_implILNS1_25lookback_scan_determinismE0ELb1ES3_N6thrust23THRUST_200600_302600_NS6detail15normal_iteratorINS9_10device_ptrIxEEEESE_SE_xNS9_4plusIxEE19head_flag_predicatexEE10hipError_tPvRmT2_T3_T4_T5_mT6_T7_P12ihipStream_tbENKUlT_T0_E_clISt17integral_constantIbLb0EESY_EEDaST_SU_EUlST_E_NS1_11comp_targetILNS1_3genE4ELNS1_11target_archE910ELNS1_3gpuE8ELNS1_3repE0EEENS1_30default_config_static_selectorELNS0_4arch9wavefront6targetE0EEEvT1_.kd
    .uniform_work_group_size: 1
    .uses_dynamic_stack: false
    .vgpr_count:     0
    .vgpr_spill_count: 0
    .wavefront_size: 32
    .workgroup_processor_mode: 1
  - .args:
      - .offset:         0
        .size:           136
        .value_kind:     by_value
    .group_segment_fixed_size: 0
    .kernarg_segment_align: 8
    .kernarg_segment_size: 136
    .language:       OpenCL C
    .language_version:
      - 2
      - 0
    .max_flat_workgroup_size: 256
    .name:           _ZN7rocprim17ROCPRIM_400000_NS6detail17trampoline_kernelINS0_14default_configENS1_27scan_by_key_config_selectorIxxEEZZNS1_16scan_by_key_implILNS1_25lookback_scan_determinismE0ELb1ES3_N6thrust23THRUST_200600_302600_NS6detail15normal_iteratorINS9_10device_ptrIxEEEESE_SE_xNS9_4plusIxEE19head_flag_predicatexEE10hipError_tPvRmT2_T3_T4_T5_mT6_T7_P12ihipStream_tbENKUlT_T0_E_clISt17integral_constantIbLb0EESY_EEDaST_SU_EUlST_E_NS1_11comp_targetILNS1_3genE3ELNS1_11target_archE908ELNS1_3gpuE7ELNS1_3repE0EEENS1_30default_config_static_selectorELNS0_4arch9wavefront6targetE0EEEvT1_
    .private_segment_fixed_size: 0
    .sgpr_count:     0
    .sgpr_spill_count: 0
    .symbol:         _ZN7rocprim17ROCPRIM_400000_NS6detail17trampoline_kernelINS0_14default_configENS1_27scan_by_key_config_selectorIxxEEZZNS1_16scan_by_key_implILNS1_25lookback_scan_determinismE0ELb1ES3_N6thrust23THRUST_200600_302600_NS6detail15normal_iteratorINS9_10device_ptrIxEEEESE_SE_xNS9_4plusIxEE19head_flag_predicatexEE10hipError_tPvRmT2_T3_T4_T5_mT6_T7_P12ihipStream_tbENKUlT_T0_E_clISt17integral_constantIbLb0EESY_EEDaST_SU_EUlST_E_NS1_11comp_targetILNS1_3genE3ELNS1_11target_archE908ELNS1_3gpuE7ELNS1_3repE0EEENS1_30default_config_static_selectorELNS0_4arch9wavefront6targetE0EEEvT1_.kd
    .uniform_work_group_size: 1
    .uses_dynamic_stack: false
    .vgpr_count:     0
    .vgpr_spill_count: 0
    .wavefront_size: 32
    .workgroup_processor_mode: 1
  - .args:
      - .offset:         0
        .size:           136
        .value_kind:     by_value
    .group_segment_fixed_size: 0
    .kernarg_segment_align: 8
    .kernarg_segment_size: 136
    .language:       OpenCL C
    .language_version:
      - 2
      - 0
    .max_flat_workgroup_size: 256
    .name:           _ZN7rocprim17ROCPRIM_400000_NS6detail17trampoline_kernelINS0_14default_configENS1_27scan_by_key_config_selectorIxxEEZZNS1_16scan_by_key_implILNS1_25lookback_scan_determinismE0ELb1ES3_N6thrust23THRUST_200600_302600_NS6detail15normal_iteratorINS9_10device_ptrIxEEEESE_SE_xNS9_4plusIxEE19head_flag_predicatexEE10hipError_tPvRmT2_T3_T4_T5_mT6_T7_P12ihipStream_tbENKUlT_T0_E_clISt17integral_constantIbLb0EESY_EEDaST_SU_EUlST_E_NS1_11comp_targetILNS1_3genE2ELNS1_11target_archE906ELNS1_3gpuE6ELNS1_3repE0EEENS1_30default_config_static_selectorELNS0_4arch9wavefront6targetE0EEEvT1_
    .private_segment_fixed_size: 0
    .sgpr_count:     0
    .sgpr_spill_count: 0
    .symbol:         _ZN7rocprim17ROCPRIM_400000_NS6detail17trampoline_kernelINS0_14default_configENS1_27scan_by_key_config_selectorIxxEEZZNS1_16scan_by_key_implILNS1_25lookback_scan_determinismE0ELb1ES3_N6thrust23THRUST_200600_302600_NS6detail15normal_iteratorINS9_10device_ptrIxEEEESE_SE_xNS9_4plusIxEE19head_flag_predicatexEE10hipError_tPvRmT2_T3_T4_T5_mT6_T7_P12ihipStream_tbENKUlT_T0_E_clISt17integral_constantIbLb0EESY_EEDaST_SU_EUlST_E_NS1_11comp_targetILNS1_3genE2ELNS1_11target_archE906ELNS1_3gpuE6ELNS1_3repE0EEENS1_30default_config_static_selectorELNS0_4arch9wavefront6targetE0EEEvT1_.kd
    .uniform_work_group_size: 1
    .uses_dynamic_stack: false
    .vgpr_count:     0
    .vgpr_spill_count: 0
    .wavefront_size: 32
    .workgroup_processor_mode: 1
  - .args:
      - .offset:         0
        .size:           136
        .value_kind:     by_value
    .group_segment_fixed_size: 0
    .kernarg_segment_align: 8
    .kernarg_segment_size: 136
    .language:       OpenCL C
    .language_version:
      - 2
      - 0
    .max_flat_workgroup_size: 256
    .name:           _ZN7rocprim17ROCPRIM_400000_NS6detail17trampoline_kernelINS0_14default_configENS1_27scan_by_key_config_selectorIxxEEZZNS1_16scan_by_key_implILNS1_25lookback_scan_determinismE0ELb1ES3_N6thrust23THRUST_200600_302600_NS6detail15normal_iteratorINS9_10device_ptrIxEEEESE_SE_xNS9_4plusIxEE19head_flag_predicatexEE10hipError_tPvRmT2_T3_T4_T5_mT6_T7_P12ihipStream_tbENKUlT_T0_E_clISt17integral_constantIbLb0EESY_EEDaST_SU_EUlST_E_NS1_11comp_targetILNS1_3genE10ELNS1_11target_archE1200ELNS1_3gpuE4ELNS1_3repE0EEENS1_30default_config_static_selectorELNS0_4arch9wavefront6targetE0EEEvT1_
    .private_segment_fixed_size: 0
    .sgpr_count:     0
    .sgpr_spill_count: 0
    .symbol:         _ZN7rocprim17ROCPRIM_400000_NS6detail17trampoline_kernelINS0_14default_configENS1_27scan_by_key_config_selectorIxxEEZZNS1_16scan_by_key_implILNS1_25lookback_scan_determinismE0ELb1ES3_N6thrust23THRUST_200600_302600_NS6detail15normal_iteratorINS9_10device_ptrIxEEEESE_SE_xNS9_4plusIxEE19head_flag_predicatexEE10hipError_tPvRmT2_T3_T4_T5_mT6_T7_P12ihipStream_tbENKUlT_T0_E_clISt17integral_constantIbLb0EESY_EEDaST_SU_EUlST_E_NS1_11comp_targetILNS1_3genE10ELNS1_11target_archE1200ELNS1_3gpuE4ELNS1_3repE0EEENS1_30default_config_static_selectorELNS0_4arch9wavefront6targetE0EEEvT1_.kd
    .uniform_work_group_size: 1
    .uses_dynamic_stack: false
    .vgpr_count:     0
    .vgpr_spill_count: 0
    .wavefront_size: 32
    .workgroup_processor_mode: 1
  - .args:
      - .offset:         0
        .size:           136
        .value_kind:     by_value
    .group_segment_fixed_size: 0
    .kernarg_segment_align: 8
    .kernarg_segment_size: 136
    .language:       OpenCL C
    .language_version:
      - 2
      - 0
    .max_flat_workgroup_size: 256
    .name:           _ZN7rocprim17ROCPRIM_400000_NS6detail17trampoline_kernelINS0_14default_configENS1_27scan_by_key_config_selectorIxxEEZZNS1_16scan_by_key_implILNS1_25lookback_scan_determinismE0ELb1ES3_N6thrust23THRUST_200600_302600_NS6detail15normal_iteratorINS9_10device_ptrIxEEEESE_SE_xNS9_4plusIxEE19head_flag_predicatexEE10hipError_tPvRmT2_T3_T4_T5_mT6_T7_P12ihipStream_tbENKUlT_T0_E_clISt17integral_constantIbLb0EESY_EEDaST_SU_EUlST_E_NS1_11comp_targetILNS1_3genE9ELNS1_11target_archE1100ELNS1_3gpuE3ELNS1_3repE0EEENS1_30default_config_static_selectorELNS0_4arch9wavefront6targetE0EEEvT1_
    .private_segment_fixed_size: 0
    .sgpr_count:     0
    .sgpr_spill_count: 0
    .symbol:         _ZN7rocprim17ROCPRIM_400000_NS6detail17trampoline_kernelINS0_14default_configENS1_27scan_by_key_config_selectorIxxEEZZNS1_16scan_by_key_implILNS1_25lookback_scan_determinismE0ELb1ES3_N6thrust23THRUST_200600_302600_NS6detail15normal_iteratorINS9_10device_ptrIxEEEESE_SE_xNS9_4plusIxEE19head_flag_predicatexEE10hipError_tPvRmT2_T3_T4_T5_mT6_T7_P12ihipStream_tbENKUlT_T0_E_clISt17integral_constantIbLb0EESY_EEDaST_SU_EUlST_E_NS1_11comp_targetILNS1_3genE9ELNS1_11target_archE1100ELNS1_3gpuE3ELNS1_3repE0EEENS1_30default_config_static_selectorELNS0_4arch9wavefront6targetE0EEEvT1_.kd
    .uniform_work_group_size: 1
    .uses_dynamic_stack: false
    .vgpr_count:     0
    .vgpr_spill_count: 0
    .wavefront_size: 32
    .workgroup_processor_mode: 1
  - .args:
      - .offset:         0
        .size:           136
        .value_kind:     by_value
    .group_segment_fixed_size: 30720
    .kernarg_segment_align: 8
    .kernarg_segment_size: 136
    .language:       OpenCL C
    .language_version:
      - 2
      - 0
    .max_flat_workgroup_size: 256
    .name:           _ZN7rocprim17ROCPRIM_400000_NS6detail17trampoline_kernelINS0_14default_configENS1_27scan_by_key_config_selectorIxxEEZZNS1_16scan_by_key_implILNS1_25lookback_scan_determinismE0ELb1ES3_N6thrust23THRUST_200600_302600_NS6detail15normal_iteratorINS9_10device_ptrIxEEEESE_SE_xNS9_4plusIxEE19head_flag_predicatexEE10hipError_tPvRmT2_T3_T4_T5_mT6_T7_P12ihipStream_tbENKUlT_T0_E_clISt17integral_constantIbLb0EESY_EEDaST_SU_EUlST_E_NS1_11comp_targetILNS1_3genE8ELNS1_11target_archE1030ELNS1_3gpuE2ELNS1_3repE0EEENS1_30default_config_static_selectorELNS0_4arch9wavefront6targetE0EEEvT1_
    .private_segment_fixed_size: 0
    .sgpr_count:     57
    .sgpr_spill_count: 0
    .symbol:         _ZN7rocprim17ROCPRIM_400000_NS6detail17trampoline_kernelINS0_14default_configENS1_27scan_by_key_config_selectorIxxEEZZNS1_16scan_by_key_implILNS1_25lookback_scan_determinismE0ELb1ES3_N6thrust23THRUST_200600_302600_NS6detail15normal_iteratorINS9_10device_ptrIxEEEESE_SE_xNS9_4plusIxEE19head_flag_predicatexEE10hipError_tPvRmT2_T3_T4_T5_mT6_T7_P12ihipStream_tbENKUlT_T0_E_clISt17integral_constantIbLb0EESY_EEDaST_SU_EUlST_E_NS1_11comp_targetILNS1_3genE8ELNS1_11target_archE1030ELNS1_3gpuE2ELNS1_3repE0EEENS1_30default_config_static_selectorELNS0_4arch9wavefront6targetE0EEEvT1_.kd
    .uniform_work_group_size: 1
    .uses_dynamic_stack: false
    .vgpr_count:     101
    .vgpr_spill_count: 0
    .wavefront_size: 32
    .workgroup_processor_mode: 1
  - .args:
      - .offset:         0
        .size:           136
        .value_kind:     by_value
    .group_segment_fixed_size: 0
    .kernarg_segment_align: 8
    .kernarg_segment_size: 136
    .language:       OpenCL C
    .language_version:
      - 2
      - 0
    .max_flat_workgroup_size: 256
    .name:           _ZN7rocprim17ROCPRIM_400000_NS6detail17trampoline_kernelINS0_14default_configENS1_27scan_by_key_config_selectorIxxEEZZNS1_16scan_by_key_implILNS1_25lookback_scan_determinismE0ELb1ES3_N6thrust23THRUST_200600_302600_NS6detail15normal_iteratorINS9_10device_ptrIxEEEESE_SE_xNS9_4plusIxEE19head_flag_predicatexEE10hipError_tPvRmT2_T3_T4_T5_mT6_T7_P12ihipStream_tbENKUlT_T0_E_clISt17integral_constantIbLb1EESY_EEDaST_SU_EUlST_E_NS1_11comp_targetILNS1_3genE0ELNS1_11target_archE4294967295ELNS1_3gpuE0ELNS1_3repE0EEENS1_30default_config_static_selectorELNS0_4arch9wavefront6targetE0EEEvT1_
    .private_segment_fixed_size: 0
    .sgpr_count:     0
    .sgpr_spill_count: 0
    .symbol:         _ZN7rocprim17ROCPRIM_400000_NS6detail17trampoline_kernelINS0_14default_configENS1_27scan_by_key_config_selectorIxxEEZZNS1_16scan_by_key_implILNS1_25lookback_scan_determinismE0ELb1ES3_N6thrust23THRUST_200600_302600_NS6detail15normal_iteratorINS9_10device_ptrIxEEEESE_SE_xNS9_4plusIxEE19head_flag_predicatexEE10hipError_tPvRmT2_T3_T4_T5_mT6_T7_P12ihipStream_tbENKUlT_T0_E_clISt17integral_constantIbLb1EESY_EEDaST_SU_EUlST_E_NS1_11comp_targetILNS1_3genE0ELNS1_11target_archE4294967295ELNS1_3gpuE0ELNS1_3repE0EEENS1_30default_config_static_selectorELNS0_4arch9wavefront6targetE0EEEvT1_.kd
    .uniform_work_group_size: 1
    .uses_dynamic_stack: false
    .vgpr_count:     0
    .vgpr_spill_count: 0
    .wavefront_size: 32
    .workgroup_processor_mode: 1
  - .args:
      - .offset:         0
        .size:           136
        .value_kind:     by_value
    .group_segment_fixed_size: 0
    .kernarg_segment_align: 8
    .kernarg_segment_size: 136
    .language:       OpenCL C
    .language_version:
      - 2
      - 0
    .max_flat_workgroup_size: 256
    .name:           _ZN7rocprim17ROCPRIM_400000_NS6detail17trampoline_kernelINS0_14default_configENS1_27scan_by_key_config_selectorIxxEEZZNS1_16scan_by_key_implILNS1_25lookback_scan_determinismE0ELb1ES3_N6thrust23THRUST_200600_302600_NS6detail15normal_iteratorINS9_10device_ptrIxEEEESE_SE_xNS9_4plusIxEE19head_flag_predicatexEE10hipError_tPvRmT2_T3_T4_T5_mT6_T7_P12ihipStream_tbENKUlT_T0_E_clISt17integral_constantIbLb1EESY_EEDaST_SU_EUlST_E_NS1_11comp_targetILNS1_3genE10ELNS1_11target_archE1201ELNS1_3gpuE5ELNS1_3repE0EEENS1_30default_config_static_selectorELNS0_4arch9wavefront6targetE0EEEvT1_
    .private_segment_fixed_size: 0
    .sgpr_count:     0
    .sgpr_spill_count: 0
    .symbol:         _ZN7rocprim17ROCPRIM_400000_NS6detail17trampoline_kernelINS0_14default_configENS1_27scan_by_key_config_selectorIxxEEZZNS1_16scan_by_key_implILNS1_25lookback_scan_determinismE0ELb1ES3_N6thrust23THRUST_200600_302600_NS6detail15normal_iteratorINS9_10device_ptrIxEEEESE_SE_xNS9_4plusIxEE19head_flag_predicatexEE10hipError_tPvRmT2_T3_T4_T5_mT6_T7_P12ihipStream_tbENKUlT_T0_E_clISt17integral_constantIbLb1EESY_EEDaST_SU_EUlST_E_NS1_11comp_targetILNS1_3genE10ELNS1_11target_archE1201ELNS1_3gpuE5ELNS1_3repE0EEENS1_30default_config_static_selectorELNS0_4arch9wavefront6targetE0EEEvT1_.kd
    .uniform_work_group_size: 1
    .uses_dynamic_stack: false
    .vgpr_count:     0
    .vgpr_spill_count: 0
    .wavefront_size: 32
    .workgroup_processor_mode: 1
  - .args:
      - .offset:         0
        .size:           136
        .value_kind:     by_value
    .group_segment_fixed_size: 0
    .kernarg_segment_align: 8
    .kernarg_segment_size: 136
    .language:       OpenCL C
    .language_version:
      - 2
      - 0
    .max_flat_workgroup_size: 256
    .name:           _ZN7rocprim17ROCPRIM_400000_NS6detail17trampoline_kernelINS0_14default_configENS1_27scan_by_key_config_selectorIxxEEZZNS1_16scan_by_key_implILNS1_25lookback_scan_determinismE0ELb1ES3_N6thrust23THRUST_200600_302600_NS6detail15normal_iteratorINS9_10device_ptrIxEEEESE_SE_xNS9_4plusIxEE19head_flag_predicatexEE10hipError_tPvRmT2_T3_T4_T5_mT6_T7_P12ihipStream_tbENKUlT_T0_E_clISt17integral_constantIbLb1EESY_EEDaST_SU_EUlST_E_NS1_11comp_targetILNS1_3genE5ELNS1_11target_archE942ELNS1_3gpuE9ELNS1_3repE0EEENS1_30default_config_static_selectorELNS0_4arch9wavefront6targetE0EEEvT1_
    .private_segment_fixed_size: 0
    .sgpr_count:     0
    .sgpr_spill_count: 0
    .symbol:         _ZN7rocprim17ROCPRIM_400000_NS6detail17trampoline_kernelINS0_14default_configENS1_27scan_by_key_config_selectorIxxEEZZNS1_16scan_by_key_implILNS1_25lookback_scan_determinismE0ELb1ES3_N6thrust23THRUST_200600_302600_NS6detail15normal_iteratorINS9_10device_ptrIxEEEESE_SE_xNS9_4plusIxEE19head_flag_predicatexEE10hipError_tPvRmT2_T3_T4_T5_mT6_T7_P12ihipStream_tbENKUlT_T0_E_clISt17integral_constantIbLb1EESY_EEDaST_SU_EUlST_E_NS1_11comp_targetILNS1_3genE5ELNS1_11target_archE942ELNS1_3gpuE9ELNS1_3repE0EEENS1_30default_config_static_selectorELNS0_4arch9wavefront6targetE0EEEvT1_.kd
    .uniform_work_group_size: 1
    .uses_dynamic_stack: false
    .vgpr_count:     0
    .vgpr_spill_count: 0
    .wavefront_size: 32
    .workgroup_processor_mode: 1
  - .args:
      - .offset:         0
        .size:           136
        .value_kind:     by_value
    .group_segment_fixed_size: 0
    .kernarg_segment_align: 8
    .kernarg_segment_size: 136
    .language:       OpenCL C
    .language_version:
      - 2
      - 0
    .max_flat_workgroup_size: 64
    .name:           _ZN7rocprim17ROCPRIM_400000_NS6detail17trampoline_kernelINS0_14default_configENS1_27scan_by_key_config_selectorIxxEEZZNS1_16scan_by_key_implILNS1_25lookback_scan_determinismE0ELb1ES3_N6thrust23THRUST_200600_302600_NS6detail15normal_iteratorINS9_10device_ptrIxEEEESE_SE_xNS9_4plusIxEE19head_flag_predicatexEE10hipError_tPvRmT2_T3_T4_T5_mT6_T7_P12ihipStream_tbENKUlT_T0_E_clISt17integral_constantIbLb1EESY_EEDaST_SU_EUlST_E_NS1_11comp_targetILNS1_3genE4ELNS1_11target_archE910ELNS1_3gpuE8ELNS1_3repE0EEENS1_30default_config_static_selectorELNS0_4arch9wavefront6targetE0EEEvT1_
    .private_segment_fixed_size: 0
    .sgpr_count:     0
    .sgpr_spill_count: 0
    .symbol:         _ZN7rocprim17ROCPRIM_400000_NS6detail17trampoline_kernelINS0_14default_configENS1_27scan_by_key_config_selectorIxxEEZZNS1_16scan_by_key_implILNS1_25lookback_scan_determinismE0ELb1ES3_N6thrust23THRUST_200600_302600_NS6detail15normal_iteratorINS9_10device_ptrIxEEEESE_SE_xNS9_4plusIxEE19head_flag_predicatexEE10hipError_tPvRmT2_T3_T4_T5_mT6_T7_P12ihipStream_tbENKUlT_T0_E_clISt17integral_constantIbLb1EESY_EEDaST_SU_EUlST_E_NS1_11comp_targetILNS1_3genE4ELNS1_11target_archE910ELNS1_3gpuE8ELNS1_3repE0EEENS1_30default_config_static_selectorELNS0_4arch9wavefront6targetE0EEEvT1_.kd
    .uniform_work_group_size: 1
    .uses_dynamic_stack: false
    .vgpr_count:     0
    .vgpr_spill_count: 0
    .wavefront_size: 32
    .workgroup_processor_mode: 1
  - .args:
      - .offset:         0
        .size:           136
        .value_kind:     by_value
    .group_segment_fixed_size: 0
    .kernarg_segment_align: 8
    .kernarg_segment_size: 136
    .language:       OpenCL C
    .language_version:
      - 2
      - 0
    .max_flat_workgroup_size: 256
    .name:           _ZN7rocprim17ROCPRIM_400000_NS6detail17trampoline_kernelINS0_14default_configENS1_27scan_by_key_config_selectorIxxEEZZNS1_16scan_by_key_implILNS1_25lookback_scan_determinismE0ELb1ES3_N6thrust23THRUST_200600_302600_NS6detail15normal_iteratorINS9_10device_ptrIxEEEESE_SE_xNS9_4plusIxEE19head_flag_predicatexEE10hipError_tPvRmT2_T3_T4_T5_mT6_T7_P12ihipStream_tbENKUlT_T0_E_clISt17integral_constantIbLb1EESY_EEDaST_SU_EUlST_E_NS1_11comp_targetILNS1_3genE3ELNS1_11target_archE908ELNS1_3gpuE7ELNS1_3repE0EEENS1_30default_config_static_selectorELNS0_4arch9wavefront6targetE0EEEvT1_
    .private_segment_fixed_size: 0
    .sgpr_count:     0
    .sgpr_spill_count: 0
    .symbol:         _ZN7rocprim17ROCPRIM_400000_NS6detail17trampoline_kernelINS0_14default_configENS1_27scan_by_key_config_selectorIxxEEZZNS1_16scan_by_key_implILNS1_25lookback_scan_determinismE0ELb1ES3_N6thrust23THRUST_200600_302600_NS6detail15normal_iteratorINS9_10device_ptrIxEEEESE_SE_xNS9_4plusIxEE19head_flag_predicatexEE10hipError_tPvRmT2_T3_T4_T5_mT6_T7_P12ihipStream_tbENKUlT_T0_E_clISt17integral_constantIbLb1EESY_EEDaST_SU_EUlST_E_NS1_11comp_targetILNS1_3genE3ELNS1_11target_archE908ELNS1_3gpuE7ELNS1_3repE0EEENS1_30default_config_static_selectorELNS0_4arch9wavefront6targetE0EEEvT1_.kd
    .uniform_work_group_size: 1
    .uses_dynamic_stack: false
    .vgpr_count:     0
    .vgpr_spill_count: 0
    .wavefront_size: 32
    .workgroup_processor_mode: 1
  - .args:
      - .offset:         0
        .size:           136
        .value_kind:     by_value
    .group_segment_fixed_size: 0
    .kernarg_segment_align: 8
    .kernarg_segment_size: 136
    .language:       OpenCL C
    .language_version:
      - 2
      - 0
    .max_flat_workgroup_size: 256
    .name:           _ZN7rocprim17ROCPRIM_400000_NS6detail17trampoline_kernelINS0_14default_configENS1_27scan_by_key_config_selectorIxxEEZZNS1_16scan_by_key_implILNS1_25lookback_scan_determinismE0ELb1ES3_N6thrust23THRUST_200600_302600_NS6detail15normal_iteratorINS9_10device_ptrIxEEEESE_SE_xNS9_4plusIxEE19head_flag_predicatexEE10hipError_tPvRmT2_T3_T4_T5_mT6_T7_P12ihipStream_tbENKUlT_T0_E_clISt17integral_constantIbLb1EESY_EEDaST_SU_EUlST_E_NS1_11comp_targetILNS1_3genE2ELNS1_11target_archE906ELNS1_3gpuE6ELNS1_3repE0EEENS1_30default_config_static_selectorELNS0_4arch9wavefront6targetE0EEEvT1_
    .private_segment_fixed_size: 0
    .sgpr_count:     0
    .sgpr_spill_count: 0
    .symbol:         _ZN7rocprim17ROCPRIM_400000_NS6detail17trampoline_kernelINS0_14default_configENS1_27scan_by_key_config_selectorIxxEEZZNS1_16scan_by_key_implILNS1_25lookback_scan_determinismE0ELb1ES3_N6thrust23THRUST_200600_302600_NS6detail15normal_iteratorINS9_10device_ptrIxEEEESE_SE_xNS9_4plusIxEE19head_flag_predicatexEE10hipError_tPvRmT2_T3_T4_T5_mT6_T7_P12ihipStream_tbENKUlT_T0_E_clISt17integral_constantIbLb1EESY_EEDaST_SU_EUlST_E_NS1_11comp_targetILNS1_3genE2ELNS1_11target_archE906ELNS1_3gpuE6ELNS1_3repE0EEENS1_30default_config_static_selectorELNS0_4arch9wavefront6targetE0EEEvT1_.kd
    .uniform_work_group_size: 1
    .uses_dynamic_stack: false
    .vgpr_count:     0
    .vgpr_spill_count: 0
    .wavefront_size: 32
    .workgroup_processor_mode: 1
  - .args:
      - .offset:         0
        .size:           136
        .value_kind:     by_value
    .group_segment_fixed_size: 0
    .kernarg_segment_align: 8
    .kernarg_segment_size: 136
    .language:       OpenCL C
    .language_version:
      - 2
      - 0
    .max_flat_workgroup_size: 256
    .name:           _ZN7rocprim17ROCPRIM_400000_NS6detail17trampoline_kernelINS0_14default_configENS1_27scan_by_key_config_selectorIxxEEZZNS1_16scan_by_key_implILNS1_25lookback_scan_determinismE0ELb1ES3_N6thrust23THRUST_200600_302600_NS6detail15normal_iteratorINS9_10device_ptrIxEEEESE_SE_xNS9_4plusIxEE19head_flag_predicatexEE10hipError_tPvRmT2_T3_T4_T5_mT6_T7_P12ihipStream_tbENKUlT_T0_E_clISt17integral_constantIbLb1EESY_EEDaST_SU_EUlST_E_NS1_11comp_targetILNS1_3genE10ELNS1_11target_archE1200ELNS1_3gpuE4ELNS1_3repE0EEENS1_30default_config_static_selectorELNS0_4arch9wavefront6targetE0EEEvT1_
    .private_segment_fixed_size: 0
    .sgpr_count:     0
    .sgpr_spill_count: 0
    .symbol:         _ZN7rocprim17ROCPRIM_400000_NS6detail17trampoline_kernelINS0_14default_configENS1_27scan_by_key_config_selectorIxxEEZZNS1_16scan_by_key_implILNS1_25lookback_scan_determinismE0ELb1ES3_N6thrust23THRUST_200600_302600_NS6detail15normal_iteratorINS9_10device_ptrIxEEEESE_SE_xNS9_4plusIxEE19head_flag_predicatexEE10hipError_tPvRmT2_T3_T4_T5_mT6_T7_P12ihipStream_tbENKUlT_T0_E_clISt17integral_constantIbLb1EESY_EEDaST_SU_EUlST_E_NS1_11comp_targetILNS1_3genE10ELNS1_11target_archE1200ELNS1_3gpuE4ELNS1_3repE0EEENS1_30default_config_static_selectorELNS0_4arch9wavefront6targetE0EEEvT1_.kd
    .uniform_work_group_size: 1
    .uses_dynamic_stack: false
    .vgpr_count:     0
    .vgpr_spill_count: 0
    .wavefront_size: 32
    .workgroup_processor_mode: 1
  - .args:
      - .offset:         0
        .size:           136
        .value_kind:     by_value
    .group_segment_fixed_size: 0
    .kernarg_segment_align: 8
    .kernarg_segment_size: 136
    .language:       OpenCL C
    .language_version:
      - 2
      - 0
    .max_flat_workgroup_size: 256
    .name:           _ZN7rocprim17ROCPRIM_400000_NS6detail17trampoline_kernelINS0_14default_configENS1_27scan_by_key_config_selectorIxxEEZZNS1_16scan_by_key_implILNS1_25lookback_scan_determinismE0ELb1ES3_N6thrust23THRUST_200600_302600_NS6detail15normal_iteratorINS9_10device_ptrIxEEEESE_SE_xNS9_4plusIxEE19head_flag_predicatexEE10hipError_tPvRmT2_T3_T4_T5_mT6_T7_P12ihipStream_tbENKUlT_T0_E_clISt17integral_constantIbLb1EESY_EEDaST_SU_EUlST_E_NS1_11comp_targetILNS1_3genE9ELNS1_11target_archE1100ELNS1_3gpuE3ELNS1_3repE0EEENS1_30default_config_static_selectorELNS0_4arch9wavefront6targetE0EEEvT1_
    .private_segment_fixed_size: 0
    .sgpr_count:     0
    .sgpr_spill_count: 0
    .symbol:         _ZN7rocprim17ROCPRIM_400000_NS6detail17trampoline_kernelINS0_14default_configENS1_27scan_by_key_config_selectorIxxEEZZNS1_16scan_by_key_implILNS1_25lookback_scan_determinismE0ELb1ES3_N6thrust23THRUST_200600_302600_NS6detail15normal_iteratorINS9_10device_ptrIxEEEESE_SE_xNS9_4plusIxEE19head_flag_predicatexEE10hipError_tPvRmT2_T3_T4_T5_mT6_T7_P12ihipStream_tbENKUlT_T0_E_clISt17integral_constantIbLb1EESY_EEDaST_SU_EUlST_E_NS1_11comp_targetILNS1_3genE9ELNS1_11target_archE1100ELNS1_3gpuE3ELNS1_3repE0EEENS1_30default_config_static_selectorELNS0_4arch9wavefront6targetE0EEEvT1_.kd
    .uniform_work_group_size: 1
    .uses_dynamic_stack: false
    .vgpr_count:     0
    .vgpr_spill_count: 0
    .wavefront_size: 32
    .workgroup_processor_mode: 1
  - .args:
      - .offset:         0
        .size:           136
        .value_kind:     by_value
    .group_segment_fixed_size: 0
    .kernarg_segment_align: 8
    .kernarg_segment_size: 136
    .language:       OpenCL C
    .language_version:
      - 2
      - 0
    .max_flat_workgroup_size: 256
    .name:           _ZN7rocprim17ROCPRIM_400000_NS6detail17trampoline_kernelINS0_14default_configENS1_27scan_by_key_config_selectorIxxEEZZNS1_16scan_by_key_implILNS1_25lookback_scan_determinismE0ELb1ES3_N6thrust23THRUST_200600_302600_NS6detail15normal_iteratorINS9_10device_ptrIxEEEESE_SE_xNS9_4plusIxEE19head_flag_predicatexEE10hipError_tPvRmT2_T3_T4_T5_mT6_T7_P12ihipStream_tbENKUlT_T0_E_clISt17integral_constantIbLb1EESY_EEDaST_SU_EUlST_E_NS1_11comp_targetILNS1_3genE8ELNS1_11target_archE1030ELNS1_3gpuE2ELNS1_3repE0EEENS1_30default_config_static_selectorELNS0_4arch9wavefront6targetE0EEEvT1_
    .private_segment_fixed_size: 0
    .sgpr_count:     0
    .sgpr_spill_count: 0
    .symbol:         _ZN7rocprim17ROCPRIM_400000_NS6detail17trampoline_kernelINS0_14default_configENS1_27scan_by_key_config_selectorIxxEEZZNS1_16scan_by_key_implILNS1_25lookback_scan_determinismE0ELb1ES3_N6thrust23THRUST_200600_302600_NS6detail15normal_iteratorINS9_10device_ptrIxEEEESE_SE_xNS9_4plusIxEE19head_flag_predicatexEE10hipError_tPvRmT2_T3_T4_T5_mT6_T7_P12ihipStream_tbENKUlT_T0_E_clISt17integral_constantIbLb1EESY_EEDaST_SU_EUlST_E_NS1_11comp_targetILNS1_3genE8ELNS1_11target_archE1030ELNS1_3gpuE2ELNS1_3repE0EEENS1_30default_config_static_selectorELNS0_4arch9wavefront6targetE0EEEvT1_.kd
    .uniform_work_group_size: 1
    .uses_dynamic_stack: false
    .vgpr_count:     0
    .vgpr_spill_count: 0
    .wavefront_size: 32
    .workgroup_processor_mode: 1
  - .args:
      - .offset:         0
        .size:           136
        .value_kind:     by_value
    .group_segment_fixed_size: 0
    .kernarg_segment_align: 8
    .kernarg_segment_size: 136
    .language:       OpenCL C
    .language_version:
      - 2
      - 0
    .max_flat_workgroup_size: 256
    .name:           _ZN7rocprim17ROCPRIM_400000_NS6detail17trampoline_kernelINS0_14default_configENS1_27scan_by_key_config_selectorIxxEEZZNS1_16scan_by_key_implILNS1_25lookback_scan_determinismE0ELb1ES3_N6thrust23THRUST_200600_302600_NS6detail15normal_iteratorINS9_10device_ptrIxEEEESE_SE_xNS9_4plusIxEE19head_flag_predicatexEE10hipError_tPvRmT2_T3_T4_T5_mT6_T7_P12ihipStream_tbENKUlT_T0_E_clISt17integral_constantIbLb1EESX_IbLb0EEEEDaST_SU_EUlST_E_NS1_11comp_targetILNS1_3genE0ELNS1_11target_archE4294967295ELNS1_3gpuE0ELNS1_3repE0EEENS1_30default_config_static_selectorELNS0_4arch9wavefront6targetE0EEEvT1_
    .private_segment_fixed_size: 0
    .sgpr_count:     0
    .sgpr_spill_count: 0
    .symbol:         _ZN7rocprim17ROCPRIM_400000_NS6detail17trampoline_kernelINS0_14default_configENS1_27scan_by_key_config_selectorIxxEEZZNS1_16scan_by_key_implILNS1_25lookback_scan_determinismE0ELb1ES3_N6thrust23THRUST_200600_302600_NS6detail15normal_iteratorINS9_10device_ptrIxEEEESE_SE_xNS9_4plusIxEE19head_flag_predicatexEE10hipError_tPvRmT2_T3_T4_T5_mT6_T7_P12ihipStream_tbENKUlT_T0_E_clISt17integral_constantIbLb1EESX_IbLb0EEEEDaST_SU_EUlST_E_NS1_11comp_targetILNS1_3genE0ELNS1_11target_archE4294967295ELNS1_3gpuE0ELNS1_3repE0EEENS1_30default_config_static_selectorELNS0_4arch9wavefront6targetE0EEEvT1_.kd
    .uniform_work_group_size: 1
    .uses_dynamic_stack: false
    .vgpr_count:     0
    .vgpr_spill_count: 0
    .wavefront_size: 32
    .workgroup_processor_mode: 1
  - .args:
      - .offset:         0
        .size:           136
        .value_kind:     by_value
    .group_segment_fixed_size: 0
    .kernarg_segment_align: 8
    .kernarg_segment_size: 136
    .language:       OpenCL C
    .language_version:
      - 2
      - 0
    .max_flat_workgroup_size: 256
    .name:           _ZN7rocprim17ROCPRIM_400000_NS6detail17trampoline_kernelINS0_14default_configENS1_27scan_by_key_config_selectorIxxEEZZNS1_16scan_by_key_implILNS1_25lookback_scan_determinismE0ELb1ES3_N6thrust23THRUST_200600_302600_NS6detail15normal_iteratorINS9_10device_ptrIxEEEESE_SE_xNS9_4plusIxEE19head_flag_predicatexEE10hipError_tPvRmT2_T3_T4_T5_mT6_T7_P12ihipStream_tbENKUlT_T0_E_clISt17integral_constantIbLb1EESX_IbLb0EEEEDaST_SU_EUlST_E_NS1_11comp_targetILNS1_3genE10ELNS1_11target_archE1201ELNS1_3gpuE5ELNS1_3repE0EEENS1_30default_config_static_selectorELNS0_4arch9wavefront6targetE0EEEvT1_
    .private_segment_fixed_size: 0
    .sgpr_count:     0
    .sgpr_spill_count: 0
    .symbol:         _ZN7rocprim17ROCPRIM_400000_NS6detail17trampoline_kernelINS0_14default_configENS1_27scan_by_key_config_selectorIxxEEZZNS1_16scan_by_key_implILNS1_25lookback_scan_determinismE0ELb1ES3_N6thrust23THRUST_200600_302600_NS6detail15normal_iteratorINS9_10device_ptrIxEEEESE_SE_xNS9_4plusIxEE19head_flag_predicatexEE10hipError_tPvRmT2_T3_T4_T5_mT6_T7_P12ihipStream_tbENKUlT_T0_E_clISt17integral_constantIbLb1EESX_IbLb0EEEEDaST_SU_EUlST_E_NS1_11comp_targetILNS1_3genE10ELNS1_11target_archE1201ELNS1_3gpuE5ELNS1_3repE0EEENS1_30default_config_static_selectorELNS0_4arch9wavefront6targetE0EEEvT1_.kd
    .uniform_work_group_size: 1
    .uses_dynamic_stack: false
    .vgpr_count:     0
    .vgpr_spill_count: 0
    .wavefront_size: 32
    .workgroup_processor_mode: 1
  - .args:
      - .offset:         0
        .size:           136
        .value_kind:     by_value
    .group_segment_fixed_size: 0
    .kernarg_segment_align: 8
    .kernarg_segment_size: 136
    .language:       OpenCL C
    .language_version:
      - 2
      - 0
    .max_flat_workgroup_size: 256
    .name:           _ZN7rocprim17ROCPRIM_400000_NS6detail17trampoline_kernelINS0_14default_configENS1_27scan_by_key_config_selectorIxxEEZZNS1_16scan_by_key_implILNS1_25lookback_scan_determinismE0ELb1ES3_N6thrust23THRUST_200600_302600_NS6detail15normal_iteratorINS9_10device_ptrIxEEEESE_SE_xNS9_4plusIxEE19head_flag_predicatexEE10hipError_tPvRmT2_T3_T4_T5_mT6_T7_P12ihipStream_tbENKUlT_T0_E_clISt17integral_constantIbLb1EESX_IbLb0EEEEDaST_SU_EUlST_E_NS1_11comp_targetILNS1_3genE5ELNS1_11target_archE942ELNS1_3gpuE9ELNS1_3repE0EEENS1_30default_config_static_selectorELNS0_4arch9wavefront6targetE0EEEvT1_
    .private_segment_fixed_size: 0
    .sgpr_count:     0
    .sgpr_spill_count: 0
    .symbol:         _ZN7rocprim17ROCPRIM_400000_NS6detail17trampoline_kernelINS0_14default_configENS1_27scan_by_key_config_selectorIxxEEZZNS1_16scan_by_key_implILNS1_25lookback_scan_determinismE0ELb1ES3_N6thrust23THRUST_200600_302600_NS6detail15normal_iteratorINS9_10device_ptrIxEEEESE_SE_xNS9_4plusIxEE19head_flag_predicatexEE10hipError_tPvRmT2_T3_T4_T5_mT6_T7_P12ihipStream_tbENKUlT_T0_E_clISt17integral_constantIbLb1EESX_IbLb0EEEEDaST_SU_EUlST_E_NS1_11comp_targetILNS1_3genE5ELNS1_11target_archE942ELNS1_3gpuE9ELNS1_3repE0EEENS1_30default_config_static_selectorELNS0_4arch9wavefront6targetE0EEEvT1_.kd
    .uniform_work_group_size: 1
    .uses_dynamic_stack: false
    .vgpr_count:     0
    .vgpr_spill_count: 0
    .wavefront_size: 32
    .workgroup_processor_mode: 1
  - .args:
      - .offset:         0
        .size:           136
        .value_kind:     by_value
    .group_segment_fixed_size: 0
    .kernarg_segment_align: 8
    .kernarg_segment_size: 136
    .language:       OpenCL C
    .language_version:
      - 2
      - 0
    .max_flat_workgroup_size: 64
    .name:           _ZN7rocprim17ROCPRIM_400000_NS6detail17trampoline_kernelINS0_14default_configENS1_27scan_by_key_config_selectorIxxEEZZNS1_16scan_by_key_implILNS1_25lookback_scan_determinismE0ELb1ES3_N6thrust23THRUST_200600_302600_NS6detail15normal_iteratorINS9_10device_ptrIxEEEESE_SE_xNS9_4plusIxEE19head_flag_predicatexEE10hipError_tPvRmT2_T3_T4_T5_mT6_T7_P12ihipStream_tbENKUlT_T0_E_clISt17integral_constantIbLb1EESX_IbLb0EEEEDaST_SU_EUlST_E_NS1_11comp_targetILNS1_3genE4ELNS1_11target_archE910ELNS1_3gpuE8ELNS1_3repE0EEENS1_30default_config_static_selectorELNS0_4arch9wavefront6targetE0EEEvT1_
    .private_segment_fixed_size: 0
    .sgpr_count:     0
    .sgpr_spill_count: 0
    .symbol:         _ZN7rocprim17ROCPRIM_400000_NS6detail17trampoline_kernelINS0_14default_configENS1_27scan_by_key_config_selectorIxxEEZZNS1_16scan_by_key_implILNS1_25lookback_scan_determinismE0ELb1ES3_N6thrust23THRUST_200600_302600_NS6detail15normal_iteratorINS9_10device_ptrIxEEEESE_SE_xNS9_4plusIxEE19head_flag_predicatexEE10hipError_tPvRmT2_T3_T4_T5_mT6_T7_P12ihipStream_tbENKUlT_T0_E_clISt17integral_constantIbLb1EESX_IbLb0EEEEDaST_SU_EUlST_E_NS1_11comp_targetILNS1_3genE4ELNS1_11target_archE910ELNS1_3gpuE8ELNS1_3repE0EEENS1_30default_config_static_selectorELNS0_4arch9wavefront6targetE0EEEvT1_.kd
    .uniform_work_group_size: 1
    .uses_dynamic_stack: false
    .vgpr_count:     0
    .vgpr_spill_count: 0
    .wavefront_size: 32
    .workgroup_processor_mode: 1
  - .args:
      - .offset:         0
        .size:           136
        .value_kind:     by_value
    .group_segment_fixed_size: 0
    .kernarg_segment_align: 8
    .kernarg_segment_size: 136
    .language:       OpenCL C
    .language_version:
      - 2
      - 0
    .max_flat_workgroup_size: 256
    .name:           _ZN7rocprim17ROCPRIM_400000_NS6detail17trampoline_kernelINS0_14default_configENS1_27scan_by_key_config_selectorIxxEEZZNS1_16scan_by_key_implILNS1_25lookback_scan_determinismE0ELb1ES3_N6thrust23THRUST_200600_302600_NS6detail15normal_iteratorINS9_10device_ptrIxEEEESE_SE_xNS9_4plusIxEE19head_flag_predicatexEE10hipError_tPvRmT2_T3_T4_T5_mT6_T7_P12ihipStream_tbENKUlT_T0_E_clISt17integral_constantIbLb1EESX_IbLb0EEEEDaST_SU_EUlST_E_NS1_11comp_targetILNS1_3genE3ELNS1_11target_archE908ELNS1_3gpuE7ELNS1_3repE0EEENS1_30default_config_static_selectorELNS0_4arch9wavefront6targetE0EEEvT1_
    .private_segment_fixed_size: 0
    .sgpr_count:     0
    .sgpr_spill_count: 0
    .symbol:         _ZN7rocprim17ROCPRIM_400000_NS6detail17trampoline_kernelINS0_14default_configENS1_27scan_by_key_config_selectorIxxEEZZNS1_16scan_by_key_implILNS1_25lookback_scan_determinismE0ELb1ES3_N6thrust23THRUST_200600_302600_NS6detail15normal_iteratorINS9_10device_ptrIxEEEESE_SE_xNS9_4plusIxEE19head_flag_predicatexEE10hipError_tPvRmT2_T3_T4_T5_mT6_T7_P12ihipStream_tbENKUlT_T0_E_clISt17integral_constantIbLb1EESX_IbLb0EEEEDaST_SU_EUlST_E_NS1_11comp_targetILNS1_3genE3ELNS1_11target_archE908ELNS1_3gpuE7ELNS1_3repE0EEENS1_30default_config_static_selectorELNS0_4arch9wavefront6targetE0EEEvT1_.kd
    .uniform_work_group_size: 1
    .uses_dynamic_stack: false
    .vgpr_count:     0
    .vgpr_spill_count: 0
    .wavefront_size: 32
    .workgroup_processor_mode: 1
  - .args:
      - .offset:         0
        .size:           136
        .value_kind:     by_value
    .group_segment_fixed_size: 0
    .kernarg_segment_align: 8
    .kernarg_segment_size: 136
    .language:       OpenCL C
    .language_version:
      - 2
      - 0
    .max_flat_workgroup_size: 256
    .name:           _ZN7rocprim17ROCPRIM_400000_NS6detail17trampoline_kernelINS0_14default_configENS1_27scan_by_key_config_selectorIxxEEZZNS1_16scan_by_key_implILNS1_25lookback_scan_determinismE0ELb1ES3_N6thrust23THRUST_200600_302600_NS6detail15normal_iteratorINS9_10device_ptrIxEEEESE_SE_xNS9_4plusIxEE19head_flag_predicatexEE10hipError_tPvRmT2_T3_T4_T5_mT6_T7_P12ihipStream_tbENKUlT_T0_E_clISt17integral_constantIbLb1EESX_IbLb0EEEEDaST_SU_EUlST_E_NS1_11comp_targetILNS1_3genE2ELNS1_11target_archE906ELNS1_3gpuE6ELNS1_3repE0EEENS1_30default_config_static_selectorELNS0_4arch9wavefront6targetE0EEEvT1_
    .private_segment_fixed_size: 0
    .sgpr_count:     0
    .sgpr_spill_count: 0
    .symbol:         _ZN7rocprim17ROCPRIM_400000_NS6detail17trampoline_kernelINS0_14default_configENS1_27scan_by_key_config_selectorIxxEEZZNS1_16scan_by_key_implILNS1_25lookback_scan_determinismE0ELb1ES3_N6thrust23THRUST_200600_302600_NS6detail15normal_iteratorINS9_10device_ptrIxEEEESE_SE_xNS9_4plusIxEE19head_flag_predicatexEE10hipError_tPvRmT2_T3_T4_T5_mT6_T7_P12ihipStream_tbENKUlT_T0_E_clISt17integral_constantIbLb1EESX_IbLb0EEEEDaST_SU_EUlST_E_NS1_11comp_targetILNS1_3genE2ELNS1_11target_archE906ELNS1_3gpuE6ELNS1_3repE0EEENS1_30default_config_static_selectorELNS0_4arch9wavefront6targetE0EEEvT1_.kd
    .uniform_work_group_size: 1
    .uses_dynamic_stack: false
    .vgpr_count:     0
    .vgpr_spill_count: 0
    .wavefront_size: 32
    .workgroup_processor_mode: 1
  - .args:
      - .offset:         0
        .size:           136
        .value_kind:     by_value
    .group_segment_fixed_size: 0
    .kernarg_segment_align: 8
    .kernarg_segment_size: 136
    .language:       OpenCL C
    .language_version:
      - 2
      - 0
    .max_flat_workgroup_size: 256
    .name:           _ZN7rocprim17ROCPRIM_400000_NS6detail17trampoline_kernelINS0_14default_configENS1_27scan_by_key_config_selectorIxxEEZZNS1_16scan_by_key_implILNS1_25lookback_scan_determinismE0ELb1ES3_N6thrust23THRUST_200600_302600_NS6detail15normal_iteratorINS9_10device_ptrIxEEEESE_SE_xNS9_4plusIxEE19head_flag_predicatexEE10hipError_tPvRmT2_T3_T4_T5_mT6_T7_P12ihipStream_tbENKUlT_T0_E_clISt17integral_constantIbLb1EESX_IbLb0EEEEDaST_SU_EUlST_E_NS1_11comp_targetILNS1_3genE10ELNS1_11target_archE1200ELNS1_3gpuE4ELNS1_3repE0EEENS1_30default_config_static_selectorELNS0_4arch9wavefront6targetE0EEEvT1_
    .private_segment_fixed_size: 0
    .sgpr_count:     0
    .sgpr_spill_count: 0
    .symbol:         _ZN7rocprim17ROCPRIM_400000_NS6detail17trampoline_kernelINS0_14default_configENS1_27scan_by_key_config_selectorIxxEEZZNS1_16scan_by_key_implILNS1_25lookback_scan_determinismE0ELb1ES3_N6thrust23THRUST_200600_302600_NS6detail15normal_iteratorINS9_10device_ptrIxEEEESE_SE_xNS9_4plusIxEE19head_flag_predicatexEE10hipError_tPvRmT2_T3_T4_T5_mT6_T7_P12ihipStream_tbENKUlT_T0_E_clISt17integral_constantIbLb1EESX_IbLb0EEEEDaST_SU_EUlST_E_NS1_11comp_targetILNS1_3genE10ELNS1_11target_archE1200ELNS1_3gpuE4ELNS1_3repE0EEENS1_30default_config_static_selectorELNS0_4arch9wavefront6targetE0EEEvT1_.kd
    .uniform_work_group_size: 1
    .uses_dynamic_stack: false
    .vgpr_count:     0
    .vgpr_spill_count: 0
    .wavefront_size: 32
    .workgroup_processor_mode: 1
  - .args:
      - .offset:         0
        .size:           136
        .value_kind:     by_value
    .group_segment_fixed_size: 0
    .kernarg_segment_align: 8
    .kernarg_segment_size: 136
    .language:       OpenCL C
    .language_version:
      - 2
      - 0
    .max_flat_workgroup_size: 256
    .name:           _ZN7rocprim17ROCPRIM_400000_NS6detail17trampoline_kernelINS0_14default_configENS1_27scan_by_key_config_selectorIxxEEZZNS1_16scan_by_key_implILNS1_25lookback_scan_determinismE0ELb1ES3_N6thrust23THRUST_200600_302600_NS6detail15normal_iteratorINS9_10device_ptrIxEEEESE_SE_xNS9_4plusIxEE19head_flag_predicatexEE10hipError_tPvRmT2_T3_T4_T5_mT6_T7_P12ihipStream_tbENKUlT_T0_E_clISt17integral_constantIbLb1EESX_IbLb0EEEEDaST_SU_EUlST_E_NS1_11comp_targetILNS1_3genE9ELNS1_11target_archE1100ELNS1_3gpuE3ELNS1_3repE0EEENS1_30default_config_static_selectorELNS0_4arch9wavefront6targetE0EEEvT1_
    .private_segment_fixed_size: 0
    .sgpr_count:     0
    .sgpr_spill_count: 0
    .symbol:         _ZN7rocprim17ROCPRIM_400000_NS6detail17trampoline_kernelINS0_14default_configENS1_27scan_by_key_config_selectorIxxEEZZNS1_16scan_by_key_implILNS1_25lookback_scan_determinismE0ELb1ES3_N6thrust23THRUST_200600_302600_NS6detail15normal_iteratorINS9_10device_ptrIxEEEESE_SE_xNS9_4plusIxEE19head_flag_predicatexEE10hipError_tPvRmT2_T3_T4_T5_mT6_T7_P12ihipStream_tbENKUlT_T0_E_clISt17integral_constantIbLb1EESX_IbLb0EEEEDaST_SU_EUlST_E_NS1_11comp_targetILNS1_3genE9ELNS1_11target_archE1100ELNS1_3gpuE3ELNS1_3repE0EEENS1_30default_config_static_selectorELNS0_4arch9wavefront6targetE0EEEvT1_.kd
    .uniform_work_group_size: 1
    .uses_dynamic_stack: false
    .vgpr_count:     0
    .vgpr_spill_count: 0
    .wavefront_size: 32
    .workgroup_processor_mode: 1
  - .args:
      - .offset:         0
        .size:           136
        .value_kind:     by_value
    .group_segment_fixed_size: 0
    .kernarg_segment_align: 8
    .kernarg_segment_size: 136
    .language:       OpenCL C
    .language_version:
      - 2
      - 0
    .max_flat_workgroup_size: 256
    .name:           _ZN7rocprim17ROCPRIM_400000_NS6detail17trampoline_kernelINS0_14default_configENS1_27scan_by_key_config_selectorIxxEEZZNS1_16scan_by_key_implILNS1_25lookback_scan_determinismE0ELb1ES3_N6thrust23THRUST_200600_302600_NS6detail15normal_iteratorINS9_10device_ptrIxEEEESE_SE_xNS9_4plusIxEE19head_flag_predicatexEE10hipError_tPvRmT2_T3_T4_T5_mT6_T7_P12ihipStream_tbENKUlT_T0_E_clISt17integral_constantIbLb1EESX_IbLb0EEEEDaST_SU_EUlST_E_NS1_11comp_targetILNS1_3genE8ELNS1_11target_archE1030ELNS1_3gpuE2ELNS1_3repE0EEENS1_30default_config_static_selectorELNS0_4arch9wavefront6targetE0EEEvT1_
    .private_segment_fixed_size: 0
    .sgpr_count:     0
    .sgpr_spill_count: 0
    .symbol:         _ZN7rocprim17ROCPRIM_400000_NS6detail17trampoline_kernelINS0_14default_configENS1_27scan_by_key_config_selectorIxxEEZZNS1_16scan_by_key_implILNS1_25lookback_scan_determinismE0ELb1ES3_N6thrust23THRUST_200600_302600_NS6detail15normal_iteratorINS9_10device_ptrIxEEEESE_SE_xNS9_4plusIxEE19head_flag_predicatexEE10hipError_tPvRmT2_T3_T4_T5_mT6_T7_P12ihipStream_tbENKUlT_T0_E_clISt17integral_constantIbLb1EESX_IbLb0EEEEDaST_SU_EUlST_E_NS1_11comp_targetILNS1_3genE8ELNS1_11target_archE1030ELNS1_3gpuE2ELNS1_3repE0EEENS1_30default_config_static_selectorELNS0_4arch9wavefront6targetE0EEEvT1_.kd
    .uniform_work_group_size: 1
    .uses_dynamic_stack: false
    .vgpr_count:     0
    .vgpr_spill_count: 0
    .wavefront_size: 32
    .workgroup_processor_mode: 1
  - .args:
      - .offset:         0
        .size:           136
        .value_kind:     by_value
    .group_segment_fixed_size: 0
    .kernarg_segment_align: 8
    .kernarg_segment_size: 136
    .language:       OpenCL C
    .language_version:
      - 2
      - 0
    .max_flat_workgroup_size: 256
    .name:           _ZN7rocprim17ROCPRIM_400000_NS6detail17trampoline_kernelINS0_14default_configENS1_27scan_by_key_config_selectorIxxEEZZNS1_16scan_by_key_implILNS1_25lookback_scan_determinismE0ELb1ES3_N6thrust23THRUST_200600_302600_NS6detail15normal_iteratorINS9_10device_ptrIxEEEESE_SE_xNS9_4plusIxEE19head_flag_predicatexEE10hipError_tPvRmT2_T3_T4_T5_mT6_T7_P12ihipStream_tbENKUlT_T0_E_clISt17integral_constantIbLb0EESX_IbLb1EEEEDaST_SU_EUlST_E_NS1_11comp_targetILNS1_3genE0ELNS1_11target_archE4294967295ELNS1_3gpuE0ELNS1_3repE0EEENS1_30default_config_static_selectorELNS0_4arch9wavefront6targetE0EEEvT1_
    .private_segment_fixed_size: 0
    .sgpr_count:     0
    .sgpr_spill_count: 0
    .symbol:         _ZN7rocprim17ROCPRIM_400000_NS6detail17trampoline_kernelINS0_14default_configENS1_27scan_by_key_config_selectorIxxEEZZNS1_16scan_by_key_implILNS1_25lookback_scan_determinismE0ELb1ES3_N6thrust23THRUST_200600_302600_NS6detail15normal_iteratorINS9_10device_ptrIxEEEESE_SE_xNS9_4plusIxEE19head_flag_predicatexEE10hipError_tPvRmT2_T3_T4_T5_mT6_T7_P12ihipStream_tbENKUlT_T0_E_clISt17integral_constantIbLb0EESX_IbLb1EEEEDaST_SU_EUlST_E_NS1_11comp_targetILNS1_3genE0ELNS1_11target_archE4294967295ELNS1_3gpuE0ELNS1_3repE0EEENS1_30default_config_static_selectorELNS0_4arch9wavefront6targetE0EEEvT1_.kd
    .uniform_work_group_size: 1
    .uses_dynamic_stack: false
    .vgpr_count:     0
    .vgpr_spill_count: 0
    .wavefront_size: 32
    .workgroup_processor_mode: 1
  - .args:
      - .offset:         0
        .size:           136
        .value_kind:     by_value
    .group_segment_fixed_size: 0
    .kernarg_segment_align: 8
    .kernarg_segment_size: 136
    .language:       OpenCL C
    .language_version:
      - 2
      - 0
    .max_flat_workgroup_size: 256
    .name:           _ZN7rocprim17ROCPRIM_400000_NS6detail17trampoline_kernelINS0_14default_configENS1_27scan_by_key_config_selectorIxxEEZZNS1_16scan_by_key_implILNS1_25lookback_scan_determinismE0ELb1ES3_N6thrust23THRUST_200600_302600_NS6detail15normal_iteratorINS9_10device_ptrIxEEEESE_SE_xNS9_4plusIxEE19head_flag_predicatexEE10hipError_tPvRmT2_T3_T4_T5_mT6_T7_P12ihipStream_tbENKUlT_T0_E_clISt17integral_constantIbLb0EESX_IbLb1EEEEDaST_SU_EUlST_E_NS1_11comp_targetILNS1_3genE10ELNS1_11target_archE1201ELNS1_3gpuE5ELNS1_3repE0EEENS1_30default_config_static_selectorELNS0_4arch9wavefront6targetE0EEEvT1_
    .private_segment_fixed_size: 0
    .sgpr_count:     0
    .sgpr_spill_count: 0
    .symbol:         _ZN7rocprim17ROCPRIM_400000_NS6detail17trampoline_kernelINS0_14default_configENS1_27scan_by_key_config_selectorIxxEEZZNS1_16scan_by_key_implILNS1_25lookback_scan_determinismE0ELb1ES3_N6thrust23THRUST_200600_302600_NS6detail15normal_iteratorINS9_10device_ptrIxEEEESE_SE_xNS9_4plusIxEE19head_flag_predicatexEE10hipError_tPvRmT2_T3_T4_T5_mT6_T7_P12ihipStream_tbENKUlT_T0_E_clISt17integral_constantIbLb0EESX_IbLb1EEEEDaST_SU_EUlST_E_NS1_11comp_targetILNS1_3genE10ELNS1_11target_archE1201ELNS1_3gpuE5ELNS1_3repE0EEENS1_30default_config_static_selectorELNS0_4arch9wavefront6targetE0EEEvT1_.kd
    .uniform_work_group_size: 1
    .uses_dynamic_stack: false
    .vgpr_count:     0
    .vgpr_spill_count: 0
    .wavefront_size: 32
    .workgroup_processor_mode: 1
  - .args:
      - .offset:         0
        .size:           136
        .value_kind:     by_value
    .group_segment_fixed_size: 0
    .kernarg_segment_align: 8
    .kernarg_segment_size: 136
    .language:       OpenCL C
    .language_version:
      - 2
      - 0
    .max_flat_workgroup_size: 256
    .name:           _ZN7rocprim17ROCPRIM_400000_NS6detail17trampoline_kernelINS0_14default_configENS1_27scan_by_key_config_selectorIxxEEZZNS1_16scan_by_key_implILNS1_25lookback_scan_determinismE0ELb1ES3_N6thrust23THRUST_200600_302600_NS6detail15normal_iteratorINS9_10device_ptrIxEEEESE_SE_xNS9_4plusIxEE19head_flag_predicatexEE10hipError_tPvRmT2_T3_T4_T5_mT6_T7_P12ihipStream_tbENKUlT_T0_E_clISt17integral_constantIbLb0EESX_IbLb1EEEEDaST_SU_EUlST_E_NS1_11comp_targetILNS1_3genE5ELNS1_11target_archE942ELNS1_3gpuE9ELNS1_3repE0EEENS1_30default_config_static_selectorELNS0_4arch9wavefront6targetE0EEEvT1_
    .private_segment_fixed_size: 0
    .sgpr_count:     0
    .sgpr_spill_count: 0
    .symbol:         _ZN7rocprim17ROCPRIM_400000_NS6detail17trampoline_kernelINS0_14default_configENS1_27scan_by_key_config_selectorIxxEEZZNS1_16scan_by_key_implILNS1_25lookback_scan_determinismE0ELb1ES3_N6thrust23THRUST_200600_302600_NS6detail15normal_iteratorINS9_10device_ptrIxEEEESE_SE_xNS9_4plusIxEE19head_flag_predicatexEE10hipError_tPvRmT2_T3_T4_T5_mT6_T7_P12ihipStream_tbENKUlT_T0_E_clISt17integral_constantIbLb0EESX_IbLb1EEEEDaST_SU_EUlST_E_NS1_11comp_targetILNS1_3genE5ELNS1_11target_archE942ELNS1_3gpuE9ELNS1_3repE0EEENS1_30default_config_static_selectorELNS0_4arch9wavefront6targetE0EEEvT1_.kd
    .uniform_work_group_size: 1
    .uses_dynamic_stack: false
    .vgpr_count:     0
    .vgpr_spill_count: 0
    .wavefront_size: 32
    .workgroup_processor_mode: 1
  - .args:
      - .offset:         0
        .size:           136
        .value_kind:     by_value
    .group_segment_fixed_size: 0
    .kernarg_segment_align: 8
    .kernarg_segment_size: 136
    .language:       OpenCL C
    .language_version:
      - 2
      - 0
    .max_flat_workgroup_size: 64
    .name:           _ZN7rocprim17ROCPRIM_400000_NS6detail17trampoline_kernelINS0_14default_configENS1_27scan_by_key_config_selectorIxxEEZZNS1_16scan_by_key_implILNS1_25lookback_scan_determinismE0ELb1ES3_N6thrust23THRUST_200600_302600_NS6detail15normal_iteratorINS9_10device_ptrIxEEEESE_SE_xNS9_4plusIxEE19head_flag_predicatexEE10hipError_tPvRmT2_T3_T4_T5_mT6_T7_P12ihipStream_tbENKUlT_T0_E_clISt17integral_constantIbLb0EESX_IbLb1EEEEDaST_SU_EUlST_E_NS1_11comp_targetILNS1_3genE4ELNS1_11target_archE910ELNS1_3gpuE8ELNS1_3repE0EEENS1_30default_config_static_selectorELNS0_4arch9wavefront6targetE0EEEvT1_
    .private_segment_fixed_size: 0
    .sgpr_count:     0
    .sgpr_spill_count: 0
    .symbol:         _ZN7rocprim17ROCPRIM_400000_NS6detail17trampoline_kernelINS0_14default_configENS1_27scan_by_key_config_selectorIxxEEZZNS1_16scan_by_key_implILNS1_25lookback_scan_determinismE0ELb1ES3_N6thrust23THRUST_200600_302600_NS6detail15normal_iteratorINS9_10device_ptrIxEEEESE_SE_xNS9_4plusIxEE19head_flag_predicatexEE10hipError_tPvRmT2_T3_T4_T5_mT6_T7_P12ihipStream_tbENKUlT_T0_E_clISt17integral_constantIbLb0EESX_IbLb1EEEEDaST_SU_EUlST_E_NS1_11comp_targetILNS1_3genE4ELNS1_11target_archE910ELNS1_3gpuE8ELNS1_3repE0EEENS1_30default_config_static_selectorELNS0_4arch9wavefront6targetE0EEEvT1_.kd
    .uniform_work_group_size: 1
    .uses_dynamic_stack: false
    .vgpr_count:     0
    .vgpr_spill_count: 0
    .wavefront_size: 32
    .workgroup_processor_mode: 1
  - .args:
      - .offset:         0
        .size:           136
        .value_kind:     by_value
    .group_segment_fixed_size: 0
    .kernarg_segment_align: 8
    .kernarg_segment_size: 136
    .language:       OpenCL C
    .language_version:
      - 2
      - 0
    .max_flat_workgroup_size: 256
    .name:           _ZN7rocprim17ROCPRIM_400000_NS6detail17trampoline_kernelINS0_14default_configENS1_27scan_by_key_config_selectorIxxEEZZNS1_16scan_by_key_implILNS1_25lookback_scan_determinismE0ELb1ES3_N6thrust23THRUST_200600_302600_NS6detail15normal_iteratorINS9_10device_ptrIxEEEESE_SE_xNS9_4plusIxEE19head_flag_predicatexEE10hipError_tPvRmT2_T3_T4_T5_mT6_T7_P12ihipStream_tbENKUlT_T0_E_clISt17integral_constantIbLb0EESX_IbLb1EEEEDaST_SU_EUlST_E_NS1_11comp_targetILNS1_3genE3ELNS1_11target_archE908ELNS1_3gpuE7ELNS1_3repE0EEENS1_30default_config_static_selectorELNS0_4arch9wavefront6targetE0EEEvT1_
    .private_segment_fixed_size: 0
    .sgpr_count:     0
    .sgpr_spill_count: 0
    .symbol:         _ZN7rocprim17ROCPRIM_400000_NS6detail17trampoline_kernelINS0_14default_configENS1_27scan_by_key_config_selectorIxxEEZZNS1_16scan_by_key_implILNS1_25lookback_scan_determinismE0ELb1ES3_N6thrust23THRUST_200600_302600_NS6detail15normal_iteratorINS9_10device_ptrIxEEEESE_SE_xNS9_4plusIxEE19head_flag_predicatexEE10hipError_tPvRmT2_T3_T4_T5_mT6_T7_P12ihipStream_tbENKUlT_T0_E_clISt17integral_constantIbLb0EESX_IbLb1EEEEDaST_SU_EUlST_E_NS1_11comp_targetILNS1_3genE3ELNS1_11target_archE908ELNS1_3gpuE7ELNS1_3repE0EEENS1_30default_config_static_selectorELNS0_4arch9wavefront6targetE0EEEvT1_.kd
    .uniform_work_group_size: 1
    .uses_dynamic_stack: false
    .vgpr_count:     0
    .vgpr_spill_count: 0
    .wavefront_size: 32
    .workgroup_processor_mode: 1
  - .args:
      - .offset:         0
        .size:           136
        .value_kind:     by_value
    .group_segment_fixed_size: 0
    .kernarg_segment_align: 8
    .kernarg_segment_size: 136
    .language:       OpenCL C
    .language_version:
      - 2
      - 0
    .max_flat_workgroup_size: 256
    .name:           _ZN7rocprim17ROCPRIM_400000_NS6detail17trampoline_kernelINS0_14default_configENS1_27scan_by_key_config_selectorIxxEEZZNS1_16scan_by_key_implILNS1_25lookback_scan_determinismE0ELb1ES3_N6thrust23THRUST_200600_302600_NS6detail15normal_iteratorINS9_10device_ptrIxEEEESE_SE_xNS9_4plusIxEE19head_flag_predicatexEE10hipError_tPvRmT2_T3_T4_T5_mT6_T7_P12ihipStream_tbENKUlT_T0_E_clISt17integral_constantIbLb0EESX_IbLb1EEEEDaST_SU_EUlST_E_NS1_11comp_targetILNS1_3genE2ELNS1_11target_archE906ELNS1_3gpuE6ELNS1_3repE0EEENS1_30default_config_static_selectorELNS0_4arch9wavefront6targetE0EEEvT1_
    .private_segment_fixed_size: 0
    .sgpr_count:     0
    .sgpr_spill_count: 0
    .symbol:         _ZN7rocprim17ROCPRIM_400000_NS6detail17trampoline_kernelINS0_14default_configENS1_27scan_by_key_config_selectorIxxEEZZNS1_16scan_by_key_implILNS1_25lookback_scan_determinismE0ELb1ES3_N6thrust23THRUST_200600_302600_NS6detail15normal_iteratorINS9_10device_ptrIxEEEESE_SE_xNS9_4plusIxEE19head_flag_predicatexEE10hipError_tPvRmT2_T3_T4_T5_mT6_T7_P12ihipStream_tbENKUlT_T0_E_clISt17integral_constantIbLb0EESX_IbLb1EEEEDaST_SU_EUlST_E_NS1_11comp_targetILNS1_3genE2ELNS1_11target_archE906ELNS1_3gpuE6ELNS1_3repE0EEENS1_30default_config_static_selectorELNS0_4arch9wavefront6targetE0EEEvT1_.kd
    .uniform_work_group_size: 1
    .uses_dynamic_stack: false
    .vgpr_count:     0
    .vgpr_spill_count: 0
    .wavefront_size: 32
    .workgroup_processor_mode: 1
  - .args:
      - .offset:         0
        .size:           136
        .value_kind:     by_value
    .group_segment_fixed_size: 0
    .kernarg_segment_align: 8
    .kernarg_segment_size: 136
    .language:       OpenCL C
    .language_version:
      - 2
      - 0
    .max_flat_workgroup_size: 256
    .name:           _ZN7rocprim17ROCPRIM_400000_NS6detail17trampoline_kernelINS0_14default_configENS1_27scan_by_key_config_selectorIxxEEZZNS1_16scan_by_key_implILNS1_25lookback_scan_determinismE0ELb1ES3_N6thrust23THRUST_200600_302600_NS6detail15normal_iteratorINS9_10device_ptrIxEEEESE_SE_xNS9_4plusIxEE19head_flag_predicatexEE10hipError_tPvRmT2_T3_T4_T5_mT6_T7_P12ihipStream_tbENKUlT_T0_E_clISt17integral_constantIbLb0EESX_IbLb1EEEEDaST_SU_EUlST_E_NS1_11comp_targetILNS1_3genE10ELNS1_11target_archE1200ELNS1_3gpuE4ELNS1_3repE0EEENS1_30default_config_static_selectorELNS0_4arch9wavefront6targetE0EEEvT1_
    .private_segment_fixed_size: 0
    .sgpr_count:     0
    .sgpr_spill_count: 0
    .symbol:         _ZN7rocprim17ROCPRIM_400000_NS6detail17trampoline_kernelINS0_14default_configENS1_27scan_by_key_config_selectorIxxEEZZNS1_16scan_by_key_implILNS1_25lookback_scan_determinismE0ELb1ES3_N6thrust23THRUST_200600_302600_NS6detail15normal_iteratorINS9_10device_ptrIxEEEESE_SE_xNS9_4plusIxEE19head_flag_predicatexEE10hipError_tPvRmT2_T3_T4_T5_mT6_T7_P12ihipStream_tbENKUlT_T0_E_clISt17integral_constantIbLb0EESX_IbLb1EEEEDaST_SU_EUlST_E_NS1_11comp_targetILNS1_3genE10ELNS1_11target_archE1200ELNS1_3gpuE4ELNS1_3repE0EEENS1_30default_config_static_selectorELNS0_4arch9wavefront6targetE0EEEvT1_.kd
    .uniform_work_group_size: 1
    .uses_dynamic_stack: false
    .vgpr_count:     0
    .vgpr_spill_count: 0
    .wavefront_size: 32
    .workgroup_processor_mode: 1
  - .args:
      - .offset:         0
        .size:           136
        .value_kind:     by_value
    .group_segment_fixed_size: 0
    .kernarg_segment_align: 8
    .kernarg_segment_size: 136
    .language:       OpenCL C
    .language_version:
      - 2
      - 0
    .max_flat_workgroup_size: 256
    .name:           _ZN7rocprim17ROCPRIM_400000_NS6detail17trampoline_kernelINS0_14default_configENS1_27scan_by_key_config_selectorIxxEEZZNS1_16scan_by_key_implILNS1_25lookback_scan_determinismE0ELb1ES3_N6thrust23THRUST_200600_302600_NS6detail15normal_iteratorINS9_10device_ptrIxEEEESE_SE_xNS9_4plusIxEE19head_flag_predicatexEE10hipError_tPvRmT2_T3_T4_T5_mT6_T7_P12ihipStream_tbENKUlT_T0_E_clISt17integral_constantIbLb0EESX_IbLb1EEEEDaST_SU_EUlST_E_NS1_11comp_targetILNS1_3genE9ELNS1_11target_archE1100ELNS1_3gpuE3ELNS1_3repE0EEENS1_30default_config_static_selectorELNS0_4arch9wavefront6targetE0EEEvT1_
    .private_segment_fixed_size: 0
    .sgpr_count:     0
    .sgpr_spill_count: 0
    .symbol:         _ZN7rocprim17ROCPRIM_400000_NS6detail17trampoline_kernelINS0_14default_configENS1_27scan_by_key_config_selectorIxxEEZZNS1_16scan_by_key_implILNS1_25lookback_scan_determinismE0ELb1ES3_N6thrust23THRUST_200600_302600_NS6detail15normal_iteratorINS9_10device_ptrIxEEEESE_SE_xNS9_4plusIxEE19head_flag_predicatexEE10hipError_tPvRmT2_T3_T4_T5_mT6_T7_P12ihipStream_tbENKUlT_T0_E_clISt17integral_constantIbLb0EESX_IbLb1EEEEDaST_SU_EUlST_E_NS1_11comp_targetILNS1_3genE9ELNS1_11target_archE1100ELNS1_3gpuE3ELNS1_3repE0EEENS1_30default_config_static_selectorELNS0_4arch9wavefront6targetE0EEEvT1_.kd
    .uniform_work_group_size: 1
    .uses_dynamic_stack: false
    .vgpr_count:     0
    .vgpr_spill_count: 0
    .wavefront_size: 32
    .workgroup_processor_mode: 1
  - .args:
      - .offset:         0
        .size:           136
        .value_kind:     by_value
    .group_segment_fixed_size: 30720
    .kernarg_segment_align: 8
    .kernarg_segment_size: 136
    .language:       OpenCL C
    .language_version:
      - 2
      - 0
    .max_flat_workgroup_size: 256
    .name:           _ZN7rocprim17ROCPRIM_400000_NS6detail17trampoline_kernelINS0_14default_configENS1_27scan_by_key_config_selectorIxxEEZZNS1_16scan_by_key_implILNS1_25lookback_scan_determinismE0ELb1ES3_N6thrust23THRUST_200600_302600_NS6detail15normal_iteratorINS9_10device_ptrIxEEEESE_SE_xNS9_4plusIxEE19head_flag_predicatexEE10hipError_tPvRmT2_T3_T4_T5_mT6_T7_P12ihipStream_tbENKUlT_T0_E_clISt17integral_constantIbLb0EESX_IbLb1EEEEDaST_SU_EUlST_E_NS1_11comp_targetILNS1_3genE8ELNS1_11target_archE1030ELNS1_3gpuE2ELNS1_3repE0EEENS1_30default_config_static_selectorELNS0_4arch9wavefront6targetE0EEEvT1_
    .private_segment_fixed_size: 0
    .sgpr_count:     53
    .sgpr_spill_count: 0
    .symbol:         _ZN7rocprim17ROCPRIM_400000_NS6detail17trampoline_kernelINS0_14default_configENS1_27scan_by_key_config_selectorIxxEEZZNS1_16scan_by_key_implILNS1_25lookback_scan_determinismE0ELb1ES3_N6thrust23THRUST_200600_302600_NS6detail15normal_iteratorINS9_10device_ptrIxEEEESE_SE_xNS9_4plusIxEE19head_flag_predicatexEE10hipError_tPvRmT2_T3_T4_T5_mT6_T7_P12ihipStream_tbENKUlT_T0_E_clISt17integral_constantIbLb0EESX_IbLb1EEEEDaST_SU_EUlST_E_NS1_11comp_targetILNS1_3genE8ELNS1_11target_archE1030ELNS1_3gpuE2ELNS1_3repE0EEENS1_30default_config_static_selectorELNS0_4arch9wavefront6targetE0EEEvT1_.kd
    .uniform_work_group_size: 1
    .uses_dynamic_stack: false
    .vgpr_count:     107
    .vgpr_spill_count: 0
    .wavefront_size: 32
    .workgroup_processor_mode: 1
  - .args:
      - .offset:         0
        .size:           112
        .value_kind:     by_value
    .group_segment_fixed_size: 0
    .kernarg_segment_align: 8
    .kernarg_segment_size: 112
    .language:       OpenCL C
    .language_version:
      - 2
      - 0
    .max_flat_workgroup_size: 256
    .name:           _ZN7rocprim17ROCPRIM_400000_NS6detail17trampoline_kernelINS0_14default_configENS1_27scan_by_key_config_selectorIiiEEZZNS1_16scan_by_key_implILNS1_25lookback_scan_determinismE0ELb0ES3_N6thrust23THRUST_200600_302600_NS6detail15normal_iteratorINS9_10device_ptrIiEEEESE_SE_iNS9_4plusIiEE19head_flag_predicateiEE10hipError_tPvRmT2_T3_T4_T5_mT6_T7_P12ihipStream_tbENKUlT_T0_E_clISt17integral_constantIbLb0EESY_EEDaST_SU_EUlST_E_NS1_11comp_targetILNS1_3genE0ELNS1_11target_archE4294967295ELNS1_3gpuE0ELNS1_3repE0EEENS1_30default_config_static_selectorELNS0_4arch9wavefront6targetE0EEEvT1_
    .private_segment_fixed_size: 0
    .sgpr_count:     0
    .sgpr_spill_count: 0
    .symbol:         _ZN7rocprim17ROCPRIM_400000_NS6detail17trampoline_kernelINS0_14default_configENS1_27scan_by_key_config_selectorIiiEEZZNS1_16scan_by_key_implILNS1_25lookback_scan_determinismE0ELb0ES3_N6thrust23THRUST_200600_302600_NS6detail15normal_iteratorINS9_10device_ptrIiEEEESE_SE_iNS9_4plusIiEE19head_flag_predicateiEE10hipError_tPvRmT2_T3_T4_T5_mT6_T7_P12ihipStream_tbENKUlT_T0_E_clISt17integral_constantIbLb0EESY_EEDaST_SU_EUlST_E_NS1_11comp_targetILNS1_3genE0ELNS1_11target_archE4294967295ELNS1_3gpuE0ELNS1_3repE0EEENS1_30default_config_static_selectorELNS0_4arch9wavefront6targetE0EEEvT1_.kd
    .uniform_work_group_size: 1
    .uses_dynamic_stack: false
    .vgpr_count:     0
    .vgpr_spill_count: 0
    .wavefront_size: 32
    .workgroup_processor_mode: 1
  - .args:
      - .offset:         0
        .size:           112
        .value_kind:     by_value
    .group_segment_fixed_size: 0
    .kernarg_segment_align: 8
    .kernarg_segment_size: 112
    .language:       OpenCL C
    .language_version:
      - 2
      - 0
    .max_flat_workgroup_size: 256
    .name:           _ZN7rocprim17ROCPRIM_400000_NS6detail17trampoline_kernelINS0_14default_configENS1_27scan_by_key_config_selectorIiiEEZZNS1_16scan_by_key_implILNS1_25lookback_scan_determinismE0ELb0ES3_N6thrust23THRUST_200600_302600_NS6detail15normal_iteratorINS9_10device_ptrIiEEEESE_SE_iNS9_4plusIiEE19head_flag_predicateiEE10hipError_tPvRmT2_T3_T4_T5_mT6_T7_P12ihipStream_tbENKUlT_T0_E_clISt17integral_constantIbLb0EESY_EEDaST_SU_EUlST_E_NS1_11comp_targetILNS1_3genE10ELNS1_11target_archE1201ELNS1_3gpuE5ELNS1_3repE0EEENS1_30default_config_static_selectorELNS0_4arch9wavefront6targetE0EEEvT1_
    .private_segment_fixed_size: 0
    .sgpr_count:     0
    .sgpr_spill_count: 0
    .symbol:         _ZN7rocprim17ROCPRIM_400000_NS6detail17trampoline_kernelINS0_14default_configENS1_27scan_by_key_config_selectorIiiEEZZNS1_16scan_by_key_implILNS1_25lookback_scan_determinismE0ELb0ES3_N6thrust23THRUST_200600_302600_NS6detail15normal_iteratorINS9_10device_ptrIiEEEESE_SE_iNS9_4plusIiEE19head_flag_predicateiEE10hipError_tPvRmT2_T3_T4_T5_mT6_T7_P12ihipStream_tbENKUlT_T0_E_clISt17integral_constantIbLb0EESY_EEDaST_SU_EUlST_E_NS1_11comp_targetILNS1_3genE10ELNS1_11target_archE1201ELNS1_3gpuE5ELNS1_3repE0EEENS1_30default_config_static_selectorELNS0_4arch9wavefront6targetE0EEEvT1_.kd
    .uniform_work_group_size: 1
    .uses_dynamic_stack: false
    .vgpr_count:     0
    .vgpr_spill_count: 0
    .wavefront_size: 32
    .workgroup_processor_mode: 1
  - .args:
      - .offset:         0
        .size:           112
        .value_kind:     by_value
    .group_segment_fixed_size: 0
    .kernarg_segment_align: 8
    .kernarg_segment_size: 112
    .language:       OpenCL C
    .language_version:
      - 2
      - 0
    .max_flat_workgroup_size: 256
    .name:           _ZN7rocprim17ROCPRIM_400000_NS6detail17trampoline_kernelINS0_14default_configENS1_27scan_by_key_config_selectorIiiEEZZNS1_16scan_by_key_implILNS1_25lookback_scan_determinismE0ELb0ES3_N6thrust23THRUST_200600_302600_NS6detail15normal_iteratorINS9_10device_ptrIiEEEESE_SE_iNS9_4plusIiEE19head_flag_predicateiEE10hipError_tPvRmT2_T3_T4_T5_mT6_T7_P12ihipStream_tbENKUlT_T0_E_clISt17integral_constantIbLb0EESY_EEDaST_SU_EUlST_E_NS1_11comp_targetILNS1_3genE5ELNS1_11target_archE942ELNS1_3gpuE9ELNS1_3repE0EEENS1_30default_config_static_selectorELNS0_4arch9wavefront6targetE0EEEvT1_
    .private_segment_fixed_size: 0
    .sgpr_count:     0
    .sgpr_spill_count: 0
    .symbol:         _ZN7rocprim17ROCPRIM_400000_NS6detail17trampoline_kernelINS0_14default_configENS1_27scan_by_key_config_selectorIiiEEZZNS1_16scan_by_key_implILNS1_25lookback_scan_determinismE0ELb0ES3_N6thrust23THRUST_200600_302600_NS6detail15normal_iteratorINS9_10device_ptrIiEEEESE_SE_iNS9_4plusIiEE19head_flag_predicateiEE10hipError_tPvRmT2_T3_T4_T5_mT6_T7_P12ihipStream_tbENKUlT_T0_E_clISt17integral_constantIbLb0EESY_EEDaST_SU_EUlST_E_NS1_11comp_targetILNS1_3genE5ELNS1_11target_archE942ELNS1_3gpuE9ELNS1_3repE0EEENS1_30default_config_static_selectorELNS0_4arch9wavefront6targetE0EEEvT1_.kd
    .uniform_work_group_size: 1
    .uses_dynamic_stack: false
    .vgpr_count:     0
    .vgpr_spill_count: 0
    .wavefront_size: 32
    .workgroup_processor_mode: 1
  - .args:
      - .offset:         0
        .size:           112
        .value_kind:     by_value
    .group_segment_fixed_size: 0
    .kernarg_segment_align: 8
    .kernarg_segment_size: 112
    .language:       OpenCL C
    .language_version:
      - 2
      - 0
    .max_flat_workgroup_size: 256
    .name:           _ZN7rocprim17ROCPRIM_400000_NS6detail17trampoline_kernelINS0_14default_configENS1_27scan_by_key_config_selectorIiiEEZZNS1_16scan_by_key_implILNS1_25lookback_scan_determinismE0ELb0ES3_N6thrust23THRUST_200600_302600_NS6detail15normal_iteratorINS9_10device_ptrIiEEEESE_SE_iNS9_4plusIiEE19head_flag_predicateiEE10hipError_tPvRmT2_T3_T4_T5_mT6_T7_P12ihipStream_tbENKUlT_T0_E_clISt17integral_constantIbLb0EESY_EEDaST_SU_EUlST_E_NS1_11comp_targetILNS1_3genE4ELNS1_11target_archE910ELNS1_3gpuE8ELNS1_3repE0EEENS1_30default_config_static_selectorELNS0_4arch9wavefront6targetE0EEEvT1_
    .private_segment_fixed_size: 0
    .sgpr_count:     0
    .sgpr_spill_count: 0
    .symbol:         _ZN7rocprim17ROCPRIM_400000_NS6detail17trampoline_kernelINS0_14default_configENS1_27scan_by_key_config_selectorIiiEEZZNS1_16scan_by_key_implILNS1_25lookback_scan_determinismE0ELb0ES3_N6thrust23THRUST_200600_302600_NS6detail15normal_iteratorINS9_10device_ptrIiEEEESE_SE_iNS9_4plusIiEE19head_flag_predicateiEE10hipError_tPvRmT2_T3_T4_T5_mT6_T7_P12ihipStream_tbENKUlT_T0_E_clISt17integral_constantIbLb0EESY_EEDaST_SU_EUlST_E_NS1_11comp_targetILNS1_3genE4ELNS1_11target_archE910ELNS1_3gpuE8ELNS1_3repE0EEENS1_30default_config_static_selectorELNS0_4arch9wavefront6targetE0EEEvT1_.kd
    .uniform_work_group_size: 1
    .uses_dynamic_stack: false
    .vgpr_count:     0
    .vgpr_spill_count: 0
    .wavefront_size: 32
    .workgroup_processor_mode: 1
  - .args:
      - .offset:         0
        .size:           112
        .value_kind:     by_value
    .group_segment_fixed_size: 0
    .kernarg_segment_align: 8
    .kernarg_segment_size: 112
    .language:       OpenCL C
    .language_version:
      - 2
      - 0
    .max_flat_workgroup_size: 256
    .name:           _ZN7rocprim17ROCPRIM_400000_NS6detail17trampoline_kernelINS0_14default_configENS1_27scan_by_key_config_selectorIiiEEZZNS1_16scan_by_key_implILNS1_25lookback_scan_determinismE0ELb0ES3_N6thrust23THRUST_200600_302600_NS6detail15normal_iteratorINS9_10device_ptrIiEEEESE_SE_iNS9_4plusIiEE19head_flag_predicateiEE10hipError_tPvRmT2_T3_T4_T5_mT6_T7_P12ihipStream_tbENKUlT_T0_E_clISt17integral_constantIbLb0EESY_EEDaST_SU_EUlST_E_NS1_11comp_targetILNS1_3genE3ELNS1_11target_archE908ELNS1_3gpuE7ELNS1_3repE0EEENS1_30default_config_static_selectorELNS0_4arch9wavefront6targetE0EEEvT1_
    .private_segment_fixed_size: 0
    .sgpr_count:     0
    .sgpr_spill_count: 0
    .symbol:         _ZN7rocprim17ROCPRIM_400000_NS6detail17trampoline_kernelINS0_14default_configENS1_27scan_by_key_config_selectorIiiEEZZNS1_16scan_by_key_implILNS1_25lookback_scan_determinismE0ELb0ES3_N6thrust23THRUST_200600_302600_NS6detail15normal_iteratorINS9_10device_ptrIiEEEESE_SE_iNS9_4plusIiEE19head_flag_predicateiEE10hipError_tPvRmT2_T3_T4_T5_mT6_T7_P12ihipStream_tbENKUlT_T0_E_clISt17integral_constantIbLb0EESY_EEDaST_SU_EUlST_E_NS1_11comp_targetILNS1_3genE3ELNS1_11target_archE908ELNS1_3gpuE7ELNS1_3repE0EEENS1_30default_config_static_selectorELNS0_4arch9wavefront6targetE0EEEvT1_.kd
    .uniform_work_group_size: 1
    .uses_dynamic_stack: false
    .vgpr_count:     0
    .vgpr_spill_count: 0
    .wavefront_size: 32
    .workgroup_processor_mode: 1
  - .args:
      - .offset:         0
        .size:           112
        .value_kind:     by_value
    .group_segment_fixed_size: 0
    .kernarg_segment_align: 8
    .kernarg_segment_size: 112
    .language:       OpenCL C
    .language_version:
      - 2
      - 0
    .max_flat_workgroup_size: 256
    .name:           _ZN7rocprim17ROCPRIM_400000_NS6detail17trampoline_kernelINS0_14default_configENS1_27scan_by_key_config_selectorIiiEEZZNS1_16scan_by_key_implILNS1_25lookback_scan_determinismE0ELb0ES3_N6thrust23THRUST_200600_302600_NS6detail15normal_iteratorINS9_10device_ptrIiEEEESE_SE_iNS9_4plusIiEE19head_flag_predicateiEE10hipError_tPvRmT2_T3_T4_T5_mT6_T7_P12ihipStream_tbENKUlT_T0_E_clISt17integral_constantIbLb0EESY_EEDaST_SU_EUlST_E_NS1_11comp_targetILNS1_3genE2ELNS1_11target_archE906ELNS1_3gpuE6ELNS1_3repE0EEENS1_30default_config_static_selectorELNS0_4arch9wavefront6targetE0EEEvT1_
    .private_segment_fixed_size: 0
    .sgpr_count:     0
    .sgpr_spill_count: 0
    .symbol:         _ZN7rocprim17ROCPRIM_400000_NS6detail17trampoline_kernelINS0_14default_configENS1_27scan_by_key_config_selectorIiiEEZZNS1_16scan_by_key_implILNS1_25lookback_scan_determinismE0ELb0ES3_N6thrust23THRUST_200600_302600_NS6detail15normal_iteratorINS9_10device_ptrIiEEEESE_SE_iNS9_4plusIiEE19head_flag_predicateiEE10hipError_tPvRmT2_T3_T4_T5_mT6_T7_P12ihipStream_tbENKUlT_T0_E_clISt17integral_constantIbLb0EESY_EEDaST_SU_EUlST_E_NS1_11comp_targetILNS1_3genE2ELNS1_11target_archE906ELNS1_3gpuE6ELNS1_3repE0EEENS1_30default_config_static_selectorELNS0_4arch9wavefront6targetE0EEEvT1_.kd
    .uniform_work_group_size: 1
    .uses_dynamic_stack: false
    .vgpr_count:     0
    .vgpr_spill_count: 0
    .wavefront_size: 32
    .workgroup_processor_mode: 1
  - .args:
      - .offset:         0
        .size:           112
        .value_kind:     by_value
    .group_segment_fixed_size: 0
    .kernarg_segment_align: 8
    .kernarg_segment_size: 112
    .language:       OpenCL C
    .language_version:
      - 2
      - 0
    .max_flat_workgroup_size: 256
    .name:           _ZN7rocprim17ROCPRIM_400000_NS6detail17trampoline_kernelINS0_14default_configENS1_27scan_by_key_config_selectorIiiEEZZNS1_16scan_by_key_implILNS1_25lookback_scan_determinismE0ELb0ES3_N6thrust23THRUST_200600_302600_NS6detail15normal_iteratorINS9_10device_ptrIiEEEESE_SE_iNS9_4plusIiEE19head_flag_predicateiEE10hipError_tPvRmT2_T3_T4_T5_mT6_T7_P12ihipStream_tbENKUlT_T0_E_clISt17integral_constantIbLb0EESY_EEDaST_SU_EUlST_E_NS1_11comp_targetILNS1_3genE10ELNS1_11target_archE1200ELNS1_3gpuE4ELNS1_3repE0EEENS1_30default_config_static_selectorELNS0_4arch9wavefront6targetE0EEEvT1_
    .private_segment_fixed_size: 0
    .sgpr_count:     0
    .sgpr_spill_count: 0
    .symbol:         _ZN7rocprim17ROCPRIM_400000_NS6detail17trampoline_kernelINS0_14default_configENS1_27scan_by_key_config_selectorIiiEEZZNS1_16scan_by_key_implILNS1_25lookback_scan_determinismE0ELb0ES3_N6thrust23THRUST_200600_302600_NS6detail15normal_iteratorINS9_10device_ptrIiEEEESE_SE_iNS9_4plusIiEE19head_flag_predicateiEE10hipError_tPvRmT2_T3_T4_T5_mT6_T7_P12ihipStream_tbENKUlT_T0_E_clISt17integral_constantIbLb0EESY_EEDaST_SU_EUlST_E_NS1_11comp_targetILNS1_3genE10ELNS1_11target_archE1200ELNS1_3gpuE4ELNS1_3repE0EEENS1_30default_config_static_selectorELNS0_4arch9wavefront6targetE0EEEvT1_.kd
    .uniform_work_group_size: 1
    .uses_dynamic_stack: false
    .vgpr_count:     0
    .vgpr_spill_count: 0
    .wavefront_size: 32
    .workgroup_processor_mode: 1
  - .args:
      - .offset:         0
        .size:           112
        .value_kind:     by_value
    .group_segment_fixed_size: 0
    .kernarg_segment_align: 8
    .kernarg_segment_size: 112
    .language:       OpenCL C
    .language_version:
      - 2
      - 0
    .max_flat_workgroup_size: 256
    .name:           _ZN7rocprim17ROCPRIM_400000_NS6detail17trampoline_kernelINS0_14default_configENS1_27scan_by_key_config_selectorIiiEEZZNS1_16scan_by_key_implILNS1_25lookback_scan_determinismE0ELb0ES3_N6thrust23THRUST_200600_302600_NS6detail15normal_iteratorINS9_10device_ptrIiEEEESE_SE_iNS9_4plusIiEE19head_flag_predicateiEE10hipError_tPvRmT2_T3_T4_T5_mT6_T7_P12ihipStream_tbENKUlT_T0_E_clISt17integral_constantIbLb0EESY_EEDaST_SU_EUlST_E_NS1_11comp_targetILNS1_3genE9ELNS1_11target_archE1100ELNS1_3gpuE3ELNS1_3repE0EEENS1_30default_config_static_selectorELNS0_4arch9wavefront6targetE0EEEvT1_
    .private_segment_fixed_size: 0
    .sgpr_count:     0
    .sgpr_spill_count: 0
    .symbol:         _ZN7rocprim17ROCPRIM_400000_NS6detail17trampoline_kernelINS0_14default_configENS1_27scan_by_key_config_selectorIiiEEZZNS1_16scan_by_key_implILNS1_25lookback_scan_determinismE0ELb0ES3_N6thrust23THRUST_200600_302600_NS6detail15normal_iteratorINS9_10device_ptrIiEEEESE_SE_iNS9_4plusIiEE19head_flag_predicateiEE10hipError_tPvRmT2_T3_T4_T5_mT6_T7_P12ihipStream_tbENKUlT_T0_E_clISt17integral_constantIbLb0EESY_EEDaST_SU_EUlST_E_NS1_11comp_targetILNS1_3genE9ELNS1_11target_archE1100ELNS1_3gpuE3ELNS1_3repE0EEENS1_30default_config_static_selectorELNS0_4arch9wavefront6targetE0EEEvT1_.kd
    .uniform_work_group_size: 1
    .uses_dynamic_stack: false
    .vgpr_count:     0
    .vgpr_spill_count: 0
    .wavefront_size: 32
    .workgroup_processor_mode: 1
  - .args:
      - .offset:         0
        .size:           112
        .value_kind:     by_value
    .group_segment_fixed_size: 5120
    .kernarg_segment_align: 8
    .kernarg_segment_size: 112
    .language:       OpenCL C
    .language_version:
      - 2
      - 0
    .max_flat_workgroup_size: 256
    .name:           _ZN7rocprim17ROCPRIM_400000_NS6detail17trampoline_kernelINS0_14default_configENS1_27scan_by_key_config_selectorIiiEEZZNS1_16scan_by_key_implILNS1_25lookback_scan_determinismE0ELb0ES3_N6thrust23THRUST_200600_302600_NS6detail15normal_iteratorINS9_10device_ptrIiEEEESE_SE_iNS9_4plusIiEE19head_flag_predicateiEE10hipError_tPvRmT2_T3_T4_T5_mT6_T7_P12ihipStream_tbENKUlT_T0_E_clISt17integral_constantIbLb0EESY_EEDaST_SU_EUlST_E_NS1_11comp_targetILNS1_3genE8ELNS1_11target_archE1030ELNS1_3gpuE2ELNS1_3repE0EEENS1_30default_config_static_selectorELNS0_4arch9wavefront6targetE0EEEvT1_
    .private_segment_fixed_size: 0
    .sgpr_count:     28
    .sgpr_spill_count: 0
    .symbol:         _ZN7rocprim17ROCPRIM_400000_NS6detail17trampoline_kernelINS0_14default_configENS1_27scan_by_key_config_selectorIiiEEZZNS1_16scan_by_key_implILNS1_25lookback_scan_determinismE0ELb0ES3_N6thrust23THRUST_200600_302600_NS6detail15normal_iteratorINS9_10device_ptrIiEEEESE_SE_iNS9_4plusIiEE19head_flag_predicateiEE10hipError_tPvRmT2_T3_T4_T5_mT6_T7_P12ihipStream_tbENKUlT_T0_E_clISt17integral_constantIbLb0EESY_EEDaST_SU_EUlST_E_NS1_11comp_targetILNS1_3genE8ELNS1_11target_archE1030ELNS1_3gpuE2ELNS1_3repE0EEENS1_30default_config_static_selectorELNS0_4arch9wavefront6targetE0EEEvT1_.kd
    .uniform_work_group_size: 1
    .uses_dynamic_stack: false
    .vgpr_count:     41
    .vgpr_spill_count: 0
    .wavefront_size: 32
    .workgroup_processor_mode: 1
  - .args:
      - .offset:         0
        .size:           112
        .value_kind:     by_value
    .group_segment_fixed_size: 0
    .kernarg_segment_align: 8
    .kernarg_segment_size: 112
    .language:       OpenCL C
    .language_version:
      - 2
      - 0
    .max_flat_workgroup_size: 256
    .name:           _ZN7rocprim17ROCPRIM_400000_NS6detail17trampoline_kernelINS0_14default_configENS1_27scan_by_key_config_selectorIiiEEZZNS1_16scan_by_key_implILNS1_25lookback_scan_determinismE0ELb0ES3_N6thrust23THRUST_200600_302600_NS6detail15normal_iteratorINS9_10device_ptrIiEEEESE_SE_iNS9_4plusIiEE19head_flag_predicateiEE10hipError_tPvRmT2_T3_T4_T5_mT6_T7_P12ihipStream_tbENKUlT_T0_E_clISt17integral_constantIbLb1EESY_EEDaST_SU_EUlST_E_NS1_11comp_targetILNS1_3genE0ELNS1_11target_archE4294967295ELNS1_3gpuE0ELNS1_3repE0EEENS1_30default_config_static_selectorELNS0_4arch9wavefront6targetE0EEEvT1_
    .private_segment_fixed_size: 0
    .sgpr_count:     0
    .sgpr_spill_count: 0
    .symbol:         _ZN7rocprim17ROCPRIM_400000_NS6detail17trampoline_kernelINS0_14default_configENS1_27scan_by_key_config_selectorIiiEEZZNS1_16scan_by_key_implILNS1_25lookback_scan_determinismE0ELb0ES3_N6thrust23THRUST_200600_302600_NS6detail15normal_iteratorINS9_10device_ptrIiEEEESE_SE_iNS9_4plusIiEE19head_flag_predicateiEE10hipError_tPvRmT2_T3_T4_T5_mT6_T7_P12ihipStream_tbENKUlT_T0_E_clISt17integral_constantIbLb1EESY_EEDaST_SU_EUlST_E_NS1_11comp_targetILNS1_3genE0ELNS1_11target_archE4294967295ELNS1_3gpuE0ELNS1_3repE0EEENS1_30default_config_static_selectorELNS0_4arch9wavefront6targetE0EEEvT1_.kd
    .uniform_work_group_size: 1
    .uses_dynamic_stack: false
    .vgpr_count:     0
    .vgpr_spill_count: 0
    .wavefront_size: 32
    .workgroup_processor_mode: 1
  - .args:
      - .offset:         0
        .size:           112
        .value_kind:     by_value
    .group_segment_fixed_size: 0
    .kernarg_segment_align: 8
    .kernarg_segment_size: 112
    .language:       OpenCL C
    .language_version:
      - 2
      - 0
    .max_flat_workgroup_size: 256
    .name:           _ZN7rocprim17ROCPRIM_400000_NS6detail17trampoline_kernelINS0_14default_configENS1_27scan_by_key_config_selectorIiiEEZZNS1_16scan_by_key_implILNS1_25lookback_scan_determinismE0ELb0ES3_N6thrust23THRUST_200600_302600_NS6detail15normal_iteratorINS9_10device_ptrIiEEEESE_SE_iNS9_4plusIiEE19head_flag_predicateiEE10hipError_tPvRmT2_T3_T4_T5_mT6_T7_P12ihipStream_tbENKUlT_T0_E_clISt17integral_constantIbLb1EESY_EEDaST_SU_EUlST_E_NS1_11comp_targetILNS1_3genE10ELNS1_11target_archE1201ELNS1_3gpuE5ELNS1_3repE0EEENS1_30default_config_static_selectorELNS0_4arch9wavefront6targetE0EEEvT1_
    .private_segment_fixed_size: 0
    .sgpr_count:     0
    .sgpr_spill_count: 0
    .symbol:         _ZN7rocprim17ROCPRIM_400000_NS6detail17trampoline_kernelINS0_14default_configENS1_27scan_by_key_config_selectorIiiEEZZNS1_16scan_by_key_implILNS1_25lookback_scan_determinismE0ELb0ES3_N6thrust23THRUST_200600_302600_NS6detail15normal_iteratorINS9_10device_ptrIiEEEESE_SE_iNS9_4plusIiEE19head_flag_predicateiEE10hipError_tPvRmT2_T3_T4_T5_mT6_T7_P12ihipStream_tbENKUlT_T0_E_clISt17integral_constantIbLb1EESY_EEDaST_SU_EUlST_E_NS1_11comp_targetILNS1_3genE10ELNS1_11target_archE1201ELNS1_3gpuE5ELNS1_3repE0EEENS1_30default_config_static_selectorELNS0_4arch9wavefront6targetE0EEEvT1_.kd
    .uniform_work_group_size: 1
    .uses_dynamic_stack: false
    .vgpr_count:     0
    .vgpr_spill_count: 0
    .wavefront_size: 32
    .workgroup_processor_mode: 1
  - .args:
      - .offset:         0
        .size:           112
        .value_kind:     by_value
    .group_segment_fixed_size: 0
    .kernarg_segment_align: 8
    .kernarg_segment_size: 112
    .language:       OpenCL C
    .language_version:
      - 2
      - 0
    .max_flat_workgroup_size: 256
    .name:           _ZN7rocprim17ROCPRIM_400000_NS6detail17trampoline_kernelINS0_14default_configENS1_27scan_by_key_config_selectorIiiEEZZNS1_16scan_by_key_implILNS1_25lookback_scan_determinismE0ELb0ES3_N6thrust23THRUST_200600_302600_NS6detail15normal_iteratorINS9_10device_ptrIiEEEESE_SE_iNS9_4plusIiEE19head_flag_predicateiEE10hipError_tPvRmT2_T3_T4_T5_mT6_T7_P12ihipStream_tbENKUlT_T0_E_clISt17integral_constantIbLb1EESY_EEDaST_SU_EUlST_E_NS1_11comp_targetILNS1_3genE5ELNS1_11target_archE942ELNS1_3gpuE9ELNS1_3repE0EEENS1_30default_config_static_selectorELNS0_4arch9wavefront6targetE0EEEvT1_
    .private_segment_fixed_size: 0
    .sgpr_count:     0
    .sgpr_spill_count: 0
    .symbol:         _ZN7rocprim17ROCPRIM_400000_NS6detail17trampoline_kernelINS0_14default_configENS1_27scan_by_key_config_selectorIiiEEZZNS1_16scan_by_key_implILNS1_25lookback_scan_determinismE0ELb0ES3_N6thrust23THRUST_200600_302600_NS6detail15normal_iteratorINS9_10device_ptrIiEEEESE_SE_iNS9_4plusIiEE19head_flag_predicateiEE10hipError_tPvRmT2_T3_T4_T5_mT6_T7_P12ihipStream_tbENKUlT_T0_E_clISt17integral_constantIbLb1EESY_EEDaST_SU_EUlST_E_NS1_11comp_targetILNS1_3genE5ELNS1_11target_archE942ELNS1_3gpuE9ELNS1_3repE0EEENS1_30default_config_static_selectorELNS0_4arch9wavefront6targetE0EEEvT1_.kd
    .uniform_work_group_size: 1
    .uses_dynamic_stack: false
    .vgpr_count:     0
    .vgpr_spill_count: 0
    .wavefront_size: 32
    .workgroup_processor_mode: 1
  - .args:
      - .offset:         0
        .size:           112
        .value_kind:     by_value
    .group_segment_fixed_size: 0
    .kernarg_segment_align: 8
    .kernarg_segment_size: 112
    .language:       OpenCL C
    .language_version:
      - 2
      - 0
    .max_flat_workgroup_size: 256
    .name:           _ZN7rocprim17ROCPRIM_400000_NS6detail17trampoline_kernelINS0_14default_configENS1_27scan_by_key_config_selectorIiiEEZZNS1_16scan_by_key_implILNS1_25lookback_scan_determinismE0ELb0ES3_N6thrust23THRUST_200600_302600_NS6detail15normal_iteratorINS9_10device_ptrIiEEEESE_SE_iNS9_4plusIiEE19head_flag_predicateiEE10hipError_tPvRmT2_T3_T4_T5_mT6_T7_P12ihipStream_tbENKUlT_T0_E_clISt17integral_constantIbLb1EESY_EEDaST_SU_EUlST_E_NS1_11comp_targetILNS1_3genE4ELNS1_11target_archE910ELNS1_3gpuE8ELNS1_3repE0EEENS1_30default_config_static_selectorELNS0_4arch9wavefront6targetE0EEEvT1_
    .private_segment_fixed_size: 0
    .sgpr_count:     0
    .sgpr_spill_count: 0
    .symbol:         _ZN7rocprim17ROCPRIM_400000_NS6detail17trampoline_kernelINS0_14default_configENS1_27scan_by_key_config_selectorIiiEEZZNS1_16scan_by_key_implILNS1_25lookback_scan_determinismE0ELb0ES3_N6thrust23THRUST_200600_302600_NS6detail15normal_iteratorINS9_10device_ptrIiEEEESE_SE_iNS9_4plusIiEE19head_flag_predicateiEE10hipError_tPvRmT2_T3_T4_T5_mT6_T7_P12ihipStream_tbENKUlT_T0_E_clISt17integral_constantIbLb1EESY_EEDaST_SU_EUlST_E_NS1_11comp_targetILNS1_3genE4ELNS1_11target_archE910ELNS1_3gpuE8ELNS1_3repE0EEENS1_30default_config_static_selectorELNS0_4arch9wavefront6targetE0EEEvT1_.kd
    .uniform_work_group_size: 1
    .uses_dynamic_stack: false
    .vgpr_count:     0
    .vgpr_spill_count: 0
    .wavefront_size: 32
    .workgroup_processor_mode: 1
  - .args:
      - .offset:         0
        .size:           112
        .value_kind:     by_value
    .group_segment_fixed_size: 0
    .kernarg_segment_align: 8
    .kernarg_segment_size: 112
    .language:       OpenCL C
    .language_version:
      - 2
      - 0
    .max_flat_workgroup_size: 256
    .name:           _ZN7rocprim17ROCPRIM_400000_NS6detail17trampoline_kernelINS0_14default_configENS1_27scan_by_key_config_selectorIiiEEZZNS1_16scan_by_key_implILNS1_25lookback_scan_determinismE0ELb0ES3_N6thrust23THRUST_200600_302600_NS6detail15normal_iteratorINS9_10device_ptrIiEEEESE_SE_iNS9_4plusIiEE19head_flag_predicateiEE10hipError_tPvRmT2_T3_T4_T5_mT6_T7_P12ihipStream_tbENKUlT_T0_E_clISt17integral_constantIbLb1EESY_EEDaST_SU_EUlST_E_NS1_11comp_targetILNS1_3genE3ELNS1_11target_archE908ELNS1_3gpuE7ELNS1_3repE0EEENS1_30default_config_static_selectorELNS0_4arch9wavefront6targetE0EEEvT1_
    .private_segment_fixed_size: 0
    .sgpr_count:     0
    .sgpr_spill_count: 0
    .symbol:         _ZN7rocprim17ROCPRIM_400000_NS6detail17trampoline_kernelINS0_14default_configENS1_27scan_by_key_config_selectorIiiEEZZNS1_16scan_by_key_implILNS1_25lookback_scan_determinismE0ELb0ES3_N6thrust23THRUST_200600_302600_NS6detail15normal_iteratorINS9_10device_ptrIiEEEESE_SE_iNS9_4plusIiEE19head_flag_predicateiEE10hipError_tPvRmT2_T3_T4_T5_mT6_T7_P12ihipStream_tbENKUlT_T0_E_clISt17integral_constantIbLb1EESY_EEDaST_SU_EUlST_E_NS1_11comp_targetILNS1_3genE3ELNS1_11target_archE908ELNS1_3gpuE7ELNS1_3repE0EEENS1_30default_config_static_selectorELNS0_4arch9wavefront6targetE0EEEvT1_.kd
    .uniform_work_group_size: 1
    .uses_dynamic_stack: false
    .vgpr_count:     0
    .vgpr_spill_count: 0
    .wavefront_size: 32
    .workgroup_processor_mode: 1
  - .args:
      - .offset:         0
        .size:           112
        .value_kind:     by_value
    .group_segment_fixed_size: 0
    .kernarg_segment_align: 8
    .kernarg_segment_size: 112
    .language:       OpenCL C
    .language_version:
      - 2
      - 0
    .max_flat_workgroup_size: 256
    .name:           _ZN7rocprim17ROCPRIM_400000_NS6detail17trampoline_kernelINS0_14default_configENS1_27scan_by_key_config_selectorIiiEEZZNS1_16scan_by_key_implILNS1_25lookback_scan_determinismE0ELb0ES3_N6thrust23THRUST_200600_302600_NS6detail15normal_iteratorINS9_10device_ptrIiEEEESE_SE_iNS9_4plusIiEE19head_flag_predicateiEE10hipError_tPvRmT2_T3_T4_T5_mT6_T7_P12ihipStream_tbENKUlT_T0_E_clISt17integral_constantIbLb1EESY_EEDaST_SU_EUlST_E_NS1_11comp_targetILNS1_3genE2ELNS1_11target_archE906ELNS1_3gpuE6ELNS1_3repE0EEENS1_30default_config_static_selectorELNS0_4arch9wavefront6targetE0EEEvT1_
    .private_segment_fixed_size: 0
    .sgpr_count:     0
    .sgpr_spill_count: 0
    .symbol:         _ZN7rocprim17ROCPRIM_400000_NS6detail17trampoline_kernelINS0_14default_configENS1_27scan_by_key_config_selectorIiiEEZZNS1_16scan_by_key_implILNS1_25lookback_scan_determinismE0ELb0ES3_N6thrust23THRUST_200600_302600_NS6detail15normal_iteratorINS9_10device_ptrIiEEEESE_SE_iNS9_4plusIiEE19head_flag_predicateiEE10hipError_tPvRmT2_T3_T4_T5_mT6_T7_P12ihipStream_tbENKUlT_T0_E_clISt17integral_constantIbLb1EESY_EEDaST_SU_EUlST_E_NS1_11comp_targetILNS1_3genE2ELNS1_11target_archE906ELNS1_3gpuE6ELNS1_3repE0EEENS1_30default_config_static_selectorELNS0_4arch9wavefront6targetE0EEEvT1_.kd
    .uniform_work_group_size: 1
    .uses_dynamic_stack: false
    .vgpr_count:     0
    .vgpr_spill_count: 0
    .wavefront_size: 32
    .workgroup_processor_mode: 1
  - .args:
      - .offset:         0
        .size:           112
        .value_kind:     by_value
    .group_segment_fixed_size: 0
    .kernarg_segment_align: 8
    .kernarg_segment_size: 112
    .language:       OpenCL C
    .language_version:
      - 2
      - 0
    .max_flat_workgroup_size: 256
    .name:           _ZN7rocprim17ROCPRIM_400000_NS6detail17trampoline_kernelINS0_14default_configENS1_27scan_by_key_config_selectorIiiEEZZNS1_16scan_by_key_implILNS1_25lookback_scan_determinismE0ELb0ES3_N6thrust23THRUST_200600_302600_NS6detail15normal_iteratorINS9_10device_ptrIiEEEESE_SE_iNS9_4plusIiEE19head_flag_predicateiEE10hipError_tPvRmT2_T3_T4_T5_mT6_T7_P12ihipStream_tbENKUlT_T0_E_clISt17integral_constantIbLb1EESY_EEDaST_SU_EUlST_E_NS1_11comp_targetILNS1_3genE10ELNS1_11target_archE1200ELNS1_3gpuE4ELNS1_3repE0EEENS1_30default_config_static_selectorELNS0_4arch9wavefront6targetE0EEEvT1_
    .private_segment_fixed_size: 0
    .sgpr_count:     0
    .sgpr_spill_count: 0
    .symbol:         _ZN7rocprim17ROCPRIM_400000_NS6detail17trampoline_kernelINS0_14default_configENS1_27scan_by_key_config_selectorIiiEEZZNS1_16scan_by_key_implILNS1_25lookback_scan_determinismE0ELb0ES3_N6thrust23THRUST_200600_302600_NS6detail15normal_iteratorINS9_10device_ptrIiEEEESE_SE_iNS9_4plusIiEE19head_flag_predicateiEE10hipError_tPvRmT2_T3_T4_T5_mT6_T7_P12ihipStream_tbENKUlT_T0_E_clISt17integral_constantIbLb1EESY_EEDaST_SU_EUlST_E_NS1_11comp_targetILNS1_3genE10ELNS1_11target_archE1200ELNS1_3gpuE4ELNS1_3repE0EEENS1_30default_config_static_selectorELNS0_4arch9wavefront6targetE0EEEvT1_.kd
    .uniform_work_group_size: 1
    .uses_dynamic_stack: false
    .vgpr_count:     0
    .vgpr_spill_count: 0
    .wavefront_size: 32
    .workgroup_processor_mode: 1
  - .args:
      - .offset:         0
        .size:           112
        .value_kind:     by_value
    .group_segment_fixed_size: 0
    .kernarg_segment_align: 8
    .kernarg_segment_size: 112
    .language:       OpenCL C
    .language_version:
      - 2
      - 0
    .max_flat_workgroup_size: 256
    .name:           _ZN7rocprim17ROCPRIM_400000_NS6detail17trampoline_kernelINS0_14default_configENS1_27scan_by_key_config_selectorIiiEEZZNS1_16scan_by_key_implILNS1_25lookback_scan_determinismE0ELb0ES3_N6thrust23THRUST_200600_302600_NS6detail15normal_iteratorINS9_10device_ptrIiEEEESE_SE_iNS9_4plusIiEE19head_flag_predicateiEE10hipError_tPvRmT2_T3_T4_T5_mT6_T7_P12ihipStream_tbENKUlT_T0_E_clISt17integral_constantIbLb1EESY_EEDaST_SU_EUlST_E_NS1_11comp_targetILNS1_3genE9ELNS1_11target_archE1100ELNS1_3gpuE3ELNS1_3repE0EEENS1_30default_config_static_selectorELNS0_4arch9wavefront6targetE0EEEvT1_
    .private_segment_fixed_size: 0
    .sgpr_count:     0
    .sgpr_spill_count: 0
    .symbol:         _ZN7rocprim17ROCPRIM_400000_NS6detail17trampoline_kernelINS0_14default_configENS1_27scan_by_key_config_selectorIiiEEZZNS1_16scan_by_key_implILNS1_25lookback_scan_determinismE0ELb0ES3_N6thrust23THRUST_200600_302600_NS6detail15normal_iteratorINS9_10device_ptrIiEEEESE_SE_iNS9_4plusIiEE19head_flag_predicateiEE10hipError_tPvRmT2_T3_T4_T5_mT6_T7_P12ihipStream_tbENKUlT_T0_E_clISt17integral_constantIbLb1EESY_EEDaST_SU_EUlST_E_NS1_11comp_targetILNS1_3genE9ELNS1_11target_archE1100ELNS1_3gpuE3ELNS1_3repE0EEENS1_30default_config_static_selectorELNS0_4arch9wavefront6targetE0EEEvT1_.kd
    .uniform_work_group_size: 1
    .uses_dynamic_stack: false
    .vgpr_count:     0
    .vgpr_spill_count: 0
    .wavefront_size: 32
    .workgroup_processor_mode: 1
  - .args:
      - .offset:         0
        .size:           112
        .value_kind:     by_value
    .group_segment_fixed_size: 0
    .kernarg_segment_align: 8
    .kernarg_segment_size: 112
    .language:       OpenCL C
    .language_version:
      - 2
      - 0
    .max_flat_workgroup_size: 256
    .name:           _ZN7rocprim17ROCPRIM_400000_NS6detail17trampoline_kernelINS0_14default_configENS1_27scan_by_key_config_selectorIiiEEZZNS1_16scan_by_key_implILNS1_25lookback_scan_determinismE0ELb0ES3_N6thrust23THRUST_200600_302600_NS6detail15normal_iteratorINS9_10device_ptrIiEEEESE_SE_iNS9_4plusIiEE19head_flag_predicateiEE10hipError_tPvRmT2_T3_T4_T5_mT6_T7_P12ihipStream_tbENKUlT_T0_E_clISt17integral_constantIbLb1EESY_EEDaST_SU_EUlST_E_NS1_11comp_targetILNS1_3genE8ELNS1_11target_archE1030ELNS1_3gpuE2ELNS1_3repE0EEENS1_30default_config_static_selectorELNS0_4arch9wavefront6targetE0EEEvT1_
    .private_segment_fixed_size: 0
    .sgpr_count:     0
    .sgpr_spill_count: 0
    .symbol:         _ZN7rocprim17ROCPRIM_400000_NS6detail17trampoline_kernelINS0_14default_configENS1_27scan_by_key_config_selectorIiiEEZZNS1_16scan_by_key_implILNS1_25lookback_scan_determinismE0ELb0ES3_N6thrust23THRUST_200600_302600_NS6detail15normal_iteratorINS9_10device_ptrIiEEEESE_SE_iNS9_4plusIiEE19head_flag_predicateiEE10hipError_tPvRmT2_T3_T4_T5_mT6_T7_P12ihipStream_tbENKUlT_T0_E_clISt17integral_constantIbLb1EESY_EEDaST_SU_EUlST_E_NS1_11comp_targetILNS1_3genE8ELNS1_11target_archE1030ELNS1_3gpuE2ELNS1_3repE0EEENS1_30default_config_static_selectorELNS0_4arch9wavefront6targetE0EEEvT1_.kd
    .uniform_work_group_size: 1
    .uses_dynamic_stack: false
    .vgpr_count:     0
    .vgpr_spill_count: 0
    .wavefront_size: 32
    .workgroup_processor_mode: 1
  - .args:
      - .offset:         0
        .size:           112
        .value_kind:     by_value
    .group_segment_fixed_size: 0
    .kernarg_segment_align: 8
    .kernarg_segment_size: 112
    .language:       OpenCL C
    .language_version:
      - 2
      - 0
    .max_flat_workgroup_size: 256
    .name:           _ZN7rocprim17ROCPRIM_400000_NS6detail17trampoline_kernelINS0_14default_configENS1_27scan_by_key_config_selectorIiiEEZZNS1_16scan_by_key_implILNS1_25lookback_scan_determinismE0ELb0ES3_N6thrust23THRUST_200600_302600_NS6detail15normal_iteratorINS9_10device_ptrIiEEEESE_SE_iNS9_4plusIiEE19head_flag_predicateiEE10hipError_tPvRmT2_T3_T4_T5_mT6_T7_P12ihipStream_tbENKUlT_T0_E_clISt17integral_constantIbLb1EESX_IbLb0EEEEDaST_SU_EUlST_E_NS1_11comp_targetILNS1_3genE0ELNS1_11target_archE4294967295ELNS1_3gpuE0ELNS1_3repE0EEENS1_30default_config_static_selectorELNS0_4arch9wavefront6targetE0EEEvT1_
    .private_segment_fixed_size: 0
    .sgpr_count:     0
    .sgpr_spill_count: 0
    .symbol:         _ZN7rocprim17ROCPRIM_400000_NS6detail17trampoline_kernelINS0_14default_configENS1_27scan_by_key_config_selectorIiiEEZZNS1_16scan_by_key_implILNS1_25lookback_scan_determinismE0ELb0ES3_N6thrust23THRUST_200600_302600_NS6detail15normal_iteratorINS9_10device_ptrIiEEEESE_SE_iNS9_4plusIiEE19head_flag_predicateiEE10hipError_tPvRmT2_T3_T4_T5_mT6_T7_P12ihipStream_tbENKUlT_T0_E_clISt17integral_constantIbLb1EESX_IbLb0EEEEDaST_SU_EUlST_E_NS1_11comp_targetILNS1_3genE0ELNS1_11target_archE4294967295ELNS1_3gpuE0ELNS1_3repE0EEENS1_30default_config_static_selectorELNS0_4arch9wavefront6targetE0EEEvT1_.kd
    .uniform_work_group_size: 1
    .uses_dynamic_stack: false
    .vgpr_count:     0
    .vgpr_spill_count: 0
    .wavefront_size: 32
    .workgroup_processor_mode: 1
  - .args:
      - .offset:         0
        .size:           112
        .value_kind:     by_value
    .group_segment_fixed_size: 0
    .kernarg_segment_align: 8
    .kernarg_segment_size: 112
    .language:       OpenCL C
    .language_version:
      - 2
      - 0
    .max_flat_workgroup_size: 256
    .name:           _ZN7rocprim17ROCPRIM_400000_NS6detail17trampoline_kernelINS0_14default_configENS1_27scan_by_key_config_selectorIiiEEZZNS1_16scan_by_key_implILNS1_25lookback_scan_determinismE0ELb0ES3_N6thrust23THRUST_200600_302600_NS6detail15normal_iteratorINS9_10device_ptrIiEEEESE_SE_iNS9_4plusIiEE19head_flag_predicateiEE10hipError_tPvRmT2_T3_T4_T5_mT6_T7_P12ihipStream_tbENKUlT_T0_E_clISt17integral_constantIbLb1EESX_IbLb0EEEEDaST_SU_EUlST_E_NS1_11comp_targetILNS1_3genE10ELNS1_11target_archE1201ELNS1_3gpuE5ELNS1_3repE0EEENS1_30default_config_static_selectorELNS0_4arch9wavefront6targetE0EEEvT1_
    .private_segment_fixed_size: 0
    .sgpr_count:     0
    .sgpr_spill_count: 0
    .symbol:         _ZN7rocprim17ROCPRIM_400000_NS6detail17trampoline_kernelINS0_14default_configENS1_27scan_by_key_config_selectorIiiEEZZNS1_16scan_by_key_implILNS1_25lookback_scan_determinismE0ELb0ES3_N6thrust23THRUST_200600_302600_NS6detail15normal_iteratorINS9_10device_ptrIiEEEESE_SE_iNS9_4plusIiEE19head_flag_predicateiEE10hipError_tPvRmT2_T3_T4_T5_mT6_T7_P12ihipStream_tbENKUlT_T0_E_clISt17integral_constantIbLb1EESX_IbLb0EEEEDaST_SU_EUlST_E_NS1_11comp_targetILNS1_3genE10ELNS1_11target_archE1201ELNS1_3gpuE5ELNS1_3repE0EEENS1_30default_config_static_selectorELNS0_4arch9wavefront6targetE0EEEvT1_.kd
    .uniform_work_group_size: 1
    .uses_dynamic_stack: false
    .vgpr_count:     0
    .vgpr_spill_count: 0
    .wavefront_size: 32
    .workgroup_processor_mode: 1
  - .args:
      - .offset:         0
        .size:           112
        .value_kind:     by_value
    .group_segment_fixed_size: 0
    .kernarg_segment_align: 8
    .kernarg_segment_size: 112
    .language:       OpenCL C
    .language_version:
      - 2
      - 0
    .max_flat_workgroup_size: 256
    .name:           _ZN7rocprim17ROCPRIM_400000_NS6detail17trampoline_kernelINS0_14default_configENS1_27scan_by_key_config_selectorIiiEEZZNS1_16scan_by_key_implILNS1_25lookback_scan_determinismE0ELb0ES3_N6thrust23THRUST_200600_302600_NS6detail15normal_iteratorINS9_10device_ptrIiEEEESE_SE_iNS9_4plusIiEE19head_flag_predicateiEE10hipError_tPvRmT2_T3_T4_T5_mT6_T7_P12ihipStream_tbENKUlT_T0_E_clISt17integral_constantIbLb1EESX_IbLb0EEEEDaST_SU_EUlST_E_NS1_11comp_targetILNS1_3genE5ELNS1_11target_archE942ELNS1_3gpuE9ELNS1_3repE0EEENS1_30default_config_static_selectorELNS0_4arch9wavefront6targetE0EEEvT1_
    .private_segment_fixed_size: 0
    .sgpr_count:     0
    .sgpr_spill_count: 0
    .symbol:         _ZN7rocprim17ROCPRIM_400000_NS6detail17trampoline_kernelINS0_14default_configENS1_27scan_by_key_config_selectorIiiEEZZNS1_16scan_by_key_implILNS1_25lookback_scan_determinismE0ELb0ES3_N6thrust23THRUST_200600_302600_NS6detail15normal_iteratorINS9_10device_ptrIiEEEESE_SE_iNS9_4plusIiEE19head_flag_predicateiEE10hipError_tPvRmT2_T3_T4_T5_mT6_T7_P12ihipStream_tbENKUlT_T0_E_clISt17integral_constantIbLb1EESX_IbLb0EEEEDaST_SU_EUlST_E_NS1_11comp_targetILNS1_3genE5ELNS1_11target_archE942ELNS1_3gpuE9ELNS1_3repE0EEENS1_30default_config_static_selectorELNS0_4arch9wavefront6targetE0EEEvT1_.kd
    .uniform_work_group_size: 1
    .uses_dynamic_stack: false
    .vgpr_count:     0
    .vgpr_spill_count: 0
    .wavefront_size: 32
    .workgroup_processor_mode: 1
  - .args:
      - .offset:         0
        .size:           112
        .value_kind:     by_value
    .group_segment_fixed_size: 0
    .kernarg_segment_align: 8
    .kernarg_segment_size: 112
    .language:       OpenCL C
    .language_version:
      - 2
      - 0
    .max_flat_workgroup_size: 256
    .name:           _ZN7rocprim17ROCPRIM_400000_NS6detail17trampoline_kernelINS0_14default_configENS1_27scan_by_key_config_selectorIiiEEZZNS1_16scan_by_key_implILNS1_25lookback_scan_determinismE0ELb0ES3_N6thrust23THRUST_200600_302600_NS6detail15normal_iteratorINS9_10device_ptrIiEEEESE_SE_iNS9_4plusIiEE19head_flag_predicateiEE10hipError_tPvRmT2_T3_T4_T5_mT6_T7_P12ihipStream_tbENKUlT_T0_E_clISt17integral_constantIbLb1EESX_IbLb0EEEEDaST_SU_EUlST_E_NS1_11comp_targetILNS1_3genE4ELNS1_11target_archE910ELNS1_3gpuE8ELNS1_3repE0EEENS1_30default_config_static_selectorELNS0_4arch9wavefront6targetE0EEEvT1_
    .private_segment_fixed_size: 0
    .sgpr_count:     0
    .sgpr_spill_count: 0
    .symbol:         _ZN7rocprim17ROCPRIM_400000_NS6detail17trampoline_kernelINS0_14default_configENS1_27scan_by_key_config_selectorIiiEEZZNS1_16scan_by_key_implILNS1_25lookback_scan_determinismE0ELb0ES3_N6thrust23THRUST_200600_302600_NS6detail15normal_iteratorINS9_10device_ptrIiEEEESE_SE_iNS9_4plusIiEE19head_flag_predicateiEE10hipError_tPvRmT2_T3_T4_T5_mT6_T7_P12ihipStream_tbENKUlT_T0_E_clISt17integral_constantIbLb1EESX_IbLb0EEEEDaST_SU_EUlST_E_NS1_11comp_targetILNS1_3genE4ELNS1_11target_archE910ELNS1_3gpuE8ELNS1_3repE0EEENS1_30default_config_static_selectorELNS0_4arch9wavefront6targetE0EEEvT1_.kd
    .uniform_work_group_size: 1
    .uses_dynamic_stack: false
    .vgpr_count:     0
    .vgpr_spill_count: 0
    .wavefront_size: 32
    .workgroup_processor_mode: 1
  - .args:
      - .offset:         0
        .size:           112
        .value_kind:     by_value
    .group_segment_fixed_size: 0
    .kernarg_segment_align: 8
    .kernarg_segment_size: 112
    .language:       OpenCL C
    .language_version:
      - 2
      - 0
    .max_flat_workgroup_size: 256
    .name:           _ZN7rocprim17ROCPRIM_400000_NS6detail17trampoline_kernelINS0_14default_configENS1_27scan_by_key_config_selectorIiiEEZZNS1_16scan_by_key_implILNS1_25lookback_scan_determinismE0ELb0ES3_N6thrust23THRUST_200600_302600_NS6detail15normal_iteratorINS9_10device_ptrIiEEEESE_SE_iNS9_4plusIiEE19head_flag_predicateiEE10hipError_tPvRmT2_T3_T4_T5_mT6_T7_P12ihipStream_tbENKUlT_T0_E_clISt17integral_constantIbLb1EESX_IbLb0EEEEDaST_SU_EUlST_E_NS1_11comp_targetILNS1_3genE3ELNS1_11target_archE908ELNS1_3gpuE7ELNS1_3repE0EEENS1_30default_config_static_selectorELNS0_4arch9wavefront6targetE0EEEvT1_
    .private_segment_fixed_size: 0
    .sgpr_count:     0
    .sgpr_spill_count: 0
    .symbol:         _ZN7rocprim17ROCPRIM_400000_NS6detail17trampoline_kernelINS0_14default_configENS1_27scan_by_key_config_selectorIiiEEZZNS1_16scan_by_key_implILNS1_25lookback_scan_determinismE0ELb0ES3_N6thrust23THRUST_200600_302600_NS6detail15normal_iteratorINS9_10device_ptrIiEEEESE_SE_iNS9_4plusIiEE19head_flag_predicateiEE10hipError_tPvRmT2_T3_T4_T5_mT6_T7_P12ihipStream_tbENKUlT_T0_E_clISt17integral_constantIbLb1EESX_IbLb0EEEEDaST_SU_EUlST_E_NS1_11comp_targetILNS1_3genE3ELNS1_11target_archE908ELNS1_3gpuE7ELNS1_3repE0EEENS1_30default_config_static_selectorELNS0_4arch9wavefront6targetE0EEEvT1_.kd
    .uniform_work_group_size: 1
    .uses_dynamic_stack: false
    .vgpr_count:     0
    .vgpr_spill_count: 0
    .wavefront_size: 32
    .workgroup_processor_mode: 1
  - .args:
      - .offset:         0
        .size:           112
        .value_kind:     by_value
    .group_segment_fixed_size: 0
    .kernarg_segment_align: 8
    .kernarg_segment_size: 112
    .language:       OpenCL C
    .language_version:
      - 2
      - 0
    .max_flat_workgroup_size: 256
    .name:           _ZN7rocprim17ROCPRIM_400000_NS6detail17trampoline_kernelINS0_14default_configENS1_27scan_by_key_config_selectorIiiEEZZNS1_16scan_by_key_implILNS1_25lookback_scan_determinismE0ELb0ES3_N6thrust23THRUST_200600_302600_NS6detail15normal_iteratorINS9_10device_ptrIiEEEESE_SE_iNS9_4plusIiEE19head_flag_predicateiEE10hipError_tPvRmT2_T3_T4_T5_mT6_T7_P12ihipStream_tbENKUlT_T0_E_clISt17integral_constantIbLb1EESX_IbLb0EEEEDaST_SU_EUlST_E_NS1_11comp_targetILNS1_3genE2ELNS1_11target_archE906ELNS1_3gpuE6ELNS1_3repE0EEENS1_30default_config_static_selectorELNS0_4arch9wavefront6targetE0EEEvT1_
    .private_segment_fixed_size: 0
    .sgpr_count:     0
    .sgpr_spill_count: 0
    .symbol:         _ZN7rocprim17ROCPRIM_400000_NS6detail17trampoline_kernelINS0_14default_configENS1_27scan_by_key_config_selectorIiiEEZZNS1_16scan_by_key_implILNS1_25lookback_scan_determinismE0ELb0ES3_N6thrust23THRUST_200600_302600_NS6detail15normal_iteratorINS9_10device_ptrIiEEEESE_SE_iNS9_4plusIiEE19head_flag_predicateiEE10hipError_tPvRmT2_T3_T4_T5_mT6_T7_P12ihipStream_tbENKUlT_T0_E_clISt17integral_constantIbLb1EESX_IbLb0EEEEDaST_SU_EUlST_E_NS1_11comp_targetILNS1_3genE2ELNS1_11target_archE906ELNS1_3gpuE6ELNS1_3repE0EEENS1_30default_config_static_selectorELNS0_4arch9wavefront6targetE0EEEvT1_.kd
    .uniform_work_group_size: 1
    .uses_dynamic_stack: false
    .vgpr_count:     0
    .vgpr_spill_count: 0
    .wavefront_size: 32
    .workgroup_processor_mode: 1
  - .args:
      - .offset:         0
        .size:           112
        .value_kind:     by_value
    .group_segment_fixed_size: 0
    .kernarg_segment_align: 8
    .kernarg_segment_size: 112
    .language:       OpenCL C
    .language_version:
      - 2
      - 0
    .max_flat_workgroup_size: 256
    .name:           _ZN7rocprim17ROCPRIM_400000_NS6detail17trampoline_kernelINS0_14default_configENS1_27scan_by_key_config_selectorIiiEEZZNS1_16scan_by_key_implILNS1_25lookback_scan_determinismE0ELb0ES3_N6thrust23THRUST_200600_302600_NS6detail15normal_iteratorINS9_10device_ptrIiEEEESE_SE_iNS9_4plusIiEE19head_flag_predicateiEE10hipError_tPvRmT2_T3_T4_T5_mT6_T7_P12ihipStream_tbENKUlT_T0_E_clISt17integral_constantIbLb1EESX_IbLb0EEEEDaST_SU_EUlST_E_NS1_11comp_targetILNS1_3genE10ELNS1_11target_archE1200ELNS1_3gpuE4ELNS1_3repE0EEENS1_30default_config_static_selectorELNS0_4arch9wavefront6targetE0EEEvT1_
    .private_segment_fixed_size: 0
    .sgpr_count:     0
    .sgpr_spill_count: 0
    .symbol:         _ZN7rocprim17ROCPRIM_400000_NS6detail17trampoline_kernelINS0_14default_configENS1_27scan_by_key_config_selectorIiiEEZZNS1_16scan_by_key_implILNS1_25lookback_scan_determinismE0ELb0ES3_N6thrust23THRUST_200600_302600_NS6detail15normal_iteratorINS9_10device_ptrIiEEEESE_SE_iNS9_4plusIiEE19head_flag_predicateiEE10hipError_tPvRmT2_T3_T4_T5_mT6_T7_P12ihipStream_tbENKUlT_T0_E_clISt17integral_constantIbLb1EESX_IbLb0EEEEDaST_SU_EUlST_E_NS1_11comp_targetILNS1_3genE10ELNS1_11target_archE1200ELNS1_3gpuE4ELNS1_3repE0EEENS1_30default_config_static_selectorELNS0_4arch9wavefront6targetE0EEEvT1_.kd
    .uniform_work_group_size: 1
    .uses_dynamic_stack: false
    .vgpr_count:     0
    .vgpr_spill_count: 0
    .wavefront_size: 32
    .workgroup_processor_mode: 1
  - .args:
      - .offset:         0
        .size:           112
        .value_kind:     by_value
    .group_segment_fixed_size: 0
    .kernarg_segment_align: 8
    .kernarg_segment_size: 112
    .language:       OpenCL C
    .language_version:
      - 2
      - 0
    .max_flat_workgroup_size: 256
    .name:           _ZN7rocprim17ROCPRIM_400000_NS6detail17trampoline_kernelINS0_14default_configENS1_27scan_by_key_config_selectorIiiEEZZNS1_16scan_by_key_implILNS1_25lookback_scan_determinismE0ELb0ES3_N6thrust23THRUST_200600_302600_NS6detail15normal_iteratorINS9_10device_ptrIiEEEESE_SE_iNS9_4plusIiEE19head_flag_predicateiEE10hipError_tPvRmT2_T3_T4_T5_mT6_T7_P12ihipStream_tbENKUlT_T0_E_clISt17integral_constantIbLb1EESX_IbLb0EEEEDaST_SU_EUlST_E_NS1_11comp_targetILNS1_3genE9ELNS1_11target_archE1100ELNS1_3gpuE3ELNS1_3repE0EEENS1_30default_config_static_selectorELNS0_4arch9wavefront6targetE0EEEvT1_
    .private_segment_fixed_size: 0
    .sgpr_count:     0
    .sgpr_spill_count: 0
    .symbol:         _ZN7rocprim17ROCPRIM_400000_NS6detail17trampoline_kernelINS0_14default_configENS1_27scan_by_key_config_selectorIiiEEZZNS1_16scan_by_key_implILNS1_25lookback_scan_determinismE0ELb0ES3_N6thrust23THRUST_200600_302600_NS6detail15normal_iteratorINS9_10device_ptrIiEEEESE_SE_iNS9_4plusIiEE19head_flag_predicateiEE10hipError_tPvRmT2_T3_T4_T5_mT6_T7_P12ihipStream_tbENKUlT_T0_E_clISt17integral_constantIbLb1EESX_IbLb0EEEEDaST_SU_EUlST_E_NS1_11comp_targetILNS1_3genE9ELNS1_11target_archE1100ELNS1_3gpuE3ELNS1_3repE0EEENS1_30default_config_static_selectorELNS0_4arch9wavefront6targetE0EEEvT1_.kd
    .uniform_work_group_size: 1
    .uses_dynamic_stack: false
    .vgpr_count:     0
    .vgpr_spill_count: 0
    .wavefront_size: 32
    .workgroup_processor_mode: 1
  - .args:
      - .offset:         0
        .size:           112
        .value_kind:     by_value
    .group_segment_fixed_size: 0
    .kernarg_segment_align: 8
    .kernarg_segment_size: 112
    .language:       OpenCL C
    .language_version:
      - 2
      - 0
    .max_flat_workgroup_size: 256
    .name:           _ZN7rocprim17ROCPRIM_400000_NS6detail17trampoline_kernelINS0_14default_configENS1_27scan_by_key_config_selectorIiiEEZZNS1_16scan_by_key_implILNS1_25lookback_scan_determinismE0ELb0ES3_N6thrust23THRUST_200600_302600_NS6detail15normal_iteratorINS9_10device_ptrIiEEEESE_SE_iNS9_4plusIiEE19head_flag_predicateiEE10hipError_tPvRmT2_T3_T4_T5_mT6_T7_P12ihipStream_tbENKUlT_T0_E_clISt17integral_constantIbLb1EESX_IbLb0EEEEDaST_SU_EUlST_E_NS1_11comp_targetILNS1_3genE8ELNS1_11target_archE1030ELNS1_3gpuE2ELNS1_3repE0EEENS1_30default_config_static_selectorELNS0_4arch9wavefront6targetE0EEEvT1_
    .private_segment_fixed_size: 0
    .sgpr_count:     0
    .sgpr_spill_count: 0
    .symbol:         _ZN7rocprim17ROCPRIM_400000_NS6detail17trampoline_kernelINS0_14default_configENS1_27scan_by_key_config_selectorIiiEEZZNS1_16scan_by_key_implILNS1_25lookback_scan_determinismE0ELb0ES3_N6thrust23THRUST_200600_302600_NS6detail15normal_iteratorINS9_10device_ptrIiEEEESE_SE_iNS9_4plusIiEE19head_flag_predicateiEE10hipError_tPvRmT2_T3_T4_T5_mT6_T7_P12ihipStream_tbENKUlT_T0_E_clISt17integral_constantIbLb1EESX_IbLb0EEEEDaST_SU_EUlST_E_NS1_11comp_targetILNS1_3genE8ELNS1_11target_archE1030ELNS1_3gpuE2ELNS1_3repE0EEENS1_30default_config_static_selectorELNS0_4arch9wavefront6targetE0EEEvT1_.kd
    .uniform_work_group_size: 1
    .uses_dynamic_stack: false
    .vgpr_count:     0
    .vgpr_spill_count: 0
    .wavefront_size: 32
    .workgroup_processor_mode: 1
  - .args:
      - .offset:         0
        .size:           112
        .value_kind:     by_value
    .group_segment_fixed_size: 0
    .kernarg_segment_align: 8
    .kernarg_segment_size: 112
    .language:       OpenCL C
    .language_version:
      - 2
      - 0
    .max_flat_workgroup_size: 256
    .name:           _ZN7rocprim17ROCPRIM_400000_NS6detail17trampoline_kernelINS0_14default_configENS1_27scan_by_key_config_selectorIiiEEZZNS1_16scan_by_key_implILNS1_25lookback_scan_determinismE0ELb0ES3_N6thrust23THRUST_200600_302600_NS6detail15normal_iteratorINS9_10device_ptrIiEEEESE_SE_iNS9_4plusIiEE19head_flag_predicateiEE10hipError_tPvRmT2_T3_T4_T5_mT6_T7_P12ihipStream_tbENKUlT_T0_E_clISt17integral_constantIbLb0EESX_IbLb1EEEEDaST_SU_EUlST_E_NS1_11comp_targetILNS1_3genE0ELNS1_11target_archE4294967295ELNS1_3gpuE0ELNS1_3repE0EEENS1_30default_config_static_selectorELNS0_4arch9wavefront6targetE0EEEvT1_
    .private_segment_fixed_size: 0
    .sgpr_count:     0
    .sgpr_spill_count: 0
    .symbol:         _ZN7rocprim17ROCPRIM_400000_NS6detail17trampoline_kernelINS0_14default_configENS1_27scan_by_key_config_selectorIiiEEZZNS1_16scan_by_key_implILNS1_25lookback_scan_determinismE0ELb0ES3_N6thrust23THRUST_200600_302600_NS6detail15normal_iteratorINS9_10device_ptrIiEEEESE_SE_iNS9_4plusIiEE19head_flag_predicateiEE10hipError_tPvRmT2_T3_T4_T5_mT6_T7_P12ihipStream_tbENKUlT_T0_E_clISt17integral_constantIbLb0EESX_IbLb1EEEEDaST_SU_EUlST_E_NS1_11comp_targetILNS1_3genE0ELNS1_11target_archE4294967295ELNS1_3gpuE0ELNS1_3repE0EEENS1_30default_config_static_selectorELNS0_4arch9wavefront6targetE0EEEvT1_.kd
    .uniform_work_group_size: 1
    .uses_dynamic_stack: false
    .vgpr_count:     0
    .vgpr_spill_count: 0
    .wavefront_size: 32
    .workgroup_processor_mode: 1
  - .args:
      - .offset:         0
        .size:           112
        .value_kind:     by_value
    .group_segment_fixed_size: 0
    .kernarg_segment_align: 8
    .kernarg_segment_size: 112
    .language:       OpenCL C
    .language_version:
      - 2
      - 0
    .max_flat_workgroup_size: 256
    .name:           _ZN7rocprim17ROCPRIM_400000_NS6detail17trampoline_kernelINS0_14default_configENS1_27scan_by_key_config_selectorIiiEEZZNS1_16scan_by_key_implILNS1_25lookback_scan_determinismE0ELb0ES3_N6thrust23THRUST_200600_302600_NS6detail15normal_iteratorINS9_10device_ptrIiEEEESE_SE_iNS9_4plusIiEE19head_flag_predicateiEE10hipError_tPvRmT2_T3_T4_T5_mT6_T7_P12ihipStream_tbENKUlT_T0_E_clISt17integral_constantIbLb0EESX_IbLb1EEEEDaST_SU_EUlST_E_NS1_11comp_targetILNS1_3genE10ELNS1_11target_archE1201ELNS1_3gpuE5ELNS1_3repE0EEENS1_30default_config_static_selectorELNS0_4arch9wavefront6targetE0EEEvT1_
    .private_segment_fixed_size: 0
    .sgpr_count:     0
    .sgpr_spill_count: 0
    .symbol:         _ZN7rocprim17ROCPRIM_400000_NS6detail17trampoline_kernelINS0_14default_configENS1_27scan_by_key_config_selectorIiiEEZZNS1_16scan_by_key_implILNS1_25lookback_scan_determinismE0ELb0ES3_N6thrust23THRUST_200600_302600_NS6detail15normal_iteratorINS9_10device_ptrIiEEEESE_SE_iNS9_4plusIiEE19head_flag_predicateiEE10hipError_tPvRmT2_T3_T4_T5_mT6_T7_P12ihipStream_tbENKUlT_T0_E_clISt17integral_constantIbLb0EESX_IbLb1EEEEDaST_SU_EUlST_E_NS1_11comp_targetILNS1_3genE10ELNS1_11target_archE1201ELNS1_3gpuE5ELNS1_3repE0EEENS1_30default_config_static_selectorELNS0_4arch9wavefront6targetE0EEEvT1_.kd
    .uniform_work_group_size: 1
    .uses_dynamic_stack: false
    .vgpr_count:     0
    .vgpr_spill_count: 0
    .wavefront_size: 32
    .workgroup_processor_mode: 1
  - .args:
      - .offset:         0
        .size:           112
        .value_kind:     by_value
    .group_segment_fixed_size: 0
    .kernarg_segment_align: 8
    .kernarg_segment_size: 112
    .language:       OpenCL C
    .language_version:
      - 2
      - 0
    .max_flat_workgroup_size: 256
    .name:           _ZN7rocprim17ROCPRIM_400000_NS6detail17trampoline_kernelINS0_14default_configENS1_27scan_by_key_config_selectorIiiEEZZNS1_16scan_by_key_implILNS1_25lookback_scan_determinismE0ELb0ES3_N6thrust23THRUST_200600_302600_NS6detail15normal_iteratorINS9_10device_ptrIiEEEESE_SE_iNS9_4plusIiEE19head_flag_predicateiEE10hipError_tPvRmT2_T3_T4_T5_mT6_T7_P12ihipStream_tbENKUlT_T0_E_clISt17integral_constantIbLb0EESX_IbLb1EEEEDaST_SU_EUlST_E_NS1_11comp_targetILNS1_3genE5ELNS1_11target_archE942ELNS1_3gpuE9ELNS1_3repE0EEENS1_30default_config_static_selectorELNS0_4arch9wavefront6targetE0EEEvT1_
    .private_segment_fixed_size: 0
    .sgpr_count:     0
    .sgpr_spill_count: 0
    .symbol:         _ZN7rocprim17ROCPRIM_400000_NS6detail17trampoline_kernelINS0_14default_configENS1_27scan_by_key_config_selectorIiiEEZZNS1_16scan_by_key_implILNS1_25lookback_scan_determinismE0ELb0ES3_N6thrust23THRUST_200600_302600_NS6detail15normal_iteratorINS9_10device_ptrIiEEEESE_SE_iNS9_4plusIiEE19head_flag_predicateiEE10hipError_tPvRmT2_T3_T4_T5_mT6_T7_P12ihipStream_tbENKUlT_T0_E_clISt17integral_constantIbLb0EESX_IbLb1EEEEDaST_SU_EUlST_E_NS1_11comp_targetILNS1_3genE5ELNS1_11target_archE942ELNS1_3gpuE9ELNS1_3repE0EEENS1_30default_config_static_selectorELNS0_4arch9wavefront6targetE0EEEvT1_.kd
    .uniform_work_group_size: 1
    .uses_dynamic_stack: false
    .vgpr_count:     0
    .vgpr_spill_count: 0
    .wavefront_size: 32
    .workgroup_processor_mode: 1
  - .args:
      - .offset:         0
        .size:           112
        .value_kind:     by_value
    .group_segment_fixed_size: 0
    .kernarg_segment_align: 8
    .kernarg_segment_size: 112
    .language:       OpenCL C
    .language_version:
      - 2
      - 0
    .max_flat_workgroup_size: 256
    .name:           _ZN7rocprim17ROCPRIM_400000_NS6detail17trampoline_kernelINS0_14default_configENS1_27scan_by_key_config_selectorIiiEEZZNS1_16scan_by_key_implILNS1_25lookback_scan_determinismE0ELb0ES3_N6thrust23THRUST_200600_302600_NS6detail15normal_iteratorINS9_10device_ptrIiEEEESE_SE_iNS9_4plusIiEE19head_flag_predicateiEE10hipError_tPvRmT2_T3_T4_T5_mT6_T7_P12ihipStream_tbENKUlT_T0_E_clISt17integral_constantIbLb0EESX_IbLb1EEEEDaST_SU_EUlST_E_NS1_11comp_targetILNS1_3genE4ELNS1_11target_archE910ELNS1_3gpuE8ELNS1_3repE0EEENS1_30default_config_static_selectorELNS0_4arch9wavefront6targetE0EEEvT1_
    .private_segment_fixed_size: 0
    .sgpr_count:     0
    .sgpr_spill_count: 0
    .symbol:         _ZN7rocprim17ROCPRIM_400000_NS6detail17trampoline_kernelINS0_14default_configENS1_27scan_by_key_config_selectorIiiEEZZNS1_16scan_by_key_implILNS1_25lookback_scan_determinismE0ELb0ES3_N6thrust23THRUST_200600_302600_NS6detail15normal_iteratorINS9_10device_ptrIiEEEESE_SE_iNS9_4plusIiEE19head_flag_predicateiEE10hipError_tPvRmT2_T3_T4_T5_mT6_T7_P12ihipStream_tbENKUlT_T0_E_clISt17integral_constantIbLb0EESX_IbLb1EEEEDaST_SU_EUlST_E_NS1_11comp_targetILNS1_3genE4ELNS1_11target_archE910ELNS1_3gpuE8ELNS1_3repE0EEENS1_30default_config_static_selectorELNS0_4arch9wavefront6targetE0EEEvT1_.kd
    .uniform_work_group_size: 1
    .uses_dynamic_stack: false
    .vgpr_count:     0
    .vgpr_spill_count: 0
    .wavefront_size: 32
    .workgroup_processor_mode: 1
  - .args:
      - .offset:         0
        .size:           112
        .value_kind:     by_value
    .group_segment_fixed_size: 0
    .kernarg_segment_align: 8
    .kernarg_segment_size: 112
    .language:       OpenCL C
    .language_version:
      - 2
      - 0
    .max_flat_workgroup_size: 256
    .name:           _ZN7rocprim17ROCPRIM_400000_NS6detail17trampoline_kernelINS0_14default_configENS1_27scan_by_key_config_selectorIiiEEZZNS1_16scan_by_key_implILNS1_25lookback_scan_determinismE0ELb0ES3_N6thrust23THRUST_200600_302600_NS6detail15normal_iteratorINS9_10device_ptrIiEEEESE_SE_iNS9_4plusIiEE19head_flag_predicateiEE10hipError_tPvRmT2_T3_T4_T5_mT6_T7_P12ihipStream_tbENKUlT_T0_E_clISt17integral_constantIbLb0EESX_IbLb1EEEEDaST_SU_EUlST_E_NS1_11comp_targetILNS1_3genE3ELNS1_11target_archE908ELNS1_3gpuE7ELNS1_3repE0EEENS1_30default_config_static_selectorELNS0_4arch9wavefront6targetE0EEEvT1_
    .private_segment_fixed_size: 0
    .sgpr_count:     0
    .sgpr_spill_count: 0
    .symbol:         _ZN7rocprim17ROCPRIM_400000_NS6detail17trampoline_kernelINS0_14default_configENS1_27scan_by_key_config_selectorIiiEEZZNS1_16scan_by_key_implILNS1_25lookback_scan_determinismE0ELb0ES3_N6thrust23THRUST_200600_302600_NS6detail15normal_iteratorINS9_10device_ptrIiEEEESE_SE_iNS9_4plusIiEE19head_flag_predicateiEE10hipError_tPvRmT2_T3_T4_T5_mT6_T7_P12ihipStream_tbENKUlT_T0_E_clISt17integral_constantIbLb0EESX_IbLb1EEEEDaST_SU_EUlST_E_NS1_11comp_targetILNS1_3genE3ELNS1_11target_archE908ELNS1_3gpuE7ELNS1_3repE0EEENS1_30default_config_static_selectorELNS0_4arch9wavefront6targetE0EEEvT1_.kd
    .uniform_work_group_size: 1
    .uses_dynamic_stack: false
    .vgpr_count:     0
    .vgpr_spill_count: 0
    .wavefront_size: 32
    .workgroup_processor_mode: 1
  - .args:
      - .offset:         0
        .size:           112
        .value_kind:     by_value
    .group_segment_fixed_size: 0
    .kernarg_segment_align: 8
    .kernarg_segment_size: 112
    .language:       OpenCL C
    .language_version:
      - 2
      - 0
    .max_flat_workgroup_size: 256
    .name:           _ZN7rocprim17ROCPRIM_400000_NS6detail17trampoline_kernelINS0_14default_configENS1_27scan_by_key_config_selectorIiiEEZZNS1_16scan_by_key_implILNS1_25lookback_scan_determinismE0ELb0ES3_N6thrust23THRUST_200600_302600_NS6detail15normal_iteratorINS9_10device_ptrIiEEEESE_SE_iNS9_4plusIiEE19head_flag_predicateiEE10hipError_tPvRmT2_T3_T4_T5_mT6_T7_P12ihipStream_tbENKUlT_T0_E_clISt17integral_constantIbLb0EESX_IbLb1EEEEDaST_SU_EUlST_E_NS1_11comp_targetILNS1_3genE2ELNS1_11target_archE906ELNS1_3gpuE6ELNS1_3repE0EEENS1_30default_config_static_selectorELNS0_4arch9wavefront6targetE0EEEvT1_
    .private_segment_fixed_size: 0
    .sgpr_count:     0
    .sgpr_spill_count: 0
    .symbol:         _ZN7rocprim17ROCPRIM_400000_NS6detail17trampoline_kernelINS0_14default_configENS1_27scan_by_key_config_selectorIiiEEZZNS1_16scan_by_key_implILNS1_25lookback_scan_determinismE0ELb0ES3_N6thrust23THRUST_200600_302600_NS6detail15normal_iteratorINS9_10device_ptrIiEEEESE_SE_iNS9_4plusIiEE19head_flag_predicateiEE10hipError_tPvRmT2_T3_T4_T5_mT6_T7_P12ihipStream_tbENKUlT_T0_E_clISt17integral_constantIbLb0EESX_IbLb1EEEEDaST_SU_EUlST_E_NS1_11comp_targetILNS1_3genE2ELNS1_11target_archE906ELNS1_3gpuE6ELNS1_3repE0EEENS1_30default_config_static_selectorELNS0_4arch9wavefront6targetE0EEEvT1_.kd
    .uniform_work_group_size: 1
    .uses_dynamic_stack: false
    .vgpr_count:     0
    .vgpr_spill_count: 0
    .wavefront_size: 32
    .workgroup_processor_mode: 1
  - .args:
      - .offset:         0
        .size:           112
        .value_kind:     by_value
    .group_segment_fixed_size: 0
    .kernarg_segment_align: 8
    .kernarg_segment_size: 112
    .language:       OpenCL C
    .language_version:
      - 2
      - 0
    .max_flat_workgroup_size: 256
    .name:           _ZN7rocprim17ROCPRIM_400000_NS6detail17trampoline_kernelINS0_14default_configENS1_27scan_by_key_config_selectorIiiEEZZNS1_16scan_by_key_implILNS1_25lookback_scan_determinismE0ELb0ES3_N6thrust23THRUST_200600_302600_NS6detail15normal_iteratorINS9_10device_ptrIiEEEESE_SE_iNS9_4plusIiEE19head_flag_predicateiEE10hipError_tPvRmT2_T3_T4_T5_mT6_T7_P12ihipStream_tbENKUlT_T0_E_clISt17integral_constantIbLb0EESX_IbLb1EEEEDaST_SU_EUlST_E_NS1_11comp_targetILNS1_3genE10ELNS1_11target_archE1200ELNS1_3gpuE4ELNS1_3repE0EEENS1_30default_config_static_selectorELNS0_4arch9wavefront6targetE0EEEvT1_
    .private_segment_fixed_size: 0
    .sgpr_count:     0
    .sgpr_spill_count: 0
    .symbol:         _ZN7rocprim17ROCPRIM_400000_NS6detail17trampoline_kernelINS0_14default_configENS1_27scan_by_key_config_selectorIiiEEZZNS1_16scan_by_key_implILNS1_25lookback_scan_determinismE0ELb0ES3_N6thrust23THRUST_200600_302600_NS6detail15normal_iteratorINS9_10device_ptrIiEEEESE_SE_iNS9_4plusIiEE19head_flag_predicateiEE10hipError_tPvRmT2_T3_T4_T5_mT6_T7_P12ihipStream_tbENKUlT_T0_E_clISt17integral_constantIbLb0EESX_IbLb1EEEEDaST_SU_EUlST_E_NS1_11comp_targetILNS1_3genE10ELNS1_11target_archE1200ELNS1_3gpuE4ELNS1_3repE0EEENS1_30default_config_static_selectorELNS0_4arch9wavefront6targetE0EEEvT1_.kd
    .uniform_work_group_size: 1
    .uses_dynamic_stack: false
    .vgpr_count:     0
    .vgpr_spill_count: 0
    .wavefront_size: 32
    .workgroup_processor_mode: 1
  - .args:
      - .offset:         0
        .size:           112
        .value_kind:     by_value
    .group_segment_fixed_size: 0
    .kernarg_segment_align: 8
    .kernarg_segment_size: 112
    .language:       OpenCL C
    .language_version:
      - 2
      - 0
    .max_flat_workgroup_size: 256
    .name:           _ZN7rocprim17ROCPRIM_400000_NS6detail17trampoline_kernelINS0_14default_configENS1_27scan_by_key_config_selectorIiiEEZZNS1_16scan_by_key_implILNS1_25lookback_scan_determinismE0ELb0ES3_N6thrust23THRUST_200600_302600_NS6detail15normal_iteratorINS9_10device_ptrIiEEEESE_SE_iNS9_4plusIiEE19head_flag_predicateiEE10hipError_tPvRmT2_T3_T4_T5_mT6_T7_P12ihipStream_tbENKUlT_T0_E_clISt17integral_constantIbLb0EESX_IbLb1EEEEDaST_SU_EUlST_E_NS1_11comp_targetILNS1_3genE9ELNS1_11target_archE1100ELNS1_3gpuE3ELNS1_3repE0EEENS1_30default_config_static_selectorELNS0_4arch9wavefront6targetE0EEEvT1_
    .private_segment_fixed_size: 0
    .sgpr_count:     0
    .sgpr_spill_count: 0
    .symbol:         _ZN7rocprim17ROCPRIM_400000_NS6detail17trampoline_kernelINS0_14default_configENS1_27scan_by_key_config_selectorIiiEEZZNS1_16scan_by_key_implILNS1_25lookback_scan_determinismE0ELb0ES3_N6thrust23THRUST_200600_302600_NS6detail15normal_iteratorINS9_10device_ptrIiEEEESE_SE_iNS9_4plusIiEE19head_flag_predicateiEE10hipError_tPvRmT2_T3_T4_T5_mT6_T7_P12ihipStream_tbENKUlT_T0_E_clISt17integral_constantIbLb0EESX_IbLb1EEEEDaST_SU_EUlST_E_NS1_11comp_targetILNS1_3genE9ELNS1_11target_archE1100ELNS1_3gpuE3ELNS1_3repE0EEENS1_30default_config_static_selectorELNS0_4arch9wavefront6targetE0EEEvT1_.kd
    .uniform_work_group_size: 1
    .uses_dynamic_stack: false
    .vgpr_count:     0
    .vgpr_spill_count: 0
    .wavefront_size: 32
    .workgroup_processor_mode: 1
  - .args:
      - .offset:         0
        .size:           112
        .value_kind:     by_value
    .group_segment_fixed_size: 5120
    .kernarg_segment_align: 8
    .kernarg_segment_size: 112
    .language:       OpenCL C
    .language_version:
      - 2
      - 0
    .max_flat_workgroup_size: 256
    .name:           _ZN7rocprim17ROCPRIM_400000_NS6detail17trampoline_kernelINS0_14default_configENS1_27scan_by_key_config_selectorIiiEEZZNS1_16scan_by_key_implILNS1_25lookback_scan_determinismE0ELb0ES3_N6thrust23THRUST_200600_302600_NS6detail15normal_iteratorINS9_10device_ptrIiEEEESE_SE_iNS9_4plusIiEE19head_flag_predicateiEE10hipError_tPvRmT2_T3_T4_T5_mT6_T7_P12ihipStream_tbENKUlT_T0_E_clISt17integral_constantIbLb0EESX_IbLb1EEEEDaST_SU_EUlST_E_NS1_11comp_targetILNS1_3genE8ELNS1_11target_archE1030ELNS1_3gpuE2ELNS1_3repE0EEENS1_30default_config_static_selectorELNS0_4arch9wavefront6targetE0EEEvT1_
    .private_segment_fixed_size: 0
    .sgpr_count:     29
    .sgpr_spill_count: 0
    .symbol:         _ZN7rocprim17ROCPRIM_400000_NS6detail17trampoline_kernelINS0_14default_configENS1_27scan_by_key_config_selectorIiiEEZZNS1_16scan_by_key_implILNS1_25lookback_scan_determinismE0ELb0ES3_N6thrust23THRUST_200600_302600_NS6detail15normal_iteratorINS9_10device_ptrIiEEEESE_SE_iNS9_4plusIiEE19head_flag_predicateiEE10hipError_tPvRmT2_T3_T4_T5_mT6_T7_P12ihipStream_tbENKUlT_T0_E_clISt17integral_constantIbLb0EESX_IbLb1EEEEDaST_SU_EUlST_E_NS1_11comp_targetILNS1_3genE8ELNS1_11target_archE1030ELNS1_3gpuE2ELNS1_3repE0EEENS1_30default_config_static_selectorELNS0_4arch9wavefront6targetE0EEEvT1_.kd
    .uniform_work_group_size: 1
    .uses_dynamic_stack: false
    .vgpr_count:     41
    .vgpr_spill_count: 0
    .wavefront_size: 32
    .workgroup_processor_mode: 1
  - .args:
      - .offset:         0
        .size:           112
        .value_kind:     by_value
    .group_segment_fixed_size: 0
    .kernarg_segment_align: 8
    .kernarg_segment_size: 112
    .language:       OpenCL C
    .language_version:
      - 2
      - 0
    .max_flat_workgroup_size: 256
    .name:           _ZN7rocprim17ROCPRIM_400000_NS6detail17trampoline_kernelINS0_14default_configENS1_27scan_by_key_config_selectorIiiEEZZNS1_16scan_by_key_implILNS1_25lookback_scan_determinismE0ELb1ES3_N6thrust23THRUST_200600_302600_NS6detail15normal_iteratorINS9_10device_ptrIiEEEESE_SE_iNS9_4plusIiEE19head_flag_predicateiEE10hipError_tPvRmT2_T3_T4_T5_mT6_T7_P12ihipStream_tbENKUlT_T0_E_clISt17integral_constantIbLb0EESY_EEDaST_SU_EUlST_E_NS1_11comp_targetILNS1_3genE0ELNS1_11target_archE4294967295ELNS1_3gpuE0ELNS1_3repE0EEENS1_30default_config_static_selectorELNS0_4arch9wavefront6targetE0EEEvT1_
    .private_segment_fixed_size: 0
    .sgpr_count:     0
    .sgpr_spill_count: 0
    .symbol:         _ZN7rocprim17ROCPRIM_400000_NS6detail17trampoline_kernelINS0_14default_configENS1_27scan_by_key_config_selectorIiiEEZZNS1_16scan_by_key_implILNS1_25lookback_scan_determinismE0ELb1ES3_N6thrust23THRUST_200600_302600_NS6detail15normal_iteratorINS9_10device_ptrIiEEEESE_SE_iNS9_4plusIiEE19head_flag_predicateiEE10hipError_tPvRmT2_T3_T4_T5_mT6_T7_P12ihipStream_tbENKUlT_T0_E_clISt17integral_constantIbLb0EESY_EEDaST_SU_EUlST_E_NS1_11comp_targetILNS1_3genE0ELNS1_11target_archE4294967295ELNS1_3gpuE0ELNS1_3repE0EEENS1_30default_config_static_selectorELNS0_4arch9wavefront6targetE0EEEvT1_.kd
    .uniform_work_group_size: 1
    .uses_dynamic_stack: false
    .vgpr_count:     0
    .vgpr_spill_count: 0
    .wavefront_size: 32
    .workgroup_processor_mode: 1
  - .args:
      - .offset:         0
        .size:           112
        .value_kind:     by_value
    .group_segment_fixed_size: 0
    .kernarg_segment_align: 8
    .kernarg_segment_size: 112
    .language:       OpenCL C
    .language_version:
      - 2
      - 0
    .max_flat_workgroup_size: 256
    .name:           _ZN7rocprim17ROCPRIM_400000_NS6detail17trampoline_kernelINS0_14default_configENS1_27scan_by_key_config_selectorIiiEEZZNS1_16scan_by_key_implILNS1_25lookback_scan_determinismE0ELb1ES3_N6thrust23THRUST_200600_302600_NS6detail15normal_iteratorINS9_10device_ptrIiEEEESE_SE_iNS9_4plusIiEE19head_flag_predicateiEE10hipError_tPvRmT2_T3_T4_T5_mT6_T7_P12ihipStream_tbENKUlT_T0_E_clISt17integral_constantIbLb0EESY_EEDaST_SU_EUlST_E_NS1_11comp_targetILNS1_3genE10ELNS1_11target_archE1201ELNS1_3gpuE5ELNS1_3repE0EEENS1_30default_config_static_selectorELNS0_4arch9wavefront6targetE0EEEvT1_
    .private_segment_fixed_size: 0
    .sgpr_count:     0
    .sgpr_spill_count: 0
    .symbol:         _ZN7rocprim17ROCPRIM_400000_NS6detail17trampoline_kernelINS0_14default_configENS1_27scan_by_key_config_selectorIiiEEZZNS1_16scan_by_key_implILNS1_25lookback_scan_determinismE0ELb1ES3_N6thrust23THRUST_200600_302600_NS6detail15normal_iteratorINS9_10device_ptrIiEEEESE_SE_iNS9_4plusIiEE19head_flag_predicateiEE10hipError_tPvRmT2_T3_T4_T5_mT6_T7_P12ihipStream_tbENKUlT_T0_E_clISt17integral_constantIbLb0EESY_EEDaST_SU_EUlST_E_NS1_11comp_targetILNS1_3genE10ELNS1_11target_archE1201ELNS1_3gpuE5ELNS1_3repE0EEENS1_30default_config_static_selectorELNS0_4arch9wavefront6targetE0EEEvT1_.kd
    .uniform_work_group_size: 1
    .uses_dynamic_stack: false
    .vgpr_count:     0
    .vgpr_spill_count: 0
    .wavefront_size: 32
    .workgroup_processor_mode: 1
  - .args:
      - .offset:         0
        .size:           112
        .value_kind:     by_value
    .group_segment_fixed_size: 0
    .kernarg_segment_align: 8
    .kernarg_segment_size: 112
    .language:       OpenCL C
    .language_version:
      - 2
      - 0
    .max_flat_workgroup_size: 256
    .name:           _ZN7rocprim17ROCPRIM_400000_NS6detail17trampoline_kernelINS0_14default_configENS1_27scan_by_key_config_selectorIiiEEZZNS1_16scan_by_key_implILNS1_25lookback_scan_determinismE0ELb1ES3_N6thrust23THRUST_200600_302600_NS6detail15normal_iteratorINS9_10device_ptrIiEEEESE_SE_iNS9_4plusIiEE19head_flag_predicateiEE10hipError_tPvRmT2_T3_T4_T5_mT6_T7_P12ihipStream_tbENKUlT_T0_E_clISt17integral_constantIbLb0EESY_EEDaST_SU_EUlST_E_NS1_11comp_targetILNS1_3genE5ELNS1_11target_archE942ELNS1_3gpuE9ELNS1_3repE0EEENS1_30default_config_static_selectorELNS0_4arch9wavefront6targetE0EEEvT1_
    .private_segment_fixed_size: 0
    .sgpr_count:     0
    .sgpr_spill_count: 0
    .symbol:         _ZN7rocprim17ROCPRIM_400000_NS6detail17trampoline_kernelINS0_14default_configENS1_27scan_by_key_config_selectorIiiEEZZNS1_16scan_by_key_implILNS1_25lookback_scan_determinismE0ELb1ES3_N6thrust23THRUST_200600_302600_NS6detail15normal_iteratorINS9_10device_ptrIiEEEESE_SE_iNS9_4plusIiEE19head_flag_predicateiEE10hipError_tPvRmT2_T3_T4_T5_mT6_T7_P12ihipStream_tbENKUlT_T0_E_clISt17integral_constantIbLb0EESY_EEDaST_SU_EUlST_E_NS1_11comp_targetILNS1_3genE5ELNS1_11target_archE942ELNS1_3gpuE9ELNS1_3repE0EEENS1_30default_config_static_selectorELNS0_4arch9wavefront6targetE0EEEvT1_.kd
    .uniform_work_group_size: 1
    .uses_dynamic_stack: false
    .vgpr_count:     0
    .vgpr_spill_count: 0
    .wavefront_size: 32
    .workgroup_processor_mode: 1
  - .args:
      - .offset:         0
        .size:           112
        .value_kind:     by_value
    .group_segment_fixed_size: 0
    .kernarg_segment_align: 8
    .kernarg_segment_size: 112
    .language:       OpenCL C
    .language_version:
      - 2
      - 0
    .max_flat_workgroup_size: 256
    .name:           _ZN7rocprim17ROCPRIM_400000_NS6detail17trampoline_kernelINS0_14default_configENS1_27scan_by_key_config_selectorIiiEEZZNS1_16scan_by_key_implILNS1_25lookback_scan_determinismE0ELb1ES3_N6thrust23THRUST_200600_302600_NS6detail15normal_iteratorINS9_10device_ptrIiEEEESE_SE_iNS9_4plusIiEE19head_flag_predicateiEE10hipError_tPvRmT2_T3_T4_T5_mT6_T7_P12ihipStream_tbENKUlT_T0_E_clISt17integral_constantIbLb0EESY_EEDaST_SU_EUlST_E_NS1_11comp_targetILNS1_3genE4ELNS1_11target_archE910ELNS1_3gpuE8ELNS1_3repE0EEENS1_30default_config_static_selectorELNS0_4arch9wavefront6targetE0EEEvT1_
    .private_segment_fixed_size: 0
    .sgpr_count:     0
    .sgpr_spill_count: 0
    .symbol:         _ZN7rocprim17ROCPRIM_400000_NS6detail17trampoline_kernelINS0_14default_configENS1_27scan_by_key_config_selectorIiiEEZZNS1_16scan_by_key_implILNS1_25lookback_scan_determinismE0ELb1ES3_N6thrust23THRUST_200600_302600_NS6detail15normal_iteratorINS9_10device_ptrIiEEEESE_SE_iNS9_4plusIiEE19head_flag_predicateiEE10hipError_tPvRmT2_T3_T4_T5_mT6_T7_P12ihipStream_tbENKUlT_T0_E_clISt17integral_constantIbLb0EESY_EEDaST_SU_EUlST_E_NS1_11comp_targetILNS1_3genE4ELNS1_11target_archE910ELNS1_3gpuE8ELNS1_3repE0EEENS1_30default_config_static_selectorELNS0_4arch9wavefront6targetE0EEEvT1_.kd
    .uniform_work_group_size: 1
    .uses_dynamic_stack: false
    .vgpr_count:     0
    .vgpr_spill_count: 0
    .wavefront_size: 32
    .workgroup_processor_mode: 1
  - .args:
      - .offset:         0
        .size:           112
        .value_kind:     by_value
    .group_segment_fixed_size: 0
    .kernarg_segment_align: 8
    .kernarg_segment_size: 112
    .language:       OpenCL C
    .language_version:
      - 2
      - 0
    .max_flat_workgroup_size: 256
    .name:           _ZN7rocprim17ROCPRIM_400000_NS6detail17trampoline_kernelINS0_14default_configENS1_27scan_by_key_config_selectorIiiEEZZNS1_16scan_by_key_implILNS1_25lookback_scan_determinismE0ELb1ES3_N6thrust23THRUST_200600_302600_NS6detail15normal_iteratorINS9_10device_ptrIiEEEESE_SE_iNS9_4plusIiEE19head_flag_predicateiEE10hipError_tPvRmT2_T3_T4_T5_mT6_T7_P12ihipStream_tbENKUlT_T0_E_clISt17integral_constantIbLb0EESY_EEDaST_SU_EUlST_E_NS1_11comp_targetILNS1_3genE3ELNS1_11target_archE908ELNS1_3gpuE7ELNS1_3repE0EEENS1_30default_config_static_selectorELNS0_4arch9wavefront6targetE0EEEvT1_
    .private_segment_fixed_size: 0
    .sgpr_count:     0
    .sgpr_spill_count: 0
    .symbol:         _ZN7rocprim17ROCPRIM_400000_NS6detail17trampoline_kernelINS0_14default_configENS1_27scan_by_key_config_selectorIiiEEZZNS1_16scan_by_key_implILNS1_25lookback_scan_determinismE0ELb1ES3_N6thrust23THRUST_200600_302600_NS6detail15normal_iteratorINS9_10device_ptrIiEEEESE_SE_iNS9_4plusIiEE19head_flag_predicateiEE10hipError_tPvRmT2_T3_T4_T5_mT6_T7_P12ihipStream_tbENKUlT_T0_E_clISt17integral_constantIbLb0EESY_EEDaST_SU_EUlST_E_NS1_11comp_targetILNS1_3genE3ELNS1_11target_archE908ELNS1_3gpuE7ELNS1_3repE0EEENS1_30default_config_static_selectorELNS0_4arch9wavefront6targetE0EEEvT1_.kd
    .uniform_work_group_size: 1
    .uses_dynamic_stack: false
    .vgpr_count:     0
    .vgpr_spill_count: 0
    .wavefront_size: 32
    .workgroup_processor_mode: 1
  - .args:
      - .offset:         0
        .size:           112
        .value_kind:     by_value
    .group_segment_fixed_size: 0
    .kernarg_segment_align: 8
    .kernarg_segment_size: 112
    .language:       OpenCL C
    .language_version:
      - 2
      - 0
    .max_flat_workgroup_size: 256
    .name:           _ZN7rocprim17ROCPRIM_400000_NS6detail17trampoline_kernelINS0_14default_configENS1_27scan_by_key_config_selectorIiiEEZZNS1_16scan_by_key_implILNS1_25lookback_scan_determinismE0ELb1ES3_N6thrust23THRUST_200600_302600_NS6detail15normal_iteratorINS9_10device_ptrIiEEEESE_SE_iNS9_4plusIiEE19head_flag_predicateiEE10hipError_tPvRmT2_T3_T4_T5_mT6_T7_P12ihipStream_tbENKUlT_T0_E_clISt17integral_constantIbLb0EESY_EEDaST_SU_EUlST_E_NS1_11comp_targetILNS1_3genE2ELNS1_11target_archE906ELNS1_3gpuE6ELNS1_3repE0EEENS1_30default_config_static_selectorELNS0_4arch9wavefront6targetE0EEEvT1_
    .private_segment_fixed_size: 0
    .sgpr_count:     0
    .sgpr_spill_count: 0
    .symbol:         _ZN7rocprim17ROCPRIM_400000_NS6detail17trampoline_kernelINS0_14default_configENS1_27scan_by_key_config_selectorIiiEEZZNS1_16scan_by_key_implILNS1_25lookback_scan_determinismE0ELb1ES3_N6thrust23THRUST_200600_302600_NS6detail15normal_iteratorINS9_10device_ptrIiEEEESE_SE_iNS9_4plusIiEE19head_flag_predicateiEE10hipError_tPvRmT2_T3_T4_T5_mT6_T7_P12ihipStream_tbENKUlT_T0_E_clISt17integral_constantIbLb0EESY_EEDaST_SU_EUlST_E_NS1_11comp_targetILNS1_3genE2ELNS1_11target_archE906ELNS1_3gpuE6ELNS1_3repE0EEENS1_30default_config_static_selectorELNS0_4arch9wavefront6targetE0EEEvT1_.kd
    .uniform_work_group_size: 1
    .uses_dynamic_stack: false
    .vgpr_count:     0
    .vgpr_spill_count: 0
    .wavefront_size: 32
    .workgroup_processor_mode: 1
  - .args:
      - .offset:         0
        .size:           112
        .value_kind:     by_value
    .group_segment_fixed_size: 0
    .kernarg_segment_align: 8
    .kernarg_segment_size: 112
    .language:       OpenCL C
    .language_version:
      - 2
      - 0
    .max_flat_workgroup_size: 256
    .name:           _ZN7rocprim17ROCPRIM_400000_NS6detail17trampoline_kernelINS0_14default_configENS1_27scan_by_key_config_selectorIiiEEZZNS1_16scan_by_key_implILNS1_25lookback_scan_determinismE0ELb1ES3_N6thrust23THRUST_200600_302600_NS6detail15normal_iteratorINS9_10device_ptrIiEEEESE_SE_iNS9_4plusIiEE19head_flag_predicateiEE10hipError_tPvRmT2_T3_T4_T5_mT6_T7_P12ihipStream_tbENKUlT_T0_E_clISt17integral_constantIbLb0EESY_EEDaST_SU_EUlST_E_NS1_11comp_targetILNS1_3genE10ELNS1_11target_archE1200ELNS1_3gpuE4ELNS1_3repE0EEENS1_30default_config_static_selectorELNS0_4arch9wavefront6targetE0EEEvT1_
    .private_segment_fixed_size: 0
    .sgpr_count:     0
    .sgpr_spill_count: 0
    .symbol:         _ZN7rocprim17ROCPRIM_400000_NS6detail17trampoline_kernelINS0_14default_configENS1_27scan_by_key_config_selectorIiiEEZZNS1_16scan_by_key_implILNS1_25lookback_scan_determinismE0ELb1ES3_N6thrust23THRUST_200600_302600_NS6detail15normal_iteratorINS9_10device_ptrIiEEEESE_SE_iNS9_4plusIiEE19head_flag_predicateiEE10hipError_tPvRmT2_T3_T4_T5_mT6_T7_P12ihipStream_tbENKUlT_T0_E_clISt17integral_constantIbLb0EESY_EEDaST_SU_EUlST_E_NS1_11comp_targetILNS1_3genE10ELNS1_11target_archE1200ELNS1_3gpuE4ELNS1_3repE0EEENS1_30default_config_static_selectorELNS0_4arch9wavefront6targetE0EEEvT1_.kd
    .uniform_work_group_size: 1
    .uses_dynamic_stack: false
    .vgpr_count:     0
    .vgpr_spill_count: 0
    .wavefront_size: 32
    .workgroup_processor_mode: 1
  - .args:
      - .offset:         0
        .size:           112
        .value_kind:     by_value
    .group_segment_fixed_size: 0
    .kernarg_segment_align: 8
    .kernarg_segment_size: 112
    .language:       OpenCL C
    .language_version:
      - 2
      - 0
    .max_flat_workgroup_size: 256
    .name:           _ZN7rocprim17ROCPRIM_400000_NS6detail17trampoline_kernelINS0_14default_configENS1_27scan_by_key_config_selectorIiiEEZZNS1_16scan_by_key_implILNS1_25lookback_scan_determinismE0ELb1ES3_N6thrust23THRUST_200600_302600_NS6detail15normal_iteratorINS9_10device_ptrIiEEEESE_SE_iNS9_4plusIiEE19head_flag_predicateiEE10hipError_tPvRmT2_T3_T4_T5_mT6_T7_P12ihipStream_tbENKUlT_T0_E_clISt17integral_constantIbLb0EESY_EEDaST_SU_EUlST_E_NS1_11comp_targetILNS1_3genE9ELNS1_11target_archE1100ELNS1_3gpuE3ELNS1_3repE0EEENS1_30default_config_static_selectorELNS0_4arch9wavefront6targetE0EEEvT1_
    .private_segment_fixed_size: 0
    .sgpr_count:     0
    .sgpr_spill_count: 0
    .symbol:         _ZN7rocprim17ROCPRIM_400000_NS6detail17trampoline_kernelINS0_14default_configENS1_27scan_by_key_config_selectorIiiEEZZNS1_16scan_by_key_implILNS1_25lookback_scan_determinismE0ELb1ES3_N6thrust23THRUST_200600_302600_NS6detail15normal_iteratorINS9_10device_ptrIiEEEESE_SE_iNS9_4plusIiEE19head_flag_predicateiEE10hipError_tPvRmT2_T3_T4_T5_mT6_T7_P12ihipStream_tbENKUlT_T0_E_clISt17integral_constantIbLb0EESY_EEDaST_SU_EUlST_E_NS1_11comp_targetILNS1_3genE9ELNS1_11target_archE1100ELNS1_3gpuE3ELNS1_3repE0EEENS1_30default_config_static_selectorELNS0_4arch9wavefront6targetE0EEEvT1_.kd
    .uniform_work_group_size: 1
    .uses_dynamic_stack: false
    .vgpr_count:     0
    .vgpr_spill_count: 0
    .wavefront_size: 32
    .workgroup_processor_mode: 1
  - .args:
      - .offset:         0
        .size:           112
        .value_kind:     by_value
    .group_segment_fixed_size: 5120
    .kernarg_segment_align: 8
    .kernarg_segment_size: 112
    .language:       OpenCL C
    .language_version:
      - 2
      - 0
    .max_flat_workgroup_size: 256
    .name:           _ZN7rocprim17ROCPRIM_400000_NS6detail17trampoline_kernelINS0_14default_configENS1_27scan_by_key_config_selectorIiiEEZZNS1_16scan_by_key_implILNS1_25lookback_scan_determinismE0ELb1ES3_N6thrust23THRUST_200600_302600_NS6detail15normal_iteratorINS9_10device_ptrIiEEEESE_SE_iNS9_4plusIiEE19head_flag_predicateiEE10hipError_tPvRmT2_T3_T4_T5_mT6_T7_P12ihipStream_tbENKUlT_T0_E_clISt17integral_constantIbLb0EESY_EEDaST_SU_EUlST_E_NS1_11comp_targetILNS1_3genE8ELNS1_11target_archE1030ELNS1_3gpuE2ELNS1_3repE0EEENS1_30default_config_static_selectorELNS0_4arch9wavefront6targetE0EEEvT1_
    .private_segment_fixed_size: 0
    .sgpr_count:     32
    .sgpr_spill_count: 0
    .symbol:         _ZN7rocprim17ROCPRIM_400000_NS6detail17trampoline_kernelINS0_14default_configENS1_27scan_by_key_config_selectorIiiEEZZNS1_16scan_by_key_implILNS1_25lookback_scan_determinismE0ELb1ES3_N6thrust23THRUST_200600_302600_NS6detail15normal_iteratorINS9_10device_ptrIiEEEESE_SE_iNS9_4plusIiEE19head_flag_predicateiEE10hipError_tPvRmT2_T3_T4_T5_mT6_T7_P12ihipStream_tbENKUlT_T0_E_clISt17integral_constantIbLb0EESY_EEDaST_SU_EUlST_E_NS1_11comp_targetILNS1_3genE8ELNS1_11target_archE1030ELNS1_3gpuE2ELNS1_3repE0EEENS1_30default_config_static_selectorELNS0_4arch9wavefront6targetE0EEEvT1_.kd
    .uniform_work_group_size: 1
    .uses_dynamic_stack: false
    .vgpr_count:     42
    .vgpr_spill_count: 0
    .wavefront_size: 32
    .workgroup_processor_mode: 1
  - .args:
      - .offset:         0
        .size:           112
        .value_kind:     by_value
    .group_segment_fixed_size: 0
    .kernarg_segment_align: 8
    .kernarg_segment_size: 112
    .language:       OpenCL C
    .language_version:
      - 2
      - 0
    .max_flat_workgroup_size: 256
    .name:           _ZN7rocprim17ROCPRIM_400000_NS6detail17trampoline_kernelINS0_14default_configENS1_27scan_by_key_config_selectorIiiEEZZNS1_16scan_by_key_implILNS1_25lookback_scan_determinismE0ELb1ES3_N6thrust23THRUST_200600_302600_NS6detail15normal_iteratorINS9_10device_ptrIiEEEESE_SE_iNS9_4plusIiEE19head_flag_predicateiEE10hipError_tPvRmT2_T3_T4_T5_mT6_T7_P12ihipStream_tbENKUlT_T0_E_clISt17integral_constantIbLb1EESY_EEDaST_SU_EUlST_E_NS1_11comp_targetILNS1_3genE0ELNS1_11target_archE4294967295ELNS1_3gpuE0ELNS1_3repE0EEENS1_30default_config_static_selectorELNS0_4arch9wavefront6targetE0EEEvT1_
    .private_segment_fixed_size: 0
    .sgpr_count:     0
    .sgpr_spill_count: 0
    .symbol:         _ZN7rocprim17ROCPRIM_400000_NS6detail17trampoline_kernelINS0_14default_configENS1_27scan_by_key_config_selectorIiiEEZZNS1_16scan_by_key_implILNS1_25lookback_scan_determinismE0ELb1ES3_N6thrust23THRUST_200600_302600_NS6detail15normal_iteratorINS9_10device_ptrIiEEEESE_SE_iNS9_4plusIiEE19head_flag_predicateiEE10hipError_tPvRmT2_T3_T4_T5_mT6_T7_P12ihipStream_tbENKUlT_T0_E_clISt17integral_constantIbLb1EESY_EEDaST_SU_EUlST_E_NS1_11comp_targetILNS1_3genE0ELNS1_11target_archE4294967295ELNS1_3gpuE0ELNS1_3repE0EEENS1_30default_config_static_selectorELNS0_4arch9wavefront6targetE0EEEvT1_.kd
    .uniform_work_group_size: 1
    .uses_dynamic_stack: false
    .vgpr_count:     0
    .vgpr_spill_count: 0
    .wavefront_size: 32
    .workgroup_processor_mode: 1
  - .args:
      - .offset:         0
        .size:           112
        .value_kind:     by_value
    .group_segment_fixed_size: 0
    .kernarg_segment_align: 8
    .kernarg_segment_size: 112
    .language:       OpenCL C
    .language_version:
      - 2
      - 0
    .max_flat_workgroup_size: 256
    .name:           _ZN7rocprim17ROCPRIM_400000_NS6detail17trampoline_kernelINS0_14default_configENS1_27scan_by_key_config_selectorIiiEEZZNS1_16scan_by_key_implILNS1_25lookback_scan_determinismE0ELb1ES3_N6thrust23THRUST_200600_302600_NS6detail15normal_iteratorINS9_10device_ptrIiEEEESE_SE_iNS9_4plusIiEE19head_flag_predicateiEE10hipError_tPvRmT2_T3_T4_T5_mT6_T7_P12ihipStream_tbENKUlT_T0_E_clISt17integral_constantIbLb1EESY_EEDaST_SU_EUlST_E_NS1_11comp_targetILNS1_3genE10ELNS1_11target_archE1201ELNS1_3gpuE5ELNS1_3repE0EEENS1_30default_config_static_selectorELNS0_4arch9wavefront6targetE0EEEvT1_
    .private_segment_fixed_size: 0
    .sgpr_count:     0
    .sgpr_spill_count: 0
    .symbol:         _ZN7rocprim17ROCPRIM_400000_NS6detail17trampoline_kernelINS0_14default_configENS1_27scan_by_key_config_selectorIiiEEZZNS1_16scan_by_key_implILNS1_25lookback_scan_determinismE0ELb1ES3_N6thrust23THRUST_200600_302600_NS6detail15normal_iteratorINS9_10device_ptrIiEEEESE_SE_iNS9_4plusIiEE19head_flag_predicateiEE10hipError_tPvRmT2_T3_T4_T5_mT6_T7_P12ihipStream_tbENKUlT_T0_E_clISt17integral_constantIbLb1EESY_EEDaST_SU_EUlST_E_NS1_11comp_targetILNS1_3genE10ELNS1_11target_archE1201ELNS1_3gpuE5ELNS1_3repE0EEENS1_30default_config_static_selectorELNS0_4arch9wavefront6targetE0EEEvT1_.kd
    .uniform_work_group_size: 1
    .uses_dynamic_stack: false
    .vgpr_count:     0
    .vgpr_spill_count: 0
    .wavefront_size: 32
    .workgroup_processor_mode: 1
  - .args:
      - .offset:         0
        .size:           112
        .value_kind:     by_value
    .group_segment_fixed_size: 0
    .kernarg_segment_align: 8
    .kernarg_segment_size: 112
    .language:       OpenCL C
    .language_version:
      - 2
      - 0
    .max_flat_workgroup_size: 256
    .name:           _ZN7rocprim17ROCPRIM_400000_NS6detail17trampoline_kernelINS0_14default_configENS1_27scan_by_key_config_selectorIiiEEZZNS1_16scan_by_key_implILNS1_25lookback_scan_determinismE0ELb1ES3_N6thrust23THRUST_200600_302600_NS6detail15normal_iteratorINS9_10device_ptrIiEEEESE_SE_iNS9_4plusIiEE19head_flag_predicateiEE10hipError_tPvRmT2_T3_T4_T5_mT6_T7_P12ihipStream_tbENKUlT_T0_E_clISt17integral_constantIbLb1EESY_EEDaST_SU_EUlST_E_NS1_11comp_targetILNS1_3genE5ELNS1_11target_archE942ELNS1_3gpuE9ELNS1_3repE0EEENS1_30default_config_static_selectorELNS0_4arch9wavefront6targetE0EEEvT1_
    .private_segment_fixed_size: 0
    .sgpr_count:     0
    .sgpr_spill_count: 0
    .symbol:         _ZN7rocprim17ROCPRIM_400000_NS6detail17trampoline_kernelINS0_14default_configENS1_27scan_by_key_config_selectorIiiEEZZNS1_16scan_by_key_implILNS1_25lookback_scan_determinismE0ELb1ES3_N6thrust23THRUST_200600_302600_NS6detail15normal_iteratorINS9_10device_ptrIiEEEESE_SE_iNS9_4plusIiEE19head_flag_predicateiEE10hipError_tPvRmT2_T3_T4_T5_mT6_T7_P12ihipStream_tbENKUlT_T0_E_clISt17integral_constantIbLb1EESY_EEDaST_SU_EUlST_E_NS1_11comp_targetILNS1_3genE5ELNS1_11target_archE942ELNS1_3gpuE9ELNS1_3repE0EEENS1_30default_config_static_selectorELNS0_4arch9wavefront6targetE0EEEvT1_.kd
    .uniform_work_group_size: 1
    .uses_dynamic_stack: false
    .vgpr_count:     0
    .vgpr_spill_count: 0
    .wavefront_size: 32
    .workgroup_processor_mode: 1
  - .args:
      - .offset:         0
        .size:           112
        .value_kind:     by_value
    .group_segment_fixed_size: 0
    .kernarg_segment_align: 8
    .kernarg_segment_size: 112
    .language:       OpenCL C
    .language_version:
      - 2
      - 0
    .max_flat_workgroup_size: 256
    .name:           _ZN7rocprim17ROCPRIM_400000_NS6detail17trampoline_kernelINS0_14default_configENS1_27scan_by_key_config_selectorIiiEEZZNS1_16scan_by_key_implILNS1_25lookback_scan_determinismE0ELb1ES3_N6thrust23THRUST_200600_302600_NS6detail15normal_iteratorINS9_10device_ptrIiEEEESE_SE_iNS9_4plusIiEE19head_flag_predicateiEE10hipError_tPvRmT2_T3_T4_T5_mT6_T7_P12ihipStream_tbENKUlT_T0_E_clISt17integral_constantIbLb1EESY_EEDaST_SU_EUlST_E_NS1_11comp_targetILNS1_3genE4ELNS1_11target_archE910ELNS1_3gpuE8ELNS1_3repE0EEENS1_30default_config_static_selectorELNS0_4arch9wavefront6targetE0EEEvT1_
    .private_segment_fixed_size: 0
    .sgpr_count:     0
    .sgpr_spill_count: 0
    .symbol:         _ZN7rocprim17ROCPRIM_400000_NS6detail17trampoline_kernelINS0_14default_configENS1_27scan_by_key_config_selectorIiiEEZZNS1_16scan_by_key_implILNS1_25lookback_scan_determinismE0ELb1ES3_N6thrust23THRUST_200600_302600_NS6detail15normal_iteratorINS9_10device_ptrIiEEEESE_SE_iNS9_4plusIiEE19head_flag_predicateiEE10hipError_tPvRmT2_T3_T4_T5_mT6_T7_P12ihipStream_tbENKUlT_T0_E_clISt17integral_constantIbLb1EESY_EEDaST_SU_EUlST_E_NS1_11comp_targetILNS1_3genE4ELNS1_11target_archE910ELNS1_3gpuE8ELNS1_3repE0EEENS1_30default_config_static_selectorELNS0_4arch9wavefront6targetE0EEEvT1_.kd
    .uniform_work_group_size: 1
    .uses_dynamic_stack: false
    .vgpr_count:     0
    .vgpr_spill_count: 0
    .wavefront_size: 32
    .workgroup_processor_mode: 1
  - .args:
      - .offset:         0
        .size:           112
        .value_kind:     by_value
    .group_segment_fixed_size: 0
    .kernarg_segment_align: 8
    .kernarg_segment_size: 112
    .language:       OpenCL C
    .language_version:
      - 2
      - 0
    .max_flat_workgroup_size: 256
    .name:           _ZN7rocprim17ROCPRIM_400000_NS6detail17trampoline_kernelINS0_14default_configENS1_27scan_by_key_config_selectorIiiEEZZNS1_16scan_by_key_implILNS1_25lookback_scan_determinismE0ELb1ES3_N6thrust23THRUST_200600_302600_NS6detail15normal_iteratorINS9_10device_ptrIiEEEESE_SE_iNS9_4plusIiEE19head_flag_predicateiEE10hipError_tPvRmT2_T3_T4_T5_mT6_T7_P12ihipStream_tbENKUlT_T0_E_clISt17integral_constantIbLb1EESY_EEDaST_SU_EUlST_E_NS1_11comp_targetILNS1_3genE3ELNS1_11target_archE908ELNS1_3gpuE7ELNS1_3repE0EEENS1_30default_config_static_selectorELNS0_4arch9wavefront6targetE0EEEvT1_
    .private_segment_fixed_size: 0
    .sgpr_count:     0
    .sgpr_spill_count: 0
    .symbol:         _ZN7rocprim17ROCPRIM_400000_NS6detail17trampoline_kernelINS0_14default_configENS1_27scan_by_key_config_selectorIiiEEZZNS1_16scan_by_key_implILNS1_25lookback_scan_determinismE0ELb1ES3_N6thrust23THRUST_200600_302600_NS6detail15normal_iteratorINS9_10device_ptrIiEEEESE_SE_iNS9_4plusIiEE19head_flag_predicateiEE10hipError_tPvRmT2_T3_T4_T5_mT6_T7_P12ihipStream_tbENKUlT_T0_E_clISt17integral_constantIbLb1EESY_EEDaST_SU_EUlST_E_NS1_11comp_targetILNS1_3genE3ELNS1_11target_archE908ELNS1_3gpuE7ELNS1_3repE0EEENS1_30default_config_static_selectorELNS0_4arch9wavefront6targetE0EEEvT1_.kd
    .uniform_work_group_size: 1
    .uses_dynamic_stack: false
    .vgpr_count:     0
    .vgpr_spill_count: 0
    .wavefront_size: 32
    .workgroup_processor_mode: 1
  - .args:
      - .offset:         0
        .size:           112
        .value_kind:     by_value
    .group_segment_fixed_size: 0
    .kernarg_segment_align: 8
    .kernarg_segment_size: 112
    .language:       OpenCL C
    .language_version:
      - 2
      - 0
    .max_flat_workgroup_size: 256
    .name:           _ZN7rocprim17ROCPRIM_400000_NS6detail17trampoline_kernelINS0_14default_configENS1_27scan_by_key_config_selectorIiiEEZZNS1_16scan_by_key_implILNS1_25lookback_scan_determinismE0ELb1ES3_N6thrust23THRUST_200600_302600_NS6detail15normal_iteratorINS9_10device_ptrIiEEEESE_SE_iNS9_4plusIiEE19head_flag_predicateiEE10hipError_tPvRmT2_T3_T4_T5_mT6_T7_P12ihipStream_tbENKUlT_T0_E_clISt17integral_constantIbLb1EESY_EEDaST_SU_EUlST_E_NS1_11comp_targetILNS1_3genE2ELNS1_11target_archE906ELNS1_3gpuE6ELNS1_3repE0EEENS1_30default_config_static_selectorELNS0_4arch9wavefront6targetE0EEEvT1_
    .private_segment_fixed_size: 0
    .sgpr_count:     0
    .sgpr_spill_count: 0
    .symbol:         _ZN7rocprim17ROCPRIM_400000_NS6detail17trampoline_kernelINS0_14default_configENS1_27scan_by_key_config_selectorIiiEEZZNS1_16scan_by_key_implILNS1_25lookback_scan_determinismE0ELb1ES3_N6thrust23THRUST_200600_302600_NS6detail15normal_iteratorINS9_10device_ptrIiEEEESE_SE_iNS9_4plusIiEE19head_flag_predicateiEE10hipError_tPvRmT2_T3_T4_T5_mT6_T7_P12ihipStream_tbENKUlT_T0_E_clISt17integral_constantIbLb1EESY_EEDaST_SU_EUlST_E_NS1_11comp_targetILNS1_3genE2ELNS1_11target_archE906ELNS1_3gpuE6ELNS1_3repE0EEENS1_30default_config_static_selectorELNS0_4arch9wavefront6targetE0EEEvT1_.kd
    .uniform_work_group_size: 1
    .uses_dynamic_stack: false
    .vgpr_count:     0
    .vgpr_spill_count: 0
    .wavefront_size: 32
    .workgroup_processor_mode: 1
  - .args:
      - .offset:         0
        .size:           112
        .value_kind:     by_value
    .group_segment_fixed_size: 0
    .kernarg_segment_align: 8
    .kernarg_segment_size: 112
    .language:       OpenCL C
    .language_version:
      - 2
      - 0
    .max_flat_workgroup_size: 256
    .name:           _ZN7rocprim17ROCPRIM_400000_NS6detail17trampoline_kernelINS0_14default_configENS1_27scan_by_key_config_selectorIiiEEZZNS1_16scan_by_key_implILNS1_25lookback_scan_determinismE0ELb1ES3_N6thrust23THRUST_200600_302600_NS6detail15normal_iteratorINS9_10device_ptrIiEEEESE_SE_iNS9_4plusIiEE19head_flag_predicateiEE10hipError_tPvRmT2_T3_T4_T5_mT6_T7_P12ihipStream_tbENKUlT_T0_E_clISt17integral_constantIbLb1EESY_EEDaST_SU_EUlST_E_NS1_11comp_targetILNS1_3genE10ELNS1_11target_archE1200ELNS1_3gpuE4ELNS1_3repE0EEENS1_30default_config_static_selectorELNS0_4arch9wavefront6targetE0EEEvT1_
    .private_segment_fixed_size: 0
    .sgpr_count:     0
    .sgpr_spill_count: 0
    .symbol:         _ZN7rocprim17ROCPRIM_400000_NS6detail17trampoline_kernelINS0_14default_configENS1_27scan_by_key_config_selectorIiiEEZZNS1_16scan_by_key_implILNS1_25lookback_scan_determinismE0ELb1ES3_N6thrust23THRUST_200600_302600_NS6detail15normal_iteratorINS9_10device_ptrIiEEEESE_SE_iNS9_4plusIiEE19head_flag_predicateiEE10hipError_tPvRmT2_T3_T4_T5_mT6_T7_P12ihipStream_tbENKUlT_T0_E_clISt17integral_constantIbLb1EESY_EEDaST_SU_EUlST_E_NS1_11comp_targetILNS1_3genE10ELNS1_11target_archE1200ELNS1_3gpuE4ELNS1_3repE0EEENS1_30default_config_static_selectorELNS0_4arch9wavefront6targetE0EEEvT1_.kd
    .uniform_work_group_size: 1
    .uses_dynamic_stack: false
    .vgpr_count:     0
    .vgpr_spill_count: 0
    .wavefront_size: 32
    .workgroup_processor_mode: 1
  - .args:
      - .offset:         0
        .size:           112
        .value_kind:     by_value
    .group_segment_fixed_size: 0
    .kernarg_segment_align: 8
    .kernarg_segment_size: 112
    .language:       OpenCL C
    .language_version:
      - 2
      - 0
    .max_flat_workgroup_size: 256
    .name:           _ZN7rocprim17ROCPRIM_400000_NS6detail17trampoline_kernelINS0_14default_configENS1_27scan_by_key_config_selectorIiiEEZZNS1_16scan_by_key_implILNS1_25lookback_scan_determinismE0ELb1ES3_N6thrust23THRUST_200600_302600_NS6detail15normal_iteratorINS9_10device_ptrIiEEEESE_SE_iNS9_4plusIiEE19head_flag_predicateiEE10hipError_tPvRmT2_T3_T4_T5_mT6_T7_P12ihipStream_tbENKUlT_T0_E_clISt17integral_constantIbLb1EESY_EEDaST_SU_EUlST_E_NS1_11comp_targetILNS1_3genE9ELNS1_11target_archE1100ELNS1_3gpuE3ELNS1_3repE0EEENS1_30default_config_static_selectorELNS0_4arch9wavefront6targetE0EEEvT1_
    .private_segment_fixed_size: 0
    .sgpr_count:     0
    .sgpr_spill_count: 0
    .symbol:         _ZN7rocprim17ROCPRIM_400000_NS6detail17trampoline_kernelINS0_14default_configENS1_27scan_by_key_config_selectorIiiEEZZNS1_16scan_by_key_implILNS1_25lookback_scan_determinismE0ELb1ES3_N6thrust23THRUST_200600_302600_NS6detail15normal_iteratorINS9_10device_ptrIiEEEESE_SE_iNS9_4plusIiEE19head_flag_predicateiEE10hipError_tPvRmT2_T3_T4_T5_mT6_T7_P12ihipStream_tbENKUlT_T0_E_clISt17integral_constantIbLb1EESY_EEDaST_SU_EUlST_E_NS1_11comp_targetILNS1_3genE9ELNS1_11target_archE1100ELNS1_3gpuE3ELNS1_3repE0EEENS1_30default_config_static_selectorELNS0_4arch9wavefront6targetE0EEEvT1_.kd
    .uniform_work_group_size: 1
    .uses_dynamic_stack: false
    .vgpr_count:     0
    .vgpr_spill_count: 0
    .wavefront_size: 32
    .workgroup_processor_mode: 1
  - .args:
      - .offset:         0
        .size:           112
        .value_kind:     by_value
    .group_segment_fixed_size: 0
    .kernarg_segment_align: 8
    .kernarg_segment_size: 112
    .language:       OpenCL C
    .language_version:
      - 2
      - 0
    .max_flat_workgroup_size: 256
    .name:           _ZN7rocprim17ROCPRIM_400000_NS6detail17trampoline_kernelINS0_14default_configENS1_27scan_by_key_config_selectorIiiEEZZNS1_16scan_by_key_implILNS1_25lookback_scan_determinismE0ELb1ES3_N6thrust23THRUST_200600_302600_NS6detail15normal_iteratorINS9_10device_ptrIiEEEESE_SE_iNS9_4plusIiEE19head_flag_predicateiEE10hipError_tPvRmT2_T3_T4_T5_mT6_T7_P12ihipStream_tbENKUlT_T0_E_clISt17integral_constantIbLb1EESY_EEDaST_SU_EUlST_E_NS1_11comp_targetILNS1_3genE8ELNS1_11target_archE1030ELNS1_3gpuE2ELNS1_3repE0EEENS1_30default_config_static_selectorELNS0_4arch9wavefront6targetE0EEEvT1_
    .private_segment_fixed_size: 0
    .sgpr_count:     0
    .sgpr_spill_count: 0
    .symbol:         _ZN7rocprim17ROCPRIM_400000_NS6detail17trampoline_kernelINS0_14default_configENS1_27scan_by_key_config_selectorIiiEEZZNS1_16scan_by_key_implILNS1_25lookback_scan_determinismE0ELb1ES3_N6thrust23THRUST_200600_302600_NS6detail15normal_iteratorINS9_10device_ptrIiEEEESE_SE_iNS9_4plusIiEE19head_flag_predicateiEE10hipError_tPvRmT2_T3_T4_T5_mT6_T7_P12ihipStream_tbENKUlT_T0_E_clISt17integral_constantIbLb1EESY_EEDaST_SU_EUlST_E_NS1_11comp_targetILNS1_3genE8ELNS1_11target_archE1030ELNS1_3gpuE2ELNS1_3repE0EEENS1_30default_config_static_selectorELNS0_4arch9wavefront6targetE0EEEvT1_.kd
    .uniform_work_group_size: 1
    .uses_dynamic_stack: false
    .vgpr_count:     0
    .vgpr_spill_count: 0
    .wavefront_size: 32
    .workgroup_processor_mode: 1
  - .args:
      - .offset:         0
        .size:           112
        .value_kind:     by_value
    .group_segment_fixed_size: 0
    .kernarg_segment_align: 8
    .kernarg_segment_size: 112
    .language:       OpenCL C
    .language_version:
      - 2
      - 0
    .max_flat_workgroup_size: 256
    .name:           _ZN7rocprim17ROCPRIM_400000_NS6detail17trampoline_kernelINS0_14default_configENS1_27scan_by_key_config_selectorIiiEEZZNS1_16scan_by_key_implILNS1_25lookback_scan_determinismE0ELb1ES3_N6thrust23THRUST_200600_302600_NS6detail15normal_iteratorINS9_10device_ptrIiEEEESE_SE_iNS9_4plusIiEE19head_flag_predicateiEE10hipError_tPvRmT2_T3_T4_T5_mT6_T7_P12ihipStream_tbENKUlT_T0_E_clISt17integral_constantIbLb1EESX_IbLb0EEEEDaST_SU_EUlST_E_NS1_11comp_targetILNS1_3genE0ELNS1_11target_archE4294967295ELNS1_3gpuE0ELNS1_3repE0EEENS1_30default_config_static_selectorELNS0_4arch9wavefront6targetE0EEEvT1_
    .private_segment_fixed_size: 0
    .sgpr_count:     0
    .sgpr_spill_count: 0
    .symbol:         _ZN7rocprim17ROCPRIM_400000_NS6detail17trampoline_kernelINS0_14default_configENS1_27scan_by_key_config_selectorIiiEEZZNS1_16scan_by_key_implILNS1_25lookback_scan_determinismE0ELb1ES3_N6thrust23THRUST_200600_302600_NS6detail15normal_iteratorINS9_10device_ptrIiEEEESE_SE_iNS9_4plusIiEE19head_flag_predicateiEE10hipError_tPvRmT2_T3_T4_T5_mT6_T7_P12ihipStream_tbENKUlT_T0_E_clISt17integral_constantIbLb1EESX_IbLb0EEEEDaST_SU_EUlST_E_NS1_11comp_targetILNS1_3genE0ELNS1_11target_archE4294967295ELNS1_3gpuE0ELNS1_3repE0EEENS1_30default_config_static_selectorELNS0_4arch9wavefront6targetE0EEEvT1_.kd
    .uniform_work_group_size: 1
    .uses_dynamic_stack: false
    .vgpr_count:     0
    .vgpr_spill_count: 0
    .wavefront_size: 32
    .workgroup_processor_mode: 1
  - .args:
      - .offset:         0
        .size:           112
        .value_kind:     by_value
    .group_segment_fixed_size: 0
    .kernarg_segment_align: 8
    .kernarg_segment_size: 112
    .language:       OpenCL C
    .language_version:
      - 2
      - 0
    .max_flat_workgroup_size: 256
    .name:           _ZN7rocprim17ROCPRIM_400000_NS6detail17trampoline_kernelINS0_14default_configENS1_27scan_by_key_config_selectorIiiEEZZNS1_16scan_by_key_implILNS1_25lookback_scan_determinismE0ELb1ES3_N6thrust23THRUST_200600_302600_NS6detail15normal_iteratorINS9_10device_ptrIiEEEESE_SE_iNS9_4plusIiEE19head_flag_predicateiEE10hipError_tPvRmT2_T3_T4_T5_mT6_T7_P12ihipStream_tbENKUlT_T0_E_clISt17integral_constantIbLb1EESX_IbLb0EEEEDaST_SU_EUlST_E_NS1_11comp_targetILNS1_3genE10ELNS1_11target_archE1201ELNS1_3gpuE5ELNS1_3repE0EEENS1_30default_config_static_selectorELNS0_4arch9wavefront6targetE0EEEvT1_
    .private_segment_fixed_size: 0
    .sgpr_count:     0
    .sgpr_spill_count: 0
    .symbol:         _ZN7rocprim17ROCPRIM_400000_NS6detail17trampoline_kernelINS0_14default_configENS1_27scan_by_key_config_selectorIiiEEZZNS1_16scan_by_key_implILNS1_25lookback_scan_determinismE0ELb1ES3_N6thrust23THRUST_200600_302600_NS6detail15normal_iteratorINS9_10device_ptrIiEEEESE_SE_iNS9_4plusIiEE19head_flag_predicateiEE10hipError_tPvRmT2_T3_T4_T5_mT6_T7_P12ihipStream_tbENKUlT_T0_E_clISt17integral_constantIbLb1EESX_IbLb0EEEEDaST_SU_EUlST_E_NS1_11comp_targetILNS1_3genE10ELNS1_11target_archE1201ELNS1_3gpuE5ELNS1_3repE0EEENS1_30default_config_static_selectorELNS0_4arch9wavefront6targetE0EEEvT1_.kd
    .uniform_work_group_size: 1
    .uses_dynamic_stack: false
    .vgpr_count:     0
    .vgpr_spill_count: 0
    .wavefront_size: 32
    .workgroup_processor_mode: 1
  - .args:
      - .offset:         0
        .size:           112
        .value_kind:     by_value
    .group_segment_fixed_size: 0
    .kernarg_segment_align: 8
    .kernarg_segment_size: 112
    .language:       OpenCL C
    .language_version:
      - 2
      - 0
    .max_flat_workgroup_size: 256
    .name:           _ZN7rocprim17ROCPRIM_400000_NS6detail17trampoline_kernelINS0_14default_configENS1_27scan_by_key_config_selectorIiiEEZZNS1_16scan_by_key_implILNS1_25lookback_scan_determinismE0ELb1ES3_N6thrust23THRUST_200600_302600_NS6detail15normal_iteratorINS9_10device_ptrIiEEEESE_SE_iNS9_4plusIiEE19head_flag_predicateiEE10hipError_tPvRmT2_T3_T4_T5_mT6_T7_P12ihipStream_tbENKUlT_T0_E_clISt17integral_constantIbLb1EESX_IbLb0EEEEDaST_SU_EUlST_E_NS1_11comp_targetILNS1_3genE5ELNS1_11target_archE942ELNS1_3gpuE9ELNS1_3repE0EEENS1_30default_config_static_selectorELNS0_4arch9wavefront6targetE0EEEvT1_
    .private_segment_fixed_size: 0
    .sgpr_count:     0
    .sgpr_spill_count: 0
    .symbol:         _ZN7rocprim17ROCPRIM_400000_NS6detail17trampoline_kernelINS0_14default_configENS1_27scan_by_key_config_selectorIiiEEZZNS1_16scan_by_key_implILNS1_25lookback_scan_determinismE0ELb1ES3_N6thrust23THRUST_200600_302600_NS6detail15normal_iteratorINS9_10device_ptrIiEEEESE_SE_iNS9_4plusIiEE19head_flag_predicateiEE10hipError_tPvRmT2_T3_T4_T5_mT6_T7_P12ihipStream_tbENKUlT_T0_E_clISt17integral_constantIbLb1EESX_IbLb0EEEEDaST_SU_EUlST_E_NS1_11comp_targetILNS1_3genE5ELNS1_11target_archE942ELNS1_3gpuE9ELNS1_3repE0EEENS1_30default_config_static_selectorELNS0_4arch9wavefront6targetE0EEEvT1_.kd
    .uniform_work_group_size: 1
    .uses_dynamic_stack: false
    .vgpr_count:     0
    .vgpr_spill_count: 0
    .wavefront_size: 32
    .workgroup_processor_mode: 1
  - .args:
      - .offset:         0
        .size:           112
        .value_kind:     by_value
    .group_segment_fixed_size: 0
    .kernarg_segment_align: 8
    .kernarg_segment_size: 112
    .language:       OpenCL C
    .language_version:
      - 2
      - 0
    .max_flat_workgroup_size: 256
    .name:           _ZN7rocprim17ROCPRIM_400000_NS6detail17trampoline_kernelINS0_14default_configENS1_27scan_by_key_config_selectorIiiEEZZNS1_16scan_by_key_implILNS1_25lookback_scan_determinismE0ELb1ES3_N6thrust23THRUST_200600_302600_NS6detail15normal_iteratorINS9_10device_ptrIiEEEESE_SE_iNS9_4plusIiEE19head_flag_predicateiEE10hipError_tPvRmT2_T3_T4_T5_mT6_T7_P12ihipStream_tbENKUlT_T0_E_clISt17integral_constantIbLb1EESX_IbLb0EEEEDaST_SU_EUlST_E_NS1_11comp_targetILNS1_3genE4ELNS1_11target_archE910ELNS1_3gpuE8ELNS1_3repE0EEENS1_30default_config_static_selectorELNS0_4arch9wavefront6targetE0EEEvT1_
    .private_segment_fixed_size: 0
    .sgpr_count:     0
    .sgpr_spill_count: 0
    .symbol:         _ZN7rocprim17ROCPRIM_400000_NS6detail17trampoline_kernelINS0_14default_configENS1_27scan_by_key_config_selectorIiiEEZZNS1_16scan_by_key_implILNS1_25lookback_scan_determinismE0ELb1ES3_N6thrust23THRUST_200600_302600_NS6detail15normal_iteratorINS9_10device_ptrIiEEEESE_SE_iNS9_4plusIiEE19head_flag_predicateiEE10hipError_tPvRmT2_T3_T4_T5_mT6_T7_P12ihipStream_tbENKUlT_T0_E_clISt17integral_constantIbLb1EESX_IbLb0EEEEDaST_SU_EUlST_E_NS1_11comp_targetILNS1_3genE4ELNS1_11target_archE910ELNS1_3gpuE8ELNS1_3repE0EEENS1_30default_config_static_selectorELNS0_4arch9wavefront6targetE0EEEvT1_.kd
    .uniform_work_group_size: 1
    .uses_dynamic_stack: false
    .vgpr_count:     0
    .vgpr_spill_count: 0
    .wavefront_size: 32
    .workgroup_processor_mode: 1
  - .args:
      - .offset:         0
        .size:           112
        .value_kind:     by_value
    .group_segment_fixed_size: 0
    .kernarg_segment_align: 8
    .kernarg_segment_size: 112
    .language:       OpenCL C
    .language_version:
      - 2
      - 0
    .max_flat_workgroup_size: 256
    .name:           _ZN7rocprim17ROCPRIM_400000_NS6detail17trampoline_kernelINS0_14default_configENS1_27scan_by_key_config_selectorIiiEEZZNS1_16scan_by_key_implILNS1_25lookback_scan_determinismE0ELb1ES3_N6thrust23THRUST_200600_302600_NS6detail15normal_iteratorINS9_10device_ptrIiEEEESE_SE_iNS9_4plusIiEE19head_flag_predicateiEE10hipError_tPvRmT2_T3_T4_T5_mT6_T7_P12ihipStream_tbENKUlT_T0_E_clISt17integral_constantIbLb1EESX_IbLb0EEEEDaST_SU_EUlST_E_NS1_11comp_targetILNS1_3genE3ELNS1_11target_archE908ELNS1_3gpuE7ELNS1_3repE0EEENS1_30default_config_static_selectorELNS0_4arch9wavefront6targetE0EEEvT1_
    .private_segment_fixed_size: 0
    .sgpr_count:     0
    .sgpr_spill_count: 0
    .symbol:         _ZN7rocprim17ROCPRIM_400000_NS6detail17trampoline_kernelINS0_14default_configENS1_27scan_by_key_config_selectorIiiEEZZNS1_16scan_by_key_implILNS1_25lookback_scan_determinismE0ELb1ES3_N6thrust23THRUST_200600_302600_NS6detail15normal_iteratorINS9_10device_ptrIiEEEESE_SE_iNS9_4plusIiEE19head_flag_predicateiEE10hipError_tPvRmT2_T3_T4_T5_mT6_T7_P12ihipStream_tbENKUlT_T0_E_clISt17integral_constantIbLb1EESX_IbLb0EEEEDaST_SU_EUlST_E_NS1_11comp_targetILNS1_3genE3ELNS1_11target_archE908ELNS1_3gpuE7ELNS1_3repE0EEENS1_30default_config_static_selectorELNS0_4arch9wavefront6targetE0EEEvT1_.kd
    .uniform_work_group_size: 1
    .uses_dynamic_stack: false
    .vgpr_count:     0
    .vgpr_spill_count: 0
    .wavefront_size: 32
    .workgroup_processor_mode: 1
  - .args:
      - .offset:         0
        .size:           112
        .value_kind:     by_value
    .group_segment_fixed_size: 0
    .kernarg_segment_align: 8
    .kernarg_segment_size: 112
    .language:       OpenCL C
    .language_version:
      - 2
      - 0
    .max_flat_workgroup_size: 256
    .name:           _ZN7rocprim17ROCPRIM_400000_NS6detail17trampoline_kernelINS0_14default_configENS1_27scan_by_key_config_selectorIiiEEZZNS1_16scan_by_key_implILNS1_25lookback_scan_determinismE0ELb1ES3_N6thrust23THRUST_200600_302600_NS6detail15normal_iteratorINS9_10device_ptrIiEEEESE_SE_iNS9_4plusIiEE19head_flag_predicateiEE10hipError_tPvRmT2_T3_T4_T5_mT6_T7_P12ihipStream_tbENKUlT_T0_E_clISt17integral_constantIbLb1EESX_IbLb0EEEEDaST_SU_EUlST_E_NS1_11comp_targetILNS1_3genE2ELNS1_11target_archE906ELNS1_3gpuE6ELNS1_3repE0EEENS1_30default_config_static_selectorELNS0_4arch9wavefront6targetE0EEEvT1_
    .private_segment_fixed_size: 0
    .sgpr_count:     0
    .sgpr_spill_count: 0
    .symbol:         _ZN7rocprim17ROCPRIM_400000_NS6detail17trampoline_kernelINS0_14default_configENS1_27scan_by_key_config_selectorIiiEEZZNS1_16scan_by_key_implILNS1_25lookback_scan_determinismE0ELb1ES3_N6thrust23THRUST_200600_302600_NS6detail15normal_iteratorINS9_10device_ptrIiEEEESE_SE_iNS9_4plusIiEE19head_flag_predicateiEE10hipError_tPvRmT2_T3_T4_T5_mT6_T7_P12ihipStream_tbENKUlT_T0_E_clISt17integral_constantIbLb1EESX_IbLb0EEEEDaST_SU_EUlST_E_NS1_11comp_targetILNS1_3genE2ELNS1_11target_archE906ELNS1_3gpuE6ELNS1_3repE0EEENS1_30default_config_static_selectorELNS0_4arch9wavefront6targetE0EEEvT1_.kd
    .uniform_work_group_size: 1
    .uses_dynamic_stack: false
    .vgpr_count:     0
    .vgpr_spill_count: 0
    .wavefront_size: 32
    .workgroup_processor_mode: 1
  - .args:
      - .offset:         0
        .size:           112
        .value_kind:     by_value
    .group_segment_fixed_size: 0
    .kernarg_segment_align: 8
    .kernarg_segment_size: 112
    .language:       OpenCL C
    .language_version:
      - 2
      - 0
    .max_flat_workgroup_size: 256
    .name:           _ZN7rocprim17ROCPRIM_400000_NS6detail17trampoline_kernelINS0_14default_configENS1_27scan_by_key_config_selectorIiiEEZZNS1_16scan_by_key_implILNS1_25lookback_scan_determinismE0ELb1ES3_N6thrust23THRUST_200600_302600_NS6detail15normal_iteratorINS9_10device_ptrIiEEEESE_SE_iNS9_4plusIiEE19head_flag_predicateiEE10hipError_tPvRmT2_T3_T4_T5_mT6_T7_P12ihipStream_tbENKUlT_T0_E_clISt17integral_constantIbLb1EESX_IbLb0EEEEDaST_SU_EUlST_E_NS1_11comp_targetILNS1_3genE10ELNS1_11target_archE1200ELNS1_3gpuE4ELNS1_3repE0EEENS1_30default_config_static_selectorELNS0_4arch9wavefront6targetE0EEEvT1_
    .private_segment_fixed_size: 0
    .sgpr_count:     0
    .sgpr_spill_count: 0
    .symbol:         _ZN7rocprim17ROCPRIM_400000_NS6detail17trampoline_kernelINS0_14default_configENS1_27scan_by_key_config_selectorIiiEEZZNS1_16scan_by_key_implILNS1_25lookback_scan_determinismE0ELb1ES3_N6thrust23THRUST_200600_302600_NS6detail15normal_iteratorINS9_10device_ptrIiEEEESE_SE_iNS9_4plusIiEE19head_flag_predicateiEE10hipError_tPvRmT2_T3_T4_T5_mT6_T7_P12ihipStream_tbENKUlT_T0_E_clISt17integral_constantIbLb1EESX_IbLb0EEEEDaST_SU_EUlST_E_NS1_11comp_targetILNS1_3genE10ELNS1_11target_archE1200ELNS1_3gpuE4ELNS1_3repE0EEENS1_30default_config_static_selectorELNS0_4arch9wavefront6targetE0EEEvT1_.kd
    .uniform_work_group_size: 1
    .uses_dynamic_stack: false
    .vgpr_count:     0
    .vgpr_spill_count: 0
    .wavefront_size: 32
    .workgroup_processor_mode: 1
  - .args:
      - .offset:         0
        .size:           112
        .value_kind:     by_value
    .group_segment_fixed_size: 0
    .kernarg_segment_align: 8
    .kernarg_segment_size: 112
    .language:       OpenCL C
    .language_version:
      - 2
      - 0
    .max_flat_workgroup_size: 256
    .name:           _ZN7rocprim17ROCPRIM_400000_NS6detail17trampoline_kernelINS0_14default_configENS1_27scan_by_key_config_selectorIiiEEZZNS1_16scan_by_key_implILNS1_25lookback_scan_determinismE0ELb1ES3_N6thrust23THRUST_200600_302600_NS6detail15normal_iteratorINS9_10device_ptrIiEEEESE_SE_iNS9_4plusIiEE19head_flag_predicateiEE10hipError_tPvRmT2_T3_T4_T5_mT6_T7_P12ihipStream_tbENKUlT_T0_E_clISt17integral_constantIbLb1EESX_IbLb0EEEEDaST_SU_EUlST_E_NS1_11comp_targetILNS1_3genE9ELNS1_11target_archE1100ELNS1_3gpuE3ELNS1_3repE0EEENS1_30default_config_static_selectorELNS0_4arch9wavefront6targetE0EEEvT1_
    .private_segment_fixed_size: 0
    .sgpr_count:     0
    .sgpr_spill_count: 0
    .symbol:         _ZN7rocprim17ROCPRIM_400000_NS6detail17trampoline_kernelINS0_14default_configENS1_27scan_by_key_config_selectorIiiEEZZNS1_16scan_by_key_implILNS1_25lookback_scan_determinismE0ELb1ES3_N6thrust23THRUST_200600_302600_NS6detail15normal_iteratorINS9_10device_ptrIiEEEESE_SE_iNS9_4plusIiEE19head_flag_predicateiEE10hipError_tPvRmT2_T3_T4_T5_mT6_T7_P12ihipStream_tbENKUlT_T0_E_clISt17integral_constantIbLb1EESX_IbLb0EEEEDaST_SU_EUlST_E_NS1_11comp_targetILNS1_3genE9ELNS1_11target_archE1100ELNS1_3gpuE3ELNS1_3repE0EEENS1_30default_config_static_selectorELNS0_4arch9wavefront6targetE0EEEvT1_.kd
    .uniform_work_group_size: 1
    .uses_dynamic_stack: false
    .vgpr_count:     0
    .vgpr_spill_count: 0
    .wavefront_size: 32
    .workgroup_processor_mode: 1
  - .args:
      - .offset:         0
        .size:           112
        .value_kind:     by_value
    .group_segment_fixed_size: 0
    .kernarg_segment_align: 8
    .kernarg_segment_size: 112
    .language:       OpenCL C
    .language_version:
      - 2
      - 0
    .max_flat_workgroup_size: 256
    .name:           _ZN7rocprim17ROCPRIM_400000_NS6detail17trampoline_kernelINS0_14default_configENS1_27scan_by_key_config_selectorIiiEEZZNS1_16scan_by_key_implILNS1_25lookback_scan_determinismE0ELb1ES3_N6thrust23THRUST_200600_302600_NS6detail15normal_iteratorINS9_10device_ptrIiEEEESE_SE_iNS9_4plusIiEE19head_flag_predicateiEE10hipError_tPvRmT2_T3_T4_T5_mT6_T7_P12ihipStream_tbENKUlT_T0_E_clISt17integral_constantIbLb1EESX_IbLb0EEEEDaST_SU_EUlST_E_NS1_11comp_targetILNS1_3genE8ELNS1_11target_archE1030ELNS1_3gpuE2ELNS1_3repE0EEENS1_30default_config_static_selectorELNS0_4arch9wavefront6targetE0EEEvT1_
    .private_segment_fixed_size: 0
    .sgpr_count:     0
    .sgpr_spill_count: 0
    .symbol:         _ZN7rocprim17ROCPRIM_400000_NS6detail17trampoline_kernelINS0_14default_configENS1_27scan_by_key_config_selectorIiiEEZZNS1_16scan_by_key_implILNS1_25lookback_scan_determinismE0ELb1ES3_N6thrust23THRUST_200600_302600_NS6detail15normal_iteratorINS9_10device_ptrIiEEEESE_SE_iNS9_4plusIiEE19head_flag_predicateiEE10hipError_tPvRmT2_T3_T4_T5_mT6_T7_P12ihipStream_tbENKUlT_T0_E_clISt17integral_constantIbLb1EESX_IbLb0EEEEDaST_SU_EUlST_E_NS1_11comp_targetILNS1_3genE8ELNS1_11target_archE1030ELNS1_3gpuE2ELNS1_3repE0EEENS1_30default_config_static_selectorELNS0_4arch9wavefront6targetE0EEEvT1_.kd
    .uniform_work_group_size: 1
    .uses_dynamic_stack: false
    .vgpr_count:     0
    .vgpr_spill_count: 0
    .wavefront_size: 32
    .workgroup_processor_mode: 1
  - .args:
      - .offset:         0
        .size:           112
        .value_kind:     by_value
    .group_segment_fixed_size: 0
    .kernarg_segment_align: 8
    .kernarg_segment_size: 112
    .language:       OpenCL C
    .language_version:
      - 2
      - 0
    .max_flat_workgroup_size: 256
    .name:           _ZN7rocprim17ROCPRIM_400000_NS6detail17trampoline_kernelINS0_14default_configENS1_27scan_by_key_config_selectorIiiEEZZNS1_16scan_by_key_implILNS1_25lookback_scan_determinismE0ELb1ES3_N6thrust23THRUST_200600_302600_NS6detail15normal_iteratorINS9_10device_ptrIiEEEESE_SE_iNS9_4plusIiEE19head_flag_predicateiEE10hipError_tPvRmT2_T3_T4_T5_mT6_T7_P12ihipStream_tbENKUlT_T0_E_clISt17integral_constantIbLb0EESX_IbLb1EEEEDaST_SU_EUlST_E_NS1_11comp_targetILNS1_3genE0ELNS1_11target_archE4294967295ELNS1_3gpuE0ELNS1_3repE0EEENS1_30default_config_static_selectorELNS0_4arch9wavefront6targetE0EEEvT1_
    .private_segment_fixed_size: 0
    .sgpr_count:     0
    .sgpr_spill_count: 0
    .symbol:         _ZN7rocprim17ROCPRIM_400000_NS6detail17trampoline_kernelINS0_14default_configENS1_27scan_by_key_config_selectorIiiEEZZNS1_16scan_by_key_implILNS1_25lookback_scan_determinismE0ELb1ES3_N6thrust23THRUST_200600_302600_NS6detail15normal_iteratorINS9_10device_ptrIiEEEESE_SE_iNS9_4plusIiEE19head_flag_predicateiEE10hipError_tPvRmT2_T3_T4_T5_mT6_T7_P12ihipStream_tbENKUlT_T0_E_clISt17integral_constantIbLb0EESX_IbLb1EEEEDaST_SU_EUlST_E_NS1_11comp_targetILNS1_3genE0ELNS1_11target_archE4294967295ELNS1_3gpuE0ELNS1_3repE0EEENS1_30default_config_static_selectorELNS0_4arch9wavefront6targetE0EEEvT1_.kd
    .uniform_work_group_size: 1
    .uses_dynamic_stack: false
    .vgpr_count:     0
    .vgpr_spill_count: 0
    .wavefront_size: 32
    .workgroup_processor_mode: 1
  - .args:
      - .offset:         0
        .size:           112
        .value_kind:     by_value
    .group_segment_fixed_size: 0
    .kernarg_segment_align: 8
    .kernarg_segment_size: 112
    .language:       OpenCL C
    .language_version:
      - 2
      - 0
    .max_flat_workgroup_size: 256
    .name:           _ZN7rocprim17ROCPRIM_400000_NS6detail17trampoline_kernelINS0_14default_configENS1_27scan_by_key_config_selectorIiiEEZZNS1_16scan_by_key_implILNS1_25lookback_scan_determinismE0ELb1ES3_N6thrust23THRUST_200600_302600_NS6detail15normal_iteratorINS9_10device_ptrIiEEEESE_SE_iNS9_4plusIiEE19head_flag_predicateiEE10hipError_tPvRmT2_T3_T4_T5_mT6_T7_P12ihipStream_tbENKUlT_T0_E_clISt17integral_constantIbLb0EESX_IbLb1EEEEDaST_SU_EUlST_E_NS1_11comp_targetILNS1_3genE10ELNS1_11target_archE1201ELNS1_3gpuE5ELNS1_3repE0EEENS1_30default_config_static_selectorELNS0_4arch9wavefront6targetE0EEEvT1_
    .private_segment_fixed_size: 0
    .sgpr_count:     0
    .sgpr_spill_count: 0
    .symbol:         _ZN7rocprim17ROCPRIM_400000_NS6detail17trampoline_kernelINS0_14default_configENS1_27scan_by_key_config_selectorIiiEEZZNS1_16scan_by_key_implILNS1_25lookback_scan_determinismE0ELb1ES3_N6thrust23THRUST_200600_302600_NS6detail15normal_iteratorINS9_10device_ptrIiEEEESE_SE_iNS9_4plusIiEE19head_flag_predicateiEE10hipError_tPvRmT2_T3_T4_T5_mT6_T7_P12ihipStream_tbENKUlT_T0_E_clISt17integral_constantIbLb0EESX_IbLb1EEEEDaST_SU_EUlST_E_NS1_11comp_targetILNS1_3genE10ELNS1_11target_archE1201ELNS1_3gpuE5ELNS1_3repE0EEENS1_30default_config_static_selectorELNS0_4arch9wavefront6targetE0EEEvT1_.kd
    .uniform_work_group_size: 1
    .uses_dynamic_stack: false
    .vgpr_count:     0
    .vgpr_spill_count: 0
    .wavefront_size: 32
    .workgroup_processor_mode: 1
  - .args:
      - .offset:         0
        .size:           112
        .value_kind:     by_value
    .group_segment_fixed_size: 0
    .kernarg_segment_align: 8
    .kernarg_segment_size: 112
    .language:       OpenCL C
    .language_version:
      - 2
      - 0
    .max_flat_workgroup_size: 256
    .name:           _ZN7rocprim17ROCPRIM_400000_NS6detail17trampoline_kernelINS0_14default_configENS1_27scan_by_key_config_selectorIiiEEZZNS1_16scan_by_key_implILNS1_25lookback_scan_determinismE0ELb1ES3_N6thrust23THRUST_200600_302600_NS6detail15normal_iteratorINS9_10device_ptrIiEEEESE_SE_iNS9_4plusIiEE19head_flag_predicateiEE10hipError_tPvRmT2_T3_T4_T5_mT6_T7_P12ihipStream_tbENKUlT_T0_E_clISt17integral_constantIbLb0EESX_IbLb1EEEEDaST_SU_EUlST_E_NS1_11comp_targetILNS1_3genE5ELNS1_11target_archE942ELNS1_3gpuE9ELNS1_3repE0EEENS1_30default_config_static_selectorELNS0_4arch9wavefront6targetE0EEEvT1_
    .private_segment_fixed_size: 0
    .sgpr_count:     0
    .sgpr_spill_count: 0
    .symbol:         _ZN7rocprim17ROCPRIM_400000_NS6detail17trampoline_kernelINS0_14default_configENS1_27scan_by_key_config_selectorIiiEEZZNS1_16scan_by_key_implILNS1_25lookback_scan_determinismE0ELb1ES3_N6thrust23THRUST_200600_302600_NS6detail15normal_iteratorINS9_10device_ptrIiEEEESE_SE_iNS9_4plusIiEE19head_flag_predicateiEE10hipError_tPvRmT2_T3_T4_T5_mT6_T7_P12ihipStream_tbENKUlT_T0_E_clISt17integral_constantIbLb0EESX_IbLb1EEEEDaST_SU_EUlST_E_NS1_11comp_targetILNS1_3genE5ELNS1_11target_archE942ELNS1_3gpuE9ELNS1_3repE0EEENS1_30default_config_static_selectorELNS0_4arch9wavefront6targetE0EEEvT1_.kd
    .uniform_work_group_size: 1
    .uses_dynamic_stack: false
    .vgpr_count:     0
    .vgpr_spill_count: 0
    .wavefront_size: 32
    .workgroup_processor_mode: 1
  - .args:
      - .offset:         0
        .size:           112
        .value_kind:     by_value
    .group_segment_fixed_size: 0
    .kernarg_segment_align: 8
    .kernarg_segment_size: 112
    .language:       OpenCL C
    .language_version:
      - 2
      - 0
    .max_flat_workgroup_size: 256
    .name:           _ZN7rocprim17ROCPRIM_400000_NS6detail17trampoline_kernelINS0_14default_configENS1_27scan_by_key_config_selectorIiiEEZZNS1_16scan_by_key_implILNS1_25lookback_scan_determinismE0ELb1ES3_N6thrust23THRUST_200600_302600_NS6detail15normal_iteratorINS9_10device_ptrIiEEEESE_SE_iNS9_4plusIiEE19head_flag_predicateiEE10hipError_tPvRmT2_T3_T4_T5_mT6_T7_P12ihipStream_tbENKUlT_T0_E_clISt17integral_constantIbLb0EESX_IbLb1EEEEDaST_SU_EUlST_E_NS1_11comp_targetILNS1_3genE4ELNS1_11target_archE910ELNS1_3gpuE8ELNS1_3repE0EEENS1_30default_config_static_selectorELNS0_4arch9wavefront6targetE0EEEvT1_
    .private_segment_fixed_size: 0
    .sgpr_count:     0
    .sgpr_spill_count: 0
    .symbol:         _ZN7rocprim17ROCPRIM_400000_NS6detail17trampoline_kernelINS0_14default_configENS1_27scan_by_key_config_selectorIiiEEZZNS1_16scan_by_key_implILNS1_25lookback_scan_determinismE0ELb1ES3_N6thrust23THRUST_200600_302600_NS6detail15normal_iteratorINS9_10device_ptrIiEEEESE_SE_iNS9_4plusIiEE19head_flag_predicateiEE10hipError_tPvRmT2_T3_T4_T5_mT6_T7_P12ihipStream_tbENKUlT_T0_E_clISt17integral_constantIbLb0EESX_IbLb1EEEEDaST_SU_EUlST_E_NS1_11comp_targetILNS1_3genE4ELNS1_11target_archE910ELNS1_3gpuE8ELNS1_3repE0EEENS1_30default_config_static_selectorELNS0_4arch9wavefront6targetE0EEEvT1_.kd
    .uniform_work_group_size: 1
    .uses_dynamic_stack: false
    .vgpr_count:     0
    .vgpr_spill_count: 0
    .wavefront_size: 32
    .workgroup_processor_mode: 1
  - .args:
      - .offset:         0
        .size:           112
        .value_kind:     by_value
    .group_segment_fixed_size: 0
    .kernarg_segment_align: 8
    .kernarg_segment_size: 112
    .language:       OpenCL C
    .language_version:
      - 2
      - 0
    .max_flat_workgroup_size: 256
    .name:           _ZN7rocprim17ROCPRIM_400000_NS6detail17trampoline_kernelINS0_14default_configENS1_27scan_by_key_config_selectorIiiEEZZNS1_16scan_by_key_implILNS1_25lookback_scan_determinismE0ELb1ES3_N6thrust23THRUST_200600_302600_NS6detail15normal_iteratorINS9_10device_ptrIiEEEESE_SE_iNS9_4plusIiEE19head_flag_predicateiEE10hipError_tPvRmT2_T3_T4_T5_mT6_T7_P12ihipStream_tbENKUlT_T0_E_clISt17integral_constantIbLb0EESX_IbLb1EEEEDaST_SU_EUlST_E_NS1_11comp_targetILNS1_3genE3ELNS1_11target_archE908ELNS1_3gpuE7ELNS1_3repE0EEENS1_30default_config_static_selectorELNS0_4arch9wavefront6targetE0EEEvT1_
    .private_segment_fixed_size: 0
    .sgpr_count:     0
    .sgpr_spill_count: 0
    .symbol:         _ZN7rocprim17ROCPRIM_400000_NS6detail17trampoline_kernelINS0_14default_configENS1_27scan_by_key_config_selectorIiiEEZZNS1_16scan_by_key_implILNS1_25lookback_scan_determinismE0ELb1ES3_N6thrust23THRUST_200600_302600_NS6detail15normal_iteratorINS9_10device_ptrIiEEEESE_SE_iNS9_4plusIiEE19head_flag_predicateiEE10hipError_tPvRmT2_T3_T4_T5_mT6_T7_P12ihipStream_tbENKUlT_T0_E_clISt17integral_constantIbLb0EESX_IbLb1EEEEDaST_SU_EUlST_E_NS1_11comp_targetILNS1_3genE3ELNS1_11target_archE908ELNS1_3gpuE7ELNS1_3repE0EEENS1_30default_config_static_selectorELNS0_4arch9wavefront6targetE0EEEvT1_.kd
    .uniform_work_group_size: 1
    .uses_dynamic_stack: false
    .vgpr_count:     0
    .vgpr_spill_count: 0
    .wavefront_size: 32
    .workgroup_processor_mode: 1
  - .args:
      - .offset:         0
        .size:           112
        .value_kind:     by_value
    .group_segment_fixed_size: 0
    .kernarg_segment_align: 8
    .kernarg_segment_size: 112
    .language:       OpenCL C
    .language_version:
      - 2
      - 0
    .max_flat_workgroup_size: 256
    .name:           _ZN7rocprim17ROCPRIM_400000_NS6detail17trampoline_kernelINS0_14default_configENS1_27scan_by_key_config_selectorIiiEEZZNS1_16scan_by_key_implILNS1_25lookback_scan_determinismE0ELb1ES3_N6thrust23THRUST_200600_302600_NS6detail15normal_iteratorINS9_10device_ptrIiEEEESE_SE_iNS9_4plusIiEE19head_flag_predicateiEE10hipError_tPvRmT2_T3_T4_T5_mT6_T7_P12ihipStream_tbENKUlT_T0_E_clISt17integral_constantIbLb0EESX_IbLb1EEEEDaST_SU_EUlST_E_NS1_11comp_targetILNS1_3genE2ELNS1_11target_archE906ELNS1_3gpuE6ELNS1_3repE0EEENS1_30default_config_static_selectorELNS0_4arch9wavefront6targetE0EEEvT1_
    .private_segment_fixed_size: 0
    .sgpr_count:     0
    .sgpr_spill_count: 0
    .symbol:         _ZN7rocprim17ROCPRIM_400000_NS6detail17trampoline_kernelINS0_14default_configENS1_27scan_by_key_config_selectorIiiEEZZNS1_16scan_by_key_implILNS1_25lookback_scan_determinismE0ELb1ES3_N6thrust23THRUST_200600_302600_NS6detail15normal_iteratorINS9_10device_ptrIiEEEESE_SE_iNS9_4plusIiEE19head_flag_predicateiEE10hipError_tPvRmT2_T3_T4_T5_mT6_T7_P12ihipStream_tbENKUlT_T0_E_clISt17integral_constantIbLb0EESX_IbLb1EEEEDaST_SU_EUlST_E_NS1_11comp_targetILNS1_3genE2ELNS1_11target_archE906ELNS1_3gpuE6ELNS1_3repE0EEENS1_30default_config_static_selectorELNS0_4arch9wavefront6targetE0EEEvT1_.kd
    .uniform_work_group_size: 1
    .uses_dynamic_stack: false
    .vgpr_count:     0
    .vgpr_spill_count: 0
    .wavefront_size: 32
    .workgroup_processor_mode: 1
  - .args:
      - .offset:         0
        .size:           112
        .value_kind:     by_value
    .group_segment_fixed_size: 0
    .kernarg_segment_align: 8
    .kernarg_segment_size: 112
    .language:       OpenCL C
    .language_version:
      - 2
      - 0
    .max_flat_workgroup_size: 256
    .name:           _ZN7rocprim17ROCPRIM_400000_NS6detail17trampoline_kernelINS0_14default_configENS1_27scan_by_key_config_selectorIiiEEZZNS1_16scan_by_key_implILNS1_25lookback_scan_determinismE0ELb1ES3_N6thrust23THRUST_200600_302600_NS6detail15normal_iteratorINS9_10device_ptrIiEEEESE_SE_iNS9_4plusIiEE19head_flag_predicateiEE10hipError_tPvRmT2_T3_T4_T5_mT6_T7_P12ihipStream_tbENKUlT_T0_E_clISt17integral_constantIbLb0EESX_IbLb1EEEEDaST_SU_EUlST_E_NS1_11comp_targetILNS1_3genE10ELNS1_11target_archE1200ELNS1_3gpuE4ELNS1_3repE0EEENS1_30default_config_static_selectorELNS0_4arch9wavefront6targetE0EEEvT1_
    .private_segment_fixed_size: 0
    .sgpr_count:     0
    .sgpr_spill_count: 0
    .symbol:         _ZN7rocprim17ROCPRIM_400000_NS6detail17trampoline_kernelINS0_14default_configENS1_27scan_by_key_config_selectorIiiEEZZNS1_16scan_by_key_implILNS1_25lookback_scan_determinismE0ELb1ES3_N6thrust23THRUST_200600_302600_NS6detail15normal_iteratorINS9_10device_ptrIiEEEESE_SE_iNS9_4plusIiEE19head_flag_predicateiEE10hipError_tPvRmT2_T3_T4_T5_mT6_T7_P12ihipStream_tbENKUlT_T0_E_clISt17integral_constantIbLb0EESX_IbLb1EEEEDaST_SU_EUlST_E_NS1_11comp_targetILNS1_3genE10ELNS1_11target_archE1200ELNS1_3gpuE4ELNS1_3repE0EEENS1_30default_config_static_selectorELNS0_4arch9wavefront6targetE0EEEvT1_.kd
    .uniform_work_group_size: 1
    .uses_dynamic_stack: false
    .vgpr_count:     0
    .vgpr_spill_count: 0
    .wavefront_size: 32
    .workgroup_processor_mode: 1
  - .args:
      - .offset:         0
        .size:           112
        .value_kind:     by_value
    .group_segment_fixed_size: 0
    .kernarg_segment_align: 8
    .kernarg_segment_size: 112
    .language:       OpenCL C
    .language_version:
      - 2
      - 0
    .max_flat_workgroup_size: 256
    .name:           _ZN7rocprim17ROCPRIM_400000_NS6detail17trampoline_kernelINS0_14default_configENS1_27scan_by_key_config_selectorIiiEEZZNS1_16scan_by_key_implILNS1_25lookback_scan_determinismE0ELb1ES3_N6thrust23THRUST_200600_302600_NS6detail15normal_iteratorINS9_10device_ptrIiEEEESE_SE_iNS9_4plusIiEE19head_flag_predicateiEE10hipError_tPvRmT2_T3_T4_T5_mT6_T7_P12ihipStream_tbENKUlT_T0_E_clISt17integral_constantIbLb0EESX_IbLb1EEEEDaST_SU_EUlST_E_NS1_11comp_targetILNS1_3genE9ELNS1_11target_archE1100ELNS1_3gpuE3ELNS1_3repE0EEENS1_30default_config_static_selectorELNS0_4arch9wavefront6targetE0EEEvT1_
    .private_segment_fixed_size: 0
    .sgpr_count:     0
    .sgpr_spill_count: 0
    .symbol:         _ZN7rocprim17ROCPRIM_400000_NS6detail17trampoline_kernelINS0_14default_configENS1_27scan_by_key_config_selectorIiiEEZZNS1_16scan_by_key_implILNS1_25lookback_scan_determinismE0ELb1ES3_N6thrust23THRUST_200600_302600_NS6detail15normal_iteratorINS9_10device_ptrIiEEEESE_SE_iNS9_4plusIiEE19head_flag_predicateiEE10hipError_tPvRmT2_T3_T4_T5_mT6_T7_P12ihipStream_tbENKUlT_T0_E_clISt17integral_constantIbLb0EESX_IbLb1EEEEDaST_SU_EUlST_E_NS1_11comp_targetILNS1_3genE9ELNS1_11target_archE1100ELNS1_3gpuE3ELNS1_3repE0EEENS1_30default_config_static_selectorELNS0_4arch9wavefront6targetE0EEEvT1_.kd
    .uniform_work_group_size: 1
    .uses_dynamic_stack: false
    .vgpr_count:     0
    .vgpr_spill_count: 0
    .wavefront_size: 32
    .workgroup_processor_mode: 1
  - .args:
      - .offset:         0
        .size:           112
        .value_kind:     by_value
    .group_segment_fixed_size: 5120
    .kernarg_segment_align: 8
    .kernarg_segment_size: 112
    .language:       OpenCL C
    .language_version:
      - 2
      - 0
    .max_flat_workgroup_size: 256
    .name:           _ZN7rocprim17ROCPRIM_400000_NS6detail17trampoline_kernelINS0_14default_configENS1_27scan_by_key_config_selectorIiiEEZZNS1_16scan_by_key_implILNS1_25lookback_scan_determinismE0ELb1ES3_N6thrust23THRUST_200600_302600_NS6detail15normal_iteratorINS9_10device_ptrIiEEEESE_SE_iNS9_4plusIiEE19head_flag_predicateiEE10hipError_tPvRmT2_T3_T4_T5_mT6_T7_P12ihipStream_tbENKUlT_T0_E_clISt17integral_constantIbLb0EESX_IbLb1EEEEDaST_SU_EUlST_E_NS1_11comp_targetILNS1_3genE8ELNS1_11target_archE1030ELNS1_3gpuE2ELNS1_3repE0EEENS1_30default_config_static_selectorELNS0_4arch9wavefront6targetE0EEEvT1_
    .private_segment_fixed_size: 0
    .sgpr_count:     26
    .sgpr_spill_count: 0
    .symbol:         _ZN7rocprim17ROCPRIM_400000_NS6detail17trampoline_kernelINS0_14default_configENS1_27scan_by_key_config_selectorIiiEEZZNS1_16scan_by_key_implILNS1_25lookback_scan_determinismE0ELb1ES3_N6thrust23THRUST_200600_302600_NS6detail15normal_iteratorINS9_10device_ptrIiEEEESE_SE_iNS9_4plusIiEE19head_flag_predicateiEE10hipError_tPvRmT2_T3_T4_T5_mT6_T7_P12ihipStream_tbENKUlT_T0_E_clISt17integral_constantIbLb0EESX_IbLb1EEEEDaST_SU_EUlST_E_NS1_11comp_targetILNS1_3genE8ELNS1_11target_archE1030ELNS1_3gpuE2ELNS1_3repE0EEENS1_30default_config_static_selectorELNS0_4arch9wavefront6targetE0EEEvT1_.kd
    .uniform_work_group_size: 1
    .uses_dynamic_stack: false
    .vgpr_count:     44
    .vgpr_spill_count: 0
    .wavefront_size: 32
    .workgroup_processor_mode: 1
  - .args:
      - .offset:         0
        .size:           112
        .value_kind:     by_value
    .group_segment_fixed_size: 0
    .kernarg_segment_align: 8
    .kernarg_segment_size: 112
    .language:       OpenCL C
    .language_version:
      - 2
      - 0
    .max_flat_workgroup_size: 256
    .name:           _ZN7rocprim17ROCPRIM_400000_NS6detail17trampoline_kernelINS0_14default_configENS1_27scan_by_key_config_selectorIssEEZZNS1_16scan_by_key_implILNS1_25lookback_scan_determinismE0ELb0ES3_N6thrust23THRUST_200600_302600_NS6detail15normal_iteratorINS9_10device_ptrIsEEEESE_SE_sNS9_4plusIsEE19head_flag_predicatesEE10hipError_tPvRmT2_T3_T4_T5_mT6_T7_P12ihipStream_tbENKUlT_T0_E_clISt17integral_constantIbLb0EESY_EEDaST_SU_EUlST_E_NS1_11comp_targetILNS1_3genE0ELNS1_11target_archE4294967295ELNS1_3gpuE0ELNS1_3repE0EEENS1_30default_config_static_selectorELNS0_4arch9wavefront6targetE0EEEvT1_
    .private_segment_fixed_size: 0
    .sgpr_count:     0
    .sgpr_spill_count: 0
    .symbol:         _ZN7rocprim17ROCPRIM_400000_NS6detail17trampoline_kernelINS0_14default_configENS1_27scan_by_key_config_selectorIssEEZZNS1_16scan_by_key_implILNS1_25lookback_scan_determinismE0ELb0ES3_N6thrust23THRUST_200600_302600_NS6detail15normal_iteratorINS9_10device_ptrIsEEEESE_SE_sNS9_4plusIsEE19head_flag_predicatesEE10hipError_tPvRmT2_T3_T4_T5_mT6_T7_P12ihipStream_tbENKUlT_T0_E_clISt17integral_constantIbLb0EESY_EEDaST_SU_EUlST_E_NS1_11comp_targetILNS1_3genE0ELNS1_11target_archE4294967295ELNS1_3gpuE0ELNS1_3repE0EEENS1_30default_config_static_selectorELNS0_4arch9wavefront6targetE0EEEvT1_.kd
    .uniform_work_group_size: 1
    .uses_dynamic_stack: false
    .vgpr_count:     0
    .vgpr_spill_count: 0
    .wavefront_size: 32
    .workgroup_processor_mode: 1
  - .args:
      - .offset:         0
        .size:           112
        .value_kind:     by_value
    .group_segment_fixed_size: 0
    .kernarg_segment_align: 8
    .kernarg_segment_size: 112
    .language:       OpenCL C
    .language_version:
      - 2
      - 0
    .max_flat_workgroup_size: 128
    .name:           _ZN7rocprim17ROCPRIM_400000_NS6detail17trampoline_kernelINS0_14default_configENS1_27scan_by_key_config_selectorIssEEZZNS1_16scan_by_key_implILNS1_25lookback_scan_determinismE0ELb0ES3_N6thrust23THRUST_200600_302600_NS6detail15normal_iteratorINS9_10device_ptrIsEEEESE_SE_sNS9_4plusIsEE19head_flag_predicatesEE10hipError_tPvRmT2_T3_T4_T5_mT6_T7_P12ihipStream_tbENKUlT_T0_E_clISt17integral_constantIbLb0EESY_EEDaST_SU_EUlST_E_NS1_11comp_targetILNS1_3genE10ELNS1_11target_archE1201ELNS1_3gpuE5ELNS1_3repE0EEENS1_30default_config_static_selectorELNS0_4arch9wavefront6targetE0EEEvT1_
    .private_segment_fixed_size: 0
    .sgpr_count:     0
    .sgpr_spill_count: 0
    .symbol:         _ZN7rocprim17ROCPRIM_400000_NS6detail17trampoline_kernelINS0_14default_configENS1_27scan_by_key_config_selectorIssEEZZNS1_16scan_by_key_implILNS1_25lookback_scan_determinismE0ELb0ES3_N6thrust23THRUST_200600_302600_NS6detail15normal_iteratorINS9_10device_ptrIsEEEESE_SE_sNS9_4plusIsEE19head_flag_predicatesEE10hipError_tPvRmT2_T3_T4_T5_mT6_T7_P12ihipStream_tbENKUlT_T0_E_clISt17integral_constantIbLb0EESY_EEDaST_SU_EUlST_E_NS1_11comp_targetILNS1_3genE10ELNS1_11target_archE1201ELNS1_3gpuE5ELNS1_3repE0EEENS1_30default_config_static_selectorELNS0_4arch9wavefront6targetE0EEEvT1_.kd
    .uniform_work_group_size: 1
    .uses_dynamic_stack: false
    .vgpr_count:     0
    .vgpr_spill_count: 0
    .wavefront_size: 32
    .workgroup_processor_mode: 1
  - .args:
      - .offset:         0
        .size:           112
        .value_kind:     by_value
    .group_segment_fixed_size: 0
    .kernarg_segment_align: 8
    .kernarg_segment_size: 112
    .language:       OpenCL C
    .language_version:
      - 2
      - 0
    .max_flat_workgroup_size: 256
    .name:           _ZN7rocprim17ROCPRIM_400000_NS6detail17trampoline_kernelINS0_14default_configENS1_27scan_by_key_config_selectorIssEEZZNS1_16scan_by_key_implILNS1_25lookback_scan_determinismE0ELb0ES3_N6thrust23THRUST_200600_302600_NS6detail15normal_iteratorINS9_10device_ptrIsEEEESE_SE_sNS9_4plusIsEE19head_flag_predicatesEE10hipError_tPvRmT2_T3_T4_T5_mT6_T7_P12ihipStream_tbENKUlT_T0_E_clISt17integral_constantIbLb0EESY_EEDaST_SU_EUlST_E_NS1_11comp_targetILNS1_3genE5ELNS1_11target_archE942ELNS1_3gpuE9ELNS1_3repE0EEENS1_30default_config_static_selectorELNS0_4arch9wavefront6targetE0EEEvT1_
    .private_segment_fixed_size: 0
    .sgpr_count:     0
    .sgpr_spill_count: 0
    .symbol:         _ZN7rocprim17ROCPRIM_400000_NS6detail17trampoline_kernelINS0_14default_configENS1_27scan_by_key_config_selectorIssEEZZNS1_16scan_by_key_implILNS1_25lookback_scan_determinismE0ELb0ES3_N6thrust23THRUST_200600_302600_NS6detail15normal_iteratorINS9_10device_ptrIsEEEESE_SE_sNS9_4plusIsEE19head_flag_predicatesEE10hipError_tPvRmT2_T3_T4_T5_mT6_T7_P12ihipStream_tbENKUlT_T0_E_clISt17integral_constantIbLb0EESY_EEDaST_SU_EUlST_E_NS1_11comp_targetILNS1_3genE5ELNS1_11target_archE942ELNS1_3gpuE9ELNS1_3repE0EEENS1_30default_config_static_selectorELNS0_4arch9wavefront6targetE0EEEvT1_.kd
    .uniform_work_group_size: 1
    .uses_dynamic_stack: false
    .vgpr_count:     0
    .vgpr_spill_count: 0
    .wavefront_size: 32
    .workgroup_processor_mode: 1
  - .args:
      - .offset:         0
        .size:           112
        .value_kind:     by_value
    .group_segment_fixed_size: 0
    .kernarg_segment_align: 8
    .kernarg_segment_size: 112
    .language:       OpenCL C
    .language_version:
      - 2
      - 0
    .max_flat_workgroup_size: 256
    .name:           _ZN7rocprim17ROCPRIM_400000_NS6detail17trampoline_kernelINS0_14default_configENS1_27scan_by_key_config_selectorIssEEZZNS1_16scan_by_key_implILNS1_25lookback_scan_determinismE0ELb0ES3_N6thrust23THRUST_200600_302600_NS6detail15normal_iteratorINS9_10device_ptrIsEEEESE_SE_sNS9_4plusIsEE19head_flag_predicatesEE10hipError_tPvRmT2_T3_T4_T5_mT6_T7_P12ihipStream_tbENKUlT_T0_E_clISt17integral_constantIbLb0EESY_EEDaST_SU_EUlST_E_NS1_11comp_targetILNS1_3genE4ELNS1_11target_archE910ELNS1_3gpuE8ELNS1_3repE0EEENS1_30default_config_static_selectorELNS0_4arch9wavefront6targetE0EEEvT1_
    .private_segment_fixed_size: 0
    .sgpr_count:     0
    .sgpr_spill_count: 0
    .symbol:         _ZN7rocprim17ROCPRIM_400000_NS6detail17trampoline_kernelINS0_14default_configENS1_27scan_by_key_config_selectorIssEEZZNS1_16scan_by_key_implILNS1_25lookback_scan_determinismE0ELb0ES3_N6thrust23THRUST_200600_302600_NS6detail15normal_iteratorINS9_10device_ptrIsEEEESE_SE_sNS9_4plusIsEE19head_flag_predicatesEE10hipError_tPvRmT2_T3_T4_T5_mT6_T7_P12ihipStream_tbENKUlT_T0_E_clISt17integral_constantIbLb0EESY_EEDaST_SU_EUlST_E_NS1_11comp_targetILNS1_3genE4ELNS1_11target_archE910ELNS1_3gpuE8ELNS1_3repE0EEENS1_30default_config_static_selectorELNS0_4arch9wavefront6targetE0EEEvT1_.kd
    .uniform_work_group_size: 1
    .uses_dynamic_stack: false
    .vgpr_count:     0
    .vgpr_spill_count: 0
    .wavefront_size: 32
    .workgroup_processor_mode: 1
  - .args:
      - .offset:         0
        .size:           112
        .value_kind:     by_value
    .group_segment_fixed_size: 0
    .kernarg_segment_align: 8
    .kernarg_segment_size: 112
    .language:       OpenCL C
    .language_version:
      - 2
      - 0
    .max_flat_workgroup_size: 256
    .name:           _ZN7rocprim17ROCPRIM_400000_NS6detail17trampoline_kernelINS0_14default_configENS1_27scan_by_key_config_selectorIssEEZZNS1_16scan_by_key_implILNS1_25lookback_scan_determinismE0ELb0ES3_N6thrust23THRUST_200600_302600_NS6detail15normal_iteratorINS9_10device_ptrIsEEEESE_SE_sNS9_4plusIsEE19head_flag_predicatesEE10hipError_tPvRmT2_T3_T4_T5_mT6_T7_P12ihipStream_tbENKUlT_T0_E_clISt17integral_constantIbLb0EESY_EEDaST_SU_EUlST_E_NS1_11comp_targetILNS1_3genE3ELNS1_11target_archE908ELNS1_3gpuE7ELNS1_3repE0EEENS1_30default_config_static_selectorELNS0_4arch9wavefront6targetE0EEEvT1_
    .private_segment_fixed_size: 0
    .sgpr_count:     0
    .sgpr_spill_count: 0
    .symbol:         _ZN7rocprim17ROCPRIM_400000_NS6detail17trampoline_kernelINS0_14default_configENS1_27scan_by_key_config_selectorIssEEZZNS1_16scan_by_key_implILNS1_25lookback_scan_determinismE0ELb0ES3_N6thrust23THRUST_200600_302600_NS6detail15normal_iteratorINS9_10device_ptrIsEEEESE_SE_sNS9_4plusIsEE19head_flag_predicatesEE10hipError_tPvRmT2_T3_T4_T5_mT6_T7_P12ihipStream_tbENKUlT_T0_E_clISt17integral_constantIbLb0EESY_EEDaST_SU_EUlST_E_NS1_11comp_targetILNS1_3genE3ELNS1_11target_archE908ELNS1_3gpuE7ELNS1_3repE0EEENS1_30default_config_static_selectorELNS0_4arch9wavefront6targetE0EEEvT1_.kd
    .uniform_work_group_size: 1
    .uses_dynamic_stack: false
    .vgpr_count:     0
    .vgpr_spill_count: 0
    .wavefront_size: 32
    .workgroup_processor_mode: 1
  - .args:
      - .offset:         0
        .size:           112
        .value_kind:     by_value
    .group_segment_fixed_size: 0
    .kernarg_segment_align: 8
    .kernarg_segment_size: 112
    .language:       OpenCL C
    .language_version:
      - 2
      - 0
    .max_flat_workgroup_size: 64
    .name:           _ZN7rocprim17ROCPRIM_400000_NS6detail17trampoline_kernelINS0_14default_configENS1_27scan_by_key_config_selectorIssEEZZNS1_16scan_by_key_implILNS1_25lookback_scan_determinismE0ELb0ES3_N6thrust23THRUST_200600_302600_NS6detail15normal_iteratorINS9_10device_ptrIsEEEESE_SE_sNS9_4plusIsEE19head_flag_predicatesEE10hipError_tPvRmT2_T3_T4_T5_mT6_T7_P12ihipStream_tbENKUlT_T0_E_clISt17integral_constantIbLb0EESY_EEDaST_SU_EUlST_E_NS1_11comp_targetILNS1_3genE2ELNS1_11target_archE906ELNS1_3gpuE6ELNS1_3repE0EEENS1_30default_config_static_selectorELNS0_4arch9wavefront6targetE0EEEvT1_
    .private_segment_fixed_size: 0
    .sgpr_count:     0
    .sgpr_spill_count: 0
    .symbol:         _ZN7rocprim17ROCPRIM_400000_NS6detail17trampoline_kernelINS0_14default_configENS1_27scan_by_key_config_selectorIssEEZZNS1_16scan_by_key_implILNS1_25lookback_scan_determinismE0ELb0ES3_N6thrust23THRUST_200600_302600_NS6detail15normal_iteratorINS9_10device_ptrIsEEEESE_SE_sNS9_4plusIsEE19head_flag_predicatesEE10hipError_tPvRmT2_T3_T4_T5_mT6_T7_P12ihipStream_tbENKUlT_T0_E_clISt17integral_constantIbLb0EESY_EEDaST_SU_EUlST_E_NS1_11comp_targetILNS1_3genE2ELNS1_11target_archE906ELNS1_3gpuE6ELNS1_3repE0EEENS1_30default_config_static_selectorELNS0_4arch9wavefront6targetE0EEEvT1_.kd
    .uniform_work_group_size: 1
    .uses_dynamic_stack: false
    .vgpr_count:     0
    .vgpr_spill_count: 0
    .wavefront_size: 32
    .workgroup_processor_mode: 1
  - .args:
      - .offset:         0
        .size:           112
        .value_kind:     by_value
    .group_segment_fixed_size: 0
    .kernarg_segment_align: 8
    .kernarg_segment_size: 112
    .language:       OpenCL C
    .language_version:
      - 2
      - 0
    .max_flat_workgroup_size: 256
    .name:           _ZN7rocprim17ROCPRIM_400000_NS6detail17trampoline_kernelINS0_14default_configENS1_27scan_by_key_config_selectorIssEEZZNS1_16scan_by_key_implILNS1_25lookback_scan_determinismE0ELb0ES3_N6thrust23THRUST_200600_302600_NS6detail15normal_iteratorINS9_10device_ptrIsEEEESE_SE_sNS9_4plusIsEE19head_flag_predicatesEE10hipError_tPvRmT2_T3_T4_T5_mT6_T7_P12ihipStream_tbENKUlT_T0_E_clISt17integral_constantIbLb0EESY_EEDaST_SU_EUlST_E_NS1_11comp_targetILNS1_3genE10ELNS1_11target_archE1200ELNS1_3gpuE4ELNS1_3repE0EEENS1_30default_config_static_selectorELNS0_4arch9wavefront6targetE0EEEvT1_
    .private_segment_fixed_size: 0
    .sgpr_count:     0
    .sgpr_spill_count: 0
    .symbol:         _ZN7rocprim17ROCPRIM_400000_NS6detail17trampoline_kernelINS0_14default_configENS1_27scan_by_key_config_selectorIssEEZZNS1_16scan_by_key_implILNS1_25lookback_scan_determinismE0ELb0ES3_N6thrust23THRUST_200600_302600_NS6detail15normal_iteratorINS9_10device_ptrIsEEEESE_SE_sNS9_4plusIsEE19head_flag_predicatesEE10hipError_tPvRmT2_T3_T4_T5_mT6_T7_P12ihipStream_tbENKUlT_T0_E_clISt17integral_constantIbLb0EESY_EEDaST_SU_EUlST_E_NS1_11comp_targetILNS1_3genE10ELNS1_11target_archE1200ELNS1_3gpuE4ELNS1_3repE0EEENS1_30default_config_static_selectorELNS0_4arch9wavefront6targetE0EEEvT1_.kd
    .uniform_work_group_size: 1
    .uses_dynamic_stack: false
    .vgpr_count:     0
    .vgpr_spill_count: 0
    .wavefront_size: 32
    .workgroup_processor_mode: 1
  - .args:
      - .offset:         0
        .size:           112
        .value_kind:     by_value
    .group_segment_fixed_size: 0
    .kernarg_segment_align: 8
    .kernarg_segment_size: 112
    .language:       OpenCL C
    .language_version:
      - 2
      - 0
    .max_flat_workgroup_size: 256
    .name:           _ZN7rocprim17ROCPRIM_400000_NS6detail17trampoline_kernelINS0_14default_configENS1_27scan_by_key_config_selectorIssEEZZNS1_16scan_by_key_implILNS1_25lookback_scan_determinismE0ELb0ES3_N6thrust23THRUST_200600_302600_NS6detail15normal_iteratorINS9_10device_ptrIsEEEESE_SE_sNS9_4plusIsEE19head_flag_predicatesEE10hipError_tPvRmT2_T3_T4_T5_mT6_T7_P12ihipStream_tbENKUlT_T0_E_clISt17integral_constantIbLb0EESY_EEDaST_SU_EUlST_E_NS1_11comp_targetILNS1_3genE9ELNS1_11target_archE1100ELNS1_3gpuE3ELNS1_3repE0EEENS1_30default_config_static_selectorELNS0_4arch9wavefront6targetE0EEEvT1_
    .private_segment_fixed_size: 0
    .sgpr_count:     0
    .sgpr_spill_count: 0
    .symbol:         _ZN7rocprim17ROCPRIM_400000_NS6detail17trampoline_kernelINS0_14default_configENS1_27scan_by_key_config_selectorIssEEZZNS1_16scan_by_key_implILNS1_25lookback_scan_determinismE0ELb0ES3_N6thrust23THRUST_200600_302600_NS6detail15normal_iteratorINS9_10device_ptrIsEEEESE_SE_sNS9_4plusIsEE19head_flag_predicatesEE10hipError_tPvRmT2_T3_T4_T5_mT6_T7_P12ihipStream_tbENKUlT_T0_E_clISt17integral_constantIbLb0EESY_EEDaST_SU_EUlST_E_NS1_11comp_targetILNS1_3genE9ELNS1_11target_archE1100ELNS1_3gpuE3ELNS1_3repE0EEENS1_30default_config_static_selectorELNS0_4arch9wavefront6targetE0EEEvT1_.kd
    .uniform_work_group_size: 1
    .uses_dynamic_stack: false
    .vgpr_count:     0
    .vgpr_spill_count: 0
    .wavefront_size: 32
    .workgroup_processor_mode: 1
  - .args:
      - .offset:         0
        .size:           112
        .value_kind:     by_value
    .group_segment_fixed_size: 1536
    .kernarg_segment_align: 8
    .kernarg_segment_size: 112
    .language:       OpenCL C
    .language_version:
      - 2
      - 0
    .max_flat_workgroup_size: 64
    .name:           _ZN7rocprim17ROCPRIM_400000_NS6detail17trampoline_kernelINS0_14default_configENS1_27scan_by_key_config_selectorIssEEZZNS1_16scan_by_key_implILNS1_25lookback_scan_determinismE0ELb0ES3_N6thrust23THRUST_200600_302600_NS6detail15normal_iteratorINS9_10device_ptrIsEEEESE_SE_sNS9_4plusIsEE19head_flag_predicatesEE10hipError_tPvRmT2_T3_T4_T5_mT6_T7_P12ihipStream_tbENKUlT_T0_E_clISt17integral_constantIbLb0EESY_EEDaST_SU_EUlST_E_NS1_11comp_targetILNS1_3genE8ELNS1_11target_archE1030ELNS1_3gpuE2ELNS1_3repE0EEENS1_30default_config_static_selectorELNS0_4arch9wavefront6targetE0EEEvT1_
    .private_segment_fixed_size: 0
    .sgpr_count:     34
    .sgpr_spill_count: 0
    .symbol:         _ZN7rocprim17ROCPRIM_400000_NS6detail17trampoline_kernelINS0_14default_configENS1_27scan_by_key_config_selectorIssEEZZNS1_16scan_by_key_implILNS1_25lookback_scan_determinismE0ELb0ES3_N6thrust23THRUST_200600_302600_NS6detail15normal_iteratorINS9_10device_ptrIsEEEESE_SE_sNS9_4plusIsEE19head_flag_predicatesEE10hipError_tPvRmT2_T3_T4_T5_mT6_T7_P12ihipStream_tbENKUlT_T0_E_clISt17integral_constantIbLb0EESY_EEDaST_SU_EUlST_E_NS1_11comp_targetILNS1_3genE8ELNS1_11target_archE1030ELNS1_3gpuE2ELNS1_3repE0EEENS1_30default_config_static_selectorELNS0_4arch9wavefront6targetE0EEEvT1_.kd
    .uniform_work_group_size: 1
    .uses_dynamic_stack: false
    .vgpr_count:     42
    .vgpr_spill_count: 0
    .wavefront_size: 32
    .workgroup_processor_mode: 1
  - .args:
      - .offset:         0
        .size:           112
        .value_kind:     by_value
    .group_segment_fixed_size: 0
    .kernarg_segment_align: 8
    .kernarg_segment_size: 112
    .language:       OpenCL C
    .language_version:
      - 2
      - 0
    .max_flat_workgroup_size: 256
    .name:           _ZN7rocprim17ROCPRIM_400000_NS6detail17trampoline_kernelINS0_14default_configENS1_27scan_by_key_config_selectorIssEEZZNS1_16scan_by_key_implILNS1_25lookback_scan_determinismE0ELb0ES3_N6thrust23THRUST_200600_302600_NS6detail15normal_iteratorINS9_10device_ptrIsEEEESE_SE_sNS9_4plusIsEE19head_flag_predicatesEE10hipError_tPvRmT2_T3_T4_T5_mT6_T7_P12ihipStream_tbENKUlT_T0_E_clISt17integral_constantIbLb1EESY_EEDaST_SU_EUlST_E_NS1_11comp_targetILNS1_3genE0ELNS1_11target_archE4294967295ELNS1_3gpuE0ELNS1_3repE0EEENS1_30default_config_static_selectorELNS0_4arch9wavefront6targetE0EEEvT1_
    .private_segment_fixed_size: 0
    .sgpr_count:     0
    .sgpr_spill_count: 0
    .symbol:         _ZN7rocprim17ROCPRIM_400000_NS6detail17trampoline_kernelINS0_14default_configENS1_27scan_by_key_config_selectorIssEEZZNS1_16scan_by_key_implILNS1_25lookback_scan_determinismE0ELb0ES3_N6thrust23THRUST_200600_302600_NS6detail15normal_iteratorINS9_10device_ptrIsEEEESE_SE_sNS9_4plusIsEE19head_flag_predicatesEE10hipError_tPvRmT2_T3_T4_T5_mT6_T7_P12ihipStream_tbENKUlT_T0_E_clISt17integral_constantIbLb1EESY_EEDaST_SU_EUlST_E_NS1_11comp_targetILNS1_3genE0ELNS1_11target_archE4294967295ELNS1_3gpuE0ELNS1_3repE0EEENS1_30default_config_static_selectorELNS0_4arch9wavefront6targetE0EEEvT1_.kd
    .uniform_work_group_size: 1
    .uses_dynamic_stack: false
    .vgpr_count:     0
    .vgpr_spill_count: 0
    .wavefront_size: 32
    .workgroup_processor_mode: 1
  - .args:
      - .offset:         0
        .size:           112
        .value_kind:     by_value
    .group_segment_fixed_size: 0
    .kernarg_segment_align: 8
    .kernarg_segment_size: 112
    .language:       OpenCL C
    .language_version:
      - 2
      - 0
    .max_flat_workgroup_size: 128
    .name:           _ZN7rocprim17ROCPRIM_400000_NS6detail17trampoline_kernelINS0_14default_configENS1_27scan_by_key_config_selectorIssEEZZNS1_16scan_by_key_implILNS1_25lookback_scan_determinismE0ELb0ES3_N6thrust23THRUST_200600_302600_NS6detail15normal_iteratorINS9_10device_ptrIsEEEESE_SE_sNS9_4plusIsEE19head_flag_predicatesEE10hipError_tPvRmT2_T3_T4_T5_mT6_T7_P12ihipStream_tbENKUlT_T0_E_clISt17integral_constantIbLb1EESY_EEDaST_SU_EUlST_E_NS1_11comp_targetILNS1_3genE10ELNS1_11target_archE1201ELNS1_3gpuE5ELNS1_3repE0EEENS1_30default_config_static_selectorELNS0_4arch9wavefront6targetE0EEEvT1_
    .private_segment_fixed_size: 0
    .sgpr_count:     0
    .sgpr_spill_count: 0
    .symbol:         _ZN7rocprim17ROCPRIM_400000_NS6detail17trampoline_kernelINS0_14default_configENS1_27scan_by_key_config_selectorIssEEZZNS1_16scan_by_key_implILNS1_25lookback_scan_determinismE0ELb0ES3_N6thrust23THRUST_200600_302600_NS6detail15normal_iteratorINS9_10device_ptrIsEEEESE_SE_sNS9_4plusIsEE19head_flag_predicatesEE10hipError_tPvRmT2_T3_T4_T5_mT6_T7_P12ihipStream_tbENKUlT_T0_E_clISt17integral_constantIbLb1EESY_EEDaST_SU_EUlST_E_NS1_11comp_targetILNS1_3genE10ELNS1_11target_archE1201ELNS1_3gpuE5ELNS1_3repE0EEENS1_30default_config_static_selectorELNS0_4arch9wavefront6targetE0EEEvT1_.kd
    .uniform_work_group_size: 1
    .uses_dynamic_stack: false
    .vgpr_count:     0
    .vgpr_spill_count: 0
    .wavefront_size: 32
    .workgroup_processor_mode: 1
  - .args:
      - .offset:         0
        .size:           112
        .value_kind:     by_value
    .group_segment_fixed_size: 0
    .kernarg_segment_align: 8
    .kernarg_segment_size: 112
    .language:       OpenCL C
    .language_version:
      - 2
      - 0
    .max_flat_workgroup_size: 256
    .name:           _ZN7rocprim17ROCPRIM_400000_NS6detail17trampoline_kernelINS0_14default_configENS1_27scan_by_key_config_selectorIssEEZZNS1_16scan_by_key_implILNS1_25lookback_scan_determinismE0ELb0ES3_N6thrust23THRUST_200600_302600_NS6detail15normal_iteratorINS9_10device_ptrIsEEEESE_SE_sNS9_4plusIsEE19head_flag_predicatesEE10hipError_tPvRmT2_T3_T4_T5_mT6_T7_P12ihipStream_tbENKUlT_T0_E_clISt17integral_constantIbLb1EESY_EEDaST_SU_EUlST_E_NS1_11comp_targetILNS1_3genE5ELNS1_11target_archE942ELNS1_3gpuE9ELNS1_3repE0EEENS1_30default_config_static_selectorELNS0_4arch9wavefront6targetE0EEEvT1_
    .private_segment_fixed_size: 0
    .sgpr_count:     0
    .sgpr_spill_count: 0
    .symbol:         _ZN7rocprim17ROCPRIM_400000_NS6detail17trampoline_kernelINS0_14default_configENS1_27scan_by_key_config_selectorIssEEZZNS1_16scan_by_key_implILNS1_25lookback_scan_determinismE0ELb0ES3_N6thrust23THRUST_200600_302600_NS6detail15normal_iteratorINS9_10device_ptrIsEEEESE_SE_sNS9_4plusIsEE19head_flag_predicatesEE10hipError_tPvRmT2_T3_T4_T5_mT6_T7_P12ihipStream_tbENKUlT_T0_E_clISt17integral_constantIbLb1EESY_EEDaST_SU_EUlST_E_NS1_11comp_targetILNS1_3genE5ELNS1_11target_archE942ELNS1_3gpuE9ELNS1_3repE0EEENS1_30default_config_static_selectorELNS0_4arch9wavefront6targetE0EEEvT1_.kd
    .uniform_work_group_size: 1
    .uses_dynamic_stack: false
    .vgpr_count:     0
    .vgpr_spill_count: 0
    .wavefront_size: 32
    .workgroup_processor_mode: 1
  - .args:
      - .offset:         0
        .size:           112
        .value_kind:     by_value
    .group_segment_fixed_size: 0
    .kernarg_segment_align: 8
    .kernarg_segment_size: 112
    .language:       OpenCL C
    .language_version:
      - 2
      - 0
    .max_flat_workgroup_size: 256
    .name:           _ZN7rocprim17ROCPRIM_400000_NS6detail17trampoline_kernelINS0_14default_configENS1_27scan_by_key_config_selectorIssEEZZNS1_16scan_by_key_implILNS1_25lookback_scan_determinismE0ELb0ES3_N6thrust23THRUST_200600_302600_NS6detail15normal_iteratorINS9_10device_ptrIsEEEESE_SE_sNS9_4plusIsEE19head_flag_predicatesEE10hipError_tPvRmT2_T3_T4_T5_mT6_T7_P12ihipStream_tbENKUlT_T0_E_clISt17integral_constantIbLb1EESY_EEDaST_SU_EUlST_E_NS1_11comp_targetILNS1_3genE4ELNS1_11target_archE910ELNS1_3gpuE8ELNS1_3repE0EEENS1_30default_config_static_selectorELNS0_4arch9wavefront6targetE0EEEvT1_
    .private_segment_fixed_size: 0
    .sgpr_count:     0
    .sgpr_spill_count: 0
    .symbol:         _ZN7rocprim17ROCPRIM_400000_NS6detail17trampoline_kernelINS0_14default_configENS1_27scan_by_key_config_selectorIssEEZZNS1_16scan_by_key_implILNS1_25lookback_scan_determinismE0ELb0ES3_N6thrust23THRUST_200600_302600_NS6detail15normal_iteratorINS9_10device_ptrIsEEEESE_SE_sNS9_4plusIsEE19head_flag_predicatesEE10hipError_tPvRmT2_T3_T4_T5_mT6_T7_P12ihipStream_tbENKUlT_T0_E_clISt17integral_constantIbLb1EESY_EEDaST_SU_EUlST_E_NS1_11comp_targetILNS1_3genE4ELNS1_11target_archE910ELNS1_3gpuE8ELNS1_3repE0EEENS1_30default_config_static_selectorELNS0_4arch9wavefront6targetE0EEEvT1_.kd
    .uniform_work_group_size: 1
    .uses_dynamic_stack: false
    .vgpr_count:     0
    .vgpr_spill_count: 0
    .wavefront_size: 32
    .workgroup_processor_mode: 1
  - .args:
      - .offset:         0
        .size:           112
        .value_kind:     by_value
    .group_segment_fixed_size: 0
    .kernarg_segment_align: 8
    .kernarg_segment_size: 112
    .language:       OpenCL C
    .language_version:
      - 2
      - 0
    .max_flat_workgroup_size: 256
    .name:           _ZN7rocprim17ROCPRIM_400000_NS6detail17trampoline_kernelINS0_14default_configENS1_27scan_by_key_config_selectorIssEEZZNS1_16scan_by_key_implILNS1_25lookback_scan_determinismE0ELb0ES3_N6thrust23THRUST_200600_302600_NS6detail15normal_iteratorINS9_10device_ptrIsEEEESE_SE_sNS9_4plusIsEE19head_flag_predicatesEE10hipError_tPvRmT2_T3_T4_T5_mT6_T7_P12ihipStream_tbENKUlT_T0_E_clISt17integral_constantIbLb1EESY_EEDaST_SU_EUlST_E_NS1_11comp_targetILNS1_3genE3ELNS1_11target_archE908ELNS1_3gpuE7ELNS1_3repE0EEENS1_30default_config_static_selectorELNS0_4arch9wavefront6targetE0EEEvT1_
    .private_segment_fixed_size: 0
    .sgpr_count:     0
    .sgpr_spill_count: 0
    .symbol:         _ZN7rocprim17ROCPRIM_400000_NS6detail17trampoline_kernelINS0_14default_configENS1_27scan_by_key_config_selectorIssEEZZNS1_16scan_by_key_implILNS1_25lookback_scan_determinismE0ELb0ES3_N6thrust23THRUST_200600_302600_NS6detail15normal_iteratorINS9_10device_ptrIsEEEESE_SE_sNS9_4plusIsEE19head_flag_predicatesEE10hipError_tPvRmT2_T3_T4_T5_mT6_T7_P12ihipStream_tbENKUlT_T0_E_clISt17integral_constantIbLb1EESY_EEDaST_SU_EUlST_E_NS1_11comp_targetILNS1_3genE3ELNS1_11target_archE908ELNS1_3gpuE7ELNS1_3repE0EEENS1_30default_config_static_selectorELNS0_4arch9wavefront6targetE0EEEvT1_.kd
    .uniform_work_group_size: 1
    .uses_dynamic_stack: false
    .vgpr_count:     0
    .vgpr_spill_count: 0
    .wavefront_size: 32
    .workgroup_processor_mode: 1
  - .args:
      - .offset:         0
        .size:           112
        .value_kind:     by_value
    .group_segment_fixed_size: 0
    .kernarg_segment_align: 8
    .kernarg_segment_size: 112
    .language:       OpenCL C
    .language_version:
      - 2
      - 0
    .max_flat_workgroup_size: 64
    .name:           _ZN7rocprim17ROCPRIM_400000_NS6detail17trampoline_kernelINS0_14default_configENS1_27scan_by_key_config_selectorIssEEZZNS1_16scan_by_key_implILNS1_25lookback_scan_determinismE0ELb0ES3_N6thrust23THRUST_200600_302600_NS6detail15normal_iteratorINS9_10device_ptrIsEEEESE_SE_sNS9_4plusIsEE19head_flag_predicatesEE10hipError_tPvRmT2_T3_T4_T5_mT6_T7_P12ihipStream_tbENKUlT_T0_E_clISt17integral_constantIbLb1EESY_EEDaST_SU_EUlST_E_NS1_11comp_targetILNS1_3genE2ELNS1_11target_archE906ELNS1_3gpuE6ELNS1_3repE0EEENS1_30default_config_static_selectorELNS0_4arch9wavefront6targetE0EEEvT1_
    .private_segment_fixed_size: 0
    .sgpr_count:     0
    .sgpr_spill_count: 0
    .symbol:         _ZN7rocprim17ROCPRIM_400000_NS6detail17trampoline_kernelINS0_14default_configENS1_27scan_by_key_config_selectorIssEEZZNS1_16scan_by_key_implILNS1_25lookback_scan_determinismE0ELb0ES3_N6thrust23THRUST_200600_302600_NS6detail15normal_iteratorINS9_10device_ptrIsEEEESE_SE_sNS9_4plusIsEE19head_flag_predicatesEE10hipError_tPvRmT2_T3_T4_T5_mT6_T7_P12ihipStream_tbENKUlT_T0_E_clISt17integral_constantIbLb1EESY_EEDaST_SU_EUlST_E_NS1_11comp_targetILNS1_3genE2ELNS1_11target_archE906ELNS1_3gpuE6ELNS1_3repE0EEENS1_30default_config_static_selectorELNS0_4arch9wavefront6targetE0EEEvT1_.kd
    .uniform_work_group_size: 1
    .uses_dynamic_stack: false
    .vgpr_count:     0
    .vgpr_spill_count: 0
    .wavefront_size: 32
    .workgroup_processor_mode: 1
  - .args:
      - .offset:         0
        .size:           112
        .value_kind:     by_value
    .group_segment_fixed_size: 0
    .kernarg_segment_align: 8
    .kernarg_segment_size: 112
    .language:       OpenCL C
    .language_version:
      - 2
      - 0
    .max_flat_workgroup_size: 256
    .name:           _ZN7rocprim17ROCPRIM_400000_NS6detail17trampoline_kernelINS0_14default_configENS1_27scan_by_key_config_selectorIssEEZZNS1_16scan_by_key_implILNS1_25lookback_scan_determinismE0ELb0ES3_N6thrust23THRUST_200600_302600_NS6detail15normal_iteratorINS9_10device_ptrIsEEEESE_SE_sNS9_4plusIsEE19head_flag_predicatesEE10hipError_tPvRmT2_T3_T4_T5_mT6_T7_P12ihipStream_tbENKUlT_T0_E_clISt17integral_constantIbLb1EESY_EEDaST_SU_EUlST_E_NS1_11comp_targetILNS1_3genE10ELNS1_11target_archE1200ELNS1_3gpuE4ELNS1_3repE0EEENS1_30default_config_static_selectorELNS0_4arch9wavefront6targetE0EEEvT1_
    .private_segment_fixed_size: 0
    .sgpr_count:     0
    .sgpr_spill_count: 0
    .symbol:         _ZN7rocprim17ROCPRIM_400000_NS6detail17trampoline_kernelINS0_14default_configENS1_27scan_by_key_config_selectorIssEEZZNS1_16scan_by_key_implILNS1_25lookback_scan_determinismE0ELb0ES3_N6thrust23THRUST_200600_302600_NS6detail15normal_iteratorINS9_10device_ptrIsEEEESE_SE_sNS9_4plusIsEE19head_flag_predicatesEE10hipError_tPvRmT2_T3_T4_T5_mT6_T7_P12ihipStream_tbENKUlT_T0_E_clISt17integral_constantIbLb1EESY_EEDaST_SU_EUlST_E_NS1_11comp_targetILNS1_3genE10ELNS1_11target_archE1200ELNS1_3gpuE4ELNS1_3repE0EEENS1_30default_config_static_selectorELNS0_4arch9wavefront6targetE0EEEvT1_.kd
    .uniform_work_group_size: 1
    .uses_dynamic_stack: false
    .vgpr_count:     0
    .vgpr_spill_count: 0
    .wavefront_size: 32
    .workgroup_processor_mode: 1
  - .args:
      - .offset:         0
        .size:           112
        .value_kind:     by_value
    .group_segment_fixed_size: 0
    .kernarg_segment_align: 8
    .kernarg_segment_size: 112
    .language:       OpenCL C
    .language_version:
      - 2
      - 0
    .max_flat_workgroup_size: 256
    .name:           _ZN7rocprim17ROCPRIM_400000_NS6detail17trampoline_kernelINS0_14default_configENS1_27scan_by_key_config_selectorIssEEZZNS1_16scan_by_key_implILNS1_25lookback_scan_determinismE0ELb0ES3_N6thrust23THRUST_200600_302600_NS6detail15normal_iteratorINS9_10device_ptrIsEEEESE_SE_sNS9_4plusIsEE19head_flag_predicatesEE10hipError_tPvRmT2_T3_T4_T5_mT6_T7_P12ihipStream_tbENKUlT_T0_E_clISt17integral_constantIbLb1EESY_EEDaST_SU_EUlST_E_NS1_11comp_targetILNS1_3genE9ELNS1_11target_archE1100ELNS1_3gpuE3ELNS1_3repE0EEENS1_30default_config_static_selectorELNS0_4arch9wavefront6targetE0EEEvT1_
    .private_segment_fixed_size: 0
    .sgpr_count:     0
    .sgpr_spill_count: 0
    .symbol:         _ZN7rocprim17ROCPRIM_400000_NS6detail17trampoline_kernelINS0_14default_configENS1_27scan_by_key_config_selectorIssEEZZNS1_16scan_by_key_implILNS1_25lookback_scan_determinismE0ELb0ES3_N6thrust23THRUST_200600_302600_NS6detail15normal_iteratorINS9_10device_ptrIsEEEESE_SE_sNS9_4plusIsEE19head_flag_predicatesEE10hipError_tPvRmT2_T3_T4_T5_mT6_T7_P12ihipStream_tbENKUlT_T0_E_clISt17integral_constantIbLb1EESY_EEDaST_SU_EUlST_E_NS1_11comp_targetILNS1_3genE9ELNS1_11target_archE1100ELNS1_3gpuE3ELNS1_3repE0EEENS1_30default_config_static_selectorELNS0_4arch9wavefront6targetE0EEEvT1_.kd
    .uniform_work_group_size: 1
    .uses_dynamic_stack: false
    .vgpr_count:     0
    .vgpr_spill_count: 0
    .wavefront_size: 32
    .workgroup_processor_mode: 1
  - .args:
      - .offset:         0
        .size:           112
        .value_kind:     by_value
    .group_segment_fixed_size: 0
    .kernarg_segment_align: 8
    .kernarg_segment_size: 112
    .language:       OpenCL C
    .language_version:
      - 2
      - 0
    .max_flat_workgroup_size: 64
    .name:           _ZN7rocprim17ROCPRIM_400000_NS6detail17trampoline_kernelINS0_14default_configENS1_27scan_by_key_config_selectorIssEEZZNS1_16scan_by_key_implILNS1_25lookback_scan_determinismE0ELb0ES3_N6thrust23THRUST_200600_302600_NS6detail15normal_iteratorINS9_10device_ptrIsEEEESE_SE_sNS9_4plusIsEE19head_flag_predicatesEE10hipError_tPvRmT2_T3_T4_T5_mT6_T7_P12ihipStream_tbENKUlT_T0_E_clISt17integral_constantIbLb1EESY_EEDaST_SU_EUlST_E_NS1_11comp_targetILNS1_3genE8ELNS1_11target_archE1030ELNS1_3gpuE2ELNS1_3repE0EEENS1_30default_config_static_selectorELNS0_4arch9wavefront6targetE0EEEvT1_
    .private_segment_fixed_size: 0
    .sgpr_count:     0
    .sgpr_spill_count: 0
    .symbol:         _ZN7rocprim17ROCPRIM_400000_NS6detail17trampoline_kernelINS0_14default_configENS1_27scan_by_key_config_selectorIssEEZZNS1_16scan_by_key_implILNS1_25lookback_scan_determinismE0ELb0ES3_N6thrust23THRUST_200600_302600_NS6detail15normal_iteratorINS9_10device_ptrIsEEEESE_SE_sNS9_4plusIsEE19head_flag_predicatesEE10hipError_tPvRmT2_T3_T4_T5_mT6_T7_P12ihipStream_tbENKUlT_T0_E_clISt17integral_constantIbLb1EESY_EEDaST_SU_EUlST_E_NS1_11comp_targetILNS1_3genE8ELNS1_11target_archE1030ELNS1_3gpuE2ELNS1_3repE0EEENS1_30default_config_static_selectorELNS0_4arch9wavefront6targetE0EEEvT1_.kd
    .uniform_work_group_size: 1
    .uses_dynamic_stack: false
    .vgpr_count:     0
    .vgpr_spill_count: 0
    .wavefront_size: 32
    .workgroup_processor_mode: 1
  - .args:
      - .offset:         0
        .size:           112
        .value_kind:     by_value
    .group_segment_fixed_size: 0
    .kernarg_segment_align: 8
    .kernarg_segment_size: 112
    .language:       OpenCL C
    .language_version:
      - 2
      - 0
    .max_flat_workgroup_size: 256
    .name:           _ZN7rocprim17ROCPRIM_400000_NS6detail17trampoline_kernelINS0_14default_configENS1_27scan_by_key_config_selectorIssEEZZNS1_16scan_by_key_implILNS1_25lookback_scan_determinismE0ELb0ES3_N6thrust23THRUST_200600_302600_NS6detail15normal_iteratorINS9_10device_ptrIsEEEESE_SE_sNS9_4plusIsEE19head_flag_predicatesEE10hipError_tPvRmT2_T3_T4_T5_mT6_T7_P12ihipStream_tbENKUlT_T0_E_clISt17integral_constantIbLb1EESX_IbLb0EEEEDaST_SU_EUlST_E_NS1_11comp_targetILNS1_3genE0ELNS1_11target_archE4294967295ELNS1_3gpuE0ELNS1_3repE0EEENS1_30default_config_static_selectorELNS0_4arch9wavefront6targetE0EEEvT1_
    .private_segment_fixed_size: 0
    .sgpr_count:     0
    .sgpr_spill_count: 0
    .symbol:         _ZN7rocprim17ROCPRIM_400000_NS6detail17trampoline_kernelINS0_14default_configENS1_27scan_by_key_config_selectorIssEEZZNS1_16scan_by_key_implILNS1_25lookback_scan_determinismE0ELb0ES3_N6thrust23THRUST_200600_302600_NS6detail15normal_iteratorINS9_10device_ptrIsEEEESE_SE_sNS9_4plusIsEE19head_flag_predicatesEE10hipError_tPvRmT2_T3_T4_T5_mT6_T7_P12ihipStream_tbENKUlT_T0_E_clISt17integral_constantIbLb1EESX_IbLb0EEEEDaST_SU_EUlST_E_NS1_11comp_targetILNS1_3genE0ELNS1_11target_archE4294967295ELNS1_3gpuE0ELNS1_3repE0EEENS1_30default_config_static_selectorELNS0_4arch9wavefront6targetE0EEEvT1_.kd
    .uniform_work_group_size: 1
    .uses_dynamic_stack: false
    .vgpr_count:     0
    .vgpr_spill_count: 0
    .wavefront_size: 32
    .workgroup_processor_mode: 1
  - .args:
      - .offset:         0
        .size:           112
        .value_kind:     by_value
    .group_segment_fixed_size: 0
    .kernarg_segment_align: 8
    .kernarg_segment_size: 112
    .language:       OpenCL C
    .language_version:
      - 2
      - 0
    .max_flat_workgroup_size: 128
    .name:           _ZN7rocprim17ROCPRIM_400000_NS6detail17trampoline_kernelINS0_14default_configENS1_27scan_by_key_config_selectorIssEEZZNS1_16scan_by_key_implILNS1_25lookback_scan_determinismE0ELb0ES3_N6thrust23THRUST_200600_302600_NS6detail15normal_iteratorINS9_10device_ptrIsEEEESE_SE_sNS9_4plusIsEE19head_flag_predicatesEE10hipError_tPvRmT2_T3_T4_T5_mT6_T7_P12ihipStream_tbENKUlT_T0_E_clISt17integral_constantIbLb1EESX_IbLb0EEEEDaST_SU_EUlST_E_NS1_11comp_targetILNS1_3genE10ELNS1_11target_archE1201ELNS1_3gpuE5ELNS1_3repE0EEENS1_30default_config_static_selectorELNS0_4arch9wavefront6targetE0EEEvT1_
    .private_segment_fixed_size: 0
    .sgpr_count:     0
    .sgpr_spill_count: 0
    .symbol:         _ZN7rocprim17ROCPRIM_400000_NS6detail17trampoline_kernelINS0_14default_configENS1_27scan_by_key_config_selectorIssEEZZNS1_16scan_by_key_implILNS1_25lookback_scan_determinismE0ELb0ES3_N6thrust23THRUST_200600_302600_NS6detail15normal_iteratorINS9_10device_ptrIsEEEESE_SE_sNS9_4plusIsEE19head_flag_predicatesEE10hipError_tPvRmT2_T3_T4_T5_mT6_T7_P12ihipStream_tbENKUlT_T0_E_clISt17integral_constantIbLb1EESX_IbLb0EEEEDaST_SU_EUlST_E_NS1_11comp_targetILNS1_3genE10ELNS1_11target_archE1201ELNS1_3gpuE5ELNS1_3repE0EEENS1_30default_config_static_selectorELNS0_4arch9wavefront6targetE0EEEvT1_.kd
    .uniform_work_group_size: 1
    .uses_dynamic_stack: false
    .vgpr_count:     0
    .vgpr_spill_count: 0
    .wavefront_size: 32
    .workgroup_processor_mode: 1
  - .args:
      - .offset:         0
        .size:           112
        .value_kind:     by_value
    .group_segment_fixed_size: 0
    .kernarg_segment_align: 8
    .kernarg_segment_size: 112
    .language:       OpenCL C
    .language_version:
      - 2
      - 0
    .max_flat_workgroup_size: 256
    .name:           _ZN7rocprim17ROCPRIM_400000_NS6detail17trampoline_kernelINS0_14default_configENS1_27scan_by_key_config_selectorIssEEZZNS1_16scan_by_key_implILNS1_25lookback_scan_determinismE0ELb0ES3_N6thrust23THRUST_200600_302600_NS6detail15normal_iteratorINS9_10device_ptrIsEEEESE_SE_sNS9_4plusIsEE19head_flag_predicatesEE10hipError_tPvRmT2_T3_T4_T5_mT6_T7_P12ihipStream_tbENKUlT_T0_E_clISt17integral_constantIbLb1EESX_IbLb0EEEEDaST_SU_EUlST_E_NS1_11comp_targetILNS1_3genE5ELNS1_11target_archE942ELNS1_3gpuE9ELNS1_3repE0EEENS1_30default_config_static_selectorELNS0_4arch9wavefront6targetE0EEEvT1_
    .private_segment_fixed_size: 0
    .sgpr_count:     0
    .sgpr_spill_count: 0
    .symbol:         _ZN7rocprim17ROCPRIM_400000_NS6detail17trampoline_kernelINS0_14default_configENS1_27scan_by_key_config_selectorIssEEZZNS1_16scan_by_key_implILNS1_25lookback_scan_determinismE0ELb0ES3_N6thrust23THRUST_200600_302600_NS6detail15normal_iteratorINS9_10device_ptrIsEEEESE_SE_sNS9_4plusIsEE19head_flag_predicatesEE10hipError_tPvRmT2_T3_T4_T5_mT6_T7_P12ihipStream_tbENKUlT_T0_E_clISt17integral_constantIbLb1EESX_IbLb0EEEEDaST_SU_EUlST_E_NS1_11comp_targetILNS1_3genE5ELNS1_11target_archE942ELNS1_3gpuE9ELNS1_3repE0EEENS1_30default_config_static_selectorELNS0_4arch9wavefront6targetE0EEEvT1_.kd
    .uniform_work_group_size: 1
    .uses_dynamic_stack: false
    .vgpr_count:     0
    .vgpr_spill_count: 0
    .wavefront_size: 32
    .workgroup_processor_mode: 1
  - .args:
      - .offset:         0
        .size:           112
        .value_kind:     by_value
    .group_segment_fixed_size: 0
    .kernarg_segment_align: 8
    .kernarg_segment_size: 112
    .language:       OpenCL C
    .language_version:
      - 2
      - 0
    .max_flat_workgroup_size: 256
    .name:           _ZN7rocprim17ROCPRIM_400000_NS6detail17trampoline_kernelINS0_14default_configENS1_27scan_by_key_config_selectorIssEEZZNS1_16scan_by_key_implILNS1_25lookback_scan_determinismE0ELb0ES3_N6thrust23THRUST_200600_302600_NS6detail15normal_iteratorINS9_10device_ptrIsEEEESE_SE_sNS9_4plusIsEE19head_flag_predicatesEE10hipError_tPvRmT2_T3_T4_T5_mT6_T7_P12ihipStream_tbENKUlT_T0_E_clISt17integral_constantIbLb1EESX_IbLb0EEEEDaST_SU_EUlST_E_NS1_11comp_targetILNS1_3genE4ELNS1_11target_archE910ELNS1_3gpuE8ELNS1_3repE0EEENS1_30default_config_static_selectorELNS0_4arch9wavefront6targetE0EEEvT1_
    .private_segment_fixed_size: 0
    .sgpr_count:     0
    .sgpr_spill_count: 0
    .symbol:         _ZN7rocprim17ROCPRIM_400000_NS6detail17trampoline_kernelINS0_14default_configENS1_27scan_by_key_config_selectorIssEEZZNS1_16scan_by_key_implILNS1_25lookback_scan_determinismE0ELb0ES3_N6thrust23THRUST_200600_302600_NS6detail15normal_iteratorINS9_10device_ptrIsEEEESE_SE_sNS9_4plusIsEE19head_flag_predicatesEE10hipError_tPvRmT2_T3_T4_T5_mT6_T7_P12ihipStream_tbENKUlT_T0_E_clISt17integral_constantIbLb1EESX_IbLb0EEEEDaST_SU_EUlST_E_NS1_11comp_targetILNS1_3genE4ELNS1_11target_archE910ELNS1_3gpuE8ELNS1_3repE0EEENS1_30default_config_static_selectorELNS0_4arch9wavefront6targetE0EEEvT1_.kd
    .uniform_work_group_size: 1
    .uses_dynamic_stack: false
    .vgpr_count:     0
    .vgpr_spill_count: 0
    .wavefront_size: 32
    .workgroup_processor_mode: 1
  - .args:
      - .offset:         0
        .size:           112
        .value_kind:     by_value
    .group_segment_fixed_size: 0
    .kernarg_segment_align: 8
    .kernarg_segment_size: 112
    .language:       OpenCL C
    .language_version:
      - 2
      - 0
    .max_flat_workgroup_size: 256
    .name:           _ZN7rocprim17ROCPRIM_400000_NS6detail17trampoline_kernelINS0_14default_configENS1_27scan_by_key_config_selectorIssEEZZNS1_16scan_by_key_implILNS1_25lookback_scan_determinismE0ELb0ES3_N6thrust23THRUST_200600_302600_NS6detail15normal_iteratorINS9_10device_ptrIsEEEESE_SE_sNS9_4plusIsEE19head_flag_predicatesEE10hipError_tPvRmT2_T3_T4_T5_mT6_T7_P12ihipStream_tbENKUlT_T0_E_clISt17integral_constantIbLb1EESX_IbLb0EEEEDaST_SU_EUlST_E_NS1_11comp_targetILNS1_3genE3ELNS1_11target_archE908ELNS1_3gpuE7ELNS1_3repE0EEENS1_30default_config_static_selectorELNS0_4arch9wavefront6targetE0EEEvT1_
    .private_segment_fixed_size: 0
    .sgpr_count:     0
    .sgpr_spill_count: 0
    .symbol:         _ZN7rocprim17ROCPRIM_400000_NS6detail17trampoline_kernelINS0_14default_configENS1_27scan_by_key_config_selectorIssEEZZNS1_16scan_by_key_implILNS1_25lookback_scan_determinismE0ELb0ES3_N6thrust23THRUST_200600_302600_NS6detail15normal_iteratorINS9_10device_ptrIsEEEESE_SE_sNS9_4plusIsEE19head_flag_predicatesEE10hipError_tPvRmT2_T3_T4_T5_mT6_T7_P12ihipStream_tbENKUlT_T0_E_clISt17integral_constantIbLb1EESX_IbLb0EEEEDaST_SU_EUlST_E_NS1_11comp_targetILNS1_3genE3ELNS1_11target_archE908ELNS1_3gpuE7ELNS1_3repE0EEENS1_30default_config_static_selectorELNS0_4arch9wavefront6targetE0EEEvT1_.kd
    .uniform_work_group_size: 1
    .uses_dynamic_stack: false
    .vgpr_count:     0
    .vgpr_spill_count: 0
    .wavefront_size: 32
    .workgroup_processor_mode: 1
  - .args:
      - .offset:         0
        .size:           112
        .value_kind:     by_value
    .group_segment_fixed_size: 0
    .kernarg_segment_align: 8
    .kernarg_segment_size: 112
    .language:       OpenCL C
    .language_version:
      - 2
      - 0
    .max_flat_workgroup_size: 64
    .name:           _ZN7rocprim17ROCPRIM_400000_NS6detail17trampoline_kernelINS0_14default_configENS1_27scan_by_key_config_selectorIssEEZZNS1_16scan_by_key_implILNS1_25lookback_scan_determinismE0ELb0ES3_N6thrust23THRUST_200600_302600_NS6detail15normal_iteratorINS9_10device_ptrIsEEEESE_SE_sNS9_4plusIsEE19head_flag_predicatesEE10hipError_tPvRmT2_T3_T4_T5_mT6_T7_P12ihipStream_tbENKUlT_T0_E_clISt17integral_constantIbLb1EESX_IbLb0EEEEDaST_SU_EUlST_E_NS1_11comp_targetILNS1_3genE2ELNS1_11target_archE906ELNS1_3gpuE6ELNS1_3repE0EEENS1_30default_config_static_selectorELNS0_4arch9wavefront6targetE0EEEvT1_
    .private_segment_fixed_size: 0
    .sgpr_count:     0
    .sgpr_spill_count: 0
    .symbol:         _ZN7rocprim17ROCPRIM_400000_NS6detail17trampoline_kernelINS0_14default_configENS1_27scan_by_key_config_selectorIssEEZZNS1_16scan_by_key_implILNS1_25lookback_scan_determinismE0ELb0ES3_N6thrust23THRUST_200600_302600_NS6detail15normal_iteratorINS9_10device_ptrIsEEEESE_SE_sNS9_4plusIsEE19head_flag_predicatesEE10hipError_tPvRmT2_T3_T4_T5_mT6_T7_P12ihipStream_tbENKUlT_T0_E_clISt17integral_constantIbLb1EESX_IbLb0EEEEDaST_SU_EUlST_E_NS1_11comp_targetILNS1_3genE2ELNS1_11target_archE906ELNS1_3gpuE6ELNS1_3repE0EEENS1_30default_config_static_selectorELNS0_4arch9wavefront6targetE0EEEvT1_.kd
    .uniform_work_group_size: 1
    .uses_dynamic_stack: false
    .vgpr_count:     0
    .vgpr_spill_count: 0
    .wavefront_size: 32
    .workgroup_processor_mode: 1
  - .args:
      - .offset:         0
        .size:           112
        .value_kind:     by_value
    .group_segment_fixed_size: 0
    .kernarg_segment_align: 8
    .kernarg_segment_size: 112
    .language:       OpenCL C
    .language_version:
      - 2
      - 0
    .max_flat_workgroup_size: 256
    .name:           _ZN7rocprim17ROCPRIM_400000_NS6detail17trampoline_kernelINS0_14default_configENS1_27scan_by_key_config_selectorIssEEZZNS1_16scan_by_key_implILNS1_25lookback_scan_determinismE0ELb0ES3_N6thrust23THRUST_200600_302600_NS6detail15normal_iteratorINS9_10device_ptrIsEEEESE_SE_sNS9_4plusIsEE19head_flag_predicatesEE10hipError_tPvRmT2_T3_T4_T5_mT6_T7_P12ihipStream_tbENKUlT_T0_E_clISt17integral_constantIbLb1EESX_IbLb0EEEEDaST_SU_EUlST_E_NS1_11comp_targetILNS1_3genE10ELNS1_11target_archE1200ELNS1_3gpuE4ELNS1_3repE0EEENS1_30default_config_static_selectorELNS0_4arch9wavefront6targetE0EEEvT1_
    .private_segment_fixed_size: 0
    .sgpr_count:     0
    .sgpr_spill_count: 0
    .symbol:         _ZN7rocprim17ROCPRIM_400000_NS6detail17trampoline_kernelINS0_14default_configENS1_27scan_by_key_config_selectorIssEEZZNS1_16scan_by_key_implILNS1_25lookback_scan_determinismE0ELb0ES3_N6thrust23THRUST_200600_302600_NS6detail15normal_iteratorINS9_10device_ptrIsEEEESE_SE_sNS9_4plusIsEE19head_flag_predicatesEE10hipError_tPvRmT2_T3_T4_T5_mT6_T7_P12ihipStream_tbENKUlT_T0_E_clISt17integral_constantIbLb1EESX_IbLb0EEEEDaST_SU_EUlST_E_NS1_11comp_targetILNS1_3genE10ELNS1_11target_archE1200ELNS1_3gpuE4ELNS1_3repE0EEENS1_30default_config_static_selectorELNS0_4arch9wavefront6targetE0EEEvT1_.kd
    .uniform_work_group_size: 1
    .uses_dynamic_stack: false
    .vgpr_count:     0
    .vgpr_spill_count: 0
    .wavefront_size: 32
    .workgroup_processor_mode: 1
  - .args:
      - .offset:         0
        .size:           112
        .value_kind:     by_value
    .group_segment_fixed_size: 0
    .kernarg_segment_align: 8
    .kernarg_segment_size: 112
    .language:       OpenCL C
    .language_version:
      - 2
      - 0
    .max_flat_workgroup_size: 256
    .name:           _ZN7rocprim17ROCPRIM_400000_NS6detail17trampoline_kernelINS0_14default_configENS1_27scan_by_key_config_selectorIssEEZZNS1_16scan_by_key_implILNS1_25lookback_scan_determinismE0ELb0ES3_N6thrust23THRUST_200600_302600_NS6detail15normal_iteratorINS9_10device_ptrIsEEEESE_SE_sNS9_4plusIsEE19head_flag_predicatesEE10hipError_tPvRmT2_T3_T4_T5_mT6_T7_P12ihipStream_tbENKUlT_T0_E_clISt17integral_constantIbLb1EESX_IbLb0EEEEDaST_SU_EUlST_E_NS1_11comp_targetILNS1_3genE9ELNS1_11target_archE1100ELNS1_3gpuE3ELNS1_3repE0EEENS1_30default_config_static_selectorELNS0_4arch9wavefront6targetE0EEEvT1_
    .private_segment_fixed_size: 0
    .sgpr_count:     0
    .sgpr_spill_count: 0
    .symbol:         _ZN7rocprim17ROCPRIM_400000_NS6detail17trampoline_kernelINS0_14default_configENS1_27scan_by_key_config_selectorIssEEZZNS1_16scan_by_key_implILNS1_25lookback_scan_determinismE0ELb0ES3_N6thrust23THRUST_200600_302600_NS6detail15normal_iteratorINS9_10device_ptrIsEEEESE_SE_sNS9_4plusIsEE19head_flag_predicatesEE10hipError_tPvRmT2_T3_T4_T5_mT6_T7_P12ihipStream_tbENKUlT_T0_E_clISt17integral_constantIbLb1EESX_IbLb0EEEEDaST_SU_EUlST_E_NS1_11comp_targetILNS1_3genE9ELNS1_11target_archE1100ELNS1_3gpuE3ELNS1_3repE0EEENS1_30default_config_static_selectorELNS0_4arch9wavefront6targetE0EEEvT1_.kd
    .uniform_work_group_size: 1
    .uses_dynamic_stack: false
    .vgpr_count:     0
    .vgpr_spill_count: 0
    .wavefront_size: 32
    .workgroup_processor_mode: 1
  - .args:
      - .offset:         0
        .size:           112
        .value_kind:     by_value
    .group_segment_fixed_size: 0
    .kernarg_segment_align: 8
    .kernarg_segment_size: 112
    .language:       OpenCL C
    .language_version:
      - 2
      - 0
    .max_flat_workgroup_size: 64
    .name:           _ZN7rocprim17ROCPRIM_400000_NS6detail17trampoline_kernelINS0_14default_configENS1_27scan_by_key_config_selectorIssEEZZNS1_16scan_by_key_implILNS1_25lookback_scan_determinismE0ELb0ES3_N6thrust23THRUST_200600_302600_NS6detail15normal_iteratorINS9_10device_ptrIsEEEESE_SE_sNS9_4plusIsEE19head_flag_predicatesEE10hipError_tPvRmT2_T3_T4_T5_mT6_T7_P12ihipStream_tbENKUlT_T0_E_clISt17integral_constantIbLb1EESX_IbLb0EEEEDaST_SU_EUlST_E_NS1_11comp_targetILNS1_3genE8ELNS1_11target_archE1030ELNS1_3gpuE2ELNS1_3repE0EEENS1_30default_config_static_selectorELNS0_4arch9wavefront6targetE0EEEvT1_
    .private_segment_fixed_size: 0
    .sgpr_count:     0
    .sgpr_spill_count: 0
    .symbol:         _ZN7rocprim17ROCPRIM_400000_NS6detail17trampoline_kernelINS0_14default_configENS1_27scan_by_key_config_selectorIssEEZZNS1_16scan_by_key_implILNS1_25lookback_scan_determinismE0ELb0ES3_N6thrust23THRUST_200600_302600_NS6detail15normal_iteratorINS9_10device_ptrIsEEEESE_SE_sNS9_4plusIsEE19head_flag_predicatesEE10hipError_tPvRmT2_T3_T4_T5_mT6_T7_P12ihipStream_tbENKUlT_T0_E_clISt17integral_constantIbLb1EESX_IbLb0EEEEDaST_SU_EUlST_E_NS1_11comp_targetILNS1_3genE8ELNS1_11target_archE1030ELNS1_3gpuE2ELNS1_3repE0EEENS1_30default_config_static_selectorELNS0_4arch9wavefront6targetE0EEEvT1_.kd
    .uniform_work_group_size: 1
    .uses_dynamic_stack: false
    .vgpr_count:     0
    .vgpr_spill_count: 0
    .wavefront_size: 32
    .workgroup_processor_mode: 1
  - .args:
      - .offset:         0
        .size:           112
        .value_kind:     by_value
    .group_segment_fixed_size: 0
    .kernarg_segment_align: 8
    .kernarg_segment_size: 112
    .language:       OpenCL C
    .language_version:
      - 2
      - 0
    .max_flat_workgroup_size: 256
    .name:           _ZN7rocprim17ROCPRIM_400000_NS6detail17trampoline_kernelINS0_14default_configENS1_27scan_by_key_config_selectorIssEEZZNS1_16scan_by_key_implILNS1_25lookback_scan_determinismE0ELb0ES3_N6thrust23THRUST_200600_302600_NS6detail15normal_iteratorINS9_10device_ptrIsEEEESE_SE_sNS9_4plusIsEE19head_flag_predicatesEE10hipError_tPvRmT2_T3_T4_T5_mT6_T7_P12ihipStream_tbENKUlT_T0_E_clISt17integral_constantIbLb0EESX_IbLb1EEEEDaST_SU_EUlST_E_NS1_11comp_targetILNS1_3genE0ELNS1_11target_archE4294967295ELNS1_3gpuE0ELNS1_3repE0EEENS1_30default_config_static_selectorELNS0_4arch9wavefront6targetE0EEEvT1_
    .private_segment_fixed_size: 0
    .sgpr_count:     0
    .sgpr_spill_count: 0
    .symbol:         _ZN7rocprim17ROCPRIM_400000_NS6detail17trampoline_kernelINS0_14default_configENS1_27scan_by_key_config_selectorIssEEZZNS1_16scan_by_key_implILNS1_25lookback_scan_determinismE0ELb0ES3_N6thrust23THRUST_200600_302600_NS6detail15normal_iteratorINS9_10device_ptrIsEEEESE_SE_sNS9_4plusIsEE19head_flag_predicatesEE10hipError_tPvRmT2_T3_T4_T5_mT6_T7_P12ihipStream_tbENKUlT_T0_E_clISt17integral_constantIbLb0EESX_IbLb1EEEEDaST_SU_EUlST_E_NS1_11comp_targetILNS1_3genE0ELNS1_11target_archE4294967295ELNS1_3gpuE0ELNS1_3repE0EEENS1_30default_config_static_selectorELNS0_4arch9wavefront6targetE0EEEvT1_.kd
    .uniform_work_group_size: 1
    .uses_dynamic_stack: false
    .vgpr_count:     0
    .vgpr_spill_count: 0
    .wavefront_size: 32
    .workgroup_processor_mode: 1
  - .args:
      - .offset:         0
        .size:           112
        .value_kind:     by_value
    .group_segment_fixed_size: 0
    .kernarg_segment_align: 8
    .kernarg_segment_size: 112
    .language:       OpenCL C
    .language_version:
      - 2
      - 0
    .max_flat_workgroup_size: 128
    .name:           _ZN7rocprim17ROCPRIM_400000_NS6detail17trampoline_kernelINS0_14default_configENS1_27scan_by_key_config_selectorIssEEZZNS1_16scan_by_key_implILNS1_25lookback_scan_determinismE0ELb0ES3_N6thrust23THRUST_200600_302600_NS6detail15normal_iteratorINS9_10device_ptrIsEEEESE_SE_sNS9_4plusIsEE19head_flag_predicatesEE10hipError_tPvRmT2_T3_T4_T5_mT6_T7_P12ihipStream_tbENKUlT_T0_E_clISt17integral_constantIbLb0EESX_IbLb1EEEEDaST_SU_EUlST_E_NS1_11comp_targetILNS1_3genE10ELNS1_11target_archE1201ELNS1_3gpuE5ELNS1_3repE0EEENS1_30default_config_static_selectorELNS0_4arch9wavefront6targetE0EEEvT1_
    .private_segment_fixed_size: 0
    .sgpr_count:     0
    .sgpr_spill_count: 0
    .symbol:         _ZN7rocprim17ROCPRIM_400000_NS6detail17trampoline_kernelINS0_14default_configENS1_27scan_by_key_config_selectorIssEEZZNS1_16scan_by_key_implILNS1_25lookback_scan_determinismE0ELb0ES3_N6thrust23THRUST_200600_302600_NS6detail15normal_iteratorINS9_10device_ptrIsEEEESE_SE_sNS9_4plusIsEE19head_flag_predicatesEE10hipError_tPvRmT2_T3_T4_T5_mT6_T7_P12ihipStream_tbENKUlT_T0_E_clISt17integral_constantIbLb0EESX_IbLb1EEEEDaST_SU_EUlST_E_NS1_11comp_targetILNS1_3genE10ELNS1_11target_archE1201ELNS1_3gpuE5ELNS1_3repE0EEENS1_30default_config_static_selectorELNS0_4arch9wavefront6targetE0EEEvT1_.kd
    .uniform_work_group_size: 1
    .uses_dynamic_stack: false
    .vgpr_count:     0
    .vgpr_spill_count: 0
    .wavefront_size: 32
    .workgroup_processor_mode: 1
  - .args:
      - .offset:         0
        .size:           112
        .value_kind:     by_value
    .group_segment_fixed_size: 0
    .kernarg_segment_align: 8
    .kernarg_segment_size: 112
    .language:       OpenCL C
    .language_version:
      - 2
      - 0
    .max_flat_workgroup_size: 256
    .name:           _ZN7rocprim17ROCPRIM_400000_NS6detail17trampoline_kernelINS0_14default_configENS1_27scan_by_key_config_selectorIssEEZZNS1_16scan_by_key_implILNS1_25lookback_scan_determinismE0ELb0ES3_N6thrust23THRUST_200600_302600_NS6detail15normal_iteratorINS9_10device_ptrIsEEEESE_SE_sNS9_4plusIsEE19head_flag_predicatesEE10hipError_tPvRmT2_T3_T4_T5_mT6_T7_P12ihipStream_tbENKUlT_T0_E_clISt17integral_constantIbLb0EESX_IbLb1EEEEDaST_SU_EUlST_E_NS1_11comp_targetILNS1_3genE5ELNS1_11target_archE942ELNS1_3gpuE9ELNS1_3repE0EEENS1_30default_config_static_selectorELNS0_4arch9wavefront6targetE0EEEvT1_
    .private_segment_fixed_size: 0
    .sgpr_count:     0
    .sgpr_spill_count: 0
    .symbol:         _ZN7rocprim17ROCPRIM_400000_NS6detail17trampoline_kernelINS0_14default_configENS1_27scan_by_key_config_selectorIssEEZZNS1_16scan_by_key_implILNS1_25lookback_scan_determinismE0ELb0ES3_N6thrust23THRUST_200600_302600_NS6detail15normal_iteratorINS9_10device_ptrIsEEEESE_SE_sNS9_4plusIsEE19head_flag_predicatesEE10hipError_tPvRmT2_T3_T4_T5_mT6_T7_P12ihipStream_tbENKUlT_T0_E_clISt17integral_constantIbLb0EESX_IbLb1EEEEDaST_SU_EUlST_E_NS1_11comp_targetILNS1_3genE5ELNS1_11target_archE942ELNS1_3gpuE9ELNS1_3repE0EEENS1_30default_config_static_selectorELNS0_4arch9wavefront6targetE0EEEvT1_.kd
    .uniform_work_group_size: 1
    .uses_dynamic_stack: false
    .vgpr_count:     0
    .vgpr_spill_count: 0
    .wavefront_size: 32
    .workgroup_processor_mode: 1
  - .args:
      - .offset:         0
        .size:           112
        .value_kind:     by_value
    .group_segment_fixed_size: 0
    .kernarg_segment_align: 8
    .kernarg_segment_size: 112
    .language:       OpenCL C
    .language_version:
      - 2
      - 0
    .max_flat_workgroup_size: 256
    .name:           _ZN7rocprim17ROCPRIM_400000_NS6detail17trampoline_kernelINS0_14default_configENS1_27scan_by_key_config_selectorIssEEZZNS1_16scan_by_key_implILNS1_25lookback_scan_determinismE0ELb0ES3_N6thrust23THRUST_200600_302600_NS6detail15normal_iteratorINS9_10device_ptrIsEEEESE_SE_sNS9_4plusIsEE19head_flag_predicatesEE10hipError_tPvRmT2_T3_T4_T5_mT6_T7_P12ihipStream_tbENKUlT_T0_E_clISt17integral_constantIbLb0EESX_IbLb1EEEEDaST_SU_EUlST_E_NS1_11comp_targetILNS1_3genE4ELNS1_11target_archE910ELNS1_3gpuE8ELNS1_3repE0EEENS1_30default_config_static_selectorELNS0_4arch9wavefront6targetE0EEEvT1_
    .private_segment_fixed_size: 0
    .sgpr_count:     0
    .sgpr_spill_count: 0
    .symbol:         _ZN7rocprim17ROCPRIM_400000_NS6detail17trampoline_kernelINS0_14default_configENS1_27scan_by_key_config_selectorIssEEZZNS1_16scan_by_key_implILNS1_25lookback_scan_determinismE0ELb0ES3_N6thrust23THRUST_200600_302600_NS6detail15normal_iteratorINS9_10device_ptrIsEEEESE_SE_sNS9_4plusIsEE19head_flag_predicatesEE10hipError_tPvRmT2_T3_T4_T5_mT6_T7_P12ihipStream_tbENKUlT_T0_E_clISt17integral_constantIbLb0EESX_IbLb1EEEEDaST_SU_EUlST_E_NS1_11comp_targetILNS1_3genE4ELNS1_11target_archE910ELNS1_3gpuE8ELNS1_3repE0EEENS1_30default_config_static_selectorELNS0_4arch9wavefront6targetE0EEEvT1_.kd
    .uniform_work_group_size: 1
    .uses_dynamic_stack: false
    .vgpr_count:     0
    .vgpr_spill_count: 0
    .wavefront_size: 32
    .workgroup_processor_mode: 1
  - .args:
      - .offset:         0
        .size:           112
        .value_kind:     by_value
    .group_segment_fixed_size: 0
    .kernarg_segment_align: 8
    .kernarg_segment_size: 112
    .language:       OpenCL C
    .language_version:
      - 2
      - 0
    .max_flat_workgroup_size: 256
    .name:           _ZN7rocprim17ROCPRIM_400000_NS6detail17trampoline_kernelINS0_14default_configENS1_27scan_by_key_config_selectorIssEEZZNS1_16scan_by_key_implILNS1_25lookback_scan_determinismE0ELb0ES3_N6thrust23THRUST_200600_302600_NS6detail15normal_iteratorINS9_10device_ptrIsEEEESE_SE_sNS9_4plusIsEE19head_flag_predicatesEE10hipError_tPvRmT2_T3_T4_T5_mT6_T7_P12ihipStream_tbENKUlT_T0_E_clISt17integral_constantIbLb0EESX_IbLb1EEEEDaST_SU_EUlST_E_NS1_11comp_targetILNS1_3genE3ELNS1_11target_archE908ELNS1_3gpuE7ELNS1_3repE0EEENS1_30default_config_static_selectorELNS0_4arch9wavefront6targetE0EEEvT1_
    .private_segment_fixed_size: 0
    .sgpr_count:     0
    .sgpr_spill_count: 0
    .symbol:         _ZN7rocprim17ROCPRIM_400000_NS6detail17trampoline_kernelINS0_14default_configENS1_27scan_by_key_config_selectorIssEEZZNS1_16scan_by_key_implILNS1_25lookback_scan_determinismE0ELb0ES3_N6thrust23THRUST_200600_302600_NS6detail15normal_iteratorINS9_10device_ptrIsEEEESE_SE_sNS9_4plusIsEE19head_flag_predicatesEE10hipError_tPvRmT2_T3_T4_T5_mT6_T7_P12ihipStream_tbENKUlT_T0_E_clISt17integral_constantIbLb0EESX_IbLb1EEEEDaST_SU_EUlST_E_NS1_11comp_targetILNS1_3genE3ELNS1_11target_archE908ELNS1_3gpuE7ELNS1_3repE0EEENS1_30default_config_static_selectorELNS0_4arch9wavefront6targetE0EEEvT1_.kd
    .uniform_work_group_size: 1
    .uses_dynamic_stack: false
    .vgpr_count:     0
    .vgpr_spill_count: 0
    .wavefront_size: 32
    .workgroup_processor_mode: 1
  - .args:
      - .offset:         0
        .size:           112
        .value_kind:     by_value
    .group_segment_fixed_size: 0
    .kernarg_segment_align: 8
    .kernarg_segment_size: 112
    .language:       OpenCL C
    .language_version:
      - 2
      - 0
    .max_flat_workgroup_size: 64
    .name:           _ZN7rocprim17ROCPRIM_400000_NS6detail17trampoline_kernelINS0_14default_configENS1_27scan_by_key_config_selectorIssEEZZNS1_16scan_by_key_implILNS1_25lookback_scan_determinismE0ELb0ES3_N6thrust23THRUST_200600_302600_NS6detail15normal_iteratorINS9_10device_ptrIsEEEESE_SE_sNS9_4plusIsEE19head_flag_predicatesEE10hipError_tPvRmT2_T3_T4_T5_mT6_T7_P12ihipStream_tbENKUlT_T0_E_clISt17integral_constantIbLb0EESX_IbLb1EEEEDaST_SU_EUlST_E_NS1_11comp_targetILNS1_3genE2ELNS1_11target_archE906ELNS1_3gpuE6ELNS1_3repE0EEENS1_30default_config_static_selectorELNS0_4arch9wavefront6targetE0EEEvT1_
    .private_segment_fixed_size: 0
    .sgpr_count:     0
    .sgpr_spill_count: 0
    .symbol:         _ZN7rocprim17ROCPRIM_400000_NS6detail17trampoline_kernelINS0_14default_configENS1_27scan_by_key_config_selectorIssEEZZNS1_16scan_by_key_implILNS1_25lookback_scan_determinismE0ELb0ES3_N6thrust23THRUST_200600_302600_NS6detail15normal_iteratorINS9_10device_ptrIsEEEESE_SE_sNS9_4plusIsEE19head_flag_predicatesEE10hipError_tPvRmT2_T3_T4_T5_mT6_T7_P12ihipStream_tbENKUlT_T0_E_clISt17integral_constantIbLb0EESX_IbLb1EEEEDaST_SU_EUlST_E_NS1_11comp_targetILNS1_3genE2ELNS1_11target_archE906ELNS1_3gpuE6ELNS1_3repE0EEENS1_30default_config_static_selectorELNS0_4arch9wavefront6targetE0EEEvT1_.kd
    .uniform_work_group_size: 1
    .uses_dynamic_stack: false
    .vgpr_count:     0
    .vgpr_spill_count: 0
    .wavefront_size: 32
    .workgroup_processor_mode: 1
  - .args:
      - .offset:         0
        .size:           112
        .value_kind:     by_value
    .group_segment_fixed_size: 0
    .kernarg_segment_align: 8
    .kernarg_segment_size: 112
    .language:       OpenCL C
    .language_version:
      - 2
      - 0
    .max_flat_workgroup_size: 256
    .name:           _ZN7rocprim17ROCPRIM_400000_NS6detail17trampoline_kernelINS0_14default_configENS1_27scan_by_key_config_selectorIssEEZZNS1_16scan_by_key_implILNS1_25lookback_scan_determinismE0ELb0ES3_N6thrust23THRUST_200600_302600_NS6detail15normal_iteratorINS9_10device_ptrIsEEEESE_SE_sNS9_4plusIsEE19head_flag_predicatesEE10hipError_tPvRmT2_T3_T4_T5_mT6_T7_P12ihipStream_tbENKUlT_T0_E_clISt17integral_constantIbLb0EESX_IbLb1EEEEDaST_SU_EUlST_E_NS1_11comp_targetILNS1_3genE10ELNS1_11target_archE1200ELNS1_3gpuE4ELNS1_3repE0EEENS1_30default_config_static_selectorELNS0_4arch9wavefront6targetE0EEEvT1_
    .private_segment_fixed_size: 0
    .sgpr_count:     0
    .sgpr_spill_count: 0
    .symbol:         _ZN7rocprim17ROCPRIM_400000_NS6detail17trampoline_kernelINS0_14default_configENS1_27scan_by_key_config_selectorIssEEZZNS1_16scan_by_key_implILNS1_25lookback_scan_determinismE0ELb0ES3_N6thrust23THRUST_200600_302600_NS6detail15normal_iteratorINS9_10device_ptrIsEEEESE_SE_sNS9_4plusIsEE19head_flag_predicatesEE10hipError_tPvRmT2_T3_T4_T5_mT6_T7_P12ihipStream_tbENKUlT_T0_E_clISt17integral_constantIbLb0EESX_IbLb1EEEEDaST_SU_EUlST_E_NS1_11comp_targetILNS1_3genE10ELNS1_11target_archE1200ELNS1_3gpuE4ELNS1_3repE0EEENS1_30default_config_static_selectorELNS0_4arch9wavefront6targetE0EEEvT1_.kd
    .uniform_work_group_size: 1
    .uses_dynamic_stack: false
    .vgpr_count:     0
    .vgpr_spill_count: 0
    .wavefront_size: 32
    .workgroup_processor_mode: 1
  - .args:
      - .offset:         0
        .size:           112
        .value_kind:     by_value
    .group_segment_fixed_size: 0
    .kernarg_segment_align: 8
    .kernarg_segment_size: 112
    .language:       OpenCL C
    .language_version:
      - 2
      - 0
    .max_flat_workgroup_size: 256
    .name:           _ZN7rocprim17ROCPRIM_400000_NS6detail17trampoline_kernelINS0_14default_configENS1_27scan_by_key_config_selectorIssEEZZNS1_16scan_by_key_implILNS1_25lookback_scan_determinismE0ELb0ES3_N6thrust23THRUST_200600_302600_NS6detail15normal_iteratorINS9_10device_ptrIsEEEESE_SE_sNS9_4plusIsEE19head_flag_predicatesEE10hipError_tPvRmT2_T3_T4_T5_mT6_T7_P12ihipStream_tbENKUlT_T0_E_clISt17integral_constantIbLb0EESX_IbLb1EEEEDaST_SU_EUlST_E_NS1_11comp_targetILNS1_3genE9ELNS1_11target_archE1100ELNS1_3gpuE3ELNS1_3repE0EEENS1_30default_config_static_selectorELNS0_4arch9wavefront6targetE0EEEvT1_
    .private_segment_fixed_size: 0
    .sgpr_count:     0
    .sgpr_spill_count: 0
    .symbol:         _ZN7rocprim17ROCPRIM_400000_NS6detail17trampoline_kernelINS0_14default_configENS1_27scan_by_key_config_selectorIssEEZZNS1_16scan_by_key_implILNS1_25lookback_scan_determinismE0ELb0ES3_N6thrust23THRUST_200600_302600_NS6detail15normal_iteratorINS9_10device_ptrIsEEEESE_SE_sNS9_4plusIsEE19head_flag_predicatesEE10hipError_tPvRmT2_T3_T4_T5_mT6_T7_P12ihipStream_tbENKUlT_T0_E_clISt17integral_constantIbLb0EESX_IbLb1EEEEDaST_SU_EUlST_E_NS1_11comp_targetILNS1_3genE9ELNS1_11target_archE1100ELNS1_3gpuE3ELNS1_3repE0EEENS1_30default_config_static_selectorELNS0_4arch9wavefront6targetE0EEEvT1_.kd
    .uniform_work_group_size: 1
    .uses_dynamic_stack: false
    .vgpr_count:     0
    .vgpr_spill_count: 0
    .wavefront_size: 32
    .workgroup_processor_mode: 1
  - .args:
      - .offset:         0
        .size:           112
        .value_kind:     by_value
    .group_segment_fixed_size: 1536
    .kernarg_segment_align: 8
    .kernarg_segment_size: 112
    .language:       OpenCL C
    .language_version:
      - 2
      - 0
    .max_flat_workgroup_size: 64
    .name:           _ZN7rocprim17ROCPRIM_400000_NS6detail17trampoline_kernelINS0_14default_configENS1_27scan_by_key_config_selectorIssEEZZNS1_16scan_by_key_implILNS1_25lookback_scan_determinismE0ELb0ES3_N6thrust23THRUST_200600_302600_NS6detail15normal_iteratorINS9_10device_ptrIsEEEESE_SE_sNS9_4plusIsEE19head_flag_predicatesEE10hipError_tPvRmT2_T3_T4_T5_mT6_T7_P12ihipStream_tbENKUlT_T0_E_clISt17integral_constantIbLb0EESX_IbLb1EEEEDaST_SU_EUlST_E_NS1_11comp_targetILNS1_3genE8ELNS1_11target_archE1030ELNS1_3gpuE2ELNS1_3repE0EEENS1_30default_config_static_selectorELNS0_4arch9wavefront6targetE0EEEvT1_
    .private_segment_fixed_size: 0
    .sgpr_count:     37
    .sgpr_spill_count: 0
    .symbol:         _ZN7rocprim17ROCPRIM_400000_NS6detail17trampoline_kernelINS0_14default_configENS1_27scan_by_key_config_selectorIssEEZZNS1_16scan_by_key_implILNS1_25lookback_scan_determinismE0ELb0ES3_N6thrust23THRUST_200600_302600_NS6detail15normal_iteratorINS9_10device_ptrIsEEEESE_SE_sNS9_4plusIsEE19head_flag_predicatesEE10hipError_tPvRmT2_T3_T4_T5_mT6_T7_P12ihipStream_tbENKUlT_T0_E_clISt17integral_constantIbLb0EESX_IbLb1EEEEDaST_SU_EUlST_E_NS1_11comp_targetILNS1_3genE8ELNS1_11target_archE1030ELNS1_3gpuE2ELNS1_3repE0EEENS1_30default_config_static_selectorELNS0_4arch9wavefront6targetE0EEEvT1_.kd
    .uniform_work_group_size: 1
    .uses_dynamic_stack: false
    .vgpr_count:     42
    .vgpr_spill_count: 0
    .wavefront_size: 32
    .workgroup_processor_mode: 1
  - .args:
      - .offset:         0
        .size:           112
        .value_kind:     by_value
    .group_segment_fixed_size: 0
    .kernarg_segment_align: 8
    .kernarg_segment_size: 112
    .language:       OpenCL C
    .language_version:
      - 2
      - 0
    .max_flat_workgroup_size: 256
    .name:           _ZN7rocprim17ROCPRIM_400000_NS6detail17trampoline_kernelINS0_14default_configENS1_27scan_by_key_config_selectorIssEEZZNS1_16scan_by_key_implILNS1_25lookback_scan_determinismE0ELb1ES3_N6thrust23THRUST_200600_302600_NS6detail15normal_iteratorINS9_10device_ptrIsEEEESE_SE_sNS9_4plusIsEE19head_flag_predicatesEE10hipError_tPvRmT2_T3_T4_T5_mT6_T7_P12ihipStream_tbENKUlT_T0_E_clISt17integral_constantIbLb0EESY_EEDaST_SU_EUlST_E_NS1_11comp_targetILNS1_3genE0ELNS1_11target_archE4294967295ELNS1_3gpuE0ELNS1_3repE0EEENS1_30default_config_static_selectorELNS0_4arch9wavefront6targetE0EEEvT1_
    .private_segment_fixed_size: 0
    .sgpr_count:     0
    .sgpr_spill_count: 0
    .symbol:         _ZN7rocprim17ROCPRIM_400000_NS6detail17trampoline_kernelINS0_14default_configENS1_27scan_by_key_config_selectorIssEEZZNS1_16scan_by_key_implILNS1_25lookback_scan_determinismE0ELb1ES3_N6thrust23THRUST_200600_302600_NS6detail15normal_iteratorINS9_10device_ptrIsEEEESE_SE_sNS9_4plusIsEE19head_flag_predicatesEE10hipError_tPvRmT2_T3_T4_T5_mT6_T7_P12ihipStream_tbENKUlT_T0_E_clISt17integral_constantIbLb0EESY_EEDaST_SU_EUlST_E_NS1_11comp_targetILNS1_3genE0ELNS1_11target_archE4294967295ELNS1_3gpuE0ELNS1_3repE0EEENS1_30default_config_static_selectorELNS0_4arch9wavefront6targetE0EEEvT1_.kd
    .uniform_work_group_size: 1
    .uses_dynamic_stack: false
    .vgpr_count:     0
    .vgpr_spill_count: 0
    .wavefront_size: 32
    .workgroup_processor_mode: 1
  - .args:
      - .offset:         0
        .size:           112
        .value_kind:     by_value
    .group_segment_fixed_size: 0
    .kernarg_segment_align: 8
    .kernarg_segment_size: 112
    .language:       OpenCL C
    .language_version:
      - 2
      - 0
    .max_flat_workgroup_size: 128
    .name:           _ZN7rocprim17ROCPRIM_400000_NS6detail17trampoline_kernelINS0_14default_configENS1_27scan_by_key_config_selectorIssEEZZNS1_16scan_by_key_implILNS1_25lookback_scan_determinismE0ELb1ES3_N6thrust23THRUST_200600_302600_NS6detail15normal_iteratorINS9_10device_ptrIsEEEESE_SE_sNS9_4plusIsEE19head_flag_predicatesEE10hipError_tPvRmT2_T3_T4_T5_mT6_T7_P12ihipStream_tbENKUlT_T0_E_clISt17integral_constantIbLb0EESY_EEDaST_SU_EUlST_E_NS1_11comp_targetILNS1_3genE10ELNS1_11target_archE1201ELNS1_3gpuE5ELNS1_3repE0EEENS1_30default_config_static_selectorELNS0_4arch9wavefront6targetE0EEEvT1_
    .private_segment_fixed_size: 0
    .sgpr_count:     0
    .sgpr_spill_count: 0
    .symbol:         _ZN7rocprim17ROCPRIM_400000_NS6detail17trampoline_kernelINS0_14default_configENS1_27scan_by_key_config_selectorIssEEZZNS1_16scan_by_key_implILNS1_25lookback_scan_determinismE0ELb1ES3_N6thrust23THRUST_200600_302600_NS6detail15normal_iteratorINS9_10device_ptrIsEEEESE_SE_sNS9_4plusIsEE19head_flag_predicatesEE10hipError_tPvRmT2_T3_T4_T5_mT6_T7_P12ihipStream_tbENKUlT_T0_E_clISt17integral_constantIbLb0EESY_EEDaST_SU_EUlST_E_NS1_11comp_targetILNS1_3genE10ELNS1_11target_archE1201ELNS1_3gpuE5ELNS1_3repE0EEENS1_30default_config_static_selectorELNS0_4arch9wavefront6targetE0EEEvT1_.kd
    .uniform_work_group_size: 1
    .uses_dynamic_stack: false
    .vgpr_count:     0
    .vgpr_spill_count: 0
    .wavefront_size: 32
    .workgroup_processor_mode: 1
  - .args:
      - .offset:         0
        .size:           112
        .value_kind:     by_value
    .group_segment_fixed_size: 0
    .kernarg_segment_align: 8
    .kernarg_segment_size: 112
    .language:       OpenCL C
    .language_version:
      - 2
      - 0
    .max_flat_workgroup_size: 256
    .name:           _ZN7rocprim17ROCPRIM_400000_NS6detail17trampoline_kernelINS0_14default_configENS1_27scan_by_key_config_selectorIssEEZZNS1_16scan_by_key_implILNS1_25lookback_scan_determinismE0ELb1ES3_N6thrust23THRUST_200600_302600_NS6detail15normal_iteratorINS9_10device_ptrIsEEEESE_SE_sNS9_4plusIsEE19head_flag_predicatesEE10hipError_tPvRmT2_T3_T4_T5_mT6_T7_P12ihipStream_tbENKUlT_T0_E_clISt17integral_constantIbLb0EESY_EEDaST_SU_EUlST_E_NS1_11comp_targetILNS1_3genE5ELNS1_11target_archE942ELNS1_3gpuE9ELNS1_3repE0EEENS1_30default_config_static_selectorELNS0_4arch9wavefront6targetE0EEEvT1_
    .private_segment_fixed_size: 0
    .sgpr_count:     0
    .sgpr_spill_count: 0
    .symbol:         _ZN7rocprim17ROCPRIM_400000_NS6detail17trampoline_kernelINS0_14default_configENS1_27scan_by_key_config_selectorIssEEZZNS1_16scan_by_key_implILNS1_25lookback_scan_determinismE0ELb1ES3_N6thrust23THRUST_200600_302600_NS6detail15normal_iteratorINS9_10device_ptrIsEEEESE_SE_sNS9_4plusIsEE19head_flag_predicatesEE10hipError_tPvRmT2_T3_T4_T5_mT6_T7_P12ihipStream_tbENKUlT_T0_E_clISt17integral_constantIbLb0EESY_EEDaST_SU_EUlST_E_NS1_11comp_targetILNS1_3genE5ELNS1_11target_archE942ELNS1_3gpuE9ELNS1_3repE0EEENS1_30default_config_static_selectorELNS0_4arch9wavefront6targetE0EEEvT1_.kd
    .uniform_work_group_size: 1
    .uses_dynamic_stack: false
    .vgpr_count:     0
    .vgpr_spill_count: 0
    .wavefront_size: 32
    .workgroup_processor_mode: 1
  - .args:
      - .offset:         0
        .size:           112
        .value_kind:     by_value
    .group_segment_fixed_size: 0
    .kernarg_segment_align: 8
    .kernarg_segment_size: 112
    .language:       OpenCL C
    .language_version:
      - 2
      - 0
    .max_flat_workgroup_size: 256
    .name:           _ZN7rocprim17ROCPRIM_400000_NS6detail17trampoline_kernelINS0_14default_configENS1_27scan_by_key_config_selectorIssEEZZNS1_16scan_by_key_implILNS1_25lookback_scan_determinismE0ELb1ES3_N6thrust23THRUST_200600_302600_NS6detail15normal_iteratorINS9_10device_ptrIsEEEESE_SE_sNS9_4plusIsEE19head_flag_predicatesEE10hipError_tPvRmT2_T3_T4_T5_mT6_T7_P12ihipStream_tbENKUlT_T0_E_clISt17integral_constantIbLb0EESY_EEDaST_SU_EUlST_E_NS1_11comp_targetILNS1_3genE4ELNS1_11target_archE910ELNS1_3gpuE8ELNS1_3repE0EEENS1_30default_config_static_selectorELNS0_4arch9wavefront6targetE0EEEvT1_
    .private_segment_fixed_size: 0
    .sgpr_count:     0
    .sgpr_spill_count: 0
    .symbol:         _ZN7rocprim17ROCPRIM_400000_NS6detail17trampoline_kernelINS0_14default_configENS1_27scan_by_key_config_selectorIssEEZZNS1_16scan_by_key_implILNS1_25lookback_scan_determinismE0ELb1ES3_N6thrust23THRUST_200600_302600_NS6detail15normal_iteratorINS9_10device_ptrIsEEEESE_SE_sNS9_4plusIsEE19head_flag_predicatesEE10hipError_tPvRmT2_T3_T4_T5_mT6_T7_P12ihipStream_tbENKUlT_T0_E_clISt17integral_constantIbLb0EESY_EEDaST_SU_EUlST_E_NS1_11comp_targetILNS1_3genE4ELNS1_11target_archE910ELNS1_3gpuE8ELNS1_3repE0EEENS1_30default_config_static_selectorELNS0_4arch9wavefront6targetE0EEEvT1_.kd
    .uniform_work_group_size: 1
    .uses_dynamic_stack: false
    .vgpr_count:     0
    .vgpr_spill_count: 0
    .wavefront_size: 32
    .workgroup_processor_mode: 1
  - .args:
      - .offset:         0
        .size:           112
        .value_kind:     by_value
    .group_segment_fixed_size: 0
    .kernarg_segment_align: 8
    .kernarg_segment_size: 112
    .language:       OpenCL C
    .language_version:
      - 2
      - 0
    .max_flat_workgroup_size: 256
    .name:           _ZN7rocprim17ROCPRIM_400000_NS6detail17trampoline_kernelINS0_14default_configENS1_27scan_by_key_config_selectorIssEEZZNS1_16scan_by_key_implILNS1_25lookback_scan_determinismE0ELb1ES3_N6thrust23THRUST_200600_302600_NS6detail15normal_iteratorINS9_10device_ptrIsEEEESE_SE_sNS9_4plusIsEE19head_flag_predicatesEE10hipError_tPvRmT2_T3_T4_T5_mT6_T7_P12ihipStream_tbENKUlT_T0_E_clISt17integral_constantIbLb0EESY_EEDaST_SU_EUlST_E_NS1_11comp_targetILNS1_3genE3ELNS1_11target_archE908ELNS1_3gpuE7ELNS1_3repE0EEENS1_30default_config_static_selectorELNS0_4arch9wavefront6targetE0EEEvT1_
    .private_segment_fixed_size: 0
    .sgpr_count:     0
    .sgpr_spill_count: 0
    .symbol:         _ZN7rocprim17ROCPRIM_400000_NS6detail17trampoline_kernelINS0_14default_configENS1_27scan_by_key_config_selectorIssEEZZNS1_16scan_by_key_implILNS1_25lookback_scan_determinismE0ELb1ES3_N6thrust23THRUST_200600_302600_NS6detail15normal_iteratorINS9_10device_ptrIsEEEESE_SE_sNS9_4plusIsEE19head_flag_predicatesEE10hipError_tPvRmT2_T3_T4_T5_mT6_T7_P12ihipStream_tbENKUlT_T0_E_clISt17integral_constantIbLb0EESY_EEDaST_SU_EUlST_E_NS1_11comp_targetILNS1_3genE3ELNS1_11target_archE908ELNS1_3gpuE7ELNS1_3repE0EEENS1_30default_config_static_selectorELNS0_4arch9wavefront6targetE0EEEvT1_.kd
    .uniform_work_group_size: 1
    .uses_dynamic_stack: false
    .vgpr_count:     0
    .vgpr_spill_count: 0
    .wavefront_size: 32
    .workgroup_processor_mode: 1
  - .args:
      - .offset:         0
        .size:           112
        .value_kind:     by_value
    .group_segment_fixed_size: 0
    .kernarg_segment_align: 8
    .kernarg_segment_size: 112
    .language:       OpenCL C
    .language_version:
      - 2
      - 0
    .max_flat_workgroup_size: 64
    .name:           _ZN7rocprim17ROCPRIM_400000_NS6detail17trampoline_kernelINS0_14default_configENS1_27scan_by_key_config_selectorIssEEZZNS1_16scan_by_key_implILNS1_25lookback_scan_determinismE0ELb1ES3_N6thrust23THRUST_200600_302600_NS6detail15normal_iteratorINS9_10device_ptrIsEEEESE_SE_sNS9_4plusIsEE19head_flag_predicatesEE10hipError_tPvRmT2_T3_T4_T5_mT6_T7_P12ihipStream_tbENKUlT_T0_E_clISt17integral_constantIbLb0EESY_EEDaST_SU_EUlST_E_NS1_11comp_targetILNS1_3genE2ELNS1_11target_archE906ELNS1_3gpuE6ELNS1_3repE0EEENS1_30default_config_static_selectorELNS0_4arch9wavefront6targetE0EEEvT1_
    .private_segment_fixed_size: 0
    .sgpr_count:     0
    .sgpr_spill_count: 0
    .symbol:         _ZN7rocprim17ROCPRIM_400000_NS6detail17trampoline_kernelINS0_14default_configENS1_27scan_by_key_config_selectorIssEEZZNS1_16scan_by_key_implILNS1_25lookback_scan_determinismE0ELb1ES3_N6thrust23THRUST_200600_302600_NS6detail15normal_iteratorINS9_10device_ptrIsEEEESE_SE_sNS9_4plusIsEE19head_flag_predicatesEE10hipError_tPvRmT2_T3_T4_T5_mT6_T7_P12ihipStream_tbENKUlT_T0_E_clISt17integral_constantIbLb0EESY_EEDaST_SU_EUlST_E_NS1_11comp_targetILNS1_3genE2ELNS1_11target_archE906ELNS1_3gpuE6ELNS1_3repE0EEENS1_30default_config_static_selectorELNS0_4arch9wavefront6targetE0EEEvT1_.kd
    .uniform_work_group_size: 1
    .uses_dynamic_stack: false
    .vgpr_count:     0
    .vgpr_spill_count: 0
    .wavefront_size: 32
    .workgroup_processor_mode: 1
  - .args:
      - .offset:         0
        .size:           112
        .value_kind:     by_value
    .group_segment_fixed_size: 0
    .kernarg_segment_align: 8
    .kernarg_segment_size: 112
    .language:       OpenCL C
    .language_version:
      - 2
      - 0
    .max_flat_workgroup_size: 256
    .name:           _ZN7rocprim17ROCPRIM_400000_NS6detail17trampoline_kernelINS0_14default_configENS1_27scan_by_key_config_selectorIssEEZZNS1_16scan_by_key_implILNS1_25lookback_scan_determinismE0ELb1ES3_N6thrust23THRUST_200600_302600_NS6detail15normal_iteratorINS9_10device_ptrIsEEEESE_SE_sNS9_4plusIsEE19head_flag_predicatesEE10hipError_tPvRmT2_T3_T4_T5_mT6_T7_P12ihipStream_tbENKUlT_T0_E_clISt17integral_constantIbLb0EESY_EEDaST_SU_EUlST_E_NS1_11comp_targetILNS1_3genE10ELNS1_11target_archE1200ELNS1_3gpuE4ELNS1_3repE0EEENS1_30default_config_static_selectorELNS0_4arch9wavefront6targetE0EEEvT1_
    .private_segment_fixed_size: 0
    .sgpr_count:     0
    .sgpr_spill_count: 0
    .symbol:         _ZN7rocprim17ROCPRIM_400000_NS6detail17trampoline_kernelINS0_14default_configENS1_27scan_by_key_config_selectorIssEEZZNS1_16scan_by_key_implILNS1_25lookback_scan_determinismE0ELb1ES3_N6thrust23THRUST_200600_302600_NS6detail15normal_iteratorINS9_10device_ptrIsEEEESE_SE_sNS9_4plusIsEE19head_flag_predicatesEE10hipError_tPvRmT2_T3_T4_T5_mT6_T7_P12ihipStream_tbENKUlT_T0_E_clISt17integral_constantIbLb0EESY_EEDaST_SU_EUlST_E_NS1_11comp_targetILNS1_3genE10ELNS1_11target_archE1200ELNS1_3gpuE4ELNS1_3repE0EEENS1_30default_config_static_selectorELNS0_4arch9wavefront6targetE0EEEvT1_.kd
    .uniform_work_group_size: 1
    .uses_dynamic_stack: false
    .vgpr_count:     0
    .vgpr_spill_count: 0
    .wavefront_size: 32
    .workgroup_processor_mode: 1
  - .args:
      - .offset:         0
        .size:           112
        .value_kind:     by_value
    .group_segment_fixed_size: 0
    .kernarg_segment_align: 8
    .kernarg_segment_size: 112
    .language:       OpenCL C
    .language_version:
      - 2
      - 0
    .max_flat_workgroup_size: 256
    .name:           _ZN7rocprim17ROCPRIM_400000_NS6detail17trampoline_kernelINS0_14default_configENS1_27scan_by_key_config_selectorIssEEZZNS1_16scan_by_key_implILNS1_25lookback_scan_determinismE0ELb1ES3_N6thrust23THRUST_200600_302600_NS6detail15normal_iteratorINS9_10device_ptrIsEEEESE_SE_sNS9_4plusIsEE19head_flag_predicatesEE10hipError_tPvRmT2_T3_T4_T5_mT6_T7_P12ihipStream_tbENKUlT_T0_E_clISt17integral_constantIbLb0EESY_EEDaST_SU_EUlST_E_NS1_11comp_targetILNS1_3genE9ELNS1_11target_archE1100ELNS1_3gpuE3ELNS1_3repE0EEENS1_30default_config_static_selectorELNS0_4arch9wavefront6targetE0EEEvT1_
    .private_segment_fixed_size: 0
    .sgpr_count:     0
    .sgpr_spill_count: 0
    .symbol:         _ZN7rocprim17ROCPRIM_400000_NS6detail17trampoline_kernelINS0_14default_configENS1_27scan_by_key_config_selectorIssEEZZNS1_16scan_by_key_implILNS1_25lookback_scan_determinismE0ELb1ES3_N6thrust23THRUST_200600_302600_NS6detail15normal_iteratorINS9_10device_ptrIsEEEESE_SE_sNS9_4plusIsEE19head_flag_predicatesEE10hipError_tPvRmT2_T3_T4_T5_mT6_T7_P12ihipStream_tbENKUlT_T0_E_clISt17integral_constantIbLb0EESY_EEDaST_SU_EUlST_E_NS1_11comp_targetILNS1_3genE9ELNS1_11target_archE1100ELNS1_3gpuE3ELNS1_3repE0EEENS1_30default_config_static_selectorELNS0_4arch9wavefront6targetE0EEEvT1_.kd
    .uniform_work_group_size: 1
    .uses_dynamic_stack: false
    .vgpr_count:     0
    .vgpr_spill_count: 0
    .wavefront_size: 32
    .workgroup_processor_mode: 1
  - .args:
      - .offset:         0
        .size:           112
        .value_kind:     by_value
    .group_segment_fixed_size: 1536
    .kernarg_segment_align: 8
    .kernarg_segment_size: 112
    .language:       OpenCL C
    .language_version:
      - 2
      - 0
    .max_flat_workgroup_size: 64
    .name:           _ZN7rocprim17ROCPRIM_400000_NS6detail17trampoline_kernelINS0_14default_configENS1_27scan_by_key_config_selectorIssEEZZNS1_16scan_by_key_implILNS1_25lookback_scan_determinismE0ELb1ES3_N6thrust23THRUST_200600_302600_NS6detail15normal_iteratorINS9_10device_ptrIsEEEESE_SE_sNS9_4plusIsEE19head_flag_predicatesEE10hipError_tPvRmT2_T3_T4_T5_mT6_T7_P12ihipStream_tbENKUlT_T0_E_clISt17integral_constantIbLb0EESY_EEDaST_SU_EUlST_E_NS1_11comp_targetILNS1_3genE8ELNS1_11target_archE1030ELNS1_3gpuE2ELNS1_3repE0EEENS1_30default_config_static_selectorELNS0_4arch9wavefront6targetE0EEEvT1_
    .private_segment_fixed_size: 0
    .sgpr_count:     38
    .sgpr_spill_count: 0
    .symbol:         _ZN7rocprim17ROCPRIM_400000_NS6detail17trampoline_kernelINS0_14default_configENS1_27scan_by_key_config_selectorIssEEZZNS1_16scan_by_key_implILNS1_25lookback_scan_determinismE0ELb1ES3_N6thrust23THRUST_200600_302600_NS6detail15normal_iteratorINS9_10device_ptrIsEEEESE_SE_sNS9_4plusIsEE19head_flag_predicatesEE10hipError_tPvRmT2_T3_T4_T5_mT6_T7_P12ihipStream_tbENKUlT_T0_E_clISt17integral_constantIbLb0EESY_EEDaST_SU_EUlST_E_NS1_11comp_targetILNS1_3genE8ELNS1_11target_archE1030ELNS1_3gpuE2ELNS1_3repE0EEENS1_30default_config_static_selectorELNS0_4arch9wavefront6targetE0EEEvT1_.kd
    .uniform_work_group_size: 1
    .uses_dynamic_stack: false
    .vgpr_count:     42
    .vgpr_spill_count: 0
    .wavefront_size: 32
    .workgroup_processor_mode: 1
  - .args:
      - .offset:         0
        .size:           112
        .value_kind:     by_value
    .group_segment_fixed_size: 0
    .kernarg_segment_align: 8
    .kernarg_segment_size: 112
    .language:       OpenCL C
    .language_version:
      - 2
      - 0
    .max_flat_workgroup_size: 256
    .name:           _ZN7rocprim17ROCPRIM_400000_NS6detail17trampoline_kernelINS0_14default_configENS1_27scan_by_key_config_selectorIssEEZZNS1_16scan_by_key_implILNS1_25lookback_scan_determinismE0ELb1ES3_N6thrust23THRUST_200600_302600_NS6detail15normal_iteratorINS9_10device_ptrIsEEEESE_SE_sNS9_4plusIsEE19head_flag_predicatesEE10hipError_tPvRmT2_T3_T4_T5_mT6_T7_P12ihipStream_tbENKUlT_T0_E_clISt17integral_constantIbLb1EESY_EEDaST_SU_EUlST_E_NS1_11comp_targetILNS1_3genE0ELNS1_11target_archE4294967295ELNS1_3gpuE0ELNS1_3repE0EEENS1_30default_config_static_selectorELNS0_4arch9wavefront6targetE0EEEvT1_
    .private_segment_fixed_size: 0
    .sgpr_count:     0
    .sgpr_spill_count: 0
    .symbol:         _ZN7rocprim17ROCPRIM_400000_NS6detail17trampoline_kernelINS0_14default_configENS1_27scan_by_key_config_selectorIssEEZZNS1_16scan_by_key_implILNS1_25lookback_scan_determinismE0ELb1ES3_N6thrust23THRUST_200600_302600_NS6detail15normal_iteratorINS9_10device_ptrIsEEEESE_SE_sNS9_4plusIsEE19head_flag_predicatesEE10hipError_tPvRmT2_T3_T4_T5_mT6_T7_P12ihipStream_tbENKUlT_T0_E_clISt17integral_constantIbLb1EESY_EEDaST_SU_EUlST_E_NS1_11comp_targetILNS1_3genE0ELNS1_11target_archE4294967295ELNS1_3gpuE0ELNS1_3repE0EEENS1_30default_config_static_selectorELNS0_4arch9wavefront6targetE0EEEvT1_.kd
    .uniform_work_group_size: 1
    .uses_dynamic_stack: false
    .vgpr_count:     0
    .vgpr_spill_count: 0
    .wavefront_size: 32
    .workgroup_processor_mode: 1
  - .args:
      - .offset:         0
        .size:           112
        .value_kind:     by_value
    .group_segment_fixed_size: 0
    .kernarg_segment_align: 8
    .kernarg_segment_size: 112
    .language:       OpenCL C
    .language_version:
      - 2
      - 0
    .max_flat_workgroup_size: 128
    .name:           _ZN7rocprim17ROCPRIM_400000_NS6detail17trampoline_kernelINS0_14default_configENS1_27scan_by_key_config_selectorIssEEZZNS1_16scan_by_key_implILNS1_25lookback_scan_determinismE0ELb1ES3_N6thrust23THRUST_200600_302600_NS6detail15normal_iteratorINS9_10device_ptrIsEEEESE_SE_sNS9_4plusIsEE19head_flag_predicatesEE10hipError_tPvRmT2_T3_T4_T5_mT6_T7_P12ihipStream_tbENKUlT_T0_E_clISt17integral_constantIbLb1EESY_EEDaST_SU_EUlST_E_NS1_11comp_targetILNS1_3genE10ELNS1_11target_archE1201ELNS1_3gpuE5ELNS1_3repE0EEENS1_30default_config_static_selectorELNS0_4arch9wavefront6targetE0EEEvT1_
    .private_segment_fixed_size: 0
    .sgpr_count:     0
    .sgpr_spill_count: 0
    .symbol:         _ZN7rocprim17ROCPRIM_400000_NS6detail17trampoline_kernelINS0_14default_configENS1_27scan_by_key_config_selectorIssEEZZNS1_16scan_by_key_implILNS1_25lookback_scan_determinismE0ELb1ES3_N6thrust23THRUST_200600_302600_NS6detail15normal_iteratorINS9_10device_ptrIsEEEESE_SE_sNS9_4plusIsEE19head_flag_predicatesEE10hipError_tPvRmT2_T3_T4_T5_mT6_T7_P12ihipStream_tbENKUlT_T0_E_clISt17integral_constantIbLb1EESY_EEDaST_SU_EUlST_E_NS1_11comp_targetILNS1_3genE10ELNS1_11target_archE1201ELNS1_3gpuE5ELNS1_3repE0EEENS1_30default_config_static_selectorELNS0_4arch9wavefront6targetE0EEEvT1_.kd
    .uniform_work_group_size: 1
    .uses_dynamic_stack: false
    .vgpr_count:     0
    .vgpr_spill_count: 0
    .wavefront_size: 32
    .workgroup_processor_mode: 1
  - .args:
      - .offset:         0
        .size:           112
        .value_kind:     by_value
    .group_segment_fixed_size: 0
    .kernarg_segment_align: 8
    .kernarg_segment_size: 112
    .language:       OpenCL C
    .language_version:
      - 2
      - 0
    .max_flat_workgroup_size: 256
    .name:           _ZN7rocprim17ROCPRIM_400000_NS6detail17trampoline_kernelINS0_14default_configENS1_27scan_by_key_config_selectorIssEEZZNS1_16scan_by_key_implILNS1_25lookback_scan_determinismE0ELb1ES3_N6thrust23THRUST_200600_302600_NS6detail15normal_iteratorINS9_10device_ptrIsEEEESE_SE_sNS9_4plusIsEE19head_flag_predicatesEE10hipError_tPvRmT2_T3_T4_T5_mT6_T7_P12ihipStream_tbENKUlT_T0_E_clISt17integral_constantIbLb1EESY_EEDaST_SU_EUlST_E_NS1_11comp_targetILNS1_3genE5ELNS1_11target_archE942ELNS1_3gpuE9ELNS1_3repE0EEENS1_30default_config_static_selectorELNS0_4arch9wavefront6targetE0EEEvT1_
    .private_segment_fixed_size: 0
    .sgpr_count:     0
    .sgpr_spill_count: 0
    .symbol:         _ZN7rocprim17ROCPRIM_400000_NS6detail17trampoline_kernelINS0_14default_configENS1_27scan_by_key_config_selectorIssEEZZNS1_16scan_by_key_implILNS1_25lookback_scan_determinismE0ELb1ES3_N6thrust23THRUST_200600_302600_NS6detail15normal_iteratorINS9_10device_ptrIsEEEESE_SE_sNS9_4plusIsEE19head_flag_predicatesEE10hipError_tPvRmT2_T3_T4_T5_mT6_T7_P12ihipStream_tbENKUlT_T0_E_clISt17integral_constantIbLb1EESY_EEDaST_SU_EUlST_E_NS1_11comp_targetILNS1_3genE5ELNS1_11target_archE942ELNS1_3gpuE9ELNS1_3repE0EEENS1_30default_config_static_selectorELNS0_4arch9wavefront6targetE0EEEvT1_.kd
    .uniform_work_group_size: 1
    .uses_dynamic_stack: false
    .vgpr_count:     0
    .vgpr_spill_count: 0
    .wavefront_size: 32
    .workgroup_processor_mode: 1
  - .args:
      - .offset:         0
        .size:           112
        .value_kind:     by_value
    .group_segment_fixed_size: 0
    .kernarg_segment_align: 8
    .kernarg_segment_size: 112
    .language:       OpenCL C
    .language_version:
      - 2
      - 0
    .max_flat_workgroup_size: 256
    .name:           _ZN7rocprim17ROCPRIM_400000_NS6detail17trampoline_kernelINS0_14default_configENS1_27scan_by_key_config_selectorIssEEZZNS1_16scan_by_key_implILNS1_25lookback_scan_determinismE0ELb1ES3_N6thrust23THRUST_200600_302600_NS6detail15normal_iteratorINS9_10device_ptrIsEEEESE_SE_sNS9_4plusIsEE19head_flag_predicatesEE10hipError_tPvRmT2_T3_T4_T5_mT6_T7_P12ihipStream_tbENKUlT_T0_E_clISt17integral_constantIbLb1EESY_EEDaST_SU_EUlST_E_NS1_11comp_targetILNS1_3genE4ELNS1_11target_archE910ELNS1_3gpuE8ELNS1_3repE0EEENS1_30default_config_static_selectorELNS0_4arch9wavefront6targetE0EEEvT1_
    .private_segment_fixed_size: 0
    .sgpr_count:     0
    .sgpr_spill_count: 0
    .symbol:         _ZN7rocprim17ROCPRIM_400000_NS6detail17trampoline_kernelINS0_14default_configENS1_27scan_by_key_config_selectorIssEEZZNS1_16scan_by_key_implILNS1_25lookback_scan_determinismE0ELb1ES3_N6thrust23THRUST_200600_302600_NS6detail15normal_iteratorINS9_10device_ptrIsEEEESE_SE_sNS9_4plusIsEE19head_flag_predicatesEE10hipError_tPvRmT2_T3_T4_T5_mT6_T7_P12ihipStream_tbENKUlT_T0_E_clISt17integral_constantIbLb1EESY_EEDaST_SU_EUlST_E_NS1_11comp_targetILNS1_3genE4ELNS1_11target_archE910ELNS1_3gpuE8ELNS1_3repE0EEENS1_30default_config_static_selectorELNS0_4arch9wavefront6targetE0EEEvT1_.kd
    .uniform_work_group_size: 1
    .uses_dynamic_stack: false
    .vgpr_count:     0
    .vgpr_spill_count: 0
    .wavefront_size: 32
    .workgroup_processor_mode: 1
  - .args:
      - .offset:         0
        .size:           112
        .value_kind:     by_value
    .group_segment_fixed_size: 0
    .kernarg_segment_align: 8
    .kernarg_segment_size: 112
    .language:       OpenCL C
    .language_version:
      - 2
      - 0
    .max_flat_workgroup_size: 256
    .name:           _ZN7rocprim17ROCPRIM_400000_NS6detail17trampoline_kernelINS0_14default_configENS1_27scan_by_key_config_selectorIssEEZZNS1_16scan_by_key_implILNS1_25lookback_scan_determinismE0ELb1ES3_N6thrust23THRUST_200600_302600_NS6detail15normal_iteratorINS9_10device_ptrIsEEEESE_SE_sNS9_4plusIsEE19head_flag_predicatesEE10hipError_tPvRmT2_T3_T4_T5_mT6_T7_P12ihipStream_tbENKUlT_T0_E_clISt17integral_constantIbLb1EESY_EEDaST_SU_EUlST_E_NS1_11comp_targetILNS1_3genE3ELNS1_11target_archE908ELNS1_3gpuE7ELNS1_3repE0EEENS1_30default_config_static_selectorELNS0_4arch9wavefront6targetE0EEEvT1_
    .private_segment_fixed_size: 0
    .sgpr_count:     0
    .sgpr_spill_count: 0
    .symbol:         _ZN7rocprim17ROCPRIM_400000_NS6detail17trampoline_kernelINS0_14default_configENS1_27scan_by_key_config_selectorIssEEZZNS1_16scan_by_key_implILNS1_25lookback_scan_determinismE0ELb1ES3_N6thrust23THRUST_200600_302600_NS6detail15normal_iteratorINS9_10device_ptrIsEEEESE_SE_sNS9_4plusIsEE19head_flag_predicatesEE10hipError_tPvRmT2_T3_T4_T5_mT6_T7_P12ihipStream_tbENKUlT_T0_E_clISt17integral_constantIbLb1EESY_EEDaST_SU_EUlST_E_NS1_11comp_targetILNS1_3genE3ELNS1_11target_archE908ELNS1_3gpuE7ELNS1_3repE0EEENS1_30default_config_static_selectorELNS0_4arch9wavefront6targetE0EEEvT1_.kd
    .uniform_work_group_size: 1
    .uses_dynamic_stack: false
    .vgpr_count:     0
    .vgpr_spill_count: 0
    .wavefront_size: 32
    .workgroup_processor_mode: 1
  - .args:
      - .offset:         0
        .size:           112
        .value_kind:     by_value
    .group_segment_fixed_size: 0
    .kernarg_segment_align: 8
    .kernarg_segment_size: 112
    .language:       OpenCL C
    .language_version:
      - 2
      - 0
    .max_flat_workgroup_size: 64
    .name:           _ZN7rocprim17ROCPRIM_400000_NS6detail17trampoline_kernelINS0_14default_configENS1_27scan_by_key_config_selectorIssEEZZNS1_16scan_by_key_implILNS1_25lookback_scan_determinismE0ELb1ES3_N6thrust23THRUST_200600_302600_NS6detail15normal_iteratorINS9_10device_ptrIsEEEESE_SE_sNS9_4plusIsEE19head_flag_predicatesEE10hipError_tPvRmT2_T3_T4_T5_mT6_T7_P12ihipStream_tbENKUlT_T0_E_clISt17integral_constantIbLb1EESY_EEDaST_SU_EUlST_E_NS1_11comp_targetILNS1_3genE2ELNS1_11target_archE906ELNS1_3gpuE6ELNS1_3repE0EEENS1_30default_config_static_selectorELNS0_4arch9wavefront6targetE0EEEvT1_
    .private_segment_fixed_size: 0
    .sgpr_count:     0
    .sgpr_spill_count: 0
    .symbol:         _ZN7rocprim17ROCPRIM_400000_NS6detail17trampoline_kernelINS0_14default_configENS1_27scan_by_key_config_selectorIssEEZZNS1_16scan_by_key_implILNS1_25lookback_scan_determinismE0ELb1ES3_N6thrust23THRUST_200600_302600_NS6detail15normal_iteratorINS9_10device_ptrIsEEEESE_SE_sNS9_4plusIsEE19head_flag_predicatesEE10hipError_tPvRmT2_T3_T4_T5_mT6_T7_P12ihipStream_tbENKUlT_T0_E_clISt17integral_constantIbLb1EESY_EEDaST_SU_EUlST_E_NS1_11comp_targetILNS1_3genE2ELNS1_11target_archE906ELNS1_3gpuE6ELNS1_3repE0EEENS1_30default_config_static_selectorELNS0_4arch9wavefront6targetE0EEEvT1_.kd
    .uniform_work_group_size: 1
    .uses_dynamic_stack: false
    .vgpr_count:     0
    .vgpr_spill_count: 0
    .wavefront_size: 32
    .workgroup_processor_mode: 1
  - .args:
      - .offset:         0
        .size:           112
        .value_kind:     by_value
    .group_segment_fixed_size: 0
    .kernarg_segment_align: 8
    .kernarg_segment_size: 112
    .language:       OpenCL C
    .language_version:
      - 2
      - 0
    .max_flat_workgroup_size: 256
    .name:           _ZN7rocprim17ROCPRIM_400000_NS6detail17trampoline_kernelINS0_14default_configENS1_27scan_by_key_config_selectorIssEEZZNS1_16scan_by_key_implILNS1_25lookback_scan_determinismE0ELb1ES3_N6thrust23THRUST_200600_302600_NS6detail15normal_iteratorINS9_10device_ptrIsEEEESE_SE_sNS9_4plusIsEE19head_flag_predicatesEE10hipError_tPvRmT2_T3_T4_T5_mT6_T7_P12ihipStream_tbENKUlT_T0_E_clISt17integral_constantIbLb1EESY_EEDaST_SU_EUlST_E_NS1_11comp_targetILNS1_3genE10ELNS1_11target_archE1200ELNS1_3gpuE4ELNS1_3repE0EEENS1_30default_config_static_selectorELNS0_4arch9wavefront6targetE0EEEvT1_
    .private_segment_fixed_size: 0
    .sgpr_count:     0
    .sgpr_spill_count: 0
    .symbol:         _ZN7rocprim17ROCPRIM_400000_NS6detail17trampoline_kernelINS0_14default_configENS1_27scan_by_key_config_selectorIssEEZZNS1_16scan_by_key_implILNS1_25lookback_scan_determinismE0ELb1ES3_N6thrust23THRUST_200600_302600_NS6detail15normal_iteratorINS9_10device_ptrIsEEEESE_SE_sNS9_4plusIsEE19head_flag_predicatesEE10hipError_tPvRmT2_T3_T4_T5_mT6_T7_P12ihipStream_tbENKUlT_T0_E_clISt17integral_constantIbLb1EESY_EEDaST_SU_EUlST_E_NS1_11comp_targetILNS1_3genE10ELNS1_11target_archE1200ELNS1_3gpuE4ELNS1_3repE0EEENS1_30default_config_static_selectorELNS0_4arch9wavefront6targetE0EEEvT1_.kd
    .uniform_work_group_size: 1
    .uses_dynamic_stack: false
    .vgpr_count:     0
    .vgpr_spill_count: 0
    .wavefront_size: 32
    .workgroup_processor_mode: 1
  - .args:
      - .offset:         0
        .size:           112
        .value_kind:     by_value
    .group_segment_fixed_size: 0
    .kernarg_segment_align: 8
    .kernarg_segment_size: 112
    .language:       OpenCL C
    .language_version:
      - 2
      - 0
    .max_flat_workgroup_size: 256
    .name:           _ZN7rocprim17ROCPRIM_400000_NS6detail17trampoline_kernelINS0_14default_configENS1_27scan_by_key_config_selectorIssEEZZNS1_16scan_by_key_implILNS1_25lookback_scan_determinismE0ELb1ES3_N6thrust23THRUST_200600_302600_NS6detail15normal_iteratorINS9_10device_ptrIsEEEESE_SE_sNS9_4plusIsEE19head_flag_predicatesEE10hipError_tPvRmT2_T3_T4_T5_mT6_T7_P12ihipStream_tbENKUlT_T0_E_clISt17integral_constantIbLb1EESY_EEDaST_SU_EUlST_E_NS1_11comp_targetILNS1_3genE9ELNS1_11target_archE1100ELNS1_3gpuE3ELNS1_3repE0EEENS1_30default_config_static_selectorELNS0_4arch9wavefront6targetE0EEEvT1_
    .private_segment_fixed_size: 0
    .sgpr_count:     0
    .sgpr_spill_count: 0
    .symbol:         _ZN7rocprim17ROCPRIM_400000_NS6detail17trampoline_kernelINS0_14default_configENS1_27scan_by_key_config_selectorIssEEZZNS1_16scan_by_key_implILNS1_25lookback_scan_determinismE0ELb1ES3_N6thrust23THRUST_200600_302600_NS6detail15normal_iteratorINS9_10device_ptrIsEEEESE_SE_sNS9_4plusIsEE19head_flag_predicatesEE10hipError_tPvRmT2_T3_T4_T5_mT6_T7_P12ihipStream_tbENKUlT_T0_E_clISt17integral_constantIbLb1EESY_EEDaST_SU_EUlST_E_NS1_11comp_targetILNS1_3genE9ELNS1_11target_archE1100ELNS1_3gpuE3ELNS1_3repE0EEENS1_30default_config_static_selectorELNS0_4arch9wavefront6targetE0EEEvT1_.kd
    .uniform_work_group_size: 1
    .uses_dynamic_stack: false
    .vgpr_count:     0
    .vgpr_spill_count: 0
    .wavefront_size: 32
    .workgroup_processor_mode: 1
  - .args:
      - .offset:         0
        .size:           112
        .value_kind:     by_value
    .group_segment_fixed_size: 0
    .kernarg_segment_align: 8
    .kernarg_segment_size: 112
    .language:       OpenCL C
    .language_version:
      - 2
      - 0
    .max_flat_workgroup_size: 64
    .name:           _ZN7rocprim17ROCPRIM_400000_NS6detail17trampoline_kernelINS0_14default_configENS1_27scan_by_key_config_selectorIssEEZZNS1_16scan_by_key_implILNS1_25lookback_scan_determinismE0ELb1ES3_N6thrust23THRUST_200600_302600_NS6detail15normal_iteratorINS9_10device_ptrIsEEEESE_SE_sNS9_4plusIsEE19head_flag_predicatesEE10hipError_tPvRmT2_T3_T4_T5_mT6_T7_P12ihipStream_tbENKUlT_T0_E_clISt17integral_constantIbLb1EESY_EEDaST_SU_EUlST_E_NS1_11comp_targetILNS1_3genE8ELNS1_11target_archE1030ELNS1_3gpuE2ELNS1_3repE0EEENS1_30default_config_static_selectorELNS0_4arch9wavefront6targetE0EEEvT1_
    .private_segment_fixed_size: 0
    .sgpr_count:     0
    .sgpr_spill_count: 0
    .symbol:         _ZN7rocprim17ROCPRIM_400000_NS6detail17trampoline_kernelINS0_14default_configENS1_27scan_by_key_config_selectorIssEEZZNS1_16scan_by_key_implILNS1_25lookback_scan_determinismE0ELb1ES3_N6thrust23THRUST_200600_302600_NS6detail15normal_iteratorINS9_10device_ptrIsEEEESE_SE_sNS9_4plusIsEE19head_flag_predicatesEE10hipError_tPvRmT2_T3_T4_T5_mT6_T7_P12ihipStream_tbENKUlT_T0_E_clISt17integral_constantIbLb1EESY_EEDaST_SU_EUlST_E_NS1_11comp_targetILNS1_3genE8ELNS1_11target_archE1030ELNS1_3gpuE2ELNS1_3repE0EEENS1_30default_config_static_selectorELNS0_4arch9wavefront6targetE0EEEvT1_.kd
    .uniform_work_group_size: 1
    .uses_dynamic_stack: false
    .vgpr_count:     0
    .vgpr_spill_count: 0
    .wavefront_size: 32
    .workgroup_processor_mode: 1
  - .args:
      - .offset:         0
        .size:           112
        .value_kind:     by_value
    .group_segment_fixed_size: 0
    .kernarg_segment_align: 8
    .kernarg_segment_size: 112
    .language:       OpenCL C
    .language_version:
      - 2
      - 0
    .max_flat_workgroup_size: 256
    .name:           _ZN7rocprim17ROCPRIM_400000_NS6detail17trampoline_kernelINS0_14default_configENS1_27scan_by_key_config_selectorIssEEZZNS1_16scan_by_key_implILNS1_25lookback_scan_determinismE0ELb1ES3_N6thrust23THRUST_200600_302600_NS6detail15normal_iteratorINS9_10device_ptrIsEEEESE_SE_sNS9_4plusIsEE19head_flag_predicatesEE10hipError_tPvRmT2_T3_T4_T5_mT6_T7_P12ihipStream_tbENKUlT_T0_E_clISt17integral_constantIbLb1EESX_IbLb0EEEEDaST_SU_EUlST_E_NS1_11comp_targetILNS1_3genE0ELNS1_11target_archE4294967295ELNS1_3gpuE0ELNS1_3repE0EEENS1_30default_config_static_selectorELNS0_4arch9wavefront6targetE0EEEvT1_
    .private_segment_fixed_size: 0
    .sgpr_count:     0
    .sgpr_spill_count: 0
    .symbol:         _ZN7rocprim17ROCPRIM_400000_NS6detail17trampoline_kernelINS0_14default_configENS1_27scan_by_key_config_selectorIssEEZZNS1_16scan_by_key_implILNS1_25lookback_scan_determinismE0ELb1ES3_N6thrust23THRUST_200600_302600_NS6detail15normal_iteratorINS9_10device_ptrIsEEEESE_SE_sNS9_4plusIsEE19head_flag_predicatesEE10hipError_tPvRmT2_T3_T4_T5_mT6_T7_P12ihipStream_tbENKUlT_T0_E_clISt17integral_constantIbLb1EESX_IbLb0EEEEDaST_SU_EUlST_E_NS1_11comp_targetILNS1_3genE0ELNS1_11target_archE4294967295ELNS1_3gpuE0ELNS1_3repE0EEENS1_30default_config_static_selectorELNS0_4arch9wavefront6targetE0EEEvT1_.kd
    .uniform_work_group_size: 1
    .uses_dynamic_stack: false
    .vgpr_count:     0
    .vgpr_spill_count: 0
    .wavefront_size: 32
    .workgroup_processor_mode: 1
  - .args:
      - .offset:         0
        .size:           112
        .value_kind:     by_value
    .group_segment_fixed_size: 0
    .kernarg_segment_align: 8
    .kernarg_segment_size: 112
    .language:       OpenCL C
    .language_version:
      - 2
      - 0
    .max_flat_workgroup_size: 128
    .name:           _ZN7rocprim17ROCPRIM_400000_NS6detail17trampoline_kernelINS0_14default_configENS1_27scan_by_key_config_selectorIssEEZZNS1_16scan_by_key_implILNS1_25lookback_scan_determinismE0ELb1ES3_N6thrust23THRUST_200600_302600_NS6detail15normal_iteratorINS9_10device_ptrIsEEEESE_SE_sNS9_4plusIsEE19head_flag_predicatesEE10hipError_tPvRmT2_T3_T4_T5_mT6_T7_P12ihipStream_tbENKUlT_T0_E_clISt17integral_constantIbLb1EESX_IbLb0EEEEDaST_SU_EUlST_E_NS1_11comp_targetILNS1_3genE10ELNS1_11target_archE1201ELNS1_3gpuE5ELNS1_3repE0EEENS1_30default_config_static_selectorELNS0_4arch9wavefront6targetE0EEEvT1_
    .private_segment_fixed_size: 0
    .sgpr_count:     0
    .sgpr_spill_count: 0
    .symbol:         _ZN7rocprim17ROCPRIM_400000_NS6detail17trampoline_kernelINS0_14default_configENS1_27scan_by_key_config_selectorIssEEZZNS1_16scan_by_key_implILNS1_25lookback_scan_determinismE0ELb1ES3_N6thrust23THRUST_200600_302600_NS6detail15normal_iteratorINS9_10device_ptrIsEEEESE_SE_sNS9_4plusIsEE19head_flag_predicatesEE10hipError_tPvRmT2_T3_T4_T5_mT6_T7_P12ihipStream_tbENKUlT_T0_E_clISt17integral_constantIbLb1EESX_IbLb0EEEEDaST_SU_EUlST_E_NS1_11comp_targetILNS1_3genE10ELNS1_11target_archE1201ELNS1_3gpuE5ELNS1_3repE0EEENS1_30default_config_static_selectorELNS0_4arch9wavefront6targetE0EEEvT1_.kd
    .uniform_work_group_size: 1
    .uses_dynamic_stack: false
    .vgpr_count:     0
    .vgpr_spill_count: 0
    .wavefront_size: 32
    .workgroup_processor_mode: 1
  - .args:
      - .offset:         0
        .size:           112
        .value_kind:     by_value
    .group_segment_fixed_size: 0
    .kernarg_segment_align: 8
    .kernarg_segment_size: 112
    .language:       OpenCL C
    .language_version:
      - 2
      - 0
    .max_flat_workgroup_size: 256
    .name:           _ZN7rocprim17ROCPRIM_400000_NS6detail17trampoline_kernelINS0_14default_configENS1_27scan_by_key_config_selectorIssEEZZNS1_16scan_by_key_implILNS1_25lookback_scan_determinismE0ELb1ES3_N6thrust23THRUST_200600_302600_NS6detail15normal_iteratorINS9_10device_ptrIsEEEESE_SE_sNS9_4plusIsEE19head_flag_predicatesEE10hipError_tPvRmT2_T3_T4_T5_mT6_T7_P12ihipStream_tbENKUlT_T0_E_clISt17integral_constantIbLb1EESX_IbLb0EEEEDaST_SU_EUlST_E_NS1_11comp_targetILNS1_3genE5ELNS1_11target_archE942ELNS1_3gpuE9ELNS1_3repE0EEENS1_30default_config_static_selectorELNS0_4arch9wavefront6targetE0EEEvT1_
    .private_segment_fixed_size: 0
    .sgpr_count:     0
    .sgpr_spill_count: 0
    .symbol:         _ZN7rocprim17ROCPRIM_400000_NS6detail17trampoline_kernelINS0_14default_configENS1_27scan_by_key_config_selectorIssEEZZNS1_16scan_by_key_implILNS1_25lookback_scan_determinismE0ELb1ES3_N6thrust23THRUST_200600_302600_NS6detail15normal_iteratorINS9_10device_ptrIsEEEESE_SE_sNS9_4plusIsEE19head_flag_predicatesEE10hipError_tPvRmT2_T3_T4_T5_mT6_T7_P12ihipStream_tbENKUlT_T0_E_clISt17integral_constantIbLb1EESX_IbLb0EEEEDaST_SU_EUlST_E_NS1_11comp_targetILNS1_3genE5ELNS1_11target_archE942ELNS1_3gpuE9ELNS1_3repE0EEENS1_30default_config_static_selectorELNS0_4arch9wavefront6targetE0EEEvT1_.kd
    .uniform_work_group_size: 1
    .uses_dynamic_stack: false
    .vgpr_count:     0
    .vgpr_spill_count: 0
    .wavefront_size: 32
    .workgroup_processor_mode: 1
  - .args:
      - .offset:         0
        .size:           112
        .value_kind:     by_value
    .group_segment_fixed_size: 0
    .kernarg_segment_align: 8
    .kernarg_segment_size: 112
    .language:       OpenCL C
    .language_version:
      - 2
      - 0
    .max_flat_workgroup_size: 256
    .name:           _ZN7rocprim17ROCPRIM_400000_NS6detail17trampoline_kernelINS0_14default_configENS1_27scan_by_key_config_selectorIssEEZZNS1_16scan_by_key_implILNS1_25lookback_scan_determinismE0ELb1ES3_N6thrust23THRUST_200600_302600_NS6detail15normal_iteratorINS9_10device_ptrIsEEEESE_SE_sNS9_4plusIsEE19head_flag_predicatesEE10hipError_tPvRmT2_T3_T4_T5_mT6_T7_P12ihipStream_tbENKUlT_T0_E_clISt17integral_constantIbLb1EESX_IbLb0EEEEDaST_SU_EUlST_E_NS1_11comp_targetILNS1_3genE4ELNS1_11target_archE910ELNS1_3gpuE8ELNS1_3repE0EEENS1_30default_config_static_selectorELNS0_4arch9wavefront6targetE0EEEvT1_
    .private_segment_fixed_size: 0
    .sgpr_count:     0
    .sgpr_spill_count: 0
    .symbol:         _ZN7rocprim17ROCPRIM_400000_NS6detail17trampoline_kernelINS0_14default_configENS1_27scan_by_key_config_selectorIssEEZZNS1_16scan_by_key_implILNS1_25lookback_scan_determinismE0ELb1ES3_N6thrust23THRUST_200600_302600_NS6detail15normal_iteratorINS9_10device_ptrIsEEEESE_SE_sNS9_4plusIsEE19head_flag_predicatesEE10hipError_tPvRmT2_T3_T4_T5_mT6_T7_P12ihipStream_tbENKUlT_T0_E_clISt17integral_constantIbLb1EESX_IbLb0EEEEDaST_SU_EUlST_E_NS1_11comp_targetILNS1_3genE4ELNS1_11target_archE910ELNS1_3gpuE8ELNS1_3repE0EEENS1_30default_config_static_selectorELNS0_4arch9wavefront6targetE0EEEvT1_.kd
    .uniform_work_group_size: 1
    .uses_dynamic_stack: false
    .vgpr_count:     0
    .vgpr_spill_count: 0
    .wavefront_size: 32
    .workgroup_processor_mode: 1
  - .args:
      - .offset:         0
        .size:           112
        .value_kind:     by_value
    .group_segment_fixed_size: 0
    .kernarg_segment_align: 8
    .kernarg_segment_size: 112
    .language:       OpenCL C
    .language_version:
      - 2
      - 0
    .max_flat_workgroup_size: 256
    .name:           _ZN7rocprim17ROCPRIM_400000_NS6detail17trampoline_kernelINS0_14default_configENS1_27scan_by_key_config_selectorIssEEZZNS1_16scan_by_key_implILNS1_25lookback_scan_determinismE0ELb1ES3_N6thrust23THRUST_200600_302600_NS6detail15normal_iteratorINS9_10device_ptrIsEEEESE_SE_sNS9_4plusIsEE19head_flag_predicatesEE10hipError_tPvRmT2_T3_T4_T5_mT6_T7_P12ihipStream_tbENKUlT_T0_E_clISt17integral_constantIbLb1EESX_IbLb0EEEEDaST_SU_EUlST_E_NS1_11comp_targetILNS1_3genE3ELNS1_11target_archE908ELNS1_3gpuE7ELNS1_3repE0EEENS1_30default_config_static_selectorELNS0_4arch9wavefront6targetE0EEEvT1_
    .private_segment_fixed_size: 0
    .sgpr_count:     0
    .sgpr_spill_count: 0
    .symbol:         _ZN7rocprim17ROCPRIM_400000_NS6detail17trampoline_kernelINS0_14default_configENS1_27scan_by_key_config_selectorIssEEZZNS1_16scan_by_key_implILNS1_25lookback_scan_determinismE0ELb1ES3_N6thrust23THRUST_200600_302600_NS6detail15normal_iteratorINS9_10device_ptrIsEEEESE_SE_sNS9_4plusIsEE19head_flag_predicatesEE10hipError_tPvRmT2_T3_T4_T5_mT6_T7_P12ihipStream_tbENKUlT_T0_E_clISt17integral_constantIbLb1EESX_IbLb0EEEEDaST_SU_EUlST_E_NS1_11comp_targetILNS1_3genE3ELNS1_11target_archE908ELNS1_3gpuE7ELNS1_3repE0EEENS1_30default_config_static_selectorELNS0_4arch9wavefront6targetE0EEEvT1_.kd
    .uniform_work_group_size: 1
    .uses_dynamic_stack: false
    .vgpr_count:     0
    .vgpr_spill_count: 0
    .wavefront_size: 32
    .workgroup_processor_mode: 1
  - .args:
      - .offset:         0
        .size:           112
        .value_kind:     by_value
    .group_segment_fixed_size: 0
    .kernarg_segment_align: 8
    .kernarg_segment_size: 112
    .language:       OpenCL C
    .language_version:
      - 2
      - 0
    .max_flat_workgroup_size: 64
    .name:           _ZN7rocprim17ROCPRIM_400000_NS6detail17trampoline_kernelINS0_14default_configENS1_27scan_by_key_config_selectorIssEEZZNS1_16scan_by_key_implILNS1_25lookback_scan_determinismE0ELb1ES3_N6thrust23THRUST_200600_302600_NS6detail15normal_iteratorINS9_10device_ptrIsEEEESE_SE_sNS9_4plusIsEE19head_flag_predicatesEE10hipError_tPvRmT2_T3_T4_T5_mT6_T7_P12ihipStream_tbENKUlT_T0_E_clISt17integral_constantIbLb1EESX_IbLb0EEEEDaST_SU_EUlST_E_NS1_11comp_targetILNS1_3genE2ELNS1_11target_archE906ELNS1_3gpuE6ELNS1_3repE0EEENS1_30default_config_static_selectorELNS0_4arch9wavefront6targetE0EEEvT1_
    .private_segment_fixed_size: 0
    .sgpr_count:     0
    .sgpr_spill_count: 0
    .symbol:         _ZN7rocprim17ROCPRIM_400000_NS6detail17trampoline_kernelINS0_14default_configENS1_27scan_by_key_config_selectorIssEEZZNS1_16scan_by_key_implILNS1_25lookback_scan_determinismE0ELb1ES3_N6thrust23THRUST_200600_302600_NS6detail15normal_iteratorINS9_10device_ptrIsEEEESE_SE_sNS9_4plusIsEE19head_flag_predicatesEE10hipError_tPvRmT2_T3_T4_T5_mT6_T7_P12ihipStream_tbENKUlT_T0_E_clISt17integral_constantIbLb1EESX_IbLb0EEEEDaST_SU_EUlST_E_NS1_11comp_targetILNS1_3genE2ELNS1_11target_archE906ELNS1_3gpuE6ELNS1_3repE0EEENS1_30default_config_static_selectorELNS0_4arch9wavefront6targetE0EEEvT1_.kd
    .uniform_work_group_size: 1
    .uses_dynamic_stack: false
    .vgpr_count:     0
    .vgpr_spill_count: 0
    .wavefront_size: 32
    .workgroup_processor_mode: 1
  - .args:
      - .offset:         0
        .size:           112
        .value_kind:     by_value
    .group_segment_fixed_size: 0
    .kernarg_segment_align: 8
    .kernarg_segment_size: 112
    .language:       OpenCL C
    .language_version:
      - 2
      - 0
    .max_flat_workgroup_size: 256
    .name:           _ZN7rocprim17ROCPRIM_400000_NS6detail17trampoline_kernelINS0_14default_configENS1_27scan_by_key_config_selectorIssEEZZNS1_16scan_by_key_implILNS1_25lookback_scan_determinismE0ELb1ES3_N6thrust23THRUST_200600_302600_NS6detail15normal_iteratorINS9_10device_ptrIsEEEESE_SE_sNS9_4plusIsEE19head_flag_predicatesEE10hipError_tPvRmT2_T3_T4_T5_mT6_T7_P12ihipStream_tbENKUlT_T0_E_clISt17integral_constantIbLb1EESX_IbLb0EEEEDaST_SU_EUlST_E_NS1_11comp_targetILNS1_3genE10ELNS1_11target_archE1200ELNS1_3gpuE4ELNS1_3repE0EEENS1_30default_config_static_selectorELNS0_4arch9wavefront6targetE0EEEvT1_
    .private_segment_fixed_size: 0
    .sgpr_count:     0
    .sgpr_spill_count: 0
    .symbol:         _ZN7rocprim17ROCPRIM_400000_NS6detail17trampoline_kernelINS0_14default_configENS1_27scan_by_key_config_selectorIssEEZZNS1_16scan_by_key_implILNS1_25lookback_scan_determinismE0ELb1ES3_N6thrust23THRUST_200600_302600_NS6detail15normal_iteratorINS9_10device_ptrIsEEEESE_SE_sNS9_4plusIsEE19head_flag_predicatesEE10hipError_tPvRmT2_T3_T4_T5_mT6_T7_P12ihipStream_tbENKUlT_T0_E_clISt17integral_constantIbLb1EESX_IbLb0EEEEDaST_SU_EUlST_E_NS1_11comp_targetILNS1_3genE10ELNS1_11target_archE1200ELNS1_3gpuE4ELNS1_3repE0EEENS1_30default_config_static_selectorELNS0_4arch9wavefront6targetE0EEEvT1_.kd
    .uniform_work_group_size: 1
    .uses_dynamic_stack: false
    .vgpr_count:     0
    .vgpr_spill_count: 0
    .wavefront_size: 32
    .workgroup_processor_mode: 1
  - .args:
      - .offset:         0
        .size:           112
        .value_kind:     by_value
    .group_segment_fixed_size: 0
    .kernarg_segment_align: 8
    .kernarg_segment_size: 112
    .language:       OpenCL C
    .language_version:
      - 2
      - 0
    .max_flat_workgroup_size: 256
    .name:           _ZN7rocprim17ROCPRIM_400000_NS6detail17trampoline_kernelINS0_14default_configENS1_27scan_by_key_config_selectorIssEEZZNS1_16scan_by_key_implILNS1_25lookback_scan_determinismE0ELb1ES3_N6thrust23THRUST_200600_302600_NS6detail15normal_iteratorINS9_10device_ptrIsEEEESE_SE_sNS9_4plusIsEE19head_flag_predicatesEE10hipError_tPvRmT2_T3_T4_T5_mT6_T7_P12ihipStream_tbENKUlT_T0_E_clISt17integral_constantIbLb1EESX_IbLb0EEEEDaST_SU_EUlST_E_NS1_11comp_targetILNS1_3genE9ELNS1_11target_archE1100ELNS1_3gpuE3ELNS1_3repE0EEENS1_30default_config_static_selectorELNS0_4arch9wavefront6targetE0EEEvT1_
    .private_segment_fixed_size: 0
    .sgpr_count:     0
    .sgpr_spill_count: 0
    .symbol:         _ZN7rocprim17ROCPRIM_400000_NS6detail17trampoline_kernelINS0_14default_configENS1_27scan_by_key_config_selectorIssEEZZNS1_16scan_by_key_implILNS1_25lookback_scan_determinismE0ELb1ES3_N6thrust23THRUST_200600_302600_NS6detail15normal_iteratorINS9_10device_ptrIsEEEESE_SE_sNS9_4plusIsEE19head_flag_predicatesEE10hipError_tPvRmT2_T3_T4_T5_mT6_T7_P12ihipStream_tbENKUlT_T0_E_clISt17integral_constantIbLb1EESX_IbLb0EEEEDaST_SU_EUlST_E_NS1_11comp_targetILNS1_3genE9ELNS1_11target_archE1100ELNS1_3gpuE3ELNS1_3repE0EEENS1_30default_config_static_selectorELNS0_4arch9wavefront6targetE0EEEvT1_.kd
    .uniform_work_group_size: 1
    .uses_dynamic_stack: false
    .vgpr_count:     0
    .vgpr_spill_count: 0
    .wavefront_size: 32
    .workgroup_processor_mode: 1
  - .args:
      - .offset:         0
        .size:           112
        .value_kind:     by_value
    .group_segment_fixed_size: 0
    .kernarg_segment_align: 8
    .kernarg_segment_size: 112
    .language:       OpenCL C
    .language_version:
      - 2
      - 0
    .max_flat_workgroup_size: 64
    .name:           _ZN7rocprim17ROCPRIM_400000_NS6detail17trampoline_kernelINS0_14default_configENS1_27scan_by_key_config_selectorIssEEZZNS1_16scan_by_key_implILNS1_25lookback_scan_determinismE0ELb1ES3_N6thrust23THRUST_200600_302600_NS6detail15normal_iteratorINS9_10device_ptrIsEEEESE_SE_sNS9_4plusIsEE19head_flag_predicatesEE10hipError_tPvRmT2_T3_T4_T5_mT6_T7_P12ihipStream_tbENKUlT_T0_E_clISt17integral_constantIbLb1EESX_IbLb0EEEEDaST_SU_EUlST_E_NS1_11comp_targetILNS1_3genE8ELNS1_11target_archE1030ELNS1_3gpuE2ELNS1_3repE0EEENS1_30default_config_static_selectorELNS0_4arch9wavefront6targetE0EEEvT1_
    .private_segment_fixed_size: 0
    .sgpr_count:     0
    .sgpr_spill_count: 0
    .symbol:         _ZN7rocprim17ROCPRIM_400000_NS6detail17trampoline_kernelINS0_14default_configENS1_27scan_by_key_config_selectorIssEEZZNS1_16scan_by_key_implILNS1_25lookback_scan_determinismE0ELb1ES3_N6thrust23THRUST_200600_302600_NS6detail15normal_iteratorINS9_10device_ptrIsEEEESE_SE_sNS9_4plusIsEE19head_flag_predicatesEE10hipError_tPvRmT2_T3_T4_T5_mT6_T7_P12ihipStream_tbENKUlT_T0_E_clISt17integral_constantIbLb1EESX_IbLb0EEEEDaST_SU_EUlST_E_NS1_11comp_targetILNS1_3genE8ELNS1_11target_archE1030ELNS1_3gpuE2ELNS1_3repE0EEENS1_30default_config_static_selectorELNS0_4arch9wavefront6targetE0EEEvT1_.kd
    .uniform_work_group_size: 1
    .uses_dynamic_stack: false
    .vgpr_count:     0
    .vgpr_spill_count: 0
    .wavefront_size: 32
    .workgroup_processor_mode: 1
  - .args:
      - .offset:         0
        .size:           112
        .value_kind:     by_value
    .group_segment_fixed_size: 0
    .kernarg_segment_align: 8
    .kernarg_segment_size: 112
    .language:       OpenCL C
    .language_version:
      - 2
      - 0
    .max_flat_workgroup_size: 256
    .name:           _ZN7rocprim17ROCPRIM_400000_NS6detail17trampoline_kernelINS0_14default_configENS1_27scan_by_key_config_selectorIssEEZZNS1_16scan_by_key_implILNS1_25lookback_scan_determinismE0ELb1ES3_N6thrust23THRUST_200600_302600_NS6detail15normal_iteratorINS9_10device_ptrIsEEEESE_SE_sNS9_4plusIsEE19head_flag_predicatesEE10hipError_tPvRmT2_T3_T4_T5_mT6_T7_P12ihipStream_tbENKUlT_T0_E_clISt17integral_constantIbLb0EESX_IbLb1EEEEDaST_SU_EUlST_E_NS1_11comp_targetILNS1_3genE0ELNS1_11target_archE4294967295ELNS1_3gpuE0ELNS1_3repE0EEENS1_30default_config_static_selectorELNS0_4arch9wavefront6targetE0EEEvT1_
    .private_segment_fixed_size: 0
    .sgpr_count:     0
    .sgpr_spill_count: 0
    .symbol:         _ZN7rocprim17ROCPRIM_400000_NS6detail17trampoline_kernelINS0_14default_configENS1_27scan_by_key_config_selectorIssEEZZNS1_16scan_by_key_implILNS1_25lookback_scan_determinismE0ELb1ES3_N6thrust23THRUST_200600_302600_NS6detail15normal_iteratorINS9_10device_ptrIsEEEESE_SE_sNS9_4plusIsEE19head_flag_predicatesEE10hipError_tPvRmT2_T3_T4_T5_mT6_T7_P12ihipStream_tbENKUlT_T0_E_clISt17integral_constantIbLb0EESX_IbLb1EEEEDaST_SU_EUlST_E_NS1_11comp_targetILNS1_3genE0ELNS1_11target_archE4294967295ELNS1_3gpuE0ELNS1_3repE0EEENS1_30default_config_static_selectorELNS0_4arch9wavefront6targetE0EEEvT1_.kd
    .uniform_work_group_size: 1
    .uses_dynamic_stack: false
    .vgpr_count:     0
    .vgpr_spill_count: 0
    .wavefront_size: 32
    .workgroup_processor_mode: 1
  - .args:
      - .offset:         0
        .size:           112
        .value_kind:     by_value
    .group_segment_fixed_size: 0
    .kernarg_segment_align: 8
    .kernarg_segment_size: 112
    .language:       OpenCL C
    .language_version:
      - 2
      - 0
    .max_flat_workgroup_size: 128
    .name:           _ZN7rocprim17ROCPRIM_400000_NS6detail17trampoline_kernelINS0_14default_configENS1_27scan_by_key_config_selectorIssEEZZNS1_16scan_by_key_implILNS1_25lookback_scan_determinismE0ELb1ES3_N6thrust23THRUST_200600_302600_NS6detail15normal_iteratorINS9_10device_ptrIsEEEESE_SE_sNS9_4plusIsEE19head_flag_predicatesEE10hipError_tPvRmT2_T3_T4_T5_mT6_T7_P12ihipStream_tbENKUlT_T0_E_clISt17integral_constantIbLb0EESX_IbLb1EEEEDaST_SU_EUlST_E_NS1_11comp_targetILNS1_3genE10ELNS1_11target_archE1201ELNS1_3gpuE5ELNS1_3repE0EEENS1_30default_config_static_selectorELNS0_4arch9wavefront6targetE0EEEvT1_
    .private_segment_fixed_size: 0
    .sgpr_count:     0
    .sgpr_spill_count: 0
    .symbol:         _ZN7rocprim17ROCPRIM_400000_NS6detail17trampoline_kernelINS0_14default_configENS1_27scan_by_key_config_selectorIssEEZZNS1_16scan_by_key_implILNS1_25lookback_scan_determinismE0ELb1ES3_N6thrust23THRUST_200600_302600_NS6detail15normal_iteratorINS9_10device_ptrIsEEEESE_SE_sNS9_4plusIsEE19head_flag_predicatesEE10hipError_tPvRmT2_T3_T4_T5_mT6_T7_P12ihipStream_tbENKUlT_T0_E_clISt17integral_constantIbLb0EESX_IbLb1EEEEDaST_SU_EUlST_E_NS1_11comp_targetILNS1_3genE10ELNS1_11target_archE1201ELNS1_3gpuE5ELNS1_3repE0EEENS1_30default_config_static_selectorELNS0_4arch9wavefront6targetE0EEEvT1_.kd
    .uniform_work_group_size: 1
    .uses_dynamic_stack: false
    .vgpr_count:     0
    .vgpr_spill_count: 0
    .wavefront_size: 32
    .workgroup_processor_mode: 1
  - .args:
      - .offset:         0
        .size:           112
        .value_kind:     by_value
    .group_segment_fixed_size: 0
    .kernarg_segment_align: 8
    .kernarg_segment_size: 112
    .language:       OpenCL C
    .language_version:
      - 2
      - 0
    .max_flat_workgroup_size: 256
    .name:           _ZN7rocprim17ROCPRIM_400000_NS6detail17trampoline_kernelINS0_14default_configENS1_27scan_by_key_config_selectorIssEEZZNS1_16scan_by_key_implILNS1_25lookback_scan_determinismE0ELb1ES3_N6thrust23THRUST_200600_302600_NS6detail15normal_iteratorINS9_10device_ptrIsEEEESE_SE_sNS9_4plusIsEE19head_flag_predicatesEE10hipError_tPvRmT2_T3_T4_T5_mT6_T7_P12ihipStream_tbENKUlT_T0_E_clISt17integral_constantIbLb0EESX_IbLb1EEEEDaST_SU_EUlST_E_NS1_11comp_targetILNS1_3genE5ELNS1_11target_archE942ELNS1_3gpuE9ELNS1_3repE0EEENS1_30default_config_static_selectorELNS0_4arch9wavefront6targetE0EEEvT1_
    .private_segment_fixed_size: 0
    .sgpr_count:     0
    .sgpr_spill_count: 0
    .symbol:         _ZN7rocprim17ROCPRIM_400000_NS6detail17trampoline_kernelINS0_14default_configENS1_27scan_by_key_config_selectorIssEEZZNS1_16scan_by_key_implILNS1_25lookback_scan_determinismE0ELb1ES3_N6thrust23THRUST_200600_302600_NS6detail15normal_iteratorINS9_10device_ptrIsEEEESE_SE_sNS9_4plusIsEE19head_flag_predicatesEE10hipError_tPvRmT2_T3_T4_T5_mT6_T7_P12ihipStream_tbENKUlT_T0_E_clISt17integral_constantIbLb0EESX_IbLb1EEEEDaST_SU_EUlST_E_NS1_11comp_targetILNS1_3genE5ELNS1_11target_archE942ELNS1_3gpuE9ELNS1_3repE0EEENS1_30default_config_static_selectorELNS0_4arch9wavefront6targetE0EEEvT1_.kd
    .uniform_work_group_size: 1
    .uses_dynamic_stack: false
    .vgpr_count:     0
    .vgpr_spill_count: 0
    .wavefront_size: 32
    .workgroup_processor_mode: 1
  - .args:
      - .offset:         0
        .size:           112
        .value_kind:     by_value
    .group_segment_fixed_size: 0
    .kernarg_segment_align: 8
    .kernarg_segment_size: 112
    .language:       OpenCL C
    .language_version:
      - 2
      - 0
    .max_flat_workgroup_size: 256
    .name:           _ZN7rocprim17ROCPRIM_400000_NS6detail17trampoline_kernelINS0_14default_configENS1_27scan_by_key_config_selectorIssEEZZNS1_16scan_by_key_implILNS1_25lookback_scan_determinismE0ELb1ES3_N6thrust23THRUST_200600_302600_NS6detail15normal_iteratorINS9_10device_ptrIsEEEESE_SE_sNS9_4plusIsEE19head_flag_predicatesEE10hipError_tPvRmT2_T3_T4_T5_mT6_T7_P12ihipStream_tbENKUlT_T0_E_clISt17integral_constantIbLb0EESX_IbLb1EEEEDaST_SU_EUlST_E_NS1_11comp_targetILNS1_3genE4ELNS1_11target_archE910ELNS1_3gpuE8ELNS1_3repE0EEENS1_30default_config_static_selectorELNS0_4arch9wavefront6targetE0EEEvT1_
    .private_segment_fixed_size: 0
    .sgpr_count:     0
    .sgpr_spill_count: 0
    .symbol:         _ZN7rocprim17ROCPRIM_400000_NS6detail17trampoline_kernelINS0_14default_configENS1_27scan_by_key_config_selectorIssEEZZNS1_16scan_by_key_implILNS1_25lookback_scan_determinismE0ELb1ES3_N6thrust23THRUST_200600_302600_NS6detail15normal_iteratorINS9_10device_ptrIsEEEESE_SE_sNS9_4plusIsEE19head_flag_predicatesEE10hipError_tPvRmT2_T3_T4_T5_mT6_T7_P12ihipStream_tbENKUlT_T0_E_clISt17integral_constantIbLb0EESX_IbLb1EEEEDaST_SU_EUlST_E_NS1_11comp_targetILNS1_3genE4ELNS1_11target_archE910ELNS1_3gpuE8ELNS1_3repE0EEENS1_30default_config_static_selectorELNS0_4arch9wavefront6targetE0EEEvT1_.kd
    .uniform_work_group_size: 1
    .uses_dynamic_stack: false
    .vgpr_count:     0
    .vgpr_spill_count: 0
    .wavefront_size: 32
    .workgroup_processor_mode: 1
  - .args:
      - .offset:         0
        .size:           112
        .value_kind:     by_value
    .group_segment_fixed_size: 0
    .kernarg_segment_align: 8
    .kernarg_segment_size: 112
    .language:       OpenCL C
    .language_version:
      - 2
      - 0
    .max_flat_workgroup_size: 256
    .name:           _ZN7rocprim17ROCPRIM_400000_NS6detail17trampoline_kernelINS0_14default_configENS1_27scan_by_key_config_selectorIssEEZZNS1_16scan_by_key_implILNS1_25lookback_scan_determinismE0ELb1ES3_N6thrust23THRUST_200600_302600_NS6detail15normal_iteratorINS9_10device_ptrIsEEEESE_SE_sNS9_4plusIsEE19head_flag_predicatesEE10hipError_tPvRmT2_T3_T4_T5_mT6_T7_P12ihipStream_tbENKUlT_T0_E_clISt17integral_constantIbLb0EESX_IbLb1EEEEDaST_SU_EUlST_E_NS1_11comp_targetILNS1_3genE3ELNS1_11target_archE908ELNS1_3gpuE7ELNS1_3repE0EEENS1_30default_config_static_selectorELNS0_4arch9wavefront6targetE0EEEvT1_
    .private_segment_fixed_size: 0
    .sgpr_count:     0
    .sgpr_spill_count: 0
    .symbol:         _ZN7rocprim17ROCPRIM_400000_NS6detail17trampoline_kernelINS0_14default_configENS1_27scan_by_key_config_selectorIssEEZZNS1_16scan_by_key_implILNS1_25lookback_scan_determinismE0ELb1ES3_N6thrust23THRUST_200600_302600_NS6detail15normal_iteratorINS9_10device_ptrIsEEEESE_SE_sNS9_4plusIsEE19head_flag_predicatesEE10hipError_tPvRmT2_T3_T4_T5_mT6_T7_P12ihipStream_tbENKUlT_T0_E_clISt17integral_constantIbLb0EESX_IbLb1EEEEDaST_SU_EUlST_E_NS1_11comp_targetILNS1_3genE3ELNS1_11target_archE908ELNS1_3gpuE7ELNS1_3repE0EEENS1_30default_config_static_selectorELNS0_4arch9wavefront6targetE0EEEvT1_.kd
    .uniform_work_group_size: 1
    .uses_dynamic_stack: false
    .vgpr_count:     0
    .vgpr_spill_count: 0
    .wavefront_size: 32
    .workgroup_processor_mode: 1
  - .args:
      - .offset:         0
        .size:           112
        .value_kind:     by_value
    .group_segment_fixed_size: 0
    .kernarg_segment_align: 8
    .kernarg_segment_size: 112
    .language:       OpenCL C
    .language_version:
      - 2
      - 0
    .max_flat_workgroup_size: 64
    .name:           _ZN7rocprim17ROCPRIM_400000_NS6detail17trampoline_kernelINS0_14default_configENS1_27scan_by_key_config_selectorIssEEZZNS1_16scan_by_key_implILNS1_25lookback_scan_determinismE0ELb1ES3_N6thrust23THRUST_200600_302600_NS6detail15normal_iteratorINS9_10device_ptrIsEEEESE_SE_sNS9_4plusIsEE19head_flag_predicatesEE10hipError_tPvRmT2_T3_T4_T5_mT6_T7_P12ihipStream_tbENKUlT_T0_E_clISt17integral_constantIbLb0EESX_IbLb1EEEEDaST_SU_EUlST_E_NS1_11comp_targetILNS1_3genE2ELNS1_11target_archE906ELNS1_3gpuE6ELNS1_3repE0EEENS1_30default_config_static_selectorELNS0_4arch9wavefront6targetE0EEEvT1_
    .private_segment_fixed_size: 0
    .sgpr_count:     0
    .sgpr_spill_count: 0
    .symbol:         _ZN7rocprim17ROCPRIM_400000_NS6detail17trampoline_kernelINS0_14default_configENS1_27scan_by_key_config_selectorIssEEZZNS1_16scan_by_key_implILNS1_25lookback_scan_determinismE0ELb1ES3_N6thrust23THRUST_200600_302600_NS6detail15normal_iteratorINS9_10device_ptrIsEEEESE_SE_sNS9_4plusIsEE19head_flag_predicatesEE10hipError_tPvRmT2_T3_T4_T5_mT6_T7_P12ihipStream_tbENKUlT_T0_E_clISt17integral_constantIbLb0EESX_IbLb1EEEEDaST_SU_EUlST_E_NS1_11comp_targetILNS1_3genE2ELNS1_11target_archE906ELNS1_3gpuE6ELNS1_3repE0EEENS1_30default_config_static_selectorELNS0_4arch9wavefront6targetE0EEEvT1_.kd
    .uniform_work_group_size: 1
    .uses_dynamic_stack: false
    .vgpr_count:     0
    .vgpr_spill_count: 0
    .wavefront_size: 32
    .workgroup_processor_mode: 1
  - .args:
      - .offset:         0
        .size:           112
        .value_kind:     by_value
    .group_segment_fixed_size: 0
    .kernarg_segment_align: 8
    .kernarg_segment_size: 112
    .language:       OpenCL C
    .language_version:
      - 2
      - 0
    .max_flat_workgroup_size: 256
    .name:           _ZN7rocprim17ROCPRIM_400000_NS6detail17trampoline_kernelINS0_14default_configENS1_27scan_by_key_config_selectorIssEEZZNS1_16scan_by_key_implILNS1_25lookback_scan_determinismE0ELb1ES3_N6thrust23THRUST_200600_302600_NS6detail15normal_iteratorINS9_10device_ptrIsEEEESE_SE_sNS9_4plusIsEE19head_flag_predicatesEE10hipError_tPvRmT2_T3_T4_T5_mT6_T7_P12ihipStream_tbENKUlT_T0_E_clISt17integral_constantIbLb0EESX_IbLb1EEEEDaST_SU_EUlST_E_NS1_11comp_targetILNS1_3genE10ELNS1_11target_archE1200ELNS1_3gpuE4ELNS1_3repE0EEENS1_30default_config_static_selectorELNS0_4arch9wavefront6targetE0EEEvT1_
    .private_segment_fixed_size: 0
    .sgpr_count:     0
    .sgpr_spill_count: 0
    .symbol:         _ZN7rocprim17ROCPRIM_400000_NS6detail17trampoline_kernelINS0_14default_configENS1_27scan_by_key_config_selectorIssEEZZNS1_16scan_by_key_implILNS1_25lookback_scan_determinismE0ELb1ES3_N6thrust23THRUST_200600_302600_NS6detail15normal_iteratorINS9_10device_ptrIsEEEESE_SE_sNS9_4plusIsEE19head_flag_predicatesEE10hipError_tPvRmT2_T3_T4_T5_mT6_T7_P12ihipStream_tbENKUlT_T0_E_clISt17integral_constantIbLb0EESX_IbLb1EEEEDaST_SU_EUlST_E_NS1_11comp_targetILNS1_3genE10ELNS1_11target_archE1200ELNS1_3gpuE4ELNS1_3repE0EEENS1_30default_config_static_selectorELNS0_4arch9wavefront6targetE0EEEvT1_.kd
    .uniform_work_group_size: 1
    .uses_dynamic_stack: false
    .vgpr_count:     0
    .vgpr_spill_count: 0
    .wavefront_size: 32
    .workgroup_processor_mode: 1
  - .args:
      - .offset:         0
        .size:           112
        .value_kind:     by_value
    .group_segment_fixed_size: 0
    .kernarg_segment_align: 8
    .kernarg_segment_size: 112
    .language:       OpenCL C
    .language_version:
      - 2
      - 0
    .max_flat_workgroup_size: 256
    .name:           _ZN7rocprim17ROCPRIM_400000_NS6detail17trampoline_kernelINS0_14default_configENS1_27scan_by_key_config_selectorIssEEZZNS1_16scan_by_key_implILNS1_25lookback_scan_determinismE0ELb1ES3_N6thrust23THRUST_200600_302600_NS6detail15normal_iteratorINS9_10device_ptrIsEEEESE_SE_sNS9_4plusIsEE19head_flag_predicatesEE10hipError_tPvRmT2_T3_T4_T5_mT6_T7_P12ihipStream_tbENKUlT_T0_E_clISt17integral_constantIbLb0EESX_IbLb1EEEEDaST_SU_EUlST_E_NS1_11comp_targetILNS1_3genE9ELNS1_11target_archE1100ELNS1_3gpuE3ELNS1_3repE0EEENS1_30default_config_static_selectorELNS0_4arch9wavefront6targetE0EEEvT1_
    .private_segment_fixed_size: 0
    .sgpr_count:     0
    .sgpr_spill_count: 0
    .symbol:         _ZN7rocprim17ROCPRIM_400000_NS6detail17trampoline_kernelINS0_14default_configENS1_27scan_by_key_config_selectorIssEEZZNS1_16scan_by_key_implILNS1_25lookback_scan_determinismE0ELb1ES3_N6thrust23THRUST_200600_302600_NS6detail15normal_iteratorINS9_10device_ptrIsEEEESE_SE_sNS9_4plusIsEE19head_flag_predicatesEE10hipError_tPvRmT2_T3_T4_T5_mT6_T7_P12ihipStream_tbENKUlT_T0_E_clISt17integral_constantIbLb0EESX_IbLb1EEEEDaST_SU_EUlST_E_NS1_11comp_targetILNS1_3genE9ELNS1_11target_archE1100ELNS1_3gpuE3ELNS1_3repE0EEENS1_30default_config_static_selectorELNS0_4arch9wavefront6targetE0EEEvT1_.kd
    .uniform_work_group_size: 1
    .uses_dynamic_stack: false
    .vgpr_count:     0
    .vgpr_spill_count: 0
    .wavefront_size: 32
    .workgroup_processor_mode: 1
  - .args:
      - .offset:         0
        .size:           112
        .value_kind:     by_value
    .group_segment_fixed_size: 1536
    .kernarg_segment_align: 8
    .kernarg_segment_size: 112
    .language:       OpenCL C
    .language_version:
      - 2
      - 0
    .max_flat_workgroup_size: 64
    .name:           _ZN7rocprim17ROCPRIM_400000_NS6detail17trampoline_kernelINS0_14default_configENS1_27scan_by_key_config_selectorIssEEZZNS1_16scan_by_key_implILNS1_25lookback_scan_determinismE0ELb1ES3_N6thrust23THRUST_200600_302600_NS6detail15normal_iteratorINS9_10device_ptrIsEEEESE_SE_sNS9_4plusIsEE19head_flag_predicatesEE10hipError_tPvRmT2_T3_T4_T5_mT6_T7_P12ihipStream_tbENKUlT_T0_E_clISt17integral_constantIbLb0EESX_IbLb1EEEEDaST_SU_EUlST_E_NS1_11comp_targetILNS1_3genE8ELNS1_11target_archE1030ELNS1_3gpuE2ELNS1_3repE0EEENS1_30default_config_static_selectorELNS0_4arch9wavefront6targetE0EEEvT1_
    .private_segment_fixed_size: 0
    .sgpr_count:     34
    .sgpr_spill_count: 0
    .symbol:         _ZN7rocprim17ROCPRIM_400000_NS6detail17trampoline_kernelINS0_14default_configENS1_27scan_by_key_config_selectorIssEEZZNS1_16scan_by_key_implILNS1_25lookback_scan_determinismE0ELb1ES3_N6thrust23THRUST_200600_302600_NS6detail15normal_iteratorINS9_10device_ptrIsEEEESE_SE_sNS9_4plusIsEE19head_flag_predicatesEE10hipError_tPvRmT2_T3_T4_T5_mT6_T7_P12ihipStream_tbENKUlT_T0_E_clISt17integral_constantIbLb0EESX_IbLb1EEEEDaST_SU_EUlST_E_NS1_11comp_targetILNS1_3genE8ELNS1_11target_archE1030ELNS1_3gpuE2ELNS1_3repE0EEENS1_30default_config_static_selectorELNS0_4arch9wavefront6targetE0EEEvT1_.kd
    .uniform_work_group_size: 1
    .uses_dynamic_stack: false
    .vgpr_count:     44
    .vgpr_spill_count: 0
    .wavefront_size: 32
    .workgroup_processor_mode: 1
  - .args:
      - .offset:         0
        .size:           144
        .value_kind:     by_value
    .group_segment_fixed_size: 0
    .kernarg_segment_align: 8
    .kernarg_segment_size: 144
    .language:       OpenCL C
    .language_version:
      - 2
      - 0
    .max_flat_workgroup_size: 256
    .name:           _ZN7rocprim17ROCPRIM_400000_NS6detail17trampoline_kernelINS0_14default_configENS1_27scan_by_key_config_selectorIxxEEZZNS1_16scan_by_key_implILNS1_25lookback_scan_determinismE0ELb0ES3_N6thrust23THRUST_200600_302600_NS6detail15normal_iteratorINS9_10device_ptrIxEEEENS9_18transform_iteratorINS9_6negateIxEESE_NS9_11use_defaultESI_EESE_xNS9_4plusIvEENS9_8equal_toIvEExEE10hipError_tPvRmT2_T3_T4_T5_mT6_T7_P12ihipStream_tbENKUlT_T0_E_clISt17integral_constantIbLb0EES14_EEDaSZ_S10_EUlSZ_E_NS1_11comp_targetILNS1_3genE0ELNS1_11target_archE4294967295ELNS1_3gpuE0ELNS1_3repE0EEENS1_30default_config_static_selectorELNS0_4arch9wavefront6targetE0EEEvT1_
    .private_segment_fixed_size: 0
    .sgpr_count:     0
    .sgpr_spill_count: 0
    .symbol:         _ZN7rocprim17ROCPRIM_400000_NS6detail17trampoline_kernelINS0_14default_configENS1_27scan_by_key_config_selectorIxxEEZZNS1_16scan_by_key_implILNS1_25lookback_scan_determinismE0ELb0ES3_N6thrust23THRUST_200600_302600_NS6detail15normal_iteratorINS9_10device_ptrIxEEEENS9_18transform_iteratorINS9_6negateIxEESE_NS9_11use_defaultESI_EESE_xNS9_4plusIvEENS9_8equal_toIvEExEE10hipError_tPvRmT2_T3_T4_T5_mT6_T7_P12ihipStream_tbENKUlT_T0_E_clISt17integral_constantIbLb0EES14_EEDaSZ_S10_EUlSZ_E_NS1_11comp_targetILNS1_3genE0ELNS1_11target_archE4294967295ELNS1_3gpuE0ELNS1_3repE0EEENS1_30default_config_static_selectorELNS0_4arch9wavefront6targetE0EEEvT1_.kd
    .uniform_work_group_size: 1
    .uses_dynamic_stack: false
    .vgpr_count:     0
    .vgpr_spill_count: 0
    .wavefront_size: 32
    .workgroup_processor_mode: 1
  - .args:
      - .offset:         0
        .size:           144
        .value_kind:     by_value
    .group_segment_fixed_size: 0
    .kernarg_segment_align: 8
    .kernarg_segment_size: 144
    .language:       OpenCL C
    .language_version:
      - 2
      - 0
    .max_flat_workgroup_size: 256
    .name:           _ZN7rocprim17ROCPRIM_400000_NS6detail17trampoline_kernelINS0_14default_configENS1_27scan_by_key_config_selectorIxxEEZZNS1_16scan_by_key_implILNS1_25lookback_scan_determinismE0ELb0ES3_N6thrust23THRUST_200600_302600_NS6detail15normal_iteratorINS9_10device_ptrIxEEEENS9_18transform_iteratorINS9_6negateIxEESE_NS9_11use_defaultESI_EESE_xNS9_4plusIvEENS9_8equal_toIvEExEE10hipError_tPvRmT2_T3_T4_T5_mT6_T7_P12ihipStream_tbENKUlT_T0_E_clISt17integral_constantIbLb0EES14_EEDaSZ_S10_EUlSZ_E_NS1_11comp_targetILNS1_3genE10ELNS1_11target_archE1201ELNS1_3gpuE5ELNS1_3repE0EEENS1_30default_config_static_selectorELNS0_4arch9wavefront6targetE0EEEvT1_
    .private_segment_fixed_size: 0
    .sgpr_count:     0
    .sgpr_spill_count: 0
    .symbol:         _ZN7rocprim17ROCPRIM_400000_NS6detail17trampoline_kernelINS0_14default_configENS1_27scan_by_key_config_selectorIxxEEZZNS1_16scan_by_key_implILNS1_25lookback_scan_determinismE0ELb0ES3_N6thrust23THRUST_200600_302600_NS6detail15normal_iteratorINS9_10device_ptrIxEEEENS9_18transform_iteratorINS9_6negateIxEESE_NS9_11use_defaultESI_EESE_xNS9_4plusIvEENS9_8equal_toIvEExEE10hipError_tPvRmT2_T3_T4_T5_mT6_T7_P12ihipStream_tbENKUlT_T0_E_clISt17integral_constantIbLb0EES14_EEDaSZ_S10_EUlSZ_E_NS1_11comp_targetILNS1_3genE10ELNS1_11target_archE1201ELNS1_3gpuE5ELNS1_3repE0EEENS1_30default_config_static_selectorELNS0_4arch9wavefront6targetE0EEEvT1_.kd
    .uniform_work_group_size: 1
    .uses_dynamic_stack: false
    .vgpr_count:     0
    .vgpr_spill_count: 0
    .wavefront_size: 32
    .workgroup_processor_mode: 1
  - .args:
      - .offset:         0
        .size:           144
        .value_kind:     by_value
    .group_segment_fixed_size: 0
    .kernarg_segment_align: 8
    .kernarg_segment_size: 144
    .language:       OpenCL C
    .language_version:
      - 2
      - 0
    .max_flat_workgroup_size: 256
    .name:           _ZN7rocprim17ROCPRIM_400000_NS6detail17trampoline_kernelINS0_14default_configENS1_27scan_by_key_config_selectorIxxEEZZNS1_16scan_by_key_implILNS1_25lookback_scan_determinismE0ELb0ES3_N6thrust23THRUST_200600_302600_NS6detail15normal_iteratorINS9_10device_ptrIxEEEENS9_18transform_iteratorINS9_6negateIxEESE_NS9_11use_defaultESI_EESE_xNS9_4plusIvEENS9_8equal_toIvEExEE10hipError_tPvRmT2_T3_T4_T5_mT6_T7_P12ihipStream_tbENKUlT_T0_E_clISt17integral_constantIbLb0EES14_EEDaSZ_S10_EUlSZ_E_NS1_11comp_targetILNS1_3genE5ELNS1_11target_archE942ELNS1_3gpuE9ELNS1_3repE0EEENS1_30default_config_static_selectorELNS0_4arch9wavefront6targetE0EEEvT1_
    .private_segment_fixed_size: 0
    .sgpr_count:     0
    .sgpr_spill_count: 0
    .symbol:         _ZN7rocprim17ROCPRIM_400000_NS6detail17trampoline_kernelINS0_14default_configENS1_27scan_by_key_config_selectorIxxEEZZNS1_16scan_by_key_implILNS1_25lookback_scan_determinismE0ELb0ES3_N6thrust23THRUST_200600_302600_NS6detail15normal_iteratorINS9_10device_ptrIxEEEENS9_18transform_iteratorINS9_6negateIxEESE_NS9_11use_defaultESI_EESE_xNS9_4plusIvEENS9_8equal_toIvEExEE10hipError_tPvRmT2_T3_T4_T5_mT6_T7_P12ihipStream_tbENKUlT_T0_E_clISt17integral_constantIbLb0EES14_EEDaSZ_S10_EUlSZ_E_NS1_11comp_targetILNS1_3genE5ELNS1_11target_archE942ELNS1_3gpuE9ELNS1_3repE0EEENS1_30default_config_static_selectorELNS0_4arch9wavefront6targetE0EEEvT1_.kd
    .uniform_work_group_size: 1
    .uses_dynamic_stack: false
    .vgpr_count:     0
    .vgpr_spill_count: 0
    .wavefront_size: 32
    .workgroup_processor_mode: 1
  - .args:
      - .offset:         0
        .size:           144
        .value_kind:     by_value
    .group_segment_fixed_size: 0
    .kernarg_segment_align: 8
    .kernarg_segment_size: 144
    .language:       OpenCL C
    .language_version:
      - 2
      - 0
    .max_flat_workgroup_size: 64
    .name:           _ZN7rocprim17ROCPRIM_400000_NS6detail17trampoline_kernelINS0_14default_configENS1_27scan_by_key_config_selectorIxxEEZZNS1_16scan_by_key_implILNS1_25lookback_scan_determinismE0ELb0ES3_N6thrust23THRUST_200600_302600_NS6detail15normal_iteratorINS9_10device_ptrIxEEEENS9_18transform_iteratorINS9_6negateIxEESE_NS9_11use_defaultESI_EESE_xNS9_4plusIvEENS9_8equal_toIvEExEE10hipError_tPvRmT2_T3_T4_T5_mT6_T7_P12ihipStream_tbENKUlT_T0_E_clISt17integral_constantIbLb0EES14_EEDaSZ_S10_EUlSZ_E_NS1_11comp_targetILNS1_3genE4ELNS1_11target_archE910ELNS1_3gpuE8ELNS1_3repE0EEENS1_30default_config_static_selectorELNS0_4arch9wavefront6targetE0EEEvT1_
    .private_segment_fixed_size: 0
    .sgpr_count:     0
    .sgpr_spill_count: 0
    .symbol:         _ZN7rocprim17ROCPRIM_400000_NS6detail17trampoline_kernelINS0_14default_configENS1_27scan_by_key_config_selectorIxxEEZZNS1_16scan_by_key_implILNS1_25lookback_scan_determinismE0ELb0ES3_N6thrust23THRUST_200600_302600_NS6detail15normal_iteratorINS9_10device_ptrIxEEEENS9_18transform_iteratorINS9_6negateIxEESE_NS9_11use_defaultESI_EESE_xNS9_4plusIvEENS9_8equal_toIvEExEE10hipError_tPvRmT2_T3_T4_T5_mT6_T7_P12ihipStream_tbENKUlT_T0_E_clISt17integral_constantIbLb0EES14_EEDaSZ_S10_EUlSZ_E_NS1_11comp_targetILNS1_3genE4ELNS1_11target_archE910ELNS1_3gpuE8ELNS1_3repE0EEENS1_30default_config_static_selectorELNS0_4arch9wavefront6targetE0EEEvT1_.kd
    .uniform_work_group_size: 1
    .uses_dynamic_stack: false
    .vgpr_count:     0
    .vgpr_spill_count: 0
    .wavefront_size: 32
    .workgroup_processor_mode: 1
  - .args:
      - .offset:         0
        .size:           144
        .value_kind:     by_value
    .group_segment_fixed_size: 0
    .kernarg_segment_align: 8
    .kernarg_segment_size: 144
    .language:       OpenCL C
    .language_version:
      - 2
      - 0
    .max_flat_workgroup_size: 256
    .name:           _ZN7rocprim17ROCPRIM_400000_NS6detail17trampoline_kernelINS0_14default_configENS1_27scan_by_key_config_selectorIxxEEZZNS1_16scan_by_key_implILNS1_25lookback_scan_determinismE0ELb0ES3_N6thrust23THRUST_200600_302600_NS6detail15normal_iteratorINS9_10device_ptrIxEEEENS9_18transform_iteratorINS9_6negateIxEESE_NS9_11use_defaultESI_EESE_xNS9_4plusIvEENS9_8equal_toIvEExEE10hipError_tPvRmT2_T3_T4_T5_mT6_T7_P12ihipStream_tbENKUlT_T0_E_clISt17integral_constantIbLb0EES14_EEDaSZ_S10_EUlSZ_E_NS1_11comp_targetILNS1_3genE3ELNS1_11target_archE908ELNS1_3gpuE7ELNS1_3repE0EEENS1_30default_config_static_selectorELNS0_4arch9wavefront6targetE0EEEvT1_
    .private_segment_fixed_size: 0
    .sgpr_count:     0
    .sgpr_spill_count: 0
    .symbol:         _ZN7rocprim17ROCPRIM_400000_NS6detail17trampoline_kernelINS0_14default_configENS1_27scan_by_key_config_selectorIxxEEZZNS1_16scan_by_key_implILNS1_25lookback_scan_determinismE0ELb0ES3_N6thrust23THRUST_200600_302600_NS6detail15normal_iteratorINS9_10device_ptrIxEEEENS9_18transform_iteratorINS9_6negateIxEESE_NS9_11use_defaultESI_EESE_xNS9_4plusIvEENS9_8equal_toIvEExEE10hipError_tPvRmT2_T3_T4_T5_mT6_T7_P12ihipStream_tbENKUlT_T0_E_clISt17integral_constantIbLb0EES14_EEDaSZ_S10_EUlSZ_E_NS1_11comp_targetILNS1_3genE3ELNS1_11target_archE908ELNS1_3gpuE7ELNS1_3repE0EEENS1_30default_config_static_selectorELNS0_4arch9wavefront6targetE0EEEvT1_.kd
    .uniform_work_group_size: 1
    .uses_dynamic_stack: false
    .vgpr_count:     0
    .vgpr_spill_count: 0
    .wavefront_size: 32
    .workgroup_processor_mode: 1
  - .args:
      - .offset:         0
        .size:           144
        .value_kind:     by_value
    .group_segment_fixed_size: 0
    .kernarg_segment_align: 8
    .kernarg_segment_size: 144
    .language:       OpenCL C
    .language_version:
      - 2
      - 0
    .max_flat_workgroup_size: 256
    .name:           _ZN7rocprim17ROCPRIM_400000_NS6detail17trampoline_kernelINS0_14default_configENS1_27scan_by_key_config_selectorIxxEEZZNS1_16scan_by_key_implILNS1_25lookback_scan_determinismE0ELb0ES3_N6thrust23THRUST_200600_302600_NS6detail15normal_iteratorINS9_10device_ptrIxEEEENS9_18transform_iteratorINS9_6negateIxEESE_NS9_11use_defaultESI_EESE_xNS9_4plusIvEENS9_8equal_toIvEExEE10hipError_tPvRmT2_T3_T4_T5_mT6_T7_P12ihipStream_tbENKUlT_T0_E_clISt17integral_constantIbLb0EES14_EEDaSZ_S10_EUlSZ_E_NS1_11comp_targetILNS1_3genE2ELNS1_11target_archE906ELNS1_3gpuE6ELNS1_3repE0EEENS1_30default_config_static_selectorELNS0_4arch9wavefront6targetE0EEEvT1_
    .private_segment_fixed_size: 0
    .sgpr_count:     0
    .sgpr_spill_count: 0
    .symbol:         _ZN7rocprim17ROCPRIM_400000_NS6detail17trampoline_kernelINS0_14default_configENS1_27scan_by_key_config_selectorIxxEEZZNS1_16scan_by_key_implILNS1_25lookback_scan_determinismE0ELb0ES3_N6thrust23THRUST_200600_302600_NS6detail15normal_iteratorINS9_10device_ptrIxEEEENS9_18transform_iteratorINS9_6negateIxEESE_NS9_11use_defaultESI_EESE_xNS9_4plusIvEENS9_8equal_toIvEExEE10hipError_tPvRmT2_T3_T4_T5_mT6_T7_P12ihipStream_tbENKUlT_T0_E_clISt17integral_constantIbLb0EES14_EEDaSZ_S10_EUlSZ_E_NS1_11comp_targetILNS1_3genE2ELNS1_11target_archE906ELNS1_3gpuE6ELNS1_3repE0EEENS1_30default_config_static_selectorELNS0_4arch9wavefront6targetE0EEEvT1_.kd
    .uniform_work_group_size: 1
    .uses_dynamic_stack: false
    .vgpr_count:     0
    .vgpr_spill_count: 0
    .wavefront_size: 32
    .workgroup_processor_mode: 1
  - .args:
      - .offset:         0
        .size:           144
        .value_kind:     by_value
    .group_segment_fixed_size: 0
    .kernarg_segment_align: 8
    .kernarg_segment_size: 144
    .language:       OpenCL C
    .language_version:
      - 2
      - 0
    .max_flat_workgroup_size: 256
    .name:           _ZN7rocprim17ROCPRIM_400000_NS6detail17trampoline_kernelINS0_14default_configENS1_27scan_by_key_config_selectorIxxEEZZNS1_16scan_by_key_implILNS1_25lookback_scan_determinismE0ELb0ES3_N6thrust23THRUST_200600_302600_NS6detail15normal_iteratorINS9_10device_ptrIxEEEENS9_18transform_iteratorINS9_6negateIxEESE_NS9_11use_defaultESI_EESE_xNS9_4plusIvEENS9_8equal_toIvEExEE10hipError_tPvRmT2_T3_T4_T5_mT6_T7_P12ihipStream_tbENKUlT_T0_E_clISt17integral_constantIbLb0EES14_EEDaSZ_S10_EUlSZ_E_NS1_11comp_targetILNS1_3genE10ELNS1_11target_archE1200ELNS1_3gpuE4ELNS1_3repE0EEENS1_30default_config_static_selectorELNS0_4arch9wavefront6targetE0EEEvT1_
    .private_segment_fixed_size: 0
    .sgpr_count:     0
    .sgpr_spill_count: 0
    .symbol:         _ZN7rocprim17ROCPRIM_400000_NS6detail17trampoline_kernelINS0_14default_configENS1_27scan_by_key_config_selectorIxxEEZZNS1_16scan_by_key_implILNS1_25lookback_scan_determinismE0ELb0ES3_N6thrust23THRUST_200600_302600_NS6detail15normal_iteratorINS9_10device_ptrIxEEEENS9_18transform_iteratorINS9_6negateIxEESE_NS9_11use_defaultESI_EESE_xNS9_4plusIvEENS9_8equal_toIvEExEE10hipError_tPvRmT2_T3_T4_T5_mT6_T7_P12ihipStream_tbENKUlT_T0_E_clISt17integral_constantIbLb0EES14_EEDaSZ_S10_EUlSZ_E_NS1_11comp_targetILNS1_3genE10ELNS1_11target_archE1200ELNS1_3gpuE4ELNS1_3repE0EEENS1_30default_config_static_selectorELNS0_4arch9wavefront6targetE0EEEvT1_.kd
    .uniform_work_group_size: 1
    .uses_dynamic_stack: false
    .vgpr_count:     0
    .vgpr_spill_count: 0
    .wavefront_size: 32
    .workgroup_processor_mode: 1
  - .args:
      - .offset:         0
        .size:           144
        .value_kind:     by_value
    .group_segment_fixed_size: 0
    .kernarg_segment_align: 8
    .kernarg_segment_size: 144
    .language:       OpenCL C
    .language_version:
      - 2
      - 0
    .max_flat_workgroup_size: 256
    .name:           _ZN7rocprim17ROCPRIM_400000_NS6detail17trampoline_kernelINS0_14default_configENS1_27scan_by_key_config_selectorIxxEEZZNS1_16scan_by_key_implILNS1_25lookback_scan_determinismE0ELb0ES3_N6thrust23THRUST_200600_302600_NS6detail15normal_iteratorINS9_10device_ptrIxEEEENS9_18transform_iteratorINS9_6negateIxEESE_NS9_11use_defaultESI_EESE_xNS9_4plusIvEENS9_8equal_toIvEExEE10hipError_tPvRmT2_T3_T4_T5_mT6_T7_P12ihipStream_tbENKUlT_T0_E_clISt17integral_constantIbLb0EES14_EEDaSZ_S10_EUlSZ_E_NS1_11comp_targetILNS1_3genE9ELNS1_11target_archE1100ELNS1_3gpuE3ELNS1_3repE0EEENS1_30default_config_static_selectorELNS0_4arch9wavefront6targetE0EEEvT1_
    .private_segment_fixed_size: 0
    .sgpr_count:     0
    .sgpr_spill_count: 0
    .symbol:         _ZN7rocprim17ROCPRIM_400000_NS6detail17trampoline_kernelINS0_14default_configENS1_27scan_by_key_config_selectorIxxEEZZNS1_16scan_by_key_implILNS1_25lookback_scan_determinismE0ELb0ES3_N6thrust23THRUST_200600_302600_NS6detail15normal_iteratorINS9_10device_ptrIxEEEENS9_18transform_iteratorINS9_6negateIxEESE_NS9_11use_defaultESI_EESE_xNS9_4plusIvEENS9_8equal_toIvEExEE10hipError_tPvRmT2_T3_T4_T5_mT6_T7_P12ihipStream_tbENKUlT_T0_E_clISt17integral_constantIbLb0EES14_EEDaSZ_S10_EUlSZ_E_NS1_11comp_targetILNS1_3genE9ELNS1_11target_archE1100ELNS1_3gpuE3ELNS1_3repE0EEENS1_30default_config_static_selectorELNS0_4arch9wavefront6targetE0EEEvT1_.kd
    .uniform_work_group_size: 1
    .uses_dynamic_stack: false
    .vgpr_count:     0
    .vgpr_spill_count: 0
    .wavefront_size: 32
    .workgroup_processor_mode: 1
  - .args:
      - .offset:         0
        .size:           144
        .value_kind:     by_value
    .group_segment_fixed_size: 30720
    .kernarg_segment_align: 8
    .kernarg_segment_size: 144
    .language:       OpenCL C
    .language_version:
      - 2
      - 0
    .max_flat_workgroup_size: 256
    .name:           _ZN7rocprim17ROCPRIM_400000_NS6detail17trampoline_kernelINS0_14default_configENS1_27scan_by_key_config_selectorIxxEEZZNS1_16scan_by_key_implILNS1_25lookback_scan_determinismE0ELb0ES3_N6thrust23THRUST_200600_302600_NS6detail15normal_iteratorINS9_10device_ptrIxEEEENS9_18transform_iteratorINS9_6negateIxEESE_NS9_11use_defaultESI_EESE_xNS9_4plusIvEENS9_8equal_toIvEExEE10hipError_tPvRmT2_T3_T4_T5_mT6_T7_P12ihipStream_tbENKUlT_T0_E_clISt17integral_constantIbLb0EES14_EEDaSZ_S10_EUlSZ_E_NS1_11comp_targetILNS1_3genE8ELNS1_11target_archE1030ELNS1_3gpuE2ELNS1_3repE0EEENS1_30default_config_static_selectorELNS0_4arch9wavefront6targetE0EEEvT1_
    .private_segment_fixed_size: 0
    .sgpr_count:     51
    .sgpr_spill_count: 0
    .symbol:         _ZN7rocprim17ROCPRIM_400000_NS6detail17trampoline_kernelINS0_14default_configENS1_27scan_by_key_config_selectorIxxEEZZNS1_16scan_by_key_implILNS1_25lookback_scan_determinismE0ELb0ES3_N6thrust23THRUST_200600_302600_NS6detail15normal_iteratorINS9_10device_ptrIxEEEENS9_18transform_iteratorINS9_6negateIxEESE_NS9_11use_defaultESI_EESE_xNS9_4plusIvEENS9_8equal_toIvEExEE10hipError_tPvRmT2_T3_T4_T5_mT6_T7_P12ihipStream_tbENKUlT_T0_E_clISt17integral_constantIbLb0EES14_EEDaSZ_S10_EUlSZ_E_NS1_11comp_targetILNS1_3genE8ELNS1_11target_archE1030ELNS1_3gpuE2ELNS1_3repE0EEENS1_30default_config_static_selectorELNS0_4arch9wavefront6targetE0EEEvT1_.kd
    .uniform_work_group_size: 1
    .uses_dynamic_stack: false
    .vgpr_count:     106
    .vgpr_spill_count: 0
    .wavefront_size: 32
    .workgroup_processor_mode: 1
  - .args:
      - .offset:         0
        .size:           144
        .value_kind:     by_value
    .group_segment_fixed_size: 0
    .kernarg_segment_align: 8
    .kernarg_segment_size: 144
    .language:       OpenCL C
    .language_version:
      - 2
      - 0
    .max_flat_workgroup_size: 256
    .name:           _ZN7rocprim17ROCPRIM_400000_NS6detail17trampoline_kernelINS0_14default_configENS1_27scan_by_key_config_selectorIxxEEZZNS1_16scan_by_key_implILNS1_25lookback_scan_determinismE0ELb0ES3_N6thrust23THRUST_200600_302600_NS6detail15normal_iteratorINS9_10device_ptrIxEEEENS9_18transform_iteratorINS9_6negateIxEESE_NS9_11use_defaultESI_EESE_xNS9_4plusIvEENS9_8equal_toIvEExEE10hipError_tPvRmT2_T3_T4_T5_mT6_T7_P12ihipStream_tbENKUlT_T0_E_clISt17integral_constantIbLb1EES14_EEDaSZ_S10_EUlSZ_E_NS1_11comp_targetILNS1_3genE0ELNS1_11target_archE4294967295ELNS1_3gpuE0ELNS1_3repE0EEENS1_30default_config_static_selectorELNS0_4arch9wavefront6targetE0EEEvT1_
    .private_segment_fixed_size: 0
    .sgpr_count:     0
    .sgpr_spill_count: 0
    .symbol:         _ZN7rocprim17ROCPRIM_400000_NS6detail17trampoline_kernelINS0_14default_configENS1_27scan_by_key_config_selectorIxxEEZZNS1_16scan_by_key_implILNS1_25lookback_scan_determinismE0ELb0ES3_N6thrust23THRUST_200600_302600_NS6detail15normal_iteratorINS9_10device_ptrIxEEEENS9_18transform_iteratorINS9_6negateIxEESE_NS9_11use_defaultESI_EESE_xNS9_4plusIvEENS9_8equal_toIvEExEE10hipError_tPvRmT2_T3_T4_T5_mT6_T7_P12ihipStream_tbENKUlT_T0_E_clISt17integral_constantIbLb1EES14_EEDaSZ_S10_EUlSZ_E_NS1_11comp_targetILNS1_3genE0ELNS1_11target_archE4294967295ELNS1_3gpuE0ELNS1_3repE0EEENS1_30default_config_static_selectorELNS0_4arch9wavefront6targetE0EEEvT1_.kd
    .uniform_work_group_size: 1
    .uses_dynamic_stack: false
    .vgpr_count:     0
    .vgpr_spill_count: 0
    .wavefront_size: 32
    .workgroup_processor_mode: 1
  - .args:
      - .offset:         0
        .size:           144
        .value_kind:     by_value
    .group_segment_fixed_size: 0
    .kernarg_segment_align: 8
    .kernarg_segment_size: 144
    .language:       OpenCL C
    .language_version:
      - 2
      - 0
    .max_flat_workgroup_size: 256
    .name:           _ZN7rocprim17ROCPRIM_400000_NS6detail17trampoline_kernelINS0_14default_configENS1_27scan_by_key_config_selectorIxxEEZZNS1_16scan_by_key_implILNS1_25lookback_scan_determinismE0ELb0ES3_N6thrust23THRUST_200600_302600_NS6detail15normal_iteratorINS9_10device_ptrIxEEEENS9_18transform_iteratorINS9_6negateIxEESE_NS9_11use_defaultESI_EESE_xNS9_4plusIvEENS9_8equal_toIvEExEE10hipError_tPvRmT2_T3_T4_T5_mT6_T7_P12ihipStream_tbENKUlT_T0_E_clISt17integral_constantIbLb1EES14_EEDaSZ_S10_EUlSZ_E_NS1_11comp_targetILNS1_3genE10ELNS1_11target_archE1201ELNS1_3gpuE5ELNS1_3repE0EEENS1_30default_config_static_selectorELNS0_4arch9wavefront6targetE0EEEvT1_
    .private_segment_fixed_size: 0
    .sgpr_count:     0
    .sgpr_spill_count: 0
    .symbol:         _ZN7rocprim17ROCPRIM_400000_NS6detail17trampoline_kernelINS0_14default_configENS1_27scan_by_key_config_selectorIxxEEZZNS1_16scan_by_key_implILNS1_25lookback_scan_determinismE0ELb0ES3_N6thrust23THRUST_200600_302600_NS6detail15normal_iteratorINS9_10device_ptrIxEEEENS9_18transform_iteratorINS9_6negateIxEESE_NS9_11use_defaultESI_EESE_xNS9_4plusIvEENS9_8equal_toIvEExEE10hipError_tPvRmT2_T3_T4_T5_mT6_T7_P12ihipStream_tbENKUlT_T0_E_clISt17integral_constantIbLb1EES14_EEDaSZ_S10_EUlSZ_E_NS1_11comp_targetILNS1_3genE10ELNS1_11target_archE1201ELNS1_3gpuE5ELNS1_3repE0EEENS1_30default_config_static_selectorELNS0_4arch9wavefront6targetE0EEEvT1_.kd
    .uniform_work_group_size: 1
    .uses_dynamic_stack: false
    .vgpr_count:     0
    .vgpr_spill_count: 0
    .wavefront_size: 32
    .workgroup_processor_mode: 1
  - .args:
      - .offset:         0
        .size:           144
        .value_kind:     by_value
    .group_segment_fixed_size: 0
    .kernarg_segment_align: 8
    .kernarg_segment_size: 144
    .language:       OpenCL C
    .language_version:
      - 2
      - 0
    .max_flat_workgroup_size: 256
    .name:           _ZN7rocprim17ROCPRIM_400000_NS6detail17trampoline_kernelINS0_14default_configENS1_27scan_by_key_config_selectorIxxEEZZNS1_16scan_by_key_implILNS1_25lookback_scan_determinismE0ELb0ES3_N6thrust23THRUST_200600_302600_NS6detail15normal_iteratorINS9_10device_ptrIxEEEENS9_18transform_iteratorINS9_6negateIxEESE_NS9_11use_defaultESI_EESE_xNS9_4plusIvEENS9_8equal_toIvEExEE10hipError_tPvRmT2_T3_T4_T5_mT6_T7_P12ihipStream_tbENKUlT_T0_E_clISt17integral_constantIbLb1EES14_EEDaSZ_S10_EUlSZ_E_NS1_11comp_targetILNS1_3genE5ELNS1_11target_archE942ELNS1_3gpuE9ELNS1_3repE0EEENS1_30default_config_static_selectorELNS0_4arch9wavefront6targetE0EEEvT1_
    .private_segment_fixed_size: 0
    .sgpr_count:     0
    .sgpr_spill_count: 0
    .symbol:         _ZN7rocprim17ROCPRIM_400000_NS6detail17trampoline_kernelINS0_14default_configENS1_27scan_by_key_config_selectorIxxEEZZNS1_16scan_by_key_implILNS1_25lookback_scan_determinismE0ELb0ES3_N6thrust23THRUST_200600_302600_NS6detail15normal_iteratorINS9_10device_ptrIxEEEENS9_18transform_iteratorINS9_6negateIxEESE_NS9_11use_defaultESI_EESE_xNS9_4plusIvEENS9_8equal_toIvEExEE10hipError_tPvRmT2_T3_T4_T5_mT6_T7_P12ihipStream_tbENKUlT_T0_E_clISt17integral_constantIbLb1EES14_EEDaSZ_S10_EUlSZ_E_NS1_11comp_targetILNS1_3genE5ELNS1_11target_archE942ELNS1_3gpuE9ELNS1_3repE0EEENS1_30default_config_static_selectorELNS0_4arch9wavefront6targetE0EEEvT1_.kd
    .uniform_work_group_size: 1
    .uses_dynamic_stack: false
    .vgpr_count:     0
    .vgpr_spill_count: 0
    .wavefront_size: 32
    .workgroup_processor_mode: 1
  - .args:
      - .offset:         0
        .size:           144
        .value_kind:     by_value
    .group_segment_fixed_size: 0
    .kernarg_segment_align: 8
    .kernarg_segment_size: 144
    .language:       OpenCL C
    .language_version:
      - 2
      - 0
    .max_flat_workgroup_size: 64
    .name:           _ZN7rocprim17ROCPRIM_400000_NS6detail17trampoline_kernelINS0_14default_configENS1_27scan_by_key_config_selectorIxxEEZZNS1_16scan_by_key_implILNS1_25lookback_scan_determinismE0ELb0ES3_N6thrust23THRUST_200600_302600_NS6detail15normal_iteratorINS9_10device_ptrIxEEEENS9_18transform_iteratorINS9_6negateIxEESE_NS9_11use_defaultESI_EESE_xNS9_4plusIvEENS9_8equal_toIvEExEE10hipError_tPvRmT2_T3_T4_T5_mT6_T7_P12ihipStream_tbENKUlT_T0_E_clISt17integral_constantIbLb1EES14_EEDaSZ_S10_EUlSZ_E_NS1_11comp_targetILNS1_3genE4ELNS1_11target_archE910ELNS1_3gpuE8ELNS1_3repE0EEENS1_30default_config_static_selectorELNS0_4arch9wavefront6targetE0EEEvT1_
    .private_segment_fixed_size: 0
    .sgpr_count:     0
    .sgpr_spill_count: 0
    .symbol:         _ZN7rocprim17ROCPRIM_400000_NS6detail17trampoline_kernelINS0_14default_configENS1_27scan_by_key_config_selectorIxxEEZZNS1_16scan_by_key_implILNS1_25lookback_scan_determinismE0ELb0ES3_N6thrust23THRUST_200600_302600_NS6detail15normal_iteratorINS9_10device_ptrIxEEEENS9_18transform_iteratorINS9_6negateIxEESE_NS9_11use_defaultESI_EESE_xNS9_4plusIvEENS9_8equal_toIvEExEE10hipError_tPvRmT2_T3_T4_T5_mT6_T7_P12ihipStream_tbENKUlT_T0_E_clISt17integral_constantIbLb1EES14_EEDaSZ_S10_EUlSZ_E_NS1_11comp_targetILNS1_3genE4ELNS1_11target_archE910ELNS1_3gpuE8ELNS1_3repE0EEENS1_30default_config_static_selectorELNS0_4arch9wavefront6targetE0EEEvT1_.kd
    .uniform_work_group_size: 1
    .uses_dynamic_stack: false
    .vgpr_count:     0
    .vgpr_spill_count: 0
    .wavefront_size: 32
    .workgroup_processor_mode: 1
  - .args:
      - .offset:         0
        .size:           144
        .value_kind:     by_value
    .group_segment_fixed_size: 0
    .kernarg_segment_align: 8
    .kernarg_segment_size: 144
    .language:       OpenCL C
    .language_version:
      - 2
      - 0
    .max_flat_workgroup_size: 256
    .name:           _ZN7rocprim17ROCPRIM_400000_NS6detail17trampoline_kernelINS0_14default_configENS1_27scan_by_key_config_selectorIxxEEZZNS1_16scan_by_key_implILNS1_25lookback_scan_determinismE0ELb0ES3_N6thrust23THRUST_200600_302600_NS6detail15normal_iteratorINS9_10device_ptrIxEEEENS9_18transform_iteratorINS9_6negateIxEESE_NS9_11use_defaultESI_EESE_xNS9_4plusIvEENS9_8equal_toIvEExEE10hipError_tPvRmT2_T3_T4_T5_mT6_T7_P12ihipStream_tbENKUlT_T0_E_clISt17integral_constantIbLb1EES14_EEDaSZ_S10_EUlSZ_E_NS1_11comp_targetILNS1_3genE3ELNS1_11target_archE908ELNS1_3gpuE7ELNS1_3repE0EEENS1_30default_config_static_selectorELNS0_4arch9wavefront6targetE0EEEvT1_
    .private_segment_fixed_size: 0
    .sgpr_count:     0
    .sgpr_spill_count: 0
    .symbol:         _ZN7rocprim17ROCPRIM_400000_NS6detail17trampoline_kernelINS0_14default_configENS1_27scan_by_key_config_selectorIxxEEZZNS1_16scan_by_key_implILNS1_25lookback_scan_determinismE0ELb0ES3_N6thrust23THRUST_200600_302600_NS6detail15normal_iteratorINS9_10device_ptrIxEEEENS9_18transform_iteratorINS9_6negateIxEESE_NS9_11use_defaultESI_EESE_xNS9_4plusIvEENS9_8equal_toIvEExEE10hipError_tPvRmT2_T3_T4_T5_mT6_T7_P12ihipStream_tbENKUlT_T0_E_clISt17integral_constantIbLb1EES14_EEDaSZ_S10_EUlSZ_E_NS1_11comp_targetILNS1_3genE3ELNS1_11target_archE908ELNS1_3gpuE7ELNS1_3repE0EEENS1_30default_config_static_selectorELNS0_4arch9wavefront6targetE0EEEvT1_.kd
    .uniform_work_group_size: 1
    .uses_dynamic_stack: false
    .vgpr_count:     0
    .vgpr_spill_count: 0
    .wavefront_size: 32
    .workgroup_processor_mode: 1
  - .args:
      - .offset:         0
        .size:           144
        .value_kind:     by_value
    .group_segment_fixed_size: 0
    .kernarg_segment_align: 8
    .kernarg_segment_size: 144
    .language:       OpenCL C
    .language_version:
      - 2
      - 0
    .max_flat_workgroup_size: 256
    .name:           _ZN7rocprim17ROCPRIM_400000_NS6detail17trampoline_kernelINS0_14default_configENS1_27scan_by_key_config_selectorIxxEEZZNS1_16scan_by_key_implILNS1_25lookback_scan_determinismE0ELb0ES3_N6thrust23THRUST_200600_302600_NS6detail15normal_iteratorINS9_10device_ptrIxEEEENS9_18transform_iteratorINS9_6negateIxEESE_NS9_11use_defaultESI_EESE_xNS9_4plusIvEENS9_8equal_toIvEExEE10hipError_tPvRmT2_T3_T4_T5_mT6_T7_P12ihipStream_tbENKUlT_T0_E_clISt17integral_constantIbLb1EES14_EEDaSZ_S10_EUlSZ_E_NS1_11comp_targetILNS1_3genE2ELNS1_11target_archE906ELNS1_3gpuE6ELNS1_3repE0EEENS1_30default_config_static_selectorELNS0_4arch9wavefront6targetE0EEEvT1_
    .private_segment_fixed_size: 0
    .sgpr_count:     0
    .sgpr_spill_count: 0
    .symbol:         _ZN7rocprim17ROCPRIM_400000_NS6detail17trampoline_kernelINS0_14default_configENS1_27scan_by_key_config_selectorIxxEEZZNS1_16scan_by_key_implILNS1_25lookback_scan_determinismE0ELb0ES3_N6thrust23THRUST_200600_302600_NS6detail15normal_iteratorINS9_10device_ptrIxEEEENS9_18transform_iteratorINS9_6negateIxEESE_NS9_11use_defaultESI_EESE_xNS9_4plusIvEENS9_8equal_toIvEExEE10hipError_tPvRmT2_T3_T4_T5_mT6_T7_P12ihipStream_tbENKUlT_T0_E_clISt17integral_constantIbLb1EES14_EEDaSZ_S10_EUlSZ_E_NS1_11comp_targetILNS1_3genE2ELNS1_11target_archE906ELNS1_3gpuE6ELNS1_3repE0EEENS1_30default_config_static_selectorELNS0_4arch9wavefront6targetE0EEEvT1_.kd
    .uniform_work_group_size: 1
    .uses_dynamic_stack: false
    .vgpr_count:     0
    .vgpr_spill_count: 0
    .wavefront_size: 32
    .workgroup_processor_mode: 1
  - .args:
      - .offset:         0
        .size:           144
        .value_kind:     by_value
    .group_segment_fixed_size: 0
    .kernarg_segment_align: 8
    .kernarg_segment_size: 144
    .language:       OpenCL C
    .language_version:
      - 2
      - 0
    .max_flat_workgroup_size: 256
    .name:           _ZN7rocprim17ROCPRIM_400000_NS6detail17trampoline_kernelINS0_14default_configENS1_27scan_by_key_config_selectorIxxEEZZNS1_16scan_by_key_implILNS1_25lookback_scan_determinismE0ELb0ES3_N6thrust23THRUST_200600_302600_NS6detail15normal_iteratorINS9_10device_ptrIxEEEENS9_18transform_iteratorINS9_6negateIxEESE_NS9_11use_defaultESI_EESE_xNS9_4plusIvEENS9_8equal_toIvEExEE10hipError_tPvRmT2_T3_T4_T5_mT6_T7_P12ihipStream_tbENKUlT_T0_E_clISt17integral_constantIbLb1EES14_EEDaSZ_S10_EUlSZ_E_NS1_11comp_targetILNS1_3genE10ELNS1_11target_archE1200ELNS1_3gpuE4ELNS1_3repE0EEENS1_30default_config_static_selectorELNS0_4arch9wavefront6targetE0EEEvT1_
    .private_segment_fixed_size: 0
    .sgpr_count:     0
    .sgpr_spill_count: 0
    .symbol:         _ZN7rocprim17ROCPRIM_400000_NS6detail17trampoline_kernelINS0_14default_configENS1_27scan_by_key_config_selectorIxxEEZZNS1_16scan_by_key_implILNS1_25lookback_scan_determinismE0ELb0ES3_N6thrust23THRUST_200600_302600_NS6detail15normal_iteratorINS9_10device_ptrIxEEEENS9_18transform_iteratorINS9_6negateIxEESE_NS9_11use_defaultESI_EESE_xNS9_4plusIvEENS9_8equal_toIvEExEE10hipError_tPvRmT2_T3_T4_T5_mT6_T7_P12ihipStream_tbENKUlT_T0_E_clISt17integral_constantIbLb1EES14_EEDaSZ_S10_EUlSZ_E_NS1_11comp_targetILNS1_3genE10ELNS1_11target_archE1200ELNS1_3gpuE4ELNS1_3repE0EEENS1_30default_config_static_selectorELNS0_4arch9wavefront6targetE0EEEvT1_.kd
    .uniform_work_group_size: 1
    .uses_dynamic_stack: false
    .vgpr_count:     0
    .vgpr_spill_count: 0
    .wavefront_size: 32
    .workgroup_processor_mode: 1
  - .args:
      - .offset:         0
        .size:           144
        .value_kind:     by_value
    .group_segment_fixed_size: 0
    .kernarg_segment_align: 8
    .kernarg_segment_size: 144
    .language:       OpenCL C
    .language_version:
      - 2
      - 0
    .max_flat_workgroup_size: 256
    .name:           _ZN7rocprim17ROCPRIM_400000_NS6detail17trampoline_kernelINS0_14default_configENS1_27scan_by_key_config_selectorIxxEEZZNS1_16scan_by_key_implILNS1_25lookback_scan_determinismE0ELb0ES3_N6thrust23THRUST_200600_302600_NS6detail15normal_iteratorINS9_10device_ptrIxEEEENS9_18transform_iteratorINS9_6negateIxEESE_NS9_11use_defaultESI_EESE_xNS9_4plusIvEENS9_8equal_toIvEExEE10hipError_tPvRmT2_T3_T4_T5_mT6_T7_P12ihipStream_tbENKUlT_T0_E_clISt17integral_constantIbLb1EES14_EEDaSZ_S10_EUlSZ_E_NS1_11comp_targetILNS1_3genE9ELNS1_11target_archE1100ELNS1_3gpuE3ELNS1_3repE0EEENS1_30default_config_static_selectorELNS0_4arch9wavefront6targetE0EEEvT1_
    .private_segment_fixed_size: 0
    .sgpr_count:     0
    .sgpr_spill_count: 0
    .symbol:         _ZN7rocprim17ROCPRIM_400000_NS6detail17trampoline_kernelINS0_14default_configENS1_27scan_by_key_config_selectorIxxEEZZNS1_16scan_by_key_implILNS1_25lookback_scan_determinismE0ELb0ES3_N6thrust23THRUST_200600_302600_NS6detail15normal_iteratorINS9_10device_ptrIxEEEENS9_18transform_iteratorINS9_6negateIxEESE_NS9_11use_defaultESI_EESE_xNS9_4plusIvEENS9_8equal_toIvEExEE10hipError_tPvRmT2_T3_T4_T5_mT6_T7_P12ihipStream_tbENKUlT_T0_E_clISt17integral_constantIbLb1EES14_EEDaSZ_S10_EUlSZ_E_NS1_11comp_targetILNS1_3genE9ELNS1_11target_archE1100ELNS1_3gpuE3ELNS1_3repE0EEENS1_30default_config_static_selectorELNS0_4arch9wavefront6targetE0EEEvT1_.kd
    .uniform_work_group_size: 1
    .uses_dynamic_stack: false
    .vgpr_count:     0
    .vgpr_spill_count: 0
    .wavefront_size: 32
    .workgroup_processor_mode: 1
  - .args:
      - .offset:         0
        .size:           144
        .value_kind:     by_value
    .group_segment_fixed_size: 0
    .kernarg_segment_align: 8
    .kernarg_segment_size: 144
    .language:       OpenCL C
    .language_version:
      - 2
      - 0
    .max_flat_workgroup_size: 256
    .name:           _ZN7rocprim17ROCPRIM_400000_NS6detail17trampoline_kernelINS0_14default_configENS1_27scan_by_key_config_selectorIxxEEZZNS1_16scan_by_key_implILNS1_25lookback_scan_determinismE0ELb0ES3_N6thrust23THRUST_200600_302600_NS6detail15normal_iteratorINS9_10device_ptrIxEEEENS9_18transform_iteratorINS9_6negateIxEESE_NS9_11use_defaultESI_EESE_xNS9_4plusIvEENS9_8equal_toIvEExEE10hipError_tPvRmT2_T3_T4_T5_mT6_T7_P12ihipStream_tbENKUlT_T0_E_clISt17integral_constantIbLb1EES14_EEDaSZ_S10_EUlSZ_E_NS1_11comp_targetILNS1_3genE8ELNS1_11target_archE1030ELNS1_3gpuE2ELNS1_3repE0EEENS1_30default_config_static_selectorELNS0_4arch9wavefront6targetE0EEEvT1_
    .private_segment_fixed_size: 0
    .sgpr_count:     0
    .sgpr_spill_count: 0
    .symbol:         _ZN7rocprim17ROCPRIM_400000_NS6detail17trampoline_kernelINS0_14default_configENS1_27scan_by_key_config_selectorIxxEEZZNS1_16scan_by_key_implILNS1_25lookback_scan_determinismE0ELb0ES3_N6thrust23THRUST_200600_302600_NS6detail15normal_iteratorINS9_10device_ptrIxEEEENS9_18transform_iteratorINS9_6negateIxEESE_NS9_11use_defaultESI_EESE_xNS9_4plusIvEENS9_8equal_toIvEExEE10hipError_tPvRmT2_T3_T4_T5_mT6_T7_P12ihipStream_tbENKUlT_T0_E_clISt17integral_constantIbLb1EES14_EEDaSZ_S10_EUlSZ_E_NS1_11comp_targetILNS1_3genE8ELNS1_11target_archE1030ELNS1_3gpuE2ELNS1_3repE0EEENS1_30default_config_static_selectorELNS0_4arch9wavefront6targetE0EEEvT1_.kd
    .uniform_work_group_size: 1
    .uses_dynamic_stack: false
    .vgpr_count:     0
    .vgpr_spill_count: 0
    .wavefront_size: 32
    .workgroup_processor_mode: 1
  - .args:
      - .offset:         0
        .size:           144
        .value_kind:     by_value
    .group_segment_fixed_size: 0
    .kernarg_segment_align: 8
    .kernarg_segment_size: 144
    .language:       OpenCL C
    .language_version:
      - 2
      - 0
    .max_flat_workgroup_size: 256
    .name:           _ZN7rocprim17ROCPRIM_400000_NS6detail17trampoline_kernelINS0_14default_configENS1_27scan_by_key_config_selectorIxxEEZZNS1_16scan_by_key_implILNS1_25lookback_scan_determinismE0ELb0ES3_N6thrust23THRUST_200600_302600_NS6detail15normal_iteratorINS9_10device_ptrIxEEEENS9_18transform_iteratorINS9_6negateIxEESE_NS9_11use_defaultESI_EESE_xNS9_4plusIvEENS9_8equal_toIvEExEE10hipError_tPvRmT2_T3_T4_T5_mT6_T7_P12ihipStream_tbENKUlT_T0_E_clISt17integral_constantIbLb1EES13_IbLb0EEEEDaSZ_S10_EUlSZ_E_NS1_11comp_targetILNS1_3genE0ELNS1_11target_archE4294967295ELNS1_3gpuE0ELNS1_3repE0EEENS1_30default_config_static_selectorELNS0_4arch9wavefront6targetE0EEEvT1_
    .private_segment_fixed_size: 0
    .sgpr_count:     0
    .sgpr_spill_count: 0
    .symbol:         _ZN7rocprim17ROCPRIM_400000_NS6detail17trampoline_kernelINS0_14default_configENS1_27scan_by_key_config_selectorIxxEEZZNS1_16scan_by_key_implILNS1_25lookback_scan_determinismE0ELb0ES3_N6thrust23THRUST_200600_302600_NS6detail15normal_iteratorINS9_10device_ptrIxEEEENS9_18transform_iteratorINS9_6negateIxEESE_NS9_11use_defaultESI_EESE_xNS9_4plusIvEENS9_8equal_toIvEExEE10hipError_tPvRmT2_T3_T4_T5_mT6_T7_P12ihipStream_tbENKUlT_T0_E_clISt17integral_constantIbLb1EES13_IbLb0EEEEDaSZ_S10_EUlSZ_E_NS1_11comp_targetILNS1_3genE0ELNS1_11target_archE4294967295ELNS1_3gpuE0ELNS1_3repE0EEENS1_30default_config_static_selectorELNS0_4arch9wavefront6targetE0EEEvT1_.kd
    .uniform_work_group_size: 1
    .uses_dynamic_stack: false
    .vgpr_count:     0
    .vgpr_spill_count: 0
    .wavefront_size: 32
    .workgroup_processor_mode: 1
  - .args:
      - .offset:         0
        .size:           144
        .value_kind:     by_value
    .group_segment_fixed_size: 0
    .kernarg_segment_align: 8
    .kernarg_segment_size: 144
    .language:       OpenCL C
    .language_version:
      - 2
      - 0
    .max_flat_workgroup_size: 256
    .name:           _ZN7rocprim17ROCPRIM_400000_NS6detail17trampoline_kernelINS0_14default_configENS1_27scan_by_key_config_selectorIxxEEZZNS1_16scan_by_key_implILNS1_25lookback_scan_determinismE0ELb0ES3_N6thrust23THRUST_200600_302600_NS6detail15normal_iteratorINS9_10device_ptrIxEEEENS9_18transform_iteratorINS9_6negateIxEESE_NS9_11use_defaultESI_EESE_xNS9_4plusIvEENS9_8equal_toIvEExEE10hipError_tPvRmT2_T3_T4_T5_mT6_T7_P12ihipStream_tbENKUlT_T0_E_clISt17integral_constantIbLb1EES13_IbLb0EEEEDaSZ_S10_EUlSZ_E_NS1_11comp_targetILNS1_3genE10ELNS1_11target_archE1201ELNS1_3gpuE5ELNS1_3repE0EEENS1_30default_config_static_selectorELNS0_4arch9wavefront6targetE0EEEvT1_
    .private_segment_fixed_size: 0
    .sgpr_count:     0
    .sgpr_spill_count: 0
    .symbol:         _ZN7rocprim17ROCPRIM_400000_NS6detail17trampoline_kernelINS0_14default_configENS1_27scan_by_key_config_selectorIxxEEZZNS1_16scan_by_key_implILNS1_25lookback_scan_determinismE0ELb0ES3_N6thrust23THRUST_200600_302600_NS6detail15normal_iteratorINS9_10device_ptrIxEEEENS9_18transform_iteratorINS9_6negateIxEESE_NS9_11use_defaultESI_EESE_xNS9_4plusIvEENS9_8equal_toIvEExEE10hipError_tPvRmT2_T3_T4_T5_mT6_T7_P12ihipStream_tbENKUlT_T0_E_clISt17integral_constantIbLb1EES13_IbLb0EEEEDaSZ_S10_EUlSZ_E_NS1_11comp_targetILNS1_3genE10ELNS1_11target_archE1201ELNS1_3gpuE5ELNS1_3repE0EEENS1_30default_config_static_selectorELNS0_4arch9wavefront6targetE0EEEvT1_.kd
    .uniform_work_group_size: 1
    .uses_dynamic_stack: false
    .vgpr_count:     0
    .vgpr_spill_count: 0
    .wavefront_size: 32
    .workgroup_processor_mode: 1
  - .args:
      - .offset:         0
        .size:           144
        .value_kind:     by_value
    .group_segment_fixed_size: 0
    .kernarg_segment_align: 8
    .kernarg_segment_size: 144
    .language:       OpenCL C
    .language_version:
      - 2
      - 0
    .max_flat_workgroup_size: 256
    .name:           _ZN7rocprim17ROCPRIM_400000_NS6detail17trampoline_kernelINS0_14default_configENS1_27scan_by_key_config_selectorIxxEEZZNS1_16scan_by_key_implILNS1_25lookback_scan_determinismE0ELb0ES3_N6thrust23THRUST_200600_302600_NS6detail15normal_iteratorINS9_10device_ptrIxEEEENS9_18transform_iteratorINS9_6negateIxEESE_NS9_11use_defaultESI_EESE_xNS9_4plusIvEENS9_8equal_toIvEExEE10hipError_tPvRmT2_T3_T4_T5_mT6_T7_P12ihipStream_tbENKUlT_T0_E_clISt17integral_constantIbLb1EES13_IbLb0EEEEDaSZ_S10_EUlSZ_E_NS1_11comp_targetILNS1_3genE5ELNS1_11target_archE942ELNS1_3gpuE9ELNS1_3repE0EEENS1_30default_config_static_selectorELNS0_4arch9wavefront6targetE0EEEvT1_
    .private_segment_fixed_size: 0
    .sgpr_count:     0
    .sgpr_spill_count: 0
    .symbol:         _ZN7rocprim17ROCPRIM_400000_NS6detail17trampoline_kernelINS0_14default_configENS1_27scan_by_key_config_selectorIxxEEZZNS1_16scan_by_key_implILNS1_25lookback_scan_determinismE0ELb0ES3_N6thrust23THRUST_200600_302600_NS6detail15normal_iteratorINS9_10device_ptrIxEEEENS9_18transform_iteratorINS9_6negateIxEESE_NS9_11use_defaultESI_EESE_xNS9_4plusIvEENS9_8equal_toIvEExEE10hipError_tPvRmT2_T3_T4_T5_mT6_T7_P12ihipStream_tbENKUlT_T0_E_clISt17integral_constantIbLb1EES13_IbLb0EEEEDaSZ_S10_EUlSZ_E_NS1_11comp_targetILNS1_3genE5ELNS1_11target_archE942ELNS1_3gpuE9ELNS1_3repE0EEENS1_30default_config_static_selectorELNS0_4arch9wavefront6targetE0EEEvT1_.kd
    .uniform_work_group_size: 1
    .uses_dynamic_stack: false
    .vgpr_count:     0
    .vgpr_spill_count: 0
    .wavefront_size: 32
    .workgroup_processor_mode: 1
  - .args:
      - .offset:         0
        .size:           144
        .value_kind:     by_value
    .group_segment_fixed_size: 0
    .kernarg_segment_align: 8
    .kernarg_segment_size: 144
    .language:       OpenCL C
    .language_version:
      - 2
      - 0
    .max_flat_workgroup_size: 64
    .name:           _ZN7rocprim17ROCPRIM_400000_NS6detail17trampoline_kernelINS0_14default_configENS1_27scan_by_key_config_selectorIxxEEZZNS1_16scan_by_key_implILNS1_25lookback_scan_determinismE0ELb0ES3_N6thrust23THRUST_200600_302600_NS6detail15normal_iteratorINS9_10device_ptrIxEEEENS9_18transform_iteratorINS9_6negateIxEESE_NS9_11use_defaultESI_EESE_xNS9_4plusIvEENS9_8equal_toIvEExEE10hipError_tPvRmT2_T3_T4_T5_mT6_T7_P12ihipStream_tbENKUlT_T0_E_clISt17integral_constantIbLb1EES13_IbLb0EEEEDaSZ_S10_EUlSZ_E_NS1_11comp_targetILNS1_3genE4ELNS1_11target_archE910ELNS1_3gpuE8ELNS1_3repE0EEENS1_30default_config_static_selectorELNS0_4arch9wavefront6targetE0EEEvT1_
    .private_segment_fixed_size: 0
    .sgpr_count:     0
    .sgpr_spill_count: 0
    .symbol:         _ZN7rocprim17ROCPRIM_400000_NS6detail17trampoline_kernelINS0_14default_configENS1_27scan_by_key_config_selectorIxxEEZZNS1_16scan_by_key_implILNS1_25lookback_scan_determinismE0ELb0ES3_N6thrust23THRUST_200600_302600_NS6detail15normal_iteratorINS9_10device_ptrIxEEEENS9_18transform_iteratorINS9_6negateIxEESE_NS9_11use_defaultESI_EESE_xNS9_4plusIvEENS9_8equal_toIvEExEE10hipError_tPvRmT2_T3_T4_T5_mT6_T7_P12ihipStream_tbENKUlT_T0_E_clISt17integral_constantIbLb1EES13_IbLb0EEEEDaSZ_S10_EUlSZ_E_NS1_11comp_targetILNS1_3genE4ELNS1_11target_archE910ELNS1_3gpuE8ELNS1_3repE0EEENS1_30default_config_static_selectorELNS0_4arch9wavefront6targetE0EEEvT1_.kd
    .uniform_work_group_size: 1
    .uses_dynamic_stack: false
    .vgpr_count:     0
    .vgpr_spill_count: 0
    .wavefront_size: 32
    .workgroup_processor_mode: 1
  - .args:
      - .offset:         0
        .size:           144
        .value_kind:     by_value
    .group_segment_fixed_size: 0
    .kernarg_segment_align: 8
    .kernarg_segment_size: 144
    .language:       OpenCL C
    .language_version:
      - 2
      - 0
    .max_flat_workgroup_size: 256
    .name:           _ZN7rocprim17ROCPRIM_400000_NS6detail17trampoline_kernelINS0_14default_configENS1_27scan_by_key_config_selectorIxxEEZZNS1_16scan_by_key_implILNS1_25lookback_scan_determinismE0ELb0ES3_N6thrust23THRUST_200600_302600_NS6detail15normal_iteratorINS9_10device_ptrIxEEEENS9_18transform_iteratorINS9_6negateIxEESE_NS9_11use_defaultESI_EESE_xNS9_4plusIvEENS9_8equal_toIvEExEE10hipError_tPvRmT2_T3_T4_T5_mT6_T7_P12ihipStream_tbENKUlT_T0_E_clISt17integral_constantIbLb1EES13_IbLb0EEEEDaSZ_S10_EUlSZ_E_NS1_11comp_targetILNS1_3genE3ELNS1_11target_archE908ELNS1_3gpuE7ELNS1_3repE0EEENS1_30default_config_static_selectorELNS0_4arch9wavefront6targetE0EEEvT1_
    .private_segment_fixed_size: 0
    .sgpr_count:     0
    .sgpr_spill_count: 0
    .symbol:         _ZN7rocprim17ROCPRIM_400000_NS6detail17trampoline_kernelINS0_14default_configENS1_27scan_by_key_config_selectorIxxEEZZNS1_16scan_by_key_implILNS1_25lookback_scan_determinismE0ELb0ES3_N6thrust23THRUST_200600_302600_NS6detail15normal_iteratorINS9_10device_ptrIxEEEENS9_18transform_iteratorINS9_6negateIxEESE_NS9_11use_defaultESI_EESE_xNS9_4plusIvEENS9_8equal_toIvEExEE10hipError_tPvRmT2_T3_T4_T5_mT6_T7_P12ihipStream_tbENKUlT_T0_E_clISt17integral_constantIbLb1EES13_IbLb0EEEEDaSZ_S10_EUlSZ_E_NS1_11comp_targetILNS1_3genE3ELNS1_11target_archE908ELNS1_3gpuE7ELNS1_3repE0EEENS1_30default_config_static_selectorELNS0_4arch9wavefront6targetE0EEEvT1_.kd
    .uniform_work_group_size: 1
    .uses_dynamic_stack: false
    .vgpr_count:     0
    .vgpr_spill_count: 0
    .wavefront_size: 32
    .workgroup_processor_mode: 1
  - .args:
      - .offset:         0
        .size:           144
        .value_kind:     by_value
    .group_segment_fixed_size: 0
    .kernarg_segment_align: 8
    .kernarg_segment_size: 144
    .language:       OpenCL C
    .language_version:
      - 2
      - 0
    .max_flat_workgroup_size: 256
    .name:           _ZN7rocprim17ROCPRIM_400000_NS6detail17trampoline_kernelINS0_14default_configENS1_27scan_by_key_config_selectorIxxEEZZNS1_16scan_by_key_implILNS1_25lookback_scan_determinismE0ELb0ES3_N6thrust23THRUST_200600_302600_NS6detail15normal_iteratorINS9_10device_ptrIxEEEENS9_18transform_iteratorINS9_6negateIxEESE_NS9_11use_defaultESI_EESE_xNS9_4plusIvEENS9_8equal_toIvEExEE10hipError_tPvRmT2_T3_T4_T5_mT6_T7_P12ihipStream_tbENKUlT_T0_E_clISt17integral_constantIbLb1EES13_IbLb0EEEEDaSZ_S10_EUlSZ_E_NS1_11comp_targetILNS1_3genE2ELNS1_11target_archE906ELNS1_3gpuE6ELNS1_3repE0EEENS1_30default_config_static_selectorELNS0_4arch9wavefront6targetE0EEEvT1_
    .private_segment_fixed_size: 0
    .sgpr_count:     0
    .sgpr_spill_count: 0
    .symbol:         _ZN7rocprim17ROCPRIM_400000_NS6detail17trampoline_kernelINS0_14default_configENS1_27scan_by_key_config_selectorIxxEEZZNS1_16scan_by_key_implILNS1_25lookback_scan_determinismE0ELb0ES3_N6thrust23THRUST_200600_302600_NS6detail15normal_iteratorINS9_10device_ptrIxEEEENS9_18transform_iteratorINS9_6negateIxEESE_NS9_11use_defaultESI_EESE_xNS9_4plusIvEENS9_8equal_toIvEExEE10hipError_tPvRmT2_T3_T4_T5_mT6_T7_P12ihipStream_tbENKUlT_T0_E_clISt17integral_constantIbLb1EES13_IbLb0EEEEDaSZ_S10_EUlSZ_E_NS1_11comp_targetILNS1_3genE2ELNS1_11target_archE906ELNS1_3gpuE6ELNS1_3repE0EEENS1_30default_config_static_selectorELNS0_4arch9wavefront6targetE0EEEvT1_.kd
    .uniform_work_group_size: 1
    .uses_dynamic_stack: false
    .vgpr_count:     0
    .vgpr_spill_count: 0
    .wavefront_size: 32
    .workgroup_processor_mode: 1
  - .args:
      - .offset:         0
        .size:           144
        .value_kind:     by_value
    .group_segment_fixed_size: 0
    .kernarg_segment_align: 8
    .kernarg_segment_size: 144
    .language:       OpenCL C
    .language_version:
      - 2
      - 0
    .max_flat_workgroup_size: 256
    .name:           _ZN7rocprim17ROCPRIM_400000_NS6detail17trampoline_kernelINS0_14default_configENS1_27scan_by_key_config_selectorIxxEEZZNS1_16scan_by_key_implILNS1_25lookback_scan_determinismE0ELb0ES3_N6thrust23THRUST_200600_302600_NS6detail15normal_iteratorINS9_10device_ptrIxEEEENS9_18transform_iteratorINS9_6negateIxEESE_NS9_11use_defaultESI_EESE_xNS9_4plusIvEENS9_8equal_toIvEExEE10hipError_tPvRmT2_T3_T4_T5_mT6_T7_P12ihipStream_tbENKUlT_T0_E_clISt17integral_constantIbLb1EES13_IbLb0EEEEDaSZ_S10_EUlSZ_E_NS1_11comp_targetILNS1_3genE10ELNS1_11target_archE1200ELNS1_3gpuE4ELNS1_3repE0EEENS1_30default_config_static_selectorELNS0_4arch9wavefront6targetE0EEEvT1_
    .private_segment_fixed_size: 0
    .sgpr_count:     0
    .sgpr_spill_count: 0
    .symbol:         _ZN7rocprim17ROCPRIM_400000_NS6detail17trampoline_kernelINS0_14default_configENS1_27scan_by_key_config_selectorIxxEEZZNS1_16scan_by_key_implILNS1_25lookback_scan_determinismE0ELb0ES3_N6thrust23THRUST_200600_302600_NS6detail15normal_iteratorINS9_10device_ptrIxEEEENS9_18transform_iteratorINS9_6negateIxEESE_NS9_11use_defaultESI_EESE_xNS9_4plusIvEENS9_8equal_toIvEExEE10hipError_tPvRmT2_T3_T4_T5_mT6_T7_P12ihipStream_tbENKUlT_T0_E_clISt17integral_constantIbLb1EES13_IbLb0EEEEDaSZ_S10_EUlSZ_E_NS1_11comp_targetILNS1_3genE10ELNS1_11target_archE1200ELNS1_3gpuE4ELNS1_3repE0EEENS1_30default_config_static_selectorELNS0_4arch9wavefront6targetE0EEEvT1_.kd
    .uniform_work_group_size: 1
    .uses_dynamic_stack: false
    .vgpr_count:     0
    .vgpr_spill_count: 0
    .wavefront_size: 32
    .workgroup_processor_mode: 1
  - .args:
      - .offset:         0
        .size:           144
        .value_kind:     by_value
    .group_segment_fixed_size: 0
    .kernarg_segment_align: 8
    .kernarg_segment_size: 144
    .language:       OpenCL C
    .language_version:
      - 2
      - 0
    .max_flat_workgroup_size: 256
    .name:           _ZN7rocprim17ROCPRIM_400000_NS6detail17trampoline_kernelINS0_14default_configENS1_27scan_by_key_config_selectorIxxEEZZNS1_16scan_by_key_implILNS1_25lookback_scan_determinismE0ELb0ES3_N6thrust23THRUST_200600_302600_NS6detail15normal_iteratorINS9_10device_ptrIxEEEENS9_18transform_iteratorINS9_6negateIxEESE_NS9_11use_defaultESI_EESE_xNS9_4plusIvEENS9_8equal_toIvEExEE10hipError_tPvRmT2_T3_T4_T5_mT6_T7_P12ihipStream_tbENKUlT_T0_E_clISt17integral_constantIbLb1EES13_IbLb0EEEEDaSZ_S10_EUlSZ_E_NS1_11comp_targetILNS1_3genE9ELNS1_11target_archE1100ELNS1_3gpuE3ELNS1_3repE0EEENS1_30default_config_static_selectorELNS0_4arch9wavefront6targetE0EEEvT1_
    .private_segment_fixed_size: 0
    .sgpr_count:     0
    .sgpr_spill_count: 0
    .symbol:         _ZN7rocprim17ROCPRIM_400000_NS6detail17trampoline_kernelINS0_14default_configENS1_27scan_by_key_config_selectorIxxEEZZNS1_16scan_by_key_implILNS1_25lookback_scan_determinismE0ELb0ES3_N6thrust23THRUST_200600_302600_NS6detail15normal_iteratorINS9_10device_ptrIxEEEENS9_18transform_iteratorINS9_6negateIxEESE_NS9_11use_defaultESI_EESE_xNS9_4plusIvEENS9_8equal_toIvEExEE10hipError_tPvRmT2_T3_T4_T5_mT6_T7_P12ihipStream_tbENKUlT_T0_E_clISt17integral_constantIbLb1EES13_IbLb0EEEEDaSZ_S10_EUlSZ_E_NS1_11comp_targetILNS1_3genE9ELNS1_11target_archE1100ELNS1_3gpuE3ELNS1_3repE0EEENS1_30default_config_static_selectorELNS0_4arch9wavefront6targetE0EEEvT1_.kd
    .uniform_work_group_size: 1
    .uses_dynamic_stack: false
    .vgpr_count:     0
    .vgpr_spill_count: 0
    .wavefront_size: 32
    .workgroup_processor_mode: 1
  - .args:
      - .offset:         0
        .size:           144
        .value_kind:     by_value
    .group_segment_fixed_size: 0
    .kernarg_segment_align: 8
    .kernarg_segment_size: 144
    .language:       OpenCL C
    .language_version:
      - 2
      - 0
    .max_flat_workgroup_size: 256
    .name:           _ZN7rocprim17ROCPRIM_400000_NS6detail17trampoline_kernelINS0_14default_configENS1_27scan_by_key_config_selectorIxxEEZZNS1_16scan_by_key_implILNS1_25lookback_scan_determinismE0ELb0ES3_N6thrust23THRUST_200600_302600_NS6detail15normal_iteratorINS9_10device_ptrIxEEEENS9_18transform_iteratorINS9_6negateIxEESE_NS9_11use_defaultESI_EESE_xNS9_4plusIvEENS9_8equal_toIvEExEE10hipError_tPvRmT2_T3_T4_T5_mT6_T7_P12ihipStream_tbENKUlT_T0_E_clISt17integral_constantIbLb1EES13_IbLb0EEEEDaSZ_S10_EUlSZ_E_NS1_11comp_targetILNS1_3genE8ELNS1_11target_archE1030ELNS1_3gpuE2ELNS1_3repE0EEENS1_30default_config_static_selectorELNS0_4arch9wavefront6targetE0EEEvT1_
    .private_segment_fixed_size: 0
    .sgpr_count:     0
    .sgpr_spill_count: 0
    .symbol:         _ZN7rocprim17ROCPRIM_400000_NS6detail17trampoline_kernelINS0_14default_configENS1_27scan_by_key_config_selectorIxxEEZZNS1_16scan_by_key_implILNS1_25lookback_scan_determinismE0ELb0ES3_N6thrust23THRUST_200600_302600_NS6detail15normal_iteratorINS9_10device_ptrIxEEEENS9_18transform_iteratorINS9_6negateIxEESE_NS9_11use_defaultESI_EESE_xNS9_4plusIvEENS9_8equal_toIvEExEE10hipError_tPvRmT2_T3_T4_T5_mT6_T7_P12ihipStream_tbENKUlT_T0_E_clISt17integral_constantIbLb1EES13_IbLb0EEEEDaSZ_S10_EUlSZ_E_NS1_11comp_targetILNS1_3genE8ELNS1_11target_archE1030ELNS1_3gpuE2ELNS1_3repE0EEENS1_30default_config_static_selectorELNS0_4arch9wavefront6targetE0EEEvT1_.kd
    .uniform_work_group_size: 1
    .uses_dynamic_stack: false
    .vgpr_count:     0
    .vgpr_spill_count: 0
    .wavefront_size: 32
    .workgroup_processor_mode: 1
  - .args:
      - .offset:         0
        .size:           144
        .value_kind:     by_value
    .group_segment_fixed_size: 0
    .kernarg_segment_align: 8
    .kernarg_segment_size: 144
    .language:       OpenCL C
    .language_version:
      - 2
      - 0
    .max_flat_workgroup_size: 256
    .name:           _ZN7rocprim17ROCPRIM_400000_NS6detail17trampoline_kernelINS0_14default_configENS1_27scan_by_key_config_selectorIxxEEZZNS1_16scan_by_key_implILNS1_25lookback_scan_determinismE0ELb0ES3_N6thrust23THRUST_200600_302600_NS6detail15normal_iteratorINS9_10device_ptrIxEEEENS9_18transform_iteratorINS9_6negateIxEESE_NS9_11use_defaultESI_EESE_xNS9_4plusIvEENS9_8equal_toIvEExEE10hipError_tPvRmT2_T3_T4_T5_mT6_T7_P12ihipStream_tbENKUlT_T0_E_clISt17integral_constantIbLb0EES13_IbLb1EEEEDaSZ_S10_EUlSZ_E_NS1_11comp_targetILNS1_3genE0ELNS1_11target_archE4294967295ELNS1_3gpuE0ELNS1_3repE0EEENS1_30default_config_static_selectorELNS0_4arch9wavefront6targetE0EEEvT1_
    .private_segment_fixed_size: 0
    .sgpr_count:     0
    .sgpr_spill_count: 0
    .symbol:         _ZN7rocprim17ROCPRIM_400000_NS6detail17trampoline_kernelINS0_14default_configENS1_27scan_by_key_config_selectorIxxEEZZNS1_16scan_by_key_implILNS1_25lookback_scan_determinismE0ELb0ES3_N6thrust23THRUST_200600_302600_NS6detail15normal_iteratorINS9_10device_ptrIxEEEENS9_18transform_iteratorINS9_6negateIxEESE_NS9_11use_defaultESI_EESE_xNS9_4plusIvEENS9_8equal_toIvEExEE10hipError_tPvRmT2_T3_T4_T5_mT6_T7_P12ihipStream_tbENKUlT_T0_E_clISt17integral_constantIbLb0EES13_IbLb1EEEEDaSZ_S10_EUlSZ_E_NS1_11comp_targetILNS1_3genE0ELNS1_11target_archE4294967295ELNS1_3gpuE0ELNS1_3repE0EEENS1_30default_config_static_selectorELNS0_4arch9wavefront6targetE0EEEvT1_.kd
    .uniform_work_group_size: 1
    .uses_dynamic_stack: false
    .vgpr_count:     0
    .vgpr_spill_count: 0
    .wavefront_size: 32
    .workgroup_processor_mode: 1
  - .args:
      - .offset:         0
        .size:           144
        .value_kind:     by_value
    .group_segment_fixed_size: 0
    .kernarg_segment_align: 8
    .kernarg_segment_size: 144
    .language:       OpenCL C
    .language_version:
      - 2
      - 0
    .max_flat_workgroup_size: 256
    .name:           _ZN7rocprim17ROCPRIM_400000_NS6detail17trampoline_kernelINS0_14default_configENS1_27scan_by_key_config_selectorIxxEEZZNS1_16scan_by_key_implILNS1_25lookback_scan_determinismE0ELb0ES3_N6thrust23THRUST_200600_302600_NS6detail15normal_iteratorINS9_10device_ptrIxEEEENS9_18transform_iteratorINS9_6negateIxEESE_NS9_11use_defaultESI_EESE_xNS9_4plusIvEENS9_8equal_toIvEExEE10hipError_tPvRmT2_T3_T4_T5_mT6_T7_P12ihipStream_tbENKUlT_T0_E_clISt17integral_constantIbLb0EES13_IbLb1EEEEDaSZ_S10_EUlSZ_E_NS1_11comp_targetILNS1_3genE10ELNS1_11target_archE1201ELNS1_3gpuE5ELNS1_3repE0EEENS1_30default_config_static_selectorELNS0_4arch9wavefront6targetE0EEEvT1_
    .private_segment_fixed_size: 0
    .sgpr_count:     0
    .sgpr_spill_count: 0
    .symbol:         _ZN7rocprim17ROCPRIM_400000_NS6detail17trampoline_kernelINS0_14default_configENS1_27scan_by_key_config_selectorIxxEEZZNS1_16scan_by_key_implILNS1_25lookback_scan_determinismE0ELb0ES3_N6thrust23THRUST_200600_302600_NS6detail15normal_iteratorINS9_10device_ptrIxEEEENS9_18transform_iteratorINS9_6negateIxEESE_NS9_11use_defaultESI_EESE_xNS9_4plusIvEENS9_8equal_toIvEExEE10hipError_tPvRmT2_T3_T4_T5_mT6_T7_P12ihipStream_tbENKUlT_T0_E_clISt17integral_constantIbLb0EES13_IbLb1EEEEDaSZ_S10_EUlSZ_E_NS1_11comp_targetILNS1_3genE10ELNS1_11target_archE1201ELNS1_3gpuE5ELNS1_3repE0EEENS1_30default_config_static_selectorELNS0_4arch9wavefront6targetE0EEEvT1_.kd
    .uniform_work_group_size: 1
    .uses_dynamic_stack: false
    .vgpr_count:     0
    .vgpr_spill_count: 0
    .wavefront_size: 32
    .workgroup_processor_mode: 1
  - .args:
      - .offset:         0
        .size:           144
        .value_kind:     by_value
    .group_segment_fixed_size: 0
    .kernarg_segment_align: 8
    .kernarg_segment_size: 144
    .language:       OpenCL C
    .language_version:
      - 2
      - 0
    .max_flat_workgroup_size: 256
    .name:           _ZN7rocprim17ROCPRIM_400000_NS6detail17trampoline_kernelINS0_14default_configENS1_27scan_by_key_config_selectorIxxEEZZNS1_16scan_by_key_implILNS1_25lookback_scan_determinismE0ELb0ES3_N6thrust23THRUST_200600_302600_NS6detail15normal_iteratorINS9_10device_ptrIxEEEENS9_18transform_iteratorINS9_6negateIxEESE_NS9_11use_defaultESI_EESE_xNS9_4plusIvEENS9_8equal_toIvEExEE10hipError_tPvRmT2_T3_T4_T5_mT6_T7_P12ihipStream_tbENKUlT_T0_E_clISt17integral_constantIbLb0EES13_IbLb1EEEEDaSZ_S10_EUlSZ_E_NS1_11comp_targetILNS1_3genE5ELNS1_11target_archE942ELNS1_3gpuE9ELNS1_3repE0EEENS1_30default_config_static_selectorELNS0_4arch9wavefront6targetE0EEEvT1_
    .private_segment_fixed_size: 0
    .sgpr_count:     0
    .sgpr_spill_count: 0
    .symbol:         _ZN7rocprim17ROCPRIM_400000_NS6detail17trampoline_kernelINS0_14default_configENS1_27scan_by_key_config_selectorIxxEEZZNS1_16scan_by_key_implILNS1_25lookback_scan_determinismE0ELb0ES3_N6thrust23THRUST_200600_302600_NS6detail15normal_iteratorINS9_10device_ptrIxEEEENS9_18transform_iteratorINS9_6negateIxEESE_NS9_11use_defaultESI_EESE_xNS9_4plusIvEENS9_8equal_toIvEExEE10hipError_tPvRmT2_T3_T4_T5_mT6_T7_P12ihipStream_tbENKUlT_T0_E_clISt17integral_constantIbLb0EES13_IbLb1EEEEDaSZ_S10_EUlSZ_E_NS1_11comp_targetILNS1_3genE5ELNS1_11target_archE942ELNS1_3gpuE9ELNS1_3repE0EEENS1_30default_config_static_selectorELNS0_4arch9wavefront6targetE0EEEvT1_.kd
    .uniform_work_group_size: 1
    .uses_dynamic_stack: false
    .vgpr_count:     0
    .vgpr_spill_count: 0
    .wavefront_size: 32
    .workgroup_processor_mode: 1
  - .args:
      - .offset:         0
        .size:           144
        .value_kind:     by_value
    .group_segment_fixed_size: 0
    .kernarg_segment_align: 8
    .kernarg_segment_size: 144
    .language:       OpenCL C
    .language_version:
      - 2
      - 0
    .max_flat_workgroup_size: 64
    .name:           _ZN7rocprim17ROCPRIM_400000_NS6detail17trampoline_kernelINS0_14default_configENS1_27scan_by_key_config_selectorIxxEEZZNS1_16scan_by_key_implILNS1_25lookback_scan_determinismE0ELb0ES3_N6thrust23THRUST_200600_302600_NS6detail15normal_iteratorINS9_10device_ptrIxEEEENS9_18transform_iteratorINS9_6negateIxEESE_NS9_11use_defaultESI_EESE_xNS9_4plusIvEENS9_8equal_toIvEExEE10hipError_tPvRmT2_T3_T4_T5_mT6_T7_P12ihipStream_tbENKUlT_T0_E_clISt17integral_constantIbLb0EES13_IbLb1EEEEDaSZ_S10_EUlSZ_E_NS1_11comp_targetILNS1_3genE4ELNS1_11target_archE910ELNS1_3gpuE8ELNS1_3repE0EEENS1_30default_config_static_selectorELNS0_4arch9wavefront6targetE0EEEvT1_
    .private_segment_fixed_size: 0
    .sgpr_count:     0
    .sgpr_spill_count: 0
    .symbol:         _ZN7rocprim17ROCPRIM_400000_NS6detail17trampoline_kernelINS0_14default_configENS1_27scan_by_key_config_selectorIxxEEZZNS1_16scan_by_key_implILNS1_25lookback_scan_determinismE0ELb0ES3_N6thrust23THRUST_200600_302600_NS6detail15normal_iteratorINS9_10device_ptrIxEEEENS9_18transform_iteratorINS9_6negateIxEESE_NS9_11use_defaultESI_EESE_xNS9_4plusIvEENS9_8equal_toIvEExEE10hipError_tPvRmT2_T3_T4_T5_mT6_T7_P12ihipStream_tbENKUlT_T0_E_clISt17integral_constantIbLb0EES13_IbLb1EEEEDaSZ_S10_EUlSZ_E_NS1_11comp_targetILNS1_3genE4ELNS1_11target_archE910ELNS1_3gpuE8ELNS1_3repE0EEENS1_30default_config_static_selectorELNS0_4arch9wavefront6targetE0EEEvT1_.kd
    .uniform_work_group_size: 1
    .uses_dynamic_stack: false
    .vgpr_count:     0
    .vgpr_spill_count: 0
    .wavefront_size: 32
    .workgroup_processor_mode: 1
  - .args:
      - .offset:         0
        .size:           144
        .value_kind:     by_value
    .group_segment_fixed_size: 0
    .kernarg_segment_align: 8
    .kernarg_segment_size: 144
    .language:       OpenCL C
    .language_version:
      - 2
      - 0
    .max_flat_workgroup_size: 256
    .name:           _ZN7rocprim17ROCPRIM_400000_NS6detail17trampoline_kernelINS0_14default_configENS1_27scan_by_key_config_selectorIxxEEZZNS1_16scan_by_key_implILNS1_25lookback_scan_determinismE0ELb0ES3_N6thrust23THRUST_200600_302600_NS6detail15normal_iteratorINS9_10device_ptrIxEEEENS9_18transform_iteratorINS9_6negateIxEESE_NS9_11use_defaultESI_EESE_xNS9_4plusIvEENS9_8equal_toIvEExEE10hipError_tPvRmT2_T3_T4_T5_mT6_T7_P12ihipStream_tbENKUlT_T0_E_clISt17integral_constantIbLb0EES13_IbLb1EEEEDaSZ_S10_EUlSZ_E_NS1_11comp_targetILNS1_3genE3ELNS1_11target_archE908ELNS1_3gpuE7ELNS1_3repE0EEENS1_30default_config_static_selectorELNS0_4arch9wavefront6targetE0EEEvT1_
    .private_segment_fixed_size: 0
    .sgpr_count:     0
    .sgpr_spill_count: 0
    .symbol:         _ZN7rocprim17ROCPRIM_400000_NS6detail17trampoline_kernelINS0_14default_configENS1_27scan_by_key_config_selectorIxxEEZZNS1_16scan_by_key_implILNS1_25lookback_scan_determinismE0ELb0ES3_N6thrust23THRUST_200600_302600_NS6detail15normal_iteratorINS9_10device_ptrIxEEEENS9_18transform_iteratorINS9_6negateIxEESE_NS9_11use_defaultESI_EESE_xNS9_4plusIvEENS9_8equal_toIvEExEE10hipError_tPvRmT2_T3_T4_T5_mT6_T7_P12ihipStream_tbENKUlT_T0_E_clISt17integral_constantIbLb0EES13_IbLb1EEEEDaSZ_S10_EUlSZ_E_NS1_11comp_targetILNS1_3genE3ELNS1_11target_archE908ELNS1_3gpuE7ELNS1_3repE0EEENS1_30default_config_static_selectorELNS0_4arch9wavefront6targetE0EEEvT1_.kd
    .uniform_work_group_size: 1
    .uses_dynamic_stack: false
    .vgpr_count:     0
    .vgpr_spill_count: 0
    .wavefront_size: 32
    .workgroup_processor_mode: 1
  - .args:
      - .offset:         0
        .size:           144
        .value_kind:     by_value
    .group_segment_fixed_size: 0
    .kernarg_segment_align: 8
    .kernarg_segment_size: 144
    .language:       OpenCL C
    .language_version:
      - 2
      - 0
    .max_flat_workgroup_size: 256
    .name:           _ZN7rocprim17ROCPRIM_400000_NS6detail17trampoline_kernelINS0_14default_configENS1_27scan_by_key_config_selectorIxxEEZZNS1_16scan_by_key_implILNS1_25lookback_scan_determinismE0ELb0ES3_N6thrust23THRUST_200600_302600_NS6detail15normal_iteratorINS9_10device_ptrIxEEEENS9_18transform_iteratorINS9_6negateIxEESE_NS9_11use_defaultESI_EESE_xNS9_4plusIvEENS9_8equal_toIvEExEE10hipError_tPvRmT2_T3_T4_T5_mT6_T7_P12ihipStream_tbENKUlT_T0_E_clISt17integral_constantIbLb0EES13_IbLb1EEEEDaSZ_S10_EUlSZ_E_NS1_11comp_targetILNS1_3genE2ELNS1_11target_archE906ELNS1_3gpuE6ELNS1_3repE0EEENS1_30default_config_static_selectorELNS0_4arch9wavefront6targetE0EEEvT1_
    .private_segment_fixed_size: 0
    .sgpr_count:     0
    .sgpr_spill_count: 0
    .symbol:         _ZN7rocprim17ROCPRIM_400000_NS6detail17trampoline_kernelINS0_14default_configENS1_27scan_by_key_config_selectorIxxEEZZNS1_16scan_by_key_implILNS1_25lookback_scan_determinismE0ELb0ES3_N6thrust23THRUST_200600_302600_NS6detail15normal_iteratorINS9_10device_ptrIxEEEENS9_18transform_iteratorINS9_6negateIxEESE_NS9_11use_defaultESI_EESE_xNS9_4plusIvEENS9_8equal_toIvEExEE10hipError_tPvRmT2_T3_T4_T5_mT6_T7_P12ihipStream_tbENKUlT_T0_E_clISt17integral_constantIbLb0EES13_IbLb1EEEEDaSZ_S10_EUlSZ_E_NS1_11comp_targetILNS1_3genE2ELNS1_11target_archE906ELNS1_3gpuE6ELNS1_3repE0EEENS1_30default_config_static_selectorELNS0_4arch9wavefront6targetE0EEEvT1_.kd
    .uniform_work_group_size: 1
    .uses_dynamic_stack: false
    .vgpr_count:     0
    .vgpr_spill_count: 0
    .wavefront_size: 32
    .workgroup_processor_mode: 1
  - .args:
      - .offset:         0
        .size:           144
        .value_kind:     by_value
    .group_segment_fixed_size: 0
    .kernarg_segment_align: 8
    .kernarg_segment_size: 144
    .language:       OpenCL C
    .language_version:
      - 2
      - 0
    .max_flat_workgroup_size: 256
    .name:           _ZN7rocprim17ROCPRIM_400000_NS6detail17trampoline_kernelINS0_14default_configENS1_27scan_by_key_config_selectorIxxEEZZNS1_16scan_by_key_implILNS1_25lookback_scan_determinismE0ELb0ES3_N6thrust23THRUST_200600_302600_NS6detail15normal_iteratorINS9_10device_ptrIxEEEENS9_18transform_iteratorINS9_6negateIxEESE_NS9_11use_defaultESI_EESE_xNS9_4plusIvEENS9_8equal_toIvEExEE10hipError_tPvRmT2_T3_T4_T5_mT6_T7_P12ihipStream_tbENKUlT_T0_E_clISt17integral_constantIbLb0EES13_IbLb1EEEEDaSZ_S10_EUlSZ_E_NS1_11comp_targetILNS1_3genE10ELNS1_11target_archE1200ELNS1_3gpuE4ELNS1_3repE0EEENS1_30default_config_static_selectorELNS0_4arch9wavefront6targetE0EEEvT1_
    .private_segment_fixed_size: 0
    .sgpr_count:     0
    .sgpr_spill_count: 0
    .symbol:         _ZN7rocprim17ROCPRIM_400000_NS6detail17trampoline_kernelINS0_14default_configENS1_27scan_by_key_config_selectorIxxEEZZNS1_16scan_by_key_implILNS1_25lookback_scan_determinismE0ELb0ES3_N6thrust23THRUST_200600_302600_NS6detail15normal_iteratorINS9_10device_ptrIxEEEENS9_18transform_iteratorINS9_6negateIxEESE_NS9_11use_defaultESI_EESE_xNS9_4plusIvEENS9_8equal_toIvEExEE10hipError_tPvRmT2_T3_T4_T5_mT6_T7_P12ihipStream_tbENKUlT_T0_E_clISt17integral_constantIbLb0EES13_IbLb1EEEEDaSZ_S10_EUlSZ_E_NS1_11comp_targetILNS1_3genE10ELNS1_11target_archE1200ELNS1_3gpuE4ELNS1_3repE0EEENS1_30default_config_static_selectorELNS0_4arch9wavefront6targetE0EEEvT1_.kd
    .uniform_work_group_size: 1
    .uses_dynamic_stack: false
    .vgpr_count:     0
    .vgpr_spill_count: 0
    .wavefront_size: 32
    .workgroup_processor_mode: 1
  - .args:
      - .offset:         0
        .size:           144
        .value_kind:     by_value
    .group_segment_fixed_size: 0
    .kernarg_segment_align: 8
    .kernarg_segment_size: 144
    .language:       OpenCL C
    .language_version:
      - 2
      - 0
    .max_flat_workgroup_size: 256
    .name:           _ZN7rocprim17ROCPRIM_400000_NS6detail17trampoline_kernelINS0_14default_configENS1_27scan_by_key_config_selectorIxxEEZZNS1_16scan_by_key_implILNS1_25lookback_scan_determinismE0ELb0ES3_N6thrust23THRUST_200600_302600_NS6detail15normal_iteratorINS9_10device_ptrIxEEEENS9_18transform_iteratorINS9_6negateIxEESE_NS9_11use_defaultESI_EESE_xNS9_4plusIvEENS9_8equal_toIvEExEE10hipError_tPvRmT2_T3_T4_T5_mT6_T7_P12ihipStream_tbENKUlT_T0_E_clISt17integral_constantIbLb0EES13_IbLb1EEEEDaSZ_S10_EUlSZ_E_NS1_11comp_targetILNS1_3genE9ELNS1_11target_archE1100ELNS1_3gpuE3ELNS1_3repE0EEENS1_30default_config_static_selectorELNS0_4arch9wavefront6targetE0EEEvT1_
    .private_segment_fixed_size: 0
    .sgpr_count:     0
    .sgpr_spill_count: 0
    .symbol:         _ZN7rocprim17ROCPRIM_400000_NS6detail17trampoline_kernelINS0_14default_configENS1_27scan_by_key_config_selectorIxxEEZZNS1_16scan_by_key_implILNS1_25lookback_scan_determinismE0ELb0ES3_N6thrust23THRUST_200600_302600_NS6detail15normal_iteratorINS9_10device_ptrIxEEEENS9_18transform_iteratorINS9_6negateIxEESE_NS9_11use_defaultESI_EESE_xNS9_4plusIvEENS9_8equal_toIvEExEE10hipError_tPvRmT2_T3_T4_T5_mT6_T7_P12ihipStream_tbENKUlT_T0_E_clISt17integral_constantIbLb0EES13_IbLb1EEEEDaSZ_S10_EUlSZ_E_NS1_11comp_targetILNS1_3genE9ELNS1_11target_archE1100ELNS1_3gpuE3ELNS1_3repE0EEENS1_30default_config_static_selectorELNS0_4arch9wavefront6targetE0EEEvT1_.kd
    .uniform_work_group_size: 1
    .uses_dynamic_stack: false
    .vgpr_count:     0
    .vgpr_spill_count: 0
    .wavefront_size: 32
    .workgroup_processor_mode: 1
  - .args:
      - .offset:         0
        .size:           144
        .value_kind:     by_value
    .group_segment_fixed_size: 30720
    .kernarg_segment_align: 8
    .kernarg_segment_size: 144
    .language:       OpenCL C
    .language_version:
      - 2
      - 0
    .max_flat_workgroup_size: 256
    .name:           _ZN7rocprim17ROCPRIM_400000_NS6detail17trampoline_kernelINS0_14default_configENS1_27scan_by_key_config_selectorIxxEEZZNS1_16scan_by_key_implILNS1_25lookback_scan_determinismE0ELb0ES3_N6thrust23THRUST_200600_302600_NS6detail15normal_iteratorINS9_10device_ptrIxEEEENS9_18transform_iteratorINS9_6negateIxEESE_NS9_11use_defaultESI_EESE_xNS9_4plusIvEENS9_8equal_toIvEExEE10hipError_tPvRmT2_T3_T4_T5_mT6_T7_P12ihipStream_tbENKUlT_T0_E_clISt17integral_constantIbLb0EES13_IbLb1EEEEDaSZ_S10_EUlSZ_E_NS1_11comp_targetILNS1_3genE8ELNS1_11target_archE1030ELNS1_3gpuE2ELNS1_3repE0EEENS1_30default_config_static_selectorELNS0_4arch9wavefront6targetE0EEEvT1_
    .private_segment_fixed_size: 0
    .sgpr_count:     53
    .sgpr_spill_count: 0
    .symbol:         _ZN7rocprim17ROCPRIM_400000_NS6detail17trampoline_kernelINS0_14default_configENS1_27scan_by_key_config_selectorIxxEEZZNS1_16scan_by_key_implILNS1_25lookback_scan_determinismE0ELb0ES3_N6thrust23THRUST_200600_302600_NS6detail15normal_iteratorINS9_10device_ptrIxEEEENS9_18transform_iteratorINS9_6negateIxEESE_NS9_11use_defaultESI_EESE_xNS9_4plusIvEENS9_8equal_toIvEExEE10hipError_tPvRmT2_T3_T4_T5_mT6_T7_P12ihipStream_tbENKUlT_T0_E_clISt17integral_constantIbLb0EES13_IbLb1EEEEDaSZ_S10_EUlSZ_E_NS1_11comp_targetILNS1_3genE8ELNS1_11target_archE1030ELNS1_3gpuE2ELNS1_3repE0EEENS1_30default_config_static_selectorELNS0_4arch9wavefront6targetE0EEEvT1_.kd
    .uniform_work_group_size: 1
    .uses_dynamic_stack: false
    .vgpr_count:     106
    .vgpr_spill_count: 0
    .wavefront_size: 32
    .workgroup_processor_mode: 1
  - .args:
      - .offset:         0
        .size:           120
        .value_kind:     by_value
    .group_segment_fixed_size: 0
    .kernarg_segment_align: 8
    .kernarg_segment_size: 120
    .language:       OpenCL C
    .language_version:
      - 2
      - 0
    .max_flat_workgroup_size: 256
    .name:           _ZN7rocprim17ROCPRIM_400000_NS6detail17trampoline_kernelINS0_14default_configENS1_27scan_by_key_config_selectorIiiEEZZNS1_16scan_by_key_implILNS1_25lookback_scan_determinismE0ELb0ES3_N6thrust23THRUST_200600_302600_NS6detail15normal_iteratorINS9_10device_ptrIiEEEENS9_18transform_iteratorINS9_6negateIiEESE_NS9_11use_defaultESI_EESE_iNS9_4plusIvEENS9_8equal_toIvEEiEE10hipError_tPvRmT2_T3_T4_T5_mT6_T7_P12ihipStream_tbENKUlT_T0_E_clISt17integral_constantIbLb0EES14_EEDaSZ_S10_EUlSZ_E_NS1_11comp_targetILNS1_3genE0ELNS1_11target_archE4294967295ELNS1_3gpuE0ELNS1_3repE0EEENS1_30default_config_static_selectorELNS0_4arch9wavefront6targetE0EEEvT1_
    .private_segment_fixed_size: 0
    .sgpr_count:     0
    .sgpr_spill_count: 0
    .symbol:         _ZN7rocprim17ROCPRIM_400000_NS6detail17trampoline_kernelINS0_14default_configENS1_27scan_by_key_config_selectorIiiEEZZNS1_16scan_by_key_implILNS1_25lookback_scan_determinismE0ELb0ES3_N6thrust23THRUST_200600_302600_NS6detail15normal_iteratorINS9_10device_ptrIiEEEENS9_18transform_iteratorINS9_6negateIiEESE_NS9_11use_defaultESI_EESE_iNS9_4plusIvEENS9_8equal_toIvEEiEE10hipError_tPvRmT2_T3_T4_T5_mT6_T7_P12ihipStream_tbENKUlT_T0_E_clISt17integral_constantIbLb0EES14_EEDaSZ_S10_EUlSZ_E_NS1_11comp_targetILNS1_3genE0ELNS1_11target_archE4294967295ELNS1_3gpuE0ELNS1_3repE0EEENS1_30default_config_static_selectorELNS0_4arch9wavefront6targetE0EEEvT1_.kd
    .uniform_work_group_size: 1
    .uses_dynamic_stack: false
    .vgpr_count:     0
    .vgpr_spill_count: 0
    .wavefront_size: 32
    .workgroup_processor_mode: 1
  - .args:
      - .offset:         0
        .size:           120
        .value_kind:     by_value
    .group_segment_fixed_size: 0
    .kernarg_segment_align: 8
    .kernarg_segment_size: 120
    .language:       OpenCL C
    .language_version:
      - 2
      - 0
    .max_flat_workgroup_size: 256
    .name:           _ZN7rocprim17ROCPRIM_400000_NS6detail17trampoline_kernelINS0_14default_configENS1_27scan_by_key_config_selectorIiiEEZZNS1_16scan_by_key_implILNS1_25lookback_scan_determinismE0ELb0ES3_N6thrust23THRUST_200600_302600_NS6detail15normal_iteratorINS9_10device_ptrIiEEEENS9_18transform_iteratorINS9_6negateIiEESE_NS9_11use_defaultESI_EESE_iNS9_4plusIvEENS9_8equal_toIvEEiEE10hipError_tPvRmT2_T3_T4_T5_mT6_T7_P12ihipStream_tbENKUlT_T0_E_clISt17integral_constantIbLb0EES14_EEDaSZ_S10_EUlSZ_E_NS1_11comp_targetILNS1_3genE10ELNS1_11target_archE1201ELNS1_3gpuE5ELNS1_3repE0EEENS1_30default_config_static_selectorELNS0_4arch9wavefront6targetE0EEEvT1_
    .private_segment_fixed_size: 0
    .sgpr_count:     0
    .sgpr_spill_count: 0
    .symbol:         _ZN7rocprim17ROCPRIM_400000_NS6detail17trampoline_kernelINS0_14default_configENS1_27scan_by_key_config_selectorIiiEEZZNS1_16scan_by_key_implILNS1_25lookback_scan_determinismE0ELb0ES3_N6thrust23THRUST_200600_302600_NS6detail15normal_iteratorINS9_10device_ptrIiEEEENS9_18transform_iteratorINS9_6negateIiEESE_NS9_11use_defaultESI_EESE_iNS9_4plusIvEENS9_8equal_toIvEEiEE10hipError_tPvRmT2_T3_T4_T5_mT6_T7_P12ihipStream_tbENKUlT_T0_E_clISt17integral_constantIbLb0EES14_EEDaSZ_S10_EUlSZ_E_NS1_11comp_targetILNS1_3genE10ELNS1_11target_archE1201ELNS1_3gpuE5ELNS1_3repE0EEENS1_30default_config_static_selectorELNS0_4arch9wavefront6targetE0EEEvT1_.kd
    .uniform_work_group_size: 1
    .uses_dynamic_stack: false
    .vgpr_count:     0
    .vgpr_spill_count: 0
    .wavefront_size: 32
    .workgroup_processor_mode: 1
  - .args:
      - .offset:         0
        .size:           120
        .value_kind:     by_value
    .group_segment_fixed_size: 0
    .kernarg_segment_align: 8
    .kernarg_segment_size: 120
    .language:       OpenCL C
    .language_version:
      - 2
      - 0
    .max_flat_workgroup_size: 256
    .name:           _ZN7rocprim17ROCPRIM_400000_NS6detail17trampoline_kernelINS0_14default_configENS1_27scan_by_key_config_selectorIiiEEZZNS1_16scan_by_key_implILNS1_25lookback_scan_determinismE0ELb0ES3_N6thrust23THRUST_200600_302600_NS6detail15normal_iteratorINS9_10device_ptrIiEEEENS9_18transform_iteratorINS9_6negateIiEESE_NS9_11use_defaultESI_EESE_iNS9_4plusIvEENS9_8equal_toIvEEiEE10hipError_tPvRmT2_T3_T4_T5_mT6_T7_P12ihipStream_tbENKUlT_T0_E_clISt17integral_constantIbLb0EES14_EEDaSZ_S10_EUlSZ_E_NS1_11comp_targetILNS1_3genE5ELNS1_11target_archE942ELNS1_3gpuE9ELNS1_3repE0EEENS1_30default_config_static_selectorELNS0_4arch9wavefront6targetE0EEEvT1_
    .private_segment_fixed_size: 0
    .sgpr_count:     0
    .sgpr_spill_count: 0
    .symbol:         _ZN7rocprim17ROCPRIM_400000_NS6detail17trampoline_kernelINS0_14default_configENS1_27scan_by_key_config_selectorIiiEEZZNS1_16scan_by_key_implILNS1_25lookback_scan_determinismE0ELb0ES3_N6thrust23THRUST_200600_302600_NS6detail15normal_iteratorINS9_10device_ptrIiEEEENS9_18transform_iteratorINS9_6negateIiEESE_NS9_11use_defaultESI_EESE_iNS9_4plusIvEENS9_8equal_toIvEEiEE10hipError_tPvRmT2_T3_T4_T5_mT6_T7_P12ihipStream_tbENKUlT_T0_E_clISt17integral_constantIbLb0EES14_EEDaSZ_S10_EUlSZ_E_NS1_11comp_targetILNS1_3genE5ELNS1_11target_archE942ELNS1_3gpuE9ELNS1_3repE0EEENS1_30default_config_static_selectorELNS0_4arch9wavefront6targetE0EEEvT1_.kd
    .uniform_work_group_size: 1
    .uses_dynamic_stack: false
    .vgpr_count:     0
    .vgpr_spill_count: 0
    .wavefront_size: 32
    .workgroup_processor_mode: 1
  - .args:
      - .offset:         0
        .size:           120
        .value_kind:     by_value
    .group_segment_fixed_size: 0
    .kernarg_segment_align: 8
    .kernarg_segment_size: 120
    .language:       OpenCL C
    .language_version:
      - 2
      - 0
    .max_flat_workgroup_size: 256
    .name:           _ZN7rocprim17ROCPRIM_400000_NS6detail17trampoline_kernelINS0_14default_configENS1_27scan_by_key_config_selectorIiiEEZZNS1_16scan_by_key_implILNS1_25lookback_scan_determinismE0ELb0ES3_N6thrust23THRUST_200600_302600_NS6detail15normal_iteratorINS9_10device_ptrIiEEEENS9_18transform_iteratorINS9_6negateIiEESE_NS9_11use_defaultESI_EESE_iNS9_4plusIvEENS9_8equal_toIvEEiEE10hipError_tPvRmT2_T3_T4_T5_mT6_T7_P12ihipStream_tbENKUlT_T0_E_clISt17integral_constantIbLb0EES14_EEDaSZ_S10_EUlSZ_E_NS1_11comp_targetILNS1_3genE4ELNS1_11target_archE910ELNS1_3gpuE8ELNS1_3repE0EEENS1_30default_config_static_selectorELNS0_4arch9wavefront6targetE0EEEvT1_
    .private_segment_fixed_size: 0
    .sgpr_count:     0
    .sgpr_spill_count: 0
    .symbol:         _ZN7rocprim17ROCPRIM_400000_NS6detail17trampoline_kernelINS0_14default_configENS1_27scan_by_key_config_selectorIiiEEZZNS1_16scan_by_key_implILNS1_25lookback_scan_determinismE0ELb0ES3_N6thrust23THRUST_200600_302600_NS6detail15normal_iteratorINS9_10device_ptrIiEEEENS9_18transform_iteratorINS9_6negateIiEESE_NS9_11use_defaultESI_EESE_iNS9_4plusIvEENS9_8equal_toIvEEiEE10hipError_tPvRmT2_T3_T4_T5_mT6_T7_P12ihipStream_tbENKUlT_T0_E_clISt17integral_constantIbLb0EES14_EEDaSZ_S10_EUlSZ_E_NS1_11comp_targetILNS1_3genE4ELNS1_11target_archE910ELNS1_3gpuE8ELNS1_3repE0EEENS1_30default_config_static_selectorELNS0_4arch9wavefront6targetE0EEEvT1_.kd
    .uniform_work_group_size: 1
    .uses_dynamic_stack: false
    .vgpr_count:     0
    .vgpr_spill_count: 0
    .wavefront_size: 32
    .workgroup_processor_mode: 1
  - .args:
      - .offset:         0
        .size:           120
        .value_kind:     by_value
    .group_segment_fixed_size: 0
    .kernarg_segment_align: 8
    .kernarg_segment_size: 120
    .language:       OpenCL C
    .language_version:
      - 2
      - 0
    .max_flat_workgroup_size: 256
    .name:           _ZN7rocprim17ROCPRIM_400000_NS6detail17trampoline_kernelINS0_14default_configENS1_27scan_by_key_config_selectorIiiEEZZNS1_16scan_by_key_implILNS1_25lookback_scan_determinismE0ELb0ES3_N6thrust23THRUST_200600_302600_NS6detail15normal_iteratorINS9_10device_ptrIiEEEENS9_18transform_iteratorINS9_6negateIiEESE_NS9_11use_defaultESI_EESE_iNS9_4plusIvEENS9_8equal_toIvEEiEE10hipError_tPvRmT2_T3_T4_T5_mT6_T7_P12ihipStream_tbENKUlT_T0_E_clISt17integral_constantIbLb0EES14_EEDaSZ_S10_EUlSZ_E_NS1_11comp_targetILNS1_3genE3ELNS1_11target_archE908ELNS1_3gpuE7ELNS1_3repE0EEENS1_30default_config_static_selectorELNS0_4arch9wavefront6targetE0EEEvT1_
    .private_segment_fixed_size: 0
    .sgpr_count:     0
    .sgpr_spill_count: 0
    .symbol:         _ZN7rocprim17ROCPRIM_400000_NS6detail17trampoline_kernelINS0_14default_configENS1_27scan_by_key_config_selectorIiiEEZZNS1_16scan_by_key_implILNS1_25lookback_scan_determinismE0ELb0ES3_N6thrust23THRUST_200600_302600_NS6detail15normal_iteratorINS9_10device_ptrIiEEEENS9_18transform_iteratorINS9_6negateIiEESE_NS9_11use_defaultESI_EESE_iNS9_4plusIvEENS9_8equal_toIvEEiEE10hipError_tPvRmT2_T3_T4_T5_mT6_T7_P12ihipStream_tbENKUlT_T0_E_clISt17integral_constantIbLb0EES14_EEDaSZ_S10_EUlSZ_E_NS1_11comp_targetILNS1_3genE3ELNS1_11target_archE908ELNS1_3gpuE7ELNS1_3repE0EEENS1_30default_config_static_selectorELNS0_4arch9wavefront6targetE0EEEvT1_.kd
    .uniform_work_group_size: 1
    .uses_dynamic_stack: false
    .vgpr_count:     0
    .vgpr_spill_count: 0
    .wavefront_size: 32
    .workgroup_processor_mode: 1
  - .args:
      - .offset:         0
        .size:           120
        .value_kind:     by_value
    .group_segment_fixed_size: 0
    .kernarg_segment_align: 8
    .kernarg_segment_size: 120
    .language:       OpenCL C
    .language_version:
      - 2
      - 0
    .max_flat_workgroup_size: 256
    .name:           _ZN7rocprim17ROCPRIM_400000_NS6detail17trampoline_kernelINS0_14default_configENS1_27scan_by_key_config_selectorIiiEEZZNS1_16scan_by_key_implILNS1_25lookback_scan_determinismE0ELb0ES3_N6thrust23THRUST_200600_302600_NS6detail15normal_iteratorINS9_10device_ptrIiEEEENS9_18transform_iteratorINS9_6negateIiEESE_NS9_11use_defaultESI_EESE_iNS9_4plusIvEENS9_8equal_toIvEEiEE10hipError_tPvRmT2_T3_T4_T5_mT6_T7_P12ihipStream_tbENKUlT_T0_E_clISt17integral_constantIbLb0EES14_EEDaSZ_S10_EUlSZ_E_NS1_11comp_targetILNS1_3genE2ELNS1_11target_archE906ELNS1_3gpuE6ELNS1_3repE0EEENS1_30default_config_static_selectorELNS0_4arch9wavefront6targetE0EEEvT1_
    .private_segment_fixed_size: 0
    .sgpr_count:     0
    .sgpr_spill_count: 0
    .symbol:         _ZN7rocprim17ROCPRIM_400000_NS6detail17trampoline_kernelINS0_14default_configENS1_27scan_by_key_config_selectorIiiEEZZNS1_16scan_by_key_implILNS1_25lookback_scan_determinismE0ELb0ES3_N6thrust23THRUST_200600_302600_NS6detail15normal_iteratorINS9_10device_ptrIiEEEENS9_18transform_iteratorINS9_6negateIiEESE_NS9_11use_defaultESI_EESE_iNS9_4plusIvEENS9_8equal_toIvEEiEE10hipError_tPvRmT2_T3_T4_T5_mT6_T7_P12ihipStream_tbENKUlT_T0_E_clISt17integral_constantIbLb0EES14_EEDaSZ_S10_EUlSZ_E_NS1_11comp_targetILNS1_3genE2ELNS1_11target_archE906ELNS1_3gpuE6ELNS1_3repE0EEENS1_30default_config_static_selectorELNS0_4arch9wavefront6targetE0EEEvT1_.kd
    .uniform_work_group_size: 1
    .uses_dynamic_stack: false
    .vgpr_count:     0
    .vgpr_spill_count: 0
    .wavefront_size: 32
    .workgroup_processor_mode: 1
  - .args:
      - .offset:         0
        .size:           120
        .value_kind:     by_value
    .group_segment_fixed_size: 0
    .kernarg_segment_align: 8
    .kernarg_segment_size: 120
    .language:       OpenCL C
    .language_version:
      - 2
      - 0
    .max_flat_workgroup_size: 256
    .name:           _ZN7rocprim17ROCPRIM_400000_NS6detail17trampoline_kernelINS0_14default_configENS1_27scan_by_key_config_selectorIiiEEZZNS1_16scan_by_key_implILNS1_25lookback_scan_determinismE0ELb0ES3_N6thrust23THRUST_200600_302600_NS6detail15normal_iteratorINS9_10device_ptrIiEEEENS9_18transform_iteratorINS9_6negateIiEESE_NS9_11use_defaultESI_EESE_iNS9_4plusIvEENS9_8equal_toIvEEiEE10hipError_tPvRmT2_T3_T4_T5_mT6_T7_P12ihipStream_tbENKUlT_T0_E_clISt17integral_constantIbLb0EES14_EEDaSZ_S10_EUlSZ_E_NS1_11comp_targetILNS1_3genE10ELNS1_11target_archE1200ELNS1_3gpuE4ELNS1_3repE0EEENS1_30default_config_static_selectorELNS0_4arch9wavefront6targetE0EEEvT1_
    .private_segment_fixed_size: 0
    .sgpr_count:     0
    .sgpr_spill_count: 0
    .symbol:         _ZN7rocprim17ROCPRIM_400000_NS6detail17trampoline_kernelINS0_14default_configENS1_27scan_by_key_config_selectorIiiEEZZNS1_16scan_by_key_implILNS1_25lookback_scan_determinismE0ELb0ES3_N6thrust23THRUST_200600_302600_NS6detail15normal_iteratorINS9_10device_ptrIiEEEENS9_18transform_iteratorINS9_6negateIiEESE_NS9_11use_defaultESI_EESE_iNS9_4plusIvEENS9_8equal_toIvEEiEE10hipError_tPvRmT2_T3_T4_T5_mT6_T7_P12ihipStream_tbENKUlT_T0_E_clISt17integral_constantIbLb0EES14_EEDaSZ_S10_EUlSZ_E_NS1_11comp_targetILNS1_3genE10ELNS1_11target_archE1200ELNS1_3gpuE4ELNS1_3repE0EEENS1_30default_config_static_selectorELNS0_4arch9wavefront6targetE0EEEvT1_.kd
    .uniform_work_group_size: 1
    .uses_dynamic_stack: false
    .vgpr_count:     0
    .vgpr_spill_count: 0
    .wavefront_size: 32
    .workgroup_processor_mode: 1
  - .args:
      - .offset:         0
        .size:           120
        .value_kind:     by_value
    .group_segment_fixed_size: 0
    .kernarg_segment_align: 8
    .kernarg_segment_size: 120
    .language:       OpenCL C
    .language_version:
      - 2
      - 0
    .max_flat_workgroup_size: 256
    .name:           _ZN7rocprim17ROCPRIM_400000_NS6detail17trampoline_kernelINS0_14default_configENS1_27scan_by_key_config_selectorIiiEEZZNS1_16scan_by_key_implILNS1_25lookback_scan_determinismE0ELb0ES3_N6thrust23THRUST_200600_302600_NS6detail15normal_iteratorINS9_10device_ptrIiEEEENS9_18transform_iteratorINS9_6negateIiEESE_NS9_11use_defaultESI_EESE_iNS9_4plusIvEENS9_8equal_toIvEEiEE10hipError_tPvRmT2_T3_T4_T5_mT6_T7_P12ihipStream_tbENKUlT_T0_E_clISt17integral_constantIbLb0EES14_EEDaSZ_S10_EUlSZ_E_NS1_11comp_targetILNS1_3genE9ELNS1_11target_archE1100ELNS1_3gpuE3ELNS1_3repE0EEENS1_30default_config_static_selectorELNS0_4arch9wavefront6targetE0EEEvT1_
    .private_segment_fixed_size: 0
    .sgpr_count:     0
    .sgpr_spill_count: 0
    .symbol:         _ZN7rocprim17ROCPRIM_400000_NS6detail17trampoline_kernelINS0_14default_configENS1_27scan_by_key_config_selectorIiiEEZZNS1_16scan_by_key_implILNS1_25lookback_scan_determinismE0ELb0ES3_N6thrust23THRUST_200600_302600_NS6detail15normal_iteratorINS9_10device_ptrIiEEEENS9_18transform_iteratorINS9_6negateIiEESE_NS9_11use_defaultESI_EESE_iNS9_4plusIvEENS9_8equal_toIvEEiEE10hipError_tPvRmT2_T3_T4_T5_mT6_T7_P12ihipStream_tbENKUlT_T0_E_clISt17integral_constantIbLb0EES14_EEDaSZ_S10_EUlSZ_E_NS1_11comp_targetILNS1_3genE9ELNS1_11target_archE1100ELNS1_3gpuE3ELNS1_3repE0EEENS1_30default_config_static_selectorELNS0_4arch9wavefront6targetE0EEEvT1_.kd
    .uniform_work_group_size: 1
    .uses_dynamic_stack: false
    .vgpr_count:     0
    .vgpr_spill_count: 0
    .wavefront_size: 32
    .workgroup_processor_mode: 1
  - .args:
      - .offset:         0
        .size:           120
        .value_kind:     by_value
    .group_segment_fixed_size: 5120
    .kernarg_segment_align: 8
    .kernarg_segment_size: 120
    .language:       OpenCL C
    .language_version:
      - 2
      - 0
    .max_flat_workgroup_size: 256
    .name:           _ZN7rocprim17ROCPRIM_400000_NS6detail17trampoline_kernelINS0_14default_configENS1_27scan_by_key_config_selectorIiiEEZZNS1_16scan_by_key_implILNS1_25lookback_scan_determinismE0ELb0ES3_N6thrust23THRUST_200600_302600_NS6detail15normal_iteratorINS9_10device_ptrIiEEEENS9_18transform_iteratorINS9_6negateIiEESE_NS9_11use_defaultESI_EESE_iNS9_4plusIvEENS9_8equal_toIvEEiEE10hipError_tPvRmT2_T3_T4_T5_mT6_T7_P12ihipStream_tbENKUlT_T0_E_clISt17integral_constantIbLb0EES14_EEDaSZ_S10_EUlSZ_E_NS1_11comp_targetILNS1_3genE8ELNS1_11target_archE1030ELNS1_3gpuE2ELNS1_3repE0EEENS1_30default_config_static_selectorELNS0_4arch9wavefront6targetE0EEEvT1_
    .private_segment_fixed_size: 0
    .sgpr_count:     33
    .sgpr_spill_count: 0
    .symbol:         _ZN7rocprim17ROCPRIM_400000_NS6detail17trampoline_kernelINS0_14default_configENS1_27scan_by_key_config_selectorIiiEEZZNS1_16scan_by_key_implILNS1_25lookback_scan_determinismE0ELb0ES3_N6thrust23THRUST_200600_302600_NS6detail15normal_iteratorINS9_10device_ptrIiEEEENS9_18transform_iteratorINS9_6negateIiEESE_NS9_11use_defaultESI_EESE_iNS9_4plusIvEENS9_8equal_toIvEEiEE10hipError_tPvRmT2_T3_T4_T5_mT6_T7_P12ihipStream_tbENKUlT_T0_E_clISt17integral_constantIbLb0EES14_EEDaSZ_S10_EUlSZ_E_NS1_11comp_targetILNS1_3genE8ELNS1_11target_archE1030ELNS1_3gpuE2ELNS1_3repE0EEENS1_30default_config_static_selectorELNS0_4arch9wavefront6targetE0EEEvT1_.kd
    .uniform_work_group_size: 1
    .uses_dynamic_stack: false
    .vgpr_count:     42
    .vgpr_spill_count: 0
    .wavefront_size: 32
    .workgroup_processor_mode: 1
  - .args:
      - .offset:         0
        .size:           120
        .value_kind:     by_value
    .group_segment_fixed_size: 0
    .kernarg_segment_align: 8
    .kernarg_segment_size: 120
    .language:       OpenCL C
    .language_version:
      - 2
      - 0
    .max_flat_workgroup_size: 256
    .name:           _ZN7rocprim17ROCPRIM_400000_NS6detail17trampoline_kernelINS0_14default_configENS1_27scan_by_key_config_selectorIiiEEZZNS1_16scan_by_key_implILNS1_25lookback_scan_determinismE0ELb0ES3_N6thrust23THRUST_200600_302600_NS6detail15normal_iteratorINS9_10device_ptrIiEEEENS9_18transform_iteratorINS9_6negateIiEESE_NS9_11use_defaultESI_EESE_iNS9_4plusIvEENS9_8equal_toIvEEiEE10hipError_tPvRmT2_T3_T4_T5_mT6_T7_P12ihipStream_tbENKUlT_T0_E_clISt17integral_constantIbLb1EES14_EEDaSZ_S10_EUlSZ_E_NS1_11comp_targetILNS1_3genE0ELNS1_11target_archE4294967295ELNS1_3gpuE0ELNS1_3repE0EEENS1_30default_config_static_selectorELNS0_4arch9wavefront6targetE0EEEvT1_
    .private_segment_fixed_size: 0
    .sgpr_count:     0
    .sgpr_spill_count: 0
    .symbol:         _ZN7rocprim17ROCPRIM_400000_NS6detail17trampoline_kernelINS0_14default_configENS1_27scan_by_key_config_selectorIiiEEZZNS1_16scan_by_key_implILNS1_25lookback_scan_determinismE0ELb0ES3_N6thrust23THRUST_200600_302600_NS6detail15normal_iteratorINS9_10device_ptrIiEEEENS9_18transform_iteratorINS9_6negateIiEESE_NS9_11use_defaultESI_EESE_iNS9_4plusIvEENS9_8equal_toIvEEiEE10hipError_tPvRmT2_T3_T4_T5_mT6_T7_P12ihipStream_tbENKUlT_T0_E_clISt17integral_constantIbLb1EES14_EEDaSZ_S10_EUlSZ_E_NS1_11comp_targetILNS1_3genE0ELNS1_11target_archE4294967295ELNS1_3gpuE0ELNS1_3repE0EEENS1_30default_config_static_selectorELNS0_4arch9wavefront6targetE0EEEvT1_.kd
    .uniform_work_group_size: 1
    .uses_dynamic_stack: false
    .vgpr_count:     0
    .vgpr_spill_count: 0
    .wavefront_size: 32
    .workgroup_processor_mode: 1
  - .args:
      - .offset:         0
        .size:           120
        .value_kind:     by_value
    .group_segment_fixed_size: 0
    .kernarg_segment_align: 8
    .kernarg_segment_size: 120
    .language:       OpenCL C
    .language_version:
      - 2
      - 0
    .max_flat_workgroup_size: 256
    .name:           _ZN7rocprim17ROCPRIM_400000_NS6detail17trampoline_kernelINS0_14default_configENS1_27scan_by_key_config_selectorIiiEEZZNS1_16scan_by_key_implILNS1_25lookback_scan_determinismE0ELb0ES3_N6thrust23THRUST_200600_302600_NS6detail15normal_iteratorINS9_10device_ptrIiEEEENS9_18transform_iteratorINS9_6negateIiEESE_NS9_11use_defaultESI_EESE_iNS9_4plusIvEENS9_8equal_toIvEEiEE10hipError_tPvRmT2_T3_T4_T5_mT6_T7_P12ihipStream_tbENKUlT_T0_E_clISt17integral_constantIbLb1EES14_EEDaSZ_S10_EUlSZ_E_NS1_11comp_targetILNS1_3genE10ELNS1_11target_archE1201ELNS1_3gpuE5ELNS1_3repE0EEENS1_30default_config_static_selectorELNS0_4arch9wavefront6targetE0EEEvT1_
    .private_segment_fixed_size: 0
    .sgpr_count:     0
    .sgpr_spill_count: 0
    .symbol:         _ZN7rocprim17ROCPRIM_400000_NS6detail17trampoline_kernelINS0_14default_configENS1_27scan_by_key_config_selectorIiiEEZZNS1_16scan_by_key_implILNS1_25lookback_scan_determinismE0ELb0ES3_N6thrust23THRUST_200600_302600_NS6detail15normal_iteratorINS9_10device_ptrIiEEEENS9_18transform_iteratorINS9_6negateIiEESE_NS9_11use_defaultESI_EESE_iNS9_4plusIvEENS9_8equal_toIvEEiEE10hipError_tPvRmT2_T3_T4_T5_mT6_T7_P12ihipStream_tbENKUlT_T0_E_clISt17integral_constantIbLb1EES14_EEDaSZ_S10_EUlSZ_E_NS1_11comp_targetILNS1_3genE10ELNS1_11target_archE1201ELNS1_3gpuE5ELNS1_3repE0EEENS1_30default_config_static_selectorELNS0_4arch9wavefront6targetE0EEEvT1_.kd
    .uniform_work_group_size: 1
    .uses_dynamic_stack: false
    .vgpr_count:     0
    .vgpr_spill_count: 0
    .wavefront_size: 32
    .workgroup_processor_mode: 1
  - .args:
      - .offset:         0
        .size:           120
        .value_kind:     by_value
    .group_segment_fixed_size: 0
    .kernarg_segment_align: 8
    .kernarg_segment_size: 120
    .language:       OpenCL C
    .language_version:
      - 2
      - 0
    .max_flat_workgroup_size: 256
    .name:           _ZN7rocprim17ROCPRIM_400000_NS6detail17trampoline_kernelINS0_14default_configENS1_27scan_by_key_config_selectorIiiEEZZNS1_16scan_by_key_implILNS1_25lookback_scan_determinismE0ELb0ES3_N6thrust23THRUST_200600_302600_NS6detail15normal_iteratorINS9_10device_ptrIiEEEENS9_18transform_iteratorINS9_6negateIiEESE_NS9_11use_defaultESI_EESE_iNS9_4plusIvEENS9_8equal_toIvEEiEE10hipError_tPvRmT2_T3_T4_T5_mT6_T7_P12ihipStream_tbENKUlT_T0_E_clISt17integral_constantIbLb1EES14_EEDaSZ_S10_EUlSZ_E_NS1_11comp_targetILNS1_3genE5ELNS1_11target_archE942ELNS1_3gpuE9ELNS1_3repE0EEENS1_30default_config_static_selectorELNS0_4arch9wavefront6targetE0EEEvT1_
    .private_segment_fixed_size: 0
    .sgpr_count:     0
    .sgpr_spill_count: 0
    .symbol:         _ZN7rocprim17ROCPRIM_400000_NS6detail17trampoline_kernelINS0_14default_configENS1_27scan_by_key_config_selectorIiiEEZZNS1_16scan_by_key_implILNS1_25lookback_scan_determinismE0ELb0ES3_N6thrust23THRUST_200600_302600_NS6detail15normal_iteratorINS9_10device_ptrIiEEEENS9_18transform_iteratorINS9_6negateIiEESE_NS9_11use_defaultESI_EESE_iNS9_4plusIvEENS9_8equal_toIvEEiEE10hipError_tPvRmT2_T3_T4_T5_mT6_T7_P12ihipStream_tbENKUlT_T0_E_clISt17integral_constantIbLb1EES14_EEDaSZ_S10_EUlSZ_E_NS1_11comp_targetILNS1_3genE5ELNS1_11target_archE942ELNS1_3gpuE9ELNS1_3repE0EEENS1_30default_config_static_selectorELNS0_4arch9wavefront6targetE0EEEvT1_.kd
    .uniform_work_group_size: 1
    .uses_dynamic_stack: false
    .vgpr_count:     0
    .vgpr_spill_count: 0
    .wavefront_size: 32
    .workgroup_processor_mode: 1
  - .args:
      - .offset:         0
        .size:           120
        .value_kind:     by_value
    .group_segment_fixed_size: 0
    .kernarg_segment_align: 8
    .kernarg_segment_size: 120
    .language:       OpenCL C
    .language_version:
      - 2
      - 0
    .max_flat_workgroup_size: 256
    .name:           _ZN7rocprim17ROCPRIM_400000_NS6detail17trampoline_kernelINS0_14default_configENS1_27scan_by_key_config_selectorIiiEEZZNS1_16scan_by_key_implILNS1_25lookback_scan_determinismE0ELb0ES3_N6thrust23THRUST_200600_302600_NS6detail15normal_iteratorINS9_10device_ptrIiEEEENS9_18transform_iteratorINS9_6negateIiEESE_NS9_11use_defaultESI_EESE_iNS9_4plusIvEENS9_8equal_toIvEEiEE10hipError_tPvRmT2_T3_T4_T5_mT6_T7_P12ihipStream_tbENKUlT_T0_E_clISt17integral_constantIbLb1EES14_EEDaSZ_S10_EUlSZ_E_NS1_11comp_targetILNS1_3genE4ELNS1_11target_archE910ELNS1_3gpuE8ELNS1_3repE0EEENS1_30default_config_static_selectorELNS0_4arch9wavefront6targetE0EEEvT1_
    .private_segment_fixed_size: 0
    .sgpr_count:     0
    .sgpr_spill_count: 0
    .symbol:         _ZN7rocprim17ROCPRIM_400000_NS6detail17trampoline_kernelINS0_14default_configENS1_27scan_by_key_config_selectorIiiEEZZNS1_16scan_by_key_implILNS1_25lookback_scan_determinismE0ELb0ES3_N6thrust23THRUST_200600_302600_NS6detail15normal_iteratorINS9_10device_ptrIiEEEENS9_18transform_iteratorINS9_6negateIiEESE_NS9_11use_defaultESI_EESE_iNS9_4plusIvEENS9_8equal_toIvEEiEE10hipError_tPvRmT2_T3_T4_T5_mT6_T7_P12ihipStream_tbENKUlT_T0_E_clISt17integral_constantIbLb1EES14_EEDaSZ_S10_EUlSZ_E_NS1_11comp_targetILNS1_3genE4ELNS1_11target_archE910ELNS1_3gpuE8ELNS1_3repE0EEENS1_30default_config_static_selectorELNS0_4arch9wavefront6targetE0EEEvT1_.kd
    .uniform_work_group_size: 1
    .uses_dynamic_stack: false
    .vgpr_count:     0
    .vgpr_spill_count: 0
    .wavefront_size: 32
    .workgroup_processor_mode: 1
  - .args:
      - .offset:         0
        .size:           120
        .value_kind:     by_value
    .group_segment_fixed_size: 0
    .kernarg_segment_align: 8
    .kernarg_segment_size: 120
    .language:       OpenCL C
    .language_version:
      - 2
      - 0
    .max_flat_workgroup_size: 256
    .name:           _ZN7rocprim17ROCPRIM_400000_NS6detail17trampoline_kernelINS0_14default_configENS1_27scan_by_key_config_selectorIiiEEZZNS1_16scan_by_key_implILNS1_25lookback_scan_determinismE0ELb0ES3_N6thrust23THRUST_200600_302600_NS6detail15normal_iteratorINS9_10device_ptrIiEEEENS9_18transform_iteratorINS9_6negateIiEESE_NS9_11use_defaultESI_EESE_iNS9_4plusIvEENS9_8equal_toIvEEiEE10hipError_tPvRmT2_T3_T4_T5_mT6_T7_P12ihipStream_tbENKUlT_T0_E_clISt17integral_constantIbLb1EES14_EEDaSZ_S10_EUlSZ_E_NS1_11comp_targetILNS1_3genE3ELNS1_11target_archE908ELNS1_3gpuE7ELNS1_3repE0EEENS1_30default_config_static_selectorELNS0_4arch9wavefront6targetE0EEEvT1_
    .private_segment_fixed_size: 0
    .sgpr_count:     0
    .sgpr_spill_count: 0
    .symbol:         _ZN7rocprim17ROCPRIM_400000_NS6detail17trampoline_kernelINS0_14default_configENS1_27scan_by_key_config_selectorIiiEEZZNS1_16scan_by_key_implILNS1_25lookback_scan_determinismE0ELb0ES3_N6thrust23THRUST_200600_302600_NS6detail15normal_iteratorINS9_10device_ptrIiEEEENS9_18transform_iteratorINS9_6negateIiEESE_NS9_11use_defaultESI_EESE_iNS9_4plusIvEENS9_8equal_toIvEEiEE10hipError_tPvRmT2_T3_T4_T5_mT6_T7_P12ihipStream_tbENKUlT_T0_E_clISt17integral_constantIbLb1EES14_EEDaSZ_S10_EUlSZ_E_NS1_11comp_targetILNS1_3genE3ELNS1_11target_archE908ELNS1_3gpuE7ELNS1_3repE0EEENS1_30default_config_static_selectorELNS0_4arch9wavefront6targetE0EEEvT1_.kd
    .uniform_work_group_size: 1
    .uses_dynamic_stack: false
    .vgpr_count:     0
    .vgpr_spill_count: 0
    .wavefront_size: 32
    .workgroup_processor_mode: 1
  - .args:
      - .offset:         0
        .size:           120
        .value_kind:     by_value
    .group_segment_fixed_size: 0
    .kernarg_segment_align: 8
    .kernarg_segment_size: 120
    .language:       OpenCL C
    .language_version:
      - 2
      - 0
    .max_flat_workgroup_size: 256
    .name:           _ZN7rocprim17ROCPRIM_400000_NS6detail17trampoline_kernelINS0_14default_configENS1_27scan_by_key_config_selectorIiiEEZZNS1_16scan_by_key_implILNS1_25lookback_scan_determinismE0ELb0ES3_N6thrust23THRUST_200600_302600_NS6detail15normal_iteratorINS9_10device_ptrIiEEEENS9_18transform_iteratorINS9_6negateIiEESE_NS9_11use_defaultESI_EESE_iNS9_4plusIvEENS9_8equal_toIvEEiEE10hipError_tPvRmT2_T3_T4_T5_mT6_T7_P12ihipStream_tbENKUlT_T0_E_clISt17integral_constantIbLb1EES14_EEDaSZ_S10_EUlSZ_E_NS1_11comp_targetILNS1_3genE2ELNS1_11target_archE906ELNS1_3gpuE6ELNS1_3repE0EEENS1_30default_config_static_selectorELNS0_4arch9wavefront6targetE0EEEvT1_
    .private_segment_fixed_size: 0
    .sgpr_count:     0
    .sgpr_spill_count: 0
    .symbol:         _ZN7rocprim17ROCPRIM_400000_NS6detail17trampoline_kernelINS0_14default_configENS1_27scan_by_key_config_selectorIiiEEZZNS1_16scan_by_key_implILNS1_25lookback_scan_determinismE0ELb0ES3_N6thrust23THRUST_200600_302600_NS6detail15normal_iteratorINS9_10device_ptrIiEEEENS9_18transform_iteratorINS9_6negateIiEESE_NS9_11use_defaultESI_EESE_iNS9_4plusIvEENS9_8equal_toIvEEiEE10hipError_tPvRmT2_T3_T4_T5_mT6_T7_P12ihipStream_tbENKUlT_T0_E_clISt17integral_constantIbLb1EES14_EEDaSZ_S10_EUlSZ_E_NS1_11comp_targetILNS1_3genE2ELNS1_11target_archE906ELNS1_3gpuE6ELNS1_3repE0EEENS1_30default_config_static_selectorELNS0_4arch9wavefront6targetE0EEEvT1_.kd
    .uniform_work_group_size: 1
    .uses_dynamic_stack: false
    .vgpr_count:     0
    .vgpr_spill_count: 0
    .wavefront_size: 32
    .workgroup_processor_mode: 1
  - .args:
      - .offset:         0
        .size:           120
        .value_kind:     by_value
    .group_segment_fixed_size: 0
    .kernarg_segment_align: 8
    .kernarg_segment_size: 120
    .language:       OpenCL C
    .language_version:
      - 2
      - 0
    .max_flat_workgroup_size: 256
    .name:           _ZN7rocprim17ROCPRIM_400000_NS6detail17trampoline_kernelINS0_14default_configENS1_27scan_by_key_config_selectorIiiEEZZNS1_16scan_by_key_implILNS1_25lookback_scan_determinismE0ELb0ES3_N6thrust23THRUST_200600_302600_NS6detail15normal_iteratorINS9_10device_ptrIiEEEENS9_18transform_iteratorINS9_6negateIiEESE_NS9_11use_defaultESI_EESE_iNS9_4plusIvEENS9_8equal_toIvEEiEE10hipError_tPvRmT2_T3_T4_T5_mT6_T7_P12ihipStream_tbENKUlT_T0_E_clISt17integral_constantIbLb1EES14_EEDaSZ_S10_EUlSZ_E_NS1_11comp_targetILNS1_3genE10ELNS1_11target_archE1200ELNS1_3gpuE4ELNS1_3repE0EEENS1_30default_config_static_selectorELNS0_4arch9wavefront6targetE0EEEvT1_
    .private_segment_fixed_size: 0
    .sgpr_count:     0
    .sgpr_spill_count: 0
    .symbol:         _ZN7rocprim17ROCPRIM_400000_NS6detail17trampoline_kernelINS0_14default_configENS1_27scan_by_key_config_selectorIiiEEZZNS1_16scan_by_key_implILNS1_25lookback_scan_determinismE0ELb0ES3_N6thrust23THRUST_200600_302600_NS6detail15normal_iteratorINS9_10device_ptrIiEEEENS9_18transform_iteratorINS9_6negateIiEESE_NS9_11use_defaultESI_EESE_iNS9_4plusIvEENS9_8equal_toIvEEiEE10hipError_tPvRmT2_T3_T4_T5_mT6_T7_P12ihipStream_tbENKUlT_T0_E_clISt17integral_constantIbLb1EES14_EEDaSZ_S10_EUlSZ_E_NS1_11comp_targetILNS1_3genE10ELNS1_11target_archE1200ELNS1_3gpuE4ELNS1_3repE0EEENS1_30default_config_static_selectorELNS0_4arch9wavefront6targetE0EEEvT1_.kd
    .uniform_work_group_size: 1
    .uses_dynamic_stack: false
    .vgpr_count:     0
    .vgpr_spill_count: 0
    .wavefront_size: 32
    .workgroup_processor_mode: 1
  - .args:
      - .offset:         0
        .size:           120
        .value_kind:     by_value
    .group_segment_fixed_size: 0
    .kernarg_segment_align: 8
    .kernarg_segment_size: 120
    .language:       OpenCL C
    .language_version:
      - 2
      - 0
    .max_flat_workgroup_size: 256
    .name:           _ZN7rocprim17ROCPRIM_400000_NS6detail17trampoline_kernelINS0_14default_configENS1_27scan_by_key_config_selectorIiiEEZZNS1_16scan_by_key_implILNS1_25lookback_scan_determinismE0ELb0ES3_N6thrust23THRUST_200600_302600_NS6detail15normal_iteratorINS9_10device_ptrIiEEEENS9_18transform_iteratorINS9_6negateIiEESE_NS9_11use_defaultESI_EESE_iNS9_4plusIvEENS9_8equal_toIvEEiEE10hipError_tPvRmT2_T3_T4_T5_mT6_T7_P12ihipStream_tbENKUlT_T0_E_clISt17integral_constantIbLb1EES14_EEDaSZ_S10_EUlSZ_E_NS1_11comp_targetILNS1_3genE9ELNS1_11target_archE1100ELNS1_3gpuE3ELNS1_3repE0EEENS1_30default_config_static_selectorELNS0_4arch9wavefront6targetE0EEEvT1_
    .private_segment_fixed_size: 0
    .sgpr_count:     0
    .sgpr_spill_count: 0
    .symbol:         _ZN7rocprim17ROCPRIM_400000_NS6detail17trampoline_kernelINS0_14default_configENS1_27scan_by_key_config_selectorIiiEEZZNS1_16scan_by_key_implILNS1_25lookback_scan_determinismE0ELb0ES3_N6thrust23THRUST_200600_302600_NS6detail15normal_iteratorINS9_10device_ptrIiEEEENS9_18transform_iteratorINS9_6negateIiEESE_NS9_11use_defaultESI_EESE_iNS9_4plusIvEENS9_8equal_toIvEEiEE10hipError_tPvRmT2_T3_T4_T5_mT6_T7_P12ihipStream_tbENKUlT_T0_E_clISt17integral_constantIbLb1EES14_EEDaSZ_S10_EUlSZ_E_NS1_11comp_targetILNS1_3genE9ELNS1_11target_archE1100ELNS1_3gpuE3ELNS1_3repE0EEENS1_30default_config_static_selectorELNS0_4arch9wavefront6targetE0EEEvT1_.kd
    .uniform_work_group_size: 1
    .uses_dynamic_stack: false
    .vgpr_count:     0
    .vgpr_spill_count: 0
    .wavefront_size: 32
    .workgroup_processor_mode: 1
  - .args:
      - .offset:         0
        .size:           120
        .value_kind:     by_value
    .group_segment_fixed_size: 0
    .kernarg_segment_align: 8
    .kernarg_segment_size: 120
    .language:       OpenCL C
    .language_version:
      - 2
      - 0
    .max_flat_workgroup_size: 256
    .name:           _ZN7rocprim17ROCPRIM_400000_NS6detail17trampoline_kernelINS0_14default_configENS1_27scan_by_key_config_selectorIiiEEZZNS1_16scan_by_key_implILNS1_25lookback_scan_determinismE0ELb0ES3_N6thrust23THRUST_200600_302600_NS6detail15normal_iteratorINS9_10device_ptrIiEEEENS9_18transform_iteratorINS9_6negateIiEESE_NS9_11use_defaultESI_EESE_iNS9_4plusIvEENS9_8equal_toIvEEiEE10hipError_tPvRmT2_T3_T4_T5_mT6_T7_P12ihipStream_tbENKUlT_T0_E_clISt17integral_constantIbLb1EES14_EEDaSZ_S10_EUlSZ_E_NS1_11comp_targetILNS1_3genE8ELNS1_11target_archE1030ELNS1_3gpuE2ELNS1_3repE0EEENS1_30default_config_static_selectorELNS0_4arch9wavefront6targetE0EEEvT1_
    .private_segment_fixed_size: 0
    .sgpr_count:     0
    .sgpr_spill_count: 0
    .symbol:         _ZN7rocprim17ROCPRIM_400000_NS6detail17trampoline_kernelINS0_14default_configENS1_27scan_by_key_config_selectorIiiEEZZNS1_16scan_by_key_implILNS1_25lookback_scan_determinismE0ELb0ES3_N6thrust23THRUST_200600_302600_NS6detail15normal_iteratorINS9_10device_ptrIiEEEENS9_18transform_iteratorINS9_6negateIiEESE_NS9_11use_defaultESI_EESE_iNS9_4plusIvEENS9_8equal_toIvEEiEE10hipError_tPvRmT2_T3_T4_T5_mT6_T7_P12ihipStream_tbENKUlT_T0_E_clISt17integral_constantIbLb1EES14_EEDaSZ_S10_EUlSZ_E_NS1_11comp_targetILNS1_3genE8ELNS1_11target_archE1030ELNS1_3gpuE2ELNS1_3repE0EEENS1_30default_config_static_selectorELNS0_4arch9wavefront6targetE0EEEvT1_.kd
    .uniform_work_group_size: 1
    .uses_dynamic_stack: false
    .vgpr_count:     0
    .vgpr_spill_count: 0
    .wavefront_size: 32
    .workgroup_processor_mode: 1
  - .args:
      - .offset:         0
        .size:           120
        .value_kind:     by_value
    .group_segment_fixed_size: 0
    .kernarg_segment_align: 8
    .kernarg_segment_size: 120
    .language:       OpenCL C
    .language_version:
      - 2
      - 0
    .max_flat_workgroup_size: 256
    .name:           _ZN7rocprim17ROCPRIM_400000_NS6detail17trampoline_kernelINS0_14default_configENS1_27scan_by_key_config_selectorIiiEEZZNS1_16scan_by_key_implILNS1_25lookback_scan_determinismE0ELb0ES3_N6thrust23THRUST_200600_302600_NS6detail15normal_iteratorINS9_10device_ptrIiEEEENS9_18transform_iteratorINS9_6negateIiEESE_NS9_11use_defaultESI_EESE_iNS9_4plusIvEENS9_8equal_toIvEEiEE10hipError_tPvRmT2_T3_T4_T5_mT6_T7_P12ihipStream_tbENKUlT_T0_E_clISt17integral_constantIbLb1EES13_IbLb0EEEEDaSZ_S10_EUlSZ_E_NS1_11comp_targetILNS1_3genE0ELNS1_11target_archE4294967295ELNS1_3gpuE0ELNS1_3repE0EEENS1_30default_config_static_selectorELNS0_4arch9wavefront6targetE0EEEvT1_
    .private_segment_fixed_size: 0
    .sgpr_count:     0
    .sgpr_spill_count: 0
    .symbol:         _ZN7rocprim17ROCPRIM_400000_NS6detail17trampoline_kernelINS0_14default_configENS1_27scan_by_key_config_selectorIiiEEZZNS1_16scan_by_key_implILNS1_25lookback_scan_determinismE0ELb0ES3_N6thrust23THRUST_200600_302600_NS6detail15normal_iteratorINS9_10device_ptrIiEEEENS9_18transform_iteratorINS9_6negateIiEESE_NS9_11use_defaultESI_EESE_iNS9_4plusIvEENS9_8equal_toIvEEiEE10hipError_tPvRmT2_T3_T4_T5_mT6_T7_P12ihipStream_tbENKUlT_T0_E_clISt17integral_constantIbLb1EES13_IbLb0EEEEDaSZ_S10_EUlSZ_E_NS1_11comp_targetILNS1_3genE0ELNS1_11target_archE4294967295ELNS1_3gpuE0ELNS1_3repE0EEENS1_30default_config_static_selectorELNS0_4arch9wavefront6targetE0EEEvT1_.kd
    .uniform_work_group_size: 1
    .uses_dynamic_stack: false
    .vgpr_count:     0
    .vgpr_spill_count: 0
    .wavefront_size: 32
    .workgroup_processor_mode: 1
  - .args:
      - .offset:         0
        .size:           120
        .value_kind:     by_value
    .group_segment_fixed_size: 0
    .kernarg_segment_align: 8
    .kernarg_segment_size: 120
    .language:       OpenCL C
    .language_version:
      - 2
      - 0
    .max_flat_workgroup_size: 256
    .name:           _ZN7rocprim17ROCPRIM_400000_NS6detail17trampoline_kernelINS0_14default_configENS1_27scan_by_key_config_selectorIiiEEZZNS1_16scan_by_key_implILNS1_25lookback_scan_determinismE0ELb0ES3_N6thrust23THRUST_200600_302600_NS6detail15normal_iteratorINS9_10device_ptrIiEEEENS9_18transform_iteratorINS9_6negateIiEESE_NS9_11use_defaultESI_EESE_iNS9_4plusIvEENS9_8equal_toIvEEiEE10hipError_tPvRmT2_T3_T4_T5_mT6_T7_P12ihipStream_tbENKUlT_T0_E_clISt17integral_constantIbLb1EES13_IbLb0EEEEDaSZ_S10_EUlSZ_E_NS1_11comp_targetILNS1_3genE10ELNS1_11target_archE1201ELNS1_3gpuE5ELNS1_3repE0EEENS1_30default_config_static_selectorELNS0_4arch9wavefront6targetE0EEEvT1_
    .private_segment_fixed_size: 0
    .sgpr_count:     0
    .sgpr_spill_count: 0
    .symbol:         _ZN7rocprim17ROCPRIM_400000_NS6detail17trampoline_kernelINS0_14default_configENS1_27scan_by_key_config_selectorIiiEEZZNS1_16scan_by_key_implILNS1_25lookback_scan_determinismE0ELb0ES3_N6thrust23THRUST_200600_302600_NS6detail15normal_iteratorINS9_10device_ptrIiEEEENS9_18transform_iteratorINS9_6negateIiEESE_NS9_11use_defaultESI_EESE_iNS9_4plusIvEENS9_8equal_toIvEEiEE10hipError_tPvRmT2_T3_T4_T5_mT6_T7_P12ihipStream_tbENKUlT_T0_E_clISt17integral_constantIbLb1EES13_IbLb0EEEEDaSZ_S10_EUlSZ_E_NS1_11comp_targetILNS1_3genE10ELNS1_11target_archE1201ELNS1_3gpuE5ELNS1_3repE0EEENS1_30default_config_static_selectorELNS0_4arch9wavefront6targetE0EEEvT1_.kd
    .uniform_work_group_size: 1
    .uses_dynamic_stack: false
    .vgpr_count:     0
    .vgpr_spill_count: 0
    .wavefront_size: 32
    .workgroup_processor_mode: 1
  - .args:
      - .offset:         0
        .size:           120
        .value_kind:     by_value
    .group_segment_fixed_size: 0
    .kernarg_segment_align: 8
    .kernarg_segment_size: 120
    .language:       OpenCL C
    .language_version:
      - 2
      - 0
    .max_flat_workgroup_size: 256
    .name:           _ZN7rocprim17ROCPRIM_400000_NS6detail17trampoline_kernelINS0_14default_configENS1_27scan_by_key_config_selectorIiiEEZZNS1_16scan_by_key_implILNS1_25lookback_scan_determinismE0ELb0ES3_N6thrust23THRUST_200600_302600_NS6detail15normal_iteratorINS9_10device_ptrIiEEEENS9_18transform_iteratorINS9_6negateIiEESE_NS9_11use_defaultESI_EESE_iNS9_4plusIvEENS9_8equal_toIvEEiEE10hipError_tPvRmT2_T3_T4_T5_mT6_T7_P12ihipStream_tbENKUlT_T0_E_clISt17integral_constantIbLb1EES13_IbLb0EEEEDaSZ_S10_EUlSZ_E_NS1_11comp_targetILNS1_3genE5ELNS1_11target_archE942ELNS1_3gpuE9ELNS1_3repE0EEENS1_30default_config_static_selectorELNS0_4arch9wavefront6targetE0EEEvT1_
    .private_segment_fixed_size: 0
    .sgpr_count:     0
    .sgpr_spill_count: 0
    .symbol:         _ZN7rocprim17ROCPRIM_400000_NS6detail17trampoline_kernelINS0_14default_configENS1_27scan_by_key_config_selectorIiiEEZZNS1_16scan_by_key_implILNS1_25lookback_scan_determinismE0ELb0ES3_N6thrust23THRUST_200600_302600_NS6detail15normal_iteratorINS9_10device_ptrIiEEEENS9_18transform_iteratorINS9_6negateIiEESE_NS9_11use_defaultESI_EESE_iNS9_4plusIvEENS9_8equal_toIvEEiEE10hipError_tPvRmT2_T3_T4_T5_mT6_T7_P12ihipStream_tbENKUlT_T0_E_clISt17integral_constantIbLb1EES13_IbLb0EEEEDaSZ_S10_EUlSZ_E_NS1_11comp_targetILNS1_3genE5ELNS1_11target_archE942ELNS1_3gpuE9ELNS1_3repE0EEENS1_30default_config_static_selectorELNS0_4arch9wavefront6targetE0EEEvT1_.kd
    .uniform_work_group_size: 1
    .uses_dynamic_stack: false
    .vgpr_count:     0
    .vgpr_spill_count: 0
    .wavefront_size: 32
    .workgroup_processor_mode: 1
  - .args:
      - .offset:         0
        .size:           120
        .value_kind:     by_value
    .group_segment_fixed_size: 0
    .kernarg_segment_align: 8
    .kernarg_segment_size: 120
    .language:       OpenCL C
    .language_version:
      - 2
      - 0
    .max_flat_workgroup_size: 256
    .name:           _ZN7rocprim17ROCPRIM_400000_NS6detail17trampoline_kernelINS0_14default_configENS1_27scan_by_key_config_selectorIiiEEZZNS1_16scan_by_key_implILNS1_25lookback_scan_determinismE0ELb0ES3_N6thrust23THRUST_200600_302600_NS6detail15normal_iteratorINS9_10device_ptrIiEEEENS9_18transform_iteratorINS9_6negateIiEESE_NS9_11use_defaultESI_EESE_iNS9_4plusIvEENS9_8equal_toIvEEiEE10hipError_tPvRmT2_T3_T4_T5_mT6_T7_P12ihipStream_tbENKUlT_T0_E_clISt17integral_constantIbLb1EES13_IbLb0EEEEDaSZ_S10_EUlSZ_E_NS1_11comp_targetILNS1_3genE4ELNS1_11target_archE910ELNS1_3gpuE8ELNS1_3repE0EEENS1_30default_config_static_selectorELNS0_4arch9wavefront6targetE0EEEvT1_
    .private_segment_fixed_size: 0
    .sgpr_count:     0
    .sgpr_spill_count: 0
    .symbol:         _ZN7rocprim17ROCPRIM_400000_NS6detail17trampoline_kernelINS0_14default_configENS1_27scan_by_key_config_selectorIiiEEZZNS1_16scan_by_key_implILNS1_25lookback_scan_determinismE0ELb0ES3_N6thrust23THRUST_200600_302600_NS6detail15normal_iteratorINS9_10device_ptrIiEEEENS9_18transform_iteratorINS9_6negateIiEESE_NS9_11use_defaultESI_EESE_iNS9_4plusIvEENS9_8equal_toIvEEiEE10hipError_tPvRmT2_T3_T4_T5_mT6_T7_P12ihipStream_tbENKUlT_T0_E_clISt17integral_constantIbLb1EES13_IbLb0EEEEDaSZ_S10_EUlSZ_E_NS1_11comp_targetILNS1_3genE4ELNS1_11target_archE910ELNS1_3gpuE8ELNS1_3repE0EEENS1_30default_config_static_selectorELNS0_4arch9wavefront6targetE0EEEvT1_.kd
    .uniform_work_group_size: 1
    .uses_dynamic_stack: false
    .vgpr_count:     0
    .vgpr_spill_count: 0
    .wavefront_size: 32
    .workgroup_processor_mode: 1
  - .args:
      - .offset:         0
        .size:           120
        .value_kind:     by_value
    .group_segment_fixed_size: 0
    .kernarg_segment_align: 8
    .kernarg_segment_size: 120
    .language:       OpenCL C
    .language_version:
      - 2
      - 0
    .max_flat_workgroup_size: 256
    .name:           _ZN7rocprim17ROCPRIM_400000_NS6detail17trampoline_kernelINS0_14default_configENS1_27scan_by_key_config_selectorIiiEEZZNS1_16scan_by_key_implILNS1_25lookback_scan_determinismE0ELb0ES3_N6thrust23THRUST_200600_302600_NS6detail15normal_iteratorINS9_10device_ptrIiEEEENS9_18transform_iteratorINS9_6negateIiEESE_NS9_11use_defaultESI_EESE_iNS9_4plusIvEENS9_8equal_toIvEEiEE10hipError_tPvRmT2_T3_T4_T5_mT6_T7_P12ihipStream_tbENKUlT_T0_E_clISt17integral_constantIbLb1EES13_IbLb0EEEEDaSZ_S10_EUlSZ_E_NS1_11comp_targetILNS1_3genE3ELNS1_11target_archE908ELNS1_3gpuE7ELNS1_3repE0EEENS1_30default_config_static_selectorELNS0_4arch9wavefront6targetE0EEEvT1_
    .private_segment_fixed_size: 0
    .sgpr_count:     0
    .sgpr_spill_count: 0
    .symbol:         _ZN7rocprim17ROCPRIM_400000_NS6detail17trampoline_kernelINS0_14default_configENS1_27scan_by_key_config_selectorIiiEEZZNS1_16scan_by_key_implILNS1_25lookback_scan_determinismE0ELb0ES3_N6thrust23THRUST_200600_302600_NS6detail15normal_iteratorINS9_10device_ptrIiEEEENS9_18transform_iteratorINS9_6negateIiEESE_NS9_11use_defaultESI_EESE_iNS9_4plusIvEENS9_8equal_toIvEEiEE10hipError_tPvRmT2_T3_T4_T5_mT6_T7_P12ihipStream_tbENKUlT_T0_E_clISt17integral_constantIbLb1EES13_IbLb0EEEEDaSZ_S10_EUlSZ_E_NS1_11comp_targetILNS1_3genE3ELNS1_11target_archE908ELNS1_3gpuE7ELNS1_3repE0EEENS1_30default_config_static_selectorELNS0_4arch9wavefront6targetE0EEEvT1_.kd
    .uniform_work_group_size: 1
    .uses_dynamic_stack: false
    .vgpr_count:     0
    .vgpr_spill_count: 0
    .wavefront_size: 32
    .workgroup_processor_mode: 1
  - .args:
      - .offset:         0
        .size:           120
        .value_kind:     by_value
    .group_segment_fixed_size: 0
    .kernarg_segment_align: 8
    .kernarg_segment_size: 120
    .language:       OpenCL C
    .language_version:
      - 2
      - 0
    .max_flat_workgroup_size: 256
    .name:           _ZN7rocprim17ROCPRIM_400000_NS6detail17trampoline_kernelINS0_14default_configENS1_27scan_by_key_config_selectorIiiEEZZNS1_16scan_by_key_implILNS1_25lookback_scan_determinismE0ELb0ES3_N6thrust23THRUST_200600_302600_NS6detail15normal_iteratorINS9_10device_ptrIiEEEENS9_18transform_iteratorINS9_6negateIiEESE_NS9_11use_defaultESI_EESE_iNS9_4plusIvEENS9_8equal_toIvEEiEE10hipError_tPvRmT2_T3_T4_T5_mT6_T7_P12ihipStream_tbENKUlT_T0_E_clISt17integral_constantIbLb1EES13_IbLb0EEEEDaSZ_S10_EUlSZ_E_NS1_11comp_targetILNS1_3genE2ELNS1_11target_archE906ELNS1_3gpuE6ELNS1_3repE0EEENS1_30default_config_static_selectorELNS0_4arch9wavefront6targetE0EEEvT1_
    .private_segment_fixed_size: 0
    .sgpr_count:     0
    .sgpr_spill_count: 0
    .symbol:         _ZN7rocprim17ROCPRIM_400000_NS6detail17trampoline_kernelINS0_14default_configENS1_27scan_by_key_config_selectorIiiEEZZNS1_16scan_by_key_implILNS1_25lookback_scan_determinismE0ELb0ES3_N6thrust23THRUST_200600_302600_NS6detail15normal_iteratorINS9_10device_ptrIiEEEENS9_18transform_iteratorINS9_6negateIiEESE_NS9_11use_defaultESI_EESE_iNS9_4plusIvEENS9_8equal_toIvEEiEE10hipError_tPvRmT2_T3_T4_T5_mT6_T7_P12ihipStream_tbENKUlT_T0_E_clISt17integral_constantIbLb1EES13_IbLb0EEEEDaSZ_S10_EUlSZ_E_NS1_11comp_targetILNS1_3genE2ELNS1_11target_archE906ELNS1_3gpuE6ELNS1_3repE0EEENS1_30default_config_static_selectorELNS0_4arch9wavefront6targetE0EEEvT1_.kd
    .uniform_work_group_size: 1
    .uses_dynamic_stack: false
    .vgpr_count:     0
    .vgpr_spill_count: 0
    .wavefront_size: 32
    .workgroup_processor_mode: 1
  - .args:
      - .offset:         0
        .size:           120
        .value_kind:     by_value
    .group_segment_fixed_size: 0
    .kernarg_segment_align: 8
    .kernarg_segment_size: 120
    .language:       OpenCL C
    .language_version:
      - 2
      - 0
    .max_flat_workgroup_size: 256
    .name:           _ZN7rocprim17ROCPRIM_400000_NS6detail17trampoline_kernelINS0_14default_configENS1_27scan_by_key_config_selectorIiiEEZZNS1_16scan_by_key_implILNS1_25lookback_scan_determinismE0ELb0ES3_N6thrust23THRUST_200600_302600_NS6detail15normal_iteratorINS9_10device_ptrIiEEEENS9_18transform_iteratorINS9_6negateIiEESE_NS9_11use_defaultESI_EESE_iNS9_4plusIvEENS9_8equal_toIvEEiEE10hipError_tPvRmT2_T3_T4_T5_mT6_T7_P12ihipStream_tbENKUlT_T0_E_clISt17integral_constantIbLb1EES13_IbLb0EEEEDaSZ_S10_EUlSZ_E_NS1_11comp_targetILNS1_3genE10ELNS1_11target_archE1200ELNS1_3gpuE4ELNS1_3repE0EEENS1_30default_config_static_selectorELNS0_4arch9wavefront6targetE0EEEvT1_
    .private_segment_fixed_size: 0
    .sgpr_count:     0
    .sgpr_spill_count: 0
    .symbol:         _ZN7rocprim17ROCPRIM_400000_NS6detail17trampoline_kernelINS0_14default_configENS1_27scan_by_key_config_selectorIiiEEZZNS1_16scan_by_key_implILNS1_25lookback_scan_determinismE0ELb0ES3_N6thrust23THRUST_200600_302600_NS6detail15normal_iteratorINS9_10device_ptrIiEEEENS9_18transform_iteratorINS9_6negateIiEESE_NS9_11use_defaultESI_EESE_iNS9_4plusIvEENS9_8equal_toIvEEiEE10hipError_tPvRmT2_T3_T4_T5_mT6_T7_P12ihipStream_tbENKUlT_T0_E_clISt17integral_constantIbLb1EES13_IbLb0EEEEDaSZ_S10_EUlSZ_E_NS1_11comp_targetILNS1_3genE10ELNS1_11target_archE1200ELNS1_3gpuE4ELNS1_3repE0EEENS1_30default_config_static_selectorELNS0_4arch9wavefront6targetE0EEEvT1_.kd
    .uniform_work_group_size: 1
    .uses_dynamic_stack: false
    .vgpr_count:     0
    .vgpr_spill_count: 0
    .wavefront_size: 32
    .workgroup_processor_mode: 1
  - .args:
      - .offset:         0
        .size:           120
        .value_kind:     by_value
    .group_segment_fixed_size: 0
    .kernarg_segment_align: 8
    .kernarg_segment_size: 120
    .language:       OpenCL C
    .language_version:
      - 2
      - 0
    .max_flat_workgroup_size: 256
    .name:           _ZN7rocprim17ROCPRIM_400000_NS6detail17trampoline_kernelINS0_14default_configENS1_27scan_by_key_config_selectorIiiEEZZNS1_16scan_by_key_implILNS1_25lookback_scan_determinismE0ELb0ES3_N6thrust23THRUST_200600_302600_NS6detail15normal_iteratorINS9_10device_ptrIiEEEENS9_18transform_iteratorINS9_6negateIiEESE_NS9_11use_defaultESI_EESE_iNS9_4plusIvEENS9_8equal_toIvEEiEE10hipError_tPvRmT2_T3_T4_T5_mT6_T7_P12ihipStream_tbENKUlT_T0_E_clISt17integral_constantIbLb1EES13_IbLb0EEEEDaSZ_S10_EUlSZ_E_NS1_11comp_targetILNS1_3genE9ELNS1_11target_archE1100ELNS1_3gpuE3ELNS1_3repE0EEENS1_30default_config_static_selectorELNS0_4arch9wavefront6targetE0EEEvT1_
    .private_segment_fixed_size: 0
    .sgpr_count:     0
    .sgpr_spill_count: 0
    .symbol:         _ZN7rocprim17ROCPRIM_400000_NS6detail17trampoline_kernelINS0_14default_configENS1_27scan_by_key_config_selectorIiiEEZZNS1_16scan_by_key_implILNS1_25lookback_scan_determinismE0ELb0ES3_N6thrust23THRUST_200600_302600_NS6detail15normal_iteratorINS9_10device_ptrIiEEEENS9_18transform_iteratorINS9_6negateIiEESE_NS9_11use_defaultESI_EESE_iNS9_4plusIvEENS9_8equal_toIvEEiEE10hipError_tPvRmT2_T3_T4_T5_mT6_T7_P12ihipStream_tbENKUlT_T0_E_clISt17integral_constantIbLb1EES13_IbLb0EEEEDaSZ_S10_EUlSZ_E_NS1_11comp_targetILNS1_3genE9ELNS1_11target_archE1100ELNS1_3gpuE3ELNS1_3repE0EEENS1_30default_config_static_selectorELNS0_4arch9wavefront6targetE0EEEvT1_.kd
    .uniform_work_group_size: 1
    .uses_dynamic_stack: false
    .vgpr_count:     0
    .vgpr_spill_count: 0
    .wavefront_size: 32
    .workgroup_processor_mode: 1
  - .args:
      - .offset:         0
        .size:           120
        .value_kind:     by_value
    .group_segment_fixed_size: 0
    .kernarg_segment_align: 8
    .kernarg_segment_size: 120
    .language:       OpenCL C
    .language_version:
      - 2
      - 0
    .max_flat_workgroup_size: 256
    .name:           _ZN7rocprim17ROCPRIM_400000_NS6detail17trampoline_kernelINS0_14default_configENS1_27scan_by_key_config_selectorIiiEEZZNS1_16scan_by_key_implILNS1_25lookback_scan_determinismE0ELb0ES3_N6thrust23THRUST_200600_302600_NS6detail15normal_iteratorINS9_10device_ptrIiEEEENS9_18transform_iteratorINS9_6negateIiEESE_NS9_11use_defaultESI_EESE_iNS9_4plusIvEENS9_8equal_toIvEEiEE10hipError_tPvRmT2_T3_T4_T5_mT6_T7_P12ihipStream_tbENKUlT_T0_E_clISt17integral_constantIbLb1EES13_IbLb0EEEEDaSZ_S10_EUlSZ_E_NS1_11comp_targetILNS1_3genE8ELNS1_11target_archE1030ELNS1_3gpuE2ELNS1_3repE0EEENS1_30default_config_static_selectorELNS0_4arch9wavefront6targetE0EEEvT1_
    .private_segment_fixed_size: 0
    .sgpr_count:     0
    .sgpr_spill_count: 0
    .symbol:         _ZN7rocprim17ROCPRIM_400000_NS6detail17trampoline_kernelINS0_14default_configENS1_27scan_by_key_config_selectorIiiEEZZNS1_16scan_by_key_implILNS1_25lookback_scan_determinismE0ELb0ES3_N6thrust23THRUST_200600_302600_NS6detail15normal_iteratorINS9_10device_ptrIiEEEENS9_18transform_iteratorINS9_6negateIiEESE_NS9_11use_defaultESI_EESE_iNS9_4plusIvEENS9_8equal_toIvEEiEE10hipError_tPvRmT2_T3_T4_T5_mT6_T7_P12ihipStream_tbENKUlT_T0_E_clISt17integral_constantIbLb1EES13_IbLb0EEEEDaSZ_S10_EUlSZ_E_NS1_11comp_targetILNS1_3genE8ELNS1_11target_archE1030ELNS1_3gpuE2ELNS1_3repE0EEENS1_30default_config_static_selectorELNS0_4arch9wavefront6targetE0EEEvT1_.kd
    .uniform_work_group_size: 1
    .uses_dynamic_stack: false
    .vgpr_count:     0
    .vgpr_spill_count: 0
    .wavefront_size: 32
    .workgroup_processor_mode: 1
  - .args:
      - .offset:         0
        .size:           120
        .value_kind:     by_value
    .group_segment_fixed_size: 0
    .kernarg_segment_align: 8
    .kernarg_segment_size: 120
    .language:       OpenCL C
    .language_version:
      - 2
      - 0
    .max_flat_workgroup_size: 256
    .name:           _ZN7rocprim17ROCPRIM_400000_NS6detail17trampoline_kernelINS0_14default_configENS1_27scan_by_key_config_selectorIiiEEZZNS1_16scan_by_key_implILNS1_25lookback_scan_determinismE0ELb0ES3_N6thrust23THRUST_200600_302600_NS6detail15normal_iteratorINS9_10device_ptrIiEEEENS9_18transform_iteratorINS9_6negateIiEESE_NS9_11use_defaultESI_EESE_iNS9_4plusIvEENS9_8equal_toIvEEiEE10hipError_tPvRmT2_T3_T4_T5_mT6_T7_P12ihipStream_tbENKUlT_T0_E_clISt17integral_constantIbLb0EES13_IbLb1EEEEDaSZ_S10_EUlSZ_E_NS1_11comp_targetILNS1_3genE0ELNS1_11target_archE4294967295ELNS1_3gpuE0ELNS1_3repE0EEENS1_30default_config_static_selectorELNS0_4arch9wavefront6targetE0EEEvT1_
    .private_segment_fixed_size: 0
    .sgpr_count:     0
    .sgpr_spill_count: 0
    .symbol:         _ZN7rocprim17ROCPRIM_400000_NS6detail17trampoline_kernelINS0_14default_configENS1_27scan_by_key_config_selectorIiiEEZZNS1_16scan_by_key_implILNS1_25lookback_scan_determinismE0ELb0ES3_N6thrust23THRUST_200600_302600_NS6detail15normal_iteratorINS9_10device_ptrIiEEEENS9_18transform_iteratorINS9_6negateIiEESE_NS9_11use_defaultESI_EESE_iNS9_4plusIvEENS9_8equal_toIvEEiEE10hipError_tPvRmT2_T3_T4_T5_mT6_T7_P12ihipStream_tbENKUlT_T0_E_clISt17integral_constantIbLb0EES13_IbLb1EEEEDaSZ_S10_EUlSZ_E_NS1_11comp_targetILNS1_3genE0ELNS1_11target_archE4294967295ELNS1_3gpuE0ELNS1_3repE0EEENS1_30default_config_static_selectorELNS0_4arch9wavefront6targetE0EEEvT1_.kd
    .uniform_work_group_size: 1
    .uses_dynamic_stack: false
    .vgpr_count:     0
    .vgpr_spill_count: 0
    .wavefront_size: 32
    .workgroup_processor_mode: 1
  - .args:
      - .offset:         0
        .size:           120
        .value_kind:     by_value
    .group_segment_fixed_size: 0
    .kernarg_segment_align: 8
    .kernarg_segment_size: 120
    .language:       OpenCL C
    .language_version:
      - 2
      - 0
    .max_flat_workgroup_size: 256
    .name:           _ZN7rocprim17ROCPRIM_400000_NS6detail17trampoline_kernelINS0_14default_configENS1_27scan_by_key_config_selectorIiiEEZZNS1_16scan_by_key_implILNS1_25lookback_scan_determinismE0ELb0ES3_N6thrust23THRUST_200600_302600_NS6detail15normal_iteratorINS9_10device_ptrIiEEEENS9_18transform_iteratorINS9_6negateIiEESE_NS9_11use_defaultESI_EESE_iNS9_4plusIvEENS9_8equal_toIvEEiEE10hipError_tPvRmT2_T3_T4_T5_mT6_T7_P12ihipStream_tbENKUlT_T0_E_clISt17integral_constantIbLb0EES13_IbLb1EEEEDaSZ_S10_EUlSZ_E_NS1_11comp_targetILNS1_3genE10ELNS1_11target_archE1201ELNS1_3gpuE5ELNS1_3repE0EEENS1_30default_config_static_selectorELNS0_4arch9wavefront6targetE0EEEvT1_
    .private_segment_fixed_size: 0
    .sgpr_count:     0
    .sgpr_spill_count: 0
    .symbol:         _ZN7rocprim17ROCPRIM_400000_NS6detail17trampoline_kernelINS0_14default_configENS1_27scan_by_key_config_selectorIiiEEZZNS1_16scan_by_key_implILNS1_25lookback_scan_determinismE0ELb0ES3_N6thrust23THRUST_200600_302600_NS6detail15normal_iteratorINS9_10device_ptrIiEEEENS9_18transform_iteratorINS9_6negateIiEESE_NS9_11use_defaultESI_EESE_iNS9_4plusIvEENS9_8equal_toIvEEiEE10hipError_tPvRmT2_T3_T4_T5_mT6_T7_P12ihipStream_tbENKUlT_T0_E_clISt17integral_constantIbLb0EES13_IbLb1EEEEDaSZ_S10_EUlSZ_E_NS1_11comp_targetILNS1_3genE10ELNS1_11target_archE1201ELNS1_3gpuE5ELNS1_3repE0EEENS1_30default_config_static_selectorELNS0_4arch9wavefront6targetE0EEEvT1_.kd
    .uniform_work_group_size: 1
    .uses_dynamic_stack: false
    .vgpr_count:     0
    .vgpr_spill_count: 0
    .wavefront_size: 32
    .workgroup_processor_mode: 1
  - .args:
      - .offset:         0
        .size:           120
        .value_kind:     by_value
    .group_segment_fixed_size: 0
    .kernarg_segment_align: 8
    .kernarg_segment_size: 120
    .language:       OpenCL C
    .language_version:
      - 2
      - 0
    .max_flat_workgroup_size: 256
    .name:           _ZN7rocprim17ROCPRIM_400000_NS6detail17trampoline_kernelINS0_14default_configENS1_27scan_by_key_config_selectorIiiEEZZNS1_16scan_by_key_implILNS1_25lookback_scan_determinismE0ELb0ES3_N6thrust23THRUST_200600_302600_NS6detail15normal_iteratorINS9_10device_ptrIiEEEENS9_18transform_iteratorINS9_6negateIiEESE_NS9_11use_defaultESI_EESE_iNS9_4plusIvEENS9_8equal_toIvEEiEE10hipError_tPvRmT2_T3_T4_T5_mT6_T7_P12ihipStream_tbENKUlT_T0_E_clISt17integral_constantIbLb0EES13_IbLb1EEEEDaSZ_S10_EUlSZ_E_NS1_11comp_targetILNS1_3genE5ELNS1_11target_archE942ELNS1_3gpuE9ELNS1_3repE0EEENS1_30default_config_static_selectorELNS0_4arch9wavefront6targetE0EEEvT1_
    .private_segment_fixed_size: 0
    .sgpr_count:     0
    .sgpr_spill_count: 0
    .symbol:         _ZN7rocprim17ROCPRIM_400000_NS6detail17trampoline_kernelINS0_14default_configENS1_27scan_by_key_config_selectorIiiEEZZNS1_16scan_by_key_implILNS1_25lookback_scan_determinismE0ELb0ES3_N6thrust23THRUST_200600_302600_NS6detail15normal_iteratorINS9_10device_ptrIiEEEENS9_18transform_iteratorINS9_6negateIiEESE_NS9_11use_defaultESI_EESE_iNS9_4plusIvEENS9_8equal_toIvEEiEE10hipError_tPvRmT2_T3_T4_T5_mT6_T7_P12ihipStream_tbENKUlT_T0_E_clISt17integral_constantIbLb0EES13_IbLb1EEEEDaSZ_S10_EUlSZ_E_NS1_11comp_targetILNS1_3genE5ELNS1_11target_archE942ELNS1_3gpuE9ELNS1_3repE0EEENS1_30default_config_static_selectorELNS0_4arch9wavefront6targetE0EEEvT1_.kd
    .uniform_work_group_size: 1
    .uses_dynamic_stack: false
    .vgpr_count:     0
    .vgpr_spill_count: 0
    .wavefront_size: 32
    .workgroup_processor_mode: 1
  - .args:
      - .offset:         0
        .size:           120
        .value_kind:     by_value
    .group_segment_fixed_size: 0
    .kernarg_segment_align: 8
    .kernarg_segment_size: 120
    .language:       OpenCL C
    .language_version:
      - 2
      - 0
    .max_flat_workgroup_size: 256
    .name:           _ZN7rocprim17ROCPRIM_400000_NS6detail17trampoline_kernelINS0_14default_configENS1_27scan_by_key_config_selectorIiiEEZZNS1_16scan_by_key_implILNS1_25lookback_scan_determinismE0ELb0ES3_N6thrust23THRUST_200600_302600_NS6detail15normal_iteratorINS9_10device_ptrIiEEEENS9_18transform_iteratorINS9_6negateIiEESE_NS9_11use_defaultESI_EESE_iNS9_4plusIvEENS9_8equal_toIvEEiEE10hipError_tPvRmT2_T3_T4_T5_mT6_T7_P12ihipStream_tbENKUlT_T0_E_clISt17integral_constantIbLb0EES13_IbLb1EEEEDaSZ_S10_EUlSZ_E_NS1_11comp_targetILNS1_3genE4ELNS1_11target_archE910ELNS1_3gpuE8ELNS1_3repE0EEENS1_30default_config_static_selectorELNS0_4arch9wavefront6targetE0EEEvT1_
    .private_segment_fixed_size: 0
    .sgpr_count:     0
    .sgpr_spill_count: 0
    .symbol:         _ZN7rocprim17ROCPRIM_400000_NS6detail17trampoline_kernelINS0_14default_configENS1_27scan_by_key_config_selectorIiiEEZZNS1_16scan_by_key_implILNS1_25lookback_scan_determinismE0ELb0ES3_N6thrust23THRUST_200600_302600_NS6detail15normal_iteratorINS9_10device_ptrIiEEEENS9_18transform_iteratorINS9_6negateIiEESE_NS9_11use_defaultESI_EESE_iNS9_4plusIvEENS9_8equal_toIvEEiEE10hipError_tPvRmT2_T3_T4_T5_mT6_T7_P12ihipStream_tbENKUlT_T0_E_clISt17integral_constantIbLb0EES13_IbLb1EEEEDaSZ_S10_EUlSZ_E_NS1_11comp_targetILNS1_3genE4ELNS1_11target_archE910ELNS1_3gpuE8ELNS1_3repE0EEENS1_30default_config_static_selectorELNS0_4arch9wavefront6targetE0EEEvT1_.kd
    .uniform_work_group_size: 1
    .uses_dynamic_stack: false
    .vgpr_count:     0
    .vgpr_spill_count: 0
    .wavefront_size: 32
    .workgroup_processor_mode: 1
  - .args:
      - .offset:         0
        .size:           120
        .value_kind:     by_value
    .group_segment_fixed_size: 0
    .kernarg_segment_align: 8
    .kernarg_segment_size: 120
    .language:       OpenCL C
    .language_version:
      - 2
      - 0
    .max_flat_workgroup_size: 256
    .name:           _ZN7rocprim17ROCPRIM_400000_NS6detail17trampoline_kernelINS0_14default_configENS1_27scan_by_key_config_selectorIiiEEZZNS1_16scan_by_key_implILNS1_25lookback_scan_determinismE0ELb0ES3_N6thrust23THRUST_200600_302600_NS6detail15normal_iteratorINS9_10device_ptrIiEEEENS9_18transform_iteratorINS9_6negateIiEESE_NS9_11use_defaultESI_EESE_iNS9_4plusIvEENS9_8equal_toIvEEiEE10hipError_tPvRmT2_T3_T4_T5_mT6_T7_P12ihipStream_tbENKUlT_T0_E_clISt17integral_constantIbLb0EES13_IbLb1EEEEDaSZ_S10_EUlSZ_E_NS1_11comp_targetILNS1_3genE3ELNS1_11target_archE908ELNS1_3gpuE7ELNS1_3repE0EEENS1_30default_config_static_selectorELNS0_4arch9wavefront6targetE0EEEvT1_
    .private_segment_fixed_size: 0
    .sgpr_count:     0
    .sgpr_spill_count: 0
    .symbol:         _ZN7rocprim17ROCPRIM_400000_NS6detail17trampoline_kernelINS0_14default_configENS1_27scan_by_key_config_selectorIiiEEZZNS1_16scan_by_key_implILNS1_25lookback_scan_determinismE0ELb0ES3_N6thrust23THRUST_200600_302600_NS6detail15normal_iteratorINS9_10device_ptrIiEEEENS9_18transform_iteratorINS9_6negateIiEESE_NS9_11use_defaultESI_EESE_iNS9_4plusIvEENS9_8equal_toIvEEiEE10hipError_tPvRmT2_T3_T4_T5_mT6_T7_P12ihipStream_tbENKUlT_T0_E_clISt17integral_constantIbLb0EES13_IbLb1EEEEDaSZ_S10_EUlSZ_E_NS1_11comp_targetILNS1_3genE3ELNS1_11target_archE908ELNS1_3gpuE7ELNS1_3repE0EEENS1_30default_config_static_selectorELNS0_4arch9wavefront6targetE0EEEvT1_.kd
    .uniform_work_group_size: 1
    .uses_dynamic_stack: false
    .vgpr_count:     0
    .vgpr_spill_count: 0
    .wavefront_size: 32
    .workgroup_processor_mode: 1
  - .args:
      - .offset:         0
        .size:           120
        .value_kind:     by_value
    .group_segment_fixed_size: 0
    .kernarg_segment_align: 8
    .kernarg_segment_size: 120
    .language:       OpenCL C
    .language_version:
      - 2
      - 0
    .max_flat_workgroup_size: 256
    .name:           _ZN7rocprim17ROCPRIM_400000_NS6detail17trampoline_kernelINS0_14default_configENS1_27scan_by_key_config_selectorIiiEEZZNS1_16scan_by_key_implILNS1_25lookback_scan_determinismE0ELb0ES3_N6thrust23THRUST_200600_302600_NS6detail15normal_iteratorINS9_10device_ptrIiEEEENS9_18transform_iteratorINS9_6negateIiEESE_NS9_11use_defaultESI_EESE_iNS9_4plusIvEENS9_8equal_toIvEEiEE10hipError_tPvRmT2_T3_T4_T5_mT6_T7_P12ihipStream_tbENKUlT_T0_E_clISt17integral_constantIbLb0EES13_IbLb1EEEEDaSZ_S10_EUlSZ_E_NS1_11comp_targetILNS1_3genE2ELNS1_11target_archE906ELNS1_3gpuE6ELNS1_3repE0EEENS1_30default_config_static_selectorELNS0_4arch9wavefront6targetE0EEEvT1_
    .private_segment_fixed_size: 0
    .sgpr_count:     0
    .sgpr_spill_count: 0
    .symbol:         _ZN7rocprim17ROCPRIM_400000_NS6detail17trampoline_kernelINS0_14default_configENS1_27scan_by_key_config_selectorIiiEEZZNS1_16scan_by_key_implILNS1_25lookback_scan_determinismE0ELb0ES3_N6thrust23THRUST_200600_302600_NS6detail15normal_iteratorINS9_10device_ptrIiEEEENS9_18transform_iteratorINS9_6negateIiEESE_NS9_11use_defaultESI_EESE_iNS9_4plusIvEENS9_8equal_toIvEEiEE10hipError_tPvRmT2_T3_T4_T5_mT6_T7_P12ihipStream_tbENKUlT_T0_E_clISt17integral_constantIbLb0EES13_IbLb1EEEEDaSZ_S10_EUlSZ_E_NS1_11comp_targetILNS1_3genE2ELNS1_11target_archE906ELNS1_3gpuE6ELNS1_3repE0EEENS1_30default_config_static_selectorELNS0_4arch9wavefront6targetE0EEEvT1_.kd
    .uniform_work_group_size: 1
    .uses_dynamic_stack: false
    .vgpr_count:     0
    .vgpr_spill_count: 0
    .wavefront_size: 32
    .workgroup_processor_mode: 1
  - .args:
      - .offset:         0
        .size:           120
        .value_kind:     by_value
    .group_segment_fixed_size: 0
    .kernarg_segment_align: 8
    .kernarg_segment_size: 120
    .language:       OpenCL C
    .language_version:
      - 2
      - 0
    .max_flat_workgroup_size: 256
    .name:           _ZN7rocprim17ROCPRIM_400000_NS6detail17trampoline_kernelINS0_14default_configENS1_27scan_by_key_config_selectorIiiEEZZNS1_16scan_by_key_implILNS1_25lookback_scan_determinismE0ELb0ES3_N6thrust23THRUST_200600_302600_NS6detail15normal_iteratorINS9_10device_ptrIiEEEENS9_18transform_iteratorINS9_6negateIiEESE_NS9_11use_defaultESI_EESE_iNS9_4plusIvEENS9_8equal_toIvEEiEE10hipError_tPvRmT2_T3_T4_T5_mT6_T7_P12ihipStream_tbENKUlT_T0_E_clISt17integral_constantIbLb0EES13_IbLb1EEEEDaSZ_S10_EUlSZ_E_NS1_11comp_targetILNS1_3genE10ELNS1_11target_archE1200ELNS1_3gpuE4ELNS1_3repE0EEENS1_30default_config_static_selectorELNS0_4arch9wavefront6targetE0EEEvT1_
    .private_segment_fixed_size: 0
    .sgpr_count:     0
    .sgpr_spill_count: 0
    .symbol:         _ZN7rocprim17ROCPRIM_400000_NS6detail17trampoline_kernelINS0_14default_configENS1_27scan_by_key_config_selectorIiiEEZZNS1_16scan_by_key_implILNS1_25lookback_scan_determinismE0ELb0ES3_N6thrust23THRUST_200600_302600_NS6detail15normal_iteratorINS9_10device_ptrIiEEEENS9_18transform_iteratorINS9_6negateIiEESE_NS9_11use_defaultESI_EESE_iNS9_4plusIvEENS9_8equal_toIvEEiEE10hipError_tPvRmT2_T3_T4_T5_mT6_T7_P12ihipStream_tbENKUlT_T0_E_clISt17integral_constantIbLb0EES13_IbLb1EEEEDaSZ_S10_EUlSZ_E_NS1_11comp_targetILNS1_3genE10ELNS1_11target_archE1200ELNS1_3gpuE4ELNS1_3repE0EEENS1_30default_config_static_selectorELNS0_4arch9wavefront6targetE0EEEvT1_.kd
    .uniform_work_group_size: 1
    .uses_dynamic_stack: false
    .vgpr_count:     0
    .vgpr_spill_count: 0
    .wavefront_size: 32
    .workgroup_processor_mode: 1
  - .args:
      - .offset:         0
        .size:           120
        .value_kind:     by_value
    .group_segment_fixed_size: 0
    .kernarg_segment_align: 8
    .kernarg_segment_size: 120
    .language:       OpenCL C
    .language_version:
      - 2
      - 0
    .max_flat_workgroup_size: 256
    .name:           _ZN7rocprim17ROCPRIM_400000_NS6detail17trampoline_kernelINS0_14default_configENS1_27scan_by_key_config_selectorIiiEEZZNS1_16scan_by_key_implILNS1_25lookback_scan_determinismE0ELb0ES3_N6thrust23THRUST_200600_302600_NS6detail15normal_iteratorINS9_10device_ptrIiEEEENS9_18transform_iteratorINS9_6negateIiEESE_NS9_11use_defaultESI_EESE_iNS9_4plusIvEENS9_8equal_toIvEEiEE10hipError_tPvRmT2_T3_T4_T5_mT6_T7_P12ihipStream_tbENKUlT_T0_E_clISt17integral_constantIbLb0EES13_IbLb1EEEEDaSZ_S10_EUlSZ_E_NS1_11comp_targetILNS1_3genE9ELNS1_11target_archE1100ELNS1_3gpuE3ELNS1_3repE0EEENS1_30default_config_static_selectorELNS0_4arch9wavefront6targetE0EEEvT1_
    .private_segment_fixed_size: 0
    .sgpr_count:     0
    .sgpr_spill_count: 0
    .symbol:         _ZN7rocprim17ROCPRIM_400000_NS6detail17trampoline_kernelINS0_14default_configENS1_27scan_by_key_config_selectorIiiEEZZNS1_16scan_by_key_implILNS1_25lookback_scan_determinismE0ELb0ES3_N6thrust23THRUST_200600_302600_NS6detail15normal_iteratorINS9_10device_ptrIiEEEENS9_18transform_iteratorINS9_6negateIiEESE_NS9_11use_defaultESI_EESE_iNS9_4plusIvEENS9_8equal_toIvEEiEE10hipError_tPvRmT2_T3_T4_T5_mT6_T7_P12ihipStream_tbENKUlT_T0_E_clISt17integral_constantIbLb0EES13_IbLb1EEEEDaSZ_S10_EUlSZ_E_NS1_11comp_targetILNS1_3genE9ELNS1_11target_archE1100ELNS1_3gpuE3ELNS1_3repE0EEENS1_30default_config_static_selectorELNS0_4arch9wavefront6targetE0EEEvT1_.kd
    .uniform_work_group_size: 1
    .uses_dynamic_stack: false
    .vgpr_count:     0
    .vgpr_spill_count: 0
    .wavefront_size: 32
    .workgroup_processor_mode: 1
  - .args:
      - .offset:         0
        .size:           120
        .value_kind:     by_value
    .group_segment_fixed_size: 5120
    .kernarg_segment_align: 8
    .kernarg_segment_size: 120
    .language:       OpenCL C
    .language_version:
      - 2
      - 0
    .max_flat_workgroup_size: 256
    .name:           _ZN7rocprim17ROCPRIM_400000_NS6detail17trampoline_kernelINS0_14default_configENS1_27scan_by_key_config_selectorIiiEEZZNS1_16scan_by_key_implILNS1_25lookback_scan_determinismE0ELb0ES3_N6thrust23THRUST_200600_302600_NS6detail15normal_iteratorINS9_10device_ptrIiEEEENS9_18transform_iteratorINS9_6negateIiEESE_NS9_11use_defaultESI_EESE_iNS9_4plusIvEENS9_8equal_toIvEEiEE10hipError_tPvRmT2_T3_T4_T5_mT6_T7_P12ihipStream_tbENKUlT_T0_E_clISt17integral_constantIbLb0EES13_IbLb1EEEEDaSZ_S10_EUlSZ_E_NS1_11comp_targetILNS1_3genE8ELNS1_11target_archE1030ELNS1_3gpuE2ELNS1_3repE0EEENS1_30default_config_static_selectorELNS0_4arch9wavefront6targetE0EEEvT1_
    .private_segment_fixed_size: 0
    .sgpr_count:     36
    .sgpr_spill_count: 0
    .symbol:         _ZN7rocprim17ROCPRIM_400000_NS6detail17trampoline_kernelINS0_14default_configENS1_27scan_by_key_config_selectorIiiEEZZNS1_16scan_by_key_implILNS1_25lookback_scan_determinismE0ELb0ES3_N6thrust23THRUST_200600_302600_NS6detail15normal_iteratorINS9_10device_ptrIiEEEENS9_18transform_iteratorINS9_6negateIiEESE_NS9_11use_defaultESI_EESE_iNS9_4plusIvEENS9_8equal_toIvEEiEE10hipError_tPvRmT2_T3_T4_T5_mT6_T7_P12ihipStream_tbENKUlT_T0_E_clISt17integral_constantIbLb0EES13_IbLb1EEEEDaSZ_S10_EUlSZ_E_NS1_11comp_targetILNS1_3genE8ELNS1_11target_archE1030ELNS1_3gpuE2ELNS1_3repE0EEENS1_30default_config_static_selectorELNS0_4arch9wavefront6targetE0EEEvT1_.kd
    .uniform_work_group_size: 1
    .uses_dynamic_stack: false
    .vgpr_count:     42
    .vgpr_spill_count: 0
    .wavefront_size: 32
    .workgroup_processor_mode: 1
  - .args:
      - .offset:         0
        .size:           120
        .value_kind:     by_value
    .group_segment_fixed_size: 0
    .kernarg_segment_align: 8
    .kernarg_segment_size: 120
    .language:       OpenCL C
    .language_version:
      - 2
      - 0
    .max_flat_workgroup_size: 256
    .name:           _ZN7rocprim17ROCPRIM_400000_NS6detail17trampoline_kernelINS0_14default_configENS1_27scan_by_key_config_selectorIssEEZZNS1_16scan_by_key_implILNS1_25lookback_scan_determinismE0ELb0ES3_N6thrust23THRUST_200600_302600_NS6detail15normal_iteratorINS9_10device_ptrIsEEEENS9_18transform_iteratorINS9_6negateIsEESE_NS9_11use_defaultESI_EESE_sNS9_4plusIvEENS9_8equal_toIvEEsEE10hipError_tPvRmT2_T3_T4_T5_mT6_T7_P12ihipStream_tbENKUlT_T0_E_clISt17integral_constantIbLb0EES14_EEDaSZ_S10_EUlSZ_E_NS1_11comp_targetILNS1_3genE0ELNS1_11target_archE4294967295ELNS1_3gpuE0ELNS1_3repE0EEENS1_30default_config_static_selectorELNS0_4arch9wavefront6targetE0EEEvT1_
    .private_segment_fixed_size: 0
    .sgpr_count:     0
    .sgpr_spill_count: 0
    .symbol:         _ZN7rocprim17ROCPRIM_400000_NS6detail17trampoline_kernelINS0_14default_configENS1_27scan_by_key_config_selectorIssEEZZNS1_16scan_by_key_implILNS1_25lookback_scan_determinismE0ELb0ES3_N6thrust23THRUST_200600_302600_NS6detail15normal_iteratorINS9_10device_ptrIsEEEENS9_18transform_iteratorINS9_6negateIsEESE_NS9_11use_defaultESI_EESE_sNS9_4plusIvEENS9_8equal_toIvEEsEE10hipError_tPvRmT2_T3_T4_T5_mT6_T7_P12ihipStream_tbENKUlT_T0_E_clISt17integral_constantIbLb0EES14_EEDaSZ_S10_EUlSZ_E_NS1_11comp_targetILNS1_3genE0ELNS1_11target_archE4294967295ELNS1_3gpuE0ELNS1_3repE0EEENS1_30default_config_static_selectorELNS0_4arch9wavefront6targetE0EEEvT1_.kd
    .uniform_work_group_size: 1
    .uses_dynamic_stack: false
    .vgpr_count:     0
    .vgpr_spill_count: 0
    .wavefront_size: 32
    .workgroup_processor_mode: 1
  - .args:
      - .offset:         0
        .size:           120
        .value_kind:     by_value
    .group_segment_fixed_size: 0
    .kernarg_segment_align: 8
    .kernarg_segment_size: 120
    .language:       OpenCL C
    .language_version:
      - 2
      - 0
    .max_flat_workgroup_size: 128
    .name:           _ZN7rocprim17ROCPRIM_400000_NS6detail17trampoline_kernelINS0_14default_configENS1_27scan_by_key_config_selectorIssEEZZNS1_16scan_by_key_implILNS1_25lookback_scan_determinismE0ELb0ES3_N6thrust23THRUST_200600_302600_NS6detail15normal_iteratorINS9_10device_ptrIsEEEENS9_18transform_iteratorINS9_6negateIsEESE_NS9_11use_defaultESI_EESE_sNS9_4plusIvEENS9_8equal_toIvEEsEE10hipError_tPvRmT2_T3_T4_T5_mT6_T7_P12ihipStream_tbENKUlT_T0_E_clISt17integral_constantIbLb0EES14_EEDaSZ_S10_EUlSZ_E_NS1_11comp_targetILNS1_3genE10ELNS1_11target_archE1201ELNS1_3gpuE5ELNS1_3repE0EEENS1_30default_config_static_selectorELNS0_4arch9wavefront6targetE0EEEvT1_
    .private_segment_fixed_size: 0
    .sgpr_count:     0
    .sgpr_spill_count: 0
    .symbol:         _ZN7rocprim17ROCPRIM_400000_NS6detail17trampoline_kernelINS0_14default_configENS1_27scan_by_key_config_selectorIssEEZZNS1_16scan_by_key_implILNS1_25lookback_scan_determinismE0ELb0ES3_N6thrust23THRUST_200600_302600_NS6detail15normal_iteratorINS9_10device_ptrIsEEEENS9_18transform_iteratorINS9_6negateIsEESE_NS9_11use_defaultESI_EESE_sNS9_4plusIvEENS9_8equal_toIvEEsEE10hipError_tPvRmT2_T3_T4_T5_mT6_T7_P12ihipStream_tbENKUlT_T0_E_clISt17integral_constantIbLb0EES14_EEDaSZ_S10_EUlSZ_E_NS1_11comp_targetILNS1_3genE10ELNS1_11target_archE1201ELNS1_3gpuE5ELNS1_3repE0EEENS1_30default_config_static_selectorELNS0_4arch9wavefront6targetE0EEEvT1_.kd
    .uniform_work_group_size: 1
    .uses_dynamic_stack: false
    .vgpr_count:     0
    .vgpr_spill_count: 0
    .wavefront_size: 32
    .workgroup_processor_mode: 1
  - .args:
      - .offset:         0
        .size:           120
        .value_kind:     by_value
    .group_segment_fixed_size: 0
    .kernarg_segment_align: 8
    .kernarg_segment_size: 120
    .language:       OpenCL C
    .language_version:
      - 2
      - 0
    .max_flat_workgroup_size: 256
    .name:           _ZN7rocprim17ROCPRIM_400000_NS6detail17trampoline_kernelINS0_14default_configENS1_27scan_by_key_config_selectorIssEEZZNS1_16scan_by_key_implILNS1_25lookback_scan_determinismE0ELb0ES3_N6thrust23THRUST_200600_302600_NS6detail15normal_iteratorINS9_10device_ptrIsEEEENS9_18transform_iteratorINS9_6negateIsEESE_NS9_11use_defaultESI_EESE_sNS9_4plusIvEENS9_8equal_toIvEEsEE10hipError_tPvRmT2_T3_T4_T5_mT6_T7_P12ihipStream_tbENKUlT_T0_E_clISt17integral_constantIbLb0EES14_EEDaSZ_S10_EUlSZ_E_NS1_11comp_targetILNS1_3genE5ELNS1_11target_archE942ELNS1_3gpuE9ELNS1_3repE0EEENS1_30default_config_static_selectorELNS0_4arch9wavefront6targetE0EEEvT1_
    .private_segment_fixed_size: 0
    .sgpr_count:     0
    .sgpr_spill_count: 0
    .symbol:         _ZN7rocprim17ROCPRIM_400000_NS6detail17trampoline_kernelINS0_14default_configENS1_27scan_by_key_config_selectorIssEEZZNS1_16scan_by_key_implILNS1_25lookback_scan_determinismE0ELb0ES3_N6thrust23THRUST_200600_302600_NS6detail15normal_iteratorINS9_10device_ptrIsEEEENS9_18transform_iteratorINS9_6negateIsEESE_NS9_11use_defaultESI_EESE_sNS9_4plusIvEENS9_8equal_toIvEEsEE10hipError_tPvRmT2_T3_T4_T5_mT6_T7_P12ihipStream_tbENKUlT_T0_E_clISt17integral_constantIbLb0EES14_EEDaSZ_S10_EUlSZ_E_NS1_11comp_targetILNS1_3genE5ELNS1_11target_archE942ELNS1_3gpuE9ELNS1_3repE0EEENS1_30default_config_static_selectorELNS0_4arch9wavefront6targetE0EEEvT1_.kd
    .uniform_work_group_size: 1
    .uses_dynamic_stack: false
    .vgpr_count:     0
    .vgpr_spill_count: 0
    .wavefront_size: 32
    .workgroup_processor_mode: 1
  - .args:
      - .offset:         0
        .size:           120
        .value_kind:     by_value
    .group_segment_fixed_size: 0
    .kernarg_segment_align: 8
    .kernarg_segment_size: 120
    .language:       OpenCL C
    .language_version:
      - 2
      - 0
    .max_flat_workgroup_size: 256
    .name:           _ZN7rocprim17ROCPRIM_400000_NS6detail17trampoline_kernelINS0_14default_configENS1_27scan_by_key_config_selectorIssEEZZNS1_16scan_by_key_implILNS1_25lookback_scan_determinismE0ELb0ES3_N6thrust23THRUST_200600_302600_NS6detail15normal_iteratorINS9_10device_ptrIsEEEENS9_18transform_iteratorINS9_6negateIsEESE_NS9_11use_defaultESI_EESE_sNS9_4plusIvEENS9_8equal_toIvEEsEE10hipError_tPvRmT2_T3_T4_T5_mT6_T7_P12ihipStream_tbENKUlT_T0_E_clISt17integral_constantIbLb0EES14_EEDaSZ_S10_EUlSZ_E_NS1_11comp_targetILNS1_3genE4ELNS1_11target_archE910ELNS1_3gpuE8ELNS1_3repE0EEENS1_30default_config_static_selectorELNS0_4arch9wavefront6targetE0EEEvT1_
    .private_segment_fixed_size: 0
    .sgpr_count:     0
    .sgpr_spill_count: 0
    .symbol:         _ZN7rocprim17ROCPRIM_400000_NS6detail17trampoline_kernelINS0_14default_configENS1_27scan_by_key_config_selectorIssEEZZNS1_16scan_by_key_implILNS1_25lookback_scan_determinismE0ELb0ES3_N6thrust23THRUST_200600_302600_NS6detail15normal_iteratorINS9_10device_ptrIsEEEENS9_18transform_iteratorINS9_6negateIsEESE_NS9_11use_defaultESI_EESE_sNS9_4plusIvEENS9_8equal_toIvEEsEE10hipError_tPvRmT2_T3_T4_T5_mT6_T7_P12ihipStream_tbENKUlT_T0_E_clISt17integral_constantIbLb0EES14_EEDaSZ_S10_EUlSZ_E_NS1_11comp_targetILNS1_3genE4ELNS1_11target_archE910ELNS1_3gpuE8ELNS1_3repE0EEENS1_30default_config_static_selectorELNS0_4arch9wavefront6targetE0EEEvT1_.kd
    .uniform_work_group_size: 1
    .uses_dynamic_stack: false
    .vgpr_count:     0
    .vgpr_spill_count: 0
    .wavefront_size: 32
    .workgroup_processor_mode: 1
  - .args:
      - .offset:         0
        .size:           120
        .value_kind:     by_value
    .group_segment_fixed_size: 0
    .kernarg_segment_align: 8
    .kernarg_segment_size: 120
    .language:       OpenCL C
    .language_version:
      - 2
      - 0
    .max_flat_workgroup_size: 256
    .name:           _ZN7rocprim17ROCPRIM_400000_NS6detail17trampoline_kernelINS0_14default_configENS1_27scan_by_key_config_selectorIssEEZZNS1_16scan_by_key_implILNS1_25lookback_scan_determinismE0ELb0ES3_N6thrust23THRUST_200600_302600_NS6detail15normal_iteratorINS9_10device_ptrIsEEEENS9_18transform_iteratorINS9_6negateIsEESE_NS9_11use_defaultESI_EESE_sNS9_4plusIvEENS9_8equal_toIvEEsEE10hipError_tPvRmT2_T3_T4_T5_mT6_T7_P12ihipStream_tbENKUlT_T0_E_clISt17integral_constantIbLb0EES14_EEDaSZ_S10_EUlSZ_E_NS1_11comp_targetILNS1_3genE3ELNS1_11target_archE908ELNS1_3gpuE7ELNS1_3repE0EEENS1_30default_config_static_selectorELNS0_4arch9wavefront6targetE0EEEvT1_
    .private_segment_fixed_size: 0
    .sgpr_count:     0
    .sgpr_spill_count: 0
    .symbol:         _ZN7rocprim17ROCPRIM_400000_NS6detail17trampoline_kernelINS0_14default_configENS1_27scan_by_key_config_selectorIssEEZZNS1_16scan_by_key_implILNS1_25lookback_scan_determinismE0ELb0ES3_N6thrust23THRUST_200600_302600_NS6detail15normal_iteratorINS9_10device_ptrIsEEEENS9_18transform_iteratorINS9_6negateIsEESE_NS9_11use_defaultESI_EESE_sNS9_4plusIvEENS9_8equal_toIvEEsEE10hipError_tPvRmT2_T3_T4_T5_mT6_T7_P12ihipStream_tbENKUlT_T0_E_clISt17integral_constantIbLb0EES14_EEDaSZ_S10_EUlSZ_E_NS1_11comp_targetILNS1_3genE3ELNS1_11target_archE908ELNS1_3gpuE7ELNS1_3repE0EEENS1_30default_config_static_selectorELNS0_4arch9wavefront6targetE0EEEvT1_.kd
    .uniform_work_group_size: 1
    .uses_dynamic_stack: false
    .vgpr_count:     0
    .vgpr_spill_count: 0
    .wavefront_size: 32
    .workgroup_processor_mode: 1
  - .args:
      - .offset:         0
        .size:           120
        .value_kind:     by_value
    .group_segment_fixed_size: 0
    .kernarg_segment_align: 8
    .kernarg_segment_size: 120
    .language:       OpenCL C
    .language_version:
      - 2
      - 0
    .max_flat_workgroup_size: 64
    .name:           _ZN7rocprim17ROCPRIM_400000_NS6detail17trampoline_kernelINS0_14default_configENS1_27scan_by_key_config_selectorIssEEZZNS1_16scan_by_key_implILNS1_25lookback_scan_determinismE0ELb0ES3_N6thrust23THRUST_200600_302600_NS6detail15normal_iteratorINS9_10device_ptrIsEEEENS9_18transform_iteratorINS9_6negateIsEESE_NS9_11use_defaultESI_EESE_sNS9_4plusIvEENS9_8equal_toIvEEsEE10hipError_tPvRmT2_T3_T4_T5_mT6_T7_P12ihipStream_tbENKUlT_T0_E_clISt17integral_constantIbLb0EES14_EEDaSZ_S10_EUlSZ_E_NS1_11comp_targetILNS1_3genE2ELNS1_11target_archE906ELNS1_3gpuE6ELNS1_3repE0EEENS1_30default_config_static_selectorELNS0_4arch9wavefront6targetE0EEEvT1_
    .private_segment_fixed_size: 0
    .sgpr_count:     0
    .sgpr_spill_count: 0
    .symbol:         _ZN7rocprim17ROCPRIM_400000_NS6detail17trampoline_kernelINS0_14default_configENS1_27scan_by_key_config_selectorIssEEZZNS1_16scan_by_key_implILNS1_25lookback_scan_determinismE0ELb0ES3_N6thrust23THRUST_200600_302600_NS6detail15normal_iteratorINS9_10device_ptrIsEEEENS9_18transform_iteratorINS9_6negateIsEESE_NS9_11use_defaultESI_EESE_sNS9_4plusIvEENS9_8equal_toIvEEsEE10hipError_tPvRmT2_T3_T4_T5_mT6_T7_P12ihipStream_tbENKUlT_T0_E_clISt17integral_constantIbLb0EES14_EEDaSZ_S10_EUlSZ_E_NS1_11comp_targetILNS1_3genE2ELNS1_11target_archE906ELNS1_3gpuE6ELNS1_3repE0EEENS1_30default_config_static_selectorELNS0_4arch9wavefront6targetE0EEEvT1_.kd
    .uniform_work_group_size: 1
    .uses_dynamic_stack: false
    .vgpr_count:     0
    .vgpr_spill_count: 0
    .wavefront_size: 32
    .workgroup_processor_mode: 1
  - .args:
      - .offset:         0
        .size:           120
        .value_kind:     by_value
    .group_segment_fixed_size: 0
    .kernarg_segment_align: 8
    .kernarg_segment_size: 120
    .language:       OpenCL C
    .language_version:
      - 2
      - 0
    .max_flat_workgroup_size: 256
    .name:           _ZN7rocprim17ROCPRIM_400000_NS6detail17trampoline_kernelINS0_14default_configENS1_27scan_by_key_config_selectorIssEEZZNS1_16scan_by_key_implILNS1_25lookback_scan_determinismE0ELb0ES3_N6thrust23THRUST_200600_302600_NS6detail15normal_iteratorINS9_10device_ptrIsEEEENS9_18transform_iteratorINS9_6negateIsEESE_NS9_11use_defaultESI_EESE_sNS9_4plusIvEENS9_8equal_toIvEEsEE10hipError_tPvRmT2_T3_T4_T5_mT6_T7_P12ihipStream_tbENKUlT_T0_E_clISt17integral_constantIbLb0EES14_EEDaSZ_S10_EUlSZ_E_NS1_11comp_targetILNS1_3genE10ELNS1_11target_archE1200ELNS1_3gpuE4ELNS1_3repE0EEENS1_30default_config_static_selectorELNS0_4arch9wavefront6targetE0EEEvT1_
    .private_segment_fixed_size: 0
    .sgpr_count:     0
    .sgpr_spill_count: 0
    .symbol:         _ZN7rocprim17ROCPRIM_400000_NS6detail17trampoline_kernelINS0_14default_configENS1_27scan_by_key_config_selectorIssEEZZNS1_16scan_by_key_implILNS1_25lookback_scan_determinismE0ELb0ES3_N6thrust23THRUST_200600_302600_NS6detail15normal_iteratorINS9_10device_ptrIsEEEENS9_18transform_iteratorINS9_6negateIsEESE_NS9_11use_defaultESI_EESE_sNS9_4plusIvEENS9_8equal_toIvEEsEE10hipError_tPvRmT2_T3_T4_T5_mT6_T7_P12ihipStream_tbENKUlT_T0_E_clISt17integral_constantIbLb0EES14_EEDaSZ_S10_EUlSZ_E_NS1_11comp_targetILNS1_3genE10ELNS1_11target_archE1200ELNS1_3gpuE4ELNS1_3repE0EEENS1_30default_config_static_selectorELNS0_4arch9wavefront6targetE0EEEvT1_.kd
    .uniform_work_group_size: 1
    .uses_dynamic_stack: false
    .vgpr_count:     0
    .vgpr_spill_count: 0
    .wavefront_size: 32
    .workgroup_processor_mode: 1
  - .args:
      - .offset:         0
        .size:           120
        .value_kind:     by_value
    .group_segment_fixed_size: 0
    .kernarg_segment_align: 8
    .kernarg_segment_size: 120
    .language:       OpenCL C
    .language_version:
      - 2
      - 0
    .max_flat_workgroup_size: 256
    .name:           _ZN7rocprim17ROCPRIM_400000_NS6detail17trampoline_kernelINS0_14default_configENS1_27scan_by_key_config_selectorIssEEZZNS1_16scan_by_key_implILNS1_25lookback_scan_determinismE0ELb0ES3_N6thrust23THRUST_200600_302600_NS6detail15normal_iteratorINS9_10device_ptrIsEEEENS9_18transform_iteratorINS9_6negateIsEESE_NS9_11use_defaultESI_EESE_sNS9_4plusIvEENS9_8equal_toIvEEsEE10hipError_tPvRmT2_T3_T4_T5_mT6_T7_P12ihipStream_tbENKUlT_T0_E_clISt17integral_constantIbLb0EES14_EEDaSZ_S10_EUlSZ_E_NS1_11comp_targetILNS1_3genE9ELNS1_11target_archE1100ELNS1_3gpuE3ELNS1_3repE0EEENS1_30default_config_static_selectorELNS0_4arch9wavefront6targetE0EEEvT1_
    .private_segment_fixed_size: 0
    .sgpr_count:     0
    .sgpr_spill_count: 0
    .symbol:         _ZN7rocprim17ROCPRIM_400000_NS6detail17trampoline_kernelINS0_14default_configENS1_27scan_by_key_config_selectorIssEEZZNS1_16scan_by_key_implILNS1_25lookback_scan_determinismE0ELb0ES3_N6thrust23THRUST_200600_302600_NS6detail15normal_iteratorINS9_10device_ptrIsEEEENS9_18transform_iteratorINS9_6negateIsEESE_NS9_11use_defaultESI_EESE_sNS9_4plusIvEENS9_8equal_toIvEEsEE10hipError_tPvRmT2_T3_T4_T5_mT6_T7_P12ihipStream_tbENKUlT_T0_E_clISt17integral_constantIbLb0EES14_EEDaSZ_S10_EUlSZ_E_NS1_11comp_targetILNS1_3genE9ELNS1_11target_archE1100ELNS1_3gpuE3ELNS1_3repE0EEENS1_30default_config_static_selectorELNS0_4arch9wavefront6targetE0EEEvT1_.kd
    .uniform_work_group_size: 1
    .uses_dynamic_stack: false
    .vgpr_count:     0
    .vgpr_spill_count: 0
    .wavefront_size: 32
    .workgroup_processor_mode: 1
  - .args:
      - .offset:         0
        .size:           120
        .value_kind:     by_value
    .group_segment_fixed_size: 1536
    .kernarg_segment_align: 8
    .kernarg_segment_size: 120
    .language:       OpenCL C
    .language_version:
      - 2
      - 0
    .max_flat_workgroup_size: 64
    .name:           _ZN7rocprim17ROCPRIM_400000_NS6detail17trampoline_kernelINS0_14default_configENS1_27scan_by_key_config_selectorIssEEZZNS1_16scan_by_key_implILNS1_25lookback_scan_determinismE0ELb0ES3_N6thrust23THRUST_200600_302600_NS6detail15normal_iteratorINS9_10device_ptrIsEEEENS9_18transform_iteratorINS9_6negateIsEESE_NS9_11use_defaultESI_EESE_sNS9_4plusIvEENS9_8equal_toIvEEsEE10hipError_tPvRmT2_T3_T4_T5_mT6_T7_P12ihipStream_tbENKUlT_T0_E_clISt17integral_constantIbLb0EES14_EEDaSZ_S10_EUlSZ_E_NS1_11comp_targetILNS1_3genE8ELNS1_11target_archE1030ELNS1_3gpuE2ELNS1_3repE0EEENS1_30default_config_static_selectorELNS0_4arch9wavefront6targetE0EEEvT1_
    .private_segment_fixed_size: 0
    .sgpr_count:     41
    .sgpr_spill_count: 0
    .symbol:         _ZN7rocprim17ROCPRIM_400000_NS6detail17trampoline_kernelINS0_14default_configENS1_27scan_by_key_config_selectorIssEEZZNS1_16scan_by_key_implILNS1_25lookback_scan_determinismE0ELb0ES3_N6thrust23THRUST_200600_302600_NS6detail15normal_iteratorINS9_10device_ptrIsEEEENS9_18transform_iteratorINS9_6negateIsEESE_NS9_11use_defaultESI_EESE_sNS9_4plusIvEENS9_8equal_toIvEEsEE10hipError_tPvRmT2_T3_T4_T5_mT6_T7_P12ihipStream_tbENKUlT_T0_E_clISt17integral_constantIbLb0EES14_EEDaSZ_S10_EUlSZ_E_NS1_11comp_targetILNS1_3genE8ELNS1_11target_archE1030ELNS1_3gpuE2ELNS1_3repE0EEENS1_30default_config_static_selectorELNS0_4arch9wavefront6targetE0EEEvT1_.kd
    .uniform_work_group_size: 1
    .uses_dynamic_stack: false
    .vgpr_count:     42
    .vgpr_spill_count: 0
    .wavefront_size: 32
    .workgroup_processor_mode: 1
  - .args:
      - .offset:         0
        .size:           120
        .value_kind:     by_value
    .group_segment_fixed_size: 0
    .kernarg_segment_align: 8
    .kernarg_segment_size: 120
    .language:       OpenCL C
    .language_version:
      - 2
      - 0
    .max_flat_workgroup_size: 256
    .name:           _ZN7rocprim17ROCPRIM_400000_NS6detail17trampoline_kernelINS0_14default_configENS1_27scan_by_key_config_selectorIssEEZZNS1_16scan_by_key_implILNS1_25lookback_scan_determinismE0ELb0ES3_N6thrust23THRUST_200600_302600_NS6detail15normal_iteratorINS9_10device_ptrIsEEEENS9_18transform_iteratorINS9_6negateIsEESE_NS9_11use_defaultESI_EESE_sNS9_4plusIvEENS9_8equal_toIvEEsEE10hipError_tPvRmT2_T3_T4_T5_mT6_T7_P12ihipStream_tbENKUlT_T0_E_clISt17integral_constantIbLb1EES14_EEDaSZ_S10_EUlSZ_E_NS1_11comp_targetILNS1_3genE0ELNS1_11target_archE4294967295ELNS1_3gpuE0ELNS1_3repE0EEENS1_30default_config_static_selectorELNS0_4arch9wavefront6targetE0EEEvT1_
    .private_segment_fixed_size: 0
    .sgpr_count:     0
    .sgpr_spill_count: 0
    .symbol:         _ZN7rocprim17ROCPRIM_400000_NS6detail17trampoline_kernelINS0_14default_configENS1_27scan_by_key_config_selectorIssEEZZNS1_16scan_by_key_implILNS1_25lookback_scan_determinismE0ELb0ES3_N6thrust23THRUST_200600_302600_NS6detail15normal_iteratorINS9_10device_ptrIsEEEENS9_18transform_iteratorINS9_6negateIsEESE_NS9_11use_defaultESI_EESE_sNS9_4plusIvEENS9_8equal_toIvEEsEE10hipError_tPvRmT2_T3_T4_T5_mT6_T7_P12ihipStream_tbENKUlT_T0_E_clISt17integral_constantIbLb1EES14_EEDaSZ_S10_EUlSZ_E_NS1_11comp_targetILNS1_3genE0ELNS1_11target_archE4294967295ELNS1_3gpuE0ELNS1_3repE0EEENS1_30default_config_static_selectorELNS0_4arch9wavefront6targetE0EEEvT1_.kd
    .uniform_work_group_size: 1
    .uses_dynamic_stack: false
    .vgpr_count:     0
    .vgpr_spill_count: 0
    .wavefront_size: 32
    .workgroup_processor_mode: 1
  - .args:
      - .offset:         0
        .size:           120
        .value_kind:     by_value
    .group_segment_fixed_size: 0
    .kernarg_segment_align: 8
    .kernarg_segment_size: 120
    .language:       OpenCL C
    .language_version:
      - 2
      - 0
    .max_flat_workgroup_size: 128
    .name:           _ZN7rocprim17ROCPRIM_400000_NS6detail17trampoline_kernelINS0_14default_configENS1_27scan_by_key_config_selectorIssEEZZNS1_16scan_by_key_implILNS1_25lookback_scan_determinismE0ELb0ES3_N6thrust23THRUST_200600_302600_NS6detail15normal_iteratorINS9_10device_ptrIsEEEENS9_18transform_iteratorINS9_6negateIsEESE_NS9_11use_defaultESI_EESE_sNS9_4plusIvEENS9_8equal_toIvEEsEE10hipError_tPvRmT2_T3_T4_T5_mT6_T7_P12ihipStream_tbENKUlT_T0_E_clISt17integral_constantIbLb1EES14_EEDaSZ_S10_EUlSZ_E_NS1_11comp_targetILNS1_3genE10ELNS1_11target_archE1201ELNS1_3gpuE5ELNS1_3repE0EEENS1_30default_config_static_selectorELNS0_4arch9wavefront6targetE0EEEvT1_
    .private_segment_fixed_size: 0
    .sgpr_count:     0
    .sgpr_spill_count: 0
    .symbol:         _ZN7rocprim17ROCPRIM_400000_NS6detail17trampoline_kernelINS0_14default_configENS1_27scan_by_key_config_selectorIssEEZZNS1_16scan_by_key_implILNS1_25lookback_scan_determinismE0ELb0ES3_N6thrust23THRUST_200600_302600_NS6detail15normal_iteratorINS9_10device_ptrIsEEEENS9_18transform_iteratorINS9_6negateIsEESE_NS9_11use_defaultESI_EESE_sNS9_4plusIvEENS9_8equal_toIvEEsEE10hipError_tPvRmT2_T3_T4_T5_mT6_T7_P12ihipStream_tbENKUlT_T0_E_clISt17integral_constantIbLb1EES14_EEDaSZ_S10_EUlSZ_E_NS1_11comp_targetILNS1_3genE10ELNS1_11target_archE1201ELNS1_3gpuE5ELNS1_3repE0EEENS1_30default_config_static_selectorELNS0_4arch9wavefront6targetE0EEEvT1_.kd
    .uniform_work_group_size: 1
    .uses_dynamic_stack: false
    .vgpr_count:     0
    .vgpr_spill_count: 0
    .wavefront_size: 32
    .workgroup_processor_mode: 1
  - .args:
      - .offset:         0
        .size:           120
        .value_kind:     by_value
    .group_segment_fixed_size: 0
    .kernarg_segment_align: 8
    .kernarg_segment_size: 120
    .language:       OpenCL C
    .language_version:
      - 2
      - 0
    .max_flat_workgroup_size: 256
    .name:           _ZN7rocprim17ROCPRIM_400000_NS6detail17trampoline_kernelINS0_14default_configENS1_27scan_by_key_config_selectorIssEEZZNS1_16scan_by_key_implILNS1_25lookback_scan_determinismE0ELb0ES3_N6thrust23THRUST_200600_302600_NS6detail15normal_iteratorINS9_10device_ptrIsEEEENS9_18transform_iteratorINS9_6negateIsEESE_NS9_11use_defaultESI_EESE_sNS9_4plusIvEENS9_8equal_toIvEEsEE10hipError_tPvRmT2_T3_T4_T5_mT6_T7_P12ihipStream_tbENKUlT_T0_E_clISt17integral_constantIbLb1EES14_EEDaSZ_S10_EUlSZ_E_NS1_11comp_targetILNS1_3genE5ELNS1_11target_archE942ELNS1_3gpuE9ELNS1_3repE0EEENS1_30default_config_static_selectorELNS0_4arch9wavefront6targetE0EEEvT1_
    .private_segment_fixed_size: 0
    .sgpr_count:     0
    .sgpr_spill_count: 0
    .symbol:         _ZN7rocprim17ROCPRIM_400000_NS6detail17trampoline_kernelINS0_14default_configENS1_27scan_by_key_config_selectorIssEEZZNS1_16scan_by_key_implILNS1_25lookback_scan_determinismE0ELb0ES3_N6thrust23THRUST_200600_302600_NS6detail15normal_iteratorINS9_10device_ptrIsEEEENS9_18transform_iteratorINS9_6negateIsEESE_NS9_11use_defaultESI_EESE_sNS9_4plusIvEENS9_8equal_toIvEEsEE10hipError_tPvRmT2_T3_T4_T5_mT6_T7_P12ihipStream_tbENKUlT_T0_E_clISt17integral_constantIbLb1EES14_EEDaSZ_S10_EUlSZ_E_NS1_11comp_targetILNS1_3genE5ELNS1_11target_archE942ELNS1_3gpuE9ELNS1_3repE0EEENS1_30default_config_static_selectorELNS0_4arch9wavefront6targetE0EEEvT1_.kd
    .uniform_work_group_size: 1
    .uses_dynamic_stack: false
    .vgpr_count:     0
    .vgpr_spill_count: 0
    .wavefront_size: 32
    .workgroup_processor_mode: 1
  - .args:
      - .offset:         0
        .size:           120
        .value_kind:     by_value
    .group_segment_fixed_size: 0
    .kernarg_segment_align: 8
    .kernarg_segment_size: 120
    .language:       OpenCL C
    .language_version:
      - 2
      - 0
    .max_flat_workgroup_size: 256
    .name:           _ZN7rocprim17ROCPRIM_400000_NS6detail17trampoline_kernelINS0_14default_configENS1_27scan_by_key_config_selectorIssEEZZNS1_16scan_by_key_implILNS1_25lookback_scan_determinismE0ELb0ES3_N6thrust23THRUST_200600_302600_NS6detail15normal_iteratorINS9_10device_ptrIsEEEENS9_18transform_iteratorINS9_6negateIsEESE_NS9_11use_defaultESI_EESE_sNS9_4plusIvEENS9_8equal_toIvEEsEE10hipError_tPvRmT2_T3_T4_T5_mT6_T7_P12ihipStream_tbENKUlT_T0_E_clISt17integral_constantIbLb1EES14_EEDaSZ_S10_EUlSZ_E_NS1_11comp_targetILNS1_3genE4ELNS1_11target_archE910ELNS1_3gpuE8ELNS1_3repE0EEENS1_30default_config_static_selectorELNS0_4arch9wavefront6targetE0EEEvT1_
    .private_segment_fixed_size: 0
    .sgpr_count:     0
    .sgpr_spill_count: 0
    .symbol:         _ZN7rocprim17ROCPRIM_400000_NS6detail17trampoline_kernelINS0_14default_configENS1_27scan_by_key_config_selectorIssEEZZNS1_16scan_by_key_implILNS1_25lookback_scan_determinismE0ELb0ES3_N6thrust23THRUST_200600_302600_NS6detail15normal_iteratorINS9_10device_ptrIsEEEENS9_18transform_iteratorINS9_6negateIsEESE_NS9_11use_defaultESI_EESE_sNS9_4plusIvEENS9_8equal_toIvEEsEE10hipError_tPvRmT2_T3_T4_T5_mT6_T7_P12ihipStream_tbENKUlT_T0_E_clISt17integral_constantIbLb1EES14_EEDaSZ_S10_EUlSZ_E_NS1_11comp_targetILNS1_3genE4ELNS1_11target_archE910ELNS1_3gpuE8ELNS1_3repE0EEENS1_30default_config_static_selectorELNS0_4arch9wavefront6targetE0EEEvT1_.kd
    .uniform_work_group_size: 1
    .uses_dynamic_stack: false
    .vgpr_count:     0
    .vgpr_spill_count: 0
    .wavefront_size: 32
    .workgroup_processor_mode: 1
  - .args:
      - .offset:         0
        .size:           120
        .value_kind:     by_value
    .group_segment_fixed_size: 0
    .kernarg_segment_align: 8
    .kernarg_segment_size: 120
    .language:       OpenCL C
    .language_version:
      - 2
      - 0
    .max_flat_workgroup_size: 256
    .name:           _ZN7rocprim17ROCPRIM_400000_NS6detail17trampoline_kernelINS0_14default_configENS1_27scan_by_key_config_selectorIssEEZZNS1_16scan_by_key_implILNS1_25lookback_scan_determinismE0ELb0ES3_N6thrust23THRUST_200600_302600_NS6detail15normal_iteratorINS9_10device_ptrIsEEEENS9_18transform_iteratorINS9_6negateIsEESE_NS9_11use_defaultESI_EESE_sNS9_4plusIvEENS9_8equal_toIvEEsEE10hipError_tPvRmT2_T3_T4_T5_mT6_T7_P12ihipStream_tbENKUlT_T0_E_clISt17integral_constantIbLb1EES14_EEDaSZ_S10_EUlSZ_E_NS1_11comp_targetILNS1_3genE3ELNS1_11target_archE908ELNS1_3gpuE7ELNS1_3repE0EEENS1_30default_config_static_selectorELNS0_4arch9wavefront6targetE0EEEvT1_
    .private_segment_fixed_size: 0
    .sgpr_count:     0
    .sgpr_spill_count: 0
    .symbol:         _ZN7rocprim17ROCPRIM_400000_NS6detail17trampoline_kernelINS0_14default_configENS1_27scan_by_key_config_selectorIssEEZZNS1_16scan_by_key_implILNS1_25lookback_scan_determinismE0ELb0ES3_N6thrust23THRUST_200600_302600_NS6detail15normal_iteratorINS9_10device_ptrIsEEEENS9_18transform_iteratorINS9_6negateIsEESE_NS9_11use_defaultESI_EESE_sNS9_4plusIvEENS9_8equal_toIvEEsEE10hipError_tPvRmT2_T3_T4_T5_mT6_T7_P12ihipStream_tbENKUlT_T0_E_clISt17integral_constantIbLb1EES14_EEDaSZ_S10_EUlSZ_E_NS1_11comp_targetILNS1_3genE3ELNS1_11target_archE908ELNS1_3gpuE7ELNS1_3repE0EEENS1_30default_config_static_selectorELNS0_4arch9wavefront6targetE0EEEvT1_.kd
    .uniform_work_group_size: 1
    .uses_dynamic_stack: false
    .vgpr_count:     0
    .vgpr_spill_count: 0
    .wavefront_size: 32
    .workgroup_processor_mode: 1
  - .args:
      - .offset:         0
        .size:           120
        .value_kind:     by_value
    .group_segment_fixed_size: 0
    .kernarg_segment_align: 8
    .kernarg_segment_size: 120
    .language:       OpenCL C
    .language_version:
      - 2
      - 0
    .max_flat_workgroup_size: 64
    .name:           _ZN7rocprim17ROCPRIM_400000_NS6detail17trampoline_kernelINS0_14default_configENS1_27scan_by_key_config_selectorIssEEZZNS1_16scan_by_key_implILNS1_25lookback_scan_determinismE0ELb0ES3_N6thrust23THRUST_200600_302600_NS6detail15normal_iteratorINS9_10device_ptrIsEEEENS9_18transform_iteratorINS9_6negateIsEESE_NS9_11use_defaultESI_EESE_sNS9_4plusIvEENS9_8equal_toIvEEsEE10hipError_tPvRmT2_T3_T4_T5_mT6_T7_P12ihipStream_tbENKUlT_T0_E_clISt17integral_constantIbLb1EES14_EEDaSZ_S10_EUlSZ_E_NS1_11comp_targetILNS1_3genE2ELNS1_11target_archE906ELNS1_3gpuE6ELNS1_3repE0EEENS1_30default_config_static_selectorELNS0_4arch9wavefront6targetE0EEEvT1_
    .private_segment_fixed_size: 0
    .sgpr_count:     0
    .sgpr_spill_count: 0
    .symbol:         _ZN7rocprim17ROCPRIM_400000_NS6detail17trampoline_kernelINS0_14default_configENS1_27scan_by_key_config_selectorIssEEZZNS1_16scan_by_key_implILNS1_25lookback_scan_determinismE0ELb0ES3_N6thrust23THRUST_200600_302600_NS6detail15normal_iteratorINS9_10device_ptrIsEEEENS9_18transform_iteratorINS9_6negateIsEESE_NS9_11use_defaultESI_EESE_sNS9_4plusIvEENS9_8equal_toIvEEsEE10hipError_tPvRmT2_T3_T4_T5_mT6_T7_P12ihipStream_tbENKUlT_T0_E_clISt17integral_constantIbLb1EES14_EEDaSZ_S10_EUlSZ_E_NS1_11comp_targetILNS1_3genE2ELNS1_11target_archE906ELNS1_3gpuE6ELNS1_3repE0EEENS1_30default_config_static_selectorELNS0_4arch9wavefront6targetE0EEEvT1_.kd
    .uniform_work_group_size: 1
    .uses_dynamic_stack: false
    .vgpr_count:     0
    .vgpr_spill_count: 0
    .wavefront_size: 32
    .workgroup_processor_mode: 1
  - .args:
      - .offset:         0
        .size:           120
        .value_kind:     by_value
    .group_segment_fixed_size: 0
    .kernarg_segment_align: 8
    .kernarg_segment_size: 120
    .language:       OpenCL C
    .language_version:
      - 2
      - 0
    .max_flat_workgroup_size: 256
    .name:           _ZN7rocprim17ROCPRIM_400000_NS6detail17trampoline_kernelINS0_14default_configENS1_27scan_by_key_config_selectorIssEEZZNS1_16scan_by_key_implILNS1_25lookback_scan_determinismE0ELb0ES3_N6thrust23THRUST_200600_302600_NS6detail15normal_iteratorINS9_10device_ptrIsEEEENS9_18transform_iteratorINS9_6negateIsEESE_NS9_11use_defaultESI_EESE_sNS9_4plusIvEENS9_8equal_toIvEEsEE10hipError_tPvRmT2_T3_T4_T5_mT6_T7_P12ihipStream_tbENKUlT_T0_E_clISt17integral_constantIbLb1EES14_EEDaSZ_S10_EUlSZ_E_NS1_11comp_targetILNS1_3genE10ELNS1_11target_archE1200ELNS1_3gpuE4ELNS1_3repE0EEENS1_30default_config_static_selectorELNS0_4arch9wavefront6targetE0EEEvT1_
    .private_segment_fixed_size: 0
    .sgpr_count:     0
    .sgpr_spill_count: 0
    .symbol:         _ZN7rocprim17ROCPRIM_400000_NS6detail17trampoline_kernelINS0_14default_configENS1_27scan_by_key_config_selectorIssEEZZNS1_16scan_by_key_implILNS1_25lookback_scan_determinismE0ELb0ES3_N6thrust23THRUST_200600_302600_NS6detail15normal_iteratorINS9_10device_ptrIsEEEENS9_18transform_iteratorINS9_6negateIsEESE_NS9_11use_defaultESI_EESE_sNS9_4plusIvEENS9_8equal_toIvEEsEE10hipError_tPvRmT2_T3_T4_T5_mT6_T7_P12ihipStream_tbENKUlT_T0_E_clISt17integral_constantIbLb1EES14_EEDaSZ_S10_EUlSZ_E_NS1_11comp_targetILNS1_3genE10ELNS1_11target_archE1200ELNS1_3gpuE4ELNS1_3repE0EEENS1_30default_config_static_selectorELNS0_4arch9wavefront6targetE0EEEvT1_.kd
    .uniform_work_group_size: 1
    .uses_dynamic_stack: false
    .vgpr_count:     0
    .vgpr_spill_count: 0
    .wavefront_size: 32
    .workgroup_processor_mode: 1
  - .args:
      - .offset:         0
        .size:           120
        .value_kind:     by_value
    .group_segment_fixed_size: 0
    .kernarg_segment_align: 8
    .kernarg_segment_size: 120
    .language:       OpenCL C
    .language_version:
      - 2
      - 0
    .max_flat_workgroup_size: 256
    .name:           _ZN7rocprim17ROCPRIM_400000_NS6detail17trampoline_kernelINS0_14default_configENS1_27scan_by_key_config_selectorIssEEZZNS1_16scan_by_key_implILNS1_25lookback_scan_determinismE0ELb0ES3_N6thrust23THRUST_200600_302600_NS6detail15normal_iteratorINS9_10device_ptrIsEEEENS9_18transform_iteratorINS9_6negateIsEESE_NS9_11use_defaultESI_EESE_sNS9_4plusIvEENS9_8equal_toIvEEsEE10hipError_tPvRmT2_T3_T4_T5_mT6_T7_P12ihipStream_tbENKUlT_T0_E_clISt17integral_constantIbLb1EES14_EEDaSZ_S10_EUlSZ_E_NS1_11comp_targetILNS1_3genE9ELNS1_11target_archE1100ELNS1_3gpuE3ELNS1_3repE0EEENS1_30default_config_static_selectorELNS0_4arch9wavefront6targetE0EEEvT1_
    .private_segment_fixed_size: 0
    .sgpr_count:     0
    .sgpr_spill_count: 0
    .symbol:         _ZN7rocprim17ROCPRIM_400000_NS6detail17trampoline_kernelINS0_14default_configENS1_27scan_by_key_config_selectorIssEEZZNS1_16scan_by_key_implILNS1_25lookback_scan_determinismE0ELb0ES3_N6thrust23THRUST_200600_302600_NS6detail15normal_iteratorINS9_10device_ptrIsEEEENS9_18transform_iteratorINS9_6negateIsEESE_NS9_11use_defaultESI_EESE_sNS9_4plusIvEENS9_8equal_toIvEEsEE10hipError_tPvRmT2_T3_T4_T5_mT6_T7_P12ihipStream_tbENKUlT_T0_E_clISt17integral_constantIbLb1EES14_EEDaSZ_S10_EUlSZ_E_NS1_11comp_targetILNS1_3genE9ELNS1_11target_archE1100ELNS1_3gpuE3ELNS1_3repE0EEENS1_30default_config_static_selectorELNS0_4arch9wavefront6targetE0EEEvT1_.kd
    .uniform_work_group_size: 1
    .uses_dynamic_stack: false
    .vgpr_count:     0
    .vgpr_spill_count: 0
    .wavefront_size: 32
    .workgroup_processor_mode: 1
  - .args:
      - .offset:         0
        .size:           120
        .value_kind:     by_value
    .group_segment_fixed_size: 0
    .kernarg_segment_align: 8
    .kernarg_segment_size: 120
    .language:       OpenCL C
    .language_version:
      - 2
      - 0
    .max_flat_workgroup_size: 64
    .name:           _ZN7rocprim17ROCPRIM_400000_NS6detail17trampoline_kernelINS0_14default_configENS1_27scan_by_key_config_selectorIssEEZZNS1_16scan_by_key_implILNS1_25lookback_scan_determinismE0ELb0ES3_N6thrust23THRUST_200600_302600_NS6detail15normal_iteratorINS9_10device_ptrIsEEEENS9_18transform_iteratorINS9_6negateIsEESE_NS9_11use_defaultESI_EESE_sNS9_4plusIvEENS9_8equal_toIvEEsEE10hipError_tPvRmT2_T3_T4_T5_mT6_T7_P12ihipStream_tbENKUlT_T0_E_clISt17integral_constantIbLb1EES14_EEDaSZ_S10_EUlSZ_E_NS1_11comp_targetILNS1_3genE8ELNS1_11target_archE1030ELNS1_3gpuE2ELNS1_3repE0EEENS1_30default_config_static_selectorELNS0_4arch9wavefront6targetE0EEEvT1_
    .private_segment_fixed_size: 0
    .sgpr_count:     0
    .sgpr_spill_count: 0
    .symbol:         _ZN7rocprim17ROCPRIM_400000_NS6detail17trampoline_kernelINS0_14default_configENS1_27scan_by_key_config_selectorIssEEZZNS1_16scan_by_key_implILNS1_25lookback_scan_determinismE0ELb0ES3_N6thrust23THRUST_200600_302600_NS6detail15normal_iteratorINS9_10device_ptrIsEEEENS9_18transform_iteratorINS9_6negateIsEESE_NS9_11use_defaultESI_EESE_sNS9_4plusIvEENS9_8equal_toIvEEsEE10hipError_tPvRmT2_T3_T4_T5_mT6_T7_P12ihipStream_tbENKUlT_T0_E_clISt17integral_constantIbLb1EES14_EEDaSZ_S10_EUlSZ_E_NS1_11comp_targetILNS1_3genE8ELNS1_11target_archE1030ELNS1_3gpuE2ELNS1_3repE0EEENS1_30default_config_static_selectorELNS0_4arch9wavefront6targetE0EEEvT1_.kd
    .uniform_work_group_size: 1
    .uses_dynamic_stack: false
    .vgpr_count:     0
    .vgpr_spill_count: 0
    .wavefront_size: 32
    .workgroup_processor_mode: 1
  - .args:
      - .offset:         0
        .size:           120
        .value_kind:     by_value
    .group_segment_fixed_size: 0
    .kernarg_segment_align: 8
    .kernarg_segment_size: 120
    .language:       OpenCL C
    .language_version:
      - 2
      - 0
    .max_flat_workgroup_size: 256
    .name:           _ZN7rocprim17ROCPRIM_400000_NS6detail17trampoline_kernelINS0_14default_configENS1_27scan_by_key_config_selectorIssEEZZNS1_16scan_by_key_implILNS1_25lookback_scan_determinismE0ELb0ES3_N6thrust23THRUST_200600_302600_NS6detail15normal_iteratorINS9_10device_ptrIsEEEENS9_18transform_iteratorINS9_6negateIsEESE_NS9_11use_defaultESI_EESE_sNS9_4plusIvEENS9_8equal_toIvEEsEE10hipError_tPvRmT2_T3_T4_T5_mT6_T7_P12ihipStream_tbENKUlT_T0_E_clISt17integral_constantIbLb1EES13_IbLb0EEEEDaSZ_S10_EUlSZ_E_NS1_11comp_targetILNS1_3genE0ELNS1_11target_archE4294967295ELNS1_3gpuE0ELNS1_3repE0EEENS1_30default_config_static_selectorELNS0_4arch9wavefront6targetE0EEEvT1_
    .private_segment_fixed_size: 0
    .sgpr_count:     0
    .sgpr_spill_count: 0
    .symbol:         _ZN7rocprim17ROCPRIM_400000_NS6detail17trampoline_kernelINS0_14default_configENS1_27scan_by_key_config_selectorIssEEZZNS1_16scan_by_key_implILNS1_25lookback_scan_determinismE0ELb0ES3_N6thrust23THRUST_200600_302600_NS6detail15normal_iteratorINS9_10device_ptrIsEEEENS9_18transform_iteratorINS9_6negateIsEESE_NS9_11use_defaultESI_EESE_sNS9_4plusIvEENS9_8equal_toIvEEsEE10hipError_tPvRmT2_T3_T4_T5_mT6_T7_P12ihipStream_tbENKUlT_T0_E_clISt17integral_constantIbLb1EES13_IbLb0EEEEDaSZ_S10_EUlSZ_E_NS1_11comp_targetILNS1_3genE0ELNS1_11target_archE4294967295ELNS1_3gpuE0ELNS1_3repE0EEENS1_30default_config_static_selectorELNS0_4arch9wavefront6targetE0EEEvT1_.kd
    .uniform_work_group_size: 1
    .uses_dynamic_stack: false
    .vgpr_count:     0
    .vgpr_spill_count: 0
    .wavefront_size: 32
    .workgroup_processor_mode: 1
  - .args:
      - .offset:         0
        .size:           120
        .value_kind:     by_value
    .group_segment_fixed_size: 0
    .kernarg_segment_align: 8
    .kernarg_segment_size: 120
    .language:       OpenCL C
    .language_version:
      - 2
      - 0
    .max_flat_workgroup_size: 128
    .name:           _ZN7rocprim17ROCPRIM_400000_NS6detail17trampoline_kernelINS0_14default_configENS1_27scan_by_key_config_selectorIssEEZZNS1_16scan_by_key_implILNS1_25lookback_scan_determinismE0ELb0ES3_N6thrust23THRUST_200600_302600_NS6detail15normal_iteratorINS9_10device_ptrIsEEEENS9_18transform_iteratorINS9_6negateIsEESE_NS9_11use_defaultESI_EESE_sNS9_4plusIvEENS9_8equal_toIvEEsEE10hipError_tPvRmT2_T3_T4_T5_mT6_T7_P12ihipStream_tbENKUlT_T0_E_clISt17integral_constantIbLb1EES13_IbLb0EEEEDaSZ_S10_EUlSZ_E_NS1_11comp_targetILNS1_3genE10ELNS1_11target_archE1201ELNS1_3gpuE5ELNS1_3repE0EEENS1_30default_config_static_selectorELNS0_4arch9wavefront6targetE0EEEvT1_
    .private_segment_fixed_size: 0
    .sgpr_count:     0
    .sgpr_spill_count: 0
    .symbol:         _ZN7rocprim17ROCPRIM_400000_NS6detail17trampoline_kernelINS0_14default_configENS1_27scan_by_key_config_selectorIssEEZZNS1_16scan_by_key_implILNS1_25lookback_scan_determinismE0ELb0ES3_N6thrust23THRUST_200600_302600_NS6detail15normal_iteratorINS9_10device_ptrIsEEEENS9_18transform_iteratorINS9_6negateIsEESE_NS9_11use_defaultESI_EESE_sNS9_4plusIvEENS9_8equal_toIvEEsEE10hipError_tPvRmT2_T3_T4_T5_mT6_T7_P12ihipStream_tbENKUlT_T0_E_clISt17integral_constantIbLb1EES13_IbLb0EEEEDaSZ_S10_EUlSZ_E_NS1_11comp_targetILNS1_3genE10ELNS1_11target_archE1201ELNS1_3gpuE5ELNS1_3repE0EEENS1_30default_config_static_selectorELNS0_4arch9wavefront6targetE0EEEvT1_.kd
    .uniform_work_group_size: 1
    .uses_dynamic_stack: false
    .vgpr_count:     0
    .vgpr_spill_count: 0
    .wavefront_size: 32
    .workgroup_processor_mode: 1
  - .args:
      - .offset:         0
        .size:           120
        .value_kind:     by_value
    .group_segment_fixed_size: 0
    .kernarg_segment_align: 8
    .kernarg_segment_size: 120
    .language:       OpenCL C
    .language_version:
      - 2
      - 0
    .max_flat_workgroup_size: 256
    .name:           _ZN7rocprim17ROCPRIM_400000_NS6detail17trampoline_kernelINS0_14default_configENS1_27scan_by_key_config_selectorIssEEZZNS1_16scan_by_key_implILNS1_25lookback_scan_determinismE0ELb0ES3_N6thrust23THRUST_200600_302600_NS6detail15normal_iteratorINS9_10device_ptrIsEEEENS9_18transform_iteratorINS9_6negateIsEESE_NS9_11use_defaultESI_EESE_sNS9_4plusIvEENS9_8equal_toIvEEsEE10hipError_tPvRmT2_T3_T4_T5_mT6_T7_P12ihipStream_tbENKUlT_T0_E_clISt17integral_constantIbLb1EES13_IbLb0EEEEDaSZ_S10_EUlSZ_E_NS1_11comp_targetILNS1_3genE5ELNS1_11target_archE942ELNS1_3gpuE9ELNS1_3repE0EEENS1_30default_config_static_selectorELNS0_4arch9wavefront6targetE0EEEvT1_
    .private_segment_fixed_size: 0
    .sgpr_count:     0
    .sgpr_spill_count: 0
    .symbol:         _ZN7rocprim17ROCPRIM_400000_NS6detail17trampoline_kernelINS0_14default_configENS1_27scan_by_key_config_selectorIssEEZZNS1_16scan_by_key_implILNS1_25lookback_scan_determinismE0ELb0ES3_N6thrust23THRUST_200600_302600_NS6detail15normal_iteratorINS9_10device_ptrIsEEEENS9_18transform_iteratorINS9_6negateIsEESE_NS9_11use_defaultESI_EESE_sNS9_4plusIvEENS9_8equal_toIvEEsEE10hipError_tPvRmT2_T3_T4_T5_mT6_T7_P12ihipStream_tbENKUlT_T0_E_clISt17integral_constantIbLb1EES13_IbLb0EEEEDaSZ_S10_EUlSZ_E_NS1_11comp_targetILNS1_3genE5ELNS1_11target_archE942ELNS1_3gpuE9ELNS1_3repE0EEENS1_30default_config_static_selectorELNS0_4arch9wavefront6targetE0EEEvT1_.kd
    .uniform_work_group_size: 1
    .uses_dynamic_stack: false
    .vgpr_count:     0
    .vgpr_spill_count: 0
    .wavefront_size: 32
    .workgroup_processor_mode: 1
  - .args:
      - .offset:         0
        .size:           120
        .value_kind:     by_value
    .group_segment_fixed_size: 0
    .kernarg_segment_align: 8
    .kernarg_segment_size: 120
    .language:       OpenCL C
    .language_version:
      - 2
      - 0
    .max_flat_workgroup_size: 256
    .name:           _ZN7rocprim17ROCPRIM_400000_NS6detail17trampoline_kernelINS0_14default_configENS1_27scan_by_key_config_selectorIssEEZZNS1_16scan_by_key_implILNS1_25lookback_scan_determinismE0ELb0ES3_N6thrust23THRUST_200600_302600_NS6detail15normal_iteratorINS9_10device_ptrIsEEEENS9_18transform_iteratorINS9_6negateIsEESE_NS9_11use_defaultESI_EESE_sNS9_4plusIvEENS9_8equal_toIvEEsEE10hipError_tPvRmT2_T3_T4_T5_mT6_T7_P12ihipStream_tbENKUlT_T0_E_clISt17integral_constantIbLb1EES13_IbLb0EEEEDaSZ_S10_EUlSZ_E_NS1_11comp_targetILNS1_3genE4ELNS1_11target_archE910ELNS1_3gpuE8ELNS1_3repE0EEENS1_30default_config_static_selectorELNS0_4arch9wavefront6targetE0EEEvT1_
    .private_segment_fixed_size: 0
    .sgpr_count:     0
    .sgpr_spill_count: 0
    .symbol:         _ZN7rocprim17ROCPRIM_400000_NS6detail17trampoline_kernelINS0_14default_configENS1_27scan_by_key_config_selectorIssEEZZNS1_16scan_by_key_implILNS1_25lookback_scan_determinismE0ELb0ES3_N6thrust23THRUST_200600_302600_NS6detail15normal_iteratorINS9_10device_ptrIsEEEENS9_18transform_iteratorINS9_6negateIsEESE_NS9_11use_defaultESI_EESE_sNS9_4plusIvEENS9_8equal_toIvEEsEE10hipError_tPvRmT2_T3_T4_T5_mT6_T7_P12ihipStream_tbENKUlT_T0_E_clISt17integral_constantIbLb1EES13_IbLb0EEEEDaSZ_S10_EUlSZ_E_NS1_11comp_targetILNS1_3genE4ELNS1_11target_archE910ELNS1_3gpuE8ELNS1_3repE0EEENS1_30default_config_static_selectorELNS0_4arch9wavefront6targetE0EEEvT1_.kd
    .uniform_work_group_size: 1
    .uses_dynamic_stack: false
    .vgpr_count:     0
    .vgpr_spill_count: 0
    .wavefront_size: 32
    .workgroup_processor_mode: 1
  - .args:
      - .offset:         0
        .size:           120
        .value_kind:     by_value
    .group_segment_fixed_size: 0
    .kernarg_segment_align: 8
    .kernarg_segment_size: 120
    .language:       OpenCL C
    .language_version:
      - 2
      - 0
    .max_flat_workgroup_size: 256
    .name:           _ZN7rocprim17ROCPRIM_400000_NS6detail17trampoline_kernelINS0_14default_configENS1_27scan_by_key_config_selectorIssEEZZNS1_16scan_by_key_implILNS1_25lookback_scan_determinismE0ELb0ES3_N6thrust23THRUST_200600_302600_NS6detail15normal_iteratorINS9_10device_ptrIsEEEENS9_18transform_iteratorINS9_6negateIsEESE_NS9_11use_defaultESI_EESE_sNS9_4plusIvEENS9_8equal_toIvEEsEE10hipError_tPvRmT2_T3_T4_T5_mT6_T7_P12ihipStream_tbENKUlT_T0_E_clISt17integral_constantIbLb1EES13_IbLb0EEEEDaSZ_S10_EUlSZ_E_NS1_11comp_targetILNS1_3genE3ELNS1_11target_archE908ELNS1_3gpuE7ELNS1_3repE0EEENS1_30default_config_static_selectorELNS0_4arch9wavefront6targetE0EEEvT1_
    .private_segment_fixed_size: 0
    .sgpr_count:     0
    .sgpr_spill_count: 0
    .symbol:         _ZN7rocprim17ROCPRIM_400000_NS6detail17trampoline_kernelINS0_14default_configENS1_27scan_by_key_config_selectorIssEEZZNS1_16scan_by_key_implILNS1_25lookback_scan_determinismE0ELb0ES3_N6thrust23THRUST_200600_302600_NS6detail15normal_iteratorINS9_10device_ptrIsEEEENS9_18transform_iteratorINS9_6negateIsEESE_NS9_11use_defaultESI_EESE_sNS9_4plusIvEENS9_8equal_toIvEEsEE10hipError_tPvRmT2_T3_T4_T5_mT6_T7_P12ihipStream_tbENKUlT_T0_E_clISt17integral_constantIbLb1EES13_IbLb0EEEEDaSZ_S10_EUlSZ_E_NS1_11comp_targetILNS1_3genE3ELNS1_11target_archE908ELNS1_3gpuE7ELNS1_3repE0EEENS1_30default_config_static_selectorELNS0_4arch9wavefront6targetE0EEEvT1_.kd
    .uniform_work_group_size: 1
    .uses_dynamic_stack: false
    .vgpr_count:     0
    .vgpr_spill_count: 0
    .wavefront_size: 32
    .workgroup_processor_mode: 1
  - .args:
      - .offset:         0
        .size:           120
        .value_kind:     by_value
    .group_segment_fixed_size: 0
    .kernarg_segment_align: 8
    .kernarg_segment_size: 120
    .language:       OpenCL C
    .language_version:
      - 2
      - 0
    .max_flat_workgroup_size: 64
    .name:           _ZN7rocprim17ROCPRIM_400000_NS6detail17trampoline_kernelINS0_14default_configENS1_27scan_by_key_config_selectorIssEEZZNS1_16scan_by_key_implILNS1_25lookback_scan_determinismE0ELb0ES3_N6thrust23THRUST_200600_302600_NS6detail15normal_iteratorINS9_10device_ptrIsEEEENS9_18transform_iteratorINS9_6negateIsEESE_NS9_11use_defaultESI_EESE_sNS9_4plusIvEENS9_8equal_toIvEEsEE10hipError_tPvRmT2_T3_T4_T5_mT6_T7_P12ihipStream_tbENKUlT_T0_E_clISt17integral_constantIbLb1EES13_IbLb0EEEEDaSZ_S10_EUlSZ_E_NS1_11comp_targetILNS1_3genE2ELNS1_11target_archE906ELNS1_3gpuE6ELNS1_3repE0EEENS1_30default_config_static_selectorELNS0_4arch9wavefront6targetE0EEEvT1_
    .private_segment_fixed_size: 0
    .sgpr_count:     0
    .sgpr_spill_count: 0
    .symbol:         _ZN7rocprim17ROCPRIM_400000_NS6detail17trampoline_kernelINS0_14default_configENS1_27scan_by_key_config_selectorIssEEZZNS1_16scan_by_key_implILNS1_25lookback_scan_determinismE0ELb0ES3_N6thrust23THRUST_200600_302600_NS6detail15normal_iteratorINS9_10device_ptrIsEEEENS9_18transform_iteratorINS9_6negateIsEESE_NS9_11use_defaultESI_EESE_sNS9_4plusIvEENS9_8equal_toIvEEsEE10hipError_tPvRmT2_T3_T4_T5_mT6_T7_P12ihipStream_tbENKUlT_T0_E_clISt17integral_constantIbLb1EES13_IbLb0EEEEDaSZ_S10_EUlSZ_E_NS1_11comp_targetILNS1_3genE2ELNS1_11target_archE906ELNS1_3gpuE6ELNS1_3repE0EEENS1_30default_config_static_selectorELNS0_4arch9wavefront6targetE0EEEvT1_.kd
    .uniform_work_group_size: 1
    .uses_dynamic_stack: false
    .vgpr_count:     0
    .vgpr_spill_count: 0
    .wavefront_size: 32
    .workgroup_processor_mode: 1
  - .args:
      - .offset:         0
        .size:           120
        .value_kind:     by_value
    .group_segment_fixed_size: 0
    .kernarg_segment_align: 8
    .kernarg_segment_size: 120
    .language:       OpenCL C
    .language_version:
      - 2
      - 0
    .max_flat_workgroup_size: 256
    .name:           _ZN7rocprim17ROCPRIM_400000_NS6detail17trampoline_kernelINS0_14default_configENS1_27scan_by_key_config_selectorIssEEZZNS1_16scan_by_key_implILNS1_25lookback_scan_determinismE0ELb0ES3_N6thrust23THRUST_200600_302600_NS6detail15normal_iteratorINS9_10device_ptrIsEEEENS9_18transform_iteratorINS9_6negateIsEESE_NS9_11use_defaultESI_EESE_sNS9_4plusIvEENS9_8equal_toIvEEsEE10hipError_tPvRmT2_T3_T4_T5_mT6_T7_P12ihipStream_tbENKUlT_T0_E_clISt17integral_constantIbLb1EES13_IbLb0EEEEDaSZ_S10_EUlSZ_E_NS1_11comp_targetILNS1_3genE10ELNS1_11target_archE1200ELNS1_3gpuE4ELNS1_3repE0EEENS1_30default_config_static_selectorELNS0_4arch9wavefront6targetE0EEEvT1_
    .private_segment_fixed_size: 0
    .sgpr_count:     0
    .sgpr_spill_count: 0
    .symbol:         _ZN7rocprim17ROCPRIM_400000_NS6detail17trampoline_kernelINS0_14default_configENS1_27scan_by_key_config_selectorIssEEZZNS1_16scan_by_key_implILNS1_25lookback_scan_determinismE0ELb0ES3_N6thrust23THRUST_200600_302600_NS6detail15normal_iteratorINS9_10device_ptrIsEEEENS9_18transform_iteratorINS9_6negateIsEESE_NS9_11use_defaultESI_EESE_sNS9_4plusIvEENS9_8equal_toIvEEsEE10hipError_tPvRmT2_T3_T4_T5_mT6_T7_P12ihipStream_tbENKUlT_T0_E_clISt17integral_constantIbLb1EES13_IbLb0EEEEDaSZ_S10_EUlSZ_E_NS1_11comp_targetILNS1_3genE10ELNS1_11target_archE1200ELNS1_3gpuE4ELNS1_3repE0EEENS1_30default_config_static_selectorELNS0_4arch9wavefront6targetE0EEEvT1_.kd
    .uniform_work_group_size: 1
    .uses_dynamic_stack: false
    .vgpr_count:     0
    .vgpr_spill_count: 0
    .wavefront_size: 32
    .workgroup_processor_mode: 1
  - .args:
      - .offset:         0
        .size:           120
        .value_kind:     by_value
    .group_segment_fixed_size: 0
    .kernarg_segment_align: 8
    .kernarg_segment_size: 120
    .language:       OpenCL C
    .language_version:
      - 2
      - 0
    .max_flat_workgroup_size: 256
    .name:           _ZN7rocprim17ROCPRIM_400000_NS6detail17trampoline_kernelINS0_14default_configENS1_27scan_by_key_config_selectorIssEEZZNS1_16scan_by_key_implILNS1_25lookback_scan_determinismE0ELb0ES3_N6thrust23THRUST_200600_302600_NS6detail15normal_iteratorINS9_10device_ptrIsEEEENS9_18transform_iteratorINS9_6negateIsEESE_NS9_11use_defaultESI_EESE_sNS9_4plusIvEENS9_8equal_toIvEEsEE10hipError_tPvRmT2_T3_T4_T5_mT6_T7_P12ihipStream_tbENKUlT_T0_E_clISt17integral_constantIbLb1EES13_IbLb0EEEEDaSZ_S10_EUlSZ_E_NS1_11comp_targetILNS1_3genE9ELNS1_11target_archE1100ELNS1_3gpuE3ELNS1_3repE0EEENS1_30default_config_static_selectorELNS0_4arch9wavefront6targetE0EEEvT1_
    .private_segment_fixed_size: 0
    .sgpr_count:     0
    .sgpr_spill_count: 0
    .symbol:         _ZN7rocprim17ROCPRIM_400000_NS6detail17trampoline_kernelINS0_14default_configENS1_27scan_by_key_config_selectorIssEEZZNS1_16scan_by_key_implILNS1_25lookback_scan_determinismE0ELb0ES3_N6thrust23THRUST_200600_302600_NS6detail15normal_iteratorINS9_10device_ptrIsEEEENS9_18transform_iteratorINS9_6negateIsEESE_NS9_11use_defaultESI_EESE_sNS9_4plusIvEENS9_8equal_toIvEEsEE10hipError_tPvRmT2_T3_T4_T5_mT6_T7_P12ihipStream_tbENKUlT_T0_E_clISt17integral_constantIbLb1EES13_IbLb0EEEEDaSZ_S10_EUlSZ_E_NS1_11comp_targetILNS1_3genE9ELNS1_11target_archE1100ELNS1_3gpuE3ELNS1_3repE0EEENS1_30default_config_static_selectorELNS0_4arch9wavefront6targetE0EEEvT1_.kd
    .uniform_work_group_size: 1
    .uses_dynamic_stack: false
    .vgpr_count:     0
    .vgpr_spill_count: 0
    .wavefront_size: 32
    .workgroup_processor_mode: 1
  - .args:
      - .offset:         0
        .size:           120
        .value_kind:     by_value
    .group_segment_fixed_size: 0
    .kernarg_segment_align: 8
    .kernarg_segment_size: 120
    .language:       OpenCL C
    .language_version:
      - 2
      - 0
    .max_flat_workgroup_size: 64
    .name:           _ZN7rocprim17ROCPRIM_400000_NS6detail17trampoline_kernelINS0_14default_configENS1_27scan_by_key_config_selectorIssEEZZNS1_16scan_by_key_implILNS1_25lookback_scan_determinismE0ELb0ES3_N6thrust23THRUST_200600_302600_NS6detail15normal_iteratorINS9_10device_ptrIsEEEENS9_18transform_iteratorINS9_6negateIsEESE_NS9_11use_defaultESI_EESE_sNS9_4plusIvEENS9_8equal_toIvEEsEE10hipError_tPvRmT2_T3_T4_T5_mT6_T7_P12ihipStream_tbENKUlT_T0_E_clISt17integral_constantIbLb1EES13_IbLb0EEEEDaSZ_S10_EUlSZ_E_NS1_11comp_targetILNS1_3genE8ELNS1_11target_archE1030ELNS1_3gpuE2ELNS1_3repE0EEENS1_30default_config_static_selectorELNS0_4arch9wavefront6targetE0EEEvT1_
    .private_segment_fixed_size: 0
    .sgpr_count:     0
    .sgpr_spill_count: 0
    .symbol:         _ZN7rocprim17ROCPRIM_400000_NS6detail17trampoline_kernelINS0_14default_configENS1_27scan_by_key_config_selectorIssEEZZNS1_16scan_by_key_implILNS1_25lookback_scan_determinismE0ELb0ES3_N6thrust23THRUST_200600_302600_NS6detail15normal_iteratorINS9_10device_ptrIsEEEENS9_18transform_iteratorINS9_6negateIsEESE_NS9_11use_defaultESI_EESE_sNS9_4plusIvEENS9_8equal_toIvEEsEE10hipError_tPvRmT2_T3_T4_T5_mT6_T7_P12ihipStream_tbENKUlT_T0_E_clISt17integral_constantIbLb1EES13_IbLb0EEEEDaSZ_S10_EUlSZ_E_NS1_11comp_targetILNS1_3genE8ELNS1_11target_archE1030ELNS1_3gpuE2ELNS1_3repE0EEENS1_30default_config_static_selectorELNS0_4arch9wavefront6targetE0EEEvT1_.kd
    .uniform_work_group_size: 1
    .uses_dynamic_stack: false
    .vgpr_count:     0
    .vgpr_spill_count: 0
    .wavefront_size: 32
    .workgroup_processor_mode: 1
  - .args:
      - .offset:         0
        .size:           120
        .value_kind:     by_value
    .group_segment_fixed_size: 0
    .kernarg_segment_align: 8
    .kernarg_segment_size: 120
    .language:       OpenCL C
    .language_version:
      - 2
      - 0
    .max_flat_workgroup_size: 256
    .name:           _ZN7rocprim17ROCPRIM_400000_NS6detail17trampoline_kernelINS0_14default_configENS1_27scan_by_key_config_selectorIssEEZZNS1_16scan_by_key_implILNS1_25lookback_scan_determinismE0ELb0ES3_N6thrust23THRUST_200600_302600_NS6detail15normal_iteratorINS9_10device_ptrIsEEEENS9_18transform_iteratorINS9_6negateIsEESE_NS9_11use_defaultESI_EESE_sNS9_4plusIvEENS9_8equal_toIvEEsEE10hipError_tPvRmT2_T3_T4_T5_mT6_T7_P12ihipStream_tbENKUlT_T0_E_clISt17integral_constantIbLb0EES13_IbLb1EEEEDaSZ_S10_EUlSZ_E_NS1_11comp_targetILNS1_3genE0ELNS1_11target_archE4294967295ELNS1_3gpuE0ELNS1_3repE0EEENS1_30default_config_static_selectorELNS0_4arch9wavefront6targetE0EEEvT1_
    .private_segment_fixed_size: 0
    .sgpr_count:     0
    .sgpr_spill_count: 0
    .symbol:         _ZN7rocprim17ROCPRIM_400000_NS6detail17trampoline_kernelINS0_14default_configENS1_27scan_by_key_config_selectorIssEEZZNS1_16scan_by_key_implILNS1_25lookback_scan_determinismE0ELb0ES3_N6thrust23THRUST_200600_302600_NS6detail15normal_iteratorINS9_10device_ptrIsEEEENS9_18transform_iteratorINS9_6negateIsEESE_NS9_11use_defaultESI_EESE_sNS9_4plusIvEENS9_8equal_toIvEEsEE10hipError_tPvRmT2_T3_T4_T5_mT6_T7_P12ihipStream_tbENKUlT_T0_E_clISt17integral_constantIbLb0EES13_IbLb1EEEEDaSZ_S10_EUlSZ_E_NS1_11comp_targetILNS1_3genE0ELNS1_11target_archE4294967295ELNS1_3gpuE0ELNS1_3repE0EEENS1_30default_config_static_selectorELNS0_4arch9wavefront6targetE0EEEvT1_.kd
    .uniform_work_group_size: 1
    .uses_dynamic_stack: false
    .vgpr_count:     0
    .vgpr_spill_count: 0
    .wavefront_size: 32
    .workgroup_processor_mode: 1
  - .args:
      - .offset:         0
        .size:           120
        .value_kind:     by_value
    .group_segment_fixed_size: 0
    .kernarg_segment_align: 8
    .kernarg_segment_size: 120
    .language:       OpenCL C
    .language_version:
      - 2
      - 0
    .max_flat_workgroup_size: 128
    .name:           _ZN7rocprim17ROCPRIM_400000_NS6detail17trampoline_kernelINS0_14default_configENS1_27scan_by_key_config_selectorIssEEZZNS1_16scan_by_key_implILNS1_25lookback_scan_determinismE0ELb0ES3_N6thrust23THRUST_200600_302600_NS6detail15normal_iteratorINS9_10device_ptrIsEEEENS9_18transform_iteratorINS9_6negateIsEESE_NS9_11use_defaultESI_EESE_sNS9_4plusIvEENS9_8equal_toIvEEsEE10hipError_tPvRmT2_T3_T4_T5_mT6_T7_P12ihipStream_tbENKUlT_T0_E_clISt17integral_constantIbLb0EES13_IbLb1EEEEDaSZ_S10_EUlSZ_E_NS1_11comp_targetILNS1_3genE10ELNS1_11target_archE1201ELNS1_3gpuE5ELNS1_3repE0EEENS1_30default_config_static_selectorELNS0_4arch9wavefront6targetE0EEEvT1_
    .private_segment_fixed_size: 0
    .sgpr_count:     0
    .sgpr_spill_count: 0
    .symbol:         _ZN7rocprim17ROCPRIM_400000_NS6detail17trampoline_kernelINS0_14default_configENS1_27scan_by_key_config_selectorIssEEZZNS1_16scan_by_key_implILNS1_25lookback_scan_determinismE0ELb0ES3_N6thrust23THRUST_200600_302600_NS6detail15normal_iteratorINS9_10device_ptrIsEEEENS9_18transform_iteratorINS9_6negateIsEESE_NS9_11use_defaultESI_EESE_sNS9_4plusIvEENS9_8equal_toIvEEsEE10hipError_tPvRmT2_T3_T4_T5_mT6_T7_P12ihipStream_tbENKUlT_T0_E_clISt17integral_constantIbLb0EES13_IbLb1EEEEDaSZ_S10_EUlSZ_E_NS1_11comp_targetILNS1_3genE10ELNS1_11target_archE1201ELNS1_3gpuE5ELNS1_3repE0EEENS1_30default_config_static_selectorELNS0_4arch9wavefront6targetE0EEEvT1_.kd
    .uniform_work_group_size: 1
    .uses_dynamic_stack: false
    .vgpr_count:     0
    .vgpr_spill_count: 0
    .wavefront_size: 32
    .workgroup_processor_mode: 1
  - .args:
      - .offset:         0
        .size:           120
        .value_kind:     by_value
    .group_segment_fixed_size: 0
    .kernarg_segment_align: 8
    .kernarg_segment_size: 120
    .language:       OpenCL C
    .language_version:
      - 2
      - 0
    .max_flat_workgroup_size: 256
    .name:           _ZN7rocprim17ROCPRIM_400000_NS6detail17trampoline_kernelINS0_14default_configENS1_27scan_by_key_config_selectorIssEEZZNS1_16scan_by_key_implILNS1_25lookback_scan_determinismE0ELb0ES3_N6thrust23THRUST_200600_302600_NS6detail15normal_iteratorINS9_10device_ptrIsEEEENS9_18transform_iteratorINS9_6negateIsEESE_NS9_11use_defaultESI_EESE_sNS9_4plusIvEENS9_8equal_toIvEEsEE10hipError_tPvRmT2_T3_T4_T5_mT6_T7_P12ihipStream_tbENKUlT_T0_E_clISt17integral_constantIbLb0EES13_IbLb1EEEEDaSZ_S10_EUlSZ_E_NS1_11comp_targetILNS1_3genE5ELNS1_11target_archE942ELNS1_3gpuE9ELNS1_3repE0EEENS1_30default_config_static_selectorELNS0_4arch9wavefront6targetE0EEEvT1_
    .private_segment_fixed_size: 0
    .sgpr_count:     0
    .sgpr_spill_count: 0
    .symbol:         _ZN7rocprim17ROCPRIM_400000_NS6detail17trampoline_kernelINS0_14default_configENS1_27scan_by_key_config_selectorIssEEZZNS1_16scan_by_key_implILNS1_25lookback_scan_determinismE0ELb0ES3_N6thrust23THRUST_200600_302600_NS6detail15normal_iteratorINS9_10device_ptrIsEEEENS9_18transform_iteratorINS9_6negateIsEESE_NS9_11use_defaultESI_EESE_sNS9_4plusIvEENS9_8equal_toIvEEsEE10hipError_tPvRmT2_T3_T4_T5_mT6_T7_P12ihipStream_tbENKUlT_T0_E_clISt17integral_constantIbLb0EES13_IbLb1EEEEDaSZ_S10_EUlSZ_E_NS1_11comp_targetILNS1_3genE5ELNS1_11target_archE942ELNS1_3gpuE9ELNS1_3repE0EEENS1_30default_config_static_selectorELNS0_4arch9wavefront6targetE0EEEvT1_.kd
    .uniform_work_group_size: 1
    .uses_dynamic_stack: false
    .vgpr_count:     0
    .vgpr_spill_count: 0
    .wavefront_size: 32
    .workgroup_processor_mode: 1
  - .args:
      - .offset:         0
        .size:           120
        .value_kind:     by_value
    .group_segment_fixed_size: 0
    .kernarg_segment_align: 8
    .kernarg_segment_size: 120
    .language:       OpenCL C
    .language_version:
      - 2
      - 0
    .max_flat_workgroup_size: 256
    .name:           _ZN7rocprim17ROCPRIM_400000_NS6detail17trampoline_kernelINS0_14default_configENS1_27scan_by_key_config_selectorIssEEZZNS1_16scan_by_key_implILNS1_25lookback_scan_determinismE0ELb0ES3_N6thrust23THRUST_200600_302600_NS6detail15normal_iteratorINS9_10device_ptrIsEEEENS9_18transform_iteratorINS9_6negateIsEESE_NS9_11use_defaultESI_EESE_sNS9_4plusIvEENS9_8equal_toIvEEsEE10hipError_tPvRmT2_T3_T4_T5_mT6_T7_P12ihipStream_tbENKUlT_T0_E_clISt17integral_constantIbLb0EES13_IbLb1EEEEDaSZ_S10_EUlSZ_E_NS1_11comp_targetILNS1_3genE4ELNS1_11target_archE910ELNS1_3gpuE8ELNS1_3repE0EEENS1_30default_config_static_selectorELNS0_4arch9wavefront6targetE0EEEvT1_
    .private_segment_fixed_size: 0
    .sgpr_count:     0
    .sgpr_spill_count: 0
    .symbol:         _ZN7rocprim17ROCPRIM_400000_NS6detail17trampoline_kernelINS0_14default_configENS1_27scan_by_key_config_selectorIssEEZZNS1_16scan_by_key_implILNS1_25lookback_scan_determinismE0ELb0ES3_N6thrust23THRUST_200600_302600_NS6detail15normal_iteratorINS9_10device_ptrIsEEEENS9_18transform_iteratorINS9_6negateIsEESE_NS9_11use_defaultESI_EESE_sNS9_4plusIvEENS9_8equal_toIvEEsEE10hipError_tPvRmT2_T3_T4_T5_mT6_T7_P12ihipStream_tbENKUlT_T0_E_clISt17integral_constantIbLb0EES13_IbLb1EEEEDaSZ_S10_EUlSZ_E_NS1_11comp_targetILNS1_3genE4ELNS1_11target_archE910ELNS1_3gpuE8ELNS1_3repE0EEENS1_30default_config_static_selectorELNS0_4arch9wavefront6targetE0EEEvT1_.kd
    .uniform_work_group_size: 1
    .uses_dynamic_stack: false
    .vgpr_count:     0
    .vgpr_spill_count: 0
    .wavefront_size: 32
    .workgroup_processor_mode: 1
  - .args:
      - .offset:         0
        .size:           120
        .value_kind:     by_value
    .group_segment_fixed_size: 0
    .kernarg_segment_align: 8
    .kernarg_segment_size: 120
    .language:       OpenCL C
    .language_version:
      - 2
      - 0
    .max_flat_workgroup_size: 256
    .name:           _ZN7rocprim17ROCPRIM_400000_NS6detail17trampoline_kernelINS0_14default_configENS1_27scan_by_key_config_selectorIssEEZZNS1_16scan_by_key_implILNS1_25lookback_scan_determinismE0ELb0ES3_N6thrust23THRUST_200600_302600_NS6detail15normal_iteratorINS9_10device_ptrIsEEEENS9_18transform_iteratorINS9_6negateIsEESE_NS9_11use_defaultESI_EESE_sNS9_4plusIvEENS9_8equal_toIvEEsEE10hipError_tPvRmT2_T3_T4_T5_mT6_T7_P12ihipStream_tbENKUlT_T0_E_clISt17integral_constantIbLb0EES13_IbLb1EEEEDaSZ_S10_EUlSZ_E_NS1_11comp_targetILNS1_3genE3ELNS1_11target_archE908ELNS1_3gpuE7ELNS1_3repE0EEENS1_30default_config_static_selectorELNS0_4arch9wavefront6targetE0EEEvT1_
    .private_segment_fixed_size: 0
    .sgpr_count:     0
    .sgpr_spill_count: 0
    .symbol:         _ZN7rocprim17ROCPRIM_400000_NS6detail17trampoline_kernelINS0_14default_configENS1_27scan_by_key_config_selectorIssEEZZNS1_16scan_by_key_implILNS1_25lookback_scan_determinismE0ELb0ES3_N6thrust23THRUST_200600_302600_NS6detail15normal_iteratorINS9_10device_ptrIsEEEENS9_18transform_iteratorINS9_6negateIsEESE_NS9_11use_defaultESI_EESE_sNS9_4plusIvEENS9_8equal_toIvEEsEE10hipError_tPvRmT2_T3_T4_T5_mT6_T7_P12ihipStream_tbENKUlT_T0_E_clISt17integral_constantIbLb0EES13_IbLb1EEEEDaSZ_S10_EUlSZ_E_NS1_11comp_targetILNS1_3genE3ELNS1_11target_archE908ELNS1_3gpuE7ELNS1_3repE0EEENS1_30default_config_static_selectorELNS0_4arch9wavefront6targetE0EEEvT1_.kd
    .uniform_work_group_size: 1
    .uses_dynamic_stack: false
    .vgpr_count:     0
    .vgpr_spill_count: 0
    .wavefront_size: 32
    .workgroup_processor_mode: 1
  - .args:
      - .offset:         0
        .size:           120
        .value_kind:     by_value
    .group_segment_fixed_size: 0
    .kernarg_segment_align: 8
    .kernarg_segment_size: 120
    .language:       OpenCL C
    .language_version:
      - 2
      - 0
    .max_flat_workgroup_size: 64
    .name:           _ZN7rocprim17ROCPRIM_400000_NS6detail17trampoline_kernelINS0_14default_configENS1_27scan_by_key_config_selectorIssEEZZNS1_16scan_by_key_implILNS1_25lookback_scan_determinismE0ELb0ES3_N6thrust23THRUST_200600_302600_NS6detail15normal_iteratorINS9_10device_ptrIsEEEENS9_18transform_iteratorINS9_6negateIsEESE_NS9_11use_defaultESI_EESE_sNS9_4plusIvEENS9_8equal_toIvEEsEE10hipError_tPvRmT2_T3_T4_T5_mT6_T7_P12ihipStream_tbENKUlT_T0_E_clISt17integral_constantIbLb0EES13_IbLb1EEEEDaSZ_S10_EUlSZ_E_NS1_11comp_targetILNS1_3genE2ELNS1_11target_archE906ELNS1_3gpuE6ELNS1_3repE0EEENS1_30default_config_static_selectorELNS0_4arch9wavefront6targetE0EEEvT1_
    .private_segment_fixed_size: 0
    .sgpr_count:     0
    .sgpr_spill_count: 0
    .symbol:         _ZN7rocprim17ROCPRIM_400000_NS6detail17trampoline_kernelINS0_14default_configENS1_27scan_by_key_config_selectorIssEEZZNS1_16scan_by_key_implILNS1_25lookback_scan_determinismE0ELb0ES3_N6thrust23THRUST_200600_302600_NS6detail15normal_iteratorINS9_10device_ptrIsEEEENS9_18transform_iteratorINS9_6negateIsEESE_NS9_11use_defaultESI_EESE_sNS9_4plusIvEENS9_8equal_toIvEEsEE10hipError_tPvRmT2_T3_T4_T5_mT6_T7_P12ihipStream_tbENKUlT_T0_E_clISt17integral_constantIbLb0EES13_IbLb1EEEEDaSZ_S10_EUlSZ_E_NS1_11comp_targetILNS1_3genE2ELNS1_11target_archE906ELNS1_3gpuE6ELNS1_3repE0EEENS1_30default_config_static_selectorELNS0_4arch9wavefront6targetE0EEEvT1_.kd
    .uniform_work_group_size: 1
    .uses_dynamic_stack: false
    .vgpr_count:     0
    .vgpr_spill_count: 0
    .wavefront_size: 32
    .workgroup_processor_mode: 1
  - .args:
      - .offset:         0
        .size:           120
        .value_kind:     by_value
    .group_segment_fixed_size: 0
    .kernarg_segment_align: 8
    .kernarg_segment_size: 120
    .language:       OpenCL C
    .language_version:
      - 2
      - 0
    .max_flat_workgroup_size: 256
    .name:           _ZN7rocprim17ROCPRIM_400000_NS6detail17trampoline_kernelINS0_14default_configENS1_27scan_by_key_config_selectorIssEEZZNS1_16scan_by_key_implILNS1_25lookback_scan_determinismE0ELb0ES3_N6thrust23THRUST_200600_302600_NS6detail15normal_iteratorINS9_10device_ptrIsEEEENS9_18transform_iteratorINS9_6negateIsEESE_NS9_11use_defaultESI_EESE_sNS9_4plusIvEENS9_8equal_toIvEEsEE10hipError_tPvRmT2_T3_T4_T5_mT6_T7_P12ihipStream_tbENKUlT_T0_E_clISt17integral_constantIbLb0EES13_IbLb1EEEEDaSZ_S10_EUlSZ_E_NS1_11comp_targetILNS1_3genE10ELNS1_11target_archE1200ELNS1_3gpuE4ELNS1_3repE0EEENS1_30default_config_static_selectorELNS0_4arch9wavefront6targetE0EEEvT1_
    .private_segment_fixed_size: 0
    .sgpr_count:     0
    .sgpr_spill_count: 0
    .symbol:         _ZN7rocprim17ROCPRIM_400000_NS6detail17trampoline_kernelINS0_14default_configENS1_27scan_by_key_config_selectorIssEEZZNS1_16scan_by_key_implILNS1_25lookback_scan_determinismE0ELb0ES3_N6thrust23THRUST_200600_302600_NS6detail15normal_iteratorINS9_10device_ptrIsEEEENS9_18transform_iteratorINS9_6negateIsEESE_NS9_11use_defaultESI_EESE_sNS9_4plusIvEENS9_8equal_toIvEEsEE10hipError_tPvRmT2_T3_T4_T5_mT6_T7_P12ihipStream_tbENKUlT_T0_E_clISt17integral_constantIbLb0EES13_IbLb1EEEEDaSZ_S10_EUlSZ_E_NS1_11comp_targetILNS1_3genE10ELNS1_11target_archE1200ELNS1_3gpuE4ELNS1_3repE0EEENS1_30default_config_static_selectorELNS0_4arch9wavefront6targetE0EEEvT1_.kd
    .uniform_work_group_size: 1
    .uses_dynamic_stack: false
    .vgpr_count:     0
    .vgpr_spill_count: 0
    .wavefront_size: 32
    .workgroup_processor_mode: 1
  - .args:
      - .offset:         0
        .size:           120
        .value_kind:     by_value
    .group_segment_fixed_size: 0
    .kernarg_segment_align: 8
    .kernarg_segment_size: 120
    .language:       OpenCL C
    .language_version:
      - 2
      - 0
    .max_flat_workgroup_size: 256
    .name:           _ZN7rocprim17ROCPRIM_400000_NS6detail17trampoline_kernelINS0_14default_configENS1_27scan_by_key_config_selectorIssEEZZNS1_16scan_by_key_implILNS1_25lookback_scan_determinismE0ELb0ES3_N6thrust23THRUST_200600_302600_NS6detail15normal_iteratorINS9_10device_ptrIsEEEENS9_18transform_iteratorINS9_6negateIsEESE_NS9_11use_defaultESI_EESE_sNS9_4plusIvEENS9_8equal_toIvEEsEE10hipError_tPvRmT2_T3_T4_T5_mT6_T7_P12ihipStream_tbENKUlT_T0_E_clISt17integral_constantIbLb0EES13_IbLb1EEEEDaSZ_S10_EUlSZ_E_NS1_11comp_targetILNS1_3genE9ELNS1_11target_archE1100ELNS1_3gpuE3ELNS1_3repE0EEENS1_30default_config_static_selectorELNS0_4arch9wavefront6targetE0EEEvT1_
    .private_segment_fixed_size: 0
    .sgpr_count:     0
    .sgpr_spill_count: 0
    .symbol:         _ZN7rocprim17ROCPRIM_400000_NS6detail17trampoline_kernelINS0_14default_configENS1_27scan_by_key_config_selectorIssEEZZNS1_16scan_by_key_implILNS1_25lookback_scan_determinismE0ELb0ES3_N6thrust23THRUST_200600_302600_NS6detail15normal_iteratorINS9_10device_ptrIsEEEENS9_18transform_iteratorINS9_6negateIsEESE_NS9_11use_defaultESI_EESE_sNS9_4plusIvEENS9_8equal_toIvEEsEE10hipError_tPvRmT2_T3_T4_T5_mT6_T7_P12ihipStream_tbENKUlT_T0_E_clISt17integral_constantIbLb0EES13_IbLb1EEEEDaSZ_S10_EUlSZ_E_NS1_11comp_targetILNS1_3genE9ELNS1_11target_archE1100ELNS1_3gpuE3ELNS1_3repE0EEENS1_30default_config_static_selectorELNS0_4arch9wavefront6targetE0EEEvT1_.kd
    .uniform_work_group_size: 1
    .uses_dynamic_stack: false
    .vgpr_count:     0
    .vgpr_spill_count: 0
    .wavefront_size: 32
    .workgroup_processor_mode: 1
  - .args:
      - .offset:         0
        .size:           120
        .value_kind:     by_value
    .group_segment_fixed_size: 1536
    .kernarg_segment_align: 8
    .kernarg_segment_size: 120
    .language:       OpenCL C
    .language_version:
      - 2
      - 0
    .max_flat_workgroup_size: 64
    .name:           _ZN7rocprim17ROCPRIM_400000_NS6detail17trampoline_kernelINS0_14default_configENS1_27scan_by_key_config_selectorIssEEZZNS1_16scan_by_key_implILNS1_25lookback_scan_determinismE0ELb0ES3_N6thrust23THRUST_200600_302600_NS6detail15normal_iteratorINS9_10device_ptrIsEEEENS9_18transform_iteratorINS9_6negateIsEESE_NS9_11use_defaultESI_EESE_sNS9_4plusIvEENS9_8equal_toIvEEsEE10hipError_tPvRmT2_T3_T4_T5_mT6_T7_P12ihipStream_tbENKUlT_T0_E_clISt17integral_constantIbLb0EES13_IbLb1EEEEDaSZ_S10_EUlSZ_E_NS1_11comp_targetILNS1_3genE8ELNS1_11target_archE1030ELNS1_3gpuE2ELNS1_3repE0EEENS1_30default_config_static_selectorELNS0_4arch9wavefront6targetE0EEEvT1_
    .private_segment_fixed_size: 0
    .sgpr_count:     43
    .sgpr_spill_count: 0
    .symbol:         _ZN7rocprim17ROCPRIM_400000_NS6detail17trampoline_kernelINS0_14default_configENS1_27scan_by_key_config_selectorIssEEZZNS1_16scan_by_key_implILNS1_25lookback_scan_determinismE0ELb0ES3_N6thrust23THRUST_200600_302600_NS6detail15normal_iteratorINS9_10device_ptrIsEEEENS9_18transform_iteratorINS9_6negateIsEESE_NS9_11use_defaultESI_EESE_sNS9_4plusIvEENS9_8equal_toIvEEsEE10hipError_tPvRmT2_T3_T4_T5_mT6_T7_P12ihipStream_tbENKUlT_T0_E_clISt17integral_constantIbLb0EES13_IbLb1EEEEDaSZ_S10_EUlSZ_E_NS1_11comp_targetILNS1_3genE8ELNS1_11target_archE1030ELNS1_3gpuE2ELNS1_3repE0EEENS1_30default_config_static_selectorELNS0_4arch9wavefront6targetE0EEEvT1_.kd
    .uniform_work_group_size: 1
    .uses_dynamic_stack: false
    .vgpr_count:     42
    .vgpr_spill_count: 0
    .wavefront_size: 32
    .workgroup_processor_mode: 1
  - .args:
      - .address_space:  global
        .offset:         0
        .size:           8
        .value_kind:     global_buffer
      - .offset:         8
        .size:           4
        .value_kind:     by_value
      - .offset:         12
        .size:           4
        .value_kind:     by_value
      - .address_space:  global
        .offset:         16
        .size:           8
        .value_kind:     global_buffer
      - .address_space:  global
        .offset:         24
        .size:           8
        .value_kind:     global_buffer
      - .actual_access:  write_only
        .address_space:  global
        .offset:         32
        .size:           8
        .value_kind:     global_buffer
      - .offset:         40
        .size:           8
        .value_kind:     by_value
      - .offset:         48
        .size:           4
        .value_kind:     by_value
      - .offset:         52
        .size:           1
        .value_kind:     by_value
      - .offset:         56
        .size:           4
        .value_kind:     hidden_block_count_x
      - .offset:         60
        .size:           4
        .value_kind:     hidden_block_count_y
      - .offset:         64
        .size:           4
        .value_kind:     hidden_block_count_z
      - .offset:         68
        .size:           2
        .value_kind:     hidden_group_size_x
      - .offset:         70
        .size:           2
        .value_kind:     hidden_group_size_y
      - .offset:         72
        .size:           2
        .value_kind:     hidden_group_size_z
      - .offset:         74
        .size:           2
        .value_kind:     hidden_remainder_x
      - .offset:         76
        .size:           2
        .value_kind:     hidden_remainder_y
      - .offset:         78
        .size:           2
        .value_kind:     hidden_remainder_z
      - .offset:         96
        .size:           8
        .value_kind:     hidden_global_offset_x
      - .offset:         104
        .size:           8
        .value_kind:     hidden_global_offset_y
      - .offset:         112
        .size:           8
        .value_kind:     hidden_global_offset_z
      - .offset:         120
        .size:           2
        .value_kind:     hidden_grid_dims
    .group_segment_fixed_size: 0
    .kernarg_segment_align: 8
    .kernarg_segment_size: 312
    .language:       OpenCL C
    .language_version:
      - 2
      - 0
    .max_flat_workgroup_size: 256
    .name:           _ZN7rocprim17ROCPRIM_400000_NS6detail30init_device_scan_by_key_kernelINS1_19lookback_scan_stateINS0_5tupleIJibEEELb0ELb1EEEN6thrust23THRUST_200600_302600_NS6detail15normal_iteratorINS8_10device_ptrIxEEEEjNS1_16block_id_wrapperIjLb0EEEEEvT_jjPNSG_10value_typeET0_PNSt15iterator_traitsISJ_E10value_typeEmT1_T2_
    .private_segment_fixed_size: 0
    .sgpr_count:     19
    .sgpr_spill_count: 0
    .symbol:         _ZN7rocprim17ROCPRIM_400000_NS6detail30init_device_scan_by_key_kernelINS1_19lookback_scan_stateINS0_5tupleIJibEEELb0ELb1EEEN6thrust23THRUST_200600_302600_NS6detail15normal_iteratorINS8_10device_ptrIxEEEEjNS1_16block_id_wrapperIjLb0EEEEEvT_jjPNSG_10value_typeET0_PNSt15iterator_traitsISJ_E10value_typeEmT1_T2_.kd
    .uniform_work_group_size: 1
    .uses_dynamic_stack: false
    .vgpr_count:     9
    .vgpr_spill_count: 0
    .wavefront_size: 32
    .workgroup_processor_mode: 1
  - .args:
      - .offset:         0
        .size:           112
        .value_kind:     by_value
    .group_segment_fixed_size: 0
    .kernarg_segment_align: 8
    .kernarg_segment_size: 112
    .language:       OpenCL C
    .language_version:
      - 2
      - 0
    .max_flat_workgroup_size: 256
    .name:           _ZN7rocprim17ROCPRIM_400000_NS6detail17trampoline_kernelINS0_14default_configENS1_27scan_by_key_config_selectorIxiEEZZNS1_16scan_by_key_implILNS1_25lookback_scan_determinismE0ELb1ES3_N6thrust23THRUST_200600_302600_NS6detail15normal_iteratorINS9_10device_ptrIxEEEESE_SE_iNS9_4plusIvEENS9_8equal_toIvEEiEE10hipError_tPvRmT2_T3_T4_T5_mT6_T7_P12ihipStream_tbENKUlT_T0_E_clISt17integral_constantIbLb0EESZ_EEDaSU_SV_EUlSU_E_NS1_11comp_targetILNS1_3genE0ELNS1_11target_archE4294967295ELNS1_3gpuE0ELNS1_3repE0EEENS1_30default_config_static_selectorELNS0_4arch9wavefront6targetE0EEEvT1_
    .private_segment_fixed_size: 0
    .sgpr_count:     0
    .sgpr_spill_count: 0
    .symbol:         _ZN7rocprim17ROCPRIM_400000_NS6detail17trampoline_kernelINS0_14default_configENS1_27scan_by_key_config_selectorIxiEEZZNS1_16scan_by_key_implILNS1_25lookback_scan_determinismE0ELb1ES3_N6thrust23THRUST_200600_302600_NS6detail15normal_iteratorINS9_10device_ptrIxEEEESE_SE_iNS9_4plusIvEENS9_8equal_toIvEEiEE10hipError_tPvRmT2_T3_T4_T5_mT6_T7_P12ihipStream_tbENKUlT_T0_E_clISt17integral_constantIbLb0EESZ_EEDaSU_SV_EUlSU_E_NS1_11comp_targetILNS1_3genE0ELNS1_11target_archE4294967295ELNS1_3gpuE0ELNS1_3repE0EEENS1_30default_config_static_selectorELNS0_4arch9wavefront6targetE0EEEvT1_.kd
    .uniform_work_group_size: 1
    .uses_dynamic_stack: false
    .vgpr_count:     0
    .vgpr_spill_count: 0
    .wavefront_size: 32
    .workgroup_processor_mode: 1
  - .args:
      - .offset:         0
        .size:           112
        .value_kind:     by_value
    .group_segment_fixed_size: 0
    .kernarg_segment_align: 8
    .kernarg_segment_size: 112
    .language:       OpenCL C
    .language_version:
      - 2
      - 0
    .max_flat_workgroup_size: 256
    .name:           _ZN7rocprim17ROCPRIM_400000_NS6detail17trampoline_kernelINS0_14default_configENS1_27scan_by_key_config_selectorIxiEEZZNS1_16scan_by_key_implILNS1_25lookback_scan_determinismE0ELb1ES3_N6thrust23THRUST_200600_302600_NS6detail15normal_iteratorINS9_10device_ptrIxEEEESE_SE_iNS9_4plusIvEENS9_8equal_toIvEEiEE10hipError_tPvRmT2_T3_T4_T5_mT6_T7_P12ihipStream_tbENKUlT_T0_E_clISt17integral_constantIbLb0EESZ_EEDaSU_SV_EUlSU_E_NS1_11comp_targetILNS1_3genE10ELNS1_11target_archE1201ELNS1_3gpuE5ELNS1_3repE0EEENS1_30default_config_static_selectorELNS0_4arch9wavefront6targetE0EEEvT1_
    .private_segment_fixed_size: 0
    .sgpr_count:     0
    .sgpr_spill_count: 0
    .symbol:         _ZN7rocprim17ROCPRIM_400000_NS6detail17trampoline_kernelINS0_14default_configENS1_27scan_by_key_config_selectorIxiEEZZNS1_16scan_by_key_implILNS1_25lookback_scan_determinismE0ELb1ES3_N6thrust23THRUST_200600_302600_NS6detail15normal_iteratorINS9_10device_ptrIxEEEESE_SE_iNS9_4plusIvEENS9_8equal_toIvEEiEE10hipError_tPvRmT2_T3_T4_T5_mT6_T7_P12ihipStream_tbENKUlT_T0_E_clISt17integral_constantIbLb0EESZ_EEDaSU_SV_EUlSU_E_NS1_11comp_targetILNS1_3genE10ELNS1_11target_archE1201ELNS1_3gpuE5ELNS1_3repE0EEENS1_30default_config_static_selectorELNS0_4arch9wavefront6targetE0EEEvT1_.kd
    .uniform_work_group_size: 1
    .uses_dynamic_stack: false
    .vgpr_count:     0
    .vgpr_spill_count: 0
    .wavefront_size: 32
    .workgroup_processor_mode: 1
  - .args:
      - .offset:         0
        .size:           112
        .value_kind:     by_value
    .group_segment_fixed_size: 0
    .kernarg_segment_align: 8
    .kernarg_segment_size: 112
    .language:       OpenCL C
    .language_version:
      - 2
      - 0
    .max_flat_workgroup_size: 256
    .name:           _ZN7rocprim17ROCPRIM_400000_NS6detail17trampoline_kernelINS0_14default_configENS1_27scan_by_key_config_selectorIxiEEZZNS1_16scan_by_key_implILNS1_25lookback_scan_determinismE0ELb1ES3_N6thrust23THRUST_200600_302600_NS6detail15normal_iteratorINS9_10device_ptrIxEEEESE_SE_iNS9_4plusIvEENS9_8equal_toIvEEiEE10hipError_tPvRmT2_T3_T4_T5_mT6_T7_P12ihipStream_tbENKUlT_T0_E_clISt17integral_constantIbLb0EESZ_EEDaSU_SV_EUlSU_E_NS1_11comp_targetILNS1_3genE5ELNS1_11target_archE942ELNS1_3gpuE9ELNS1_3repE0EEENS1_30default_config_static_selectorELNS0_4arch9wavefront6targetE0EEEvT1_
    .private_segment_fixed_size: 0
    .sgpr_count:     0
    .sgpr_spill_count: 0
    .symbol:         _ZN7rocprim17ROCPRIM_400000_NS6detail17trampoline_kernelINS0_14default_configENS1_27scan_by_key_config_selectorIxiEEZZNS1_16scan_by_key_implILNS1_25lookback_scan_determinismE0ELb1ES3_N6thrust23THRUST_200600_302600_NS6detail15normal_iteratorINS9_10device_ptrIxEEEESE_SE_iNS9_4plusIvEENS9_8equal_toIvEEiEE10hipError_tPvRmT2_T3_T4_T5_mT6_T7_P12ihipStream_tbENKUlT_T0_E_clISt17integral_constantIbLb0EESZ_EEDaSU_SV_EUlSU_E_NS1_11comp_targetILNS1_3genE5ELNS1_11target_archE942ELNS1_3gpuE9ELNS1_3repE0EEENS1_30default_config_static_selectorELNS0_4arch9wavefront6targetE0EEEvT1_.kd
    .uniform_work_group_size: 1
    .uses_dynamic_stack: false
    .vgpr_count:     0
    .vgpr_spill_count: 0
    .wavefront_size: 32
    .workgroup_processor_mode: 1
  - .args:
      - .offset:         0
        .size:           112
        .value_kind:     by_value
    .group_segment_fixed_size: 0
    .kernarg_segment_align: 8
    .kernarg_segment_size: 112
    .language:       OpenCL C
    .language_version:
      - 2
      - 0
    .max_flat_workgroup_size: 256
    .name:           _ZN7rocprim17ROCPRIM_400000_NS6detail17trampoline_kernelINS0_14default_configENS1_27scan_by_key_config_selectorIxiEEZZNS1_16scan_by_key_implILNS1_25lookback_scan_determinismE0ELb1ES3_N6thrust23THRUST_200600_302600_NS6detail15normal_iteratorINS9_10device_ptrIxEEEESE_SE_iNS9_4plusIvEENS9_8equal_toIvEEiEE10hipError_tPvRmT2_T3_T4_T5_mT6_T7_P12ihipStream_tbENKUlT_T0_E_clISt17integral_constantIbLb0EESZ_EEDaSU_SV_EUlSU_E_NS1_11comp_targetILNS1_3genE4ELNS1_11target_archE910ELNS1_3gpuE8ELNS1_3repE0EEENS1_30default_config_static_selectorELNS0_4arch9wavefront6targetE0EEEvT1_
    .private_segment_fixed_size: 0
    .sgpr_count:     0
    .sgpr_spill_count: 0
    .symbol:         _ZN7rocprim17ROCPRIM_400000_NS6detail17trampoline_kernelINS0_14default_configENS1_27scan_by_key_config_selectorIxiEEZZNS1_16scan_by_key_implILNS1_25lookback_scan_determinismE0ELb1ES3_N6thrust23THRUST_200600_302600_NS6detail15normal_iteratorINS9_10device_ptrIxEEEESE_SE_iNS9_4plusIvEENS9_8equal_toIvEEiEE10hipError_tPvRmT2_T3_T4_T5_mT6_T7_P12ihipStream_tbENKUlT_T0_E_clISt17integral_constantIbLb0EESZ_EEDaSU_SV_EUlSU_E_NS1_11comp_targetILNS1_3genE4ELNS1_11target_archE910ELNS1_3gpuE8ELNS1_3repE0EEENS1_30default_config_static_selectorELNS0_4arch9wavefront6targetE0EEEvT1_.kd
    .uniform_work_group_size: 1
    .uses_dynamic_stack: false
    .vgpr_count:     0
    .vgpr_spill_count: 0
    .wavefront_size: 32
    .workgroup_processor_mode: 1
  - .args:
      - .offset:         0
        .size:           112
        .value_kind:     by_value
    .group_segment_fixed_size: 0
    .kernarg_segment_align: 8
    .kernarg_segment_size: 112
    .language:       OpenCL C
    .language_version:
      - 2
      - 0
    .max_flat_workgroup_size: 256
    .name:           _ZN7rocprim17ROCPRIM_400000_NS6detail17trampoline_kernelINS0_14default_configENS1_27scan_by_key_config_selectorIxiEEZZNS1_16scan_by_key_implILNS1_25lookback_scan_determinismE0ELb1ES3_N6thrust23THRUST_200600_302600_NS6detail15normal_iteratorINS9_10device_ptrIxEEEESE_SE_iNS9_4plusIvEENS9_8equal_toIvEEiEE10hipError_tPvRmT2_T3_T4_T5_mT6_T7_P12ihipStream_tbENKUlT_T0_E_clISt17integral_constantIbLb0EESZ_EEDaSU_SV_EUlSU_E_NS1_11comp_targetILNS1_3genE3ELNS1_11target_archE908ELNS1_3gpuE7ELNS1_3repE0EEENS1_30default_config_static_selectorELNS0_4arch9wavefront6targetE0EEEvT1_
    .private_segment_fixed_size: 0
    .sgpr_count:     0
    .sgpr_spill_count: 0
    .symbol:         _ZN7rocprim17ROCPRIM_400000_NS6detail17trampoline_kernelINS0_14default_configENS1_27scan_by_key_config_selectorIxiEEZZNS1_16scan_by_key_implILNS1_25lookback_scan_determinismE0ELb1ES3_N6thrust23THRUST_200600_302600_NS6detail15normal_iteratorINS9_10device_ptrIxEEEESE_SE_iNS9_4plusIvEENS9_8equal_toIvEEiEE10hipError_tPvRmT2_T3_T4_T5_mT6_T7_P12ihipStream_tbENKUlT_T0_E_clISt17integral_constantIbLb0EESZ_EEDaSU_SV_EUlSU_E_NS1_11comp_targetILNS1_3genE3ELNS1_11target_archE908ELNS1_3gpuE7ELNS1_3repE0EEENS1_30default_config_static_selectorELNS0_4arch9wavefront6targetE0EEEvT1_.kd
    .uniform_work_group_size: 1
    .uses_dynamic_stack: false
    .vgpr_count:     0
    .vgpr_spill_count: 0
    .wavefront_size: 32
    .workgroup_processor_mode: 1
  - .args:
      - .offset:         0
        .size:           112
        .value_kind:     by_value
    .group_segment_fixed_size: 0
    .kernarg_segment_align: 8
    .kernarg_segment_size: 112
    .language:       OpenCL C
    .language_version:
      - 2
      - 0
    .max_flat_workgroup_size: 256
    .name:           _ZN7rocprim17ROCPRIM_400000_NS6detail17trampoline_kernelINS0_14default_configENS1_27scan_by_key_config_selectorIxiEEZZNS1_16scan_by_key_implILNS1_25lookback_scan_determinismE0ELb1ES3_N6thrust23THRUST_200600_302600_NS6detail15normal_iteratorINS9_10device_ptrIxEEEESE_SE_iNS9_4plusIvEENS9_8equal_toIvEEiEE10hipError_tPvRmT2_T3_T4_T5_mT6_T7_P12ihipStream_tbENKUlT_T0_E_clISt17integral_constantIbLb0EESZ_EEDaSU_SV_EUlSU_E_NS1_11comp_targetILNS1_3genE2ELNS1_11target_archE906ELNS1_3gpuE6ELNS1_3repE0EEENS1_30default_config_static_selectorELNS0_4arch9wavefront6targetE0EEEvT1_
    .private_segment_fixed_size: 0
    .sgpr_count:     0
    .sgpr_spill_count: 0
    .symbol:         _ZN7rocprim17ROCPRIM_400000_NS6detail17trampoline_kernelINS0_14default_configENS1_27scan_by_key_config_selectorIxiEEZZNS1_16scan_by_key_implILNS1_25lookback_scan_determinismE0ELb1ES3_N6thrust23THRUST_200600_302600_NS6detail15normal_iteratorINS9_10device_ptrIxEEEESE_SE_iNS9_4plusIvEENS9_8equal_toIvEEiEE10hipError_tPvRmT2_T3_T4_T5_mT6_T7_P12ihipStream_tbENKUlT_T0_E_clISt17integral_constantIbLb0EESZ_EEDaSU_SV_EUlSU_E_NS1_11comp_targetILNS1_3genE2ELNS1_11target_archE906ELNS1_3gpuE6ELNS1_3repE0EEENS1_30default_config_static_selectorELNS0_4arch9wavefront6targetE0EEEvT1_.kd
    .uniform_work_group_size: 1
    .uses_dynamic_stack: false
    .vgpr_count:     0
    .vgpr_spill_count: 0
    .wavefront_size: 32
    .workgroup_processor_mode: 1
  - .args:
      - .offset:         0
        .size:           112
        .value_kind:     by_value
    .group_segment_fixed_size: 0
    .kernarg_segment_align: 8
    .kernarg_segment_size: 112
    .language:       OpenCL C
    .language_version:
      - 2
      - 0
    .max_flat_workgroup_size: 256
    .name:           _ZN7rocprim17ROCPRIM_400000_NS6detail17trampoline_kernelINS0_14default_configENS1_27scan_by_key_config_selectorIxiEEZZNS1_16scan_by_key_implILNS1_25lookback_scan_determinismE0ELb1ES3_N6thrust23THRUST_200600_302600_NS6detail15normal_iteratorINS9_10device_ptrIxEEEESE_SE_iNS9_4plusIvEENS9_8equal_toIvEEiEE10hipError_tPvRmT2_T3_T4_T5_mT6_T7_P12ihipStream_tbENKUlT_T0_E_clISt17integral_constantIbLb0EESZ_EEDaSU_SV_EUlSU_E_NS1_11comp_targetILNS1_3genE10ELNS1_11target_archE1200ELNS1_3gpuE4ELNS1_3repE0EEENS1_30default_config_static_selectorELNS0_4arch9wavefront6targetE0EEEvT1_
    .private_segment_fixed_size: 0
    .sgpr_count:     0
    .sgpr_spill_count: 0
    .symbol:         _ZN7rocprim17ROCPRIM_400000_NS6detail17trampoline_kernelINS0_14default_configENS1_27scan_by_key_config_selectorIxiEEZZNS1_16scan_by_key_implILNS1_25lookback_scan_determinismE0ELb1ES3_N6thrust23THRUST_200600_302600_NS6detail15normal_iteratorINS9_10device_ptrIxEEEESE_SE_iNS9_4plusIvEENS9_8equal_toIvEEiEE10hipError_tPvRmT2_T3_T4_T5_mT6_T7_P12ihipStream_tbENKUlT_T0_E_clISt17integral_constantIbLb0EESZ_EEDaSU_SV_EUlSU_E_NS1_11comp_targetILNS1_3genE10ELNS1_11target_archE1200ELNS1_3gpuE4ELNS1_3repE0EEENS1_30default_config_static_selectorELNS0_4arch9wavefront6targetE0EEEvT1_.kd
    .uniform_work_group_size: 1
    .uses_dynamic_stack: false
    .vgpr_count:     0
    .vgpr_spill_count: 0
    .wavefront_size: 32
    .workgroup_processor_mode: 1
  - .args:
      - .offset:         0
        .size:           112
        .value_kind:     by_value
    .group_segment_fixed_size: 0
    .kernarg_segment_align: 8
    .kernarg_segment_size: 112
    .language:       OpenCL C
    .language_version:
      - 2
      - 0
    .max_flat_workgroup_size: 256
    .name:           _ZN7rocprim17ROCPRIM_400000_NS6detail17trampoline_kernelINS0_14default_configENS1_27scan_by_key_config_selectorIxiEEZZNS1_16scan_by_key_implILNS1_25lookback_scan_determinismE0ELb1ES3_N6thrust23THRUST_200600_302600_NS6detail15normal_iteratorINS9_10device_ptrIxEEEESE_SE_iNS9_4plusIvEENS9_8equal_toIvEEiEE10hipError_tPvRmT2_T3_T4_T5_mT6_T7_P12ihipStream_tbENKUlT_T0_E_clISt17integral_constantIbLb0EESZ_EEDaSU_SV_EUlSU_E_NS1_11comp_targetILNS1_3genE9ELNS1_11target_archE1100ELNS1_3gpuE3ELNS1_3repE0EEENS1_30default_config_static_selectorELNS0_4arch9wavefront6targetE0EEEvT1_
    .private_segment_fixed_size: 0
    .sgpr_count:     0
    .sgpr_spill_count: 0
    .symbol:         _ZN7rocprim17ROCPRIM_400000_NS6detail17trampoline_kernelINS0_14default_configENS1_27scan_by_key_config_selectorIxiEEZZNS1_16scan_by_key_implILNS1_25lookback_scan_determinismE0ELb1ES3_N6thrust23THRUST_200600_302600_NS6detail15normal_iteratorINS9_10device_ptrIxEEEESE_SE_iNS9_4plusIvEENS9_8equal_toIvEEiEE10hipError_tPvRmT2_T3_T4_T5_mT6_T7_P12ihipStream_tbENKUlT_T0_E_clISt17integral_constantIbLb0EESZ_EEDaSU_SV_EUlSU_E_NS1_11comp_targetILNS1_3genE9ELNS1_11target_archE1100ELNS1_3gpuE3ELNS1_3repE0EEENS1_30default_config_static_selectorELNS0_4arch9wavefront6targetE0EEEvT1_.kd
    .uniform_work_group_size: 1
    .uses_dynamic_stack: false
    .vgpr_count:     0
    .vgpr_spill_count: 0
    .wavefront_size: 32
    .workgroup_processor_mode: 1
  - .args:
      - .offset:         0
        .size:           112
        .value_kind:     by_value
    .group_segment_fixed_size: 10240
    .kernarg_segment_align: 8
    .kernarg_segment_size: 112
    .language:       OpenCL C
    .language_version:
      - 2
      - 0
    .max_flat_workgroup_size: 256
    .name:           _ZN7rocprim17ROCPRIM_400000_NS6detail17trampoline_kernelINS0_14default_configENS1_27scan_by_key_config_selectorIxiEEZZNS1_16scan_by_key_implILNS1_25lookback_scan_determinismE0ELb1ES3_N6thrust23THRUST_200600_302600_NS6detail15normal_iteratorINS9_10device_ptrIxEEEESE_SE_iNS9_4plusIvEENS9_8equal_toIvEEiEE10hipError_tPvRmT2_T3_T4_T5_mT6_T7_P12ihipStream_tbENKUlT_T0_E_clISt17integral_constantIbLb0EESZ_EEDaSU_SV_EUlSU_E_NS1_11comp_targetILNS1_3genE8ELNS1_11target_archE1030ELNS1_3gpuE2ELNS1_3repE0EEENS1_30default_config_static_selectorELNS0_4arch9wavefront6targetE0EEEvT1_
    .private_segment_fixed_size: 0
    .sgpr_count:     32
    .sgpr_spill_count: 0
    .symbol:         _ZN7rocprim17ROCPRIM_400000_NS6detail17trampoline_kernelINS0_14default_configENS1_27scan_by_key_config_selectorIxiEEZZNS1_16scan_by_key_implILNS1_25lookback_scan_determinismE0ELb1ES3_N6thrust23THRUST_200600_302600_NS6detail15normal_iteratorINS9_10device_ptrIxEEEESE_SE_iNS9_4plusIvEENS9_8equal_toIvEEiEE10hipError_tPvRmT2_T3_T4_T5_mT6_T7_P12ihipStream_tbENKUlT_T0_E_clISt17integral_constantIbLb0EESZ_EEDaSU_SV_EUlSU_E_NS1_11comp_targetILNS1_3genE8ELNS1_11target_archE1030ELNS1_3gpuE2ELNS1_3repE0EEENS1_30default_config_static_selectorELNS0_4arch9wavefront6targetE0EEEvT1_.kd
    .uniform_work_group_size: 1
    .uses_dynamic_stack: false
    .vgpr_count:     38
    .vgpr_spill_count: 0
    .wavefront_size: 32
    .workgroup_processor_mode: 1
  - .args:
      - .address_space:  global
        .offset:         0
        .size:           8
        .value_kind:     global_buffer
      - .offset:         8
        .size:           4
        .value_kind:     by_value
      - .offset:         12
        .size:           4
        .value_kind:     by_value
      - .address_space:  global
        .offset:         16
        .size:           8
        .value_kind:     global_buffer
      - .address_space:  global
        .offset:         24
        .size:           8
        .value_kind:     global_buffer
      - .actual_access:  write_only
        .address_space:  global
        .offset:         32
        .size:           8
        .value_kind:     global_buffer
      - .offset:         40
        .size:           8
        .value_kind:     by_value
      - .offset:         48
        .size:           4
        .value_kind:     by_value
      - .address_space:  global
        .offset:         56
        .size:           8
        .value_kind:     global_buffer
      - .offset:         64
        .size:           4
        .value_kind:     hidden_block_count_x
      - .offset:         68
        .size:           4
        .value_kind:     hidden_block_count_y
      - .offset:         72
        .size:           4
        .value_kind:     hidden_block_count_z
      - .offset:         76
        .size:           2
        .value_kind:     hidden_group_size_x
      - .offset:         78
        .size:           2
        .value_kind:     hidden_group_size_y
      - .offset:         80
        .size:           2
        .value_kind:     hidden_group_size_z
      - .offset:         82
        .size:           2
        .value_kind:     hidden_remainder_x
      - .offset:         84
        .size:           2
        .value_kind:     hidden_remainder_y
      - .offset:         86
        .size:           2
        .value_kind:     hidden_remainder_z
      - .offset:         104
        .size:           8
        .value_kind:     hidden_global_offset_x
      - .offset:         112
        .size:           8
        .value_kind:     hidden_global_offset_y
      - .offset:         120
        .size:           8
        .value_kind:     hidden_global_offset_z
      - .offset:         128
        .size:           2
        .value_kind:     hidden_grid_dims
    .group_segment_fixed_size: 0
    .kernarg_segment_align: 8
    .kernarg_segment_size: 320
    .language:       OpenCL C
    .language_version:
      - 2
      - 0
    .max_flat_workgroup_size: 256
    .name:           _ZN7rocprim17ROCPRIM_400000_NS6detail30init_device_scan_by_key_kernelINS1_19lookback_scan_stateINS0_5tupleIJibEEELb1ELb1EEEN6thrust23THRUST_200600_302600_NS6detail15normal_iteratorINS8_10device_ptrIxEEEEjNS1_16block_id_wrapperIjLb1EEEEEvT_jjPNSG_10value_typeET0_PNSt15iterator_traitsISJ_E10value_typeEmT1_T2_
    .private_segment_fixed_size: 0
    .sgpr_count:     19
    .sgpr_spill_count: 0
    .symbol:         _ZN7rocprim17ROCPRIM_400000_NS6detail30init_device_scan_by_key_kernelINS1_19lookback_scan_stateINS0_5tupleIJibEEELb1ELb1EEEN6thrust23THRUST_200600_302600_NS6detail15normal_iteratorINS8_10device_ptrIxEEEEjNS1_16block_id_wrapperIjLb1EEEEEvT_jjPNSG_10value_typeET0_PNSt15iterator_traitsISJ_E10value_typeEmT1_T2_.kd
    .uniform_work_group_size: 1
    .uses_dynamic_stack: false
    .vgpr_count:     9
    .vgpr_spill_count: 0
    .wavefront_size: 32
    .workgroup_processor_mode: 1
  - .args:
      - .offset:         0
        .size:           112
        .value_kind:     by_value
    .group_segment_fixed_size: 0
    .kernarg_segment_align: 8
    .kernarg_segment_size: 112
    .language:       OpenCL C
    .language_version:
      - 2
      - 0
    .max_flat_workgroup_size: 256
    .name:           _ZN7rocprim17ROCPRIM_400000_NS6detail17trampoline_kernelINS0_14default_configENS1_27scan_by_key_config_selectorIxiEEZZNS1_16scan_by_key_implILNS1_25lookback_scan_determinismE0ELb1ES3_N6thrust23THRUST_200600_302600_NS6detail15normal_iteratorINS9_10device_ptrIxEEEESE_SE_iNS9_4plusIvEENS9_8equal_toIvEEiEE10hipError_tPvRmT2_T3_T4_T5_mT6_T7_P12ihipStream_tbENKUlT_T0_E_clISt17integral_constantIbLb1EESZ_EEDaSU_SV_EUlSU_E_NS1_11comp_targetILNS1_3genE0ELNS1_11target_archE4294967295ELNS1_3gpuE0ELNS1_3repE0EEENS1_30default_config_static_selectorELNS0_4arch9wavefront6targetE0EEEvT1_
    .private_segment_fixed_size: 0
    .sgpr_count:     0
    .sgpr_spill_count: 0
    .symbol:         _ZN7rocprim17ROCPRIM_400000_NS6detail17trampoline_kernelINS0_14default_configENS1_27scan_by_key_config_selectorIxiEEZZNS1_16scan_by_key_implILNS1_25lookback_scan_determinismE0ELb1ES3_N6thrust23THRUST_200600_302600_NS6detail15normal_iteratorINS9_10device_ptrIxEEEESE_SE_iNS9_4plusIvEENS9_8equal_toIvEEiEE10hipError_tPvRmT2_T3_T4_T5_mT6_T7_P12ihipStream_tbENKUlT_T0_E_clISt17integral_constantIbLb1EESZ_EEDaSU_SV_EUlSU_E_NS1_11comp_targetILNS1_3genE0ELNS1_11target_archE4294967295ELNS1_3gpuE0ELNS1_3repE0EEENS1_30default_config_static_selectorELNS0_4arch9wavefront6targetE0EEEvT1_.kd
    .uniform_work_group_size: 1
    .uses_dynamic_stack: false
    .vgpr_count:     0
    .vgpr_spill_count: 0
    .wavefront_size: 32
    .workgroup_processor_mode: 1
  - .args:
      - .offset:         0
        .size:           112
        .value_kind:     by_value
    .group_segment_fixed_size: 0
    .kernarg_segment_align: 8
    .kernarg_segment_size: 112
    .language:       OpenCL C
    .language_version:
      - 2
      - 0
    .max_flat_workgroup_size: 256
    .name:           _ZN7rocprim17ROCPRIM_400000_NS6detail17trampoline_kernelINS0_14default_configENS1_27scan_by_key_config_selectorIxiEEZZNS1_16scan_by_key_implILNS1_25lookback_scan_determinismE0ELb1ES3_N6thrust23THRUST_200600_302600_NS6detail15normal_iteratorINS9_10device_ptrIxEEEESE_SE_iNS9_4plusIvEENS9_8equal_toIvEEiEE10hipError_tPvRmT2_T3_T4_T5_mT6_T7_P12ihipStream_tbENKUlT_T0_E_clISt17integral_constantIbLb1EESZ_EEDaSU_SV_EUlSU_E_NS1_11comp_targetILNS1_3genE10ELNS1_11target_archE1201ELNS1_3gpuE5ELNS1_3repE0EEENS1_30default_config_static_selectorELNS0_4arch9wavefront6targetE0EEEvT1_
    .private_segment_fixed_size: 0
    .sgpr_count:     0
    .sgpr_spill_count: 0
    .symbol:         _ZN7rocprim17ROCPRIM_400000_NS6detail17trampoline_kernelINS0_14default_configENS1_27scan_by_key_config_selectorIxiEEZZNS1_16scan_by_key_implILNS1_25lookback_scan_determinismE0ELb1ES3_N6thrust23THRUST_200600_302600_NS6detail15normal_iteratorINS9_10device_ptrIxEEEESE_SE_iNS9_4plusIvEENS9_8equal_toIvEEiEE10hipError_tPvRmT2_T3_T4_T5_mT6_T7_P12ihipStream_tbENKUlT_T0_E_clISt17integral_constantIbLb1EESZ_EEDaSU_SV_EUlSU_E_NS1_11comp_targetILNS1_3genE10ELNS1_11target_archE1201ELNS1_3gpuE5ELNS1_3repE0EEENS1_30default_config_static_selectorELNS0_4arch9wavefront6targetE0EEEvT1_.kd
    .uniform_work_group_size: 1
    .uses_dynamic_stack: false
    .vgpr_count:     0
    .vgpr_spill_count: 0
    .wavefront_size: 32
    .workgroup_processor_mode: 1
  - .args:
      - .offset:         0
        .size:           112
        .value_kind:     by_value
    .group_segment_fixed_size: 0
    .kernarg_segment_align: 8
    .kernarg_segment_size: 112
    .language:       OpenCL C
    .language_version:
      - 2
      - 0
    .max_flat_workgroup_size: 256
    .name:           _ZN7rocprim17ROCPRIM_400000_NS6detail17trampoline_kernelINS0_14default_configENS1_27scan_by_key_config_selectorIxiEEZZNS1_16scan_by_key_implILNS1_25lookback_scan_determinismE0ELb1ES3_N6thrust23THRUST_200600_302600_NS6detail15normal_iteratorINS9_10device_ptrIxEEEESE_SE_iNS9_4plusIvEENS9_8equal_toIvEEiEE10hipError_tPvRmT2_T3_T4_T5_mT6_T7_P12ihipStream_tbENKUlT_T0_E_clISt17integral_constantIbLb1EESZ_EEDaSU_SV_EUlSU_E_NS1_11comp_targetILNS1_3genE5ELNS1_11target_archE942ELNS1_3gpuE9ELNS1_3repE0EEENS1_30default_config_static_selectorELNS0_4arch9wavefront6targetE0EEEvT1_
    .private_segment_fixed_size: 0
    .sgpr_count:     0
    .sgpr_spill_count: 0
    .symbol:         _ZN7rocprim17ROCPRIM_400000_NS6detail17trampoline_kernelINS0_14default_configENS1_27scan_by_key_config_selectorIxiEEZZNS1_16scan_by_key_implILNS1_25lookback_scan_determinismE0ELb1ES3_N6thrust23THRUST_200600_302600_NS6detail15normal_iteratorINS9_10device_ptrIxEEEESE_SE_iNS9_4plusIvEENS9_8equal_toIvEEiEE10hipError_tPvRmT2_T3_T4_T5_mT6_T7_P12ihipStream_tbENKUlT_T0_E_clISt17integral_constantIbLb1EESZ_EEDaSU_SV_EUlSU_E_NS1_11comp_targetILNS1_3genE5ELNS1_11target_archE942ELNS1_3gpuE9ELNS1_3repE0EEENS1_30default_config_static_selectorELNS0_4arch9wavefront6targetE0EEEvT1_.kd
    .uniform_work_group_size: 1
    .uses_dynamic_stack: false
    .vgpr_count:     0
    .vgpr_spill_count: 0
    .wavefront_size: 32
    .workgroup_processor_mode: 1
  - .args:
      - .offset:         0
        .size:           112
        .value_kind:     by_value
    .group_segment_fixed_size: 0
    .kernarg_segment_align: 8
    .kernarg_segment_size: 112
    .language:       OpenCL C
    .language_version:
      - 2
      - 0
    .max_flat_workgroup_size: 256
    .name:           _ZN7rocprim17ROCPRIM_400000_NS6detail17trampoline_kernelINS0_14default_configENS1_27scan_by_key_config_selectorIxiEEZZNS1_16scan_by_key_implILNS1_25lookback_scan_determinismE0ELb1ES3_N6thrust23THRUST_200600_302600_NS6detail15normal_iteratorINS9_10device_ptrIxEEEESE_SE_iNS9_4plusIvEENS9_8equal_toIvEEiEE10hipError_tPvRmT2_T3_T4_T5_mT6_T7_P12ihipStream_tbENKUlT_T0_E_clISt17integral_constantIbLb1EESZ_EEDaSU_SV_EUlSU_E_NS1_11comp_targetILNS1_3genE4ELNS1_11target_archE910ELNS1_3gpuE8ELNS1_3repE0EEENS1_30default_config_static_selectorELNS0_4arch9wavefront6targetE0EEEvT1_
    .private_segment_fixed_size: 0
    .sgpr_count:     0
    .sgpr_spill_count: 0
    .symbol:         _ZN7rocprim17ROCPRIM_400000_NS6detail17trampoline_kernelINS0_14default_configENS1_27scan_by_key_config_selectorIxiEEZZNS1_16scan_by_key_implILNS1_25lookback_scan_determinismE0ELb1ES3_N6thrust23THRUST_200600_302600_NS6detail15normal_iteratorINS9_10device_ptrIxEEEESE_SE_iNS9_4plusIvEENS9_8equal_toIvEEiEE10hipError_tPvRmT2_T3_T4_T5_mT6_T7_P12ihipStream_tbENKUlT_T0_E_clISt17integral_constantIbLb1EESZ_EEDaSU_SV_EUlSU_E_NS1_11comp_targetILNS1_3genE4ELNS1_11target_archE910ELNS1_3gpuE8ELNS1_3repE0EEENS1_30default_config_static_selectorELNS0_4arch9wavefront6targetE0EEEvT1_.kd
    .uniform_work_group_size: 1
    .uses_dynamic_stack: false
    .vgpr_count:     0
    .vgpr_spill_count: 0
    .wavefront_size: 32
    .workgroup_processor_mode: 1
  - .args:
      - .offset:         0
        .size:           112
        .value_kind:     by_value
    .group_segment_fixed_size: 0
    .kernarg_segment_align: 8
    .kernarg_segment_size: 112
    .language:       OpenCL C
    .language_version:
      - 2
      - 0
    .max_flat_workgroup_size: 256
    .name:           _ZN7rocprim17ROCPRIM_400000_NS6detail17trampoline_kernelINS0_14default_configENS1_27scan_by_key_config_selectorIxiEEZZNS1_16scan_by_key_implILNS1_25lookback_scan_determinismE0ELb1ES3_N6thrust23THRUST_200600_302600_NS6detail15normal_iteratorINS9_10device_ptrIxEEEESE_SE_iNS9_4plusIvEENS9_8equal_toIvEEiEE10hipError_tPvRmT2_T3_T4_T5_mT6_T7_P12ihipStream_tbENKUlT_T0_E_clISt17integral_constantIbLb1EESZ_EEDaSU_SV_EUlSU_E_NS1_11comp_targetILNS1_3genE3ELNS1_11target_archE908ELNS1_3gpuE7ELNS1_3repE0EEENS1_30default_config_static_selectorELNS0_4arch9wavefront6targetE0EEEvT1_
    .private_segment_fixed_size: 0
    .sgpr_count:     0
    .sgpr_spill_count: 0
    .symbol:         _ZN7rocprim17ROCPRIM_400000_NS6detail17trampoline_kernelINS0_14default_configENS1_27scan_by_key_config_selectorIxiEEZZNS1_16scan_by_key_implILNS1_25lookback_scan_determinismE0ELb1ES3_N6thrust23THRUST_200600_302600_NS6detail15normal_iteratorINS9_10device_ptrIxEEEESE_SE_iNS9_4plusIvEENS9_8equal_toIvEEiEE10hipError_tPvRmT2_T3_T4_T5_mT6_T7_P12ihipStream_tbENKUlT_T0_E_clISt17integral_constantIbLb1EESZ_EEDaSU_SV_EUlSU_E_NS1_11comp_targetILNS1_3genE3ELNS1_11target_archE908ELNS1_3gpuE7ELNS1_3repE0EEENS1_30default_config_static_selectorELNS0_4arch9wavefront6targetE0EEEvT1_.kd
    .uniform_work_group_size: 1
    .uses_dynamic_stack: false
    .vgpr_count:     0
    .vgpr_spill_count: 0
    .wavefront_size: 32
    .workgroup_processor_mode: 1
  - .args:
      - .offset:         0
        .size:           112
        .value_kind:     by_value
    .group_segment_fixed_size: 0
    .kernarg_segment_align: 8
    .kernarg_segment_size: 112
    .language:       OpenCL C
    .language_version:
      - 2
      - 0
    .max_flat_workgroup_size: 256
    .name:           _ZN7rocprim17ROCPRIM_400000_NS6detail17trampoline_kernelINS0_14default_configENS1_27scan_by_key_config_selectorIxiEEZZNS1_16scan_by_key_implILNS1_25lookback_scan_determinismE0ELb1ES3_N6thrust23THRUST_200600_302600_NS6detail15normal_iteratorINS9_10device_ptrIxEEEESE_SE_iNS9_4plusIvEENS9_8equal_toIvEEiEE10hipError_tPvRmT2_T3_T4_T5_mT6_T7_P12ihipStream_tbENKUlT_T0_E_clISt17integral_constantIbLb1EESZ_EEDaSU_SV_EUlSU_E_NS1_11comp_targetILNS1_3genE2ELNS1_11target_archE906ELNS1_3gpuE6ELNS1_3repE0EEENS1_30default_config_static_selectorELNS0_4arch9wavefront6targetE0EEEvT1_
    .private_segment_fixed_size: 0
    .sgpr_count:     0
    .sgpr_spill_count: 0
    .symbol:         _ZN7rocprim17ROCPRIM_400000_NS6detail17trampoline_kernelINS0_14default_configENS1_27scan_by_key_config_selectorIxiEEZZNS1_16scan_by_key_implILNS1_25lookback_scan_determinismE0ELb1ES3_N6thrust23THRUST_200600_302600_NS6detail15normal_iteratorINS9_10device_ptrIxEEEESE_SE_iNS9_4plusIvEENS9_8equal_toIvEEiEE10hipError_tPvRmT2_T3_T4_T5_mT6_T7_P12ihipStream_tbENKUlT_T0_E_clISt17integral_constantIbLb1EESZ_EEDaSU_SV_EUlSU_E_NS1_11comp_targetILNS1_3genE2ELNS1_11target_archE906ELNS1_3gpuE6ELNS1_3repE0EEENS1_30default_config_static_selectorELNS0_4arch9wavefront6targetE0EEEvT1_.kd
    .uniform_work_group_size: 1
    .uses_dynamic_stack: false
    .vgpr_count:     0
    .vgpr_spill_count: 0
    .wavefront_size: 32
    .workgroup_processor_mode: 1
  - .args:
      - .offset:         0
        .size:           112
        .value_kind:     by_value
    .group_segment_fixed_size: 0
    .kernarg_segment_align: 8
    .kernarg_segment_size: 112
    .language:       OpenCL C
    .language_version:
      - 2
      - 0
    .max_flat_workgroup_size: 256
    .name:           _ZN7rocprim17ROCPRIM_400000_NS6detail17trampoline_kernelINS0_14default_configENS1_27scan_by_key_config_selectorIxiEEZZNS1_16scan_by_key_implILNS1_25lookback_scan_determinismE0ELb1ES3_N6thrust23THRUST_200600_302600_NS6detail15normal_iteratorINS9_10device_ptrIxEEEESE_SE_iNS9_4plusIvEENS9_8equal_toIvEEiEE10hipError_tPvRmT2_T3_T4_T5_mT6_T7_P12ihipStream_tbENKUlT_T0_E_clISt17integral_constantIbLb1EESZ_EEDaSU_SV_EUlSU_E_NS1_11comp_targetILNS1_3genE10ELNS1_11target_archE1200ELNS1_3gpuE4ELNS1_3repE0EEENS1_30default_config_static_selectorELNS0_4arch9wavefront6targetE0EEEvT1_
    .private_segment_fixed_size: 0
    .sgpr_count:     0
    .sgpr_spill_count: 0
    .symbol:         _ZN7rocprim17ROCPRIM_400000_NS6detail17trampoline_kernelINS0_14default_configENS1_27scan_by_key_config_selectorIxiEEZZNS1_16scan_by_key_implILNS1_25lookback_scan_determinismE0ELb1ES3_N6thrust23THRUST_200600_302600_NS6detail15normal_iteratorINS9_10device_ptrIxEEEESE_SE_iNS9_4plusIvEENS9_8equal_toIvEEiEE10hipError_tPvRmT2_T3_T4_T5_mT6_T7_P12ihipStream_tbENKUlT_T0_E_clISt17integral_constantIbLb1EESZ_EEDaSU_SV_EUlSU_E_NS1_11comp_targetILNS1_3genE10ELNS1_11target_archE1200ELNS1_3gpuE4ELNS1_3repE0EEENS1_30default_config_static_selectorELNS0_4arch9wavefront6targetE0EEEvT1_.kd
    .uniform_work_group_size: 1
    .uses_dynamic_stack: false
    .vgpr_count:     0
    .vgpr_spill_count: 0
    .wavefront_size: 32
    .workgroup_processor_mode: 1
  - .args:
      - .offset:         0
        .size:           112
        .value_kind:     by_value
    .group_segment_fixed_size: 0
    .kernarg_segment_align: 8
    .kernarg_segment_size: 112
    .language:       OpenCL C
    .language_version:
      - 2
      - 0
    .max_flat_workgroup_size: 256
    .name:           _ZN7rocprim17ROCPRIM_400000_NS6detail17trampoline_kernelINS0_14default_configENS1_27scan_by_key_config_selectorIxiEEZZNS1_16scan_by_key_implILNS1_25lookback_scan_determinismE0ELb1ES3_N6thrust23THRUST_200600_302600_NS6detail15normal_iteratorINS9_10device_ptrIxEEEESE_SE_iNS9_4plusIvEENS9_8equal_toIvEEiEE10hipError_tPvRmT2_T3_T4_T5_mT6_T7_P12ihipStream_tbENKUlT_T0_E_clISt17integral_constantIbLb1EESZ_EEDaSU_SV_EUlSU_E_NS1_11comp_targetILNS1_3genE9ELNS1_11target_archE1100ELNS1_3gpuE3ELNS1_3repE0EEENS1_30default_config_static_selectorELNS0_4arch9wavefront6targetE0EEEvT1_
    .private_segment_fixed_size: 0
    .sgpr_count:     0
    .sgpr_spill_count: 0
    .symbol:         _ZN7rocprim17ROCPRIM_400000_NS6detail17trampoline_kernelINS0_14default_configENS1_27scan_by_key_config_selectorIxiEEZZNS1_16scan_by_key_implILNS1_25lookback_scan_determinismE0ELb1ES3_N6thrust23THRUST_200600_302600_NS6detail15normal_iteratorINS9_10device_ptrIxEEEESE_SE_iNS9_4plusIvEENS9_8equal_toIvEEiEE10hipError_tPvRmT2_T3_T4_T5_mT6_T7_P12ihipStream_tbENKUlT_T0_E_clISt17integral_constantIbLb1EESZ_EEDaSU_SV_EUlSU_E_NS1_11comp_targetILNS1_3genE9ELNS1_11target_archE1100ELNS1_3gpuE3ELNS1_3repE0EEENS1_30default_config_static_selectorELNS0_4arch9wavefront6targetE0EEEvT1_.kd
    .uniform_work_group_size: 1
    .uses_dynamic_stack: false
    .vgpr_count:     0
    .vgpr_spill_count: 0
    .wavefront_size: 32
    .workgroup_processor_mode: 1
  - .args:
      - .offset:         0
        .size:           112
        .value_kind:     by_value
    .group_segment_fixed_size: 0
    .kernarg_segment_align: 8
    .kernarg_segment_size: 112
    .language:       OpenCL C
    .language_version:
      - 2
      - 0
    .max_flat_workgroup_size: 256
    .name:           _ZN7rocprim17ROCPRIM_400000_NS6detail17trampoline_kernelINS0_14default_configENS1_27scan_by_key_config_selectorIxiEEZZNS1_16scan_by_key_implILNS1_25lookback_scan_determinismE0ELb1ES3_N6thrust23THRUST_200600_302600_NS6detail15normal_iteratorINS9_10device_ptrIxEEEESE_SE_iNS9_4plusIvEENS9_8equal_toIvEEiEE10hipError_tPvRmT2_T3_T4_T5_mT6_T7_P12ihipStream_tbENKUlT_T0_E_clISt17integral_constantIbLb1EESZ_EEDaSU_SV_EUlSU_E_NS1_11comp_targetILNS1_3genE8ELNS1_11target_archE1030ELNS1_3gpuE2ELNS1_3repE0EEENS1_30default_config_static_selectorELNS0_4arch9wavefront6targetE0EEEvT1_
    .private_segment_fixed_size: 0
    .sgpr_count:     0
    .sgpr_spill_count: 0
    .symbol:         _ZN7rocprim17ROCPRIM_400000_NS6detail17trampoline_kernelINS0_14default_configENS1_27scan_by_key_config_selectorIxiEEZZNS1_16scan_by_key_implILNS1_25lookback_scan_determinismE0ELb1ES3_N6thrust23THRUST_200600_302600_NS6detail15normal_iteratorINS9_10device_ptrIxEEEESE_SE_iNS9_4plusIvEENS9_8equal_toIvEEiEE10hipError_tPvRmT2_T3_T4_T5_mT6_T7_P12ihipStream_tbENKUlT_T0_E_clISt17integral_constantIbLb1EESZ_EEDaSU_SV_EUlSU_E_NS1_11comp_targetILNS1_3genE8ELNS1_11target_archE1030ELNS1_3gpuE2ELNS1_3repE0EEENS1_30default_config_static_selectorELNS0_4arch9wavefront6targetE0EEEvT1_.kd
    .uniform_work_group_size: 1
    .uses_dynamic_stack: false
    .vgpr_count:     0
    .vgpr_spill_count: 0
    .wavefront_size: 32
    .workgroup_processor_mode: 1
  - .args:
      - .address_space:  global
        .offset:         0
        .size:           8
        .value_kind:     global_buffer
      - .offset:         8
        .size:           4
        .value_kind:     by_value
      - .offset:         12
        .size:           4
        .value_kind:     by_value
      - .address_space:  global
        .offset:         16
        .size:           8
        .value_kind:     global_buffer
      - .address_space:  global
        .offset:         24
        .size:           8
        .value_kind:     global_buffer
      - .actual_access:  write_only
        .address_space:  global
        .offset:         32
        .size:           8
        .value_kind:     global_buffer
      - .offset:         40
        .size:           8
        .value_kind:     by_value
      - .offset:         48
        .size:           4
        .value_kind:     by_value
      - .offset:         52
        .size:           1
        .value_kind:     by_value
      - .offset:         56
        .size:           4
        .value_kind:     hidden_block_count_x
      - .offset:         60
        .size:           4
        .value_kind:     hidden_block_count_y
      - .offset:         64
        .size:           4
        .value_kind:     hidden_block_count_z
      - .offset:         68
        .size:           2
        .value_kind:     hidden_group_size_x
      - .offset:         70
        .size:           2
        .value_kind:     hidden_group_size_y
      - .offset:         72
        .size:           2
        .value_kind:     hidden_group_size_z
      - .offset:         74
        .size:           2
        .value_kind:     hidden_remainder_x
      - .offset:         76
        .size:           2
        .value_kind:     hidden_remainder_y
      - .offset:         78
        .size:           2
        .value_kind:     hidden_remainder_z
      - .offset:         96
        .size:           8
        .value_kind:     hidden_global_offset_x
      - .offset:         104
        .size:           8
        .value_kind:     hidden_global_offset_y
      - .offset:         112
        .size:           8
        .value_kind:     hidden_global_offset_z
      - .offset:         120
        .size:           2
        .value_kind:     hidden_grid_dims
    .group_segment_fixed_size: 0
    .kernarg_segment_align: 8
    .kernarg_segment_size: 312
    .language:       OpenCL C
    .language_version:
      - 2
      - 0
    .max_flat_workgroup_size: 256
    .name:           _ZN7rocprim17ROCPRIM_400000_NS6detail30init_device_scan_by_key_kernelINS1_19lookback_scan_stateINS0_5tupleIJibEEELb1ELb1EEEN6thrust23THRUST_200600_302600_NS6detail15normal_iteratorINS8_10device_ptrIxEEEEjNS1_16block_id_wrapperIjLb0EEEEEvT_jjPNSG_10value_typeET0_PNSt15iterator_traitsISJ_E10value_typeEmT1_T2_
    .private_segment_fixed_size: 0
    .sgpr_count:     19
    .sgpr_spill_count: 0
    .symbol:         _ZN7rocprim17ROCPRIM_400000_NS6detail30init_device_scan_by_key_kernelINS1_19lookback_scan_stateINS0_5tupleIJibEEELb1ELb1EEEN6thrust23THRUST_200600_302600_NS6detail15normal_iteratorINS8_10device_ptrIxEEEEjNS1_16block_id_wrapperIjLb0EEEEEvT_jjPNSG_10value_typeET0_PNSt15iterator_traitsISJ_E10value_typeEmT1_T2_.kd
    .uniform_work_group_size: 1
    .uses_dynamic_stack: false
    .vgpr_count:     9
    .vgpr_spill_count: 0
    .wavefront_size: 32
    .workgroup_processor_mode: 1
  - .args:
      - .offset:         0
        .size:           112
        .value_kind:     by_value
    .group_segment_fixed_size: 0
    .kernarg_segment_align: 8
    .kernarg_segment_size: 112
    .language:       OpenCL C
    .language_version:
      - 2
      - 0
    .max_flat_workgroup_size: 256
    .name:           _ZN7rocprim17ROCPRIM_400000_NS6detail17trampoline_kernelINS0_14default_configENS1_27scan_by_key_config_selectorIxiEEZZNS1_16scan_by_key_implILNS1_25lookback_scan_determinismE0ELb1ES3_N6thrust23THRUST_200600_302600_NS6detail15normal_iteratorINS9_10device_ptrIxEEEESE_SE_iNS9_4plusIvEENS9_8equal_toIvEEiEE10hipError_tPvRmT2_T3_T4_T5_mT6_T7_P12ihipStream_tbENKUlT_T0_E_clISt17integral_constantIbLb1EESY_IbLb0EEEEDaSU_SV_EUlSU_E_NS1_11comp_targetILNS1_3genE0ELNS1_11target_archE4294967295ELNS1_3gpuE0ELNS1_3repE0EEENS1_30default_config_static_selectorELNS0_4arch9wavefront6targetE0EEEvT1_
    .private_segment_fixed_size: 0
    .sgpr_count:     0
    .sgpr_spill_count: 0
    .symbol:         _ZN7rocprim17ROCPRIM_400000_NS6detail17trampoline_kernelINS0_14default_configENS1_27scan_by_key_config_selectorIxiEEZZNS1_16scan_by_key_implILNS1_25lookback_scan_determinismE0ELb1ES3_N6thrust23THRUST_200600_302600_NS6detail15normal_iteratorINS9_10device_ptrIxEEEESE_SE_iNS9_4plusIvEENS9_8equal_toIvEEiEE10hipError_tPvRmT2_T3_T4_T5_mT6_T7_P12ihipStream_tbENKUlT_T0_E_clISt17integral_constantIbLb1EESY_IbLb0EEEEDaSU_SV_EUlSU_E_NS1_11comp_targetILNS1_3genE0ELNS1_11target_archE4294967295ELNS1_3gpuE0ELNS1_3repE0EEENS1_30default_config_static_selectorELNS0_4arch9wavefront6targetE0EEEvT1_.kd
    .uniform_work_group_size: 1
    .uses_dynamic_stack: false
    .vgpr_count:     0
    .vgpr_spill_count: 0
    .wavefront_size: 32
    .workgroup_processor_mode: 1
  - .args:
      - .offset:         0
        .size:           112
        .value_kind:     by_value
    .group_segment_fixed_size: 0
    .kernarg_segment_align: 8
    .kernarg_segment_size: 112
    .language:       OpenCL C
    .language_version:
      - 2
      - 0
    .max_flat_workgroup_size: 256
    .name:           _ZN7rocprim17ROCPRIM_400000_NS6detail17trampoline_kernelINS0_14default_configENS1_27scan_by_key_config_selectorIxiEEZZNS1_16scan_by_key_implILNS1_25lookback_scan_determinismE0ELb1ES3_N6thrust23THRUST_200600_302600_NS6detail15normal_iteratorINS9_10device_ptrIxEEEESE_SE_iNS9_4plusIvEENS9_8equal_toIvEEiEE10hipError_tPvRmT2_T3_T4_T5_mT6_T7_P12ihipStream_tbENKUlT_T0_E_clISt17integral_constantIbLb1EESY_IbLb0EEEEDaSU_SV_EUlSU_E_NS1_11comp_targetILNS1_3genE10ELNS1_11target_archE1201ELNS1_3gpuE5ELNS1_3repE0EEENS1_30default_config_static_selectorELNS0_4arch9wavefront6targetE0EEEvT1_
    .private_segment_fixed_size: 0
    .sgpr_count:     0
    .sgpr_spill_count: 0
    .symbol:         _ZN7rocprim17ROCPRIM_400000_NS6detail17trampoline_kernelINS0_14default_configENS1_27scan_by_key_config_selectorIxiEEZZNS1_16scan_by_key_implILNS1_25lookback_scan_determinismE0ELb1ES3_N6thrust23THRUST_200600_302600_NS6detail15normal_iteratorINS9_10device_ptrIxEEEESE_SE_iNS9_4plusIvEENS9_8equal_toIvEEiEE10hipError_tPvRmT2_T3_T4_T5_mT6_T7_P12ihipStream_tbENKUlT_T0_E_clISt17integral_constantIbLb1EESY_IbLb0EEEEDaSU_SV_EUlSU_E_NS1_11comp_targetILNS1_3genE10ELNS1_11target_archE1201ELNS1_3gpuE5ELNS1_3repE0EEENS1_30default_config_static_selectorELNS0_4arch9wavefront6targetE0EEEvT1_.kd
    .uniform_work_group_size: 1
    .uses_dynamic_stack: false
    .vgpr_count:     0
    .vgpr_spill_count: 0
    .wavefront_size: 32
    .workgroup_processor_mode: 1
  - .args:
      - .offset:         0
        .size:           112
        .value_kind:     by_value
    .group_segment_fixed_size: 0
    .kernarg_segment_align: 8
    .kernarg_segment_size: 112
    .language:       OpenCL C
    .language_version:
      - 2
      - 0
    .max_flat_workgroup_size: 256
    .name:           _ZN7rocprim17ROCPRIM_400000_NS6detail17trampoline_kernelINS0_14default_configENS1_27scan_by_key_config_selectorIxiEEZZNS1_16scan_by_key_implILNS1_25lookback_scan_determinismE0ELb1ES3_N6thrust23THRUST_200600_302600_NS6detail15normal_iteratorINS9_10device_ptrIxEEEESE_SE_iNS9_4plusIvEENS9_8equal_toIvEEiEE10hipError_tPvRmT2_T3_T4_T5_mT6_T7_P12ihipStream_tbENKUlT_T0_E_clISt17integral_constantIbLb1EESY_IbLb0EEEEDaSU_SV_EUlSU_E_NS1_11comp_targetILNS1_3genE5ELNS1_11target_archE942ELNS1_3gpuE9ELNS1_3repE0EEENS1_30default_config_static_selectorELNS0_4arch9wavefront6targetE0EEEvT1_
    .private_segment_fixed_size: 0
    .sgpr_count:     0
    .sgpr_spill_count: 0
    .symbol:         _ZN7rocprim17ROCPRIM_400000_NS6detail17trampoline_kernelINS0_14default_configENS1_27scan_by_key_config_selectorIxiEEZZNS1_16scan_by_key_implILNS1_25lookback_scan_determinismE0ELb1ES3_N6thrust23THRUST_200600_302600_NS6detail15normal_iteratorINS9_10device_ptrIxEEEESE_SE_iNS9_4plusIvEENS9_8equal_toIvEEiEE10hipError_tPvRmT2_T3_T4_T5_mT6_T7_P12ihipStream_tbENKUlT_T0_E_clISt17integral_constantIbLb1EESY_IbLb0EEEEDaSU_SV_EUlSU_E_NS1_11comp_targetILNS1_3genE5ELNS1_11target_archE942ELNS1_3gpuE9ELNS1_3repE0EEENS1_30default_config_static_selectorELNS0_4arch9wavefront6targetE0EEEvT1_.kd
    .uniform_work_group_size: 1
    .uses_dynamic_stack: false
    .vgpr_count:     0
    .vgpr_spill_count: 0
    .wavefront_size: 32
    .workgroup_processor_mode: 1
  - .args:
      - .offset:         0
        .size:           112
        .value_kind:     by_value
    .group_segment_fixed_size: 0
    .kernarg_segment_align: 8
    .kernarg_segment_size: 112
    .language:       OpenCL C
    .language_version:
      - 2
      - 0
    .max_flat_workgroup_size: 256
    .name:           _ZN7rocprim17ROCPRIM_400000_NS6detail17trampoline_kernelINS0_14default_configENS1_27scan_by_key_config_selectorIxiEEZZNS1_16scan_by_key_implILNS1_25lookback_scan_determinismE0ELb1ES3_N6thrust23THRUST_200600_302600_NS6detail15normal_iteratorINS9_10device_ptrIxEEEESE_SE_iNS9_4plusIvEENS9_8equal_toIvEEiEE10hipError_tPvRmT2_T3_T4_T5_mT6_T7_P12ihipStream_tbENKUlT_T0_E_clISt17integral_constantIbLb1EESY_IbLb0EEEEDaSU_SV_EUlSU_E_NS1_11comp_targetILNS1_3genE4ELNS1_11target_archE910ELNS1_3gpuE8ELNS1_3repE0EEENS1_30default_config_static_selectorELNS0_4arch9wavefront6targetE0EEEvT1_
    .private_segment_fixed_size: 0
    .sgpr_count:     0
    .sgpr_spill_count: 0
    .symbol:         _ZN7rocprim17ROCPRIM_400000_NS6detail17trampoline_kernelINS0_14default_configENS1_27scan_by_key_config_selectorIxiEEZZNS1_16scan_by_key_implILNS1_25lookback_scan_determinismE0ELb1ES3_N6thrust23THRUST_200600_302600_NS6detail15normal_iteratorINS9_10device_ptrIxEEEESE_SE_iNS9_4plusIvEENS9_8equal_toIvEEiEE10hipError_tPvRmT2_T3_T4_T5_mT6_T7_P12ihipStream_tbENKUlT_T0_E_clISt17integral_constantIbLb1EESY_IbLb0EEEEDaSU_SV_EUlSU_E_NS1_11comp_targetILNS1_3genE4ELNS1_11target_archE910ELNS1_3gpuE8ELNS1_3repE0EEENS1_30default_config_static_selectorELNS0_4arch9wavefront6targetE0EEEvT1_.kd
    .uniform_work_group_size: 1
    .uses_dynamic_stack: false
    .vgpr_count:     0
    .vgpr_spill_count: 0
    .wavefront_size: 32
    .workgroup_processor_mode: 1
  - .args:
      - .offset:         0
        .size:           112
        .value_kind:     by_value
    .group_segment_fixed_size: 0
    .kernarg_segment_align: 8
    .kernarg_segment_size: 112
    .language:       OpenCL C
    .language_version:
      - 2
      - 0
    .max_flat_workgroup_size: 256
    .name:           _ZN7rocprim17ROCPRIM_400000_NS6detail17trampoline_kernelINS0_14default_configENS1_27scan_by_key_config_selectorIxiEEZZNS1_16scan_by_key_implILNS1_25lookback_scan_determinismE0ELb1ES3_N6thrust23THRUST_200600_302600_NS6detail15normal_iteratorINS9_10device_ptrIxEEEESE_SE_iNS9_4plusIvEENS9_8equal_toIvEEiEE10hipError_tPvRmT2_T3_T4_T5_mT6_T7_P12ihipStream_tbENKUlT_T0_E_clISt17integral_constantIbLb1EESY_IbLb0EEEEDaSU_SV_EUlSU_E_NS1_11comp_targetILNS1_3genE3ELNS1_11target_archE908ELNS1_3gpuE7ELNS1_3repE0EEENS1_30default_config_static_selectorELNS0_4arch9wavefront6targetE0EEEvT1_
    .private_segment_fixed_size: 0
    .sgpr_count:     0
    .sgpr_spill_count: 0
    .symbol:         _ZN7rocprim17ROCPRIM_400000_NS6detail17trampoline_kernelINS0_14default_configENS1_27scan_by_key_config_selectorIxiEEZZNS1_16scan_by_key_implILNS1_25lookback_scan_determinismE0ELb1ES3_N6thrust23THRUST_200600_302600_NS6detail15normal_iteratorINS9_10device_ptrIxEEEESE_SE_iNS9_4plusIvEENS9_8equal_toIvEEiEE10hipError_tPvRmT2_T3_T4_T5_mT6_T7_P12ihipStream_tbENKUlT_T0_E_clISt17integral_constantIbLb1EESY_IbLb0EEEEDaSU_SV_EUlSU_E_NS1_11comp_targetILNS1_3genE3ELNS1_11target_archE908ELNS1_3gpuE7ELNS1_3repE0EEENS1_30default_config_static_selectorELNS0_4arch9wavefront6targetE0EEEvT1_.kd
    .uniform_work_group_size: 1
    .uses_dynamic_stack: false
    .vgpr_count:     0
    .vgpr_spill_count: 0
    .wavefront_size: 32
    .workgroup_processor_mode: 1
  - .args:
      - .offset:         0
        .size:           112
        .value_kind:     by_value
    .group_segment_fixed_size: 0
    .kernarg_segment_align: 8
    .kernarg_segment_size: 112
    .language:       OpenCL C
    .language_version:
      - 2
      - 0
    .max_flat_workgroup_size: 256
    .name:           _ZN7rocprim17ROCPRIM_400000_NS6detail17trampoline_kernelINS0_14default_configENS1_27scan_by_key_config_selectorIxiEEZZNS1_16scan_by_key_implILNS1_25lookback_scan_determinismE0ELb1ES3_N6thrust23THRUST_200600_302600_NS6detail15normal_iteratorINS9_10device_ptrIxEEEESE_SE_iNS9_4plusIvEENS9_8equal_toIvEEiEE10hipError_tPvRmT2_T3_T4_T5_mT6_T7_P12ihipStream_tbENKUlT_T0_E_clISt17integral_constantIbLb1EESY_IbLb0EEEEDaSU_SV_EUlSU_E_NS1_11comp_targetILNS1_3genE2ELNS1_11target_archE906ELNS1_3gpuE6ELNS1_3repE0EEENS1_30default_config_static_selectorELNS0_4arch9wavefront6targetE0EEEvT1_
    .private_segment_fixed_size: 0
    .sgpr_count:     0
    .sgpr_spill_count: 0
    .symbol:         _ZN7rocprim17ROCPRIM_400000_NS6detail17trampoline_kernelINS0_14default_configENS1_27scan_by_key_config_selectorIxiEEZZNS1_16scan_by_key_implILNS1_25lookback_scan_determinismE0ELb1ES3_N6thrust23THRUST_200600_302600_NS6detail15normal_iteratorINS9_10device_ptrIxEEEESE_SE_iNS9_4plusIvEENS9_8equal_toIvEEiEE10hipError_tPvRmT2_T3_T4_T5_mT6_T7_P12ihipStream_tbENKUlT_T0_E_clISt17integral_constantIbLb1EESY_IbLb0EEEEDaSU_SV_EUlSU_E_NS1_11comp_targetILNS1_3genE2ELNS1_11target_archE906ELNS1_3gpuE6ELNS1_3repE0EEENS1_30default_config_static_selectorELNS0_4arch9wavefront6targetE0EEEvT1_.kd
    .uniform_work_group_size: 1
    .uses_dynamic_stack: false
    .vgpr_count:     0
    .vgpr_spill_count: 0
    .wavefront_size: 32
    .workgroup_processor_mode: 1
  - .args:
      - .offset:         0
        .size:           112
        .value_kind:     by_value
    .group_segment_fixed_size: 0
    .kernarg_segment_align: 8
    .kernarg_segment_size: 112
    .language:       OpenCL C
    .language_version:
      - 2
      - 0
    .max_flat_workgroup_size: 256
    .name:           _ZN7rocprim17ROCPRIM_400000_NS6detail17trampoline_kernelINS0_14default_configENS1_27scan_by_key_config_selectorIxiEEZZNS1_16scan_by_key_implILNS1_25lookback_scan_determinismE0ELb1ES3_N6thrust23THRUST_200600_302600_NS6detail15normal_iteratorINS9_10device_ptrIxEEEESE_SE_iNS9_4plusIvEENS9_8equal_toIvEEiEE10hipError_tPvRmT2_T3_T4_T5_mT6_T7_P12ihipStream_tbENKUlT_T0_E_clISt17integral_constantIbLb1EESY_IbLb0EEEEDaSU_SV_EUlSU_E_NS1_11comp_targetILNS1_3genE10ELNS1_11target_archE1200ELNS1_3gpuE4ELNS1_3repE0EEENS1_30default_config_static_selectorELNS0_4arch9wavefront6targetE0EEEvT1_
    .private_segment_fixed_size: 0
    .sgpr_count:     0
    .sgpr_spill_count: 0
    .symbol:         _ZN7rocprim17ROCPRIM_400000_NS6detail17trampoline_kernelINS0_14default_configENS1_27scan_by_key_config_selectorIxiEEZZNS1_16scan_by_key_implILNS1_25lookback_scan_determinismE0ELb1ES3_N6thrust23THRUST_200600_302600_NS6detail15normal_iteratorINS9_10device_ptrIxEEEESE_SE_iNS9_4plusIvEENS9_8equal_toIvEEiEE10hipError_tPvRmT2_T3_T4_T5_mT6_T7_P12ihipStream_tbENKUlT_T0_E_clISt17integral_constantIbLb1EESY_IbLb0EEEEDaSU_SV_EUlSU_E_NS1_11comp_targetILNS1_3genE10ELNS1_11target_archE1200ELNS1_3gpuE4ELNS1_3repE0EEENS1_30default_config_static_selectorELNS0_4arch9wavefront6targetE0EEEvT1_.kd
    .uniform_work_group_size: 1
    .uses_dynamic_stack: false
    .vgpr_count:     0
    .vgpr_spill_count: 0
    .wavefront_size: 32
    .workgroup_processor_mode: 1
  - .args:
      - .offset:         0
        .size:           112
        .value_kind:     by_value
    .group_segment_fixed_size: 0
    .kernarg_segment_align: 8
    .kernarg_segment_size: 112
    .language:       OpenCL C
    .language_version:
      - 2
      - 0
    .max_flat_workgroup_size: 256
    .name:           _ZN7rocprim17ROCPRIM_400000_NS6detail17trampoline_kernelINS0_14default_configENS1_27scan_by_key_config_selectorIxiEEZZNS1_16scan_by_key_implILNS1_25lookback_scan_determinismE0ELb1ES3_N6thrust23THRUST_200600_302600_NS6detail15normal_iteratorINS9_10device_ptrIxEEEESE_SE_iNS9_4plusIvEENS9_8equal_toIvEEiEE10hipError_tPvRmT2_T3_T4_T5_mT6_T7_P12ihipStream_tbENKUlT_T0_E_clISt17integral_constantIbLb1EESY_IbLb0EEEEDaSU_SV_EUlSU_E_NS1_11comp_targetILNS1_3genE9ELNS1_11target_archE1100ELNS1_3gpuE3ELNS1_3repE0EEENS1_30default_config_static_selectorELNS0_4arch9wavefront6targetE0EEEvT1_
    .private_segment_fixed_size: 0
    .sgpr_count:     0
    .sgpr_spill_count: 0
    .symbol:         _ZN7rocprim17ROCPRIM_400000_NS6detail17trampoline_kernelINS0_14default_configENS1_27scan_by_key_config_selectorIxiEEZZNS1_16scan_by_key_implILNS1_25lookback_scan_determinismE0ELb1ES3_N6thrust23THRUST_200600_302600_NS6detail15normal_iteratorINS9_10device_ptrIxEEEESE_SE_iNS9_4plusIvEENS9_8equal_toIvEEiEE10hipError_tPvRmT2_T3_T4_T5_mT6_T7_P12ihipStream_tbENKUlT_T0_E_clISt17integral_constantIbLb1EESY_IbLb0EEEEDaSU_SV_EUlSU_E_NS1_11comp_targetILNS1_3genE9ELNS1_11target_archE1100ELNS1_3gpuE3ELNS1_3repE0EEENS1_30default_config_static_selectorELNS0_4arch9wavefront6targetE0EEEvT1_.kd
    .uniform_work_group_size: 1
    .uses_dynamic_stack: false
    .vgpr_count:     0
    .vgpr_spill_count: 0
    .wavefront_size: 32
    .workgroup_processor_mode: 1
  - .args:
      - .offset:         0
        .size:           112
        .value_kind:     by_value
    .group_segment_fixed_size: 0
    .kernarg_segment_align: 8
    .kernarg_segment_size: 112
    .language:       OpenCL C
    .language_version:
      - 2
      - 0
    .max_flat_workgroup_size: 256
    .name:           _ZN7rocprim17ROCPRIM_400000_NS6detail17trampoline_kernelINS0_14default_configENS1_27scan_by_key_config_selectorIxiEEZZNS1_16scan_by_key_implILNS1_25lookback_scan_determinismE0ELb1ES3_N6thrust23THRUST_200600_302600_NS6detail15normal_iteratorINS9_10device_ptrIxEEEESE_SE_iNS9_4plusIvEENS9_8equal_toIvEEiEE10hipError_tPvRmT2_T3_T4_T5_mT6_T7_P12ihipStream_tbENKUlT_T0_E_clISt17integral_constantIbLb1EESY_IbLb0EEEEDaSU_SV_EUlSU_E_NS1_11comp_targetILNS1_3genE8ELNS1_11target_archE1030ELNS1_3gpuE2ELNS1_3repE0EEENS1_30default_config_static_selectorELNS0_4arch9wavefront6targetE0EEEvT1_
    .private_segment_fixed_size: 0
    .sgpr_count:     0
    .sgpr_spill_count: 0
    .symbol:         _ZN7rocprim17ROCPRIM_400000_NS6detail17trampoline_kernelINS0_14default_configENS1_27scan_by_key_config_selectorIxiEEZZNS1_16scan_by_key_implILNS1_25lookback_scan_determinismE0ELb1ES3_N6thrust23THRUST_200600_302600_NS6detail15normal_iteratorINS9_10device_ptrIxEEEESE_SE_iNS9_4plusIvEENS9_8equal_toIvEEiEE10hipError_tPvRmT2_T3_T4_T5_mT6_T7_P12ihipStream_tbENKUlT_T0_E_clISt17integral_constantIbLb1EESY_IbLb0EEEEDaSU_SV_EUlSU_E_NS1_11comp_targetILNS1_3genE8ELNS1_11target_archE1030ELNS1_3gpuE2ELNS1_3repE0EEENS1_30default_config_static_selectorELNS0_4arch9wavefront6targetE0EEEvT1_.kd
    .uniform_work_group_size: 1
    .uses_dynamic_stack: false
    .vgpr_count:     0
    .vgpr_spill_count: 0
    .wavefront_size: 32
    .workgroup_processor_mode: 1
  - .args:
      - .address_space:  global
        .offset:         0
        .size:           8
        .value_kind:     global_buffer
      - .offset:         8
        .size:           4
        .value_kind:     by_value
      - .offset:         12
        .size:           4
        .value_kind:     by_value
      - .address_space:  global
        .offset:         16
        .size:           8
        .value_kind:     global_buffer
      - .address_space:  global
        .offset:         24
        .size:           8
        .value_kind:     global_buffer
      - .actual_access:  write_only
        .address_space:  global
        .offset:         32
        .size:           8
        .value_kind:     global_buffer
      - .offset:         40
        .size:           8
        .value_kind:     by_value
      - .offset:         48
        .size:           4
        .value_kind:     by_value
      - .address_space:  global
        .offset:         56
        .size:           8
        .value_kind:     global_buffer
      - .offset:         64
        .size:           4
        .value_kind:     hidden_block_count_x
      - .offset:         68
        .size:           4
        .value_kind:     hidden_block_count_y
      - .offset:         72
        .size:           4
        .value_kind:     hidden_block_count_z
      - .offset:         76
        .size:           2
        .value_kind:     hidden_group_size_x
      - .offset:         78
        .size:           2
        .value_kind:     hidden_group_size_y
      - .offset:         80
        .size:           2
        .value_kind:     hidden_group_size_z
      - .offset:         82
        .size:           2
        .value_kind:     hidden_remainder_x
      - .offset:         84
        .size:           2
        .value_kind:     hidden_remainder_y
      - .offset:         86
        .size:           2
        .value_kind:     hidden_remainder_z
      - .offset:         104
        .size:           8
        .value_kind:     hidden_global_offset_x
      - .offset:         112
        .size:           8
        .value_kind:     hidden_global_offset_y
      - .offset:         120
        .size:           8
        .value_kind:     hidden_global_offset_z
      - .offset:         128
        .size:           2
        .value_kind:     hidden_grid_dims
    .group_segment_fixed_size: 0
    .kernarg_segment_align: 8
    .kernarg_segment_size: 320
    .language:       OpenCL C
    .language_version:
      - 2
      - 0
    .max_flat_workgroup_size: 256
    .name:           _ZN7rocprim17ROCPRIM_400000_NS6detail30init_device_scan_by_key_kernelINS1_19lookback_scan_stateINS0_5tupleIJibEEELb0ELb1EEEN6thrust23THRUST_200600_302600_NS6detail15normal_iteratorINS8_10device_ptrIxEEEEjNS1_16block_id_wrapperIjLb1EEEEEvT_jjPNSG_10value_typeET0_PNSt15iterator_traitsISJ_E10value_typeEmT1_T2_
    .private_segment_fixed_size: 0
    .sgpr_count:     19
    .sgpr_spill_count: 0
    .symbol:         _ZN7rocprim17ROCPRIM_400000_NS6detail30init_device_scan_by_key_kernelINS1_19lookback_scan_stateINS0_5tupleIJibEEELb0ELb1EEEN6thrust23THRUST_200600_302600_NS6detail15normal_iteratorINS8_10device_ptrIxEEEEjNS1_16block_id_wrapperIjLb1EEEEEvT_jjPNSG_10value_typeET0_PNSt15iterator_traitsISJ_E10value_typeEmT1_T2_.kd
    .uniform_work_group_size: 1
    .uses_dynamic_stack: false
    .vgpr_count:     9
    .vgpr_spill_count: 0
    .wavefront_size: 32
    .workgroup_processor_mode: 1
  - .args:
      - .offset:         0
        .size:           112
        .value_kind:     by_value
    .group_segment_fixed_size: 0
    .kernarg_segment_align: 8
    .kernarg_segment_size: 112
    .language:       OpenCL C
    .language_version:
      - 2
      - 0
    .max_flat_workgroup_size: 256
    .name:           _ZN7rocprim17ROCPRIM_400000_NS6detail17trampoline_kernelINS0_14default_configENS1_27scan_by_key_config_selectorIxiEEZZNS1_16scan_by_key_implILNS1_25lookback_scan_determinismE0ELb1ES3_N6thrust23THRUST_200600_302600_NS6detail15normal_iteratorINS9_10device_ptrIxEEEESE_SE_iNS9_4plusIvEENS9_8equal_toIvEEiEE10hipError_tPvRmT2_T3_T4_T5_mT6_T7_P12ihipStream_tbENKUlT_T0_E_clISt17integral_constantIbLb0EESY_IbLb1EEEEDaSU_SV_EUlSU_E_NS1_11comp_targetILNS1_3genE0ELNS1_11target_archE4294967295ELNS1_3gpuE0ELNS1_3repE0EEENS1_30default_config_static_selectorELNS0_4arch9wavefront6targetE0EEEvT1_
    .private_segment_fixed_size: 0
    .sgpr_count:     0
    .sgpr_spill_count: 0
    .symbol:         _ZN7rocprim17ROCPRIM_400000_NS6detail17trampoline_kernelINS0_14default_configENS1_27scan_by_key_config_selectorIxiEEZZNS1_16scan_by_key_implILNS1_25lookback_scan_determinismE0ELb1ES3_N6thrust23THRUST_200600_302600_NS6detail15normal_iteratorINS9_10device_ptrIxEEEESE_SE_iNS9_4plusIvEENS9_8equal_toIvEEiEE10hipError_tPvRmT2_T3_T4_T5_mT6_T7_P12ihipStream_tbENKUlT_T0_E_clISt17integral_constantIbLb0EESY_IbLb1EEEEDaSU_SV_EUlSU_E_NS1_11comp_targetILNS1_3genE0ELNS1_11target_archE4294967295ELNS1_3gpuE0ELNS1_3repE0EEENS1_30default_config_static_selectorELNS0_4arch9wavefront6targetE0EEEvT1_.kd
    .uniform_work_group_size: 1
    .uses_dynamic_stack: false
    .vgpr_count:     0
    .vgpr_spill_count: 0
    .wavefront_size: 32
    .workgroup_processor_mode: 1
  - .args:
      - .offset:         0
        .size:           112
        .value_kind:     by_value
    .group_segment_fixed_size: 0
    .kernarg_segment_align: 8
    .kernarg_segment_size: 112
    .language:       OpenCL C
    .language_version:
      - 2
      - 0
    .max_flat_workgroup_size: 256
    .name:           _ZN7rocprim17ROCPRIM_400000_NS6detail17trampoline_kernelINS0_14default_configENS1_27scan_by_key_config_selectorIxiEEZZNS1_16scan_by_key_implILNS1_25lookback_scan_determinismE0ELb1ES3_N6thrust23THRUST_200600_302600_NS6detail15normal_iteratorINS9_10device_ptrIxEEEESE_SE_iNS9_4plusIvEENS9_8equal_toIvEEiEE10hipError_tPvRmT2_T3_T4_T5_mT6_T7_P12ihipStream_tbENKUlT_T0_E_clISt17integral_constantIbLb0EESY_IbLb1EEEEDaSU_SV_EUlSU_E_NS1_11comp_targetILNS1_3genE10ELNS1_11target_archE1201ELNS1_3gpuE5ELNS1_3repE0EEENS1_30default_config_static_selectorELNS0_4arch9wavefront6targetE0EEEvT1_
    .private_segment_fixed_size: 0
    .sgpr_count:     0
    .sgpr_spill_count: 0
    .symbol:         _ZN7rocprim17ROCPRIM_400000_NS6detail17trampoline_kernelINS0_14default_configENS1_27scan_by_key_config_selectorIxiEEZZNS1_16scan_by_key_implILNS1_25lookback_scan_determinismE0ELb1ES3_N6thrust23THRUST_200600_302600_NS6detail15normal_iteratorINS9_10device_ptrIxEEEESE_SE_iNS9_4plusIvEENS9_8equal_toIvEEiEE10hipError_tPvRmT2_T3_T4_T5_mT6_T7_P12ihipStream_tbENKUlT_T0_E_clISt17integral_constantIbLb0EESY_IbLb1EEEEDaSU_SV_EUlSU_E_NS1_11comp_targetILNS1_3genE10ELNS1_11target_archE1201ELNS1_3gpuE5ELNS1_3repE0EEENS1_30default_config_static_selectorELNS0_4arch9wavefront6targetE0EEEvT1_.kd
    .uniform_work_group_size: 1
    .uses_dynamic_stack: false
    .vgpr_count:     0
    .vgpr_spill_count: 0
    .wavefront_size: 32
    .workgroup_processor_mode: 1
  - .args:
      - .offset:         0
        .size:           112
        .value_kind:     by_value
    .group_segment_fixed_size: 0
    .kernarg_segment_align: 8
    .kernarg_segment_size: 112
    .language:       OpenCL C
    .language_version:
      - 2
      - 0
    .max_flat_workgroup_size: 256
    .name:           _ZN7rocprim17ROCPRIM_400000_NS6detail17trampoline_kernelINS0_14default_configENS1_27scan_by_key_config_selectorIxiEEZZNS1_16scan_by_key_implILNS1_25lookback_scan_determinismE0ELb1ES3_N6thrust23THRUST_200600_302600_NS6detail15normal_iteratorINS9_10device_ptrIxEEEESE_SE_iNS9_4plusIvEENS9_8equal_toIvEEiEE10hipError_tPvRmT2_T3_T4_T5_mT6_T7_P12ihipStream_tbENKUlT_T0_E_clISt17integral_constantIbLb0EESY_IbLb1EEEEDaSU_SV_EUlSU_E_NS1_11comp_targetILNS1_3genE5ELNS1_11target_archE942ELNS1_3gpuE9ELNS1_3repE0EEENS1_30default_config_static_selectorELNS0_4arch9wavefront6targetE0EEEvT1_
    .private_segment_fixed_size: 0
    .sgpr_count:     0
    .sgpr_spill_count: 0
    .symbol:         _ZN7rocprim17ROCPRIM_400000_NS6detail17trampoline_kernelINS0_14default_configENS1_27scan_by_key_config_selectorIxiEEZZNS1_16scan_by_key_implILNS1_25lookback_scan_determinismE0ELb1ES3_N6thrust23THRUST_200600_302600_NS6detail15normal_iteratorINS9_10device_ptrIxEEEESE_SE_iNS9_4plusIvEENS9_8equal_toIvEEiEE10hipError_tPvRmT2_T3_T4_T5_mT6_T7_P12ihipStream_tbENKUlT_T0_E_clISt17integral_constantIbLb0EESY_IbLb1EEEEDaSU_SV_EUlSU_E_NS1_11comp_targetILNS1_3genE5ELNS1_11target_archE942ELNS1_3gpuE9ELNS1_3repE0EEENS1_30default_config_static_selectorELNS0_4arch9wavefront6targetE0EEEvT1_.kd
    .uniform_work_group_size: 1
    .uses_dynamic_stack: false
    .vgpr_count:     0
    .vgpr_spill_count: 0
    .wavefront_size: 32
    .workgroup_processor_mode: 1
  - .args:
      - .offset:         0
        .size:           112
        .value_kind:     by_value
    .group_segment_fixed_size: 0
    .kernarg_segment_align: 8
    .kernarg_segment_size: 112
    .language:       OpenCL C
    .language_version:
      - 2
      - 0
    .max_flat_workgroup_size: 256
    .name:           _ZN7rocprim17ROCPRIM_400000_NS6detail17trampoline_kernelINS0_14default_configENS1_27scan_by_key_config_selectorIxiEEZZNS1_16scan_by_key_implILNS1_25lookback_scan_determinismE0ELb1ES3_N6thrust23THRUST_200600_302600_NS6detail15normal_iteratorINS9_10device_ptrIxEEEESE_SE_iNS9_4plusIvEENS9_8equal_toIvEEiEE10hipError_tPvRmT2_T3_T4_T5_mT6_T7_P12ihipStream_tbENKUlT_T0_E_clISt17integral_constantIbLb0EESY_IbLb1EEEEDaSU_SV_EUlSU_E_NS1_11comp_targetILNS1_3genE4ELNS1_11target_archE910ELNS1_3gpuE8ELNS1_3repE0EEENS1_30default_config_static_selectorELNS0_4arch9wavefront6targetE0EEEvT1_
    .private_segment_fixed_size: 0
    .sgpr_count:     0
    .sgpr_spill_count: 0
    .symbol:         _ZN7rocprim17ROCPRIM_400000_NS6detail17trampoline_kernelINS0_14default_configENS1_27scan_by_key_config_selectorIxiEEZZNS1_16scan_by_key_implILNS1_25lookback_scan_determinismE0ELb1ES3_N6thrust23THRUST_200600_302600_NS6detail15normal_iteratorINS9_10device_ptrIxEEEESE_SE_iNS9_4plusIvEENS9_8equal_toIvEEiEE10hipError_tPvRmT2_T3_T4_T5_mT6_T7_P12ihipStream_tbENKUlT_T0_E_clISt17integral_constantIbLb0EESY_IbLb1EEEEDaSU_SV_EUlSU_E_NS1_11comp_targetILNS1_3genE4ELNS1_11target_archE910ELNS1_3gpuE8ELNS1_3repE0EEENS1_30default_config_static_selectorELNS0_4arch9wavefront6targetE0EEEvT1_.kd
    .uniform_work_group_size: 1
    .uses_dynamic_stack: false
    .vgpr_count:     0
    .vgpr_spill_count: 0
    .wavefront_size: 32
    .workgroup_processor_mode: 1
  - .args:
      - .offset:         0
        .size:           112
        .value_kind:     by_value
    .group_segment_fixed_size: 0
    .kernarg_segment_align: 8
    .kernarg_segment_size: 112
    .language:       OpenCL C
    .language_version:
      - 2
      - 0
    .max_flat_workgroup_size: 256
    .name:           _ZN7rocprim17ROCPRIM_400000_NS6detail17trampoline_kernelINS0_14default_configENS1_27scan_by_key_config_selectorIxiEEZZNS1_16scan_by_key_implILNS1_25lookback_scan_determinismE0ELb1ES3_N6thrust23THRUST_200600_302600_NS6detail15normal_iteratorINS9_10device_ptrIxEEEESE_SE_iNS9_4plusIvEENS9_8equal_toIvEEiEE10hipError_tPvRmT2_T3_T4_T5_mT6_T7_P12ihipStream_tbENKUlT_T0_E_clISt17integral_constantIbLb0EESY_IbLb1EEEEDaSU_SV_EUlSU_E_NS1_11comp_targetILNS1_3genE3ELNS1_11target_archE908ELNS1_3gpuE7ELNS1_3repE0EEENS1_30default_config_static_selectorELNS0_4arch9wavefront6targetE0EEEvT1_
    .private_segment_fixed_size: 0
    .sgpr_count:     0
    .sgpr_spill_count: 0
    .symbol:         _ZN7rocprim17ROCPRIM_400000_NS6detail17trampoline_kernelINS0_14default_configENS1_27scan_by_key_config_selectorIxiEEZZNS1_16scan_by_key_implILNS1_25lookback_scan_determinismE0ELb1ES3_N6thrust23THRUST_200600_302600_NS6detail15normal_iteratorINS9_10device_ptrIxEEEESE_SE_iNS9_4plusIvEENS9_8equal_toIvEEiEE10hipError_tPvRmT2_T3_T4_T5_mT6_T7_P12ihipStream_tbENKUlT_T0_E_clISt17integral_constantIbLb0EESY_IbLb1EEEEDaSU_SV_EUlSU_E_NS1_11comp_targetILNS1_3genE3ELNS1_11target_archE908ELNS1_3gpuE7ELNS1_3repE0EEENS1_30default_config_static_selectorELNS0_4arch9wavefront6targetE0EEEvT1_.kd
    .uniform_work_group_size: 1
    .uses_dynamic_stack: false
    .vgpr_count:     0
    .vgpr_spill_count: 0
    .wavefront_size: 32
    .workgroup_processor_mode: 1
  - .args:
      - .offset:         0
        .size:           112
        .value_kind:     by_value
    .group_segment_fixed_size: 0
    .kernarg_segment_align: 8
    .kernarg_segment_size: 112
    .language:       OpenCL C
    .language_version:
      - 2
      - 0
    .max_flat_workgroup_size: 256
    .name:           _ZN7rocprim17ROCPRIM_400000_NS6detail17trampoline_kernelINS0_14default_configENS1_27scan_by_key_config_selectorIxiEEZZNS1_16scan_by_key_implILNS1_25lookback_scan_determinismE0ELb1ES3_N6thrust23THRUST_200600_302600_NS6detail15normal_iteratorINS9_10device_ptrIxEEEESE_SE_iNS9_4plusIvEENS9_8equal_toIvEEiEE10hipError_tPvRmT2_T3_T4_T5_mT6_T7_P12ihipStream_tbENKUlT_T0_E_clISt17integral_constantIbLb0EESY_IbLb1EEEEDaSU_SV_EUlSU_E_NS1_11comp_targetILNS1_3genE2ELNS1_11target_archE906ELNS1_3gpuE6ELNS1_3repE0EEENS1_30default_config_static_selectorELNS0_4arch9wavefront6targetE0EEEvT1_
    .private_segment_fixed_size: 0
    .sgpr_count:     0
    .sgpr_spill_count: 0
    .symbol:         _ZN7rocprim17ROCPRIM_400000_NS6detail17trampoline_kernelINS0_14default_configENS1_27scan_by_key_config_selectorIxiEEZZNS1_16scan_by_key_implILNS1_25lookback_scan_determinismE0ELb1ES3_N6thrust23THRUST_200600_302600_NS6detail15normal_iteratorINS9_10device_ptrIxEEEESE_SE_iNS9_4plusIvEENS9_8equal_toIvEEiEE10hipError_tPvRmT2_T3_T4_T5_mT6_T7_P12ihipStream_tbENKUlT_T0_E_clISt17integral_constantIbLb0EESY_IbLb1EEEEDaSU_SV_EUlSU_E_NS1_11comp_targetILNS1_3genE2ELNS1_11target_archE906ELNS1_3gpuE6ELNS1_3repE0EEENS1_30default_config_static_selectorELNS0_4arch9wavefront6targetE0EEEvT1_.kd
    .uniform_work_group_size: 1
    .uses_dynamic_stack: false
    .vgpr_count:     0
    .vgpr_spill_count: 0
    .wavefront_size: 32
    .workgroup_processor_mode: 1
  - .args:
      - .offset:         0
        .size:           112
        .value_kind:     by_value
    .group_segment_fixed_size: 0
    .kernarg_segment_align: 8
    .kernarg_segment_size: 112
    .language:       OpenCL C
    .language_version:
      - 2
      - 0
    .max_flat_workgroup_size: 256
    .name:           _ZN7rocprim17ROCPRIM_400000_NS6detail17trampoline_kernelINS0_14default_configENS1_27scan_by_key_config_selectorIxiEEZZNS1_16scan_by_key_implILNS1_25lookback_scan_determinismE0ELb1ES3_N6thrust23THRUST_200600_302600_NS6detail15normal_iteratorINS9_10device_ptrIxEEEESE_SE_iNS9_4plusIvEENS9_8equal_toIvEEiEE10hipError_tPvRmT2_T3_T4_T5_mT6_T7_P12ihipStream_tbENKUlT_T0_E_clISt17integral_constantIbLb0EESY_IbLb1EEEEDaSU_SV_EUlSU_E_NS1_11comp_targetILNS1_3genE10ELNS1_11target_archE1200ELNS1_3gpuE4ELNS1_3repE0EEENS1_30default_config_static_selectorELNS0_4arch9wavefront6targetE0EEEvT1_
    .private_segment_fixed_size: 0
    .sgpr_count:     0
    .sgpr_spill_count: 0
    .symbol:         _ZN7rocprim17ROCPRIM_400000_NS6detail17trampoline_kernelINS0_14default_configENS1_27scan_by_key_config_selectorIxiEEZZNS1_16scan_by_key_implILNS1_25lookback_scan_determinismE0ELb1ES3_N6thrust23THRUST_200600_302600_NS6detail15normal_iteratorINS9_10device_ptrIxEEEESE_SE_iNS9_4plusIvEENS9_8equal_toIvEEiEE10hipError_tPvRmT2_T3_T4_T5_mT6_T7_P12ihipStream_tbENKUlT_T0_E_clISt17integral_constantIbLb0EESY_IbLb1EEEEDaSU_SV_EUlSU_E_NS1_11comp_targetILNS1_3genE10ELNS1_11target_archE1200ELNS1_3gpuE4ELNS1_3repE0EEENS1_30default_config_static_selectorELNS0_4arch9wavefront6targetE0EEEvT1_.kd
    .uniform_work_group_size: 1
    .uses_dynamic_stack: false
    .vgpr_count:     0
    .vgpr_spill_count: 0
    .wavefront_size: 32
    .workgroup_processor_mode: 1
  - .args:
      - .offset:         0
        .size:           112
        .value_kind:     by_value
    .group_segment_fixed_size: 0
    .kernarg_segment_align: 8
    .kernarg_segment_size: 112
    .language:       OpenCL C
    .language_version:
      - 2
      - 0
    .max_flat_workgroup_size: 256
    .name:           _ZN7rocprim17ROCPRIM_400000_NS6detail17trampoline_kernelINS0_14default_configENS1_27scan_by_key_config_selectorIxiEEZZNS1_16scan_by_key_implILNS1_25lookback_scan_determinismE0ELb1ES3_N6thrust23THRUST_200600_302600_NS6detail15normal_iteratorINS9_10device_ptrIxEEEESE_SE_iNS9_4plusIvEENS9_8equal_toIvEEiEE10hipError_tPvRmT2_T3_T4_T5_mT6_T7_P12ihipStream_tbENKUlT_T0_E_clISt17integral_constantIbLb0EESY_IbLb1EEEEDaSU_SV_EUlSU_E_NS1_11comp_targetILNS1_3genE9ELNS1_11target_archE1100ELNS1_3gpuE3ELNS1_3repE0EEENS1_30default_config_static_selectorELNS0_4arch9wavefront6targetE0EEEvT1_
    .private_segment_fixed_size: 0
    .sgpr_count:     0
    .sgpr_spill_count: 0
    .symbol:         _ZN7rocprim17ROCPRIM_400000_NS6detail17trampoline_kernelINS0_14default_configENS1_27scan_by_key_config_selectorIxiEEZZNS1_16scan_by_key_implILNS1_25lookback_scan_determinismE0ELb1ES3_N6thrust23THRUST_200600_302600_NS6detail15normal_iteratorINS9_10device_ptrIxEEEESE_SE_iNS9_4plusIvEENS9_8equal_toIvEEiEE10hipError_tPvRmT2_T3_T4_T5_mT6_T7_P12ihipStream_tbENKUlT_T0_E_clISt17integral_constantIbLb0EESY_IbLb1EEEEDaSU_SV_EUlSU_E_NS1_11comp_targetILNS1_3genE9ELNS1_11target_archE1100ELNS1_3gpuE3ELNS1_3repE0EEENS1_30default_config_static_selectorELNS0_4arch9wavefront6targetE0EEEvT1_.kd
    .uniform_work_group_size: 1
    .uses_dynamic_stack: false
    .vgpr_count:     0
    .vgpr_spill_count: 0
    .wavefront_size: 32
    .workgroup_processor_mode: 1
  - .args:
      - .offset:         0
        .size:           112
        .value_kind:     by_value
    .group_segment_fixed_size: 10240
    .kernarg_segment_align: 8
    .kernarg_segment_size: 112
    .language:       OpenCL C
    .language_version:
      - 2
      - 0
    .max_flat_workgroup_size: 256
    .name:           _ZN7rocprim17ROCPRIM_400000_NS6detail17trampoline_kernelINS0_14default_configENS1_27scan_by_key_config_selectorIxiEEZZNS1_16scan_by_key_implILNS1_25lookback_scan_determinismE0ELb1ES3_N6thrust23THRUST_200600_302600_NS6detail15normal_iteratorINS9_10device_ptrIxEEEESE_SE_iNS9_4plusIvEENS9_8equal_toIvEEiEE10hipError_tPvRmT2_T3_T4_T5_mT6_T7_P12ihipStream_tbENKUlT_T0_E_clISt17integral_constantIbLb0EESY_IbLb1EEEEDaSU_SV_EUlSU_E_NS1_11comp_targetILNS1_3genE8ELNS1_11target_archE1030ELNS1_3gpuE2ELNS1_3repE0EEENS1_30default_config_static_selectorELNS0_4arch9wavefront6targetE0EEEvT1_
    .private_segment_fixed_size: 0
    .sgpr_count:     27
    .sgpr_spill_count: 0
    .symbol:         _ZN7rocprim17ROCPRIM_400000_NS6detail17trampoline_kernelINS0_14default_configENS1_27scan_by_key_config_selectorIxiEEZZNS1_16scan_by_key_implILNS1_25lookback_scan_determinismE0ELb1ES3_N6thrust23THRUST_200600_302600_NS6detail15normal_iteratorINS9_10device_ptrIxEEEESE_SE_iNS9_4plusIvEENS9_8equal_toIvEEiEE10hipError_tPvRmT2_T3_T4_T5_mT6_T7_P12ihipStream_tbENKUlT_T0_E_clISt17integral_constantIbLb0EESY_IbLb1EEEEDaSU_SV_EUlSU_E_NS1_11comp_targetILNS1_3genE8ELNS1_11target_archE1030ELNS1_3gpuE2ELNS1_3repE0EEENS1_30default_config_static_selectorELNS0_4arch9wavefront6targetE0EEEvT1_.kd
    .uniform_work_group_size: 1
    .uses_dynamic_stack: false
    .vgpr_count:     40
    .vgpr_spill_count: 0
    .wavefront_size: 32
    .workgroup_processor_mode: 1
  - .args:
      - .address_space:  global
        .offset:         0
        .size:           8
        .value_kind:     global_buffer
      - .offset:         8
        .size:           4
        .value_kind:     by_value
      - .offset:         12
        .size:           4
        .value_kind:     by_value
      - .address_space:  global
        .offset:         16
        .size:           8
        .value_kind:     global_buffer
      - .address_space:  global
        .offset:         24
        .size:           8
        .value_kind:     global_buffer
      - .actual_access:  write_only
        .address_space:  global
        .offset:         32
        .size:           8
        .value_kind:     global_buffer
      - .offset:         40
        .size:           8
        .value_kind:     by_value
      - .offset:         48
        .size:           4
        .value_kind:     by_value
      - .offset:         52
        .size:           1
        .value_kind:     by_value
      - .offset:         56
        .size:           4
        .value_kind:     hidden_block_count_x
      - .offset:         60
        .size:           4
        .value_kind:     hidden_block_count_y
      - .offset:         64
        .size:           4
        .value_kind:     hidden_block_count_z
      - .offset:         68
        .size:           2
        .value_kind:     hidden_group_size_x
      - .offset:         70
        .size:           2
        .value_kind:     hidden_group_size_y
      - .offset:         72
        .size:           2
        .value_kind:     hidden_group_size_z
      - .offset:         74
        .size:           2
        .value_kind:     hidden_remainder_x
      - .offset:         76
        .size:           2
        .value_kind:     hidden_remainder_y
      - .offset:         78
        .size:           2
        .value_kind:     hidden_remainder_z
      - .offset:         96
        .size:           8
        .value_kind:     hidden_global_offset_x
      - .offset:         104
        .size:           8
        .value_kind:     hidden_global_offset_y
      - .offset:         112
        .size:           8
        .value_kind:     hidden_global_offset_z
      - .offset:         120
        .size:           2
        .value_kind:     hidden_grid_dims
    .group_segment_fixed_size: 0
    .kernarg_segment_align: 8
    .kernarg_segment_size: 312
    .language:       OpenCL C
    .language_version:
      - 2
      - 0
    .max_flat_workgroup_size: 256
    .name:           _ZN7rocprim17ROCPRIM_400000_NS6detail30init_device_scan_by_key_kernelINS1_19lookback_scan_stateINS0_5tupleIJibEEELb0ELb1EEEN6thrust23THRUST_200600_302600_NS6detail15normal_iteratorINS8_10device_ptrIsEEEEjNS1_16block_id_wrapperIjLb0EEEEEvT_jjPNSG_10value_typeET0_PNSt15iterator_traitsISJ_E10value_typeEmT1_T2_
    .private_segment_fixed_size: 0
    .sgpr_count:     19
    .sgpr_spill_count: 0
    .symbol:         _ZN7rocprim17ROCPRIM_400000_NS6detail30init_device_scan_by_key_kernelINS1_19lookback_scan_stateINS0_5tupleIJibEEELb0ELb1EEEN6thrust23THRUST_200600_302600_NS6detail15normal_iteratorINS8_10device_ptrIsEEEEjNS1_16block_id_wrapperIjLb0EEEEEvT_jjPNSG_10value_typeET0_PNSt15iterator_traitsISJ_E10value_typeEmT1_T2_.kd
    .uniform_work_group_size: 1
    .uses_dynamic_stack: false
    .vgpr_count:     9
    .vgpr_spill_count: 0
    .wavefront_size: 32
    .workgroup_processor_mode: 1
  - .args:
      - .offset:         0
        .size:           112
        .value_kind:     by_value
    .group_segment_fixed_size: 0
    .kernarg_segment_align: 8
    .kernarg_segment_size: 112
    .language:       OpenCL C
    .language_version:
      - 2
      - 0
    .max_flat_workgroup_size: 256
    .name:           _ZN7rocprim17ROCPRIM_400000_NS6detail17trampoline_kernelINS0_14default_configENS1_27scan_by_key_config_selectorIsiEEZZNS1_16scan_by_key_implILNS1_25lookback_scan_determinismE0ELb1ES3_N6thrust23THRUST_200600_302600_NS6detail15normal_iteratorINS9_10device_ptrIsEEEESE_SE_iNS9_4plusIvEENS9_8equal_toIvEEiEE10hipError_tPvRmT2_T3_T4_T5_mT6_T7_P12ihipStream_tbENKUlT_T0_E_clISt17integral_constantIbLb0EESZ_EEDaSU_SV_EUlSU_E_NS1_11comp_targetILNS1_3genE0ELNS1_11target_archE4294967295ELNS1_3gpuE0ELNS1_3repE0EEENS1_30default_config_static_selectorELNS0_4arch9wavefront6targetE0EEEvT1_
    .private_segment_fixed_size: 0
    .sgpr_count:     0
    .sgpr_spill_count: 0
    .symbol:         _ZN7rocprim17ROCPRIM_400000_NS6detail17trampoline_kernelINS0_14default_configENS1_27scan_by_key_config_selectorIsiEEZZNS1_16scan_by_key_implILNS1_25lookback_scan_determinismE0ELb1ES3_N6thrust23THRUST_200600_302600_NS6detail15normal_iteratorINS9_10device_ptrIsEEEESE_SE_iNS9_4plusIvEENS9_8equal_toIvEEiEE10hipError_tPvRmT2_T3_T4_T5_mT6_T7_P12ihipStream_tbENKUlT_T0_E_clISt17integral_constantIbLb0EESZ_EEDaSU_SV_EUlSU_E_NS1_11comp_targetILNS1_3genE0ELNS1_11target_archE4294967295ELNS1_3gpuE0ELNS1_3repE0EEENS1_30default_config_static_selectorELNS0_4arch9wavefront6targetE0EEEvT1_.kd
    .uniform_work_group_size: 1
    .uses_dynamic_stack: false
    .vgpr_count:     0
    .vgpr_spill_count: 0
    .wavefront_size: 32
    .workgroup_processor_mode: 1
  - .args:
      - .offset:         0
        .size:           112
        .value_kind:     by_value
    .group_segment_fixed_size: 0
    .kernarg_segment_align: 8
    .kernarg_segment_size: 112
    .language:       OpenCL C
    .language_version:
      - 2
      - 0
    .max_flat_workgroup_size: 256
    .name:           _ZN7rocprim17ROCPRIM_400000_NS6detail17trampoline_kernelINS0_14default_configENS1_27scan_by_key_config_selectorIsiEEZZNS1_16scan_by_key_implILNS1_25lookback_scan_determinismE0ELb1ES3_N6thrust23THRUST_200600_302600_NS6detail15normal_iteratorINS9_10device_ptrIsEEEESE_SE_iNS9_4plusIvEENS9_8equal_toIvEEiEE10hipError_tPvRmT2_T3_T4_T5_mT6_T7_P12ihipStream_tbENKUlT_T0_E_clISt17integral_constantIbLb0EESZ_EEDaSU_SV_EUlSU_E_NS1_11comp_targetILNS1_3genE10ELNS1_11target_archE1201ELNS1_3gpuE5ELNS1_3repE0EEENS1_30default_config_static_selectorELNS0_4arch9wavefront6targetE0EEEvT1_
    .private_segment_fixed_size: 0
    .sgpr_count:     0
    .sgpr_spill_count: 0
    .symbol:         _ZN7rocprim17ROCPRIM_400000_NS6detail17trampoline_kernelINS0_14default_configENS1_27scan_by_key_config_selectorIsiEEZZNS1_16scan_by_key_implILNS1_25lookback_scan_determinismE0ELb1ES3_N6thrust23THRUST_200600_302600_NS6detail15normal_iteratorINS9_10device_ptrIsEEEESE_SE_iNS9_4plusIvEENS9_8equal_toIvEEiEE10hipError_tPvRmT2_T3_T4_T5_mT6_T7_P12ihipStream_tbENKUlT_T0_E_clISt17integral_constantIbLb0EESZ_EEDaSU_SV_EUlSU_E_NS1_11comp_targetILNS1_3genE10ELNS1_11target_archE1201ELNS1_3gpuE5ELNS1_3repE0EEENS1_30default_config_static_selectorELNS0_4arch9wavefront6targetE0EEEvT1_.kd
    .uniform_work_group_size: 1
    .uses_dynamic_stack: false
    .vgpr_count:     0
    .vgpr_spill_count: 0
    .wavefront_size: 32
    .workgroup_processor_mode: 1
  - .args:
      - .offset:         0
        .size:           112
        .value_kind:     by_value
    .group_segment_fixed_size: 0
    .kernarg_segment_align: 8
    .kernarg_segment_size: 112
    .language:       OpenCL C
    .language_version:
      - 2
      - 0
    .max_flat_workgroup_size: 256
    .name:           _ZN7rocprim17ROCPRIM_400000_NS6detail17trampoline_kernelINS0_14default_configENS1_27scan_by_key_config_selectorIsiEEZZNS1_16scan_by_key_implILNS1_25lookback_scan_determinismE0ELb1ES3_N6thrust23THRUST_200600_302600_NS6detail15normal_iteratorINS9_10device_ptrIsEEEESE_SE_iNS9_4plusIvEENS9_8equal_toIvEEiEE10hipError_tPvRmT2_T3_T4_T5_mT6_T7_P12ihipStream_tbENKUlT_T0_E_clISt17integral_constantIbLb0EESZ_EEDaSU_SV_EUlSU_E_NS1_11comp_targetILNS1_3genE5ELNS1_11target_archE942ELNS1_3gpuE9ELNS1_3repE0EEENS1_30default_config_static_selectorELNS0_4arch9wavefront6targetE0EEEvT1_
    .private_segment_fixed_size: 0
    .sgpr_count:     0
    .sgpr_spill_count: 0
    .symbol:         _ZN7rocprim17ROCPRIM_400000_NS6detail17trampoline_kernelINS0_14default_configENS1_27scan_by_key_config_selectorIsiEEZZNS1_16scan_by_key_implILNS1_25lookback_scan_determinismE0ELb1ES3_N6thrust23THRUST_200600_302600_NS6detail15normal_iteratorINS9_10device_ptrIsEEEESE_SE_iNS9_4plusIvEENS9_8equal_toIvEEiEE10hipError_tPvRmT2_T3_T4_T5_mT6_T7_P12ihipStream_tbENKUlT_T0_E_clISt17integral_constantIbLb0EESZ_EEDaSU_SV_EUlSU_E_NS1_11comp_targetILNS1_3genE5ELNS1_11target_archE942ELNS1_3gpuE9ELNS1_3repE0EEENS1_30default_config_static_selectorELNS0_4arch9wavefront6targetE0EEEvT1_.kd
    .uniform_work_group_size: 1
    .uses_dynamic_stack: false
    .vgpr_count:     0
    .vgpr_spill_count: 0
    .wavefront_size: 32
    .workgroup_processor_mode: 1
  - .args:
      - .offset:         0
        .size:           112
        .value_kind:     by_value
    .group_segment_fixed_size: 0
    .kernarg_segment_align: 8
    .kernarg_segment_size: 112
    .language:       OpenCL C
    .language_version:
      - 2
      - 0
    .max_flat_workgroup_size: 256
    .name:           _ZN7rocprim17ROCPRIM_400000_NS6detail17trampoline_kernelINS0_14default_configENS1_27scan_by_key_config_selectorIsiEEZZNS1_16scan_by_key_implILNS1_25lookback_scan_determinismE0ELb1ES3_N6thrust23THRUST_200600_302600_NS6detail15normal_iteratorINS9_10device_ptrIsEEEESE_SE_iNS9_4plusIvEENS9_8equal_toIvEEiEE10hipError_tPvRmT2_T3_T4_T5_mT6_T7_P12ihipStream_tbENKUlT_T0_E_clISt17integral_constantIbLb0EESZ_EEDaSU_SV_EUlSU_E_NS1_11comp_targetILNS1_3genE4ELNS1_11target_archE910ELNS1_3gpuE8ELNS1_3repE0EEENS1_30default_config_static_selectorELNS0_4arch9wavefront6targetE0EEEvT1_
    .private_segment_fixed_size: 0
    .sgpr_count:     0
    .sgpr_spill_count: 0
    .symbol:         _ZN7rocprim17ROCPRIM_400000_NS6detail17trampoline_kernelINS0_14default_configENS1_27scan_by_key_config_selectorIsiEEZZNS1_16scan_by_key_implILNS1_25lookback_scan_determinismE0ELb1ES3_N6thrust23THRUST_200600_302600_NS6detail15normal_iteratorINS9_10device_ptrIsEEEESE_SE_iNS9_4plusIvEENS9_8equal_toIvEEiEE10hipError_tPvRmT2_T3_T4_T5_mT6_T7_P12ihipStream_tbENKUlT_T0_E_clISt17integral_constantIbLb0EESZ_EEDaSU_SV_EUlSU_E_NS1_11comp_targetILNS1_3genE4ELNS1_11target_archE910ELNS1_3gpuE8ELNS1_3repE0EEENS1_30default_config_static_selectorELNS0_4arch9wavefront6targetE0EEEvT1_.kd
    .uniform_work_group_size: 1
    .uses_dynamic_stack: false
    .vgpr_count:     0
    .vgpr_spill_count: 0
    .wavefront_size: 32
    .workgroup_processor_mode: 1
  - .args:
      - .offset:         0
        .size:           112
        .value_kind:     by_value
    .group_segment_fixed_size: 0
    .kernarg_segment_align: 8
    .kernarg_segment_size: 112
    .language:       OpenCL C
    .language_version:
      - 2
      - 0
    .max_flat_workgroup_size: 256
    .name:           _ZN7rocprim17ROCPRIM_400000_NS6detail17trampoline_kernelINS0_14default_configENS1_27scan_by_key_config_selectorIsiEEZZNS1_16scan_by_key_implILNS1_25lookback_scan_determinismE0ELb1ES3_N6thrust23THRUST_200600_302600_NS6detail15normal_iteratorINS9_10device_ptrIsEEEESE_SE_iNS9_4plusIvEENS9_8equal_toIvEEiEE10hipError_tPvRmT2_T3_T4_T5_mT6_T7_P12ihipStream_tbENKUlT_T0_E_clISt17integral_constantIbLb0EESZ_EEDaSU_SV_EUlSU_E_NS1_11comp_targetILNS1_3genE3ELNS1_11target_archE908ELNS1_3gpuE7ELNS1_3repE0EEENS1_30default_config_static_selectorELNS0_4arch9wavefront6targetE0EEEvT1_
    .private_segment_fixed_size: 0
    .sgpr_count:     0
    .sgpr_spill_count: 0
    .symbol:         _ZN7rocprim17ROCPRIM_400000_NS6detail17trampoline_kernelINS0_14default_configENS1_27scan_by_key_config_selectorIsiEEZZNS1_16scan_by_key_implILNS1_25lookback_scan_determinismE0ELb1ES3_N6thrust23THRUST_200600_302600_NS6detail15normal_iteratorINS9_10device_ptrIsEEEESE_SE_iNS9_4plusIvEENS9_8equal_toIvEEiEE10hipError_tPvRmT2_T3_T4_T5_mT6_T7_P12ihipStream_tbENKUlT_T0_E_clISt17integral_constantIbLb0EESZ_EEDaSU_SV_EUlSU_E_NS1_11comp_targetILNS1_3genE3ELNS1_11target_archE908ELNS1_3gpuE7ELNS1_3repE0EEENS1_30default_config_static_selectorELNS0_4arch9wavefront6targetE0EEEvT1_.kd
    .uniform_work_group_size: 1
    .uses_dynamic_stack: false
    .vgpr_count:     0
    .vgpr_spill_count: 0
    .wavefront_size: 32
    .workgroup_processor_mode: 1
  - .args:
      - .offset:         0
        .size:           112
        .value_kind:     by_value
    .group_segment_fixed_size: 0
    .kernarg_segment_align: 8
    .kernarg_segment_size: 112
    .language:       OpenCL C
    .language_version:
      - 2
      - 0
    .max_flat_workgroup_size: 256
    .name:           _ZN7rocprim17ROCPRIM_400000_NS6detail17trampoline_kernelINS0_14default_configENS1_27scan_by_key_config_selectorIsiEEZZNS1_16scan_by_key_implILNS1_25lookback_scan_determinismE0ELb1ES3_N6thrust23THRUST_200600_302600_NS6detail15normal_iteratorINS9_10device_ptrIsEEEESE_SE_iNS9_4plusIvEENS9_8equal_toIvEEiEE10hipError_tPvRmT2_T3_T4_T5_mT6_T7_P12ihipStream_tbENKUlT_T0_E_clISt17integral_constantIbLb0EESZ_EEDaSU_SV_EUlSU_E_NS1_11comp_targetILNS1_3genE2ELNS1_11target_archE906ELNS1_3gpuE6ELNS1_3repE0EEENS1_30default_config_static_selectorELNS0_4arch9wavefront6targetE0EEEvT1_
    .private_segment_fixed_size: 0
    .sgpr_count:     0
    .sgpr_spill_count: 0
    .symbol:         _ZN7rocprim17ROCPRIM_400000_NS6detail17trampoline_kernelINS0_14default_configENS1_27scan_by_key_config_selectorIsiEEZZNS1_16scan_by_key_implILNS1_25lookback_scan_determinismE0ELb1ES3_N6thrust23THRUST_200600_302600_NS6detail15normal_iteratorINS9_10device_ptrIsEEEESE_SE_iNS9_4plusIvEENS9_8equal_toIvEEiEE10hipError_tPvRmT2_T3_T4_T5_mT6_T7_P12ihipStream_tbENKUlT_T0_E_clISt17integral_constantIbLb0EESZ_EEDaSU_SV_EUlSU_E_NS1_11comp_targetILNS1_3genE2ELNS1_11target_archE906ELNS1_3gpuE6ELNS1_3repE0EEENS1_30default_config_static_selectorELNS0_4arch9wavefront6targetE0EEEvT1_.kd
    .uniform_work_group_size: 1
    .uses_dynamic_stack: false
    .vgpr_count:     0
    .vgpr_spill_count: 0
    .wavefront_size: 32
    .workgroup_processor_mode: 1
  - .args:
      - .offset:         0
        .size:           112
        .value_kind:     by_value
    .group_segment_fixed_size: 0
    .kernarg_segment_align: 8
    .kernarg_segment_size: 112
    .language:       OpenCL C
    .language_version:
      - 2
      - 0
    .max_flat_workgroup_size: 256
    .name:           _ZN7rocprim17ROCPRIM_400000_NS6detail17trampoline_kernelINS0_14default_configENS1_27scan_by_key_config_selectorIsiEEZZNS1_16scan_by_key_implILNS1_25lookback_scan_determinismE0ELb1ES3_N6thrust23THRUST_200600_302600_NS6detail15normal_iteratorINS9_10device_ptrIsEEEESE_SE_iNS9_4plusIvEENS9_8equal_toIvEEiEE10hipError_tPvRmT2_T3_T4_T5_mT6_T7_P12ihipStream_tbENKUlT_T0_E_clISt17integral_constantIbLb0EESZ_EEDaSU_SV_EUlSU_E_NS1_11comp_targetILNS1_3genE10ELNS1_11target_archE1200ELNS1_3gpuE4ELNS1_3repE0EEENS1_30default_config_static_selectorELNS0_4arch9wavefront6targetE0EEEvT1_
    .private_segment_fixed_size: 0
    .sgpr_count:     0
    .sgpr_spill_count: 0
    .symbol:         _ZN7rocprim17ROCPRIM_400000_NS6detail17trampoline_kernelINS0_14default_configENS1_27scan_by_key_config_selectorIsiEEZZNS1_16scan_by_key_implILNS1_25lookback_scan_determinismE0ELb1ES3_N6thrust23THRUST_200600_302600_NS6detail15normal_iteratorINS9_10device_ptrIsEEEESE_SE_iNS9_4plusIvEENS9_8equal_toIvEEiEE10hipError_tPvRmT2_T3_T4_T5_mT6_T7_P12ihipStream_tbENKUlT_T0_E_clISt17integral_constantIbLb0EESZ_EEDaSU_SV_EUlSU_E_NS1_11comp_targetILNS1_3genE10ELNS1_11target_archE1200ELNS1_3gpuE4ELNS1_3repE0EEENS1_30default_config_static_selectorELNS0_4arch9wavefront6targetE0EEEvT1_.kd
    .uniform_work_group_size: 1
    .uses_dynamic_stack: false
    .vgpr_count:     0
    .vgpr_spill_count: 0
    .wavefront_size: 32
    .workgroup_processor_mode: 1
  - .args:
      - .offset:         0
        .size:           112
        .value_kind:     by_value
    .group_segment_fixed_size: 0
    .kernarg_segment_align: 8
    .kernarg_segment_size: 112
    .language:       OpenCL C
    .language_version:
      - 2
      - 0
    .max_flat_workgroup_size: 256
    .name:           _ZN7rocprim17ROCPRIM_400000_NS6detail17trampoline_kernelINS0_14default_configENS1_27scan_by_key_config_selectorIsiEEZZNS1_16scan_by_key_implILNS1_25lookback_scan_determinismE0ELb1ES3_N6thrust23THRUST_200600_302600_NS6detail15normal_iteratorINS9_10device_ptrIsEEEESE_SE_iNS9_4plusIvEENS9_8equal_toIvEEiEE10hipError_tPvRmT2_T3_T4_T5_mT6_T7_P12ihipStream_tbENKUlT_T0_E_clISt17integral_constantIbLb0EESZ_EEDaSU_SV_EUlSU_E_NS1_11comp_targetILNS1_3genE9ELNS1_11target_archE1100ELNS1_3gpuE3ELNS1_3repE0EEENS1_30default_config_static_selectorELNS0_4arch9wavefront6targetE0EEEvT1_
    .private_segment_fixed_size: 0
    .sgpr_count:     0
    .sgpr_spill_count: 0
    .symbol:         _ZN7rocprim17ROCPRIM_400000_NS6detail17trampoline_kernelINS0_14default_configENS1_27scan_by_key_config_selectorIsiEEZZNS1_16scan_by_key_implILNS1_25lookback_scan_determinismE0ELb1ES3_N6thrust23THRUST_200600_302600_NS6detail15normal_iteratorINS9_10device_ptrIsEEEESE_SE_iNS9_4plusIvEENS9_8equal_toIvEEiEE10hipError_tPvRmT2_T3_T4_T5_mT6_T7_P12ihipStream_tbENKUlT_T0_E_clISt17integral_constantIbLb0EESZ_EEDaSU_SV_EUlSU_E_NS1_11comp_targetILNS1_3genE9ELNS1_11target_archE1100ELNS1_3gpuE3ELNS1_3repE0EEENS1_30default_config_static_selectorELNS0_4arch9wavefront6targetE0EEEvT1_.kd
    .uniform_work_group_size: 1
    .uses_dynamic_stack: false
    .vgpr_count:     0
    .vgpr_spill_count: 0
    .wavefront_size: 32
    .workgroup_processor_mode: 1
  - .args:
      - .offset:         0
        .size:           112
        .value_kind:     by_value
    .group_segment_fixed_size: 1536
    .kernarg_segment_align: 8
    .kernarg_segment_size: 112
    .language:       OpenCL C
    .language_version:
      - 2
      - 0
    .max_flat_workgroup_size: 64
    .name:           _ZN7rocprim17ROCPRIM_400000_NS6detail17trampoline_kernelINS0_14default_configENS1_27scan_by_key_config_selectorIsiEEZZNS1_16scan_by_key_implILNS1_25lookback_scan_determinismE0ELb1ES3_N6thrust23THRUST_200600_302600_NS6detail15normal_iteratorINS9_10device_ptrIsEEEESE_SE_iNS9_4plusIvEENS9_8equal_toIvEEiEE10hipError_tPvRmT2_T3_T4_T5_mT6_T7_P12ihipStream_tbENKUlT_T0_E_clISt17integral_constantIbLb0EESZ_EEDaSU_SV_EUlSU_E_NS1_11comp_targetILNS1_3genE8ELNS1_11target_archE1030ELNS1_3gpuE2ELNS1_3repE0EEENS1_30default_config_static_selectorELNS0_4arch9wavefront6targetE0EEEvT1_
    .private_segment_fixed_size: 0
    .sgpr_count:     32
    .sgpr_spill_count: 0
    .symbol:         _ZN7rocprim17ROCPRIM_400000_NS6detail17trampoline_kernelINS0_14default_configENS1_27scan_by_key_config_selectorIsiEEZZNS1_16scan_by_key_implILNS1_25lookback_scan_determinismE0ELb1ES3_N6thrust23THRUST_200600_302600_NS6detail15normal_iteratorINS9_10device_ptrIsEEEESE_SE_iNS9_4plusIvEENS9_8equal_toIvEEiEE10hipError_tPvRmT2_T3_T4_T5_mT6_T7_P12ihipStream_tbENKUlT_T0_E_clISt17integral_constantIbLb0EESZ_EEDaSU_SV_EUlSU_E_NS1_11comp_targetILNS1_3genE8ELNS1_11target_archE1030ELNS1_3gpuE2ELNS1_3repE0EEENS1_30default_config_static_selectorELNS0_4arch9wavefront6targetE0EEEvT1_.kd
    .uniform_work_group_size: 1
    .uses_dynamic_stack: false
    .vgpr_count:     44
    .vgpr_spill_count: 0
    .wavefront_size: 32
    .workgroup_processor_mode: 1
  - .args:
      - .address_space:  global
        .offset:         0
        .size:           8
        .value_kind:     global_buffer
      - .offset:         8
        .size:           4
        .value_kind:     by_value
      - .offset:         12
        .size:           4
        .value_kind:     by_value
      - .address_space:  global
        .offset:         16
        .size:           8
        .value_kind:     global_buffer
      - .address_space:  global
        .offset:         24
        .size:           8
        .value_kind:     global_buffer
      - .actual_access:  write_only
        .address_space:  global
        .offset:         32
        .size:           8
        .value_kind:     global_buffer
      - .offset:         40
        .size:           8
        .value_kind:     by_value
      - .offset:         48
        .size:           4
        .value_kind:     by_value
      - .address_space:  global
        .offset:         56
        .size:           8
        .value_kind:     global_buffer
      - .offset:         64
        .size:           4
        .value_kind:     hidden_block_count_x
      - .offset:         68
        .size:           4
        .value_kind:     hidden_block_count_y
      - .offset:         72
        .size:           4
        .value_kind:     hidden_block_count_z
      - .offset:         76
        .size:           2
        .value_kind:     hidden_group_size_x
      - .offset:         78
        .size:           2
        .value_kind:     hidden_group_size_y
      - .offset:         80
        .size:           2
        .value_kind:     hidden_group_size_z
      - .offset:         82
        .size:           2
        .value_kind:     hidden_remainder_x
      - .offset:         84
        .size:           2
        .value_kind:     hidden_remainder_y
      - .offset:         86
        .size:           2
        .value_kind:     hidden_remainder_z
      - .offset:         104
        .size:           8
        .value_kind:     hidden_global_offset_x
      - .offset:         112
        .size:           8
        .value_kind:     hidden_global_offset_y
      - .offset:         120
        .size:           8
        .value_kind:     hidden_global_offset_z
      - .offset:         128
        .size:           2
        .value_kind:     hidden_grid_dims
    .group_segment_fixed_size: 0
    .kernarg_segment_align: 8
    .kernarg_segment_size: 320
    .language:       OpenCL C
    .language_version:
      - 2
      - 0
    .max_flat_workgroup_size: 256
    .name:           _ZN7rocprim17ROCPRIM_400000_NS6detail30init_device_scan_by_key_kernelINS1_19lookback_scan_stateINS0_5tupleIJibEEELb1ELb1EEEN6thrust23THRUST_200600_302600_NS6detail15normal_iteratorINS8_10device_ptrIsEEEEjNS1_16block_id_wrapperIjLb1EEEEEvT_jjPNSG_10value_typeET0_PNSt15iterator_traitsISJ_E10value_typeEmT1_T2_
    .private_segment_fixed_size: 0
    .sgpr_count:     19
    .sgpr_spill_count: 0
    .symbol:         _ZN7rocprim17ROCPRIM_400000_NS6detail30init_device_scan_by_key_kernelINS1_19lookback_scan_stateINS0_5tupleIJibEEELb1ELb1EEEN6thrust23THRUST_200600_302600_NS6detail15normal_iteratorINS8_10device_ptrIsEEEEjNS1_16block_id_wrapperIjLb1EEEEEvT_jjPNSG_10value_typeET0_PNSt15iterator_traitsISJ_E10value_typeEmT1_T2_.kd
    .uniform_work_group_size: 1
    .uses_dynamic_stack: false
    .vgpr_count:     9
    .vgpr_spill_count: 0
    .wavefront_size: 32
    .workgroup_processor_mode: 1
  - .args:
      - .offset:         0
        .size:           112
        .value_kind:     by_value
    .group_segment_fixed_size: 0
    .kernarg_segment_align: 8
    .kernarg_segment_size: 112
    .language:       OpenCL C
    .language_version:
      - 2
      - 0
    .max_flat_workgroup_size: 256
    .name:           _ZN7rocprim17ROCPRIM_400000_NS6detail17trampoline_kernelINS0_14default_configENS1_27scan_by_key_config_selectorIsiEEZZNS1_16scan_by_key_implILNS1_25lookback_scan_determinismE0ELb1ES3_N6thrust23THRUST_200600_302600_NS6detail15normal_iteratorINS9_10device_ptrIsEEEESE_SE_iNS9_4plusIvEENS9_8equal_toIvEEiEE10hipError_tPvRmT2_T3_T4_T5_mT6_T7_P12ihipStream_tbENKUlT_T0_E_clISt17integral_constantIbLb1EESZ_EEDaSU_SV_EUlSU_E_NS1_11comp_targetILNS1_3genE0ELNS1_11target_archE4294967295ELNS1_3gpuE0ELNS1_3repE0EEENS1_30default_config_static_selectorELNS0_4arch9wavefront6targetE0EEEvT1_
    .private_segment_fixed_size: 0
    .sgpr_count:     0
    .sgpr_spill_count: 0
    .symbol:         _ZN7rocprim17ROCPRIM_400000_NS6detail17trampoline_kernelINS0_14default_configENS1_27scan_by_key_config_selectorIsiEEZZNS1_16scan_by_key_implILNS1_25lookback_scan_determinismE0ELb1ES3_N6thrust23THRUST_200600_302600_NS6detail15normal_iteratorINS9_10device_ptrIsEEEESE_SE_iNS9_4plusIvEENS9_8equal_toIvEEiEE10hipError_tPvRmT2_T3_T4_T5_mT6_T7_P12ihipStream_tbENKUlT_T0_E_clISt17integral_constantIbLb1EESZ_EEDaSU_SV_EUlSU_E_NS1_11comp_targetILNS1_3genE0ELNS1_11target_archE4294967295ELNS1_3gpuE0ELNS1_3repE0EEENS1_30default_config_static_selectorELNS0_4arch9wavefront6targetE0EEEvT1_.kd
    .uniform_work_group_size: 1
    .uses_dynamic_stack: false
    .vgpr_count:     0
    .vgpr_spill_count: 0
    .wavefront_size: 32
    .workgroup_processor_mode: 1
  - .args:
      - .offset:         0
        .size:           112
        .value_kind:     by_value
    .group_segment_fixed_size: 0
    .kernarg_segment_align: 8
    .kernarg_segment_size: 112
    .language:       OpenCL C
    .language_version:
      - 2
      - 0
    .max_flat_workgroup_size: 256
    .name:           _ZN7rocprim17ROCPRIM_400000_NS6detail17trampoline_kernelINS0_14default_configENS1_27scan_by_key_config_selectorIsiEEZZNS1_16scan_by_key_implILNS1_25lookback_scan_determinismE0ELb1ES3_N6thrust23THRUST_200600_302600_NS6detail15normal_iteratorINS9_10device_ptrIsEEEESE_SE_iNS9_4plusIvEENS9_8equal_toIvEEiEE10hipError_tPvRmT2_T3_T4_T5_mT6_T7_P12ihipStream_tbENKUlT_T0_E_clISt17integral_constantIbLb1EESZ_EEDaSU_SV_EUlSU_E_NS1_11comp_targetILNS1_3genE10ELNS1_11target_archE1201ELNS1_3gpuE5ELNS1_3repE0EEENS1_30default_config_static_selectorELNS0_4arch9wavefront6targetE0EEEvT1_
    .private_segment_fixed_size: 0
    .sgpr_count:     0
    .sgpr_spill_count: 0
    .symbol:         _ZN7rocprim17ROCPRIM_400000_NS6detail17trampoline_kernelINS0_14default_configENS1_27scan_by_key_config_selectorIsiEEZZNS1_16scan_by_key_implILNS1_25lookback_scan_determinismE0ELb1ES3_N6thrust23THRUST_200600_302600_NS6detail15normal_iteratorINS9_10device_ptrIsEEEESE_SE_iNS9_4plusIvEENS9_8equal_toIvEEiEE10hipError_tPvRmT2_T3_T4_T5_mT6_T7_P12ihipStream_tbENKUlT_T0_E_clISt17integral_constantIbLb1EESZ_EEDaSU_SV_EUlSU_E_NS1_11comp_targetILNS1_3genE10ELNS1_11target_archE1201ELNS1_3gpuE5ELNS1_3repE0EEENS1_30default_config_static_selectorELNS0_4arch9wavefront6targetE0EEEvT1_.kd
    .uniform_work_group_size: 1
    .uses_dynamic_stack: false
    .vgpr_count:     0
    .vgpr_spill_count: 0
    .wavefront_size: 32
    .workgroup_processor_mode: 1
  - .args:
      - .offset:         0
        .size:           112
        .value_kind:     by_value
    .group_segment_fixed_size: 0
    .kernarg_segment_align: 8
    .kernarg_segment_size: 112
    .language:       OpenCL C
    .language_version:
      - 2
      - 0
    .max_flat_workgroup_size: 256
    .name:           _ZN7rocprim17ROCPRIM_400000_NS6detail17trampoline_kernelINS0_14default_configENS1_27scan_by_key_config_selectorIsiEEZZNS1_16scan_by_key_implILNS1_25lookback_scan_determinismE0ELb1ES3_N6thrust23THRUST_200600_302600_NS6detail15normal_iteratorINS9_10device_ptrIsEEEESE_SE_iNS9_4plusIvEENS9_8equal_toIvEEiEE10hipError_tPvRmT2_T3_T4_T5_mT6_T7_P12ihipStream_tbENKUlT_T0_E_clISt17integral_constantIbLb1EESZ_EEDaSU_SV_EUlSU_E_NS1_11comp_targetILNS1_3genE5ELNS1_11target_archE942ELNS1_3gpuE9ELNS1_3repE0EEENS1_30default_config_static_selectorELNS0_4arch9wavefront6targetE0EEEvT1_
    .private_segment_fixed_size: 0
    .sgpr_count:     0
    .sgpr_spill_count: 0
    .symbol:         _ZN7rocprim17ROCPRIM_400000_NS6detail17trampoline_kernelINS0_14default_configENS1_27scan_by_key_config_selectorIsiEEZZNS1_16scan_by_key_implILNS1_25lookback_scan_determinismE0ELb1ES3_N6thrust23THRUST_200600_302600_NS6detail15normal_iteratorINS9_10device_ptrIsEEEESE_SE_iNS9_4plusIvEENS9_8equal_toIvEEiEE10hipError_tPvRmT2_T3_T4_T5_mT6_T7_P12ihipStream_tbENKUlT_T0_E_clISt17integral_constantIbLb1EESZ_EEDaSU_SV_EUlSU_E_NS1_11comp_targetILNS1_3genE5ELNS1_11target_archE942ELNS1_3gpuE9ELNS1_3repE0EEENS1_30default_config_static_selectorELNS0_4arch9wavefront6targetE0EEEvT1_.kd
    .uniform_work_group_size: 1
    .uses_dynamic_stack: false
    .vgpr_count:     0
    .vgpr_spill_count: 0
    .wavefront_size: 32
    .workgroup_processor_mode: 1
  - .args:
      - .offset:         0
        .size:           112
        .value_kind:     by_value
    .group_segment_fixed_size: 0
    .kernarg_segment_align: 8
    .kernarg_segment_size: 112
    .language:       OpenCL C
    .language_version:
      - 2
      - 0
    .max_flat_workgroup_size: 256
    .name:           _ZN7rocprim17ROCPRIM_400000_NS6detail17trampoline_kernelINS0_14default_configENS1_27scan_by_key_config_selectorIsiEEZZNS1_16scan_by_key_implILNS1_25lookback_scan_determinismE0ELb1ES3_N6thrust23THRUST_200600_302600_NS6detail15normal_iteratorINS9_10device_ptrIsEEEESE_SE_iNS9_4plusIvEENS9_8equal_toIvEEiEE10hipError_tPvRmT2_T3_T4_T5_mT6_T7_P12ihipStream_tbENKUlT_T0_E_clISt17integral_constantIbLb1EESZ_EEDaSU_SV_EUlSU_E_NS1_11comp_targetILNS1_3genE4ELNS1_11target_archE910ELNS1_3gpuE8ELNS1_3repE0EEENS1_30default_config_static_selectorELNS0_4arch9wavefront6targetE0EEEvT1_
    .private_segment_fixed_size: 0
    .sgpr_count:     0
    .sgpr_spill_count: 0
    .symbol:         _ZN7rocprim17ROCPRIM_400000_NS6detail17trampoline_kernelINS0_14default_configENS1_27scan_by_key_config_selectorIsiEEZZNS1_16scan_by_key_implILNS1_25lookback_scan_determinismE0ELb1ES3_N6thrust23THRUST_200600_302600_NS6detail15normal_iteratorINS9_10device_ptrIsEEEESE_SE_iNS9_4plusIvEENS9_8equal_toIvEEiEE10hipError_tPvRmT2_T3_T4_T5_mT6_T7_P12ihipStream_tbENKUlT_T0_E_clISt17integral_constantIbLb1EESZ_EEDaSU_SV_EUlSU_E_NS1_11comp_targetILNS1_3genE4ELNS1_11target_archE910ELNS1_3gpuE8ELNS1_3repE0EEENS1_30default_config_static_selectorELNS0_4arch9wavefront6targetE0EEEvT1_.kd
    .uniform_work_group_size: 1
    .uses_dynamic_stack: false
    .vgpr_count:     0
    .vgpr_spill_count: 0
    .wavefront_size: 32
    .workgroup_processor_mode: 1
  - .args:
      - .offset:         0
        .size:           112
        .value_kind:     by_value
    .group_segment_fixed_size: 0
    .kernarg_segment_align: 8
    .kernarg_segment_size: 112
    .language:       OpenCL C
    .language_version:
      - 2
      - 0
    .max_flat_workgroup_size: 256
    .name:           _ZN7rocprim17ROCPRIM_400000_NS6detail17trampoline_kernelINS0_14default_configENS1_27scan_by_key_config_selectorIsiEEZZNS1_16scan_by_key_implILNS1_25lookback_scan_determinismE0ELb1ES3_N6thrust23THRUST_200600_302600_NS6detail15normal_iteratorINS9_10device_ptrIsEEEESE_SE_iNS9_4plusIvEENS9_8equal_toIvEEiEE10hipError_tPvRmT2_T3_T4_T5_mT6_T7_P12ihipStream_tbENKUlT_T0_E_clISt17integral_constantIbLb1EESZ_EEDaSU_SV_EUlSU_E_NS1_11comp_targetILNS1_3genE3ELNS1_11target_archE908ELNS1_3gpuE7ELNS1_3repE0EEENS1_30default_config_static_selectorELNS0_4arch9wavefront6targetE0EEEvT1_
    .private_segment_fixed_size: 0
    .sgpr_count:     0
    .sgpr_spill_count: 0
    .symbol:         _ZN7rocprim17ROCPRIM_400000_NS6detail17trampoline_kernelINS0_14default_configENS1_27scan_by_key_config_selectorIsiEEZZNS1_16scan_by_key_implILNS1_25lookback_scan_determinismE0ELb1ES3_N6thrust23THRUST_200600_302600_NS6detail15normal_iteratorINS9_10device_ptrIsEEEESE_SE_iNS9_4plusIvEENS9_8equal_toIvEEiEE10hipError_tPvRmT2_T3_T4_T5_mT6_T7_P12ihipStream_tbENKUlT_T0_E_clISt17integral_constantIbLb1EESZ_EEDaSU_SV_EUlSU_E_NS1_11comp_targetILNS1_3genE3ELNS1_11target_archE908ELNS1_3gpuE7ELNS1_3repE0EEENS1_30default_config_static_selectorELNS0_4arch9wavefront6targetE0EEEvT1_.kd
    .uniform_work_group_size: 1
    .uses_dynamic_stack: false
    .vgpr_count:     0
    .vgpr_spill_count: 0
    .wavefront_size: 32
    .workgroup_processor_mode: 1
  - .args:
      - .offset:         0
        .size:           112
        .value_kind:     by_value
    .group_segment_fixed_size: 0
    .kernarg_segment_align: 8
    .kernarg_segment_size: 112
    .language:       OpenCL C
    .language_version:
      - 2
      - 0
    .max_flat_workgroup_size: 256
    .name:           _ZN7rocprim17ROCPRIM_400000_NS6detail17trampoline_kernelINS0_14default_configENS1_27scan_by_key_config_selectorIsiEEZZNS1_16scan_by_key_implILNS1_25lookback_scan_determinismE0ELb1ES3_N6thrust23THRUST_200600_302600_NS6detail15normal_iteratorINS9_10device_ptrIsEEEESE_SE_iNS9_4plusIvEENS9_8equal_toIvEEiEE10hipError_tPvRmT2_T3_T4_T5_mT6_T7_P12ihipStream_tbENKUlT_T0_E_clISt17integral_constantIbLb1EESZ_EEDaSU_SV_EUlSU_E_NS1_11comp_targetILNS1_3genE2ELNS1_11target_archE906ELNS1_3gpuE6ELNS1_3repE0EEENS1_30default_config_static_selectorELNS0_4arch9wavefront6targetE0EEEvT1_
    .private_segment_fixed_size: 0
    .sgpr_count:     0
    .sgpr_spill_count: 0
    .symbol:         _ZN7rocprim17ROCPRIM_400000_NS6detail17trampoline_kernelINS0_14default_configENS1_27scan_by_key_config_selectorIsiEEZZNS1_16scan_by_key_implILNS1_25lookback_scan_determinismE0ELb1ES3_N6thrust23THRUST_200600_302600_NS6detail15normal_iteratorINS9_10device_ptrIsEEEESE_SE_iNS9_4plusIvEENS9_8equal_toIvEEiEE10hipError_tPvRmT2_T3_T4_T5_mT6_T7_P12ihipStream_tbENKUlT_T0_E_clISt17integral_constantIbLb1EESZ_EEDaSU_SV_EUlSU_E_NS1_11comp_targetILNS1_3genE2ELNS1_11target_archE906ELNS1_3gpuE6ELNS1_3repE0EEENS1_30default_config_static_selectorELNS0_4arch9wavefront6targetE0EEEvT1_.kd
    .uniform_work_group_size: 1
    .uses_dynamic_stack: false
    .vgpr_count:     0
    .vgpr_spill_count: 0
    .wavefront_size: 32
    .workgroup_processor_mode: 1
  - .args:
      - .offset:         0
        .size:           112
        .value_kind:     by_value
    .group_segment_fixed_size: 0
    .kernarg_segment_align: 8
    .kernarg_segment_size: 112
    .language:       OpenCL C
    .language_version:
      - 2
      - 0
    .max_flat_workgroup_size: 256
    .name:           _ZN7rocprim17ROCPRIM_400000_NS6detail17trampoline_kernelINS0_14default_configENS1_27scan_by_key_config_selectorIsiEEZZNS1_16scan_by_key_implILNS1_25lookback_scan_determinismE0ELb1ES3_N6thrust23THRUST_200600_302600_NS6detail15normal_iteratorINS9_10device_ptrIsEEEESE_SE_iNS9_4plusIvEENS9_8equal_toIvEEiEE10hipError_tPvRmT2_T3_T4_T5_mT6_T7_P12ihipStream_tbENKUlT_T0_E_clISt17integral_constantIbLb1EESZ_EEDaSU_SV_EUlSU_E_NS1_11comp_targetILNS1_3genE10ELNS1_11target_archE1200ELNS1_3gpuE4ELNS1_3repE0EEENS1_30default_config_static_selectorELNS0_4arch9wavefront6targetE0EEEvT1_
    .private_segment_fixed_size: 0
    .sgpr_count:     0
    .sgpr_spill_count: 0
    .symbol:         _ZN7rocprim17ROCPRIM_400000_NS6detail17trampoline_kernelINS0_14default_configENS1_27scan_by_key_config_selectorIsiEEZZNS1_16scan_by_key_implILNS1_25lookback_scan_determinismE0ELb1ES3_N6thrust23THRUST_200600_302600_NS6detail15normal_iteratorINS9_10device_ptrIsEEEESE_SE_iNS9_4plusIvEENS9_8equal_toIvEEiEE10hipError_tPvRmT2_T3_T4_T5_mT6_T7_P12ihipStream_tbENKUlT_T0_E_clISt17integral_constantIbLb1EESZ_EEDaSU_SV_EUlSU_E_NS1_11comp_targetILNS1_3genE10ELNS1_11target_archE1200ELNS1_3gpuE4ELNS1_3repE0EEENS1_30default_config_static_selectorELNS0_4arch9wavefront6targetE0EEEvT1_.kd
    .uniform_work_group_size: 1
    .uses_dynamic_stack: false
    .vgpr_count:     0
    .vgpr_spill_count: 0
    .wavefront_size: 32
    .workgroup_processor_mode: 1
  - .args:
      - .offset:         0
        .size:           112
        .value_kind:     by_value
    .group_segment_fixed_size: 0
    .kernarg_segment_align: 8
    .kernarg_segment_size: 112
    .language:       OpenCL C
    .language_version:
      - 2
      - 0
    .max_flat_workgroup_size: 256
    .name:           _ZN7rocprim17ROCPRIM_400000_NS6detail17trampoline_kernelINS0_14default_configENS1_27scan_by_key_config_selectorIsiEEZZNS1_16scan_by_key_implILNS1_25lookback_scan_determinismE0ELb1ES3_N6thrust23THRUST_200600_302600_NS6detail15normal_iteratorINS9_10device_ptrIsEEEESE_SE_iNS9_4plusIvEENS9_8equal_toIvEEiEE10hipError_tPvRmT2_T3_T4_T5_mT6_T7_P12ihipStream_tbENKUlT_T0_E_clISt17integral_constantIbLb1EESZ_EEDaSU_SV_EUlSU_E_NS1_11comp_targetILNS1_3genE9ELNS1_11target_archE1100ELNS1_3gpuE3ELNS1_3repE0EEENS1_30default_config_static_selectorELNS0_4arch9wavefront6targetE0EEEvT1_
    .private_segment_fixed_size: 0
    .sgpr_count:     0
    .sgpr_spill_count: 0
    .symbol:         _ZN7rocprim17ROCPRIM_400000_NS6detail17trampoline_kernelINS0_14default_configENS1_27scan_by_key_config_selectorIsiEEZZNS1_16scan_by_key_implILNS1_25lookback_scan_determinismE0ELb1ES3_N6thrust23THRUST_200600_302600_NS6detail15normal_iteratorINS9_10device_ptrIsEEEESE_SE_iNS9_4plusIvEENS9_8equal_toIvEEiEE10hipError_tPvRmT2_T3_T4_T5_mT6_T7_P12ihipStream_tbENKUlT_T0_E_clISt17integral_constantIbLb1EESZ_EEDaSU_SV_EUlSU_E_NS1_11comp_targetILNS1_3genE9ELNS1_11target_archE1100ELNS1_3gpuE3ELNS1_3repE0EEENS1_30default_config_static_selectorELNS0_4arch9wavefront6targetE0EEEvT1_.kd
    .uniform_work_group_size: 1
    .uses_dynamic_stack: false
    .vgpr_count:     0
    .vgpr_spill_count: 0
    .wavefront_size: 32
    .workgroup_processor_mode: 1
  - .args:
      - .offset:         0
        .size:           112
        .value_kind:     by_value
    .group_segment_fixed_size: 0
    .kernarg_segment_align: 8
    .kernarg_segment_size: 112
    .language:       OpenCL C
    .language_version:
      - 2
      - 0
    .max_flat_workgroup_size: 64
    .name:           _ZN7rocprim17ROCPRIM_400000_NS6detail17trampoline_kernelINS0_14default_configENS1_27scan_by_key_config_selectorIsiEEZZNS1_16scan_by_key_implILNS1_25lookback_scan_determinismE0ELb1ES3_N6thrust23THRUST_200600_302600_NS6detail15normal_iteratorINS9_10device_ptrIsEEEESE_SE_iNS9_4plusIvEENS9_8equal_toIvEEiEE10hipError_tPvRmT2_T3_T4_T5_mT6_T7_P12ihipStream_tbENKUlT_T0_E_clISt17integral_constantIbLb1EESZ_EEDaSU_SV_EUlSU_E_NS1_11comp_targetILNS1_3genE8ELNS1_11target_archE1030ELNS1_3gpuE2ELNS1_3repE0EEENS1_30default_config_static_selectorELNS0_4arch9wavefront6targetE0EEEvT1_
    .private_segment_fixed_size: 0
    .sgpr_count:     0
    .sgpr_spill_count: 0
    .symbol:         _ZN7rocprim17ROCPRIM_400000_NS6detail17trampoline_kernelINS0_14default_configENS1_27scan_by_key_config_selectorIsiEEZZNS1_16scan_by_key_implILNS1_25lookback_scan_determinismE0ELb1ES3_N6thrust23THRUST_200600_302600_NS6detail15normal_iteratorINS9_10device_ptrIsEEEESE_SE_iNS9_4plusIvEENS9_8equal_toIvEEiEE10hipError_tPvRmT2_T3_T4_T5_mT6_T7_P12ihipStream_tbENKUlT_T0_E_clISt17integral_constantIbLb1EESZ_EEDaSU_SV_EUlSU_E_NS1_11comp_targetILNS1_3genE8ELNS1_11target_archE1030ELNS1_3gpuE2ELNS1_3repE0EEENS1_30default_config_static_selectorELNS0_4arch9wavefront6targetE0EEEvT1_.kd
    .uniform_work_group_size: 1
    .uses_dynamic_stack: false
    .vgpr_count:     0
    .vgpr_spill_count: 0
    .wavefront_size: 32
    .workgroup_processor_mode: 1
  - .args:
      - .address_space:  global
        .offset:         0
        .size:           8
        .value_kind:     global_buffer
      - .offset:         8
        .size:           4
        .value_kind:     by_value
      - .offset:         12
        .size:           4
        .value_kind:     by_value
      - .address_space:  global
        .offset:         16
        .size:           8
        .value_kind:     global_buffer
      - .address_space:  global
        .offset:         24
        .size:           8
        .value_kind:     global_buffer
      - .actual_access:  write_only
        .address_space:  global
        .offset:         32
        .size:           8
        .value_kind:     global_buffer
      - .offset:         40
        .size:           8
        .value_kind:     by_value
      - .offset:         48
        .size:           4
        .value_kind:     by_value
      - .offset:         52
        .size:           1
        .value_kind:     by_value
      - .offset:         56
        .size:           4
        .value_kind:     hidden_block_count_x
      - .offset:         60
        .size:           4
        .value_kind:     hidden_block_count_y
      - .offset:         64
        .size:           4
        .value_kind:     hidden_block_count_z
      - .offset:         68
        .size:           2
        .value_kind:     hidden_group_size_x
      - .offset:         70
        .size:           2
        .value_kind:     hidden_group_size_y
      - .offset:         72
        .size:           2
        .value_kind:     hidden_group_size_z
      - .offset:         74
        .size:           2
        .value_kind:     hidden_remainder_x
      - .offset:         76
        .size:           2
        .value_kind:     hidden_remainder_y
      - .offset:         78
        .size:           2
        .value_kind:     hidden_remainder_z
      - .offset:         96
        .size:           8
        .value_kind:     hidden_global_offset_x
      - .offset:         104
        .size:           8
        .value_kind:     hidden_global_offset_y
      - .offset:         112
        .size:           8
        .value_kind:     hidden_global_offset_z
      - .offset:         120
        .size:           2
        .value_kind:     hidden_grid_dims
    .group_segment_fixed_size: 0
    .kernarg_segment_align: 8
    .kernarg_segment_size: 312
    .language:       OpenCL C
    .language_version:
      - 2
      - 0
    .max_flat_workgroup_size: 256
    .name:           _ZN7rocprim17ROCPRIM_400000_NS6detail30init_device_scan_by_key_kernelINS1_19lookback_scan_stateINS0_5tupleIJibEEELb1ELb1EEEN6thrust23THRUST_200600_302600_NS6detail15normal_iteratorINS8_10device_ptrIsEEEEjNS1_16block_id_wrapperIjLb0EEEEEvT_jjPNSG_10value_typeET0_PNSt15iterator_traitsISJ_E10value_typeEmT1_T2_
    .private_segment_fixed_size: 0
    .sgpr_count:     19
    .sgpr_spill_count: 0
    .symbol:         _ZN7rocprim17ROCPRIM_400000_NS6detail30init_device_scan_by_key_kernelINS1_19lookback_scan_stateINS0_5tupleIJibEEELb1ELb1EEEN6thrust23THRUST_200600_302600_NS6detail15normal_iteratorINS8_10device_ptrIsEEEEjNS1_16block_id_wrapperIjLb0EEEEEvT_jjPNSG_10value_typeET0_PNSt15iterator_traitsISJ_E10value_typeEmT1_T2_.kd
    .uniform_work_group_size: 1
    .uses_dynamic_stack: false
    .vgpr_count:     9
    .vgpr_spill_count: 0
    .wavefront_size: 32
    .workgroup_processor_mode: 1
  - .args:
      - .offset:         0
        .size:           112
        .value_kind:     by_value
    .group_segment_fixed_size: 0
    .kernarg_segment_align: 8
    .kernarg_segment_size: 112
    .language:       OpenCL C
    .language_version:
      - 2
      - 0
    .max_flat_workgroup_size: 256
    .name:           _ZN7rocprim17ROCPRIM_400000_NS6detail17trampoline_kernelINS0_14default_configENS1_27scan_by_key_config_selectorIsiEEZZNS1_16scan_by_key_implILNS1_25lookback_scan_determinismE0ELb1ES3_N6thrust23THRUST_200600_302600_NS6detail15normal_iteratorINS9_10device_ptrIsEEEESE_SE_iNS9_4plusIvEENS9_8equal_toIvEEiEE10hipError_tPvRmT2_T3_T4_T5_mT6_T7_P12ihipStream_tbENKUlT_T0_E_clISt17integral_constantIbLb1EESY_IbLb0EEEEDaSU_SV_EUlSU_E_NS1_11comp_targetILNS1_3genE0ELNS1_11target_archE4294967295ELNS1_3gpuE0ELNS1_3repE0EEENS1_30default_config_static_selectorELNS0_4arch9wavefront6targetE0EEEvT1_
    .private_segment_fixed_size: 0
    .sgpr_count:     0
    .sgpr_spill_count: 0
    .symbol:         _ZN7rocprim17ROCPRIM_400000_NS6detail17trampoline_kernelINS0_14default_configENS1_27scan_by_key_config_selectorIsiEEZZNS1_16scan_by_key_implILNS1_25lookback_scan_determinismE0ELb1ES3_N6thrust23THRUST_200600_302600_NS6detail15normal_iteratorINS9_10device_ptrIsEEEESE_SE_iNS9_4plusIvEENS9_8equal_toIvEEiEE10hipError_tPvRmT2_T3_T4_T5_mT6_T7_P12ihipStream_tbENKUlT_T0_E_clISt17integral_constantIbLb1EESY_IbLb0EEEEDaSU_SV_EUlSU_E_NS1_11comp_targetILNS1_3genE0ELNS1_11target_archE4294967295ELNS1_3gpuE0ELNS1_3repE0EEENS1_30default_config_static_selectorELNS0_4arch9wavefront6targetE0EEEvT1_.kd
    .uniform_work_group_size: 1
    .uses_dynamic_stack: false
    .vgpr_count:     0
    .vgpr_spill_count: 0
    .wavefront_size: 32
    .workgroup_processor_mode: 1
  - .args:
      - .offset:         0
        .size:           112
        .value_kind:     by_value
    .group_segment_fixed_size: 0
    .kernarg_segment_align: 8
    .kernarg_segment_size: 112
    .language:       OpenCL C
    .language_version:
      - 2
      - 0
    .max_flat_workgroup_size: 256
    .name:           _ZN7rocprim17ROCPRIM_400000_NS6detail17trampoline_kernelINS0_14default_configENS1_27scan_by_key_config_selectorIsiEEZZNS1_16scan_by_key_implILNS1_25lookback_scan_determinismE0ELb1ES3_N6thrust23THRUST_200600_302600_NS6detail15normal_iteratorINS9_10device_ptrIsEEEESE_SE_iNS9_4plusIvEENS9_8equal_toIvEEiEE10hipError_tPvRmT2_T3_T4_T5_mT6_T7_P12ihipStream_tbENKUlT_T0_E_clISt17integral_constantIbLb1EESY_IbLb0EEEEDaSU_SV_EUlSU_E_NS1_11comp_targetILNS1_3genE10ELNS1_11target_archE1201ELNS1_3gpuE5ELNS1_3repE0EEENS1_30default_config_static_selectorELNS0_4arch9wavefront6targetE0EEEvT1_
    .private_segment_fixed_size: 0
    .sgpr_count:     0
    .sgpr_spill_count: 0
    .symbol:         _ZN7rocprim17ROCPRIM_400000_NS6detail17trampoline_kernelINS0_14default_configENS1_27scan_by_key_config_selectorIsiEEZZNS1_16scan_by_key_implILNS1_25lookback_scan_determinismE0ELb1ES3_N6thrust23THRUST_200600_302600_NS6detail15normal_iteratorINS9_10device_ptrIsEEEESE_SE_iNS9_4plusIvEENS9_8equal_toIvEEiEE10hipError_tPvRmT2_T3_T4_T5_mT6_T7_P12ihipStream_tbENKUlT_T0_E_clISt17integral_constantIbLb1EESY_IbLb0EEEEDaSU_SV_EUlSU_E_NS1_11comp_targetILNS1_3genE10ELNS1_11target_archE1201ELNS1_3gpuE5ELNS1_3repE0EEENS1_30default_config_static_selectorELNS0_4arch9wavefront6targetE0EEEvT1_.kd
    .uniform_work_group_size: 1
    .uses_dynamic_stack: false
    .vgpr_count:     0
    .vgpr_spill_count: 0
    .wavefront_size: 32
    .workgroup_processor_mode: 1
  - .args:
      - .offset:         0
        .size:           112
        .value_kind:     by_value
    .group_segment_fixed_size: 0
    .kernarg_segment_align: 8
    .kernarg_segment_size: 112
    .language:       OpenCL C
    .language_version:
      - 2
      - 0
    .max_flat_workgroup_size: 256
    .name:           _ZN7rocprim17ROCPRIM_400000_NS6detail17trampoline_kernelINS0_14default_configENS1_27scan_by_key_config_selectorIsiEEZZNS1_16scan_by_key_implILNS1_25lookback_scan_determinismE0ELb1ES3_N6thrust23THRUST_200600_302600_NS6detail15normal_iteratorINS9_10device_ptrIsEEEESE_SE_iNS9_4plusIvEENS9_8equal_toIvEEiEE10hipError_tPvRmT2_T3_T4_T5_mT6_T7_P12ihipStream_tbENKUlT_T0_E_clISt17integral_constantIbLb1EESY_IbLb0EEEEDaSU_SV_EUlSU_E_NS1_11comp_targetILNS1_3genE5ELNS1_11target_archE942ELNS1_3gpuE9ELNS1_3repE0EEENS1_30default_config_static_selectorELNS0_4arch9wavefront6targetE0EEEvT1_
    .private_segment_fixed_size: 0
    .sgpr_count:     0
    .sgpr_spill_count: 0
    .symbol:         _ZN7rocprim17ROCPRIM_400000_NS6detail17trampoline_kernelINS0_14default_configENS1_27scan_by_key_config_selectorIsiEEZZNS1_16scan_by_key_implILNS1_25lookback_scan_determinismE0ELb1ES3_N6thrust23THRUST_200600_302600_NS6detail15normal_iteratorINS9_10device_ptrIsEEEESE_SE_iNS9_4plusIvEENS9_8equal_toIvEEiEE10hipError_tPvRmT2_T3_T4_T5_mT6_T7_P12ihipStream_tbENKUlT_T0_E_clISt17integral_constantIbLb1EESY_IbLb0EEEEDaSU_SV_EUlSU_E_NS1_11comp_targetILNS1_3genE5ELNS1_11target_archE942ELNS1_3gpuE9ELNS1_3repE0EEENS1_30default_config_static_selectorELNS0_4arch9wavefront6targetE0EEEvT1_.kd
    .uniform_work_group_size: 1
    .uses_dynamic_stack: false
    .vgpr_count:     0
    .vgpr_spill_count: 0
    .wavefront_size: 32
    .workgroup_processor_mode: 1
  - .args:
      - .offset:         0
        .size:           112
        .value_kind:     by_value
    .group_segment_fixed_size: 0
    .kernarg_segment_align: 8
    .kernarg_segment_size: 112
    .language:       OpenCL C
    .language_version:
      - 2
      - 0
    .max_flat_workgroup_size: 256
    .name:           _ZN7rocprim17ROCPRIM_400000_NS6detail17trampoline_kernelINS0_14default_configENS1_27scan_by_key_config_selectorIsiEEZZNS1_16scan_by_key_implILNS1_25lookback_scan_determinismE0ELb1ES3_N6thrust23THRUST_200600_302600_NS6detail15normal_iteratorINS9_10device_ptrIsEEEESE_SE_iNS9_4plusIvEENS9_8equal_toIvEEiEE10hipError_tPvRmT2_T3_T4_T5_mT6_T7_P12ihipStream_tbENKUlT_T0_E_clISt17integral_constantIbLb1EESY_IbLb0EEEEDaSU_SV_EUlSU_E_NS1_11comp_targetILNS1_3genE4ELNS1_11target_archE910ELNS1_3gpuE8ELNS1_3repE0EEENS1_30default_config_static_selectorELNS0_4arch9wavefront6targetE0EEEvT1_
    .private_segment_fixed_size: 0
    .sgpr_count:     0
    .sgpr_spill_count: 0
    .symbol:         _ZN7rocprim17ROCPRIM_400000_NS6detail17trampoline_kernelINS0_14default_configENS1_27scan_by_key_config_selectorIsiEEZZNS1_16scan_by_key_implILNS1_25lookback_scan_determinismE0ELb1ES3_N6thrust23THRUST_200600_302600_NS6detail15normal_iteratorINS9_10device_ptrIsEEEESE_SE_iNS9_4plusIvEENS9_8equal_toIvEEiEE10hipError_tPvRmT2_T3_T4_T5_mT6_T7_P12ihipStream_tbENKUlT_T0_E_clISt17integral_constantIbLb1EESY_IbLb0EEEEDaSU_SV_EUlSU_E_NS1_11comp_targetILNS1_3genE4ELNS1_11target_archE910ELNS1_3gpuE8ELNS1_3repE0EEENS1_30default_config_static_selectorELNS0_4arch9wavefront6targetE0EEEvT1_.kd
    .uniform_work_group_size: 1
    .uses_dynamic_stack: false
    .vgpr_count:     0
    .vgpr_spill_count: 0
    .wavefront_size: 32
    .workgroup_processor_mode: 1
  - .args:
      - .offset:         0
        .size:           112
        .value_kind:     by_value
    .group_segment_fixed_size: 0
    .kernarg_segment_align: 8
    .kernarg_segment_size: 112
    .language:       OpenCL C
    .language_version:
      - 2
      - 0
    .max_flat_workgroup_size: 256
    .name:           _ZN7rocprim17ROCPRIM_400000_NS6detail17trampoline_kernelINS0_14default_configENS1_27scan_by_key_config_selectorIsiEEZZNS1_16scan_by_key_implILNS1_25lookback_scan_determinismE0ELb1ES3_N6thrust23THRUST_200600_302600_NS6detail15normal_iteratorINS9_10device_ptrIsEEEESE_SE_iNS9_4plusIvEENS9_8equal_toIvEEiEE10hipError_tPvRmT2_T3_T4_T5_mT6_T7_P12ihipStream_tbENKUlT_T0_E_clISt17integral_constantIbLb1EESY_IbLb0EEEEDaSU_SV_EUlSU_E_NS1_11comp_targetILNS1_3genE3ELNS1_11target_archE908ELNS1_3gpuE7ELNS1_3repE0EEENS1_30default_config_static_selectorELNS0_4arch9wavefront6targetE0EEEvT1_
    .private_segment_fixed_size: 0
    .sgpr_count:     0
    .sgpr_spill_count: 0
    .symbol:         _ZN7rocprim17ROCPRIM_400000_NS6detail17trampoline_kernelINS0_14default_configENS1_27scan_by_key_config_selectorIsiEEZZNS1_16scan_by_key_implILNS1_25lookback_scan_determinismE0ELb1ES3_N6thrust23THRUST_200600_302600_NS6detail15normal_iteratorINS9_10device_ptrIsEEEESE_SE_iNS9_4plusIvEENS9_8equal_toIvEEiEE10hipError_tPvRmT2_T3_T4_T5_mT6_T7_P12ihipStream_tbENKUlT_T0_E_clISt17integral_constantIbLb1EESY_IbLb0EEEEDaSU_SV_EUlSU_E_NS1_11comp_targetILNS1_3genE3ELNS1_11target_archE908ELNS1_3gpuE7ELNS1_3repE0EEENS1_30default_config_static_selectorELNS0_4arch9wavefront6targetE0EEEvT1_.kd
    .uniform_work_group_size: 1
    .uses_dynamic_stack: false
    .vgpr_count:     0
    .vgpr_spill_count: 0
    .wavefront_size: 32
    .workgroup_processor_mode: 1
  - .args:
      - .offset:         0
        .size:           112
        .value_kind:     by_value
    .group_segment_fixed_size: 0
    .kernarg_segment_align: 8
    .kernarg_segment_size: 112
    .language:       OpenCL C
    .language_version:
      - 2
      - 0
    .max_flat_workgroup_size: 256
    .name:           _ZN7rocprim17ROCPRIM_400000_NS6detail17trampoline_kernelINS0_14default_configENS1_27scan_by_key_config_selectorIsiEEZZNS1_16scan_by_key_implILNS1_25lookback_scan_determinismE0ELb1ES3_N6thrust23THRUST_200600_302600_NS6detail15normal_iteratorINS9_10device_ptrIsEEEESE_SE_iNS9_4plusIvEENS9_8equal_toIvEEiEE10hipError_tPvRmT2_T3_T4_T5_mT6_T7_P12ihipStream_tbENKUlT_T0_E_clISt17integral_constantIbLb1EESY_IbLb0EEEEDaSU_SV_EUlSU_E_NS1_11comp_targetILNS1_3genE2ELNS1_11target_archE906ELNS1_3gpuE6ELNS1_3repE0EEENS1_30default_config_static_selectorELNS0_4arch9wavefront6targetE0EEEvT1_
    .private_segment_fixed_size: 0
    .sgpr_count:     0
    .sgpr_spill_count: 0
    .symbol:         _ZN7rocprim17ROCPRIM_400000_NS6detail17trampoline_kernelINS0_14default_configENS1_27scan_by_key_config_selectorIsiEEZZNS1_16scan_by_key_implILNS1_25lookback_scan_determinismE0ELb1ES3_N6thrust23THRUST_200600_302600_NS6detail15normal_iteratorINS9_10device_ptrIsEEEESE_SE_iNS9_4plusIvEENS9_8equal_toIvEEiEE10hipError_tPvRmT2_T3_T4_T5_mT6_T7_P12ihipStream_tbENKUlT_T0_E_clISt17integral_constantIbLb1EESY_IbLb0EEEEDaSU_SV_EUlSU_E_NS1_11comp_targetILNS1_3genE2ELNS1_11target_archE906ELNS1_3gpuE6ELNS1_3repE0EEENS1_30default_config_static_selectorELNS0_4arch9wavefront6targetE0EEEvT1_.kd
    .uniform_work_group_size: 1
    .uses_dynamic_stack: false
    .vgpr_count:     0
    .vgpr_spill_count: 0
    .wavefront_size: 32
    .workgroup_processor_mode: 1
  - .args:
      - .offset:         0
        .size:           112
        .value_kind:     by_value
    .group_segment_fixed_size: 0
    .kernarg_segment_align: 8
    .kernarg_segment_size: 112
    .language:       OpenCL C
    .language_version:
      - 2
      - 0
    .max_flat_workgroup_size: 256
    .name:           _ZN7rocprim17ROCPRIM_400000_NS6detail17trampoline_kernelINS0_14default_configENS1_27scan_by_key_config_selectorIsiEEZZNS1_16scan_by_key_implILNS1_25lookback_scan_determinismE0ELb1ES3_N6thrust23THRUST_200600_302600_NS6detail15normal_iteratorINS9_10device_ptrIsEEEESE_SE_iNS9_4plusIvEENS9_8equal_toIvEEiEE10hipError_tPvRmT2_T3_T4_T5_mT6_T7_P12ihipStream_tbENKUlT_T0_E_clISt17integral_constantIbLb1EESY_IbLb0EEEEDaSU_SV_EUlSU_E_NS1_11comp_targetILNS1_3genE10ELNS1_11target_archE1200ELNS1_3gpuE4ELNS1_3repE0EEENS1_30default_config_static_selectorELNS0_4arch9wavefront6targetE0EEEvT1_
    .private_segment_fixed_size: 0
    .sgpr_count:     0
    .sgpr_spill_count: 0
    .symbol:         _ZN7rocprim17ROCPRIM_400000_NS6detail17trampoline_kernelINS0_14default_configENS1_27scan_by_key_config_selectorIsiEEZZNS1_16scan_by_key_implILNS1_25lookback_scan_determinismE0ELb1ES3_N6thrust23THRUST_200600_302600_NS6detail15normal_iteratorINS9_10device_ptrIsEEEESE_SE_iNS9_4plusIvEENS9_8equal_toIvEEiEE10hipError_tPvRmT2_T3_T4_T5_mT6_T7_P12ihipStream_tbENKUlT_T0_E_clISt17integral_constantIbLb1EESY_IbLb0EEEEDaSU_SV_EUlSU_E_NS1_11comp_targetILNS1_3genE10ELNS1_11target_archE1200ELNS1_3gpuE4ELNS1_3repE0EEENS1_30default_config_static_selectorELNS0_4arch9wavefront6targetE0EEEvT1_.kd
    .uniform_work_group_size: 1
    .uses_dynamic_stack: false
    .vgpr_count:     0
    .vgpr_spill_count: 0
    .wavefront_size: 32
    .workgroup_processor_mode: 1
  - .args:
      - .offset:         0
        .size:           112
        .value_kind:     by_value
    .group_segment_fixed_size: 0
    .kernarg_segment_align: 8
    .kernarg_segment_size: 112
    .language:       OpenCL C
    .language_version:
      - 2
      - 0
    .max_flat_workgroup_size: 256
    .name:           _ZN7rocprim17ROCPRIM_400000_NS6detail17trampoline_kernelINS0_14default_configENS1_27scan_by_key_config_selectorIsiEEZZNS1_16scan_by_key_implILNS1_25lookback_scan_determinismE0ELb1ES3_N6thrust23THRUST_200600_302600_NS6detail15normal_iteratorINS9_10device_ptrIsEEEESE_SE_iNS9_4plusIvEENS9_8equal_toIvEEiEE10hipError_tPvRmT2_T3_T4_T5_mT6_T7_P12ihipStream_tbENKUlT_T0_E_clISt17integral_constantIbLb1EESY_IbLb0EEEEDaSU_SV_EUlSU_E_NS1_11comp_targetILNS1_3genE9ELNS1_11target_archE1100ELNS1_3gpuE3ELNS1_3repE0EEENS1_30default_config_static_selectorELNS0_4arch9wavefront6targetE0EEEvT1_
    .private_segment_fixed_size: 0
    .sgpr_count:     0
    .sgpr_spill_count: 0
    .symbol:         _ZN7rocprim17ROCPRIM_400000_NS6detail17trampoline_kernelINS0_14default_configENS1_27scan_by_key_config_selectorIsiEEZZNS1_16scan_by_key_implILNS1_25lookback_scan_determinismE0ELb1ES3_N6thrust23THRUST_200600_302600_NS6detail15normal_iteratorINS9_10device_ptrIsEEEESE_SE_iNS9_4plusIvEENS9_8equal_toIvEEiEE10hipError_tPvRmT2_T3_T4_T5_mT6_T7_P12ihipStream_tbENKUlT_T0_E_clISt17integral_constantIbLb1EESY_IbLb0EEEEDaSU_SV_EUlSU_E_NS1_11comp_targetILNS1_3genE9ELNS1_11target_archE1100ELNS1_3gpuE3ELNS1_3repE0EEENS1_30default_config_static_selectorELNS0_4arch9wavefront6targetE0EEEvT1_.kd
    .uniform_work_group_size: 1
    .uses_dynamic_stack: false
    .vgpr_count:     0
    .vgpr_spill_count: 0
    .wavefront_size: 32
    .workgroup_processor_mode: 1
  - .args:
      - .offset:         0
        .size:           112
        .value_kind:     by_value
    .group_segment_fixed_size: 0
    .kernarg_segment_align: 8
    .kernarg_segment_size: 112
    .language:       OpenCL C
    .language_version:
      - 2
      - 0
    .max_flat_workgroup_size: 64
    .name:           _ZN7rocprim17ROCPRIM_400000_NS6detail17trampoline_kernelINS0_14default_configENS1_27scan_by_key_config_selectorIsiEEZZNS1_16scan_by_key_implILNS1_25lookback_scan_determinismE0ELb1ES3_N6thrust23THRUST_200600_302600_NS6detail15normal_iteratorINS9_10device_ptrIsEEEESE_SE_iNS9_4plusIvEENS9_8equal_toIvEEiEE10hipError_tPvRmT2_T3_T4_T5_mT6_T7_P12ihipStream_tbENKUlT_T0_E_clISt17integral_constantIbLb1EESY_IbLb0EEEEDaSU_SV_EUlSU_E_NS1_11comp_targetILNS1_3genE8ELNS1_11target_archE1030ELNS1_3gpuE2ELNS1_3repE0EEENS1_30default_config_static_selectorELNS0_4arch9wavefront6targetE0EEEvT1_
    .private_segment_fixed_size: 0
    .sgpr_count:     0
    .sgpr_spill_count: 0
    .symbol:         _ZN7rocprim17ROCPRIM_400000_NS6detail17trampoline_kernelINS0_14default_configENS1_27scan_by_key_config_selectorIsiEEZZNS1_16scan_by_key_implILNS1_25lookback_scan_determinismE0ELb1ES3_N6thrust23THRUST_200600_302600_NS6detail15normal_iteratorINS9_10device_ptrIsEEEESE_SE_iNS9_4plusIvEENS9_8equal_toIvEEiEE10hipError_tPvRmT2_T3_T4_T5_mT6_T7_P12ihipStream_tbENKUlT_T0_E_clISt17integral_constantIbLb1EESY_IbLb0EEEEDaSU_SV_EUlSU_E_NS1_11comp_targetILNS1_3genE8ELNS1_11target_archE1030ELNS1_3gpuE2ELNS1_3repE0EEENS1_30default_config_static_selectorELNS0_4arch9wavefront6targetE0EEEvT1_.kd
    .uniform_work_group_size: 1
    .uses_dynamic_stack: false
    .vgpr_count:     0
    .vgpr_spill_count: 0
    .wavefront_size: 32
    .workgroup_processor_mode: 1
  - .args:
      - .address_space:  global
        .offset:         0
        .size:           8
        .value_kind:     global_buffer
      - .offset:         8
        .size:           4
        .value_kind:     by_value
      - .offset:         12
        .size:           4
        .value_kind:     by_value
      - .address_space:  global
        .offset:         16
        .size:           8
        .value_kind:     global_buffer
      - .address_space:  global
        .offset:         24
        .size:           8
        .value_kind:     global_buffer
      - .actual_access:  write_only
        .address_space:  global
        .offset:         32
        .size:           8
        .value_kind:     global_buffer
      - .offset:         40
        .size:           8
        .value_kind:     by_value
      - .offset:         48
        .size:           4
        .value_kind:     by_value
      - .address_space:  global
        .offset:         56
        .size:           8
        .value_kind:     global_buffer
      - .offset:         64
        .size:           4
        .value_kind:     hidden_block_count_x
      - .offset:         68
        .size:           4
        .value_kind:     hidden_block_count_y
      - .offset:         72
        .size:           4
        .value_kind:     hidden_block_count_z
      - .offset:         76
        .size:           2
        .value_kind:     hidden_group_size_x
      - .offset:         78
        .size:           2
        .value_kind:     hidden_group_size_y
      - .offset:         80
        .size:           2
        .value_kind:     hidden_group_size_z
      - .offset:         82
        .size:           2
        .value_kind:     hidden_remainder_x
      - .offset:         84
        .size:           2
        .value_kind:     hidden_remainder_y
      - .offset:         86
        .size:           2
        .value_kind:     hidden_remainder_z
      - .offset:         104
        .size:           8
        .value_kind:     hidden_global_offset_x
      - .offset:         112
        .size:           8
        .value_kind:     hidden_global_offset_y
      - .offset:         120
        .size:           8
        .value_kind:     hidden_global_offset_z
      - .offset:         128
        .size:           2
        .value_kind:     hidden_grid_dims
    .group_segment_fixed_size: 0
    .kernarg_segment_align: 8
    .kernarg_segment_size: 320
    .language:       OpenCL C
    .language_version:
      - 2
      - 0
    .max_flat_workgroup_size: 256
    .name:           _ZN7rocprim17ROCPRIM_400000_NS6detail30init_device_scan_by_key_kernelINS1_19lookback_scan_stateINS0_5tupleIJibEEELb0ELb1EEEN6thrust23THRUST_200600_302600_NS6detail15normal_iteratorINS8_10device_ptrIsEEEEjNS1_16block_id_wrapperIjLb1EEEEEvT_jjPNSG_10value_typeET0_PNSt15iterator_traitsISJ_E10value_typeEmT1_T2_
    .private_segment_fixed_size: 0
    .sgpr_count:     19
    .sgpr_spill_count: 0
    .symbol:         _ZN7rocprim17ROCPRIM_400000_NS6detail30init_device_scan_by_key_kernelINS1_19lookback_scan_stateINS0_5tupleIJibEEELb0ELb1EEEN6thrust23THRUST_200600_302600_NS6detail15normal_iteratorINS8_10device_ptrIsEEEEjNS1_16block_id_wrapperIjLb1EEEEEvT_jjPNSG_10value_typeET0_PNSt15iterator_traitsISJ_E10value_typeEmT1_T2_.kd
    .uniform_work_group_size: 1
    .uses_dynamic_stack: false
    .vgpr_count:     9
    .vgpr_spill_count: 0
    .wavefront_size: 32
    .workgroup_processor_mode: 1
  - .args:
      - .offset:         0
        .size:           112
        .value_kind:     by_value
    .group_segment_fixed_size: 0
    .kernarg_segment_align: 8
    .kernarg_segment_size: 112
    .language:       OpenCL C
    .language_version:
      - 2
      - 0
    .max_flat_workgroup_size: 256
    .name:           _ZN7rocprim17ROCPRIM_400000_NS6detail17trampoline_kernelINS0_14default_configENS1_27scan_by_key_config_selectorIsiEEZZNS1_16scan_by_key_implILNS1_25lookback_scan_determinismE0ELb1ES3_N6thrust23THRUST_200600_302600_NS6detail15normal_iteratorINS9_10device_ptrIsEEEESE_SE_iNS9_4plusIvEENS9_8equal_toIvEEiEE10hipError_tPvRmT2_T3_T4_T5_mT6_T7_P12ihipStream_tbENKUlT_T0_E_clISt17integral_constantIbLb0EESY_IbLb1EEEEDaSU_SV_EUlSU_E_NS1_11comp_targetILNS1_3genE0ELNS1_11target_archE4294967295ELNS1_3gpuE0ELNS1_3repE0EEENS1_30default_config_static_selectorELNS0_4arch9wavefront6targetE0EEEvT1_
    .private_segment_fixed_size: 0
    .sgpr_count:     0
    .sgpr_spill_count: 0
    .symbol:         _ZN7rocprim17ROCPRIM_400000_NS6detail17trampoline_kernelINS0_14default_configENS1_27scan_by_key_config_selectorIsiEEZZNS1_16scan_by_key_implILNS1_25lookback_scan_determinismE0ELb1ES3_N6thrust23THRUST_200600_302600_NS6detail15normal_iteratorINS9_10device_ptrIsEEEESE_SE_iNS9_4plusIvEENS9_8equal_toIvEEiEE10hipError_tPvRmT2_T3_T4_T5_mT6_T7_P12ihipStream_tbENKUlT_T0_E_clISt17integral_constantIbLb0EESY_IbLb1EEEEDaSU_SV_EUlSU_E_NS1_11comp_targetILNS1_3genE0ELNS1_11target_archE4294967295ELNS1_3gpuE0ELNS1_3repE0EEENS1_30default_config_static_selectorELNS0_4arch9wavefront6targetE0EEEvT1_.kd
    .uniform_work_group_size: 1
    .uses_dynamic_stack: false
    .vgpr_count:     0
    .vgpr_spill_count: 0
    .wavefront_size: 32
    .workgroup_processor_mode: 1
  - .args:
      - .offset:         0
        .size:           112
        .value_kind:     by_value
    .group_segment_fixed_size: 0
    .kernarg_segment_align: 8
    .kernarg_segment_size: 112
    .language:       OpenCL C
    .language_version:
      - 2
      - 0
    .max_flat_workgroup_size: 256
    .name:           _ZN7rocprim17ROCPRIM_400000_NS6detail17trampoline_kernelINS0_14default_configENS1_27scan_by_key_config_selectorIsiEEZZNS1_16scan_by_key_implILNS1_25lookback_scan_determinismE0ELb1ES3_N6thrust23THRUST_200600_302600_NS6detail15normal_iteratorINS9_10device_ptrIsEEEESE_SE_iNS9_4plusIvEENS9_8equal_toIvEEiEE10hipError_tPvRmT2_T3_T4_T5_mT6_T7_P12ihipStream_tbENKUlT_T0_E_clISt17integral_constantIbLb0EESY_IbLb1EEEEDaSU_SV_EUlSU_E_NS1_11comp_targetILNS1_3genE10ELNS1_11target_archE1201ELNS1_3gpuE5ELNS1_3repE0EEENS1_30default_config_static_selectorELNS0_4arch9wavefront6targetE0EEEvT1_
    .private_segment_fixed_size: 0
    .sgpr_count:     0
    .sgpr_spill_count: 0
    .symbol:         _ZN7rocprim17ROCPRIM_400000_NS6detail17trampoline_kernelINS0_14default_configENS1_27scan_by_key_config_selectorIsiEEZZNS1_16scan_by_key_implILNS1_25lookback_scan_determinismE0ELb1ES3_N6thrust23THRUST_200600_302600_NS6detail15normal_iteratorINS9_10device_ptrIsEEEESE_SE_iNS9_4plusIvEENS9_8equal_toIvEEiEE10hipError_tPvRmT2_T3_T4_T5_mT6_T7_P12ihipStream_tbENKUlT_T0_E_clISt17integral_constantIbLb0EESY_IbLb1EEEEDaSU_SV_EUlSU_E_NS1_11comp_targetILNS1_3genE10ELNS1_11target_archE1201ELNS1_3gpuE5ELNS1_3repE0EEENS1_30default_config_static_selectorELNS0_4arch9wavefront6targetE0EEEvT1_.kd
    .uniform_work_group_size: 1
    .uses_dynamic_stack: false
    .vgpr_count:     0
    .vgpr_spill_count: 0
    .wavefront_size: 32
    .workgroup_processor_mode: 1
  - .args:
      - .offset:         0
        .size:           112
        .value_kind:     by_value
    .group_segment_fixed_size: 0
    .kernarg_segment_align: 8
    .kernarg_segment_size: 112
    .language:       OpenCL C
    .language_version:
      - 2
      - 0
    .max_flat_workgroup_size: 256
    .name:           _ZN7rocprim17ROCPRIM_400000_NS6detail17trampoline_kernelINS0_14default_configENS1_27scan_by_key_config_selectorIsiEEZZNS1_16scan_by_key_implILNS1_25lookback_scan_determinismE0ELb1ES3_N6thrust23THRUST_200600_302600_NS6detail15normal_iteratorINS9_10device_ptrIsEEEESE_SE_iNS9_4plusIvEENS9_8equal_toIvEEiEE10hipError_tPvRmT2_T3_T4_T5_mT6_T7_P12ihipStream_tbENKUlT_T0_E_clISt17integral_constantIbLb0EESY_IbLb1EEEEDaSU_SV_EUlSU_E_NS1_11comp_targetILNS1_3genE5ELNS1_11target_archE942ELNS1_3gpuE9ELNS1_3repE0EEENS1_30default_config_static_selectorELNS0_4arch9wavefront6targetE0EEEvT1_
    .private_segment_fixed_size: 0
    .sgpr_count:     0
    .sgpr_spill_count: 0
    .symbol:         _ZN7rocprim17ROCPRIM_400000_NS6detail17trampoline_kernelINS0_14default_configENS1_27scan_by_key_config_selectorIsiEEZZNS1_16scan_by_key_implILNS1_25lookback_scan_determinismE0ELb1ES3_N6thrust23THRUST_200600_302600_NS6detail15normal_iteratorINS9_10device_ptrIsEEEESE_SE_iNS9_4plusIvEENS9_8equal_toIvEEiEE10hipError_tPvRmT2_T3_T4_T5_mT6_T7_P12ihipStream_tbENKUlT_T0_E_clISt17integral_constantIbLb0EESY_IbLb1EEEEDaSU_SV_EUlSU_E_NS1_11comp_targetILNS1_3genE5ELNS1_11target_archE942ELNS1_3gpuE9ELNS1_3repE0EEENS1_30default_config_static_selectorELNS0_4arch9wavefront6targetE0EEEvT1_.kd
    .uniform_work_group_size: 1
    .uses_dynamic_stack: false
    .vgpr_count:     0
    .vgpr_spill_count: 0
    .wavefront_size: 32
    .workgroup_processor_mode: 1
  - .args:
      - .offset:         0
        .size:           112
        .value_kind:     by_value
    .group_segment_fixed_size: 0
    .kernarg_segment_align: 8
    .kernarg_segment_size: 112
    .language:       OpenCL C
    .language_version:
      - 2
      - 0
    .max_flat_workgroup_size: 256
    .name:           _ZN7rocprim17ROCPRIM_400000_NS6detail17trampoline_kernelINS0_14default_configENS1_27scan_by_key_config_selectorIsiEEZZNS1_16scan_by_key_implILNS1_25lookback_scan_determinismE0ELb1ES3_N6thrust23THRUST_200600_302600_NS6detail15normal_iteratorINS9_10device_ptrIsEEEESE_SE_iNS9_4plusIvEENS9_8equal_toIvEEiEE10hipError_tPvRmT2_T3_T4_T5_mT6_T7_P12ihipStream_tbENKUlT_T0_E_clISt17integral_constantIbLb0EESY_IbLb1EEEEDaSU_SV_EUlSU_E_NS1_11comp_targetILNS1_3genE4ELNS1_11target_archE910ELNS1_3gpuE8ELNS1_3repE0EEENS1_30default_config_static_selectorELNS0_4arch9wavefront6targetE0EEEvT1_
    .private_segment_fixed_size: 0
    .sgpr_count:     0
    .sgpr_spill_count: 0
    .symbol:         _ZN7rocprim17ROCPRIM_400000_NS6detail17trampoline_kernelINS0_14default_configENS1_27scan_by_key_config_selectorIsiEEZZNS1_16scan_by_key_implILNS1_25lookback_scan_determinismE0ELb1ES3_N6thrust23THRUST_200600_302600_NS6detail15normal_iteratorINS9_10device_ptrIsEEEESE_SE_iNS9_4plusIvEENS9_8equal_toIvEEiEE10hipError_tPvRmT2_T3_T4_T5_mT6_T7_P12ihipStream_tbENKUlT_T0_E_clISt17integral_constantIbLb0EESY_IbLb1EEEEDaSU_SV_EUlSU_E_NS1_11comp_targetILNS1_3genE4ELNS1_11target_archE910ELNS1_3gpuE8ELNS1_3repE0EEENS1_30default_config_static_selectorELNS0_4arch9wavefront6targetE0EEEvT1_.kd
    .uniform_work_group_size: 1
    .uses_dynamic_stack: false
    .vgpr_count:     0
    .vgpr_spill_count: 0
    .wavefront_size: 32
    .workgroup_processor_mode: 1
  - .args:
      - .offset:         0
        .size:           112
        .value_kind:     by_value
    .group_segment_fixed_size: 0
    .kernarg_segment_align: 8
    .kernarg_segment_size: 112
    .language:       OpenCL C
    .language_version:
      - 2
      - 0
    .max_flat_workgroup_size: 256
    .name:           _ZN7rocprim17ROCPRIM_400000_NS6detail17trampoline_kernelINS0_14default_configENS1_27scan_by_key_config_selectorIsiEEZZNS1_16scan_by_key_implILNS1_25lookback_scan_determinismE0ELb1ES3_N6thrust23THRUST_200600_302600_NS6detail15normal_iteratorINS9_10device_ptrIsEEEESE_SE_iNS9_4plusIvEENS9_8equal_toIvEEiEE10hipError_tPvRmT2_T3_T4_T5_mT6_T7_P12ihipStream_tbENKUlT_T0_E_clISt17integral_constantIbLb0EESY_IbLb1EEEEDaSU_SV_EUlSU_E_NS1_11comp_targetILNS1_3genE3ELNS1_11target_archE908ELNS1_3gpuE7ELNS1_3repE0EEENS1_30default_config_static_selectorELNS0_4arch9wavefront6targetE0EEEvT1_
    .private_segment_fixed_size: 0
    .sgpr_count:     0
    .sgpr_spill_count: 0
    .symbol:         _ZN7rocprim17ROCPRIM_400000_NS6detail17trampoline_kernelINS0_14default_configENS1_27scan_by_key_config_selectorIsiEEZZNS1_16scan_by_key_implILNS1_25lookback_scan_determinismE0ELb1ES3_N6thrust23THRUST_200600_302600_NS6detail15normal_iteratorINS9_10device_ptrIsEEEESE_SE_iNS9_4plusIvEENS9_8equal_toIvEEiEE10hipError_tPvRmT2_T3_T4_T5_mT6_T7_P12ihipStream_tbENKUlT_T0_E_clISt17integral_constantIbLb0EESY_IbLb1EEEEDaSU_SV_EUlSU_E_NS1_11comp_targetILNS1_3genE3ELNS1_11target_archE908ELNS1_3gpuE7ELNS1_3repE0EEENS1_30default_config_static_selectorELNS0_4arch9wavefront6targetE0EEEvT1_.kd
    .uniform_work_group_size: 1
    .uses_dynamic_stack: false
    .vgpr_count:     0
    .vgpr_spill_count: 0
    .wavefront_size: 32
    .workgroup_processor_mode: 1
  - .args:
      - .offset:         0
        .size:           112
        .value_kind:     by_value
    .group_segment_fixed_size: 0
    .kernarg_segment_align: 8
    .kernarg_segment_size: 112
    .language:       OpenCL C
    .language_version:
      - 2
      - 0
    .max_flat_workgroup_size: 256
    .name:           _ZN7rocprim17ROCPRIM_400000_NS6detail17trampoline_kernelINS0_14default_configENS1_27scan_by_key_config_selectorIsiEEZZNS1_16scan_by_key_implILNS1_25lookback_scan_determinismE0ELb1ES3_N6thrust23THRUST_200600_302600_NS6detail15normal_iteratorINS9_10device_ptrIsEEEESE_SE_iNS9_4plusIvEENS9_8equal_toIvEEiEE10hipError_tPvRmT2_T3_T4_T5_mT6_T7_P12ihipStream_tbENKUlT_T0_E_clISt17integral_constantIbLb0EESY_IbLb1EEEEDaSU_SV_EUlSU_E_NS1_11comp_targetILNS1_3genE2ELNS1_11target_archE906ELNS1_3gpuE6ELNS1_3repE0EEENS1_30default_config_static_selectorELNS0_4arch9wavefront6targetE0EEEvT1_
    .private_segment_fixed_size: 0
    .sgpr_count:     0
    .sgpr_spill_count: 0
    .symbol:         _ZN7rocprim17ROCPRIM_400000_NS6detail17trampoline_kernelINS0_14default_configENS1_27scan_by_key_config_selectorIsiEEZZNS1_16scan_by_key_implILNS1_25lookback_scan_determinismE0ELb1ES3_N6thrust23THRUST_200600_302600_NS6detail15normal_iteratorINS9_10device_ptrIsEEEESE_SE_iNS9_4plusIvEENS9_8equal_toIvEEiEE10hipError_tPvRmT2_T3_T4_T5_mT6_T7_P12ihipStream_tbENKUlT_T0_E_clISt17integral_constantIbLb0EESY_IbLb1EEEEDaSU_SV_EUlSU_E_NS1_11comp_targetILNS1_3genE2ELNS1_11target_archE906ELNS1_3gpuE6ELNS1_3repE0EEENS1_30default_config_static_selectorELNS0_4arch9wavefront6targetE0EEEvT1_.kd
    .uniform_work_group_size: 1
    .uses_dynamic_stack: false
    .vgpr_count:     0
    .vgpr_spill_count: 0
    .wavefront_size: 32
    .workgroup_processor_mode: 1
  - .args:
      - .offset:         0
        .size:           112
        .value_kind:     by_value
    .group_segment_fixed_size: 0
    .kernarg_segment_align: 8
    .kernarg_segment_size: 112
    .language:       OpenCL C
    .language_version:
      - 2
      - 0
    .max_flat_workgroup_size: 256
    .name:           _ZN7rocprim17ROCPRIM_400000_NS6detail17trampoline_kernelINS0_14default_configENS1_27scan_by_key_config_selectorIsiEEZZNS1_16scan_by_key_implILNS1_25lookback_scan_determinismE0ELb1ES3_N6thrust23THRUST_200600_302600_NS6detail15normal_iteratorINS9_10device_ptrIsEEEESE_SE_iNS9_4plusIvEENS9_8equal_toIvEEiEE10hipError_tPvRmT2_T3_T4_T5_mT6_T7_P12ihipStream_tbENKUlT_T0_E_clISt17integral_constantIbLb0EESY_IbLb1EEEEDaSU_SV_EUlSU_E_NS1_11comp_targetILNS1_3genE10ELNS1_11target_archE1200ELNS1_3gpuE4ELNS1_3repE0EEENS1_30default_config_static_selectorELNS0_4arch9wavefront6targetE0EEEvT1_
    .private_segment_fixed_size: 0
    .sgpr_count:     0
    .sgpr_spill_count: 0
    .symbol:         _ZN7rocprim17ROCPRIM_400000_NS6detail17trampoline_kernelINS0_14default_configENS1_27scan_by_key_config_selectorIsiEEZZNS1_16scan_by_key_implILNS1_25lookback_scan_determinismE0ELb1ES3_N6thrust23THRUST_200600_302600_NS6detail15normal_iteratorINS9_10device_ptrIsEEEESE_SE_iNS9_4plusIvEENS9_8equal_toIvEEiEE10hipError_tPvRmT2_T3_T4_T5_mT6_T7_P12ihipStream_tbENKUlT_T0_E_clISt17integral_constantIbLb0EESY_IbLb1EEEEDaSU_SV_EUlSU_E_NS1_11comp_targetILNS1_3genE10ELNS1_11target_archE1200ELNS1_3gpuE4ELNS1_3repE0EEENS1_30default_config_static_selectorELNS0_4arch9wavefront6targetE0EEEvT1_.kd
    .uniform_work_group_size: 1
    .uses_dynamic_stack: false
    .vgpr_count:     0
    .vgpr_spill_count: 0
    .wavefront_size: 32
    .workgroup_processor_mode: 1
  - .args:
      - .offset:         0
        .size:           112
        .value_kind:     by_value
    .group_segment_fixed_size: 0
    .kernarg_segment_align: 8
    .kernarg_segment_size: 112
    .language:       OpenCL C
    .language_version:
      - 2
      - 0
    .max_flat_workgroup_size: 256
    .name:           _ZN7rocprim17ROCPRIM_400000_NS6detail17trampoline_kernelINS0_14default_configENS1_27scan_by_key_config_selectorIsiEEZZNS1_16scan_by_key_implILNS1_25lookback_scan_determinismE0ELb1ES3_N6thrust23THRUST_200600_302600_NS6detail15normal_iteratorINS9_10device_ptrIsEEEESE_SE_iNS9_4plusIvEENS9_8equal_toIvEEiEE10hipError_tPvRmT2_T3_T4_T5_mT6_T7_P12ihipStream_tbENKUlT_T0_E_clISt17integral_constantIbLb0EESY_IbLb1EEEEDaSU_SV_EUlSU_E_NS1_11comp_targetILNS1_3genE9ELNS1_11target_archE1100ELNS1_3gpuE3ELNS1_3repE0EEENS1_30default_config_static_selectorELNS0_4arch9wavefront6targetE0EEEvT1_
    .private_segment_fixed_size: 0
    .sgpr_count:     0
    .sgpr_spill_count: 0
    .symbol:         _ZN7rocprim17ROCPRIM_400000_NS6detail17trampoline_kernelINS0_14default_configENS1_27scan_by_key_config_selectorIsiEEZZNS1_16scan_by_key_implILNS1_25lookback_scan_determinismE0ELb1ES3_N6thrust23THRUST_200600_302600_NS6detail15normal_iteratorINS9_10device_ptrIsEEEESE_SE_iNS9_4plusIvEENS9_8equal_toIvEEiEE10hipError_tPvRmT2_T3_T4_T5_mT6_T7_P12ihipStream_tbENKUlT_T0_E_clISt17integral_constantIbLb0EESY_IbLb1EEEEDaSU_SV_EUlSU_E_NS1_11comp_targetILNS1_3genE9ELNS1_11target_archE1100ELNS1_3gpuE3ELNS1_3repE0EEENS1_30default_config_static_selectorELNS0_4arch9wavefront6targetE0EEEvT1_.kd
    .uniform_work_group_size: 1
    .uses_dynamic_stack: false
    .vgpr_count:     0
    .vgpr_spill_count: 0
    .wavefront_size: 32
    .workgroup_processor_mode: 1
  - .args:
      - .offset:         0
        .size:           112
        .value_kind:     by_value
    .group_segment_fixed_size: 1536
    .kernarg_segment_align: 8
    .kernarg_segment_size: 112
    .language:       OpenCL C
    .language_version:
      - 2
      - 0
    .max_flat_workgroup_size: 64
    .name:           _ZN7rocprim17ROCPRIM_400000_NS6detail17trampoline_kernelINS0_14default_configENS1_27scan_by_key_config_selectorIsiEEZZNS1_16scan_by_key_implILNS1_25lookback_scan_determinismE0ELb1ES3_N6thrust23THRUST_200600_302600_NS6detail15normal_iteratorINS9_10device_ptrIsEEEESE_SE_iNS9_4plusIvEENS9_8equal_toIvEEiEE10hipError_tPvRmT2_T3_T4_T5_mT6_T7_P12ihipStream_tbENKUlT_T0_E_clISt17integral_constantIbLb0EESY_IbLb1EEEEDaSU_SV_EUlSU_E_NS1_11comp_targetILNS1_3genE8ELNS1_11target_archE1030ELNS1_3gpuE2ELNS1_3repE0EEENS1_30default_config_static_selectorELNS0_4arch9wavefront6targetE0EEEvT1_
    .private_segment_fixed_size: 0
    .sgpr_count:     30
    .sgpr_spill_count: 0
    .symbol:         _ZN7rocprim17ROCPRIM_400000_NS6detail17trampoline_kernelINS0_14default_configENS1_27scan_by_key_config_selectorIsiEEZZNS1_16scan_by_key_implILNS1_25lookback_scan_determinismE0ELb1ES3_N6thrust23THRUST_200600_302600_NS6detail15normal_iteratorINS9_10device_ptrIsEEEESE_SE_iNS9_4plusIvEENS9_8equal_toIvEEiEE10hipError_tPvRmT2_T3_T4_T5_mT6_T7_P12ihipStream_tbENKUlT_T0_E_clISt17integral_constantIbLb0EESY_IbLb1EEEEDaSU_SV_EUlSU_E_NS1_11comp_targetILNS1_3genE8ELNS1_11target_archE1030ELNS1_3gpuE2ELNS1_3repE0EEENS1_30default_config_static_selectorELNS0_4arch9wavefront6targetE0EEEvT1_.kd
    .uniform_work_group_size: 1
    .uses_dynamic_stack: false
    .vgpr_count:     46
    .vgpr_spill_count: 0
    .wavefront_size: 32
    .workgroup_processor_mode: 1
  - .args:
      - .offset:         0
        .size:           24
        .value_kind:     by_value
      - .offset:         24
        .size:           8
        .value_kind:     by_value
      - .offset:         32
        .size:           8
        .value_kind:     by_value
    .group_segment_fixed_size: 0
    .kernarg_segment_align: 8
    .kernarg_segment_size: 40
    .language:       OpenCL C
    .language_version:
      - 2
      - 0
    .max_flat_workgroup_size: 256
    .name:           _ZN6thrust23THRUST_200600_302600_NS11hip_rocprim14__parallel_for6kernelILj256ENS1_11__transform17unary_transform_fINS0_7pointerIiNS1_3tagENS0_11use_defaultES8_EENS0_10device_ptrIdEENS4_14no_stencil_tagENS0_8identityIiEENS4_21always_true_predicateEEElLj1EEEvT0_T1_SI_
    .private_segment_fixed_size: 0
    .sgpr_count:     14
    .sgpr_spill_count: 0
    .symbol:         _ZN6thrust23THRUST_200600_302600_NS11hip_rocprim14__parallel_for6kernelILj256ENS1_11__transform17unary_transform_fINS0_7pointerIiNS1_3tagENS0_11use_defaultES8_EENS0_10device_ptrIdEENS4_14no_stencil_tagENS0_8identityIiEENS4_21always_true_predicateEEElLj1EEEvT0_T1_SI_.kd
    .uniform_work_group_size: 1
    .uses_dynamic_stack: false
    .vgpr_count:     5
    .vgpr_spill_count: 0
    .wavefront_size: 32
    .workgroup_processor_mode: 1
  - .args:
      - .offset:         0
        .size:           16
        .value_kind:     by_value
      - .offset:         16
        .size:           8
        .value_kind:     by_value
      - .offset:         24
        .size:           8
        .value_kind:     by_value
    .group_segment_fixed_size: 0
    .kernarg_segment_align: 8
    .kernarg_segment_size: 32
    .language:       OpenCL C
    .language_version:
      - 2
      - 0
    .max_flat_workgroup_size: 256
    .name:           _ZN6thrust23THRUST_200600_302600_NS11hip_rocprim14__parallel_for6kernelILj256ENS1_20__uninitialized_fill7functorINS0_10device_ptrIdEEdEEmLj1EEEvT0_T1_SA_
    .private_segment_fixed_size: 0
    .sgpr_count:     18
    .sgpr_spill_count: 0
    .symbol:         _ZN6thrust23THRUST_200600_302600_NS11hip_rocprim14__parallel_for6kernelILj256ENS1_20__uninitialized_fill7functorINS0_10device_ptrIdEEdEEmLj1EEEvT0_T1_SA_.kd
    .uniform_work_group_size: 1
    .uses_dynamic_stack: false
    .vgpr_count:     5
    .vgpr_spill_count: 0
    .wavefront_size: 32
    .workgroup_processor_mode: 1
  - .args:
      - .offset:         0
        .size:           24
        .value_kind:     by_value
      - .offset:         24
        .size:           4
        .value_kind:     by_value
      - .offset:         28
        .size:           4
        .value_kind:     by_value
      - .address_space:  global
        .offset:         32
        .size:           8
        .value_kind:     global_buffer
      - .address_space:  global
        .offset:         40
        .size:           8
        .value_kind:     global_buffer
      - .actual_access:  write_only
        .address_space:  global
        .offset:         48
        .size:           8
        .value_kind:     global_buffer
      - .offset:         56
        .size:           8
        .value_kind:     by_value
      - .offset:         64
        .size:           4
        .value_kind:     by_value
      - .offset:         68
        .size:           1
        .value_kind:     by_value
      - .offset:         72
        .size:           4
        .value_kind:     hidden_block_count_x
      - .offset:         76
        .size:           4
        .value_kind:     hidden_block_count_y
      - .offset:         80
        .size:           4
        .value_kind:     hidden_block_count_z
      - .offset:         84
        .size:           2
        .value_kind:     hidden_group_size_x
      - .offset:         86
        .size:           2
        .value_kind:     hidden_group_size_y
      - .offset:         88
        .size:           2
        .value_kind:     hidden_group_size_z
      - .offset:         90
        .size:           2
        .value_kind:     hidden_remainder_x
      - .offset:         92
        .size:           2
        .value_kind:     hidden_remainder_y
      - .offset:         94
        .size:           2
        .value_kind:     hidden_remainder_z
      - .offset:         112
        .size:           8
        .value_kind:     hidden_global_offset_x
      - .offset:         120
        .size:           8
        .value_kind:     hidden_global_offset_y
      - .offset:         128
        .size:           8
        .value_kind:     hidden_global_offset_z
      - .offset:         136
        .size:           2
        .value_kind:     hidden_grid_dims
    .group_segment_fixed_size: 0
    .kernarg_segment_align: 8
    .kernarg_segment_size: 328
    .language:       OpenCL C
    .language_version:
      - 2
      - 0
    .max_flat_workgroup_size: 256
    .name:           _ZN7rocprim17ROCPRIM_400000_NS6detail30init_device_scan_by_key_kernelINS1_19lookback_scan_stateINS0_5tupleIJdbEEELb0ELb0EEEN6thrust23THRUST_200600_302600_NS6detail15normal_iteratorINS8_10device_ptrIiEEEEjNS1_16block_id_wrapperIjLb0EEEEEvT_jjPNSG_10value_typeET0_PNSt15iterator_traitsISJ_E10value_typeEmT1_T2_
    .private_segment_fixed_size: 0
    .sgpr_count:     24
    .sgpr_spill_count: 0
    .symbol:         _ZN7rocprim17ROCPRIM_400000_NS6detail30init_device_scan_by_key_kernelINS1_19lookback_scan_stateINS0_5tupleIJdbEEELb0ELb0EEEN6thrust23THRUST_200600_302600_NS6detail15normal_iteratorINS8_10device_ptrIiEEEEjNS1_16block_id_wrapperIjLb0EEEEEvT_jjPNSG_10value_typeET0_PNSt15iterator_traitsISJ_E10value_typeEmT1_T2_.kd
    .uniform_work_group_size: 1
    .uses_dynamic_stack: false
    .vgpr_count:     7
    .vgpr_spill_count: 0
    .wavefront_size: 32
    .workgroup_processor_mode: 1
  - .args:
      - .offset:         0
        .size:           24
        .value_kind:     by_value
      - .offset:         24
        .size:           4
        .value_kind:     by_value
      - .offset:         28
        .size:           4
        .value_kind:     by_value
      - .address_space:  global
        .offset:         32
        .size:           8
        .value_kind:     global_buffer
      - .offset:         40
        .size:           1
        .value_kind:     by_value
      - .offset:         48
        .size:           4
        .value_kind:     hidden_block_count_x
      - .offset:         52
        .size:           4
        .value_kind:     hidden_block_count_y
      - .offset:         56
        .size:           4
        .value_kind:     hidden_block_count_z
      - .offset:         60
        .size:           2
        .value_kind:     hidden_group_size_x
      - .offset:         62
        .size:           2
        .value_kind:     hidden_group_size_y
      - .offset:         64
        .size:           2
        .value_kind:     hidden_group_size_z
      - .offset:         66
        .size:           2
        .value_kind:     hidden_remainder_x
      - .offset:         68
        .size:           2
        .value_kind:     hidden_remainder_y
      - .offset:         70
        .size:           2
        .value_kind:     hidden_remainder_z
      - .offset:         88
        .size:           8
        .value_kind:     hidden_global_offset_x
      - .offset:         96
        .size:           8
        .value_kind:     hidden_global_offset_y
      - .offset:         104
        .size:           8
        .value_kind:     hidden_global_offset_z
      - .offset:         112
        .size:           2
        .value_kind:     hidden_grid_dims
    .group_segment_fixed_size: 0
    .kernarg_segment_align: 8
    .kernarg_segment_size: 304
    .language:       OpenCL C
    .language_version:
      - 2
      - 0
    .max_flat_workgroup_size: 256
    .name:           _ZN7rocprim17ROCPRIM_400000_NS6detail30init_device_scan_by_key_kernelINS1_19lookback_scan_stateINS0_5tupleIJdbEEELb0ELb0EEENS1_16block_id_wrapperIjLb0EEEEEvT_jjPNS9_10value_typeET0_
    .private_segment_fixed_size: 0
    .sgpr_count:     18
    .sgpr_spill_count: 0
    .symbol:         _ZN7rocprim17ROCPRIM_400000_NS6detail30init_device_scan_by_key_kernelINS1_19lookback_scan_stateINS0_5tupleIJdbEEELb0ELb0EEENS1_16block_id_wrapperIjLb0EEEEEvT_jjPNS9_10value_typeET0_.kd
    .uniform_work_group_size: 1
    .uses_dynamic_stack: false
    .vgpr_count:     5
    .vgpr_spill_count: 0
    .wavefront_size: 32
    .workgroup_processor_mode: 1
  - .args:
      - .offset:         0
        .size:           136
        .value_kind:     by_value
    .group_segment_fixed_size: 0
    .kernarg_segment_align: 8
    .kernarg_segment_size: 136
    .language:       OpenCL C
    .language_version:
      - 2
      - 0
    .max_flat_workgroup_size: 128
    .name:           _ZN7rocprim17ROCPRIM_400000_NS6detail17trampoline_kernelINS0_14default_configENS1_27scan_by_key_config_selectorIidEEZZNS1_16scan_by_key_implILNS1_25lookback_scan_determinismE0ELb0ES3_N6thrust23THRUST_200600_302600_NS6detail15normal_iteratorINS9_10device_ptrIiEEEENSB_INSC_IdEEEESG_dNS9_4plusIvEENS9_8equal_toIvEEdEE10hipError_tPvRmT2_T3_T4_T5_mT6_T7_P12ihipStream_tbENKUlT_T0_E_clISt17integral_constantIbLb0EES11_EEDaSW_SX_EUlSW_E_NS1_11comp_targetILNS1_3genE0ELNS1_11target_archE4294967295ELNS1_3gpuE0ELNS1_3repE0EEENS1_30default_config_static_selectorELNS0_4arch9wavefront6targetE0EEEvT1_
    .private_segment_fixed_size: 0
    .sgpr_count:     0
    .sgpr_spill_count: 0
    .symbol:         _ZN7rocprim17ROCPRIM_400000_NS6detail17trampoline_kernelINS0_14default_configENS1_27scan_by_key_config_selectorIidEEZZNS1_16scan_by_key_implILNS1_25lookback_scan_determinismE0ELb0ES3_N6thrust23THRUST_200600_302600_NS6detail15normal_iteratorINS9_10device_ptrIiEEEENSB_INSC_IdEEEESG_dNS9_4plusIvEENS9_8equal_toIvEEdEE10hipError_tPvRmT2_T3_T4_T5_mT6_T7_P12ihipStream_tbENKUlT_T0_E_clISt17integral_constantIbLb0EES11_EEDaSW_SX_EUlSW_E_NS1_11comp_targetILNS1_3genE0ELNS1_11target_archE4294967295ELNS1_3gpuE0ELNS1_3repE0EEENS1_30default_config_static_selectorELNS0_4arch9wavefront6targetE0EEEvT1_.kd
    .uniform_work_group_size: 1
    .uses_dynamic_stack: false
    .vgpr_count:     0
    .vgpr_spill_count: 0
    .wavefront_size: 32
    .workgroup_processor_mode: 1
  - .args:
      - .offset:         0
        .size:           136
        .value_kind:     by_value
    .group_segment_fixed_size: 0
    .kernarg_segment_align: 8
    .kernarg_segment_size: 136
    .language:       OpenCL C
    .language_version:
      - 2
      - 0
    .max_flat_workgroup_size: 256
    .name:           _ZN7rocprim17ROCPRIM_400000_NS6detail17trampoline_kernelINS0_14default_configENS1_27scan_by_key_config_selectorIidEEZZNS1_16scan_by_key_implILNS1_25lookback_scan_determinismE0ELb0ES3_N6thrust23THRUST_200600_302600_NS6detail15normal_iteratorINS9_10device_ptrIiEEEENSB_INSC_IdEEEESG_dNS9_4plusIvEENS9_8equal_toIvEEdEE10hipError_tPvRmT2_T3_T4_T5_mT6_T7_P12ihipStream_tbENKUlT_T0_E_clISt17integral_constantIbLb0EES11_EEDaSW_SX_EUlSW_E_NS1_11comp_targetILNS1_3genE10ELNS1_11target_archE1201ELNS1_3gpuE5ELNS1_3repE0EEENS1_30default_config_static_selectorELNS0_4arch9wavefront6targetE0EEEvT1_
    .private_segment_fixed_size: 0
    .sgpr_count:     0
    .sgpr_spill_count: 0
    .symbol:         _ZN7rocprim17ROCPRIM_400000_NS6detail17trampoline_kernelINS0_14default_configENS1_27scan_by_key_config_selectorIidEEZZNS1_16scan_by_key_implILNS1_25lookback_scan_determinismE0ELb0ES3_N6thrust23THRUST_200600_302600_NS6detail15normal_iteratorINS9_10device_ptrIiEEEENSB_INSC_IdEEEESG_dNS9_4plusIvEENS9_8equal_toIvEEdEE10hipError_tPvRmT2_T3_T4_T5_mT6_T7_P12ihipStream_tbENKUlT_T0_E_clISt17integral_constantIbLb0EES11_EEDaSW_SX_EUlSW_E_NS1_11comp_targetILNS1_3genE10ELNS1_11target_archE1201ELNS1_3gpuE5ELNS1_3repE0EEENS1_30default_config_static_selectorELNS0_4arch9wavefront6targetE0EEEvT1_.kd
    .uniform_work_group_size: 1
    .uses_dynamic_stack: false
    .vgpr_count:     0
    .vgpr_spill_count: 0
    .wavefront_size: 32
    .workgroup_processor_mode: 1
  - .args:
      - .offset:         0
        .size:           136
        .value_kind:     by_value
    .group_segment_fixed_size: 0
    .kernarg_segment_align: 8
    .kernarg_segment_size: 136
    .language:       OpenCL C
    .language_version:
      - 2
      - 0
    .max_flat_workgroup_size: 256
    .name:           _ZN7rocprim17ROCPRIM_400000_NS6detail17trampoline_kernelINS0_14default_configENS1_27scan_by_key_config_selectorIidEEZZNS1_16scan_by_key_implILNS1_25lookback_scan_determinismE0ELb0ES3_N6thrust23THRUST_200600_302600_NS6detail15normal_iteratorINS9_10device_ptrIiEEEENSB_INSC_IdEEEESG_dNS9_4plusIvEENS9_8equal_toIvEEdEE10hipError_tPvRmT2_T3_T4_T5_mT6_T7_P12ihipStream_tbENKUlT_T0_E_clISt17integral_constantIbLb0EES11_EEDaSW_SX_EUlSW_E_NS1_11comp_targetILNS1_3genE5ELNS1_11target_archE942ELNS1_3gpuE9ELNS1_3repE0EEENS1_30default_config_static_selectorELNS0_4arch9wavefront6targetE0EEEvT1_
    .private_segment_fixed_size: 0
    .sgpr_count:     0
    .sgpr_spill_count: 0
    .symbol:         _ZN7rocprim17ROCPRIM_400000_NS6detail17trampoline_kernelINS0_14default_configENS1_27scan_by_key_config_selectorIidEEZZNS1_16scan_by_key_implILNS1_25lookback_scan_determinismE0ELb0ES3_N6thrust23THRUST_200600_302600_NS6detail15normal_iteratorINS9_10device_ptrIiEEEENSB_INSC_IdEEEESG_dNS9_4plusIvEENS9_8equal_toIvEEdEE10hipError_tPvRmT2_T3_T4_T5_mT6_T7_P12ihipStream_tbENKUlT_T0_E_clISt17integral_constantIbLb0EES11_EEDaSW_SX_EUlSW_E_NS1_11comp_targetILNS1_3genE5ELNS1_11target_archE942ELNS1_3gpuE9ELNS1_3repE0EEENS1_30default_config_static_selectorELNS0_4arch9wavefront6targetE0EEEvT1_.kd
    .uniform_work_group_size: 1
    .uses_dynamic_stack: false
    .vgpr_count:     0
    .vgpr_spill_count: 0
    .wavefront_size: 32
    .workgroup_processor_mode: 1
  - .args:
      - .offset:         0
        .size:           136
        .value_kind:     by_value
    .group_segment_fixed_size: 0
    .kernarg_segment_align: 8
    .kernarg_segment_size: 136
    .language:       OpenCL C
    .language_version:
      - 2
      - 0
    .max_flat_workgroup_size: 64
    .name:           _ZN7rocprim17ROCPRIM_400000_NS6detail17trampoline_kernelINS0_14default_configENS1_27scan_by_key_config_selectorIidEEZZNS1_16scan_by_key_implILNS1_25lookback_scan_determinismE0ELb0ES3_N6thrust23THRUST_200600_302600_NS6detail15normal_iteratorINS9_10device_ptrIiEEEENSB_INSC_IdEEEESG_dNS9_4plusIvEENS9_8equal_toIvEEdEE10hipError_tPvRmT2_T3_T4_T5_mT6_T7_P12ihipStream_tbENKUlT_T0_E_clISt17integral_constantIbLb0EES11_EEDaSW_SX_EUlSW_E_NS1_11comp_targetILNS1_3genE4ELNS1_11target_archE910ELNS1_3gpuE8ELNS1_3repE0EEENS1_30default_config_static_selectorELNS0_4arch9wavefront6targetE0EEEvT1_
    .private_segment_fixed_size: 0
    .sgpr_count:     0
    .sgpr_spill_count: 0
    .symbol:         _ZN7rocprim17ROCPRIM_400000_NS6detail17trampoline_kernelINS0_14default_configENS1_27scan_by_key_config_selectorIidEEZZNS1_16scan_by_key_implILNS1_25lookback_scan_determinismE0ELb0ES3_N6thrust23THRUST_200600_302600_NS6detail15normal_iteratorINS9_10device_ptrIiEEEENSB_INSC_IdEEEESG_dNS9_4plusIvEENS9_8equal_toIvEEdEE10hipError_tPvRmT2_T3_T4_T5_mT6_T7_P12ihipStream_tbENKUlT_T0_E_clISt17integral_constantIbLb0EES11_EEDaSW_SX_EUlSW_E_NS1_11comp_targetILNS1_3genE4ELNS1_11target_archE910ELNS1_3gpuE8ELNS1_3repE0EEENS1_30default_config_static_selectorELNS0_4arch9wavefront6targetE0EEEvT1_.kd
    .uniform_work_group_size: 1
    .uses_dynamic_stack: false
    .vgpr_count:     0
    .vgpr_spill_count: 0
    .wavefront_size: 32
    .workgroup_processor_mode: 1
  - .args:
      - .offset:         0
        .size:           136
        .value_kind:     by_value
    .group_segment_fixed_size: 0
    .kernarg_segment_align: 8
    .kernarg_segment_size: 136
    .language:       OpenCL C
    .language_version:
      - 2
      - 0
    .max_flat_workgroup_size: 128
    .name:           _ZN7rocprim17ROCPRIM_400000_NS6detail17trampoline_kernelINS0_14default_configENS1_27scan_by_key_config_selectorIidEEZZNS1_16scan_by_key_implILNS1_25lookback_scan_determinismE0ELb0ES3_N6thrust23THRUST_200600_302600_NS6detail15normal_iteratorINS9_10device_ptrIiEEEENSB_INSC_IdEEEESG_dNS9_4plusIvEENS9_8equal_toIvEEdEE10hipError_tPvRmT2_T3_T4_T5_mT6_T7_P12ihipStream_tbENKUlT_T0_E_clISt17integral_constantIbLb0EES11_EEDaSW_SX_EUlSW_E_NS1_11comp_targetILNS1_3genE3ELNS1_11target_archE908ELNS1_3gpuE7ELNS1_3repE0EEENS1_30default_config_static_selectorELNS0_4arch9wavefront6targetE0EEEvT1_
    .private_segment_fixed_size: 0
    .sgpr_count:     0
    .sgpr_spill_count: 0
    .symbol:         _ZN7rocprim17ROCPRIM_400000_NS6detail17trampoline_kernelINS0_14default_configENS1_27scan_by_key_config_selectorIidEEZZNS1_16scan_by_key_implILNS1_25lookback_scan_determinismE0ELb0ES3_N6thrust23THRUST_200600_302600_NS6detail15normal_iteratorINS9_10device_ptrIiEEEENSB_INSC_IdEEEESG_dNS9_4plusIvEENS9_8equal_toIvEEdEE10hipError_tPvRmT2_T3_T4_T5_mT6_T7_P12ihipStream_tbENKUlT_T0_E_clISt17integral_constantIbLb0EES11_EEDaSW_SX_EUlSW_E_NS1_11comp_targetILNS1_3genE3ELNS1_11target_archE908ELNS1_3gpuE7ELNS1_3repE0EEENS1_30default_config_static_selectorELNS0_4arch9wavefront6targetE0EEEvT1_.kd
    .uniform_work_group_size: 1
    .uses_dynamic_stack: false
    .vgpr_count:     0
    .vgpr_spill_count: 0
    .wavefront_size: 32
    .workgroup_processor_mode: 1
  - .args:
      - .offset:         0
        .size:           136
        .value_kind:     by_value
    .group_segment_fixed_size: 0
    .kernarg_segment_align: 8
    .kernarg_segment_size: 136
    .language:       OpenCL C
    .language_version:
      - 2
      - 0
    .max_flat_workgroup_size: 64
    .name:           _ZN7rocprim17ROCPRIM_400000_NS6detail17trampoline_kernelINS0_14default_configENS1_27scan_by_key_config_selectorIidEEZZNS1_16scan_by_key_implILNS1_25lookback_scan_determinismE0ELb0ES3_N6thrust23THRUST_200600_302600_NS6detail15normal_iteratorINS9_10device_ptrIiEEEENSB_INSC_IdEEEESG_dNS9_4plusIvEENS9_8equal_toIvEEdEE10hipError_tPvRmT2_T3_T4_T5_mT6_T7_P12ihipStream_tbENKUlT_T0_E_clISt17integral_constantIbLb0EES11_EEDaSW_SX_EUlSW_E_NS1_11comp_targetILNS1_3genE2ELNS1_11target_archE906ELNS1_3gpuE6ELNS1_3repE0EEENS1_30default_config_static_selectorELNS0_4arch9wavefront6targetE0EEEvT1_
    .private_segment_fixed_size: 0
    .sgpr_count:     0
    .sgpr_spill_count: 0
    .symbol:         _ZN7rocprim17ROCPRIM_400000_NS6detail17trampoline_kernelINS0_14default_configENS1_27scan_by_key_config_selectorIidEEZZNS1_16scan_by_key_implILNS1_25lookback_scan_determinismE0ELb0ES3_N6thrust23THRUST_200600_302600_NS6detail15normal_iteratorINS9_10device_ptrIiEEEENSB_INSC_IdEEEESG_dNS9_4plusIvEENS9_8equal_toIvEEdEE10hipError_tPvRmT2_T3_T4_T5_mT6_T7_P12ihipStream_tbENKUlT_T0_E_clISt17integral_constantIbLb0EES11_EEDaSW_SX_EUlSW_E_NS1_11comp_targetILNS1_3genE2ELNS1_11target_archE906ELNS1_3gpuE6ELNS1_3repE0EEENS1_30default_config_static_selectorELNS0_4arch9wavefront6targetE0EEEvT1_.kd
    .uniform_work_group_size: 1
    .uses_dynamic_stack: false
    .vgpr_count:     0
    .vgpr_spill_count: 0
    .wavefront_size: 32
    .workgroup_processor_mode: 1
  - .args:
      - .offset:         0
        .size:           136
        .value_kind:     by_value
    .group_segment_fixed_size: 0
    .kernarg_segment_align: 8
    .kernarg_segment_size: 136
    .language:       OpenCL C
    .language_version:
      - 2
      - 0
    .max_flat_workgroup_size: 256
    .name:           _ZN7rocprim17ROCPRIM_400000_NS6detail17trampoline_kernelINS0_14default_configENS1_27scan_by_key_config_selectorIidEEZZNS1_16scan_by_key_implILNS1_25lookback_scan_determinismE0ELb0ES3_N6thrust23THRUST_200600_302600_NS6detail15normal_iteratorINS9_10device_ptrIiEEEENSB_INSC_IdEEEESG_dNS9_4plusIvEENS9_8equal_toIvEEdEE10hipError_tPvRmT2_T3_T4_T5_mT6_T7_P12ihipStream_tbENKUlT_T0_E_clISt17integral_constantIbLb0EES11_EEDaSW_SX_EUlSW_E_NS1_11comp_targetILNS1_3genE10ELNS1_11target_archE1200ELNS1_3gpuE4ELNS1_3repE0EEENS1_30default_config_static_selectorELNS0_4arch9wavefront6targetE0EEEvT1_
    .private_segment_fixed_size: 0
    .sgpr_count:     0
    .sgpr_spill_count: 0
    .symbol:         _ZN7rocprim17ROCPRIM_400000_NS6detail17trampoline_kernelINS0_14default_configENS1_27scan_by_key_config_selectorIidEEZZNS1_16scan_by_key_implILNS1_25lookback_scan_determinismE0ELb0ES3_N6thrust23THRUST_200600_302600_NS6detail15normal_iteratorINS9_10device_ptrIiEEEENSB_INSC_IdEEEESG_dNS9_4plusIvEENS9_8equal_toIvEEdEE10hipError_tPvRmT2_T3_T4_T5_mT6_T7_P12ihipStream_tbENKUlT_T0_E_clISt17integral_constantIbLb0EES11_EEDaSW_SX_EUlSW_E_NS1_11comp_targetILNS1_3genE10ELNS1_11target_archE1200ELNS1_3gpuE4ELNS1_3repE0EEENS1_30default_config_static_selectorELNS0_4arch9wavefront6targetE0EEEvT1_.kd
    .uniform_work_group_size: 1
    .uses_dynamic_stack: false
    .vgpr_count:     0
    .vgpr_spill_count: 0
    .wavefront_size: 32
    .workgroup_processor_mode: 1
  - .args:
      - .offset:         0
        .size:           136
        .value_kind:     by_value
    .group_segment_fixed_size: 0
    .kernarg_segment_align: 8
    .kernarg_segment_size: 136
    .language:       OpenCL C
    .language_version:
      - 2
      - 0
    .max_flat_workgroup_size: 256
    .name:           _ZN7rocprim17ROCPRIM_400000_NS6detail17trampoline_kernelINS0_14default_configENS1_27scan_by_key_config_selectorIidEEZZNS1_16scan_by_key_implILNS1_25lookback_scan_determinismE0ELb0ES3_N6thrust23THRUST_200600_302600_NS6detail15normal_iteratorINS9_10device_ptrIiEEEENSB_INSC_IdEEEESG_dNS9_4plusIvEENS9_8equal_toIvEEdEE10hipError_tPvRmT2_T3_T4_T5_mT6_T7_P12ihipStream_tbENKUlT_T0_E_clISt17integral_constantIbLb0EES11_EEDaSW_SX_EUlSW_E_NS1_11comp_targetILNS1_3genE9ELNS1_11target_archE1100ELNS1_3gpuE3ELNS1_3repE0EEENS1_30default_config_static_selectorELNS0_4arch9wavefront6targetE0EEEvT1_
    .private_segment_fixed_size: 0
    .sgpr_count:     0
    .sgpr_spill_count: 0
    .symbol:         _ZN7rocprim17ROCPRIM_400000_NS6detail17trampoline_kernelINS0_14default_configENS1_27scan_by_key_config_selectorIidEEZZNS1_16scan_by_key_implILNS1_25lookback_scan_determinismE0ELb0ES3_N6thrust23THRUST_200600_302600_NS6detail15normal_iteratorINS9_10device_ptrIiEEEENSB_INSC_IdEEEESG_dNS9_4plusIvEENS9_8equal_toIvEEdEE10hipError_tPvRmT2_T3_T4_T5_mT6_T7_P12ihipStream_tbENKUlT_T0_E_clISt17integral_constantIbLb0EES11_EEDaSW_SX_EUlSW_E_NS1_11comp_targetILNS1_3genE9ELNS1_11target_archE1100ELNS1_3gpuE3ELNS1_3repE0EEENS1_30default_config_static_selectorELNS0_4arch9wavefront6targetE0EEEvT1_.kd
    .uniform_work_group_size: 1
    .uses_dynamic_stack: false
    .vgpr_count:     0
    .vgpr_spill_count: 0
    .wavefront_size: 32
    .workgroup_processor_mode: 1
  - .args:
      - .offset:         0
        .size:           136
        .value_kind:     by_value
    .group_segment_fixed_size: 6144
    .kernarg_segment_align: 8
    .kernarg_segment_size: 136
    .language:       OpenCL C
    .language_version:
      - 2
      - 0
    .max_flat_workgroup_size: 256
    .name:           _ZN7rocprim17ROCPRIM_400000_NS6detail17trampoline_kernelINS0_14default_configENS1_27scan_by_key_config_selectorIidEEZZNS1_16scan_by_key_implILNS1_25lookback_scan_determinismE0ELb0ES3_N6thrust23THRUST_200600_302600_NS6detail15normal_iteratorINS9_10device_ptrIiEEEENSB_INSC_IdEEEESG_dNS9_4plusIvEENS9_8equal_toIvEEdEE10hipError_tPvRmT2_T3_T4_T5_mT6_T7_P12ihipStream_tbENKUlT_T0_E_clISt17integral_constantIbLb0EES11_EEDaSW_SX_EUlSW_E_NS1_11comp_targetILNS1_3genE8ELNS1_11target_archE1030ELNS1_3gpuE2ELNS1_3repE0EEENS1_30default_config_static_selectorELNS0_4arch9wavefront6targetE0EEEvT1_
    .private_segment_fixed_size: 0
    .sgpr_count:     40
    .sgpr_spill_count: 0
    .symbol:         _ZN7rocprim17ROCPRIM_400000_NS6detail17trampoline_kernelINS0_14default_configENS1_27scan_by_key_config_selectorIidEEZZNS1_16scan_by_key_implILNS1_25lookback_scan_determinismE0ELb0ES3_N6thrust23THRUST_200600_302600_NS6detail15normal_iteratorINS9_10device_ptrIiEEEENSB_INSC_IdEEEESG_dNS9_4plusIvEENS9_8equal_toIvEEdEE10hipError_tPvRmT2_T3_T4_T5_mT6_T7_P12ihipStream_tbENKUlT_T0_E_clISt17integral_constantIbLb0EES11_EEDaSW_SX_EUlSW_E_NS1_11comp_targetILNS1_3genE8ELNS1_11target_archE1030ELNS1_3gpuE2ELNS1_3repE0EEENS1_30default_config_static_selectorELNS0_4arch9wavefront6targetE0EEEvT1_.kd
    .uniform_work_group_size: 1
    .uses_dynamic_stack: false
    .vgpr_count:     48
    .vgpr_spill_count: 0
    .wavefront_size: 32
    .workgroup_processor_mode: 1
  - .args:
      - .offset:         0
        .size:           24
        .value_kind:     by_value
      - .offset:         24
        .size:           4
        .value_kind:     by_value
      - .offset:         28
        .size:           4
        .value_kind:     by_value
      - .address_space:  global
        .offset:         32
        .size:           8
        .value_kind:     global_buffer
      - .address_space:  global
        .offset:         40
        .size:           8
        .value_kind:     global_buffer
      - .actual_access:  write_only
        .address_space:  global
        .offset:         48
        .size:           8
        .value_kind:     global_buffer
      - .offset:         56
        .size:           8
        .value_kind:     by_value
      - .offset:         64
        .size:           4
        .value_kind:     by_value
      - .address_space:  global
        .offset:         72
        .size:           8
        .value_kind:     global_buffer
      - .offset:         80
        .size:           4
        .value_kind:     hidden_block_count_x
      - .offset:         84
        .size:           4
        .value_kind:     hidden_block_count_y
      - .offset:         88
        .size:           4
        .value_kind:     hidden_block_count_z
      - .offset:         92
        .size:           2
        .value_kind:     hidden_group_size_x
      - .offset:         94
        .size:           2
        .value_kind:     hidden_group_size_y
      - .offset:         96
        .size:           2
        .value_kind:     hidden_group_size_z
      - .offset:         98
        .size:           2
        .value_kind:     hidden_remainder_x
      - .offset:         100
        .size:           2
        .value_kind:     hidden_remainder_y
      - .offset:         102
        .size:           2
        .value_kind:     hidden_remainder_z
      - .offset:         120
        .size:           8
        .value_kind:     hidden_global_offset_x
      - .offset:         128
        .size:           8
        .value_kind:     hidden_global_offset_y
      - .offset:         136
        .size:           8
        .value_kind:     hidden_global_offset_z
      - .offset:         144
        .size:           2
        .value_kind:     hidden_grid_dims
    .group_segment_fixed_size: 0
    .kernarg_segment_align: 8
    .kernarg_segment_size: 336
    .language:       OpenCL C
    .language_version:
      - 2
      - 0
    .max_flat_workgroup_size: 256
    .name:           _ZN7rocprim17ROCPRIM_400000_NS6detail30init_device_scan_by_key_kernelINS1_19lookback_scan_stateINS0_5tupleIJdbEEELb1ELb0EEEN6thrust23THRUST_200600_302600_NS6detail15normal_iteratorINS8_10device_ptrIiEEEEjNS1_16block_id_wrapperIjLb1EEEEEvT_jjPNSG_10value_typeET0_PNSt15iterator_traitsISJ_E10value_typeEmT1_T2_
    .private_segment_fixed_size: 0
    .sgpr_count:     25
    .sgpr_spill_count: 0
    .symbol:         _ZN7rocprim17ROCPRIM_400000_NS6detail30init_device_scan_by_key_kernelINS1_19lookback_scan_stateINS0_5tupleIJdbEEELb1ELb0EEEN6thrust23THRUST_200600_302600_NS6detail15normal_iteratorINS8_10device_ptrIiEEEEjNS1_16block_id_wrapperIjLb1EEEEEvT_jjPNSG_10value_typeET0_PNSt15iterator_traitsISJ_E10value_typeEmT1_T2_.kd
    .uniform_work_group_size: 1
    .uses_dynamic_stack: false
    .vgpr_count:     7
    .vgpr_spill_count: 0
    .wavefront_size: 32
    .workgroup_processor_mode: 1
  - .args:
      - .offset:         0
        .size:           24
        .value_kind:     by_value
      - .offset:         24
        .size:           4
        .value_kind:     by_value
      - .offset:         28
        .size:           4
        .value_kind:     by_value
      - .address_space:  global
        .offset:         32
        .size:           8
        .value_kind:     global_buffer
      - .address_space:  global
        .offset:         40
        .size:           8
        .value_kind:     global_buffer
      - .offset:         48
        .size:           4
        .value_kind:     hidden_block_count_x
      - .offset:         52
        .size:           4
        .value_kind:     hidden_block_count_y
      - .offset:         56
        .size:           4
        .value_kind:     hidden_block_count_z
      - .offset:         60
        .size:           2
        .value_kind:     hidden_group_size_x
      - .offset:         62
        .size:           2
        .value_kind:     hidden_group_size_y
      - .offset:         64
        .size:           2
        .value_kind:     hidden_group_size_z
      - .offset:         66
        .size:           2
        .value_kind:     hidden_remainder_x
      - .offset:         68
        .size:           2
        .value_kind:     hidden_remainder_y
      - .offset:         70
        .size:           2
        .value_kind:     hidden_remainder_z
      - .offset:         88
        .size:           8
        .value_kind:     hidden_global_offset_x
      - .offset:         96
        .size:           8
        .value_kind:     hidden_global_offset_y
      - .offset:         104
        .size:           8
        .value_kind:     hidden_global_offset_z
      - .offset:         112
        .size:           2
        .value_kind:     hidden_grid_dims
    .group_segment_fixed_size: 0
    .kernarg_segment_align: 8
    .kernarg_segment_size: 304
    .language:       OpenCL C
    .language_version:
      - 2
      - 0
    .max_flat_workgroup_size: 256
    .name:           _ZN7rocprim17ROCPRIM_400000_NS6detail30init_device_scan_by_key_kernelINS1_19lookback_scan_stateINS0_5tupleIJdbEEELb1ELb0EEENS1_16block_id_wrapperIjLb1EEEEEvT_jjPNS9_10value_typeET0_
    .private_segment_fixed_size: 0
    .sgpr_count:     21
    .sgpr_spill_count: 0
    .symbol:         _ZN7rocprim17ROCPRIM_400000_NS6detail30init_device_scan_by_key_kernelINS1_19lookback_scan_stateINS0_5tupleIJdbEEELb1ELb0EEENS1_16block_id_wrapperIjLb1EEEEEvT_jjPNS9_10value_typeET0_.kd
    .uniform_work_group_size: 1
    .uses_dynamic_stack: false
    .vgpr_count:     5
    .vgpr_spill_count: 0
    .wavefront_size: 32
    .workgroup_processor_mode: 1
  - .args:
      - .offset:         0
        .size:           136
        .value_kind:     by_value
    .group_segment_fixed_size: 0
    .kernarg_segment_align: 8
    .kernarg_segment_size: 136
    .language:       OpenCL C
    .language_version:
      - 2
      - 0
    .max_flat_workgroup_size: 128
    .name:           _ZN7rocprim17ROCPRIM_400000_NS6detail17trampoline_kernelINS0_14default_configENS1_27scan_by_key_config_selectorIidEEZZNS1_16scan_by_key_implILNS1_25lookback_scan_determinismE0ELb0ES3_N6thrust23THRUST_200600_302600_NS6detail15normal_iteratorINS9_10device_ptrIiEEEENSB_INSC_IdEEEESG_dNS9_4plusIvEENS9_8equal_toIvEEdEE10hipError_tPvRmT2_T3_T4_T5_mT6_T7_P12ihipStream_tbENKUlT_T0_E_clISt17integral_constantIbLb1EES11_EEDaSW_SX_EUlSW_E_NS1_11comp_targetILNS1_3genE0ELNS1_11target_archE4294967295ELNS1_3gpuE0ELNS1_3repE0EEENS1_30default_config_static_selectorELNS0_4arch9wavefront6targetE0EEEvT1_
    .private_segment_fixed_size: 0
    .sgpr_count:     0
    .sgpr_spill_count: 0
    .symbol:         _ZN7rocprim17ROCPRIM_400000_NS6detail17trampoline_kernelINS0_14default_configENS1_27scan_by_key_config_selectorIidEEZZNS1_16scan_by_key_implILNS1_25lookback_scan_determinismE0ELb0ES3_N6thrust23THRUST_200600_302600_NS6detail15normal_iteratorINS9_10device_ptrIiEEEENSB_INSC_IdEEEESG_dNS9_4plusIvEENS9_8equal_toIvEEdEE10hipError_tPvRmT2_T3_T4_T5_mT6_T7_P12ihipStream_tbENKUlT_T0_E_clISt17integral_constantIbLb1EES11_EEDaSW_SX_EUlSW_E_NS1_11comp_targetILNS1_3genE0ELNS1_11target_archE4294967295ELNS1_3gpuE0ELNS1_3repE0EEENS1_30default_config_static_selectorELNS0_4arch9wavefront6targetE0EEEvT1_.kd
    .uniform_work_group_size: 1
    .uses_dynamic_stack: false
    .vgpr_count:     0
    .vgpr_spill_count: 0
    .wavefront_size: 32
    .workgroup_processor_mode: 1
  - .args:
      - .offset:         0
        .size:           136
        .value_kind:     by_value
    .group_segment_fixed_size: 0
    .kernarg_segment_align: 8
    .kernarg_segment_size: 136
    .language:       OpenCL C
    .language_version:
      - 2
      - 0
    .max_flat_workgroup_size: 256
    .name:           _ZN7rocprim17ROCPRIM_400000_NS6detail17trampoline_kernelINS0_14default_configENS1_27scan_by_key_config_selectorIidEEZZNS1_16scan_by_key_implILNS1_25lookback_scan_determinismE0ELb0ES3_N6thrust23THRUST_200600_302600_NS6detail15normal_iteratorINS9_10device_ptrIiEEEENSB_INSC_IdEEEESG_dNS9_4plusIvEENS9_8equal_toIvEEdEE10hipError_tPvRmT2_T3_T4_T5_mT6_T7_P12ihipStream_tbENKUlT_T0_E_clISt17integral_constantIbLb1EES11_EEDaSW_SX_EUlSW_E_NS1_11comp_targetILNS1_3genE10ELNS1_11target_archE1201ELNS1_3gpuE5ELNS1_3repE0EEENS1_30default_config_static_selectorELNS0_4arch9wavefront6targetE0EEEvT1_
    .private_segment_fixed_size: 0
    .sgpr_count:     0
    .sgpr_spill_count: 0
    .symbol:         _ZN7rocprim17ROCPRIM_400000_NS6detail17trampoline_kernelINS0_14default_configENS1_27scan_by_key_config_selectorIidEEZZNS1_16scan_by_key_implILNS1_25lookback_scan_determinismE0ELb0ES3_N6thrust23THRUST_200600_302600_NS6detail15normal_iteratorINS9_10device_ptrIiEEEENSB_INSC_IdEEEESG_dNS9_4plusIvEENS9_8equal_toIvEEdEE10hipError_tPvRmT2_T3_T4_T5_mT6_T7_P12ihipStream_tbENKUlT_T0_E_clISt17integral_constantIbLb1EES11_EEDaSW_SX_EUlSW_E_NS1_11comp_targetILNS1_3genE10ELNS1_11target_archE1201ELNS1_3gpuE5ELNS1_3repE0EEENS1_30default_config_static_selectorELNS0_4arch9wavefront6targetE0EEEvT1_.kd
    .uniform_work_group_size: 1
    .uses_dynamic_stack: false
    .vgpr_count:     0
    .vgpr_spill_count: 0
    .wavefront_size: 32
    .workgroup_processor_mode: 1
  - .args:
      - .offset:         0
        .size:           136
        .value_kind:     by_value
    .group_segment_fixed_size: 0
    .kernarg_segment_align: 8
    .kernarg_segment_size: 136
    .language:       OpenCL C
    .language_version:
      - 2
      - 0
    .max_flat_workgroup_size: 256
    .name:           _ZN7rocprim17ROCPRIM_400000_NS6detail17trampoline_kernelINS0_14default_configENS1_27scan_by_key_config_selectorIidEEZZNS1_16scan_by_key_implILNS1_25lookback_scan_determinismE0ELb0ES3_N6thrust23THRUST_200600_302600_NS6detail15normal_iteratorINS9_10device_ptrIiEEEENSB_INSC_IdEEEESG_dNS9_4plusIvEENS9_8equal_toIvEEdEE10hipError_tPvRmT2_T3_T4_T5_mT6_T7_P12ihipStream_tbENKUlT_T0_E_clISt17integral_constantIbLb1EES11_EEDaSW_SX_EUlSW_E_NS1_11comp_targetILNS1_3genE5ELNS1_11target_archE942ELNS1_3gpuE9ELNS1_3repE0EEENS1_30default_config_static_selectorELNS0_4arch9wavefront6targetE0EEEvT1_
    .private_segment_fixed_size: 0
    .sgpr_count:     0
    .sgpr_spill_count: 0
    .symbol:         _ZN7rocprim17ROCPRIM_400000_NS6detail17trampoline_kernelINS0_14default_configENS1_27scan_by_key_config_selectorIidEEZZNS1_16scan_by_key_implILNS1_25lookback_scan_determinismE0ELb0ES3_N6thrust23THRUST_200600_302600_NS6detail15normal_iteratorINS9_10device_ptrIiEEEENSB_INSC_IdEEEESG_dNS9_4plusIvEENS9_8equal_toIvEEdEE10hipError_tPvRmT2_T3_T4_T5_mT6_T7_P12ihipStream_tbENKUlT_T0_E_clISt17integral_constantIbLb1EES11_EEDaSW_SX_EUlSW_E_NS1_11comp_targetILNS1_3genE5ELNS1_11target_archE942ELNS1_3gpuE9ELNS1_3repE0EEENS1_30default_config_static_selectorELNS0_4arch9wavefront6targetE0EEEvT1_.kd
    .uniform_work_group_size: 1
    .uses_dynamic_stack: false
    .vgpr_count:     0
    .vgpr_spill_count: 0
    .wavefront_size: 32
    .workgroup_processor_mode: 1
  - .args:
      - .offset:         0
        .size:           136
        .value_kind:     by_value
    .group_segment_fixed_size: 0
    .kernarg_segment_align: 8
    .kernarg_segment_size: 136
    .language:       OpenCL C
    .language_version:
      - 2
      - 0
    .max_flat_workgroup_size: 64
    .name:           _ZN7rocprim17ROCPRIM_400000_NS6detail17trampoline_kernelINS0_14default_configENS1_27scan_by_key_config_selectorIidEEZZNS1_16scan_by_key_implILNS1_25lookback_scan_determinismE0ELb0ES3_N6thrust23THRUST_200600_302600_NS6detail15normal_iteratorINS9_10device_ptrIiEEEENSB_INSC_IdEEEESG_dNS9_4plusIvEENS9_8equal_toIvEEdEE10hipError_tPvRmT2_T3_T4_T5_mT6_T7_P12ihipStream_tbENKUlT_T0_E_clISt17integral_constantIbLb1EES11_EEDaSW_SX_EUlSW_E_NS1_11comp_targetILNS1_3genE4ELNS1_11target_archE910ELNS1_3gpuE8ELNS1_3repE0EEENS1_30default_config_static_selectorELNS0_4arch9wavefront6targetE0EEEvT1_
    .private_segment_fixed_size: 0
    .sgpr_count:     0
    .sgpr_spill_count: 0
    .symbol:         _ZN7rocprim17ROCPRIM_400000_NS6detail17trampoline_kernelINS0_14default_configENS1_27scan_by_key_config_selectorIidEEZZNS1_16scan_by_key_implILNS1_25lookback_scan_determinismE0ELb0ES3_N6thrust23THRUST_200600_302600_NS6detail15normal_iteratorINS9_10device_ptrIiEEEENSB_INSC_IdEEEESG_dNS9_4plusIvEENS9_8equal_toIvEEdEE10hipError_tPvRmT2_T3_T4_T5_mT6_T7_P12ihipStream_tbENKUlT_T0_E_clISt17integral_constantIbLb1EES11_EEDaSW_SX_EUlSW_E_NS1_11comp_targetILNS1_3genE4ELNS1_11target_archE910ELNS1_3gpuE8ELNS1_3repE0EEENS1_30default_config_static_selectorELNS0_4arch9wavefront6targetE0EEEvT1_.kd
    .uniform_work_group_size: 1
    .uses_dynamic_stack: false
    .vgpr_count:     0
    .vgpr_spill_count: 0
    .wavefront_size: 32
    .workgroup_processor_mode: 1
  - .args:
      - .offset:         0
        .size:           136
        .value_kind:     by_value
    .group_segment_fixed_size: 0
    .kernarg_segment_align: 8
    .kernarg_segment_size: 136
    .language:       OpenCL C
    .language_version:
      - 2
      - 0
    .max_flat_workgroup_size: 128
    .name:           _ZN7rocprim17ROCPRIM_400000_NS6detail17trampoline_kernelINS0_14default_configENS1_27scan_by_key_config_selectorIidEEZZNS1_16scan_by_key_implILNS1_25lookback_scan_determinismE0ELb0ES3_N6thrust23THRUST_200600_302600_NS6detail15normal_iteratorINS9_10device_ptrIiEEEENSB_INSC_IdEEEESG_dNS9_4plusIvEENS9_8equal_toIvEEdEE10hipError_tPvRmT2_T3_T4_T5_mT6_T7_P12ihipStream_tbENKUlT_T0_E_clISt17integral_constantIbLb1EES11_EEDaSW_SX_EUlSW_E_NS1_11comp_targetILNS1_3genE3ELNS1_11target_archE908ELNS1_3gpuE7ELNS1_3repE0EEENS1_30default_config_static_selectorELNS0_4arch9wavefront6targetE0EEEvT1_
    .private_segment_fixed_size: 0
    .sgpr_count:     0
    .sgpr_spill_count: 0
    .symbol:         _ZN7rocprim17ROCPRIM_400000_NS6detail17trampoline_kernelINS0_14default_configENS1_27scan_by_key_config_selectorIidEEZZNS1_16scan_by_key_implILNS1_25lookback_scan_determinismE0ELb0ES3_N6thrust23THRUST_200600_302600_NS6detail15normal_iteratorINS9_10device_ptrIiEEEENSB_INSC_IdEEEESG_dNS9_4plusIvEENS9_8equal_toIvEEdEE10hipError_tPvRmT2_T3_T4_T5_mT6_T7_P12ihipStream_tbENKUlT_T0_E_clISt17integral_constantIbLb1EES11_EEDaSW_SX_EUlSW_E_NS1_11comp_targetILNS1_3genE3ELNS1_11target_archE908ELNS1_3gpuE7ELNS1_3repE0EEENS1_30default_config_static_selectorELNS0_4arch9wavefront6targetE0EEEvT1_.kd
    .uniform_work_group_size: 1
    .uses_dynamic_stack: false
    .vgpr_count:     0
    .vgpr_spill_count: 0
    .wavefront_size: 32
    .workgroup_processor_mode: 1
  - .args:
      - .offset:         0
        .size:           136
        .value_kind:     by_value
    .group_segment_fixed_size: 0
    .kernarg_segment_align: 8
    .kernarg_segment_size: 136
    .language:       OpenCL C
    .language_version:
      - 2
      - 0
    .max_flat_workgroup_size: 64
    .name:           _ZN7rocprim17ROCPRIM_400000_NS6detail17trampoline_kernelINS0_14default_configENS1_27scan_by_key_config_selectorIidEEZZNS1_16scan_by_key_implILNS1_25lookback_scan_determinismE0ELb0ES3_N6thrust23THRUST_200600_302600_NS6detail15normal_iteratorINS9_10device_ptrIiEEEENSB_INSC_IdEEEESG_dNS9_4plusIvEENS9_8equal_toIvEEdEE10hipError_tPvRmT2_T3_T4_T5_mT6_T7_P12ihipStream_tbENKUlT_T0_E_clISt17integral_constantIbLb1EES11_EEDaSW_SX_EUlSW_E_NS1_11comp_targetILNS1_3genE2ELNS1_11target_archE906ELNS1_3gpuE6ELNS1_3repE0EEENS1_30default_config_static_selectorELNS0_4arch9wavefront6targetE0EEEvT1_
    .private_segment_fixed_size: 0
    .sgpr_count:     0
    .sgpr_spill_count: 0
    .symbol:         _ZN7rocprim17ROCPRIM_400000_NS6detail17trampoline_kernelINS0_14default_configENS1_27scan_by_key_config_selectorIidEEZZNS1_16scan_by_key_implILNS1_25lookback_scan_determinismE0ELb0ES3_N6thrust23THRUST_200600_302600_NS6detail15normal_iteratorINS9_10device_ptrIiEEEENSB_INSC_IdEEEESG_dNS9_4plusIvEENS9_8equal_toIvEEdEE10hipError_tPvRmT2_T3_T4_T5_mT6_T7_P12ihipStream_tbENKUlT_T0_E_clISt17integral_constantIbLb1EES11_EEDaSW_SX_EUlSW_E_NS1_11comp_targetILNS1_3genE2ELNS1_11target_archE906ELNS1_3gpuE6ELNS1_3repE0EEENS1_30default_config_static_selectorELNS0_4arch9wavefront6targetE0EEEvT1_.kd
    .uniform_work_group_size: 1
    .uses_dynamic_stack: false
    .vgpr_count:     0
    .vgpr_spill_count: 0
    .wavefront_size: 32
    .workgroup_processor_mode: 1
  - .args:
      - .offset:         0
        .size:           136
        .value_kind:     by_value
    .group_segment_fixed_size: 0
    .kernarg_segment_align: 8
    .kernarg_segment_size: 136
    .language:       OpenCL C
    .language_version:
      - 2
      - 0
    .max_flat_workgroup_size: 256
    .name:           _ZN7rocprim17ROCPRIM_400000_NS6detail17trampoline_kernelINS0_14default_configENS1_27scan_by_key_config_selectorIidEEZZNS1_16scan_by_key_implILNS1_25lookback_scan_determinismE0ELb0ES3_N6thrust23THRUST_200600_302600_NS6detail15normal_iteratorINS9_10device_ptrIiEEEENSB_INSC_IdEEEESG_dNS9_4plusIvEENS9_8equal_toIvEEdEE10hipError_tPvRmT2_T3_T4_T5_mT6_T7_P12ihipStream_tbENKUlT_T0_E_clISt17integral_constantIbLb1EES11_EEDaSW_SX_EUlSW_E_NS1_11comp_targetILNS1_3genE10ELNS1_11target_archE1200ELNS1_3gpuE4ELNS1_3repE0EEENS1_30default_config_static_selectorELNS0_4arch9wavefront6targetE0EEEvT1_
    .private_segment_fixed_size: 0
    .sgpr_count:     0
    .sgpr_spill_count: 0
    .symbol:         _ZN7rocprim17ROCPRIM_400000_NS6detail17trampoline_kernelINS0_14default_configENS1_27scan_by_key_config_selectorIidEEZZNS1_16scan_by_key_implILNS1_25lookback_scan_determinismE0ELb0ES3_N6thrust23THRUST_200600_302600_NS6detail15normal_iteratorINS9_10device_ptrIiEEEENSB_INSC_IdEEEESG_dNS9_4plusIvEENS9_8equal_toIvEEdEE10hipError_tPvRmT2_T3_T4_T5_mT6_T7_P12ihipStream_tbENKUlT_T0_E_clISt17integral_constantIbLb1EES11_EEDaSW_SX_EUlSW_E_NS1_11comp_targetILNS1_3genE10ELNS1_11target_archE1200ELNS1_3gpuE4ELNS1_3repE0EEENS1_30default_config_static_selectorELNS0_4arch9wavefront6targetE0EEEvT1_.kd
    .uniform_work_group_size: 1
    .uses_dynamic_stack: false
    .vgpr_count:     0
    .vgpr_spill_count: 0
    .wavefront_size: 32
    .workgroup_processor_mode: 1
  - .args:
      - .offset:         0
        .size:           136
        .value_kind:     by_value
    .group_segment_fixed_size: 0
    .kernarg_segment_align: 8
    .kernarg_segment_size: 136
    .language:       OpenCL C
    .language_version:
      - 2
      - 0
    .max_flat_workgroup_size: 256
    .name:           _ZN7rocprim17ROCPRIM_400000_NS6detail17trampoline_kernelINS0_14default_configENS1_27scan_by_key_config_selectorIidEEZZNS1_16scan_by_key_implILNS1_25lookback_scan_determinismE0ELb0ES3_N6thrust23THRUST_200600_302600_NS6detail15normal_iteratorINS9_10device_ptrIiEEEENSB_INSC_IdEEEESG_dNS9_4plusIvEENS9_8equal_toIvEEdEE10hipError_tPvRmT2_T3_T4_T5_mT6_T7_P12ihipStream_tbENKUlT_T0_E_clISt17integral_constantIbLb1EES11_EEDaSW_SX_EUlSW_E_NS1_11comp_targetILNS1_3genE9ELNS1_11target_archE1100ELNS1_3gpuE3ELNS1_3repE0EEENS1_30default_config_static_selectorELNS0_4arch9wavefront6targetE0EEEvT1_
    .private_segment_fixed_size: 0
    .sgpr_count:     0
    .sgpr_spill_count: 0
    .symbol:         _ZN7rocprim17ROCPRIM_400000_NS6detail17trampoline_kernelINS0_14default_configENS1_27scan_by_key_config_selectorIidEEZZNS1_16scan_by_key_implILNS1_25lookback_scan_determinismE0ELb0ES3_N6thrust23THRUST_200600_302600_NS6detail15normal_iteratorINS9_10device_ptrIiEEEENSB_INSC_IdEEEESG_dNS9_4plusIvEENS9_8equal_toIvEEdEE10hipError_tPvRmT2_T3_T4_T5_mT6_T7_P12ihipStream_tbENKUlT_T0_E_clISt17integral_constantIbLb1EES11_EEDaSW_SX_EUlSW_E_NS1_11comp_targetILNS1_3genE9ELNS1_11target_archE1100ELNS1_3gpuE3ELNS1_3repE0EEENS1_30default_config_static_selectorELNS0_4arch9wavefront6targetE0EEEvT1_.kd
    .uniform_work_group_size: 1
    .uses_dynamic_stack: false
    .vgpr_count:     0
    .vgpr_spill_count: 0
    .wavefront_size: 32
    .workgroup_processor_mode: 1
  - .args:
      - .offset:         0
        .size:           136
        .value_kind:     by_value
    .group_segment_fixed_size: 0
    .kernarg_segment_align: 8
    .kernarg_segment_size: 136
    .language:       OpenCL C
    .language_version:
      - 2
      - 0
    .max_flat_workgroup_size: 256
    .name:           _ZN7rocprim17ROCPRIM_400000_NS6detail17trampoline_kernelINS0_14default_configENS1_27scan_by_key_config_selectorIidEEZZNS1_16scan_by_key_implILNS1_25lookback_scan_determinismE0ELb0ES3_N6thrust23THRUST_200600_302600_NS6detail15normal_iteratorINS9_10device_ptrIiEEEENSB_INSC_IdEEEESG_dNS9_4plusIvEENS9_8equal_toIvEEdEE10hipError_tPvRmT2_T3_T4_T5_mT6_T7_P12ihipStream_tbENKUlT_T0_E_clISt17integral_constantIbLb1EES11_EEDaSW_SX_EUlSW_E_NS1_11comp_targetILNS1_3genE8ELNS1_11target_archE1030ELNS1_3gpuE2ELNS1_3repE0EEENS1_30default_config_static_selectorELNS0_4arch9wavefront6targetE0EEEvT1_
    .private_segment_fixed_size: 0
    .sgpr_count:     0
    .sgpr_spill_count: 0
    .symbol:         _ZN7rocprim17ROCPRIM_400000_NS6detail17trampoline_kernelINS0_14default_configENS1_27scan_by_key_config_selectorIidEEZZNS1_16scan_by_key_implILNS1_25lookback_scan_determinismE0ELb0ES3_N6thrust23THRUST_200600_302600_NS6detail15normal_iteratorINS9_10device_ptrIiEEEENSB_INSC_IdEEEESG_dNS9_4plusIvEENS9_8equal_toIvEEdEE10hipError_tPvRmT2_T3_T4_T5_mT6_T7_P12ihipStream_tbENKUlT_T0_E_clISt17integral_constantIbLb1EES11_EEDaSW_SX_EUlSW_E_NS1_11comp_targetILNS1_3genE8ELNS1_11target_archE1030ELNS1_3gpuE2ELNS1_3repE0EEENS1_30default_config_static_selectorELNS0_4arch9wavefront6targetE0EEEvT1_.kd
    .uniform_work_group_size: 1
    .uses_dynamic_stack: false
    .vgpr_count:     0
    .vgpr_spill_count: 0
    .wavefront_size: 32
    .workgroup_processor_mode: 1
  - .args:
      - .offset:         0
        .size:           24
        .value_kind:     by_value
      - .offset:         24
        .size:           4
        .value_kind:     by_value
      - .offset:         28
        .size:           4
        .value_kind:     by_value
      - .address_space:  global
        .offset:         32
        .size:           8
        .value_kind:     global_buffer
      - .address_space:  global
        .offset:         40
        .size:           8
        .value_kind:     global_buffer
      - .actual_access:  write_only
        .address_space:  global
        .offset:         48
        .size:           8
        .value_kind:     global_buffer
      - .offset:         56
        .size:           8
        .value_kind:     by_value
      - .offset:         64
        .size:           4
        .value_kind:     by_value
      - .offset:         68
        .size:           1
        .value_kind:     by_value
      - .offset:         72
        .size:           4
        .value_kind:     hidden_block_count_x
      - .offset:         76
        .size:           4
        .value_kind:     hidden_block_count_y
      - .offset:         80
        .size:           4
        .value_kind:     hidden_block_count_z
      - .offset:         84
        .size:           2
        .value_kind:     hidden_group_size_x
      - .offset:         86
        .size:           2
        .value_kind:     hidden_group_size_y
      - .offset:         88
        .size:           2
        .value_kind:     hidden_group_size_z
      - .offset:         90
        .size:           2
        .value_kind:     hidden_remainder_x
      - .offset:         92
        .size:           2
        .value_kind:     hidden_remainder_y
      - .offset:         94
        .size:           2
        .value_kind:     hidden_remainder_z
      - .offset:         112
        .size:           8
        .value_kind:     hidden_global_offset_x
      - .offset:         120
        .size:           8
        .value_kind:     hidden_global_offset_y
      - .offset:         128
        .size:           8
        .value_kind:     hidden_global_offset_z
      - .offset:         136
        .size:           2
        .value_kind:     hidden_grid_dims
    .group_segment_fixed_size: 0
    .kernarg_segment_align: 8
    .kernarg_segment_size: 328
    .language:       OpenCL C
    .language_version:
      - 2
      - 0
    .max_flat_workgroup_size: 256
    .name:           _ZN7rocprim17ROCPRIM_400000_NS6detail30init_device_scan_by_key_kernelINS1_19lookback_scan_stateINS0_5tupleIJdbEEELb1ELb0EEEN6thrust23THRUST_200600_302600_NS6detail15normal_iteratorINS8_10device_ptrIiEEEEjNS1_16block_id_wrapperIjLb0EEEEEvT_jjPNSG_10value_typeET0_PNSt15iterator_traitsISJ_E10value_typeEmT1_T2_
    .private_segment_fixed_size: 0
    .sgpr_count:     25
    .sgpr_spill_count: 0
    .symbol:         _ZN7rocprim17ROCPRIM_400000_NS6detail30init_device_scan_by_key_kernelINS1_19lookback_scan_stateINS0_5tupleIJdbEEELb1ELb0EEEN6thrust23THRUST_200600_302600_NS6detail15normal_iteratorINS8_10device_ptrIiEEEEjNS1_16block_id_wrapperIjLb0EEEEEvT_jjPNSG_10value_typeET0_PNSt15iterator_traitsISJ_E10value_typeEmT1_T2_.kd
    .uniform_work_group_size: 1
    .uses_dynamic_stack: false
    .vgpr_count:     7
    .vgpr_spill_count: 0
    .wavefront_size: 32
    .workgroup_processor_mode: 1
  - .args:
      - .offset:         0
        .size:           24
        .value_kind:     by_value
      - .offset:         24
        .size:           4
        .value_kind:     by_value
      - .offset:         28
        .size:           4
        .value_kind:     by_value
      - .address_space:  global
        .offset:         32
        .size:           8
        .value_kind:     global_buffer
      - .offset:         40
        .size:           1
        .value_kind:     by_value
      - .offset:         48
        .size:           4
        .value_kind:     hidden_block_count_x
      - .offset:         52
        .size:           4
        .value_kind:     hidden_block_count_y
      - .offset:         56
        .size:           4
        .value_kind:     hidden_block_count_z
      - .offset:         60
        .size:           2
        .value_kind:     hidden_group_size_x
      - .offset:         62
        .size:           2
        .value_kind:     hidden_group_size_y
      - .offset:         64
        .size:           2
        .value_kind:     hidden_group_size_z
      - .offset:         66
        .size:           2
        .value_kind:     hidden_remainder_x
      - .offset:         68
        .size:           2
        .value_kind:     hidden_remainder_y
      - .offset:         70
        .size:           2
        .value_kind:     hidden_remainder_z
      - .offset:         88
        .size:           8
        .value_kind:     hidden_global_offset_x
      - .offset:         96
        .size:           8
        .value_kind:     hidden_global_offset_y
      - .offset:         104
        .size:           8
        .value_kind:     hidden_global_offset_z
      - .offset:         112
        .size:           2
        .value_kind:     hidden_grid_dims
    .group_segment_fixed_size: 0
    .kernarg_segment_align: 8
    .kernarg_segment_size: 304
    .language:       OpenCL C
    .language_version:
      - 2
      - 0
    .max_flat_workgroup_size: 256
    .name:           _ZN7rocprim17ROCPRIM_400000_NS6detail30init_device_scan_by_key_kernelINS1_19lookback_scan_stateINS0_5tupleIJdbEEELb1ELb0EEENS1_16block_id_wrapperIjLb0EEEEEvT_jjPNS9_10value_typeET0_
    .private_segment_fixed_size: 0
    .sgpr_count:     19
    .sgpr_spill_count: 0
    .symbol:         _ZN7rocprim17ROCPRIM_400000_NS6detail30init_device_scan_by_key_kernelINS1_19lookback_scan_stateINS0_5tupleIJdbEEELb1ELb0EEENS1_16block_id_wrapperIjLb0EEEEEvT_jjPNS9_10value_typeET0_.kd
    .uniform_work_group_size: 1
    .uses_dynamic_stack: false
    .vgpr_count:     5
    .vgpr_spill_count: 0
    .wavefront_size: 32
    .workgroup_processor_mode: 1
  - .args:
      - .offset:         0
        .size:           136
        .value_kind:     by_value
    .group_segment_fixed_size: 0
    .kernarg_segment_align: 8
    .kernarg_segment_size: 136
    .language:       OpenCL C
    .language_version:
      - 2
      - 0
    .max_flat_workgroup_size: 128
    .name:           _ZN7rocprim17ROCPRIM_400000_NS6detail17trampoline_kernelINS0_14default_configENS1_27scan_by_key_config_selectorIidEEZZNS1_16scan_by_key_implILNS1_25lookback_scan_determinismE0ELb0ES3_N6thrust23THRUST_200600_302600_NS6detail15normal_iteratorINS9_10device_ptrIiEEEENSB_INSC_IdEEEESG_dNS9_4plusIvEENS9_8equal_toIvEEdEE10hipError_tPvRmT2_T3_T4_T5_mT6_T7_P12ihipStream_tbENKUlT_T0_E_clISt17integral_constantIbLb1EES10_IbLb0EEEEDaSW_SX_EUlSW_E_NS1_11comp_targetILNS1_3genE0ELNS1_11target_archE4294967295ELNS1_3gpuE0ELNS1_3repE0EEENS1_30default_config_static_selectorELNS0_4arch9wavefront6targetE0EEEvT1_
    .private_segment_fixed_size: 0
    .sgpr_count:     0
    .sgpr_spill_count: 0
    .symbol:         _ZN7rocprim17ROCPRIM_400000_NS6detail17trampoline_kernelINS0_14default_configENS1_27scan_by_key_config_selectorIidEEZZNS1_16scan_by_key_implILNS1_25lookback_scan_determinismE0ELb0ES3_N6thrust23THRUST_200600_302600_NS6detail15normal_iteratorINS9_10device_ptrIiEEEENSB_INSC_IdEEEESG_dNS9_4plusIvEENS9_8equal_toIvEEdEE10hipError_tPvRmT2_T3_T4_T5_mT6_T7_P12ihipStream_tbENKUlT_T0_E_clISt17integral_constantIbLb1EES10_IbLb0EEEEDaSW_SX_EUlSW_E_NS1_11comp_targetILNS1_3genE0ELNS1_11target_archE4294967295ELNS1_3gpuE0ELNS1_3repE0EEENS1_30default_config_static_selectorELNS0_4arch9wavefront6targetE0EEEvT1_.kd
    .uniform_work_group_size: 1
    .uses_dynamic_stack: false
    .vgpr_count:     0
    .vgpr_spill_count: 0
    .wavefront_size: 32
    .workgroup_processor_mode: 1
  - .args:
      - .offset:         0
        .size:           136
        .value_kind:     by_value
    .group_segment_fixed_size: 0
    .kernarg_segment_align: 8
    .kernarg_segment_size: 136
    .language:       OpenCL C
    .language_version:
      - 2
      - 0
    .max_flat_workgroup_size: 256
    .name:           _ZN7rocprim17ROCPRIM_400000_NS6detail17trampoline_kernelINS0_14default_configENS1_27scan_by_key_config_selectorIidEEZZNS1_16scan_by_key_implILNS1_25lookback_scan_determinismE0ELb0ES3_N6thrust23THRUST_200600_302600_NS6detail15normal_iteratorINS9_10device_ptrIiEEEENSB_INSC_IdEEEESG_dNS9_4plusIvEENS9_8equal_toIvEEdEE10hipError_tPvRmT2_T3_T4_T5_mT6_T7_P12ihipStream_tbENKUlT_T0_E_clISt17integral_constantIbLb1EES10_IbLb0EEEEDaSW_SX_EUlSW_E_NS1_11comp_targetILNS1_3genE10ELNS1_11target_archE1201ELNS1_3gpuE5ELNS1_3repE0EEENS1_30default_config_static_selectorELNS0_4arch9wavefront6targetE0EEEvT1_
    .private_segment_fixed_size: 0
    .sgpr_count:     0
    .sgpr_spill_count: 0
    .symbol:         _ZN7rocprim17ROCPRIM_400000_NS6detail17trampoline_kernelINS0_14default_configENS1_27scan_by_key_config_selectorIidEEZZNS1_16scan_by_key_implILNS1_25lookback_scan_determinismE0ELb0ES3_N6thrust23THRUST_200600_302600_NS6detail15normal_iteratorINS9_10device_ptrIiEEEENSB_INSC_IdEEEESG_dNS9_4plusIvEENS9_8equal_toIvEEdEE10hipError_tPvRmT2_T3_T4_T5_mT6_T7_P12ihipStream_tbENKUlT_T0_E_clISt17integral_constantIbLb1EES10_IbLb0EEEEDaSW_SX_EUlSW_E_NS1_11comp_targetILNS1_3genE10ELNS1_11target_archE1201ELNS1_3gpuE5ELNS1_3repE0EEENS1_30default_config_static_selectorELNS0_4arch9wavefront6targetE0EEEvT1_.kd
    .uniform_work_group_size: 1
    .uses_dynamic_stack: false
    .vgpr_count:     0
    .vgpr_spill_count: 0
    .wavefront_size: 32
    .workgroup_processor_mode: 1
  - .args:
      - .offset:         0
        .size:           136
        .value_kind:     by_value
    .group_segment_fixed_size: 0
    .kernarg_segment_align: 8
    .kernarg_segment_size: 136
    .language:       OpenCL C
    .language_version:
      - 2
      - 0
    .max_flat_workgroup_size: 256
    .name:           _ZN7rocprim17ROCPRIM_400000_NS6detail17trampoline_kernelINS0_14default_configENS1_27scan_by_key_config_selectorIidEEZZNS1_16scan_by_key_implILNS1_25lookback_scan_determinismE0ELb0ES3_N6thrust23THRUST_200600_302600_NS6detail15normal_iteratorINS9_10device_ptrIiEEEENSB_INSC_IdEEEESG_dNS9_4plusIvEENS9_8equal_toIvEEdEE10hipError_tPvRmT2_T3_T4_T5_mT6_T7_P12ihipStream_tbENKUlT_T0_E_clISt17integral_constantIbLb1EES10_IbLb0EEEEDaSW_SX_EUlSW_E_NS1_11comp_targetILNS1_3genE5ELNS1_11target_archE942ELNS1_3gpuE9ELNS1_3repE0EEENS1_30default_config_static_selectorELNS0_4arch9wavefront6targetE0EEEvT1_
    .private_segment_fixed_size: 0
    .sgpr_count:     0
    .sgpr_spill_count: 0
    .symbol:         _ZN7rocprim17ROCPRIM_400000_NS6detail17trampoline_kernelINS0_14default_configENS1_27scan_by_key_config_selectorIidEEZZNS1_16scan_by_key_implILNS1_25lookback_scan_determinismE0ELb0ES3_N6thrust23THRUST_200600_302600_NS6detail15normal_iteratorINS9_10device_ptrIiEEEENSB_INSC_IdEEEESG_dNS9_4plusIvEENS9_8equal_toIvEEdEE10hipError_tPvRmT2_T3_T4_T5_mT6_T7_P12ihipStream_tbENKUlT_T0_E_clISt17integral_constantIbLb1EES10_IbLb0EEEEDaSW_SX_EUlSW_E_NS1_11comp_targetILNS1_3genE5ELNS1_11target_archE942ELNS1_3gpuE9ELNS1_3repE0EEENS1_30default_config_static_selectorELNS0_4arch9wavefront6targetE0EEEvT1_.kd
    .uniform_work_group_size: 1
    .uses_dynamic_stack: false
    .vgpr_count:     0
    .vgpr_spill_count: 0
    .wavefront_size: 32
    .workgroup_processor_mode: 1
  - .args:
      - .offset:         0
        .size:           136
        .value_kind:     by_value
    .group_segment_fixed_size: 0
    .kernarg_segment_align: 8
    .kernarg_segment_size: 136
    .language:       OpenCL C
    .language_version:
      - 2
      - 0
    .max_flat_workgroup_size: 64
    .name:           _ZN7rocprim17ROCPRIM_400000_NS6detail17trampoline_kernelINS0_14default_configENS1_27scan_by_key_config_selectorIidEEZZNS1_16scan_by_key_implILNS1_25lookback_scan_determinismE0ELb0ES3_N6thrust23THRUST_200600_302600_NS6detail15normal_iteratorINS9_10device_ptrIiEEEENSB_INSC_IdEEEESG_dNS9_4plusIvEENS9_8equal_toIvEEdEE10hipError_tPvRmT2_T3_T4_T5_mT6_T7_P12ihipStream_tbENKUlT_T0_E_clISt17integral_constantIbLb1EES10_IbLb0EEEEDaSW_SX_EUlSW_E_NS1_11comp_targetILNS1_3genE4ELNS1_11target_archE910ELNS1_3gpuE8ELNS1_3repE0EEENS1_30default_config_static_selectorELNS0_4arch9wavefront6targetE0EEEvT1_
    .private_segment_fixed_size: 0
    .sgpr_count:     0
    .sgpr_spill_count: 0
    .symbol:         _ZN7rocprim17ROCPRIM_400000_NS6detail17trampoline_kernelINS0_14default_configENS1_27scan_by_key_config_selectorIidEEZZNS1_16scan_by_key_implILNS1_25lookback_scan_determinismE0ELb0ES3_N6thrust23THRUST_200600_302600_NS6detail15normal_iteratorINS9_10device_ptrIiEEEENSB_INSC_IdEEEESG_dNS9_4plusIvEENS9_8equal_toIvEEdEE10hipError_tPvRmT2_T3_T4_T5_mT6_T7_P12ihipStream_tbENKUlT_T0_E_clISt17integral_constantIbLb1EES10_IbLb0EEEEDaSW_SX_EUlSW_E_NS1_11comp_targetILNS1_3genE4ELNS1_11target_archE910ELNS1_3gpuE8ELNS1_3repE0EEENS1_30default_config_static_selectorELNS0_4arch9wavefront6targetE0EEEvT1_.kd
    .uniform_work_group_size: 1
    .uses_dynamic_stack: false
    .vgpr_count:     0
    .vgpr_spill_count: 0
    .wavefront_size: 32
    .workgroup_processor_mode: 1
  - .args:
      - .offset:         0
        .size:           136
        .value_kind:     by_value
    .group_segment_fixed_size: 0
    .kernarg_segment_align: 8
    .kernarg_segment_size: 136
    .language:       OpenCL C
    .language_version:
      - 2
      - 0
    .max_flat_workgroup_size: 128
    .name:           _ZN7rocprim17ROCPRIM_400000_NS6detail17trampoline_kernelINS0_14default_configENS1_27scan_by_key_config_selectorIidEEZZNS1_16scan_by_key_implILNS1_25lookback_scan_determinismE0ELb0ES3_N6thrust23THRUST_200600_302600_NS6detail15normal_iteratorINS9_10device_ptrIiEEEENSB_INSC_IdEEEESG_dNS9_4plusIvEENS9_8equal_toIvEEdEE10hipError_tPvRmT2_T3_T4_T5_mT6_T7_P12ihipStream_tbENKUlT_T0_E_clISt17integral_constantIbLb1EES10_IbLb0EEEEDaSW_SX_EUlSW_E_NS1_11comp_targetILNS1_3genE3ELNS1_11target_archE908ELNS1_3gpuE7ELNS1_3repE0EEENS1_30default_config_static_selectorELNS0_4arch9wavefront6targetE0EEEvT1_
    .private_segment_fixed_size: 0
    .sgpr_count:     0
    .sgpr_spill_count: 0
    .symbol:         _ZN7rocprim17ROCPRIM_400000_NS6detail17trampoline_kernelINS0_14default_configENS1_27scan_by_key_config_selectorIidEEZZNS1_16scan_by_key_implILNS1_25lookback_scan_determinismE0ELb0ES3_N6thrust23THRUST_200600_302600_NS6detail15normal_iteratorINS9_10device_ptrIiEEEENSB_INSC_IdEEEESG_dNS9_4plusIvEENS9_8equal_toIvEEdEE10hipError_tPvRmT2_T3_T4_T5_mT6_T7_P12ihipStream_tbENKUlT_T0_E_clISt17integral_constantIbLb1EES10_IbLb0EEEEDaSW_SX_EUlSW_E_NS1_11comp_targetILNS1_3genE3ELNS1_11target_archE908ELNS1_3gpuE7ELNS1_3repE0EEENS1_30default_config_static_selectorELNS0_4arch9wavefront6targetE0EEEvT1_.kd
    .uniform_work_group_size: 1
    .uses_dynamic_stack: false
    .vgpr_count:     0
    .vgpr_spill_count: 0
    .wavefront_size: 32
    .workgroup_processor_mode: 1
  - .args:
      - .offset:         0
        .size:           136
        .value_kind:     by_value
    .group_segment_fixed_size: 0
    .kernarg_segment_align: 8
    .kernarg_segment_size: 136
    .language:       OpenCL C
    .language_version:
      - 2
      - 0
    .max_flat_workgroup_size: 64
    .name:           _ZN7rocprim17ROCPRIM_400000_NS6detail17trampoline_kernelINS0_14default_configENS1_27scan_by_key_config_selectorIidEEZZNS1_16scan_by_key_implILNS1_25lookback_scan_determinismE0ELb0ES3_N6thrust23THRUST_200600_302600_NS6detail15normal_iteratorINS9_10device_ptrIiEEEENSB_INSC_IdEEEESG_dNS9_4plusIvEENS9_8equal_toIvEEdEE10hipError_tPvRmT2_T3_T4_T5_mT6_T7_P12ihipStream_tbENKUlT_T0_E_clISt17integral_constantIbLb1EES10_IbLb0EEEEDaSW_SX_EUlSW_E_NS1_11comp_targetILNS1_3genE2ELNS1_11target_archE906ELNS1_3gpuE6ELNS1_3repE0EEENS1_30default_config_static_selectorELNS0_4arch9wavefront6targetE0EEEvT1_
    .private_segment_fixed_size: 0
    .sgpr_count:     0
    .sgpr_spill_count: 0
    .symbol:         _ZN7rocprim17ROCPRIM_400000_NS6detail17trampoline_kernelINS0_14default_configENS1_27scan_by_key_config_selectorIidEEZZNS1_16scan_by_key_implILNS1_25lookback_scan_determinismE0ELb0ES3_N6thrust23THRUST_200600_302600_NS6detail15normal_iteratorINS9_10device_ptrIiEEEENSB_INSC_IdEEEESG_dNS9_4plusIvEENS9_8equal_toIvEEdEE10hipError_tPvRmT2_T3_T4_T5_mT6_T7_P12ihipStream_tbENKUlT_T0_E_clISt17integral_constantIbLb1EES10_IbLb0EEEEDaSW_SX_EUlSW_E_NS1_11comp_targetILNS1_3genE2ELNS1_11target_archE906ELNS1_3gpuE6ELNS1_3repE0EEENS1_30default_config_static_selectorELNS0_4arch9wavefront6targetE0EEEvT1_.kd
    .uniform_work_group_size: 1
    .uses_dynamic_stack: false
    .vgpr_count:     0
    .vgpr_spill_count: 0
    .wavefront_size: 32
    .workgroup_processor_mode: 1
  - .args:
      - .offset:         0
        .size:           136
        .value_kind:     by_value
    .group_segment_fixed_size: 0
    .kernarg_segment_align: 8
    .kernarg_segment_size: 136
    .language:       OpenCL C
    .language_version:
      - 2
      - 0
    .max_flat_workgroup_size: 256
    .name:           _ZN7rocprim17ROCPRIM_400000_NS6detail17trampoline_kernelINS0_14default_configENS1_27scan_by_key_config_selectorIidEEZZNS1_16scan_by_key_implILNS1_25lookback_scan_determinismE0ELb0ES3_N6thrust23THRUST_200600_302600_NS6detail15normal_iteratorINS9_10device_ptrIiEEEENSB_INSC_IdEEEESG_dNS9_4plusIvEENS9_8equal_toIvEEdEE10hipError_tPvRmT2_T3_T4_T5_mT6_T7_P12ihipStream_tbENKUlT_T0_E_clISt17integral_constantIbLb1EES10_IbLb0EEEEDaSW_SX_EUlSW_E_NS1_11comp_targetILNS1_3genE10ELNS1_11target_archE1200ELNS1_3gpuE4ELNS1_3repE0EEENS1_30default_config_static_selectorELNS0_4arch9wavefront6targetE0EEEvT1_
    .private_segment_fixed_size: 0
    .sgpr_count:     0
    .sgpr_spill_count: 0
    .symbol:         _ZN7rocprim17ROCPRIM_400000_NS6detail17trampoline_kernelINS0_14default_configENS1_27scan_by_key_config_selectorIidEEZZNS1_16scan_by_key_implILNS1_25lookback_scan_determinismE0ELb0ES3_N6thrust23THRUST_200600_302600_NS6detail15normal_iteratorINS9_10device_ptrIiEEEENSB_INSC_IdEEEESG_dNS9_4plusIvEENS9_8equal_toIvEEdEE10hipError_tPvRmT2_T3_T4_T5_mT6_T7_P12ihipStream_tbENKUlT_T0_E_clISt17integral_constantIbLb1EES10_IbLb0EEEEDaSW_SX_EUlSW_E_NS1_11comp_targetILNS1_3genE10ELNS1_11target_archE1200ELNS1_3gpuE4ELNS1_3repE0EEENS1_30default_config_static_selectorELNS0_4arch9wavefront6targetE0EEEvT1_.kd
    .uniform_work_group_size: 1
    .uses_dynamic_stack: false
    .vgpr_count:     0
    .vgpr_spill_count: 0
    .wavefront_size: 32
    .workgroup_processor_mode: 1
  - .args:
      - .offset:         0
        .size:           136
        .value_kind:     by_value
    .group_segment_fixed_size: 0
    .kernarg_segment_align: 8
    .kernarg_segment_size: 136
    .language:       OpenCL C
    .language_version:
      - 2
      - 0
    .max_flat_workgroup_size: 256
    .name:           _ZN7rocprim17ROCPRIM_400000_NS6detail17trampoline_kernelINS0_14default_configENS1_27scan_by_key_config_selectorIidEEZZNS1_16scan_by_key_implILNS1_25lookback_scan_determinismE0ELb0ES3_N6thrust23THRUST_200600_302600_NS6detail15normal_iteratorINS9_10device_ptrIiEEEENSB_INSC_IdEEEESG_dNS9_4plusIvEENS9_8equal_toIvEEdEE10hipError_tPvRmT2_T3_T4_T5_mT6_T7_P12ihipStream_tbENKUlT_T0_E_clISt17integral_constantIbLb1EES10_IbLb0EEEEDaSW_SX_EUlSW_E_NS1_11comp_targetILNS1_3genE9ELNS1_11target_archE1100ELNS1_3gpuE3ELNS1_3repE0EEENS1_30default_config_static_selectorELNS0_4arch9wavefront6targetE0EEEvT1_
    .private_segment_fixed_size: 0
    .sgpr_count:     0
    .sgpr_spill_count: 0
    .symbol:         _ZN7rocprim17ROCPRIM_400000_NS6detail17trampoline_kernelINS0_14default_configENS1_27scan_by_key_config_selectorIidEEZZNS1_16scan_by_key_implILNS1_25lookback_scan_determinismE0ELb0ES3_N6thrust23THRUST_200600_302600_NS6detail15normal_iteratorINS9_10device_ptrIiEEEENSB_INSC_IdEEEESG_dNS9_4plusIvEENS9_8equal_toIvEEdEE10hipError_tPvRmT2_T3_T4_T5_mT6_T7_P12ihipStream_tbENKUlT_T0_E_clISt17integral_constantIbLb1EES10_IbLb0EEEEDaSW_SX_EUlSW_E_NS1_11comp_targetILNS1_3genE9ELNS1_11target_archE1100ELNS1_3gpuE3ELNS1_3repE0EEENS1_30default_config_static_selectorELNS0_4arch9wavefront6targetE0EEEvT1_.kd
    .uniform_work_group_size: 1
    .uses_dynamic_stack: false
    .vgpr_count:     0
    .vgpr_spill_count: 0
    .wavefront_size: 32
    .workgroup_processor_mode: 1
  - .args:
      - .offset:         0
        .size:           136
        .value_kind:     by_value
    .group_segment_fixed_size: 0
    .kernarg_segment_align: 8
    .kernarg_segment_size: 136
    .language:       OpenCL C
    .language_version:
      - 2
      - 0
    .max_flat_workgroup_size: 256
    .name:           _ZN7rocprim17ROCPRIM_400000_NS6detail17trampoline_kernelINS0_14default_configENS1_27scan_by_key_config_selectorIidEEZZNS1_16scan_by_key_implILNS1_25lookback_scan_determinismE0ELb0ES3_N6thrust23THRUST_200600_302600_NS6detail15normal_iteratorINS9_10device_ptrIiEEEENSB_INSC_IdEEEESG_dNS9_4plusIvEENS9_8equal_toIvEEdEE10hipError_tPvRmT2_T3_T4_T5_mT6_T7_P12ihipStream_tbENKUlT_T0_E_clISt17integral_constantIbLb1EES10_IbLb0EEEEDaSW_SX_EUlSW_E_NS1_11comp_targetILNS1_3genE8ELNS1_11target_archE1030ELNS1_3gpuE2ELNS1_3repE0EEENS1_30default_config_static_selectorELNS0_4arch9wavefront6targetE0EEEvT1_
    .private_segment_fixed_size: 0
    .sgpr_count:     0
    .sgpr_spill_count: 0
    .symbol:         _ZN7rocprim17ROCPRIM_400000_NS6detail17trampoline_kernelINS0_14default_configENS1_27scan_by_key_config_selectorIidEEZZNS1_16scan_by_key_implILNS1_25lookback_scan_determinismE0ELb0ES3_N6thrust23THRUST_200600_302600_NS6detail15normal_iteratorINS9_10device_ptrIiEEEENSB_INSC_IdEEEESG_dNS9_4plusIvEENS9_8equal_toIvEEdEE10hipError_tPvRmT2_T3_T4_T5_mT6_T7_P12ihipStream_tbENKUlT_T0_E_clISt17integral_constantIbLb1EES10_IbLb0EEEEDaSW_SX_EUlSW_E_NS1_11comp_targetILNS1_3genE8ELNS1_11target_archE1030ELNS1_3gpuE2ELNS1_3repE0EEENS1_30default_config_static_selectorELNS0_4arch9wavefront6targetE0EEEvT1_.kd
    .uniform_work_group_size: 1
    .uses_dynamic_stack: false
    .vgpr_count:     0
    .vgpr_spill_count: 0
    .wavefront_size: 32
    .workgroup_processor_mode: 1
  - .args:
      - .offset:         0
        .size:           24
        .value_kind:     by_value
      - .offset:         24
        .size:           4
        .value_kind:     by_value
      - .offset:         28
        .size:           4
        .value_kind:     by_value
      - .address_space:  global
        .offset:         32
        .size:           8
        .value_kind:     global_buffer
      - .address_space:  global
        .offset:         40
        .size:           8
        .value_kind:     global_buffer
      - .actual_access:  write_only
        .address_space:  global
        .offset:         48
        .size:           8
        .value_kind:     global_buffer
      - .offset:         56
        .size:           8
        .value_kind:     by_value
      - .offset:         64
        .size:           4
        .value_kind:     by_value
      - .address_space:  global
        .offset:         72
        .size:           8
        .value_kind:     global_buffer
      - .offset:         80
        .size:           4
        .value_kind:     hidden_block_count_x
      - .offset:         84
        .size:           4
        .value_kind:     hidden_block_count_y
      - .offset:         88
        .size:           4
        .value_kind:     hidden_block_count_z
      - .offset:         92
        .size:           2
        .value_kind:     hidden_group_size_x
      - .offset:         94
        .size:           2
        .value_kind:     hidden_group_size_y
      - .offset:         96
        .size:           2
        .value_kind:     hidden_group_size_z
      - .offset:         98
        .size:           2
        .value_kind:     hidden_remainder_x
      - .offset:         100
        .size:           2
        .value_kind:     hidden_remainder_y
      - .offset:         102
        .size:           2
        .value_kind:     hidden_remainder_z
      - .offset:         120
        .size:           8
        .value_kind:     hidden_global_offset_x
      - .offset:         128
        .size:           8
        .value_kind:     hidden_global_offset_y
      - .offset:         136
        .size:           8
        .value_kind:     hidden_global_offset_z
      - .offset:         144
        .size:           2
        .value_kind:     hidden_grid_dims
    .group_segment_fixed_size: 0
    .kernarg_segment_align: 8
    .kernarg_segment_size: 336
    .language:       OpenCL C
    .language_version:
      - 2
      - 0
    .max_flat_workgroup_size: 256
    .name:           _ZN7rocprim17ROCPRIM_400000_NS6detail30init_device_scan_by_key_kernelINS1_19lookback_scan_stateINS0_5tupleIJdbEEELb0ELb0EEEN6thrust23THRUST_200600_302600_NS6detail15normal_iteratorINS8_10device_ptrIiEEEEjNS1_16block_id_wrapperIjLb1EEEEEvT_jjPNSG_10value_typeET0_PNSt15iterator_traitsISJ_E10value_typeEmT1_T2_
    .private_segment_fixed_size: 0
    .sgpr_count:     24
    .sgpr_spill_count: 0
    .symbol:         _ZN7rocprim17ROCPRIM_400000_NS6detail30init_device_scan_by_key_kernelINS1_19lookback_scan_stateINS0_5tupleIJdbEEELb0ELb0EEEN6thrust23THRUST_200600_302600_NS6detail15normal_iteratorINS8_10device_ptrIiEEEEjNS1_16block_id_wrapperIjLb1EEEEEvT_jjPNSG_10value_typeET0_PNSt15iterator_traitsISJ_E10value_typeEmT1_T2_.kd
    .uniform_work_group_size: 1
    .uses_dynamic_stack: false
    .vgpr_count:     7
    .vgpr_spill_count: 0
    .wavefront_size: 32
    .workgroup_processor_mode: 1
  - .args:
      - .offset:         0
        .size:           24
        .value_kind:     by_value
      - .offset:         24
        .size:           4
        .value_kind:     by_value
      - .offset:         28
        .size:           4
        .value_kind:     by_value
      - .address_space:  global
        .offset:         32
        .size:           8
        .value_kind:     global_buffer
      - .address_space:  global
        .offset:         40
        .size:           8
        .value_kind:     global_buffer
      - .offset:         48
        .size:           4
        .value_kind:     hidden_block_count_x
      - .offset:         52
        .size:           4
        .value_kind:     hidden_block_count_y
      - .offset:         56
        .size:           4
        .value_kind:     hidden_block_count_z
      - .offset:         60
        .size:           2
        .value_kind:     hidden_group_size_x
      - .offset:         62
        .size:           2
        .value_kind:     hidden_group_size_y
      - .offset:         64
        .size:           2
        .value_kind:     hidden_group_size_z
      - .offset:         66
        .size:           2
        .value_kind:     hidden_remainder_x
      - .offset:         68
        .size:           2
        .value_kind:     hidden_remainder_y
      - .offset:         70
        .size:           2
        .value_kind:     hidden_remainder_z
      - .offset:         88
        .size:           8
        .value_kind:     hidden_global_offset_x
      - .offset:         96
        .size:           8
        .value_kind:     hidden_global_offset_y
      - .offset:         104
        .size:           8
        .value_kind:     hidden_global_offset_z
      - .offset:         112
        .size:           2
        .value_kind:     hidden_grid_dims
    .group_segment_fixed_size: 0
    .kernarg_segment_align: 8
    .kernarg_segment_size: 304
    .language:       OpenCL C
    .language_version:
      - 2
      - 0
    .max_flat_workgroup_size: 256
    .name:           _ZN7rocprim17ROCPRIM_400000_NS6detail30init_device_scan_by_key_kernelINS1_19lookback_scan_stateINS0_5tupleIJdbEEELb0ELb0EEENS1_16block_id_wrapperIjLb1EEEEEvT_jjPNS9_10value_typeET0_
    .private_segment_fixed_size: 0
    .sgpr_count:     20
    .sgpr_spill_count: 0
    .symbol:         _ZN7rocprim17ROCPRIM_400000_NS6detail30init_device_scan_by_key_kernelINS1_19lookback_scan_stateINS0_5tupleIJdbEEELb0ELb0EEENS1_16block_id_wrapperIjLb1EEEEEvT_jjPNS9_10value_typeET0_.kd
    .uniform_work_group_size: 1
    .uses_dynamic_stack: false
    .vgpr_count:     5
    .vgpr_spill_count: 0
    .wavefront_size: 32
    .workgroup_processor_mode: 1
  - .args:
      - .offset:         0
        .size:           136
        .value_kind:     by_value
    .group_segment_fixed_size: 0
    .kernarg_segment_align: 8
    .kernarg_segment_size: 136
    .language:       OpenCL C
    .language_version:
      - 2
      - 0
    .max_flat_workgroup_size: 128
    .name:           _ZN7rocprim17ROCPRIM_400000_NS6detail17trampoline_kernelINS0_14default_configENS1_27scan_by_key_config_selectorIidEEZZNS1_16scan_by_key_implILNS1_25lookback_scan_determinismE0ELb0ES3_N6thrust23THRUST_200600_302600_NS6detail15normal_iteratorINS9_10device_ptrIiEEEENSB_INSC_IdEEEESG_dNS9_4plusIvEENS9_8equal_toIvEEdEE10hipError_tPvRmT2_T3_T4_T5_mT6_T7_P12ihipStream_tbENKUlT_T0_E_clISt17integral_constantIbLb0EES10_IbLb1EEEEDaSW_SX_EUlSW_E_NS1_11comp_targetILNS1_3genE0ELNS1_11target_archE4294967295ELNS1_3gpuE0ELNS1_3repE0EEENS1_30default_config_static_selectorELNS0_4arch9wavefront6targetE0EEEvT1_
    .private_segment_fixed_size: 0
    .sgpr_count:     0
    .sgpr_spill_count: 0
    .symbol:         _ZN7rocprim17ROCPRIM_400000_NS6detail17trampoline_kernelINS0_14default_configENS1_27scan_by_key_config_selectorIidEEZZNS1_16scan_by_key_implILNS1_25lookback_scan_determinismE0ELb0ES3_N6thrust23THRUST_200600_302600_NS6detail15normal_iteratorINS9_10device_ptrIiEEEENSB_INSC_IdEEEESG_dNS9_4plusIvEENS9_8equal_toIvEEdEE10hipError_tPvRmT2_T3_T4_T5_mT6_T7_P12ihipStream_tbENKUlT_T0_E_clISt17integral_constantIbLb0EES10_IbLb1EEEEDaSW_SX_EUlSW_E_NS1_11comp_targetILNS1_3genE0ELNS1_11target_archE4294967295ELNS1_3gpuE0ELNS1_3repE0EEENS1_30default_config_static_selectorELNS0_4arch9wavefront6targetE0EEEvT1_.kd
    .uniform_work_group_size: 1
    .uses_dynamic_stack: false
    .vgpr_count:     0
    .vgpr_spill_count: 0
    .wavefront_size: 32
    .workgroup_processor_mode: 1
  - .args:
      - .offset:         0
        .size:           136
        .value_kind:     by_value
    .group_segment_fixed_size: 0
    .kernarg_segment_align: 8
    .kernarg_segment_size: 136
    .language:       OpenCL C
    .language_version:
      - 2
      - 0
    .max_flat_workgroup_size: 256
    .name:           _ZN7rocprim17ROCPRIM_400000_NS6detail17trampoline_kernelINS0_14default_configENS1_27scan_by_key_config_selectorIidEEZZNS1_16scan_by_key_implILNS1_25lookback_scan_determinismE0ELb0ES3_N6thrust23THRUST_200600_302600_NS6detail15normal_iteratorINS9_10device_ptrIiEEEENSB_INSC_IdEEEESG_dNS9_4plusIvEENS9_8equal_toIvEEdEE10hipError_tPvRmT2_T3_T4_T5_mT6_T7_P12ihipStream_tbENKUlT_T0_E_clISt17integral_constantIbLb0EES10_IbLb1EEEEDaSW_SX_EUlSW_E_NS1_11comp_targetILNS1_3genE10ELNS1_11target_archE1201ELNS1_3gpuE5ELNS1_3repE0EEENS1_30default_config_static_selectorELNS0_4arch9wavefront6targetE0EEEvT1_
    .private_segment_fixed_size: 0
    .sgpr_count:     0
    .sgpr_spill_count: 0
    .symbol:         _ZN7rocprim17ROCPRIM_400000_NS6detail17trampoline_kernelINS0_14default_configENS1_27scan_by_key_config_selectorIidEEZZNS1_16scan_by_key_implILNS1_25lookback_scan_determinismE0ELb0ES3_N6thrust23THRUST_200600_302600_NS6detail15normal_iteratorINS9_10device_ptrIiEEEENSB_INSC_IdEEEESG_dNS9_4plusIvEENS9_8equal_toIvEEdEE10hipError_tPvRmT2_T3_T4_T5_mT6_T7_P12ihipStream_tbENKUlT_T0_E_clISt17integral_constantIbLb0EES10_IbLb1EEEEDaSW_SX_EUlSW_E_NS1_11comp_targetILNS1_3genE10ELNS1_11target_archE1201ELNS1_3gpuE5ELNS1_3repE0EEENS1_30default_config_static_selectorELNS0_4arch9wavefront6targetE0EEEvT1_.kd
    .uniform_work_group_size: 1
    .uses_dynamic_stack: false
    .vgpr_count:     0
    .vgpr_spill_count: 0
    .wavefront_size: 32
    .workgroup_processor_mode: 1
  - .args:
      - .offset:         0
        .size:           136
        .value_kind:     by_value
    .group_segment_fixed_size: 0
    .kernarg_segment_align: 8
    .kernarg_segment_size: 136
    .language:       OpenCL C
    .language_version:
      - 2
      - 0
    .max_flat_workgroup_size: 256
    .name:           _ZN7rocprim17ROCPRIM_400000_NS6detail17trampoline_kernelINS0_14default_configENS1_27scan_by_key_config_selectorIidEEZZNS1_16scan_by_key_implILNS1_25lookback_scan_determinismE0ELb0ES3_N6thrust23THRUST_200600_302600_NS6detail15normal_iteratorINS9_10device_ptrIiEEEENSB_INSC_IdEEEESG_dNS9_4plusIvEENS9_8equal_toIvEEdEE10hipError_tPvRmT2_T3_T4_T5_mT6_T7_P12ihipStream_tbENKUlT_T0_E_clISt17integral_constantIbLb0EES10_IbLb1EEEEDaSW_SX_EUlSW_E_NS1_11comp_targetILNS1_3genE5ELNS1_11target_archE942ELNS1_3gpuE9ELNS1_3repE0EEENS1_30default_config_static_selectorELNS0_4arch9wavefront6targetE0EEEvT1_
    .private_segment_fixed_size: 0
    .sgpr_count:     0
    .sgpr_spill_count: 0
    .symbol:         _ZN7rocprim17ROCPRIM_400000_NS6detail17trampoline_kernelINS0_14default_configENS1_27scan_by_key_config_selectorIidEEZZNS1_16scan_by_key_implILNS1_25lookback_scan_determinismE0ELb0ES3_N6thrust23THRUST_200600_302600_NS6detail15normal_iteratorINS9_10device_ptrIiEEEENSB_INSC_IdEEEESG_dNS9_4plusIvEENS9_8equal_toIvEEdEE10hipError_tPvRmT2_T3_T4_T5_mT6_T7_P12ihipStream_tbENKUlT_T0_E_clISt17integral_constantIbLb0EES10_IbLb1EEEEDaSW_SX_EUlSW_E_NS1_11comp_targetILNS1_3genE5ELNS1_11target_archE942ELNS1_3gpuE9ELNS1_3repE0EEENS1_30default_config_static_selectorELNS0_4arch9wavefront6targetE0EEEvT1_.kd
    .uniform_work_group_size: 1
    .uses_dynamic_stack: false
    .vgpr_count:     0
    .vgpr_spill_count: 0
    .wavefront_size: 32
    .workgroup_processor_mode: 1
  - .args:
      - .offset:         0
        .size:           136
        .value_kind:     by_value
    .group_segment_fixed_size: 0
    .kernarg_segment_align: 8
    .kernarg_segment_size: 136
    .language:       OpenCL C
    .language_version:
      - 2
      - 0
    .max_flat_workgroup_size: 64
    .name:           _ZN7rocprim17ROCPRIM_400000_NS6detail17trampoline_kernelINS0_14default_configENS1_27scan_by_key_config_selectorIidEEZZNS1_16scan_by_key_implILNS1_25lookback_scan_determinismE0ELb0ES3_N6thrust23THRUST_200600_302600_NS6detail15normal_iteratorINS9_10device_ptrIiEEEENSB_INSC_IdEEEESG_dNS9_4plusIvEENS9_8equal_toIvEEdEE10hipError_tPvRmT2_T3_T4_T5_mT6_T7_P12ihipStream_tbENKUlT_T0_E_clISt17integral_constantIbLb0EES10_IbLb1EEEEDaSW_SX_EUlSW_E_NS1_11comp_targetILNS1_3genE4ELNS1_11target_archE910ELNS1_3gpuE8ELNS1_3repE0EEENS1_30default_config_static_selectorELNS0_4arch9wavefront6targetE0EEEvT1_
    .private_segment_fixed_size: 0
    .sgpr_count:     0
    .sgpr_spill_count: 0
    .symbol:         _ZN7rocprim17ROCPRIM_400000_NS6detail17trampoline_kernelINS0_14default_configENS1_27scan_by_key_config_selectorIidEEZZNS1_16scan_by_key_implILNS1_25lookback_scan_determinismE0ELb0ES3_N6thrust23THRUST_200600_302600_NS6detail15normal_iteratorINS9_10device_ptrIiEEEENSB_INSC_IdEEEESG_dNS9_4plusIvEENS9_8equal_toIvEEdEE10hipError_tPvRmT2_T3_T4_T5_mT6_T7_P12ihipStream_tbENKUlT_T0_E_clISt17integral_constantIbLb0EES10_IbLb1EEEEDaSW_SX_EUlSW_E_NS1_11comp_targetILNS1_3genE4ELNS1_11target_archE910ELNS1_3gpuE8ELNS1_3repE0EEENS1_30default_config_static_selectorELNS0_4arch9wavefront6targetE0EEEvT1_.kd
    .uniform_work_group_size: 1
    .uses_dynamic_stack: false
    .vgpr_count:     0
    .vgpr_spill_count: 0
    .wavefront_size: 32
    .workgroup_processor_mode: 1
  - .args:
      - .offset:         0
        .size:           136
        .value_kind:     by_value
    .group_segment_fixed_size: 0
    .kernarg_segment_align: 8
    .kernarg_segment_size: 136
    .language:       OpenCL C
    .language_version:
      - 2
      - 0
    .max_flat_workgroup_size: 128
    .name:           _ZN7rocprim17ROCPRIM_400000_NS6detail17trampoline_kernelINS0_14default_configENS1_27scan_by_key_config_selectorIidEEZZNS1_16scan_by_key_implILNS1_25lookback_scan_determinismE0ELb0ES3_N6thrust23THRUST_200600_302600_NS6detail15normal_iteratorINS9_10device_ptrIiEEEENSB_INSC_IdEEEESG_dNS9_4plusIvEENS9_8equal_toIvEEdEE10hipError_tPvRmT2_T3_T4_T5_mT6_T7_P12ihipStream_tbENKUlT_T0_E_clISt17integral_constantIbLb0EES10_IbLb1EEEEDaSW_SX_EUlSW_E_NS1_11comp_targetILNS1_3genE3ELNS1_11target_archE908ELNS1_3gpuE7ELNS1_3repE0EEENS1_30default_config_static_selectorELNS0_4arch9wavefront6targetE0EEEvT1_
    .private_segment_fixed_size: 0
    .sgpr_count:     0
    .sgpr_spill_count: 0
    .symbol:         _ZN7rocprim17ROCPRIM_400000_NS6detail17trampoline_kernelINS0_14default_configENS1_27scan_by_key_config_selectorIidEEZZNS1_16scan_by_key_implILNS1_25lookback_scan_determinismE0ELb0ES3_N6thrust23THRUST_200600_302600_NS6detail15normal_iteratorINS9_10device_ptrIiEEEENSB_INSC_IdEEEESG_dNS9_4plusIvEENS9_8equal_toIvEEdEE10hipError_tPvRmT2_T3_T4_T5_mT6_T7_P12ihipStream_tbENKUlT_T0_E_clISt17integral_constantIbLb0EES10_IbLb1EEEEDaSW_SX_EUlSW_E_NS1_11comp_targetILNS1_3genE3ELNS1_11target_archE908ELNS1_3gpuE7ELNS1_3repE0EEENS1_30default_config_static_selectorELNS0_4arch9wavefront6targetE0EEEvT1_.kd
    .uniform_work_group_size: 1
    .uses_dynamic_stack: false
    .vgpr_count:     0
    .vgpr_spill_count: 0
    .wavefront_size: 32
    .workgroup_processor_mode: 1
  - .args:
      - .offset:         0
        .size:           136
        .value_kind:     by_value
    .group_segment_fixed_size: 0
    .kernarg_segment_align: 8
    .kernarg_segment_size: 136
    .language:       OpenCL C
    .language_version:
      - 2
      - 0
    .max_flat_workgroup_size: 64
    .name:           _ZN7rocprim17ROCPRIM_400000_NS6detail17trampoline_kernelINS0_14default_configENS1_27scan_by_key_config_selectorIidEEZZNS1_16scan_by_key_implILNS1_25lookback_scan_determinismE0ELb0ES3_N6thrust23THRUST_200600_302600_NS6detail15normal_iteratorINS9_10device_ptrIiEEEENSB_INSC_IdEEEESG_dNS9_4plusIvEENS9_8equal_toIvEEdEE10hipError_tPvRmT2_T3_T4_T5_mT6_T7_P12ihipStream_tbENKUlT_T0_E_clISt17integral_constantIbLb0EES10_IbLb1EEEEDaSW_SX_EUlSW_E_NS1_11comp_targetILNS1_3genE2ELNS1_11target_archE906ELNS1_3gpuE6ELNS1_3repE0EEENS1_30default_config_static_selectorELNS0_4arch9wavefront6targetE0EEEvT1_
    .private_segment_fixed_size: 0
    .sgpr_count:     0
    .sgpr_spill_count: 0
    .symbol:         _ZN7rocprim17ROCPRIM_400000_NS6detail17trampoline_kernelINS0_14default_configENS1_27scan_by_key_config_selectorIidEEZZNS1_16scan_by_key_implILNS1_25lookback_scan_determinismE0ELb0ES3_N6thrust23THRUST_200600_302600_NS6detail15normal_iteratorINS9_10device_ptrIiEEEENSB_INSC_IdEEEESG_dNS9_4plusIvEENS9_8equal_toIvEEdEE10hipError_tPvRmT2_T3_T4_T5_mT6_T7_P12ihipStream_tbENKUlT_T0_E_clISt17integral_constantIbLb0EES10_IbLb1EEEEDaSW_SX_EUlSW_E_NS1_11comp_targetILNS1_3genE2ELNS1_11target_archE906ELNS1_3gpuE6ELNS1_3repE0EEENS1_30default_config_static_selectorELNS0_4arch9wavefront6targetE0EEEvT1_.kd
    .uniform_work_group_size: 1
    .uses_dynamic_stack: false
    .vgpr_count:     0
    .vgpr_spill_count: 0
    .wavefront_size: 32
    .workgroup_processor_mode: 1
  - .args:
      - .offset:         0
        .size:           136
        .value_kind:     by_value
    .group_segment_fixed_size: 0
    .kernarg_segment_align: 8
    .kernarg_segment_size: 136
    .language:       OpenCL C
    .language_version:
      - 2
      - 0
    .max_flat_workgroup_size: 256
    .name:           _ZN7rocprim17ROCPRIM_400000_NS6detail17trampoline_kernelINS0_14default_configENS1_27scan_by_key_config_selectorIidEEZZNS1_16scan_by_key_implILNS1_25lookback_scan_determinismE0ELb0ES3_N6thrust23THRUST_200600_302600_NS6detail15normal_iteratorINS9_10device_ptrIiEEEENSB_INSC_IdEEEESG_dNS9_4plusIvEENS9_8equal_toIvEEdEE10hipError_tPvRmT2_T3_T4_T5_mT6_T7_P12ihipStream_tbENKUlT_T0_E_clISt17integral_constantIbLb0EES10_IbLb1EEEEDaSW_SX_EUlSW_E_NS1_11comp_targetILNS1_3genE10ELNS1_11target_archE1200ELNS1_3gpuE4ELNS1_3repE0EEENS1_30default_config_static_selectorELNS0_4arch9wavefront6targetE0EEEvT1_
    .private_segment_fixed_size: 0
    .sgpr_count:     0
    .sgpr_spill_count: 0
    .symbol:         _ZN7rocprim17ROCPRIM_400000_NS6detail17trampoline_kernelINS0_14default_configENS1_27scan_by_key_config_selectorIidEEZZNS1_16scan_by_key_implILNS1_25lookback_scan_determinismE0ELb0ES3_N6thrust23THRUST_200600_302600_NS6detail15normal_iteratorINS9_10device_ptrIiEEEENSB_INSC_IdEEEESG_dNS9_4plusIvEENS9_8equal_toIvEEdEE10hipError_tPvRmT2_T3_T4_T5_mT6_T7_P12ihipStream_tbENKUlT_T0_E_clISt17integral_constantIbLb0EES10_IbLb1EEEEDaSW_SX_EUlSW_E_NS1_11comp_targetILNS1_3genE10ELNS1_11target_archE1200ELNS1_3gpuE4ELNS1_3repE0EEENS1_30default_config_static_selectorELNS0_4arch9wavefront6targetE0EEEvT1_.kd
    .uniform_work_group_size: 1
    .uses_dynamic_stack: false
    .vgpr_count:     0
    .vgpr_spill_count: 0
    .wavefront_size: 32
    .workgroup_processor_mode: 1
  - .args:
      - .offset:         0
        .size:           136
        .value_kind:     by_value
    .group_segment_fixed_size: 0
    .kernarg_segment_align: 8
    .kernarg_segment_size: 136
    .language:       OpenCL C
    .language_version:
      - 2
      - 0
    .max_flat_workgroup_size: 256
    .name:           _ZN7rocprim17ROCPRIM_400000_NS6detail17trampoline_kernelINS0_14default_configENS1_27scan_by_key_config_selectorIidEEZZNS1_16scan_by_key_implILNS1_25lookback_scan_determinismE0ELb0ES3_N6thrust23THRUST_200600_302600_NS6detail15normal_iteratorINS9_10device_ptrIiEEEENSB_INSC_IdEEEESG_dNS9_4plusIvEENS9_8equal_toIvEEdEE10hipError_tPvRmT2_T3_T4_T5_mT6_T7_P12ihipStream_tbENKUlT_T0_E_clISt17integral_constantIbLb0EES10_IbLb1EEEEDaSW_SX_EUlSW_E_NS1_11comp_targetILNS1_3genE9ELNS1_11target_archE1100ELNS1_3gpuE3ELNS1_3repE0EEENS1_30default_config_static_selectorELNS0_4arch9wavefront6targetE0EEEvT1_
    .private_segment_fixed_size: 0
    .sgpr_count:     0
    .sgpr_spill_count: 0
    .symbol:         _ZN7rocprim17ROCPRIM_400000_NS6detail17trampoline_kernelINS0_14default_configENS1_27scan_by_key_config_selectorIidEEZZNS1_16scan_by_key_implILNS1_25lookback_scan_determinismE0ELb0ES3_N6thrust23THRUST_200600_302600_NS6detail15normal_iteratorINS9_10device_ptrIiEEEENSB_INSC_IdEEEESG_dNS9_4plusIvEENS9_8equal_toIvEEdEE10hipError_tPvRmT2_T3_T4_T5_mT6_T7_P12ihipStream_tbENKUlT_T0_E_clISt17integral_constantIbLb0EES10_IbLb1EEEEDaSW_SX_EUlSW_E_NS1_11comp_targetILNS1_3genE9ELNS1_11target_archE1100ELNS1_3gpuE3ELNS1_3repE0EEENS1_30default_config_static_selectorELNS0_4arch9wavefront6targetE0EEEvT1_.kd
    .uniform_work_group_size: 1
    .uses_dynamic_stack: false
    .vgpr_count:     0
    .vgpr_spill_count: 0
    .wavefront_size: 32
    .workgroup_processor_mode: 1
  - .args:
      - .offset:         0
        .size:           136
        .value_kind:     by_value
    .group_segment_fixed_size: 6144
    .kernarg_segment_align: 8
    .kernarg_segment_size: 136
    .language:       OpenCL C
    .language_version:
      - 2
      - 0
    .max_flat_workgroup_size: 256
    .name:           _ZN7rocprim17ROCPRIM_400000_NS6detail17trampoline_kernelINS0_14default_configENS1_27scan_by_key_config_selectorIidEEZZNS1_16scan_by_key_implILNS1_25lookback_scan_determinismE0ELb0ES3_N6thrust23THRUST_200600_302600_NS6detail15normal_iteratorINS9_10device_ptrIiEEEENSB_INSC_IdEEEESG_dNS9_4plusIvEENS9_8equal_toIvEEdEE10hipError_tPvRmT2_T3_T4_T5_mT6_T7_P12ihipStream_tbENKUlT_T0_E_clISt17integral_constantIbLb0EES10_IbLb1EEEEDaSW_SX_EUlSW_E_NS1_11comp_targetILNS1_3genE8ELNS1_11target_archE1030ELNS1_3gpuE2ELNS1_3repE0EEENS1_30default_config_static_selectorELNS0_4arch9wavefront6targetE0EEEvT1_
    .private_segment_fixed_size: 0
    .sgpr_count:     41
    .sgpr_spill_count: 0
    .symbol:         _ZN7rocprim17ROCPRIM_400000_NS6detail17trampoline_kernelINS0_14default_configENS1_27scan_by_key_config_selectorIidEEZZNS1_16scan_by_key_implILNS1_25lookback_scan_determinismE0ELb0ES3_N6thrust23THRUST_200600_302600_NS6detail15normal_iteratorINS9_10device_ptrIiEEEENSB_INSC_IdEEEESG_dNS9_4plusIvEENS9_8equal_toIvEEdEE10hipError_tPvRmT2_T3_T4_T5_mT6_T7_P12ihipStream_tbENKUlT_T0_E_clISt17integral_constantIbLb0EES10_IbLb1EEEEDaSW_SX_EUlSW_E_NS1_11comp_targetILNS1_3genE8ELNS1_11target_archE1030ELNS1_3gpuE2ELNS1_3repE0EEENS1_30default_config_static_selectorELNS0_4arch9wavefront6targetE0EEEvT1_.kd
    .uniform_work_group_size: 1
    .uses_dynamic_stack: false
    .vgpr_count:     48
    .vgpr_spill_count: 0
    .wavefront_size: 32
    .workgroup_processor_mode: 1
  - .args:
      - .offset:         0
        .size:           24
        .value_kind:     by_value
      - .offset:         24
        .size:           8
        .value_kind:     by_value
      - .offset:         32
        .size:           8
        .value_kind:     by_value
    .group_segment_fixed_size: 0
    .kernarg_segment_align: 8
    .kernarg_segment_size: 40
    .language:       OpenCL C
    .language_version:
      - 2
      - 0
    .max_flat_workgroup_size: 256
    .name:           _ZN6thrust23THRUST_200600_302600_NS11hip_rocprim14__parallel_for6kernelILj256ENS1_11__transform17unary_transform_fINS0_7pointerIiNS1_3tagENS0_11use_defaultES8_EENS0_10device_ptrIfEENS4_14no_stencil_tagENS0_8identityIiEENS4_21always_true_predicateEEElLj1EEEvT0_T1_SI_
    .private_segment_fixed_size: 0
    .sgpr_count:     14
    .sgpr_spill_count: 0
    .symbol:         _ZN6thrust23THRUST_200600_302600_NS11hip_rocprim14__parallel_for6kernelILj256ENS1_11__transform17unary_transform_fINS0_7pointerIiNS1_3tagENS0_11use_defaultES8_EENS0_10device_ptrIfEENS4_14no_stencil_tagENS0_8identityIiEENS4_21always_true_predicateEEElLj1EEEvT0_T1_SI_.kd
    .uniform_work_group_size: 1
    .uses_dynamic_stack: false
    .vgpr_count:     5
    .vgpr_spill_count: 0
    .wavefront_size: 32
    .workgroup_processor_mode: 1
  - .args:
      - .address_space:  global
        .offset:         0
        .size:           8
        .value_kind:     global_buffer
      - .offset:         8
        .size:           4
        .value_kind:     by_value
      - .offset:         12
        .size:           4
        .value_kind:     by_value
      - .address_space:  global
        .offset:         16
        .size:           8
        .value_kind:     global_buffer
      - .address_space:  global
        .offset:         24
        .size:           8
        .value_kind:     global_buffer
      - .actual_access:  write_only
        .address_space:  global
        .offset:         32
        .size:           8
        .value_kind:     global_buffer
      - .offset:         40
        .size:           8
        .value_kind:     by_value
      - .offset:         48
        .size:           4
        .value_kind:     by_value
      - .offset:         52
        .size:           1
        .value_kind:     by_value
      - .offset:         56
        .size:           4
        .value_kind:     hidden_block_count_x
      - .offset:         60
        .size:           4
        .value_kind:     hidden_block_count_y
      - .offset:         64
        .size:           4
        .value_kind:     hidden_block_count_z
      - .offset:         68
        .size:           2
        .value_kind:     hidden_group_size_x
      - .offset:         70
        .size:           2
        .value_kind:     hidden_group_size_y
      - .offset:         72
        .size:           2
        .value_kind:     hidden_group_size_z
      - .offset:         74
        .size:           2
        .value_kind:     hidden_remainder_x
      - .offset:         76
        .size:           2
        .value_kind:     hidden_remainder_y
      - .offset:         78
        .size:           2
        .value_kind:     hidden_remainder_z
      - .offset:         96
        .size:           8
        .value_kind:     hidden_global_offset_x
      - .offset:         104
        .size:           8
        .value_kind:     hidden_global_offset_y
      - .offset:         112
        .size:           8
        .value_kind:     hidden_global_offset_z
      - .offset:         120
        .size:           2
        .value_kind:     hidden_grid_dims
    .group_segment_fixed_size: 0
    .kernarg_segment_align: 8
    .kernarg_segment_size: 312
    .language:       OpenCL C
    .language_version:
      - 2
      - 0
    .max_flat_workgroup_size: 256
    .name:           _ZN7rocprim17ROCPRIM_400000_NS6detail30init_device_scan_by_key_kernelINS1_19lookback_scan_stateINS0_5tupleIJfbEEELb0ELb1EEEN6thrust23THRUST_200600_302600_NS6detail15normal_iteratorINS8_10device_ptrIiEEEEjNS1_16block_id_wrapperIjLb0EEEEEvT_jjPNSG_10value_typeET0_PNSt15iterator_traitsISJ_E10value_typeEmT1_T2_
    .private_segment_fixed_size: 0
    .sgpr_count:     19
    .sgpr_spill_count: 0
    .symbol:         _ZN7rocprim17ROCPRIM_400000_NS6detail30init_device_scan_by_key_kernelINS1_19lookback_scan_stateINS0_5tupleIJfbEEELb0ELb1EEEN6thrust23THRUST_200600_302600_NS6detail15normal_iteratorINS8_10device_ptrIiEEEEjNS1_16block_id_wrapperIjLb0EEEEEvT_jjPNSG_10value_typeET0_PNSt15iterator_traitsISJ_E10value_typeEmT1_T2_.kd
    .uniform_work_group_size: 1
    .uses_dynamic_stack: false
    .vgpr_count:     9
    .vgpr_spill_count: 0
    .wavefront_size: 32
    .workgroup_processor_mode: 1
  - .args:
      - .address_space:  global
        .offset:         0
        .size:           8
        .value_kind:     global_buffer
      - .offset:         8
        .size:           4
        .value_kind:     by_value
      - .offset:         12
        .size:           4
        .value_kind:     by_value
      - .address_space:  global
        .offset:         16
        .size:           8
        .value_kind:     global_buffer
      - .offset:         24
        .size:           1
        .value_kind:     by_value
      - .offset:         32
        .size:           4
        .value_kind:     hidden_block_count_x
      - .offset:         36
        .size:           4
        .value_kind:     hidden_block_count_y
      - .offset:         40
        .size:           4
        .value_kind:     hidden_block_count_z
      - .offset:         44
        .size:           2
        .value_kind:     hidden_group_size_x
      - .offset:         46
        .size:           2
        .value_kind:     hidden_group_size_y
      - .offset:         48
        .size:           2
        .value_kind:     hidden_group_size_z
      - .offset:         50
        .size:           2
        .value_kind:     hidden_remainder_x
      - .offset:         52
        .size:           2
        .value_kind:     hidden_remainder_y
      - .offset:         54
        .size:           2
        .value_kind:     hidden_remainder_z
      - .offset:         72
        .size:           8
        .value_kind:     hidden_global_offset_x
      - .offset:         80
        .size:           8
        .value_kind:     hidden_global_offset_y
      - .offset:         88
        .size:           8
        .value_kind:     hidden_global_offset_z
      - .offset:         96
        .size:           2
        .value_kind:     hidden_grid_dims
    .group_segment_fixed_size: 0
    .kernarg_segment_align: 8
    .kernarg_segment_size: 288
    .language:       OpenCL C
    .language_version:
      - 2
      - 0
    .max_flat_workgroup_size: 256
    .name:           _ZN7rocprim17ROCPRIM_400000_NS6detail30init_device_scan_by_key_kernelINS1_19lookback_scan_stateINS0_5tupleIJfbEEELb0ELb1EEENS1_16block_id_wrapperIjLb0EEEEEvT_jjPNS9_10value_typeET0_
    .private_segment_fixed_size: 0
    .sgpr_count:     12
    .sgpr_spill_count: 0
    .symbol:         _ZN7rocprim17ROCPRIM_400000_NS6detail30init_device_scan_by_key_kernelINS1_19lookback_scan_stateINS0_5tupleIJfbEEELb0ELb1EEENS1_16block_id_wrapperIjLb0EEEEEvT_jjPNS9_10value_typeET0_.kd
    .uniform_work_group_size: 1
    .uses_dynamic_stack: false
    .vgpr_count:     8
    .vgpr_spill_count: 0
    .wavefront_size: 32
    .workgroup_processor_mode: 1
  - .args:
      - .offset:         0
        .size:           112
        .value_kind:     by_value
    .group_segment_fixed_size: 0
    .kernarg_segment_align: 8
    .kernarg_segment_size: 112
    .language:       OpenCL C
    .language_version:
      - 2
      - 0
    .max_flat_workgroup_size: 256
    .name:           _ZN7rocprim17ROCPRIM_400000_NS6detail17trampoline_kernelINS0_14default_configENS1_27scan_by_key_config_selectorIifEEZZNS1_16scan_by_key_implILNS1_25lookback_scan_determinismE0ELb0ES3_N6thrust23THRUST_200600_302600_NS6detail15normal_iteratorINS9_10device_ptrIiEEEENSB_INSC_IfEEEESG_fNS9_4plusIvEENS9_8equal_toIvEEfEE10hipError_tPvRmT2_T3_T4_T5_mT6_T7_P12ihipStream_tbENKUlT_T0_E_clISt17integral_constantIbLb0EES11_EEDaSW_SX_EUlSW_E_NS1_11comp_targetILNS1_3genE0ELNS1_11target_archE4294967295ELNS1_3gpuE0ELNS1_3repE0EEENS1_30default_config_static_selectorELNS0_4arch9wavefront6targetE0EEEvT1_
    .private_segment_fixed_size: 0
    .sgpr_count:     0
    .sgpr_spill_count: 0
    .symbol:         _ZN7rocprim17ROCPRIM_400000_NS6detail17trampoline_kernelINS0_14default_configENS1_27scan_by_key_config_selectorIifEEZZNS1_16scan_by_key_implILNS1_25lookback_scan_determinismE0ELb0ES3_N6thrust23THRUST_200600_302600_NS6detail15normal_iteratorINS9_10device_ptrIiEEEENSB_INSC_IfEEEESG_fNS9_4plusIvEENS9_8equal_toIvEEfEE10hipError_tPvRmT2_T3_T4_T5_mT6_T7_P12ihipStream_tbENKUlT_T0_E_clISt17integral_constantIbLb0EES11_EEDaSW_SX_EUlSW_E_NS1_11comp_targetILNS1_3genE0ELNS1_11target_archE4294967295ELNS1_3gpuE0ELNS1_3repE0EEENS1_30default_config_static_selectorELNS0_4arch9wavefront6targetE0EEEvT1_.kd
    .uniform_work_group_size: 1
    .uses_dynamic_stack: false
    .vgpr_count:     0
    .vgpr_spill_count: 0
    .wavefront_size: 32
    .workgroup_processor_mode: 1
  - .args:
      - .offset:         0
        .size:           112
        .value_kind:     by_value
    .group_segment_fixed_size: 0
    .kernarg_segment_align: 8
    .kernarg_segment_size: 112
    .language:       OpenCL C
    .language_version:
      - 2
      - 0
    .max_flat_workgroup_size: 256
    .name:           _ZN7rocprim17ROCPRIM_400000_NS6detail17trampoline_kernelINS0_14default_configENS1_27scan_by_key_config_selectorIifEEZZNS1_16scan_by_key_implILNS1_25lookback_scan_determinismE0ELb0ES3_N6thrust23THRUST_200600_302600_NS6detail15normal_iteratorINS9_10device_ptrIiEEEENSB_INSC_IfEEEESG_fNS9_4plusIvEENS9_8equal_toIvEEfEE10hipError_tPvRmT2_T3_T4_T5_mT6_T7_P12ihipStream_tbENKUlT_T0_E_clISt17integral_constantIbLb0EES11_EEDaSW_SX_EUlSW_E_NS1_11comp_targetILNS1_3genE10ELNS1_11target_archE1201ELNS1_3gpuE5ELNS1_3repE0EEENS1_30default_config_static_selectorELNS0_4arch9wavefront6targetE0EEEvT1_
    .private_segment_fixed_size: 0
    .sgpr_count:     0
    .sgpr_spill_count: 0
    .symbol:         _ZN7rocprim17ROCPRIM_400000_NS6detail17trampoline_kernelINS0_14default_configENS1_27scan_by_key_config_selectorIifEEZZNS1_16scan_by_key_implILNS1_25lookback_scan_determinismE0ELb0ES3_N6thrust23THRUST_200600_302600_NS6detail15normal_iteratorINS9_10device_ptrIiEEEENSB_INSC_IfEEEESG_fNS9_4plusIvEENS9_8equal_toIvEEfEE10hipError_tPvRmT2_T3_T4_T5_mT6_T7_P12ihipStream_tbENKUlT_T0_E_clISt17integral_constantIbLb0EES11_EEDaSW_SX_EUlSW_E_NS1_11comp_targetILNS1_3genE10ELNS1_11target_archE1201ELNS1_3gpuE5ELNS1_3repE0EEENS1_30default_config_static_selectorELNS0_4arch9wavefront6targetE0EEEvT1_.kd
    .uniform_work_group_size: 1
    .uses_dynamic_stack: false
    .vgpr_count:     0
    .vgpr_spill_count: 0
    .wavefront_size: 32
    .workgroup_processor_mode: 1
  - .args:
      - .offset:         0
        .size:           112
        .value_kind:     by_value
    .group_segment_fixed_size: 0
    .kernarg_segment_align: 8
    .kernarg_segment_size: 112
    .language:       OpenCL C
    .language_version:
      - 2
      - 0
    .max_flat_workgroup_size: 256
    .name:           _ZN7rocprim17ROCPRIM_400000_NS6detail17trampoline_kernelINS0_14default_configENS1_27scan_by_key_config_selectorIifEEZZNS1_16scan_by_key_implILNS1_25lookback_scan_determinismE0ELb0ES3_N6thrust23THRUST_200600_302600_NS6detail15normal_iteratorINS9_10device_ptrIiEEEENSB_INSC_IfEEEESG_fNS9_4plusIvEENS9_8equal_toIvEEfEE10hipError_tPvRmT2_T3_T4_T5_mT6_T7_P12ihipStream_tbENKUlT_T0_E_clISt17integral_constantIbLb0EES11_EEDaSW_SX_EUlSW_E_NS1_11comp_targetILNS1_3genE5ELNS1_11target_archE942ELNS1_3gpuE9ELNS1_3repE0EEENS1_30default_config_static_selectorELNS0_4arch9wavefront6targetE0EEEvT1_
    .private_segment_fixed_size: 0
    .sgpr_count:     0
    .sgpr_spill_count: 0
    .symbol:         _ZN7rocprim17ROCPRIM_400000_NS6detail17trampoline_kernelINS0_14default_configENS1_27scan_by_key_config_selectorIifEEZZNS1_16scan_by_key_implILNS1_25lookback_scan_determinismE0ELb0ES3_N6thrust23THRUST_200600_302600_NS6detail15normal_iteratorINS9_10device_ptrIiEEEENSB_INSC_IfEEEESG_fNS9_4plusIvEENS9_8equal_toIvEEfEE10hipError_tPvRmT2_T3_T4_T5_mT6_T7_P12ihipStream_tbENKUlT_T0_E_clISt17integral_constantIbLb0EES11_EEDaSW_SX_EUlSW_E_NS1_11comp_targetILNS1_3genE5ELNS1_11target_archE942ELNS1_3gpuE9ELNS1_3repE0EEENS1_30default_config_static_selectorELNS0_4arch9wavefront6targetE0EEEvT1_.kd
    .uniform_work_group_size: 1
    .uses_dynamic_stack: false
    .vgpr_count:     0
    .vgpr_spill_count: 0
    .wavefront_size: 32
    .workgroup_processor_mode: 1
  - .args:
      - .offset:         0
        .size:           112
        .value_kind:     by_value
    .group_segment_fixed_size: 0
    .kernarg_segment_align: 8
    .kernarg_segment_size: 112
    .language:       OpenCL C
    .language_version:
      - 2
      - 0
    .max_flat_workgroup_size: 256
    .name:           _ZN7rocprim17ROCPRIM_400000_NS6detail17trampoline_kernelINS0_14default_configENS1_27scan_by_key_config_selectorIifEEZZNS1_16scan_by_key_implILNS1_25lookback_scan_determinismE0ELb0ES3_N6thrust23THRUST_200600_302600_NS6detail15normal_iteratorINS9_10device_ptrIiEEEENSB_INSC_IfEEEESG_fNS9_4plusIvEENS9_8equal_toIvEEfEE10hipError_tPvRmT2_T3_T4_T5_mT6_T7_P12ihipStream_tbENKUlT_T0_E_clISt17integral_constantIbLb0EES11_EEDaSW_SX_EUlSW_E_NS1_11comp_targetILNS1_3genE4ELNS1_11target_archE910ELNS1_3gpuE8ELNS1_3repE0EEENS1_30default_config_static_selectorELNS0_4arch9wavefront6targetE0EEEvT1_
    .private_segment_fixed_size: 0
    .sgpr_count:     0
    .sgpr_spill_count: 0
    .symbol:         _ZN7rocprim17ROCPRIM_400000_NS6detail17trampoline_kernelINS0_14default_configENS1_27scan_by_key_config_selectorIifEEZZNS1_16scan_by_key_implILNS1_25lookback_scan_determinismE0ELb0ES3_N6thrust23THRUST_200600_302600_NS6detail15normal_iteratorINS9_10device_ptrIiEEEENSB_INSC_IfEEEESG_fNS9_4plusIvEENS9_8equal_toIvEEfEE10hipError_tPvRmT2_T3_T4_T5_mT6_T7_P12ihipStream_tbENKUlT_T0_E_clISt17integral_constantIbLb0EES11_EEDaSW_SX_EUlSW_E_NS1_11comp_targetILNS1_3genE4ELNS1_11target_archE910ELNS1_3gpuE8ELNS1_3repE0EEENS1_30default_config_static_selectorELNS0_4arch9wavefront6targetE0EEEvT1_.kd
    .uniform_work_group_size: 1
    .uses_dynamic_stack: false
    .vgpr_count:     0
    .vgpr_spill_count: 0
    .wavefront_size: 32
    .workgroup_processor_mode: 1
  - .args:
      - .offset:         0
        .size:           112
        .value_kind:     by_value
    .group_segment_fixed_size: 0
    .kernarg_segment_align: 8
    .kernarg_segment_size: 112
    .language:       OpenCL C
    .language_version:
      - 2
      - 0
    .max_flat_workgroup_size: 256
    .name:           _ZN7rocprim17ROCPRIM_400000_NS6detail17trampoline_kernelINS0_14default_configENS1_27scan_by_key_config_selectorIifEEZZNS1_16scan_by_key_implILNS1_25lookback_scan_determinismE0ELb0ES3_N6thrust23THRUST_200600_302600_NS6detail15normal_iteratorINS9_10device_ptrIiEEEENSB_INSC_IfEEEESG_fNS9_4plusIvEENS9_8equal_toIvEEfEE10hipError_tPvRmT2_T3_T4_T5_mT6_T7_P12ihipStream_tbENKUlT_T0_E_clISt17integral_constantIbLb0EES11_EEDaSW_SX_EUlSW_E_NS1_11comp_targetILNS1_3genE3ELNS1_11target_archE908ELNS1_3gpuE7ELNS1_3repE0EEENS1_30default_config_static_selectorELNS0_4arch9wavefront6targetE0EEEvT1_
    .private_segment_fixed_size: 0
    .sgpr_count:     0
    .sgpr_spill_count: 0
    .symbol:         _ZN7rocprim17ROCPRIM_400000_NS6detail17trampoline_kernelINS0_14default_configENS1_27scan_by_key_config_selectorIifEEZZNS1_16scan_by_key_implILNS1_25lookback_scan_determinismE0ELb0ES3_N6thrust23THRUST_200600_302600_NS6detail15normal_iteratorINS9_10device_ptrIiEEEENSB_INSC_IfEEEESG_fNS9_4plusIvEENS9_8equal_toIvEEfEE10hipError_tPvRmT2_T3_T4_T5_mT6_T7_P12ihipStream_tbENKUlT_T0_E_clISt17integral_constantIbLb0EES11_EEDaSW_SX_EUlSW_E_NS1_11comp_targetILNS1_3genE3ELNS1_11target_archE908ELNS1_3gpuE7ELNS1_3repE0EEENS1_30default_config_static_selectorELNS0_4arch9wavefront6targetE0EEEvT1_.kd
    .uniform_work_group_size: 1
    .uses_dynamic_stack: false
    .vgpr_count:     0
    .vgpr_spill_count: 0
    .wavefront_size: 32
    .workgroup_processor_mode: 1
  - .args:
      - .offset:         0
        .size:           112
        .value_kind:     by_value
    .group_segment_fixed_size: 0
    .kernarg_segment_align: 8
    .kernarg_segment_size: 112
    .language:       OpenCL C
    .language_version:
      - 2
      - 0
    .max_flat_workgroup_size: 256
    .name:           _ZN7rocprim17ROCPRIM_400000_NS6detail17trampoline_kernelINS0_14default_configENS1_27scan_by_key_config_selectorIifEEZZNS1_16scan_by_key_implILNS1_25lookback_scan_determinismE0ELb0ES3_N6thrust23THRUST_200600_302600_NS6detail15normal_iteratorINS9_10device_ptrIiEEEENSB_INSC_IfEEEESG_fNS9_4plusIvEENS9_8equal_toIvEEfEE10hipError_tPvRmT2_T3_T4_T5_mT6_T7_P12ihipStream_tbENKUlT_T0_E_clISt17integral_constantIbLb0EES11_EEDaSW_SX_EUlSW_E_NS1_11comp_targetILNS1_3genE2ELNS1_11target_archE906ELNS1_3gpuE6ELNS1_3repE0EEENS1_30default_config_static_selectorELNS0_4arch9wavefront6targetE0EEEvT1_
    .private_segment_fixed_size: 0
    .sgpr_count:     0
    .sgpr_spill_count: 0
    .symbol:         _ZN7rocprim17ROCPRIM_400000_NS6detail17trampoline_kernelINS0_14default_configENS1_27scan_by_key_config_selectorIifEEZZNS1_16scan_by_key_implILNS1_25lookback_scan_determinismE0ELb0ES3_N6thrust23THRUST_200600_302600_NS6detail15normal_iteratorINS9_10device_ptrIiEEEENSB_INSC_IfEEEESG_fNS9_4plusIvEENS9_8equal_toIvEEfEE10hipError_tPvRmT2_T3_T4_T5_mT6_T7_P12ihipStream_tbENKUlT_T0_E_clISt17integral_constantIbLb0EES11_EEDaSW_SX_EUlSW_E_NS1_11comp_targetILNS1_3genE2ELNS1_11target_archE906ELNS1_3gpuE6ELNS1_3repE0EEENS1_30default_config_static_selectorELNS0_4arch9wavefront6targetE0EEEvT1_.kd
    .uniform_work_group_size: 1
    .uses_dynamic_stack: false
    .vgpr_count:     0
    .vgpr_spill_count: 0
    .wavefront_size: 32
    .workgroup_processor_mode: 1
  - .args:
      - .offset:         0
        .size:           112
        .value_kind:     by_value
    .group_segment_fixed_size: 0
    .kernarg_segment_align: 8
    .kernarg_segment_size: 112
    .language:       OpenCL C
    .language_version:
      - 2
      - 0
    .max_flat_workgroup_size: 256
    .name:           _ZN7rocprim17ROCPRIM_400000_NS6detail17trampoline_kernelINS0_14default_configENS1_27scan_by_key_config_selectorIifEEZZNS1_16scan_by_key_implILNS1_25lookback_scan_determinismE0ELb0ES3_N6thrust23THRUST_200600_302600_NS6detail15normal_iteratorINS9_10device_ptrIiEEEENSB_INSC_IfEEEESG_fNS9_4plusIvEENS9_8equal_toIvEEfEE10hipError_tPvRmT2_T3_T4_T5_mT6_T7_P12ihipStream_tbENKUlT_T0_E_clISt17integral_constantIbLb0EES11_EEDaSW_SX_EUlSW_E_NS1_11comp_targetILNS1_3genE10ELNS1_11target_archE1200ELNS1_3gpuE4ELNS1_3repE0EEENS1_30default_config_static_selectorELNS0_4arch9wavefront6targetE0EEEvT1_
    .private_segment_fixed_size: 0
    .sgpr_count:     0
    .sgpr_spill_count: 0
    .symbol:         _ZN7rocprim17ROCPRIM_400000_NS6detail17trampoline_kernelINS0_14default_configENS1_27scan_by_key_config_selectorIifEEZZNS1_16scan_by_key_implILNS1_25lookback_scan_determinismE0ELb0ES3_N6thrust23THRUST_200600_302600_NS6detail15normal_iteratorINS9_10device_ptrIiEEEENSB_INSC_IfEEEESG_fNS9_4plusIvEENS9_8equal_toIvEEfEE10hipError_tPvRmT2_T3_T4_T5_mT6_T7_P12ihipStream_tbENKUlT_T0_E_clISt17integral_constantIbLb0EES11_EEDaSW_SX_EUlSW_E_NS1_11comp_targetILNS1_3genE10ELNS1_11target_archE1200ELNS1_3gpuE4ELNS1_3repE0EEENS1_30default_config_static_selectorELNS0_4arch9wavefront6targetE0EEEvT1_.kd
    .uniform_work_group_size: 1
    .uses_dynamic_stack: false
    .vgpr_count:     0
    .vgpr_spill_count: 0
    .wavefront_size: 32
    .workgroup_processor_mode: 1
  - .args:
      - .offset:         0
        .size:           112
        .value_kind:     by_value
    .group_segment_fixed_size: 0
    .kernarg_segment_align: 8
    .kernarg_segment_size: 112
    .language:       OpenCL C
    .language_version:
      - 2
      - 0
    .max_flat_workgroup_size: 256
    .name:           _ZN7rocprim17ROCPRIM_400000_NS6detail17trampoline_kernelINS0_14default_configENS1_27scan_by_key_config_selectorIifEEZZNS1_16scan_by_key_implILNS1_25lookback_scan_determinismE0ELb0ES3_N6thrust23THRUST_200600_302600_NS6detail15normal_iteratorINS9_10device_ptrIiEEEENSB_INSC_IfEEEESG_fNS9_4plusIvEENS9_8equal_toIvEEfEE10hipError_tPvRmT2_T3_T4_T5_mT6_T7_P12ihipStream_tbENKUlT_T0_E_clISt17integral_constantIbLb0EES11_EEDaSW_SX_EUlSW_E_NS1_11comp_targetILNS1_3genE9ELNS1_11target_archE1100ELNS1_3gpuE3ELNS1_3repE0EEENS1_30default_config_static_selectorELNS0_4arch9wavefront6targetE0EEEvT1_
    .private_segment_fixed_size: 0
    .sgpr_count:     0
    .sgpr_spill_count: 0
    .symbol:         _ZN7rocprim17ROCPRIM_400000_NS6detail17trampoline_kernelINS0_14default_configENS1_27scan_by_key_config_selectorIifEEZZNS1_16scan_by_key_implILNS1_25lookback_scan_determinismE0ELb0ES3_N6thrust23THRUST_200600_302600_NS6detail15normal_iteratorINS9_10device_ptrIiEEEENSB_INSC_IfEEEESG_fNS9_4plusIvEENS9_8equal_toIvEEfEE10hipError_tPvRmT2_T3_T4_T5_mT6_T7_P12ihipStream_tbENKUlT_T0_E_clISt17integral_constantIbLb0EES11_EEDaSW_SX_EUlSW_E_NS1_11comp_targetILNS1_3genE9ELNS1_11target_archE1100ELNS1_3gpuE3ELNS1_3repE0EEENS1_30default_config_static_selectorELNS0_4arch9wavefront6targetE0EEEvT1_.kd
    .uniform_work_group_size: 1
    .uses_dynamic_stack: false
    .vgpr_count:     0
    .vgpr_spill_count: 0
    .wavefront_size: 32
    .workgroup_processor_mode: 1
  - .args:
      - .offset:         0
        .size:           112
        .value_kind:     by_value
    .group_segment_fixed_size: 5120
    .kernarg_segment_align: 8
    .kernarg_segment_size: 112
    .language:       OpenCL C
    .language_version:
      - 2
      - 0
    .max_flat_workgroup_size: 256
    .name:           _ZN7rocprim17ROCPRIM_400000_NS6detail17trampoline_kernelINS0_14default_configENS1_27scan_by_key_config_selectorIifEEZZNS1_16scan_by_key_implILNS1_25lookback_scan_determinismE0ELb0ES3_N6thrust23THRUST_200600_302600_NS6detail15normal_iteratorINS9_10device_ptrIiEEEENSB_INSC_IfEEEESG_fNS9_4plusIvEENS9_8equal_toIvEEfEE10hipError_tPvRmT2_T3_T4_T5_mT6_T7_P12ihipStream_tbENKUlT_T0_E_clISt17integral_constantIbLb0EES11_EEDaSW_SX_EUlSW_E_NS1_11comp_targetILNS1_3genE8ELNS1_11target_archE1030ELNS1_3gpuE2ELNS1_3repE0EEENS1_30default_config_static_selectorELNS0_4arch9wavefront6targetE0EEEvT1_
    .private_segment_fixed_size: 0
    .sgpr_count:     34
    .sgpr_spill_count: 0
    .symbol:         _ZN7rocprim17ROCPRIM_400000_NS6detail17trampoline_kernelINS0_14default_configENS1_27scan_by_key_config_selectorIifEEZZNS1_16scan_by_key_implILNS1_25lookback_scan_determinismE0ELb0ES3_N6thrust23THRUST_200600_302600_NS6detail15normal_iteratorINS9_10device_ptrIiEEEENSB_INSC_IfEEEESG_fNS9_4plusIvEENS9_8equal_toIvEEfEE10hipError_tPvRmT2_T3_T4_T5_mT6_T7_P12ihipStream_tbENKUlT_T0_E_clISt17integral_constantIbLb0EES11_EEDaSW_SX_EUlSW_E_NS1_11comp_targetILNS1_3genE8ELNS1_11target_archE1030ELNS1_3gpuE2ELNS1_3repE0EEENS1_30default_config_static_selectorELNS0_4arch9wavefront6targetE0EEEvT1_.kd
    .uniform_work_group_size: 1
    .uses_dynamic_stack: false
    .vgpr_count:     39
    .vgpr_spill_count: 0
    .wavefront_size: 32
    .workgroup_processor_mode: 1
  - .args:
      - .address_space:  global
        .offset:         0
        .size:           8
        .value_kind:     global_buffer
      - .offset:         8
        .size:           4
        .value_kind:     by_value
      - .offset:         12
        .size:           4
        .value_kind:     by_value
      - .address_space:  global
        .offset:         16
        .size:           8
        .value_kind:     global_buffer
      - .address_space:  global
        .offset:         24
        .size:           8
        .value_kind:     global_buffer
      - .actual_access:  write_only
        .address_space:  global
        .offset:         32
        .size:           8
        .value_kind:     global_buffer
      - .offset:         40
        .size:           8
        .value_kind:     by_value
      - .offset:         48
        .size:           4
        .value_kind:     by_value
      - .address_space:  global
        .offset:         56
        .size:           8
        .value_kind:     global_buffer
      - .offset:         64
        .size:           4
        .value_kind:     hidden_block_count_x
      - .offset:         68
        .size:           4
        .value_kind:     hidden_block_count_y
      - .offset:         72
        .size:           4
        .value_kind:     hidden_block_count_z
      - .offset:         76
        .size:           2
        .value_kind:     hidden_group_size_x
      - .offset:         78
        .size:           2
        .value_kind:     hidden_group_size_y
      - .offset:         80
        .size:           2
        .value_kind:     hidden_group_size_z
      - .offset:         82
        .size:           2
        .value_kind:     hidden_remainder_x
      - .offset:         84
        .size:           2
        .value_kind:     hidden_remainder_y
      - .offset:         86
        .size:           2
        .value_kind:     hidden_remainder_z
      - .offset:         104
        .size:           8
        .value_kind:     hidden_global_offset_x
      - .offset:         112
        .size:           8
        .value_kind:     hidden_global_offset_y
      - .offset:         120
        .size:           8
        .value_kind:     hidden_global_offset_z
      - .offset:         128
        .size:           2
        .value_kind:     hidden_grid_dims
    .group_segment_fixed_size: 0
    .kernarg_segment_align: 8
    .kernarg_segment_size: 320
    .language:       OpenCL C
    .language_version:
      - 2
      - 0
    .max_flat_workgroup_size: 256
    .name:           _ZN7rocprim17ROCPRIM_400000_NS6detail30init_device_scan_by_key_kernelINS1_19lookback_scan_stateINS0_5tupleIJfbEEELb1ELb1EEEN6thrust23THRUST_200600_302600_NS6detail15normal_iteratorINS8_10device_ptrIiEEEEjNS1_16block_id_wrapperIjLb1EEEEEvT_jjPNSG_10value_typeET0_PNSt15iterator_traitsISJ_E10value_typeEmT1_T2_
    .private_segment_fixed_size: 0
    .sgpr_count:     19
    .sgpr_spill_count: 0
    .symbol:         _ZN7rocprim17ROCPRIM_400000_NS6detail30init_device_scan_by_key_kernelINS1_19lookback_scan_stateINS0_5tupleIJfbEEELb1ELb1EEEN6thrust23THRUST_200600_302600_NS6detail15normal_iteratorINS8_10device_ptrIiEEEEjNS1_16block_id_wrapperIjLb1EEEEEvT_jjPNSG_10value_typeET0_PNSt15iterator_traitsISJ_E10value_typeEmT1_T2_.kd
    .uniform_work_group_size: 1
    .uses_dynamic_stack: false
    .vgpr_count:     9
    .vgpr_spill_count: 0
    .wavefront_size: 32
    .workgroup_processor_mode: 1
  - .args:
      - .address_space:  global
        .offset:         0
        .size:           8
        .value_kind:     global_buffer
      - .offset:         8
        .size:           4
        .value_kind:     by_value
      - .offset:         12
        .size:           4
        .value_kind:     by_value
      - .address_space:  global
        .offset:         16
        .size:           8
        .value_kind:     global_buffer
      - .address_space:  global
        .offset:         24
        .size:           8
        .value_kind:     global_buffer
      - .offset:         32
        .size:           4
        .value_kind:     hidden_block_count_x
      - .offset:         36
        .size:           4
        .value_kind:     hidden_block_count_y
      - .offset:         40
        .size:           4
        .value_kind:     hidden_block_count_z
      - .offset:         44
        .size:           2
        .value_kind:     hidden_group_size_x
      - .offset:         46
        .size:           2
        .value_kind:     hidden_group_size_y
      - .offset:         48
        .size:           2
        .value_kind:     hidden_group_size_z
      - .offset:         50
        .size:           2
        .value_kind:     hidden_remainder_x
      - .offset:         52
        .size:           2
        .value_kind:     hidden_remainder_y
      - .offset:         54
        .size:           2
        .value_kind:     hidden_remainder_z
      - .offset:         72
        .size:           8
        .value_kind:     hidden_global_offset_x
      - .offset:         80
        .size:           8
        .value_kind:     hidden_global_offset_y
      - .offset:         88
        .size:           8
        .value_kind:     hidden_global_offset_z
      - .offset:         96
        .size:           2
        .value_kind:     hidden_grid_dims
    .group_segment_fixed_size: 0
    .kernarg_segment_align: 8
    .kernarg_segment_size: 288
    .language:       OpenCL C
    .language_version:
      - 2
      - 0
    .max_flat_workgroup_size: 256
    .name:           _ZN7rocprim17ROCPRIM_400000_NS6detail30init_device_scan_by_key_kernelINS1_19lookback_scan_stateINS0_5tupleIJfbEEELb1ELb1EEENS1_16block_id_wrapperIjLb1EEEEEvT_jjPNS9_10value_typeET0_
    .private_segment_fixed_size: 0
    .sgpr_count:     18
    .sgpr_spill_count: 0
    .symbol:         _ZN7rocprim17ROCPRIM_400000_NS6detail30init_device_scan_by_key_kernelINS1_19lookback_scan_stateINS0_5tupleIJfbEEELb1ELb1EEENS1_16block_id_wrapperIjLb1EEEEEvT_jjPNS9_10value_typeET0_.kd
    .uniform_work_group_size: 1
    .uses_dynamic_stack: false
    .vgpr_count:     8
    .vgpr_spill_count: 0
    .wavefront_size: 32
    .workgroup_processor_mode: 1
  - .args:
      - .offset:         0
        .size:           112
        .value_kind:     by_value
    .group_segment_fixed_size: 0
    .kernarg_segment_align: 8
    .kernarg_segment_size: 112
    .language:       OpenCL C
    .language_version:
      - 2
      - 0
    .max_flat_workgroup_size: 256
    .name:           _ZN7rocprim17ROCPRIM_400000_NS6detail17trampoline_kernelINS0_14default_configENS1_27scan_by_key_config_selectorIifEEZZNS1_16scan_by_key_implILNS1_25lookback_scan_determinismE0ELb0ES3_N6thrust23THRUST_200600_302600_NS6detail15normal_iteratorINS9_10device_ptrIiEEEENSB_INSC_IfEEEESG_fNS9_4plusIvEENS9_8equal_toIvEEfEE10hipError_tPvRmT2_T3_T4_T5_mT6_T7_P12ihipStream_tbENKUlT_T0_E_clISt17integral_constantIbLb1EES11_EEDaSW_SX_EUlSW_E_NS1_11comp_targetILNS1_3genE0ELNS1_11target_archE4294967295ELNS1_3gpuE0ELNS1_3repE0EEENS1_30default_config_static_selectorELNS0_4arch9wavefront6targetE0EEEvT1_
    .private_segment_fixed_size: 0
    .sgpr_count:     0
    .sgpr_spill_count: 0
    .symbol:         _ZN7rocprim17ROCPRIM_400000_NS6detail17trampoline_kernelINS0_14default_configENS1_27scan_by_key_config_selectorIifEEZZNS1_16scan_by_key_implILNS1_25lookback_scan_determinismE0ELb0ES3_N6thrust23THRUST_200600_302600_NS6detail15normal_iteratorINS9_10device_ptrIiEEEENSB_INSC_IfEEEESG_fNS9_4plusIvEENS9_8equal_toIvEEfEE10hipError_tPvRmT2_T3_T4_T5_mT6_T7_P12ihipStream_tbENKUlT_T0_E_clISt17integral_constantIbLb1EES11_EEDaSW_SX_EUlSW_E_NS1_11comp_targetILNS1_3genE0ELNS1_11target_archE4294967295ELNS1_3gpuE0ELNS1_3repE0EEENS1_30default_config_static_selectorELNS0_4arch9wavefront6targetE0EEEvT1_.kd
    .uniform_work_group_size: 1
    .uses_dynamic_stack: false
    .vgpr_count:     0
    .vgpr_spill_count: 0
    .wavefront_size: 32
    .workgroup_processor_mode: 1
  - .args:
      - .offset:         0
        .size:           112
        .value_kind:     by_value
    .group_segment_fixed_size: 0
    .kernarg_segment_align: 8
    .kernarg_segment_size: 112
    .language:       OpenCL C
    .language_version:
      - 2
      - 0
    .max_flat_workgroup_size: 256
    .name:           _ZN7rocprim17ROCPRIM_400000_NS6detail17trampoline_kernelINS0_14default_configENS1_27scan_by_key_config_selectorIifEEZZNS1_16scan_by_key_implILNS1_25lookback_scan_determinismE0ELb0ES3_N6thrust23THRUST_200600_302600_NS6detail15normal_iteratorINS9_10device_ptrIiEEEENSB_INSC_IfEEEESG_fNS9_4plusIvEENS9_8equal_toIvEEfEE10hipError_tPvRmT2_T3_T4_T5_mT6_T7_P12ihipStream_tbENKUlT_T0_E_clISt17integral_constantIbLb1EES11_EEDaSW_SX_EUlSW_E_NS1_11comp_targetILNS1_3genE10ELNS1_11target_archE1201ELNS1_3gpuE5ELNS1_3repE0EEENS1_30default_config_static_selectorELNS0_4arch9wavefront6targetE0EEEvT1_
    .private_segment_fixed_size: 0
    .sgpr_count:     0
    .sgpr_spill_count: 0
    .symbol:         _ZN7rocprim17ROCPRIM_400000_NS6detail17trampoline_kernelINS0_14default_configENS1_27scan_by_key_config_selectorIifEEZZNS1_16scan_by_key_implILNS1_25lookback_scan_determinismE0ELb0ES3_N6thrust23THRUST_200600_302600_NS6detail15normal_iteratorINS9_10device_ptrIiEEEENSB_INSC_IfEEEESG_fNS9_4plusIvEENS9_8equal_toIvEEfEE10hipError_tPvRmT2_T3_T4_T5_mT6_T7_P12ihipStream_tbENKUlT_T0_E_clISt17integral_constantIbLb1EES11_EEDaSW_SX_EUlSW_E_NS1_11comp_targetILNS1_3genE10ELNS1_11target_archE1201ELNS1_3gpuE5ELNS1_3repE0EEENS1_30default_config_static_selectorELNS0_4arch9wavefront6targetE0EEEvT1_.kd
    .uniform_work_group_size: 1
    .uses_dynamic_stack: false
    .vgpr_count:     0
    .vgpr_spill_count: 0
    .wavefront_size: 32
    .workgroup_processor_mode: 1
  - .args:
      - .offset:         0
        .size:           112
        .value_kind:     by_value
    .group_segment_fixed_size: 0
    .kernarg_segment_align: 8
    .kernarg_segment_size: 112
    .language:       OpenCL C
    .language_version:
      - 2
      - 0
    .max_flat_workgroup_size: 256
    .name:           _ZN7rocprim17ROCPRIM_400000_NS6detail17trampoline_kernelINS0_14default_configENS1_27scan_by_key_config_selectorIifEEZZNS1_16scan_by_key_implILNS1_25lookback_scan_determinismE0ELb0ES3_N6thrust23THRUST_200600_302600_NS6detail15normal_iteratorINS9_10device_ptrIiEEEENSB_INSC_IfEEEESG_fNS9_4plusIvEENS9_8equal_toIvEEfEE10hipError_tPvRmT2_T3_T4_T5_mT6_T7_P12ihipStream_tbENKUlT_T0_E_clISt17integral_constantIbLb1EES11_EEDaSW_SX_EUlSW_E_NS1_11comp_targetILNS1_3genE5ELNS1_11target_archE942ELNS1_3gpuE9ELNS1_3repE0EEENS1_30default_config_static_selectorELNS0_4arch9wavefront6targetE0EEEvT1_
    .private_segment_fixed_size: 0
    .sgpr_count:     0
    .sgpr_spill_count: 0
    .symbol:         _ZN7rocprim17ROCPRIM_400000_NS6detail17trampoline_kernelINS0_14default_configENS1_27scan_by_key_config_selectorIifEEZZNS1_16scan_by_key_implILNS1_25lookback_scan_determinismE0ELb0ES3_N6thrust23THRUST_200600_302600_NS6detail15normal_iteratorINS9_10device_ptrIiEEEENSB_INSC_IfEEEESG_fNS9_4plusIvEENS9_8equal_toIvEEfEE10hipError_tPvRmT2_T3_T4_T5_mT6_T7_P12ihipStream_tbENKUlT_T0_E_clISt17integral_constantIbLb1EES11_EEDaSW_SX_EUlSW_E_NS1_11comp_targetILNS1_3genE5ELNS1_11target_archE942ELNS1_3gpuE9ELNS1_3repE0EEENS1_30default_config_static_selectorELNS0_4arch9wavefront6targetE0EEEvT1_.kd
    .uniform_work_group_size: 1
    .uses_dynamic_stack: false
    .vgpr_count:     0
    .vgpr_spill_count: 0
    .wavefront_size: 32
    .workgroup_processor_mode: 1
  - .args:
      - .offset:         0
        .size:           112
        .value_kind:     by_value
    .group_segment_fixed_size: 0
    .kernarg_segment_align: 8
    .kernarg_segment_size: 112
    .language:       OpenCL C
    .language_version:
      - 2
      - 0
    .max_flat_workgroup_size: 256
    .name:           _ZN7rocprim17ROCPRIM_400000_NS6detail17trampoline_kernelINS0_14default_configENS1_27scan_by_key_config_selectorIifEEZZNS1_16scan_by_key_implILNS1_25lookback_scan_determinismE0ELb0ES3_N6thrust23THRUST_200600_302600_NS6detail15normal_iteratorINS9_10device_ptrIiEEEENSB_INSC_IfEEEESG_fNS9_4plusIvEENS9_8equal_toIvEEfEE10hipError_tPvRmT2_T3_T4_T5_mT6_T7_P12ihipStream_tbENKUlT_T0_E_clISt17integral_constantIbLb1EES11_EEDaSW_SX_EUlSW_E_NS1_11comp_targetILNS1_3genE4ELNS1_11target_archE910ELNS1_3gpuE8ELNS1_3repE0EEENS1_30default_config_static_selectorELNS0_4arch9wavefront6targetE0EEEvT1_
    .private_segment_fixed_size: 0
    .sgpr_count:     0
    .sgpr_spill_count: 0
    .symbol:         _ZN7rocprim17ROCPRIM_400000_NS6detail17trampoline_kernelINS0_14default_configENS1_27scan_by_key_config_selectorIifEEZZNS1_16scan_by_key_implILNS1_25lookback_scan_determinismE0ELb0ES3_N6thrust23THRUST_200600_302600_NS6detail15normal_iteratorINS9_10device_ptrIiEEEENSB_INSC_IfEEEESG_fNS9_4plusIvEENS9_8equal_toIvEEfEE10hipError_tPvRmT2_T3_T4_T5_mT6_T7_P12ihipStream_tbENKUlT_T0_E_clISt17integral_constantIbLb1EES11_EEDaSW_SX_EUlSW_E_NS1_11comp_targetILNS1_3genE4ELNS1_11target_archE910ELNS1_3gpuE8ELNS1_3repE0EEENS1_30default_config_static_selectorELNS0_4arch9wavefront6targetE0EEEvT1_.kd
    .uniform_work_group_size: 1
    .uses_dynamic_stack: false
    .vgpr_count:     0
    .vgpr_spill_count: 0
    .wavefront_size: 32
    .workgroup_processor_mode: 1
  - .args:
      - .offset:         0
        .size:           112
        .value_kind:     by_value
    .group_segment_fixed_size: 0
    .kernarg_segment_align: 8
    .kernarg_segment_size: 112
    .language:       OpenCL C
    .language_version:
      - 2
      - 0
    .max_flat_workgroup_size: 256
    .name:           _ZN7rocprim17ROCPRIM_400000_NS6detail17trampoline_kernelINS0_14default_configENS1_27scan_by_key_config_selectorIifEEZZNS1_16scan_by_key_implILNS1_25lookback_scan_determinismE0ELb0ES3_N6thrust23THRUST_200600_302600_NS6detail15normal_iteratorINS9_10device_ptrIiEEEENSB_INSC_IfEEEESG_fNS9_4plusIvEENS9_8equal_toIvEEfEE10hipError_tPvRmT2_T3_T4_T5_mT6_T7_P12ihipStream_tbENKUlT_T0_E_clISt17integral_constantIbLb1EES11_EEDaSW_SX_EUlSW_E_NS1_11comp_targetILNS1_3genE3ELNS1_11target_archE908ELNS1_3gpuE7ELNS1_3repE0EEENS1_30default_config_static_selectorELNS0_4arch9wavefront6targetE0EEEvT1_
    .private_segment_fixed_size: 0
    .sgpr_count:     0
    .sgpr_spill_count: 0
    .symbol:         _ZN7rocprim17ROCPRIM_400000_NS6detail17trampoline_kernelINS0_14default_configENS1_27scan_by_key_config_selectorIifEEZZNS1_16scan_by_key_implILNS1_25lookback_scan_determinismE0ELb0ES3_N6thrust23THRUST_200600_302600_NS6detail15normal_iteratorINS9_10device_ptrIiEEEENSB_INSC_IfEEEESG_fNS9_4plusIvEENS9_8equal_toIvEEfEE10hipError_tPvRmT2_T3_T4_T5_mT6_T7_P12ihipStream_tbENKUlT_T0_E_clISt17integral_constantIbLb1EES11_EEDaSW_SX_EUlSW_E_NS1_11comp_targetILNS1_3genE3ELNS1_11target_archE908ELNS1_3gpuE7ELNS1_3repE0EEENS1_30default_config_static_selectorELNS0_4arch9wavefront6targetE0EEEvT1_.kd
    .uniform_work_group_size: 1
    .uses_dynamic_stack: false
    .vgpr_count:     0
    .vgpr_spill_count: 0
    .wavefront_size: 32
    .workgroup_processor_mode: 1
  - .args:
      - .offset:         0
        .size:           112
        .value_kind:     by_value
    .group_segment_fixed_size: 0
    .kernarg_segment_align: 8
    .kernarg_segment_size: 112
    .language:       OpenCL C
    .language_version:
      - 2
      - 0
    .max_flat_workgroup_size: 256
    .name:           _ZN7rocprim17ROCPRIM_400000_NS6detail17trampoline_kernelINS0_14default_configENS1_27scan_by_key_config_selectorIifEEZZNS1_16scan_by_key_implILNS1_25lookback_scan_determinismE0ELb0ES3_N6thrust23THRUST_200600_302600_NS6detail15normal_iteratorINS9_10device_ptrIiEEEENSB_INSC_IfEEEESG_fNS9_4plusIvEENS9_8equal_toIvEEfEE10hipError_tPvRmT2_T3_T4_T5_mT6_T7_P12ihipStream_tbENKUlT_T0_E_clISt17integral_constantIbLb1EES11_EEDaSW_SX_EUlSW_E_NS1_11comp_targetILNS1_3genE2ELNS1_11target_archE906ELNS1_3gpuE6ELNS1_3repE0EEENS1_30default_config_static_selectorELNS0_4arch9wavefront6targetE0EEEvT1_
    .private_segment_fixed_size: 0
    .sgpr_count:     0
    .sgpr_spill_count: 0
    .symbol:         _ZN7rocprim17ROCPRIM_400000_NS6detail17trampoline_kernelINS0_14default_configENS1_27scan_by_key_config_selectorIifEEZZNS1_16scan_by_key_implILNS1_25lookback_scan_determinismE0ELb0ES3_N6thrust23THRUST_200600_302600_NS6detail15normal_iteratorINS9_10device_ptrIiEEEENSB_INSC_IfEEEESG_fNS9_4plusIvEENS9_8equal_toIvEEfEE10hipError_tPvRmT2_T3_T4_T5_mT6_T7_P12ihipStream_tbENKUlT_T0_E_clISt17integral_constantIbLb1EES11_EEDaSW_SX_EUlSW_E_NS1_11comp_targetILNS1_3genE2ELNS1_11target_archE906ELNS1_3gpuE6ELNS1_3repE0EEENS1_30default_config_static_selectorELNS0_4arch9wavefront6targetE0EEEvT1_.kd
    .uniform_work_group_size: 1
    .uses_dynamic_stack: false
    .vgpr_count:     0
    .vgpr_spill_count: 0
    .wavefront_size: 32
    .workgroup_processor_mode: 1
  - .args:
      - .offset:         0
        .size:           112
        .value_kind:     by_value
    .group_segment_fixed_size: 0
    .kernarg_segment_align: 8
    .kernarg_segment_size: 112
    .language:       OpenCL C
    .language_version:
      - 2
      - 0
    .max_flat_workgroup_size: 256
    .name:           _ZN7rocprim17ROCPRIM_400000_NS6detail17trampoline_kernelINS0_14default_configENS1_27scan_by_key_config_selectorIifEEZZNS1_16scan_by_key_implILNS1_25lookback_scan_determinismE0ELb0ES3_N6thrust23THRUST_200600_302600_NS6detail15normal_iteratorINS9_10device_ptrIiEEEENSB_INSC_IfEEEESG_fNS9_4plusIvEENS9_8equal_toIvEEfEE10hipError_tPvRmT2_T3_T4_T5_mT6_T7_P12ihipStream_tbENKUlT_T0_E_clISt17integral_constantIbLb1EES11_EEDaSW_SX_EUlSW_E_NS1_11comp_targetILNS1_3genE10ELNS1_11target_archE1200ELNS1_3gpuE4ELNS1_3repE0EEENS1_30default_config_static_selectorELNS0_4arch9wavefront6targetE0EEEvT1_
    .private_segment_fixed_size: 0
    .sgpr_count:     0
    .sgpr_spill_count: 0
    .symbol:         _ZN7rocprim17ROCPRIM_400000_NS6detail17trampoline_kernelINS0_14default_configENS1_27scan_by_key_config_selectorIifEEZZNS1_16scan_by_key_implILNS1_25lookback_scan_determinismE0ELb0ES3_N6thrust23THRUST_200600_302600_NS6detail15normal_iteratorINS9_10device_ptrIiEEEENSB_INSC_IfEEEESG_fNS9_4plusIvEENS9_8equal_toIvEEfEE10hipError_tPvRmT2_T3_T4_T5_mT6_T7_P12ihipStream_tbENKUlT_T0_E_clISt17integral_constantIbLb1EES11_EEDaSW_SX_EUlSW_E_NS1_11comp_targetILNS1_3genE10ELNS1_11target_archE1200ELNS1_3gpuE4ELNS1_3repE0EEENS1_30default_config_static_selectorELNS0_4arch9wavefront6targetE0EEEvT1_.kd
    .uniform_work_group_size: 1
    .uses_dynamic_stack: false
    .vgpr_count:     0
    .vgpr_spill_count: 0
    .wavefront_size: 32
    .workgroup_processor_mode: 1
  - .args:
      - .offset:         0
        .size:           112
        .value_kind:     by_value
    .group_segment_fixed_size: 0
    .kernarg_segment_align: 8
    .kernarg_segment_size: 112
    .language:       OpenCL C
    .language_version:
      - 2
      - 0
    .max_flat_workgroup_size: 256
    .name:           _ZN7rocprim17ROCPRIM_400000_NS6detail17trampoline_kernelINS0_14default_configENS1_27scan_by_key_config_selectorIifEEZZNS1_16scan_by_key_implILNS1_25lookback_scan_determinismE0ELb0ES3_N6thrust23THRUST_200600_302600_NS6detail15normal_iteratorINS9_10device_ptrIiEEEENSB_INSC_IfEEEESG_fNS9_4plusIvEENS9_8equal_toIvEEfEE10hipError_tPvRmT2_T3_T4_T5_mT6_T7_P12ihipStream_tbENKUlT_T0_E_clISt17integral_constantIbLb1EES11_EEDaSW_SX_EUlSW_E_NS1_11comp_targetILNS1_3genE9ELNS1_11target_archE1100ELNS1_3gpuE3ELNS1_3repE0EEENS1_30default_config_static_selectorELNS0_4arch9wavefront6targetE0EEEvT1_
    .private_segment_fixed_size: 0
    .sgpr_count:     0
    .sgpr_spill_count: 0
    .symbol:         _ZN7rocprim17ROCPRIM_400000_NS6detail17trampoline_kernelINS0_14default_configENS1_27scan_by_key_config_selectorIifEEZZNS1_16scan_by_key_implILNS1_25lookback_scan_determinismE0ELb0ES3_N6thrust23THRUST_200600_302600_NS6detail15normal_iteratorINS9_10device_ptrIiEEEENSB_INSC_IfEEEESG_fNS9_4plusIvEENS9_8equal_toIvEEfEE10hipError_tPvRmT2_T3_T4_T5_mT6_T7_P12ihipStream_tbENKUlT_T0_E_clISt17integral_constantIbLb1EES11_EEDaSW_SX_EUlSW_E_NS1_11comp_targetILNS1_3genE9ELNS1_11target_archE1100ELNS1_3gpuE3ELNS1_3repE0EEENS1_30default_config_static_selectorELNS0_4arch9wavefront6targetE0EEEvT1_.kd
    .uniform_work_group_size: 1
    .uses_dynamic_stack: false
    .vgpr_count:     0
    .vgpr_spill_count: 0
    .wavefront_size: 32
    .workgroup_processor_mode: 1
  - .args:
      - .offset:         0
        .size:           112
        .value_kind:     by_value
    .group_segment_fixed_size: 0
    .kernarg_segment_align: 8
    .kernarg_segment_size: 112
    .language:       OpenCL C
    .language_version:
      - 2
      - 0
    .max_flat_workgroup_size: 256
    .name:           _ZN7rocprim17ROCPRIM_400000_NS6detail17trampoline_kernelINS0_14default_configENS1_27scan_by_key_config_selectorIifEEZZNS1_16scan_by_key_implILNS1_25lookback_scan_determinismE0ELb0ES3_N6thrust23THRUST_200600_302600_NS6detail15normal_iteratorINS9_10device_ptrIiEEEENSB_INSC_IfEEEESG_fNS9_4plusIvEENS9_8equal_toIvEEfEE10hipError_tPvRmT2_T3_T4_T5_mT6_T7_P12ihipStream_tbENKUlT_T0_E_clISt17integral_constantIbLb1EES11_EEDaSW_SX_EUlSW_E_NS1_11comp_targetILNS1_3genE8ELNS1_11target_archE1030ELNS1_3gpuE2ELNS1_3repE0EEENS1_30default_config_static_selectorELNS0_4arch9wavefront6targetE0EEEvT1_
    .private_segment_fixed_size: 0
    .sgpr_count:     0
    .sgpr_spill_count: 0
    .symbol:         _ZN7rocprim17ROCPRIM_400000_NS6detail17trampoline_kernelINS0_14default_configENS1_27scan_by_key_config_selectorIifEEZZNS1_16scan_by_key_implILNS1_25lookback_scan_determinismE0ELb0ES3_N6thrust23THRUST_200600_302600_NS6detail15normal_iteratorINS9_10device_ptrIiEEEENSB_INSC_IfEEEESG_fNS9_4plusIvEENS9_8equal_toIvEEfEE10hipError_tPvRmT2_T3_T4_T5_mT6_T7_P12ihipStream_tbENKUlT_T0_E_clISt17integral_constantIbLb1EES11_EEDaSW_SX_EUlSW_E_NS1_11comp_targetILNS1_3genE8ELNS1_11target_archE1030ELNS1_3gpuE2ELNS1_3repE0EEENS1_30default_config_static_selectorELNS0_4arch9wavefront6targetE0EEEvT1_.kd
    .uniform_work_group_size: 1
    .uses_dynamic_stack: false
    .vgpr_count:     0
    .vgpr_spill_count: 0
    .wavefront_size: 32
    .workgroup_processor_mode: 1
  - .args:
      - .address_space:  global
        .offset:         0
        .size:           8
        .value_kind:     global_buffer
      - .offset:         8
        .size:           4
        .value_kind:     by_value
      - .offset:         12
        .size:           4
        .value_kind:     by_value
      - .address_space:  global
        .offset:         16
        .size:           8
        .value_kind:     global_buffer
      - .address_space:  global
        .offset:         24
        .size:           8
        .value_kind:     global_buffer
      - .actual_access:  write_only
        .address_space:  global
        .offset:         32
        .size:           8
        .value_kind:     global_buffer
      - .offset:         40
        .size:           8
        .value_kind:     by_value
      - .offset:         48
        .size:           4
        .value_kind:     by_value
      - .offset:         52
        .size:           1
        .value_kind:     by_value
      - .offset:         56
        .size:           4
        .value_kind:     hidden_block_count_x
      - .offset:         60
        .size:           4
        .value_kind:     hidden_block_count_y
      - .offset:         64
        .size:           4
        .value_kind:     hidden_block_count_z
      - .offset:         68
        .size:           2
        .value_kind:     hidden_group_size_x
      - .offset:         70
        .size:           2
        .value_kind:     hidden_group_size_y
      - .offset:         72
        .size:           2
        .value_kind:     hidden_group_size_z
      - .offset:         74
        .size:           2
        .value_kind:     hidden_remainder_x
      - .offset:         76
        .size:           2
        .value_kind:     hidden_remainder_y
      - .offset:         78
        .size:           2
        .value_kind:     hidden_remainder_z
      - .offset:         96
        .size:           8
        .value_kind:     hidden_global_offset_x
      - .offset:         104
        .size:           8
        .value_kind:     hidden_global_offset_y
      - .offset:         112
        .size:           8
        .value_kind:     hidden_global_offset_z
      - .offset:         120
        .size:           2
        .value_kind:     hidden_grid_dims
    .group_segment_fixed_size: 0
    .kernarg_segment_align: 8
    .kernarg_segment_size: 312
    .language:       OpenCL C
    .language_version:
      - 2
      - 0
    .max_flat_workgroup_size: 256
    .name:           _ZN7rocprim17ROCPRIM_400000_NS6detail30init_device_scan_by_key_kernelINS1_19lookback_scan_stateINS0_5tupleIJfbEEELb1ELb1EEEN6thrust23THRUST_200600_302600_NS6detail15normal_iteratorINS8_10device_ptrIiEEEEjNS1_16block_id_wrapperIjLb0EEEEEvT_jjPNSG_10value_typeET0_PNSt15iterator_traitsISJ_E10value_typeEmT1_T2_
    .private_segment_fixed_size: 0
    .sgpr_count:     19
    .sgpr_spill_count: 0
    .symbol:         _ZN7rocprim17ROCPRIM_400000_NS6detail30init_device_scan_by_key_kernelINS1_19lookback_scan_stateINS0_5tupleIJfbEEELb1ELb1EEEN6thrust23THRUST_200600_302600_NS6detail15normal_iteratorINS8_10device_ptrIiEEEEjNS1_16block_id_wrapperIjLb0EEEEEvT_jjPNSG_10value_typeET0_PNSt15iterator_traitsISJ_E10value_typeEmT1_T2_.kd
    .uniform_work_group_size: 1
    .uses_dynamic_stack: false
    .vgpr_count:     9
    .vgpr_spill_count: 0
    .wavefront_size: 32
    .workgroup_processor_mode: 1
  - .args:
      - .address_space:  global
        .offset:         0
        .size:           8
        .value_kind:     global_buffer
      - .offset:         8
        .size:           4
        .value_kind:     by_value
      - .offset:         12
        .size:           4
        .value_kind:     by_value
      - .address_space:  global
        .offset:         16
        .size:           8
        .value_kind:     global_buffer
      - .offset:         24
        .size:           1
        .value_kind:     by_value
      - .offset:         32
        .size:           4
        .value_kind:     hidden_block_count_x
      - .offset:         36
        .size:           4
        .value_kind:     hidden_block_count_y
      - .offset:         40
        .size:           4
        .value_kind:     hidden_block_count_z
      - .offset:         44
        .size:           2
        .value_kind:     hidden_group_size_x
      - .offset:         46
        .size:           2
        .value_kind:     hidden_group_size_y
      - .offset:         48
        .size:           2
        .value_kind:     hidden_group_size_z
      - .offset:         50
        .size:           2
        .value_kind:     hidden_remainder_x
      - .offset:         52
        .size:           2
        .value_kind:     hidden_remainder_y
      - .offset:         54
        .size:           2
        .value_kind:     hidden_remainder_z
      - .offset:         72
        .size:           8
        .value_kind:     hidden_global_offset_x
      - .offset:         80
        .size:           8
        .value_kind:     hidden_global_offset_y
      - .offset:         88
        .size:           8
        .value_kind:     hidden_global_offset_z
      - .offset:         96
        .size:           2
        .value_kind:     hidden_grid_dims
    .group_segment_fixed_size: 0
    .kernarg_segment_align: 8
    .kernarg_segment_size: 288
    .language:       OpenCL C
    .language_version:
      - 2
      - 0
    .max_flat_workgroup_size: 256
    .name:           _ZN7rocprim17ROCPRIM_400000_NS6detail30init_device_scan_by_key_kernelINS1_19lookback_scan_stateINS0_5tupleIJfbEEELb1ELb1EEENS1_16block_id_wrapperIjLb0EEEEEvT_jjPNS9_10value_typeET0_
    .private_segment_fixed_size: 0
    .sgpr_count:     12
    .sgpr_spill_count: 0
    .symbol:         _ZN7rocprim17ROCPRIM_400000_NS6detail30init_device_scan_by_key_kernelINS1_19lookback_scan_stateINS0_5tupleIJfbEEELb1ELb1EEENS1_16block_id_wrapperIjLb0EEEEEvT_jjPNS9_10value_typeET0_.kd
    .uniform_work_group_size: 1
    .uses_dynamic_stack: false
    .vgpr_count:     8
    .vgpr_spill_count: 0
    .wavefront_size: 32
    .workgroup_processor_mode: 1
  - .args:
      - .offset:         0
        .size:           112
        .value_kind:     by_value
    .group_segment_fixed_size: 0
    .kernarg_segment_align: 8
    .kernarg_segment_size: 112
    .language:       OpenCL C
    .language_version:
      - 2
      - 0
    .max_flat_workgroup_size: 256
    .name:           _ZN7rocprim17ROCPRIM_400000_NS6detail17trampoline_kernelINS0_14default_configENS1_27scan_by_key_config_selectorIifEEZZNS1_16scan_by_key_implILNS1_25lookback_scan_determinismE0ELb0ES3_N6thrust23THRUST_200600_302600_NS6detail15normal_iteratorINS9_10device_ptrIiEEEENSB_INSC_IfEEEESG_fNS9_4plusIvEENS9_8equal_toIvEEfEE10hipError_tPvRmT2_T3_T4_T5_mT6_T7_P12ihipStream_tbENKUlT_T0_E_clISt17integral_constantIbLb1EES10_IbLb0EEEEDaSW_SX_EUlSW_E_NS1_11comp_targetILNS1_3genE0ELNS1_11target_archE4294967295ELNS1_3gpuE0ELNS1_3repE0EEENS1_30default_config_static_selectorELNS0_4arch9wavefront6targetE0EEEvT1_
    .private_segment_fixed_size: 0
    .sgpr_count:     0
    .sgpr_spill_count: 0
    .symbol:         _ZN7rocprim17ROCPRIM_400000_NS6detail17trampoline_kernelINS0_14default_configENS1_27scan_by_key_config_selectorIifEEZZNS1_16scan_by_key_implILNS1_25lookback_scan_determinismE0ELb0ES3_N6thrust23THRUST_200600_302600_NS6detail15normal_iteratorINS9_10device_ptrIiEEEENSB_INSC_IfEEEESG_fNS9_4plusIvEENS9_8equal_toIvEEfEE10hipError_tPvRmT2_T3_T4_T5_mT6_T7_P12ihipStream_tbENKUlT_T0_E_clISt17integral_constantIbLb1EES10_IbLb0EEEEDaSW_SX_EUlSW_E_NS1_11comp_targetILNS1_3genE0ELNS1_11target_archE4294967295ELNS1_3gpuE0ELNS1_3repE0EEENS1_30default_config_static_selectorELNS0_4arch9wavefront6targetE0EEEvT1_.kd
    .uniform_work_group_size: 1
    .uses_dynamic_stack: false
    .vgpr_count:     0
    .vgpr_spill_count: 0
    .wavefront_size: 32
    .workgroup_processor_mode: 1
  - .args:
      - .offset:         0
        .size:           112
        .value_kind:     by_value
    .group_segment_fixed_size: 0
    .kernarg_segment_align: 8
    .kernarg_segment_size: 112
    .language:       OpenCL C
    .language_version:
      - 2
      - 0
    .max_flat_workgroup_size: 256
    .name:           _ZN7rocprim17ROCPRIM_400000_NS6detail17trampoline_kernelINS0_14default_configENS1_27scan_by_key_config_selectorIifEEZZNS1_16scan_by_key_implILNS1_25lookback_scan_determinismE0ELb0ES3_N6thrust23THRUST_200600_302600_NS6detail15normal_iteratorINS9_10device_ptrIiEEEENSB_INSC_IfEEEESG_fNS9_4plusIvEENS9_8equal_toIvEEfEE10hipError_tPvRmT2_T3_T4_T5_mT6_T7_P12ihipStream_tbENKUlT_T0_E_clISt17integral_constantIbLb1EES10_IbLb0EEEEDaSW_SX_EUlSW_E_NS1_11comp_targetILNS1_3genE10ELNS1_11target_archE1201ELNS1_3gpuE5ELNS1_3repE0EEENS1_30default_config_static_selectorELNS0_4arch9wavefront6targetE0EEEvT1_
    .private_segment_fixed_size: 0
    .sgpr_count:     0
    .sgpr_spill_count: 0
    .symbol:         _ZN7rocprim17ROCPRIM_400000_NS6detail17trampoline_kernelINS0_14default_configENS1_27scan_by_key_config_selectorIifEEZZNS1_16scan_by_key_implILNS1_25lookback_scan_determinismE0ELb0ES3_N6thrust23THRUST_200600_302600_NS6detail15normal_iteratorINS9_10device_ptrIiEEEENSB_INSC_IfEEEESG_fNS9_4plusIvEENS9_8equal_toIvEEfEE10hipError_tPvRmT2_T3_T4_T5_mT6_T7_P12ihipStream_tbENKUlT_T0_E_clISt17integral_constantIbLb1EES10_IbLb0EEEEDaSW_SX_EUlSW_E_NS1_11comp_targetILNS1_3genE10ELNS1_11target_archE1201ELNS1_3gpuE5ELNS1_3repE0EEENS1_30default_config_static_selectorELNS0_4arch9wavefront6targetE0EEEvT1_.kd
    .uniform_work_group_size: 1
    .uses_dynamic_stack: false
    .vgpr_count:     0
    .vgpr_spill_count: 0
    .wavefront_size: 32
    .workgroup_processor_mode: 1
  - .args:
      - .offset:         0
        .size:           112
        .value_kind:     by_value
    .group_segment_fixed_size: 0
    .kernarg_segment_align: 8
    .kernarg_segment_size: 112
    .language:       OpenCL C
    .language_version:
      - 2
      - 0
    .max_flat_workgroup_size: 256
    .name:           _ZN7rocprim17ROCPRIM_400000_NS6detail17trampoline_kernelINS0_14default_configENS1_27scan_by_key_config_selectorIifEEZZNS1_16scan_by_key_implILNS1_25lookback_scan_determinismE0ELb0ES3_N6thrust23THRUST_200600_302600_NS6detail15normal_iteratorINS9_10device_ptrIiEEEENSB_INSC_IfEEEESG_fNS9_4plusIvEENS9_8equal_toIvEEfEE10hipError_tPvRmT2_T3_T4_T5_mT6_T7_P12ihipStream_tbENKUlT_T0_E_clISt17integral_constantIbLb1EES10_IbLb0EEEEDaSW_SX_EUlSW_E_NS1_11comp_targetILNS1_3genE5ELNS1_11target_archE942ELNS1_3gpuE9ELNS1_3repE0EEENS1_30default_config_static_selectorELNS0_4arch9wavefront6targetE0EEEvT1_
    .private_segment_fixed_size: 0
    .sgpr_count:     0
    .sgpr_spill_count: 0
    .symbol:         _ZN7rocprim17ROCPRIM_400000_NS6detail17trampoline_kernelINS0_14default_configENS1_27scan_by_key_config_selectorIifEEZZNS1_16scan_by_key_implILNS1_25lookback_scan_determinismE0ELb0ES3_N6thrust23THRUST_200600_302600_NS6detail15normal_iteratorINS9_10device_ptrIiEEEENSB_INSC_IfEEEESG_fNS9_4plusIvEENS9_8equal_toIvEEfEE10hipError_tPvRmT2_T3_T4_T5_mT6_T7_P12ihipStream_tbENKUlT_T0_E_clISt17integral_constantIbLb1EES10_IbLb0EEEEDaSW_SX_EUlSW_E_NS1_11comp_targetILNS1_3genE5ELNS1_11target_archE942ELNS1_3gpuE9ELNS1_3repE0EEENS1_30default_config_static_selectorELNS0_4arch9wavefront6targetE0EEEvT1_.kd
    .uniform_work_group_size: 1
    .uses_dynamic_stack: false
    .vgpr_count:     0
    .vgpr_spill_count: 0
    .wavefront_size: 32
    .workgroup_processor_mode: 1
  - .args:
      - .offset:         0
        .size:           112
        .value_kind:     by_value
    .group_segment_fixed_size: 0
    .kernarg_segment_align: 8
    .kernarg_segment_size: 112
    .language:       OpenCL C
    .language_version:
      - 2
      - 0
    .max_flat_workgroup_size: 256
    .name:           _ZN7rocprim17ROCPRIM_400000_NS6detail17trampoline_kernelINS0_14default_configENS1_27scan_by_key_config_selectorIifEEZZNS1_16scan_by_key_implILNS1_25lookback_scan_determinismE0ELb0ES3_N6thrust23THRUST_200600_302600_NS6detail15normal_iteratorINS9_10device_ptrIiEEEENSB_INSC_IfEEEESG_fNS9_4plusIvEENS9_8equal_toIvEEfEE10hipError_tPvRmT2_T3_T4_T5_mT6_T7_P12ihipStream_tbENKUlT_T0_E_clISt17integral_constantIbLb1EES10_IbLb0EEEEDaSW_SX_EUlSW_E_NS1_11comp_targetILNS1_3genE4ELNS1_11target_archE910ELNS1_3gpuE8ELNS1_3repE0EEENS1_30default_config_static_selectorELNS0_4arch9wavefront6targetE0EEEvT1_
    .private_segment_fixed_size: 0
    .sgpr_count:     0
    .sgpr_spill_count: 0
    .symbol:         _ZN7rocprim17ROCPRIM_400000_NS6detail17trampoline_kernelINS0_14default_configENS1_27scan_by_key_config_selectorIifEEZZNS1_16scan_by_key_implILNS1_25lookback_scan_determinismE0ELb0ES3_N6thrust23THRUST_200600_302600_NS6detail15normal_iteratorINS9_10device_ptrIiEEEENSB_INSC_IfEEEESG_fNS9_4plusIvEENS9_8equal_toIvEEfEE10hipError_tPvRmT2_T3_T4_T5_mT6_T7_P12ihipStream_tbENKUlT_T0_E_clISt17integral_constantIbLb1EES10_IbLb0EEEEDaSW_SX_EUlSW_E_NS1_11comp_targetILNS1_3genE4ELNS1_11target_archE910ELNS1_3gpuE8ELNS1_3repE0EEENS1_30default_config_static_selectorELNS0_4arch9wavefront6targetE0EEEvT1_.kd
    .uniform_work_group_size: 1
    .uses_dynamic_stack: false
    .vgpr_count:     0
    .vgpr_spill_count: 0
    .wavefront_size: 32
    .workgroup_processor_mode: 1
  - .args:
      - .offset:         0
        .size:           112
        .value_kind:     by_value
    .group_segment_fixed_size: 0
    .kernarg_segment_align: 8
    .kernarg_segment_size: 112
    .language:       OpenCL C
    .language_version:
      - 2
      - 0
    .max_flat_workgroup_size: 256
    .name:           _ZN7rocprim17ROCPRIM_400000_NS6detail17trampoline_kernelINS0_14default_configENS1_27scan_by_key_config_selectorIifEEZZNS1_16scan_by_key_implILNS1_25lookback_scan_determinismE0ELb0ES3_N6thrust23THRUST_200600_302600_NS6detail15normal_iteratorINS9_10device_ptrIiEEEENSB_INSC_IfEEEESG_fNS9_4plusIvEENS9_8equal_toIvEEfEE10hipError_tPvRmT2_T3_T4_T5_mT6_T7_P12ihipStream_tbENKUlT_T0_E_clISt17integral_constantIbLb1EES10_IbLb0EEEEDaSW_SX_EUlSW_E_NS1_11comp_targetILNS1_3genE3ELNS1_11target_archE908ELNS1_3gpuE7ELNS1_3repE0EEENS1_30default_config_static_selectorELNS0_4arch9wavefront6targetE0EEEvT1_
    .private_segment_fixed_size: 0
    .sgpr_count:     0
    .sgpr_spill_count: 0
    .symbol:         _ZN7rocprim17ROCPRIM_400000_NS6detail17trampoline_kernelINS0_14default_configENS1_27scan_by_key_config_selectorIifEEZZNS1_16scan_by_key_implILNS1_25lookback_scan_determinismE0ELb0ES3_N6thrust23THRUST_200600_302600_NS6detail15normal_iteratorINS9_10device_ptrIiEEEENSB_INSC_IfEEEESG_fNS9_4plusIvEENS9_8equal_toIvEEfEE10hipError_tPvRmT2_T3_T4_T5_mT6_T7_P12ihipStream_tbENKUlT_T0_E_clISt17integral_constantIbLb1EES10_IbLb0EEEEDaSW_SX_EUlSW_E_NS1_11comp_targetILNS1_3genE3ELNS1_11target_archE908ELNS1_3gpuE7ELNS1_3repE0EEENS1_30default_config_static_selectorELNS0_4arch9wavefront6targetE0EEEvT1_.kd
    .uniform_work_group_size: 1
    .uses_dynamic_stack: false
    .vgpr_count:     0
    .vgpr_spill_count: 0
    .wavefront_size: 32
    .workgroup_processor_mode: 1
  - .args:
      - .offset:         0
        .size:           112
        .value_kind:     by_value
    .group_segment_fixed_size: 0
    .kernarg_segment_align: 8
    .kernarg_segment_size: 112
    .language:       OpenCL C
    .language_version:
      - 2
      - 0
    .max_flat_workgroup_size: 256
    .name:           _ZN7rocprim17ROCPRIM_400000_NS6detail17trampoline_kernelINS0_14default_configENS1_27scan_by_key_config_selectorIifEEZZNS1_16scan_by_key_implILNS1_25lookback_scan_determinismE0ELb0ES3_N6thrust23THRUST_200600_302600_NS6detail15normal_iteratorINS9_10device_ptrIiEEEENSB_INSC_IfEEEESG_fNS9_4plusIvEENS9_8equal_toIvEEfEE10hipError_tPvRmT2_T3_T4_T5_mT6_T7_P12ihipStream_tbENKUlT_T0_E_clISt17integral_constantIbLb1EES10_IbLb0EEEEDaSW_SX_EUlSW_E_NS1_11comp_targetILNS1_3genE2ELNS1_11target_archE906ELNS1_3gpuE6ELNS1_3repE0EEENS1_30default_config_static_selectorELNS0_4arch9wavefront6targetE0EEEvT1_
    .private_segment_fixed_size: 0
    .sgpr_count:     0
    .sgpr_spill_count: 0
    .symbol:         _ZN7rocprim17ROCPRIM_400000_NS6detail17trampoline_kernelINS0_14default_configENS1_27scan_by_key_config_selectorIifEEZZNS1_16scan_by_key_implILNS1_25lookback_scan_determinismE0ELb0ES3_N6thrust23THRUST_200600_302600_NS6detail15normal_iteratorINS9_10device_ptrIiEEEENSB_INSC_IfEEEESG_fNS9_4plusIvEENS9_8equal_toIvEEfEE10hipError_tPvRmT2_T3_T4_T5_mT6_T7_P12ihipStream_tbENKUlT_T0_E_clISt17integral_constantIbLb1EES10_IbLb0EEEEDaSW_SX_EUlSW_E_NS1_11comp_targetILNS1_3genE2ELNS1_11target_archE906ELNS1_3gpuE6ELNS1_3repE0EEENS1_30default_config_static_selectorELNS0_4arch9wavefront6targetE0EEEvT1_.kd
    .uniform_work_group_size: 1
    .uses_dynamic_stack: false
    .vgpr_count:     0
    .vgpr_spill_count: 0
    .wavefront_size: 32
    .workgroup_processor_mode: 1
  - .args:
      - .offset:         0
        .size:           112
        .value_kind:     by_value
    .group_segment_fixed_size: 0
    .kernarg_segment_align: 8
    .kernarg_segment_size: 112
    .language:       OpenCL C
    .language_version:
      - 2
      - 0
    .max_flat_workgroup_size: 256
    .name:           _ZN7rocprim17ROCPRIM_400000_NS6detail17trampoline_kernelINS0_14default_configENS1_27scan_by_key_config_selectorIifEEZZNS1_16scan_by_key_implILNS1_25lookback_scan_determinismE0ELb0ES3_N6thrust23THRUST_200600_302600_NS6detail15normal_iteratorINS9_10device_ptrIiEEEENSB_INSC_IfEEEESG_fNS9_4plusIvEENS9_8equal_toIvEEfEE10hipError_tPvRmT2_T3_T4_T5_mT6_T7_P12ihipStream_tbENKUlT_T0_E_clISt17integral_constantIbLb1EES10_IbLb0EEEEDaSW_SX_EUlSW_E_NS1_11comp_targetILNS1_3genE10ELNS1_11target_archE1200ELNS1_3gpuE4ELNS1_3repE0EEENS1_30default_config_static_selectorELNS0_4arch9wavefront6targetE0EEEvT1_
    .private_segment_fixed_size: 0
    .sgpr_count:     0
    .sgpr_spill_count: 0
    .symbol:         _ZN7rocprim17ROCPRIM_400000_NS6detail17trampoline_kernelINS0_14default_configENS1_27scan_by_key_config_selectorIifEEZZNS1_16scan_by_key_implILNS1_25lookback_scan_determinismE0ELb0ES3_N6thrust23THRUST_200600_302600_NS6detail15normal_iteratorINS9_10device_ptrIiEEEENSB_INSC_IfEEEESG_fNS9_4plusIvEENS9_8equal_toIvEEfEE10hipError_tPvRmT2_T3_T4_T5_mT6_T7_P12ihipStream_tbENKUlT_T0_E_clISt17integral_constantIbLb1EES10_IbLb0EEEEDaSW_SX_EUlSW_E_NS1_11comp_targetILNS1_3genE10ELNS1_11target_archE1200ELNS1_3gpuE4ELNS1_3repE0EEENS1_30default_config_static_selectorELNS0_4arch9wavefront6targetE0EEEvT1_.kd
    .uniform_work_group_size: 1
    .uses_dynamic_stack: false
    .vgpr_count:     0
    .vgpr_spill_count: 0
    .wavefront_size: 32
    .workgroup_processor_mode: 1
  - .args:
      - .offset:         0
        .size:           112
        .value_kind:     by_value
    .group_segment_fixed_size: 0
    .kernarg_segment_align: 8
    .kernarg_segment_size: 112
    .language:       OpenCL C
    .language_version:
      - 2
      - 0
    .max_flat_workgroup_size: 256
    .name:           _ZN7rocprim17ROCPRIM_400000_NS6detail17trampoline_kernelINS0_14default_configENS1_27scan_by_key_config_selectorIifEEZZNS1_16scan_by_key_implILNS1_25lookback_scan_determinismE0ELb0ES3_N6thrust23THRUST_200600_302600_NS6detail15normal_iteratorINS9_10device_ptrIiEEEENSB_INSC_IfEEEESG_fNS9_4plusIvEENS9_8equal_toIvEEfEE10hipError_tPvRmT2_T3_T4_T5_mT6_T7_P12ihipStream_tbENKUlT_T0_E_clISt17integral_constantIbLb1EES10_IbLb0EEEEDaSW_SX_EUlSW_E_NS1_11comp_targetILNS1_3genE9ELNS1_11target_archE1100ELNS1_3gpuE3ELNS1_3repE0EEENS1_30default_config_static_selectorELNS0_4arch9wavefront6targetE0EEEvT1_
    .private_segment_fixed_size: 0
    .sgpr_count:     0
    .sgpr_spill_count: 0
    .symbol:         _ZN7rocprim17ROCPRIM_400000_NS6detail17trampoline_kernelINS0_14default_configENS1_27scan_by_key_config_selectorIifEEZZNS1_16scan_by_key_implILNS1_25lookback_scan_determinismE0ELb0ES3_N6thrust23THRUST_200600_302600_NS6detail15normal_iteratorINS9_10device_ptrIiEEEENSB_INSC_IfEEEESG_fNS9_4plusIvEENS9_8equal_toIvEEfEE10hipError_tPvRmT2_T3_T4_T5_mT6_T7_P12ihipStream_tbENKUlT_T0_E_clISt17integral_constantIbLb1EES10_IbLb0EEEEDaSW_SX_EUlSW_E_NS1_11comp_targetILNS1_3genE9ELNS1_11target_archE1100ELNS1_3gpuE3ELNS1_3repE0EEENS1_30default_config_static_selectorELNS0_4arch9wavefront6targetE0EEEvT1_.kd
    .uniform_work_group_size: 1
    .uses_dynamic_stack: false
    .vgpr_count:     0
    .vgpr_spill_count: 0
    .wavefront_size: 32
    .workgroup_processor_mode: 1
  - .args:
      - .offset:         0
        .size:           112
        .value_kind:     by_value
    .group_segment_fixed_size: 0
    .kernarg_segment_align: 8
    .kernarg_segment_size: 112
    .language:       OpenCL C
    .language_version:
      - 2
      - 0
    .max_flat_workgroup_size: 256
    .name:           _ZN7rocprim17ROCPRIM_400000_NS6detail17trampoline_kernelINS0_14default_configENS1_27scan_by_key_config_selectorIifEEZZNS1_16scan_by_key_implILNS1_25lookback_scan_determinismE0ELb0ES3_N6thrust23THRUST_200600_302600_NS6detail15normal_iteratorINS9_10device_ptrIiEEEENSB_INSC_IfEEEESG_fNS9_4plusIvEENS9_8equal_toIvEEfEE10hipError_tPvRmT2_T3_T4_T5_mT6_T7_P12ihipStream_tbENKUlT_T0_E_clISt17integral_constantIbLb1EES10_IbLb0EEEEDaSW_SX_EUlSW_E_NS1_11comp_targetILNS1_3genE8ELNS1_11target_archE1030ELNS1_3gpuE2ELNS1_3repE0EEENS1_30default_config_static_selectorELNS0_4arch9wavefront6targetE0EEEvT1_
    .private_segment_fixed_size: 0
    .sgpr_count:     0
    .sgpr_spill_count: 0
    .symbol:         _ZN7rocprim17ROCPRIM_400000_NS6detail17trampoline_kernelINS0_14default_configENS1_27scan_by_key_config_selectorIifEEZZNS1_16scan_by_key_implILNS1_25lookback_scan_determinismE0ELb0ES3_N6thrust23THRUST_200600_302600_NS6detail15normal_iteratorINS9_10device_ptrIiEEEENSB_INSC_IfEEEESG_fNS9_4plusIvEENS9_8equal_toIvEEfEE10hipError_tPvRmT2_T3_T4_T5_mT6_T7_P12ihipStream_tbENKUlT_T0_E_clISt17integral_constantIbLb1EES10_IbLb0EEEEDaSW_SX_EUlSW_E_NS1_11comp_targetILNS1_3genE8ELNS1_11target_archE1030ELNS1_3gpuE2ELNS1_3repE0EEENS1_30default_config_static_selectorELNS0_4arch9wavefront6targetE0EEEvT1_.kd
    .uniform_work_group_size: 1
    .uses_dynamic_stack: false
    .vgpr_count:     0
    .vgpr_spill_count: 0
    .wavefront_size: 32
    .workgroup_processor_mode: 1
  - .args:
      - .address_space:  global
        .offset:         0
        .size:           8
        .value_kind:     global_buffer
      - .offset:         8
        .size:           4
        .value_kind:     by_value
      - .offset:         12
        .size:           4
        .value_kind:     by_value
      - .address_space:  global
        .offset:         16
        .size:           8
        .value_kind:     global_buffer
      - .address_space:  global
        .offset:         24
        .size:           8
        .value_kind:     global_buffer
      - .actual_access:  write_only
        .address_space:  global
        .offset:         32
        .size:           8
        .value_kind:     global_buffer
      - .offset:         40
        .size:           8
        .value_kind:     by_value
      - .offset:         48
        .size:           4
        .value_kind:     by_value
      - .address_space:  global
        .offset:         56
        .size:           8
        .value_kind:     global_buffer
      - .offset:         64
        .size:           4
        .value_kind:     hidden_block_count_x
      - .offset:         68
        .size:           4
        .value_kind:     hidden_block_count_y
      - .offset:         72
        .size:           4
        .value_kind:     hidden_block_count_z
      - .offset:         76
        .size:           2
        .value_kind:     hidden_group_size_x
      - .offset:         78
        .size:           2
        .value_kind:     hidden_group_size_y
      - .offset:         80
        .size:           2
        .value_kind:     hidden_group_size_z
      - .offset:         82
        .size:           2
        .value_kind:     hidden_remainder_x
      - .offset:         84
        .size:           2
        .value_kind:     hidden_remainder_y
      - .offset:         86
        .size:           2
        .value_kind:     hidden_remainder_z
      - .offset:         104
        .size:           8
        .value_kind:     hidden_global_offset_x
      - .offset:         112
        .size:           8
        .value_kind:     hidden_global_offset_y
      - .offset:         120
        .size:           8
        .value_kind:     hidden_global_offset_z
      - .offset:         128
        .size:           2
        .value_kind:     hidden_grid_dims
    .group_segment_fixed_size: 0
    .kernarg_segment_align: 8
    .kernarg_segment_size: 320
    .language:       OpenCL C
    .language_version:
      - 2
      - 0
    .max_flat_workgroup_size: 256
    .name:           _ZN7rocprim17ROCPRIM_400000_NS6detail30init_device_scan_by_key_kernelINS1_19lookback_scan_stateINS0_5tupleIJfbEEELb0ELb1EEEN6thrust23THRUST_200600_302600_NS6detail15normal_iteratorINS8_10device_ptrIiEEEEjNS1_16block_id_wrapperIjLb1EEEEEvT_jjPNSG_10value_typeET0_PNSt15iterator_traitsISJ_E10value_typeEmT1_T2_
    .private_segment_fixed_size: 0
    .sgpr_count:     19
    .sgpr_spill_count: 0
    .symbol:         _ZN7rocprim17ROCPRIM_400000_NS6detail30init_device_scan_by_key_kernelINS1_19lookback_scan_stateINS0_5tupleIJfbEEELb0ELb1EEEN6thrust23THRUST_200600_302600_NS6detail15normal_iteratorINS8_10device_ptrIiEEEEjNS1_16block_id_wrapperIjLb1EEEEEvT_jjPNSG_10value_typeET0_PNSt15iterator_traitsISJ_E10value_typeEmT1_T2_.kd
    .uniform_work_group_size: 1
    .uses_dynamic_stack: false
    .vgpr_count:     9
    .vgpr_spill_count: 0
    .wavefront_size: 32
    .workgroup_processor_mode: 1
  - .args:
      - .address_space:  global
        .offset:         0
        .size:           8
        .value_kind:     global_buffer
      - .offset:         8
        .size:           4
        .value_kind:     by_value
      - .offset:         12
        .size:           4
        .value_kind:     by_value
      - .address_space:  global
        .offset:         16
        .size:           8
        .value_kind:     global_buffer
      - .address_space:  global
        .offset:         24
        .size:           8
        .value_kind:     global_buffer
      - .offset:         32
        .size:           4
        .value_kind:     hidden_block_count_x
      - .offset:         36
        .size:           4
        .value_kind:     hidden_block_count_y
      - .offset:         40
        .size:           4
        .value_kind:     hidden_block_count_z
      - .offset:         44
        .size:           2
        .value_kind:     hidden_group_size_x
      - .offset:         46
        .size:           2
        .value_kind:     hidden_group_size_y
      - .offset:         48
        .size:           2
        .value_kind:     hidden_group_size_z
      - .offset:         50
        .size:           2
        .value_kind:     hidden_remainder_x
      - .offset:         52
        .size:           2
        .value_kind:     hidden_remainder_y
      - .offset:         54
        .size:           2
        .value_kind:     hidden_remainder_z
      - .offset:         72
        .size:           8
        .value_kind:     hidden_global_offset_x
      - .offset:         80
        .size:           8
        .value_kind:     hidden_global_offset_y
      - .offset:         88
        .size:           8
        .value_kind:     hidden_global_offset_z
      - .offset:         96
        .size:           2
        .value_kind:     hidden_grid_dims
    .group_segment_fixed_size: 0
    .kernarg_segment_align: 8
    .kernarg_segment_size: 288
    .language:       OpenCL C
    .language_version:
      - 2
      - 0
    .max_flat_workgroup_size: 256
    .name:           _ZN7rocprim17ROCPRIM_400000_NS6detail30init_device_scan_by_key_kernelINS1_19lookback_scan_stateINS0_5tupleIJfbEEELb0ELb1EEENS1_16block_id_wrapperIjLb1EEEEEvT_jjPNS9_10value_typeET0_
    .private_segment_fixed_size: 0
    .sgpr_count:     18
    .sgpr_spill_count: 0
    .symbol:         _ZN7rocprim17ROCPRIM_400000_NS6detail30init_device_scan_by_key_kernelINS1_19lookback_scan_stateINS0_5tupleIJfbEEELb0ELb1EEENS1_16block_id_wrapperIjLb1EEEEEvT_jjPNS9_10value_typeET0_.kd
    .uniform_work_group_size: 1
    .uses_dynamic_stack: false
    .vgpr_count:     8
    .vgpr_spill_count: 0
    .wavefront_size: 32
    .workgroup_processor_mode: 1
  - .args:
      - .offset:         0
        .size:           112
        .value_kind:     by_value
    .group_segment_fixed_size: 0
    .kernarg_segment_align: 8
    .kernarg_segment_size: 112
    .language:       OpenCL C
    .language_version:
      - 2
      - 0
    .max_flat_workgroup_size: 256
    .name:           _ZN7rocprim17ROCPRIM_400000_NS6detail17trampoline_kernelINS0_14default_configENS1_27scan_by_key_config_selectorIifEEZZNS1_16scan_by_key_implILNS1_25lookback_scan_determinismE0ELb0ES3_N6thrust23THRUST_200600_302600_NS6detail15normal_iteratorINS9_10device_ptrIiEEEENSB_INSC_IfEEEESG_fNS9_4plusIvEENS9_8equal_toIvEEfEE10hipError_tPvRmT2_T3_T4_T5_mT6_T7_P12ihipStream_tbENKUlT_T0_E_clISt17integral_constantIbLb0EES10_IbLb1EEEEDaSW_SX_EUlSW_E_NS1_11comp_targetILNS1_3genE0ELNS1_11target_archE4294967295ELNS1_3gpuE0ELNS1_3repE0EEENS1_30default_config_static_selectorELNS0_4arch9wavefront6targetE0EEEvT1_
    .private_segment_fixed_size: 0
    .sgpr_count:     0
    .sgpr_spill_count: 0
    .symbol:         _ZN7rocprim17ROCPRIM_400000_NS6detail17trampoline_kernelINS0_14default_configENS1_27scan_by_key_config_selectorIifEEZZNS1_16scan_by_key_implILNS1_25lookback_scan_determinismE0ELb0ES3_N6thrust23THRUST_200600_302600_NS6detail15normal_iteratorINS9_10device_ptrIiEEEENSB_INSC_IfEEEESG_fNS9_4plusIvEENS9_8equal_toIvEEfEE10hipError_tPvRmT2_T3_T4_T5_mT6_T7_P12ihipStream_tbENKUlT_T0_E_clISt17integral_constantIbLb0EES10_IbLb1EEEEDaSW_SX_EUlSW_E_NS1_11comp_targetILNS1_3genE0ELNS1_11target_archE4294967295ELNS1_3gpuE0ELNS1_3repE0EEENS1_30default_config_static_selectorELNS0_4arch9wavefront6targetE0EEEvT1_.kd
    .uniform_work_group_size: 1
    .uses_dynamic_stack: false
    .vgpr_count:     0
    .vgpr_spill_count: 0
    .wavefront_size: 32
    .workgroup_processor_mode: 1
  - .args:
      - .offset:         0
        .size:           112
        .value_kind:     by_value
    .group_segment_fixed_size: 0
    .kernarg_segment_align: 8
    .kernarg_segment_size: 112
    .language:       OpenCL C
    .language_version:
      - 2
      - 0
    .max_flat_workgroup_size: 256
    .name:           _ZN7rocprim17ROCPRIM_400000_NS6detail17trampoline_kernelINS0_14default_configENS1_27scan_by_key_config_selectorIifEEZZNS1_16scan_by_key_implILNS1_25lookback_scan_determinismE0ELb0ES3_N6thrust23THRUST_200600_302600_NS6detail15normal_iteratorINS9_10device_ptrIiEEEENSB_INSC_IfEEEESG_fNS9_4plusIvEENS9_8equal_toIvEEfEE10hipError_tPvRmT2_T3_T4_T5_mT6_T7_P12ihipStream_tbENKUlT_T0_E_clISt17integral_constantIbLb0EES10_IbLb1EEEEDaSW_SX_EUlSW_E_NS1_11comp_targetILNS1_3genE10ELNS1_11target_archE1201ELNS1_3gpuE5ELNS1_3repE0EEENS1_30default_config_static_selectorELNS0_4arch9wavefront6targetE0EEEvT1_
    .private_segment_fixed_size: 0
    .sgpr_count:     0
    .sgpr_spill_count: 0
    .symbol:         _ZN7rocprim17ROCPRIM_400000_NS6detail17trampoline_kernelINS0_14default_configENS1_27scan_by_key_config_selectorIifEEZZNS1_16scan_by_key_implILNS1_25lookback_scan_determinismE0ELb0ES3_N6thrust23THRUST_200600_302600_NS6detail15normal_iteratorINS9_10device_ptrIiEEEENSB_INSC_IfEEEESG_fNS9_4plusIvEENS9_8equal_toIvEEfEE10hipError_tPvRmT2_T3_T4_T5_mT6_T7_P12ihipStream_tbENKUlT_T0_E_clISt17integral_constantIbLb0EES10_IbLb1EEEEDaSW_SX_EUlSW_E_NS1_11comp_targetILNS1_3genE10ELNS1_11target_archE1201ELNS1_3gpuE5ELNS1_3repE0EEENS1_30default_config_static_selectorELNS0_4arch9wavefront6targetE0EEEvT1_.kd
    .uniform_work_group_size: 1
    .uses_dynamic_stack: false
    .vgpr_count:     0
    .vgpr_spill_count: 0
    .wavefront_size: 32
    .workgroup_processor_mode: 1
  - .args:
      - .offset:         0
        .size:           112
        .value_kind:     by_value
    .group_segment_fixed_size: 0
    .kernarg_segment_align: 8
    .kernarg_segment_size: 112
    .language:       OpenCL C
    .language_version:
      - 2
      - 0
    .max_flat_workgroup_size: 256
    .name:           _ZN7rocprim17ROCPRIM_400000_NS6detail17trampoline_kernelINS0_14default_configENS1_27scan_by_key_config_selectorIifEEZZNS1_16scan_by_key_implILNS1_25lookback_scan_determinismE0ELb0ES3_N6thrust23THRUST_200600_302600_NS6detail15normal_iteratorINS9_10device_ptrIiEEEENSB_INSC_IfEEEESG_fNS9_4plusIvEENS9_8equal_toIvEEfEE10hipError_tPvRmT2_T3_T4_T5_mT6_T7_P12ihipStream_tbENKUlT_T0_E_clISt17integral_constantIbLb0EES10_IbLb1EEEEDaSW_SX_EUlSW_E_NS1_11comp_targetILNS1_3genE5ELNS1_11target_archE942ELNS1_3gpuE9ELNS1_3repE0EEENS1_30default_config_static_selectorELNS0_4arch9wavefront6targetE0EEEvT1_
    .private_segment_fixed_size: 0
    .sgpr_count:     0
    .sgpr_spill_count: 0
    .symbol:         _ZN7rocprim17ROCPRIM_400000_NS6detail17trampoline_kernelINS0_14default_configENS1_27scan_by_key_config_selectorIifEEZZNS1_16scan_by_key_implILNS1_25lookback_scan_determinismE0ELb0ES3_N6thrust23THRUST_200600_302600_NS6detail15normal_iteratorINS9_10device_ptrIiEEEENSB_INSC_IfEEEESG_fNS9_4plusIvEENS9_8equal_toIvEEfEE10hipError_tPvRmT2_T3_T4_T5_mT6_T7_P12ihipStream_tbENKUlT_T0_E_clISt17integral_constantIbLb0EES10_IbLb1EEEEDaSW_SX_EUlSW_E_NS1_11comp_targetILNS1_3genE5ELNS1_11target_archE942ELNS1_3gpuE9ELNS1_3repE0EEENS1_30default_config_static_selectorELNS0_4arch9wavefront6targetE0EEEvT1_.kd
    .uniform_work_group_size: 1
    .uses_dynamic_stack: false
    .vgpr_count:     0
    .vgpr_spill_count: 0
    .wavefront_size: 32
    .workgroup_processor_mode: 1
  - .args:
      - .offset:         0
        .size:           112
        .value_kind:     by_value
    .group_segment_fixed_size: 0
    .kernarg_segment_align: 8
    .kernarg_segment_size: 112
    .language:       OpenCL C
    .language_version:
      - 2
      - 0
    .max_flat_workgroup_size: 256
    .name:           _ZN7rocprim17ROCPRIM_400000_NS6detail17trampoline_kernelINS0_14default_configENS1_27scan_by_key_config_selectorIifEEZZNS1_16scan_by_key_implILNS1_25lookback_scan_determinismE0ELb0ES3_N6thrust23THRUST_200600_302600_NS6detail15normal_iteratorINS9_10device_ptrIiEEEENSB_INSC_IfEEEESG_fNS9_4plusIvEENS9_8equal_toIvEEfEE10hipError_tPvRmT2_T3_T4_T5_mT6_T7_P12ihipStream_tbENKUlT_T0_E_clISt17integral_constantIbLb0EES10_IbLb1EEEEDaSW_SX_EUlSW_E_NS1_11comp_targetILNS1_3genE4ELNS1_11target_archE910ELNS1_3gpuE8ELNS1_3repE0EEENS1_30default_config_static_selectorELNS0_4arch9wavefront6targetE0EEEvT1_
    .private_segment_fixed_size: 0
    .sgpr_count:     0
    .sgpr_spill_count: 0
    .symbol:         _ZN7rocprim17ROCPRIM_400000_NS6detail17trampoline_kernelINS0_14default_configENS1_27scan_by_key_config_selectorIifEEZZNS1_16scan_by_key_implILNS1_25lookback_scan_determinismE0ELb0ES3_N6thrust23THRUST_200600_302600_NS6detail15normal_iteratorINS9_10device_ptrIiEEEENSB_INSC_IfEEEESG_fNS9_4plusIvEENS9_8equal_toIvEEfEE10hipError_tPvRmT2_T3_T4_T5_mT6_T7_P12ihipStream_tbENKUlT_T0_E_clISt17integral_constantIbLb0EES10_IbLb1EEEEDaSW_SX_EUlSW_E_NS1_11comp_targetILNS1_3genE4ELNS1_11target_archE910ELNS1_3gpuE8ELNS1_3repE0EEENS1_30default_config_static_selectorELNS0_4arch9wavefront6targetE0EEEvT1_.kd
    .uniform_work_group_size: 1
    .uses_dynamic_stack: false
    .vgpr_count:     0
    .vgpr_spill_count: 0
    .wavefront_size: 32
    .workgroup_processor_mode: 1
  - .args:
      - .offset:         0
        .size:           112
        .value_kind:     by_value
    .group_segment_fixed_size: 0
    .kernarg_segment_align: 8
    .kernarg_segment_size: 112
    .language:       OpenCL C
    .language_version:
      - 2
      - 0
    .max_flat_workgroup_size: 256
    .name:           _ZN7rocprim17ROCPRIM_400000_NS6detail17trampoline_kernelINS0_14default_configENS1_27scan_by_key_config_selectorIifEEZZNS1_16scan_by_key_implILNS1_25lookback_scan_determinismE0ELb0ES3_N6thrust23THRUST_200600_302600_NS6detail15normal_iteratorINS9_10device_ptrIiEEEENSB_INSC_IfEEEESG_fNS9_4plusIvEENS9_8equal_toIvEEfEE10hipError_tPvRmT2_T3_T4_T5_mT6_T7_P12ihipStream_tbENKUlT_T0_E_clISt17integral_constantIbLb0EES10_IbLb1EEEEDaSW_SX_EUlSW_E_NS1_11comp_targetILNS1_3genE3ELNS1_11target_archE908ELNS1_3gpuE7ELNS1_3repE0EEENS1_30default_config_static_selectorELNS0_4arch9wavefront6targetE0EEEvT1_
    .private_segment_fixed_size: 0
    .sgpr_count:     0
    .sgpr_spill_count: 0
    .symbol:         _ZN7rocprim17ROCPRIM_400000_NS6detail17trampoline_kernelINS0_14default_configENS1_27scan_by_key_config_selectorIifEEZZNS1_16scan_by_key_implILNS1_25lookback_scan_determinismE0ELb0ES3_N6thrust23THRUST_200600_302600_NS6detail15normal_iteratorINS9_10device_ptrIiEEEENSB_INSC_IfEEEESG_fNS9_4plusIvEENS9_8equal_toIvEEfEE10hipError_tPvRmT2_T3_T4_T5_mT6_T7_P12ihipStream_tbENKUlT_T0_E_clISt17integral_constantIbLb0EES10_IbLb1EEEEDaSW_SX_EUlSW_E_NS1_11comp_targetILNS1_3genE3ELNS1_11target_archE908ELNS1_3gpuE7ELNS1_3repE0EEENS1_30default_config_static_selectorELNS0_4arch9wavefront6targetE0EEEvT1_.kd
    .uniform_work_group_size: 1
    .uses_dynamic_stack: false
    .vgpr_count:     0
    .vgpr_spill_count: 0
    .wavefront_size: 32
    .workgroup_processor_mode: 1
  - .args:
      - .offset:         0
        .size:           112
        .value_kind:     by_value
    .group_segment_fixed_size: 0
    .kernarg_segment_align: 8
    .kernarg_segment_size: 112
    .language:       OpenCL C
    .language_version:
      - 2
      - 0
    .max_flat_workgroup_size: 256
    .name:           _ZN7rocprim17ROCPRIM_400000_NS6detail17trampoline_kernelINS0_14default_configENS1_27scan_by_key_config_selectorIifEEZZNS1_16scan_by_key_implILNS1_25lookback_scan_determinismE0ELb0ES3_N6thrust23THRUST_200600_302600_NS6detail15normal_iteratorINS9_10device_ptrIiEEEENSB_INSC_IfEEEESG_fNS9_4plusIvEENS9_8equal_toIvEEfEE10hipError_tPvRmT2_T3_T4_T5_mT6_T7_P12ihipStream_tbENKUlT_T0_E_clISt17integral_constantIbLb0EES10_IbLb1EEEEDaSW_SX_EUlSW_E_NS1_11comp_targetILNS1_3genE2ELNS1_11target_archE906ELNS1_3gpuE6ELNS1_3repE0EEENS1_30default_config_static_selectorELNS0_4arch9wavefront6targetE0EEEvT1_
    .private_segment_fixed_size: 0
    .sgpr_count:     0
    .sgpr_spill_count: 0
    .symbol:         _ZN7rocprim17ROCPRIM_400000_NS6detail17trampoline_kernelINS0_14default_configENS1_27scan_by_key_config_selectorIifEEZZNS1_16scan_by_key_implILNS1_25lookback_scan_determinismE0ELb0ES3_N6thrust23THRUST_200600_302600_NS6detail15normal_iteratorINS9_10device_ptrIiEEEENSB_INSC_IfEEEESG_fNS9_4plusIvEENS9_8equal_toIvEEfEE10hipError_tPvRmT2_T3_T4_T5_mT6_T7_P12ihipStream_tbENKUlT_T0_E_clISt17integral_constantIbLb0EES10_IbLb1EEEEDaSW_SX_EUlSW_E_NS1_11comp_targetILNS1_3genE2ELNS1_11target_archE906ELNS1_3gpuE6ELNS1_3repE0EEENS1_30default_config_static_selectorELNS0_4arch9wavefront6targetE0EEEvT1_.kd
    .uniform_work_group_size: 1
    .uses_dynamic_stack: false
    .vgpr_count:     0
    .vgpr_spill_count: 0
    .wavefront_size: 32
    .workgroup_processor_mode: 1
  - .args:
      - .offset:         0
        .size:           112
        .value_kind:     by_value
    .group_segment_fixed_size: 0
    .kernarg_segment_align: 8
    .kernarg_segment_size: 112
    .language:       OpenCL C
    .language_version:
      - 2
      - 0
    .max_flat_workgroup_size: 256
    .name:           _ZN7rocprim17ROCPRIM_400000_NS6detail17trampoline_kernelINS0_14default_configENS1_27scan_by_key_config_selectorIifEEZZNS1_16scan_by_key_implILNS1_25lookback_scan_determinismE0ELb0ES3_N6thrust23THRUST_200600_302600_NS6detail15normal_iteratorINS9_10device_ptrIiEEEENSB_INSC_IfEEEESG_fNS9_4plusIvEENS9_8equal_toIvEEfEE10hipError_tPvRmT2_T3_T4_T5_mT6_T7_P12ihipStream_tbENKUlT_T0_E_clISt17integral_constantIbLb0EES10_IbLb1EEEEDaSW_SX_EUlSW_E_NS1_11comp_targetILNS1_3genE10ELNS1_11target_archE1200ELNS1_3gpuE4ELNS1_3repE0EEENS1_30default_config_static_selectorELNS0_4arch9wavefront6targetE0EEEvT1_
    .private_segment_fixed_size: 0
    .sgpr_count:     0
    .sgpr_spill_count: 0
    .symbol:         _ZN7rocprim17ROCPRIM_400000_NS6detail17trampoline_kernelINS0_14default_configENS1_27scan_by_key_config_selectorIifEEZZNS1_16scan_by_key_implILNS1_25lookback_scan_determinismE0ELb0ES3_N6thrust23THRUST_200600_302600_NS6detail15normal_iteratorINS9_10device_ptrIiEEEENSB_INSC_IfEEEESG_fNS9_4plusIvEENS9_8equal_toIvEEfEE10hipError_tPvRmT2_T3_T4_T5_mT6_T7_P12ihipStream_tbENKUlT_T0_E_clISt17integral_constantIbLb0EES10_IbLb1EEEEDaSW_SX_EUlSW_E_NS1_11comp_targetILNS1_3genE10ELNS1_11target_archE1200ELNS1_3gpuE4ELNS1_3repE0EEENS1_30default_config_static_selectorELNS0_4arch9wavefront6targetE0EEEvT1_.kd
    .uniform_work_group_size: 1
    .uses_dynamic_stack: false
    .vgpr_count:     0
    .vgpr_spill_count: 0
    .wavefront_size: 32
    .workgroup_processor_mode: 1
  - .args:
      - .offset:         0
        .size:           112
        .value_kind:     by_value
    .group_segment_fixed_size: 0
    .kernarg_segment_align: 8
    .kernarg_segment_size: 112
    .language:       OpenCL C
    .language_version:
      - 2
      - 0
    .max_flat_workgroup_size: 256
    .name:           _ZN7rocprim17ROCPRIM_400000_NS6detail17trampoline_kernelINS0_14default_configENS1_27scan_by_key_config_selectorIifEEZZNS1_16scan_by_key_implILNS1_25lookback_scan_determinismE0ELb0ES3_N6thrust23THRUST_200600_302600_NS6detail15normal_iteratorINS9_10device_ptrIiEEEENSB_INSC_IfEEEESG_fNS9_4plusIvEENS9_8equal_toIvEEfEE10hipError_tPvRmT2_T3_T4_T5_mT6_T7_P12ihipStream_tbENKUlT_T0_E_clISt17integral_constantIbLb0EES10_IbLb1EEEEDaSW_SX_EUlSW_E_NS1_11comp_targetILNS1_3genE9ELNS1_11target_archE1100ELNS1_3gpuE3ELNS1_3repE0EEENS1_30default_config_static_selectorELNS0_4arch9wavefront6targetE0EEEvT1_
    .private_segment_fixed_size: 0
    .sgpr_count:     0
    .sgpr_spill_count: 0
    .symbol:         _ZN7rocprim17ROCPRIM_400000_NS6detail17trampoline_kernelINS0_14default_configENS1_27scan_by_key_config_selectorIifEEZZNS1_16scan_by_key_implILNS1_25lookback_scan_determinismE0ELb0ES3_N6thrust23THRUST_200600_302600_NS6detail15normal_iteratorINS9_10device_ptrIiEEEENSB_INSC_IfEEEESG_fNS9_4plusIvEENS9_8equal_toIvEEfEE10hipError_tPvRmT2_T3_T4_T5_mT6_T7_P12ihipStream_tbENKUlT_T0_E_clISt17integral_constantIbLb0EES10_IbLb1EEEEDaSW_SX_EUlSW_E_NS1_11comp_targetILNS1_3genE9ELNS1_11target_archE1100ELNS1_3gpuE3ELNS1_3repE0EEENS1_30default_config_static_selectorELNS0_4arch9wavefront6targetE0EEEvT1_.kd
    .uniform_work_group_size: 1
    .uses_dynamic_stack: false
    .vgpr_count:     0
    .vgpr_spill_count: 0
    .wavefront_size: 32
    .workgroup_processor_mode: 1
  - .args:
      - .offset:         0
        .size:           112
        .value_kind:     by_value
    .group_segment_fixed_size: 5120
    .kernarg_segment_align: 8
    .kernarg_segment_size: 112
    .language:       OpenCL C
    .language_version:
      - 2
      - 0
    .max_flat_workgroup_size: 256
    .name:           _ZN7rocprim17ROCPRIM_400000_NS6detail17trampoline_kernelINS0_14default_configENS1_27scan_by_key_config_selectorIifEEZZNS1_16scan_by_key_implILNS1_25lookback_scan_determinismE0ELb0ES3_N6thrust23THRUST_200600_302600_NS6detail15normal_iteratorINS9_10device_ptrIiEEEENSB_INSC_IfEEEESG_fNS9_4plusIvEENS9_8equal_toIvEEfEE10hipError_tPvRmT2_T3_T4_T5_mT6_T7_P12ihipStream_tbENKUlT_T0_E_clISt17integral_constantIbLb0EES10_IbLb1EEEEDaSW_SX_EUlSW_E_NS1_11comp_targetILNS1_3genE8ELNS1_11target_archE1030ELNS1_3gpuE2ELNS1_3repE0EEENS1_30default_config_static_selectorELNS0_4arch9wavefront6targetE0EEEvT1_
    .private_segment_fixed_size: 0
    .sgpr_count:     37
    .sgpr_spill_count: 0
    .symbol:         _ZN7rocprim17ROCPRIM_400000_NS6detail17trampoline_kernelINS0_14default_configENS1_27scan_by_key_config_selectorIifEEZZNS1_16scan_by_key_implILNS1_25lookback_scan_determinismE0ELb0ES3_N6thrust23THRUST_200600_302600_NS6detail15normal_iteratorINS9_10device_ptrIiEEEENSB_INSC_IfEEEESG_fNS9_4plusIvEENS9_8equal_toIvEEfEE10hipError_tPvRmT2_T3_T4_T5_mT6_T7_P12ihipStream_tbENKUlT_T0_E_clISt17integral_constantIbLb0EES10_IbLb1EEEEDaSW_SX_EUlSW_E_NS1_11comp_targetILNS1_3genE8ELNS1_11target_archE1030ELNS1_3gpuE2ELNS1_3repE0EEENS1_30default_config_static_selectorELNS0_4arch9wavefront6targetE0EEEvT1_.kd
    .uniform_work_group_size: 1
    .uses_dynamic_stack: false
    .vgpr_count:     39
    .vgpr_spill_count: 0
    .wavefront_size: 32
    .workgroup_processor_mode: 1
  - .args:
      - .offset:         0
        .size:           24
        .value_kind:     by_value
      - .offset:         24
        .size:           8
        .value_kind:     by_value
      - .offset:         32
        .size:           8
        .value_kind:     by_value
    .group_segment_fixed_size: 0
    .kernarg_segment_align: 8
    .kernarg_segment_size: 40
    .language:       OpenCL C
    .language_version:
      - 2
      - 0
    .max_flat_workgroup_size: 256
    .name:           _ZN6thrust23THRUST_200600_302600_NS11hip_rocprim14__parallel_for6kernelILj256ENS1_11__transform17unary_transform_fINS0_7pointerIiNS1_3tagENS0_11use_defaultES8_EENS0_10device_ptrIyEENS4_14no_stencil_tagENS0_8identityIiEENS4_21always_true_predicateEEElLj1EEEvT0_T1_SI_
    .private_segment_fixed_size: 0
    .sgpr_count:     14
    .sgpr_spill_count: 0
    .symbol:         _ZN6thrust23THRUST_200600_302600_NS11hip_rocprim14__parallel_for6kernelILj256ENS1_11__transform17unary_transform_fINS0_7pointerIiNS1_3tagENS0_11use_defaultES8_EENS0_10device_ptrIyEENS4_14no_stencil_tagENS0_8identityIiEENS4_21always_true_predicateEEElLj1EEEvT0_T1_SI_.kd
    .uniform_work_group_size: 1
    .uses_dynamic_stack: false
    .vgpr_count:     5
    .vgpr_spill_count: 0
    .wavefront_size: 32
    .workgroup_processor_mode: 1
  - .args:
      - .offset:         0
        .size:           16
        .value_kind:     by_value
      - .offset:         16
        .size:           8
        .value_kind:     by_value
      - .offset:         24
        .size:           8
        .value_kind:     by_value
    .group_segment_fixed_size: 0
    .kernarg_segment_align: 8
    .kernarg_segment_size: 32
    .language:       OpenCL C
    .language_version:
      - 2
      - 0
    .max_flat_workgroup_size: 256
    .name:           _ZN6thrust23THRUST_200600_302600_NS11hip_rocprim14__parallel_for6kernelILj256ENS1_20__uninitialized_fill7functorINS0_10device_ptrIyEEyEEmLj1EEEvT0_T1_SA_
    .private_segment_fixed_size: 0
    .sgpr_count:     18
    .sgpr_spill_count: 0
    .symbol:         _ZN6thrust23THRUST_200600_302600_NS11hip_rocprim14__parallel_for6kernelILj256ENS1_20__uninitialized_fill7functorINS0_10device_ptrIyEEyEEmLj1EEEvT0_T1_SA_.kd
    .uniform_work_group_size: 1
    .uses_dynamic_stack: false
    .vgpr_count:     5
    .vgpr_spill_count: 0
    .wavefront_size: 32
    .workgroup_processor_mode: 1
  - .args:
      - .offset:         0
        .size:           24
        .value_kind:     by_value
      - .offset:         24
        .size:           4
        .value_kind:     by_value
      - .offset:         28
        .size:           4
        .value_kind:     by_value
      - .address_space:  global
        .offset:         32
        .size:           8
        .value_kind:     global_buffer
      - .address_space:  global
        .offset:         40
        .size:           8
        .value_kind:     global_buffer
      - .actual_access:  write_only
        .address_space:  global
        .offset:         48
        .size:           8
        .value_kind:     global_buffer
      - .offset:         56
        .size:           8
        .value_kind:     by_value
      - .offset:         64
        .size:           4
        .value_kind:     by_value
      - .offset:         68
        .size:           1
        .value_kind:     by_value
      - .offset:         72
        .size:           4
        .value_kind:     hidden_block_count_x
      - .offset:         76
        .size:           4
        .value_kind:     hidden_block_count_y
      - .offset:         80
        .size:           4
        .value_kind:     hidden_block_count_z
      - .offset:         84
        .size:           2
        .value_kind:     hidden_group_size_x
      - .offset:         86
        .size:           2
        .value_kind:     hidden_group_size_y
      - .offset:         88
        .size:           2
        .value_kind:     hidden_group_size_z
      - .offset:         90
        .size:           2
        .value_kind:     hidden_remainder_x
      - .offset:         92
        .size:           2
        .value_kind:     hidden_remainder_y
      - .offset:         94
        .size:           2
        .value_kind:     hidden_remainder_z
      - .offset:         112
        .size:           8
        .value_kind:     hidden_global_offset_x
      - .offset:         120
        .size:           8
        .value_kind:     hidden_global_offset_y
      - .offset:         128
        .size:           8
        .value_kind:     hidden_global_offset_z
      - .offset:         136
        .size:           2
        .value_kind:     hidden_grid_dims
    .group_segment_fixed_size: 0
    .kernarg_segment_align: 8
    .kernarg_segment_size: 328
    .language:       OpenCL C
    .language_version:
      - 2
      - 0
    .max_flat_workgroup_size: 256
    .name:           _ZN7rocprim17ROCPRIM_400000_NS6detail30init_device_scan_by_key_kernelINS1_19lookback_scan_stateINS0_5tupleIJybEEELb0ELb0EEEN6thrust23THRUST_200600_302600_NS6detail15normal_iteratorINS8_10device_ptrIiEEEEjNS1_16block_id_wrapperIjLb0EEEEEvT_jjPNSG_10value_typeET0_PNSt15iterator_traitsISJ_E10value_typeEmT1_T2_
    .private_segment_fixed_size: 0
    .sgpr_count:     24
    .sgpr_spill_count: 0
    .symbol:         _ZN7rocprim17ROCPRIM_400000_NS6detail30init_device_scan_by_key_kernelINS1_19lookback_scan_stateINS0_5tupleIJybEEELb0ELb0EEEN6thrust23THRUST_200600_302600_NS6detail15normal_iteratorINS8_10device_ptrIiEEEEjNS1_16block_id_wrapperIjLb0EEEEEvT_jjPNSG_10value_typeET0_PNSt15iterator_traitsISJ_E10value_typeEmT1_T2_.kd
    .uniform_work_group_size: 1
    .uses_dynamic_stack: false
    .vgpr_count:     7
    .vgpr_spill_count: 0
    .wavefront_size: 32
    .workgroup_processor_mode: 1
  - .args:
      - .offset:         0
        .size:           24
        .value_kind:     by_value
      - .offset:         24
        .size:           4
        .value_kind:     by_value
      - .offset:         28
        .size:           4
        .value_kind:     by_value
      - .address_space:  global
        .offset:         32
        .size:           8
        .value_kind:     global_buffer
      - .offset:         40
        .size:           1
        .value_kind:     by_value
      - .offset:         48
        .size:           4
        .value_kind:     hidden_block_count_x
      - .offset:         52
        .size:           4
        .value_kind:     hidden_block_count_y
      - .offset:         56
        .size:           4
        .value_kind:     hidden_block_count_z
      - .offset:         60
        .size:           2
        .value_kind:     hidden_group_size_x
      - .offset:         62
        .size:           2
        .value_kind:     hidden_group_size_y
      - .offset:         64
        .size:           2
        .value_kind:     hidden_group_size_z
      - .offset:         66
        .size:           2
        .value_kind:     hidden_remainder_x
      - .offset:         68
        .size:           2
        .value_kind:     hidden_remainder_y
      - .offset:         70
        .size:           2
        .value_kind:     hidden_remainder_z
      - .offset:         88
        .size:           8
        .value_kind:     hidden_global_offset_x
      - .offset:         96
        .size:           8
        .value_kind:     hidden_global_offset_y
      - .offset:         104
        .size:           8
        .value_kind:     hidden_global_offset_z
      - .offset:         112
        .size:           2
        .value_kind:     hidden_grid_dims
    .group_segment_fixed_size: 0
    .kernarg_segment_align: 8
    .kernarg_segment_size: 304
    .language:       OpenCL C
    .language_version:
      - 2
      - 0
    .max_flat_workgroup_size: 256
    .name:           _ZN7rocprim17ROCPRIM_400000_NS6detail30init_device_scan_by_key_kernelINS1_19lookback_scan_stateINS0_5tupleIJybEEELb0ELb0EEENS1_16block_id_wrapperIjLb0EEEEEvT_jjPNS9_10value_typeET0_
    .private_segment_fixed_size: 0
    .sgpr_count:     18
    .sgpr_spill_count: 0
    .symbol:         _ZN7rocprim17ROCPRIM_400000_NS6detail30init_device_scan_by_key_kernelINS1_19lookback_scan_stateINS0_5tupleIJybEEELb0ELb0EEENS1_16block_id_wrapperIjLb0EEEEEvT_jjPNS9_10value_typeET0_.kd
    .uniform_work_group_size: 1
    .uses_dynamic_stack: false
    .vgpr_count:     5
    .vgpr_spill_count: 0
    .wavefront_size: 32
    .workgroup_processor_mode: 1
  - .args:
      - .offset:         0
        .size:           136
        .value_kind:     by_value
    .group_segment_fixed_size: 0
    .kernarg_segment_align: 8
    .kernarg_segment_size: 136
    .language:       OpenCL C
    .language_version:
      - 2
      - 0
    .max_flat_workgroup_size: 128
    .name:           _ZN7rocprim17ROCPRIM_400000_NS6detail17trampoline_kernelINS0_14default_configENS1_27scan_by_key_config_selectorIiyEEZZNS1_16scan_by_key_implILNS1_25lookback_scan_determinismE0ELb0ES3_N6thrust23THRUST_200600_302600_NS6detail15normal_iteratorINS9_10device_ptrIiEEEENSB_INSC_IyEEEESG_yNS9_4plusIvEENS9_8equal_toIvEEyEE10hipError_tPvRmT2_T3_T4_T5_mT6_T7_P12ihipStream_tbENKUlT_T0_E_clISt17integral_constantIbLb0EES11_EEDaSW_SX_EUlSW_E_NS1_11comp_targetILNS1_3genE0ELNS1_11target_archE4294967295ELNS1_3gpuE0ELNS1_3repE0EEENS1_30default_config_static_selectorELNS0_4arch9wavefront6targetE0EEEvT1_
    .private_segment_fixed_size: 0
    .sgpr_count:     0
    .sgpr_spill_count: 0
    .symbol:         _ZN7rocprim17ROCPRIM_400000_NS6detail17trampoline_kernelINS0_14default_configENS1_27scan_by_key_config_selectorIiyEEZZNS1_16scan_by_key_implILNS1_25lookback_scan_determinismE0ELb0ES3_N6thrust23THRUST_200600_302600_NS6detail15normal_iteratorINS9_10device_ptrIiEEEENSB_INSC_IyEEEESG_yNS9_4plusIvEENS9_8equal_toIvEEyEE10hipError_tPvRmT2_T3_T4_T5_mT6_T7_P12ihipStream_tbENKUlT_T0_E_clISt17integral_constantIbLb0EES11_EEDaSW_SX_EUlSW_E_NS1_11comp_targetILNS1_3genE0ELNS1_11target_archE4294967295ELNS1_3gpuE0ELNS1_3repE0EEENS1_30default_config_static_selectorELNS0_4arch9wavefront6targetE0EEEvT1_.kd
    .uniform_work_group_size: 1
    .uses_dynamic_stack: false
    .vgpr_count:     0
    .vgpr_spill_count: 0
    .wavefront_size: 32
    .workgroup_processor_mode: 1
  - .args:
      - .offset:         0
        .size:           136
        .value_kind:     by_value
    .group_segment_fixed_size: 0
    .kernarg_segment_align: 8
    .kernarg_segment_size: 136
    .language:       OpenCL C
    .language_version:
      - 2
      - 0
    .max_flat_workgroup_size: 256
    .name:           _ZN7rocprim17ROCPRIM_400000_NS6detail17trampoline_kernelINS0_14default_configENS1_27scan_by_key_config_selectorIiyEEZZNS1_16scan_by_key_implILNS1_25lookback_scan_determinismE0ELb0ES3_N6thrust23THRUST_200600_302600_NS6detail15normal_iteratorINS9_10device_ptrIiEEEENSB_INSC_IyEEEESG_yNS9_4plusIvEENS9_8equal_toIvEEyEE10hipError_tPvRmT2_T3_T4_T5_mT6_T7_P12ihipStream_tbENKUlT_T0_E_clISt17integral_constantIbLb0EES11_EEDaSW_SX_EUlSW_E_NS1_11comp_targetILNS1_3genE10ELNS1_11target_archE1201ELNS1_3gpuE5ELNS1_3repE0EEENS1_30default_config_static_selectorELNS0_4arch9wavefront6targetE0EEEvT1_
    .private_segment_fixed_size: 0
    .sgpr_count:     0
    .sgpr_spill_count: 0
    .symbol:         _ZN7rocprim17ROCPRIM_400000_NS6detail17trampoline_kernelINS0_14default_configENS1_27scan_by_key_config_selectorIiyEEZZNS1_16scan_by_key_implILNS1_25lookback_scan_determinismE0ELb0ES3_N6thrust23THRUST_200600_302600_NS6detail15normal_iteratorINS9_10device_ptrIiEEEENSB_INSC_IyEEEESG_yNS9_4plusIvEENS9_8equal_toIvEEyEE10hipError_tPvRmT2_T3_T4_T5_mT6_T7_P12ihipStream_tbENKUlT_T0_E_clISt17integral_constantIbLb0EES11_EEDaSW_SX_EUlSW_E_NS1_11comp_targetILNS1_3genE10ELNS1_11target_archE1201ELNS1_3gpuE5ELNS1_3repE0EEENS1_30default_config_static_selectorELNS0_4arch9wavefront6targetE0EEEvT1_.kd
    .uniform_work_group_size: 1
    .uses_dynamic_stack: false
    .vgpr_count:     0
    .vgpr_spill_count: 0
    .wavefront_size: 32
    .workgroup_processor_mode: 1
  - .args:
      - .offset:         0
        .size:           136
        .value_kind:     by_value
    .group_segment_fixed_size: 0
    .kernarg_segment_align: 8
    .kernarg_segment_size: 136
    .language:       OpenCL C
    .language_version:
      - 2
      - 0
    .max_flat_workgroup_size: 256
    .name:           _ZN7rocprim17ROCPRIM_400000_NS6detail17trampoline_kernelINS0_14default_configENS1_27scan_by_key_config_selectorIiyEEZZNS1_16scan_by_key_implILNS1_25lookback_scan_determinismE0ELb0ES3_N6thrust23THRUST_200600_302600_NS6detail15normal_iteratorINS9_10device_ptrIiEEEENSB_INSC_IyEEEESG_yNS9_4plusIvEENS9_8equal_toIvEEyEE10hipError_tPvRmT2_T3_T4_T5_mT6_T7_P12ihipStream_tbENKUlT_T0_E_clISt17integral_constantIbLb0EES11_EEDaSW_SX_EUlSW_E_NS1_11comp_targetILNS1_3genE5ELNS1_11target_archE942ELNS1_3gpuE9ELNS1_3repE0EEENS1_30default_config_static_selectorELNS0_4arch9wavefront6targetE0EEEvT1_
    .private_segment_fixed_size: 0
    .sgpr_count:     0
    .sgpr_spill_count: 0
    .symbol:         _ZN7rocprim17ROCPRIM_400000_NS6detail17trampoline_kernelINS0_14default_configENS1_27scan_by_key_config_selectorIiyEEZZNS1_16scan_by_key_implILNS1_25lookback_scan_determinismE0ELb0ES3_N6thrust23THRUST_200600_302600_NS6detail15normal_iteratorINS9_10device_ptrIiEEEENSB_INSC_IyEEEESG_yNS9_4plusIvEENS9_8equal_toIvEEyEE10hipError_tPvRmT2_T3_T4_T5_mT6_T7_P12ihipStream_tbENKUlT_T0_E_clISt17integral_constantIbLb0EES11_EEDaSW_SX_EUlSW_E_NS1_11comp_targetILNS1_3genE5ELNS1_11target_archE942ELNS1_3gpuE9ELNS1_3repE0EEENS1_30default_config_static_selectorELNS0_4arch9wavefront6targetE0EEEvT1_.kd
    .uniform_work_group_size: 1
    .uses_dynamic_stack: false
    .vgpr_count:     0
    .vgpr_spill_count: 0
    .wavefront_size: 32
    .workgroup_processor_mode: 1
  - .args:
      - .offset:         0
        .size:           136
        .value_kind:     by_value
    .group_segment_fixed_size: 0
    .kernarg_segment_align: 8
    .kernarg_segment_size: 136
    .language:       OpenCL C
    .language_version:
      - 2
      - 0
    .max_flat_workgroup_size: 64
    .name:           _ZN7rocprim17ROCPRIM_400000_NS6detail17trampoline_kernelINS0_14default_configENS1_27scan_by_key_config_selectorIiyEEZZNS1_16scan_by_key_implILNS1_25lookback_scan_determinismE0ELb0ES3_N6thrust23THRUST_200600_302600_NS6detail15normal_iteratorINS9_10device_ptrIiEEEENSB_INSC_IyEEEESG_yNS9_4plusIvEENS9_8equal_toIvEEyEE10hipError_tPvRmT2_T3_T4_T5_mT6_T7_P12ihipStream_tbENKUlT_T0_E_clISt17integral_constantIbLb0EES11_EEDaSW_SX_EUlSW_E_NS1_11comp_targetILNS1_3genE4ELNS1_11target_archE910ELNS1_3gpuE8ELNS1_3repE0EEENS1_30default_config_static_selectorELNS0_4arch9wavefront6targetE0EEEvT1_
    .private_segment_fixed_size: 0
    .sgpr_count:     0
    .sgpr_spill_count: 0
    .symbol:         _ZN7rocprim17ROCPRIM_400000_NS6detail17trampoline_kernelINS0_14default_configENS1_27scan_by_key_config_selectorIiyEEZZNS1_16scan_by_key_implILNS1_25lookback_scan_determinismE0ELb0ES3_N6thrust23THRUST_200600_302600_NS6detail15normal_iteratorINS9_10device_ptrIiEEEENSB_INSC_IyEEEESG_yNS9_4plusIvEENS9_8equal_toIvEEyEE10hipError_tPvRmT2_T3_T4_T5_mT6_T7_P12ihipStream_tbENKUlT_T0_E_clISt17integral_constantIbLb0EES11_EEDaSW_SX_EUlSW_E_NS1_11comp_targetILNS1_3genE4ELNS1_11target_archE910ELNS1_3gpuE8ELNS1_3repE0EEENS1_30default_config_static_selectorELNS0_4arch9wavefront6targetE0EEEvT1_.kd
    .uniform_work_group_size: 1
    .uses_dynamic_stack: false
    .vgpr_count:     0
    .vgpr_spill_count: 0
    .wavefront_size: 32
    .workgroup_processor_mode: 1
  - .args:
      - .offset:         0
        .size:           136
        .value_kind:     by_value
    .group_segment_fixed_size: 0
    .kernarg_segment_align: 8
    .kernarg_segment_size: 136
    .language:       OpenCL C
    .language_version:
      - 2
      - 0
    .max_flat_workgroup_size: 128
    .name:           _ZN7rocprim17ROCPRIM_400000_NS6detail17trampoline_kernelINS0_14default_configENS1_27scan_by_key_config_selectorIiyEEZZNS1_16scan_by_key_implILNS1_25lookback_scan_determinismE0ELb0ES3_N6thrust23THRUST_200600_302600_NS6detail15normal_iteratorINS9_10device_ptrIiEEEENSB_INSC_IyEEEESG_yNS9_4plusIvEENS9_8equal_toIvEEyEE10hipError_tPvRmT2_T3_T4_T5_mT6_T7_P12ihipStream_tbENKUlT_T0_E_clISt17integral_constantIbLb0EES11_EEDaSW_SX_EUlSW_E_NS1_11comp_targetILNS1_3genE3ELNS1_11target_archE908ELNS1_3gpuE7ELNS1_3repE0EEENS1_30default_config_static_selectorELNS0_4arch9wavefront6targetE0EEEvT1_
    .private_segment_fixed_size: 0
    .sgpr_count:     0
    .sgpr_spill_count: 0
    .symbol:         _ZN7rocprim17ROCPRIM_400000_NS6detail17trampoline_kernelINS0_14default_configENS1_27scan_by_key_config_selectorIiyEEZZNS1_16scan_by_key_implILNS1_25lookback_scan_determinismE0ELb0ES3_N6thrust23THRUST_200600_302600_NS6detail15normal_iteratorINS9_10device_ptrIiEEEENSB_INSC_IyEEEESG_yNS9_4plusIvEENS9_8equal_toIvEEyEE10hipError_tPvRmT2_T3_T4_T5_mT6_T7_P12ihipStream_tbENKUlT_T0_E_clISt17integral_constantIbLb0EES11_EEDaSW_SX_EUlSW_E_NS1_11comp_targetILNS1_3genE3ELNS1_11target_archE908ELNS1_3gpuE7ELNS1_3repE0EEENS1_30default_config_static_selectorELNS0_4arch9wavefront6targetE0EEEvT1_.kd
    .uniform_work_group_size: 1
    .uses_dynamic_stack: false
    .vgpr_count:     0
    .vgpr_spill_count: 0
    .wavefront_size: 32
    .workgroup_processor_mode: 1
  - .args:
      - .offset:         0
        .size:           136
        .value_kind:     by_value
    .group_segment_fixed_size: 0
    .kernarg_segment_align: 8
    .kernarg_segment_size: 136
    .language:       OpenCL C
    .language_version:
      - 2
      - 0
    .max_flat_workgroup_size: 64
    .name:           _ZN7rocprim17ROCPRIM_400000_NS6detail17trampoline_kernelINS0_14default_configENS1_27scan_by_key_config_selectorIiyEEZZNS1_16scan_by_key_implILNS1_25lookback_scan_determinismE0ELb0ES3_N6thrust23THRUST_200600_302600_NS6detail15normal_iteratorINS9_10device_ptrIiEEEENSB_INSC_IyEEEESG_yNS9_4plusIvEENS9_8equal_toIvEEyEE10hipError_tPvRmT2_T3_T4_T5_mT6_T7_P12ihipStream_tbENKUlT_T0_E_clISt17integral_constantIbLb0EES11_EEDaSW_SX_EUlSW_E_NS1_11comp_targetILNS1_3genE2ELNS1_11target_archE906ELNS1_3gpuE6ELNS1_3repE0EEENS1_30default_config_static_selectorELNS0_4arch9wavefront6targetE0EEEvT1_
    .private_segment_fixed_size: 0
    .sgpr_count:     0
    .sgpr_spill_count: 0
    .symbol:         _ZN7rocprim17ROCPRIM_400000_NS6detail17trampoline_kernelINS0_14default_configENS1_27scan_by_key_config_selectorIiyEEZZNS1_16scan_by_key_implILNS1_25lookback_scan_determinismE0ELb0ES3_N6thrust23THRUST_200600_302600_NS6detail15normal_iteratorINS9_10device_ptrIiEEEENSB_INSC_IyEEEESG_yNS9_4plusIvEENS9_8equal_toIvEEyEE10hipError_tPvRmT2_T3_T4_T5_mT6_T7_P12ihipStream_tbENKUlT_T0_E_clISt17integral_constantIbLb0EES11_EEDaSW_SX_EUlSW_E_NS1_11comp_targetILNS1_3genE2ELNS1_11target_archE906ELNS1_3gpuE6ELNS1_3repE0EEENS1_30default_config_static_selectorELNS0_4arch9wavefront6targetE0EEEvT1_.kd
    .uniform_work_group_size: 1
    .uses_dynamic_stack: false
    .vgpr_count:     0
    .vgpr_spill_count: 0
    .wavefront_size: 32
    .workgroup_processor_mode: 1
  - .args:
      - .offset:         0
        .size:           136
        .value_kind:     by_value
    .group_segment_fixed_size: 0
    .kernarg_segment_align: 8
    .kernarg_segment_size: 136
    .language:       OpenCL C
    .language_version:
      - 2
      - 0
    .max_flat_workgroup_size: 256
    .name:           _ZN7rocprim17ROCPRIM_400000_NS6detail17trampoline_kernelINS0_14default_configENS1_27scan_by_key_config_selectorIiyEEZZNS1_16scan_by_key_implILNS1_25lookback_scan_determinismE0ELb0ES3_N6thrust23THRUST_200600_302600_NS6detail15normal_iteratorINS9_10device_ptrIiEEEENSB_INSC_IyEEEESG_yNS9_4plusIvEENS9_8equal_toIvEEyEE10hipError_tPvRmT2_T3_T4_T5_mT6_T7_P12ihipStream_tbENKUlT_T0_E_clISt17integral_constantIbLb0EES11_EEDaSW_SX_EUlSW_E_NS1_11comp_targetILNS1_3genE10ELNS1_11target_archE1200ELNS1_3gpuE4ELNS1_3repE0EEENS1_30default_config_static_selectorELNS0_4arch9wavefront6targetE0EEEvT1_
    .private_segment_fixed_size: 0
    .sgpr_count:     0
    .sgpr_spill_count: 0
    .symbol:         _ZN7rocprim17ROCPRIM_400000_NS6detail17trampoline_kernelINS0_14default_configENS1_27scan_by_key_config_selectorIiyEEZZNS1_16scan_by_key_implILNS1_25lookback_scan_determinismE0ELb0ES3_N6thrust23THRUST_200600_302600_NS6detail15normal_iteratorINS9_10device_ptrIiEEEENSB_INSC_IyEEEESG_yNS9_4plusIvEENS9_8equal_toIvEEyEE10hipError_tPvRmT2_T3_T4_T5_mT6_T7_P12ihipStream_tbENKUlT_T0_E_clISt17integral_constantIbLb0EES11_EEDaSW_SX_EUlSW_E_NS1_11comp_targetILNS1_3genE10ELNS1_11target_archE1200ELNS1_3gpuE4ELNS1_3repE0EEENS1_30default_config_static_selectorELNS0_4arch9wavefront6targetE0EEEvT1_.kd
    .uniform_work_group_size: 1
    .uses_dynamic_stack: false
    .vgpr_count:     0
    .vgpr_spill_count: 0
    .wavefront_size: 32
    .workgroup_processor_mode: 1
  - .args:
      - .offset:         0
        .size:           136
        .value_kind:     by_value
    .group_segment_fixed_size: 0
    .kernarg_segment_align: 8
    .kernarg_segment_size: 136
    .language:       OpenCL C
    .language_version:
      - 2
      - 0
    .max_flat_workgroup_size: 256
    .name:           _ZN7rocprim17ROCPRIM_400000_NS6detail17trampoline_kernelINS0_14default_configENS1_27scan_by_key_config_selectorIiyEEZZNS1_16scan_by_key_implILNS1_25lookback_scan_determinismE0ELb0ES3_N6thrust23THRUST_200600_302600_NS6detail15normal_iteratorINS9_10device_ptrIiEEEENSB_INSC_IyEEEESG_yNS9_4plusIvEENS9_8equal_toIvEEyEE10hipError_tPvRmT2_T3_T4_T5_mT6_T7_P12ihipStream_tbENKUlT_T0_E_clISt17integral_constantIbLb0EES11_EEDaSW_SX_EUlSW_E_NS1_11comp_targetILNS1_3genE9ELNS1_11target_archE1100ELNS1_3gpuE3ELNS1_3repE0EEENS1_30default_config_static_selectorELNS0_4arch9wavefront6targetE0EEEvT1_
    .private_segment_fixed_size: 0
    .sgpr_count:     0
    .sgpr_spill_count: 0
    .symbol:         _ZN7rocprim17ROCPRIM_400000_NS6detail17trampoline_kernelINS0_14default_configENS1_27scan_by_key_config_selectorIiyEEZZNS1_16scan_by_key_implILNS1_25lookback_scan_determinismE0ELb0ES3_N6thrust23THRUST_200600_302600_NS6detail15normal_iteratorINS9_10device_ptrIiEEEENSB_INSC_IyEEEESG_yNS9_4plusIvEENS9_8equal_toIvEEyEE10hipError_tPvRmT2_T3_T4_T5_mT6_T7_P12ihipStream_tbENKUlT_T0_E_clISt17integral_constantIbLb0EES11_EEDaSW_SX_EUlSW_E_NS1_11comp_targetILNS1_3genE9ELNS1_11target_archE1100ELNS1_3gpuE3ELNS1_3repE0EEENS1_30default_config_static_selectorELNS0_4arch9wavefront6targetE0EEEvT1_.kd
    .uniform_work_group_size: 1
    .uses_dynamic_stack: false
    .vgpr_count:     0
    .vgpr_spill_count: 0
    .wavefront_size: 32
    .workgroup_processor_mode: 1
  - .args:
      - .offset:         0
        .size:           136
        .value_kind:     by_value
    .group_segment_fixed_size: 6144
    .kernarg_segment_align: 8
    .kernarg_segment_size: 136
    .language:       OpenCL C
    .language_version:
      - 2
      - 0
    .max_flat_workgroup_size: 256
    .name:           _ZN7rocprim17ROCPRIM_400000_NS6detail17trampoline_kernelINS0_14default_configENS1_27scan_by_key_config_selectorIiyEEZZNS1_16scan_by_key_implILNS1_25lookback_scan_determinismE0ELb0ES3_N6thrust23THRUST_200600_302600_NS6detail15normal_iteratorINS9_10device_ptrIiEEEENSB_INSC_IyEEEESG_yNS9_4plusIvEENS9_8equal_toIvEEyEE10hipError_tPvRmT2_T3_T4_T5_mT6_T7_P12ihipStream_tbENKUlT_T0_E_clISt17integral_constantIbLb0EES11_EEDaSW_SX_EUlSW_E_NS1_11comp_targetILNS1_3genE8ELNS1_11target_archE1030ELNS1_3gpuE2ELNS1_3repE0EEENS1_30default_config_static_selectorELNS0_4arch9wavefront6targetE0EEEvT1_
    .private_segment_fixed_size: 0
    .sgpr_count:     40
    .sgpr_spill_count: 0
    .symbol:         _ZN7rocprim17ROCPRIM_400000_NS6detail17trampoline_kernelINS0_14default_configENS1_27scan_by_key_config_selectorIiyEEZZNS1_16scan_by_key_implILNS1_25lookback_scan_determinismE0ELb0ES3_N6thrust23THRUST_200600_302600_NS6detail15normal_iteratorINS9_10device_ptrIiEEEENSB_INSC_IyEEEESG_yNS9_4plusIvEENS9_8equal_toIvEEyEE10hipError_tPvRmT2_T3_T4_T5_mT6_T7_P12ihipStream_tbENKUlT_T0_E_clISt17integral_constantIbLb0EES11_EEDaSW_SX_EUlSW_E_NS1_11comp_targetILNS1_3genE8ELNS1_11target_archE1030ELNS1_3gpuE2ELNS1_3repE0EEENS1_30default_config_static_selectorELNS0_4arch9wavefront6targetE0EEEvT1_.kd
    .uniform_work_group_size: 1
    .uses_dynamic_stack: false
    .vgpr_count:     48
    .vgpr_spill_count: 0
    .wavefront_size: 32
    .workgroup_processor_mode: 1
  - .args:
      - .offset:         0
        .size:           24
        .value_kind:     by_value
      - .offset:         24
        .size:           4
        .value_kind:     by_value
      - .offset:         28
        .size:           4
        .value_kind:     by_value
      - .address_space:  global
        .offset:         32
        .size:           8
        .value_kind:     global_buffer
      - .address_space:  global
        .offset:         40
        .size:           8
        .value_kind:     global_buffer
      - .actual_access:  write_only
        .address_space:  global
        .offset:         48
        .size:           8
        .value_kind:     global_buffer
      - .offset:         56
        .size:           8
        .value_kind:     by_value
      - .offset:         64
        .size:           4
        .value_kind:     by_value
      - .address_space:  global
        .offset:         72
        .size:           8
        .value_kind:     global_buffer
      - .offset:         80
        .size:           4
        .value_kind:     hidden_block_count_x
      - .offset:         84
        .size:           4
        .value_kind:     hidden_block_count_y
      - .offset:         88
        .size:           4
        .value_kind:     hidden_block_count_z
      - .offset:         92
        .size:           2
        .value_kind:     hidden_group_size_x
      - .offset:         94
        .size:           2
        .value_kind:     hidden_group_size_y
      - .offset:         96
        .size:           2
        .value_kind:     hidden_group_size_z
      - .offset:         98
        .size:           2
        .value_kind:     hidden_remainder_x
      - .offset:         100
        .size:           2
        .value_kind:     hidden_remainder_y
      - .offset:         102
        .size:           2
        .value_kind:     hidden_remainder_z
      - .offset:         120
        .size:           8
        .value_kind:     hidden_global_offset_x
      - .offset:         128
        .size:           8
        .value_kind:     hidden_global_offset_y
      - .offset:         136
        .size:           8
        .value_kind:     hidden_global_offset_z
      - .offset:         144
        .size:           2
        .value_kind:     hidden_grid_dims
    .group_segment_fixed_size: 0
    .kernarg_segment_align: 8
    .kernarg_segment_size: 336
    .language:       OpenCL C
    .language_version:
      - 2
      - 0
    .max_flat_workgroup_size: 256
    .name:           _ZN7rocprim17ROCPRIM_400000_NS6detail30init_device_scan_by_key_kernelINS1_19lookback_scan_stateINS0_5tupleIJybEEELb1ELb0EEEN6thrust23THRUST_200600_302600_NS6detail15normal_iteratorINS8_10device_ptrIiEEEEjNS1_16block_id_wrapperIjLb1EEEEEvT_jjPNSG_10value_typeET0_PNSt15iterator_traitsISJ_E10value_typeEmT1_T2_
    .private_segment_fixed_size: 0
    .sgpr_count:     25
    .sgpr_spill_count: 0
    .symbol:         _ZN7rocprim17ROCPRIM_400000_NS6detail30init_device_scan_by_key_kernelINS1_19lookback_scan_stateINS0_5tupleIJybEEELb1ELb0EEEN6thrust23THRUST_200600_302600_NS6detail15normal_iteratorINS8_10device_ptrIiEEEEjNS1_16block_id_wrapperIjLb1EEEEEvT_jjPNSG_10value_typeET0_PNSt15iterator_traitsISJ_E10value_typeEmT1_T2_.kd
    .uniform_work_group_size: 1
    .uses_dynamic_stack: false
    .vgpr_count:     7
    .vgpr_spill_count: 0
    .wavefront_size: 32
    .workgroup_processor_mode: 1
  - .args:
      - .offset:         0
        .size:           24
        .value_kind:     by_value
      - .offset:         24
        .size:           4
        .value_kind:     by_value
      - .offset:         28
        .size:           4
        .value_kind:     by_value
      - .address_space:  global
        .offset:         32
        .size:           8
        .value_kind:     global_buffer
      - .address_space:  global
        .offset:         40
        .size:           8
        .value_kind:     global_buffer
      - .offset:         48
        .size:           4
        .value_kind:     hidden_block_count_x
      - .offset:         52
        .size:           4
        .value_kind:     hidden_block_count_y
      - .offset:         56
        .size:           4
        .value_kind:     hidden_block_count_z
      - .offset:         60
        .size:           2
        .value_kind:     hidden_group_size_x
      - .offset:         62
        .size:           2
        .value_kind:     hidden_group_size_y
      - .offset:         64
        .size:           2
        .value_kind:     hidden_group_size_z
      - .offset:         66
        .size:           2
        .value_kind:     hidden_remainder_x
      - .offset:         68
        .size:           2
        .value_kind:     hidden_remainder_y
      - .offset:         70
        .size:           2
        .value_kind:     hidden_remainder_z
      - .offset:         88
        .size:           8
        .value_kind:     hidden_global_offset_x
      - .offset:         96
        .size:           8
        .value_kind:     hidden_global_offset_y
      - .offset:         104
        .size:           8
        .value_kind:     hidden_global_offset_z
      - .offset:         112
        .size:           2
        .value_kind:     hidden_grid_dims
    .group_segment_fixed_size: 0
    .kernarg_segment_align: 8
    .kernarg_segment_size: 304
    .language:       OpenCL C
    .language_version:
      - 2
      - 0
    .max_flat_workgroup_size: 256
    .name:           _ZN7rocprim17ROCPRIM_400000_NS6detail30init_device_scan_by_key_kernelINS1_19lookback_scan_stateINS0_5tupleIJybEEELb1ELb0EEENS1_16block_id_wrapperIjLb1EEEEEvT_jjPNS9_10value_typeET0_
    .private_segment_fixed_size: 0
    .sgpr_count:     21
    .sgpr_spill_count: 0
    .symbol:         _ZN7rocprim17ROCPRIM_400000_NS6detail30init_device_scan_by_key_kernelINS1_19lookback_scan_stateINS0_5tupleIJybEEELb1ELb0EEENS1_16block_id_wrapperIjLb1EEEEEvT_jjPNS9_10value_typeET0_.kd
    .uniform_work_group_size: 1
    .uses_dynamic_stack: false
    .vgpr_count:     5
    .vgpr_spill_count: 0
    .wavefront_size: 32
    .workgroup_processor_mode: 1
  - .args:
      - .offset:         0
        .size:           136
        .value_kind:     by_value
    .group_segment_fixed_size: 0
    .kernarg_segment_align: 8
    .kernarg_segment_size: 136
    .language:       OpenCL C
    .language_version:
      - 2
      - 0
    .max_flat_workgroup_size: 128
    .name:           _ZN7rocprim17ROCPRIM_400000_NS6detail17trampoline_kernelINS0_14default_configENS1_27scan_by_key_config_selectorIiyEEZZNS1_16scan_by_key_implILNS1_25lookback_scan_determinismE0ELb0ES3_N6thrust23THRUST_200600_302600_NS6detail15normal_iteratorINS9_10device_ptrIiEEEENSB_INSC_IyEEEESG_yNS9_4plusIvEENS9_8equal_toIvEEyEE10hipError_tPvRmT2_T3_T4_T5_mT6_T7_P12ihipStream_tbENKUlT_T0_E_clISt17integral_constantIbLb1EES11_EEDaSW_SX_EUlSW_E_NS1_11comp_targetILNS1_3genE0ELNS1_11target_archE4294967295ELNS1_3gpuE0ELNS1_3repE0EEENS1_30default_config_static_selectorELNS0_4arch9wavefront6targetE0EEEvT1_
    .private_segment_fixed_size: 0
    .sgpr_count:     0
    .sgpr_spill_count: 0
    .symbol:         _ZN7rocprim17ROCPRIM_400000_NS6detail17trampoline_kernelINS0_14default_configENS1_27scan_by_key_config_selectorIiyEEZZNS1_16scan_by_key_implILNS1_25lookback_scan_determinismE0ELb0ES3_N6thrust23THRUST_200600_302600_NS6detail15normal_iteratorINS9_10device_ptrIiEEEENSB_INSC_IyEEEESG_yNS9_4plusIvEENS9_8equal_toIvEEyEE10hipError_tPvRmT2_T3_T4_T5_mT6_T7_P12ihipStream_tbENKUlT_T0_E_clISt17integral_constantIbLb1EES11_EEDaSW_SX_EUlSW_E_NS1_11comp_targetILNS1_3genE0ELNS1_11target_archE4294967295ELNS1_3gpuE0ELNS1_3repE0EEENS1_30default_config_static_selectorELNS0_4arch9wavefront6targetE0EEEvT1_.kd
    .uniform_work_group_size: 1
    .uses_dynamic_stack: false
    .vgpr_count:     0
    .vgpr_spill_count: 0
    .wavefront_size: 32
    .workgroup_processor_mode: 1
  - .args:
      - .offset:         0
        .size:           136
        .value_kind:     by_value
    .group_segment_fixed_size: 0
    .kernarg_segment_align: 8
    .kernarg_segment_size: 136
    .language:       OpenCL C
    .language_version:
      - 2
      - 0
    .max_flat_workgroup_size: 256
    .name:           _ZN7rocprim17ROCPRIM_400000_NS6detail17trampoline_kernelINS0_14default_configENS1_27scan_by_key_config_selectorIiyEEZZNS1_16scan_by_key_implILNS1_25lookback_scan_determinismE0ELb0ES3_N6thrust23THRUST_200600_302600_NS6detail15normal_iteratorINS9_10device_ptrIiEEEENSB_INSC_IyEEEESG_yNS9_4plusIvEENS9_8equal_toIvEEyEE10hipError_tPvRmT2_T3_T4_T5_mT6_T7_P12ihipStream_tbENKUlT_T0_E_clISt17integral_constantIbLb1EES11_EEDaSW_SX_EUlSW_E_NS1_11comp_targetILNS1_3genE10ELNS1_11target_archE1201ELNS1_3gpuE5ELNS1_3repE0EEENS1_30default_config_static_selectorELNS0_4arch9wavefront6targetE0EEEvT1_
    .private_segment_fixed_size: 0
    .sgpr_count:     0
    .sgpr_spill_count: 0
    .symbol:         _ZN7rocprim17ROCPRIM_400000_NS6detail17trampoline_kernelINS0_14default_configENS1_27scan_by_key_config_selectorIiyEEZZNS1_16scan_by_key_implILNS1_25lookback_scan_determinismE0ELb0ES3_N6thrust23THRUST_200600_302600_NS6detail15normal_iteratorINS9_10device_ptrIiEEEENSB_INSC_IyEEEESG_yNS9_4plusIvEENS9_8equal_toIvEEyEE10hipError_tPvRmT2_T3_T4_T5_mT6_T7_P12ihipStream_tbENKUlT_T0_E_clISt17integral_constantIbLb1EES11_EEDaSW_SX_EUlSW_E_NS1_11comp_targetILNS1_3genE10ELNS1_11target_archE1201ELNS1_3gpuE5ELNS1_3repE0EEENS1_30default_config_static_selectorELNS0_4arch9wavefront6targetE0EEEvT1_.kd
    .uniform_work_group_size: 1
    .uses_dynamic_stack: false
    .vgpr_count:     0
    .vgpr_spill_count: 0
    .wavefront_size: 32
    .workgroup_processor_mode: 1
  - .args:
      - .offset:         0
        .size:           136
        .value_kind:     by_value
    .group_segment_fixed_size: 0
    .kernarg_segment_align: 8
    .kernarg_segment_size: 136
    .language:       OpenCL C
    .language_version:
      - 2
      - 0
    .max_flat_workgroup_size: 256
    .name:           _ZN7rocprim17ROCPRIM_400000_NS6detail17trampoline_kernelINS0_14default_configENS1_27scan_by_key_config_selectorIiyEEZZNS1_16scan_by_key_implILNS1_25lookback_scan_determinismE0ELb0ES3_N6thrust23THRUST_200600_302600_NS6detail15normal_iteratorINS9_10device_ptrIiEEEENSB_INSC_IyEEEESG_yNS9_4plusIvEENS9_8equal_toIvEEyEE10hipError_tPvRmT2_T3_T4_T5_mT6_T7_P12ihipStream_tbENKUlT_T0_E_clISt17integral_constantIbLb1EES11_EEDaSW_SX_EUlSW_E_NS1_11comp_targetILNS1_3genE5ELNS1_11target_archE942ELNS1_3gpuE9ELNS1_3repE0EEENS1_30default_config_static_selectorELNS0_4arch9wavefront6targetE0EEEvT1_
    .private_segment_fixed_size: 0
    .sgpr_count:     0
    .sgpr_spill_count: 0
    .symbol:         _ZN7rocprim17ROCPRIM_400000_NS6detail17trampoline_kernelINS0_14default_configENS1_27scan_by_key_config_selectorIiyEEZZNS1_16scan_by_key_implILNS1_25lookback_scan_determinismE0ELb0ES3_N6thrust23THRUST_200600_302600_NS6detail15normal_iteratorINS9_10device_ptrIiEEEENSB_INSC_IyEEEESG_yNS9_4plusIvEENS9_8equal_toIvEEyEE10hipError_tPvRmT2_T3_T4_T5_mT6_T7_P12ihipStream_tbENKUlT_T0_E_clISt17integral_constantIbLb1EES11_EEDaSW_SX_EUlSW_E_NS1_11comp_targetILNS1_3genE5ELNS1_11target_archE942ELNS1_3gpuE9ELNS1_3repE0EEENS1_30default_config_static_selectorELNS0_4arch9wavefront6targetE0EEEvT1_.kd
    .uniform_work_group_size: 1
    .uses_dynamic_stack: false
    .vgpr_count:     0
    .vgpr_spill_count: 0
    .wavefront_size: 32
    .workgroup_processor_mode: 1
  - .args:
      - .offset:         0
        .size:           136
        .value_kind:     by_value
    .group_segment_fixed_size: 0
    .kernarg_segment_align: 8
    .kernarg_segment_size: 136
    .language:       OpenCL C
    .language_version:
      - 2
      - 0
    .max_flat_workgroup_size: 64
    .name:           _ZN7rocprim17ROCPRIM_400000_NS6detail17trampoline_kernelINS0_14default_configENS1_27scan_by_key_config_selectorIiyEEZZNS1_16scan_by_key_implILNS1_25lookback_scan_determinismE0ELb0ES3_N6thrust23THRUST_200600_302600_NS6detail15normal_iteratorINS9_10device_ptrIiEEEENSB_INSC_IyEEEESG_yNS9_4plusIvEENS9_8equal_toIvEEyEE10hipError_tPvRmT2_T3_T4_T5_mT6_T7_P12ihipStream_tbENKUlT_T0_E_clISt17integral_constantIbLb1EES11_EEDaSW_SX_EUlSW_E_NS1_11comp_targetILNS1_3genE4ELNS1_11target_archE910ELNS1_3gpuE8ELNS1_3repE0EEENS1_30default_config_static_selectorELNS0_4arch9wavefront6targetE0EEEvT1_
    .private_segment_fixed_size: 0
    .sgpr_count:     0
    .sgpr_spill_count: 0
    .symbol:         _ZN7rocprim17ROCPRIM_400000_NS6detail17trampoline_kernelINS0_14default_configENS1_27scan_by_key_config_selectorIiyEEZZNS1_16scan_by_key_implILNS1_25lookback_scan_determinismE0ELb0ES3_N6thrust23THRUST_200600_302600_NS6detail15normal_iteratorINS9_10device_ptrIiEEEENSB_INSC_IyEEEESG_yNS9_4plusIvEENS9_8equal_toIvEEyEE10hipError_tPvRmT2_T3_T4_T5_mT6_T7_P12ihipStream_tbENKUlT_T0_E_clISt17integral_constantIbLb1EES11_EEDaSW_SX_EUlSW_E_NS1_11comp_targetILNS1_3genE4ELNS1_11target_archE910ELNS1_3gpuE8ELNS1_3repE0EEENS1_30default_config_static_selectorELNS0_4arch9wavefront6targetE0EEEvT1_.kd
    .uniform_work_group_size: 1
    .uses_dynamic_stack: false
    .vgpr_count:     0
    .vgpr_spill_count: 0
    .wavefront_size: 32
    .workgroup_processor_mode: 1
  - .args:
      - .offset:         0
        .size:           136
        .value_kind:     by_value
    .group_segment_fixed_size: 0
    .kernarg_segment_align: 8
    .kernarg_segment_size: 136
    .language:       OpenCL C
    .language_version:
      - 2
      - 0
    .max_flat_workgroup_size: 128
    .name:           _ZN7rocprim17ROCPRIM_400000_NS6detail17trampoline_kernelINS0_14default_configENS1_27scan_by_key_config_selectorIiyEEZZNS1_16scan_by_key_implILNS1_25lookback_scan_determinismE0ELb0ES3_N6thrust23THRUST_200600_302600_NS6detail15normal_iteratorINS9_10device_ptrIiEEEENSB_INSC_IyEEEESG_yNS9_4plusIvEENS9_8equal_toIvEEyEE10hipError_tPvRmT2_T3_T4_T5_mT6_T7_P12ihipStream_tbENKUlT_T0_E_clISt17integral_constantIbLb1EES11_EEDaSW_SX_EUlSW_E_NS1_11comp_targetILNS1_3genE3ELNS1_11target_archE908ELNS1_3gpuE7ELNS1_3repE0EEENS1_30default_config_static_selectorELNS0_4arch9wavefront6targetE0EEEvT1_
    .private_segment_fixed_size: 0
    .sgpr_count:     0
    .sgpr_spill_count: 0
    .symbol:         _ZN7rocprim17ROCPRIM_400000_NS6detail17trampoline_kernelINS0_14default_configENS1_27scan_by_key_config_selectorIiyEEZZNS1_16scan_by_key_implILNS1_25lookback_scan_determinismE0ELb0ES3_N6thrust23THRUST_200600_302600_NS6detail15normal_iteratorINS9_10device_ptrIiEEEENSB_INSC_IyEEEESG_yNS9_4plusIvEENS9_8equal_toIvEEyEE10hipError_tPvRmT2_T3_T4_T5_mT6_T7_P12ihipStream_tbENKUlT_T0_E_clISt17integral_constantIbLb1EES11_EEDaSW_SX_EUlSW_E_NS1_11comp_targetILNS1_3genE3ELNS1_11target_archE908ELNS1_3gpuE7ELNS1_3repE0EEENS1_30default_config_static_selectorELNS0_4arch9wavefront6targetE0EEEvT1_.kd
    .uniform_work_group_size: 1
    .uses_dynamic_stack: false
    .vgpr_count:     0
    .vgpr_spill_count: 0
    .wavefront_size: 32
    .workgroup_processor_mode: 1
  - .args:
      - .offset:         0
        .size:           136
        .value_kind:     by_value
    .group_segment_fixed_size: 0
    .kernarg_segment_align: 8
    .kernarg_segment_size: 136
    .language:       OpenCL C
    .language_version:
      - 2
      - 0
    .max_flat_workgroup_size: 64
    .name:           _ZN7rocprim17ROCPRIM_400000_NS6detail17trampoline_kernelINS0_14default_configENS1_27scan_by_key_config_selectorIiyEEZZNS1_16scan_by_key_implILNS1_25lookback_scan_determinismE0ELb0ES3_N6thrust23THRUST_200600_302600_NS6detail15normal_iteratorINS9_10device_ptrIiEEEENSB_INSC_IyEEEESG_yNS9_4plusIvEENS9_8equal_toIvEEyEE10hipError_tPvRmT2_T3_T4_T5_mT6_T7_P12ihipStream_tbENKUlT_T0_E_clISt17integral_constantIbLb1EES11_EEDaSW_SX_EUlSW_E_NS1_11comp_targetILNS1_3genE2ELNS1_11target_archE906ELNS1_3gpuE6ELNS1_3repE0EEENS1_30default_config_static_selectorELNS0_4arch9wavefront6targetE0EEEvT1_
    .private_segment_fixed_size: 0
    .sgpr_count:     0
    .sgpr_spill_count: 0
    .symbol:         _ZN7rocprim17ROCPRIM_400000_NS6detail17trampoline_kernelINS0_14default_configENS1_27scan_by_key_config_selectorIiyEEZZNS1_16scan_by_key_implILNS1_25lookback_scan_determinismE0ELb0ES3_N6thrust23THRUST_200600_302600_NS6detail15normal_iteratorINS9_10device_ptrIiEEEENSB_INSC_IyEEEESG_yNS9_4plusIvEENS9_8equal_toIvEEyEE10hipError_tPvRmT2_T3_T4_T5_mT6_T7_P12ihipStream_tbENKUlT_T0_E_clISt17integral_constantIbLb1EES11_EEDaSW_SX_EUlSW_E_NS1_11comp_targetILNS1_3genE2ELNS1_11target_archE906ELNS1_3gpuE6ELNS1_3repE0EEENS1_30default_config_static_selectorELNS0_4arch9wavefront6targetE0EEEvT1_.kd
    .uniform_work_group_size: 1
    .uses_dynamic_stack: false
    .vgpr_count:     0
    .vgpr_spill_count: 0
    .wavefront_size: 32
    .workgroup_processor_mode: 1
  - .args:
      - .offset:         0
        .size:           136
        .value_kind:     by_value
    .group_segment_fixed_size: 0
    .kernarg_segment_align: 8
    .kernarg_segment_size: 136
    .language:       OpenCL C
    .language_version:
      - 2
      - 0
    .max_flat_workgroup_size: 256
    .name:           _ZN7rocprim17ROCPRIM_400000_NS6detail17trampoline_kernelINS0_14default_configENS1_27scan_by_key_config_selectorIiyEEZZNS1_16scan_by_key_implILNS1_25lookback_scan_determinismE0ELb0ES3_N6thrust23THRUST_200600_302600_NS6detail15normal_iteratorINS9_10device_ptrIiEEEENSB_INSC_IyEEEESG_yNS9_4plusIvEENS9_8equal_toIvEEyEE10hipError_tPvRmT2_T3_T4_T5_mT6_T7_P12ihipStream_tbENKUlT_T0_E_clISt17integral_constantIbLb1EES11_EEDaSW_SX_EUlSW_E_NS1_11comp_targetILNS1_3genE10ELNS1_11target_archE1200ELNS1_3gpuE4ELNS1_3repE0EEENS1_30default_config_static_selectorELNS0_4arch9wavefront6targetE0EEEvT1_
    .private_segment_fixed_size: 0
    .sgpr_count:     0
    .sgpr_spill_count: 0
    .symbol:         _ZN7rocprim17ROCPRIM_400000_NS6detail17trampoline_kernelINS0_14default_configENS1_27scan_by_key_config_selectorIiyEEZZNS1_16scan_by_key_implILNS1_25lookback_scan_determinismE0ELb0ES3_N6thrust23THRUST_200600_302600_NS6detail15normal_iteratorINS9_10device_ptrIiEEEENSB_INSC_IyEEEESG_yNS9_4plusIvEENS9_8equal_toIvEEyEE10hipError_tPvRmT2_T3_T4_T5_mT6_T7_P12ihipStream_tbENKUlT_T0_E_clISt17integral_constantIbLb1EES11_EEDaSW_SX_EUlSW_E_NS1_11comp_targetILNS1_3genE10ELNS1_11target_archE1200ELNS1_3gpuE4ELNS1_3repE0EEENS1_30default_config_static_selectorELNS0_4arch9wavefront6targetE0EEEvT1_.kd
    .uniform_work_group_size: 1
    .uses_dynamic_stack: false
    .vgpr_count:     0
    .vgpr_spill_count: 0
    .wavefront_size: 32
    .workgroup_processor_mode: 1
  - .args:
      - .offset:         0
        .size:           136
        .value_kind:     by_value
    .group_segment_fixed_size: 0
    .kernarg_segment_align: 8
    .kernarg_segment_size: 136
    .language:       OpenCL C
    .language_version:
      - 2
      - 0
    .max_flat_workgroup_size: 256
    .name:           _ZN7rocprim17ROCPRIM_400000_NS6detail17trampoline_kernelINS0_14default_configENS1_27scan_by_key_config_selectorIiyEEZZNS1_16scan_by_key_implILNS1_25lookback_scan_determinismE0ELb0ES3_N6thrust23THRUST_200600_302600_NS6detail15normal_iteratorINS9_10device_ptrIiEEEENSB_INSC_IyEEEESG_yNS9_4plusIvEENS9_8equal_toIvEEyEE10hipError_tPvRmT2_T3_T4_T5_mT6_T7_P12ihipStream_tbENKUlT_T0_E_clISt17integral_constantIbLb1EES11_EEDaSW_SX_EUlSW_E_NS1_11comp_targetILNS1_3genE9ELNS1_11target_archE1100ELNS1_3gpuE3ELNS1_3repE0EEENS1_30default_config_static_selectorELNS0_4arch9wavefront6targetE0EEEvT1_
    .private_segment_fixed_size: 0
    .sgpr_count:     0
    .sgpr_spill_count: 0
    .symbol:         _ZN7rocprim17ROCPRIM_400000_NS6detail17trampoline_kernelINS0_14default_configENS1_27scan_by_key_config_selectorIiyEEZZNS1_16scan_by_key_implILNS1_25lookback_scan_determinismE0ELb0ES3_N6thrust23THRUST_200600_302600_NS6detail15normal_iteratorINS9_10device_ptrIiEEEENSB_INSC_IyEEEESG_yNS9_4plusIvEENS9_8equal_toIvEEyEE10hipError_tPvRmT2_T3_T4_T5_mT6_T7_P12ihipStream_tbENKUlT_T0_E_clISt17integral_constantIbLb1EES11_EEDaSW_SX_EUlSW_E_NS1_11comp_targetILNS1_3genE9ELNS1_11target_archE1100ELNS1_3gpuE3ELNS1_3repE0EEENS1_30default_config_static_selectorELNS0_4arch9wavefront6targetE0EEEvT1_.kd
    .uniform_work_group_size: 1
    .uses_dynamic_stack: false
    .vgpr_count:     0
    .vgpr_spill_count: 0
    .wavefront_size: 32
    .workgroup_processor_mode: 1
  - .args:
      - .offset:         0
        .size:           136
        .value_kind:     by_value
    .group_segment_fixed_size: 0
    .kernarg_segment_align: 8
    .kernarg_segment_size: 136
    .language:       OpenCL C
    .language_version:
      - 2
      - 0
    .max_flat_workgroup_size: 256
    .name:           _ZN7rocprim17ROCPRIM_400000_NS6detail17trampoline_kernelINS0_14default_configENS1_27scan_by_key_config_selectorIiyEEZZNS1_16scan_by_key_implILNS1_25lookback_scan_determinismE0ELb0ES3_N6thrust23THRUST_200600_302600_NS6detail15normal_iteratorINS9_10device_ptrIiEEEENSB_INSC_IyEEEESG_yNS9_4plusIvEENS9_8equal_toIvEEyEE10hipError_tPvRmT2_T3_T4_T5_mT6_T7_P12ihipStream_tbENKUlT_T0_E_clISt17integral_constantIbLb1EES11_EEDaSW_SX_EUlSW_E_NS1_11comp_targetILNS1_3genE8ELNS1_11target_archE1030ELNS1_3gpuE2ELNS1_3repE0EEENS1_30default_config_static_selectorELNS0_4arch9wavefront6targetE0EEEvT1_
    .private_segment_fixed_size: 0
    .sgpr_count:     0
    .sgpr_spill_count: 0
    .symbol:         _ZN7rocprim17ROCPRIM_400000_NS6detail17trampoline_kernelINS0_14default_configENS1_27scan_by_key_config_selectorIiyEEZZNS1_16scan_by_key_implILNS1_25lookback_scan_determinismE0ELb0ES3_N6thrust23THRUST_200600_302600_NS6detail15normal_iteratorINS9_10device_ptrIiEEEENSB_INSC_IyEEEESG_yNS9_4plusIvEENS9_8equal_toIvEEyEE10hipError_tPvRmT2_T3_T4_T5_mT6_T7_P12ihipStream_tbENKUlT_T0_E_clISt17integral_constantIbLb1EES11_EEDaSW_SX_EUlSW_E_NS1_11comp_targetILNS1_3genE8ELNS1_11target_archE1030ELNS1_3gpuE2ELNS1_3repE0EEENS1_30default_config_static_selectorELNS0_4arch9wavefront6targetE0EEEvT1_.kd
    .uniform_work_group_size: 1
    .uses_dynamic_stack: false
    .vgpr_count:     0
    .vgpr_spill_count: 0
    .wavefront_size: 32
    .workgroup_processor_mode: 1
  - .args:
      - .offset:         0
        .size:           24
        .value_kind:     by_value
      - .offset:         24
        .size:           4
        .value_kind:     by_value
      - .offset:         28
        .size:           4
        .value_kind:     by_value
      - .address_space:  global
        .offset:         32
        .size:           8
        .value_kind:     global_buffer
      - .address_space:  global
        .offset:         40
        .size:           8
        .value_kind:     global_buffer
      - .actual_access:  write_only
        .address_space:  global
        .offset:         48
        .size:           8
        .value_kind:     global_buffer
      - .offset:         56
        .size:           8
        .value_kind:     by_value
      - .offset:         64
        .size:           4
        .value_kind:     by_value
      - .offset:         68
        .size:           1
        .value_kind:     by_value
      - .offset:         72
        .size:           4
        .value_kind:     hidden_block_count_x
      - .offset:         76
        .size:           4
        .value_kind:     hidden_block_count_y
      - .offset:         80
        .size:           4
        .value_kind:     hidden_block_count_z
      - .offset:         84
        .size:           2
        .value_kind:     hidden_group_size_x
      - .offset:         86
        .size:           2
        .value_kind:     hidden_group_size_y
      - .offset:         88
        .size:           2
        .value_kind:     hidden_group_size_z
      - .offset:         90
        .size:           2
        .value_kind:     hidden_remainder_x
      - .offset:         92
        .size:           2
        .value_kind:     hidden_remainder_y
      - .offset:         94
        .size:           2
        .value_kind:     hidden_remainder_z
      - .offset:         112
        .size:           8
        .value_kind:     hidden_global_offset_x
      - .offset:         120
        .size:           8
        .value_kind:     hidden_global_offset_y
      - .offset:         128
        .size:           8
        .value_kind:     hidden_global_offset_z
      - .offset:         136
        .size:           2
        .value_kind:     hidden_grid_dims
    .group_segment_fixed_size: 0
    .kernarg_segment_align: 8
    .kernarg_segment_size: 328
    .language:       OpenCL C
    .language_version:
      - 2
      - 0
    .max_flat_workgroup_size: 256
    .name:           _ZN7rocprim17ROCPRIM_400000_NS6detail30init_device_scan_by_key_kernelINS1_19lookback_scan_stateINS0_5tupleIJybEEELb1ELb0EEEN6thrust23THRUST_200600_302600_NS6detail15normal_iteratorINS8_10device_ptrIiEEEEjNS1_16block_id_wrapperIjLb0EEEEEvT_jjPNSG_10value_typeET0_PNSt15iterator_traitsISJ_E10value_typeEmT1_T2_
    .private_segment_fixed_size: 0
    .sgpr_count:     25
    .sgpr_spill_count: 0
    .symbol:         _ZN7rocprim17ROCPRIM_400000_NS6detail30init_device_scan_by_key_kernelINS1_19lookback_scan_stateINS0_5tupleIJybEEELb1ELb0EEEN6thrust23THRUST_200600_302600_NS6detail15normal_iteratorINS8_10device_ptrIiEEEEjNS1_16block_id_wrapperIjLb0EEEEEvT_jjPNSG_10value_typeET0_PNSt15iterator_traitsISJ_E10value_typeEmT1_T2_.kd
    .uniform_work_group_size: 1
    .uses_dynamic_stack: false
    .vgpr_count:     7
    .vgpr_spill_count: 0
    .wavefront_size: 32
    .workgroup_processor_mode: 1
  - .args:
      - .offset:         0
        .size:           24
        .value_kind:     by_value
      - .offset:         24
        .size:           4
        .value_kind:     by_value
      - .offset:         28
        .size:           4
        .value_kind:     by_value
      - .address_space:  global
        .offset:         32
        .size:           8
        .value_kind:     global_buffer
      - .offset:         40
        .size:           1
        .value_kind:     by_value
      - .offset:         48
        .size:           4
        .value_kind:     hidden_block_count_x
      - .offset:         52
        .size:           4
        .value_kind:     hidden_block_count_y
      - .offset:         56
        .size:           4
        .value_kind:     hidden_block_count_z
      - .offset:         60
        .size:           2
        .value_kind:     hidden_group_size_x
      - .offset:         62
        .size:           2
        .value_kind:     hidden_group_size_y
      - .offset:         64
        .size:           2
        .value_kind:     hidden_group_size_z
      - .offset:         66
        .size:           2
        .value_kind:     hidden_remainder_x
      - .offset:         68
        .size:           2
        .value_kind:     hidden_remainder_y
      - .offset:         70
        .size:           2
        .value_kind:     hidden_remainder_z
      - .offset:         88
        .size:           8
        .value_kind:     hidden_global_offset_x
      - .offset:         96
        .size:           8
        .value_kind:     hidden_global_offset_y
      - .offset:         104
        .size:           8
        .value_kind:     hidden_global_offset_z
      - .offset:         112
        .size:           2
        .value_kind:     hidden_grid_dims
    .group_segment_fixed_size: 0
    .kernarg_segment_align: 8
    .kernarg_segment_size: 304
    .language:       OpenCL C
    .language_version:
      - 2
      - 0
    .max_flat_workgroup_size: 256
    .name:           _ZN7rocprim17ROCPRIM_400000_NS6detail30init_device_scan_by_key_kernelINS1_19lookback_scan_stateINS0_5tupleIJybEEELb1ELb0EEENS1_16block_id_wrapperIjLb0EEEEEvT_jjPNS9_10value_typeET0_
    .private_segment_fixed_size: 0
    .sgpr_count:     19
    .sgpr_spill_count: 0
    .symbol:         _ZN7rocprim17ROCPRIM_400000_NS6detail30init_device_scan_by_key_kernelINS1_19lookback_scan_stateINS0_5tupleIJybEEELb1ELb0EEENS1_16block_id_wrapperIjLb0EEEEEvT_jjPNS9_10value_typeET0_.kd
    .uniform_work_group_size: 1
    .uses_dynamic_stack: false
    .vgpr_count:     5
    .vgpr_spill_count: 0
    .wavefront_size: 32
    .workgroup_processor_mode: 1
  - .args:
      - .offset:         0
        .size:           136
        .value_kind:     by_value
    .group_segment_fixed_size: 0
    .kernarg_segment_align: 8
    .kernarg_segment_size: 136
    .language:       OpenCL C
    .language_version:
      - 2
      - 0
    .max_flat_workgroup_size: 128
    .name:           _ZN7rocprim17ROCPRIM_400000_NS6detail17trampoline_kernelINS0_14default_configENS1_27scan_by_key_config_selectorIiyEEZZNS1_16scan_by_key_implILNS1_25lookback_scan_determinismE0ELb0ES3_N6thrust23THRUST_200600_302600_NS6detail15normal_iteratorINS9_10device_ptrIiEEEENSB_INSC_IyEEEESG_yNS9_4plusIvEENS9_8equal_toIvEEyEE10hipError_tPvRmT2_T3_T4_T5_mT6_T7_P12ihipStream_tbENKUlT_T0_E_clISt17integral_constantIbLb1EES10_IbLb0EEEEDaSW_SX_EUlSW_E_NS1_11comp_targetILNS1_3genE0ELNS1_11target_archE4294967295ELNS1_3gpuE0ELNS1_3repE0EEENS1_30default_config_static_selectorELNS0_4arch9wavefront6targetE0EEEvT1_
    .private_segment_fixed_size: 0
    .sgpr_count:     0
    .sgpr_spill_count: 0
    .symbol:         _ZN7rocprim17ROCPRIM_400000_NS6detail17trampoline_kernelINS0_14default_configENS1_27scan_by_key_config_selectorIiyEEZZNS1_16scan_by_key_implILNS1_25lookback_scan_determinismE0ELb0ES3_N6thrust23THRUST_200600_302600_NS6detail15normal_iteratorINS9_10device_ptrIiEEEENSB_INSC_IyEEEESG_yNS9_4plusIvEENS9_8equal_toIvEEyEE10hipError_tPvRmT2_T3_T4_T5_mT6_T7_P12ihipStream_tbENKUlT_T0_E_clISt17integral_constantIbLb1EES10_IbLb0EEEEDaSW_SX_EUlSW_E_NS1_11comp_targetILNS1_3genE0ELNS1_11target_archE4294967295ELNS1_3gpuE0ELNS1_3repE0EEENS1_30default_config_static_selectorELNS0_4arch9wavefront6targetE0EEEvT1_.kd
    .uniform_work_group_size: 1
    .uses_dynamic_stack: false
    .vgpr_count:     0
    .vgpr_spill_count: 0
    .wavefront_size: 32
    .workgroup_processor_mode: 1
  - .args:
      - .offset:         0
        .size:           136
        .value_kind:     by_value
    .group_segment_fixed_size: 0
    .kernarg_segment_align: 8
    .kernarg_segment_size: 136
    .language:       OpenCL C
    .language_version:
      - 2
      - 0
    .max_flat_workgroup_size: 256
    .name:           _ZN7rocprim17ROCPRIM_400000_NS6detail17trampoline_kernelINS0_14default_configENS1_27scan_by_key_config_selectorIiyEEZZNS1_16scan_by_key_implILNS1_25lookback_scan_determinismE0ELb0ES3_N6thrust23THRUST_200600_302600_NS6detail15normal_iteratorINS9_10device_ptrIiEEEENSB_INSC_IyEEEESG_yNS9_4plusIvEENS9_8equal_toIvEEyEE10hipError_tPvRmT2_T3_T4_T5_mT6_T7_P12ihipStream_tbENKUlT_T0_E_clISt17integral_constantIbLb1EES10_IbLb0EEEEDaSW_SX_EUlSW_E_NS1_11comp_targetILNS1_3genE10ELNS1_11target_archE1201ELNS1_3gpuE5ELNS1_3repE0EEENS1_30default_config_static_selectorELNS0_4arch9wavefront6targetE0EEEvT1_
    .private_segment_fixed_size: 0
    .sgpr_count:     0
    .sgpr_spill_count: 0
    .symbol:         _ZN7rocprim17ROCPRIM_400000_NS6detail17trampoline_kernelINS0_14default_configENS1_27scan_by_key_config_selectorIiyEEZZNS1_16scan_by_key_implILNS1_25lookback_scan_determinismE0ELb0ES3_N6thrust23THRUST_200600_302600_NS6detail15normal_iteratorINS9_10device_ptrIiEEEENSB_INSC_IyEEEESG_yNS9_4plusIvEENS9_8equal_toIvEEyEE10hipError_tPvRmT2_T3_T4_T5_mT6_T7_P12ihipStream_tbENKUlT_T0_E_clISt17integral_constantIbLb1EES10_IbLb0EEEEDaSW_SX_EUlSW_E_NS1_11comp_targetILNS1_3genE10ELNS1_11target_archE1201ELNS1_3gpuE5ELNS1_3repE0EEENS1_30default_config_static_selectorELNS0_4arch9wavefront6targetE0EEEvT1_.kd
    .uniform_work_group_size: 1
    .uses_dynamic_stack: false
    .vgpr_count:     0
    .vgpr_spill_count: 0
    .wavefront_size: 32
    .workgroup_processor_mode: 1
  - .args:
      - .offset:         0
        .size:           136
        .value_kind:     by_value
    .group_segment_fixed_size: 0
    .kernarg_segment_align: 8
    .kernarg_segment_size: 136
    .language:       OpenCL C
    .language_version:
      - 2
      - 0
    .max_flat_workgroup_size: 256
    .name:           _ZN7rocprim17ROCPRIM_400000_NS6detail17trampoline_kernelINS0_14default_configENS1_27scan_by_key_config_selectorIiyEEZZNS1_16scan_by_key_implILNS1_25lookback_scan_determinismE0ELb0ES3_N6thrust23THRUST_200600_302600_NS6detail15normal_iteratorINS9_10device_ptrIiEEEENSB_INSC_IyEEEESG_yNS9_4plusIvEENS9_8equal_toIvEEyEE10hipError_tPvRmT2_T3_T4_T5_mT6_T7_P12ihipStream_tbENKUlT_T0_E_clISt17integral_constantIbLb1EES10_IbLb0EEEEDaSW_SX_EUlSW_E_NS1_11comp_targetILNS1_3genE5ELNS1_11target_archE942ELNS1_3gpuE9ELNS1_3repE0EEENS1_30default_config_static_selectorELNS0_4arch9wavefront6targetE0EEEvT1_
    .private_segment_fixed_size: 0
    .sgpr_count:     0
    .sgpr_spill_count: 0
    .symbol:         _ZN7rocprim17ROCPRIM_400000_NS6detail17trampoline_kernelINS0_14default_configENS1_27scan_by_key_config_selectorIiyEEZZNS1_16scan_by_key_implILNS1_25lookback_scan_determinismE0ELb0ES3_N6thrust23THRUST_200600_302600_NS6detail15normal_iteratorINS9_10device_ptrIiEEEENSB_INSC_IyEEEESG_yNS9_4plusIvEENS9_8equal_toIvEEyEE10hipError_tPvRmT2_T3_T4_T5_mT6_T7_P12ihipStream_tbENKUlT_T0_E_clISt17integral_constantIbLb1EES10_IbLb0EEEEDaSW_SX_EUlSW_E_NS1_11comp_targetILNS1_3genE5ELNS1_11target_archE942ELNS1_3gpuE9ELNS1_3repE0EEENS1_30default_config_static_selectorELNS0_4arch9wavefront6targetE0EEEvT1_.kd
    .uniform_work_group_size: 1
    .uses_dynamic_stack: false
    .vgpr_count:     0
    .vgpr_spill_count: 0
    .wavefront_size: 32
    .workgroup_processor_mode: 1
  - .args:
      - .offset:         0
        .size:           136
        .value_kind:     by_value
    .group_segment_fixed_size: 0
    .kernarg_segment_align: 8
    .kernarg_segment_size: 136
    .language:       OpenCL C
    .language_version:
      - 2
      - 0
    .max_flat_workgroup_size: 64
    .name:           _ZN7rocprim17ROCPRIM_400000_NS6detail17trampoline_kernelINS0_14default_configENS1_27scan_by_key_config_selectorIiyEEZZNS1_16scan_by_key_implILNS1_25lookback_scan_determinismE0ELb0ES3_N6thrust23THRUST_200600_302600_NS6detail15normal_iteratorINS9_10device_ptrIiEEEENSB_INSC_IyEEEESG_yNS9_4plusIvEENS9_8equal_toIvEEyEE10hipError_tPvRmT2_T3_T4_T5_mT6_T7_P12ihipStream_tbENKUlT_T0_E_clISt17integral_constantIbLb1EES10_IbLb0EEEEDaSW_SX_EUlSW_E_NS1_11comp_targetILNS1_3genE4ELNS1_11target_archE910ELNS1_3gpuE8ELNS1_3repE0EEENS1_30default_config_static_selectorELNS0_4arch9wavefront6targetE0EEEvT1_
    .private_segment_fixed_size: 0
    .sgpr_count:     0
    .sgpr_spill_count: 0
    .symbol:         _ZN7rocprim17ROCPRIM_400000_NS6detail17trampoline_kernelINS0_14default_configENS1_27scan_by_key_config_selectorIiyEEZZNS1_16scan_by_key_implILNS1_25lookback_scan_determinismE0ELb0ES3_N6thrust23THRUST_200600_302600_NS6detail15normal_iteratorINS9_10device_ptrIiEEEENSB_INSC_IyEEEESG_yNS9_4plusIvEENS9_8equal_toIvEEyEE10hipError_tPvRmT2_T3_T4_T5_mT6_T7_P12ihipStream_tbENKUlT_T0_E_clISt17integral_constantIbLb1EES10_IbLb0EEEEDaSW_SX_EUlSW_E_NS1_11comp_targetILNS1_3genE4ELNS1_11target_archE910ELNS1_3gpuE8ELNS1_3repE0EEENS1_30default_config_static_selectorELNS0_4arch9wavefront6targetE0EEEvT1_.kd
    .uniform_work_group_size: 1
    .uses_dynamic_stack: false
    .vgpr_count:     0
    .vgpr_spill_count: 0
    .wavefront_size: 32
    .workgroup_processor_mode: 1
  - .args:
      - .offset:         0
        .size:           136
        .value_kind:     by_value
    .group_segment_fixed_size: 0
    .kernarg_segment_align: 8
    .kernarg_segment_size: 136
    .language:       OpenCL C
    .language_version:
      - 2
      - 0
    .max_flat_workgroup_size: 128
    .name:           _ZN7rocprim17ROCPRIM_400000_NS6detail17trampoline_kernelINS0_14default_configENS1_27scan_by_key_config_selectorIiyEEZZNS1_16scan_by_key_implILNS1_25lookback_scan_determinismE0ELb0ES3_N6thrust23THRUST_200600_302600_NS6detail15normal_iteratorINS9_10device_ptrIiEEEENSB_INSC_IyEEEESG_yNS9_4plusIvEENS9_8equal_toIvEEyEE10hipError_tPvRmT2_T3_T4_T5_mT6_T7_P12ihipStream_tbENKUlT_T0_E_clISt17integral_constantIbLb1EES10_IbLb0EEEEDaSW_SX_EUlSW_E_NS1_11comp_targetILNS1_3genE3ELNS1_11target_archE908ELNS1_3gpuE7ELNS1_3repE0EEENS1_30default_config_static_selectorELNS0_4arch9wavefront6targetE0EEEvT1_
    .private_segment_fixed_size: 0
    .sgpr_count:     0
    .sgpr_spill_count: 0
    .symbol:         _ZN7rocprim17ROCPRIM_400000_NS6detail17trampoline_kernelINS0_14default_configENS1_27scan_by_key_config_selectorIiyEEZZNS1_16scan_by_key_implILNS1_25lookback_scan_determinismE0ELb0ES3_N6thrust23THRUST_200600_302600_NS6detail15normal_iteratorINS9_10device_ptrIiEEEENSB_INSC_IyEEEESG_yNS9_4plusIvEENS9_8equal_toIvEEyEE10hipError_tPvRmT2_T3_T4_T5_mT6_T7_P12ihipStream_tbENKUlT_T0_E_clISt17integral_constantIbLb1EES10_IbLb0EEEEDaSW_SX_EUlSW_E_NS1_11comp_targetILNS1_3genE3ELNS1_11target_archE908ELNS1_3gpuE7ELNS1_3repE0EEENS1_30default_config_static_selectorELNS0_4arch9wavefront6targetE0EEEvT1_.kd
    .uniform_work_group_size: 1
    .uses_dynamic_stack: false
    .vgpr_count:     0
    .vgpr_spill_count: 0
    .wavefront_size: 32
    .workgroup_processor_mode: 1
  - .args:
      - .offset:         0
        .size:           136
        .value_kind:     by_value
    .group_segment_fixed_size: 0
    .kernarg_segment_align: 8
    .kernarg_segment_size: 136
    .language:       OpenCL C
    .language_version:
      - 2
      - 0
    .max_flat_workgroup_size: 64
    .name:           _ZN7rocprim17ROCPRIM_400000_NS6detail17trampoline_kernelINS0_14default_configENS1_27scan_by_key_config_selectorIiyEEZZNS1_16scan_by_key_implILNS1_25lookback_scan_determinismE0ELb0ES3_N6thrust23THRUST_200600_302600_NS6detail15normal_iteratorINS9_10device_ptrIiEEEENSB_INSC_IyEEEESG_yNS9_4plusIvEENS9_8equal_toIvEEyEE10hipError_tPvRmT2_T3_T4_T5_mT6_T7_P12ihipStream_tbENKUlT_T0_E_clISt17integral_constantIbLb1EES10_IbLb0EEEEDaSW_SX_EUlSW_E_NS1_11comp_targetILNS1_3genE2ELNS1_11target_archE906ELNS1_3gpuE6ELNS1_3repE0EEENS1_30default_config_static_selectorELNS0_4arch9wavefront6targetE0EEEvT1_
    .private_segment_fixed_size: 0
    .sgpr_count:     0
    .sgpr_spill_count: 0
    .symbol:         _ZN7rocprim17ROCPRIM_400000_NS6detail17trampoline_kernelINS0_14default_configENS1_27scan_by_key_config_selectorIiyEEZZNS1_16scan_by_key_implILNS1_25lookback_scan_determinismE0ELb0ES3_N6thrust23THRUST_200600_302600_NS6detail15normal_iteratorINS9_10device_ptrIiEEEENSB_INSC_IyEEEESG_yNS9_4plusIvEENS9_8equal_toIvEEyEE10hipError_tPvRmT2_T3_T4_T5_mT6_T7_P12ihipStream_tbENKUlT_T0_E_clISt17integral_constantIbLb1EES10_IbLb0EEEEDaSW_SX_EUlSW_E_NS1_11comp_targetILNS1_3genE2ELNS1_11target_archE906ELNS1_3gpuE6ELNS1_3repE0EEENS1_30default_config_static_selectorELNS0_4arch9wavefront6targetE0EEEvT1_.kd
    .uniform_work_group_size: 1
    .uses_dynamic_stack: false
    .vgpr_count:     0
    .vgpr_spill_count: 0
    .wavefront_size: 32
    .workgroup_processor_mode: 1
  - .args:
      - .offset:         0
        .size:           136
        .value_kind:     by_value
    .group_segment_fixed_size: 0
    .kernarg_segment_align: 8
    .kernarg_segment_size: 136
    .language:       OpenCL C
    .language_version:
      - 2
      - 0
    .max_flat_workgroup_size: 256
    .name:           _ZN7rocprim17ROCPRIM_400000_NS6detail17trampoline_kernelINS0_14default_configENS1_27scan_by_key_config_selectorIiyEEZZNS1_16scan_by_key_implILNS1_25lookback_scan_determinismE0ELb0ES3_N6thrust23THRUST_200600_302600_NS6detail15normal_iteratorINS9_10device_ptrIiEEEENSB_INSC_IyEEEESG_yNS9_4plusIvEENS9_8equal_toIvEEyEE10hipError_tPvRmT2_T3_T4_T5_mT6_T7_P12ihipStream_tbENKUlT_T0_E_clISt17integral_constantIbLb1EES10_IbLb0EEEEDaSW_SX_EUlSW_E_NS1_11comp_targetILNS1_3genE10ELNS1_11target_archE1200ELNS1_3gpuE4ELNS1_3repE0EEENS1_30default_config_static_selectorELNS0_4arch9wavefront6targetE0EEEvT1_
    .private_segment_fixed_size: 0
    .sgpr_count:     0
    .sgpr_spill_count: 0
    .symbol:         _ZN7rocprim17ROCPRIM_400000_NS6detail17trampoline_kernelINS0_14default_configENS1_27scan_by_key_config_selectorIiyEEZZNS1_16scan_by_key_implILNS1_25lookback_scan_determinismE0ELb0ES3_N6thrust23THRUST_200600_302600_NS6detail15normal_iteratorINS9_10device_ptrIiEEEENSB_INSC_IyEEEESG_yNS9_4plusIvEENS9_8equal_toIvEEyEE10hipError_tPvRmT2_T3_T4_T5_mT6_T7_P12ihipStream_tbENKUlT_T0_E_clISt17integral_constantIbLb1EES10_IbLb0EEEEDaSW_SX_EUlSW_E_NS1_11comp_targetILNS1_3genE10ELNS1_11target_archE1200ELNS1_3gpuE4ELNS1_3repE0EEENS1_30default_config_static_selectorELNS0_4arch9wavefront6targetE0EEEvT1_.kd
    .uniform_work_group_size: 1
    .uses_dynamic_stack: false
    .vgpr_count:     0
    .vgpr_spill_count: 0
    .wavefront_size: 32
    .workgroup_processor_mode: 1
  - .args:
      - .offset:         0
        .size:           136
        .value_kind:     by_value
    .group_segment_fixed_size: 0
    .kernarg_segment_align: 8
    .kernarg_segment_size: 136
    .language:       OpenCL C
    .language_version:
      - 2
      - 0
    .max_flat_workgroup_size: 256
    .name:           _ZN7rocprim17ROCPRIM_400000_NS6detail17trampoline_kernelINS0_14default_configENS1_27scan_by_key_config_selectorIiyEEZZNS1_16scan_by_key_implILNS1_25lookback_scan_determinismE0ELb0ES3_N6thrust23THRUST_200600_302600_NS6detail15normal_iteratorINS9_10device_ptrIiEEEENSB_INSC_IyEEEESG_yNS9_4plusIvEENS9_8equal_toIvEEyEE10hipError_tPvRmT2_T3_T4_T5_mT6_T7_P12ihipStream_tbENKUlT_T0_E_clISt17integral_constantIbLb1EES10_IbLb0EEEEDaSW_SX_EUlSW_E_NS1_11comp_targetILNS1_3genE9ELNS1_11target_archE1100ELNS1_3gpuE3ELNS1_3repE0EEENS1_30default_config_static_selectorELNS0_4arch9wavefront6targetE0EEEvT1_
    .private_segment_fixed_size: 0
    .sgpr_count:     0
    .sgpr_spill_count: 0
    .symbol:         _ZN7rocprim17ROCPRIM_400000_NS6detail17trampoline_kernelINS0_14default_configENS1_27scan_by_key_config_selectorIiyEEZZNS1_16scan_by_key_implILNS1_25lookback_scan_determinismE0ELb0ES3_N6thrust23THRUST_200600_302600_NS6detail15normal_iteratorINS9_10device_ptrIiEEEENSB_INSC_IyEEEESG_yNS9_4plusIvEENS9_8equal_toIvEEyEE10hipError_tPvRmT2_T3_T4_T5_mT6_T7_P12ihipStream_tbENKUlT_T0_E_clISt17integral_constantIbLb1EES10_IbLb0EEEEDaSW_SX_EUlSW_E_NS1_11comp_targetILNS1_3genE9ELNS1_11target_archE1100ELNS1_3gpuE3ELNS1_3repE0EEENS1_30default_config_static_selectorELNS0_4arch9wavefront6targetE0EEEvT1_.kd
    .uniform_work_group_size: 1
    .uses_dynamic_stack: false
    .vgpr_count:     0
    .vgpr_spill_count: 0
    .wavefront_size: 32
    .workgroup_processor_mode: 1
  - .args:
      - .offset:         0
        .size:           136
        .value_kind:     by_value
    .group_segment_fixed_size: 0
    .kernarg_segment_align: 8
    .kernarg_segment_size: 136
    .language:       OpenCL C
    .language_version:
      - 2
      - 0
    .max_flat_workgroup_size: 256
    .name:           _ZN7rocprim17ROCPRIM_400000_NS6detail17trampoline_kernelINS0_14default_configENS1_27scan_by_key_config_selectorIiyEEZZNS1_16scan_by_key_implILNS1_25lookback_scan_determinismE0ELb0ES3_N6thrust23THRUST_200600_302600_NS6detail15normal_iteratorINS9_10device_ptrIiEEEENSB_INSC_IyEEEESG_yNS9_4plusIvEENS9_8equal_toIvEEyEE10hipError_tPvRmT2_T3_T4_T5_mT6_T7_P12ihipStream_tbENKUlT_T0_E_clISt17integral_constantIbLb1EES10_IbLb0EEEEDaSW_SX_EUlSW_E_NS1_11comp_targetILNS1_3genE8ELNS1_11target_archE1030ELNS1_3gpuE2ELNS1_3repE0EEENS1_30default_config_static_selectorELNS0_4arch9wavefront6targetE0EEEvT1_
    .private_segment_fixed_size: 0
    .sgpr_count:     0
    .sgpr_spill_count: 0
    .symbol:         _ZN7rocprim17ROCPRIM_400000_NS6detail17trampoline_kernelINS0_14default_configENS1_27scan_by_key_config_selectorIiyEEZZNS1_16scan_by_key_implILNS1_25lookback_scan_determinismE0ELb0ES3_N6thrust23THRUST_200600_302600_NS6detail15normal_iteratorINS9_10device_ptrIiEEEENSB_INSC_IyEEEESG_yNS9_4plusIvEENS9_8equal_toIvEEyEE10hipError_tPvRmT2_T3_T4_T5_mT6_T7_P12ihipStream_tbENKUlT_T0_E_clISt17integral_constantIbLb1EES10_IbLb0EEEEDaSW_SX_EUlSW_E_NS1_11comp_targetILNS1_3genE8ELNS1_11target_archE1030ELNS1_3gpuE2ELNS1_3repE0EEENS1_30default_config_static_selectorELNS0_4arch9wavefront6targetE0EEEvT1_.kd
    .uniform_work_group_size: 1
    .uses_dynamic_stack: false
    .vgpr_count:     0
    .vgpr_spill_count: 0
    .wavefront_size: 32
    .workgroup_processor_mode: 1
  - .args:
      - .offset:         0
        .size:           24
        .value_kind:     by_value
      - .offset:         24
        .size:           4
        .value_kind:     by_value
      - .offset:         28
        .size:           4
        .value_kind:     by_value
      - .address_space:  global
        .offset:         32
        .size:           8
        .value_kind:     global_buffer
      - .address_space:  global
        .offset:         40
        .size:           8
        .value_kind:     global_buffer
      - .actual_access:  write_only
        .address_space:  global
        .offset:         48
        .size:           8
        .value_kind:     global_buffer
      - .offset:         56
        .size:           8
        .value_kind:     by_value
      - .offset:         64
        .size:           4
        .value_kind:     by_value
      - .address_space:  global
        .offset:         72
        .size:           8
        .value_kind:     global_buffer
      - .offset:         80
        .size:           4
        .value_kind:     hidden_block_count_x
      - .offset:         84
        .size:           4
        .value_kind:     hidden_block_count_y
      - .offset:         88
        .size:           4
        .value_kind:     hidden_block_count_z
      - .offset:         92
        .size:           2
        .value_kind:     hidden_group_size_x
      - .offset:         94
        .size:           2
        .value_kind:     hidden_group_size_y
      - .offset:         96
        .size:           2
        .value_kind:     hidden_group_size_z
      - .offset:         98
        .size:           2
        .value_kind:     hidden_remainder_x
      - .offset:         100
        .size:           2
        .value_kind:     hidden_remainder_y
      - .offset:         102
        .size:           2
        .value_kind:     hidden_remainder_z
      - .offset:         120
        .size:           8
        .value_kind:     hidden_global_offset_x
      - .offset:         128
        .size:           8
        .value_kind:     hidden_global_offset_y
      - .offset:         136
        .size:           8
        .value_kind:     hidden_global_offset_z
      - .offset:         144
        .size:           2
        .value_kind:     hidden_grid_dims
    .group_segment_fixed_size: 0
    .kernarg_segment_align: 8
    .kernarg_segment_size: 336
    .language:       OpenCL C
    .language_version:
      - 2
      - 0
    .max_flat_workgroup_size: 256
    .name:           _ZN7rocprim17ROCPRIM_400000_NS6detail30init_device_scan_by_key_kernelINS1_19lookback_scan_stateINS0_5tupleIJybEEELb0ELb0EEEN6thrust23THRUST_200600_302600_NS6detail15normal_iteratorINS8_10device_ptrIiEEEEjNS1_16block_id_wrapperIjLb1EEEEEvT_jjPNSG_10value_typeET0_PNSt15iterator_traitsISJ_E10value_typeEmT1_T2_
    .private_segment_fixed_size: 0
    .sgpr_count:     24
    .sgpr_spill_count: 0
    .symbol:         _ZN7rocprim17ROCPRIM_400000_NS6detail30init_device_scan_by_key_kernelINS1_19lookback_scan_stateINS0_5tupleIJybEEELb0ELb0EEEN6thrust23THRUST_200600_302600_NS6detail15normal_iteratorINS8_10device_ptrIiEEEEjNS1_16block_id_wrapperIjLb1EEEEEvT_jjPNSG_10value_typeET0_PNSt15iterator_traitsISJ_E10value_typeEmT1_T2_.kd
    .uniform_work_group_size: 1
    .uses_dynamic_stack: false
    .vgpr_count:     7
    .vgpr_spill_count: 0
    .wavefront_size: 32
    .workgroup_processor_mode: 1
  - .args:
      - .offset:         0
        .size:           24
        .value_kind:     by_value
      - .offset:         24
        .size:           4
        .value_kind:     by_value
      - .offset:         28
        .size:           4
        .value_kind:     by_value
      - .address_space:  global
        .offset:         32
        .size:           8
        .value_kind:     global_buffer
      - .address_space:  global
        .offset:         40
        .size:           8
        .value_kind:     global_buffer
      - .offset:         48
        .size:           4
        .value_kind:     hidden_block_count_x
      - .offset:         52
        .size:           4
        .value_kind:     hidden_block_count_y
      - .offset:         56
        .size:           4
        .value_kind:     hidden_block_count_z
      - .offset:         60
        .size:           2
        .value_kind:     hidden_group_size_x
      - .offset:         62
        .size:           2
        .value_kind:     hidden_group_size_y
      - .offset:         64
        .size:           2
        .value_kind:     hidden_group_size_z
      - .offset:         66
        .size:           2
        .value_kind:     hidden_remainder_x
      - .offset:         68
        .size:           2
        .value_kind:     hidden_remainder_y
      - .offset:         70
        .size:           2
        .value_kind:     hidden_remainder_z
      - .offset:         88
        .size:           8
        .value_kind:     hidden_global_offset_x
      - .offset:         96
        .size:           8
        .value_kind:     hidden_global_offset_y
      - .offset:         104
        .size:           8
        .value_kind:     hidden_global_offset_z
      - .offset:         112
        .size:           2
        .value_kind:     hidden_grid_dims
    .group_segment_fixed_size: 0
    .kernarg_segment_align: 8
    .kernarg_segment_size: 304
    .language:       OpenCL C
    .language_version:
      - 2
      - 0
    .max_flat_workgroup_size: 256
    .name:           _ZN7rocprim17ROCPRIM_400000_NS6detail30init_device_scan_by_key_kernelINS1_19lookback_scan_stateINS0_5tupleIJybEEELb0ELb0EEENS1_16block_id_wrapperIjLb1EEEEEvT_jjPNS9_10value_typeET0_
    .private_segment_fixed_size: 0
    .sgpr_count:     20
    .sgpr_spill_count: 0
    .symbol:         _ZN7rocprim17ROCPRIM_400000_NS6detail30init_device_scan_by_key_kernelINS1_19lookback_scan_stateINS0_5tupleIJybEEELb0ELb0EEENS1_16block_id_wrapperIjLb1EEEEEvT_jjPNS9_10value_typeET0_.kd
    .uniform_work_group_size: 1
    .uses_dynamic_stack: false
    .vgpr_count:     5
    .vgpr_spill_count: 0
    .wavefront_size: 32
    .workgroup_processor_mode: 1
  - .args:
      - .offset:         0
        .size:           136
        .value_kind:     by_value
    .group_segment_fixed_size: 0
    .kernarg_segment_align: 8
    .kernarg_segment_size: 136
    .language:       OpenCL C
    .language_version:
      - 2
      - 0
    .max_flat_workgroup_size: 128
    .name:           _ZN7rocprim17ROCPRIM_400000_NS6detail17trampoline_kernelINS0_14default_configENS1_27scan_by_key_config_selectorIiyEEZZNS1_16scan_by_key_implILNS1_25lookback_scan_determinismE0ELb0ES3_N6thrust23THRUST_200600_302600_NS6detail15normal_iteratorINS9_10device_ptrIiEEEENSB_INSC_IyEEEESG_yNS9_4plusIvEENS9_8equal_toIvEEyEE10hipError_tPvRmT2_T3_T4_T5_mT6_T7_P12ihipStream_tbENKUlT_T0_E_clISt17integral_constantIbLb0EES10_IbLb1EEEEDaSW_SX_EUlSW_E_NS1_11comp_targetILNS1_3genE0ELNS1_11target_archE4294967295ELNS1_3gpuE0ELNS1_3repE0EEENS1_30default_config_static_selectorELNS0_4arch9wavefront6targetE0EEEvT1_
    .private_segment_fixed_size: 0
    .sgpr_count:     0
    .sgpr_spill_count: 0
    .symbol:         _ZN7rocprim17ROCPRIM_400000_NS6detail17trampoline_kernelINS0_14default_configENS1_27scan_by_key_config_selectorIiyEEZZNS1_16scan_by_key_implILNS1_25lookback_scan_determinismE0ELb0ES3_N6thrust23THRUST_200600_302600_NS6detail15normal_iteratorINS9_10device_ptrIiEEEENSB_INSC_IyEEEESG_yNS9_4plusIvEENS9_8equal_toIvEEyEE10hipError_tPvRmT2_T3_T4_T5_mT6_T7_P12ihipStream_tbENKUlT_T0_E_clISt17integral_constantIbLb0EES10_IbLb1EEEEDaSW_SX_EUlSW_E_NS1_11comp_targetILNS1_3genE0ELNS1_11target_archE4294967295ELNS1_3gpuE0ELNS1_3repE0EEENS1_30default_config_static_selectorELNS0_4arch9wavefront6targetE0EEEvT1_.kd
    .uniform_work_group_size: 1
    .uses_dynamic_stack: false
    .vgpr_count:     0
    .vgpr_spill_count: 0
    .wavefront_size: 32
    .workgroup_processor_mode: 1
  - .args:
      - .offset:         0
        .size:           136
        .value_kind:     by_value
    .group_segment_fixed_size: 0
    .kernarg_segment_align: 8
    .kernarg_segment_size: 136
    .language:       OpenCL C
    .language_version:
      - 2
      - 0
    .max_flat_workgroup_size: 256
    .name:           _ZN7rocprim17ROCPRIM_400000_NS6detail17trampoline_kernelINS0_14default_configENS1_27scan_by_key_config_selectorIiyEEZZNS1_16scan_by_key_implILNS1_25lookback_scan_determinismE0ELb0ES3_N6thrust23THRUST_200600_302600_NS6detail15normal_iteratorINS9_10device_ptrIiEEEENSB_INSC_IyEEEESG_yNS9_4plusIvEENS9_8equal_toIvEEyEE10hipError_tPvRmT2_T3_T4_T5_mT6_T7_P12ihipStream_tbENKUlT_T0_E_clISt17integral_constantIbLb0EES10_IbLb1EEEEDaSW_SX_EUlSW_E_NS1_11comp_targetILNS1_3genE10ELNS1_11target_archE1201ELNS1_3gpuE5ELNS1_3repE0EEENS1_30default_config_static_selectorELNS0_4arch9wavefront6targetE0EEEvT1_
    .private_segment_fixed_size: 0
    .sgpr_count:     0
    .sgpr_spill_count: 0
    .symbol:         _ZN7rocprim17ROCPRIM_400000_NS6detail17trampoline_kernelINS0_14default_configENS1_27scan_by_key_config_selectorIiyEEZZNS1_16scan_by_key_implILNS1_25lookback_scan_determinismE0ELb0ES3_N6thrust23THRUST_200600_302600_NS6detail15normal_iteratorINS9_10device_ptrIiEEEENSB_INSC_IyEEEESG_yNS9_4plusIvEENS9_8equal_toIvEEyEE10hipError_tPvRmT2_T3_T4_T5_mT6_T7_P12ihipStream_tbENKUlT_T0_E_clISt17integral_constantIbLb0EES10_IbLb1EEEEDaSW_SX_EUlSW_E_NS1_11comp_targetILNS1_3genE10ELNS1_11target_archE1201ELNS1_3gpuE5ELNS1_3repE0EEENS1_30default_config_static_selectorELNS0_4arch9wavefront6targetE0EEEvT1_.kd
    .uniform_work_group_size: 1
    .uses_dynamic_stack: false
    .vgpr_count:     0
    .vgpr_spill_count: 0
    .wavefront_size: 32
    .workgroup_processor_mode: 1
  - .args:
      - .offset:         0
        .size:           136
        .value_kind:     by_value
    .group_segment_fixed_size: 0
    .kernarg_segment_align: 8
    .kernarg_segment_size: 136
    .language:       OpenCL C
    .language_version:
      - 2
      - 0
    .max_flat_workgroup_size: 256
    .name:           _ZN7rocprim17ROCPRIM_400000_NS6detail17trampoline_kernelINS0_14default_configENS1_27scan_by_key_config_selectorIiyEEZZNS1_16scan_by_key_implILNS1_25lookback_scan_determinismE0ELb0ES3_N6thrust23THRUST_200600_302600_NS6detail15normal_iteratorINS9_10device_ptrIiEEEENSB_INSC_IyEEEESG_yNS9_4plusIvEENS9_8equal_toIvEEyEE10hipError_tPvRmT2_T3_T4_T5_mT6_T7_P12ihipStream_tbENKUlT_T0_E_clISt17integral_constantIbLb0EES10_IbLb1EEEEDaSW_SX_EUlSW_E_NS1_11comp_targetILNS1_3genE5ELNS1_11target_archE942ELNS1_3gpuE9ELNS1_3repE0EEENS1_30default_config_static_selectorELNS0_4arch9wavefront6targetE0EEEvT1_
    .private_segment_fixed_size: 0
    .sgpr_count:     0
    .sgpr_spill_count: 0
    .symbol:         _ZN7rocprim17ROCPRIM_400000_NS6detail17trampoline_kernelINS0_14default_configENS1_27scan_by_key_config_selectorIiyEEZZNS1_16scan_by_key_implILNS1_25lookback_scan_determinismE0ELb0ES3_N6thrust23THRUST_200600_302600_NS6detail15normal_iteratorINS9_10device_ptrIiEEEENSB_INSC_IyEEEESG_yNS9_4plusIvEENS9_8equal_toIvEEyEE10hipError_tPvRmT2_T3_T4_T5_mT6_T7_P12ihipStream_tbENKUlT_T0_E_clISt17integral_constantIbLb0EES10_IbLb1EEEEDaSW_SX_EUlSW_E_NS1_11comp_targetILNS1_3genE5ELNS1_11target_archE942ELNS1_3gpuE9ELNS1_3repE0EEENS1_30default_config_static_selectorELNS0_4arch9wavefront6targetE0EEEvT1_.kd
    .uniform_work_group_size: 1
    .uses_dynamic_stack: false
    .vgpr_count:     0
    .vgpr_spill_count: 0
    .wavefront_size: 32
    .workgroup_processor_mode: 1
  - .args:
      - .offset:         0
        .size:           136
        .value_kind:     by_value
    .group_segment_fixed_size: 0
    .kernarg_segment_align: 8
    .kernarg_segment_size: 136
    .language:       OpenCL C
    .language_version:
      - 2
      - 0
    .max_flat_workgroup_size: 64
    .name:           _ZN7rocprim17ROCPRIM_400000_NS6detail17trampoline_kernelINS0_14default_configENS1_27scan_by_key_config_selectorIiyEEZZNS1_16scan_by_key_implILNS1_25lookback_scan_determinismE0ELb0ES3_N6thrust23THRUST_200600_302600_NS6detail15normal_iteratorINS9_10device_ptrIiEEEENSB_INSC_IyEEEESG_yNS9_4plusIvEENS9_8equal_toIvEEyEE10hipError_tPvRmT2_T3_T4_T5_mT6_T7_P12ihipStream_tbENKUlT_T0_E_clISt17integral_constantIbLb0EES10_IbLb1EEEEDaSW_SX_EUlSW_E_NS1_11comp_targetILNS1_3genE4ELNS1_11target_archE910ELNS1_3gpuE8ELNS1_3repE0EEENS1_30default_config_static_selectorELNS0_4arch9wavefront6targetE0EEEvT1_
    .private_segment_fixed_size: 0
    .sgpr_count:     0
    .sgpr_spill_count: 0
    .symbol:         _ZN7rocprim17ROCPRIM_400000_NS6detail17trampoline_kernelINS0_14default_configENS1_27scan_by_key_config_selectorIiyEEZZNS1_16scan_by_key_implILNS1_25lookback_scan_determinismE0ELb0ES3_N6thrust23THRUST_200600_302600_NS6detail15normal_iteratorINS9_10device_ptrIiEEEENSB_INSC_IyEEEESG_yNS9_4plusIvEENS9_8equal_toIvEEyEE10hipError_tPvRmT2_T3_T4_T5_mT6_T7_P12ihipStream_tbENKUlT_T0_E_clISt17integral_constantIbLb0EES10_IbLb1EEEEDaSW_SX_EUlSW_E_NS1_11comp_targetILNS1_3genE4ELNS1_11target_archE910ELNS1_3gpuE8ELNS1_3repE0EEENS1_30default_config_static_selectorELNS0_4arch9wavefront6targetE0EEEvT1_.kd
    .uniform_work_group_size: 1
    .uses_dynamic_stack: false
    .vgpr_count:     0
    .vgpr_spill_count: 0
    .wavefront_size: 32
    .workgroup_processor_mode: 1
  - .args:
      - .offset:         0
        .size:           136
        .value_kind:     by_value
    .group_segment_fixed_size: 0
    .kernarg_segment_align: 8
    .kernarg_segment_size: 136
    .language:       OpenCL C
    .language_version:
      - 2
      - 0
    .max_flat_workgroup_size: 128
    .name:           _ZN7rocprim17ROCPRIM_400000_NS6detail17trampoline_kernelINS0_14default_configENS1_27scan_by_key_config_selectorIiyEEZZNS1_16scan_by_key_implILNS1_25lookback_scan_determinismE0ELb0ES3_N6thrust23THRUST_200600_302600_NS6detail15normal_iteratorINS9_10device_ptrIiEEEENSB_INSC_IyEEEESG_yNS9_4plusIvEENS9_8equal_toIvEEyEE10hipError_tPvRmT2_T3_T4_T5_mT6_T7_P12ihipStream_tbENKUlT_T0_E_clISt17integral_constantIbLb0EES10_IbLb1EEEEDaSW_SX_EUlSW_E_NS1_11comp_targetILNS1_3genE3ELNS1_11target_archE908ELNS1_3gpuE7ELNS1_3repE0EEENS1_30default_config_static_selectorELNS0_4arch9wavefront6targetE0EEEvT1_
    .private_segment_fixed_size: 0
    .sgpr_count:     0
    .sgpr_spill_count: 0
    .symbol:         _ZN7rocprim17ROCPRIM_400000_NS6detail17trampoline_kernelINS0_14default_configENS1_27scan_by_key_config_selectorIiyEEZZNS1_16scan_by_key_implILNS1_25lookback_scan_determinismE0ELb0ES3_N6thrust23THRUST_200600_302600_NS6detail15normal_iteratorINS9_10device_ptrIiEEEENSB_INSC_IyEEEESG_yNS9_4plusIvEENS9_8equal_toIvEEyEE10hipError_tPvRmT2_T3_T4_T5_mT6_T7_P12ihipStream_tbENKUlT_T0_E_clISt17integral_constantIbLb0EES10_IbLb1EEEEDaSW_SX_EUlSW_E_NS1_11comp_targetILNS1_3genE3ELNS1_11target_archE908ELNS1_3gpuE7ELNS1_3repE0EEENS1_30default_config_static_selectorELNS0_4arch9wavefront6targetE0EEEvT1_.kd
    .uniform_work_group_size: 1
    .uses_dynamic_stack: false
    .vgpr_count:     0
    .vgpr_spill_count: 0
    .wavefront_size: 32
    .workgroup_processor_mode: 1
  - .args:
      - .offset:         0
        .size:           136
        .value_kind:     by_value
    .group_segment_fixed_size: 0
    .kernarg_segment_align: 8
    .kernarg_segment_size: 136
    .language:       OpenCL C
    .language_version:
      - 2
      - 0
    .max_flat_workgroup_size: 64
    .name:           _ZN7rocprim17ROCPRIM_400000_NS6detail17trampoline_kernelINS0_14default_configENS1_27scan_by_key_config_selectorIiyEEZZNS1_16scan_by_key_implILNS1_25lookback_scan_determinismE0ELb0ES3_N6thrust23THRUST_200600_302600_NS6detail15normal_iteratorINS9_10device_ptrIiEEEENSB_INSC_IyEEEESG_yNS9_4plusIvEENS9_8equal_toIvEEyEE10hipError_tPvRmT2_T3_T4_T5_mT6_T7_P12ihipStream_tbENKUlT_T0_E_clISt17integral_constantIbLb0EES10_IbLb1EEEEDaSW_SX_EUlSW_E_NS1_11comp_targetILNS1_3genE2ELNS1_11target_archE906ELNS1_3gpuE6ELNS1_3repE0EEENS1_30default_config_static_selectorELNS0_4arch9wavefront6targetE0EEEvT1_
    .private_segment_fixed_size: 0
    .sgpr_count:     0
    .sgpr_spill_count: 0
    .symbol:         _ZN7rocprim17ROCPRIM_400000_NS6detail17trampoline_kernelINS0_14default_configENS1_27scan_by_key_config_selectorIiyEEZZNS1_16scan_by_key_implILNS1_25lookback_scan_determinismE0ELb0ES3_N6thrust23THRUST_200600_302600_NS6detail15normal_iteratorINS9_10device_ptrIiEEEENSB_INSC_IyEEEESG_yNS9_4plusIvEENS9_8equal_toIvEEyEE10hipError_tPvRmT2_T3_T4_T5_mT6_T7_P12ihipStream_tbENKUlT_T0_E_clISt17integral_constantIbLb0EES10_IbLb1EEEEDaSW_SX_EUlSW_E_NS1_11comp_targetILNS1_3genE2ELNS1_11target_archE906ELNS1_3gpuE6ELNS1_3repE0EEENS1_30default_config_static_selectorELNS0_4arch9wavefront6targetE0EEEvT1_.kd
    .uniform_work_group_size: 1
    .uses_dynamic_stack: false
    .vgpr_count:     0
    .vgpr_spill_count: 0
    .wavefront_size: 32
    .workgroup_processor_mode: 1
  - .args:
      - .offset:         0
        .size:           136
        .value_kind:     by_value
    .group_segment_fixed_size: 0
    .kernarg_segment_align: 8
    .kernarg_segment_size: 136
    .language:       OpenCL C
    .language_version:
      - 2
      - 0
    .max_flat_workgroup_size: 256
    .name:           _ZN7rocprim17ROCPRIM_400000_NS6detail17trampoline_kernelINS0_14default_configENS1_27scan_by_key_config_selectorIiyEEZZNS1_16scan_by_key_implILNS1_25lookback_scan_determinismE0ELb0ES3_N6thrust23THRUST_200600_302600_NS6detail15normal_iteratorINS9_10device_ptrIiEEEENSB_INSC_IyEEEESG_yNS9_4plusIvEENS9_8equal_toIvEEyEE10hipError_tPvRmT2_T3_T4_T5_mT6_T7_P12ihipStream_tbENKUlT_T0_E_clISt17integral_constantIbLb0EES10_IbLb1EEEEDaSW_SX_EUlSW_E_NS1_11comp_targetILNS1_3genE10ELNS1_11target_archE1200ELNS1_3gpuE4ELNS1_3repE0EEENS1_30default_config_static_selectorELNS0_4arch9wavefront6targetE0EEEvT1_
    .private_segment_fixed_size: 0
    .sgpr_count:     0
    .sgpr_spill_count: 0
    .symbol:         _ZN7rocprim17ROCPRIM_400000_NS6detail17trampoline_kernelINS0_14default_configENS1_27scan_by_key_config_selectorIiyEEZZNS1_16scan_by_key_implILNS1_25lookback_scan_determinismE0ELb0ES3_N6thrust23THRUST_200600_302600_NS6detail15normal_iteratorINS9_10device_ptrIiEEEENSB_INSC_IyEEEESG_yNS9_4plusIvEENS9_8equal_toIvEEyEE10hipError_tPvRmT2_T3_T4_T5_mT6_T7_P12ihipStream_tbENKUlT_T0_E_clISt17integral_constantIbLb0EES10_IbLb1EEEEDaSW_SX_EUlSW_E_NS1_11comp_targetILNS1_3genE10ELNS1_11target_archE1200ELNS1_3gpuE4ELNS1_3repE0EEENS1_30default_config_static_selectorELNS0_4arch9wavefront6targetE0EEEvT1_.kd
    .uniform_work_group_size: 1
    .uses_dynamic_stack: false
    .vgpr_count:     0
    .vgpr_spill_count: 0
    .wavefront_size: 32
    .workgroup_processor_mode: 1
  - .args:
      - .offset:         0
        .size:           136
        .value_kind:     by_value
    .group_segment_fixed_size: 0
    .kernarg_segment_align: 8
    .kernarg_segment_size: 136
    .language:       OpenCL C
    .language_version:
      - 2
      - 0
    .max_flat_workgroup_size: 256
    .name:           _ZN7rocprim17ROCPRIM_400000_NS6detail17trampoline_kernelINS0_14default_configENS1_27scan_by_key_config_selectorIiyEEZZNS1_16scan_by_key_implILNS1_25lookback_scan_determinismE0ELb0ES3_N6thrust23THRUST_200600_302600_NS6detail15normal_iteratorINS9_10device_ptrIiEEEENSB_INSC_IyEEEESG_yNS9_4plusIvEENS9_8equal_toIvEEyEE10hipError_tPvRmT2_T3_T4_T5_mT6_T7_P12ihipStream_tbENKUlT_T0_E_clISt17integral_constantIbLb0EES10_IbLb1EEEEDaSW_SX_EUlSW_E_NS1_11comp_targetILNS1_3genE9ELNS1_11target_archE1100ELNS1_3gpuE3ELNS1_3repE0EEENS1_30default_config_static_selectorELNS0_4arch9wavefront6targetE0EEEvT1_
    .private_segment_fixed_size: 0
    .sgpr_count:     0
    .sgpr_spill_count: 0
    .symbol:         _ZN7rocprim17ROCPRIM_400000_NS6detail17trampoline_kernelINS0_14default_configENS1_27scan_by_key_config_selectorIiyEEZZNS1_16scan_by_key_implILNS1_25lookback_scan_determinismE0ELb0ES3_N6thrust23THRUST_200600_302600_NS6detail15normal_iteratorINS9_10device_ptrIiEEEENSB_INSC_IyEEEESG_yNS9_4plusIvEENS9_8equal_toIvEEyEE10hipError_tPvRmT2_T3_T4_T5_mT6_T7_P12ihipStream_tbENKUlT_T0_E_clISt17integral_constantIbLb0EES10_IbLb1EEEEDaSW_SX_EUlSW_E_NS1_11comp_targetILNS1_3genE9ELNS1_11target_archE1100ELNS1_3gpuE3ELNS1_3repE0EEENS1_30default_config_static_selectorELNS0_4arch9wavefront6targetE0EEEvT1_.kd
    .uniform_work_group_size: 1
    .uses_dynamic_stack: false
    .vgpr_count:     0
    .vgpr_spill_count: 0
    .wavefront_size: 32
    .workgroup_processor_mode: 1
  - .args:
      - .offset:         0
        .size:           136
        .value_kind:     by_value
    .group_segment_fixed_size: 6144
    .kernarg_segment_align: 8
    .kernarg_segment_size: 136
    .language:       OpenCL C
    .language_version:
      - 2
      - 0
    .max_flat_workgroup_size: 256
    .name:           _ZN7rocprim17ROCPRIM_400000_NS6detail17trampoline_kernelINS0_14default_configENS1_27scan_by_key_config_selectorIiyEEZZNS1_16scan_by_key_implILNS1_25lookback_scan_determinismE0ELb0ES3_N6thrust23THRUST_200600_302600_NS6detail15normal_iteratorINS9_10device_ptrIiEEEENSB_INSC_IyEEEESG_yNS9_4plusIvEENS9_8equal_toIvEEyEE10hipError_tPvRmT2_T3_T4_T5_mT6_T7_P12ihipStream_tbENKUlT_T0_E_clISt17integral_constantIbLb0EES10_IbLb1EEEEDaSW_SX_EUlSW_E_NS1_11comp_targetILNS1_3genE8ELNS1_11target_archE1030ELNS1_3gpuE2ELNS1_3repE0EEENS1_30default_config_static_selectorELNS0_4arch9wavefront6targetE0EEEvT1_
    .private_segment_fixed_size: 0
    .sgpr_count:     41
    .sgpr_spill_count: 0
    .symbol:         _ZN7rocprim17ROCPRIM_400000_NS6detail17trampoline_kernelINS0_14default_configENS1_27scan_by_key_config_selectorIiyEEZZNS1_16scan_by_key_implILNS1_25lookback_scan_determinismE0ELb0ES3_N6thrust23THRUST_200600_302600_NS6detail15normal_iteratorINS9_10device_ptrIiEEEENSB_INSC_IyEEEESG_yNS9_4plusIvEENS9_8equal_toIvEEyEE10hipError_tPvRmT2_T3_T4_T5_mT6_T7_P12ihipStream_tbENKUlT_T0_E_clISt17integral_constantIbLb0EES10_IbLb1EEEEDaSW_SX_EUlSW_E_NS1_11comp_targetILNS1_3genE8ELNS1_11target_archE1030ELNS1_3gpuE2ELNS1_3repE0EEENS1_30default_config_static_selectorELNS0_4arch9wavefront6targetE0EEEvT1_.kd
    .uniform_work_group_size: 1
    .uses_dynamic_stack: false
    .vgpr_count:     48
    .vgpr_spill_count: 0
    .wavefront_size: 32
    .workgroup_processor_mode: 1
  - .args:
      - .offset:         0
        .size:           16
        .value_kind:     by_value
      - .offset:         16
        .size:           8
        .value_kind:     by_value
      - .offset:         24
        .size:           8
        .value_kind:     by_value
    .group_segment_fixed_size: 0
    .kernarg_segment_align: 8
    .kernarg_segment_size: 32
    .language:       OpenCL C
    .language_version:
      - 2
      - 0
    .max_flat_workgroup_size: 256
    .name:           _ZN6thrust23THRUST_200600_302600_NS11hip_rocprim14__parallel_for6kernelILj256ENS1_20__uninitialized_fill7functorINS0_10device_ptrIjEEjEEmLj1EEEvT0_T1_SA_
    .private_segment_fixed_size: 0
    .sgpr_count:     14
    .sgpr_spill_count: 0
    .symbol:         _ZN6thrust23THRUST_200600_302600_NS11hip_rocprim14__parallel_for6kernelILj256ENS1_20__uninitialized_fill7functorINS0_10device_ptrIjEEjEEmLj1EEEvT0_T1_SA_.kd
    .uniform_work_group_size: 1
    .uses_dynamic_stack: false
    .vgpr_count:     4
    .vgpr_spill_count: 0
    .wavefront_size: 32
    .workgroup_processor_mode: 1
  - .args:
      - .address_space:  global
        .offset:         0
        .size:           8
        .value_kind:     global_buffer
      - .offset:         8
        .size:           4
        .value_kind:     by_value
      - .offset:         12
        .size:           4
        .value_kind:     by_value
      - .address_space:  global
        .offset:         16
        .size:           8
        .value_kind:     global_buffer
      - .address_space:  global
        .offset:         24
        .size:           8
        .value_kind:     global_buffer
      - .actual_access:  write_only
        .address_space:  global
        .offset:         32
        .size:           8
        .value_kind:     global_buffer
      - .offset:         40
        .size:           8
        .value_kind:     by_value
      - .offset:         48
        .size:           4
        .value_kind:     by_value
      - .offset:         52
        .size:           1
        .value_kind:     by_value
      - .offset:         56
        .size:           4
        .value_kind:     hidden_block_count_x
      - .offset:         60
        .size:           4
        .value_kind:     hidden_block_count_y
      - .offset:         64
        .size:           4
        .value_kind:     hidden_block_count_z
      - .offset:         68
        .size:           2
        .value_kind:     hidden_group_size_x
      - .offset:         70
        .size:           2
        .value_kind:     hidden_group_size_y
      - .offset:         72
        .size:           2
        .value_kind:     hidden_group_size_z
      - .offset:         74
        .size:           2
        .value_kind:     hidden_remainder_x
      - .offset:         76
        .size:           2
        .value_kind:     hidden_remainder_y
      - .offset:         78
        .size:           2
        .value_kind:     hidden_remainder_z
      - .offset:         96
        .size:           8
        .value_kind:     hidden_global_offset_x
      - .offset:         104
        .size:           8
        .value_kind:     hidden_global_offset_y
      - .offset:         112
        .size:           8
        .value_kind:     hidden_global_offset_z
      - .offset:         120
        .size:           2
        .value_kind:     hidden_grid_dims
    .group_segment_fixed_size: 0
    .kernarg_segment_align: 8
    .kernarg_segment_size: 312
    .language:       OpenCL C
    .language_version:
      - 2
      - 0
    .max_flat_workgroup_size: 256
    .name:           _ZN7rocprim17ROCPRIM_400000_NS6detail30init_device_scan_by_key_kernelINS1_19lookback_scan_stateINS0_5tupleIJjbEEELb0ELb1EEEN6thrust23THRUST_200600_302600_NS6detail15normal_iteratorINS8_10device_ptrIiEEEEjNS1_16block_id_wrapperIjLb0EEEEEvT_jjPNSG_10value_typeET0_PNSt15iterator_traitsISJ_E10value_typeEmT1_T2_
    .private_segment_fixed_size: 0
    .sgpr_count:     19
    .sgpr_spill_count: 0
    .symbol:         _ZN7rocprim17ROCPRIM_400000_NS6detail30init_device_scan_by_key_kernelINS1_19lookback_scan_stateINS0_5tupleIJjbEEELb0ELb1EEEN6thrust23THRUST_200600_302600_NS6detail15normal_iteratorINS8_10device_ptrIiEEEEjNS1_16block_id_wrapperIjLb0EEEEEvT_jjPNSG_10value_typeET0_PNSt15iterator_traitsISJ_E10value_typeEmT1_T2_.kd
    .uniform_work_group_size: 1
    .uses_dynamic_stack: false
    .vgpr_count:     9
    .vgpr_spill_count: 0
    .wavefront_size: 32
    .workgroup_processor_mode: 1
  - .args:
      - .address_space:  global
        .offset:         0
        .size:           8
        .value_kind:     global_buffer
      - .offset:         8
        .size:           4
        .value_kind:     by_value
      - .offset:         12
        .size:           4
        .value_kind:     by_value
      - .address_space:  global
        .offset:         16
        .size:           8
        .value_kind:     global_buffer
      - .offset:         24
        .size:           1
        .value_kind:     by_value
      - .offset:         32
        .size:           4
        .value_kind:     hidden_block_count_x
      - .offset:         36
        .size:           4
        .value_kind:     hidden_block_count_y
      - .offset:         40
        .size:           4
        .value_kind:     hidden_block_count_z
      - .offset:         44
        .size:           2
        .value_kind:     hidden_group_size_x
      - .offset:         46
        .size:           2
        .value_kind:     hidden_group_size_y
      - .offset:         48
        .size:           2
        .value_kind:     hidden_group_size_z
      - .offset:         50
        .size:           2
        .value_kind:     hidden_remainder_x
      - .offset:         52
        .size:           2
        .value_kind:     hidden_remainder_y
      - .offset:         54
        .size:           2
        .value_kind:     hidden_remainder_z
      - .offset:         72
        .size:           8
        .value_kind:     hidden_global_offset_x
      - .offset:         80
        .size:           8
        .value_kind:     hidden_global_offset_y
      - .offset:         88
        .size:           8
        .value_kind:     hidden_global_offset_z
      - .offset:         96
        .size:           2
        .value_kind:     hidden_grid_dims
    .group_segment_fixed_size: 0
    .kernarg_segment_align: 8
    .kernarg_segment_size: 288
    .language:       OpenCL C
    .language_version:
      - 2
      - 0
    .max_flat_workgroup_size: 256
    .name:           _ZN7rocprim17ROCPRIM_400000_NS6detail30init_device_scan_by_key_kernelINS1_19lookback_scan_stateINS0_5tupleIJjbEEELb0ELb1EEENS1_16block_id_wrapperIjLb0EEEEEvT_jjPNS9_10value_typeET0_
    .private_segment_fixed_size: 0
    .sgpr_count:     12
    .sgpr_spill_count: 0
    .symbol:         _ZN7rocprim17ROCPRIM_400000_NS6detail30init_device_scan_by_key_kernelINS1_19lookback_scan_stateINS0_5tupleIJjbEEELb0ELb1EEENS1_16block_id_wrapperIjLb0EEEEEvT_jjPNS9_10value_typeET0_.kd
    .uniform_work_group_size: 1
    .uses_dynamic_stack: false
    .vgpr_count:     8
    .vgpr_spill_count: 0
    .wavefront_size: 32
    .workgroup_processor_mode: 1
  - .args:
      - .offset:         0
        .size:           112
        .value_kind:     by_value
    .group_segment_fixed_size: 0
    .kernarg_segment_align: 8
    .kernarg_segment_size: 112
    .language:       OpenCL C
    .language_version:
      - 2
      - 0
    .max_flat_workgroup_size: 256
    .name:           _ZN7rocprim17ROCPRIM_400000_NS6detail17trampoline_kernelINS0_14default_configENS1_27scan_by_key_config_selectorIijEEZZNS1_16scan_by_key_implILNS1_25lookback_scan_determinismE0ELb0ES3_N6thrust23THRUST_200600_302600_NS6detail15normal_iteratorINS9_10device_ptrIiEEEENSB_INSC_IjEEEESG_jNS9_4plusIvEENS9_8equal_toIvEEjEE10hipError_tPvRmT2_T3_T4_T5_mT6_T7_P12ihipStream_tbENKUlT_T0_E_clISt17integral_constantIbLb0EES11_EEDaSW_SX_EUlSW_E_NS1_11comp_targetILNS1_3genE0ELNS1_11target_archE4294967295ELNS1_3gpuE0ELNS1_3repE0EEENS1_30default_config_static_selectorELNS0_4arch9wavefront6targetE0EEEvT1_
    .private_segment_fixed_size: 0
    .sgpr_count:     0
    .sgpr_spill_count: 0
    .symbol:         _ZN7rocprim17ROCPRIM_400000_NS6detail17trampoline_kernelINS0_14default_configENS1_27scan_by_key_config_selectorIijEEZZNS1_16scan_by_key_implILNS1_25lookback_scan_determinismE0ELb0ES3_N6thrust23THRUST_200600_302600_NS6detail15normal_iteratorINS9_10device_ptrIiEEEENSB_INSC_IjEEEESG_jNS9_4plusIvEENS9_8equal_toIvEEjEE10hipError_tPvRmT2_T3_T4_T5_mT6_T7_P12ihipStream_tbENKUlT_T0_E_clISt17integral_constantIbLb0EES11_EEDaSW_SX_EUlSW_E_NS1_11comp_targetILNS1_3genE0ELNS1_11target_archE4294967295ELNS1_3gpuE0ELNS1_3repE0EEENS1_30default_config_static_selectorELNS0_4arch9wavefront6targetE0EEEvT1_.kd
    .uniform_work_group_size: 1
    .uses_dynamic_stack: false
    .vgpr_count:     0
    .vgpr_spill_count: 0
    .wavefront_size: 32
    .workgroup_processor_mode: 1
  - .args:
      - .offset:         0
        .size:           112
        .value_kind:     by_value
    .group_segment_fixed_size: 0
    .kernarg_segment_align: 8
    .kernarg_segment_size: 112
    .language:       OpenCL C
    .language_version:
      - 2
      - 0
    .max_flat_workgroup_size: 256
    .name:           _ZN7rocprim17ROCPRIM_400000_NS6detail17trampoline_kernelINS0_14default_configENS1_27scan_by_key_config_selectorIijEEZZNS1_16scan_by_key_implILNS1_25lookback_scan_determinismE0ELb0ES3_N6thrust23THRUST_200600_302600_NS6detail15normal_iteratorINS9_10device_ptrIiEEEENSB_INSC_IjEEEESG_jNS9_4plusIvEENS9_8equal_toIvEEjEE10hipError_tPvRmT2_T3_T4_T5_mT6_T7_P12ihipStream_tbENKUlT_T0_E_clISt17integral_constantIbLb0EES11_EEDaSW_SX_EUlSW_E_NS1_11comp_targetILNS1_3genE10ELNS1_11target_archE1201ELNS1_3gpuE5ELNS1_3repE0EEENS1_30default_config_static_selectorELNS0_4arch9wavefront6targetE0EEEvT1_
    .private_segment_fixed_size: 0
    .sgpr_count:     0
    .sgpr_spill_count: 0
    .symbol:         _ZN7rocprim17ROCPRIM_400000_NS6detail17trampoline_kernelINS0_14default_configENS1_27scan_by_key_config_selectorIijEEZZNS1_16scan_by_key_implILNS1_25lookback_scan_determinismE0ELb0ES3_N6thrust23THRUST_200600_302600_NS6detail15normal_iteratorINS9_10device_ptrIiEEEENSB_INSC_IjEEEESG_jNS9_4plusIvEENS9_8equal_toIvEEjEE10hipError_tPvRmT2_T3_T4_T5_mT6_T7_P12ihipStream_tbENKUlT_T0_E_clISt17integral_constantIbLb0EES11_EEDaSW_SX_EUlSW_E_NS1_11comp_targetILNS1_3genE10ELNS1_11target_archE1201ELNS1_3gpuE5ELNS1_3repE0EEENS1_30default_config_static_selectorELNS0_4arch9wavefront6targetE0EEEvT1_.kd
    .uniform_work_group_size: 1
    .uses_dynamic_stack: false
    .vgpr_count:     0
    .vgpr_spill_count: 0
    .wavefront_size: 32
    .workgroup_processor_mode: 1
  - .args:
      - .offset:         0
        .size:           112
        .value_kind:     by_value
    .group_segment_fixed_size: 0
    .kernarg_segment_align: 8
    .kernarg_segment_size: 112
    .language:       OpenCL C
    .language_version:
      - 2
      - 0
    .max_flat_workgroup_size: 256
    .name:           _ZN7rocprim17ROCPRIM_400000_NS6detail17trampoline_kernelINS0_14default_configENS1_27scan_by_key_config_selectorIijEEZZNS1_16scan_by_key_implILNS1_25lookback_scan_determinismE0ELb0ES3_N6thrust23THRUST_200600_302600_NS6detail15normal_iteratorINS9_10device_ptrIiEEEENSB_INSC_IjEEEESG_jNS9_4plusIvEENS9_8equal_toIvEEjEE10hipError_tPvRmT2_T3_T4_T5_mT6_T7_P12ihipStream_tbENKUlT_T0_E_clISt17integral_constantIbLb0EES11_EEDaSW_SX_EUlSW_E_NS1_11comp_targetILNS1_3genE5ELNS1_11target_archE942ELNS1_3gpuE9ELNS1_3repE0EEENS1_30default_config_static_selectorELNS0_4arch9wavefront6targetE0EEEvT1_
    .private_segment_fixed_size: 0
    .sgpr_count:     0
    .sgpr_spill_count: 0
    .symbol:         _ZN7rocprim17ROCPRIM_400000_NS6detail17trampoline_kernelINS0_14default_configENS1_27scan_by_key_config_selectorIijEEZZNS1_16scan_by_key_implILNS1_25lookback_scan_determinismE0ELb0ES3_N6thrust23THRUST_200600_302600_NS6detail15normal_iteratorINS9_10device_ptrIiEEEENSB_INSC_IjEEEESG_jNS9_4plusIvEENS9_8equal_toIvEEjEE10hipError_tPvRmT2_T3_T4_T5_mT6_T7_P12ihipStream_tbENKUlT_T0_E_clISt17integral_constantIbLb0EES11_EEDaSW_SX_EUlSW_E_NS1_11comp_targetILNS1_3genE5ELNS1_11target_archE942ELNS1_3gpuE9ELNS1_3repE0EEENS1_30default_config_static_selectorELNS0_4arch9wavefront6targetE0EEEvT1_.kd
    .uniform_work_group_size: 1
    .uses_dynamic_stack: false
    .vgpr_count:     0
    .vgpr_spill_count: 0
    .wavefront_size: 32
    .workgroup_processor_mode: 1
  - .args:
      - .offset:         0
        .size:           112
        .value_kind:     by_value
    .group_segment_fixed_size: 0
    .kernarg_segment_align: 8
    .kernarg_segment_size: 112
    .language:       OpenCL C
    .language_version:
      - 2
      - 0
    .max_flat_workgroup_size: 256
    .name:           _ZN7rocprim17ROCPRIM_400000_NS6detail17trampoline_kernelINS0_14default_configENS1_27scan_by_key_config_selectorIijEEZZNS1_16scan_by_key_implILNS1_25lookback_scan_determinismE0ELb0ES3_N6thrust23THRUST_200600_302600_NS6detail15normal_iteratorINS9_10device_ptrIiEEEENSB_INSC_IjEEEESG_jNS9_4plusIvEENS9_8equal_toIvEEjEE10hipError_tPvRmT2_T3_T4_T5_mT6_T7_P12ihipStream_tbENKUlT_T0_E_clISt17integral_constantIbLb0EES11_EEDaSW_SX_EUlSW_E_NS1_11comp_targetILNS1_3genE4ELNS1_11target_archE910ELNS1_3gpuE8ELNS1_3repE0EEENS1_30default_config_static_selectorELNS0_4arch9wavefront6targetE0EEEvT1_
    .private_segment_fixed_size: 0
    .sgpr_count:     0
    .sgpr_spill_count: 0
    .symbol:         _ZN7rocprim17ROCPRIM_400000_NS6detail17trampoline_kernelINS0_14default_configENS1_27scan_by_key_config_selectorIijEEZZNS1_16scan_by_key_implILNS1_25lookback_scan_determinismE0ELb0ES3_N6thrust23THRUST_200600_302600_NS6detail15normal_iteratorINS9_10device_ptrIiEEEENSB_INSC_IjEEEESG_jNS9_4plusIvEENS9_8equal_toIvEEjEE10hipError_tPvRmT2_T3_T4_T5_mT6_T7_P12ihipStream_tbENKUlT_T0_E_clISt17integral_constantIbLb0EES11_EEDaSW_SX_EUlSW_E_NS1_11comp_targetILNS1_3genE4ELNS1_11target_archE910ELNS1_3gpuE8ELNS1_3repE0EEENS1_30default_config_static_selectorELNS0_4arch9wavefront6targetE0EEEvT1_.kd
    .uniform_work_group_size: 1
    .uses_dynamic_stack: false
    .vgpr_count:     0
    .vgpr_spill_count: 0
    .wavefront_size: 32
    .workgroup_processor_mode: 1
  - .args:
      - .offset:         0
        .size:           112
        .value_kind:     by_value
    .group_segment_fixed_size: 0
    .kernarg_segment_align: 8
    .kernarg_segment_size: 112
    .language:       OpenCL C
    .language_version:
      - 2
      - 0
    .max_flat_workgroup_size: 256
    .name:           _ZN7rocprim17ROCPRIM_400000_NS6detail17trampoline_kernelINS0_14default_configENS1_27scan_by_key_config_selectorIijEEZZNS1_16scan_by_key_implILNS1_25lookback_scan_determinismE0ELb0ES3_N6thrust23THRUST_200600_302600_NS6detail15normal_iteratorINS9_10device_ptrIiEEEENSB_INSC_IjEEEESG_jNS9_4plusIvEENS9_8equal_toIvEEjEE10hipError_tPvRmT2_T3_T4_T5_mT6_T7_P12ihipStream_tbENKUlT_T0_E_clISt17integral_constantIbLb0EES11_EEDaSW_SX_EUlSW_E_NS1_11comp_targetILNS1_3genE3ELNS1_11target_archE908ELNS1_3gpuE7ELNS1_3repE0EEENS1_30default_config_static_selectorELNS0_4arch9wavefront6targetE0EEEvT1_
    .private_segment_fixed_size: 0
    .sgpr_count:     0
    .sgpr_spill_count: 0
    .symbol:         _ZN7rocprim17ROCPRIM_400000_NS6detail17trampoline_kernelINS0_14default_configENS1_27scan_by_key_config_selectorIijEEZZNS1_16scan_by_key_implILNS1_25lookback_scan_determinismE0ELb0ES3_N6thrust23THRUST_200600_302600_NS6detail15normal_iteratorINS9_10device_ptrIiEEEENSB_INSC_IjEEEESG_jNS9_4plusIvEENS9_8equal_toIvEEjEE10hipError_tPvRmT2_T3_T4_T5_mT6_T7_P12ihipStream_tbENKUlT_T0_E_clISt17integral_constantIbLb0EES11_EEDaSW_SX_EUlSW_E_NS1_11comp_targetILNS1_3genE3ELNS1_11target_archE908ELNS1_3gpuE7ELNS1_3repE0EEENS1_30default_config_static_selectorELNS0_4arch9wavefront6targetE0EEEvT1_.kd
    .uniform_work_group_size: 1
    .uses_dynamic_stack: false
    .vgpr_count:     0
    .vgpr_spill_count: 0
    .wavefront_size: 32
    .workgroup_processor_mode: 1
  - .args:
      - .offset:         0
        .size:           112
        .value_kind:     by_value
    .group_segment_fixed_size: 0
    .kernarg_segment_align: 8
    .kernarg_segment_size: 112
    .language:       OpenCL C
    .language_version:
      - 2
      - 0
    .max_flat_workgroup_size: 256
    .name:           _ZN7rocprim17ROCPRIM_400000_NS6detail17trampoline_kernelINS0_14default_configENS1_27scan_by_key_config_selectorIijEEZZNS1_16scan_by_key_implILNS1_25lookback_scan_determinismE0ELb0ES3_N6thrust23THRUST_200600_302600_NS6detail15normal_iteratorINS9_10device_ptrIiEEEENSB_INSC_IjEEEESG_jNS9_4plusIvEENS9_8equal_toIvEEjEE10hipError_tPvRmT2_T3_T4_T5_mT6_T7_P12ihipStream_tbENKUlT_T0_E_clISt17integral_constantIbLb0EES11_EEDaSW_SX_EUlSW_E_NS1_11comp_targetILNS1_3genE2ELNS1_11target_archE906ELNS1_3gpuE6ELNS1_3repE0EEENS1_30default_config_static_selectorELNS0_4arch9wavefront6targetE0EEEvT1_
    .private_segment_fixed_size: 0
    .sgpr_count:     0
    .sgpr_spill_count: 0
    .symbol:         _ZN7rocprim17ROCPRIM_400000_NS6detail17trampoline_kernelINS0_14default_configENS1_27scan_by_key_config_selectorIijEEZZNS1_16scan_by_key_implILNS1_25lookback_scan_determinismE0ELb0ES3_N6thrust23THRUST_200600_302600_NS6detail15normal_iteratorINS9_10device_ptrIiEEEENSB_INSC_IjEEEESG_jNS9_4plusIvEENS9_8equal_toIvEEjEE10hipError_tPvRmT2_T3_T4_T5_mT6_T7_P12ihipStream_tbENKUlT_T0_E_clISt17integral_constantIbLb0EES11_EEDaSW_SX_EUlSW_E_NS1_11comp_targetILNS1_3genE2ELNS1_11target_archE906ELNS1_3gpuE6ELNS1_3repE0EEENS1_30default_config_static_selectorELNS0_4arch9wavefront6targetE0EEEvT1_.kd
    .uniform_work_group_size: 1
    .uses_dynamic_stack: false
    .vgpr_count:     0
    .vgpr_spill_count: 0
    .wavefront_size: 32
    .workgroup_processor_mode: 1
  - .args:
      - .offset:         0
        .size:           112
        .value_kind:     by_value
    .group_segment_fixed_size: 0
    .kernarg_segment_align: 8
    .kernarg_segment_size: 112
    .language:       OpenCL C
    .language_version:
      - 2
      - 0
    .max_flat_workgroup_size: 256
    .name:           _ZN7rocprim17ROCPRIM_400000_NS6detail17trampoline_kernelINS0_14default_configENS1_27scan_by_key_config_selectorIijEEZZNS1_16scan_by_key_implILNS1_25lookback_scan_determinismE0ELb0ES3_N6thrust23THRUST_200600_302600_NS6detail15normal_iteratorINS9_10device_ptrIiEEEENSB_INSC_IjEEEESG_jNS9_4plusIvEENS9_8equal_toIvEEjEE10hipError_tPvRmT2_T3_T4_T5_mT6_T7_P12ihipStream_tbENKUlT_T0_E_clISt17integral_constantIbLb0EES11_EEDaSW_SX_EUlSW_E_NS1_11comp_targetILNS1_3genE10ELNS1_11target_archE1200ELNS1_3gpuE4ELNS1_3repE0EEENS1_30default_config_static_selectorELNS0_4arch9wavefront6targetE0EEEvT1_
    .private_segment_fixed_size: 0
    .sgpr_count:     0
    .sgpr_spill_count: 0
    .symbol:         _ZN7rocprim17ROCPRIM_400000_NS6detail17trampoline_kernelINS0_14default_configENS1_27scan_by_key_config_selectorIijEEZZNS1_16scan_by_key_implILNS1_25lookback_scan_determinismE0ELb0ES3_N6thrust23THRUST_200600_302600_NS6detail15normal_iteratorINS9_10device_ptrIiEEEENSB_INSC_IjEEEESG_jNS9_4plusIvEENS9_8equal_toIvEEjEE10hipError_tPvRmT2_T3_T4_T5_mT6_T7_P12ihipStream_tbENKUlT_T0_E_clISt17integral_constantIbLb0EES11_EEDaSW_SX_EUlSW_E_NS1_11comp_targetILNS1_3genE10ELNS1_11target_archE1200ELNS1_3gpuE4ELNS1_3repE0EEENS1_30default_config_static_selectorELNS0_4arch9wavefront6targetE0EEEvT1_.kd
    .uniform_work_group_size: 1
    .uses_dynamic_stack: false
    .vgpr_count:     0
    .vgpr_spill_count: 0
    .wavefront_size: 32
    .workgroup_processor_mode: 1
  - .args:
      - .offset:         0
        .size:           112
        .value_kind:     by_value
    .group_segment_fixed_size: 0
    .kernarg_segment_align: 8
    .kernarg_segment_size: 112
    .language:       OpenCL C
    .language_version:
      - 2
      - 0
    .max_flat_workgroup_size: 256
    .name:           _ZN7rocprim17ROCPRIM_400000_NS6detail17trampoline_kernelINS0_14default_configENS1_27scan_by_key_config_selectorIijEEZZNS1_16scan_by_key_implILNS1_25lookback_scan_determinismE0ELb0ES3_N6thrust23THRUST_200600_302600_NS6detail15normal_iteratorINS9_10device_ptrIiEEEENSB_INSC_IjEEEESG_jNS9_4plusIvEENS9_8equal_toIvEEjEE10hipError_tPvRmT2_T3_T4_T5_mT6_T7_P12ihipStream_tbENKUlT_T0_E_clISt17integral_constantIbLb0EES11_EEDaSW_SX_EUlSW_E_NS1_11comp_targetILNS1_3genE9ELNS1_11target_archE1100ELNS1_3gpuE3ELNS1_3repE0EEENS1_30default_config_static_selectorELNS0_4arch9wavefront6targetE0EEEvT1_
    .private_segment_fixed_size: 0
    .sgpr_count:     0
    .sgpr_spill_count: 0
    .symbol:         _ZN7rocprim17ROCPRIM_400000_NS6detail17trampoline_kernelINS0_14default_configENS1_27scan_by_key_config_selectorIijEEZZNS1_16scan_by_key_implILNS1_25lookback_scan_determinismE0ELb0ES3_N6thrust23THRUST_200600_302600_NS6detail15normal_iteratorINS9_10device_ptrIiEEEENSB_INSC_IjEEEESG_jNS9_4plusIvEENS9_8equal_toIvEEjEE10hipError_tPvRmT2_T3_T4_T5_mT6_T7_P12ihipStream_tbENKUlT_T0_E_clISt17integral_constantIbLb0EES11_EEDaSW_SX_EUlSW_E_NS1_11comp_targetILNS1_3genE9ELNS1_11target_archE1100ELNS1_3gpuE3ELNS1_3repE0EEENS1_30default_config_static_selectorELNS0_4arch9wavefront6targetE0EEEvT1_.kd
    .uniform_work_group_size: 1
    .uses_dynamic_stack: false
    .vgpr_count:     0
    .vgpr_spill_count: 0
    .wavefront_size: 32
    .workgroup_processor_mode: 1
  - .args:
      - .offset:         0
        .size:           112
        .value_kind:     by_value
    .group_segment_fixed_size: 5120
    .kernarg_segment_align: 8
    .kernarg_segment_size: 112
    .language:       OpenCL C
    .language_version:
      - 2
      - 0
    .max_flat_workgroup_size: 256
    .name:           _ZN7rocprim17ROCPRIM_400000_NS6detail17trampoline_kernelINS0_14default_configENS1_27scan_by_key_config_selectorIijEEZZNS1_16scan_by_key_implILNS1_25lookback_scan_determinismE0ELb0ES3_N6thrust23THRUST_200600_302600_NS6detail15normal_iteratorINS9_10device_ptrIiEEEENSB_INSC_IjEEEESG_jNS9_4plusIvEENS9_8equal_toIvEEjEE10hipError_tPvRmT2_T3_T4_T5_mT6_T7_P12ihipStream_tbENKUlT_T0_E_clISt17integral_constantIbLb0EES11_EEDaSW_SX_EUlSW_E_NS1_11comp_targetILNS1_3genE8ELNS1_11target_archE1030ELNS1_3gpuE2ELNS1_3repE0EEENS1_30default_config_static_selectorELNS0_4arch9wavefront6targetE0EEEvT1_
    .private_segment_fixed_size: 0
    .sgpr_count:     33
    .sgpr_spill_count: 0
    .symbol:         _ZN7rocprim17ROCPRIM_400000_NS6detail17trampoline_kernelINS0_14default_configENS1_27scan_by_key_config_selectorIijEEZZNS1_16scan_by_key_implILNS1_25lookback_scan_determinismE0ELb0ES3_N6thrust23THRUST_200600_302600_NS6detail15normal_iteratorINS9_10device_ptrIiEEEENSB_INSC_IjEEEESG_jNS9_4plusIvEENS9_8equal_toIvEEjEE10hipError_tPvRmT2_T3_T4_T5_mT6_T7_P12ihipStream_tbENKUlT_T0_E_clISt17integral_constantIbLb0EES11_EEDaSW_SX_EUlSW_E_NS1_11comp_targetILNS1_3genE8ELNS1_11target_archE1030ELNS1_3gpuE2ELNS1_3repE0EEENS1_30default_config_static_selectorELNS0_4arch9wavefront6targetE0EEEvT1_.kd
    .uniform_work_group_size: 1
    .uses_dynamic_stack: false
    .vgpr_count:     42
    .vgpr_spill_count: 0
    .wavefront_size: 32
    .workgroup_processor_mode: 1
  - .args:
      - .address_space:  global
        .offset:         0
        .size:           8
        .value_kind:     global_buffer
      - .offset:         8
        .size:           4
        .value_kind:     by_value
      - .offset:         12
        .size:           4
        .value_kind:     by_value
      - .address_space:  global
        .offset:         16
        .size:           8
        .value_kind:     global_buffer
      - .address_space:  global
        .offset:         24
        .size:           8
        .value_kind:     global_buffer
      - .actual_access:  write_only
        .address_space:  global
        .offset:         32
        .size:           8
        .value_kind:     global_buffer
      - .offset:         40
        .size:           8
        .value_kind:     by_value
      - .offset:         48
        .size:           4
        .value_kind:     by_value
      - .address_space:  global
        .offset:         56
        .size:           8
        .value_kind:     global_buffer
      - .offset:         64
        .size:           4
        .value_kind:     hidden_block_count_x
      - .offset:         68
        .size:           4
        .value_kind:     hidden_block_count_y
      - .offset:         72
        .size:           4
        .value_kind:     hidden_block_count_z
      - .offset:         76
        .size:           2
        .value_kind:     hidden_group_size_x
      - .offset:         78
        .size:           2
        .value_kind:     hidden_group_size_y
      - .offset:         80
        .size:           2
        .value_kind:     hidden_group_size_z
      - .offset:         82
        .size:           2
        .value_kind:     hidden_remainder_x
      - .offset:         84
        .size:           2
        .value_kind:     hidden_remainder_y
      - .offset:         86
        .size:           2
        .value_kind:     hidden_remainder_z
      - .offset:         104
        .size:           8
        .value_kind:     hidden_global_offset_x
      - .offset:         112
        .size:           8
        .value_kind:     hidden_global_offset_y
      - .offset:         120
        .size:           8
        .value_kind:     hidden_global_offset_z
      - .offset:         128
        .size:           2
        .value_kind:     hidden_grid_dims
    .group_segment_fixed_size: 0
    .kernarg_segment_align: 8
    .kernarg_segment_size: 320
    .language:       OpenCL C
    .language_version:
      - 2
      - 0
    .max_flat_workgroup_size: 256
    .name:           _ZN7rocprim17ROCPRIM_400000_NS6detail30init_device_scan_by_key_kernelINS1_19lookback_scan_stateINS0_5tupleIJjbEEELb1ELb1EEEN6thrust23THRUST_200600_302600_NS6detail15normal_iteratorINS8_10device_ptrIiEEEEjNS1_16block_id_wrapperIjLb1EEEEEvT_jjPNSG_10value_typeET0_PNSt15iterator_traitsISJ_E10value_typeEmT1_T2_
    .private_segment_fixed_size: 0
    .sgpr_count:     19
    .sgpr_spill_count: 0
    .symbol:         _ZN7rocprim17ROCPRIM_400000_NS6detail30init_device_scan_by_key_kernelINS1_19lookback_scan_stateINS0_5tupleIJjbEEELb1ELb1EEEN6thrust23THRUST_200600_302600_NS6detail15normal_iteratorINS8_10device_ptrIiEEEEjNS1_16block_id_wrapperIjLb1EEEEEvT_jjPNSG_10value_typeET0_PNSt15iterator_traitsISJ_E10value_typeEmT1_T2_.kd
    .uniform_work_group_size: 1
    .uses_dynamic_stack: false
    .vgpr_count:     9
    .vgpr_spill_count: 0
    .wavefront_size: 32
    .workgroup_processor_mode: 1
  - .args:
      - .address_space:  global
        .offset:         0
        .size:           8
        .value_kind:     global_buffer
      - .offset:         8
        .size:           4
        .value_kind:     by_value
      - .offset:         12
        .size:           4
        .value_kind:     by_value
      - .address_space:  global
        .offset:         16
        .size:           8
        .value_kind:     global_buffer
      - .address_space:  global
        .offset:         24
        .size:           8
        .value_kind:     global_buffer
      - .offset:         32
        .size:           4
        .value_kind:     hidden_block_count_x
      - .offset:         36
        .size:           4
        .value_kind:     hidden_block_count_y
      - .offset:         40
        .size:           4
        .value_kind:     hidden_block_count_z
      - .offset:         44
        .size:           2
        .value_kind:     hidden_group_size_x
      - .offset:         46
        .size:           2
        .value_kind:     hidden_group_size_y
      - .offset:         48
        .size:           2
        .value_kind:     hidden_group_size_z
      - .offset:         50
        .size:           2
        .value_kind:     hidden_remainder_x
      - .offset:         52
        .size:           2
        .value_kind:     hidden_remainder_y
      - .offset:         54
        .size:           2
        .value_kind:     hidden_remainder_z
      - .offset:         72
        .size:           8
        .value_kind:     hidden_global_offset_x
      - .offset:         80
        .size:           8
        .value_kind:     hidden_global_offset_y
      - .offset:         88
        .size:           8
        .value_kind:     hidden_global_offset_z
      - .offset:         96
        .size:           2
        .value_kind:     hidden_grid_dims
    .group_segment_fixed_size: 0
    .kernarg_segment_align: 8
    .kernarg_segment_size: 288
    .language:       OpenCL C
    .language_version:
      - 2
      - 0
    .max_flat_workgroup_size: 256
    .name:           _ZN7rocprim17ROCPRIM_400000_NS6detail30init_device_scan_by_key_kernelINS1_19lookback_scan_stateINS0_5tupleIJjbEEELb1ELb1EEENS1_16block_id_wrapperIjLb1EEEEEvT_jjPNS9_10value_typeET0_
    .private_segment_fixed_size: 0
    .sgpr_count:     18
    .sgpr_spill_count: 0
    .symbol:         _ZN7rocprim17ROCPRIM_400000_NS6detail30init_device_scan_by_key_kernelINS1_19lookback_scan_stateINS0_5tupleIJjbEEELb1ELb1EEENS1_16block_id_wrapperIjLb1EEEEEvT_jjPNS9_10value_typeET0_.kd
    .uniform_work_group_size: 1
    .uses_dynamic_stack: false
    .vgpr_count:     8
    .vgpr_spill_count: 0
    .wavefront_size: 32
    .workgroup_processor_mode: 1
  - .args:
      - .offset:         0
        .size:           112
        .value_kind:     by_value
    .group_segment_fixed_size: 0
    .kernarg_segment_align: 8
    .kernarg_segment_size: 112
    .language:       OpenCL C
    .language_version:
      - 2
      - 0
    .max_flat_workgroup_size: 256
    .name:           _ZN7rocprim17ROCPRIM_400000_NS6detail17trampoline_kernelINS0_14default_configENS1_27scan_by_key_config_selectorIijEEZZNS1_16scan_by_key_implILNS1_25lookback_scan_determinismE0ELb0ES3_N6thrust23THRUST_200600_302600_NS6detail15normal_iteratorINS9_10device_ptrIiEEEENSB_INSC_IjEEEESG_jNS9_4plusIvEENS9_8equal_toIvEEjEE10hipError_tPvRmT2_T3_T4_T5_mT6_T7_P12ihipStream_tbENKUlT_T0_E_clISt17integral_constantIbLb1EES11_EEDaSW_SX_EUlSW_E_NS1_11comp_targetILNS1_3genE0ELNS1_11target_archE4294967295ELNS1_3gpuE0ELNS1_3repE0EEENS1_30default_config_static_selectorELNS0_4arch9wavefront6targetE0EEEvT1_
    .private_segment_fixed_size: 0
    .sgpr_count:     0
    .sgpr_spill_count: 0
    .symbol:         _ZN7rocprim17ROCPRIM_400000_NS6detail17trampoline_kernelINS0_14default_configENS1_27scan_by_key_config_selectorIijEEZZNS1_16scan_by_key_implILNS1_25lookback_scan_determinismE0ELb0ES3_N6thrust23THRUST_200600_302600_NS6detail15normal_iteratorINS9_10device_ptrIiEEEENSB_INSC_IjEEEESG_jNS9_4plusIvEENS9_8equal_toIvEEjEE10hipError_tPvRmT2_T3_T4_T5_mT6_T7_P12ihipStream_tbENKUlT_T0_E_clISt17integral_constantIbLb1EES11_EEDaSW_SX_EUlSW_E_NS1_11comp_targetILNS1_3genE0ELNS1_11target_archE4294967295ELNS1_3gpuE0ELNS1_3repE0EEENS1_30default_config_static_selectorELNS0_4arch9wavefront6targetE0EEEvT1_.kd
    .uniform_work_group_size: 1
    .uses_dynamic_stack: false
    .vgpr_count:     0
    .vgpr_spill_count: 0
    .wavefront_size: 32
    .workgroup_processor_mode: 1
  - .args:
      - .offset:         0
        .size:           112
        .value_kind:     by_value
    .group_segment_fixed_size: 0
    .kernarg_segment_align: 8
    .kernarg_segment_size: 112
    .language:       OpenCL C
    .language_version:
      - 2
      - 0
    .max_flat_workgroup_size: 256
    .name:           _ZN7rocprim17ROCPRIM_400000_NS6detail17trampoline_kernelINS0_14default_configENS1_27scan_by_key_config_selectorIijEEZZNS1_16scan_by_key_implILNS1_25lookback_scan_determinismE0ELb0ES3_N6thrust23THRUST_200600_302600_NS6detail15normal_iteratorINS9_10device_ptrIiEEEENSB_INSC_IjEEEESG_jNS9_4plusIvEENS9_8equal_toIvEEjEE10hipError_tPvRmT2_T3_T4_T5_mT6_T7_P12ihipStream_tbENKUlT_T0_E_clISt17integral_constantIbLb1EES11_EEDaSW_SX_EUlSW_E_NS1_11comp_targetILNS1_3genE10ELNS1_11target_archE1201ELNS1_3gpuE5ELNS1_3repE0EEENS1_30default_config_static_selectorELNS0_4arch9wavefront6targetE0EEEvT1_
    .private_segment_fixed_size: 0
    .sgpr_count:     0
    .sgpr_spill_count: 0
    .symbol:         _ZN7rocprim17ROCPRIM_400000_NS6detail17trampoline_kernelINS0_14default_configENS1_27scan_by_key_config_selectorIijEEZZNS1_16scan_by_key_implILNS1_25lookback_scan_determinismE0ELb0ES3_N6thrust23THRUST_200600_302600_NS6detail15normal_iteratorINS9_10device_ptrIiEEEENSB_INSC_IjEEEESG_jNS9_4plusIvEENS9_8equal_toIvEEjEE10hipError_tPvRmT2_T3_T4_T5_mT6_T7_P12ihipStream_tbENKUlT_T0_E_clISt17integral_constantIbLb1EES11_EEDaSW_SX_EUlSW_E_NS1_11comp_targetILNS1_3genE10ELNS1_11target_archE1201ELNS1_3gpuE5ELNS1_3repE0EEENS1_30default_config_static_selectorELNS0_4arch9wavefront6targetE0EEEvT1_.kd
    .uniform_work_group_size: 1
    .uses_dynamic_stack: false
    .vgpr_count:     0
    .vgpr_spill_count: 0
    .wavefront_size: 32
    .workgroup_processor_mode: 1
  - .args:
      - .offset:         0
        .size:           112
        .value_kind:     by_value
    .group_segment_fixed_size: 0
    .kernarg_segment_align: 8
    .kernarg_segment_size: 112
    .language:       OpenCL C
    .language_version:
      - 2
      - 0
    .max_flat_workgroup_size: 256
    .name:           _ZN7rocprim17ROCPRIM_400000_NS6detail17trampoline_kernelINS0_14default_configENS1_27scan_by_key_config_selectorIijEEZZNS1_16scan_by_key_implILNS1_25lookback_scan_determinismE0ELb0ES3_N6thrust23THRUST_200600_302600_NS6detail15normal_iteratorINS9_10device_ptrIiEEEENSB_INSC_IjEEEESG_jNS9_4plusIvEENS9_8equal_toIvEEjEE10hipError_tPvRmT2_T3_T4_T5_mT6_T7_P12ihipStream_tbENKUlT_T0_E_clISt17integral_constantIbLb1EES11_EEDaSW_SX_EUlSW_E_NS1_11comp_targetILNS1_3genE5ELNS1_11target_archE942ELNS1_3gpuE9ELNS1_3repE0EEENS1_30default_config_static_selectorELNS0_4arch9wavefront6targetE0EEEvT1_
    .private_segment_fixed_size: 0
    .sgpr_count:     0
    .sgpr_spill_count: 0
    .symbol:         _ZN7rocprim17ROCPRIM_400000_NS6detail17trampoline_kernelINS0_14default_configENS1_27scan_by_key_config_selectorIijEEZZNS1_16scan_by_key_implILNS1_25lookback_scan_determinismE0ELb0ES3_N6thrust23THRUST_200600_302600_NS6detail15normal_iteratorINS9_10device_ptrIiEEEENSB_INSC_IjEEEESG_jNS9_4plusIvEENS9_8equal_toIvEEjEE10hipError_tPvRmT2_T3_T4_T5_mT6_T7_P12ihipStream_tbENKUlT_T0_E_clISt17integral_constantIbLb1EES11_EEDaSW_SX_EUlSW_E_NS1_11comp_targetILNS1_3genE5ELNS1_11target_archE942ELNS1_3gpuE9ELNS1_3repE0EEENS1_30default_config_static_selectorELNS0_4arch9wavefront6targetE0EEEvT1_.kd
    .uniform_work_group_size: 1
    .uses_dynamic_stack: false
    .vgpr_count:     0
    .vgpr_spill_count: 0
    .wavefront_size: 32
    .workgroup_processor_mode: 1
  - .args:
      - .offset:         0
        .size:           112
        .value_kind:     by_value
    .group_segment_fixed_size: 0
    .kernarg_segment_align: 8
    .kernarg_segment_size: 112
    .language:       OpenCL C
    .language_version:
      - 2
      - 0
    .max_flat_workgroup_size: 256
    .name:           _ZN7rocprim17ROCPRIM_400000_NS6detail17trampoline_kernelINS0_14default_configENS1_27scan_by_key_config_selectorIijEEZZNS1_16scan_by_key_implILNS1_25lookback_scan_determinismE0ELb0ES3_N6thrust23THRUST_200600_302600_NS6detail15normal_iteratorINS9_10device_ptrIiEEEENSB_INSC_IjEEEESG_jNS9_4plusIvEENS9_8equal_toIvEEjEE10hipError_tPvRmT2_T3_T4_T5_mT6_T7_P12ihipStream_tbENKUlT_T0_E_clISt17integral_constantIbLb1EES11_EEDaSW_SX_EUlSW_E_NS1_11comp_targetILNS1_3genE4ELNS1_11target_archE910ELNS1_3gpuE8ELNS1_3repE0EEENS1_30default_config_static_selectorELNS0_4arch9wavefront6targetE0EEEvT1_
    .private_segment_fixed_size: 0
    .sgpr_count:     0
    .sgpr_spill_count: 0
    .symbol:         _ZN7rocprim17ROCPRIM_400000_NS6detail17trampoline_kernelINS0_14default_configENS1_27scan_by_key_config_selectorIijEEZZNS1_16scan_by_key_implILNS1_25lookback_scan_determinismE0ELb0ES3_N6thrust23THRUST_200600_302600_NS6detail15normal_iteratorINS9_10device_ptrIiEEEENSB_INSC_IjEEEESG_jNS9_4plusIvEENS9_8equal_toIvEEjEE10hipError_tPvRmT2_T3_T4_T5_mT6_T7_P12ihipStream_tbENKUlT_T0_E_clISt17integral_constantIbLb1EES11_EEDaSW_SX_EUlSW_E_NS1_11comp_targetILNS1_3genE4ELNS1_11target_archE910ELNS1_3gpuE8ELNS1_3repE0EEENS1_30default_config_static_selectorELNS0_4arch9wavefront6targetE0EEEvT1_.kd
    .uniform_work_group_size: 1
    .uses_dynamic_stack: false
    .vgpr_count:     0
    .vgpr_spill_count: 0
    .wavefront_size: 32
    .workgroup_processor_mode: 1
  - .args:
      - .offset:         0
        .size:           112
        .value_kind:     by_value
    .group_segment_fixed_size: 0
    .kernarg_segment_align: 8
    .kernarg_segment_size: 112
    .language:       OpenCL C
    .language_version:
      - 2
      - 0
    .max_flat_workgroup_size: 256
    .name:           _ZN7rocprim17ROCPRIM_400000_NS6detail17trampoline_kernelINS0_14default_configENS1_27scan_by_key_config_selectorIijEEZZNS1_16scan_by_key_implILNS1_25lookback_scan_determinismE0ELb0ES3_N6thrust23THRUST_200600_302600_NS6detail15normal_iteratorINS9_10device_ptrIiEEEENSB_INSC_IjEEEESG_jNS9_4plusIvEENS9_8equal_toIvEEjEE10hipError_tPvRmT2_T3_T4_T5_mT6_T7_P12ihipStream_tbENKUlT_T0_E_clISt17integral_constantIbLb1EES11_EEDaSW_SX_EUlSW_E_NS1_11comp_targetILNS1_3genE3ELNS1_11target_archE908ELNS1_3gpuE7ELNS1_3repE0EEENS1_30default_config_static_selectorELNS0_4arch9wavefront6targetE0EEEvT1_
    .private_segment_fixed_size: 0
    .sgpr_count:     0
    .sgpr_spill_count: 0
    .symbol:         _ZN7rocprim17ROCPRIM_400000_NS6detail17trampoline_kernelINS0_14default_configENS1_27scan_by_key_config_selectorIijEEZZNS1_16scan_by_key_implILNS1_25lookback_scan_determinismE0ELb0ES3_N6thrust23THRUST_200600_302600_NS6detail15normal_iteratorINS9_10device_ptrIiEEEENSB_INSC_IjEEEESG_jNS9_4plusIvEENS9_8equal_toIvEEjEE10hipError_tPvRmT2_T3_T4_T5_mT6_T7_P12ihipStream_tbENKUlT_T0_E_clISt17integral_constantIbLb1EES11_EEDaSW_SX_EUlSW_E_NS1_11comp_targetILNS1_3genE3ELNS1_11target_archE908ELNS1_3gpuE7ELNS1_3repE0EEENS1_30default_config_static_selectorELNS0_4arch9wavefront6targetE0EEEvT1_.kd
    .uniform_work_group_size: 1
    .uses_dynamic_stack: false
    .vgpr_count:     0
    .vgpr_spill_count: 0
    .wavefront_size: 32
    .workgroup_processor_mode: 1
  - .args:
      - .offset:         0
        .size:           112
        .value_kind:     by_value
    .group_segment_fixed_size: 0
    .kernarg_segment_align: 8
    .kernarg_segment_size: 112
    .language:       OpenCL C
    .language_version:
      - 2
      - 0
    .max_flat_workgroup_size: 256
    .name:           _ZN7rocprim17ROCPRIM_400000_NS6detail17trampoline_kernelINS0_14default_configENS1_27scan_by_key_config_selectorIijEEZZNS1_16scan_by_key_implILNS1_25lookback_scan_determinismE0ELb0ES3_N6thrust23THRUST_200600_302600_NS6detail15normal_iteratorINS9_10device_ptrIiEEEENSB_INSC_IjEEEESG_jNS9_4plusIvEENS9_8equal_toIvEEjEE10hipError_tPvRmT2_T3_T4_T5_mT6_T7_P12ihipStream_tbENKUlT_T0_E_clISt17integral_constantIbLb1EES11_EEDaSW_SX_EUlSW_E_NS1_11comp_targetILNS1_3genE2ELNS1_11target_archE906ELNS1_3gpuE6ELNS1_3repE0EEENS1_30default_config_static_selectorELNS0_4arch9wavefront6targetE0EEEvT1_
    .private_segment_fixed_size: 0
    .sgpr_count:     0
    .sgpr_spill_count: 0
    .symbol:         _ZN7rocprim17ROCPRIM_400000_NS6detail17trampoline_kernelINS0_14default_configENS1_27scan_by_key_config_selectorIijEEZZNS1_16scan_by_key_implILNS1_25lookback_scan_determinismE0ELb0ES3_N6thrust23THRUST_200600_302600_NS6detail15normal_iteratorINS9_10device_ptrIiEEEENSB_INSC_IjEEEESG_jNS9_4plusIvEENS9_8equal_toIvEEjEE10hipError_tPvRmT2_T3_T4_T5_mT6_T7_P12ihipStream_tbENKUlT_T0_E_clISt17integral_constantIbLb1EES11_EEDaSW_SX_EUlSW_E_NS1_11comp_targetILNS1_3genE2ELNS1_11target_archE906ELNS1_3gpuE6ELNS1_3repE0EEENS1_30default_config_static_selectorELNS0_4arch9wavefront6targetE0EEEvT1_.kd
    .uniform_work_group_size: 1
    .uses_dynamic_stack: false
    .vgpr_count:     0
    .vgpr_spill_count: 0
    .wavefront_size: 32
    .workgroup_processor_mode: 1
  - .args:
      - .offset:         0
        .size:           112
        .value_kind:     by_value
    .group_segment_fixed_size: 0
    .kernarg_segment_align: 8
    .kernarg_segment_size: 112
    .language:       OpenCL C
    .language_version:
      - 2
      - 0
    .max_flat_workgroup_size: 256
    .name:           _ZN7rocprim17ROCPRIM_400000_NS6detail17trampoline_kernelINS0_14default_configENS1_27scan_by_key_config_selectorIijEEZZNS1_16scan_by_key_implILNS1_25lookback_scan_determinismE0ELb0ES3_N6thrust23THRUST_200600_302600_NS6detail15normal_iteratorINS9_10device_ptrIiEEEENSB_INSC_IjEEEESG_jNS9_4plusIvEENS9_8equal_toIvEEjEE10hipError_tPvRmT2_T3_T4_T5_mT6_T7_P12ihipStream_tbENKUlT_T0_E_clISt17integral_constantIbLb1EES11_EEDaSW_SX_EUlSW_E_NS1_11comp_targetILNS1_3genE10ELNS1_11target_archE1200ELNS1_3gpuE4ELNS1_3repE0EEENS1_30default_config_static_selectorELNS0_4arch9wavefront6targetE0EEEvT1_
    .private_segment_fixed_size: 0
    .sgpr_count:     0
    .sgpr_spill_count: 0
    .symbol:         _ZN7rocprim17ROCPRIM_400000_NS6detail17trampoline_kernelINS0_14default_configENS1_27scan_by_key_config_selectorIijEEZZNS1_16scan_by_key_implILNS1_25lookback_scan_determinismE0ELb0ES3_N6thrust23THRUST_200600_302600_NS6detail15normal_iteratorINS9_10device_ptrIiEEEENSB_INSC_IjEEEESG_jNS9_4plusIvEENS9_8equal_toIvEEjEE10hipError_tPvRmT2_T3_T4_T5_mT6_T7_P12ihipStream_tbENKUlT_T0_E_clISt17integral_constantIbLb1EES11_EEDaSW_SX_EUlSW_E_NS1_11comp_targetILNS1_3genE10ELNS1_11target_archE1200ELNS1_3gpuE4ELNS1_3repE0EEENS1_30default_config_static_selectorELNS0_4arch9wavefront6targetE0EEEvT1_.kd
    .uniform_work_group_size: 1
    .uses_dynamic_stack: false
    .vgpr_count:     0
    .vgpr_spill_count: 0
    .wavefront_size: 32
    .workgroup_processor_mode: 1
  - .args:
      - .offset:         0
        .size:           112
        .value_kind:     by_value
    .group_segment_fixed_size: 0
    .kernarg_segment_align: 8
    .kernarg_segment_size: 112
    .language:       OpenCL C
    .language_version:
      - 2
      - 0
    .max_flat_workgroup_size: 256
    .name:           _ZN7rocprim17ROCPRIM_400000_NS6detail17trampoline_kernelINS0_14default_configENS1_27scan_by_key_config_selectorIijEEZZNS1_16scan_by_key_implILNS1_25lookback_scan_determinismE0ELb0ES3_N6thrust23THRUST_200600_302600_NS6detail15normal_iteratorINS9_10device_ptrIiEEEENSB_INSC_IjEEEESG_jNS9_4plusIvEENS9_8equal_toIvEEjEE10hipError_tPvRmT2_T3_T4_T5_mT6_T7_P12ihipStream_tbENKUlT_T0_E_clISt17integral_constantIbLb1EES11_EEDaSW_SX_EUlSW_E_NS1_11comp_targetILNS1_3genE9ELNS1_11target_archE1100ELNS1_3gpuE3ELNS1_3repE0EEENS1_30default_config_static_selectorELNS0_4arch9wavefront6targetE0EEEvT1_
    .private_segment_fixed_size: 0
    .sgpr_count:     0
    .sgpr_spill_count: 0
    .symbol:         _ZN7rocprim17ROCPRIM_400000_NS6detail17trampoline_kernelINS0_14default_configENS1_27scan_by_key_config_selectorIijEEZZNS1_16scan_by_key_implILNS1_25lookback_scan_determinismE0ELb0ES3_N6thrust23THRUST_200600_302600_NS6detail15normal_iteratorINS9_10device_ptrIiEEEENSB_INSC_IjEEEESG_jNS9_4plusIvEENS9_8equal_toIvEEjEE10hipError_tPvRmT2_T3_T4_T5_mT6_T7_P12ihipStream_tbENKUlT_T0_E_clISt17integral_constantIbLb1EES11_EEDaSW_SX_EUlSW_E_NS1_11comp_targetILNS1_3genE9ELNS1_11target_archE1100ELNS1_3gpuE3ELNS1_3repE0EEENS1_30default_config_static_selectorELNS0_4arch9wavefront6targetE0EEEvT1_.kd
    .uniform_work_group_size: 1
    .uses_dynamic_stack: false
    .vgpr_count:     0
    .vgpr_spill_count: 0
    .wavefront_size: 32
    .workgroup_processor_mode: 1
  - .args:
      - .offset:         0
        .size:           112
        .value_kind:     by_value
    .group_segment_fixed_size: 0
    .kernarg_segment_align: 8
    .kernarg_segment_size: 112
    .language:       OpenCL C
    .language_version:
      - 2
      - 0
    .max_flat_workgroup_size: 256
    .name:           _ZN7rocprim17ROCPRIM_400000_NS6detail17trampoline_kernelINS0_14default_configENS1_27scan_by_key_config_selectorIijEEZZNS1_16scan_by_key_implILNS1_25lookback_scan_determinismE0ELb0ES3_N6thrust23THRUST_200600_302600_NS6detail15normal_iteratorINS9_10device_ptrIiEEEENSB_INSC_IjEEEESG_jNS9_4plusIvEENS9_8equal_toIvEEjEE10hipError_tPvRmT2_T3_T4_T5_mT6_T7_P12ihipStream_tbENKUlT_T0_E_clISt17integral_constantIbLb1EES11_EEDaSW_SX_EUlSW_E_NS1_11comp_targetILNS1_3genE8ELNS1_11target_archE1030ELNS1_3gpuE2ELNS1_3repE0EEENS1_30default_config_static_selectorELNS0_4arch9wavefront6targetE0EEEvT1_
    .private_segment_fixed_size: 0
    .sgpr_count:     0
    .sgpr_spill_count: 0
    .symbol:         _ZN7rocprim17ROCPRIM_400000_NS6detail17trampoline_kernelINS0_14default_configENS1_27scan_by_key_config_selectorIijEEZZNS1_16scan_by_key_implILNS1_25lookback_scan_determinismE0ELb0ES3_N6thrust23THRUST_200600_302600_NS6detail15normal_iteratorINS9_10device_ptrIiEEEENSB_INSC_IjEEEESG_jNS9_4plusIvEENS9_8equal_toIvEEjEE10hipError_tPvRmT2_T3_T4_T5_mT6_T7_P12ihipStream_tbENKUlT_T0_E_clISt17integral_constantIbLb1EES11_EEDaSW_SX_EUlSW_E_NS1_11comp_targetILNS1_3genE8ELNS1_11target_archE1030ELNS1_3gpuE2ELNS1_3repE0EEENS1_30default_config_static_selectorELNS0_4arch9wavefront6targetE0EEEvT1_.kd
    .uniform_work_group_size: 1
    .uses_dynamic_stack: false
    .vgpr_count:     0
    .vgpr_spill_count: 0
    .wavefront_size: 32
    .workgroup_processor_mode: 1
  - .args:
      - .address_space:  global
        .offset:         0
        .size:           8
        .value_kind:     global_buffer
      - .offset:         8
        .size:           4
        .value_kind:     by_value
      - .offset:         12
        .size:           4
        .value_kind:     by_value
      - .address_space:  global
        .offset:         16
        .size:           8
        .value_kind:     global_buffer
      - .address_space:  global
        .offset:         24
        .size:           8
        .value_kind:     global_buffer
      - .actual_access:  write_only
        .address_space:  global
        .offset:         32
        .size:           8
        .value_kind:     global_buffer
      - .offset:         40
        .size:           8
        .value_kind:     by_value
      - .offset:         48
        .size:           4
        .value_kind:     by_value
      - .offset:         52
        .size:           1
        .value_kind:     by_value
      - .offset:         56
        .size:           4
        .value_kind:     hidden_block_count_x
      - .offset:         60
        .size:           4
        .value_kind:     hidden_block_count_y
      - .offset:         64
        .size:           4
        .value_kind:     hidden_block_count_z
      - .offset:         68
        .size:           2
        .value_kind:     hidden_group_size_x
      - .offset:         70
        .size:           2
        .value_kind:     hidden_group_size_y
      - .offset:         72
        .size:           2
        .value_kind:     hidden_group_size_z
      - .offset:         74
        .size:           2
        .value_kind:     hidden_remainder_x
      - .offset:         76
        .size:           2
        .value_kind:     hidden_remainder_y
      - .offset:         78
        .size:           2
        .value_kind:     hidden_remainder_z
      - .offset:         96
        .size:           8
        .value_kind:     hidden_global_offset_x
      - .offset:         104
        .size:           8
        .value_kind:     hidden_global_offset_y
      - .offset:         112
        .size:           8
        .value_kind:     hidden_global_offset_z
      - .offset:         120
        .size:           2
        .value_kind:     hidden_grid_dims
    .group_segment_fixed_size: 0
    .kernarg_segment_align: 8
    .kernarg_segment_size: 312
    .language:       OpenCL C
    .language_version:
      - 2
      - 0
    .max_flat_workgroup_size: 256
    .name:           _ZN7rocprim17ROCPRIM_400000_NS6detail30init_device_scan_by_key_kernelINS1_19lookback_scan_stateINS0_5tupleIJjbEEELb1ELb1EEEN6thrust23THRUST_200600_302600_NS6detail15normal_iteratorINS8_10device_ptrIiEEEEjNS1_16block_id_wrapperIjLb0EEEEEvT_jjPNSG_10value_typeET0_PNSt15iterator_traitsISJ_E10value_typeEmT1_T2_
    .private_segment_fixed_size: 0
    .sgpr_count:     19
    .sgpr_spill_count: 0
    .symbol:         _ZN7rocprim17ROCPRIM_400000_NS6detail30init_device_scan_by_key_kernelINS1_19lookback_scan_stateINS0_5tupleIJjbEEELb1ELb1EEEN6thrust23THRUST_200600_302600_NS6detail15normal_iteratorINS8_10device_ptrIiEEEEjNS1_16block_id_wrapperIjLb0EEEEEvT_jjPNSG_10value_typeET0_PNSt15iterator_traitsISJ_E10value_typeEmT1_T2_.kd
    .uniform_work_group_size: 1
    .uses_dynamic_stack: false
    .vgpr_count:     9
    .vgpr_spill_count: 0
    .wavefront_size: 32
    .workgroup_processor_mode: 1
  - .args:
      - .address_space:  global
        .offset:         0
        .size:           8
        .value_kind:     global_buffer
      - .offset:         8
        .size:           4
        .value_kind:     by_value
      - .offset:         12
        .size:           4
        .value_kind:     by_value
      - .address_space:  global
        .offset:         16
        .size:           8
        .value_kind:     global_buffer
      - .offset:         24
        .size:           1
        .value_kind:     by_value
      - .offset:         32
        .size:           4
        .value_kind:     hidden_block_count_x
      - .offset:         36
        .size:           4
        .value_kind:     hidden_block_count_y
      - .offset:         40
        .size:           4
        .value_kind:     hidden_block_count_z
      - .offset:         44
        .size:           2
        .value_kind:     hidden_group_size_x
      - .offset:         46
        .size:           2
        .value_kind:     hidden_group_size_y
      - .offset:         48
        .size:           2
        .value_kind:     hidden_group_size_z
      - .offset:         50
        .size:           2
        .value_kind:     hidden_remainder_x
      - .offset:         52
        .size:           2
        .value_kind:     hidden_remainder_y
      - .offset:         54
        .size:           2
        .value_kind:     hidden_remainder_z
      - .offset:         72
        .size:           8
        .value_kind:     hidden_global_offset_x
      - .offset:         80
        .size:           8
        .value_kind:     hidden_global_offset_y
      - .offset:         88
        .size:           8
        .value_kind:     hidden_global_offset_z
      - .offset:         96
        .size:           2
        .value_kind:     hidden_grid_dims
    .group_segment_fixed_size: 0
    .kernarg_segment_align: 8
    .kernarg_segment_size: 288
    .language:       OpenCL C
    .language_version:
      - 2
      - 0
    .max_flat_workgroup_size: 256
    .name:           _ZN7rocprim17ROCPRIM_400000_NS6detail30init_device_scan_by_key_kernelINS1_19lookback_scan_stateINS0_5tupleIJjbEEELb1ELb1EEENS1_16block_id_wrapperIjLb0EEEEEvT_jjPNS9_10value_typeET0_
    .private_segment_fixed_size: 0
    .sgpr_count:     12
    .sgpr_spill_count: 0
    .symbol:         _ZN7rocprim17ROCPRIM_400000_NS6detail30init_device_scan_by_key_kernelINS1_19lookback_scan_stateINS0_5tupleIJjbEEELb1ELb1EEENS1_16block_id_wrapperIjLb0EEEEEvT_jjPNS9_10value_typeET0_.kd
    .uniform_work_group_size: 1
    .uses_dynamic_stack: false
    .vgpr_count:     8
    .vgpr_spill_count: 0
    .wavefront_size: 32
    .workgroup_processor_mode: 1
  - .args:
      - .offset:         0
        .size:           112
        .value_kind:     by_value
    .group_segment_fixed_size: 0
    .kernarg_segment_align: 8
    .kernarg_segment_size: 112
    .language:       OpenCL C
    .language_version:
      - 2
      - 0
    .max_flat_workgroup_size: 256
    .name:           _ZN7rocprim17ROCPRIM_400000_NS6detail17trampoline_kernelINS0_14default_configENS1_27scan_by_key_config_selectorIijEEZZNS1_16scan_by_key_implILNS1_25lookback_scan_determinismE0ELb0ES3_N6thrust23THRUST_200600_302600_NS6detail15normal_iteratorINS9_10device_ptrIiEEEENSB_INSC_IjEEEESG_jNS9_4plusIvEENS9_8equal_toIvEEjEE10hipError_tPvRmT2_T3_T4_T5_mT6_T7_P12ihipStream_tbENKUlT_T0_E_clISt17integral_constantIbLb1EES10_IbLb0EEEEDaSW_SX_EUlSW_E_NS1_11comp_targetILNS1_3genE0ELNS1_11target_archE4294967295ELNS1_3gpuE0ELNS1_3repE0EEENS1_30default_config_static_selectorELNS0_4arch9wavefront6targetE0EEEvT1_
    .private_segment_fixed_size: 0
    .sgpr_count:     0
    .sgpr_spill_count: 0
    .symbol:         _ZN7rocprim17ROCPRIM_400000_NS6detail17trampoline_kernelINS0_14default_configENS1_27scan_by_key_config_selectorIijEEZZNS1_16scan_by_key_implILNS1_25lookback_scan_determinismE0ELb0ES3_N6thrust23THRUST_200600_302600_NS6detail15normal_iteratorINS9_10device_ptrIiEEEENSB_INSC_IjEEEESG_jNS9_4plusIvEENS9_8equal_toIvEEjEE10hipError_tPvRmT2_T3_T4_T5_mT6_T7_P12ihipStream_tbENKUlT_T0_E_clISt17integral_constantIbLb1EES10_IbLb0EEEEDaSW_SX_EUlSW_E_NS1_11comp_targetILNS1_3genE0ELNS1_11target_archE4294967295ELNS1_3gpuE0ELNS1_3repE0EEENS1_30default_config_static_selectorELNS0_4arch9wavefront6targetE0EEEvT1_.kd
    .uniform_work_group_size: 1
    .uses_dynamic_stack: false
    .vgpr_count:     0
    .vgpr_spill_count: 0
    .wavefront_size: 32
    .workgroup_processor_mode: 1
  - .args:
      - .offset:         0
        .size:           112
        .value_kind:     by_value
    .group_segment_fixed_size: 0
    .kernarg_segment_align: 8
    .kernarg_segment_size: 112
    .language:       OpenCL C
    .language_version:
      - 2
      - 0
    .max_flat_workgroup_size: 256
    .name:           _ZN7rocprim17ROCPRIM_400000_NS6detail17trampoline_kernelINS0_14default_configENS1_27scan_by_key_config_selectorIijEEZZNS1_16scan_by_key_implILNS1_25lookback_scan_determinismE0ELb0ES3_N6thrust23THRUST_200600_302600_NS6detail15normal_iteratorINS9_10device_ptrIiEEEENSB_INSC_IjEEEESG_jNS9_4plusIvEENS9_8equal_toIvEEjEE10hipError_tPvRmT2_T3_T4_T5_mT6_T7_P12ihipStream_tbENKUlT_T0_E_clISt17integral_constantIbLb1EES10_IbLb0EEEEDaSW_SX_EUlSW_E_NS1_11comp_targetILNS1_3genE10ELNS1_11target_archE1201ELNS1_3gpuE5ELNS1_3repE0EEENS1_30default_config_static_selectorELNS0_4arch9wavefront6targetE0EEEvT1_
    .private_segment_fixed_size: 0
    .sgpr_count:     0
    .sgpr_spill_count: 0
    .symbol:         _ZN7rocprim17ROCPRIM_400000_NS6detail17trampoline_kernelINS0_14default_configENS1_27scan_by_key_config_selectorIijEEZZNS1_16scan_by_key_implILNS1_25lookback_scan_determinismE0ELb0ES3_N6thrust23THRUST_200600_302600_NS6detail15normal_iteratorINS9_10device_ptrIiEEEENSB_INSC_IjEEEESG_jNS9_4plusIvEENS9_8equal_toIvEEjEE10hipError_tPvRmT2_T3_T4_T5_mT6_T7_P12ihipStream_tbENKUlT_T0_E_clISt17integral_constantIbLb1EES10_IbLb0EEEEDaSW_SX_EUlSW_E_NS1_11comp_targetILNS1_3genE10ELNS1_11target_archE1201ELNS1_3gpuE5ELNS1_3repE0EEENS1_30default_config_static_selectorELNS0_4arch9wavefront6targetE0EEEvT1_.kd
    .uniform_work_group_size: 1
    .uses_dynamic_stack: false
    .vgpr_count:     0
    .vgpr_spill_count: 0
    .wavefront_size: 32
    .workgroup_processor_mode: 1
  - .args:
      - .offset:         0
        .size:           112
        .value_kind:     by_value
    .group_segment_fixed_size: 0
    .kernarg_segment_align: 8
    .kernarg_segment_size: 112
    .language:       OpenCL C
    .language_version:
      - 2
      - 0
    .max_flat_workgroup_size: 256
    .name:           _ZN7rocprim17ROCPRIM_400000_NS6detail17trampoline_kernelINS0_14default_configENS1_27scan_by_key_config_selectorIijEEZZNS1_16scan_by_key_implILNS1_25lookback_scan_determinismE0ELb0ES3_N6thrust23THRUST_200600_302600_NS6detail15normal_iteratorINS9_10device_ptrIiEEEENSB_INSC_IjEEEESG_jNS9_4plusIvEENS9_8equal_toIvEEjEE10hipError_tPvRmT2_T3_T4_T5_mT6_T7_P12ihipStream_tbENKUlT_T0_E_clISt17integral_constantIbLb1EES10_IbLb0EEEEDaSW_SX_EUlSW_E_NS1_11comp_targetILNS1_3genE5ELNS1_11target_archE942ELNS1_3gpuE9ELNS1_3repE0EEENS1_30default_config_static_selectorELNS0_4arch9wavefront6targetE0EEEvT1_
    .private_segment_fixed_size: 0
    .sgpr_count:     0
    .sgpr_spill_count: 0
    .symbol:         _ZN7rocprim17ROCPRIM_400000_NS6detail17trampoline_kernelINS0_14default_configENS1_27scan_by_key_config_selectorIijEEZZNS1_16scan_by_key_implILNS1_25lookback_scan_determinismE0ELb0ES3_N6thrust23THRUST_200600_302600_NS6detail15normal_iteratorINS9_10device_ptrIiEEEENSB_INSC_IjEEEESG_jNS9_4plusIvEENS9_8equal_toIvEEjEE10hipError_tPvRmT2_T3_T4_T5_mT6_T7_P12ihipStream_tbENKUlT_T0_E_clISt17integral_constantIbLb1EES10_IbLb0EEEEDaSW_SX_EUlSW_E_NS1_11comp_targetILNS1_3genE5ELNS1_11target_archE942ELNS1_3gpuE9ELNS1_3repE0EEENS1_30default_config_static_selectorELNS0_4arch9wavefront6targetE0EEEvT1_.kd
    .uniform_work_group_size: 1
    .uses_dynamic_stack: false
    .vgpr_count:     0
    .vgpr_spill_count: 0
    .wavefront_size: 32
    .workgroup_processor_mode: 1
  - .args:
      - .offset:         0
        .size:           112
        .value_kind:     by_value
    .group_segment_fixed_size: 0
    .kernarg_segment_align: 8
    .kernarg_segment_size: 112
    .language:       OpenCL C
    .language_version:
      - 2
      - 0
    .max_flat_workgroup_size: 256
    .name:           _ZN7rocprim17ROCPRIM_400000_NS6detail17trampoline_kernelINS0_14default_configENS1_27scan_by_key_config_selectorIijEEZZNS1_16scan_by_key_implILNS1_25lookback_scan_determinismE0ELb0ES3_N6thrust23THRUST_200600_302600_NS6detail15normal_iteratorINS9_10device_ptrIiEEEENSB_INSC_IjEEEESG_jNS9_4plusIvEENS9_8equal_toIvEEjEE10hipError_tPvRmT2_T3_T4_T5_mT6_T7_P12ihipStream_tbENKUlT_T0_E_clISt17integral_constantIbLb1EES10_IbLb0EEEEDaSW_SX_EUlSW_E_NS1_11comp_targetILNS1_3genE4ELNS1_11target_archE910ELNS1_3gpuE8ELNS1_3repE0EEENS1_30default_config_static_selectorELNS0_4arch9wavefront6targetE0EEEvT1_
    .private_segment_fixed_size: 0
    .sgpr_count:     0
    .sgpr_spill_count: 0
    .symbol:         _ZN7rocprim17ROCPRIM_400000_NS6detail17trampoline_kernelINS0_14default_configENS1_27scan_by_key_config_selectorIijEEZZNS1_16scan_by_key_implILNS1_25lookback_scan_determinismE0ELb0ES3_N6thrust23THRUST_200600_302600_NS6detail15normal_iteratorINS9_10device_ptrIiEEEENSB_INSC_IjEEEESG_jNS9_4plusIvEENS9_8equal_toIvEEjEE10hipError_tPvRmT2_T3_T4_T5_mT6_T7_P12ihipStream_tbENKUlT_T0_E_clISt17integral_constantIbLb1EES10_IbLb0EEEEDaSW_SX_EUlSW_E_NS1_11comp_targetILNS1_3genE4ELNS1_11target_archE910ELNS1_3gpuE8ELNS1_3repE0EEENS1_30default_config_static_selectorELNS0_4arch9wavefront6targetE0EEEvT1_.kd
    .uniform_work_group_size: 1
    .uses_dynamic_stack: false
    .vgpr_count:     0
    .vgpr_spill_count: 0
    .wavefront_size: 32
    .workgroup_processor_mode: 1
  - .args:
      - .offset:         0
        .size:           112
        .value_kind:     by_value
    .group_segment_fixed_size: 0
    .kernarg_segment_align: 8
    .kernarg_segment_size: 112
    .language:       OpenCL C
    .language_version:
      - 2
      - 0
    .max_flat_workgroup_size: 256
    .name:           _ZN7rocprim17ROCPRIM_400000_NS6detail17trampoline_kernelINS0_14default_configENS1_27scan_by_key_config_selectorIijEEZZNS1_16scan_by_key_implILNS1_25lookback_scan_determinismE0ELb0ES3_N6thrust23THRUST_200600_302600_NS6detail15normal_iteratorINS9_10device_ptrIiEEEENSB_INSC_IjEEEESG_jNS9_4plusIvEENS9_8equal_toIvEEjEE10hipError_tPvRmT2_T3_T4_T5_mT6_T7_P12ihipStream_tbENKUlT_T0_E_clISt17integral_constantIbLb1EES10_IbLb0EEEEDaSW_SX_EUlSW_E_NS1_11comp_targetILNS1_3genE3ELNS1_11target_archE908ELNS1_3gpuE7ELNS1_3repE0EEENS1_30default_config_static_selectorELNS0_4arch9wavefront6targetE0EEEvT1_
    .private_segment_fixed_size: 0
    .sgpr_count:     0
    .sgpr_spill_count: 0
    .symbol:         _ZN7rocprim17ROCPRIM_400000_NS6detail17trampoline_kernelINS0_14default_configENS1_27scan_by_key_config_selectorIijEEZZNS1_16scan_by_key_implILNS1_25lookback_scan_determinismE0ELb0ES3_N6thrust23THRUST_200600_302600_NS6detail15normal_iteratorINS9_10device_ptrIiEEEENSB_INSC_IjEEEESG_jNS9_4plusIvEENS9_8equal_toIvEEjEE10hipError_tPvRmT2_T3_T4_T5_mT6_T7_P12ihipStream_tbENKUlT_T0_E_clISt17integral_constantIbLb1EES10_IbLb0EEEEDaSW_SX_EUlSW_E_NS1_11comp_targetILNS1_3genE3ELNS1_11target_archE908ELNS1_3gpuE7ELNS1_3repE0EEENS1_30default_config_static_selectorELNS0_4arch9wavefront6targetE0EEEvT1_.kd
    .uniform_work_group_size: 1
    .uses_dynamic_stack: false
    .vgpr_count:     0
    .vgpr_spill_count: 0
    .wavefront_size: 32
    .workgroup_processor_mode: 1
  - .args:
      - .offset:         0
        .size:           112
        .value_kind:     by_value
    .group_segment_fixed_size: 0
    .kernarg_segment_align: 8
    .kernarg_segment_size: 112
    .language:       OpenCL C
    .language_version:
      - 2
      - 0
    .max_flat_workgroup_size: 256
    .name:           _ZN7rocprim17ROCPRIM_400000_NS6detail17trampoline_kernelINS0_14default_configENS1_27scan_by_key_config_selectorIijEEZZNS1_16scan_by_key_implILNS1_25lookback_scan_determinismE0ELb0ES3_N6thrust23THRUST_200600_302600_NS6detail15normal_iteratorINS9_10device_ptrIiEEEENSB_INSC_IjEEEESG_jNS9_4plusIvEENS9_8equal_toIvEEjEE10hipError_tPvRmT2_T3_T4_T5_mT6_T7_P12ihipStream_tbENKUlT_T0_E_clISt17integral_constantIbLb1EES10_IbLb0EEEEDaSW_SX_EUlSW_E_NS1_11comp_targetILNS1_3genE2ELNS1_11target_archE906ELNS1_3gpuE6ELNS1_3repE0EEENS1_30default_config_static_selectorELNS0_4arch9wavefront6targetE0EEEvT1_
    .private_segment_fixed_size: 0
    .sgpr_count:     0
    .sgpr_spill_count: 0
    .symbol:         _ZN7rocprim17ROCPRIM_400000_NS6detail17trampoline_kernelINS0_14default_configENS1_27scan_by_key_config_selectorIijEEZZNS1_16scan_by_key_implILNS1_25lookback_scan_determinismE0ELb0ES3_N6thrust23THRUST_200600_302600_NS6detail15normal_iteratorINS9_10device_ptrIiEEEENSB_INSC_IjEEEESG_jNS9_4plusIvEENS9_8equal_toIvEEjEE10hipError_tPvRmT2_T3_T4_T5_mT6_T7_P12ihipStream_tbENKUlT_T0_E_clISt17integral_constantIbLb1EES10_IbLb0EEEEDaSW_SX_EUlSW_E_NS1_11comp_targetILNS1_3genE2ELNS1_11target_archE906ELNS1_3gpuE6ELNS1_3repE0EEENS1_30default_config_static_selectorELNS0_4arch9wavefront6targetE0EEEvT1_.kd
    .uniform_work_group_size: 1
    .uses_dynamic_stack: false
    .vgpr_count:     0
    .vgpr_spill_count: 0
    .wavefront_size: 32
    .workgroup_processor_mode: 1
  - .args:
      - .offset:         0
        .size:           112
        .value_kind:     by_value
    .group_segment_fixed_size: 0
    .kernarg_segment_align: 8
    .kernarg_segment_size: 112
    .language:       OpenCL C
    .language_version:
      - 2
      - 0
    .max_flat_workgroup_size: 256
    .name:           _ZN7rocprim17ROCPRIM_400000_NS6detail17trampoline_kernelINS0_14default_configENS1_27scan_by_key_config_selectorIijEEZZNS1_16scan_by_key_implILNS1_25lookback_scan_determinismE0ELb0ES3_N6thrust23THRUST_200600_302600_NS6detail15normal_iteratorINS9_10device_ptrIiEEEENSB_INSC_IjEEEESG_jNS9_4plusIvEENS9_8equal_toIvEEjEE10hipError_tPvRmT2_T3_T4_T5_mT6_T7_P12ihipStream_tbENKUlT_T0_E_clISt17integral_constantIbLb1EES10_IbLb0EEEEDaSW_SX_EUlSW_E_NS1_11comp_targetILNS1_3genE10ELNS1_11target_archE1200ELNS1_3gpuE4ELNS1_3repE0EEENS1_30default_config_static_selectorELNS0_4arch9wavefront6targetE0EEEvT1_
    .private_segment_fixed_size: 0
    .sgpr_count:     0
    .sgpr_spill_count: 0
    .symbol:         _ZN7rocprim17ROCPRIM_400000_NS6detail17trampoline_kernelINS0_14default_configENS1_27scan_by_key_config_selectorIijEEZZNS1_16scan_by_key_implILNS1_25lookback_scan_determinismE0ELb0ES3_N6thrust23THRUST_200600_302600_NS6detail15normal_iteratorINS9_10device_ptrIiEEEENSB_INSC_IjEEEESG_jNS9_4plusIvEENS9_8equal_toIvEEjEE10hipError_tPvRmT2_T3_T4_T5_mT6_T7_P12ihipStream_tbENKUlT_T0_E_clISt17integral_constantIbLb1EES10_IbLb0EEEEDaSW_SX_EUlSW_E_NS1_11comp_targetILNS1_3genE10ELNS1_11target_archE1200ELNS1_3gpuE4ELNS1_3repE0EEENS1_30default_config_static_selectorELNS0_4arch9wavefront6targetE0EEEvT1_.kd
    .uniform_work_group_size: 1
    .uses_dynamic_stack: false
    .vgpr_count:     0
    .vgpr_spill_count: 0
    .wavefront_size: 32
    .workgroup_processor_mode: 1
  - .args:
      - .offset:         0
        .size:           112
        .value_kind:     by_value
    .group_segment_fixed_size: 0
    .kernarg_segment_align: 8
    .kernarg_segment_size: 112
    .language:       OpenCL C
    .language_version:
      - 2
      - 0
    .max_flat_workgroup_size: 256
    .name:           _ZN7rocprim17ROCPRIM_400000_NS6detail17trampoline_kernelINS0_14default_configENS1_27scan_by_key_config_selectorIijEEZZNS1_16scan_by_key_implILNS1_25lookback_scan_determinismE0ELb0ES3_N6thrust23THRUST_200600_302600_NS6detail15normal_iteratorINS9_10device_ptrIiEEEENSB_INSC_IjEEEESG_jNS9_4plusIvEENS9_8equal_toIvEEjEE10hipError_tPvRmT2_T3_T4_T5_mT6_T7_P12ihipStream_tbENKUlT_T0_E_clISt17integral_constantIbLb1EES10_IbLb0EEEEDaSW_SX_EUlSW_E_NS1_11comp_targetILNS1_3genE9ELNS1_11target_archE1100ELNS1_3gpuE3ELNS1_3repE0EEENS1_30default_config_static_selectorELNS0_4arch9wavefront6targetE0EEEvT1_
    .private_segment_fixed_size: 0
    .sgpr_count:     0
    .sgpr_spill_count: 0
    .symbol:         _ZN7rocprim17ROCPRIM_400000_NS6detail17trampoline_kernelINS0_14default_configENS1_27scan_by_key_config_selectorIijEEZZNS1_16scan_by_key_implILNS1_25lookback_scan_determinismE0ELb0ES3_N6thrust23THRUST_200600_302600_NS6detail15normal_iteratorINS9_10device_ptrIiEEEENSB_INSC_IjEEEESG_jNS9_4plusIvEENS9_8equal_toIvEEjEE10hipError_tPvRmT2_T3_T4_T5_mT6_T7_P12ihipStream_tbENKUlT_T0_E_clISt17integral_constantIbLb1EES10_IbLb0EEEEDaSW_SX_EUlSW_E_NS1_11comp_targetILNS1_3genE9ELNS1_11target_archE1100ELNS1_3gpuE3ELNS1_3repE0EEENS1_30default_config_static_selectorELNS0_4arch9wavefront6targetE0EEEvT1_.kd
    .uniform_work_group_size: 1
    .uses_dynamic_stack: false
    .vgpr_count:     0
    .vgpr_spill_count: 0
    .wavefront_size: 32
    .workgroup_processor_mode: 1
  - .args:
      - .offset:         0
        .size:           112
        .value_kind:     by_value
    .group_segment_fixed_size: 0
    .kernarg_segment_align: 8
    .kernarg_segment_size: 112
    .language:       OpenCL C
    .language_version:
      - 2
      - 0
    .max_flat_workgroup_size: 256
    .name:           _ZN7rocprim17ROCPRIM_400000_NS6detail17trampoline_kernelINS0_14default_configENS1_27scan_by_key_config_selectorIijEEZZNS1_16scan_by_key_implILNS1_25lookback_scan_determinismE0ELb0ES3_N6thrust23THRUST_200600_302600_NS6detail15normal_iteratorINS9_10device_ptrIiEEEENSB_INSC_IjEEEESG_jNS9_4plusIvEENS9_8equal_toIvEEjEE10hipError_tPvRmT2_T3_T4_T5_mT6_T7_P12ihipStream_tbENKUlT_T0_E_clISt17integral_constantIbLb1EES10_IbLb0EEEEDaSW_SX_EUlSW_E_NS1_11comp_targetILNS1_3genE8ELNS1_11target_archE1030ELNS1_3gpuE2ELNS1_3repE0EEENS1_30default_config_static_selectorELNS0_4arch9wavefront6targetE0EEEvT1_
    .private_segment_fixed_size: 0
    .sgpr_count:     0
    .sgpr_spill_count: 0
    .symbol:         _ZN7rocprim17ROCPRIM_400000_NS6detail17trampoline_kernelINS0_14default_configENS1_27scan_by_key_config_selectorIijEEZZNS1_16scan_by_key_implILNS1_25lookback_scan_determinismE0ELb0ES3_N6thrust23THRUST_200600_302600_NS6detail15normal_iteratorINS9_10device_ptrIiEEEENSB_INSC_IjEEEESG_jNS9_4plusIvEENS9_8equal_toIvEEjEE10hipError_tPvRmT2_T3_T4_T5_mT6_T7_P12ihipStream_tbENKUlT_T0_E_clISt17integral_constantIbLb1EES10_IbLb0EEEEDaSW_SX_EUlSW_E_NS1_11comp_targetILNS1_3genE8ELNS1_11target_archE1030ELNS1_3gpuE2ELNS1_3repE0EEENS1_30default_config_static_selectorELNS0_4arch9wavefront6targetE0EEEvT1_.kd
    .uniform_work_group_size: 1
    .uses_dynamic_stack: false
    .vgpr_count:     0
    .vgpr_spill_count: 0
    .wavefront_size: 32
    .workgroup_processor_mode: 1
  - .args:
      - .address_space:  global
        .offset:         0
        .size:           8
        .value_kind:     global_buffer
      - .offset:         8
        .size:           4
        .value_kind:     by_value
      - .offset:         12
        .size:           4
        .value_kind:     by_value
      - .address_space:  global
        .offset:         16
        .size:           8
        .value_kind:     global_buffer
      - .address_space:  global
        .offset:         24
        .size:           8
        .value_kind:     global_buffer
      - .actual_access:  write_only
        .address_space:  global
        .offset:         32
        .size:           8
        .value_kind:     global_buffer
      - .offset:         40
        .size:           8
        .value_kind:     by_value
      - .offset:         48
        .size:           4
        .value_kind:     by_value
      - .address_space:  global
        .offset:         56
        .size:           8
        .value_kind:     global_buffer
      - .offset:         64
        .size:           4
        .value_kind:     hidden_block_count_x
      - .offset:         68
        .size:           4
        .value_kind:     hidden_block_count_y
      - .offset:         72
        .size:           4
        .value_kind:     hidden_block_count_z
      - .offset:         76
        .size:           2
        .value_kind:     hidden_group_size_x
      - .offset:         78
        .size:           2
        .value_kind:     hidden_group_size_y
      - .offset:         80
        .size:           2
        .value_kind:     hidden_group_size_z
      - .offset:         82
        .size:           2
        .value_kind:     hidden_remainder_x
      - .offset:         84
        .size:           2
        .value_kind:     hidden_remainder_y
      - .offset:         86
        .size:           2
        .value_kind:     hidden_remainder_z
      - .offset:         104
        .size:           8
        .value_kind:     hidden_global_offset_x
      - .offset:         112
        .size:           8
        .value_kind:     hidden_global_offset_y
      - .offset:         120
        .size:           8
        .value_kind:     hidden_global_offset_z
      - .offset:         128
        .size:           2
        .value_kind:     hidden_grid_dims
    .group_segment_fixed_size: 0
    .kernarg_segment_align: 8
    .kernarg_segment_size: 320
    .language:       OpenCL C
    .language_version:
      - 2
      - 0
    .max_flat_workgroup_size: 256
    .name:           _ZN7rocprim17ROCPRIM_400000_NS6detail30init_device_scan_by_key_kernelINS1_19lookback_scan_stateINS0_5tupleIJjbEEELb0ELb1EEEN6thrust23THRUST_200600_302600_NS6detail15normal_iteratorINS8_10device_ptrIiEEEEjNS1_16block_id_wrapperIjLb1EEEEEvT_jjPNSG_10value_typeET0_PNSt15iterator_traitsISJ_E10value_typeEmT1_T2_
    .private_segment_fixed_size: 0
    .sgpr_count:     19
    .sgpr_spill_count: 0
    .symbol:         _ZN7rocprim17ROCPRIM_400000_NS6detail30init_device_scan_by_key_kernelINS1_19lookback_scan_stateINS0_5tupleIJjbEEELb0ELb1EEEN6thrust23THRUST_200600_302600_NS6detail15normal_iteratorINS8_10device_ptrIiEEEEjNS1_16block_id_wrapperIjLb1EEEEEvT_jjPNSG_10value_typeET0_PNSt15iterator_traitsISJ_E10value_typeEmT1_T2_.kd
    .uniform_work_group_size: 1
    .uses_dynamic_stack: false
    .vgpr_count:     9
    .vgpr_spill_count: 0
    .wavefront_size: 32
    .workgroup_processor_mode: 1
  - .args:
      - .address_space:  global
        .offset:         0
        .size:           8
        .value_kind:     global_buffer
      - .offset:         8
        .size:           4
        .value_kind:     by_value
      - .offset:         12
        .size:           4
        .value_kind:     by_value
      - .address_space:  global
        .offset:         16
        .size:           8
        .value_kind:     global_buffer
      - .address_space:  global
        .offset:         24
        .size:           8
        .value_kind:     global_buffer
      - .offset:         32
        .size:           4
        .value_kind:     hidden_block_count_x
      - .offset:         36
        .size:           4
        .value_kind:     hidden_block_count_y
      - .offset:         40
        .size:           4
        .value_kind:     hidden_block_count_z
      - .offset:         44
        .size:           2
        .value_kind:     hidden_group_size_x
      - .offset:         46
        .size:           2
        .value_kind:     hidden_group_size_y
      - .offset:         48
        .size:           2
        .value_kind:     hidden_group_size_z
      - .offset:         50
        .size:           2
        .value_kind:     hidden_remainder_x
      - .offset:         52
        .size:           2
        .value_kind:     hidden_remainder_y
      - .offset:         54
        .size:           2
        .value_kind:     hidden_remainder_z
      - .offset:         72
        .size:           8
        .value_kind:     hidden_global_offset_x
      - .offset:         80
        .size:           8
        .value_kind:     hidden_global_offset_y
      - .offset:         88
        .size:           8
        .value_kind:     hidden_global_offset_z
      - .offset:         96
        .size:           2
        .value_kind:     hidden_grid_dims
    .group_segment_fixed_size: 0
    .kernarg_segment_align: 8
    .kernarg_segment_size: 288
    .language:       OpenCL C
    .language_version:
      - 2
      - 0
    .max_flat_workgroup_size: 256
    .name:           _ZN7rocprim17ROCPRIM_400000_NS6detail30init_device_scan_by_key_kernelINS1_19lookback_scan_stateINS0_5tupleIJjbEEELb0ELb1EEENS1_16block_id_wrapperIjLb1EEEEEvT_jjPNS9_10value_typeET0_
    .private_segment_fixed_size: 0
    .sgpr_count:     18
    .sgpr_spill_count: 0
    .symbol:         _ZN7rocprim17ROCPRIM_400000_NS6detail30init_device_scan_by_key_kernelINS1_19lookback_scan_stateINS0_5tupleIJjbEEELb0ELb1EEENS1_16block_id_wrapperIjLb1EEEEEvT_jjPNS9_10value_typeET0_.kd
    .uniform_work_group_size: 1
    .uses_dynamic_stack: false
    .vgpr_count:     8
    .vgpr_spill_count: 0
    .wavefront_size: 32
    .workgroup_processor_mode: 1
  - .args:
      - .offset:         0
        .size:           112
        .value_kind:     by_value
    .group_segment_fixed_size: 0
    .kernarg_segment_align: 8
    .kernarg_segment_size: 112
    .language:       OpenCL C
    .language_version:
      - 2
      - 0
    .max_flat_workgroup_size: 256
    .name:           _ZN7rocprim17ROCPRIM_400000_NS6detail17trampoline_kernelINS0_14default_configENS1_27scan_by_key_config_selectorIijEEZZNS1_16scan_by_key_implILNS1_25lookback_scan_determinismE0ELb0ES3_N6thrust23THRUST_200600_302600_NS6detail15normal_iteratorINS9_10device_ptrIiEEEENSB_INSC_IjEEEESG_jNS9_4plusIvEENS9_8equal_toIvEEjEE10hipError_tPvRmT2_T3_T4_T5_mT6_T7_P12ihipStream_tbENKUlT_T0_E_clISt17integral_constantIbLb0EES10_IbLb1EEEEDaSW_SX_EUlSW_E_NS1_11comp_targetILNS1_3genE0ELNS1_11target_archE4294967295ELNS1_3gpuE0ELNS1_3repE0EEENS1_30default_config_static_selectorELNS0_4arch9wavefront6targetE0EEEvT1_
    .private_segment_fixed_size: 0
    .sgpr_count:     0
    .sgpr_spill_count: 0
    .symbol:         _ZN7rocprim17ROCPRIM_400000_NS6detail17trampoline_kernelINS0_14default_configENS1_27scan_by_key_config_selectorIijEEZZNS1_16scan_by_key_implILNS1_25lookback_scan_determinismE0ELb0ES3_N6thrust23THRUST_200600_302600_NS6detail15normal_iteratorINS9_10device_ptrIiEEEENSB_INSC_IjEEEESG_jNS9_4plusIvEENS9_8equal_toIvEEjEE10hipError_tPvRmT2_T3_T4_T5_mT6_T7_P12ihipStream_tbENKUlT_T0_E_clISt17integral_constantIbLb0EES10_IbLb1EEEEDaSW_SX_EUlSW_E_NS1_11comp_targetILNS1_3genE0ELNS1_11target_archE4294967295ELNS1_3gpuE0ELNS1_3repE0EEENS1_30default_config_static_selectorELNS0_4arch9wavefront6targetE0EEEvT1_.kd
    .uniform_work_group_size: 1
    .uses_dynamic_stack: false
    .vgpr_count:     0
    .vgpr_spill_count: 0
    .wavefront_size: 32
    .workgroup_processor_mode: 1
  - .args:
      - .offset:         0
        .size:           112
        .value_kind:     by_value
    .group_segment_fixed_size: 0
    .kernarg_segment_align: 8
    .kernarg_segment_size: 112
    .language:       OpenCL C
    .language_version:
      - 2
      - 0
    .max_flat_workgroup_size: 256
    .name:           _ZN7rocprim17ROCPRIM_400000_NS6detail17trampoline_kernelINS0_14default_configENS1_27scan_by_key_config_selectorIijEEZZNS1_16scan_by_key_implILNS1_25lookback_scan_determinismE0ELb0ES3_N6thrust23THRUST_200600_302600_NS6detail15normal_iteratorINS9_10device_ptrIiEEEENSB_INSC_IjEEEESG_jNS9_4plusIvEENS9_8equal_toIvEEjEE10hipError_tPvRmT2_T3_T4_T5_mT6_T7_P12ihipStream_tbENKUlT_T0_E_clISt17integral_constantIbLb0EES10_IbLb1EEEEDaSW_SX_EUlSW_E_NS1_11comp_targetILNS1_3genE10ELNS1_11target_archE1201ELNS1_3gpuE5ELNS1_3repE0EEENS1_30default_config_static_selectorELNS0_4arch9wavefront6targetE0EEEvT1_
    .private_segment_fixed_size: 0
    .sgpr_count:     0
    .sgpr_spill_count: 0
    .symbol:         _ZN7rocprim17ROCPRIM_400000_NS6detail17trampoline_kernelINS0_14default_configENS1_27scan_by_key_config_selectorIijEEZZNS1_16scan_by_key_implILNS1_25lookback_scan_determinismE0ELb0ES3_N6thrust23THRUST_200600_302600_NS6detail15normal_iteratorINS9_10device_ptrIiEEEENSB_INSC_IjEEEESG_jNS9_4plusIvEENS9_8equal_toIvEEjEE10hipError_tPvRmT2_T3_T4_T5_mT6_T7_P12ihipStream_tbENKUlT_T0_E_clISt17integral_constantIbLb0EES10_IbLb1EEEEDaSW_SX_EUlSW_E_NS1_11comp_targetILNS1_3genE10ELNS1_11target_archE1201ELNS1_3gpuE5ELNS1_3repE0EEENS1_30default_config_static_selectorELNS0_4arch9wavefront6targetE0EEEvT1_.kd
    .uniform_work_group_size: 1
    .uses_dynamic_stack: false
    .vgpr_count:     0
    .vgpr_spill_count: 0
    .wavefront_size: 32
    .workgroup_processor_mode: 1
  - .args:
      - .offset:         0
        .size:           112
        .value_kind:     by_value
    .group_segment_fixed_size: 0
    .kernarg_segment_align: 8
    .kernarg_segment_size: 112
    .language:       OpenCL C
    .language_version:
      - 2
      - 0
    .max_flat_workgroup_size: 256
    .name:           _ZN7rocprim17ROCPRIM_400000_NS6detail17trampoline_kernelINS0_14default_configENS1_27scan_by_key_config_selectorIijEEZZNS1_16scan_by_key_implILNS1_25lookback_scan_determinismE0ELb0ES3_N6thrust23THRUST_200600_302600_NS6detail15normal_iteratorINS9_10device_ptrIiEEEENSB_INSC_IjEEEESG_jNS9_4plusIvEENS9_8equal_toIvEEjEE10hipError_tPvRmT2_T3_T4_T5_mT6_T7_P12ihipStream_tbENKUlT_T0_E_clISt17integral_constantIbLb0EES10_IbLb1EEEEDaSW_SX_EUlSW_E_NS1_11comp_targetILNS1_3genE5ELNS1_11target_archE942ELNS1_3gpuE9ELNS1_3repE0EEENS1_30default_config_static_selectorELNS0_4arch9wavefront6targetE0EEEvT1_
    .private_segment_fixed_size: 0
    .sgpr_count:     0
    .sgpr_spill_count: 0
    .symbol:         _ZN7rocprim17ROCPRIM_400000_NS6detail17trampoline_kernelINS0_14default_configENS1_27scan_by_key_config_selectorIijEEZZNS1_16scan_by_key_implILNS1_25lookback_scan_determinismE0ELb0ES3_N6thrust23THRUST_200600_302600_NS6detail15normal_iteratorINS9_10device_ptrIiEEEENSB_INSC_IjEEEESG_jNS9_4plusIvEENS9_8equal_toIvEEjEE10hipError_tPvRmT2_T3_T4_T5_mT6_T7_P12ihipStream_tbENKUlT_T0_E_clISt17integral_constantIbLb0EES10_IbLb1EEEEDaSW_SX_EUlSW_E_NS1_11comp_targetILNS1_3genE5ELNS1_11target_archE942ELNS1_3gpuE9ELNS1_3repE0EEENS1_30default_config_static_selectorELNS0_4arch9wavefront6targetE0EEEvT1_.kd
    .uniform_work_group_size: 1
    .uses_dynamic_stack: false
    .vgpr_count:     0
    .vgpr_spill_count: 0
    .wavefront_size: 32
    .workgroup_processor_mode: 1
  - .args:
      - .offset:         0
        .size:           112
        .value_kind:     by_value
    .group_segment_fixed_size: 0
    .kernarg_segment_align: 8
    .kernarg_segment_size: 112
    .language:       OpenCL C
    .language_version:
      - 2
      - 0
    .max_flat_workgroup_size: 256
    .name:           _ZN7rocprim17ROCPRIM_400000_NS6detail17trampoline_kernelINS0_14default_configENS1_27scan_by_key_config_selectorIijEEZZNS1_16scan_by_key_implILNS1_25lookback_scan_determinismE0ELb0ES3_N6thrust23THRUST_200600_302600_NS6detail15normal_iteratorINS9_10device_ptrIiEEEENSB_INSC_IjEEEESG_jNS9_4plusIvEENS9_8equal_toIvEEjEE10hipError_tPvRmT2_T3_T4_T5_mT6_T7_P12ihipStream_tbENKUlT_T0_E_clISt17integral_constantIbLb0EES10_IbLb1EEEEDaSW_SX_EUlSW_E_NS1_11comp_targetILNS1_3genE4ELNS1_11target_archE910ELNS1_3gpuE8ELNS1_3repE0EEENS1_30default_config_static_selectorELNS0_4arch9wavefront6targetE0EEEvT1_
    .private_segment_fixed_size: 0
    .sgpr_count:     0
    .sgpr_spill_count: 0
    .symbol:         _ZN7rocprim17ROCPRIM_400000_NS6detail17trampoline_kernelINS0_14default_configENS1_27scan_by_key_config_selectorIijEEZZNS1_16scan_by_key_implILNS1_25lookback_scan_determinismE0ELb0ES3_N6thrust23THRUST_200600_302600_NS6detail15normal_iteratorINS9_10device_ptrIiEEEENSB_INSC_IjEEEESG_jNS9_4plusIvEENS9_8equal_toIvEEjEE10hipError_tPvRmT2_T3_T4_T5_mT6_T7_P12ihipStream_tbENKUlT_T0_E_clISt17integral_constantIbLb0EES10_IbLb1EEEEDaSW_SX_EUlSW_E_NS1_11comp_targetILNS1_3genE4ELNS1_11target_archE910ELNS1_3gpuE8ELNS1_3repE0EEENS1_30default_config_static_selectorELNS0_4arch9wavefront6targetE0EEEvT1_.kd
    .uniform_work_group_size: 1
    .uses_dynamic_stack: false
    .vgpr_count:     0
    .vgpr_spill_count: 0
    .wavefront_size: 32
    .workgroup_processor_mode: 1
  - .args:
      - .offset:         0
        .size:           112
        .value_kind:     by_value
    .group_segment_fixed_size: 0
    .kernarg_segment_align: 8
    .kernarg_segment_size: 112
    .language:       OpenCL C
    .language_version:
      - 2
      - 0
    .max_flat_workgroup_size: 256
    .name:           _ZN7rocprim17ROCPRIM_400000_NS6detail17trampoline_kernelINS0_14default_configENS1_27scan_by_key_config_selectorIijEEZZNS1_16scan_by_key_implILNS1_25lookback_scan_determinismE0ELb0ES3_N6thrust23THRUST_200600_302600_NS6detail15normal_iteratorINS9_10device_ptrIiEEEENSB_INSC_IjEEEESG_jNS9_4plusIvEENS9_8equal_toIvEEjEE10hipError_tPvRmT2_T3_T4_T5_mT6_T7_P12ihipStream_tbENKUlT_T0_E_clISt17integral_constantIbLb0EES10_IbLb1EEEEDaSW_SX_EUlSW_E_NS1_11comp_targetILNS1_3genE3ELNS1_11target_archE908ELNS1_3gpuE7ELNS1_3repE0EEENS1_30default_config_static_selectorELNS0_4arch9wavefront6targetE0EEEvT1_
    .private_segment_fixed_size: 0
    .sgpr_count:     0
    .sgpr_spill_count: 0
    .symbol:         _ZN7rocprim17ROCPRIM_400000_NS6detail17trampoline_kernelINS0_14default_configENS1_27scan_by_key_config_selectorIijEEZZNS1_16scan_by_key_implILNS1_25lookback_scan_determinismE0ELb0ES3_N6thrust23THRUST_200600_302600_NS6detail15normal_iteratorINS9_10device_ptrIiEEEENSB_INSC_IjEEEESG_jNS9_4plusIvEENS9_8equal_toIvEEjEE10hipError_tPvRmT2_T3_T4_T5_mT6_T7_P12ihipStream_tbENKUlT_T0_E_clISt17integral_constantIbLb0EES10_IbLb1EEEEDaSW_SX_EUlSW_E_NS1_11comp_targetILNS1_3genE3ELNS1_11target_archE908ELNS1_3gpuE7ELNS1_3repE0EEENS1_30default_config_static_selectorELNS0_4arch9wavefront6targetE0EEEvT1_.kd
    .uniform_work_group_size: 1
    .uses_dynamic_stack: false
    .vgpr_count:     0
    .vgpr_spill_count: 0
    .wavefront_size: 32
    .workgroup_processor_mode: 1
  - .args:
      - .offset:         0
        .size:           112
        .value_kind:     by_value
    .group_segment_fixed_size: 0
    .kernarg_segment_align: 8
    .kernarg_segment_size: 112
    .language:       OpenCL C
    .language_version:
      - 2
      - 0
    .max_flat_workgroup_size: 256
    .name:           _ZN7rocprim17ROCPRIM_400000_NS6detail17trampoline_kernelINS0_14default_configENS1_27scan_by_key_config_selectorIijEEZZNS1_16scan_by_key_implILNS1_25lookback_scan_determinismE0ELb0ES3_N6thrust23THRUST_200600_302600_NS6detail15normal_iteratorINS9_10device_ptrIiEEEENSB_INSC_IjEEEESG_jNS9_4plusIvEENS9_8equal_toIvEEjEE10hipError_tPvRmT2_T3_T4_T5_mT6_T7_P12ihipStream_tbENKUlT_T0_E_clISt17integral_constantIbLb0EES10_IbLb1EEEEDaSW_SX_EUlSW_E_NS1_11comp_targetILNS1_3genE2ELNS1_11target_archE906ELNS1_3gpuE6ELNS1_3repE0EEENS1_30default_config_static_selectorELNS0_4arch9wavefront6targetE0EEEvT1_
    .private_segment_fixed_size: 0
    .sgpr_count:     0
    .sgpr_spill_count: 0
    .symbol:         _ZN7rocprim17ROCPRIM_400000_NS6detail17trampoline_kernelINS0_14default_configENS1_27scan_by_key_config_selectorIijEEZZNS1_16scan_by_key_implILNS1_25lookback_scan_determinismE0ELb0ES3_N6thrust23THRUST_200600_302600_NS6detail15normal_iteratorINS9_10device_ptrIiEEEENSB_INSC_IjEEEESG_jNS9_4plusIvEENS9_8equal_toIvEEjEE10hipError_tPvRmT2_T3_T4_T5_mT6_T7_P12ihipStream_tbENKUlT_T0_E_clISt17integral_constantIbLb0EES10_IbLb1EEEEDaSW_SX_EUlSW_E_NS1_11comp_targetILNS1_3genE2ELNS1_11target_archE906ELNS1_3gpuE6ELNS1_3repE0EEENS1_30default_config_static_selectorELNS0_4arch9wavefront6targetE0EEEvT1_.kd
    .uniform_work_group_size: 1
    .uses_dynamic_stack: false
    .vgpr_count:     0
    .vgpr_spill_count: 0
    .wavefront_size: 32
    .workgroup_processor_mode: 1
  - .args:
      - .offset:         0
        .size:           112
        .value_kind:     by_value
    .group_segment_fixed_size: 0
    .kernarg_segment_align: 8
    .kernarg_segment_size: 112
    .language:       OpenCL C
    .language_version:
      - 2
      - 0
    .max_flat_workgroup_size: 256
    .name:           _ZN7rocprim17ROCPRIM_400000_NS6detail17trampoline_kernelINS0_14default_configENS1_27scan_by_key_config_selectorIijEEZZNS1_16scan_by_key_implILNS1_25lookback_scan_determinismE0ELb0ES3_N6thrust23THRUST_200600_302600_NS6detail15normal_iteratorINS9_10device_ptrIiEEEENSB_INSC_IjEEEESG_jNS9_4plusIvEENS9_8equal_toIvEEjEE10hipError_tPvRmT2_T3_T4_T5_mT6_T7_P12ihipStream_tbENKUlT_T0_E_clISt17integral_constantIbLb0EES10_IbLb1EEEEDaSW_SX_EUlSW_E_NS1_11comp_targetILNS1_3genE10ELNS1_11target_archE1200ELNS1_3gpuE4ELNS1_3repE0EEENS1_30default_config_static_selectorELNS0_4arch9wavefront6targetE0EEEvT1_
    .private_segment_fixed_size: 0
    .sgpr_count:     0
    .sgpr_spill_count: 0
    .symbol:         _ZN7rocprim17ROCPRIM_400000_NS6detail17trampoline_kernelINS0_14default_configENS1_27scan_by_key_config_selectorIijEEZZNS1_16scan_by_key_implILNS1_25lookback_scan_determinismE0ELb0ES3_N6thrust23THRUST_200600_302600_NS6detail15normal_iteratorINS9_10device_ptrIiEEEENSB_INSC_IjEEEESG_jNS9_4plusIvEENS9_8equal_toIvEEjEE10hipError_tPvRmT2_T3_T4_T5_mT6_T7_P12ihipStream_tbENKUlT_T0_E_clISt17integral_constantIbLb0EES10_IbLb1EEEEDaSW_SX_EUlSW_E_NS1_11comp_targetILNS1_3genE10ELNS1_11target_archE1200ELNS1_3gpuE4ELNS1_3repE0EEENS1_30default_config_static_selectorELNS0_4arch9wavefront6targetE0EEEvT1_.kd
    .uniform_work_group_size: 1
    .uses_dynamic_stack: false
    .vgpr_count:     0
    .vgpr_spill_count: 0
    .wavefront_size: 32
    .workgroup_processor_mode: 1
  - .args:
      - .offset:         0
        .size:           112
        .value_kind:     by_value
    .group_segment_fixed_size: 0
    .kernarg_segment_align: 8
    .kernarg_segment_size: 112
    .language:       OpenCL C
    .language_version:
      - 2
      - 0
    .max_flat_workgroup_size: 256
    .name:           _ZN7rocprim17ROCPRIM_400000_NS6detail17trampoline_kernelINS0_14default_configENS1_27scan_by_key_config_selectorIijEEZZNS1_16scan_by_key_implILNS1_25lookback_scan_determinismE0ELb0ES3_N6thrust23THRUST_200600_302600_NS6detail15normal_iteratorINS9_10device_ptrIiEEEENSB_INSC_IjEEEESG_jNS9_4plusIvEENS9_8equal_toIvEEjEE10hipError_tPvRmT2_T3_T4_T5_mT6_T7_P12ihipStream_tbENKUlT_T0_E_clISt17integral_constantIbLb0EES10_IbLb1EEEEDaSW_SX_EUlSW_E_NS1_11comp_targetILNS1_3genE9ELNS1_11target_archE1100ELNS1_3gpuE3ELNS1_3repE0EEENS1_30default_config_static_selectorELNS0_4arch9wavefront6targetE0EEEvT1_
    .private_segment_fixed_size: 0
    .sgpr_count:     0
    .sgpr_spill_count: 0
    .symbol:         _ZN7rocprim17ROCPRIM_400000_NS6detail17trampoline_kernelINS0_14default_configENS1_27scan_by_key_config_selectorIijEEZZNS1_16scan_by_key_implILNS1_25lookback_scan_determinismE0ELb0ES3_N6thrust23THRUST_200600_302600_NS6detail15normal_iteratorINS9_10device_ptrIiEEEENSB_INSC_IjEEEESG_jNS9_4plusIvEENS9_8equal_toIvEEjEE10hipError_tPvRmT2_T3_T4_T5_mT6_T7_P12ihipStream_tbENKUlT_T0_E_clISt17integral_constantIbLb0EES10_IbLb1EEEEDaSW_SX_EUlSW_E_NS1_11comp_targetILNS1_3genE9ELNS1_11target_archE1100ELNS1_3gpuE3ELNS1_3repE0EEENS1_30default_config_static_selectorELNS0_4arch9wavefront6targetE0EEEvT1_.kd
    .uniform_work_group_size: 1
    .uses_dynamic_stack: false
    .vgpr_count:     0
    .vgpr_spill_count: 0
    .wavefront_size: 32
    .workgroup_processor_mode: 1
  - .args:
      - .offset:         0
        .size:           112
        .value_kind:     by_value
    .group_segment_fixed_size: 5120
    .kernarg_segment_align: 8
    .kernarg_segment_size: 112
    .language:       OpenCL C
    .language_version:
      - 2
      - 0
    .max_flat_workgroup_size: 256
    .name:           _ZN7rocprim17ROCPRIM_400000_NS6detail17trampoline_kernelINS0_14default_configENS1_27scan_by_key_config_selectorIijEEZZNS1_16scan_by_key_implILNS1_25lookback_scan_determinismE0ELb0ES3_N6thrust23THRUST_200600_302600_NS6detail15normal_iteratorINS9_10device_ptrIiEEEENSB_INSC_IjEEEESG_jNS9_4plusIvEENS9_8equal_toIvEEjEE10hipError_tPvRmT2_T3_T4_T5_mT6_T7_P12ihipStream_tbENKUlT_T0_E_clISt17integral_constantIbLb0EES10_IbLb1EEEEDaSW_SX_EUlSW_E_NS1_11comp_targetILNS1_3genE8ELNS1_11target_archE1030ELNS1_3gpuE2ELNS1_3repE0EEENS1_30default_config_static_selectorELNS0_4arch9wavefront6targetE0EEEvT1_
    .private_segment_fixed_size: 0
    .sgpr_count:     36
    .sgpr_spill_count: 0
    .symbol:         _ZN7rocprim17ROCPRIM_400000_NS6detail17trampoline_kernelINS0_14default_configENS1_27scan_by_key_config_selectorIijEEZZNS1_16scan_by_key_implILNS1_25lookback_scan_determinismE0ELb0ES3_N6thrust23THRUST_200600_302600_NS6detail15normal_iteratorINS9_10device_ptrIiEEEENSB_INSC_IjEEEESG_jNS9_4plusIvEENS9_8equal_toIvEEjEE10hipError_tPvRmT2_T3_T4_T5_mT6_T7_P12ihipStream_tbENKUlT_T0_E_clISt17integral_constantIbLb0EES10_IbLb1EEEEDaSW_SX_EUlSW_E_NS1_11comp_targetILNS1_3genE8ELNS1_11target_archE1030ELNS1_3gpuE2ELNS1_3repE0EEENS1_30default_config_static_selectorELNS0_4arch9wavefront6targetE0EEEvT1_.kd
    .uniform_work_group_size: 1
    .uses_dynamic_stack: false
    .vgpr_count:     42
    .vgpr_spill_count: 0
    .wavefront_size: 32
    .workgroup_processor_mode: 1
  - .args:
      - .offset:         0
        .size:           24
        .value_kind:     by_value
      - .offset:         24
        .size:           8
        .value_kind:     by_value
      - .offset:         32
        .size:           8
        .value_kind:     by_value
    .group_segment_fixed_size: 0
    .kernarg_segment_align: 8
    .kernarg_segment_size: 40
    .language:       OpenCL C
    .language_version:
      - 2
      - 0
    .max_flat_workgroup_size: 256
    .name:           _ZN6thrust23THRUST_200600_302600_NS11hip_rocprim14__parallel_for6kernelILj256ENS1_11__transform17unary_transform_fINS0_7pointerIiNS1_3tagENS0_11use_defaultES8_EENS0_10device_ptrItEENS4_14no_stencil_tagENS0_8identityIiEENS4_21always_true_predicateEEElLj1EEEvT0_T1_SI_
    .private_segment_fixed_size: 0
    .sgpr_count:     14
    .sgpr_spill_count: 0
    .symbol:         _ZN6thrust23THRUST_200600_302600_NS11hip_rocprim14__parallel_for6kernelILj256ENS1_11__transform17unary_transform_fINS0_7pointerIiNS1_3tagENS0_11use_defaultES8_EENS0_10device_ptrItEENS4_14no_stencil_tagENS0_8identityIiEENS4_21always_true_predicateEEElLj1EEEvT0_T1_SI_.kd
    .uniform_work_group_size: 1
    .uses_dynamic_stack: false
    .vgpr_count:     5
    .vgpr_spill_count: 0
    .wavefront_size: 32
    .workgroup_processor_mode: 1
  - .args:
      - .offset:         0
        .size:           16
        .value_kind:     by_value
      - .offset:         16
        .size:           8
        .value_kind:     by_value
      - .offset:         24
        .size:           8
        .value_kind:     by_value
    .group_segment_fixed_size: 0
    .kernarg_segment_align: 8
    .kernarg_segment_size: 32
    .language:       OpenCL C
    .language_version:
      - 2
      - 0
    .max_flat_workgroup_size: 256
    .name:           _ZN6thrust23THRUST_200600_302600_NS11hip_rocprim14__parallel_for6kernelILj256ENS1_20__uninitialized_fill7functorINS0_10device_ptrItEEtEEmLj1EEEvT0_T1_SA_
    .private_segment_fixed_size: 0
    .sgpr_count:     14
    .sgpr_spill_count: 0
    .symbol:         _ZN6thrust23THRUST_200600_302600_NS11hip_rocprim14__parallel_for6kernelILj256ENS1_20__uninitialized_fill7functorINS0_10device_ptrItEEtEEmLj1EEEvT0_T1_SA_.kd
    .uniform_work_group_size: 1
    .uses_dynamic_stack: false
    .vgpr_count:     4
    .vgpr_spill_count: 0
    .wavefront_size: 32
    .workgroup_processor_mode: 1
  - .args:
      - .address_space:  global
        .offset:         0
        .size:           8
        .value_kind:     global_buffer
      - .offset:         8
        .size:           4
        .value_kind:     by_value
      - .offset:         12
        .size:           4
        .value_kind:     by_value
      - .address_space:  global
        .offset:         16
        .size:           8
        .value_kind:     global_buffer
      - .address_space:  global
        .offset:         24
        .size:           8
        .value_kind:     global_buffer
      - .actual_access:  write_only
        .address_space:  global
        .offset:         32
        .size:           8
        .value_kind:     global_buffer
      - .offset:         40
        .size:           8
        .value_kind:     by_value
      - .offset:         48
        .size:           4
        .value_kind:     by_value
      - .offset:         52
        .size:           1
        .value_kind:     by_value
      - .offset:         56
        .size:           4
        .value_kind:     hidden_block_count_x
      - .offset:         60
        .size:           4
        .value_kind:     hidden_block_count_y
      - .offset:         64
        .size:           4
        .value_kind:     hidden_block_count_z
      - .offset:         68
        .size:           2
        .value_kind:     hidden_group_size_x
      - .offset:         70
        .size:           2
        .value_kind:     hidden_group_size_y
      - .offset:         72
        .size:           2
        .value_kind:     hidden_group_size_z
      - .offset:         74
        .size:           2
        .value_kind:     hidden_remainder_x
      - .offset:         76
        .size:           2
        .value_kind:     hidden_remainder_y
      - .offset:         78
        .size:           2
        .value_kind:     hidden_remainder_z
      - .offset:         96
        .size:           8
        .value_kind:     hidden_global_offset_x
      - .offset:         104
        .size:           8
        .value_kind:     hidden_global_offset_y
      - .offset:         112
        .size:           8
        .value_kind:     hidden_global_offset_z
      - .offset:         120
        .size:           2
        .value_kind:     hidden_grid_dims
    .group_segment_fixed_size: 0
    .kernarg_segment_align: 8
    .kernarg_segment_size: 312
    .language:       OpenCL C
    .language_version:
      - 2
      - 0
    .max_flat_workgroup_size: 256
    .name:           _ZN7rocprim17ROCPRIM_400000_NS6detail30init_device_scan_by_key_kernelINS1_19lookback_scan_stateINS0_5tupleIJtbEEELb0ELb1EEEN6thrust23THRUST_200600_302600_NS6detail15normal_iteratorINS8_10device_ptrIiEEEEjNS1_16block_id_wrapperIjLb0EEEEEvT_jjPNSG_10value_typeET0_PNSt15iterator_traitsISJ_E10value_typeEmT1_T2_
    .private_segment_fixed_size: 0
    .sgpr_count:     19
    .sgpr_spill_count: 0
    .symbol:         _ZN7rocprim17ROCPRIM_400000_NS6detail30init_device_scan_by_key_kernelINS1_19lookback_scan_stateINS0_5tupleIJtbEEELb0ELb1EEEN6thrust23THRUST_200600_302600_NS6detail15normal_iteratorINS8_10device_ptrIiEEEEjNS1_16block_id_wrapperIjLb0EEEEEvT_jjPNSG_10value_typeET0_PNSt15iterator_traitsISJ_E10value_typeEmT1_T2_.kd
    .uniform_work_group_size: 1
    .uses_dynamic_stack: false
    .vgpr_count:     7
    .vgpr_spill_count: 0
    .wavefront_size: 32
    .workgroup_processor_mode: 1
  - .args:
      - .address_space:  global
        .offset:         0
        .size:           8
        .value_kind:     global_buffer
      - .offset:         8
        .size:           4
        .value_kind:     by_value
      - .offset:         12
        .size:           4
        .value_kind:     by_value
      - .address_space:  global
        .offset:         16
        .size:           8
        .value_kind:     global_buffer
      - .offset:         24
        .size:           1
        .value_kind:     by_value
      - .offset:         32
        .size:           4
        .value_kind:     hidden_block_count_x
      - .offset:         36
        .size:           4
        .value_kind:     hidden_block_count_y
      - .offset:         40
        .size:           4
        .value_kind:     hidden_block_count_z
      - .offset:         44
        .size:           2
        .value_kind:     hidden_group_size_x
      - .offset:         46
        .size:           2
        .value_kind:     hidden_group_size_y
      - .offset:         48
        .size:           2
        .value_kind:     hidden_group_size_z
      - .offset:         50
        .size:           2
        .value_kind:     hidden_remainder_x
      - .offset:         52
        .size:           2
        .value_kind:     hidden_remainder_y
      - .offset:         54
        .size:           2
        .value_kind:     hidden_remainder_z
      - .offset:         72
        .size:           8
        .value_kind:     hidden_global_offset_x
      - .offset:         80
        .size:           8
        .value_kind:     hidden_global_offset_y
      - .offset:         88
        .size:           8
        .value_kind:     hidden_global_offset_z
      - .offset:         96
        .size:           2
        .value_kind:     hidden_grid_dims
    .group_segment_fixed_size: 0
    .kernarg_segment_align: 8
    .kernarg_segment_size: 288
    .language:       OpenCL C
    .language_version:
      - 2
      - 0
    .max_flat_workgroup_size: 256
    .name:           _ZN7rocprim17ROCPRIM_400000_NS6detail30init_device_scan_by_key_kernelINS1_19lookback_scan_stateINS0_5tupleIJtbEEELb0ELb1EEENS1_16block_id_wrapperIjLb0EEEEEvT_jjPNS9_10value_typeET0_
    .private_segment_fixed_size: 0
    .sgpr_count:     12
    .sgpr_spill_count: 0
    .symbol:         _ZN7rocprim17ROCPRIM_400000_NS6detail30init_device_scan_by_key_kernelINS1_19lookback_scan_stateINS0_5tupleIJtbEEELb0ELb1EEENS1_16block_id_wrapperIjLb0EEEEEvT_jjPNS9_10value_typeET0_.kd
    .uniform_work_group_size: 1
    .uses_dynamic_stack: false
    .vgpr_count:     7
    .vgpr_spill_count: 0
    .wavefront_size: 32
    .workgroup_processor_mode: 1
  - .args:
      - .offset:         0
        .size:           112
        .value_kind:     by_value
    .group_segment_fixed_size: 0
    .kernarg_segment_align: 8
    .kernarg_segment_size: 112
    .language:       OpenCL C
    .language_version:
      - 2
      - 0
    .max_flat_workgroup_size: 256
    .name:           _ZN7rocprim17ROCPRIM_400000_NS6detail17trampoline_kernelINS0_14default_configENS1_27scan_by_key_config_selectorIitEEZZNS1_16scan_by_key_implILNS1_25lookback_scan_determinismE0ELb0ES3_N6thrust23THRUST_200600_302600_NS6detail15normal_iteratorINS9_10device_ptrIiEEEENSB_INSC_ItEEEESG_tNS9_4plusIvEENS9_8equal_toIvEEtEE10hipError_tPvRmT2_T3_T4_T5_mT6_T7_P12ihipStream_tbENKUlT_T0_E_clISt17integral_constantIbLb0EES11_EEDaSW_SX_EUlSW_E_NS1_11comp_targetILNS1_3genE0ELNS1_11target_archE4294967295ELNS1_3gpuE0ELNS1_3repE0EEENS1_30default_config_static_selectorELNS0_4arch9wavefront6targetE0EEEvT1_
    .private_segment_fixed_size: 0
    .sgpr_count:     0
    .sgpr_spill_count: 0
    .symbol:         _ZN7rocprim17ROCPRIM_400000_NS6detail17trampoline_kernelINS0_14default_configENS1_27scan_by_key_config_selectorIitEEZZNS1_16scan_by_key_implILNS1_25lookback_scan_determinismE0ELb0ES3_N6thrust23THRUST_200600_302600_NS6detail15normal_iteratorINS9_10device_ptrIiEEEENSB_INSC_ItEEEESG_tNS9_4plusIvEENS9_8equal_toIvEEtEE10hipError_tPvRmT2_T3_T4_T5_mT6_T7_P12ihipStream_tbENKUlT_T0_E_clISt17integral_constantIbLb0EES11_EEDaSW_SX_EUlSW_E_NS1_11comp_targetILNS1_3genE0ELNS1_11target_archE4294967295ELNS1_3gpuE0ELNS1_3repE0EEENS1_30default_config_static_selectorELNS0_4arch9wavefront6targetE0EEEvT1_.kd
    .uniform_work_group_size: 1
    .uses_dynamic_stack: false
    .vgpr_count:     0
    .vgpr_spill_count: 0
    .wavefront_size: 32
    .workgroup_processor_mode: 1
  - .args:
      - .offset:         0
        .size:           112
        .value_kind:     by_value
    .group_segment_fixed_size: 0
    .kernarg_segment_align: 8
    .kernarg_segment_size: 112
    .language:       OpenCL C
    .language_version:
      - 2
      - 0
    .max_flat_workgroup_size: 256
    .name:           _ZN7rocprim17ROCPRIM_400000_NS6detail17trampoline_kernelINS0_14default_configENS1_27scan_by_key_config_selectorIitEEZZNS1_16scan_by_key_implILNS1_25lookback_scan_determinismE0ELb0ES3_N6thrust23THRUST_200600_302600_NS6detail15normal_iteratorINS9_10device_ptrIiEEEENSB_INSC_ItEEEESG_tNS9_4plusIvEENS9_8equal_toIvEEtEE10hipError_tPvRmT2_T3_T4_T5_mT6_T7_P12ihipStream_tbENKUlT_T0_E_clISt17integral_constantIbLb0EES11_EEDaSW_SX_EUlSW_E_NS1_11comp_targetILNS1_3genE10ELNS1_11target_archE1201ELNS1_3gpuE5ELNS1_3repE0EEENS1_30default_config_static_selectorELNS0_4arch9wavefront6targetE0EEEvT1_
    .private_segment_fixed_size: 0
    .sgpr_count:     0
    .sgpr_spill_count: 0
    .symbol:         _ZN7rocprim17ROCPRIM_400000_NS6detail17trampoline_kernelINS0_14default_configENS1_27scan_by_key_config_selectorIitEEZZNS1_16scan_by_key_implILNS1_25lookback_scan_determinismE0ELb0ES3_N6thrust23THRUST_200600_302600_NS6detail15normal_iteratorINS9_10device_ptrIiEEEENSB_INSC_ItEEEESG_tNS9_4plusIvEENS9_8equal_toIvEEtEE10hipError_tPvRmT2_T3_T4_T5_mT6_T7_P12ihipStream_tbENKUlT_T0_E_clISt17integral_constantIbLb0EES11_EEDaSW_SX_EUlSW_E_NS1_11comp_targetILNS1_3genE10ELNS1_11target_archE1201ELNS1_3gpuE5ELNS1_3repE0EEENS1_30default_config_static_selectorELNS0_4arch9wavefront6targetE0EEEvT1_.kd
    .uniform_work_group_size: 1
    .uses_dynamic_stack: false
    .vgpr_count:     0
    .vgpr_spill_count: 0
    .wavefront_size: 32
    .workgroup_processor_mode: 1
  - .args:
      - .offset:         0
        .size:           112
        .value_kind:     by_value
    .group_segment_fixed_size: 0
    .kernarg_segment_align: 8
    .kernarg_segment_size: 112
    .language:       OpenCL C
    .language_version:
      - 2
      - 0
    .max_flat_workgroup_size: 256
    .name:           _ZN7rocprim17ROCPRIM_400000_NS6detail17trampoline_kernelINS0_14default_configENS1_27scan_by_key_config_selectorIitEEZZNS1_16scan_by_key_implILNS1_25lookback_scan_determinismE0ELb0ES3_N6thrust23THRUST_200600_302600_NS6detail15normal_iteratorINS9_10device_ptrIiEEEENSB_INSC_ItEEEESG_tNS9_4plusIvEENS9_8equal_toIvEEtEE10hipError_tPvRmT2_T3_T4_T5_mT6_T7_P12ihipStream_tbENKUlT_T0_E_clISt17integral_constantIbLb0EES11_EEDaSW_SX_EUlSW_E_NS1_11comp_targetILNS1_3genE5ELNS1_11target_archE942ELNS1_3gpuE9ELNS1_3repE0EEENS1_30default_config_static_selectorELNS0_4arch9wavefront6targetE0EEEvT1_
    .private_segment_fixed_size: 0
    .sgpr_count:     0
    .sgpr_spill_count: 0
    .symbol:         _ZN7rocprim17ROCPRIM_400000_NS6detail17trampoline_kernelINS0_14default_configENS1_27scan_by_key_config_selectorIitEEZZNS1_16scan_by_key_implILNS1_25lookback_scan_determinismE0ELb0ES3_N6thrust23THRUST_200600_302600_NS6detail15normal_iteratorINS9_10device_ptrIiEEEENSB_INSC_ItEEEESG_tNS9_4plusIvEENS9_8equal_toIvEEtEE10hipError_tPvRmT2_T3_T4_T5_mT6_T7_P12ihipStream_tbENKUlT_T0_E_clISt17integral_constantIbLb0EES11_EEDaSW_SX_EUlSW_E_NS1_11comp_targetILNS1_3genE5ELNS1_11target_archE942ELNS1_3gpuE9ELNS1_3repE0EEENS1_30default_config_static_selectorELNS0_4arch9wavefront6targetE0EEEvT1_.kd
    .uniform_work_group_size: 1
    .uses_dynamic_stack: false
    .vgpr_count:     0
    .vgpr_spill_count: 0
    .wavefront_size: 32
    .workgroup_processor_mode: 1
  - .args:
      - .offset:         0
        .size:           112
        .value_kind:     by_value
    .group_segment_fixed_size: 0
    .kernarg_segment_align: 8
    .kernarg_segment_size: 112
    .language:       OpenCL C
    .language_version:
      - 2
      - 0
    .max_flat_workgroup_size: 64
    .name:           _ZN7rocprim17ROCPRIM_400000_NS6detail17trampoline_kernelINS0_14default_configENS1_27scan_by_key_config_selectorIitEEZZNS1_16scan_by_key_implILNS1_25lookback_scan_determinismE0ELb0ES3_N6thrust23THRUST_200600_302600_NS6detail15normal_iteratorINS9_10device_ptrIiEEEENSB_INSC_ItEEEESG_tNS9_4plusIvEENS9_8equal_toIvEEtEE10hipError_tPvRmT2_T3_T4_T5_mT6_T7_P12ihipStream_tbENKUlT_T0_E_clISt17integral_constantIbLb0EES11_EEDaSW_SX_EUlSW_E_NS1_11comp_targetILNS1_3genE4ELNS1_11target_archE910ELNS1_3gpuE8ELNS1_3repE0EEENS1_30default_config_static_selectorELNS0_4arch9wavefront6targetE0EEEvT1_
    .private_segment_fixed_size: 0
    .sgpr_count:     0
    .sgpr_spill_count: 0
    .symbol:         _ZN7rocprim17ROCPRIM_400000_NS6detail17trampoline_kernelINS0_14default_configENS1_27scan_by_key_config_selectorIitEEZZNS1_16scan_by_key_implILNS1_25lookback_scan_determinismE0ELb0ES3_N6thrust23THRUST_200600_302600_NS6detail15normal_iteratorINS9_10device_ptrIiEEEENSB_INSC_ItEEEESG_tNS9_4plusIvEENS9_8equal_toIvEEtEE10hipError_tPvRmT2_T3_T4_T5_mT6_T7_P12ihipStream_tbENKUlT_T0_E_clISt17integral_constantIbLb0EES11_EEDaSW_SX_EUlSW_E_NS1_11comp_targetILNS1_3genE4ELNS1_11target_archE910ELNS1_3gpuE8ELNS1_3repE0EEENS1_30default_config_static_selectorELNS0_4arch9wavefront6targetE0EEEvT1_.kd
    .uniform_work_group_size: 1
    .uses_dynamic_stack: false
    .vgpr_count:     0
    .vgpr_spill_count: 0
    .wavefront_size: 32
    .workgroup_processor_mode: 1
  - .args:
      - .offset:         0
        .size:           112
        .value_kind:     by_value
    .group_segment_fixed_size: 0
    .kernarg_segment_align: 8
    .kernarg_segment_size: 112
    .language:       OpenCL C
    .language_version:
      - 2
      - 0
    .max_flat_workgroup_size: 256
    .name:           _ZN7rocprim17ROCPRIM_400000_NS6detail17trampoline_kernelINS0_14default_configENS1_27scan_by_key_config_selectorIitEEZZNS1_16scan_by_key_implILNS1_25lookback_scan_determinismE0ELb0ES3_N6thrust23THRUST_200600_302600_NS6detail15normal_iteratorINS9_10device_ptrIiEEEENSB_INSC_ItEEEESG_tNS9_4plusIvEENS9_8equal_toIvEEtEE10hipError_tPvRmT2_T3_T4_T5_mT6_T7_P12ihipStream_tbENKUlT_T0_E_clISt17integral_constantIbLb0EES11_EEDaSW_SX_EUlSW_E_NS1_11comp_targetILNS1_3genE3ELNS1_11target_archE908ELNS1_3gpuE7ELNS1_3repE0EEENS1_30default_config_static_selectorELNS0_4arch9wavefront6targetE0EEEvT1_
    .private_segment_fixed_size: 0
    .sgpr_count:     0
    .sgpr_spill_count: 0
    .symbol:         _ZN7rocprim17ROCPRIM_400000_NS6detail17trampoline_kernelINS0_14default_configENS1_27scan_by_key_config_selectorIitEEZZNS1_16scan_by_key_implILNS1_25lookback_scan_determinismE0ELb0ES3_N6thrust23THRUST_200600_302600_NS6detail15normal_iteratorINS9_10device_ptrIiEEEENSB_INSC_ItEEEESG_tNS9_4plusIvEENS9_8equal_toIvEEtEE10hipError_tPvRmT2_T3_T4_T5_mT6_T7_P12ihipStream_tbENKUlT_T0_E_clISt17integral_constantIbLb0EES11_EEDaSW_SX_EUlSW_E_NS1_11comp_targetILNS1_3genE3ELNS1_11target_archE908ELNS1_3gpuE7ELNS1_3repE0EEENS1_30default_config_static_selectorELNS0_4arch9wavefront6targetE0EEEvT1_.kd
    .uniform_work_group_size: 1
    .uses_dynamic_stack: false
    .vgpr_count:     0
    .vgpr_spill_count: 0
    .wavefront_size: 32
    .workgroup_processor_mode: 1
  - .args:
      - .offset:         0
        .size:           112
        .value_kind:     by_value
    .group_segment_fixed_size: 0
    .kernarg_segment_align: 8
    .kernarg_segment_size: 112
    .language:       OpenCL C
    .language_version:
      - 2
      - 0
    .max_flat_workgroup_size: 64
    .name:           _ZN7rocprim17ROCPRIM_400000_NS6detail17trampoline_kernelINS0_14default_configENS1_27scan_by_key_config_selectorIitEEZZNS1_16scan_by_key_implILNS1_25lookback_scan_determinismE0ELb0ES3_N6thrust23THRUST_200600_302600_NS6detail15normal_iteratorINS9_10device_ptrIiEEEENSB_INSC_ItEEEESG_tNS9_4plusIvEENS9_8equal_toIvEEtEE10hipError_tPvRmT2_T3_T4_T5_mT6_T7_P12ihipStream_tbENKUlT_T0_E_clISt17integral_constantIbLb0EES11_EEDaSW_SX_EUlSW_E_NS1_11comp_targetILNS1_3genE2ELNS1_11target_archE906ELNS1_3gpuE6ELNS1_3repE0EEENS1_30default_config_static_selectorELNS0_4arch9wavefront6targetE0EEEvT1_
    .private_segment_fixed_size: 0
    .sgpr_count:     0
    .sgpr_spill_count: 0
    .symbol:         _ZN7rocprim17ROCPRIM_400000_NS6detail17trampoline_kernelINS0_14default_configENS1_27scan_by_key_config_selectorIitEEZZNS1_16scan_by_key_implILNS1_25lookback_scan_determinismE0ELb0ES3_N6thrust23THRUST_200600_302600_NS6detail15normal_iteratorINS9_10device_ptrIiEEEENSB_INSC_ItEEEESG_tNS9_4plusIvEENS9_8equal_toIvEEtEE10hipError_tPvRmT2_T3_T4_T5_mT6_T7_P12ihipStream_tbENKUlT_T0_E_clISt17integral_constantIbLb0EES11_EEDaSW_SX_EUlSW_E_NS1_11comp_targetILNS1_3genE2ELNS1_11target_archE906ELNS1_3gpuE6ELNS1_3repE0EEENS1_30default_config_static_selectorELNS0_4arch9wavefront6targetE0EEEvT1_.kd
    .uniform_work_group_size: 1
    .uses_dynamic_stack: false
    .vgpr_count:     0
    .vgpr_spill_count: 0
    .wavefront_size: 32
    .workgroup_processor_mode: 1
  - .args:
      - .offset:         0
        .size:           112
        .value_kind:     by_value
    .group_segment_fixed_size: 0
    .kernarg_segment_align: 8
    .kernarg_segment_size: 112
    .language:       OpenCL C
    .language_version:
      - 2
      - 0
    .max_flat_workgroup_size: 256
    .name:           _ZN7rocprim17ROCPRIM_400000_NS6detail17trampoline_kernelINS0_14default_configENS1_27scan_by_key_config_selectorIitEEZZNS1_16scan_by_key_implILNS1_25lookback_scan_determinismE0ELb0ES3_N6thrust23THRUST_200600_302600_NS6detail15normal_iteratorINS9_10device_ptrIiEEEENSB_INSC_ItEEEESG_tNS9_4plusIvEENS9_8equal_toIvEEtEE10hipError_tPvRmT2_T3_T4_T5_mT6_T7_P12ihipStream_tbENKUlT_T0_E_clISt17integral_constantIbLb0EES11_EEDaSW_SX_EUlSW_E_NS1_11comp_targetILNS1_3genE10ELNS1_11target_archE1200ELNS1_3gpuE4ELNS1_3repE0EEENS1_30default_config_static_selectorELNS0_4arch9wavefront6targetE0EEEvT1_
    .private_segment_fixed_size: 0
    .sgpr_count:     0
    .sgpr_spill_count: 0
    .symbol:         _ZN7rocprim17ROCPRIM_400000_NS6detail17trampoline_kernelINS0_14default_configENS1_27scan_by_key_config_selectorIitEEZZNS1_16scan_by_key_implILNS1_25lookback_scan_determinismE0ELb0ES3_N6thrust23THRUST_200600_302600_NS6detail15normal_iteratorINS9_10device_ptrIiEEEENSB_INSC_ItEEEESG_tNS9_4plusIvEENS9_8equal_toIvEEtEE10hipError_tPvRmT2_T3_T4_T5_mT6_T7_P12ihipStream_tbENKUlT_T0_E_clISt17integral_constantIbLb0EES11_EEDaSW_SX_EUlSW_E_NS1_11comp_targetILNS1_3genE10ELNS1_11target_archE1200ELNS1_3gpuE4ELNS1_3repE0EEENS1_30default_config_static_selectorELNS0_4arch9wavefront6targetE0EEEvT1_.kd
    .uniform_work_group_size: 1
    .uses_dynamic_stack: false
    .vgpr_count:     0
    .vgpr_spill_count: 0
    .wavefront_size: 32
    .workgroup_processor_mode: 1
  - .args:
      - .offset:         0
        .size:           112
        .value_kind:     by_value
    .group_segment_fixed_size: 0
    .kernarg_segment_align: 8
    .kernarg_segment_size: 112
    .language:       OpenCL C
    .language_version:
      - 2
      - 0
    .max_flat_workgroup_size: 64
    .name:           _ZN7rocprim17ROCPRIM_400000_NS6detail17trampoline_kernelINS0_14default_configENS1_27scan_by_key_config_selectorIitEEZZNS1_16scan_by_key_implILNS1_25lookback_scan_determinismE0ELb0ES3_N6thrust23THRUST_200600_302600_NS6detail15normal_iteratorINS9_10device_ptrIiEEEENSB_INSC_ItEEEESG_tNS9_4plusIvEENS9_8equal_toIvEEtEE10hipError_tPvRmT2_T3_T4_T5_mT6_T7_P12ihipStream_tbENKUlT_T0_E_clISt17integral_constantIbLb0EES11_EEDaSW_SX_EUlSW_E_NS1_11comp_targetILNS1_3genE9ELNS1_11target_archE1100ELNS1_3gpuE3ELNS1_3repE0EEENS1_30default_config_static_selectorELNS0_4arch9wavefront6targetE0EEEvT1_
    .private_segment_fixed_size: 0
    .sgpr_count:     0
    .sgpr_spill_count: 0
    .symbol:         _ZN7rocprim17ROCPRIM_400000_NS6detail17trampoline_kernelINS0_14default_configENS1_27scan_by_key_config_selectorIitEEZZNS1_16scan_by_key_implILNS1_25lookback_scan_determinismE0ELb0ES3_N6thrust23THRUST_200600_302600_NS6detail15normal_iteratorINS9_10device_ptrIiEEEENSB_INSC_ItEEEESG_tNS9_4plusIvEENS9_8equal_toIvEEtEE10hipError_tPvRmT2_T3_T4_T5_mT6_T7_P12ihipStream_tbENKUlT_T0_E_clISt17integral_constantIbLb0EES11_EEDaSW_SX_EUlSW_E_NS1_11comp_targetILNS1_3genE9ELNS1_11target_archE1100ELNS1_3gpuE3ELNS1_3repE0EEENS1_30default_config_static_selectorELNS0_4arch9wavefront6targetE0EEEvT1_.kd
    .uniform_work_group_size: 1
    .uses_dynamic_stack: false
    .vgpr_count:     0
    .vgpr_spill_count: 0
    .wavefront_size: 32
    .workgroup_processor_mode: 1
  - .args:
      - .offset:         0
        .size:           112
        .value_kind:     by_value
    .group_segment_fixed_size: 2304
    .kernarg_segment_align: 8
    .kernarg_segment_size: 112
    .language:       OpenCL C
    .language_version:
      - 2
      - 0
    .max_flat_workgroup_size: 64
    .name:           _ZN7rocprim17ROCPRIM_400000_NS6detail17trampoline_kernelINS0_14default_configENS1_27scan_by_key_config_selectorIitEEZZNS1_16scan_by_key_implILNS1_25lookback_scan_determinismE0ELb0ES3_N6thrust23THRUST_200600_302600_NS6detail15normal_iteratorINS9_10device_ptrIiEEEENSB_INSC_ItEEEESG_tNS9_4plusIvEENS9_8equal_toIvEEtEE10hipError_tPvRmT2_T3_T4_T5_mT6_T7_P12ihipStream_tbENKUlT_T0_E_clISt17integral_constantIbLb0EES11_EEDaSW_SX_EUlSW_E_NS1_11comp_targetILNS1_3genE8ELNS1_11target_archE1030ELNS1_3gpuE2ELNS1_3repE0EEENS1_30default_config_static_selectorELNS0_4arch9wavefront6targetE0EEEvT1_
    .private_segment_fixed_size: 0
    .sgpr_count:     38
    .sgpr_spill_count: 0
    .symbol:         _ZN7rocprim17ROCPRIM_400000_NS6detail17trampoline_kernelINS0_14default_configENS1_27scan_by_key_config_selectorIitEEZZNS1_16scan_by_key_implILNS1_25lookback_scan_determinismE0ELb0ES3_N6thrust23THRUST_200600_302600_NS6detail15normal_iteratorINS9_10device_ptrIiEEEENSB_INSC_ItEEEESG_tNS9_4plusIvEENS9_8equal_toIvEEtEE10hipError_tPvRmT2_T3_T4_T5_mT6_T7_P12ihipStream_tbENKUlT_T0_E_clISt17integral_constantIbLb0EES11_EEDaSW_SX_EUlSW_E_NS1_11comp_targetILNS1_3genE8ELNS1_11target_archE1030ELNS1_3gpuE2ELNS1_3repE0EEENS1_30default_config_static_selectorELNS0_4arch9wavefront6targetE0EEEvT1_.kd
    .uniform_work_group_size: 1
    .uses_dynamic_stack: false
    .vgpr_count:     37
    .vgpr_spill_count: 0
    .wavefront_size: 32
    .workgroup_processor_mode: 1
  - .args:
      - .address_space:  global
        .offset:         0
        .size:           8
        .value_kind:     global_buffer
      - .offset:         8
        .size:           4
        .value_kind:     by_value
      - .offset:         12
        .size:           4
        .value_kind:     by_value
      - .address_space:  global
        .offset:         16
        .size:           8
        .value_kind:     global_buffer
      - .address_space:  global
        .offset:         24
        .size:           8
        .value_kind:     global_buffer
      - .actual_access:  write_only
        .address_space:  global
        .offset:         32
        .size:           8
        .value_kind:     global_buffer
      - .offset:         40
        .size:           8
        .value_kind:     by_value
      - .offset:         48
        .size:           4
        .value_kind:     by_value
      - .address_space:  global
        .offset:         56
        .size:           8
        .value_kind:     global_buffer
      - .offset:         64
        .size:           4
        .value_kind:     hidden_block_count_x
      - .offset:         68
        .size:           4
        .value_kind:     hidden_block_count_y
      - .offset:         72
        .size:           4
        .value_kind:     hidden_block_count_z
      - .offset:         76
        .size:           2
        .value_kind:     hidden_group_size_x
      - .offset:         78
        .size:           2
        .value_kind:     hidden_group_size_y
      - .offset:         80
        .size:           2
        .value_kind:     hidden_group_size_z
      - .offset:         82
        .size:           2
        .value_kind:     hidden_remainder_x
      - .offset:         84
        .size:           2
        .value_kind:     hidden_remainder_y
      - .offset:         86
        .size:           2
        .value_kind:     hidden_remainder_z
      - .offset:         104
        .size:           8
        .value_kind:     hidden_global_offset_x
      - .offset:         112
        .size:           8
        .value_kind:     hidden_global_offset_y
      - .offset:         120
        .size:           8
        .value_kind:     hidden_global_offset_z
      - .offset:         128
        .size:           2
        .value_kind:     hidden_grid_dims
    .group_segment_fixed_size: 0
    .kernarg_segment_align: 8
    .kernarg_segment_size: 320
    .language:       OpenCL C
    .language_version:
      - 2
      - 0
    .max_flat_workgroup_size: 256
    .name:           _ZN7rocprim17ROCPRIM_400000_NS6detail30init_device_scan_by_key_kernelINS1_19lookback_scan_stateINS0_5tupleIJtbEEELb1ELb1EEEN6thrust23THRUST_200600_302600_NS6detail15normal_iteratorINS8_10device_ptrIiEEEEjNS1_16block_id_wrapperIjLb1EEEEEvT_jjPNSG_10value_typeET0_PNSt15iterator_traitsISJ_E10value_typeEmT1_T2_
    .private_segment_fixed_size: 0
    .sgpr_count:     19
    .sgpr_spill_count: 0
    .symbol:         _ZN7rocprim17ROCPRIM_400000_NS6detail30init_device_scan_by_key_kernelINS1_19lookback_scan_stateINS0_5tupleIJtbEEELb1ELb1EEEN6thrust23THRUST_200600_302600_NS6detail15normal_iteratorINS8_10device_ptrIiEEEEjNS1_16block_id_wrapperIjLb1EEEEEvT_jjPNSG_10value_typeET0_PNSt15iterator_traitsISJ_E10value_typeEmT1_T2_.kd
    .uniform_work_group_size: 1
    .uses_dynamic_stack: false
    .vgpr_count:     7
    .vgpr_spill_count: 0
    .wavefront_size: 32
    .workgroup_processor_mode: 1
  - .args:
      - .address_space:  global
        .offset:         0
        .size:           8
        .value_kind:     global_buffer
      - .offset:         8
        .size:           4
        .value_kind:     by_value
      - .offset:         12
        .size:           4
        .value_kind:     by_value
      - .address_space:  global
        .offset:         16
        .size:           8
        .value_kind:     global_buffer
      - .address_space:  global
        .offset:         24
        .size:           8
        .value_kind:     global_buffer
      - .offset:         32
        .size:           4
        .value_kind:     hidden_block_count_x
      - .offset:         36
        .size:           4
        .value_kind:     hidden_block_count_y
      - .offset:         40
        .size:           4
        .value_kind:     hidden_block_count_z
      - .offset:         44
        .size:           2
        .value_kind:     hidden_group_size_x
      - .offset:         46
        .size:           2
        .value_kind:     hidden_group_size_y
      - .offset:         48
        .size:           2
        .value_kind:     hidden_group_size_z
      - .offset:         50
        .size:           2
        .value_kind:     hidden_remainder_x
      - .offset:         52
        .size:           2
        .value_kind:     hidden_remainder_y
      - .offset:         54
        .size:           2
        .value_kind:     hidden_remainder_z
      - .offset:         72
        .size:           8
        .value_kind:     hidden_global_offset_x
      - .offset:         80
        .size:           8
        .value_kind:     hidden_global_offset_y
      - .offset:         88
        .size:           8
        .value_kind:     hidden_global_offset_z
      - .offset:         96
        .size:           2
        .value_kind:     hidden_grid_dims
    .group_segment_fixed_size: 0
    .kernarg_segment_align: 8
    .kernarg_segment_size: 288
    .language:       OpenCL C
    .language_version:
      - 2
      - 0
    .max_flat_workgroup_size: 256
    .name:           _ZN7rocprim17ROCPRIM_400000_NS6detail30init_device_scan_by_key_kernelINS1_19lookback_scan_stateINS0_5tupleIJtbEEELb1ELb1EEENS1_16block_id_wrapperIjLb1EEEEEvT_jjPNS9_10value_typeET0_
    .private_segment_fixed_size: 0
    .sgpr_count:     18
    .sgpr_spill_count: 0
    .symbol:         _ZN7rocprim17ROCPRIM_400000_NS6detail30init_device_scan_by_key_kernelINS1_19lookback_scan_stateINS0_5tupleIJtbEEELb1ELb1EEENS1_16block_id_wrapperIjLb1EEEEEvT_jjPNS9_10value_typeET0_.kd
    .uniform_work_group_size: 1
    .uses_dynamic_stack: false
    .vgpr_count:     7
    .vgpr_spill_count: 0
    .wavefront_size: 32
    .workgroup_processor_mode: 1
  - .args:
      - .offset:         0
        .size:           112
        .value_kind:     by_value
    .group_segment_fixed_size: 0
    .kernarg_segment_align: 8
    .kernarg_segment_size: 112
    .language:       OpenCL C
    .language_version:
      - 2
      - 0
    .max_flat_workgroup_size: 256
    .name:           _ZN7rocprim17ROCPRIM_400000_NS6detail17trampoline_kernelINS0_14default_configENS1_27scan_by_key_config_selectorIitEEZZNS1_16scan_by_key_implILNS1_25lookback_scan_determinismE0ELb0ES3_N6thrust23THRUST_200600_302600_NS6detail15normal_iteratorINS9_10device_ptrIiEEEENSB_INSC_ItEEEESG_tNS9_4plusIvEENS9_8equal_toIvEEtEE10hipError_tPvRmT2_T3_T4_T5_mT6_T7_P12ihipStream_tbENKUlT_T0_E_clISt17integral_constantIbLb1EES11_EEDaSW_SX_EUlSW_E_NS1_11comp_targetILNS1_3genE0ELNS1_11target_archE4294967295ELNS1_3gpuE0ELNS1_3repE0EEENS1_30default_config_static_selectorELNS0_4arch9wavefront6targetE0EEEvT1_
    .private_segment_fixed_size: 0
    .sgpr_count:     0
    .sgpr_spill_count: 0
    .symbol:         _ZN7rocprim17ROCPRIM_400000_NS6detail17trampoline_kernelINS0_14default_configENS1_27scan_by_key_config_selectorIitEEZZNS1_16scan_by_key_implILNS1_25lookback_scan_determinismE0ELb0ES3_N6thrust23THRUST_200600_302600_NS6detail15normal_iteratorINS9_10device_ptrIiEEEENSB_INSC_ItEEEESG_tNS9_4plusIvEENS9_8equal_toIvEEtEE10hipError_tPvRmT2_T3_T4_T5_mT6_T7_P12ihipStream_tbENKUlT_T0_E_clISt17integral_constantIbLb1EES11_EEDaSW_SX_EUlSW_E_NS1_11comp_targetILNS1_3genE0ELNS1_11target_archE4294967295ELNS1_3gpuE0ELNS1_3repE0EEENS1_30default_config_static_selectorELNS0_4arch9wavefront6targetE0EEEvT1_.kd
    .uniform_work_group_size: 1
    .uses_dynamic_stack: false
    .vgpr_count:     0
    .vgpr_spill_count: 0
    .wavefront_size: 32
    .workgroup_processor_mode: 1
  - .args:
      - .offset:         0
        .size:           112
        .value_kind:     by_value
    .group_segment_fixed_size: 0
    .kernarg_segment_align: 8
    .kernarg_segment_size: 112
    .language:       OpenCL C
    .language_version:
      - 2
      - 0
    .max_flat_workgroup_size: 256
    .name:           _ZN7rocprim17ROCPRIM_400000_NS6detail17trampoline_kernelINS0_14default_configENS1_27scan_by_key_config_selectorIitEEZZNS1_16scan_by_key_implILNS1_25lookback_scan_determinismE0ELb0ES3_N6thrust23THRUST_200600_302600_NS6detail15normal_iteratorINS9_10device_ptrIiEEEENSB_INSC_ItEEEESG_tNS9_4plusIvEENS9_8equal_toIvEEtEE10hipError_tPvRmT2_T3_T4_T5_mT6_T7_P12ihipStream_tbENKUlT_T0_E_clISt17integral_constantIbLb1EES11_EEDaSW_SX_EUlSW_E_NS1_11comp_targetILNS1_3genE10ELNS1_11target_archE1201ELNS1_3gpuE5ELNS1_3repE0EEENS1_30default_config_static_selectorELNS0_4arch9wavefront6targetE0EEEvT1_
    .private_segment_fixed_size: 0
    .sgpr_count:     0
    .sgpr_spill_count: 0
    .symbol:         _ZN7rocprim17ROCPRIM_400000_NS6detail17trampoline_kernelINS0_14default_configENS1_27scan_by_key_config_selectorIitEEZZNS1_16scan_by_key_implILNS1_25lookback_scan_determinismE0ELb0ES3_N6thrust23THRUST_200600_302600_NS6detail15normal_iteratorINS9_10device_ptrIiEEEENSB_INSC_ItEEEESG_tNS9_4plusIvEENS9_8equal_toIvEEtEE10hipError_tPvRmT2_T3_T4_T5_mT6_T7_P12ihipStream_tbENKUlT_T0_E_clISt17integral_constantIbLb1EES11_EEDaSW_SX_EUlSW_E_NS1_11comp_targetILNS1_3genE10ELNS1_11target_archE1201ELNS1_3gpuE5ELNS1_3repE0EEENS1_30default_config_static_selectorELNS0_4arch9wavefront6targetE0EEEvT1_.kd
    .uniform_work_group_size: 1
    .uses_dynamic_stack: false
    .vgpr_count:     0
    .vgpr_spill_count: 0
    .wavefront_size: 32
    .workgroup_processor_mode: 1
  - .args:
      - .offset:         0
        .size:           112
        .value_kind:     by_value
    .group_segment_fixed_size: 0
    .kernarg_segment_align: 8
    .kernarg_segment_size: 112
    .language:       OpenCL C
    .language_version:
      - 2
      - 0
    .max_flat_workgroup_size: 256
    .name:           _ZN7rocprim17ROCPRIM_400000_NS6detail17trampoline_kernelINS0_14default_configENS1_27scan_by_key_config_selectorIitEEZZNS1_16scan_by_key_implILNS1_25lookback_scan_determinismE0ELb0ES3_N6thrust23THRUST_200600_302600_NS6detail15normal_iteratorINS9_10device_ptrIiEEEENSB_INSC_ItEEEESG_tNS9_4plusIvEENS9_8equal_toIvEEtEE10hipError_tPvRmT2_T3_T4_T5_mT6_T7_P12ihipStream_tbENKUlT_T0_E_clISt17integral_constantIbLb1EES11_EEDaSW_SX_EUlSW_E_NS1_11comp_targetILNS1_3genE5ELNS1_11target_archE942ELNS1_3gpuE9ELNS1_3repE0EEENS1_30default_config_static_selectorELNS0_4arch9wavefront6targetE0EEEvT1_
    .private_segment_fixed_size: 0
    .sgpr_count:     0
    .sgpr_spill_count: 0
    .symbol:         _ZN7rocprim17ROCPRIM_400000_NS6detail17trampoline_kernelINS0_14default_configENS1_27scan_by_key_config_selectorIitEEZZNS1_16scan_by_key_implILNS1_25lookback_scan_determinismE0ELb0ES3_N6thrust23THRUST_200600_302600_NS6detail15normal_iteratorINS9_10device_ptrIiEEEENSB_INSC_ItEEEESG_tNS9_4plusIvEENS9_8equal_toIvEEtEE10hipError_tPvRmT2_T3_T4_T5_mT6_T7_P12ihipStream_tbENKUlT_T0_E_clISt17integral_constantIbLb1EES11_EEDaSW_SX_EUlSW_E_NS1_11comp_targetILNS1_3genE5ELNS1_11target_archE942ELNS1_3gpuE9ELNS1_3repE0EEENS1_30default_config_static_selectorELNS0_4arch9wavefront6targetE0EEEvT1_.kd
    .uniform_work_group_size: 1
    .uses_dynamic_stack: false
    .vgpr_count:     0
    .vgpr_spill_count: 0
    .wavefront_size: 32
    .workgroup_processor_mode: 1
  - .args:
      - .offset:         0
        .size:           112
        .value_kind:     by_value
    .group_segment_fixed_size: 0
    .kernarg_segment_align: 8
    .kernarg_segment_size: 112
    .language:       OpenCL C
    .language_version:
      - 2
      - 0
    .max_flat_workgroup_size: 64
    .name:           _ZN7rocprim17ROCPRIM_400000_NS6detail17trampoline_kernelINS0_14default_configENS1_27scan_by_key_config_selectorIitEEZZNS1_16scan_by_key_implILNS1_25lookback_scan_determinismE0ELb0ES3_N6thrust23THRUST_200600_302600_NS6detail15normal_iteratorINS9_10device_ptrIiEEEENSB_INSC_ItEEEESG_tNS9_4plusIvEENS9_8equal_toIvEEtEE10hipError_tPvRmT2_T3_T4_T5_mT6_T7_P12ihipStream_tbENKUlT_T0_E_clISt17integral_constantIbLb1EES11_EEDaSW_SX_EUlSW_E_NS1_11comp_targetILNS1_3genE4ELNS1_11target_archE910ELNS1_3gpuE8ELNS1_3repE0EEENS1_30default_config_static_selectorELNS0_4arch9wavefront6targetE0EEEvT1_
    .private_segment_fixed_size: 0
    .sgpr_count:     0
    .sgpr_spill_count: 0
    .symbol:         _ZN7rocprim17ROCPRIM_400000_NS6detail17trampoline_kernelINS0_14default_configENS1_27scan_by_key_config_selectorIitEEZZNS1_16scan_by_key_implILNS1_25lookback_scan_determinismE0ELb0ES3_N6thrust23THRUST_200600_302600_NS6detail15normal_iteratorINS9_10device_ptrIiEEEENSB_INSC_ItEEEESG_tNS9_4plusIvEENS9_8equal_toIvEEtEE10hipError_tPvRmT2_T3_T4_T5_mT6_T7_P12ihipStream_tbENKUlT_T0_E_clISt17integral_constantIbLb1EES11_EEDaSW_SX_EUlSW_E_NS1_11comp_targetILNS1_3genE4ELNS1_11target_archE910ELNS1_3gpuE8ELNS1_3repE0EEENS1_30default_config_static_selectorELNS0_4arch9wavefront6targetE0EEEvT1_.kd
    .uniform_work_group_size: 1
    .uses_dynamic_stack: false
    .vgpr_count:     0
    .vgpr_spill_count: 0
    .wavefront_size: 32
    .workgroup_processor_mode: 1
  - .args:
      - .offset:         0
        .size:           112
        .value_kind:     by_value
    .group_segment_fixed_size: 0
    .kernarg_segment_align: 8
    .kernarg_segment_size: 112
    .language:       OpenCL C
    .language_version:
      - 2
      - 0
    .max_flat_workgroup_size: 256
    .name:           _ZN7rocprim17ROCPRIM_400000_NS6detail17trampoline_kernelINS0_14default_configENS1_27scan_by_key_config_selectorIitEEZZNS1_16scan_by_key_implILNS1_25lookback_scan_determinismE0ELb0ES3_N6thrust23THRUST_200600_302600_NS6detail15normal_iteratorINS9_10device_ptrIiEEEENSB_INSC_ItEEEESG_tNS9_4plusIvEENS9_8equal_toIvEEtEE10hipError_tPvRmT2_T3_T4_T5_mT6_T7_P12ihipStream_tbENKUlT_T0_E_clISt17integral_constantIbLb1EES11_EEDaSW_SX_EUlSW_E_NS1_11comp_targetILNS1_3genE3ELNS1_11target_archE908ELNS1_3gpuE7ELNS1_3repE0EEENS1_30default_config_static_selectorELNS0_4arch9wavefront6targetE0EEEvT1_
    .private_segment_fixed_size: 0
    .sgpr_count:     0
    .sgpr_spill_count: 0
    .symbol:         _ZN7rocprim17ROCPRIM_400000_NS6detail17trampoline_kernelINS0_14default_configENS1_27scan_by_key_config_selectorIitEEZZNS1_16scan_by_key_implILNS1_25lookback_scan_determinismE0ELb0ES3_N6thrust23THRUST_200600_302600_NS6detail15normal_iteratorINS9_10device_ptrIiEEEENSB_INSC_ItEEEESG_tNS9_4plusIvEENS9_8equal_toIvEEtEE10hipError_tPvRmT2_T3_T4_T5_mT6_T7_P12ihipStream_tbENKUlT_T0_E_clISt17integral_constantIbLb1EES11_EEDaSW_SX_EUlSW_E_NS1_11comp_targetILNS1_3genE3ELNS1_11target_archE908ELNS1_3gpuE7ELNS1_3repE0EEENS1_30default_config_static_selectorELNS0_4arch9wavefront6targetE0EEEvT1_.kd
    .uniform_work_group_size: 1
    .uses_dynamic_stack: false
    .vgpr_count:     0
    .vgpr_spill_count: 0
    .wavefront_size: 32
    .workgroup_processor_mode: 1
  - .args:
      - .offset:         0
        .size:           112
        .value_kind:     by_value
    .group_segment_fixed_size: 0
    .kernarg_segment_align: 8
    .kernarg_segment_size: 112
    .language:       OpenCL C
    .language_version:
      - 2
      - 0
    .max_flat_workgroup_size: 64
    .name:           _ZN7rocprim17ROCPRIM_400000_NS6detail17trampoline_kernelINS0_14default_configENS1_27scan_by_key_config_selectorIitEEZZNS1_16scan_by_key_implILNS1_25lookback_scan_determinismE0ELb0ES3_N6thrust23THRUST_200600_302600_NS6detail15normal_iteratorINS9_10device_ptrIiEEEENSB_INSC_ItEEEESG_tNS9_4plusIvEENS9_8equal_toIvEEtEE10hipError_tPvRmT2_T3_T4_T5_mT6_T7_P12ihipStream_tbENKUlT_T0_E_clISt17integral_constantIbLb1EES11_EEDaSW_SX_EUlSW_E_NS1_11comp_targetILNS1_3genE2ELNS1_11target_archE906ELNS1_3gpuE6ELNS1_3repE0EEENS1_30default_config_static_selectorELNS0_4arch9wavefront6targetE0EEEvT1_
    .private_segment_fixed_size: 0
    .sgpr_count:     0
    .sgpr_spill_count: 0
    .symbol:         _ZN7rocprim17ROCPRIM_400000_NS6detail17trampoline_kernelINS0_14default_configENS1_27scan_by_key_config_selectorIitEEZZNS1_16scan_by_key_implILNS1_25lookback_scan_determinismE0ELb0ES3_N6thrust23THRUST_200600_302600_NS6detail15normal_iteratorINS9_10device_ptrIiEEEENSB_INSC_ItEEEESG_tNS9_4plusIvEENS9_8equal_toIvEEtEE10hipError_tPvRmT2_T3_T4_T5_mT6_T7_P12ihipStream_tbENKUlT_T0_E_clISt17integral_constantIbLb1EES11_EEDaSW_SX_EUlSW_E_NS1_11comp_targetILNS1_3genE2ELNS1_11target_archE906ELNS1_3gpuE6ELNS1_3repE0EEENS1_30default_config_static_selectorELNS0_4arch9wavefront6targetE0EEEvT1_.kd
    .uniform_work_group_size: 1
    .uses_dynamic_stack: false
    .vgpr_count:     0
    .vgpr_spill_count: 0
    .wavefront_size: 32
    .workgroup_processor_mode: 1
  - .args:
      - .offset:         0
        .size:           112
        .value_kind:     by_value
    .group_segment_fixed_size: 0
    .kernarg_segment_align: 8
    .kernarg_segment_size: 112
    .language:       OpenCL C
    .language_version:
      - 2
      - 0
    .max_flat_workgroup_size: 256
    .name:           _ZN7rocprim17ROCPRIM_400000_NS6detail17trampoline_kernelINS0_14default_configENS1_27scan_by_key_config_selectorIitEEZZNS1_16scan_by_key_implILNS1_25lookback_scan_determinismE0ELb0ES3_N6thrust23THRUST_200600_302600_NS6detail15normal_iteratorINS9_10device_ptrIiEEEENSB_INSC_ItEEEESG_tNS9_4plusIvEENS9_8equal_toIvEEtEE10hipError_tPvRmT2_T3_T4_T5_mT6_T7_P12ihipStream_tbENKUlT_T0_E_clISt17integral_constantIbLb1EES11_EEDaSW_SX_EUlSW_E_NS1_11comp_targetILNS1_3genE10ELNS1_11target_archE1200ELNS1_3gpuE4ELNS1_3repE0EEENS1_30default_config_static_selectorELNS0_4arch9wavefront6targetE0EEEvT1_
    .private_segment_fixed_size: 0
    .sgpr_count:     0
    .sgpr_spill_count: 0
    .symbol:         _ZN7rocprim17ROCPRIM_400000_NS6detail17trampoline_kernelINS0_14default_configENS1_27scan_by_key_config_selectorIitEEZZNS1_16scan_by_key_implILNS1_25lookback_scan_determinismE0ELb0ES3_N6thrust23THRUST_200600_302600_NS6detail15normal_iteratorINS9_10device_ptrIiEEEENSB_INSC_ItEEEESG_tNS9_4plusIvEENS9_8equal_toIvEEtEE10hipError_tPvRmT2_T3_T4_T5_mT6_T7_P12ihipStream_tbENKUlT_T0_E_clISt17integral_constantIbLb1EES11_EEDaSW_SX_EUlSW_E_NS1_11comp_targetILNS1_3genE10ELNS1_11target_archE1200ELNS1_3gpuE4ELNS1_3repE0EEENS1_30default_config_static_selectorELNS0_4arch9wavefront6targetE0EEEvT1_.kd
    .uniform_work_group_size: 1
    .uses_dynamic_stack: false
    .vgpr_count:     0
    .vgpr_spill_count: 0
    .wavefront_size: 32
    .workgroup_processor_mode: 1
  - .args:
      - .offset:         0
        .size:           112
        .value_kind:     by_value
    .group_segment_fixed_size: 0
    .kernarg_segment_align: 8
    .kernarg_segment_size: 112
    .language:       OpenCL C
    .language_version:
      - 2
      - 0
    .max_flat_workgroup_size: 64
    .name:           _ZN7rocprim17ROCPRIM_400000_NS6detail17trampoline_kernelINS0_14default_configENS1_27scan_by_key_config_selectorIitEEZZNS1_16scan_by_key_implILNS1_25lookback_scan_determinismE0ELb0ES3_N6thrust23THRUST_200600_302600_NS6detail15normal_iteratorINS9_10device_ptrIiEEEENSB_INSC_ItEEEESG_tNS9_4plusIvEENS9_8equal_toIvEEtEE10hipError_tPvRmT2_T3_T4_T5_mT6_T7_P12ihipStream_tbENKUlT_T0_E_clISt17integral_constantIbLb1EES11_EEDaSW_SX_EUlSW_E_NS1_11comp_targetILNS1_3genE9ELNS1_11target_archE1100ELNS1_3gpuE3ELNS1_3repE0EEENS1_30default_config_static_selectorELNS0_4arch9wavefront6targetE0EEEvT1_
    .private_segment_fixed_size: 0
    .sgpr_count:     0
    .sgpr_spill_count: 0
    .symbol:         _ZN7rocprim17ROCPRIM_400000_NS6detail17trampoline_kernelINS0_14default_configENS1_27scan_by_key_config_selectorIitEEZZNS1_16scan_by_key_implILNS1_25lookback_scan_determinismE0ELb0ES3_N6thrust23THRUST_200600_302600_NS6detail15normal_iteratorINS9_10device_ptrIiEEEENSB_INSC_ItEEEESG_tNS9_4plusIvEENS9_8equal_toIvEEtEE10hipError_tPvRmT2_T3_T4_T5_mT6_T7_P12ihipStream_tbENKUlT_T0_E_clISt17integral_constantIbLb1EES11_EEDaSW_SX_EUlSW_E_NS1_11comp_targetILNS1_3genE9ELNS1_11target_archE1100ELNS1_3gpuE3ELNS1_3repE0EEENS1_30default_config_static_selectorELNS0_4arch9wavefront6targetE0EEEvT1_.kd
    .uniform_work_group_size: 1
    .uses_dynamic_stack: false
    .vgpr_count:     0
    .vgpr_spill_count: 0
    .wavefront_size: 32
    .workgroup_processor_mode: 1
  - .args:
      - .offset:         0
        .size:           112
        .value_kind:     by_value
    .group_segment_fixed_size: 0
    .kernarg_segment_align: 8
    .kernarg_segment_size: 112
    .language:       OpenCL C
    .language_version:
      - 2
      - 0
    .max_flat_workgroup_size: 64
    .name:           _ZN7rocprim17ROCPRIM_400000_NS6detail17trampoline_kernelINS0_14default_configENS1_27scan_by_key_config_selectorIitEEZZNS1_16scan_by_key_implILNS1_25lookback_scan_determinismE0ELb0ES3_N6thrust23THRUST_200600_302600_NS6detail15normal_iteratorINS9_10device_ptrIiEEEENSB_INSC_ItEEEESG_tNS9_4plusIvEENS9_8equal_toIvEEtEE10hipError_tPvRmT2_T3_T4_T5_mT6_T7_P12ihipStream_tbENKUlT_T0_E_clISt17integral_constantIbLb1EES11_EEDaSW_SX_EUlSW_E_NS1_11comp_targetILNS1_3genE8ELNS1_11target_archE1030ELNS1_3gpuE2ELNS1_3repE0EEENS1_30default_config_static_selectorELNS0_4arch9wavefront6targetE0EEEvT1_
    .private_segment_fixed_size: 0
    .sgpr_count:     0
    .sgpr_spill_count: 0
    .symbol:         _ZN7rocprim17ROCPRIM_400000_NS6detail17trampoline_kernelINS0_14default_configENS1_27scan_by_key_config_selectorIitEEZZNS1_16scan_by_key_implILNS1_25lookback_scan_determinismE0ELb0ES3_N6thrust23THRUST_200600_302600_NS6detail15normal_iteratorINS9_10device_ptrIiEEEENSB_INSC_ItEEEESG_tNS9_4plusIvEENS9_8equal_toIvEEtEE10hipError_tPvRmT2_T3_T4_T5_mT6_T7_P12ihipStream_tbENKUlT_T0_E_clISt17integral_constantIbLb1EES11_EEDaSW_SX_EUlSW_E_NS1_11comp_targetILNS1_3genE8ELNS1_11target_archE1030ELNS1_3gpuE2ELNS1_3repE0EEENS1_30default_config_static_selectorELNS0_4arch9wavefront6targetE0EEEvT1_.kd
    .uniform_work_group_size: 1
    .uses_dynamic_stack: false
    .vgpr_count:     0
    .vgpr_spill_count: 0
    .wavefront_size: 32
    .workgroup_processor_mode: 1
  - .args:
      - .address_space:  global
        .offset:         0
        .size:           8
        .value_kind:     global_buffer
      - .offset:         8
        .size:           4
        .value_kind:     by_value
      - .offset:         12
        .size:           4
        .value_kind:     by_value
      - .address_space:  global
        .offset:         16
        .size:           8
        .value_kind:     global_buffer
      - .address_space:  global
        .offset:         24
        .size:           8
        .value_kind:     global_buffer
      - .actual_access:  write_only
        .address_space:  global
        .offset:         32
        .size:           8
        .value_kind:     global_buffer
      - .offset:         40
        .size:           8
        .value_kind:     by_value
      - .offset:         48
        .size:           4
        .value_kind:     by_value
      - .offset:         52
        .size:           1
        .value_kind:     by_value
      - .offset:         56
        .size:           4
        .value_kind:     hidden_block_count_x
      - .offset:         60
        .size:           4
        .value_kind:     hidden_block_count_y
      - .offset:         64
        .size:           4
        .value_kind:     hidden_block_count_z
      - .offset:         68
        .size:           2
        .value_kind:     hidden_group_size_x
      - .offset:         70
        .size:           2
        .value_kind:     hidden_group_size_y
      - .offset:         72
        .size:           2
        .value_kind:     hidden_group_size_z
      - .offset:         74
        .size:           2
        .value_kind:     hidden_remainder_x
      - .offset:         76
        .size:           2
        .value_kind:     hidden_remainder_y
      - .offset:         78
        .size:           2
        .value_kind:     hidden_remainder_z
      - .offset:         96
        .size:           8
        .value_kind:     hidden_global_offset_x
      - .offset:         104
        .size:           8
        .value_kind:     hidden_global_offset_y
      - .offset:         112
        .size:           8
        .value_kind:     hidden_global_offset_z
      - .offset:         120
        .size:           2
        .value_kind:     hidden_grid_dims
    .group_segment_fixed_size: 0
    .kernarg_segment_align: 8
    .kernarg_segment_size: 312
    .language:       OpenCL C
    .language_version:
      - 2
      - 0
    .max_flat_workgroup_size: 256
    .name:           _ZN7rocprim17ROCPRIM_400000_NS6detail30init_device_scan_by_key_kernelINS1_19lookback_scan_stateINS0_5tupleIJtbEEELb1ELb1EEEN6thrust23THRUST_200600_302600_NS6detail15normal_iteratorINS8_10device_ptrIiEEEEjNS1_16block_id_wrapperIjLb0EEEEEvT_jjPNSG_10value_typeET0_PNSt15iterator_traitsISJ_E10value_typeEmT1_T2_
    .private_segment_fixed_size: 0
    .sgpr_count:     19
    .sgpr_spill_count: 0
    .symbol:         _ZN7rocprim17ROCPRIM_400000_NS6detail30init_device_scan_by_key_kernelINS1_19lookback_scan_stateINS0_5tupleIJtbEEELb1ELb1EEEN6thrust23THRUST_200600_302600_NS6detail15normal_iteratorINS8_10device_ptrIiEEEEjNS1_16block_id_wrapperIjLb0EEEEEvT_jjPNSG_10value_typeET0_PNSt15iterator_traitsISJ_E10value_typeEmT1_T2_.kd
    .uniform_work_group_size: 1
    .uses_dynamic_stack: false
    .vgpr_count:     7
    .vgpr_spill_count: 0
    .wavefront_size: 32
    .workgroup_processor_mode: 1
  - .args:
      - .address_space:  global
        .offset:         0
        .size:           8
        .value_kind:     global_buffer
      - .offset:         8
        .size:           4
        .value_kind:     by_value
      - .offset:         12
        .size:           4
        .value_kind:     by_value
      - .address_space:  global
        .offset:         16
        .size:           8
        .value_kind:     global_buffer
      - .offset:         24
        .size:           1
        .value_kind:     by_value
      - .offset:         32
        .size:           4
        .value_kind:     hidden_block_count_x
      - .offset:         36
        .size:           4
        .value_kind:     hidden_block_count_y
      - .offset:         40
        .size:           4
        .value_kind:     hidden_block_count_z
      - .offset:         44
        .size:           2
        .value_kind:     hidden_group_size_x
      - .offset:         46
        .size:           2
        .value_kind:     hidden_group_size_y
      - .offset:         48
        .size:           2
        .value_kind:     hidden_group_size_z
      - .offset:         50
        .size:           2
        .value_kind:     hidden_remainder_x
      - .offset:         52
        .size:           2
        .value_kind:     hidden_remainder_y
      - .offset:         54
        .size:           2
        .value_kind:     hidden_remainder_z
      - .offset:         72
        .size:           8
        .value_kind:     hidden_global_offset_x
      - .offset:         80
        .size:           8
        .value_kind:     hidden_global_offset_y
      - .offset:         88
        .size:           8
        .value_kind:     hidden_global_offset_z
      - .offset:         96
        .size:           2
        .value_kind:     hidden_grid_dims
    .group_segment_fixed_size: 0
    .kernarg_segment_align: 8
    .kernarg_segment_size: 288
    .language:       OpenCL C
    .language_version:
      - 2
      - 0
    .max_flat_workgroup_size: 256
    .name:           _ZN7rocprim17ROCPRIM_400000_NS6detail30init_device_scan_by_key_kernelINS1_19lookback_scan_stateINS0_5tupleIJtbEEELb1ELb1EEENS1_16block_id_wrapperIjLb0EEEEEvT_jjPNS9_10value_typeET0_
    .private_segment_fixed_size: 0
    .sgpr_count:     12
    .sgpr_spill_count: 0
    .symbol:         _ZN7rocprim17ROCPRIM_400000_NS6detail30init_device_scan_by_key_kernelINS1_19lookback_scan_stateINS0_5tupleIJtbEEELb1ELb1EEENS1_16block_id_wrapperIjLb0EEEEEvT_jjPNS9_10value_typeET0_.kd
    .uniform_work_group_size: 1
    .uses_dynamic_stack: false
    .vgpr_count:     7
    .vgpr_spill_count: 0
    .wavefront_size: 32
    .workgroup_processor_mode: 1
  - .args:
      - .offset:         0
        .size:           112
        .value_kind:     by_value
    .group_segment_fixed_size: 0
    .kernarg_segment_align: 8
    .kernarg_segment_size: 112
    .language:       OpenCL C
    .language_version:
      - 2
      - 0
    .max_flat_workgroup_size: 256
    .name:           _ZN7rocprim17ROCPRIM_400000_NS6detail17trampoline_kernelINS0_14default_configENS1_27scan_by_key_config_selectorIitEEZZNS1_16scan_by_key_implILNS1_25lookback_scan_determinismE0ELb0ES3_N6thrust23THRUST_200600_302600_NS6detail15normal_iteratorINS9_10device_ptrIiEEEENSB_INSC_ItEEEESG_tNS9_4plusIvEENS9_8equal_toIvEEtEE10hipError_tPvRmT2_T3_T4_T5_mT6_T7_P12ihipStream_tbENKUlT_T0_E_clISt17integral_constantIbLb1EES10_IbLb0EEEEDaSW_SX_EUlSW_E_NS1_11comp_targetILNS1_3genE0ELNS1_11target_archE4294967295ELNS1_3gpuE0ELNS1_3repE0EEENS1_30default_config_static_selectorELNS0_4arch9wavefront6targetE0EEEvT1_
    .private_segment_fixed_size: 0
    .sgpr_count:     0
    .sgpr_spill_count: 0
    .symbol:         _ZN7rocprim17ROCPRIM_400000_NS6detail17trampoline_kernelINS0_14default_configENS1_27scan_by_key_config_selectorIitEEZZNS1_16scan_by_key_implILNS1_25lookback_scan_determinismE0ELb0ES3_N6thrust23THRUST_200600_302600_NS6detail15normal_iteratorINS9_10device_ptrIiEEEENSB_INSC_ItEEEESG_tNS9_4plusIvEENS9_8equal_toIvEEtEE10hipError_tPvRmT2_T3_T4_T5_mT6_T7_P12ihipStream_tbENKUlT_T0_E_clISt17integral_constantIbLb1EES10_IbLb0EEEEDaSW_SX_EUlSW_E_NS1_11comp_targetILNS1_3genE0ELNS1_11target_archE4294967295ELNS1_3gpuE0ELNS1_3repE0EEENS1_30default_config_static_selectorELNS0_4arch9wavefront6targetE0EEEvT1_.kd
    .uniform_work_group_size: 1
    .uses_dynamic_stack: false
    .vgpr_count:     0
    .vgpr_spill_count: 0
    .wavefront_size: 32
    .workgroup_processor_mode: 1
  - .args:
      - .offset:         0
        .size:           112
        .value_kind:     by_value
    .group_segment_fixed_size: 0
    .kernarg_segment_align: 8
    .kernarg_segment_size: 112
    .language:       OpenCL C
    .language_version:
      - 2
      - 0
    .max_flat_workgroup_size: 256
    .name:           _ZN7rocprim17ROCPRIM_400000_NS6detail17trampoline_kernelINS0_14default_configENS1_27scan_by_key_config_selectorIitEEZZNS1_16scan_by_key_implILNS1_25lookback_scan_determinismE0ELb0ES3_N6thrust23THRUST_200600_302600_NS6detail15normal_iteratorINS9_10device_ptrIiEEEENSB_INSC_ItEEEESG_tNS9_4plusIvEENS9_8equal_toIvEEtEE10hipError_tPvRmT2_T3_T4_T5_mT6_T7_P12ihipStream_tbENKUlT_T0_E_clISt17integral_constantIbLb1EES10_IbLb0EEEEDaSW_SX_EUlSW_E_NS1_11comp_targetILNS1_3genE10ELNS1_11target_archE1201ELNS1_3gpuE5ELNS1_3repE0EEENS1_30default_config_static_selectorELNS0_4arch9wavefront6targetE0EEEvT1_
    .private_segment_fixed_size: 0
    .sgpr_count:     0
    .sgpr_spill_count: 0
    .symbol:         _ZN7rocprim17ROCPRIM_400000_NS6detail17trampoline_kernelINS0_14default_configENS1_27scan_by_key_config_selectorIitEEZZNS1_16scan_by_key_implILNS1_25lookback_scan_determinismE0ELb0ES3_N6thrust23THRUST_200600_302600_NS6detail15normal_iteratorINS9_10device_ptrIiEEEENSB_INSC_ItEEEESG_tNS9_4plusIvEENS9_8equal_toIvEEtEE10hipError_tPvRmT2_T3_T4_T5_mT6_T7_P12ihipStream_tbENKUlT_T0_E_clISt17integral_constantIbLb1EES10_IbLb0EEEEDaSW_SX_EUlSW_E_NS1_11comp_targetILNS1_3genE10ELNS1_11target_archE1201ELNS1_3gpuE5ELNS1_3repE0EEENS1_30default_config_static_selectorELNS0_4arch9wavefront6targetE0EEEvT1_.kd
    .uniform_work_group_size: 1
    .uses_dynamic_stack: false
    .vgpr_count:     0
    .vgpr_spill_count: 0
    .wavefront_size: 32
    .workgroup_processor_mode: 1
  - .args:
      - .offset:         0
        .size:           112
        .value_kind:     by_value
    .group_segment_fixed_size: 0
    .kernarg_segment_align: 8
    .kernarg_segment_size: 112
    .language:       OpenCL C
    .language_version:
      - 2
      - 0
    .max_flat_workgroup_size: 256
    .name:           _ZN7rocprim17ROCPRIM_400000_NS6detail17trampoline_kernelINS0_14default_configENS1_27scan_by_key_config_selectorIitEEZZNS1_16scan_by_key_implILNS1_25lookback_scan_determinismE0ELb0ES3_N6thrust23THRUST_200600_302600_NS6detail15normal_iteratorINS9_10device_ptrIiEEEENSB_INSC_ItEEEESG_tNS9_4plusIvEENS9_8equal_toIvEEtEE10hipError_tPvRmT2_T3_T4_T5_mT6_T7_P12ihipStream_tbENKUlT_T0_E_clISt17integral_constantIbLb1EES10_IbLb0EEEEDaSW_SX_EUlSW_E_NS1_11comp_targetILNS1_3genE5ELNS1_11target_archE942ELNS1_3gpuE9ELNS1_3repE0EEENS1_30default_config_static_selectorELNS0_4arch9wavefront6targetE0EEEvT1_
    .private_segment_fixed_size: 0
    .sgpr_count:     0
    .sgpr_spill_count: 0
    .symbol:         _ZN7rocprim17ROCPRIM_400000_NS6detail17trampoline_kernelINS0_14default_configENS1_27scan_by_key_config_selectorIitEEZZNS1_16scan_by_key_implILNS1_25lookback_scan_determinismE0ELb0ES3_N6thrust23THRUST_200600_302600_NS6detail15normal_iteratorINS9_10device_ptrIiEEEENSB_INSC_ItEEEESG_tNS9_4plusIvEENS9_8equal_toIvEEtEE10hipError_tPvRmT2_T3_T4_T5_mT6_T7_P12ihipStream_tbENKUlT_T0_E_clISt17integral_constantIbLb1EES10_IbLb0EEEEDaSW_SX_EUlSW_E_NS1_11comp_targetILNS1_3genE5ELNS1_11target_archE942ELNS1_3gpuE9ELNS1_3repE0EEENS1_30default_config_static_selectorELNS0_4arch9wavefront6targetE0EEEvT1_.kd
    .uniform_work_group_size: 1
    .uses_dynamic_stack: false
    .vgpr_count:     0
    .vgpr_spill_count: 0
    .wavefront_size: 32
    .workgroup_processor_mode: 1
  - .args:
      - .offset:         0
        .size:           112
        .value_kind:     by_value
    .group_segment_fixed_size: 0
    .kernarg_segment_align: 8
    .kernarg_segment_size: 112
    .language:       OpenCL C
    .language_version:
      - 2
      - 0
    .max_flat_workgroup_size: 64
    .name:           _ZN7rocprim17ROCPRIM_400000_NS6detail17trampoline_kernelINS0_14default_configENS1_27scan_by_key_config_selectorIitEEZZNS1_16scan_by_key_implILNS1_25lookback_scan_determinismE0ELb0ES3_N6thrust23THRUST_200600_302600_NS6detail15normal_iteratorINS9_10device_ptrIiEEEENSB_INSC_ItEEEESG_tNS9_4plusIvEENS9_8equal_toIvEEtEE10hipError_tPvRmT2_T3_T4_T5_mT6_T7_P12ihipStream_tbENKUlT_T0_E_clISt17integral_constantIbLb1EES10_IbLb0EEEEDaSW_SX_EUlSW_E_NS1_11comp_targetILNS1_3genE4ELNS1_11target_archE910ELNS1_3gpuE8ELNS1_3repE0EEENS1_30default_config_static_selectorELNS0_4arch9wavefront6targetE0EEEvT1_
    .private_segment_fixed_size: 0
    .sgpr_count:     0
    .sgpr_spill_count: 0
    .symbol:         _ZN7rocprim17ROCPRIM_400000_NS6detail17trampoline_kernelINS0_14default_configENS1_27scan_by_key_config_selectorIitEEZZNS1_16scan_by_key_implILNS1_25lookback_scan_determinismE0ELb0ES3_N6thrust23THRUST_200600_302600_NS6detail15normal_iteratorINS9_10device_ptrIiEEEENSB_INSC_ItEEEESG_tNS9_4plusIvEENS9_8equal_toIvEEtEE10hipError_tPvRmT2_T3_T4_T5_mT6_T7_P12ihipStream_tbENKUlT_T0_E_clISt17integral_constantIbLb1EES10_IbLb0EEEEDaSW_SX_EUlSW_E_NS1_11comp_targetILNS1_3genE4ELNS1_11target_archE910ELNS1_3gpuE8ELNS1_3repE0EEENS1_30default_config_static_selectorELNS0_4arch9wavefront6targetE0EEEvT1_.kd
    .uniform_work_group_size: 1
    .uses_dynamic_stack: false
    .vgpr_count:     0
    .vgpr_spill_count: 0
    .wavefront_size: 32
    .workgroup_processor_mode: 1
  - .args:
      - .offset:         0
        .size:           112
        .value_kind:     by_value
    .group_segment_fixed_size: 0
    .kernarg_segment_align: 8
    .kernarg_segment_size: 112
    .language:       OpenCL C
    .language_version:
      - 2
      - 0
    .max_flat_workgroup_size: 256
    .name:           _ZN7rocprim17ROCPRIM_400000_NS6detail17trampoline_kernelINS0_14default_configENS1_27scan_by_key_config_selectorIitEEZZNS1_16scan_by_key_implILNS1_25lookback_scan_determinismE0ELb0ES3_N6thrust23THRUST_200600_302600_NS6detail15normal_iteratorINS9_10device_ptrIiEEEENSB_INSC_ItEEEESG_tNS9_4plusIvEENS9_8equal_toIvEEtEE10hipError_tPvRmT2_T3_T4_T5_mT6_T7_P12ihipStream_tbENKUlT_T0_E_clISt17integral_constantIbLb1EES10_IbLb0EEEEDaSW_SX_EUlSW_E_NS1_11comp_targetILNS1_3genE3ELNS1_11target_archE908ELNS1_3gpuE7ELNS1_3repE0EEENS1_30default_config_static_selectorELNS0_4arch9wavefront6targetE0EEEvT1_
    .private_segment_fixed_size: 0
    .sgpr_count:     0
    .sgpr_spill_count: 0
    .symbol:         _ZN7rocprim17ROCPRIM_400000_NS6detail17trampoline_kernelINS0_14default_configENS1_27scan_by_key_config_selectorIitEEZZNS1_16scan_by_key_implILNS1_25lookback_scan_determinismE0ELb0ES3_N6thrust23THRUST_200600_302600_NS6detail15normal_iteratorINS9_10device_ptrIiEEEENSB_INSC_ItEEEESG_tNS9_4plusIvEENS9_8equal_toIvEEtEE10hipError_tPvRmT2_T3_T4_T5_mT6_T7_P12ihipStream_tbENKUlT_T0_E_clISt17integral_constantIbLb1EES10_IbLb0EEEEDaSW_SX_EUlSW_E_NS1_11comp_targetILNS1_3genE3ELNS1_11target_archE908ELNS1_3gpuE7ELNS1_3repE0EEENS1_30default_config_static_selectorELNS0_4arch9wavefront6targetE0EEEvT1_.kd
    .uniform_work_group_size: 1
    .uses_dynamic_stack: false
    .vgpr_count:     0
    .vgpr_spill_count: 0
    .wavefront_size: 32
    .workgroup_processor_mode: 1
  - .args:
      - .offset:         0
        .size:           112
        .value_kind:     by_value
    .group_segment_fixed_size: 0
    .kernarg_segment_align: 8
    .kernarg_segment_size: 112
    .language:       OpenCL C
    .language_version:
      - 2
      - 0
    .max_flat_workgroup_size: 64
    .name:           _ZN7rocprim17ROCPRIM_400000_NS6detail17trampoline_kernelINS0_14default_configENS1_27scan_by_key_config_selectorIitEEZZNS1_16scan_by_key_implILNS1_25lookback_scan_determinismE0ELb0ES3_N6thrust23THRUST_200600_302600_NS6detail15normal_iteratorINS9_10device_ptrIiEEEENSB_INSC_ItEEEESG_tNS9_4plusIvEENS9_8equal_toIvEEtEE10hipError_tPvRmT2_T3_T4_T5_mT6_T7_P12ihipStream_tbENKUlT_T0_E_clISt17integral_constantIbLb1EES10_IbLb0EEEEDaSW_SX_EUlSW_E_NS1_11comp_targetILNS1_3genE2ELNS1_11target_archE906ELNS1_3gpuE6ELNS1_3repE0EEENS1_30default_config_static_selectorELNS0_4arch9wavefront6targetE0EEEvT1_
    .private_segment_fixed_size: 0
    .sgpr_count:     0
    .sgpr_spill_count: 0
    .symbol:         _ZN7rocprim17ROCPRIM_400000_NS6detail17trampoline_kernelINS0_14default_configENS1_27scan_by_key_config_selectorIitEEZZNS1_16scan_by_key_implILNS1_25lookback_scan_determinismE0ELb0ES3_N6thrust23THRUST_200600_302600_NS6detail15normal_iteratorINS9_10device_ptrIiEEEENSB_INSC_ItEEEESG_tNS9_4plusIvEENS9_8equal_toIvEEtEE10hipError_tPvRmT2_T3_T4_T5_mT6_T7_P12ihipStream_tbENKUlT_T0_E_clISt17integral_constantIbLb1EES10_IbLb0EEEEDaSW_SX_EUlSW_E_NS1_11comp_targetILNS1_3genE2ELNS1_11target_archE906ELNS1_3gpuE6ELNS1_3repE0EEENS1_30default_config_static_selectorELNS0_4arch9wavefront6targetE0EEEvT1_.kd
    .uniform_work_group_size: 1
    .uses_dynamic_stack: false
    .vgpr_count:     0
    .vgpr_spill_count: 0
    .wavefront_size: 32
    .workgroup_processor_mode: 1
  - .args:
      - .offset:         0
        .size:           112
        .value_kind:     by_value
    .group_segment_fixed_size: 0
    .kernarg_segment_align: 8
    .kernarg_segment_size: 112
    .language:       OpenCL C
    .language_version:
      - 2
      - 0
    .max_flat_workgroup_size: 256
    .name:           _ZN7rocprim17ROCPRIM_400000_NS6detail17trampoline_kernelINS0_14default_configENS1_27scan_by_key_config_selectorIitEEZZNS1_16scan_by_key_implILNS1_25lookback_scan_determinismE0ELb0ES3_N6thrust23THRUST_200600_302600_NS6detail15normal_iteratorINS9_10device_ptrIiEEEENSB_INSC_ItEEEESG_tNS9_4plusIvEENS9_8equal_toIvEEtEE10hipError_tPvRmT2_T3_T4_T5_mT6_T7_P12ihipStream_tbENKUlT_T0_E_clISt17integral_constantIbLb1EES10_IbLb0EEEEDaSW_SX_EUlSW_E_NS1_11comp_targetILNS1_3genE10ELNS1_11target_archE1200ELNS1_3gpuE4ELNS1_3repE0EEENS1_30default_config_static_selectorELNS0_4arch9wavefront6targetE0EEEvT1_
    .private_segment_fixed_size: 0
    .sgpr_count:     0
    .sgpr_spill_count: 0
    .symbol:         _ZN7rocprim17ROCPRIM_400000_NS6detail17trampoline_kernelINS0_14default_configENS1_27scan_by_key_config_selectorIitEEZZNS1_16scan_by_key_implILNS1_25lookback_scan_determinismE0ELb0ES3_N6thrust23THRUST_200600_302600_NS6detail15normal_iteratorINS9_10device_ptrIiEEEENSB_INSC_ItEEEESG_tNS9_4plusIvEENS9_8equal_toIvEEtEE10hipError_tPvRmT2_T3_T4_T5_mT6_T7_P12ihipStream_tbENKUlT_T0_E_clISt17integral_constantIbLb1EES10_IbLb0EEEEDaSW_SX_EUlSW_E_NS1_11comp_targetILNS1_3genE10ELNS1_11target_archE1200ELNS1_3gpuE4ELNS1_3repE0EEENS1_30default_config_static_selectorELNS0_4arch9wavefront6targetE0EEEvT1_.kd
    .uniform_work_group_size: 1
    .uses_dynamic_stack: false
    .vgpr_count:     0
    .vgpr_spill_count: 0
    .wavefront_size: 32
    .workgroup_processor_mode: 1
  - .args:
      - .offset:         0
        .size:           112
        .value_kind:     by_value
    .group_segment_fixed_size: 0
    .kernarg_segment_align: 8
    .kernarg_segment_size: 112
    .language:       OpenCL C
    .language_version:
      - 2
      - 0
    .max_flat_workgroup_size: 64
    .name:           _ZN7rocprim17ROCPRIM_400000_NS6detail17trampoline_kernelINS0_14default_configENS1_27scan_by_key_config_selectorIitEEZZNS1_16scan_by_key_implILNS1_25lookback_scan_determinismE0ELb0ES3_N6thrust23THRUST_200600_302600_NS6detail15normal_iteratorINS9_10device_ptrIiEEEENSB_INSC_ItEEEESG_tNS9_4plusIvEENS9_8equal_toIvEEtEE10hipError_tPvRmT2_T3_T4_T5_mT6_T7_P12ihipStream_tbENKUlT_T0_E_clISt17integral_constantIbLb1EES10_IbLb0EEEEDaSW_SX_EUlSW_E_NS1_11comp_targetILNS1_3genE9ELNS1_11target_archE1100ELNS1_3gpuE3ELNS1_3repE0EEENS1_30default_config_static_selectorELNS0_4arch9wavefront6targetE0EEEvT1_
    .private_segment_fixed_size: 0
    .sgpr_count:     0
    .sgpr_spill_count: 0
    .symbol:         _ZN7rocprim17ROCPRIM_400000_NS6detail17trampoline_kernelINS0_14default_configENS1_27scan_by_key_config_selectorIitEEZZNS1_16scan_by_key_implILNS1_25lookback_scan_determinismE0ELb0ES3_N6thrust23THRUST_200600_302600_NS6detail15normal_iteratorINS9_10device_ptrIiEEEENSB_INSC_ItEEEESG_tNS9_4plusIvEENS9_8equal_toIvEEtEE10hipError_tPvRmT2_T3_T4_T5_mT6_T7_P12ihipStream_tbENKUlT_T0_E_clISt17integral_constantIbLb1EES10_IbLb0EEEEDaSW_SX_EUlSW_E_NS1_11comp_targetILNS1_3genE9ELNS1_11target_archE1100ELNS1_3gpuE3ELNS1_3repE0EEENS1_30default_config_static_selectorELNS0_4arch9wavefront6targetE0EEEvT1_.kd
    .uniform_work_group_size: 1
    .uses_dynamic_stack: false
    .vgpr_count:     0
    .vgpr_spill_count: 0
    .wavefront_size: 32
    .workgroup_processor_mode: 1
  - .args:
      - .offset:         0
        .size:           112
        .value_kind:     by_value
    .group_segment_fixed_size: 0
    .kernarg_segment_align: 8
    .kernarg_segment_size: 112
    .language:       OpenCL C
    .language_version:
      - 2
      - 0
    .max_flat_workgroup_size: 64
    .name:           _ZN7rocprim17ROCPRIM_400000_NS6detail17trampoline_kernelINS0_14default_configENS1_27scan_by_key_config_selectorIitEEZZNS1_16scan_by_key_implILNS1_25lookback_scan_determinismE0ELb0ES3_N6thrust23THRUST_200600_302600_NS6detail15normal_iteratorINS9_10device_ptrIiEEEENSB_INSC_ItEEEESG_tNS9_4plusIvEENS9_8equal_toIvEEtEE10hipError_tPvRmT2_T3_T4_T5_mT6_T7_P12ihipStream_tbENKUlT_T0_E_clISt17integral_constantIbLb1EES10_IbLb0EEEEDaSW_SX_EUlSW_E_NS1_11comp_targetILNS1_3genE8ELNS1_11target_archE1030ELNS1_3gpuE2ELNS1_3repE0EEENS1_30default_config_static_selectorELNS0_4arch9wavefront6targetE0EEEvT1_
    .private_segment_fixed_size: 0
    .sgpr_count:     0
    .sgpr_spill_count: 0
    .symbol:         _ZN7rocprim17ROCPRIM_400000_NS6detail17trampoline_kernelINS0_14default_configENS1_27scan_by_key_config_selectorIitEEZZNS1_16scan_by_key_implILNS1_25lookback_scan_determinismE0ELb0ES3_N6thrust23THRUST_200600_302600_NS6detail15normal_iteratorINS9_10device_ptrIiEEEENSB_INSC_ItEEEESG_tNS9_4plusIvEENS9_8equal_toIvEEtEE10hipError_tPvRmT2_T3_T4_T5_mT6_T7_P12ihipStream_tbENKUlT_T0_E_clISt17integral_constantIbLb1EES10_IbLb0EEEEDaSW_SX_EUlSW_E_NS1_11comp_targetILNS1_3genE8ELNS1_11target_archE1030ELNS1_3gpuE2ELNS1_3repE0EEENS1_30default_config_static_selectorELNS0_4arch9wavefront6targetE0EEEvT1_.kd
    .uniform_work_group_size: 1
    .uses_dynamic_stack: false
    .vgpr_count:     0
    .vgpr_spill_count: 0
    .wavefront_size: 32
    .workgroup_processor_mode: 1
  - .args:
      - .address_space:  global
        .offset:         0
        .size:           8
        .value_kind:     global_buffer
      - .offset:         8
        .size:           4
        .value_kind:     by_value
      - .offset:         12
        .size:           4
        .value_kind:     by_value
      - .address_space:  global
        .offset:         16
        .size:           8
        .value_kind:     global_buffer
      - .address_space:  global
        .offset:         24
        .size:           8
        .value_kind:     global_buffer
      - .actual_access:  write_only
        .address_space:  global
        .offset:         32
        .size:           8
        .value_kind:     global_buffer
      - .offset:         40
        .size:           8
        .value_kind:     by_value
      - .offset:         48
        .size:           4
        .value_kind:     by_value
      - .address_space:  global
        .offset:         56
        .size:           8
        .value_kind:     global_buffer
      - .offset:         64
        .size:           4
        .value_kind:     hidden_block_count_x
      - .offset:         68
        .size:           4
        .value_kind:     hidden_block_count_y
      - .offset:         72
        .size:           4
        .value_kind:     hidden_block_count_z
      - .offset:         76
        .size:           2
        .value_kind:     hidden_group_size_x
      - .offset:         78
        .size:           2
        .value_kind:     hidden_group_size_y
      - .offset:         80
        .size:           2
        .value_kind:     hidden_group_size_z
      - .offset:         82
        .size:           2
        .value_kind:     hidden_remainder_x
      - .offset:         84
        .size:           2
        .value_kind:     hidden_remainder_y
      - .offset:         86
        .size:           2
        .value_kind:     hidden_remainder_z
      - .offset:         104
        .size:           8
        .value_kind:     hidden_global_offset_x
      - .offset:         112
        .size:           8
        .value_kind:     hidden_global_offset_y
      - .offset:         120
        .size:           8
        .value_kind:     hidden_global_offset_z
      - .offset:         128
        .size:           2
        .value_kind:     hidden_grid_dims
    .group_segment_fixed_size: 0
    .kernarg_segment_align: 8
    .kernarg_segment_size: 320
    .language:       OpenCL C
    .language_version:
      - 2
      - 0
    .max_flat_workgroup_size: 256
    .name:           _ZN7rocprim17ROCPRIM_400000_NS6detail30init_device_scan_by_key_kernelINS1_19lookback_scan_stateINS0_5tupleIJtbEEELb0ELb1EEEN6thrust23THRUST_200600_302600_NS6detail15normal_iteratorINS8_10device_ptrIiEEEEjNS1_16block_id_wrapperIjLb1EEEEEvT_jjPNSG_10value_typeET0_PNSt15iterator_traitsISJ_E10value_typeEmT1_T2_
    .private_segment_fixed_size: 0
    .sgpr_count:     19
    .sgpr_spill_count: 0
    .symbol:         _ZN7rocprim17ROCPRIM_400000_NS6detail30init_device_scan_by_key_kernelINS1_19lookback_scan_stateINS0_5tupleIJtbEEELb0ELb1EEEN6thrust23THRUST_200600_302600_NS6detail15normal_iteratorINS8_10device_ptrIiEEEEjNS1_16block_id_wrapperIjLb1EEEEEvT_jjPNSG_10value_typeET0_PNSt15iterator_traitsISJ_E10value_typeEmT1_T2_.kd
    .uniform_work_group_size: 1
    .uses_dynamic_stack: false
    .vgpr_count:     7
    .vgpr_spill_count: 0
    .wavefront_size: 32
    .workgroup_processor_mode: 1
  - .args:
      - .address_space:  global
        .offset:         0
        .size:           8
        .value_kind:     global_buffer
      - .offset:         8
        .size:           4
        .value_kind:     by_value
      - .offset:         12
        .size:           4
        .value_kind:     by_value
      - .address_space:  global
        .offset:         16
        .size:           8
        .value_kind:     global_buffer
      - .address_space:  global
        .offset:         24
        .size:           8
        .value_kind:     global_buffer
      - .offset:         32
        .size:           4
        .value_kind:     hidden_block_count_x
      - .offset:         36
        .size:           4
        .value_kind:     hidden_block_count_y
      - .offset:         40
        .size:           4
        .value_kind:     hidden_block_count_z
      - .offset:         44
        .size:           2
        .value_kind:     hidden_group_size_x
      - .offset:         46
        .size:           2
        .value_kind:     hidden_group_size_y
      - .offset:         48
        .size:           2
        .value_kind:     hidden_group_size_z
      - .offset:         50
        .size:           2
        .value_kind:     hidden_remainder_x
      - .offset:         52
        .size:           2
        .value_kind:     hidden_remainder_y
      - .offset:         54
        .size:           2
        .value_kind:     hidden_remainder_z
      - .offset:         72
        .size:           8
        .value_kind:     hidden_global_offset_x
      - .offset:         80
        .size:           8
        .value_kind:     hidden_global_offset_y
      - .offset:         88
        .size:           8
        .value_kind:     hidden_global_offset_z
      - .offset:         96
        .size:           2
        .value_kind:     hidden_grid_dims
    .group_segment_fixed_size: 0
    .kernarg_segment_align: 8
    .kernarg_segment_size: 288
    .language:       OpenCL C
    .language_version:
      - 2
      - 0
    .max_flat_workgroup_size: 256
    .name:           _ZN7rocprim17ROCPRIM_400000_NS6detail30init_device_scan_by_key_kernelINS1_19lookback_scan_stateINS0_5tupleIJtbEEELb0ELb1EEENS1_16block_id_wrapperIjLb1EEEEEvT_jjPNS9_10value_typeET0_
    .private_segment_fixed_size: 0
    .sgpr_count:     18
    .sgpr_spill_count: 0
    .symbol:         _ZN7rocprim17ROCPRIM_400000_NS6detail30init_device_scan_by_key_kernelINS1_19lookback_scan_stateINS0_5tupleIJtbEEELb0ELb1EEENS1_16block_id_wrapperIjLb1EEEEEvT_jjPNS9_10value_typeET0_.kd
    .uniform_work_group_size: 1
    .uses_dynamic_stack: false
    .vgpr_count:     7
    .vgpr_spill_count: 0
    .wavefront_size: 32
    .workgroup_processor_mode: 1
  - .args:
      - .offset:         0
        .size:           112
        .value_kind:     by_value
    .group_segment_fixed_size: 0
    .kernarg_segment_align: 8
    .kernarg_segment_size: 112
    .language:       OpenCL C
    .language_version:
      - 2
      - 0
    .max_flat_workgroup_size: 256
    .name:           _ZN7rocprim17ROCPRIM_400000_NS6detail17trampoline_kernelINS0_14default_configENS1_27scan_by_key_config_selectorIitEEZZNS1_16scan_by_key_implILNS1_25lookback_scan_determinismE0ELb0ES3_N6thrust23THRUST_200600_302600_NS6detail15normal_iteratorINS9_10device_ptrIiEEEENSB_INSC_ItEEEESG_tNS9_4plusIvEENS9_8equal_toIvEEtEE10hipError_tPvRmT2_T3_T4_T5_mT6_T7_P12ihipStream_tbENKUlT_T0_E_clISt17integral_constantIbLb0EES10_IbLb1EEEEDaSW_SX_EUlSW_E_NS1_11comp_targetILNS1_3genE0ELNS1_11target_archE4294967295ELNS1_3gpuE0ELNS1_3repE0EEENS1_30default_config_static_selectorELNS0_4arch9wavefront6targetE0EEEvT1_
    .private_segment_fixed_size: 0
    .sgpr_count:     0
    .sgpr_spill_count: 0
    .symbol:         _ZN7rocprim17ROCPRIM_400000_NS6detail17trampoline_kernelINS0_14default_configENS1_27scan_by_key_config_selectorIitEEZZNS1_16scan_by_key_implILNS1_25lookback_scan_determinismE0ELb0ES3_N6thrust23THRUST_200600_302600_NS6detail15normal_iteratorINS9_10device_ptrIiEEEENSB_INSC_ItEEEESG_tNS9_4plusIvEENS9_8equal_toIvEEtEE10hipError_tPvRmT2_T3_T4_T5_mT6_T7_P12ihipStream_tbENKUlT_T0_E_clISt17integral_constantIbLb0EES10_IbLb1EEEEDaSW_SX_EUlSW_E_NS1_11comp_targetILNS1_3genE0ELNS1_11target_archE4294967295ELNS1_3gpuE0ELNS1_3repE0EEENS1_30default_config_static_selectorELNS0_4arch9wavefront6targetE0EEEvT1_.kd
    .uniform_work_group_size: 1
    .uses_dynamic_stack: false
    .vgpr_count:     0
    .vgpr_spill_count: 0
    .wavefront_size: 32
    .workgroup_processor_mode: 1
  - .args:
      - .offset:         0
        .size:           112
        .value_kind:     by_value
    .group_segment_fixed_size: 0
    .kernarg_segment_align: 8
    .kernarg_segment_size: 112
    .language:       OpenCL C
    .language_version:
      - 2
      - 0
    .max_flat_workgroup_size: 256
    .name:           _ZN7rocprim17ROCPRIM_400000_NS6detail17trampoline_kernelINS0_14default_configENS1_27scan_by_key_config_selectorIitEEZZNS1_16scan_by_key_implILNS1_25lookback_scan_determinismE0ELb0ES3_N6thrust23THRUST_200600_302600_NS6detail15normal_iteratorINS9_10device_ptrIiEEEENSB_INSC_ItEEEESG_tNS9_4plusIvEENS9_8equal_toIvEEtEE10hipError_tPvRmT2_T3_T4_T5_mT6_T7_P12ihipStream_tbENKUlT_T0_E_clISt17integral_constantIbLb0EES10_IbLb1EEEEDaSW_SX_EUlSW_E_NS1_11comp_targetILNS1_3genE10ELNS1_11target_archE1201ELNS1_3gpuE5ELNS1_3repE0EEENS1_30default_config_static_selectorELNS0_4arch9wavefront6targetE0EEEvT1_
    .private_segment_fixed_size: 0
    .sgpr_count:     0
    .sgpr_spill_count: 0
    .symbol:         _ZN7rocprim17ROCPRIM_400000_NS6detail17trampoline_kernelINS0_14default_configENS1_27scan_by_key_config_selectorIitEEZZNS1_16scan_by_key_implILNS1_25lookback_scan_determinismE0ELb0ES3_N6thrust23THRUST_200600_302600_NS6detail15normal_iteratorINS9_10device_ptrIiEEEENSB_INSC_ItEEEESG_tNS9_4plusIvEENS9_8equal_toIvEEtEE10hipError_tPvRmT2_T3_T4_T5_mT6_T7_P12ihipStream_tbENKUlT_T0_E_clISt17integral_constantIbLb0EES10_IbLb1EEEEDaSW_SX_EUlSW_E_NS1_11comp_targetILNS1_3genE10ELNS1_11target_archE1201ELNS1_3gpuE5ELNS1_3repE0EEENS1_30default_config_static_selectorELNS0_4arch9wavefront6targetE0EEEvT1_.kd
    .uniform_work_group_size: 1
    .uses_dynamic_stack: false
    .vgpr_count:     0
    .vgpr_spill_count: 0
    .wavefront_size: 32
    .workgroup_processor_mode: 1
  - .args:
      - .offset:         0
        .size:           112
        .value_kind:     by_value
    .group_segment_fixed_size: 0
    .kernarg_segment_align: 8
    .kernarg_segment_size: 112
    .language:       OpenCL C
    .language_version:
      - 2
      - 0
    .max_flat_workgroup_size: 256
    .name:           _ZN7rocprim17ROCPRIM_400000_NS6detail17trampoline_kernelINS0_14default_configENS1_27scan_by_key_config_selectorIitEEZZNS1_16scan_by_key_implILNS1_25lookback_scan_determinismE0ELb0ES3_N6thrust23THRUST_200600_302600_NS6detail15normal_iteratorINS9_10device_ptrIiEEEENSB_INSC_ItEEEESG_tNS9_4plusIvEENS9_8equal_toIvEEtEE10hipError_tPvRmT2_T3_T4_T5_mT6_T7_P12ihipStream_tbENKUlT_T0_E_clISt17integral_constantIbLb0EES10_IbLb1EEEEDaSW_SX_EUlSW_E_NS1_11comp_targetILNS1_3genE5ELNS1_11target_archE942ELNS1_3gpuE9ELNS1_3repE0EEENS1_30default_config_static_selectorELNS0_4arch9wavefront6targetE0EEEvT1_
    .private_segment_fixed_size: 0
    .sgpr_count:     0
    .sgpr_spill_count: 0
    .symbol:         _ZN7rocprim17ROCPRIM_400000_NS6detail17trampoline_kernelINS0_14default_configENS1_27scan_by_key_config_selectorIitEEZZNS1_16scan_by_key_implILNS1_25lookback_scan_determinismE0ELb0ES3_N6thrust23THRUST_200600_302600_NS6detail15normal_iteratorINS9_10device_ptrIiEEEENSB_INSC_ItEEEESG_tNS9_4plusIvEENS9_8equal_toIvEEtEE10hipError_tPvRmT2_T3_T4_T5_mT6_T7_P12ihipStream_tbENKUlT_T0_E_clISt17integral_constantIbLb0EES10_IbLb1EEEEDaSW_SX_EUlSW_E_NS1_11comp_targetILNS1_3genE5ELNS1_11target_archE942ELNS1_3gpuE9ELNS1_3repE0EEENS1_30default_config_static_selectorELNS0_4arch9wavefront6targetE0EEEvT1_.kd
    .uniform_work_group_size: 1
    .uses_dynamic_stack: false
    .vgpr_count:     0
    .vgpr_spill_count: 0
    .wavefront_size: 32
    .workgroup_processor_mode: 1
  - .args:
      - .offset:         0
        .size:           112
        .value_kind:     by_value
    .group_segment_fixed_size: 0
    .kernarg_segment_align: 8
    .kernarg_segment_size: 112
    .language:       OpenCL C
    .language_version:
      - 2
      - 0
    .max_flat_workgroup_size: 64
    .name:           _ZN7rocprim17ROCPRIM_400000_NS6detail17trampoline_kernelINS0_14default_configENS1_27scan_by_key_config_selectorIitEEZZNS1_16scan_by_key_implILNS1_25lookback_scan_determinismE0ELb0ES3_N6thrust23THRUST_200600_302600_NS6detail15normal_iteratorINS9_10device_ptrIiEEEENSB_INSC_ItEEEESG_tNS9_4plusIvEENS9_8equal_toIvEEtEE10hipError_tPvRmT2_T3_T4_T5_mT6_T7_P12ihipStream_tbENKUlT_T0_E_clISt17integral_constantIbLb0EES10_IbLb1EEEEDaSW_SX_EUlSW_E_NS1_11comp_targetILNS1_3genE4ELNS1_11target_archE910ELNS1_3gpuE8ELNS1_3repE0EEENS1_30default_config_static_selectorELNS0_4arch9wavefront6targetE0EEEvT1_
    .private_segment_fixed_size: 0
    .sgpr_count:     0
    .sgpr_spill_count: 0
    .symbol:         _ZN7rocprim17ROCPRIM_400000_NS6detail17trampoline_kernelINS0_14default_configENS1_27scan_by_key_config_selectorIitEEZZNS1_16scan_by_key_implILNS1_25lookback_scan_determinismE0ELb0ES3_N6thrust23THRUST_200600_302600_NS6detail15normal_iteratorINS9_10device_ptrIiEEEENSB_INSC_ItEEEESG_tNS9_4plusIvEENS9_8equal_toIvEEtEE10hipError_tPvRmT2_T3_T4_T5_mT6_T7_P12ihipStream_tbENKUlT_T0_E_clISt17integral_constantIbLb0EES10_IbLb1EEEEDaSW_SX_EUlSW_E_NS1_11comp_targetILNS1_3genE4ELNS1_11target_archE910ELNS1_3gpuE8ELNS1_3repE0EEENS1_30default_config_static_selectorELNS0_4arch9wavefront6targetE0EEEvT1_.kd
    .uniform_work_group_size: 1
    .uses_dynamic_stack: false
    .vgpr_count:     0
    .vgpr_spill_count: 0
    .wavefront_size: 32
    .workgroup_processor_mode: 1
  - .args:
      - .offset:         0
        .size:           112
        .value_kind:     by_value
    .group_segment_fixed_size: 0
    .kernarg_segment_align: 8
    .kernarg_segment_size: 112
    .language:       OpenCL C
    .language_version:
      - 2
      - 0
    .max_flat_workgroup_size: 256
    .name:           _ZN7rocprim17ROCPRIM_400000_NS6detail17trampoline_kernelINS0_14default_configENS1_27scan_by_key_config_selectorIitEEZZNS1_16scan_by_key_implILNS1_25lookback_scan_determinismE0ELb0ES3_N6thrust23THRUST_200600_302600_NS6detail15normal_iteratorINS9_10device_ptrIiEEEENSB_INSC_ItEEEESG_tNS9_4plusIvEENS9_8equal_toIvEEtEE10hipError_tPvRmT2_T3_T4_T5_mT6_T7_P12ihipStream_tbENKUlT_T0_E_clISt17integral_constantIbLb0EES10_IbLb1EEEEDaSW_SX_EUlSW_E_NS1_11comp_targetILNS1_3genE3ELNS1_11target_archE908ELNS1_3gpuE7ELNS1_3repE0EEENS1_30default_config_static_selectorELNS0_4arch9wavefront6targetE0EEEvT1_
    .private_segment_fixed_size: 0
    .sgpr_count:     0
    .sgpr_spill_count: 0
    .symbol:         _ZN7rocprim17ROCPRIM_400000_NS6detail17trampoline_kernelINS0_14default_configENS1_27scan_by_key_config_selectorIitEEZZNS1_16scan_by_key_implILNS1_25lookback_scan_determinismE0ELb0ES3_N6thrust23THRUST_200600_302600_NS6detail15normal_iteratorINS9_10device_ptrIiEEEENSB_INSC_ItEEEESG_tNS9_4plusIvEENS9_8equal_toIvEEtEE10hipError_tPvRmT2_T3_T4_T5_mT6_T7_P12ihipStream_tbENKUlT_T0_E_clISt17integral_constantIbLb0EES10_IbLb1EEEEDaSW_SX_EUlSW_E_NS1_11comp_targetILNS1_3genE3ELNS1_11target_archE908ELNS1_3gpuE7ELNS1_3repE0EEENS1_30default_config_static_selectorELNS0_4arch9wavefront6targetE0EEEvT1_.kd
    .uniform_work_group_size: 1
    .uses_dynamic_stack: false
    .vgpr_count:     0
    .vgpr_spill_count: 0
    .wavefront_size: 32
    .workgroup_processor_mode: 1
  - .args:
      - .offset:         0
        .size:           112
        .value_kind:     by_value
    .group_segment_fixed_size: 0
    .kernarg_segment_align: 8
    .kernarg_segment_size: 112
    .language:       OpenCL C
    .language_version:
      - 2
      - 0
    .max_flat_workgroup_size: 64
    .name:           _ZN7rocprim17ROCPRIM_400000_NS6detail17trampoline_kernelINS0_14default_configENS1_27scan_by_key_config_selectorIitEEZZNS1_16scan_by_key_implILNS1_25lookback_scan_determinismE0ELb0ES3_N6thrust23THRUST_200600_302600_NS6detail15normal_iteratorINS9_10device_ptrIiEEEENSB_INSC_ItEEEESG_tNS9_4plusIvEENS9_8equal_toIvEEtEE10hipError_tPvRmT2_T3_T4_T5_mT6_T7_P12ihipStream_tbENKUlT_T0_E_clISt17integral_constantIbLb0EES10_IbLb1EEEEDaSW_SX_EUlSW_E_NS1_11comp_targetILNS1_3genE2ELNS1_11target_archE906ELNS1_3gpuE6ELNS1_3repE0EEENS1_30default_config_static_selectorELNS0_4arch9wavefront6targetE0EEEvT1_
    .private_segment_fixed_size: 0
    .sgpr_count:     0
    .sgpr_spill_count: 0
    .symbol:         _ZN7rocprim17ROCPRIM_400000_NS6detail17trampoline_kernelINS0_14default_configENS1_27scan_by_key_config_selectorIitEEZZNS1_16scan_by_key_implILNS1_25lookback_scan_determinismE0ELb0ES3_N6thrust23THRUST_200600_302600_NS6detail15normal_iteratorINS9_10device_ptrIiEEEENSB_INSC_ItEEEESG_tNS9_4plusIvEENS9_8equal_toIvEEtEE10hipError_tPvRmT2_T3_T4_T5_mT6_T7_P12ihipStream_tbENKUlT_T0_E_clISt17integral_constantIbLb0EES10_IbLb1EEEEDaSW_SX_EUlSW_E_NS1_11comp_targetILNS1_3genE2ELNS1_11target_archE906ELNS1_3gpuE6ELNS1_3repE0EEENS1_30default_config_static_selectorELNS0_4arch9wavefront6targetE0EEEvT1_.kd
    .uniform_work_group_size: 1
    .uses_dynamic_stack: false
    .vgpr_count:     0
    .vgpr_spill_count: 0
    .wavefront_size: 32
    .workgroup_processor_mode: 1
  - .args:
      - .offset:         0
        .size:           112
        .value_kind:     by_value
    .group_segment_fixed_size: 0
    .kernarg_segment_align: 8
    .kernarg_segment_size: 112
    .language:       OpenCL C
    .language_version:
      - 2
      - 0
    .max_flat_workgroup_size: 256
    .name:           _ZN7rocprim17ROCPRIM_400000_NS6detail17trampoline_kernelINS0_14default_configENS1_27scan_by_key_config_selectorIitEEZZNS1_16scan_by_key_implILNS1_25lookback_scan_determinismE0ELb0ES3_N6thrust23THRUST_200600_302600_NS6detail15normal_iteratorINS9_10device_ptrIiEEEENSB_INSC_ItEEEESG_tNS9_4plusIvEENS9_8equal_toIvEEtEE10hipError_tPvRmT2_T3_T4_T5_mT6_T7_P12ihipStream_tbENKUlT_T0_E_clISt17integral_constantIbLb0EES10_IbLb1EEEEDaSW_SX_EUlSW_E_NS1_11comp_targetILNS1_3genE10ELNS1_11target_archE1200ELNS1_3gpuE4ELNS1_3repE0EEENS1_30default_config_static_selectorELNS0_4arch9wavefront6targetE0EEEvT1_
    .private_segment_fixed_size: 0
    .sgpr_count:     0
    .sgpr_spill_count: 0
    .symbol:         _ZN7rocprim17ROCPRIM_400000_NS6detail17trampoline_kernelINS0_14default_configENS1_27scan_by_key_config_selectorIitEEZZNS1_16scan_by_key_implILNS1_25lookback_scan_determinismE0ELb0ES3_N6thrust23THRUST_200600_302600_NS6detail15normal_iteratorINS9_10device_ptrIiEEEENSB_INSC_ItEEEESG_tNS9_4plusIvEENS9_8equal_toIvEEtEE10hipError_tPvRmT2_T3_T4_T5_mT6_T7_P12ihipStream_tbENKUlT_T0_E_clISt17integral_constantIbLb0EES10_IbLb1EEEEDaSW_SX_EUlSW_E_NS1_11comp_targetILNS1_3genE10ELNS1_11target_archE1200ELNS1_3gpuE4ELNS1_3repE0EEENS1_30default_config_static_selectorELNS0_4arch9wavefront6targetE0EEEvT1_.kd
    .uniform_work_group_size: 1
    .uses_dynamic_stack: false
    .vgpr_count:     0
    .vgpr_spill_count: 0
    .wavefront_size: 32
    .workgroup_processor_mode: 1
  - .args:
      - .offset:         0
        .size:           112
        .value_kind:     by_value
    .group_segment_fixed_size: 0
    .kernarg_segment_align: 8
    .kernarg_segment_size: 112
    .language:       OpenCL C
    .language_version:
      - 2
      - 0
    .max_flat_workgroup_size: 64
    .name:           _ZN7rocprim17ROCPRIM_400000_NS6detail17trampoline_kernelINS0_14default_configENS1_27scan_by_key_config_selectorIitEEZZNS1_16scan_by_key_implILNS1_25lookback_scan_determinismE0ELb0ES3_N6thrust23THRUST_200600_302600_NS6detail15normal_iteratorINS9_10device_ptrIiEEEENSB_INSC_ItEEEESG_tNS9_4plusIvEENS9_8equal_toIvEEtEE10hipError_tPvRmT2_T3_T4_T5_mT6_T7_P12ihipStream_tbENKUlT_T0_E_clISt17integral_constantIbLb0EES10_IbLb1EEEEDaSW_SX_EUlSW_E_NS1_11comp_targetILNS1_3genE9ELNS1_11target_archE1100ELNS1_3gpuE3ELNS1_3repE0EEENS1_30default_config_static_selectorELNS0_4arch9wavefront6targetE0EEEvT1_
    .private_segment_fixed_size: 0
    .sgpr_count:     0
    .sgpr_spill_count: 0
    .symbol:         _ZN7rocprim17ROCPRIM_400000_NS6detail17trampoline_kernelINS0_14default_configENS1_27scan_by_key_config_selectorIitEEZZNS1_16scan_by_key_implILNS1_25lookback_scan_determinismE0ELb0ES3_N6thrust23THRUST_200600_302600_NS6detail15normal_iteratorINS9_10device_ptrIiEEEENSB_INSC_ItEEEESG_tNS9_4plusIvEENS9_8equal_toIvEEtEE10hipError_tPvRmT2_T3_T4_T5_mT6_T7_P12ihipStream_tbENKUlT_T0_E_clISt17integral_constantIbLb0EES10_IbLb1EEEEDaSW_SX_EUlSW_E_NS1_11comp_targetILNS1_3genE9ELNS1_11target_archE1100ELNS1_3gpuE3ELNS1_3repE0EEENS1_30default_config_static_selectorELNS0_4arch9wavefront6targetE0EEEvT1_.kd
    .uniform_work_group_size: 1
    .uses_dynamic_stack: false
    .vgpr_count:     0
    .vgpr_spill_count: 0
    .wavefront_size: 32
    .workgroup_processor_mode: 1
  - .args:
      - .offset:         0
        .size:           112
        .value_kind:     by_value
    .group_segment_fixed_size: 2304
    .kernarg_segment_align: 8
    .kernarg_segment_size: 112
    .language:       OpenCL C
    .language_version:
      - 2
      - 0
    .max_flat_workgroup_size: 64
    .name:           _ZN7rocprim17ROCPRIM_400000_NS6detail17trampoline_kernelINS0_14default_configENS1_27scan_by_key_config_selectorIitEEZZNS1_16scan_by_key_implILNS1_25lookback_scan_determinismE0ELb0ES3_N6thrust23THRUST_200600_302600_NS6detail15normal_iteratorINS9_10device_ptrIiEEEENSB_INSC_ItEEEESG_tNS9_4plusIvEENS9_8equal_toIvEEtEE10hipError_tPvRmT2_T3_T4_T5_mT6_T7_P12ihipStream_tbENKUlT_T0_E_clISt17integral_constantIbLb0EES10_IbLb1EEEEDaSW_SX_EUlSW_E_NS1_11comp_targetILNS1_3genE8ELNS1_11target_archE1030ELNS1_3gpuE2ELNS1_3repE0EEENS1_30default_config_static_selectorELNS0_4arch9wavefront6targetE0EEEvT1_
    .private_segment_fixed_size: 0
    .sgpr_count:     40
    .sgpr_spill_count: 0
    .symbol:         _ZN7rocprim17ROCPRIM_400000_NS6detail17trampoline_kernelINS0_14default_configENS1_27scan_by_key_config_selectorIitEEZZNS1_16scan_by_key_implILNS1_25lookback_scan_determinismE0ELb0ES3_N6thrust23THRUST_200600_302600_NS6detail15normal_iteratorINS9_10device_ptrIiEEEENSB_INSC_ItEEEESG_tNS9_4plusIvEENS9_8equal_toIvEEtEE10hipError_tPvRmT2_T3_T4_T5_mT6_T7_P12ihipStream_tbENKUlT_T0_E_clISt17integral_constantIbLb0EES10_IbLb1EEEEDaSW_SX_EUlSW_E_NS1_11comp_targetILNS1_3genE8ELNS1_11target_archE1030ELNS1_3gpuE2ELNS1_3repE0EEENS1_30default_config_static_selectorELNS0_4arch9wavefront6targetE0EEEvT1_.kd
    .uniform_work_group_size: 1
    .uses_dynamic_stack: false
    .vgpr_count:     37
    .vgpr_spill_count: 0
    .wavefront_size: 32
    .workgroup_processor_mode: 1
  - .args:
      - .offset:         0
        .size:           24
        .value_kind:     by_value
      - .offset:         24
        .size:           8
        .value_kind:     by_value
      - .offset:         32
        .size:           8
        .value_kind:     by_value
    .group_segment_fixed_size: 0
    .kernarg_segment_align: 8
    .kernarg_segment_size: 40
    .language:       OpenCL C
    .language_version:
      - 2
      - 0
    .max_flat_workgroup_size: 256
    .name:           _ZN6thrust23THRUST_200600_302600_NS11hip_rocprim14__parallel_for6kernelILj256ENS1_11__transform17unary_transform_fINS0_7pointerIiNS1_3tagENS0_11use_defaultES8_EENS0_10device_ptrIxEENS4_14no_stencil_tagENS0_8identityIiEENS4_21always_true_predicateEEElLj1EEEvT0_T1_SI_
    .private_segment_fixed_size: 0
    .sgpr_count:     14
    .sgpr_spill_count: 0
    .symbol:         _ZN6thrust23THRUST_200600_302600_NS11hip_rocprim14__parallel_for6kernelILj256ENS1_11__transform17unary_transform_fINS0_7pointerIiNS1_3tagENS0_11use_defaultES8_EENS0_10device_ptrIxEENS4_14no_stencil_tagENS0_8identityIiEENS4_21always_true_predicateEEElLj1EEEvT0_T1_SI_.kd
    .uniform_work_group_size: 1
    .uses_dynamic_stack: false
    .vgpr_count:     5
    .vgpr_spill_count: 0
    .wavefront_size: 32
    .workgroup_processor_mode: 1
  - .args:
      - .offset:         0
        .size:           24
        .value_kind:     by_value
      - .offset:         24
        .size:           4
        .value_kind:     by_value
      - .offset:         28
        .size:           4
        .value_kind:     by_value
      - .address_space:  global
        .offset:         32
        .size:           8
        .value_kind:     global_buffer
      - .address_space:  global
        .offset:         40
        .size:           8
        .value_kind:     global_buffer
      - .actual_access:  write_only
        .address_space:  global
        .offset:         48
        .size:           8
        .value_kind:     global_buffer
      - .offset:         56
        .size:           8
        .value_kind:     by_value
      - .offset:         64
        .size:           4
        .value_kind:     by_value
      - .offset:         68
        .size:           1
        .value_kind:     by_value
      - .offset:         72
        .size:           4
        .value_kind:     hidden_block_count_x
      - .offset:         76
        .size:           4
        .value_kind:     hidden_block_count_y
      - .offset:         80
        .size:           4
        .value_kind:     hidden_block_count_z
      - .offset:         84
        .size:           2
        .value_kind:     hidden_group_size_x
      - .offset:         86
        .size:           2
        .value_kind:     hidden_group_size_y
      - .offset:         88
        .size:           2
        .value_kind:     hidden_group_size_z
      - .offset:         90
        .size:           2
        .value_kind:     hidden_remainder_x
      - .offset:         92
        .size:           2
        .value_kind:     hidden_remainder_y
      - .offset:         94
        .size:           2
        .value_kind:     hidden_remainder_z
      - .offset:         112
        .size:           8
        .value_kind:     hidden_global_offset_x
      - .offset:         120
        .size:           8
        .value_kind:     hidden_global_offset_y
      - .offset:         128
        .size:           8
        .value_kind:     hidden_global_offset_z
      - .offset:         136
        .size:           2
        .value_kind:     hidden_grid_dims
    .group_segment_fixed_size: 0
    .kernarg_segment_align: 8
    .kernarg_segment_size: 328
    .language:       OpenCL C
    .language_version:
      - 2
      - 0
    .max_flat_workgroup_size: 256
    .name:           _ZN7rocprim17ROCPRIM_400000_NS6detail30init_device_scan_by_key_kernelINS1_19lookback_scan_stateINS0_5tupleIJxbEEELb0ELb0EEEN6thrust23THRUST_200600_302600_NS6detail15normal_iteratorINS8_10device_ptrIiEEEEjNS1_16block_id_wrapperIjLb0EEEEEvT_jjPNSG_10value_typeET0_PNSt15iterator_traitsISJ_E10value_typeEmT1_T2_
    .private_segment_fixed_size: 0
    .sgpr_count:     24
    .sgpr_spill_count: 0
    .symbol:         _ZN7rocprim17ROCPRIM_400000_NS6detail30init_device_scan_by_key_kernelINS1_19lookback_scan_stateINS0_5tupleIJxbEEELb0ELb0EEEN6thrust23THRUST_200600_302600_NS6detail15normal_iteratorINS8_10device_ptrIiEEEEjNS1_16block_id_wrapperIjLb0EEEEEvT_jjPNSG_10value_typeET0_PNSt15iterator_traitsISJ_E10value_typeEmT1_T2_.kd
    .uniform_work_group_size: 1
    .uses_dynamic_stack: false
    .vgpr_count:     7
    .vgpr_spill_count: 0
    .wavefront_size: 32
    .workgroup_processor_mode: 1
  - .args:
      - .offset:         0
        .size:           136
        .value_kind:     by_value
    .group_segment_fixed_size: 0
    .kernarg_segment_align: 8
    .kernarg_segment_size: 136
    .language:       OpenCL C
    .language_version:
      - 2
      - 0
    .max_flat_workgroup_size: 128
    .name:           _ZN7rocprim17ROCPRIM_400000_NS6detail17trampoline_kernelINS0_14default_configENS1_27scan_by_key_config_selectorIixEEZZNS1_16scan_by_key_implILNS1_25lookback_scan_determinismE0ELb0ES3_N6thrust23THRUST_200600_302600_NS6detail15normal_iteratorINS9_10device_ptrIiEEEENSB_INSC_IxEEEESG_xNS9_4plusIvEENS9_8equal_toIvEExEE10hipError_tPvRmT2_T3_T4_T5_mT6_T7_P12ihipStream_tbENKUlT_T0_E_clISt17integral_constantIbLb0EES11_EEDaSW_SX_EUlSW_E_NS1_11comp_targetILNS1_3genE0ELNS1_11target_archE4294967295ELNS1_3gpuE0ELNS1_3repE0EEENS1_30default_config_static_selectorELNS0_4arch9wavefront6targetE0EEEvT1_
    .private_segment_fixed_size: 0
    .sgpr_count:     0
    .sgpr_spill_count: 0
    .symbol:         _ZN7rocprim17ROCPRIM_400000_NS6detail17trampoline_kernelINS0_14default_configENS1_27scan_by_key_config_selectorIixEEZZNS1_16scan_by_key_implILNS1_25lookback_scan_determinismE0ELb0ES3_N6thrust23THRUST_200600_302600_NS6detail15normal_iteratorINS9_10device_ptrIiEEEENSB_INSC_IxEEEESG_xNS9_4plusIvEENS9_8equal_toIvEExEE10hipError_tPvRmT2_T3_T4_T5_mT6_T7_P12ihipStream_tbENKUlT_T0_E_clISt17integral_constantIbLb0EES11_EEDaSW_SX_EUlSW_E_NS1_11comp_targetILNS1_3genE0ELNS1_11target_archE4294967295ELNS1_3gpuE0ELNS1_3repE0EEENS1_30default_config_static_selectorELNS0_4arch9wavefront6targetE0EEEvT1_.kd
    .uniform_work_group_size: 1
    .uses_dynamic_stack: false
    .vgpr_count:     0
    .vgpr_spill_count: 0
    .wavefront_size: 32
    .workgroup_processor_mode: 1
  - .args:
      - .offset:         0
        .size:           136
        .value_kind:     by_value
    .group_segment_fixed_size: 0
    .kernarg_segment_align: 8
    .kernarg_segment_size: 136
    .language:       OpenCL C
    .language_version:
      - 2
      - 0
    .max_flat_workgroup_size: 256
    .name:           _ZN7rocprim17ROCPRIM_400000_NS6detail17trampoline_kernelINS0_14default_configENS1_27scan_by_key_config_selectorIixEEZZNS1_16scan_by_key_implILNS1_25lookback_scan_determinismE0ELb0ES3_N6thrust23THRUST_200600_302600_NS6detail15normal_iteratorINS9_10device_ptrIiEEEENSB_INSC_IxEEEESG_xNS9_4plusIvEENS9_8equal_toIvEExEE10hipError_tPvRmT2_T3_T4_T5_mT6_T7_P12ihipStream_tbENKUlT_T0_E_clISt17integral_constantIbLb0EES11_EEDaSW_SX_EUlSW_E_NS1_11comp_targetILNS1_3genE10ELNS1_11target_archE1201ELNS1_3gpuE5ELNS1_3repE0EEENS1_30default_config_static_selectorELNS0_4arch9wavefront6targetE0EEEvT1_
    .private_segment_fixed_size: 0
    .sgpr_count:     0
    .sgpr_spill_count: 0
    .symbol:         _ZN7rocprim17ROCPRIM_400000_NS6detail17trampoline_kernelINS0_14default_configENS1_27scan_by_key_config_selectorIixEEZZNS1_16scan_by_key_implILNS1_25lookback_scan_determinismE0ELb0ES3_N6thrust23THRUST_200600_302600_NS6detail15normal_iteratorINS9_10device_ptrIiEEEENSB_INSC_IxEEEESG_xNS9_4plusIvEENS9_8equal_toIvEExEE10hipError_tPvRmT2_T3_T4_T5_mT6_T7_P12ihipStream_tbENKUlT_T0_E_clISt17integral_constantIbLb0EES11_EEDaSW_SX_EUlSW_E_NS1_11comp_targetILNS1_3genE10ELNS1_11target_archE1201ELNS1_3gpuE5ELNS1_3repE0EEENS1_30default_config_static_selectorELNS0_4arch9wavefront6targetE0EEEvT1_.kd
    .uniform_work_group_size: 1
    .uses_dynamic_stack: false
    .vgpr_count:     0
    .vgpr_spill_count: 0
    .wavefront_size: 32
    .workgroup_processor_mode: 1
  - .args:
      - .offset:         0
        .size:           136
        .value_kind:     by_value
    .group_segment_fixed_size: 0
    .kernarg_segment_align: 8
    .kernarg_segment_size: 136
    .language:       OpenCL C
    .language_version:
      - 2
      - 0
    .max_flat_workgroup_size: 256
    .name:           _ZN7rocprim17ROCPRIM_400000_NS6detail17trampoline_kernelINS0_14default_configENS1_27scan_by_key_config_selectorIixEEZZNS1_16scan_by_key_implILNS1_25lookback_scan_determinismE0ELb0ES3_N6thrust23THRUST_200600_302600_NS6detail15normal_iteratorINS9_10device_ptrIiEEEENSB_INSC_IxEEEESG_xNS9_4plusIvEENS9_8equal_toIvEExEE10hipError_tPvRmT2_T3_T4_T5_mT6_T7_P12ihipStream_tbENKUlT_T0_E_clISt17integral_constantIbLb0EES11_EEDaSW_SX_EUlSW_E_NS1_11comp_targetILNS1_3genE5ELNS1_11target_archE942ELNS1_3gpuE9ELNS1_3repE0EEENS1_30default_config_static_selectorELNS0_4arch9wavefront6targetE0EEEvT1_
    .private_segment_fixed_size: 0
    .sgpr_count:     0
    .sgpr_spill_count: 0
    .symbol:         _ZN7rocprim17ROCPRIM_400000_NS6detail17trampoline_kernelINS0_14default_configENS1_27scan_by_key_config_selectorIixEEZZNS1_16scan_by_key_implILNS1_25lookback_scan_determinismE0ELb0ES3_N6thrust23THRUST_200600_302600_NS6detail15normal_iteratorINS9_10device_ptrIiEEEENSB_INSC_IxEEEESG_xNS9_4plusIvEENS9_8equal_toIvEExEE10hipError_tPvRmT2_T3_T4_T5_mT6_T7_P12ihipStream_tbENKUlT_T0_E_clISt17integral_constantIbLb0EES11_EEDaSW_SX_EUlSW_E_NS1_11comp_targetILNS1_3genE5ELNS1_11target_archE942ELNS1_3gpuE9ELNS1_3repE0EEENS1_30default_config_static_selectorELNS0_4arch9wavefront6targetE0EEEvT1_.kd
    .uniform_work_group_size: 1
    .uses_dynamic_stack: false
    .vgpr_count:     0
    .vgpr_spill_count: 0
    .wavefront_size: 32
    .workgroup_processor_mode: 1
  - .args:
      - .offset:         0
        .size:           136
        .value_kind:     by_value
    .group_segment_fixed_size: 0
    .kernarg_segment_align: 8
    .kernarg_segment_size: 136
    .language:       OpenCL C
    .language_version:
      - 2
      - 0
    .max_flat_workgroup_size: 64
    .name:           _ZN7rocprim17ROCPRIM_400000_NS6detail17trampoline_kernelINS0_14default_configENS1_27scan_by_key_config_selectorIixEEZZNS1_16scan_by_key_implILNS1_25lookback_scan_determinismE0ELb0ES3_N6thrust23THRUST_200600_302600_NS6detail15normal_iteratorINS9_10device_ptrIiEEEENSB_INSC_IxEEEESG_xNS9_4plusIvEENS9_8equal_toIvEExEE10hipError_tPvRmT2_T3_T4_T5_mT6_T7_P12ihipStream_tbENKUlT_T0_E_clISt17integral_constantIbLb0EES11_EEDaSW_SX_EUlSW_E_NS1_11comp_targetILNS1_3genE4ELNS1_11target_archE910ELNS1_3gpuE8ELNS1_3repE0EEENS1_30default_config_static_selectorELNS0_4arch9wavefront6targetE0EEEvT1_
    .private_segment_fixed_size: 0
    .sgpr_count:     0
    .sgpr_spill_count: 0
    .symbol:         _ZN7rocprim17ROCPRIM_400000_NS6detail17trampoline_kernelINS0_14default_configENS1_27scan_by_key_config_selectorIixEEZZNS1_16scan_by_key_implILNS1_25lookback_scan_determinismE0ELb0ES3_N6thrust23THRUST_200600_302600_NS6detail15normal_iteratorINS9_10device_ptrIiEEEENSB_INSC_IxEEEESG_xNS9_4plusIvEENS9_8equal_toIvEExEE10hipError_tPvRmT2_T3_T4_T5_mT6_T7_P12ihipStream_tbENKUlT_T0_E_clISt17integral_constantIbLb0EES11_EEDaSW_SX_EUlSW_E_NS1_11comp_targetILNS1_3genE4ELNS1_11target_archE910ELNS1_3gpuE8ELNS1_3repE0EEENS1_30default_config_static_selectorELNS0_4arch9wavefront6targetE0EEEvT1_.kd
    .uniform_work_group_size: 1
    .uses_dynamic_stack: false
    .vgpr_count:     0
    .vgpr_spill_count: 0
    .wavefront_size: 32
    .workgroup_processor_mode: 1
  - .args:
      - .offset:         0
        .size:           136
        .value_kind:     by_value
    .group_segment_fixed_size: 0
    .kernarg_segment_align: 8
    .kernarg_segment_size: 136
    .language:       OpenCL C
    .language_version:
      - 2
      - 0
    .max_flat_workgroup_size: 128
    .name:           _ZN7rocprim17ROCPRIM_400000_NS6detail17trampoline_kernelINS0_14default_configENS1_27scan_by_key_config_selectorIixEEZZNS1_16scan_by_key_implILNS1_25lookback_scan_determinismE0ELb0ES3_N6thrust23THRUST_200600_302600_NS6detail15normal_iteratorINS9_10device_ptrIiEEEENSB_INSC_IxEEEESG_xNS9_4plusIvEENS9_8equal_toIvEExEE10hipError_tPvRmT2_T3_T4_T5_mT6_T7_P12ihipStream_tbENKUlT_T0_E_clISt17integral_constantIbLb0EES11_EEDaSW_SX_EUlSW_E_NS1_11comp_targetILNS1_3genE3ELNS1_11target_archE908ELNS1_3gpuE7ELNS1_3repE0EEENS1_30default_config_static_selectorELNS0_4arch9wavefront6targetE0EEEvT1_
    .private_segment_fixed_size: 0
    .sgpr_count:     0
    .sgpr_spill_count: 0
    .symbol:         _ZN7rocprim17ROCPRIM_400000_NS6detail17trampoline_kernelINS0_14default_configENS1_27scan_by_key_config_selectorIixEEZZNS1_16scan_by_key_implILNS1_25lookback_scan_determinismE0ELb0ES3_N6thrust23THRUST_200600_302600_NS6detail15normal_iteratorINS9_10device_ptrIiEEEENSB_INSC_IxEEEESG_xNS9_4plusIvEENS9_8equal_toIvEExEE10hipError_tPvRmT2_T3_T4_T5_mT6_T7_P12ihipStream_tbENKUlT_T0_E_clISt17integral_constantIbLb0EES11_EEDaSW_SX_EUlSW_E_NS1_11comp_targetILNS1_3genE3ELNS1_11target_archE908ELNS1_3gpuE7ELNS1_3repE0EEENS1_30default_config_static_selectorELNS0_4arch9wavefront6targetE0EEEvT1_.kd
    .uniform_work_group_size: 1
    .uses_dynamic_stack: false
    .vgpr_count:     0
    .vgpr_spill_count: 0
    .wavefront_size: 32
    .workgroup_processor_mode: 1
  - .args:
      - .offset:         0
        .size:           136
        .value_kind:     by_value
    .group_segment_fixed_size: 0
    .kernarg_segment_align: 8
    .kernarg_segment_size: 136
    .language:       OpenCL C
    .language_version:
      - 2
      - 0
    .max_flat_workgroup_size: 64
    .name:           _ZN7rocprim17ROCPRIM_400000_NS6detail17trampoline_kernelINS0_14default_configENS1_27scan_by_key_config_selectorIixEEZZNS1_16scan_by_key_implILNS1_25lookback_scan_determinismE0ELb0ES3_N6thrust23THRUST_200600_302600_NS6detail15normal_iteratorINS9_10device_ptrIiEEEENSB_INSC_IxEEEESG_xNS9_4plusIvEENS9_8equal_toIvEExEE10hipError_tPvRmT2_T3_T4_T5_mT6_T7_P12ihipStream_tbENKUlT_T0_E_clISt17integral_constantIbLb0EES11_EEDaSW_SX_EUlSW_E_NS1_11comp_targetILNS1_3genE2ELNS1_11target_archE906ELNS1_3gpuE6ELNS1_3repE0EEENS1_30default_config_static_selectorELNS0_4arch9wavefront6targetE0EEEvT1_
    .private_segment_fixed_size: 0
    .sgpr_count:     0
    .sgpr_spill_count: 0
    .symbol:         _ZN7rocprim17ROCPRIM_400000_NS6detail17trampoline_kernelINS0_14default_configENS1_27scan_by_key_config_selectorIixEEZZNS1_16scan_by_key_implILNS1_25lookback_scan_determinismE0ELb0ES3_N6thrust23THRUST_200600_302600_NS6detail15normal_iteratorINS9_10device_ptrIiEEEENSB_INSC_IxEEEESG_xNS9_4plusIvEENS9_8equal_toIvEExEE10hipError_tPvRmT2_T3_T4_T5_mT6_T7_P12ihipStream_tbENKUlT_T0_E_clISt17integral_constantIbLb0EES11_EEDaSW_SX_EUlSW_E_NS1_11comp_targetILNS1_3genE2ELNS1_11target_archE906ELNS1_3gpuE6ELNS1_3repE0EEENS1_30default_config_static_selectorELNS0_4arch9wavefront6targetE0EEEvT1_.kd
    .uniform_work_group_size: 1
    .uses_dynamic_stack: false
    .vgpr_count:     0
    .vgpr_spill_count: 0
    .wavefront_size: 32
    .workgroup_processor_mode: 1
  - .args:
      - .offset:         0
        .size:           136
        .value_kind:     by_value
    .group_segment_fixed_size: 0
    .kernarg_segment_align: 8
    .kernarg_segment_size: 136
    .language:       OpenCL C
    .language_version:
      - 2
      - 0
    .max_flat_workgroup_size: 256
    .name:           _ZN7rocprim17ROCPRIM_400000_NS6detail17trampoline_kernelINS0_14default_configENS1_27scan_by_key_config_selectorIixEEZZNS1_16scan_by_key_implILNS1_25lookback_scan_determinismE0ELb0ES3_N6thrust23THRUST_200600_302600_NS6detail15normal_iteratorINS9_10device_ptrIiEEEENSB_INSC_IxEEEESG_xNS9_4plusIvEENS9_8equal_toIvEExEE10hipError_tPvRmT2_T3_T4_T5_mT6_T7_P12ihipStream_tbENKUlT_T0_E_clISt17integral_constantIbLb0EES11_EEDaSW_SX_EUlSW_E_NS1_11comp_targetILNS1_3genE10ELNS1_11target_archE1200ELNS1_3gpuE4ELNS1_3repE0EEENS1_30default_config_static_selectorELNS0_4arch9wavefront6targetE0EEEvT1_
    .private_segment_fixed_size: 0
    .sgpr_count:     0
    .sgpr_spill_count: 0
    .symbol:         _ZN7rocprim17ROCPRIM_400000_NS6detail17trampoline_kernelINS0_14default_configENS1_27scan_by_key_config_selectorIixEEZZNS1_16scan_by_key_implILNS1_25lookback_scan_determinismE0ELb0ES3_N6thrust23THRUST_200600_302600_NS6detail15normal_iteratorINS9_10device_ptrIiEEEENSB_INSC_IxEEEESG_xNS9_4plusIvEENS9_8equal_toIvEExEE10hipError_tPvRmT2_T3_T4_T5_mT6_T7_P12ihipStream_tbENKUlT_T0_E_clISt17integral_constantIbLb0EES11_EEDaSW_SX_EUlSW_E_NS1_11comp_targetILNS1_3genE10ELNS1_11target_archE1200ELNS1_3gpuE4ELNS1_3repE0EEENS1_30default_config_static_selectorELNS0_4arch9wavefront6targetE0EEEvT1_.kd
    .uniform_work_group_size: 1
    .uses_dynamic_stack: false
    .vgpr_count:     0
    .vgpr_spill_count: 0
    .wavefront_size: 32
    .workgroup_processor_mode: 1
  - .args:
      - .offset:         0
        .size:           136
        .value_kind:     by_value
    .group_segment_fixed_size: 0
    .kernarg_segment_align: 8
    .kernarg_segment_size: 136
    .language:       OpenCL C
    .language_version:
      - 2
      - 0
    .max_flat_workgroup_size: 256
    .name:           _ZN7rocprim17ROCPRIM_400000_NS6detail17trampoline_kernelINS0_14default_configENS1_27scan_by_key_config_selectorIixEEZZNS1_16scan_by_key_implILNS1_25lookback_scan_determinismE0ELb0ES3_N6thrust23THRUST_200600_302600_NS6detail15normal_iteratorINS9_10device_ptrIiEEEENSB_INSC_IxEEEESG_xNS9_4plusIvEENS9_8equal_toIvEExEE10hipError_tPvRmT2_T3_T4_T5_mT6_T7_P12ihipStream_tbENKUlT_T0_E_clISt17integral_constantIbLb0EES11_EEDaSW_SX_EUlSW_E_NS1_11comp_targetILNS1_3genE9ELNS1_11target_archE1100ELNS1_3gpuE3ELNS1_3repE0EEENS1_30default_config_static_selectorELNS0_4arch9wavefront6targetE0EEEvT1_
    .private_segment_fixed_size: 0
    .sgpr_count:     0
    .sgpr_spill_count: 0
    .symbol:         _ZN7rocprim17ROCPRIM_400000_NS6detail17trampoline_kernelINS0_14default_configENS1_27scan_by_key_config_selectorIixEEZZNS1_16scan_by_key_implILNS1_25lookback_scan_determinismE0ELb0ES3_N6thrust23THRUST_200600_302600_NS6detail15normal_iteratorINS9_10device_ptrIiEEEENSB_INSC_IxEEEESG_xNS9_4plusIvEENS9_8equal_toIvEExEE10hipError_tPvRmT2_T3_T4_T5_mT6_T7_P12ihipStream_tbENKUlT_T0_E_clISt17integral_constantIbLb0EES11_EEDaSW_SX_EUlSW_E_NS1_11comp_targetILNS1_3genE9ELNS1_11target_archE1100ELNS1_3gpuE3ELNS1_3repE0EEENS1_30default_config_static_selectorELNS0_4arch9wavefront6targetE0EEEvT1_.kd
    .uniform_work_group_size: 1
    .uses_dynamic_stack: false
    .vgpr_count:     0
    .vgpr_spill_count: 0
    .wavefront_size: 32
    .workgroup_processor_mode: 1
  - .args:
      - .offset:         0
        .size:           136
        .value_kind:     by_value
    .group_segment_fixed_size: 6144
    .kernarg_segment_align: 8
    .kernarg_segment_size: 136
    .language:       OpenCL C
    .language_version:
      - 2
      - 0
    .max_flat_workgroup_size: 256
    .name:           _ZN7rocprim17ROCPRIM_400000_NS6detail17trampoline_kernelINS0_14default_configENS1_27scan_by_key_config_selectorIixEEZZNS1_16scan_by_key_implILNS1_25lookback_scan_determinismE0ELb0ES3_N6thrust23THRUST_200600_302600_NS6detail15normal_iteratorINS9_10device_ptrIiEEEENSB_INSC_IxEEEESG_xNS9_4plusIvEENS9_8equal_toIvEExEE10hipError_tPvRmT2_T3_T4_T5_mT6_T7_P12ihipStream_tbENKUlT_T0_E_clISt17integral_constantIbLb0EES11_EEDaSW_SX_EUlSW_E_NS1_11comp_targetILNS1_3genE8ELNS1_11target_archE1030ELNS1_3gpuE2ELNS1_3repE0EEENS1_30default_config_static_selectorELNS0_4arch9wavefront6targetE0EEEvT1_
    .private_segment_fixed_size: 0
    .sgpr_count:     40
    .sgpr_spill_count: 0
    .symbol:         _ZN7rocprim17ROCPRIM_400000_NS6detail17trampoline_kernelINS0_14default_configENS1_27scan_by_key_config_selectorIixEEZZNS1_16scan_by_key_implILNS1_25lookback_scan_determinismE0ELb0ES3_N6thrust23THRUST_200600_302600_NS6detail15normal_iteratorINS9_10device_ptrIiEEEENSB_INSC_IxEEEESG_xNS9_4plusIvEENS9_8equal_toIvEExEE10hipError_tPvRmT2_T3_T4_T5_mT6_T7_P12ihipStream_tbENKUlT_T0_E_clISt17integral_constantIbLb0EES11_EEDaSW_SX_EUlSW_E_NS1_11comp_targetILNS1_3genE8ELNS1_11target_archE1030ELNS1_3gpuE2ELNS1_3repE0EEENS1_30default_config_static_selectorELNS0_4arch9wavefront6targetE0EEEvT1_.kd
    .uniform_work_group_size: 1
    .uses_dynamic_stack: false
    .vgpr_count:     48
    .vgpr_spill_count: 0
    .wavefront_size: 32
    .workgroup_processor_mode: 1
  - .args:
      - .offset:         0
        .size:           24
        .value_kind:     by_value
      - .offset:         24
        .size:           4
        .value_kind:     by_value
      - .offset:         28
        .size:           4
        .value_kind:     by_value
      - .address_space:  global
        .offset:         32
        .size:           8
        .value_kind:     global_buffer
      - .address_space:  global
        .offset:         40
        .size:           8
        .value_kind:     global_buffer
      - .actual_access:  write_only
        .address_space:  global
        .offset:         48
        .size:           8
        .value_kind:     global_buffer
      - .offset:         56
        .size:           8
        .value_kind:     by_value
      - .offset:         64
        .size:           4
        .value_kind:     by_value
      - .address_space:  global
        .offset:         72
        .size:           8
        .value_kind:     global_buffer
      - .offset:         80
        .size:           4
        .value_kind:     hidden_block_count_x
      - .offset:         84
        .size:           4
        .value_kind:     hidden_block_count_y
      - .offset:         88
        .size:           4
        .value_kind:     hidden_block_count_z
      - .offset:         92
        .size:           2
        .value_kind:     hidden_group_size_x
      - .offset:         94
        .size:           2
        .value_kind:     hidden_group_size_y
      - .offset:         96
        .size:           2
        .value_kind:     hidden_group_size_z
      - .offset:         98
        .size:           2
        .value_kind:     hidden_remainder_x
      - .offset:         100
        .size:           2
        .value_kind:     hidden_remainder_y
      - .offset:         102
        .size:           2
        .value_kind:     hidden_remainder_z
      - .offset:         120
        .size:           8
        .value_kind:     hidden_global_offset_x
      - .offset:         128
        .size:           8
        .value_kind:     hidden_global_offset_y
      - .offset:         136
        .size:           8
        .value_kind:     hidden_global_offset_z
      - .offset:         144
        .size:           2
        .value_kind:     hidden_grid_dims
    .group_segment_fixed_size: 0
    .kernarg_segment_align: 8
    .kernarg_segment_size: 336
    .language:       OpenCL C
    .language_version:
      - 2
      - 0
    .max_flat_workgroup_size: 256
    .name:           _ZN7rocprim17ROCPRIM_400000_NS6detail30init_device_scan_by_key_kernelINS1_19lookback_scan_stateINS0_5tupleIJxbEEELb1ELb0EEEN6thrust23THRUST_200600_302600_NS6detail15normal_iteratorINS8_10device_ptrIiEEEEjNS1_16block_id_wrapperIjLb1EEEEEvT_jjPNSG_10value_typeET0_PNSt15iterator_traitsISJ_E10value_typeEmT1_T2_
    .private_segment_fixed_size: 0
    .sgpr_count:     25
    .sgpr_spill_count: 0
    .symbol:         _ZN7rocprim17ROCPRIM_400000_NS6detail30init_device_scan_by_key_kernelINS1_19lookback_scan_stateINS0_5tupleIJxbEEELb1ELb0EEEN6thrust23THRUST_200600_302600_NS6detail15normal_iteratorINS8_10device_ptrIiEEEEjNS1_16block_id_wrapperIjLb1EEEEEvT_jjPNSG_10value_typeET0_PNSt15iterator_traitsISJ_E10value_typeEmT1_T2_.kd
    .uniform_work_group_size: 1
    .uses_dynamic_stack: false
    .vgpr_count:     7
    .vgpr_spill_count: 0
    .wavefront_size: 32
    .workgroup_processor_mode: 1
  - .args:
      - .offset:         0
        .size:           136
        .value_kind:     by_value
    .group_segment_fixed_size: 0
    .kernarg_segment_align: 8
    .kernarg_segment_size: 136
    .language:       OpenCL C
    .language_version:
      - 2
      - 0
    .max_flat_workgroup_size: 128
    .name:           _ZN7rocprim17ROCPRIM_400000_NS6detail17trampoline_kernelINS0_14default_configENS1_27scan_by_key_config_selectorIixEEZZNS1_16scan_by_key_implILNS1_25lookback_scan_determinismE0ELb0ES3_N6thrust23THRUST_200600_302600_NS6detail15normal_iteratorINS9_10device_ptrIiEEEENSB_INSC_IxEEEESG_xNS9_4plusIvEENS9_8equal_toIvEExEE10hipError_tPvRmT2_T3_T4_T5_mT6_T7_P12ihipStream_tbENKUlT_T0_E_clISt17integral_constantIbLb1EES11_EEDaSW_SX_EUlSW_E_NS1_11comp_targetILNS1_3genE0ELNS1_11target_archE4294967295ELNS1_3gpuE0ELNS1_3repE0EEENS1_30default_config_static_selectorELNS0_4arch9wavefront6targetE0EEEvT1_
    .private_segment_fixed_size: 0
    .sgpr_count:     0
    .sgpr_spill_count: 0
    .symbol:         _ZN7rocprim17ROCPRIM_400000_NS6detail17trampoline_kernelINS0_14default_configENS1_27scan_by_key_config_selectorIixEEZZNS1_16scan_by_key_implILNS1_25lookback_scan_determinismE0ELb0ES3_N6thrust23THRUST_200600_302600_NS6detail15normal_iteratorINS9_10device_ptrIiEEEENSB_INSC_IxEEEESG_xNS9_4plusIvEENS9_8equal_toIvEExEE10hipError_tPvRmT2_T3_T4_T5_mT6_T7_P12ihipStream_tbENKUlT_T0_E_clISt17integral_constantIbLb1EES11_EEDaSW_SX_EUlSW_E_NS1_11comp_targetILNS1_3genE0ELNS1_11target_archE4294967295ELNS1_3gpuE0ELNS1_3repE0EEENS1_30default_config_static_selectorELNS0_4arch9wavefront6targetE0EEEvT1_.kd
    .uniform_work_group_size: 1
    .uses_dynamic_stack: false
    .vgpr_count:     0
    .vgpr_spill_count: 0
    .wavefront_size: 32
    .workgroup_processor_mode: 1
  - .args:
      - .offset:         0
        .size:           136
        .value_kind:     by_value
    .group_segment_fixed_size: 0
    .kernarg_segment_align: 8
    .kernarg_segment_size: 136
    .language:       OpenCL C
    .language_version:
      - 2
      - 0
    .max_flat_workgroup_size: 256
    .name:           _ZN7rocprim17ROCPRIM_400000_NS6detail17trampoline_kernelINS0_14default_configENS1_27scan_by_key_config_selectorIixEEZZNS1_16scan_by_key_implILNS1_25lookback_scan_determinismE0ELb0ES3_N6thrust23THRUST_200600_302600_NS6detail15normal_iteratorINS9_10device_ptrIiEEEENSB_INSC_IxEEEESG_xNS9_4plusIvEENS9_8equal_toIvEExEE10hipError_tPvRmT2_T3_T4_T5_mT6_T7_P12ihipStream_tbENKUlT_T0_E_clISt17integral_constantIbLb1EES11_EEDaSW_SX_EUlSW_E_NS1_11comp_targetILNS1_3genE10ELNS1_11target_archE1201ELNS1_3gpuE5ELNS1_3repE0EEENS1_30default_config_static_selectorELNS0_4arch9wavefront6targetE0EEEvT1_
    .private_segment_fixed_size: 0
    .sgpr_count:     0
    .sgpr_spill_count: 0
    .symbol:         _ZN7rocprim17ROCPRIM_400000_NS6detail17trampoline_kernelINS0_14default_configENS1_27scan_by_key_config_selectorIixEEZZNS1_16scan_by_key_implILNS1_25lookback_scan_determinismE0ELb0ES3_N6thrust23THRUST_200600_302600_NS6detail15normal_iteratorINS9_10device_ptrIiEEEENSB_INSC_IxEEEESG_xNS9_4plusIvEENS9_8equal_toIvEExEE10hipError_tPvRmT2_T3_T4_T5_mT6_T7_P12ihipStream_tbENKUlT_T0_E_clISt17integral_constantIbLb1EES11_EEDaSW_SX_EUlSW_E_NS1_11comp_targetILNS1_3genE10ELNS1_11target_archE1201ELNS1_3gpuE5ELNS1_3repE0EEENS1_30default_config_static_selectorELNS0_4arch9wavefront6targetE0EEEvT1_.kd
    .uniform_work_group_size: 1
    .uses_dynamic_stack: false
    .vgpr_count:     0
    .vgpr_spill_count: 0
    .wavefront_size: 32
    .workgroup_processor_mode: 1
  - .args:
      - .offset:         0
        .size:           136
        .value_kind:     by_value
    .group_segment_fixed_size: 0
    .kernarg_segment_align: 8
    .kernarg_segment_size: 136
    .language:       OpenCL C
    .language_version:
      - 2
      - 0
    .max_flat_workgroup_size: 256
    .name:           _ZN7rocprim17ROCPRIM_400000_NS6detail17trampoline_kernelINS0_14default_configENS1_27scan_by_key_config_selectorIixEEZZNS1_16scan_by_key_implILNS1_25lookback_scan_determinismE0ELb0ES3_N6thrust23THRUST_200600_302600_NS6detail15normal_iteratorINS9_10device_ptrIiEEEENSB_INSC_IxEEEESG_xNS9_4plusIvEENS9_8equal_toIvEExEE10hipError_tPvRmT2_T3_T4_T5_mT6_T7_P12ihipStream_tbENKUlT_T0_E_clISt17integral_constantIbLb1EES11_EEDaSW_SX_EUlSW_E_NS1_11comp_targetILNS1_3genE5ELNS1_11target_archE942ELNS1_3gpuE9ELNS1_3repE0EEENS1_30default_config_static_selectorELNS0_4arch9wavefront6targetE0EEEvT1_
    .private_segment_fixed_size: 0
    .sgpr_count:     0
    .sgpr_spill_count: 0
    .symbol:         _ZN7rocprim17ROCPRIM_400000_NS6detail17trampoline_kernelINS0_14default_configENS1_27scan_by_key_config_selectorIixEEZZNS1_16scan_by_key_implILNS1_25lookback_scan_determinismE0ELb0ES3_N6thrust23THRUST_200600_302600_NS6detail15normal_iteratorINS9_10device_ptrIiEEEENSB_INSC_IxEEEESG_xNS9_4plusIvEENS9_8equal_toIvEExEE10hipError_tPvRmT2_T3_T4_T5_mT6_T7_P12ihipStream_tbENKUlT_T0_E_clISt17integral_constantIbLb1EES11_EEDaSW_SX_EUlSW_E_NS1_11comp_targetILNS1_3genE5ELNS1_11target_archE942ELNS1_3gpuE9ELNS1_3repE0EEENS1_30default_config_static_selectorELNS0_4arch9wavefront6targetE0EEEvT1_.kd
    .uniform_work_group_size: 1
    .uses_dynamic_stack: false
    .vgpr_count:     0
    .vgpr_spill_count: 0
    .wavefront_size: 32
    .workgroup_processor_mode: 1
  - .args:
      - .offset:         0
        .size:           136
        .value_kind:     by_value
    .group_segment_fixed_size: 0
    .kernarg_segment_align: 8
    .kernarg_segment_size: 136
    .language:       OpenCL C
    .language_version:
      - 2
      - 0
    .max_flat_workgroup_size: 64
    .name:           _ZN7rocprim17ROCPRIM_400000_NS6detail17trampoline_kernelINS0_14default_configENS1_27scan_by_key_config_selectorIixEEZZNS1_16scan_by_key_implILNS1_25lookback_scan_determinismE0ELb0ES3_N6thrust23THRUST_200600_302600_NS6detail15normal_iteratorINS9_10device_ptrIiEEEENSB_INSC_IxEEEESG_xNS9_4plusIvEENS9_8equal_toIvEExEE10hipError_tPvRmT2_T3_T4_T5_mT6_T7_P12ihipStream_tbENKUlT_T0_E_clISt17integral_constantIbLb1EES11_EEDaSW_SX_EUlSW_E_NS1_11comp_targetILNS1_3genE4ELNS1_11target_archE910ELNS1_3gpuE8ELNS1_3repE0EEENS1_30default_config_static_selectorELNS0_4arch9wavefront6targetE0EEEvT1_
    .private_segment_fixed_size: 0
    .sgpr_count:     0
    .sgpr_spill_count: 0
    .symbol:         _ZN7rocprim17ROCPRIM_400000_NS6detail17trampoline_kernelINS0_14default_configENS1_27scan_by_key_config_selectorIixEEZZNS1_16scan_by_key_implILNS1_25lookback_scan_determinismE0ELb0ES3_N6thrust23THRUST_200600_302600_NS6detail15normal_iteratorINS9_10device_ptrIiEEEENSB_INSC_IxEEEESG_xNS9_4plusIvEENS9_8equal_toIvEExEE10hipError_tPvRmT2_T3_T4_T5_mT6_T7_P12ihipStream_tbENKUlT_T0_E_clISt17integral_constantIbLb1EES11_EEDaSW_SX_EUlSW_E_NS1_11comp_targetILNS1_3genE4ELNS1_11target_archE910ELNS1_3gpuE8ELNS1_3repE0EEENS1_30default_config_static_selectorELNS0_4arch9wavefront6targetE0EEEvT1_.kd
    .uniform_work_group_size: 1
    .uses_dynamic_stack: false
    .vgpr_count:     0
    .vgpr_spill_count: 0
    .wavefront_size: 32
    .workgroup_processor_mode: 1
  - .args:
      - .offset:         0
        .size:           136
        .value_kind:     by_value
    .group_segment_fixed_size: 0
    .kernarg_segment_align: 8
    .kernarg_segment_size: 136
    .language:       OpenCL C
    .language_version:
      - 2
      - 0
    .max_flat_workgroup_size: 128
    .name:           _ZN7rocprim17ROCPRIM_400000_NS6detail17trampoline_kernelINS0_14default_configENS1_27scan_by_key_config_selectorIixEEZZNS1_16scan_by_key_implILNS1_25lookback_scan_determinismE0ELb0ES3_N6thrust23THRUST_200600_302600_NS6detail15normal_iteratorINS9_10device_ptrIiEEEENSB_INSC_IxEEEESG_xNS9_4plusIvEENS9_8equal_toIvEExEE10hipError_tPvRmT2_T3_T4_T5_mT6_T7_P12ihipStream_tbENKUlT_T0_E_clISt17integral_constantIbLb1EES11_EEDaSW_SX_EUlSW_E_NS1_11comp_targetILNS1_3genE3ELNS1_11target_archE908ELNS1_3gpuE7ELNS1_3repE0EEENS1_30default_config_static_selectorELNS0_4arch9wavefront6targetE0EEEvT1_
    .private_segment_fixed_size: 0
    .sgpr_count:     0
    .sgpr_spill_count: 0
    .symbol:         _ZN7rocprim17ROCPRIM_400000_NS6detail17trampoline_kernelINS0_14default_configENS1_27scan_by_key_config_selectorIixEEZZNS1_16scan_by_key_implILNS1_25lookback_scan_determinismE0ELb0ES3_N6thrust23THRUST_200600_302600_NS6detail15normal_iteratorINS9_10device_ptrIiEEEENSB_INSC_IxEEEESG_xNS9_4plusIvEENS9_8equal_toIvEExEE10hipError_tPvRmT2_T3_T4_T5_mT6_T7_P12ihipStream_tbENKUlT_T0_E_clISt17integral_constantIbLb1EES11_EEDaSW_SX_EUlSW_E_NS1_11comp_targetILNS1_3genE3ELNS1_11target_archE908ELNS1_3gpuE7ELNS1_3repE0EEENS1_30default_config_static_selectorELNS0_4arch9wavefront6targetE0EEEvT1_.kd
    .uniform_work_group_size: 1
    .uses_dynamic_stack: false
    .vgpr_count:     0
    .vgpr_spill_count: 0
    .wavefront_size: 32
    .workgroup_processor_mode: 1
  - .args:
      - .offset:         0
        .size:           136
        .value_kind:     by_value
    .group_segment_fixed_size: 0
    .kernarg_segment_align: 8
    .kernarg_segment_size: 136
    .language:       OpenCL C
    .language_version:
      - 2
      - 0
    .max_flat_workgroup_size: 64
    .name:           _ZN7rocprim17ROCPRIM_400000_NS6detail17trampoline_kernelINS0_14default_configENS1_27scan_by_key_config_selectorIixEEZZNS1_16scan_by_key_implILNS1_25lookback_scan_determinismE0ELb0ES3_N6thrust23THRUST_200600_302600_NS6detail15normal_iteratorINS9_10device_ptrIiEEEENSB_INSC_IxEEEESG_xNS9_4plusIvEENS9_8equal_toIvEExEE10hipError_tPvRmT2_T3_T4_T5_mT6_T7_P12ihipStream_tbENKUlT_T0_E_clISt17integral_constantIbLb1EES11_EEDaSW_SX_EUlSW_E_NS1_11comp_targetILNS1_3genE2ELNS1_11target_archE906ELNS1_3gpuE6ELNS1_3repE0EEENS1_30default_config_static_selectorELNS0_4arch9wavefront6targetE0EEEvT1_
    .private_segment_fixed_size: 0
    .sgpr_count:     0
    .sgpr_spill_count: 0
    .symbol:         _ZN7rocprim17ROCPRIM_400000_NS6detail17trampoline_kernelINS0_14default_configENS1_27scan_by_key_config_selectorIixEEZZNS1_16scan_by_key_implILNS1_25lookback_scan_determinismE0ELb0ES3_N6thrust23THRUST_200600_302600_NS6detail15normal_iteratorINS9_10device_ptrIiEEEENSB_INSC_IxEEEESG_xNS9_4plusIvEENS9_8equal_toIvEExEE10hipError_tPvRmT2_T3_T4_T5_mT6_T7_P12ihipStream_tbENKUlT_T0_E_clISt17integral_constantIbLb1EES11_EEDaSW_SX_EUlSW_E_NS1_11comp_targetILNS1_3genE2ELNS1_11target_archE906ELNS1_3gpuE6ELNS1_3repE0EEENS1_30default_config_static_selectorELNS0_4arch9wavefront6targetE0EEEvT1_.kd
    .uniform_work_group_size: 1
    .uses_dynamic_stack: false
    .vgpr_count:     0
    .vgpr_spill_count: 0
    .wavefront_size: 32
    .workgroup_processor_mode: 1
  - .args:
      - .offset:         0
        .size:           136
        .value_kind:     by_value
    .group_segment_fixed_size: 0
    .kernarg_segment_align: 8
    .kernarg_segment_size: 136
    .language:       OpenCL C
    .language_version:
      - 2
      - 0
    .max_flat_workgroup_size: 256
    .name:           _ZN7rocprim17ROCPRIM_400000_NS6detail17trampoline_kernelINS0_14default_configENS1_27scan_by_key_config_selectorIixEEZZNS1_16scan_by_key_implILNS1_25lookback_scan_determinismE0ELb0ES3_N6thrust23THRUST_200600_302600_NS6detail15normal_iteratorINS9_10device_ptrIiEEEENSB_INSC_IxEEEESG_xNS9_4plusIvEENS9_8equal_toIvEExEE10hipError_tPvRmT2_T3_T4_T5_mT6_T7_P12ihipStream_tbENKUlT_T0_E_clISt17integral_constantIbLb1EES11_EEDaSW_SX_EUlSW_E_NS1_11comp_targetILNS1_3genE10ELNS1_11target_archE1200ELNS1_3gpuE4ELNS1_3repE0EEENS1_30default_config_static_selectorELNS0_4arch9wavefront6targetE0EEEvT1_
    .private_segment_fixed_size: 0
    .sgpr_count:     0
    .sgpr_spill_count: 0
    .symbol:         _ZN7rocprim17ROCPRIM_400000_NS6detail17trampoline_kernelINS0_14default_configENS1_27scan_by_key_config_selectorIixEEZZNS1_16scan_by_key_implILNS1_25lookback_scan_determinismE0ELb0ES3_N6thrust23THRUST_200600_302600_NS6detail15normal_iteratorINS9_10device_ptrIiEEEENSB_INSC_IxEEEESG_xNS9_4plusIvEENS9_8equal_toIvEExEE10hipError_tPvRmT2_T3_T4_T5_mT6_T7_P12ihipStream_tbENKUlT_T0_E_clISt17integral_constantIbLb1EES11_EEDaSW_SX_EUlSW_E_NS1_11comp_targetILNS1_3genE10ELNS1_11target_archE1200ELNS1_3gpuE4ELNS1_3repE0EEENS1_30default_config_static_selectorELNS0_4arch9wavefront6targetE0EEEvT1_.kd
    .uniform_work_group_size: 1
    .uses_dynamic_stack: false
    .vgpr_count:     0
    .vgpr_spill_count: 0
    .wavefront_size: 32
    .workgroup_processor_mode: 1
  - .args:
      - .offset:         0
        .size:           136
        .value_kind:     by_value
    .group_segment_fixed_size: 0
    .kernarg_segment_align: 8
    .kernarg_segment_size: 136
    .language:       OpenCL C
    .language_version:
      - 2
      - 0
    .max_flat_workgroup_size: 256
    .name:           _ZN7rocprim17ROCPRIM_400000_NS6detail17trampoline_kernelINS0_14default_configENS1_27scan_by_key_config_selectorIixEEZZNS1_16scan_by_key_implILNS1_25lookback_scan_determinismE0ELb0ES3_N6thrust23THRUST_200600_302600_NS6detail15normal_iteratorINS9_10device_ptrIiEEEENSB_INSC_IxEEEESG_xNS9_4plusIvEENS9_8equal_toIvEExEE10hipError_tPvRmT2_T3_T4_T5_mT6_T7_P12ihipStream_tbENKUlT_T0_E_clISt17integral_constantIbLb1EES11_EEDaSW_SX_EUlSW_E_NS1_11comp_targetILNS1_3genE9ELNS1_11target_archE1100ELNS1_3gpuE3ELNS1_3repE0EEENS1_30default_config_static_selectorELNS0_4arch9wavefront6targetE0EEEvT1_
    .private_segment_fixed_size: 0
    .sgpr_count:     0
    .sgpr_spill_count: 0
    .symbol:         _ZN7rocprim17ROCPRIM_400000_NS6detail17trampoline_kernelINS0_14default_configENS1_27scan_by_key_config_selectorIixEEZZNS1_16scan_by_key_implILNS1_25lookback_scan_determinismE0ELb0ES3_N6thrust23THRUST_200600_302600_NS6detail15normal_iteratorINS9_10device_ptrIiEEEENSB_INSC_IxEEEESG_xNS9_4plusIvEENS9_8equal_toIvEExEE10hipError_tPvRmT2_T3_T4_T5_mT6_T7_P12ihipStream_tbENKUlT_T0_E_clISt17integral_constantIbLb1EES11_EEDaSW_SX_EUlSW_E_NS1_11comp_targetILNS1_3genE9ELNS1_11target_archE1100ELNS1_3gpuE3ELNS1_3repE0EEENS1_30default_config_static_selectorELNS0_4arch9wavefront6targetE0EEEvT1_.kd
    .uniform_work_group_size: 1
    .uses_dynamic_stack: false
    .vgpr_count:     0
    .vgpr_spill_count: 0
    .wavefront_size: 32
    .workgroup_processor_mode: 1
  - .args:
      - .offset:         0
        .size:           136
        .value_kind:     by_value
    .group_segment_fixed_size: 0
    .kernarg_segment_align: 8
    .kernarg_segment_size: 136
    .language:       OpenCL C
    .language_version:
      - 2
      - 0
    .max_flat_workgroup_size: 256
    .name:           _ZN7rocprim17ROCPRIM_400000_NS6detail17trampoline_kernelINS0_14default_configENS1_27scan_by_key_config_selectorIixEEZZNS1_16scan_by_key_implILNS1_25lookback_scan_determinismE0ELb0ES3_N6thrust23THRUST_200600_302600_NS6detail15normal_iteratorINS9_10device_ptrIiEEEENSB_INSC_IxEEEESG_xNS9_4plusIvEENS9_8equal_toIvEExEE10hipError_tPvRmT2_T3_T4_T5_mT6_T7_P12ihipStream_tbENKUlT_T0_E_clISt17integral_constantIbLb1EES11_EEDaSW_SX_EUlSW_E_NS1_11comp_targetILNS1_3genE8ELNS1_11target_archE1030ELNS1_3gpuE2ELNS1_3repE0EEENS1_30default_config_static_selectorELNS0_4arch9wavefront6targetE0EEEvT1_
    .private_segment_fixed_size: 0
    .sgpr_count:     0
    .sgpr_spill_count: 0
    .symbol:         _ZN7rocprim17ROCPRIM_400000_NS6detail17trampoline_kernelINS0_14default_configENS1_27scan_by_key_config_selectorIixEEZZNS1_16scan_by_key_implILNS1_25lookback_scan_determinismE0ELb0ES3_N6thrust23THRUST_200600_302600_NS6detail15normal_iteratorINS9_10device_ptrIiEEEENSB_INSC_IxEEEESG_xNS9_4plusIvEENS9_8equal_toIvEExEE10hipError_tPvRmT2_T3_T4_T5_mT6_T7_P12ihipStream_tbENKUlT_T0_E_clISt17integral_constantIbLb1EES11_EEDaSW_SX_EUlSW_E_NS1_11comp_targetILNS1_3genE8ELNS1_11target_archE1030ELNS1_3gpuE2ELNS1_3repE0EEENS1_30default_config_static_selectorELNS0_4arch9wavefront6targetE0EEEvT1_.kd
    .uniform_work_group_size: 1
    .uses_dynamic_stack: false
    .vgpr_count:     0
    .vgpr_spill_count: 0
    .wavefront_size: 32
    .workgroup_processor_mode: 1
  - .args:
      - .offset:         0
        .size:           24
        .value_kind:     by_value
      - .offset:         24
        .size:           4
        .value_kind:     by_value
      - .offset:         28
        .size:           4
        .value_kind:     by_value
      - .address_space:  global
        .offset:         32
        .size:           8
        .value_kind:     global_buffer
      - .address_space:  global
        .offset:         40
        .size:           8
        .value_kind:     global_buffer
      - .actual_access:  write_only
        .address_space:  global
        .offset:         48
        .size:           8
        .value_kind:     global_buffer
      - .offset:         56
        .size:           8
        .value_kind:     by_value
      - .offset:         64
        .size:           4
        .value_kind:     by_value
      - .offset:         68
        .size:           1
        .value_kind:     by_value
      - .offset:         72
        .size:           4
        .value_kind:     hidden_block_count_x
      - .offset:         76
        .size:           4
        .value_kind:     hidden_block_count_y
      - .offset:         80
        .size:           4
        .value_kind:     hidden_block_count_z
      - .offset:         84
        .size:           2
        .value_kind:     hidden_group_size_x
      - .offset:         86
        .size:           2
        .value_kind:     hidden_group_size_y
      - .offset:         88
        .size:           2
        .value_kind:     hidden_group_size_z
      - .offset:         90
        .size:           2
        .value_kind:     hidden_remainder_x
      - .offset:         92
        .size:           2
        .value_kind:     hidden_remainder_y
      - .offset:         94
        .size:           2
        .value_kind:     hidden_remainder_z
      - .offset:         112
        .size:           8
        .value_kind:     hidden_global_offset_x
      - .offset:         120
        .size:           8
        .value_kind:     hidden_global_offset_y
      - .offset:         128
        .size:           8
        .value_kind:     hidden_global_offset_z
      - .offset:         136
        .size:           2
        .value_kind:     hidden_grid_dims
    .group_segment_fixed_size: 0
    .kernarg_segment_align: 8
    .kernarg_segment_size: 328
    .language:       OpenCL C
    .language_version:
      - 2
      - 0
    .max_flat_workgroup_size: 256
    .name:           _ZN7rocprim17ROCPRIM_400000_NS6detail30init_device_scan_by_key_kernelINS1_19lookback_scan_stateINS0_5tupleIJxbEEELb1ELb0EEEN6thrust23THRUST_200600_302600_NS6detail15normal_iteratorINS8_10device_ptrIiEEEEjNS1_16block_id_wrapperIjLb0EEEEEvT_jjPNSG_10value_typeET0_PNSt15iterator_traitsISJ_E10value_typeEmT1_T2_
    .private_segment_fixed_size: 0
    .sgpr_count:     25
    .sgpr_spill_count: 0
    .symbol:         _ZN7rocprim17ROCPRIM_400000_NS6detail30init_device_scan_by_key_kernelINS1_19lookback_scan_stateINS0_5tupleIJxbEEELb1ELb0EEEN6thrust23THRUST_200600_302600_NS6detail15normal_iteratorINS8_10device_ptrIiEEEEjNS1_16block_id_wrapperIjLb0EEEEEvT_jjPNSG_10value_typeET0_PNSt15iterator_traitsISJ_E10value_typeEmT1_T2_.kd
    .uniform_work_group_size: 1
    .uses_dynamic_stack: false
    .vgpr_count:     7
    .vgpr_spill_count: 0
    .wavefront_size: 32
    .workgroup_processor_mode: 1
  - .args:
      - .offset:         0
        .size:           136
        .value_kind:     by_value
    .group_segment_fixed_size: 0
    .kernarg_segment_align: 8
    .kernarg_segment_size: 136
    .language:       OpenCL C
    .language_version:
      - 2
      - 0
    .max_flat_workgroup_size: 128
    .name:           _ZN7rocprim17ROCPRIM_400000_NS6detail17trampoline_kernelINS0_14default_configENS1_27scan_by_key_config_selectorIixEEZZNS1_16scan_by_key_implILNS1_25lookback_scan_determinismE0ELb0ES3_N6thrust23THRUST_200600_302600_NS6detail15normal_iteratorINS9_10device_ptrIiEEEENSB_INSC_IxEEEESG_xNS9_4plusIvEENS9_8equal_toIvEExEE10hipError_tPvRmT2_T3_T4_T5_mT6_T7_P12ihipStream_tbENKUlT_T0_E_clISt17integral_constantIbLb1EES10_IbLb0EEEEDaSW_SX_EUlSW_E_NS1_11comp_targetILNS1_3genE0ELNS1_11target_archE4294967295ELNS1_3gpuE0ELNS1_3repE0EEENS1_30default_config_static_selectorELNS0_4arch9wavefront6targetE0EEEvT1_
    .private_segment_fixed_size: 0
    .sgpr_count:     0
    .sgpr_spill_count: 0
    .symbol:         _ZN7rocprim17ROCPRIM_400000_NS6detail17trampoline_kernelINS0_14default_configENS1_27scan_by_key_config_selectorIixEEZZNS1_16scan_by_key_implILNS1_25lookback_scan_determinismE0ELb0ES3_N6thrust23THRUST_200600_302600_NS6detail15normal_iteratorINS9_10device_ptrIiEEEENSB_INSC_IxEEEESG_xNS9_4plusIvEENS9_8equal_toIvEExEE10hipError_tPvRmT2_T3_T4_T5_mT6_T7_P12ihipStream_tbENKUlT_T0_E_clISt17integral_constantIbLb1EES10_IbLb0EEEEDaSW_SX_EUlSW_E_NS1_11comp_targetILNS1_3genE0ELNS1_11target_archE4294967295ELNS1_3gpuE0ELNS1_3repE0EEENS1_30default_config_static_selectorELNS0_4arch9wavefront6targetE0EEEvT1_.kd
    .uniform_work_group_size: 1
    .uses_dynamic_stack: false
    .vgpr_count:     0
    .vgpr_spill_count: 0
    .wavefront_size: 32
    .workgroup_processor_mode: 1
  - .args:
      - .offset:         0
        .size:           136
        .value_kind:     by_value
    .group_segment_fixed_size: 0
    .kernarg_segment_align: 8
    .kernarg_segment_size: 136
    .language:       OpenCL C
    .language_version:
      - 2
      - 0
    .max_flat_workgroup_size: 256
    .name:           _ZN7rocprim17ROCPRIM_400000_NS6detail17trampoline_kernelINS0_14default_configENS1_27scan_by_key_config_selectorIixEEZZNS1_16scan_by_key_implILNS1_25lookback_scan_determinismE0ELb0ES3_N6thrust23THRUST_200600_302600_NS6detail15normal_iteratorINS9_10device_ptrIiEEEENSB_INSC_IxEEEESG_xNS9_4plusIvEENS9_8equal_toIvEExEE10hipError_tPvRmT2_T3_T4_T5_mT6_T7_P12ihipStream_tbENKUlT_T0_E_clISt17integral_constantIbLb1EES10_IbLb0EEEEDaSW_SX_EUlSW_E_NS1_11comp_targetILNS1_3genE10ELNS1_11target_archE1201ELNS1_3gpuE5ELNS1_3repE0EEENS1_30default_config_static_selectorELNS0_4arch9wavefront6targetE0EEEvT1_
    .private_segment_fixed_size: 0
    .sgpr_count:     0
    .sgpr_spill_count: 0
    .symbol:         _ZN7rocprim17ROCPRIM_400000_NS6detail17trampoline_kernelINS0_14default_configENS1_27scan_by_key_config_selectorIixEEZZNS1_16scan_by_key_implILNS1_25lookback_scan_determinismE0ELb0ES3_N6thrust23THRUST_200600_302600_NS6detail15normal_iteratorINS9_10device_ptrIiEEEENSB_INSC_IxEEEESG_xNS9_4plusIvEENS9_8equal_toIvEExEE10hipError_tPvRmT2_T3_T4_T5_mT6_T7_P12ihipStream_tbENKUlT_T0_E_clISt17integral_constantIbLb1EES10_IbLb0EEEEDaSW_SX_EUlSW_E_NS1_11comp_targetILNS1_3genE10ELNS1_11target_archE1201ELNS1_3gpuE5ELNS1_3repE0EEENS1_30default_config_static_selectorELNS0_4arch9wavefront6targetE0EEEvT1_.kd
    .uniform_work_group_size: 1
    .uses_dynamic_stack: false
    .vgpr_count:     0
    .vgpr_spill_count: 0
    .wavefront_size: 32
    .workgroup_processor_mode: 1
  - .args:
      - .offset:         0
        .size:           136
        .value_kind:     by_value
    .group_segment_fixed_size: 0
    .kernarg_segment_align: 8
    .kernarg_segment_size: 136
    .language:       OpenCL C
    .language_version:
      - 2
      - 0
    .max_flat_workgroup_size: 256
    .name:           _ZN7rocprim17ROCPRIM_400000_NS6detail17trampoline_kernelINS0_14default_configENS1_27scan_by_key_config_selectorIixEEZZNS1_16scan_by_key_implILNS1_25lookback_scan_determinismE0ELb0ES3_N6thrust23THRUST_200600_302600_NS6detail15normal_iteratorINS9_10device_ptrIiEEEENSB_INSC_IxEEEESG_xNS9_4plusIvEENS9_8equal_toIvEExEE10hipError_tPvRmT2_T3_T4_T5_mT6_T7_P12ihipStream_tbENKUlT_T0_E_clISt17integral_constantIbLb1EES10_IbLb0EEEEDaSW_SX_EUlSW_E_NS1_11comp_targetILNS1_3genE5ELNS1_11target_archE942ELNS1_3gpuE9ELNS1_3repE0EEENS1_30default_config_static_selectorELNS0_4arch9wavefront6targetE0EEEvT1_
    .private_segment_fixed_size: 0
    .sgpr_count:     0
    .sgpr_spill_count: 0
    .symbol:         _ZN7rocprim17ROCPRIM_400000_NS6detail17trampoline_kernelINS0_14default_configENS1_27scan_by_key_config_selectorIixEEZZNS1_16scan_by_key_implILNS1_25lookback_scan_determinismE0ELb0ES3_N6thrust23THRUST_200600_302600_NS6detail15normal_iteratorINS9_10device_ptrIiEEEENSB_INSC_IxEEEESG_xNS9_4plusIvEENS9_8equal_toIvEExEE10hipError_tPvRmT2_T3_T4_T5_mT6_T7_P12ihipStream_tbENKUlT_T0_E_clISt17integral_constantIbLb1EES10_IbLb0EEEEDaSW_SX_EUlSW_E_NS1_11comp_targetILNS1_3genE5ELNS1_11target_archE942ELNS1_3gpuE9ELNS1_3repE0EEENS1_30default_config_static_selectorELNS0_4arch9wavefront6targetE0EEEvT1_.kd
    .uniform_work_group_size: 1
    .uses_dynamic_stack: false
    .vgpr_count:     0
    .vgpr_spill_count: 0
    .wavefront_size: 32
    .workgroup_processor_mode: 1
  - .args:
      - .offset:         0
        .size:           136
        .value_kind:     by_value
    .group_segment_fixed_size: 0
    .kernarg_segment_align: 8
    .kernarg_segment_size: 136
    .language:       OpenCL C
    .language_version:
      - 2
      - 0
    .max_flat_workgroup_size: 64
    .name:           _ZN7rocprim17ROCPRIM_400000_NS6detail17trampoline_kernelINS0_14default_configENS1_27scan_by_key_config_selectorIixEEZZNS1_16scan_by_key_implILNS1_25lookback_scan_determinismE0ELb0ES3_N6thrust23THRUST_200600_302600_NS6detail15normal_iteratorINS9_10device_ptrIiEEEENSB_INSC_IxEEEESG_xNS9_4plusIvEENS9_8equal_toIvEExEE10hipError_tPvRmT2_T3_T4_T5_mT6_T7_P12ihipStream_tbENKUlT_T0_E_clISt17integral_constantIbLb1EES10_IbLb0EEEEDaSW_SX_EUlSW_E_NS1_11comp_targetILNS1_3genE4ELNS1_11target_archE910ELNS1_3gpuE8ELNS1_3repE0EEENS1_30default_config_static_selectorELNS0_4arch9wavefront6targetE0EEEvT1_
    .private_segment_fixed_size: 0
    .sgpr_count:     0
    .sgpr_spill_count: 0
    .symbol:         _ZN7rocprim17ROCPRIM_400000_NS6detail17trampoline_kernelINS0_14default_configENS1_27scan_by_key_config_selectorIixEEZZNS1_16scan_by_key_implILNS1_25lookback_scan_determinismE0ELb0ES3_N6thrust23THRUST_200600_302600_NS6detail15normal_iteratorINS9_10device_ptrIiEEEENSB_INSC_IxEEEESG_xNS9_4plusIvEENS9_8equal_toIvEExEE10hipError_tPvRmT2_T3_T4_T5_mT6_T7_P12ihipStream_tbENKUlT_T0_E_clISt17integral_constantIbLb1EES10_IbLb0EEEEDaSW_SX_EUlSW_E_NS1_11comp_targetILNS1_3genE4ELNS1_11target_archE910ELNS1_3gpuE8ELNS1_3repE0EEENS1_30default_config_static_selectorELNS0_4arch9wavefront6targetE0EEEvT1_.kd
    .uniform_work_group_size: 1
    .uses_dynamic_stack: false
    .vgpr_count:     0
    .vgpr_spill_count: 0
    .wavefront_size: 32
    .workgroup_processor_mode: 1
  - .args:
      - .offset:         0
        .size:           136
        .value_kind:     by_value
    .group_segment_fixed_size: 0
    .kernarg_segment_align: 8
    .kernarg_segment_size: 136
    .language:       OpenCL C
    .language_version:
      - 2
      - 0
    .max_flat_workgroup_size: 128
    .name:           _ZN7rocprim17ROCPRIM_400000_NS6detail17trampoline_kernelINS0_14default_configENS1_27scan_by_key_config_selectorIixEEZZNS1_16scan_by_key_implILNS1_25lookback_scan_determinismE0ELb0ES3_N6thrust23THRUST_200600_302600_NS6detail15normal_iteratorINS9_10device_ptrIiEEEENSB_INSC_IxEEEESG_xNS9_4plusIvEENS9_8equal_toIvEExEE10hipError_tPvRmT2_T3_T4_T5_mT6_T7_P12ihipStream_tbENKUlT_T0_E_clISt17integral_constantIbLb1EES10_IbLb0EEEEDaSW_SX_EUlSW_E_NS1_11comp_targetILNS1_3genE3ELNS1_11target_archE908ELNS1_3gpuE7ELNS1_3repE0EEENS1_30default_config_static_selectorELNS0_4arch9wavefront6targetE0EEEvT1_
    .private_segment_fixed_size: 0
    .sgpr_count:     0
    .sgpr_spill_count: 0
    .symbol:         _ZN7rocprim17ROCPRIM_400000_NS6detail17trampoline_kernelINS0_14default_configENS1_27scan_by_key_config_selectorIixEEZZNS1_16scan_by_key_implILNS1_25lookback_scan_determinismE0ELb0ES3_N6thrust23THRUST_200600_302600_NS6detail15normal_iteratorINS9_10device_ptrIiEEEENSB_INSC_IxEEEESG_xNS9_4plusIvEENS9_8equal_toIvEExEE10hipError_tPvRmT2_T3_T4_T5_mT6_T7_P12ihipStream_tbENKUlT_T0_E_clISt17integral_constantIbLb1EES10_IbLb0EEEEDaSW_SX_EUlSW_E_NS1_11comp_targetILNS1_3genE3ELNS1_11target_archE908ELNS1_3gpuE7ELNS1_3repE0EEENS1_30default_config_static_selectorELNS0_4arch9wavefront6targetE0EEEvT1_.kd
    .uniform_work_group_size: 1
    .uses_dynamic_stack: false
    .vgpr_count:     0
    .vgpr_spill_count: 0
    .wavefront_size: 32
    .workgroup_processor_mode: 1
  - .args:
      - .offset:         0
        .size:           136
        .value_kind:     by_value
    .group_segment_fixed_size: 0
    .kernarg_segment_align: 8
    .kernarg_segment_size: 136
    .language:       OpenCL C
    .language_version:
      - 2
      - 0
    .max_flat_workgroup_size: 64
    .name:           _ZN7rocprim17ROCPRIM_400000_NS6detail17trampoline_kernelINS0_14default_configENS1_27scan_by_key_config_selectorIixEEZZNS1_16scan_by_key_implILNS1_25lookback_scan_determinismE0ELb0ES3_N6thrust23THRUST_200600_302600_NS6detail15normal_iteratorINS9_10device_ptrIiEEEENSB_INSC_IxEEEESG_xNS9_4plusIvEENS9_8equal_toIvEExEE10hipError_tPvRmT2_T3_T4_T5_mT6_T7_P12ihipStream_tbENKUlT_T0_E_clISt17integral_constantIbLb1EES10_IbLb0EEEEDaSW_SX_EUlSW_E_NS1_11comp_targetILNS1_3genE2ELNS1_11target_archE906ELNS1_3gpuE6ELNS1_3repE0EEENS1_30default_config_static_selectorELNS0_4arch9wavefront6targetE0EEEvT1_
    .private_segment_fixed_size: 0
    .sgpr_count:     0
    .sgpr_spill_count: 0
    .symbol:         _ZN7rocprim17ROCPRIM_400000_NS6detail17trampoline_kernelINS0_14default_configENS1_27scan_by_key_config_selectorIixEEZZNS1_16scan_by_key_implILNS1_25lookback_scan_determinismE0ELb0ES3_N6thrust23THRUST_200600_302600_NS6detail15normal_iteratorINS9_10device_ptrIiEEEENSB_INSC_IxEEEESG_xNS9_4plusIvEENS9_8equal_toIvEExEE10hipError_tPvRmT2_T3_T4_T5_mT6_T7_P12ihipStream_tbENKUlT_T0_E_clISt17integral_constantIbLb1EES10_IbLb0EEEEDaSW_SX_EUlSW_E_NS1_11comp_targetILNS1_3genE2ELNS1_11target_archE906ELNS1_3gpuE6ELNS1_3repE0EEENS1_30default_config_static_selectorELNS0_4arch9wavefront6targetE0EEEvT1_.kd
    .uniform_work_group_size: 1
    .uses_dynamic_stack: false
    .vgpr_count:     0
    .vgpr_spill_count: 0
    .wavefront_size: 32
    .workgroup_processor_mode: 1
  - .args:
      - .offset:         0
        .size:           136
        .value_kind:     by_value
    .group_segment_fixed_size: 0
    .kernarg_segment_align: 8
    .kernarg_segment_size: 136
    .language:       OpenCL C
    .language_version:
      - 2
      - 0
    .max_flat_workgroup_size: 256
    .name:           _ZN7rocprim17ROCPRIM_400000_NS6detail17trampoline_kernelINS0_14default_configENS1_27scan_by_key_config_selectorIixEEZZNS1_16scan_by_key_implILNS1_25lookback_scan_determinismE0ELb0ES3_N6thrust23THRUST_200600_302600_NS6detail15normal_iteratorINS9_10device_ptrIiEEEENSB_INSC_IxEEEESG_xNS9_4plusIvEENS9_8equal_toIvEExEE10hipError_tPvRmT2_T3_T4_T5_mT6_T7_P12ihipStream_tbENKUlT_T0_E_clISt17integral_constantIbLb1EES10_IbLb0EEEEDaSW_SX_EUlSW_E_NS1_11comp_targetILNS1_3genE10ELNS1_11target_archE1200ELNS1_3gpuE4ELNS1_3repE0EEENS1_30default_config_static_selectorELNS0_4arch9wavefront6targetE0EEEvT1_
    .private_segment_fixed_size: 0
    .sgpr_count:     0
    .sgpr_spill_count: 0
    .symbol:         _ZN7rocprim17ROCPRIM_400000_NS6detail17trampoline_kernelINS0_14default_configENS1_27scan_by_key_config_selectorIixEEZZNS1_16scan_by_key_implILNS1_25lookback_scan_determinismE0ELb0ES3_N6thrust23THRUST_200600_302600_NS6detail15normal_iteratorINS9_10device_ptrIiEEEENSB_INSC_IxEEEESG_xNS9_4plusIvEENS9_8equal_toIvEExEE10hipError_tPvRmT2_T3_T4_T5_mT6_T7_P12ihipStream_tbENKUlT_T0_E_clISt17integral_constantIbLb1EES10_IbLb0EEEEDaSW_SX_EUlSW_E_NS1_11comp_targetILNS1_3genE10ELNS1_11target_archE1200ELNS1_3gpuE4ELNS1_3repE0EEENS1_30default_config_static_selectorELNS0_4arch9wavefront6targetE0EEEvT1_.kd
    .uniform_work_group_size: 1
    .uses_dynamic_stack: false
    .vgpr_count:     0
    .vgpr_spill_count: 0
    .wavefront_size: 32
    .workgroup_processor_mode: 1
  - .args:
      - .offset:         0
        .size:           136
        .value_kind:     by_value
    .group_segment_fixed_size: 0
    .kernarg_segment_align: 8
    .kernarg_segment_size: 136
    .language:       OpenCL C
    .language_version:
      - 2
      - 0
    .max_flat_workgroup_size: 256
    .name:           _ZN7rocprim17ROCPRIM_400000_NS6detail17trampoline_kernelINS0_14default_configENS1_27scan_by_key_config_selectorIixEEZZNS1_16scan_by_key_implILNS1_25lookback_scan_determinismE0ELb0ES3_N6thrust23THRUST_200600_302600_NS6detail15normal_iteratorINS9_10device_ptrIiEEEENSB_INSC_IxEEEESG_xNS9_4plusIvEENS9_8equal_toIvEExEE10hipError_tPvRmT2_T3_T4_T5_mT6_T7_P12ihipStream_tbENKUlT_T0_E_clISt17integral_constantIbLb1EES10_IbLb0EEEEDaSW_SX_EUlSW_E_NS1_11comp_targetILNS1_3genE9ELNS1_11target_archE1100ELNS1_3gpuE3ELNS1_3repE0EEENS1_30default_config_static_selectorELNS0_4arch9wavefront6targetE0EEEvT1_
    .private_segment_fixed_size: 0
    .sgpr_count:     0
    .sgpr_spill_count: 0
    .symbol:         _ZN7rocprim17ROCPRIM_400000_NS6detail17trampoline_kernelINS0_14default_configENS1_27scan_by_key_config_selectorIixEEZZNS1_16scan_by_key_implILNS1_25lookback_scan_determinismE0ELb0ES3_N6thrust23THRUST_200600_302600_NS6detail15normal_iteratorINS9_10device_ptrIiEEEENSB_INSC_IxEEEESG_xNS9_4plusIvEENS9_8equal_toIvEExEE10hipError_tPvRmT2_T3_T4_T5_mT6_T7_P12ihipStream_tbENKUlT_T0_E_clISt17integral_constantIbLb1EES10_IbLb0EEEEDaSW_SX_EUlSW_E_NS1_11comp_targetILNS1_3genE9ELNS1_11target_archE1100ELNS1_3gpuE3ELNS1_3repE0EEENS1_30default_config_static_selectorELNS0_4arch9wavefront6targetE0EEEvT1_.kd
    .uniform_work_group_size: 1
    .uses_dynamic_stack: false
    .vgpr_count:     0
    .vgpr_spill_count: 0
    .wavefront_size: 32
    .workgroup_processor_mode: 1
  - .args:
      - .offset:         0
        .size:           136
        .value_kind:     by_value
    .group_segment_fixed_size: 0
    .kernarg_segment_align: 8
    .kernarg_segment_size: 136
    .language:       OpenCL C
    .language_version:
      - 2
      - 0
    .max_flat_workgroup_size: 256
    .name:           _ZN7rocprim17ROCPRIM_400000_NS6detail17trampoline_kernelINS0_14default_configENS1_27scan_by_key_config_selectorIixEEZZNS1_16scan_by_key_implILNS1_25lookback_scan_determinismE0ELb0ES3_N6thrust23THRUST_200600_302600_NS6detail15normal_iteratorINS9_10device_ptrIiEEEENSB_INSC_IxEEEESG_xNS9_4plusIvEENS9_8equal_toIvEExEE10hipError_tPvRmT2_T3_T4_T5_mT6_T7_P12ihipStream_tbENKUlT_T0_E_clISt17integral_constantIbLb1EES10_IbLb0EEEEDaSW_SX_EUlSW_E_NS1_11comp_targetILNS1_3genE8ELNS1_11target_archE1030ELNS1_3gpuE2ELNS1_3repE0EEENS1_30default_config_static_selectorELNS0_4arch9wavefront6targetE0EEEvT1_
    .private_segment_fixed_size: 0
    .sgpr_count:     0
    .sgpr_spill_count: 0
    .symbol:         _ZN7rocprim17ROCPRIM_400000_NS6detail17trampoline_kernelINS0_14default_configENS1_27scan_by_key_config_selectorIixEEZZNS1_16scan_by_key_implILNS1_25lookback_scan_determinismE0ELb0ES3_N6thrust23THRUST_200600_302600_NS6detail15normal_iteratorINS9_10device_ptrIiEEEENSB_INSC_IxEEEESG_xNS9_4plusIvEENS9_8equal_toIvEExEE10hipError_tPvRmT2_T3_T4_T5_mT6_T7_P12ihipStream_tbENKUlT_T0_E_clISt17integral_constantIbLb1EES10_IbLb0EEEEDaSW_SX_EUlSW_E_NS1_11comp_targetILNS1_3genE8ELNS1_11target_archE1030ELNS1_3gpuE2ELNS1_3repE0EEENS1_30default_config_static_selectorELNS0_4arch9wavefront6targetE0EEEvT1_.kd
    .uniform_work_group_size: 1
    .uses_dynamic_stack: false
    .vgpr_count:     0
    .vgpr_spill_count: 0
    .wavefront_size: 32
    .workgroup_processor_mode: 1
  - .args:
      - .offset:         0
        .size:           24
        .value_kind:     by_value
      - .offset:         24
        .size:           4
        .value_kind:     by_value
      - .offset:         28
        .size:           4
        .value_kind:     by_value
      - .address_space:  global
        .offset:         32
        .size:           8
        .value_kind:     global_buffer
      - .address_space:  global
        .offset:         40
        .size:           8
        .value_kind:     global_buffer
      - .actual_access:  write_only
        .address_space:  global
        .offset:         48
        .size:           8
        .value_kind:     global_buffer
      - .offset:         56
        .size:           8
        .value_kind:     by_value
      - .offset:         64
        .size:           4
        .value_kind:     by_value
      - .address_space:  global
        .offset:         72
        .size:           8
        .value_kind:     global_buffer
      - .offset:         80
        .size:           4
        .value_kind:     hidden_block_count_x
      - .offset:         84
        .size:           4
        .value_kind:     hidden_block_count_y
      - .offset:         88
        .size:           4
        .value_kind:     hidden_block_count_z
      - .offset:         92
        .size:           2
        .value_kind:     hidden_group_size_x
      - .offset:         94
        .size:           2
        .value_kind:     hidden_group_size_y
      - .offset:         96
        .size:           2
        .value_kind:     hidden_group_size_z
      - .offset:         98
        .size:           2
        .value_kind:     hidden_remainder_x
      - .offset:         100
        .size:           2
        .value_kind:     hidden_remainder_y
      - .offset:         102
        .size:           2
        .value_kind:     hidden_remainder_z
      - .offset:         120
        .size:           8
        .value_kind:     hidden_global_offset_x
      - .offset:         128
        .size:           8
        .value_kind:     hidden_global_offset_y
      - .offset:         136
        .size:           8
        .value_kind:     hidden_global_offset_z
      - .offset:         144
        .size:           2
        .value_kind:     hidden_grid_dims
    .group_segment_fixed_size: 0
    .kernarg_segment_align: 8
    .kernarg_segment_size: 336
    .language:       OpenCL C
    .language_version:
      - 2
      - 0
    .max_flat_workgroup_size: 256
    .name:           _ZN7rocprim17ROCPRIM_400000_NS6detail30init_device_scan_by_key_kernelINS1_19lookback_scan_stateINS0_5tupleIJxbEEELb0ELb0EEEN6thrust23THRUST_200600_302600_NS6detail15normal_iteratorINS8_10device_ptrIiEEEEjNS1_16block_id_wrapperIjLb1EEEEEvT_jjPNSG_10value_typeET0_PNSt15iterator_traitsISJ_E10value_typeEmT1_T2_
    .private_segment_fixed_size: 0
    .sgpr_count:     24
    .sgpr_spill_count: 0
    .symbol:         _ZN7rocprim17ROCPRIM_400000_NS6detail30init_device_scan_by_key_kernelINS1_19lookback_scan_stateINS0_5tupleIJxbEEELb0ELb0EEEN6thrust23THRUST_200600_302600_NS6detail15normal_iteratorINS8_10device_ptrIiEEEEjNS1_16block_id_wrapperIjLb1EEEEEvT_jjPNSG_10value_typeET0_PNSt15iterator_traitsISJ_E10value_typeEmT1_T2_.kd
    .uniform_work_group_size: 1
    .uses_dynamic_stack: false
    .vgpr_count:     7
    .vgpr_spill_count: 0
    .wavefront_size: 32
    .workgroup_processor_mode: 1
  - .args:
      - .offset:         0
        .size:           136
        .value_kind:     by_value
    .group_segment_fixed_size: 0
    .kernarg_segment_align: 8
    .kernarg_segment_size: 136
    .language:       OpenCL C
    .language_version:
      - 2
      - 0
    .max_flat_workgroup_size: 128
    .name:           _ZN7rocprim17ROCPRIM_400000_NS6detail17trampoline_kernelINS0_14default_configENS1_27scan_by_key_config_selectorIixEEZZNS1_16scan_by_key_implILNS1_25lookback_scan_determinismE0ELb0ES3_N6thrust23THRUST_200600_302600_NS6detail15normal_iteratorINS9_10device_ptrIiEEEENSB_INSC_IxEEEESG_xNS9_4plusIvEENS9_8equal_toIvEExEE10hipError_tPvRmT2_T3_T4_T5_mT6_T7_P12ihipStream_tbENKUlT_T0_E_clISt17integral_constantIbLb0EES10_IbLb1EEEEDaSW_SX_EUlSW_E_NS1_11comp_targetILNS1_3genE0ELNS1_11target_archE4294967295ELNS1_3gpuE0ELNS1_3repE0EEENS1_30default_config_static_selectorELNS0_4arch9wavefront6targetE0EEEvT1_
    .private_segment_fixed_size: 0
    .sgpr_count:     0
    .sgpr_spill_count: 0
    .symbol:         _ZN7rocprim17ROCPRIM_400000_NS6detail17trampoline_kernelINS0_14default_configENS1_27scan_by_key_config_selectorIixEEZZNS1_16scan_by_key_implILNS1_25lookback_scan_determinismE0ELb0ES3_N6thrust23THRUST_200600_302600_NS6detail15normal_iteratorINS9_10device_ptrIiEEEENSB_INSC_IxEEEESG_xNS9_4plusIvEENS9_8equal_toIvEExEE10hipError_tPvRmT2_T3_T4_T5_mT6_T7_P12ihipStream_tbENKUlT_T0_E_clISt17integral_constantIbLb0EES10_IbLb1EEEEDaSW_SX_EUlSW_E_NS1_11comp_targetILNS1_3genE0ELNS1_11target_archE4294967295ELNS1_3gpuE0ELNS1_3repE0EEENS1_30default_config_static_selectorELNS0_4arch9wavefront6targetE0EEEvT1_.kd
    .uniform_work_group_size: 1
    .uses_dynamic_stack: false
    .vgpr_count:     0
    .vgpr_spill_count: 0
    .wavefront_size: 32
    .workgroup_processor_mode: 1
  - .args:
      - .offset:         0
        .size:           136
        .value_kind:     by_value
    .group_segment_fixed_size: 0
    .kernarg_segment_align: 8
    .kernarg_segment_size: 136
    .language:       OpenCL C
    .language_version:
      - 2
      - 0
    .max_flat_workgroup_size: 256
    .name:           _ZN7rocprim17ROCPRIM_400000_NS6detail17trampoline_kernelINS0_14default_configENS1_27scan_by_key_config_selectorIixEEZZNS1_16scan_by_key_implILNS1_25lookback_scan_determinismE0ELb0ES3_N6thrust23THRUST_200600_302600_NS6detail15normal_iteratorINS9_10device_ptrIiEEEENSB_INSC_IxEEEESG_xNS9_4plusIvEENS9_8equal_toIvEExEE10hipError_tPvRmT2_T3_T4_T5_mT6_T7_P12ihipStream_tbENKUlT_T0_E_clISt17integral_constantIbLb0EES10_IbLb1EEEEDaSW_SX_EUlSW_E_NS1_11comp_targetILNS1_3genE10ELNS1_11target_archE1201ELNS1_3gpuE5ELNS1_3repE0EEENS1_30default_config_static_selectorELNS0_4arch9wavefront6targetE0EEEvT1_
    .private_segment_fixed_size: 0
    .sgpr_count:     0
    .sgpr_spill_count: 0
    .symbol:         _ZN7rocprim17ROCPRIM_400000_NS6detail17trampoline_kernelINS0_14default_configENS1_27scan_by_key_config_selectorIixEEZZNS1_16scan_by_key_implILNS1_25lookback_scan_determinismE0ELb0ES3_N6thrust23THRUST_200600_302600_NS6detail15normal_iteratorINS9_10device_ptrIiEEEENSB_INSC_IxEEEESG_xNS9_4plusIvEENS9_8equal_toIvEExEE10hipError_tPvRmT2_T3_T4_T5_mT6_T7_P12ihipStream_tbENKUlT_T0_E_clISt17integral_constantIbLb0EES10_IbLb1EEEEDaSW_SX_EUlSW_E_NS1_11comp_targetILNS1_3genE10ELNS1_11target_archE1201ELNS1_3gpuE5ELNS1_3repE0EEENS1_30default_config_static_selectorELNS0_4arch9wavefront6targetE0EEEvT1_.kd
    .uniform_work_group_size: 1
    .uses_dynamic_stack: false
    .vgpr_count:     0
    .vgpr_spill_count: 0
    .wavefront_size: 32
    .workgroup_processor_mode: 1
  - .args:
      - .offset:         0
        .size:           136
        .value_kind:     by_value
    .group_segment_fixed_size: 0
    .kernarg_segment_align: 8
    .kernarg_segment_size: 136
    .language:       OpenCL C
    .language_version:
      - 2
      - 0
    .max_flat_workgroup_size: 256
    .name:           _ZN7rocprim17ROCPRIM_400000_NS6detail17trampoline_kernelINS0_14default_configENS1_27scan_by_key_config_selectorIixEEZZNS1_16scan_by_key_implILNS1_25lookback_scan_determinismE0ELb0ES3_N6thrust23THRUST_200600_302600_NS6detail15normal_iteratorINS9_10device_ptrIiEEEENSB_INSC_IxEEEESG_xNS9_4plusIvEENS9_8equal_toIvEExEE10hipError_tPvRmT2_T3_T4_T5_mT6_T7_P12ihipStream_tbENKUlT_T0_E_clISt17integral_constantIbLb0EES10_IbLb1EEEEDaSW_SX_EUlSW_E_NS1_11comp_targetILNS1_3genE5ELNS1_11target_archE942ELNS1_3gpuE9ELNS1_3repE0EEENS1_30default_config_static_selectorELNS0_4arch9wavefront6targetE0EEEvT1_
    .private_segment_fixed_size: 0
    .sgpr_count:     0
    .sgpr_spill_count: 0
    .symbol:         _ZN7rocprim17ROCPRIM_400000_NS6detail17trampoline_kernelINS0_14default_configENS1_27scan_by_key_config_selectorIixEEZZNS1_16scan_by_key_implILNS1_25lookback_scan_determinismE0ELb0ES3_N6thrust23THRUST_200600_302600_NS6detail15normal_iteratorINS9_10device_ptrIiEEEENSB_INSC_IxEEEESG_xNS9_4plusIvEENS9_8equal_toIvEExEE10hipError_tPvRmT2_T3_T4_T5_mT6_T7_P12ihipStream_tbENKUlT_T0_E_clISt17integral_constantIbLb0EES10_IbLb1EEEEDaSW_SX_EUlSW_E_NS1_11comp_targetILNS1_3genE5ELNS1_11target_archE942ELNS1_3gpuE9ELNS1_3repE0EEENS1_30default_config_static_selectorELNS0_4arch9wavefront6targetE0EEEvT1_.kd
    .uniform_work_group_size: 1
    .uses_dynamic_stack: false
    .vgpr_count:     0
    .vgpr_spill_count: 0
    .wavefront_size: 32
    .workgroup_processor_mode: 1
  - .args:
      - .offset:         0
        .size:           136
        .value_kind:     by_value
    .group_segment_fixed_size: 0
    .kernarg_segment_align: 8
    .kernarg_segment_size: 136
    .language:       OpenCL C
    .language_version:
      - 2
      - 0
    .max_flat_workgroup_size: 64
    .name:           _ZN7rocprim17ROCPRIM_400000_NS6detail17trampoline_kernelINS0_14default_configENS1_27scan_by_key_config_selectorIixEEZZNS1_16scan_by_key_implILNS1_25lookback_scan_determinismE0ELb0ES3_N6thrust23THRUST_200600_302600_NS6detail15normal_iteratorINS9_10device_ptrIiEEEENSB_INSC_IxEEEESG_xNS9_4plusIvEENS9_8equal_toIvEExEE10hipError_tPvRmT2_T3_T4_T5_mT6_T7_P12ihipStream_tbENKUlT_T0_E_clISt17integral_constantIbLb0EES10_IbLb1EEEEDaSW_SX_EUlSW_E_NS1_11comp_targetILNS1_3genE4ELNS1_11target_archE910ELNS1_3gpuE8ELNS1_3repE0EEENS1_30default_config_static_selectorELNS0_4arch9wavefront6targetE0EEEvT1_
    .private_segment_fixed_size: 0
    .sgpr_count:     0
    .sgpr_spill_count: 0
    .symbol:         _ZN7rocprim17ROCPRIM_400000_NS6detail17trampoline_kernelINS0_14default_configENS1_27scan_by_key_config_selectorIixEEZZNS1_16scan_by_key_implILNS1_25lookback_scan_determinismE0ELb0ES3_N6thrust23THRUST_200600_302600_NS6detail15normal_iteratorINS9_10device_ptrIiEEEENSB_INSC_IxEEEESG_xNS9_4plusIvEENS9_8equal_toIvEExEE10hipError_tPvRmT2_T3_T4_T5_mT6_T7_P12ihipStream_tbENKUlT_T0_E_clISt17integral_constantIbLb0EES10_IbLb1EEEEDaSW_SX_EUlSW_E_NS1_11comp_targetILNS1_3genE4ELNS1_11target_archE910ELNS1_3gpuE8ELNS1_3repE0EEENS1_30default_config_static_selectorELNS0_4arch9wavefront6targetE0EEEvT1_.kd
    .uniform_work_group_size: 1
    .uses_dynamic_stack: false
    .vgpr_count:     0
    .vgpr_spill_count: 0
    .wavefront_size: 32
    .workgroup_processor_mode: 1
  - .args:
      - .offset:         0
        .size:           136
        .value_kind:     by_value
    .group_segment_fixed_size: 0
    .kernarg_segment_align: 8
    .kernarg_segment_size: 136
    .language:       OpenCL C
    .language_version:
      - 2
      - 0
    .max_flat_workgroup_size: 128
    .name:           _ZN7rocprim17ROCPRIM_400000_NS6detail17trampoline_kernelINS0_14default_configENS1_27scan_by_key_config_selectorIixEEZZNS1_16scan_by_key_implILNS1_25lookback_scan_determinismE0ELb0ES3_N6thrust23THRUST_200600_302600_NS6detail15normal_iteratorINS9_10device_ptrIiEEEENSB_INSC_IxEEEESG_xNS9_4plusIvEENS9_8equal_toIvEExEE10hipError_tPvRmT2_T3_T4_T5_mT6_T7_P12ihipStream_tbENKUlT_T0_E_clISt17integral_constantIbLb0EES10_IbLb1EEEEDaSW_SX_EUlSW_E_NS1_11comp_targetILNS1_3genE3ELNS1_11target_archE908ELNS1_3gpuE7ELNS1_3repE0EEENS1_30default_config_static_selectorELNS0_4arch9wavefront6targetE0EEEvT1_
    .private_segment_fixed_size: 0
    .sgpr_count:     0
    .sgpr_spill_count: 0
    .symbol:         _ZN7rocprim17ROCPRIM_400000_NS6detail17trampoline_kernelINS0_14default_configENS1_27scan_by_key_config_selectorIixEEZZNS1_16scan_by_key_implILNS1_25lookback_scan_determinismE0ELb0ES3_N6thrust23THRUST_200600_302600_NS6detail15normal_iteratorINS9_10device_ptrIiEEEENSB_INSC_IxEEEESG_xNS9_4plusIvEENS9_8equal_toIvEExEE10hipError_tPvRmT2_T3_T4_T5_mT6_T7_P12ihipStream_tbENKUlT_T0_E_clISt17integral_constantIbLb0EES10_IbLb1EEEEDaSW_SX_EUlSW_E_NS1_11comp_targetILNS1_3genE3ELNS1_11target_archE908ELNS1_3gpuE7ELNS1_3repE0EEENS1_30default_config_static_selectorELNS0_4arch9wavefront6targetE0EEEvT1_.kd
    .uniform_work_group_size: 1
    .uses_dynamic_stack: false
    .vgpr_count:     0
    .vgpr_spill_count: 0
    .wavefront_size: 32
    .workgroup_processor_mode: 1
  - .args:
      - .offset:         0
        .size:           136
        .value_kind:     by_value
    .group_segment_fixed_size: 0
    .kernarg_segment_align: 8
    .kernarg_segment_size: 136
    .language:       OpenCL C
    .language_version:
      - 2
      - 0
    .max_flat_workgroup_size: 64
    .name:           _ZN7rocprim17ROCPRIM_400000_NS6detail17trampoline_kernelINS0_14default_configENS1_27scan_by_key_config_selectorIixEEZZNS1_16scan_by_key_implILNS1_25lookback_scan_determinismE0ELb0ES3_N6thrust23THRUST_200600_302600_NS6detail15normal_iteratorINS9_10device_ptrIiEEEENSB_INSC_IxEEEESG_xNS9_4plusIvEENS9_8equal_toIvEExEE10hipError_tPvRmT2_T3_T4_T5_mT6_T7_P12ihipStream_tbENKUlT_T0_E_clISt17integral_constantIbLb0EES10_IbLb1EEEEDaSW_SX_EUlSW_E_NS1_11comp_targetILNS1_3genE2ELNS1_11target_archE906ELNS1_3gpuE6ELNS1_3repE0EEENS1_30default_config_static_selectorELNS0_4arch9wavefront6targetE0EEEvT1_
    .private_segment_fixed_size: 0
    .sgpr_count:     0
    .sgpr_spill_count: 0
    .symbol:         _ZN7rocprim17ROCPRIM_400000_NS6detail17trampoline_kernelINS0_14default_configENS1_27scan_by_key_config_selectorIixEEZZNS1_16scan_by_key_implILNS1_25lookback_scan_determinismE0ELb0ES3_N6thrust23THRUST_200600_302600_NS6detail15normal_iteratorINS9_10device_ptrIiEEEENSB_INSC_IxEEEESG_xNS9_4plusIvEENS9_8equal_toIvEExEE10hipError_tPvRmT2_T3_T4_T5_mT6_T7_P12ihipStream_tbENKUlT_T0_E_clISt17integral_constantIbLb0EES10_IbLb1EEEEDaSW_SX_EUlSW_E_NS1_11comp_targetILNS1_3genE2ELNS1_11target_archE906ELNS1_3gpuE6ELNS1_3repE0EEENS1_30default_config_static_selectorELNS0_4arch9wavefront6targetE0EEEvT1_.kd
    .uniform_work_group_size: 1
    .uses_dynamic_stack: false
    .vgpr_count:     0
    .vgpr_spill_count: 0
    .wavefront_size: 32
    .workgroup_processor_mode: 1
  - .args:
      - .offset:         0
        .size:           136
        .value_kind:     by_value
    .group_segment_fixed_size: 0
    .kernarg_segment_align: 8
    .kernarg_segment_size: 136
    .language:       OpenCL C
    .language_version:
      - 2
      - 0
    .max_flat_workgroup_size: 256
    .name:           _ZN7rocprim17ROCPRIM_400000_NS6detail17trampoline_kernelINS0_14default_configENS1_27scan_by_key_config_selectorIixEEZZNS1_16scan_by_key_implILNS1_25lookback_scan_determinismE0ELb0ES3_N6thrust23THRUST_200600_302600_NS6detail15normal_iteratorINS9_10device_ptrIiEEEENSB_INSC_IxEEEESG_xNS9_4plusIvEENS9_8equal_toIvEExEE10hipError_tPvRmT2_T3_T4_T5_mT6_T7_P12ihipStream_tbENKUlT_T0_E_clISt17integral_constantIbLb0EES10_IbLb1EEEEDaSW_SX_EUlSW_E_NS1_11comp_targetILNS1_3genE10ELNS1_11target_archE1200ELNS1_3gpuE4ELNS1_3repE0EEENS1_30default_config_static_selectorELNS0_4arch9wavefront6targetE0EEEvT1_
    .private_segment_fixed_size: 0
    .sgpr_count:     0
    .sgpr_spill_count: 0
    .symbol:         _ZN7rocprim17ROCPRIM_400000_NS6detail17trampoline_kernelINS0_14default_configENS1_27scan_by_key_config_selectorIixEEZZNS1_16scan_by_key_implILNS1_25lookback_scan_determinismE0ELb0ES3_N6thrust23THRUST_200600_302600_NS6detail15normal_iteratorINS9_10device_ptrIiEEEENSB_INSC_IxEEEESG_xNS9_4plusIvEENS9_8equal_toIvEExEE10hipError_tPvRmT2_T3_T4_T5_mT6_T7_P12ihipStream_tbENKUlT_T0_E_clISt17integral_constantIbLb0EES10_IbLb1EEEEDaSW_SX_EUlSW_E_NS1_11comp_targetILNS1_3genE10ELNS1_11target_archE1200ELNS1_3gpuE4ELNS1_3repE0EEENS1_30default_config_static_selectorELNS0_4arch9wavefront6targetE0EEEvT1_.kd
    .uniform_work_group_size: 1
    .uses_dynamic_stack: false
    .vgpr_count:     0
    .vgpr_spill_count: 0
    .wavefront_size: 32
    .workgroup_processor_mode: 1
  - .args:
      - .offset:         0
        .size:           136
        .value_kind:     by_value
    .group_segment_fixed_size: 0
    .kernarg_segment_align: 8
    .kernarg_segment_size: 136
    .language:       OpenCL C
    .language_version:
      - 2
      - 0
    .max_flat_workgroup_size: 256
    .name:           _ZN7rocprim17ROCPRIM_400000_NS6detail17trampoline_kernelINS0_14default_configENS1_27scan_by_key_config_selectorIixEEZZNS1_16scan_by_key_implILNS1_25lookback_scan_determinismE0ELb0ES3_N6thrust23THRUST_200600_302600_NS6detail15normal_iteratorINS9_10device_ptrIiEEEENSB_INSC_IxEEEESG_xNS9_4plusIvEENS9_8equal_toIvEExEE10hipError_tPvRmT2_T3_T4_T5_mT6_T7_P12ihipStream_tbENKUlT_T0_E_clISt17integral_constantIbLb0EES10_IbLb1EEEEDaSW_SX_EUlSW_E_NS1_11comp_targetILNS1_3genE9ELNS1_11target_archE1100ELNS1_3gpuE3ELNS1_3repE0EEENS1_30default_config_static_selectorELNS0_4arch9wavefront6targetE0EEEvT1_
    .private_segment_fixed_size: 0
    .sgpr_count:     0
    .sgpr_spill_count: 0
    .symbol:         _ZN7rocprim17ROCPRIM_400000_NS6detail17trampoline_kernelINS0_14default_configENS1_27scan_by_key_config_selectorIixEEZZNS1_16scan_by_key_implILNS1_25lookback_scan_determinismE0ELb0ES3_N6thrust23THRUST_200600_302600_NS6detail15normal_iteratorINS9_10device_ptrIiEEEENSB_INSC_IxEEEESG_xNS9_4plusIvEENS9_8equal_toIvEExEE10hipError_tPvRmT2_T3_T4_T5_mT6_T7_P12ihipStream_tbENKUlT_T0_E_clISt17integral_constantIbLb0EES10_IbLb1EEEEDaSW_SX_EUlSW_E_NS1_11comp_targetILNS1_3genE9ELNS1_11target_archE1100ELNS1_3gpuE3ELNS1_3repE0EEENS1_30default_config_static_selectorELNS0_4arch9wavefront6targetE0EEEvT1_.kd
    .uniform_work_group_size: 1
    .uses_dynamic_stack: false
    .vgpr_count:     0
    .vgpr_spill_count: 0
    .wavefront_size: 32
    .workgroup_processor_mode: 1
  - .args:
      - .offset:         0
        .size:           136
        .value_kind:     by_value
    .group_segment_fixed_size: 6144
    .kernarg_segment_align: 8
    .kernarg_segment_size: 136
    .language:       OpenCL C
    .language_version:
      - 2
      - 0
    .max_flat_workgroup_size: 256
    .name:           _ZN7rocprim17ROCPRIM_400000_NS6detail17trampoline_kernelINS0_14default_configENS1_27scan_by_key_config_selectorIixEEZZNS1_16scan_by_key_implILNS1_25lookback_scan_determinismE0ELb0ES3_N6thrust23THRUST_200600_302600_NS6detail15normal_iteratorINS9_10device_ptrIiEEEENSB_INSC_IxEEEESG_xNS9_4plusIvEENS9_8equal_toIvEExEE10hipError_tPvRmT2_T3_T4_T5_mT6_T7_P12ihipStream_tbENKUlT_T0_E_clISt17integral_constantIbLb0EES10_IbLb1EEEEDaSW_SX_EUlSW_E_NS1_11comp_targetILNS1_3genE8ELNS1_11target_archE1030ELNS1_3gpuE2ELNS1_3repE0EEENS1_30default_config_static_selectorELNS0_4arch9wavefront6targetE0EEEvT1_
    .private_segment_fixed_size: 0
    .sgpr_count:     41
    .sgpr_spill_count: 0
    .symbol:         _ZN7rocprim17ROCPRIM_400000_NS6detail17trampoline_kernelINS0_14default_configENS1_27scan_by_key_config_selectorIixEEZZNS1_16scan_by_key_implILNS1_25lookback_scan_determinismE0ELb0ES3_N6thrust23THRUST_200600_302600_NS6detail15normal_iteratorINS9_10device_ptrIiEEEENSB_INSC_IxEEEESG_xNS9_4plusIvEENS9_8equal_toIvEExEE10hipError_tPvRmT2_T3_T4_T5_mT6_T7_P12ihipStream_tbENKUlT_T0_E_clISt17integral_constantIbLb0EES10_IbLb1EEEEDaSW_SX_EUlSW_E_NS1_11comp_targetILNS1_3genE8ELNS1_11target_archE1030ELNS1_3gpuE2ELNS1_3repE0EEENS1_30default_config_static_selectorELNS0_4arch9wavefront6targetE0EEEvT1_.kd
    .uniform_work_group_size: 1
    .uses_dynamic_stack: false
    .vgpr_count:     48
    .vgpr_spill_count: 0
    .wavefront_size: 32
    .workgroup_processor_mode: 1
  - .args:
      - .offset:         0
        .size:           24
        .value_kind:     by_value
      - .offset:         24
        .size:           8
        .value_kind:     by_value
      - .offset:         32
        .size:           8
        .value_kind:     by_value
    .group_segment_fixed_size: 0
    .kernarg_segment_align: 8
    .kernarg_segment_size: 40
    .language:       OpenCL C
    .language_version:
      - 2
      - 0
    .max_flat_workgroup_size: 256
    .name:           _ZN6thrust23THRUST_200600_302600_NS11hip_rocprim14__parallel_for6kernelILj256ENS1_11__transform17unary_transform_fINS0_7pointerIiNS1_3tagENS0_11use_defaultES8_EENS0_10device_ptrIsEENS4_14no_stencil_tagENS0_8identityIiEENS4_21always_true_predicateEEElLj1EEEvT0_T1_SI_
    .private_segment_fixed_size: 0
    .sgpr_count:     14
    .sgpr_spill_count: 0
    .symbol:         _ZN6thrust23THRUST_200600_302600_NS11hip_rocprim14__parallel_for6kernelILj256ENS1_11__transform17unary_transform_fINS0_7pointerIiNS1_3tagENS0_11use_defaultES8_EENS0_10device_ptrIsEENS4_14no_stencil_tagENS0_8identityIiEENS4_21always_true_predicateEEElLj1EEEvT0_T1_SI_.kd
    .uniform_work_group_size: 1
    .uses_dynamic_stack: false
    .vgpr_count:     5
    .vgpr_spill_count: 0
    .wavefront_size: 32
    .workgroup_processor_mode: 1
  - .args:
      - .address_space:  global
        .offset:         0
        .size:           8
        .value_kind:     global_buffer
      - .offset:         8
        .size:           4
        .value_kind:     by_value
      - .offset:         12
        .size:           4
        .value_kind:     by_value
      - .address_space:  global
        .offset:         16
        .size:           8
        .value_kind:     global_buffer
      - .address_space:  global
        .offset:         24
        .size:           8
        .value_kind:     global_buffer
      - .actual_access:  write_only
        .address_space:  global
        .offset:         32
        .size:           8
        .value_kind:     global_buffer
      - .offset:         40
        .size:           8
        .value_kind:     by_value
      - .offset:         48
        .size:           4
        .value_kind:     by_value
      - .offset:         52
        .size:           1
        .value_kind:     by_value
      - .offset:         56
        .size:           4
        .value_kind:     hidden_block_count_x
      - .offset:         60
        .size:           4
        .value_kind:     hidden_block_count_y
      - .offset:         64
        .size:           4
        .value_kind:     hidden_block_count_z
      - .offset:         68
        .size:           2
        .value_kind:     hidden_group_size_x
      - .offset:         70
        .size:           2
        .value_kind:     hidden_group_size_y
      - .offset:         72
        .size:           2
        .value_kind:     hidden_group_size_z
      - .offset:         74
        .size:           2
        .value_kind:     hidden_remainder_x
      - .offset:         76
        .size:           2
        .value_kind:     hidden_remainder_y
      - .offset:         78
        .size:           2
        .value_kind:     hidden_remainder_z
      - .offset:         96
        .size:           8
        .value_kind:     hidden_global_offset_x
      - .offset:         104
        .size:           8
        .value_kind:     hidden_global_offset_y
      - .offset:         112
        .size:           8
        .value_kind:     hidden_global_offset_z
      - .offset:         120
        .size:           2
        .value_kind:     hidden_grid_dims
    .group_segment_fixed_size: 0
    .kernarg_segment_align: 8
    .kernarg_segment_size: 312
    .language:       OpenCL C
    .language_version:
      - 2
      - 0
    .max_flat_workgroup_size: 256
    .name:           _ZN7rocprim17ROCPRIM_400000_NS6detail30init_device_scan_by_key_kernelINS1_19lookback_scan_stateINS0_5tupleIJsbEEELb0ELb1EEEN6thrust23THRUST_200600_302600_NS6detail15normal_iteratorINS8_10device_ptrIiEEEEjNS1_16block_id_wrapperIjLb0EEEEEvT_jjPNSG_10value_typeET0_PNSt15iterator_traitsISJ_E10value_typeEmT1_T2_
    .private_segment_fixed_size: 0
    .sgpr_count:     19
    .sgpr_spill_count: 0
    .symbol:         _ZN7rocprim17ROCPRIM_400000_NS6detail30init_device_scan_by_key_kernelINS1_19lookback_scan_stateINS0_5tupleIJsbEEELb0ELb1EEEN6thrust23THRUST_200600_302600_NS6detail15normal_iteratorINS8_10device_ptrIiEEEEjNS1_16block_id_wrapperIjLb0EEEEEvT_jjPNSG_10value_typeET0_PNSt15iterator_traitsISJ_E10value_typeEmT1_T2_.kd
    .uniform_work_group_size: 1
    .uses_dynamic_stack: false
    .vgpr_count:     7
    .vgpr_spill_count: 0
    .wavefront_size: 32
    .workgroup_processor_mode: 1
  - .args:
      - .offset:         0
        .size:           112
        .value_kind:     by_value
    .group_segment_fixed_size: 0
    .kernarg_segment_align: 8
    .kernarg_segment_size: 112
    .language:       OpenCL C
    .language_version:
      - 2
      - 0
    .max_flat_workgroup_size: 256
    .name:           _ZN7rocprim17ROCPRIM_400000_NS6detail17trampoline_kernelINS0_14default_configENS1_27scan_by_key_config_selectorIisEEZZNS1_16scan_by_key_implILNS1_25lookback_scan_determinismE0ELb0ES3_N6thrust23THRUST_200600_302600_NS6detail15normal_iteratorINS9_10device_ptrIiEEEENSB_INSC_IsEEEESG_sNS9_4plusIvEENS9_8equal_toIvEEsEE10hipError_tPvRmT2_T3_T4_T5_mT6_T7_P12ihipStream_tbENKUlT_T0_E_clISt17integral_constantIbLb0EES11_EEDaSW_SX_EUlSW_E_NS1_11comp_targetILNS1_3genE0ELNS1_11target_archE4294967295ELNS1_3gpuE0ELNS1_3repE0EEENS1_30default_config_static_selectorELNS0_4arch9wavefront6targetE0EEEvT1_
    .private_segment_fixed_size: 0
    .sgpr_count:     0
    .sgpr_spill_count: 0
    .symbol:         _ZN7rocprim17ROCPRIM_400000_NS6detail17trampoline_kernelINS0_14default_configENS1_27scan_by_key_config_selectorIisEEZZNS1_16scan_by_key_implILNS1_25lookback_scan_determinismE0ELb0ES3_N6thrust23THRUST_200600_302600_NS6detail15normal_iteratorINS9_10device_ptrIiEEEENSB_INSC_IsEEEESG_sNS9_4plusIvEENS9_8equal_toIvEEsEE10hipError_tPvRmT2_T3_T4_T5_mT6_T7_P12ihipStream_tbENKUlT_T0_E_clISt17integral_constantIbLb0EES11_EEDaSW_SX_EUlSW_E_NS1_11comp_targetILNS1_3genE0ELNS1_11target_archE4294967295ELNS1_3gpuE0ELNS1_3repE0EEENS1_30default_config_static_selectorELNS0_4arch9wavefront6targetE0EEEvT1_.kd
    .uniform_work_group_size: 1
    .uses_dynamic_stack: false
    .vgpr_count:     0
    .vgpr_spill_count: 0
    .wavefront_size: 32
    .workgroup_processor_mode: 1
  - .args:
      - .offset:         0
        .size:           112
        .value_kind:     by_value
    .group_segment_fixed_size: 0
    .kernarg_segment_align: 8
    .kernarg_segment_size: 112
    .language:       OpenCL C
    .language_version:
      - 2
      - 0
    .max_flat_workgroup_size: 256
    .name:           _ZN7rocprim17ROCPRIM_400000_NS6detail17trampoline_kernelINS0_14default_configENS1_27scan_by_key_config_selectorIisEEZZNS1_16scan_by_key_implILNS1_25lookback_scan_determinismE0ELb0ES3_N6thrust23THRUST_200600_302600_NS6detail15normal_iteratorINS9_10device_ptrIiEEEENSB_INSC_IsEEEESG_sNS9_4plusIvEENS9_8equal_toIvEEsEE10hipError_tPvRmT2_T3_T4_T5_mT6_T7_P12ihipStream_tbENKUlT_T0_E_clISt17integral_constantIbLb0EES11_EEDaSW_SX_EUlSW_E_NS1_11comp_targetILNS1_3genE10ELNS1_11target_archE1201ELNS1_3gpuE5ELNS1_3repE0EEENS1_30default_config_static_selectorELNS0_4arch9wavefront6targetE0EEEvT1_
    .private_segment_fixed_size: 0
    .sgpr_count:     0
    .sgpr_spill_count: 0
    .symbol:         _ZN7rocprim17ROCPRIM_400000_NS6detail17trampoline_kernelINS0_14default_configENS1_27scan_by_key_config_selectorIisEEZZNS1_16scan_by_key_implILNS1_25lookback_scan_determinismE0ELb0ES3_N6thrust23THRUST_200600_302600_NS6detail15normal_iteratorINS9_10device_ptrIiEEEENSB_INSC_IsEEEESG_sNS9_4plusIvEENS9_8equal_toIvEEsEE10hipError_tPvRmT2_T3_T4_T5_mT6_T7_P12ihipStream_tbENKUlT_T0_E_clISt17integral_constantIbLb0EES11_EEDaSW_SX_EUlSW_E_NS1_11comp_targetILNS1_3genE10ELNS1_11target_archE1201ELNS1_3gpuE5ELNS1_3repE0EEENS1_30default_config_static_selectorELNS0_4arch9wavefront6targetE0EEEvT1_.kd
    .uniform_work_group_size: 1
    .uses_dynamic_stack: false
    .vgpr_count:     0
    .vgpr_spill_count: 0
    .wavefront_size: 32
    .workgroup_processor_mode: 1
  - .args:
      - .offset:         0
        .size:           112
        .value_kind:     by_value
    .group_segment_fixed_size: 0
    .kernarg_segment_align: 8
    .kernarg_segment_size: 112
    .language:       OpenCL C
    .language_version:
      - 2
      - 0
    .max_flat_workgroup_size: 256
    .name:           _ZN7rocprim17ROCPRIM_400000_NS6detail17trampoline_kernelINS0_14default_configENS1_27scan_by_key_config_selectorIisEEZZNS1_16scan_by_key_implILNS1_25lookback_scan_determinismE0ELb0ES3_N6thrust23THRUST_200600_302600_NS6detail15normal_iteratorINS9_10device_ptrIiEEEENSB_INSC_IsEEEESG_sNS9_4plusIvEENS9_8equal_toIvEEsEE10hipError_tPvRmT2_T3_T4_T5_mT6_T7_P12ihipStream_tbENKUlT_T0_E_clISt17integral_constantIbLb0EES11_EEDaSW_SX_EUlSW_E_NS1_11comp_targetILNS1_3genE5ELNS1_11target_archE942ELNS1_3gpuE9ELNS1_3repE0EEENS1_30default_config_static_selectorELNS0_4arch9wavefront6targetE0EEEvT1_
    .private_segment_fixed_size: 0
    .sgpr_count:     0
    .sgpr_spill_count: 0
    .symbol:         _ZN7rocprim17ROCPRIM_400000_NS6detail17trampoline_kernelINS0_14default_configENS1_27scan_by_key_config_selectorIisEEZZNS1_16scan_by_key_implILNS1_25lookback_scan_determinismE0ELb0ES3_N6thrust23THRUST_200600_302600_NS6detail15normal_iteratorINS9_10device_ptrIiEEEENSB_INSC_IsEEEESG_sNS9_4plusIvEENS9_8equal_toIvEEsEE10hipError_tPvRmT2_T3_T4_T5_mT6_T7_P12ihipStream_tbENKUlT_T0_E_clISt17integral_constantIbLb0EES11_EEDaSW_SX_EUlSW_E_NS1_11comp_targetILNS1_3genE5ELNS1_11target_archE942ELNS1_3gpuE9ELNS1_3repE0EEENS1_30default_config_static_selectorELNS0_4arch9wavefront6targetE0EEEvT1_.kd
    .uniform_work_group_size: 1
    .uses_dynamic_stack: false
    .vgpr_count:     0
    .vgpr_spill_count: 0
    .wavefront_size: 32
    .workgroup_processor_mode: 1
  - .args:
      - .offset:         0
        .size:           112
        .value_kind:     by_value
    .group_segment_fixed_size: 0
    .kernarg_segment_align: 8
    .kernarg_segment_size: 112
    .language:       OpenCL C
    .language_version:
      - 2
      - 0
    .max_flat_workgroup_size: 64
    .name:           _ZN7rocprim17ROCPRIM_400000_NS6detail17trampoline_kernelINS0_14default_configENS1_27scan_by_key_config_selectorIisEEZZNS1_16scan_by_key_implILNS1_25lookback_scan_determinismE0ELb0ES3_N6thrust23THRUST_200600_302600_NS6detail15normal_iteratorINS9_10device_ptrIiEEEENSB_INSC_IsEEEESG_sNS9_4plusIvEENS9_8equal_toIvEEsEE10hipError_tPvRmT2_T3_T4_T5_mT6_T7_P12ihipStream_tbENKUlT_T0_E_clISt17integral_constantIbLb0EES11_EEDaSW_SX_EUlSW_E_NS1_11comp_targetILNS1_3genE4ELNS1_11target_archE910ELNS1_3gpuE8ELNS1_3repE0EEENS1_30default_config_static_selectorELNS0_4arch9wavefront6targetE0EEEvT1_
    .private_segment_fixed_size: 0
    .sgpr_count:     0
    .sgpr_spill_count: 0
    .symbol:         _ZN7rocprim17ROCPRIM_400000_NS6detail17trampoline_kernelINS0_14default_configENS1_27scan_by_key_config_selectorIisEEZZNS1_16scan_by_key_implILNS1_25lookback_scan_determinismE0ELb0ES3_N6thrust23THRUST_200600_302600_NS6detail15normal_iteratorINS9_10device_ptrIiEEEENSB_INSC_IsEEEESG_sNS9_4plusIvEENS9_8equal_toIvEEsEE10hipError_tPvRmT2_T3_T4_T5_mT6_T7_P12ihipStream_tbENKUlT_T0_E_clISt17integral_constantIbLb0EES11_EEDaSW_SX_EUlSW_E_NS1_11comp_targetILNS1_3genE4ELNS1_11target_archE910ELNS1_3gpuE8ELNS1_3repE0EEENS1_30default_config_static_selectorELNS0_4arch9wavefront6targetE0EEEvT1_.kd
    .uniform_work_group_size: 1
    .uses_dynamic_stack: false
    .vgpr_count:     0
    .vgpr_spill_count: 0
    .wavefront_size: 32
    .workgroup_processor_mode: 1
  - .args:
      - .offset:         0
        .size:           112
        .value_kind:     by_value
    .group_segment_fixed_size: 0
    .kernarg_segment_align: 8
    .kernarg_segment_size: 112
    .language:       OpenCL C
    .language_version:
      - 2
      - 0
    .max_flat_workgroup_size: 256
    .name:           _ZN7rocprim17ROCPRIM_400000_NS6detail17trampoline_kernelINS0_14default_configENS1_27scan_by_key_config_selectorIisEEZZNS1_16scan_by_key_implILNS1_25lookback_scan_determinismE0ELb0ES3_N6thrust23THRUST_200600_302600_NS6detail15normal_iteratorINS9_10device_ptrIiEEEENSB_INSC_IsEEEESG_sNS9_4plusIvEENS9_8equal_toIvEEsEE10hipError_tPvRmT2_T3_T4_T5_mT6_T7_P12ihipStream_tbENKUlT_T0_E_clISt17integral_constantIbLb0EES11_EEDaSW_SX_EUlSW_E_NS1_11comp_targetILNS1_3genE3ELNS1_11target_archE908ELNS1_3gpuE7ELNS1_3repE0EEENS1_30default_config_static_selectorELNS0_4arch9wavefront6targetE0EEEvT1_
    .private_segment_fixed_size: 0
    .sgpr_count:     0
    .sgpr_spill_count: 0
    .symbol:         _ZN7rocprim17ROCPRIM_400000_NS6detail17trampoline_kernelINS0_14default_configENS1_27scan_by_key_config_selectorIisEEZZNS1_16scan_by_key_implILNS1_25lookback_scan_determinismE0ELb0ES3_N6thrust23THRUST_200600_302600_NS6detail15normal_iteratorINS9_10device_ptrIiEEEENSB_INSC_IsEEEESG_sNS9_4plusIvEENS9_8equal_toIvEEsEE10hipError_tPvRmT2_T3_T4_T5_mT6_T7_P12ihipStream_tbENKUlT_T0_E_clISt17integral_constantIbLb0EES11_EEDaSW_SX_EUlSW_E_NS1_11comp_targetILNS1_3genE3ELNS1_11target_archE908ELNS1_3gpuE7ELNS1_3repE0EEENS1_30default_config_static_selectorELNS0_4arch9wavefront6targetE0EEEvT1_.kd
    .uniform_work_group_size: 1
    .uses_dynamic_stack: false
    .vgpr_count:     0
    .vgpr_spill_count: 0
    .wavefront_size: 32
    .workgroup_processor_mode: 1
  - .args:
      - .offset:         0
        .size:           112
        .value_kind:     by_value
    .group_segment_fixed_size: 0
    .kernarg_segment_align: 8
    .kernarg_segment_size: 112
    .language:       OpenCL C
    .language_version:
      - 2
      - 0
    .max_flat_workgroup_size: 64
    .name:           _ZN7rocprim17ROCPRIM_400000_NS6detail17trampoline_kernelINS0_14default_configENS1_27scan_by_key_config_selectorIisEEZZNS1_16scan_by_key_implILNS1_25lookback_scan_determinismE0ELb0ES3_N6thrust23THRUST_200600_302600_NS6detail15normal_iteratorINS9_10device_ptrIiEEEENSB_INSC_IsEEEESG_sNS9_4plusIvEENS9_8equal_toIvEEsEE10hipError_tPvRmT2_T3_T4_T5_mT6_T7_P12ihipStream_tbENKUlT_T0_E_clISt17integral_constantIbLb0EES11_EEDaSW_SX_EUlSW_E_NS1_11comp_targetILNS1_3genE2ELNS1_11target_archE906ELNS1_3gpuE6ELNS1_3repE0EEENS1_30default_config_static_selectorELNS0_4arch9wavefront6targetE0EEEvT1_
    .private_segment_fixed_size: 0
    .sgpr_count:     0
    .sgpr_spill_count: 0
    .symbol:         _ZN7rocprim17ROCPRIM_400000_NS6detail17trampoline_kernelINS0_14default_configENS1_27scan_by_key_config_selectorIisEEZZNS1_16scan_by_key_implILNS1_25lookback_scan_determinismE0ELb0ES3_N6thrust23THRUST_200600_302600_NS6detail15normal_iteratorINS9_10device_ptrIiEEEENSB_INSC_IsEEEESG_sNS9_4plusIvEENS9_8equal_toIvEEsEE10hipError_tPvRmT2_T3_T4_T5_mT6_T7_P12ihipStream_tbENKUlT_T0_E_clISt17integral_constantIbLb0EES11_EEDaSW_SX_EUlSW_E_NS1_11comp_targetILNS1_3genE2ELNS1_11target_archE906ELNS1_3gpuE6ELNS1_3repE0EEENS1_30default_config_static_selectorELNS0_4arch9wavefront6targetE0EEEvT1_.kd
    .uniform_work_group_size: 1
    .uses_dynamic_stack: false
    .vgpr_count:     0
    .vgpr_spill_count: 0
    .wavefront_size: 32
    .workgroup_processor_mode: 1
  - .args:
      - .offset:         0
        .size:           112
        .value_kind:     by_value
    .group_segment_fixed_size: 0
    .kernarg_segment_align: 8
    .kernarg_segment_size: 112
    .language:       OpenCL C
    .language_version:
      - 2
      - 0
    .max_flat_workgroup_size: 256
    .name:           _ZN7rocprim17ROCPRIM_400000_NS6detail17trampoline_kernelINS0_14default_configENS1_27scan_by_key_config_selectorIisEEZZNS1_16scan_by_key_implILNS1_25lookback_scan_determinismE0ELb0ES3_N6thrust23THRUST_200600_302600_NS6detail15normal_iteratorINS9_10device_ptrIiEEEENSB_INSC_IsEEEESG_sNS9_4plusIvEENS9_8equal_toIvEEsEE10hipError_tPvRmT2_T3_T4_T5_mT6_T7_P12ihipStream_tbENKUlT_T0_E_clISt17integral_constantIbLb0EES11_EEDaSW_SX_EUlSW_E_NS1_11comp_targetILNS1_3genE10ELNS1_11target_archE1200ELNS1_3gpuE4ELNS1_3repE0EEENS1_30default_config_static_selectorELNS0_4arch9wavefront6targetE0EEEvT1_
    .private_segment_fixed_size: 0
    .sgpr_count:     0
    .sgpr_spill_count: 0
    .symbol:         _ZN7rocprim17ROCPRIM_400000_NS6detail17trampoline_kernelINS0_14default_configENS1_27scan_by_key_config_selectorIisEEZZNS1_16scan_by_key_implILNS1_25lookback_scan_determinismE0ELb0ES3_N6thrust23THRUST_200600_302600_NS6detail15normal_iteratorINS9_10device_ptrIiEEEENSB_INSC_IsEEEESG_sNS9_4plusIvEENS9_8equal_toIvEEsEE10hipError_tPvRmT2_T3_T4_T5_mT6_T7_P12ihipStream_tbENKUlT_T0_E_clISt17integral_constantIbLb0EES11_EEDaSW_SX_EUlSW_E_NS1_11comp_targetILNS1_3genE10ELNS1_11target_archE1200ELNS1_3gpuE4ELNS1_3repE0EEENS1_30default_config_static_selectorELNS0_4arch9wavefront6targetE0EEEvT1_.kd
    .uniform_work_group_size: 1
    .uses_dynamic_stack: false
    .vgpr_count:     0
    .vgpr_spill_count: 0
    .wavefront_size: 32
    .workgroup_processor_mode: 1
  - .args:
      - .offset:         0
        .size:           112
        .value_kind:     by_value
    .group_segment_fixed_size: 0
    .kernarg_segment_align: 8
    .kernarg_segment_size: 112
    .language:       OpenCL C
    .language_version:
      - 2
      - 0
    .max_flat_workgroup_size: 64
    .name:           _ZN7rocprim17ROCPRIM_400000_NS6detail17trampoline_kernelINS0_14default_configENS1_27scan_by_key_config_selectorIisEEZZNS1_16scan_by_key_implILNS1_25lookback_scan_determinismE0ELb0ES3_N6thrust23THRUST_200600_302600_NS6detail15normal_iteratorINS9_10device_ptrIiEEEENSB_INSC_IsEEEESG_sNS9_4plusIvEENS9_8equal_toIvEEsEE10hipError_tPvRmT2_T3_T4_T5_mT6_T7_P12ihipStream_tbENKUlT_T0_E_clISt17integral_constantIbLb0EES11_EEDaSW_SX_EUlSW_E_NS1_11comp_targetILNS1_3genE9ELNS1_11target_archE1100ELNS1_3gpuE3ELNS1_3repE0EEENS1_30default_config_static_selectorELNS0_4arch9wavefront6targetE0EEEvT1_
    .private_segment_fixed_size: 0
    .sgpr_count:     0
    .sgpr_spill_count: 0
    .symbol:         _ZN7rocprim17ROCPRIM_400000_NS6detail17trampoline_kernelINS0_14default_configENS1_27scan_by_key_config_selectorIisEEZZNS1_16scan_by_key_implILNS1_25lookback_scan_determinismE0ELb0ES3_N6thrust23THRUST_200600_302600_NS6detail15normal_iteratorINS9_10device_ptrIiEEEENSB_INSC_IsEEEESG_sNS9_4plusIvEENS9_8equal_toIvEEsEE10hipError_tPvRmT2_T3_T4_T5_mT6_T7_P12ihipStream_tbENKUlT_T0_E_clISt17integral_constantIbLb0EES11_EEDaSW_SX_EUlSW_E_NS1_11comp_targetILNS1_3genE9ELNS1_11target_archE1100ELNS1_3gpuE3ELNS1_3repE0EEENS1_30default_config_static_selectorELNS0_4arch9wavefront6targetE0EEEvT1_.kd
    .uniform_work_group_size: 1
    .uses_dynamic_stack: false
    .vgpr_count:     0
    .vgpr_spill_count: 0
    .wavefront_size: 32
    .workgroup_processor_mode: 1
  - .args:
      - .offset:         0
        .size:           112
        .value_kind:     by_value
    .group_segment_fixed_size: 2304
    .kernarg_segment_align: 8
    .kernarg_segment_size: 112
    .language:       OpenCL C
    .language_version:
      - 2
      - 0
    .max_flat_workgroup_size: 64
    .name:           _ZN7rocprim17ROCPRIM_400000_NS6detail17trampoline_kernelINS0_14default_configENS1_27scan_by_key_config_selectorIisEEZZNS1_16scan_by_key_implILNS1_25lookback_scan_determinismE0ELb0ES3_N6thrust23THRUST_200600_302600_NS6detail15normal_iteratorINS9_10device_ptrIiEEEENSB_INSC_IsEEEESG_sNS9_4plusIvEENS9_8equal_toIvEEsEE10hipError_tPvRmT2_T3_T4_T5_mT6_T7_P12ihipStream_tbENKUlT_T0_E_clISt17integral_constantIbLb0EES11_EEDaSW_SX_EUlSW_E_NS1_11comp_targetILNS1_3genE8ELNS1_11target_archE1030ELNS1_3gpuE2ELNS1_3repE0EEENS1_30default_config_static_selectorELNS0_4arch9wavefront6targetE0EEEvT1_
    .private_segment_fixed_size: 0
    .sgpr_count:     38
    .sgpr_spill_count: 0
    .symbol:         _ZN7rocprim17ROCPRIM_400000_NS6detail17trampoline_kernelINS0_14default_configENS1_27scan_by_key_config_selectorIisEEZZNS1_16scan_by_key_implILNS1_25lookback_scan_determinismE0ELb0ES3_N6thrust23THRUST_200600_302600_NS6detail15normal_iteratorINS9_10device_ptrIiEEEENSB_INSC_IsEEEESG_sNS9_4plusIvEENS9_8equal_toIvEEsEE10hipError_tPvRmT2_T3_T4_T5_mT6_T7_P12ihipStream_tbENKUlT_T0_E_clISt17integral_constantIbLb0EES11_EEDaSW_SX_EUlSW_E_NS1_11comp_targetILNS1_3genE8ELNS1_11target_archE1030ELNS1_3gpuE2ELNS1_3repE0EEENS1_30default_config_static_selectorELNS0_4arch9wavefront6targetE0EEEvT1_.kd
    .uniform_work_group_size: 1
    .uses_dynamic_stack: false
    .vgpr_count:     37
    .vgpr_spill_count: 0
    .wavefront_size: 32
    .workgroup_processor_mode: 1
  - .args:
      - .address_space:  global
        .offset:         0
        .size:           8
        .value_kind:     global_buffer
      - .offset:         8
        .size:           4
        .value_kind:     by_value
      - .offset:         12
        .size:           4
        .value_kind:     by_value
      - .address_space:  global
        .offset:         16
        .size:           8
        .value_kind:     global_buffer
      - .address_space:  global
        .offset:         24
        .size:           8
        .value_kind:     global_buffer
      - .actual_access:  write_only
        .address_space:  global
        .offset:         32
        .size:           8
        .value_kind:     global_buffer
      - .offset:         40
        .size:           8
        .value_kind:     by_value
      - .offset:         48
        .size:           4
        .value_kind:     by_value
      - .address_space:  global
        .offset:         56
        .size:           8
        .value_kind:     global_buffer
      - .offset:         64
        .size:           4
        .value_kind:     hidden_block_count_x
      - .offset:         68
        .size:           4
        .value_kind:     hidden_block_count_y
      - .offset:         72
        .size:           4
        .value_kind:     hidden_block_count_z
      - .offset:         76
        .size:           2
        .value_kind:     hidden_group_size_x
      - .offset:         78
        .size:           2
        .value_kind:     hidden_group_size_y
      - .offset:         80
        .size:           2
        .value_kind:     hidden_group_size_z
      - .offset:         82
        .size:           2
        .value_kind:     hidden_remainder_x
      - .offset:         84
        .size:           2
        .value_kind:     hidden_remainder_y
      - .offset:         86
        .size:           2
        .value_kind:     hidden_remainder_z
      - .offset:         104
        .size:           8
        .value_kind:     hidden_global_offset_x
      - .offset:         112
        .size:           8
        .value_kind:     hidden_global_offset_y
      - .offset:         120
        .size:           8
        .value_kind:     hidden_global_offset_z
      - .offset:         128
        .size:           2
        .value_kind:     hidden_grid_dims
    .group_segment_fixed_size: 0
    .kernarg_segment_align: 8
    .kernarg_segment_size: 320
    .language:       OpenCL C
    .language_version:
      - 2
      - 0
    .max_flat_workgroup_size: 256
    .name:           _ZN7rocprim17ROCPRIM_400000_NS6detail30init_device_scan_by_key_kernelINS1_19lookback_scan_stateINS0_5tupleIJsbEEELb1ELb1EEEN6thrust23THRUST_200600_302600_NS6detail15normal_iteratorINS8_10device_ptrIiEEEEjNS1_16block_id_wrapperIjLb1EEEEEvT_jjPNSG_10value_typeET0_PNSt15iterator_traitsISJ_E10value_typeEmT1_T2_
    .private_segment_fixed_size: 0
    .sgpr_count:     19
    .sgpr_spill_count: 0
    .symbol:         _ZN7rocprim17ROCPRIM_400000_NS6detail30init_device_scan_by_key_kernelINS1_19lookback_scan_stateINS0_5tupleIJsbEEELb1ELb1EEEN6thrust23THRUST_200600_302600_NS6detail15normal_iteratorINS8_10device_ptrIiEEEEjNS1_16block_id_wrapperIjLb1EEEEEvT_jjPNSG_10value_typeET0_PNSt15iterator_traitsISJ_E10value_typeEmT1_T2_.kd
    .uniform_work_group_size: 1
    .uses_dynamic_stack: false
    .vgpr_count:     7
    .vgpr_spill_count: 0
    .wavefront_size: 32
    .workgroup_processor_mode: 1
  - .args:
      - .offset:         0
        .size:           112
        .value_kind:     by_value
    .group_segment_fixed_size: 0
    .kernarg_segment_align: 8
    .kernarg_segment_size: 112
    .language:       OpenCL C
    .language_version:
      - 2
      - 0
    .max_flat_workgroup_size: 256
    .name:           _ZN7rocprim17ROCPRIM_400000_NS6detail17trampoline_kernelINS0_14default_configENS1_27scan_by_key_config_selectorIisEEZZNS1_16scan_by_key_implILNS1_25lookback_scan_determinismE0ELb0ES3_N6thrust23THRUST_200600_302600_NS6detail15normal_iteratorINS9_10device_ptrIiEEEENSB_INSC_IsEEEESG_sNS9_4plusIvEENS9_8equal_toIvEEsEE10hipError_tPvRmT2_T3_T4_T5_mT6_T7_P12ihipStream_tbENKUlT_T0_E_clISt17integral_constantIbLb1EES11_EEDaSW_SX_EUlSW_E_NS1_11comp_targetILNS1_3genE0ELNS1_11target_archE4294967295ELNS1_3gpuE0ELNS1_3repE0EEENS1_30default_config_static_selectorELNS0_4arch9wavefront6targetE0EEEvT1_
    .private_segment_fixed_size: 0
    .sgpr_count:     0
    .sgpr_spill_count: 0
    .symbol:         _ZN7rocprim17ROCPRIM_400000_NS6detail17trampoline_kernelINS0_14default_configENS1_27scan_by_key_config_selectorIisEEZZNS1_16scan_by_key_implILNS1_25lookback_scan_determinismE0ELb0ES3_N6thrust23THRUST_200600_302600_NS6detail15normal_iteratorINS9_10device_ptrIiEEEENSB_INSC_IsEEEESG_sNS9_4plusIvEENS9_8equal_toIvEEsEE10hipError_tPvRmT2_T3_T4_T5_mT6_T7_P12ihipStream_tbENKUlT_T0_E_clISt17integral_constantIbLb1EES11_EEDaSW_SX_EUlSW_E_NS1_11comp_targetILNS1_3genE0ELNS1_11target_archE4294967295ELNS1_3gpuE0ELNS1_3repE0EEENS1_30default_config_static_selectorELNS0_4arch9wavefront6targetE0EEEvT1_.kd
    .uniform_work_group_size: 1
    .uses_dynamic_stack: false
    .vgpr_count:     0
    .vgpr_spill_count: 0
    .wavefront_size: 32
    .workgroup_processor_mode: 1
  - .args:
      - .offset:         0
        .size:           112
        .value_kind:     by_value
    .group_segment_fixed_size: 0
    .kernarg_segment_align: 8
    .kernarg_segment_size: 112
    .language:       OpenCL C
    .language_version:
      - 2
      - 0
    .max_flat_workgroup_size: 256
    .name:           _ZN7rocprim17ROCPRIM_400000_NS6detail17trampoline_kernelINS0_14default_configENS1_27scan_by_key_config_selectorIisEEZZNS1_16scan_by_key_implILNS1_25lookback_scan_determinismE0ELb0ES3_N6thrust23THRUST_200600_302600_NS6detail15normal_iteratorINS9_10device_ptrIiEEEENSB_INSC_IsEEEESG_sNS9_4plusIvEENS9_8equal_toIvEEsEE10hipError_tPvRmT2_T3_T4_T5_mT6_T7_P12ihipStream_tbENKUlT_T0_E_clISt17integral_constantIbLb1EES11_EEDaSW_SX_EUlSW_E_NS1_11comp_targetILNS1_3genE10ELNS1_11target_archE1201ELNS1_3gpuE5ELNS1_3repE0EEENS1_30default_config_static_selectorELNS0_4arch9wavefront6targetE0EEEvT1_
    .private_segment_fixed_size: 0
    .sgpr_count:     0
    .sgpr_spill_count: 0
    .symbol:         _ZN7rocprim17ROCPRIM_400000_NS6detail17trampoline_kernelINS0_14default_configENS1_27scan_by_key_config_selectorIisEEZZNS1_16scan_by_key_implILNS1_25lookback_scan_determinismE0ELb0ES3_N6thrust23THRUST_200600_302600_NS6detail15normal_iteratorINS9_10device_ptrIiEEEENSB_INSC_IsEEEESG_sNS9_4plusIvEENS9_8equal_toIvEEsEE10hipError_tPvRmT2_T3_T4_T5_mT6_T7_P12ihipStream_tbENKUlT_T0_E_clISt17integral_constantIbLb1EES11_EEDaSW_SX_EUlSW_E_NS1_11comp_targetILNS1_3genE10ELNS1_11target_archE1201ELNS1_3gpuE5ELNS1_3repE0EEENS1_30default_config_static_selectorELNS0_4arch9wavefront6targetE0EEEvT1_.kd
    .uniform_work_group_size: 1
    .uses_dynamic_stack: false
    .vgpr_count:     0
    .vgpr_spill_count: 0
    .wavefront_size: 32
    .workgroup_processor_mode: 1
  - .args:
      - .offset:         0
        .size:           112
        .value_kind:     by_value
    .group_segment_fixed_size: 0
    .kernarg_segment_align: 8
    .kernarg_segment_size: 112
    .language:       OpenCL C
    .language_version:
      - 2
      - 0
    .max_flat_workgroup_size: 256
    .name:           _ZN7rocprim17ROCPRIM_400000_NS6detail17trampoline_kernelINS0_14default_configENS1_27scan_by_key_config_selectorIisEEZZNS1_16scan_by_key_implILNS1_25lookback_scan_determinismE0ELb0ES3_N6thrust23THRUST_200600_302600_NS6detail15normal_iteratorINS9_10device_ptrIiEEEENSB_INSC_IsEEEESG_sNS9_4plusIvEENS9_8equal_toIvEEsEE10hipError_tPvRmT2_T3_T4_T5_mT6_T7_P12ihipStream_tbENKUlT_T0_E_clISt17integral_constantIbLb1EES11_EEDaSW_SX_EUlSW_E_NS1_11comp_targetILNS1_3genE5ELNS1_11target_archE942ELNS1_3gpuE9ELNS1_3repE0EEENS1_30default_config_static_selectorELNS0_4arch9wavefront6targetE0EEEvT1_
    .private_segment_fixed_size: 0
    .sgpr_count:     0
    .sgpr_spill_count: 0
    .symbol:         _ZN7rocprim17ROCPRIM_400000_NS6detail17trampoline_kernelINS0_14default_configENS1_27scan_by_key_config_selectorIisEEZZNS1_16scan_by_key_implILNS1_25lookback_scan_determinismE0ELb0ES3_N6thrust23THRUST_200600_302600_NS6detail15normal_iteratorINS9_10device_ptrIiEEEENSB_INSC_IsEEEESG_sNS9_4plusIvEENS9_8equal_toIvEEsEE10hipError_tPvRmT2_T3_T4_T5_mT6_T7_P12ihipStream_tbENKUlT_T0_E_clISt17integral_constantIbLb1EES11_EEDaSW_SX_EUlSW_E_NS1_11comp_targetILNS1_3genE5ELNS1_11target_archE942ELNS1_3gpuE9ELNS1_3repE0EEENS1_30default_config_static_selectorELNS0_4arch9wavefront6targetE0EEEvT1_.kd
    .uniform_work_group_size: 1
    .uses_dynamic_stack: false
    .vgpr_count:     0
    .vgpr_spill_count: 0
    .wavefront_size: 32
    .workgroup_processor_mode: 1
  - .args:
      - .offset:         0
        .size:           112
        .value_kind:     by_value
    .group_segment_fixed_size: 0
    .kernarg_segment_align: 8
    .kernarg_segment_size: 112
    .language:       OpenCL C
    .language_version:
      - 2
      - 0
    .max_flat_workgroup_size: 64
    .name:           _ZN7rocprim17ROCPRIM_400000_NS6detail17trampoline_kernelINS0_14default_configENS1_27scan_by_key_config_selectorIisEEZZNS1_16scan_by_key_implILNS1_25lookback_scan_determinismE0ELb0ES3_N6thrust23THRUST_200600_302600_NS6detail15normal_iteratorINS9_10device_ptrIiEEEENSB_INSC_IsEEEESG_sNS9_4plusIvEENS9_8equal_toIvEEsEE10hipError_tPvRmT2_T3_T4_T5_mT6_T7_P12ihipStream_tbENKUlT_T0_E_clISt17integral_constantIbLb1EES11_EEDaSW_SX_EUlSW_E_NS1_11comp_targetILNS1_3genE4ELNS1_11target_archE910ELNS1_3gpuE8ELNS1_3repE0EEENS1_30default_config_static_selectorELNS0_4arch9wavefront6targetE0EEEvT1_
    .private_segment_fixed_size: 0
    .sgpr_count:     0
    .sgpr_spill_count: 0
    .symbol:         _ZN7rocprim17ROCPRIM_400000_NS6detail17trampoline_kernelINS0_14default_configENS1_27scan_by_key_config_selectorIisEEZZNS1_16scan_by_key_implILNS1_25lookback_scan_determinismE0ELb0ES3_N6thrust23THRUST_200600_302600_NS6detail15normal_iteratorINS9_10device_ptrIiEEEENSB_INSC_IsEEEESG_sNS9_4plusIvEENS9_8equal_toIvEEsEE10hipError_tPvRmT2_T3_T4_T5_mT6_T7_P12ihipStream_tbENKUlT_T0_E_clISt17integral_constantIbLb1EES11_EEDaSW_SX_EUlSW_E_NS1_11comp_targetILNS1_3genE4ELNS1_11target_archE910ELNS1_3gpuE8ELNS1_3repE0EEENS1_30default_config_static_selectorELNS0_4arch9wavefront6targetE0EEEvT1_.kd
    .uniform_work_group_size: 1
    .uses_dynamic_stack: false
    .vgpr_count:     0
    .vgpr_spill_count: 0
    .wavefront_size: 32
    .workgroup_processor_mode: 1
  - .args:
      - .offset:         0
        .size:           112
        .value_kind:     by_value
    .group_segment_fixed_size: 0
    .kernarg_segment_align: 8
    .kernarg_segment_size: 112
    .language:       OpenCL C
    .language_version:
      - 2
      - 0
    .max_flat_workgroup_size: 256
    .name:           _ZN7rocprim17ROCPRIM_400000_NS6detail17trampoline_kernelINS0_14default_configENS1_27scan_by_key_config_selectorIisEEZZNS1_16scan_by_key_implILNS1_25lookback_scan_determinismE0ELb0ES3_N6thrust23THRUST_200600_302600_NS6detail15normal_iteratorINS9_10device_ptrIiEEEENSB_INSC_IsEEEESG_sNS9_4plusIvEENS9_8equal_toIvEEsEE10hipError_tPvRmT2_T3_T4_T5_mT6_T7_P12ihipStream_tbENKUlT_T0_E_clISt17integral_constantIbLb1EES11_EEDaSW_SX_EUlSW_E_NS1_11comp_targetILNS1_3genE3ELNS1_11target_archE908ELNS1_3gpuE7ELNS1_3repE0EEENS1_30default_config_static_selectorELNS0_4arch9wavefront6targetE0EEEvT1_
    .private_segment_fixed_size: 0
    .sgpr_count:     0
    .sgpr_spill_count: 0
    .symbol:         _ZN7rocprim17ROCPRIM_400000_NS6detail17trampoline_kernelINS0_14default_configENS1_27scan_by_key_config_selectorIisEEZZNS1_16scan_by_key_implILNS1_25lookback_scan_determinismE0ELb0ES3_N6thrust23THRUST_200600_302600_NS6detail15normal_iteratorINS9_10device_ptrIiEEEENSB_INSC_IsEEEESG_sNS9_4plusIvEENS9_8equal_toIvEEsEE10hipError_tPvRmT2_T3_T4_T5_mT6_T7_P12ihipStream_tbENKUlT_T0_E_clISt17integral_constantIbLb1EES11_EEDaSW_SX_EUlSW_E_NS1_11comp_targetILNS1_3genE3ELNS1_11target_archE908ELNS1_3gpuE7ELNS1_3repE0EEENS1_30default_config_static_selectorELNS0_4arch9wavefront6targetE0EEEvT1_.kd
    .uniform_work_group_size: 1
    .uses_dynamic_stack: false
    .vgpr_count:     0
    .vgpr_spill_count: 0
    .wavefront_size: 32
    .workgroup_processor_mode: 1
  - .args:
      - .offset:         0
        .size:           112
        .value_kind:     by_value
    .group_segment_fixed_size: 0
    .kernarg_segment_align: 8
    .kernarg_segment_size: 112
    .language:       OpenCL C
    .language_version:
      - 2
      - 0
    .max_flat_workgroup_size: 64
    .name:           _ZN7rocprim17ROCPRIM_400000_NS6detail17trampoline_kernelINS0_14default_configENS1_27scan_by_key_config_selectorIisEEZZNS1_16scan_by_key_implILNS1_25lookback_scan_determinismE0ELb0ES3_N6thrust23THRUST_200600_302600_NS6detail15normal_iteratorINS9_10device_ptrIiEEEENSB_INSC_IsEEEESG_sNS9_4plusIvEENS9_8equal_toIvEEsEE10hipError_tPvRmT2_T3_T4_T5_mT6_T7_P12ihipStream_tbENKUlT_T0_E_clISt17integral_constantIbLb1EES11_EEDaSW_SX_EUlSW_E_NS1_11comp_targetILNS1_3genE2ELNS1_11target_archE906ELNS1_3gpuE6ELNS1_3repE0EEENS1_30default_config_static_selectorELNS0_4arch9wavefront6targetE0EEEvT1_
    .private_segment_fixed_size: 0
    .sgpr_count:     0
    .sgpr_spill_count: 0
    .symbol:         _ZN7rocprim17ROCPRIM_400000_NS6detail17trampoline_kernelINS0_14default_configENS1_27scan_by_key_config_selectorIisEEZZNS1_16scan_by_key_implILNS1_25lookback_scan_determinismE0ELb0ES3_N6thrust23THRUST_200600_302600_NS6detail15normal_iteratorINS9_10device_ptrIiEEEENSB_INSC_IsEEEESG_sNS9_4plusIvEENS9_8equal_toIvEEsEE10hipError_tPvRmT2_T3_T4_T5_mT6_T7_P12ihipStream_tbENKUlT_T0_E_clISt17integral_constantIbLb1EES11_EEDaSW_SX_EUlSW_E_NS1_11comp_targetILNS1_3genE2ELNS1_11target_archE906ELNS1_3gpuE6ELNS1_3repE0EEENS1_30default_config_static_selectorELNS0_4arch9wavefront6targetE0EEEvT1_.kd
    .uniform_work_group_size: 1
    .uses_dynamic_stack: false
    .vgpr_count:     0
    .vgpr_spill_count: 0
    .wavefront_size: 32
    .workgroup_processor_mode: 1
  - .args:
      - .offset:         0
        .size:           112
        .value_kind:     by_value
    .group_segment_fixed_size: 0
    .kernarg_segment_align: 8
    .kernarg_segment_size: 112
    .language:       OpenCL C
    .language_version:
      - 2
      - 0
    .max_flat_workgroup_size: 256
    .name:           _ZN7rocprim17ROCPRIM_400000_NS6detail17trampoline_kernelINS0_14default_configENS1_27scan_by_key_config_selectorIisEEZZNS1_16scan_by_key_implILNS1_25lookback_scan_determinismE0ELb0ES3_N6thrust23THRUST_200600_302600_NS6detail15normal_iteratorINS9_10device_ptrIiEEEENSB_INSC_IsEEEESG_sNS9_4plusIvEENS9_8equal_toIvEEsEE10hipError_tPvRmT2_T3_T4_T5_mT6_T7_P12ihipStream_tbENKUlT_T0_E_clISt17integral_constantIbLb1EES11_EEDaSW_SX_EUlSW_E_NS1_11comp_targetILNS1_3genE10ELNS1_11target_archE1200ELNS1_3gpuE4ELNS1_3repE0EEENS1_30default_config_static_selectorELNS0_4arch9wavefront6targetE0EEEvT1_
    .private_segment_fixed_size: 0
    .sgpr_count:     0
    .sgpr_spill_count: 0
    .symbol:         _ZN7rocprim17ROCPRIM_400000_NS6detail17trampoline_kernelINS0_14default_configENS1_27scan_by_key_config_selectorIisEEZZNS1_16scan_by_key_implILNS1_25lookback_scan_determinismE0ELb0ES3_N6thrust23THRUST_200600_302600_NS6detail15normal_iteratorINS9_10device_ptrIiEEEENSB_INSC_IsEEEESG_sNS9_4plusIvEENS9_8equal_toIvEEsEE10hipError_tPvRmT2_T3_T4_T5_mT6_T7_P12ihipStream_tbENKUlT_T0_E_clISt17integral_constantIbLb1EES11_EEDaSW_SX_EUlSW_E_NS1_11comp_targetILNS1_3genE10ELNS1_11target_archE1200ELNS1_3gpuE4ELNS1_3repE0EEENS1_30default_config_static_selectorELNS0_4arch9wavefront6targetE0EEEvT1_.kd
    .uniform_work_group_size: 1
    .uses_dynamic_stack: false
    .vgpr_count:     0
    .vgpr_spill_count: 0
    .wavefront_size: 32
    .workgroup_processor_mode: 1
  - .args:
      - .offset:         0
        .size:           112
        .value_kind:     by_value
    .group_segment_fixed_size: 0
    .kernarg_segment_align: 8
    .kernarg_segment_size: 112
    .language:       OpenCL C
    .language_version:
      - 2
      - 0
    .max_flat_workgroup_size: 64
    .name:           _ZN7rocprim17ROCPRIM_400000_NS6detail17trampoline_kernelINS0_14default_configENS1_27scan_by_key_config_selectorIisEEZZNS1_16scan_by_key_implILNS1_25lookback_scan_determinismE0ELb0ES3_N6thrust23THRUST_200600_302600_NS6detail15normal_iteratorINS9_10device_ptrIiEEEENSB_INSC_IsEEEESG_sNS9_4plusIvEENS9_8equal_toIvEEsEE10hipError_tPvRmT2_T3_T4_T5_mT6_T7_P12ihipStream_tbENKUlT_T0_E_clISt17integral_constantIbLb1EES11_EEDaSW_SX_EUlSW_E_NS1_11comp_targetILNS1_3genE9ELNS1_11target_archE1100ELNS1_3gpuE3ELNS1_3repE0EEENS1_30default_config_static_selectorELNS0_4arch9wavefront6targetE0EEEvT1_
    .private_segment_fixed_size: 0
    .sgpr_count:     0
    .sgpr_spill_count: 0
    .symbol:         _ZN7rocprim17ROCPRIM_400000_NS6detail17trampoline_kernelINS0_14default_configENS1_27scan_by_key_config_selectorIisEEZZNS1_16scan_by_key_implILNS1_25lookback_scan_determinismE0ELb0ES3_N6thrust23THRUST_200600_302600_NS6detail15normal_iteratorINS9_10device_ptrIiEEEENSB_INSC_IsEEEESG_sNS9_4plusIvEENS9_8equal_toIvEEsEE10hipError_tPvRmT2_T3_T4_T5_mT6_T7_P12ihipStream_tbENKUlT_T0_E_clISt17integral_constantIbLb1EES11_EEDaSW_SX_EUlSW_E_NS1_11comp_targetILNS1_3genE9ELNS1_11target_archE1100ELNS1_3gpuE3ELNS1_3repE0EEENS1_30default_config_static_selectorELNS0_4arch9wavefront6targetE0EEEvT1_.kd
    .uniform_work_group_size: 1
    .uses_dynamic_stack: false
    .vgpr_count:     0
    .vgpr_spill_count: 0
    .wavefront_size: 32
    .workgroup_processor_mode: 1
  - .args:
      - .offset:         0
        .size:           112
        .value_kind:     by_value
    .group_segment_fixed_size: 0
    .kernarg_segment_align: 8
    .kernarg_segment_size: 112
    .language:       OpenCL C
    .language_version:
      - 2
      - 0
    .max_flat_workgroup_size: 64
    .name:           _ZN7rocprim17ROCPRIM_400000_NS6detail17trampoline_kernelINS0_14default_configENS1_27scan_by_key_config_selectorIisEEZZNS1_16scan_by_key_implILNS1_25lookback_scan_determinismE0ELb0ES3_N6thrust23THRUST_200600_302600_NS6detail15normal_iteratorINS9_10device_ptrIiEEEENSB_INSC_IsEEEESG_sNS9_4plusIvEENS9_8equal_toIvEEsEE10hipError_tPvRmT2_T3_T4_T5_mT6_T7_P12ihipStream_tbENKUlT_T0_E_clISt17integral_constantIbLb1EES11_EEDaSW_SX_EUlSW_E_NS1_11comp_targetILNS1_3genE8ELNS1_11target_archE1030ELNS1_3gpuE2ELNS1_3repE0EEENS1_30default_config_static_selectorELNS0_4arch9wavefront6targetE0EEEvT1_
    .private_segment_fixed_size: 0
    .sgpr_count:     0
    .sgpr_spill_count: 0
    .symbol:         _ZN7rocprim17ROCPRIM_400000_NS6detail17trampoline_kernelINS0_14default_configENS1_27scan_by_key_config_selectorIisEEZZNS1_16scan_by_key_implILNS1_25lookback_scan_determinismE0ELb0ES3_N6thrust23THRUST_200600_302600_NS6detail15normal_iteratorINS9_10device_ptrIiEEEENSB_INSC_IsEEEESG_sNS9_4plusIvEENS9_8equal_toIvEEsEE10hipError_tPvRmT2_T3_T4_T5_mT6_T7_P12ihipStream_tbENKUlT_T0_E_clISt17integral_constantIbLb1EES11_EEDaSW_SX_EUlSW_E_NS1_11comp_targetILNS1_3genE8ELNS1_11target_archE1030ELNS1_3gpuE2ELNS1_3repE0EEENS1_30default_config_static_selectorELNS0_4arch9wavefront6targetE0EEEvT1_.kd
    .uniform_work_group_size: 1
    .uses_dynamic_stack: false
    .vgpr_count:     0
    .vgpr_spill_count: 0
    .wavefront_size: 32
    .workgroup_processor_mode: 1
  - .args:
      - .address_space:  global
        .offset:         0
        .size:           8
        .value_kind:     global_buffer
      - .offset:         8
        .size:           4
        .value_kind:     by_value
      - .offset:         12
        .size:           4
        .value_kind:     by_value
      - .address_space:  global
        .offset:         16
        .size:           8
        .value_kind:     global_buffer
      - .address_space:  global
        .offset:         24
        .size:           8
        .value_kind:     global_buffer
      - .actual_access:  write_only
        .address_space:  global
        .offset:         32
        .size:           8
        .value_kind:     global_buffer
      - .offset:         40
        .size:           8
        .value_kind:     by_value
      - .offset:         48
        .size:           4
        .value_kind:     by_value
      - .offset:         52
        .size:           1
        .value_kind:     by_value
      - .offset:         56
        .size:           4
        .value_kind:     hidden_block_count_x
      - .offset:         60
        .size:           4
        .value_kind:     hidden_block_count_y
      - .offset:         64
        .size:           4
        .value_kind:     hidden_block_count_z
      - .offset:         68
        .size:           2
        .value_kind:     hidden_group_size_x
      - .offset:         70
        .size:           2
        .value_kind:     hidden_group_size_y
      - .offset:         72
        .size:           2
        .value_kind:     hidden_group_size_z
      - .offset:         74
        .size:           2
        .value_kind:     hidden_remainder_x
      - .offset:         76
        .size:           2
        .value_kind:     hidden_remainder_y
      - .offset:         78
        .size:           2
        .value_kind:     hidden_remainder_z
      - .offset:         96
        .size:           8
        .value_kind:     hidden_global_offset_x
      - .offset:         104
        .size:           8
        .value_kind:     hidden_global_offset_y
      - .offset:         112
        .size:           8
        .value_kind:     hidden_global_offset_z
      - .offset:         120
        .size:           2
        .value_kind:     hidden_grid_dims
    .group_segment_fixed_size: 0
    .kernarg_segment_align: 8
    .kernarg_segment_size: 312
    .language:       OpenCL C
    .language_version:
      - 2
      - 0
    .max_flat_workgroup_size: 256
    .name:           _ZN7rocprim17ROCPRIM_400000_NS6detail30init_device_scan_by_key_kernelINS1_19lookback_scan_stateINS0_5tupleIJsbEEELb1ELb1EEEN6thrust23THRUST_200600_302600_NS6detail15normal_iteratorINS8_10device_ptrIiEEEEjNS1_16block_id_wrapperIjLb0EEEEEvT_jjPNSG_10value_typeET0_PNSt15iterator_traitsISJ_E10value_typeEmT1_T2_
    .private_segment_fixed_size: 0
    .sgpr_count:     19
    .sgpr_spill_count: 0
    .symbol:         _ZN7rocprim17ROCPRIM_400000_NS6detail30init_device_scan_by_key_kernelINS1_19lookback_scan_stateINS0_5tupleIJsbEEELb1ELb1EEEN6thrust23THRUST_200600_302600_NS6detail15normal_iteratorINS8_10device_ptrIiEEEEjNS1_16block_id_wrapperIjLb0EEEEEvT_jjPNSG_10value_typeET0_PNSt15iterator_traitsISJ_E10value_typeEmT1_T2_.kd
    .uniform_work_group_size: 1
    .uses_dynamic_stack: false
    .vgpr_count:     7
    .vgpr_spill_count: 0
    .wavefront_size: 32
    .workgroup_processor_mode: 1
  - .args:
      - .offset:         0
        .size:           112
        .value_kind:     by_value
    .group_segment_fixed_size: 0
    .kernarg_segment_align: 8
    .kernarg_segment_size: 112
    .language:       OpenCL C
    .language_version:
      - 2
      - 0
    .max_flat_workgroup_size: 256
    .name:           _ZN7rocprim17ROCPRIM_400000_NS6detail17trampoline_kernelINS0_14default_configENS1_27scan_by_key_config_selectorIisEEZZNS1_16scan_by_key_implILNS1_25lookback_scan_determinismE0ELb0ES3_N6thrust23THRUST_200600_302600_NS6detail15normal_iteratorINS9_10device_ptrIiEEEENSB_INSC_IsEEEESG_sNS9_4plusIvEENS9_8equal_toIvEEsEE10hipError_tPvRmT2_T3_T4_T5_mT6_T7_P12ihipStream_tbENKUlT_T0_E_clISt17integral_constantIbLb1EES10_IbLb0EEEEDaSW_SX_EUlSW_E_NS1_11comp_targetILNS1_3genE0ELNS1_11target_archE4294967295ELNS1_3gpuE0ELNS1_3repE0EEENS1_30default_config_static_selectorELNS0_4arch9wavefront6targetE0EEEvT1_
    .private_segment_fixed_size: 0
    .sgpr_count:     0
    .sgpr_spill_count: 0
    .symbol:         _ZN7rocprim17ROCPRIM_400000_NS6detail17trampoline_kernelINS0_14default_configENS1_27scan_by_key_config_selectorIisEEZZNS1_16scan_by_key_implILNS1_25lookback_scan_determinismE0ELb0ES3_N6thrust23THRUST_200600_302600_NS6detail15normal_iteratorINS9_10device_ptrIiEEEENSB_INSC_IsEEEESG_sNS9_4plusIvEENS9_8equal_toIvEEsEE10hipError_tPvRmT2_T3_T4_T5_mT6_T7_P12ihipStream_tbENKUlT_T0_E_clISt17integral_constantIbLb1EES10_IbLb0EEEEDaSW_SX_EUlSW_E_NS1_11comp_targetILNS1_3genE0ELNS1_11target_archE4294967295ELNS1_3gpuE0ELNS1_3repE0EEENS1_30default_config_static_selectorELNS0_4arch9wavefront6targetE0EEEvT1_.kd
    .uniform_work_group_size: 1
    .uses_dynamic_stack: false
    .vgpr_count:     0
    .vgpr_spill_count: 0
    .wavefront_size: 32
    .workgroup_processor_mode: 1
  - .args:
      - .offset:         0
        .size:           112
        .value_kind:     by_value
    .group_segment_fixed_size: 0
    .kernarg_segment_align: 8
    .kernarg_segment_size: 112
    .language:       OpenCL C
    .language_version:
      - 2
      - 0
    .max_flat_workgroup_size: 256
    .name:           _ZN7rocprim17ROCPRIM_400000_NS6detail17trampoline_kernelINS0_14default_configENS1_27scan_by_key_config_selectorIisEEZZNS1_16scan_by_key_implILNS1_25lookback_scan_determinismE0ELb0ES3_N6thrust23THRUST_200600_302600_NS6detail15normal_iteratorINS9_10device_ptrIiEEEENSB_INSC_IsEEEESG_sNS9_4plusIvEENS9_8equal_toIvEEsEE10hipError_tPvRmT2_T3_T4_T5_mT6_T7_P12ihipStream_tbENKUlT_T0_E_clISt17integral_constantIbLb1EES10_IbLb0EEEEDaSW_SX_EUlSW_E_NS1_11comp_targetILNS1_3genE10ELNS1_11target_archE1201ELNS1_3gpuE5ELNS1_3repE0EEENS1_30default_config_static_selectorELNS0_4arch9wavefront6targetE0EEEvT1_
    .private_segment_fixed_size: 0
    .sgpr_count:     0
    .sgpr_spill_count: 0
    .symbol:         _ZN7rocprim17ROCPRIM_400000_NS6detail17trampoline_kernelINS0_14default_configENS1_27scan_by_key_config_selectorIisEEZZNS1_16scan_by_key_implILNS1_25lookback_scan_determinismE0ELb0ES3_N6thrust23THRUST_200600_302600_NS6detail15normal_iteratorINS9_10device_ptrIiEEEENSB_INSC_IsEEEESG_sNS9_4plusIvEENS9_8equal_toIvEEsEE10hipError_tPvRmT2_T3_T4_T5_mT6_T7_P12ihipStream_tbENKUlT_T0_E_clISt17integral_constantIbLb1EES10_IbLb0EEEEDaSW_SX_EUlSW_E_NS1_11comp_targetILNS1_3genE10ELNS1_11target_archE1201ELNS1_3gpuE5ELNS1_3repE0EEENS1_30default_config_static_selectorELNS0_4arch9wavefront6targetE0EEEvT1_.kd
    .uniform_work_group_size: 1
    .uses_dynamic_stack: false
    .vgpr_count:     0
    .vgpr_spill_count: 0
    .wavefront_size: 32
    .workgroup_processor_mode: 1
  - .args:
      - .offset:         0
        .size:           112
        .value_kind:     by_value
    .group_segment_fixed_size: 0
    .kernarg_segment_align: 8
    .kernarg_segment_size: 112
    .language:       OpenCL C
    .language_version:
      - 2
      - 0
    .max_flat_workgroup_size: 256
    .name:           _ZN7rocprim17ROCPRIM_400000_NS6detail17trampoline_kernelINS0_14default_configENS1_27scan_by_key_config_selectorIisEEZZNS1_16scan_by_key_implILNS1_25lookback_scan_determinismE0ELb0ES3_N6thrust23THRUST_200600_302600_NS6detail15normal_iteratorINS9_10device_ptrIiEEEENSB_INSC_IsEEEESG_sNS9_4plusIvEENS9_8equal_toIvEEsEE10hipError_tPvRmT2_T3_T4_T5_mT6_T7_P12ihipStream_tbENKUlT_T0_E_clISt17integral_constantIbLb1EES10_IbLb0EEEEDaSW_SX_EUlSW_E_NS1_11comp_targetILNS1_3genE5ELNS1_11target_archE942ELNS1_3gpuE9ELNS1_3repE0EEENS1_30default_config_static_selectorELNS0_4arch9wavefront6targetE0EEEvT1_
    .private_segment_fixed_size: 0
    .sgpr_count:     0
    .sgpr_spill_count: 0
    .symbol:         _ZN7rocprim17ROCPRIM_400000_NS6detail17trampoline_kernelINS0_14default_configENS1_27scan_by_key_config_selectorIisEEZZNS1_16scan_by_key_implILNS1_25lookback_scan_determinismE0ELb0ES3_N6thrust23THRUST_200600_302600_NS6detail15normal_iteratorINS9_10device_ptrIiEEEENSB_INSC_IsEEEESG_sNS9_4plusIvEENS9_8equal_toIvEEsEE10hipError_tPvRmT2_T3_T4_T5_mT6_T7_P12ihipStream_tbENKUlT_T0_E_clISt17integral_constantIbLb1EES10_IbLb0EEEEDaSW_SX_EUlSW_E_NS1_11comp_targetILNS1_3genE5ELNS1_11target_archE942ELNS1_3gpuE9ELNS1_3repE0EEENS1_30default_config_static_selectorELNS0_4arch9wavefront6targetE0EEEvT1_.kd
    .uniform_work_group_size: 1
    .uses_dynamic_stack: false
    .vgpr_count:     0
    .vgpr_spill_count: 0
    .wavefront_size: 32
    .workgroup_processor_mode: 1
  - .args:
      - .offset:         0
        .size:           112
        .value_kind:     by_value
    .group_segment_fixed_size: 0
    .kernarg_segment_align: 8
    .kernarg_segment_size: 112
    .language:       OpenCL C
    .language_version:
      - 2
      - 0
    .max_flat_workgroup_size: 64
    .name:           _ZN7rocprim17ROCPRIM_400000_NS6detail17trampoline_kernelINS0_14default_configENS1_27scan_by_key_config_selectorIisEEZZNS1_16scan_by_key_implILNS1_25lookback_scan_determinismE0ELb0ES3_N6thrust23THRUST_200600_302600_NS6detail15normal_iteratorINS9_10device_ptrIiEEEENSB_INSC_IsEEEESG_sNS9_4plusIvEENS9_8equal_toIvEEsEE10hipError_tPvRmT2_T3_T4_T5_mT6_T7_P12ihipStream_tbENKUlT_T0_E_clISt17integral_constantIbLb1EES10_IbLb0EEEEDaSW_SX_EUlSW_E_NS1_11comp_targetILNS1_3genE4ELNS1_11target_archE910ELNS1_3gpuE8ELNS1_3repE0EEENS1_30default_config_static_selectorELNS0_4arch9wavefront6targetE0EEEvT1_
    .private_segment_fixed_size: 0
    .sgpr_count:     0
    .sgpr_spill_count: 0
    .symbol:         _ZN7rocprim17ROCPRIM_400000_NS6detail17trampoline_kernelINS0_14default_configENS1_27scan_by_key_config_selectorIisEEZZNS1_16scan_by_key_implILNS1_25lookback_scan_determinismE0ELb0ES3_N6thrust23THRUST_200600_302600_NS6detail15normal_iteratorINS9_10device_ptrIiEEEENSB_INSC_IsEEEESG_sNS9_4plusIvEENS9_8equal_toIvEEsEE10hipError_tPvRmT2_T3_T4_T5_mT6_T7_P12ihipStream_tbENKUlT_T0_E_clISt17integral_constantIbLb1EES10_IbLb0EEEEDaSW_SX_EUlSW_E_NS1_11comp_targetILNS1_3genE4ELNS1_11target_archE910ELNS1_3gpuE8ELNS1_3repE0EEENS1_30default_config_static_selectorELNS0_4arch9wavefront6targetE0EEEvT1_.kd
    .uniform_work_group_size: 1
    .uses_dynamic_stack: false
    .vgpr_count:     0
    .vgpr_spill_count: 0
    .wavefront_size: 32
    .workgroup_processor_mode: 1
  - .args:
      - .offset:         0
        .size:           112
        .value_kind:     by_value
    .group_segment_fixed_size: 0
    .kernarg_segment_align: 8
    .kernarg_segment_size: 112
    .language:       OpenCL C
    .language_version:
      - 2
      - 0
    .max_flat_workgroup_size: 256
    .name:           _ZN7rocprim17ROCPRIM_400000_NS6detail17trampoline_kernelINS0_14default_configENS1_27scan_by_key_config_selectorIisEEZZNS1_16scan_by_key_implILNS1_25lookback_scan_determinismE0ELb0ES3_N6thrust23THRUST_200600_302600_NS6detail15normal_iteratorINS9_10device_ptrIiEEEENSB_INSC_IsEEEESG_sNS9_4plusIvEENS9_8equal_toIvEEsEE10hipError_tPvRmT2_T3_T4_T5_mT6_T7_P12ihipStream_tbENKUlT_T0_E_clISt17integral_constantIbLb1EES10_IbLb0EEEEDaSW_SX_EUlSW_E_NS1_11comp_targetILNS1_3genE3ELNS1_11target_archE908ELNS1_3gpuE7ELNS1_3repE0EEENS1_30default_config_static_selectorELNS0_4arch9wavefront6targetE0EEEvT1_
    .private_segment_fixed_size: 0
    .sgpr_count:     0
    .sgpr_spill_count: 0
    .symbol:         _ZN7rocprim17ROCPRIM_400000_NS6detail17trampoline_kernelINS0_14default_configENS1_27scan_by_key_config_selectorIisEEZZNS1_16scan_by_key_implILNS1_25lookback_scan_determinismE0ELb0ES3_N6thrust23THRUST_200600_302600_NS6detail15normal_iteratorINS9_10device_ptrIiEEEENSB_INSC_IsEEEESG_sNS9_4plusIvEENS9_8equal_toIvEEsEE10hipError_tPvRmT2_T3_T4_T5_mT6_T7_P12ihipStream_tbENKUlT_T0_E_clISt17integral_constantIbLb1EES10_IbLb0EEEEDaSW_SX_EUlSW_E_NS1_11comp_targetILNS1_3genE3ELNS1_11target_archE908ELNS1_3gpuE7ELNS1_3repE0EEENS1_30default_config_static_selectorELNS0_4arch9wavefront6targetE0EEEvT1_.kd
    .uniform_work_group_size: 1
    .uses_dynamic_stack: false
    .vgpr_count:     0
    .vgpr_spill_count: 0
    .wavefront_size: 32
    .workgroup_processor_mode: 1
  - .args:
      - .offset:         0
        .size:           112
        .value_kind:     by_value
    .group_segment_fixed_size: 0
    .kernarg_segment_align: 8
    .kernarg_segment_size: 112
    .language:       OpenCL C
    .language_version:
      - 2
      - 0
    .max_flat_workgroup_size: 64
    .name:           _ZN7rocprim17ROCPRIM_400000_NS6detail17trampoline_kernelINS0_14default_configENS1_27scan_by_key_config_selectorIisEEZZNS1_16scan_by_key_implILNS1_25lookback_scan_determinismE0ELb0ES3_N6thrust23THRUST_200600_302600_NS6detail15normal_iteratorINS9_10device_ptrIiEEEENSB_INSC_IsEEEESG_sNS9_4plusIvEENS9_8equal_toIvEEsEE10hipError_tPvRmT2_T3_T4_T5_mT6_T7_P12ihipStream_tbENKUlT_T0_E_clISt17integral_constantIbLb1EES10_IbLb0EEEEDaSW_SX_EUlSW_E_NS1_11comp_targetILNS1_3genE2ELNS1_11target_archE906ELNS1_3gpuE6ELNS1_3repE0EEENS1_30default_config_static_selectorELNS0_4arch9wavefront6targetE0EEEvT1_
    .private_segment_fixed_size: 0
    .sgpr_count:     0
    .sgpr_spill_count: 0
    .symbol:         _ZN7rocprim17ROCPRIM_400000_NS6detail17trampoline_kernelINS0_14default_configENS1_27scan_by_key_config_selectorIisEEZZNS1_16scan_by_key_implILNS1_25lookback_scan_determinismE0ELb0ES3_N6thrust23THRUST_200600_302600_NS6detail15normal_iteratorINS9_10device_ptrIiEEEENSB_INSC_IsEEEESG_sNS9_4plusIvEENS9_8equal_toIvEEsEE10hipError_tPvRmT2_T3_T4_T5_mT6_T7_P12ihipStream_tbENKUlT_T0_E_clISt17integral_constantIbLb1EES10_IbLb0EEEEDaSW_SX_EUlSW_E_NS1_11comp_targetILNS1_3genE2ELNS1_11target_archE906ELNS1_3gpuE6ELNS1_3repE0EEENS1_30default_config_static_selectorELNS0_4arch9wavefront6targetE0EEEvT1_.kd
    .uniform_work_group_size: 1
    .uses_dynamic_stack: false
    .vgpr_count:     0
    .vgpr_spill_count: 0
    .wavefront_size: 32
    .workgroup_processor_mode: 1
  - .args:
      - .offset:         0
        .size:           112
        .value_kind:     by_value
    .group_segment_fixed_size: 0
    .kernarg_segment_align: 8
    .kernarg_segment_size: 112
    .language:       OpenCL C
    .language_version:
      - 2
      - 0
    .max_flat_workgroup_size: 256
    .name:           _ZN7rocprim17ROCPRIM_400000_NS6detail17trampoline_kernelINS0_14default_configENS1_27scan_by_key_config_selectorIisEEZZNS1_16scan_by_key_implILNS1_25lookback_scan_determinismE0ELb0ES3_N6thrust23THRUST_200600_302600_NS6detail15normal_iteratorINS9_10device_ptrIiEEEENSB_INSC_IsEEEESG_sNS9_4plusIvEENS9_8equal_toIvEEsEE10hipError_tPvRmT2_T3_T4_T5_mT6_T7_P12ihipStream_tbENKUlT_T0_E_clISt17integral_constantIbLb1EES10_IbLb0EEEEDaSW_SX_EUlSW_E_NS1_11comp_targetILNS1_3genE10ELNS1_11target_archE1200ELNS1_3gpuE4ELNS1_3repE0EEENS1_30default_config_static_selectorELNS0_4arch9wavefront6targetE0EEEvT1_
    .private_segment_fixed_size: 0
    .sgpr_count:     0
    .sgpr_spill_count: 0
    .symbol:         _ZN7rocprim17ROCPRIM_400000_NS6detail17trampoline_kernelINS0_14default_configENS1_27scan_by_key_config_selectorIisEEZZNS1_16scan_by_key_implILNS1_25lookback_scan_determinismE0ELb0ES3_N6thrust23THRUST_200600_302600_NS6detail15normal_iteratorINS9_10device_ptrIiEEEENSB_INSC_IsEEEESG_sNS9_4plusIvEENS9_8equal_toIvEEsEE10hipError_tPvRmT2_T3_T4_T5_mT6_T7_P12ihipStream_tbENKUlT_T0_E_clISt17integral_constantIbLb1EES10_IbLb0EEEEDaSW_SX_EUlSW_E_NS1_11comp_targetILNS1_3genE10ELNS1_11target_archE1200ELNS1_3gpuE4ELNS1_3repE0EEENS1_30default_config_static_selectorELNS0_4arch9wavefront6targetE0EEEvT1_.kd
    .uniform_work_group_size: 1
    .uses_dynamic_stack: false
    .vgpr_count:     0
    .vgpr_spill_count: 0
    .wavefront_size: 32
    .workgroup_processor_mode: 1
  - .args:
      - .offset:         0
        .size:           112
        .value_kind:     by_value
    .group_segment_fixed_size: 0
    .kernarg_segment_align: 8
    .kernarg_segment_size: 112
    .language:       OpenCL C
    .language_version:
      - 2
      - 0
    .max_flat_workgroup_size: 64
    .name:           _ZN7rocprim17ROCPRIM_400000_NS6detail17trampoline_kernelINS0_14default_configENS1_27scan_by_key_config_selectorIisEEZZNS1_16scan_by_key_implILNS1_25lookback_scan_determinismE0ELb0ES3_N6thrust23THRUST_200600_302600_NS6detail15normal_iteratorINS9_10device_ptrIiEEEENSB_INSC_IsEEEESG_sNS9_4plusIvEENS9_8equal_toIvEEsEE10hipError_tPvRmT2_T3_T4_T5_mT6_T7_P12ihipStream_tbENKUlT_T0_E_clISt17integral_constantIbLb1EES10_IbLb0EEEEDaSW_SX_EUlSW_E_NS1_11comp_targetILNS1_3genE9ELNS1_11target_archE1100ELNS1_3gpuE3ELNS1_3repE0EEENS1_30default_config_static_selectorELNS0_4arch9wavefront6targetE0EEEvT1_
    .private_segment_fixed_size: 0
    .sgpr_count:     0
    .sgpr_spill_count: 0
    .symbol:         _ZN7rocprim17ROCPRIM_400000_NS6detail17trampoline_kernelINS0_14default_configENS1_27scan_by_key_config_selectorIisEEZZNS1_16scan_by_key_implILNS1_25lookback_scan_determinismE0ELb0ES3_N6thrust23THRUST_200600_302600_NS6detail15normal_iteratorINS9_10device_ptrIiEEEENSB_INSC_IsEEEESG_sNS9_4plusIvEENS9_8equal_toIvEEsEE10hipError_tPvRmT2_T3_T4_T5_mT6_T7_P12ihipStream_tbENKUlT_T0_E_clISt17integral_constantIbLb1EES10_IbLb0EEEEDaSW_SX_EUlSW_E_NS1_11comp_targetILNS1_3genE9ELNS1_11target_archE1100ELNS1_3gpuE3ELNS1_3repE0EEENS1_30default_config_static_selectorELNS0_4arch9wavefront6targetE0EEEvT1_.kd
    .uniform_work_group_size: 1
    .uses_dynamic_stack: false
    .vgpr_count:     0
    .vgpr_spill_count: 0
    .wavefront_size: 32
    .workgroup_processor_mode: 1
  - .args:
      - .offset:         0
        .size:           112
        .value_kind:     by_value
    .group_segment_fixed_size: 0
    .kernarg_segment_align: 8
    .kernarg_segment_size: 112
    .language:       OpenCL C
    .language_version:
      - 2
      - 0
    .max_flat_workgroup_size: 64
    .name:           _ZN7rocprim17ROCPRIM_400000_NS6detail17trampoline_kernelINS0_14default_configENS1_27scan_by_key_config_selectorIisEEZZNS1_16scan_by_key_implILNS1_25lookback_scan_determinismE0ELb0ES3_N6thrust23THRUST_200600_302600_NS6detail15normal_iteratorINS9_10device_ptrIiEEEENSB_INSC_IsEEEESG_sNS9_4plusIvEENS9_8equal_toIvEEsEE10hipError_tPvRmT2_T3_T4_T5_mT6_T7_P12ihipStream_tbENKUlT_T0_E_clISt17integral_constantIbLb1EES10_IbLb0EEEEDaSW_SX_EUlSW_E_NS1_11comp_targetILNS1_3genE8ELNS1_11target_archE1030ELNS1_3gpuE2ELNS1_3repE0EEENS1_30default_config_static_selectorELNS0_4arch9wavefront6targetE0EEEvT1_
    .private_segment_fixed_size: 0
    .sgpr_count:     0
    .sgpr_spill_count: 0
    .symbol:         _ZN7rocprim17ROCPRIM_400000_NS6detail17trampoline_kernelINS0_14default_configENS1_27scan_by_key_config_selectorIisEEZZNS1_16scan_by_key_implILNS1_25lookback_scan_determinismE0ELb0ES3_N6thrust23THRUST_200600_302600_NS6detail15normal_iteratorINS9_10device_ptrIiEEEENSB_INSC_IsEEEESG_sNS9_4plusIvEENS9_8equal_toIvEEsEE10hipError_tPvRmT2_T3_T4_T5_mT6_T7_P12ihipStream_tbENKUlT_T0_E_clISt17integral_constantIbLb1EES10_IbLb0EEEEDaSW_SX_EUlSW_E_NS1_11comp_targetILNS1_3genE8ELNS1_11target_archE1030ELNS1_3gpuE2ELNS1_3repE0EEENS1_30default_config_static_selectorELNS0_4arch9wavefront6targetE0EEEvT1_.kd
    .uniform_work_group_size: 1
    .uses_dynamic_stack: false
    .vgpr_count:     0
    .vgpr_spill_count: 0
    .wavefront_size: 32
    .workgroup_processor_mode: 1
  - .args:
      - .address_space:  global
        .offset:         0
        .size:           8
        .value_kind:     global_buffer
      - .offset:         8
        .size:           4
        .value_kind:     by_value
      - .offset:         12
        .size:           4
        .value_kind:     by_value
      - .address_space:  global
        .offset:         16
        .size:           8
        .value_kind:     global_buffer
      - .address_space:  global
        .offset:         24
        .size:           8
        .value_kind:     global_buffer
      - .actual_access:  write_only
        .address_space:  global
        .offset:         32
        .size:           8
        .value_kind:     global_buffer
      - .offset:         40
        .size:           8
        .value_kind:     by_value
      - .offset:         48
        .size:           4
        .value_kind:     by_value
      - .address_space:  global
        .offset:         56
        .size:           8
        .value_kind:     global_buffer
      - .offset:         64
        .size:           4
        .value_kind:     hidden_block_count_x
      - .offset:         68
        .size:           4
        .value_kind:     hidden_block_count_y
      - .offset:         72
        .size:           4
        .value_kind:     hidden_block_count_z
      - .offset:         76
        .size:           2
        .value_kind:     hidden_group_size_x
      - .offset:         78
        .size:           2
        .value_kind:     hidden_group_size_y
      - .offset:         80
        .size:           2
        .value_kind:     hidden_group_size_z
      - .offset:         82
        .size:           2
        .value_kind:     hidden_remainder_x
      - .offset:         84
        .size:           2
        .value_kind:     hidden_remainder_y
      - .offset:         86
        .size:           2
        .value_kind:     hidden_remainder_z
      - .offset:         104
        .size:           8
        .value_kind:     hidden_global_offset_x
      - .offset:         112
        .size:           8
        .value_kind:     hidden_global_offset_y
      - .offset:         120
        .size:           8
        .value_kind:     hidden_global_offset_z
      - .offset:         128
        .size:           2
        .value_kind:     hidden_grid_dims
    .group_segment_fixed_size: 0
    .kernarg_segment_align: 8
    .kernarg_segment_size: 320
    .language:       OpenCL C
    .language_version:
      - 2
      - 0
    .max_flat_workgroup_size: 256
    .name:           _ZN7rocprim17ROCPRIM_400000_NS6detail30init_device_scan_by_key_kernelINS1_19lookback_scan_stateINS0_5tupleIJsbEEELb0ELb1EEEN6thrust23THRUST_200600_302600_NS6detail15normal_iteratorINS8_10device_ptrIiEEEEjNS1_16block_id_wrapperIjLb1EEEEEvT_jjPNSG_10value_typeET0_PNSt15iterator_traitsISJ_E10value_typeEmT1_T2_
    .private_segment_fixed_size: 0
    .sgpr_count:     19
    .sgpr_spill_count: 0
    .symbol:         _ZN7rocprim17ROCPRIM_400000_NS6detail30init_device_scan_by_key_kernelINS1_19lookback_scan_stateINS0_5tupleIJsbEEELb0ELb1EEEN6thrust23THRUST_200600_302600_NS6detail15normal_iteratorINS8_10device_ptrIiEEEEjNS1_16block_id_wrapperIjLb1EEEEEvT_jjPNSG_10value_typeET0_PNSt15iterator_traitsISJ_E10value_typeEmT1_T2_.kd
    .uniform_work_group_size: 1
    .uses_dynamic_stack: false
    .vgpr_count:     7
    .vgpr_spill_count: 0
    .wavefront_size: 32
    .workgroup_processor_mode: 1
  - .args:
      - .offset:         0
        .size:           112
        .value_kind:     by_value
    .group_segment_fixed_size: 0
    .kernarg_segment_align: 8
    .kernarg_segment_size: 112
    .language:       OpenCL C
    .language_version:
      - 2
      - 0
    .max_flat_workgroup_size: 256
    .name:           _ZN7rocprim17ROCPRIM_400000_NS6detail17trampoline_kernelINS0_14default_configENS1_27scan_by_key_config_selectorIisEEZZNS1_16scan_by_key_implILNS1_25lookback_scan_determinismE0ELb0ES3_N6thrust23THRUST_200600_302600_NS6detail15normal_iteratorINS9_10device_ptrIiEEEENSB_INSC_IsEEEESG_sNS9_4plusIvEENS9_8equal_toIvEEsEE10hipError_tPvRmT2_T3_T4_T5_mT6_T7_P12ihipStream_tbENKUlT_T0_E_clISt17integral_constantIbLb0EES10_IbLb1EEEEDaSW_SX_EUlSW_E_NS1_11comp_targetILNS1_3genE0ELNS1_11target_archE4294967295ELNS1_3gpuE0ELNS1_3repE0EEENS1_30default_config_static_selectorELNS0_4arch9wavefront6targetE0EEEvT1_
    .private_segment_fixed_size: 0
    .sgpr_count:     0
    .sgpr_spill_count: 0
    .symbol:         _ZN7rocprim17ROCPRIM_400000_NS6detail17trampoline_kernelINS0_14default_configENS1_27scan_by_key_config_selectorIisEEZZNS1_16scan_by_key_implILNS1_25lookback_scan_determinismE0ELb0ES3_N6thrust23THRUST_200600_302600_NS6detail15normal_iteratorINS9_10device_ptrIiEEEENSB_INSC_IsEEEESG_sNS9_4plusIvEENS9_8equal_toIvEEsEE10hipError_tPvRmT2_T3_T4_T5_mT6_T7_P12ihipStream_tbENKUlT_T0_E_clISt17integral_constantIbLb0EES10_IbLb1EEEEDaSW_SX_EUlSW_E_NS1_11comp_targetILNS1_3genE0ELNS1_11target_archE4294967295ELNS1_3gpuE0ELNS1_3repE0EEENS1_30default_config_static_selectorELNS0_4arch9wavefront6targetE0EEEvT1_.kd
    .uniform_work_group_size: 1
    .uses_dynamic_stack: false
    .vgpr_count:     0
    .vgpr_spill_count: 0
    .wavefront_size: 32
    .workgroup_processor_mode: 1
  - .args:
      - .offset:         0
        .size:           112
        .value_kind:     by_value
    .group_segment_fixed_size: 0
    .kernarg_segment_align: 8
    .kernarg_segment_size: 112
    .language:       OpenCL C
    .language_version:
      - 2
      - 0
    .max_flat_workgroup_size: 256
    .name:           _ZN7rocprim17ROCPRIM_400000_NS6detail17trampoline_kernelINS0_14default_configENS1_27scan_by_key_config_selectorIisEEZZNS1_16scan_by_key_implILNS1_25lookback_scan_determinismE0ELb0ES3_N6thrust23THRUST_200600_302600_NS6detail15normal_iteratorINS9_10device_ptrIiEEEENSB_INSC_IsEEEESG_sNS9_4plusIvEENS9_8equal_toIvEEsEE10hipError_tPvRmT2_T3_T4_T5_mT6_T7_P12ihipStream_tbENKUlT_T0_E_clISt17integral_constantIbLb0EES10_IbLb1EEEEDaSW_SX_EUlSW_E_NS1_11comp_targetILNS1_3genE10ELNS1_11target_archE1201ELNS1_3gpuE5ELNS1_3repE0EEENS1_30default_config_static_selectorELNS0_4arch9wavefront6targetE0EEEvT1_
    .private_segment_fixed_size: 0
    .sgpr_count:     0
    .sgpr_spill_count: 0
    .symbol:         _ZN7rocprim17ROCPRIM_400000_NS6detail17trampoline_kernelINS0_14default_configENS1_27scan_by_key_config_selectorIisEEZZNS1_16scan_by_key_implILNS1_25lookback_scan_determinismE0ELb0ES3_N6thrust23THRUST_200600_302600_NS6detail15normal_iteratorINS9_10device_ptrIiEEEENSB_INSC_IsEEEESG_sNS9_4plusIvEENS9_8equal_toIvEEsEE10hipError_tPvRmT2_T3_T4_T5_mT6_T7_P12ihipStream_tbENKUlT_T0_E_clISt17integral_constantIbLb0EES10_IbLb1EEEEDaSW_SX_EUlSW_E_NS1_11comp_targetILNS1_3genE10ELNS1_11target_archE1201ELNS1_3gpuE5ELNS1_3repE0EEENS1_30default_config_static_selectorELNS0_4arch9wavefront6targetE0EEEvT1_.kd
    .uniform_work_group_size: 1
    .uses_dynamic_stack: false
    .vgpr_count:     0
    .vgpr_spill_count: 0
    .wavefront_size: 32
    .workgroup_processor_mode: 1
  - .args:
      - .offset:         0
        .size:           112
        .value_kind:     by_value
    .group_segment_fixed_size: 0
    .kernarg_segment_align: 8
    .kernarg_segment_size: 112
    .language:       OpenCL C
    .language_version:
      - 2
      - 0
    .max_flat_workgroup_size: 256
    .name:           _ZN7rocprim17ROCPRIM_400000_NS6detail17trampoline_kernelINS0_14default_configENS1_27scan_by_key_config_selectorIisEEZZNS1_16scan_by_key_implILNS1_25lookback_scan_determinismE0ELb0ES3_N6thrust23THRUST_200600_302600_NS6detail15normal_iteratorINS9_10device_ptrIiEEEENSB_INSC_IsEEEESG_sNS9_4plusIvEENS9_8equal_toIvEEsEE10hipError_tPvRmT2_T3_T4_T5_mT6_T7_P12ihipStream_tbENKUlT_T0_E_clISt17integral_constantIbLb0EES10_IbLb1EEEEDaSW_SX_EUlSW_E_NS1_11comp_targetILNS1_3genE5ELNS1_11target_archE942ELNS1_3gpuE9ELNS1_3repE0EEENS1_30default_config_static_selectorELNS0_4arch9wavefront6targetE0EEEvT1_
    .private_segment_fixed_size: 0
    .sgpr_count:     0
    .sgpr_spill_count: 0
    .symbol:         _ZN7rocprim17ROCPRIM_400000_NS6detail17trampoline_kernelINS0_14default_configENS1_27scan_by_key_config_selectorIisEEZZNS1_16scan_by_key_implILNS1_25lookback_scan_determinismE0ELb0ES3_N6thrust23THRUST_200600_302600_NS6detail15normal_iteratorINS9_10device_ptrIiEEEENSB_INSC_IsEEEESG_sNS9_4plusIvEENS9_8equal_toIvEEsEE10hipError_tPvRmT2_T3_T4_T5_mT6_T7_P12ihipStream_tbENKUlT_T0_E_clISt17integral_constantIbLb0EES10_IbLb1EEEEDaSW_SX_EUlSW_E_NS1_11comp_targetILNS1_3genE5ELNS1_11target_archE942ELNS1_3gpuE9ELNS1_3repE0EEENS1_30default_config_static_selectorELNS0_4arch9wavefront6targetE0EEEvT1_.kd
    .uniform_work_group_size: 1
    .uses_dynamic_stack: false
    .vgpr_count:     0
    .vgpr_spill_count: 0
    .wavefront_size: 32
    .workgroup_processor_mode: 1
  - .args:
      - .offset:         0
        .size:           112
        .value_kind:     by_value
    .group_segment_fixed_size: 0
    .kernarg_segment_align: 8
    .kernarg_segment_size: 112
    .language:       OpenCL C
    .language_version:
      - 2
      - 0
    .max_flat_workgroup_size: 64
    .name:           _ZN7rocprim17ROCPRIM_400000_NS6detail17trampoline_kernelINS0_14default_configENS1_27scan_by_key_config_selectorIisEEZZNS1_16scan_by_key_implILNS1_25lookback_scan_determinismE0ELb0ES3_N6thrust23THRUST_200600_302600_NS6detail15normal_iteratorINS9_10device_ptrIiEEEENSB_INSC_IsEEEESG_sNS9_4plusIvEENS9_8equal_toIvEEsEE10hipError_tPvRmT2_T3_T4_T5_mT6_T7_P12ihipStream_tbENKUlT_T0_E_clISt17integral_constantIbLb0EES10_IbLb1EEEEDaSW_SX_EUlSW_E_NS1_11comp_targetILNS1_3genE4ELNS1_11target_archE910ELNS1_3gpuE8ELNS1_3repE0EEENS1_30default_config_static_selectorELNS0_4arch9wavefront6targetE0EEEvT1_
    .private_segment_fixed_size: 0
    .sgpr_count:     0
    .sgpr_spill_count: 0
    .symbol:         _ZN7rocprim17ROCPRIM_400000_NS6detail17trampoline_kernelINS0_14default_configENS1_27scan_by_key_config_selectorIisEEZZNS1_16scan_by_key_implILNS1_25lookback_scan_determinismE0ELb0ES3_N6thrust23THRUST_200600_302600_NS6detail15normal_iteratorINS9_10device_ptrIiEEEENSB_INSC_IsEEEESG_sNS9_4plusIvEENS9_8equal_toIvEEsEE10hipError_tPvRmT2_T3_T4_T5_mT6_T7_P12ihipStream_tbENKUlT_T0_E_clISt17integral_constantIbLb0EES10_IbLb1EEEEDaSW_SX_EUlSW_E_NS1_11comp_targetILNS1_3genE4ELNS1_11target_archE910ELNS1_3gpuE8ELNS1_3repE0EEENS1_30default_config_static_selectorELNS0_4arch9wavefront6targetE0EEEvT1_.kd
    .uniform_work_group_size: 1
    .uses_dynamic_stack: false
    .vgpr_count:     0
    .vgpr_spill_count: 0
    .wavefront_size: 32
    .workgroup_processor_mode: 1
  - .args:
      - .offset:         0
        .size:           112
        .value_kind:     by_value
    .group_segment_fixed_size: 0
    .kernarg_segment_align: 8
    .kernarg_segment_size: 112
    .language:       OpenCL C
    .language_version:
      - 2
      - 0
    .max_flat_workgroup_size: 256
    .name:           _ZN7rocprim17ROCPRIM_400000_NS6detail17trampoline_kernelINS0_14default_configENS1_27scan_by_key_config_selectorIisEEZZNS1_16scan_by_key_implILNS1_25lookback_scan_determinismE0ELb0ES3_N6thrust23THRUST_200600_302600_NS6detail15normal_iteratorINS9_10device_ptrIiEEEENSB_INSC_IsEEEESG_sNS9_4plusIvEENS9_8equal_toIvEEsEE10hipError_tPvRmT2_T3_T4_T5_mT6_T7_P12ihipStream_tbENKUlT_T0_E_clISt17integral_constantIbLb0EES10_IbLb1EEEEDaSW_SX_EUlSW_E_NS1_11comp_targetILNS1_3genE3ELNS1_11target_archE908ELNS1_3gpuE7ELNS1_3repE0EEENS1_30default_config_static_selectorELNS0_4arch9wavefront6targetE0EEEvT1_
    .private_segment_fixed_size: 0
    .sgpr_count:     0
    .sgpr_spill_count: 0
    .symbol:         _ZN7rocprim17ROCPRIM_400000_NS6detail17trampoline_kernelINS0_14default_configENS1_27scan_by_key_config_selectorIisEEZZNS1_16scan_by_key_implILNS1_25lookback_scan_determinismE0ELb0ES3_N6thrust23THRUST_200600_302600_NS6detail15normal_iteratorINS9_10device_ptrIiEEEENSB_INSC_IsEEEESG_sNS9_4plusIvEENS9_8equal_toIvEEsEE10hipError_tPvRmT2_T3_T4_T5_mT6_T7_P12ihipStream_tbENKUlT_T0_E_clISt17integral_constantIbLb0EES10_IbLb1EEEEDaSW_SX_EUlSW_E_NS1_11comp_targetILNS1_3genE3ELNS1_11target_archE908ELNS1_3gpuE7ELNS1_3repE0EEENS1_30default_config_static_selectorELNS0_4arch9wavefront6targetE0EEEvT1_.kd
    .uniform_work_group_size: 1
    .uses_dynamic_stack: false
    .vgpr_count:     0
    .vgpr_spill_count: 0
    .wavefront_size: 32
    .workgroup_processor_mode: 1
  - .args:
      - .offset:         0
        .size:           112
        .value_kind:     by_value
    .group_segment_fixed_size: 0
    .kernarg_segment_align: 8
    .kernarg_segment_size: 112
    .language:       OpenCL C
    .language_version:
      - 2
      - 0
    .max_flat_workgroup_size: 64
    .name:           _ZN7rocprim17ROCPRIM_400000_NS6detail17trampoline_kernelINS0_14default_configENS1_27scan_by_key_config_selectorIisEEZZNS1_16scan_by_key_implILNS1_25lookback_scan_determinismE0ELb0ES3_N6thrust23THRUST_200600_302600_NS6detail15normal_iteratorINS9_10device_ptrIiEEEENSB_INSC_IsEEEESG_sNS9_4plusIvEENS9_8equal_toIvEEsEE10hipError_tPvRmT2_T3_T4_T5_mT6_T7_P12ihipStream_tbENKUlT_T0_E_clISt17integral_constantIbLb0EES10_IbLb1EEEEDaSW_SX_EUlSW_E_NS1_11comp_targetILNS1_3genE2ELNS1_11target_archE906ELNS1_3gpuE6ELNS1_3repE0EEENS1_30default_config_static_selectorELNS0_4arch9wavefront6targetE0EEEvT1_
    .private_segment_fixed_size: 0
    .sgpr_count:     0
    .sgpr_spill_count: 0
    .symbol:         _ZN7rocprim17ROCPRIM_400000_NS6detail17trampoline_kernelINS0_14default_configENS1_27scan_by_key_config_selectorIisEEZZNS1_16scan_by_key_implILNS1_25lookback_scan_determinismE0ELb0ES3_N6thrust23THRUST_200600_302600_NS6detail15normal_iteratorINS9_10device_ptrIiEEEENSB_INSC_IsEEEESG_sNS9_4plusIvEENS9_8equal_toIvEEsEE10hipError_tPvRmT2_T3_T4_T5_mT6_T7_P12ihipStream_tbENKUlT_T0_E_clISt17integral_constantIbLb0EES10_IbLb1EEEEDaSW_SX_EUlSW_E_NS1_11comp_targetILNS1_3genE2ELNS1_11target_archE906ELNS1_3gpuE6ELNS1_3repE0EEENS1_30default_config_static_selectorELNS0_4arch9wavefront6targetE0EEEvT1_.kd
    .uniform_work_group_size: 1
    .uses_dynamic_stack: false
    .vgpr_count:     0
    .vgpr_spill_count: 0
    .wavefront_size: 32
    .workgroup_processor_mode: 1
  - .args:
      - .offset:         0
        .size:           112
        .value_kind:     by_value
    .group_segment_fixed_size: 0
    .kernarg_segment_align: 8
    .kernarg_segment_size: 112
    .language:       OpenCL C
    .language_version:
      - 2
      - 0
    .max_flat_workgroup_size: 256
    .name:           _ZN7rocprim17ROCPRIM_400000_NS6detail17trampoline_kernelINS0_14default_configENS1_27scan_by_key_config_selectorIisEEZZNS1_16scan_by_key_implILNS1_25lookback_scan_determinismE0ELb0ES3_N6thrust23THRUST_200600_302600_NS6detail15normal_iteratorINS9_10device_ptrIiEEEENSB_INSC_IsEEEESG_sNS9_4plusIvEENS9_8equal_toIvEEsEE10hipError_tPvRmT2_T3_T4_T5_mT6_T7_P12ihipStream_tbENKUlT_T0_E_clISt17integral_constantIbLb0EES10_IbLb1EEEEDaSW_SX_EUlSW_E_NS1_11comp_targetILNS1_3genE10ELNS1_11target_archE1200ELNS1_3gpuE4ELNS1_3repE0EEENS1_30default_config_static_selectorELNS0_4arch9wavefront6targetE0EEEvT1_
    .private_segment_fixed_size: 0
    .sgpr_count:     0
    .sgpr_spill_count: 0
    .symbol:         _ZN7rocprim17ROCPRIM_400000_NS6detail17trampoline_kernelINS0_14default_configENS1_27scan_by_key_config_selectorIisEEZZNS1_16scan_by_key_implILNS1_25lookback_scan_determinismE0ELb0ES3_N6thrust23THRUST_200600_302600_NS6detail15normal_iteratorINS9_10device_ptrIiEEEENSB_INSC_IsEEEESG_sNS9_4plusIvEENS9_8equal_toIvEEsEE10hipError_tPvRmT2_T3_T4_T5_mT6_T7_P12ihipStream_tbENKUlT_T0_E_clISt17integral_constantIbLb0EES10_IbLb1EEEEDaSW_SX_EUlSW_E_NS1_11comp_targetILNS1_3genE10ELNS1_11target_archE1200ELNS1_3gpuE4ELNS1_3repE0EEENS1_30default_config_static_selectorELNS0_4arch9wavefront6targetE0EEEvT1_.kd
    .uniform_work_group_size: 1
    .uses_dynamic_stack: false
    .vgpr_count:     0
    .vgpr_spill_count: 0
    .wavefront_size: 32
    .workgroup_processor_mode: 1
  - .args:
      - .offset:         0
        .size:           112
        .value_kind:     by_value
    .group_segment_fixed_size: 0
    .kernarg_segment_align: 8
    .kernarg_segment_size: 112
    .language:       OpenCL C
    .language_version:
      - 2
      - 0
    .max_flat_workgroup_size: 64
    .name:           _ZN7rocprim17ROCPRIM_400000_NS6detail17trampoline_kernelINS0_14default_configENS1_27scan_by_key_config_selectorIisEEZZNS1_16scan_by_key_implILNS1_25lookback_scan_determinismE0ELb0ES3_N6thrust23THRUST_200600_302600_NS6detail15normal_iteratorINS9_10device_ptrIiEEEENSB_INSC_IsEEEESG_sNS9_4plusIvEENS9_8equal_toIvEEsEE10hipError_tPvRmT2_T3_T4_T5_mT6_T7_P12ihipStream_tbENKUlT_T0_E_clISt17integral_constantIbLb0EES10_IbLb1EEEEDaSW_SX_EUlSW_E_NS1_11comp_targetILNS1_3genE9ELNS1_11target_archE1100ELNS1_3gpuE3ELNS1_3repE0EEENS1_30default_config_static_selectorELNS0_4arch9wavefront6targetE0EEEvT1_
    .private_segment_fixed_size: 0
    .sgpr_count:     0
    .sgpr_spill_count: 0
    .symbol:         _ZN7rocprim17ROCPRIM_400000_NS6detail17trampoline_kernelINS0_14default_configENS1_27scan_by_key_config_selectorIisEEZZNS1_16scan_by_key_implILNS1_25lookback_scan_determinismE0ELb0ES3_N6thrust23THRUST_200600_302600_NS6detail15normal_iteratorINS9_10device_ptrIiEEEENSB_INSC_IsEEEESG_sNS9_4plusIvEENS9_8equal_toIvEEsEE10hipError_tPvRmT2_T3_T4_T5_mT6_T7_P12ihipStream_tbENKUlT_T0_E_clISt17integral_constantIbLb0EES10_IbLb1EEEEDaSW_SX_EUlSW_E_NS1_11comp_targetILNS1_3genE9ELNS1_11target_archE1100ELNS1_3gpuE3ELNS1_3repE0EEENS1_30default_config_static_selectorELNS0_4arch9wavefront6targetE0EEEvT1_.kd
    .uniform_work_group_size: 1
    .uses_dynamic_stack: false
    .vgpr_count:     0
    .vgpr_spill_count: 0
    .wavefront_size: 32
    .workgroup_processor_mode: 1
  - .args:
      - .offset:         0
        .size:           112
        .value_kind:     by_value
    .group_segment_fixed_size: 2304
    .kernarg_segment_align: 8
    .kernarg_segment_size: 112
    .language:       OpenCL C
    .language_version:
      - 2
      - 0
    .max_flat_workgroup_size: 64
    .name:           _ZN7rocprim17ROCPRIM_400000_NS6detail17trampoline_kernelINS0_14default_configENS1_27scan_by_key_config_selectorIisEEZZNS1_16scan_by_key_implILNS1_25lookback_scan_determinismE0ELb0ES3_N6thrust23THRUST_200600_302600_NS6detail15normal_iteratorINS9_10device_ptrIiEEEENSB_INSC_IsEEEESG_sNS9_4plusIvEENS9_8equal_toIvEEsEE10hipError_tPvRmT2_T3_T4_T5_mT6_T7_P12ihipStream_tbENKUlT_T0_E_clISt17integral_constantIbLb0EES10_IbLb1EEEEDaSW_SX_EUlSW_E_NS1_11comp_targetILNS1_3genE8ELNS1_11target_archE1030ELNS1_3gpuE2ELNS1_3repE0EEENS1_30default_config_static_selectorELNS0_4arch9wavefront6targetE0EEEvT1_
    .private_segment_fixed_size: 0
    .sgpr_count:     40
    .sgpr_spill_count: 0
    .symbol:         _ZN7rocprim17ROCPRIM_400000_NS6detail17trampoline_kernelINS0_14default_configENS1_27scan_by_key_config_selectorIisEEZZNS1_16scan_by_key_implILNS1_25lookback_scan_determinismE0ELb0ES3_N6thrust23THRUST_200600_302600_NS6detail15normal_iteratorINS9_10device_ptrIiEEEENSB_INSC_IsEEEESG_sNS9_4plusIvEENS9_8equal_toIvEEsEE10hipError_tPvRmT2_T3_T4_T5_mT6_T7_P12ihipStream_tbENKUlT_T0_E_clISt17integral_constantIbLb0EES10_IbLb1EEEEDaSW_SX_EUlSW_E_NS1_11comp_targetILNS1_3genE8ELNS1_11target_archE1030ELNS1_3gpuE2ELNS1_3repE0EEENS1_30default_config_static_selectorELNS0_4arch9wavefront6targetE0EEEvT1_.kd
    .uniform_work_group_size: 1
    .uses_dynamic_stack: false
    .vgpr_count:     37
    .vgpr_spill_count: 0
    .wavefront_size: 32
    .workgroup_processor_mode: 1
  - .args:
      - .offset:         0
        .size:           136
        .value_kind:     by_value
    .group_segment_fixed_size: 0
    .kernarg_segment_align: 8
    .kernarg_segment_size: 136
    .language:       OpenCL C
    .language_version:
      - 2
      - 0
    .max_flat_workgroup_size: 128
    .name:           _ZN7rocprim17ROCPRIM_400000_NS6detail17trampoline_kernelINS0_14default_configENS1_27scan_by_key_config_selectorIidEEZZNS1_16scan_by_key_implILNS1_25lookback_scan_determinismE0ELb1ES3_N6thrust23THRUST_200600_302600_NS6detail15normal_iteratorINS9_10device_ptrIiEEEENSB_INSC_IdEEEESG_dNS9_4plusIvEENS9_8equal_toIvEEdEE10hipError_tPvRmT2_T3_T4_T5_mT6_T7_P12ihipStream_tbENKUlT_T0_E_clISt17integral_constantIbLb0EES11_EEDaSW_SX_EUlSW_E_NS1_11comp_targetILNS1_3genE0ELNS1_11target_archE4294967295ELNS1_3gpuE0ELNS1_3repE0EEENS1_30default_config_static_selectorELNS0_4arch9wavefront6targetE0EEEvT1_
    .private_segment_fixed_size: 0
    .sgpr_count:     0
    .sgpr_spill_count: 0
    .symbol:         _ZN7rocprim17ROCPRIM_400000_NS6detail17trampoline_kernelINS0_14default_configENS1_27scan_by_key_config_selectorIidEEZZNS1_16scan_by_key_implILNS1_25lookback_scan_determinismE0ELb1ES3_N6thrust23THRUST_200600_302600_NS6detail15normal_iteratorINS9_10device_ptrIiEEEENSB_INSC_IdEEEESG_dNS9_4plusIvEENS9_8equal_toIvEEdEE10hipError_tPvRmT2_T3_T4_T5_mT6_T7_P12ihipStream_tbENKUlT_T0_E_clISt17integral_constantIbLb0EES11_EEDaSW_SX_EUlSW_E_NS1_11comp_targetILNS1_3genE0ELNS1_11target_archE4294967295ELNS1_3gpuE0ELNS1_3repE0EEENS1_30default_config_static_selectorELNS0_4arch9wavefront6targetE0EEEvT1_.kd
    .uniform_work_group_size: 1
    .uses_dynamic_stack: false
    .vgpr_count:     0
    .vgpr_spill_count: 0
    .wavefront_size: 32
    .workgroup_processor_mode: 1
  - .args:
      - .offset:         0
        .size:           136
        .value_kind:     by_value
    .group_segment_fixed_size: 0
    .kernarg_segment_align: 8
    .kernarg_segment_size: 136
    .language:       OpenCL C
    .language_version:
      - 2
      - 0
    .max_flat_workgroup_size: 256
    .name:           _ZN7rocprim17ROCPRIM_400000_NS6detail17trampoline_kernelINS0_14default_configENS1_27scan_by_key_config_selectorIidEEZZNS1_16scan_by_key_implILNS1_25lookback_scan_determinismE0ELb1ES3_N6thrust23THRUST_200600_302600_NS6detail15normal_iteratorINS9_10device_ptrIiEEEENSB_INSC_IdEEEESG_dNS9_4plusIvEENS9_8equal_toIvEEdEE10hipError_tPvRmT2_T3_T4_T5_mT6_T7_P12ihipStream_tbENKUlT_T0_E_clISt17integral_constantIbLb0EES11_EEDaSW_SX_EUlSW_E_NS1_11comp_targetILNS1_3genE10ELNS1_11target_archE1201ELNS1_3gpuE5ELNS1_3repE0EEENS1_30default_config_static_selectorELNS0_4arch9wavefront6targetE0EEEvT1_
    .private_segment_fixed_size: 0
    .sgpr_count:     0
    .sgpr_spill_count: 0
    .symbol:         _ZN7rocprim17ROCPRIM_400000_NS6detail17trampoline_kernelINS0_14default_configENS1_27scan_by_key_config_selectorIidEEZZNS1_16scan_by_key_implILNS1_25lookback_scan_determinismE0ELb1ES3_N6thrust23THRUST_200600_302600_NS6detail15normal_iteratorINS9_10device_ptrIiEEEENSB_INSC_IdEEEESG_dNS9_4plusIvEENS9_8equal_toIvEEdEE10hipError_tPvRmT2_T3_T4_T5_mT6_T7_P12ihipStream_tbENKUlT_T0_E_clISt17integral_constantIbLb0EES11_EEDaSW_SX_EUlSW_E_NS1_11comp_targetILNS1_3genE10ELNS1_11target_archE1201ELNS1_3gpuE5ELNS1_3repE0EEENS1_30default_config_static_selectorELNS0_4arch9wavefront6targetE0EEEvT1_.kd
    .uniform_work_group_size: 1
    .uses_dynamic_stack: false
    .vgpr_count:     0
    .vgpr_spill_count: 0
    .wavefront_size: 32
    .workgroup_processor_mode: 1
  - .args:
      - .offset:         0
        .size:           136
        .value_kind:     by_value
    .group_segment_fixed_size: 0
    .kernarg_segment_align: 8
    .kernarg_segment_size: 136
    .language:       OpenCL C
    .language_version:
      - 2
      - 0
    .max_flat_workgroup_size: 256
    .name:           _ZN7rocprim17ROCPRIM_400000_NS6detail17trampoline_kernelINS0_14default_configENS1_27scan_by_key_config_selectorIidEEZZNS1_16scan_by_key_implILNS1_25lookback_scan_determinismE0ELb1ES3_N6thrust23THRUST_200600_302600_NS6detail15normal_iteratorINS9_10device_ptrIiEEEENSB_INSC_IdEEEESG_dNS9_4plusIvEENS9_8equal_toIvEEdEE10hipError_tPvRmT2_T3_T4_T5_mT6_T7_P12ihipStream_tbENKUlT_T0_E_clISt17integral_constantIbLb0EES11_EEDaSW_SX_EUlSW_E_NS1_11comp_targetILNS1_3genE5ELNS1_11target_archE942ELNS1_3gpuE9ELNS1_3repE0EEENS1_30default_config_static_selectorELNS0_4arch9wavefront6targetE0EEEvT1_
    .private_segment_fixed_size: 0
    .sgpr_count:     0
    .sgpr_spill_count: 0
    .symbol:         _ZN7rocprim17ROCPRIM_400000_NS6detail17trampoline_kernelINS0_14default_configENS1_27scan_by_key_config_selectorIidEEZZNS1_16scan_by_key_implILNS1_25lookback_scan_determinismE0ELb1ES3_N6thrust23THRUST_200600_302600_NS6detail15normal_iteratorINS9_10device_ptrIiEEEENSB_INSC_IdEEEESG_dNS9_4plusIvEENS9_8equal_toIvEEdEE10hipError_tPvRmT2_T3_T4_T5_mT6_T7_P12ihipStream_tbENKUlT_T0_E_clISt17integral_constantIbLb0EES11_EEDaSW_SX_EUlSW_E_NS1_11comp_targetILNS1_3genE5ELNS1_11target_archE942ELNS1_3gpuE9ELNS1_3repE0EEENS1_30default_config_static_selectorELNS0_4arch9wavefront6targetE0EEEvT1_.kd
    .uniform_work_group_size: 1
    .uses_dynamic_stack: false
    .vgpr_count:     0
    .vgpr_spill_count: 0
    .wavefront_size: 32
    .workgroup_processor_mode: 1
  - .args:
      - .offset:         0
        .size:           136
        .value_kind:     by_value
    .group_segment_fixed_size: 0
    .kernarg_segment_align: 8
    .kernarg_segment_size: 136
    .language:       OpenCL C
    .language_version:
      - 2
      - 0
    .max_flat_workgroup_size: 64
    .name:           _ZN7rocprim17ROCPRIM_400000_NS6detail17trampoline_kernelINS0_14default_configENS1_27scan_by_key_config_selectorIidEEZZNS1_16scan_by_key_implILNS1_25lookback_scan_determinismE0ELb1ES3_N6thrust23THRUST_200600_302600_NS6detail15normal_iteratorINS9_10device_ptrIiEEEENSB_INSC_IdEEEESG_dNS9_4plusIvEENS9_8equal_toIvEEdEE10hipError_tPvRmT2_T3_T4_T5_mT6_T7_P12ihipStream_tbENKUlT_T0_E_clISt17integral_constantIbLb0EES11_EEDaSW_SX_EUlSW_E_NS1_11comp_targetILNS1_3genE4ELNS1_11target_archE910ELNS1_3gpuE8ELNS1_3repE0EEENS1_30default_config_static_selectorELNS0_4arch9wavefront6targetE0EEEvT1_
    .private_segment_fixed_size: 0
    .sgpr_count:     0
    .sgpr_spill_count: 0
    .symbol:         _ZN7rocprim17ROCPRIM_400000_NS6detail17trampoline_kernelINS0_14default_configENS1_27scan_by_key_config_selectorIidEEZZNS1_16scan_by_key_implILNS1_25lookback_scan_determinismE0ELb1ES3_N6thrust23THRUST_200600_302600_NS6detail15normal_iteratorINS9_10device_ptrIiEEEENSB_INSC_IdEEEESG_dNS9_4plusIvEENS9_8equal_toIvEEdEE10hipError_tPvRmT2_T3_T4_T5_mT6_T7_P12ihipStream_tbENKUlT_T0_E_clISt17integral_constantIbLb0EES11_EEDaSW_SX_EUlSW_E_NS1_11comp_targetILNS1_3genE4ELNS1_11target_archE910ELNS1_3gpuE8ELNS1_3repE0EEENS1_30default_config_static_selectorELNS0_4arch9wavefront6targetE0EEEvT1_.kd
    .uniform_work_group_size: 1
    .uses_dynamic_stack: false
    .vgpr_count:     0
    .vgpr_spill_count: 0
    .wavefront_size: 32
    .workgroup_processor_mode: 1
  - .args:
      - .offset:         0
        .size:           136
        .value_kind:     by_value
    .group_segment_fixed_size: 0
    .kernarg_segment_align: 8
    .kernarg_segment_size: 136
    .language:       OpenCL C
    .language_version:
      - 2
      - 0
    .max_flat_workgroup_size: 128
    .name:           _ZN7rocprim17ROCPRIM_400000_NS6detail17trampoline_kernelINS0_14default_configENS1_27scan_by_key_config_selectorIidEEZZNS1_16scan_by_key_implILNS1_25lookback_scan_determinismE0ELb1ES3_N6thrust23THRUST_200600_302600_NS6detail15normal_iteratorINS9_10device_ptrIiEEEENSB_INSC_IdEEEESG_dNS9_4plusIvEENS9_8equal_toIvEEdEE10hipError_tPvRmT2_T3_T4_T5_mT6_T7_P12ihipStream_tbENKUlT_T0_E_clISt17integral_constantIbLb0EES11_EEDaSW_SX_EUlSW_E_NS1_11comp_targetILNS1_3genE3ELNS1_11target_archE908ELNS1_3gpuE7ELNS1_3repE0EEENS1_30default_config_static_selectorELNS0_4arch9wavefront6targetE0EEEvT1_
    .private_segment_fixed_size: 0
    .sgpr_count:     0
    .sgpr_spill_count: 0
    .symbol:         _ZN7rocprim17ROCPRIM_400000_NS6detail17trampoline_kernelINS0_14default_configENS1_27scan_by_key_config_selectorIidEEZZNS1_16scan_by_key_implILNS1_25lookback_scan_determinismE0ELb1ES3_N6thrust23THRUST_200600_302600_NS6detail15normal_iteratorINS9_10device_ptrIiEEEENSB_INSC_IdEEEESG_dNS9_4plusIvEENS9_8equal_toIvEEdEE10hipError_tPvRmT2_T3_T4_T5_mT6_T7_P12ihipStream_tbENKUlT_T0_E_clISt17integral_constantIbLb0EES11_EEDaSW_SX_EUlSW_E_NS1_11comp_targetILNS1_3genE3ELNS1_11target_archE908ELNS1_3gpuE7ELNS1_3repE0EEENS1_30default_config_static_selectorELNS0_4arch9wavefront6targetE0EEEvT1_.kd
    .uniform_work_group_size: 1
    .uses_dynamic_stack: false
    .vgpr_count:     0
    .vgpr_spill_count: 0
    .wavefront_size: 32
    .workgroup_processor_mode: 1
  - .args:
      - .offset:         0
        .size:           136
        .value_kind:     by_value
    .group_segment_fixed_size: 0
    .kernarg_segment_align: 8
    .kernarg_segment_size: 136
    .language:       OpenCL C
    .language_version:
      - 2
      - 0
    .max_flat_workgroup_size: 64
    .name:           _ZN7rocprim17ROCPRIM_400000_NS6detail17trampoline_kernelINS0_14default_configENS1_27scan_by_key_config_selectorIidEEZZNS1_16scan_by_key_implILNS1_25lookback_scan_determinismE0ELb1ES3_N6thrust23THRUST_200600_302600_NS6detail15normal_iteratorINS9_10device_ptrIiEEEENSB_INSC_IdEEEESG_dNS9_4plusIvEENS9_8equal_toIvEEdEE10hipError_tPvRmT2_T3_T4_T5_mT6_T7_P12ihipStream_tbENKUlT_T0_E_clISt17integral_constantIbLb0EES11_EEDaSW_SX_EUlSW_E_NS1_11comp_targetILNS1_3genE2ELNS1_11target_archE906ELNS1_3gpuE6ELNS1_3repE0EEENS1_30default_config_static_selectorELNS0_4arch9wavefront6targetE0EEEvT1_
    .private_segment_fixed_size: 0
    .sgpr_count:     0
    .sgpr_spill_count: 0
    .symbol:         _ZN7rocprim17ROCPRIM_400000_NS6detail17trampoline_kernelINS0_14default_configENS1_27scan_by_key_config_selectorIidEEZZNS1_16scan_by_key_implILNS1_25lookback_scan_determinismE0ELb1ES3_N6thrust23THRUST_200600_302600_NS6detail15normal_iteratorINS9_10device_ptrIiEEEENSB_INSC_IdEEEESG_dNS9_4plusIvEENS9_8equal_toIvEEdEE10hipError_tPvRmT2_T3_T4_T5_mT6_T7_P12ihipStream_tbENKUlT_T0_E_clISt17integral_constantIbLb0EES11_EEDaSW_SX_EUlSW_E_NS1_11comp_targetILNS1_3genE2ELNS1_11target_archE906ELNS1_3gpuE6ELNS1_3repE0EEENS1_30default_config_static_selectorELNS0_4arch9wavefront6targetE0EEEvT1_.kd
    .uniform_work_group_size: 1
    .uses_dynamic_stack: false
    .vgpr_count:     0
    .vgpr_spill_count: 0
    .wavefront_size: 32
    .workgroup_processor_mode: 1
  - .args:
      - .offset:         0
        .size:           136
        .value_kind:     by_value
    .group_segment_fixed_size: 0
    .kernarg_segment_align: 8
    .kernarg_segment_size: 136
    .language:       OpenCL C
    .language_version:
      - 2
      - 0
    .max_flat_workgroup_size: 256
    .name:           _ZN7rocprim17ROCPRIM_400000_NS6detail17trampoline_kernelINS0_14default_configENS1_27scan_by_key_config_selectorIidEEZZNS1_16scan_by_key_implILNS1_25lookback_scan_determinismE0ELb1ES3_N6thrust23THRUST_200600_302600_NS6detail15normal_iteratorINS9_10device_ptrIiEEEENSB_INSC_IdEEEESG_dNS9_4plusIvEENS9_8equal_toIvEEdEE10hipError_tPvRmT2_T3_T4_T5_mT6_T7_P12ihipStream_tbENKUlT_T0_E_clISt17integral_constantIbLb0EES11_EEDaSW_SX_EUlSW_E_NS1_11comp_targetILNS1_3genE10ELNS1_11target_archE1200ELNS1_3gpuE4ELNS1_3repE0EEENS1_30default_config_static_selectorELNS0_4arch9wavefront6targetE0EEEvT1_
    .private_segment_fixed_size: 0
    .sgpr_count:     0
    .sgpr_spill_count: 0
    .symbol:         _ZN7rocprim17ROCPRIM_400000_NS6detail17trampoline_kernelINS0_14default_configENS1_27scan_by_key_config_selectorIidEEZZNS1_16scan_by_key_implILNS1_25lookback_scan_determinismE0ELb1ES3_N6thrust23THRUST_200600_302600_NS6detail15normal_iteratorINS9_10device_ptrIiEEEENSB_INSC_IdEEEESG_dNS9_4plusIvEENS9_8equal_toIvEEdEE10hipError_tPvRmT2_T3_T4_T5_mT6_T7_P12ihipStream_tbENKUlT_T0_E_clISt17integral_constantIbLb0EES11_EEDaSW_SX_EUlSW_E_NS1_11comp_targetILNS1_3genE10ELNS1_11target_archE1200ELNS1_3gpuE4ELNS1_3repE0EEENS1_30default_config_static_selectorELNS0_4arch9wavefront6targetE0EEEvT1_.kd
    .uniform_work_group_size: 1
    .uses_dynamic_stack: false
    .vgpr_count:     0
    .vgpr_spill_count: 0
    .wavefront_size: 32
    .workgroup_processor_mode: 1
  - .args:
      - .offset:         0
        .size:           136
        .value_kind:     by_value
    .group_segment_fixed_size: 0
    .kernarg_segment_align: 8
    .kernarg_segment_size: 136
    .language:       OpenCL C
    .language_version:
      - 2
      - 0
    .max_flat_workgroup_size: 256
    .name:           _ZN7rocprim17ROCPRIM_400000_NS6detail17trampoline_kernelINS0_14default_configENS1_27scan_by_key_config_selectorIidEEZZNS1_16scan_by_key_implILNS1_25lookback_scan_determinismE0ELb1ES3_N6thrust23THRUST_200600_302600_NS6detail15normal_iteratorINS9_10device_ptrIiEEEENSB_INSC_IdEEEESG_dNS9_4plusIvEENS9_8equal_toIvEEdEE10hipError_tPvRmT2_T3_T4_T5_mT6_T7_P12ihipStream_tbENKUlT_T0_E_clISt17integral_constantIbLb0EES11_EEDaSW_SX_EUlSW_E_NS1_11comp_targetILNS1_3genE9ELNS1_11target_archE1100ELNS1_3gpuE3ELNS1_3repE0EEENS1_30default_config_static_selectorELNS0_4arch9wavefront6targetE0EEEvT1_
    .private_segment_fixed_size: 0
    .sgpr_count:     0
    .sgpr_spill_count: 0
    .symbol:         _ZN7rocprim17ROCPRIM_400000_NS6detail17trampoline_kernelINS0_14default_configENS1_27scan_by_key_config_selectorIidEEZZNS1_16scan_by_key_implILNS1_25lookback_scan_determinismE0ELb1ES3_N6thrust23THRUST_200600_302600_NS6detail15normal_iteratorINS9_10device_ptrIiEEEENSB_INSC_IdEEEESG_dNS9_4plusIvEENS9_8equal_toIvEEdEE10hipError_tPvRmT2_T3_T4_T5_mT6_T7_P12ihipStream_tbENKUlT_T0_E_clISt17integral_constantIbLb0EES11_EEDaSW_SX_EUlSW_E_NS1_11comp_targetILNS1_3genE9ELNS1_11target_archE1100ELNS1_3gpuE3ELNS1_3repE0EEENS1_30default_config_static_selectorELNS0_4arch9wavefront6targetE0EEEvT1_.kd
    .uniform_work_group_size: 1
    .uses_dynamic_stack: false
    .vgpr_count:     0
    .vgpr_spill_count: 0
    .wavefront_size: 32
    .workgroup_processor_mode: 1
  - .args:
      - .offset:         0
        .size:           136
        .value_kind:     by_value
    .group_segment_fixed_size: 6144
    .kernarg_segment_align: 8
    .kernarg_segment_size: 136
    .language:       OpenCL C
    .language_version:
      - 2
      - 0
    .max_flat_workgroup_size: 256
    .name:           _ZN7rocprim17ROCPRIM_400000_NS6detail17trampoline_kernelINS0_14default_configENS1_27scan_by_key_config_selectorIidEEZZNS1_16scan_by_key_implILNS1_25lookback_scan_determinismE0ELb1ES3_N6thrust23THRUST_200600_302600_NS6detail15normal_iteratorINS9_10device_ptrIiEEEENSB_INSC_IdEEEESG_dNS9_4plusIvEENS9_8equal_toIvEEdEE10hipError_tPvRmT2_T3_T4_T5_mT6_T7_P12ihipStream_tbENKUlT_T0_E_clISt17integral_constantIbLb0EES11_EEDaSW_SX_EUlSW_E_NS1_11comp_targetILNS1_3genE8ELNS1_11target_archE1030ELNS1_3gpuE2ELNS1_3repE0EEENS1_30default_config_static_selectorELNS0_4arch9wavefront6targetE0EEEvT1_
    .private_segment_fixed_size: 0
    .sgpr_count:     38
    .sgpr_spill_count: 0
    .symbol:         _ZN7rocprim17ROCPRIM_400000_NS6detail17trampoline_kernelINS0_14default_configENS1_27scan_by_key_config_selectorIidEEZZNS1_16scan_by_key_implILNS1_25lookback_scan_determinismE0ELb1ES3_N6thrust23THRUST_200600_302600_NS6detail15normal_iteratorINS9_10device_ptrIiEEEENSB_INSC_IdEEEESG_dNS9_4plusIvEENS9_8equal_toIvEEdEE10hipError_tPvRmT2_T3_T4_T5_mT6_T7_P12ihipStream_tbENKUlT_T0_E_clISt17integral_constantIbLb0EES11_EEDaSW_SX_EUlSW_E_NS1_11comp_targetILNS1_3genE8ELNS1_11target_archE1030ELNS1_3gpuE2ELNS1_3repE0EEENS1_30default_config_static_selectorELNS0_4arch9wavefront6targetE0EEEvT1_.kd
    .uniform_work_group_size: 1
    .uses_dynamic_stack: false
    .vgpr_count:     50
    .vgpr_spill_count: 0
    .wavefront_size: 32
    .workgroup_processor_mode: 1
  - .args:
      - .offset:         0
        .size:           136
        .value_kind:     by_value
    .group_segment_fixed_size: 0
    .kernarg_segment_align: 8
    .kernarg_segment_size: 136
    .language:       OpenCL C
    .language_version:
      - 2
      - 0
    .max_flat_workgroup_size: 128
    .name:           _ZN7rocprim17ROCPRIM_400000_NS6detail17trampoline_kernelINS0_14default_configENS1_27scan_by_key_config_selectorIidEEZZNS1_16scan_by_key_implILNS1_25lookback_scan_determinismE0ELb1ES3_N6thrust23THRUST_200600_302600_NS6detail15normal_iteratorINS9_10device_ptrIiEEEENSB_INSC_IdEEEESG_dNS9_4plusIvEENS9_8equal_toIvEEdEE10hipError_tPvRmT2_T3_T4_T5_mT6_T7_P12ihipStream_tbENKUlT_T0_E_clISt17integral_constantIbLb1EES11_EEDaSW_SX_EUlSW_E_NS1_11comp_targetILNS1_3genE0ELNS1_11target_archE4294967295ELNS1_3gpuE0ELNS1_3repE0EEENS1_30default_config_static_selectorELNS0_4arch9wavefront6targetE0EEEvT1_
    .private_segment_fixed_size: 0
    .sgpr_count:     0
    .sgpr_spill_count: 0
    .symbol:         _ZN7rocprim17ROCPRIM_400000_NS6detail17trampoline_kernelINS0_14default_configENS1_27scan_by_key_config_selectorIidEEZZNS1_16scan_by_key_implILNS1_25lookback_scan_determinismE0ELb1ES3_N6thrust23THRUST_200600_302600_NS6detail15normal_iteratorINS9_10device_ptrIiEEEENSB_INSC_IdEEEESG_dNS9_4plusIvEENS9_8equal_toIvEEdEE10hipError_tPvRmT2_T3_T4_T5_mT6_T7_P12ihipStream_tbENKUlT_T0_E_clISt17integral_constantIbLb1EES11_EEDaSW_SX_EUlSW_E_NS1_11comp_targetILNS1_3genE0ELNS1_11target_archE4294967295ELNS1_3gpuE0ELNS1_3repE0EEENS1_30default_config_static_selectorELNS0_4arch9wavefront6targetE0EEEvT1_.kd
    .uniform_work_group_size: 1
    .uses_dynamic_stack: false
    .vgpr_count:     0
    .vgpr_spill_count: 0
    .wavefront_size: 32
    .workgroup_processor_mode: 1
  - .args:
      - .offset:         0
        .size:           136
        .value_kind:     by_value
    .group_segment_fixed_size: 0
    .kernarg_segment_align: 8
    .kernarg_segment_size: 136
    .language:       OpenCL C
    .language_version:
      - 2
      - 0
    .max_flat_workgroup_size: 256
    .name:           _ZN7rocprim17ROCPRIM_400000_NS6detail17trampoline_kernelINS0_14default_configENS1_27scan_by_key_config_selectorIidEEZZNS1_16scan_by_key_implILNS1_25lookback_scan_determinismE0ELb1ES3_N6thrust23THRUST_200600_302600_NS6detail15normal_iteratorINS9_10device_ptrIiEEEENSB_INSC_IdEEEESG_dNS9_4plusIvEENS9_8equal_toIvEEdEE10hipError_tPvRmT2_T3_T4_T5_mT6_T7_P12ihipStream_tbENKUlT_T0_E_clISt17integral_constantIbLb1EES11_EEDaSW_SX_EUlSW_E_NS1_11comp_targetILNS1_3genE10ELNS1_11target_archE1201ELNS1_3gpuE5ELNS1_3repE0EEENS1_30default_config_static_selectorELNS0_4arch9wavefront6targetE0EEEvT1_
    .private_segment_fixed_size: 0
    .sgpr_count:     0
    .sgpr_spill_count: 0
    .symbol:         _ZN7rocprim17ROCPRIM_400000_NS6detail17trampoline_kernelINS0_14default_configENS1_27scan_by_key_config_selectorIidEEZZNS1_16scan_by_key_implILNS1_25lookback_scan_determinismE0ELb1ES3_N6thrust23THRUST_200600_302600_NS6detail15normal_iteratorINS9_10device_ptrIiEEEENSB_INSC_IdEEEESG_dNS9_4plusIvEENS9_8equal_toIvEEdEE10hipError_tPvRmT2_T3_T4_T5_mT6_T7_P12ihipStream_tbENKUlT_T0_E_clISt17integral_constantIbLb1EES11_EEDaSW_SX_EUlSW_E_NS1_11comp_targetILNS1_3genE10ELNS1_11target_archE1201ELNS1_3gpuE5ELNS1_3repE0EEENS1_30default_config_static_selectorELNS0_4arch9wavefront6targetE0EEEvT1_.kd
    .uniform_work_group_size: 1
    .uses_dynamic_stack: false
    .vgpr_count:     0
    .vgpr_spill_count: 0
    .wavefront_size: 32
    .workgroup_processor_mode: 1
  - .args:
      - .offset:         0
        .size:           136
        .value_kind:     by_value
    .group_segment_fixed_size: 0
    .kernarg_segment_align: 8
    .kernarg_segment_size: 136
    .language:       OpenCL C
    .language_version:
      - 2
      - 0
    .max_flat_workgroup_size: 256
    .name:           _ZN7rocprim17ROCPRIM_400000_NS6detail17trampoline_kernelINS0_14default_configENS1_27scan_by_key_config_selectorIidEEZZNS1_16scan_by_key_implILNS1_25lookback_scan_determinismE0ELb1ES3_N6thrust23THRUST_200600_302600_NS6detail15normal_iteratorINS9_10device_ptrIiEEEENSB_INSC_IdEEEESG_dNS9_4plusIvEENS9_8equal_toIvEEdEE10hipError_tPvRmT2_T3_T4_T5_mT6_T7_P12ihipStream_tbENKUlT_T0_E_clISt17integral_constantIbLb1EES11_EEDaSW_SX_EUlSW_E_NS1_11comp_targetILNS1_3genE5ELNS1_11target_archE942ELNS1_3gpuE9ELNS1_3repE0EEENS1_30default_config_static_selectorELNS0_4arch9wavefront6targetE0EEEvT1_
    .private_segment_fixed_size: 0
    .sgpr_count:     0
    .sgpr_spill_count: 0
    .symbol:         _ZN7rocprim17ROCPRIM_400000_NS6detail17trampoline_kernelINS0_14default_configENS1_27scan_by_key_config_selectorIidEEZZNS1_16scan_by_key_implILNS1_25lookback_scan_determinismE0ELb1ES3_N6thrust23THRUST_200600_302600_NS6detail15normal_iteratorINS9_10device_ptrIiEEEENSB_INSC_IdEEEESG_dNS9_4plusIvEENS9_8equal_toIvEEdEE10hipError_tPvRmT2_T3_T4_T5_mT6_T7_P12ihipStream_tbENKUlT_T0_E_clISt17integral_constantIbLb1EES11_EEDaSW_SX_EUlSW_E_NS1_11comp_targetILNS1_3genE5ELNS1_11target_archE942ELNS1_3gpuE9ELNS1_3repE0EEENS1_30default_config_static_selectorELNS0_4arch9wavefront6targetE0EEEvT1_.kd
    .uniform_work_group_size: 1
    .uses_dynamic_stack: false
    .vgpr_count:     0
    .vgpr_spill_count: 0
    .wavefront_size: 32
    .workgroup_processor_mode: 1
  - .args:
      - .offset:         0
        .size:           136
        .value_kind:     by_value
    .group_segment_fixed_size: 0
    .kernarg_segment_align: 8
    .kernarg_segment_size: 136
    .language:       OpenCL C
    .language_version:
      - 2
      - 0
    .max_flat_workgroup_size: 64
    .name:           _ZN7rocprim17ROCPRIM_400000_NS6detail17trampoline_kernelINS0_14default_configENS1_27scan_by_key_config_selectorIidEEZZNS1_16scan_by_key_implILNS1_25lookback_scan_determinismE0ELb1ES3_N6thrust23THRUST_200600_302600_NS6detail15normal_iteratorINS9_10device_ptrIiEEEENSB_INSC_IdEEEESG_dNS9_4plusIvEENS9_8equal_toIvEEdEE10hipError_tPvRmT2_T3_T4_T5_mT6_T7_P12ihipStream_tbENKUlT_T0_E_clISt17integral_constantIbLb1EES11_EEDaSW_SX_EUlSW_E_NS1_11comp_targetILNS1_3genE4ELNS1_11target_archE910ELNS1_3gpuE8ELNS1_3repE0EEENS1_30default_config_static_selectorELNS0_4arch9wavefront6targetE0EEEvT1_
    .private_segment_fixed_size: 0
    .sgpr_count:     0
    .sgpr_spill_count: 0
    .symbol:         _ZN7rocprim17ROCPRIM_400000_NS6detail17trampoline_kernelINS0_14default_configENS1_27scan_by_key_config_selectorIidEEZZNS1_16scan_by_key_implILNS1_25lookback_scan_determinismE0ELb1ES3_N6thrust23THRUST_200600_302600_NS6detail15normal_iteratorINS9_10device_ptrIiEEEENSB_INSC_IdEEEESG_dNS9_4plusIvEENS9_8equal_toIvEEdEE10hipError_tPvRmT2_T3_T4_T5_mT6_T7_P12ihipStream_tbENKUlT_T0_E_clISt17integral_constantIbLb1EES11_EEDaSW_SX_EUlSW_E_NS1_11comp_targetILNS1_3genE4ELNS1_11target_archE910ELNS1_3gpuE8ELNS1_3repE0EEENS1_30default_config_static_selectorELNS0_4arch9wavefront6targetE0EEEvT1_.kd
    .uniform_work_group_size: 1
    .uses_dynamic_stack: false
    .vgpr_count:     0
    .vgpr_spill_count: 0
    .wavefront_size: 32
    .workgroup_processor_mode: 1
  - .args:
      - .offset:         0
        .size:           136
        .value_kind:     by_value
    .group_segment_fixed_size: 0
    .kernarg_segment_align: 8
    .kernarg_segment_size: 136
    .language:       OpenCL C
    .language_version:
      - 2
      - 0
    .max_flat_workgroup_size: 128
    .name:           _ZN7rocprim17ROCPRIM_400000_NS6detail17trampoline_kernelINS0_14default_configENS1_27scan_by_key_config_selectorIidEEZZNS1_16scan_by_key_implILNS1_25lookback_scan_determinismE0ELb1ES3_N6thrust23THRUST_200600_302600_NS6detail15normal_iteratorINS9_10device_ptrIiEEEENSB_INSC_IdEEEESG_dNS9_4plusIvEENS9_8equal_toIvEEdEE10hipError_tPvRmT2_T3_T4_T5_mT6_T7_P12ihipStream_tbENKUlT_T0_E_clISt17integral_constantIbLb1EES11_EEDaSW_SX_EUlSW_E_NS1_11comp_targetILNS1_3genE3ELNS1_11target_archE908ELNS1_3gpuE7ELNS1_3repE0EEENS1_30default_config_static_selectorELNS0_4arch9wavefront6targetE0EEEvT1_
    .private_segment_fixed_size: 0
    .sgpr_count:     0
    .sgpr_spill_count: 0
    .symbol:         _ZN7rocprim17ROCPRIM_400000_NS6detail17trampoline_kernelINS0_14default_configENS1_27scan_by_key_config_selectorIidEEZZNS1_16scan_by_key_implILNS1_25lookback_scan_determinismE0ELb1ES3_N6thrust23THRUST_200600_302600_NS6detail15normal_iteratorINS9_10device_ptrIiEEEENSB_INSC_IdEEEESG_dNS9_4plusIvEENS9_8equal_toIvEEdEE10hipError_tPvRmT2_T3_T4_T5_mT6_T7_P12ihipStream_tbENKUlT_T0_E_clISt17integral_constantIbLb1EES11_EEDaSW_SX_EUlSW_E_NS1_11comp_targetILNS1_3genE3ELNS1_11target_archE908ELNS1_3gpuE7ELNS1_3repE0EEENS1_30default_config_static_selectorELNS0_4arch9wavefront6targetE0EEEvT1_.kd
    .uniform_work_group_size: 1
    .uses_dynamic_stack: false
    .vgpr_count:     0
    .vgpr_spill_count: 0
    .wavefront_size: 32
    .workgroup_processor_mode: 1
  - .args:
      - .offset:         0
        .size:           136
        .value_kind:     by_value
    .group_segment_fixed_size: 0
    .kernarg_segment_align: 8
    .kernarg_segment_size: 136
    .language:       OpenCL C
    .language_version:
      - 2
      - 0
    .max_flat_workgroup_size: 64
    .name:           _ZN7rocprim17ROCPRIM_400000_NS6detail17trampoline_kernelINS0_14default_configENS1_27scan_by_key_config_selectorIidEEZZNS1_16scan_by_key_implILNS1_25lookback_scan_determinismE0ELb1ES3_N6thrust23THRUST_200600_302600_NS6detail15normal_iteratorINS9_10device_ptrIiEEEENSB_INSC_IdEEEESG_dNS9_4plusIvEENS9_8equal_toIvEEdEE10hipError_tPvRmT2_T3_T4_T5_mT6_T7_P12ihipStream_tbENKUlT_T0_E_clISt17integral_constantIbLb1EES11_EEDaSW_SX_EUlSW_E_NS1_11comp_targetILNS1_3genE2ELNS1_11target_archE906ELNS1_3gpuE6ELNS1_3repE0EEENS1_30default_config_static_selectorELNS0_4arch9wavefront6targetE0EEEvT1_
    .private_segment_fixed_size: 0
    .sgpr_count:     0
    .sgpr_spill_count: 0
    .symbol:         _ZN7rocprim17ROCPRIM_400000_NS6detail17trampoline_kernelINS0_14default_configENS1_27scan_by_key_config_selectorIidEEZZNS1_16scan_by_key_implILNS1_25lookback_scan_determinismE0ELb1ES3_N6thrust23THRUST_200600_302600_NS6detail15normal_iteratorINS9_10device_ptrIiEEEENSB_INSC_IdEEEESG_dNS9_4plusIvEENS9_8equal_toIvEEdEE10hipError_tPvRmT2_T3_T4_T5_mT6_T7_P12ihipStream_tbENKUlT_T0_E_clISt17integral_constantIbLb1EES11_EEDaSW_SX_EUlSW_E_NS1_11comp_targetILNS1_3genE2ELNS1_11target_archE906ELNS1_3gpuE6ELNS1_3repE0EEENS1_30default_config_static_selectorELNS0_4arch9wavefront6targetE0EEEvT1_.kd
    .uniform_work_group_size: 1
    .uses_dynamic_stack: false
    .vgpr_count:     0
    .vgpr_spill_count: 0
    .wavefront_size: 32
    .workgroup_processor_mode: 1
  - .args:
      - .offset:         0
        .size:           136
        .value_kind:     by_value
    .group_segment_fixed_size: 0
    .kernarg_segment_align: 8
    .kernarg_segment_size: 136
    .language:       OpenCL C
    .language_version:
      - 2
      - 0
    .max_flat_workgroup_size: 256
    .name:           _ZN7rocprim17ROCPRIM_400000_NS6detail17trampoline_kernelINS0_14default_configENS1_27scan_by_key_config_selectorIidEEZZNS1_16scan_by_key_implILNS1_25lookback_scan_determinismE0ELb1ES3_N6thrust23THRUST_200600_302600_NS6detail15normal_iteratorINS9_10device_ptrIiEEEENSB_INSC_IdEEEESG_dNS9_4plusIvEENS9_8equal_toIvEEdEE10hipError_tPvRmT2_T3_T4_T5_mT6_T7_P12ihipStream_tbENKUlT_T0_E_clISt17integral_constantIbLb1EES11_EEDaSW_SX_EUlSW_E_NS1_11comp_targetILNS1_3genE10ELNS1_11target_archE1200ELNS1_3gpuE4ELNS1_3repE0EEENS1_30default_config_static_selectorELNS0_4arch9wavefront6targetE0EEEvT1_
    .private_segment_fixed_size: 0
    .sgpr_count:     0
    .sgpr_spill_count: 0
    .symbol:         _ZN7rocprim17ROCPRIM_400000_NS6detail17trampoline_kernelINS0_14default_configENS1_27scan_by_key_config_selectorIidEEZZNS1_16scan_by_key_implILNS1_25lookback_scan_determinismE0ELb1ES3_N6thrust23THRUST_200600_302600_NS6detail15normal_iteratorINS9_10device_ptrIiEEEENSB_INSC_IdEEEESG_dNS9_4plusIvEENS9_8equal_toIvEEdEE10hipError_tPvRmT2_T3_T4_T5_mT6_T7_P12ihipStream_tbENKUlT_T0_E_clISt17integral_constantIbLb1EES11_EEDaSW_SX_EUlSW_E_NS1_11comp_targetILNS1_3genE10ELNS1_11target_archE1200ELNS1_3gpuE4ELNS1_3repE0EEENS1_30default_config_static_selectorELNS0_4arch9wavefront6targetE0EEEvT1_.kd
    .uniform_work_group_size: 1
    .uses_dynamic_stack: false
    .vgpr_count:     0
    .vgpr_spill_count: 0
    .wavefront_size: 32
    .workgroup_processor_mode: 1
  - .args:
      - .offset:         0
        .size:           136
        .value_kind:     by_value
    .group_segment_fixed_size: 0
    .kernarg_segment_align: 8
    .kernarg_segment_size: 136
    .language:       OpenCL C
    .language_version:
      - 2
      - 0
    .max_flat_workgroup_size: 256
    .name:           _ZN7rocprim17ROCPRIM_400000_NS6detail17trampoline_kernelINS0_14default_configENS1_27scan_by_key_config_selectorIidEEZZNS1_16scan_by_key_implILNS1_25lookback_scan_determinismE0ELb1ES3_N6thrust23THRUST_200600_302600_NS6detail15normal_iteratorINS9_10device_ptrIiEEEENSB_INSC_IdEEEESG_dNS9_4plusIvEENS9_8equal_toIvEEdEE10hipError_tPvRmT2_T3_T4_T5_mT6_T7_P12ihipStream_tbENKUlT_T0_E_clISt17integral_constantIbLb1EES11_EEDaSW_SX_EUlSW_E_NS1_11comp_targetILNS1_3genE9ELNS1_11target_archE1100ELNS1_3gpuE3ELNS1_3repE0EEENS1_30default_config_static_selectorELNS0_4arch9wavefront6targetE0EEEvT1_
    .private_segment_fixed_size: 0
    .sgpr_count:     0
    .sgpr_spill_count: 0
    .symbol:         _ZN7rocprim17ROCPRIM_400000_NS6detail17trampoline_kernelINS0_14default_configENS1_27scan_by_key_config_selectorIidEEZZNS1_16scan_by_key_implILNS1_25lookback_scan_determinismE0ELb1ES3_N6thrust23THRUST_200600_302600_NS6detail15normal_iteratorINS9_10device_ptrIiEEEENSB_INSC_IdEEEESG_dNS9_4plusIvEENS9_8equal_toIvEEdEE10hipError_tPvRmT2_T3_T4_T5_mT6_T7_P12ihipStream_tbENKUlT_T0_E_clISt17integral_constantIbLb1EES11_EEDaSW_SX_EUlSW_E_NS1_11comp_targetILNS1_3genE9ELNS1_11target_archE1100ELNS1_3gpuE3ELNS1_3repE0EEENS1_30default_config_static_selectorELNS0_4arch9wavefront6targetE0EEEvT1_.kd
    .uniform_work_group_size: 1
    .uses_dynamic_stack: false
    .vgpr_count:     0
    .vgpr_spill_count: 0
    .wavefront_size: 32
    .workgroup_processor_mode: 1
  - .args:
      - .offset:         0
        .size:           136
        .value_kind:     by_value
    .group_segment_fixed_size: 0
    .kernarg_segment_align: 8
    .kernarg_segment_size: 136
    .language:       OpenCL C
    .language_version:
      - 2
      - 0
    .max_flat_workgroup_size: 256
    .name:           _ZN7rocprim17ROCPRIM_400000_NS6detail17trampoline_kernelINS0_14default_configENS1_27scan_by_key_config_selectorIidEEZZNS1_16scan_by_key_implILNS1_25lookback_scan_determinismE0ELb1ES3_N6thrust23THRUST_200600_302600_NS6detail15normal_iteratorINS9_10device_ptrIiEEEENSB_INSC_IdEEEESG_dNS9_4plusIvEENS9_8equal_toIvEEdEE10hipError_tPvRmT2_T3_T4_T5_mT6_T7_P12ihipStream_tbENKUlT_T0_E_clISt17integral_constantIbLb1EES11_EEDaSW_SX_EUlSW_E_NS1_11comp_targetILNS1_3genE8ELNS1_11target_archE1030ELNS1_3gpuE2ELNS1_3repE0EEENS1_30default_config_static_selectorELNS0_4arch9wavefront6targetE0EEEvT1_
    .private_segment_fixed_size: 0
    .sgpr_count:     0
    .sgpr_spill_count: 0
    .symbol:         _ZN7rocprim17ROCPRIM_400000_NS6detail17trampoline_kernelINS0_14default_configENS1_27scan_by_key_config_selectorIidEEZZNS1_16scan_by_key_implILNS1_25lookback_scan_determinismE0ELb1ES3_N6thrust23THRUST_200600_302600_NS6detail15normal_iteratorINS9_10device_ptrIiEEEENSB_INSC_IdEEEESG_dNS9_4plusIvEENS9_8equal_toIvEEdEE10hipError_tPvRmT2_T3_T4_T5_mT6_T7_P12ihipStream_tbENKUlT_T0_E_clISt17integral_constantIbLb1EES11_EEDaSW_SX_EUlSW_E_NS1_11comp_targetILNS1_3genE8ELNS1_11target_archE1030ELNS1_3gpuE2ELNS1_3repE0EEENS1_30default_config_static_selectorELNS0_4arch9wavefront6targetE0EEEvT1_.kd
    .uniform_work_group_size: 1
    .uses_dynamic_stack: false
    .vgpr_count:     0
    .vgpr_spill_count: 0
    .wavefront_size: 32
    .workgroup_processor_mode: 1
  - .args:
      - .offset:         0
        .size:           136
        .value_kind:     by_value
    .group_segment_fixed_size: 0
    .kernarg_segment_align: 8
    .kernarg_segment_size: 136
    .language:       OpenCL C
    .language_version:
      - 2
      - 0
    .max_flat_workgroup_size: 128
    .name:           _ZN7rocprim17ROCPRIM_400000_NS6detail17trampoline_kernelINS0_14default_configENS1_27scan_by_key_config_selectorIidEEZZNS1_16scan_by_key_implILNS1_25lookback_scan_determinismE0ELb1ES3_N6thrust23THRUST_200600_302600_NS6detail15normal_iteratorINS9_10device_ptrIiEEEENSB_INSC_IdEEEESG_dNS9_4plusIvEENS9_8equal_toIvEEdEE10hipError_tPvRmT2_T3_T4_T5_mT6_T7_P12ihipStream_tbENKUlT_T0_E_clISt17integral_constantIbLb1EES10_IbLb0EEEEDaSW_SX_EUlSW_E_NS1_11comp_targetILNS1_3genE0ELNS1_11target_archE4294967295ELNS1_3gpuE0ELNS1_3repE0EEENS1_30default_config_static_selectorELNS0_4arch9wavefront6targetE0EEEvT1_
    .private_segment_fixed_size: 0
    .sgpr_count:     0
    .sgpr_spill_count: 0
    .symbol:         _ZN7rocprim17ROCPRIM_400000_NS6detail17trampoline_kernelINS0_14default_configENS1_27scan_by_key_config_selectorIidEEZZNS1_16scan_by_key_implILNS1_25lookback_scan_determinismE0ELb1ES3_N6thrust23THRUST_200600_302600_NS6detail15normal_iteratorINS9_10device_ptrIiEEEENSB_INSC_IdEEEESG_dNS9_4plusIvEENS9_8equal_toIvEEdEE10hipError_tPvRmT2_T3_T4_T5_mT6_T7_P12ihipStream_tbENKUlT_T0_E_clISt17integral_constantIbLb1EES10_IbLb0EEEEDaSW_SX_EUlSW_E_NS1_11comp_targetILNS1_3genE0ELNS1_11target_archE4294967295ELNS1_3gpuE0ELNS1_3repE0EEENS1_30default_config_static_selectorELNS0_4arch9wavefront6targetE0EEEvT1_.kd
    .uniform_work_group_size: 1
    .uses_dynamic_stack: false
    .vgpr_count:     0
    .vgpr_spill_count: 0
    .wavefront_size: 32
    .workgroup_processor_mode: 1
  - .args:
      - .offset:         0
        .size:           136
        .value_kind:     by_value
    .group_segment_fixed_size: 0
    .kernarg_segment_align: 8
    .kernarg_segment_size: 136
    .language:       OpenCL C
    .language_version:
      - 2
      - 0
    .max_flat_workgroup_size: 256
    .name:           _ZN7rocprim17ROCPRIM_400000_NS6detail17trampoline_kernelINS0_14default_configENS1_27scan_by_key_config_selectorIidEEZZNS1_16scan_by_key_implILNS1_25lookback_scan_determinismE0ELb1ES3_N6thrust23THRUST_200600_302600_NS6detail15normal_iteratorINS9_10device_ptrIiEEEENSB_INSC_IdEEEESG_dNS9_4plusIvEENS9_8equal_toIvEEdEE10hipError_tPvRmT2_T3_T4_T5_mT6_T7_P12ihipStream_tbENKUlT_T0_E_clISt17integral_constantIbLb1EES10_IbLb0EEEEDaSW_SX_EUlSW_E_NS1_11comp_targetILNS1_3genE10ELNS1_11target_archE1201ELNS1_3gpuE5ELNS1_3repE0EEENS1_30default_config_static_selectorELNS0_4arch9wavefront6targetE0EEEvT1_
    .private_segment_fixed_size: 0
    .sgpr_count:     0
    .sgpr_spill_count: 0
    .symbol:         _ZN7rocprim17ROCPRIM_400000_NS6detail17trampoline_kernelINS0_14default_configENS1_27scan_by_key_config_selectorIidEEZZNS1_16scan_by_key_implILNS1_25lookback_scan_determinismE0ELb1ES3_N6thrust23THRUST_200600_302600_NS6detail15normal_iteratorINS9_10device_ptrIiEEEENSB_INSC_IdEEEESG_dNS9_4plusIvEENS9_8equal_toIvEEdEE10hipError_tPvRmT2_T3_T4_T5_mT6_T7_P12ihipStream_tbENKUlT_T0_E_clISt17integral_constantIbLb1EES10_IbLb0EEEEDaSW_SX_EUlSW_E_NS1_11comp_targetILNS1_3genE10ELNS1_11target_archE1201ELNS1_3gpuE5ELNS1_3repE0EEENS1_30default_config_static_selectorELNS0_4arch9wavefront6targetE0EEEvT1_.kd
    .uniform_work_group_size: 1
    .uses_dynamic_stack: false
    .vgpr_count:     0
    .vgpr_spill_count: 0
    .wavefront_size: 32
    .workgroup_processor_mode: 1
  - .args:
      - .offset:         0
        .size:           136
        .value_kind:     by_value
    .group_segment_fixed_size: 0
    .kernarg_segment_align: 8
    .kernarg_segment_size: 136
    .language:       OpenCL C
    .language_version:
      - 2
      - 0
    .max_flat_workgroup_size: 256
    .name:           _ZN7rocprim17ROCPRIM_400000_NS6detail17trampoline_kernelINS0_14default_configENS1_27scan_by_key_config_selectorIidEEZZNS1_16scan_by_key_implILNS1_25lookback_scan_determinismE0ELb1ES3_N6thrust23THRUST_200600_302600_NS6detail15normal_iteratorINS9_10device_ptrIiEEEENSB_INSC_IdEEEESG_dNS9_4plusIvEENS9_8equal_toIvEEdEE10hipError_tPvRmT2_T3_T4_T5_mT6_T7_P12ihipStream_tbENKUlT_T0_E_clISt17integral_constantIbLb1EES10_IbLb0EEEEDaSW_SX_EUlSW_E_NS1_11comp_targetILNS1_3genE5ELNS1_11target_archE942ELNS1_3gpuE9ELNS1_3repE0EEENS1_30default_config_static_selectorELNS0_4arch9wavefront6targetE0EEEvT1_
    .private_segment_fixed_size: 0
    .sgpr_count:     0
    .sgpr_spill_count: 0
    .symbol:         _ZN7rocprim17ROCPRIM_400000_NS6detail17trampoline_kernelINS0_14default_configENS1_27scan_by_key_config_selectorIidEEZZNS1_16scan_by_key_implILNS1_25lookback_scan_determinismE0ELb1ES3_N6thrust23THRUST_200600_302600_NS6detail15normal_iteratorINS9_10device_ptrIiEEEENSB_INSC_IdEEEESG_dNS9_4plusIvEENS9_8equal_toIvEEdEE10hipError_tPvRmT2_T3_T4_T5_mT6_T7_P12ihipStream_tbENKUlT_T0_E_clISt17integral_constantIbLb1EES10_IbLb0EEEEDaSW_SX_EUlSW_E_NS1_11comp_targetILNS1_3genE5ELNS1_11target_archE942ELNS1_3gpuE9ELNS1_3repE0EEENS1_30default_config_static_selectorELNS0_4arch9wavefront6targetE0EEEvT1_.kd
    .uniform_work_group_size: 1
    .uses_dynamic_stack: false
    .vgpr_count:     0
    .vgpr_spill_count: 0
    .wavefront_size: 32
    .workgroup_processor_mode: 1
  - .args:
      - .offset:         0
        .size:           136
        .value_kind:     by_value
    .group_segment_fixed_size: 0
    .kernarg_segment_align: 8
    .kernarg_segment_size: 136
    .language:       OpenCL C
    .language_version:
      - 2
      - 0
    .max_flat_workgroup_size: 64
    .name:           _ZN7rocprim17ROCPRIM_400000_NS6detail17trampoline_kernelINS0_14default_configENS1_27scan_by_key_config_selectorIidEEZZNS1_16scan_by_key_implILNS1_25lookback_scan_determinismE0ELb1ES3_N6thrust23THRUST_200600_302600_NS6detail15normal_iteratorINS9_10device_ptrIiEEEENSB_INSC_IdEEEESG_dNS9_4plusIvEENS9_8equal_toIvEEdEE10hipError_tPvRmT2_T3_T4_T5_mT6_T7_P12ihipStream_tbENKUlT_T0_E_clISt17integral_constantIbLb1EES10_IbLb0EEEEDaSW_SX_EUlSW_E_NS1_11comp_targetILNS1_3genE4ELNS1_11target_archE910ELNS1_3gpuE8ELNS1_3repE0EEENS1_30default_config_static_selectorELNS0_4arch9wavefront6targetE0EEEvT1_
    .private_segment_fixed_size: 0
    .sgpr_count:     0
    .sgpr_spill_count: 0
    .symbol:         _ZN7rocprim17ROCPRIM_400000_NS6detail17trampoline_kernelINS0_14default_configENS1_27scan_by_key_config_selectorIidEEZZNS1_16scan_by_key_implILNS1_25lookback_scan_determinismE0ELb1ES3_N6thrust23THRUST_200600_302600_NS6detail15normal_iteratorINS9_10device_ptrIiEEEENSB_INSC_IdEEEESG_dNS9_4plusIvEENS9_8equal_toIvEEdEE10hipError_tPvRmT2_T3_T4_T5_mT6_T7_P12ihipStream_tbENKUlT_T0_E_clISt17integral_constantIbLb1EES10_IbLb0EEEEDaSW_SX_EUlSW_E_NS1_11comp_targetILNS1_3genE4ELNS1_11target_archE910ELNS1_3gpuE8ELNS1_3repE0EEENS1_30default_config_static_selectorELNS0_4arch9wavefront6targetE0EEEvT1_.kd
    .uniform_work_group_size: 1
    .uses_dynamic_stack: false
    .vgpr_count:     0
    .vgpr_spill_count: 0
    .wavefront_size: 32
    .workgroup_processor_mode: 1
  - .args:
      - .offset:         0
        .size:           136
        .value_kind:     by_value
    .group_segment_fixed_size: 0
    .kernarg_segment_align: 8
    .kernarg_segment_size: 136
    .language:       OpenCL C
    .language_version:
      - 2
      - 0
    .max_flat_workgroup_size: 128
    .name:           _ZN7rocprim17ROCPRIM_400000_NS6detail17trampoline_kernelINS0_14default_configENS1_27scan_by_key_config_selectorIidEEZZNS1_16scan_by_key_implILNS1_25lookback_scan_determinismE0ELb1ES3_N6thrust23THRUST_200600_302600_NS6detail15normal_iteratorINS9_10device_ptrIiEEEENSB_INSC_IdEEEESG_dNS9_4plusIvEENS9_8equal_toIvEEdEE10hipError_tPvRmT2_T3_T4_T5_mT6_T7_P12ihipStream_tbENKUlT_T0_E_clISt17integral_constantIbLb1EES10_IbLb0EEEEDaSW_SX_EUlSW_E_NS1_11comp_targetILNS1_3genE3ELNS1_11target_archE908ELNS1_3gpuE7ELNS1_3repE0EEENS1_30default_config_static_selectorELNS0_4arch9wavefront6targetE0EEEvT1_
    .private_segment_fixed_size: 0
    .sgpr_count:     0
    .sgpr_spill_count: 0
    .symbol:         _ZN7rocprim17ROCPRIM_400000_NS6detail17trampoline_kernelINS0_14default_configENS1_27scan_by_key_config_selectorIidEEZZNS1_16scan_by_key_implILNS1_25lookback_scan_determinismE0ELb1ES3_N6thrust23THRUST_200600_302600_NS6detail15normal_iteratorINS9_10device_ptrIiEEEENSB_INSC_IdEEEESG_dNS9_4plusIvEENS9_8equal_toIvEEdEE10hipError_tPvRmT2_T3_T4_T5_mT6_T7_P12ihipStream_tbENKUlT_T0_E_clISt17integral_constantIbLb1EES10_IbLb0EEEEDaSW_SX_EUlSW_E_NS1_11comp_targetILNS1_3genE3ELNS1_11target_archE908ELNS1_3gpuE7ELNS1_3repE0EEENS1_30default_config_static_selectorELNS0_4arch9wavefront6targetE0EEEvT1_.kd
    .uniform_work_group_size: 1
    .uses_dynamic_stack: false
    .vgpr_count:     0
    .vgpr_spill_count: 0
    .wavefront_size: 32
    .workgroup_processor_mode: 1
  - .args:
      - .offset:         0
        .size:           136
        .value_kind:     by_value
    .group_segment_fixed_size: 0
    .kernarg_segment_align: 8
    .kernarg_segment_size: 136
    .language:       OpenCL C
    .language_version:
      - 2
      - 0
    .max_flat_workgroup_size: 64
    .name:           _ZN7rocprim17ROCPRIM_400000_NS6detail17trampoline_kernelINS0_14default_configENS1_27scan_by_key_config_selectorIidEEZZNS1_16scan_by_key_implILNS1_25lookback_scan_determinismE0ELb1ES3_N6thrust23THRUST_200600_302600_NS6detail15normal_iteratorINS9_10device_ptrIiEEEENSB_INSC_IdEEEESG_dNS9_4plusIvEENS9_8equal_toIvEEdEE10hipError_tPvRmT2_T3_T4_T5_mT6_T7_P12ihipStream_tbENKUlT_T0_E_clISt17integral_constantIbLb1EES10_IbLb0EEEEDaSW_SX_EUlSW_E_NS1_11comp_targetILNS1_3genE2ELNS1_11target_archE906ELNS1_3gpuE6ELNS1_3repE0EEENS1_30default_config_static_selectorELNS0_4arch9wavefront6targetE0EEEvT1_
    .private_segment_fixed_size: 0
    .sgpr_count:     0
    .sgpr_spill_count: 0
    .symbol:         _ZN7rocprim17ROCPRIM_400000_NS6detail17trampoline_kernelINS0_14default_configENS1_27scan_by_key_config_selectorIidEEZZNS1_16scan_by_key_implILNS1_25lookback_scan_determinismE0ELb1ES3_N6thrust23THRUST_200600_302600_NS6detail15normal_iteratorINS9_10device_ptrIiEEEENSB_INSC_IdEEEESG_dNS9_4plusIvEENS9_8equal_toIvEEdEE10hipError_tPvRmT2_T3_T4_T5_mT6_T7_P12ihipStream_tbENKUlT_T0_E_clISt17integral_constantIbLb1EES10_IbLb0EEEEDaSW_SX_EUlSW_E_NS1_11comp_targetILNS1_3genE2ELNS1_11target_archE906ELNS1_3gpuE6ELNS1_3repE0EEENS1_30default_config_static_selectorELNS0_4arch9wavefront6targetE0EEEvT1_.kd
    .uniform_work_group_size: 1
    .uses_dynamic_stack: false
    .vgpr_count:     0
    .vgpr_spill_count: 0
    .wavefront_size: 32
    .workgroup_processor_mode: 1
  - .args:
      - .offset:         0
        .size:           136
        .value_kind:     by_value
    .group_segment_fixed_size: 0
    .kernarg_segment_align: 8
    .kernarg_segment_size: 136
    .language:       OpenCL C
    .language_version:
      - 2
      - 0
    .max_flat_workgroup_size: 256
    .name:           _ZN7rocprim17ROCPRIM_400000_NS6detail17trampoline_kernelINS0_14default_configENS1_27scan_by_key_config_selectorIidEEZZNS1_16scan_by_key_implILNS1_25lookback_scan_determinismE0ELb1ES3_N6thrust23THRUST_200600_302600_NS6detail15normal_iteratorINS9_10device_ptrIiEEEENSB_INSC_IdEEEESG_dNS9_4plusIvEENS9_8equal_toIvEEdEE10hipError_tPvRmT2_T3_T4_T5_mT6_T7_P12ihipStream_tbENKUlT_T0_E_clISt17integral_constantIbLb1EES10_IbLb0EEEEDaSW_SX_EUlSW_E_NS1_11comp_targetILNS1_3genE10ELNS1_11target_archE1200ELNS1_3gpuE4ELNS1_3repE0EEENS1_30default_config_static_selectorELNS0_4arch9wavefront6targetE0EEEvT1_
    .private_segment_fixed_size: 0
    .sgpr_count:     0
    .sgpr_spill_count: 0
    .symbol:         _ZN7rocprim17ROCPRIM_400000_NS6detail17trampoline_kernelINS0_14default_configENS1_27scan_by_key_config_selectorIidEEZZNS1_16scan_by_key_implILNS1_25lookback_scan_determinismE0ELb1ES3_N6thrust23THRUST_200600_302600_NS6detail15normal_iteratorINS9_10device_ptrIiEEEENSB_INSC_IdEEEESG_dNS9_4plusIvEENS9_8equal_toIvEEdEE10hipError_tPvRmT2_T3_T4_T5_mT6_T7_P12ihipStream_tbENKUlT_T0_E_clISt17integral_constantIbLb1EES10_IbLb0EEEEDaSW_SX_EUlSW_E_NS1_11comp_targetILNS1_3genE10ELNS1_11target_archE1200ELNS1_3gpuE4ELNS1_3repE0EEENS1_30default_config_static_selectorELNS0_4arch9wavefront6targetE0EEEvT1_.kd
    .uniform_work_group_size: 1
    .uses_dynamic_stack: false
    .vgpr_count:     0
    .vgpr_spill_count: 0
    .wavefront_size: 32
    .workgroup_processor_mode: 1
  - .args:
      - .offset:         0
        .size:           136
        .value_kind:     by_value
    .group_segment_fixed_size: 0
    .kernarg_segment_align: 8
    .kernarg_segment_size: 136
    .language:       OpenCL C
    .language_version:
      - 2
      - 0
    .max_flat_workgroup_size: 256
    .name:           _ZN7rocprim17ROCPRIM_400000_NS6detail17trampoline_kernelINS0_14default_configENS1_27scan_by_key_config_selectorIidEEZZNS1_16scan_by_key_implILNS1_25lookback_scan_determinismE0ELb1ES3_N6thrust23THRUST_200600_302600_NS6detail15normal_iteratorINS9_10device_ptrIiEEEENSB_INSC_IdEEEESG_dNS9_4plusIvEENS9_8equal_toIvEEdEE10hipError_tPvRmT2_T3_T4_T5_mT6_T7_P12ihipStream_tbENKUlT_T0_E_clISt17integral_constantIbLb1EES10_IbLb0EEEEDaSW_SX_EUlSW_E_NS1_11comp_targetILNS1_3genE9ELNS1_11target_archE1100ELNS1_3gpuE3ELNS1_3repE0EEENS1_30default_config_static_selectorELNS0_4arch9wavefront6targetE0EEEvT1_
    .private_segment_fixed_size: 0
    .sgpr_count:     0
    .sgpr_spill_count: 0
    .symbol:         _ZN7rocprim17ROCPRIM_400000_NS6detail17trampoline_kernelINS0_14default_configENS1_27scan_by_key_config_selectorIidEEZZNS1_16scan_by_key_implILNS1_25lookback_scan_determinismE0ELb1ES3_N6thrust23THRUST_200600_302600_NS6detail15normal_iteratorINS9_10device_ptrIiEEEENSB_INSC_IdEEEESG_dNS9_4plusIvEENS9_8equal_toIvEEdEE10hipError_tPvRmT2_T3_T4_T5_mT6_T7_P12ihipStream_tbENKUlT_T0_E_clISt17integral_constantIbLb1EES10_IbLb0EEEEDaSW_SX_EUlSW_E_NS1_11comp_targetILNS1_3genE9ELNS1_11target_archE1100ELNS1_3gpuE3ELNS1_3repE0EEENS1_30default_config_static_selectorELNS0_4arch9wavefront6targetE0EEEvT1_.kd
    .uniform_work_group_size: 1
    .uses_dynamic_stack: false
    .vgpr_count:     0
    .vgpr_spill_count: 0
    .wavefront_size: 32
    .workgroup_processor_mode: 1
  - .args:
      - .offset:         0
        .size:           136
        .value_kind:     by_value
    .group_segment_fixed_size: 0
    .kernarg_segment_align: 8
    .kernarg_segment_size: 136
    .language:       OpenCL C
    .language_version:
      - 2
      - 0
    .max_flat_workgroup_size: 256
    .name:           _ZN7rocprim17ROCPRIM_400000_NS6detail17trampoline_kernelINS0_14default_configENS1_27scan_by_key_config_selectorIidEEZZNS1_16scan_by_key_implILNS1_25lookback_scan_determinismE0ELb1ES3_N6thrust23THRUST_200600_302600_NS6detail15normal_iteratorINS9_10device_ptrIiEEEENSB_INSC_IdEEEESG_dNS9_4plusIvEENS9_8equal_toIvEEdEE10hipError_tPvRmT2_T3_T4_T5_mT6_T7_P12ihipStream_tbENKUlT_T0_E_clISt17integral_constantIbLb1EES10_IbLb0EEEEDaSW_SX_EUlSW_E_NS1_11comp_targetILNS1_3genE8ELNS1_11target_archE1030ELNS1_3gpuE2ELNS1_3repE0EEENS1_30default_config_static_selectorELNS0_4arch9wavefront6targetE0EEEvT1_
    .private_segment_fixed_size: 0
    .sgpr_count:     0
    .sgpr_spill_count: 0
    .symbol:         _ZN7rocprim17ROCPRIM_400000_NS6detail17trampoline_kernelINS0_14default_configENS1_27scan_by_key_config_selectorIidEEZZNS1_16scan_by_key_implILNS1_25lookback_scan_determinismE0ELb1ES3_N6thrust23THRUST_200600_302600_NS6detail15normal_iteratorINS9_10device_ptrIiEEEENSB_INSC_IdEEEESG_dNS9_4plusIvEENS9_8equal_toIvEEdEE10hipError_tPvRmT2_T3_T4_T5_mT6_T7_P12ihipStream_tbENKUlT_T0_E_clISt17integral_constantIbLb1EES10_IbLb0EEEEDaSW_SX_EUlSW_E_NS1_11comp_targetILNS1_3genE8ELNS1_11target_archE1030ELNS1_3gpuE2ELNS1_3repE0EEENS1_30default_config_static_selectorELNS0_4arch9wavefront6targetE0EEEvT1_.kd
    .uniform_work_group_size: 1
    .uses_dynamic_stack: false
    .vgpr_count:     0
    .vgpr_spill_count: 0
    .wavefront_size: 32
    .workgroup_processor_mode: 1
  - .args:
      - .offset:         0
        .size:           136
        .value_kind:     by_value
    .group_segment_fixed_size: 0
    .kernarg_segment_align: 8
    .kernarg_segment_size: 136
    .language:       OpenCL C
    .language_version:
      - 2
      - 0
    .max_flat_workgroup_size: 128
    .name:           _ZN7rocprim17ROCPRIM_400000_NS6detail17trampoline_kernelINS0_14default_configENS1_27scan_by_key_config_selectorIidEEZZNS1_16scan_by_key_implILNS1_25lookback_scan_determinismE0ELb1ES3_N6thrust23THRUST_200600_302600_NS6detail15normal_iteratorINS9_10device_ptrIiEEEENSB_INSC_IdEEEESG_dNS9_4plusIvEENS9_8equal_toIvEEdEE10hipError_tPvRmT2_T3_T4_T5_mT6_T7_P12ihipStream_tbENKUlT_T0_E_clISt17integral_constantIbLb0EES10_IbLb1EEEEDaSW_SX_EUlSW_E_NS1_11comp_targetILNS1_3genE0ELNS1_11target_archE4294967295ELNS1_3gpuE0ELNS1_3repE0EEENS1_30default_config_static_selectorELNS0_4arch9wavefront6targetE0EEEvT1_
    .private_segment_fixed_size: 0
    .sgpr_count:     0
    .sgpr_spill_count: 0
    .symbol:         _ZN7rocprim17ROCPRIM_400000_NS6detail17trampoline_kernelINS0_14default_configENS1_27scan_by_key_config_selectorIidEEZZNS1_16scan_by_key_implILNS1_25lookback_scan_determinismE0ELb1ES3_N6thrust23THRUST_200600_302600_NS6detail15normal_iteratorINS9_10device_ptrIiEEEENSB_INSC_IdEEEESG_dNS9_4plusIvEENS9_8equal_toIvEEdEE10hipError_tPvRmT2_T3_T4_T5_mT6_T7_P12ihipStream_tbENKUlT_T0_E_clISt17integral_constantIbLb0EES10_IbLb1EEEEDaSW_SX_EUlSW_E_NS1_11comp_targetILNS1_3genE0ELNS1_11target_archE4294967295ELNS1_3gpuE0ELNS1_3repE0EEENS1_30default_config_static_selectorELNS0_4arch9wavefront6targetE0EEEvT1_.kd
    .uniform_work_group_size: 1
    .uses_dynamic_stack: false
    .vgpr_count:     0
    .vgpr_spill_count: 0
    .wavefront_size: 32
    .workgroup_processor_mode: 1
  - .args:
      - .offset:         0
        .size:           136
        .value_kind:     by_value
    .group_segment_fixed_size: 0
    .kernarg_segment_align: 8
    .kernarg_segment_size: 136
    .language:       OpenCL C
    .language_version:
      - 2
      - 0
    .max_flat_workgroup_size: 256
    .name:           _ZN7rocprim17ROCPRIM_400000_NS6detail17trampoline_kernelINS0_14default_configENS1_27scan_by_key_config_selectorIidEEZZNS1_16scan_by_key_implILNS1_25lookback_scan_determinismE0ELb1ES3_N6thrust23THRUST_200600_302600_NS6detail15normal_iteratorINS9_10device_ptrIiEEEENSB_INSC_IdEEEESG_dNS9_4plusIvEENS9_8equal_toIvEEdEE10hipError_tPvRmT2_T3_T4_T5_mT6_T7_P12ihipStream_tbENKUlT_T0_E_clISt17integral_constantIbLb0EES10_IbLb1EEEEDaSW_SX_EUlSW_E_NS1_11comp_targetILNS1_3genE10ELNS1_11target_archE1201ELNS1_3gpuE5ELNS1_3repE0EEENS1_30default_config_static_selectorELNS0_4arch9wavefront6targetE0EEEvT1_
    .private_segment_fixed_size: 0
    .sgpr_count:     0
    .sgpr_spill_count: 0
    .symbol:         _ZN7rocprim17ROCPRIM_400000_NS6detail17trampoline_kernelINS0_14default_configENS1_27scan_by_key_config_selectorIidEEZZNS1_16scan_by_key_implILNS1_25lookback_scan_determinismE0ELb1ES3_N6thrust23THRUST_200600_302600_NS6detail15normal_iteratorINS9_10device_ptrIiEEEENSB_INSC_IdEEEESG_dNS9_4plusIvEENS9_8equal_toIvEEdEE10hipError_tPvRmT2_T3_T4_T5_mT6_T7_P12ihipStream_tbENKUlT_T0_E_clISt17integral_constantIbLb0EES10_IbLb1EEEEDaSW_SX_EUlSW_E_NS1_11comp_targetILNS1_3genE10ELNS1_11target_archE1201ELNS1_3gpuE5ELNS1_3repE0EEENS1_30default_config_static_selectorELNS0_4arch9wavefront6targetE0EEEvT1_.kd
    .uniform_work_group_size: 1
    .uses_dynamic_stack: false
    .vgpr_count:     0
    .vgpr_spill_count: 0
    .wavefront_size: 32
    .workgroup_processor_mode: 1
  - .args:
      - .offset:         0
        .size:           136
        .value_kind:     by_value
    .group_segment_fixed_size: 0
    .kernarg_segment_align: 8
    .kernarg_segment_size: 136
    .language:       OpenCL C
    .language_version:
      - 2
      - 0
    .max_flat_workgroup_size: 256
    .name:           _ZN7rocprim17ROCPRIM_400000_NS6detail17trampoline_kernelINS0_14default_configENS1_27scan_by_key_config_selectorIidEEZZNS1_16scan_by_key_implILNS1_25lookback_scan_determinismE0ELb1ES3_N6thrust23THRUST_200600_302600_NS6detail15normal_iteratorINS9_10device_ptrIiEEEENSB_INSC_IdEEEESG_dNS9_4plusIvEENS9_8equal_toIvEEdEE10hipError_tPvRmT2_T3_T4_T5_mT6_T7_P12ihipStream_tbENKUlT_T0_E_clISt17integral_constantIbLb0EES10_IbLb1EEEEDaSW_SX_EUlSW_E_NS1_11comp_targetILNS1_3genE5ELNS1_11target_archE942ELNS1_3gpuE9ELNS1_3repE0EEENS1_30default_config_static_selectorELNS0_4arch9wavefront6targetE0EEEvT1_
    .private_segment_fixed_size: 0
    .sgpr_count:     0
    .sgpr_spill_count: 0
    .symbol:         _ZN7rocprim17ROCPRIM_400000_NS6detail17trampoline_kernelINS0_14default_configENS1_27scan_by_key_config_selectorIidEEZZNS1_16scan_by_key_implILNS1_25lookback_scan_determinismE0ELb1ES3_N6thrust23THRUST_200600_302600_NS6detail15normal_iteratorINS9_10device_ptrIiEEEENSB_INSC_IdEEEESG_dNS9_4plusIvEENS9_8equal_toIvEEdEE10hipError_tPvRmT2_T3_T4_T5_mT6_T7_P12ihipStream_tbENKUlT_T0_E_clISt17integral_constantIbLb0EES10_IbLb1EEEEDaSW_SX_EUlSW_E_NS1_11comp_targetILNS1_3genE5ELNS1_11target_archE942ELNS1_3gpuE9ELNS1_3repE0EEENS1_30default_config_static_selectorELNS0_4arch9wavefront6targetE0EEEvT1_.kd
    .uniform_work_group_size: 1
    .uses_dynamic_stack: false
    .vgpr_count:     0
    .vgpr_spill_count: 0
    .wavefront_size: 32
    .workgroup_processor_mode: 1
  - .args:
      - .offset:         0
        .size:           136
        .value_kind:     by_value
    .group_segment_fixed_size: 0
    .kernarg_segment_align: 8
    .kernarg_segment_size: 136
    .language:       OpenCL C
    .language_version:
      - 2
      - 0
    .max_flat_workgroup_size: 64
    .name:           _ZN7rocprim17ROCPRIM_400000_NS6detail17trampoline_kernelINS0_14default_configENS1_27scan_by_key_config_selectorIidEEZZNS1_16scan_by_key_implILNS1_25lookback_scan_determinismE0ELb1ES3_N6thrust23THRUST_200600_302600_NS6detail15normal_iteratorINS9_10device_ptrIiEEEENSB_INSC_IdEEEESG_dNS9_4plusIvEENS9_8equal_toIvEEdEE10hipError_tPvRmT2_T3_T4_T5_mT6_T7_P12ihipStream_tbENKUlT_T0_E_clISt17integral_constantIbLb0EES10_IbLb1EEEEDaSW_SX_EUlSW_E_NS1_11comp_targetILNS1_3genE4ELNS1_11target_archE910ELNS1_3gpuE8ELNS1_3repE0EEENS1_30default_config_static_selectorELNS0_4arch9wavefront6targetE0EEEvT1_
    .private_segment_fixed_size: 0
    .sgpr_count:     0
    .sgpr_spill_count: 0
    .symbol:         _ZN7rocprim17ROCPRIM_400000_NS6detail17trampoline_kernelINS0_14default_configENS1_27scan_by_key_config_selectorIidEEZZNS1_16scan_by_key_implILNS1_25lookback_scan_determinismE0ELb1ES3_N6thrust23THRUST_200600_302600_NS6detail15normal_iteratorINS9_10device_ptrIiEEEENSB_INSC_IdEEEESG_dNS9_4plusIvEENS9_8equal_toIvEEdEE10hipError_tPvRmT2_T3_T4_T5_mT6_T7_P12ihipStream_tbENKUlT_T0_E_clISt17integral_constantIbLb0EES10_IbLb1EEEEDaSW_SX_EUlSW_E_NS1_11comp_targetILNS1_3genE4ELNS1_11target_archE910ELNS1_3gpuE8ELNS1_3repE0EEENS1_30default_config_static_selectorELNS0_4arch9wavefront6targetE0EEEvT1_.kd
    .uniform_work_group_size: 1
    .uses_dynamic_stack: false
    .vgpr_count:     0
    .vgpr_spill_count: 0
    .wavefront_size: 32
    .workgroup_processor_mode: 1
  - .args:
      - .offset:         0
        .size:           136
        .value_kind:     by_value
    .group_segment_fixed_size: 0
    .kernarg_segment_align: 8
    .kernarg_segment_size: 136
    .language:       OpenCL C
    .language_version:
      - 2
      - 0
    .max_flat_workgroup_size: 128
    .name:           _ZN7rocprim17ROCPRIM_400000_NS6detail17trampoline_kernelINS0_14default_configENS1_27scan_by_key_config_selectorIidEEZZNS1_16scan_by_key_implILNS1_25lookback_scan_determinismE0ELb1ES3_N6thrust23THRUST_200600_302600_NS6detail15normal_iteratorINS9_10device_ptrIiEEEENSB_INSC_IdEEEESG_dNS9_4plusIvEENS9_8equal_toIvEEdEE10hipError_tPvRmT2_T3_T4_T5_mT6_T7_P12ihipStream_tbENKUlT_T0_E_clISt17integral_constantIbLb0EES10_IbLb1EEEEDaSW_SX_EUlSW_E_NS1_11comp_targetILNS1_3genE3ELNS1_11target_archE908ELNS1_3gpuE7ELNS1_3repE0EEENS1_30default_config_static_selectorELNS0_4arch9wavefront6targetE0EEEvT1_
    .private_segment_fixed_size: 0
    .sgpr_count:     0
    .sgpr_spill_count: 0
    .symbol:         _ZN7rocprim17ROCPRIM_400000_NS6detail17trampoline_kernelINS0_14default_configENS1_27scan_by_key_config_selectorIidEEZZNS1_16scan_by_key_implILNS1_25lookback_scan_determinismE0ELb1ES3_N6thrust23THRUST_200600_302600_NS6detail15normal_iteratorINS9_10device_ptrIiEEEENSB_INSC_IdEEEESG_dNS9_4plusIvEENS9_8equal_toIvEEdEE10hipError_tPvRmT2_T3_T4_T5_mT6_T7_P12ihipStream_tbENKUlT_T0_E_clISt17integral_constantIbLb0EES10_IbLb1EEEEDaSW_SX_EUlSW_E_NS1_11comp_targetILNS1_3genE3ELNS1_11target_archE908ELNS1_3gpuE7ELNS1_3repE0EEENS1_30default_config_static_selectorELNS0_4arch9wavefront6targetE0EEEvT1_.kd
    .uniform_work_group_size: 1
    .uses_dynamic_stack: false
    .vgpr_count:     0
    .vgpr_spill_count: 0
    .wavefront_size: 32
    .workgroup_processor_mode: 1
  - .args:
      - .offset:         0
        .size:           136
        .value_kind:     by_value
    .group_segment_fixed_size: 0
    .kernarg_segment_align: 8
    .kernarg_segment_size: 136
    .language:       OpenCL C
    .language_version:
      - 2
      - 0
    .max_flat_workgroup_size: 64
    .name:           _ZN7rocprim17ROCPRIM_400000_NS6detail17trampoline_kernelINS0_14default_configENS1_27scan_by_key_config_selectorIidEEZZNS1_16scan_by_key_implILNS1_25lookback_scan_determinismE0ELb1ES3_N6thrust23THRUST_200600_302600_NS6detail15normal_iteratorINS9_10device_ptrIiEEEENSB_INSC_IdEEEESG_dNS9_4plusIvEENS9_8equal_toIvEEdEE10hipError_tPvRmT2_T3_T4_T5_mT6_T7_P12ihipStream_tbENKUlT_T0_E_clISt17integral_constantIbLb0EES10_IbLb1EEEEDaSW_SX_EUlSW_E_NS1_11comp_targetILNS1_3genE2ELNS1_11target_archE906ELNS1_3gpuE6ELNS1_3repE0EEENS1_30default_config_static_selectorELNS0_4arch9wavefront6targetE0EEEvT1_
    .private_segment_fixed_size: 0
    .sgpr_count:     0
    .sgpr_spill_count: 0
    .symbol:         _ZN7rocprim17ROCPRIM_400000_NS6detail17trampoline_kernelINS0_14default_configENS1_27scan_by_key_config_selectorIidEEZZNS1_16scan_by_key_implILNS1_25lookback_scan_determinismE0ELb1ES3_N6thrust23THRUST_200600_302600_NS6detail15normal_iteratorINS9_10device_ptrIiEEEENSB_INSC_IdEEEESG_dNS9_4plusIvEENS9_8equal_toIvEEdEE10hipError_tPvRmT2_T3_T4_T5_mT6_T7_P12ihipStream_tbENKUlT_T0_E_clISt17integral_constantIbLb0EES10_IbLb1EEEEDaSW_SX_EUlSW_E_NS1_11comp_targetILNS1_3genE2ELNS1_11target_archE906ELNS1_3gpuE6ELNS1_3repE0EEENS1_30default_config_static_selectorELNS0_4arch9wavefront6targetE0EEEvT1_.kd
    .uniform_work_group_size: 1
    .uses_dynamic_stack: false
    .vgpr_count:     0
    .vgpr_spill_count: 0
    .wavefront_size: 32
    .workgroup_processor_mode: 1
  - .args:
      - .offset:         0
        .size:           136
        .value_kind:     by_value
    .group_segment_fixed_size: 0
    .kernarg_segment_align: 8
    .kernarg_segment_size: 136
    .language:       OpenCL C
    .language_version:
      - 2
      - 0
    .max_flat_workgroup_size: 256
    .name:           _ZN7rocprim17ROCPRIM_400000_NS6detail17trampoline_kernelINS0_14default_configENS1_27scan_by_key_config_selectorIidEEZZNS1_16scan_by_key_implILNS1_25lookback_scan_determinismE0ELb1ES3_N6thrust23THRUST_200600_302600_NS6detail15normal_iteratorINS9_10device_ptrIiEEEENSB_INSC_IdEEEESG_dNS9_4plusIvEENS9_8equal_toIvEEdEE10hipError_tPvRmT2_T3_T4_T5_mT6_T7_P12ihipStream_tbENKUlT_T0_E_clISt17integral_constantIbLb0EES10_IbLb1EEEEDaSW_SX_EUlSW_E_NS1_11comp_targetILNS1_3genE10ELNS1_11target_archE1200ELNS1_3gpuE4ELNS1_3repE0EEENS1_30default_config_static_selectorELNS0_4arch9wavefront6targetE0EEEvT1_
    .private_segment_fixed_size: 0
    .sgpr_count:     0
    .sgpr_spill_count: 0
    .symbol:         _ZN7rocprim17ROCPRIM_400000_NS6detail17trampoline_kernelINS0_14default_configENS1_27scan_by_key_config_selectorIidEEZZNS1_16scan_by_key_implILNS1_25lookback_scan_determinismE0ELb1ES3_N6thrust23THRUST_200600_302600_NS6detail15normal_iteratorINS9_10device_ptrIiEEEENSB_INSC_IdEEEESG_dNS9_4plusIvEENS9_8equal_toIvEEdEE10hipError_tPvRmT2_T3_T4_T5_mT6_T7_P12ihipStream_tbENKUlT_T0_E_clISt17integral_constantIbLb0EES10_IbLb1EEEEDaSW_SX_EUlSW_E_NS1_11comp_targetILNS1_3genE10ELNS1_11target_archE1200ELNS1_3gpuE4ELNS1_3repE0EEENS1_30default_config_static_selectorELNS0_4arch9wavefront6targetE0EEEvT1_.kd
    .uniform_work_group_size: 1
    .uses_dynamic_stack: false
    .vgpr_count:     0
    .vgpr_spill_count: 0
    .wavefront_size: 32
    .workgroup_processor_mode: 1
  - .args:
      - .offset:         0
        .size:           136
        .value_kind:     by_value
    .group_segment_fixed_size: 0
    .kernarg_segment_align: 8
    .kernarg_segment_size: 136
    .language:       OpenCL C
    .language_version:
      - 2
      - 0
    .max_flat_workgroup_size: 256
    .name:           _ZN7rocprim17ROCPRIM_400000_NS6detail17trampoline_kernelINS0_14default_configENS1_27scan_by_key_config_selectorIidEEZZNS1_16scan_by_key_implILNS1_25lookback_scan_determinismE0ELb1ES3_N6thrust23THRUST_200600_302600_NS6detail15normal_iteratorINS9_10device_ptrIiEEEENSB_INSC_IdEEEESG_dNS9_4plusIvEENS9_8equal_toIvEEdEE10hipError_tPvRmT2_T3_T4_T5_mT6_T7_P12ihipStream_tbENKUlT_T0_E_clISt17integral_constantIbLb0EES10_IbLb1EEEEDaSW_SX_EUlSW_E_NS1_11comp_targetILNS1_3genE9ELNS1_11target_archE1100ELNS1_3gpuE3ELNS1_3repE0EEENS1_30default_config_static_selectorELNS0_4arch9wavefront6targetE0EEEvT1_
    .private_segment_fixed_size: 0
    .sgpr_count:     0
    .sgpr_spill_count: 0
    .symbol:         _ZN7rocprim17ROCPRIM_400000_NS6detail17trampoline_kernelINS0_14default_configENS1_27scan_by_key_config_selectorIidEEZZNS1_16scan_by_key_implILNS1_25lookback_scan_determinismE0ELb1ES3_N6thrust23THRUST_200600_302600_NS6detail15normal_iteratorINS9_10device_ptrIiEEEENSB_INSC_IdEEEESG_dNS9_4plusIvEENS9_8equal_toIvEEdEE10hipError_tPvRmT2_T3_T4_T5_mT6_T7_P12ihipStream_tbENKUlT_T0_E_clISt17integral_constantIbLb0EES10_IbLb1EEEEDaSW_SX_EUlSW_E_NS1_11comp_targetILNS1_3genE9ELNS1_11target_archE1100ELNS1_3gpuE3ELNS1_3repE0EEENS1_30default_config_static_selectorELNS0_4arch9wavefront6targetE0EEEvT1_.kd
    .uniform_work_group_size: 1
    .uses_dynamic_stack: false
    .vgpr_count:     0
    .vgpr_spill_count: 0
    .wavefront_size: 32
    .workgroup_processor_mode: 1
  - .args:
      - .offset:         0
        .size:           136
        .value_kind:     by_value
    .group_segment_fixed_size: 6144
    .kernarg_segment_align: 8
    .kernarg_segment_size: 136
    .language:       OpenCL C
    .language_version:
      - 2
      - 0
    .max_flat_workgroup_size: 256
    .name:           _ZN7rocprim17ROCPRIM_400000_NS6detail17trampoline_kernelINS0_14default_configENS1_27scan_by_key_config_selectorIidEEZZNS1_16scan_by_key_implILNS1_25lookback_scan_determinismE0ELb1ES3_N6thrust23THRUST_200600_302600_NS6detail15normal_iteratorINS9_10device_ptrIiEEEENSB_INSC_IdEEEESG_dNS9_4plusIvEENS9_8equal_toIvEEdEE10hipError_tPvRmT2_T3_T4_T5_mT6_T7_P12ihipStream_tbENKUlT_T0_E_clISt17integral_constantIbLb0EES10_IbLb1EEEEDaSW_SX_EUlSW_E_NS1_11comp_targetILNS1_3genE8ELNS1_11target_archE1030ELNS1_3gpuE2ELNS1_3repE0EEENS1_30default_config_static_selectorELNS0_4arch9wavefront6targetE0EEEvT1_
    .private_segment_fixed_size: 0
    .sgpr_count:     38
    .sgpr_spill_count: 0
    .symbol:         _ZN7rocprim17ROCPRIM_400000_NS6detail17trampoline_kernelINS0_14default_configENS1_27scan_by_key_config_selectorIidEEZZNS1_16scan_by_key_implILNS1_25lookback_scan_determinismE0ELb1ES3_N6thrust23THRUST_200600_302600_NS6detail15normal_iteratorINS9_10device_ptrIiEEEENSB_INSC_IdEEEESG_dNS9_4plusIvEENS9_8equal_toIvEEdEE10hipError_tPvRmT2_T3_T4_T5_mT6_T7_P12ihipStream_tbENKUlT_T0_E_clISt17integral_constantIbLb0EES10_IbLb1EEEEDaSW_SX_EUlSW_E_NS1_11comp_targetILNS1_3genE8ELNS1_11target_archE1030ELNS1_3gpuE2ELNS1_3repE0EEENS1_30default_config_static_selectorELNS0_4arch9wavefront6targetE0EEEvT1_.kd
    .uniform_work_group_size: 1
    .uses_dynamic_stack: false
    .vgpr_count:     50
    .vgpr_spill_count: 0
    .wavefront_size: 32
    .workgroup_processor_mode: 1
  - .args:
      - .offset:         0
        .size:           112
        .value_kind:     by_value
    .group_segment_fixed_size: 0
    .kernarg_segment_align: 8
    .kernarg_segment_size: 112
    .language:       OpenCL C
    .language_version:
      - 2
      - 0
    .max_flat_workgroup_size: 256
    .name:           _ZN7rocprim17ROCPRIM_400000_NS6detail17trampoline_kernelINS0_14default_configENS1_27scan_by_key_config_selectorIifEEZZNS1_16scan_by_key_implILNS1_25lookback_scan_determinismE0ELb1ES3_N6thrust23THRUST_200600_302600_NS6detail15normal_iteratorINS9_10device_ptrIiEEEENSB_INSC_IfEEEESG_fNS9_4plusIvEENS9_8equal_toIvEEfEE10hipError_tPvRmT2_T3_T4_T5_mT6_T7_P12ihipStream_tbENKUlT_T0_E_clISt17integral_constantIbLb0EES11_EEDaSW_SX_EUlSW_E_NS1_11comp_targetILNS1_3genE0ELNS1_11target_archE4294967295ELNS1_3gpuE0ELNS1_3repE0EEENS1_30default_config_static_selectorELNS0_4arch9wavefront6targetE0EEEvT1_
    .private_segment_fixed_size: 0
    .sgpr_count:     0
    .sgpr_spill_count: 0
    .symbol:         _ZN7rocprim17ROCPRIM_400000_NS6detail17trampoline_kernelINS0_14default_configENS1_27scan_by_key_config_selectorIifEEZZNS1_16scan_by_key_implILNS1_25lookback_scan_determinismE0ELb1ES3_N6thrust23THRUST_200600_302600_NS6detail15normal_iteratorINS9_10device_ptrIiEEEENSB_INSC_IfEEEESG_fNS9_4plusIvEENS9_8equal_toIvEEfEE10hipError_tPvRmT2_T3_T4_T5_mT6_T7_P12ihipStream_tbENKUlT_T0_E_clISt17integral_constantIbLb0EES11_EEDaSW_SX_EUlSW_E_NS1_11comp_targetILNS1_3genE0ELNS1_11target_archE4294967295ELNS1_3gpuE0ELNS1_3repE0EEENS1_30default_config_static_selectorELNS0_4arch9wavefront6targetE0EEEvT1_.kd
    .uniform_work_group_size: 1
    .uses_dynamic_stack: false
    .vgpr_count:     0
    .vgpr_spill_count: 0
    .wavefront_size: 32
    .workgroup_processor_mode: 1
  - .args:
      - .offset:         0
        .size:           112
        .value_kind:     by_value
    .group_segment_fixed_size: 0
    .kernarg_segment_align: 8
    .kernarg_segment_size: 112
    .language:       OpenCL C
    .language_version:
      - 2
      - 0
    .max_flat_workgroup_size: 256
    .name:           _ZN7rocprim17ROCPRIM_400000_NS6detail17trampoline_kernelINS0_14default_configENS1_27scan_by_key_config_selectorIifEEZZNS1_16scan_by_key_implILNS1_25lookback_scan_determinismE0ELb1ES3_N6thrust23THRUST_200600_302600_NS6detail15normal_iteratorINS9_10device_ptrIiEEEENSB_INSC_IfEEEESG_fNS9_4plusIvEENS9_8equal_toIvEEfEE10hipError_tPvRmT2_T3_T4_T5_mT6_T7_P12ihipStream_tbENKUlT_T0_E_clISt17integral_constantIbLb0EES11_EEDaSW_SX_EUlSW_E_NS1_11comp_targetILNS1_3genE10ELNS1_11target_archE1201ELNS1_3gpuE5ELNS1_3repE0EEENS1_30default_config_static_selectorELNS0_4arch9wavefront6targetE0EEEvT1_
    .private_segment_fixed_size: 0
    .sgpr_count:     0
    .sgpr_spill_count: 0
    .symbol:         _ZN7rocprim17ROCPRIM_400000_NS6detail17trampoline_kernelINS0_14default_configENS1_27scan_by_key_config_selectorIifEEZZNS1_16scan_by_key_implILNS1_25lookback_scan_determinismE0ELb1ES3_N6thrust23THRUST_200600_302600_NS6detail15normal_iteratorINS9_10device_ptrIiEEEENSB_INSC_IfEEEESG_fNS9_4plusIvEENS9_8equal_toIvEEfEE10hipError_tPvRmT2_T3_T4_T5_mT6_T7_P12ihipStream_tbENKUlT_T0_E_clISt17integral_constantIbLb0EES11_EEDaSW_SX_EUlSW_E_NS1_11comp_targetILNS1_3genE10ELNS1_11target_archE1201ELNS1_3gpuE5ELNS1_3repE0EEENS1_30default_config_static_selectorELNS0_4arch9wavefront6targetE0EEEvT1_.kd
    .uniform_work_group_size: 1
    .uses_dynamic_stack: false
    .vgpr_count:     0
    .vgpr_spill_count: 0
    .wavefront_size: 32
    .workgroup_processor_mode: 1
  - .args:
      - .offset:         0
        .size:           112
        .value_kind:     by_value
    .group_segment_fixed_size: 0
    .kernarg_segment_align: 8
    .kernarg_segment_size: 112
    .language:       OpenCL C
    .language_version:
      - 2
      - 0
    .max_flat_workgroup_size: 256
    .name:           _ZN7rocprim17ROCPRIM_400000_NS6detail17trampoline_kernelINS0_14default_configENS1_27scan_by_key_config_selectorIifEEZZNS1_16scan_by_key_implILNS1_25lookback_scan_determinismE0ELb1ES3_N6thrust23THRUST_200600_302600_NS6detail15normal_iteratorINS9_10device_ptrIiEEEENSB_INSC_IfEEEESG_fNS9_4plusIvEENS9_8equal_toIvEEfEE10hipError_tPvRmT2_T3_T4_T5_mT6_T7_P12ihipStream_tbENKUlT_T0_E_clISt17integral_constantIbLb0EES11_EEDaSW_SX_EUlSW_E_NS1_11comp_targetILNS1_3genE5ELNS1_11target_archE942ELNS1_3gpuE9ELNS1_3repE0EEENS1_30default_config_static_selectorELNS0_4arch9wavefront6targetE0EEEvT1_
    .private_segment_fixed_size: 0
    .sgpr_count:     0
    .sgpr_spill_count: 0
    .symbol:         _ZN7rocprim17ROCPRIM_400000_NS6detail17trampoline_kernelINS0_14default_configENS1_27scan_by_key_config_selectorIifEEZZNS1_16scan_by_key_implILNS1_25lookback_scan_determinismE0ELb1ES3_N6thrust23THRUST_200600_302600_NS6detail15normal_iteratorINS9_10device_ptrIiEEEENSB_INSC_IfEEEESG_fNS9_4plusIvEENS9_8equal_toIvEEfEE10hipError_tPvRmT2_T3_T4_T5_mT6_T7_P12ihipStream_tbENKUlT_T0_E_clISt17integral_constantIbLb0EES11_EEDaSW_SX_EUlSW_E_NS1_11comp_targetILNS1_3genE5ELNS1_11target_archE942ELNS1_3gpuE9ELNS1_3repE0EEENS1_30default_config_static_selectorELNS0_4arch9wavefront6targetE0EEEvT1_.kd
    .uniform_work_group_size: 1
    .uses_dynamic_stack: false
    .vgpr_count:     0
    .vgpr_spill_count: 0
    .wavefront_size: 32
    .workgroup_processor_mode: 1
  - .args:
      - .offset:         0
        .size:           112
        .value_kind:     by_value
    .group_segment_fixed_size: 0
    .kernarg_segment_align: 8
    .kernarg_segment_size: 112
    .language:       OpenCL C
    .language_version:
      - 2
      - 0
    .max_flat_workgroup_size: 256
    .name:           _ZN7rocprim17ROCPRIM_400000_NS6detail17trampoline_kernelINS0_14default_configENS1_27scan_by_key_config_selectorIifEEZZNS1_16scan_by_key_implILNS1_25lookback_scan_determinismE0ELb1ES3_N6thrust23THRUST_200600_302600_NS6detail15normal_iteratorINS9_10device_ptrIiEEEENSB_INSC_IfEEEESG_fNS9_4plusIvEENS9_8equal_toIvEEfEE10hipError_tPvRmT2_T3_T4_T5_mT6_T7_P12ihipStream_tbENKUlT_T0_E_clISt17integral_constantIbLb0EES11_EEDaSW_SX_EUlSW_E_NS1_11comp_targetILNS1_3genE4ELNS1_11target_archE910ELNS1_3gpuE8ELNS1_3repE0EEENS1_30default_config_static_selectorELNS0_4arch9wavefront6targetE0EEEvT1_
    .private_segment_fixed_size: 0
    .sgpr_count:     0
    .sgpr_spill_count: 0
    .symbol:         _ZN7rocprim17ROCPRIM_400000_NS6detail17trampoline_kernelINS0_14default_configENS1_27scan_by_key_config_selectorIifEEZZNS1_16scan_by_key_implILNS1_25lookback_scan_determinismE0ELb1ES3_N6thrust23THRUST_200600_302600_NS6detail15normal_iteratorINS9_10device_ptrIiEEEENSB_INSC_IfEEEESG_fNS9_4plusIvEENS9_8equal_toIvEEfEE10hipError_tPvRmT2_T3_T4_T5_mT6_T7_P12ihipStream_tbENKUlT_T0_E_clISt17integral_constantIbLb0EES11_EEDaSW_SX_EUlSW_E_NS1_11comp_targetILNS1_3genE4ELNS1_11target_archE910ELNS1_3gpuE8ELNS1_3repE0EEENS1_30default_config_static_selectorELNS0_4arch9wavefront6targetE0EEEvT1_.kd
    .uniform_work_group_size: 1
    .uses_dynamic_stack: false
    .vgpr_count:     0
    .vgpr_spill_count: 0
    .wavefront_size: 32
    .workgroup_processor_mode: 1
  - .args:
      - .offset:         0
        .size:           112
        .value_kind:     by_value
    .group_segment_fixed_size: 0
    .kernarg_segment_align: 8
    .kernarg_segment_size: 112
    .language:       OpenCL C
    .language_version:
      - 2
      - 0
    .max_flat_workgroup_size: 256
    .name:           _ZN7rocprim17ROCPRIM_400000_NS6detail17trampoline_kernelINS0_14default_configENS1_27scan_by_key_config_selectorIifEEZZNS1_16scan_by_key_implILNS1_25lookback_scan_determinismE0ELb1ES3_N6thrust23THRUST_200600_302600_NS6detail15normal_iteratorINS9_10device_ptrIiEEEENSB_INSC_IfEEEESG_fNS9_4plusIvEENS9_8equal_toIvEEfEE10hipError_tPvRmT2_T3_T4_T5_mT6_T7_P12ihipStream_tbENKUlT_T0_E_clISt17integral_constantIbLb0EES11_EEDaSW_SX_EUlSW_E_NS1_11comp_targetILNS1_3genE3ELNS1_11target_archE908ELNS1_3gpuE7ELNS1_3repE0EEENS1_30default_config_static_selectorELNS0_4arch9wavefront6targetE0EEEvT1_
    .private_segment_fixed_size: 0
    .sgpr_count:     0
    .sgpr_spill_count: 0
    .symbol:         _ZN7rocprim17ROCPRIM_400000_NS6detail17trampoline_kernelINS0_14default_configENS1_27scan_by_key_config_selectorIifEEZZNS1_16scan_by_key_implILNS1_25lookback_scan_determinismE0ELb1ES3_N6thrust23THRUST_200600_302600_NS6detail15normal_iteratorINS9_10device_ptrIiEEEENSB_INSC_IfEEEESG_fNS9_4plusIvEENS9_8equal_toIvEEfEE10hipError_tPvRmT2_T3_T4_T5_mT6_T7_P12ihipStream_tbENKUlT_T0_E_clISt17integral_constantIbLb0EES11_EEDaSW_SX_EUlSW_E_NS1_11comp_targetILNS1_3genE3ELNS1_11target_archE908ELNS1_3gpuE7ELNS1_3repE0EEENS1_30default_config_static_selectorELNS0_4arch9wavefront6targetE0EEEvT1_.kd
    .uniform_work_group_size: 1
    .uses_dynamic_stack: false
    .vgpr_count:     0
    .vgpr_spill_count: 0
    .wavefront_size: 32
    .workgroup_processor_mode: 1
  - .args:
      - .offset:         0
        .size:           112
        .value_kind:     by_value
    .group_segment_fixed_size: 0
    .kernarg_segment_align: 8
    .kernarg_segment_size: 112
    .language:       OpenCL C
    .language_version:
      - 2
      - 0
    .max_flat_workgroup_size: 256
    .name:           _ZN7rocprim17ROCPRIM_400000_NS6detail17trampoline_kernelINS0_14default_configENS1_27scan_by_key_config_selectorIifEEZZNS1_16scan_by_key_implILNS1_25lookback_scan_determinismE0ELb1ES3_N6thrust23THRUST_200600_302600_NS6detail15normal_iteratorINS9_10device_ptrIiEEEENSB_INSC_IfEEEESG_fNS9_4plusIvEENS9_8equal_toIvEEfEE10hipError_tPvRmT2_T3_T4_T5_mT6_T7_P12ihipStream_tbENKUlT_T0_E_clISt17integral_constantIbLb0EES11_EEDaSW_SX_EUlSW_E_NS1_11comp_targetILNS1_3genE2ELNS1_11target_archE906ELNS1_3gpuE6ELNS1_3repE0EEENS1_30default_config_static_selectorELNS0_4arch9wavefront6targetE0EEEvT1_
    .private_segment_fixed_size: 0
    .sgpr_count:     0
    .sgpr_spill_count: 0
    .symbol:         _ZN7rocprim17ROCPRIM_400000_NS6detail17trampoline_kernelINS0_14default_configENS1_27scan_by_key_config_selectorIifEEZZNS1_16scan_by_key_implILNS1_25lookback_scan_determinismE0ELb1ES3_N6thrust23THRUST_200600_302600_NS6detail15normal_iteratorINS9_10device_ptrIiEEEENSB_INSC_IfEEEESG_fNS9_4plusIvEENS9_8equal_toIvEEfEE10hipError_tPvRmT2_T3_T4_T5_mT6_T7_P12ihipStream_tbENKUlT_T0_E_clISt17integral_constantIbLb0EES11_EEDaSW_SX_EUlSW_E_NS1_11comp_targetILNS1_3genE2ELNS1_11target_archE906ELNS1_3gpuE6ELNS1_3repE0EEENS1_30default_config_static_selectorELNS0_4arch9wavefront6targetE0EEEvT1_.kd
    .uniform_work_group_size: 1
    .uses_dynamic_stack: false
    .vgpr_count:     0
    .vgpr_spill_count: 0
    .wavefront_size: 32
    .workgroup_processor_mode: 1
  - .args:
      - .offset:         0
        .size:           112
        .value_kind:     by_value
    .group_segment_fixed_size: 0
    .kernarg_segment_align: 8
    .kernarg_segment_size: 112
    .language:       OpenCL C
    .language_version:
      - 2
      - 0
    .max_flat_workgroup_size: 256
    .name:           _ZN7rocprim17ROCPRIM_400000_NS6detail17trampoline_kernelINS0_14default_configENS1_27scan_by_key_config_selectorIifEEZZNS1_16scan_by_key_implILNS1_25lookback_scan_determinismE0ELb1ES3_N6thrust23THRUST_200600_302600_NS6detail15normal_iteratorINS9_10device_ptrIiEEEENSB_INSC_IfEEEESG_fNS9_4plusIvEENS9_8equal_toIvEEfEE10hipError_tPvRmT2_T3_T4_T5_mT6_T7_P12ihipStream_tbENKUlT_T0_E_clISt17integral_constantIbLb0EES11_EEDaSW_SX_EUlSW_E_NS1_11comp_targetILNS1_3genE10ELNS1_11target_archE1200ELNS1_3gpuE4ELNS1_3repE0EEENS1_30default_config_static_selectorELNS0_4arch9wavefront6targetE0EEEvT1_
    .private_segment_fixed_size: 0
    .sgpr_count:     0
    .sgpr_spill_count: 0
    .symbol:         _ZN7rocprim17ROCPRIM_400000_NS6detail17trampoline_kernelINS0_14default_configENS1_27scan_by_key_config_selectorIifEEZZNS1_16scan_by_key_implILNS1_25lookback_scan_determinismE0ELb1ES3_N6thrust23THRUST_200600_302600_NS6detail15normal_iteratorINS9_10device_ptrIiEEEENSB_INSC_IfEEEESG_fNS9_4plusIvEENS9_8equal_toIvEEfEE10hipError_tPvRmT2_T3_T4_T5_mT6_T7_P12ihipStream_tbENKUlT_T0_E_clISt17integral_constantIbLb0EES11_EEDaSW_SX_EUlSW_E_NS1_11comp_targetILNS1_3genE10ELNS1_11target_archE1200ELNS1_3gpuE4ELNS1_3repE0EEENS1_30default_config_static_selectorELNS0_4arch9wavefront6targetE0EEEvT1_.kd
    .uniform_work_group_size: 1
    .uses_dynamic_stack: false
    .vgpr_count:     0
    .vgpr_spill_count: 0
    .wavefront_size: 32
    .workgroup_processor_mode: 1
  - .args:
      - .offset:         0
        .size:           112
        .value_kind:     by_value
    .group_segment_fixed_size: 0
    .kernarg_segment_align: 8
    .kernarg_segment_size: 112
    .language:       OpenCL C
    .language_version:
      - 2
      - 0
    .max_flat_workgroup_size: 256
    .name:           _ZN7rocprim17ROCPRIM_400000_NS6detail17trampoline_kernelINS0_14default_configENS1_27scan_by_key_config_selectorIifEEZZNS1_16scan_by_key_implILNS1_25lookback_scan_determinismE0ELb1ES3_N6thrust23THRUST_200600_302600_NS6detail15normal_iteratorINS9_10device_ptrIiEEEENSB_INSC_IfEEEESG_fNS9_4plusIvEENS9_8equal_toIvEEfEE10hipError_tPvRmT2_T3_T4_T5_mT6_T7_P12ihipStream_tbENKUlT_T0_E_clISt17integral_constantIbLb0EES11_EEDaSW_SX_EUlSW_E_NS1_11comp_targetILNS1_3genE9ELNS1_11target_archE1100ELNS1_3gpuE3ELNS1_3repE0EEENS1_30default_config_static_selectorELNS0_4arch9wavefront6targetE0EEEvT1_
    .private_segment_fixed_size: 0
    .sgpr_count:     0
    .sgpr_spill_count: 0
    .symbol:         _ZN7rocprim17ROCPRIM_400000_NS6detail17trampoline_kernelINS0_14default_configENS1_27scan_by_key_config_selectorIifEEZZNS1_16scan_by_key_implILNS1_25lookback_scan_determinismE0ELb1ES3_N6thrust23THRUST_200600_302600_NS6detail15normal_iteratorINS9_10device_ptrIiEEEENSB_INSC_IfEEEESG_fNS9_4plusIvEENS9_8equal_toIvEEfEE10hipError_tPvRmT2_T3_T4_T5_mT6_T7_P12ihipStream_tbENKUlT_T0_E_clISt17integral_constantIbLb0EES11_EEDaSW_SX_EUlSW_E_NS1_11comp_targetILNS1_3genE9ELNS1_11target_archE1100ELNS1_3gpuE3ELNS1_3repE0EEENS1_30default_config_static_selectorELNS0_4arch9wavefront6targetE0EEEvT1_.kd
    .uniform_work_group_size: 1
    .uses_dynamic_stack: false
    .vgpr_count:     0
    .vgpr_spill_count: 0
    .wavefront_size: 32
    .workgroup_processor_mode: 1
  - .args:
      - .offset:         0
        .size:           112
        .value_kind:     by_value
    .group_segment_fixed_size: 5120
    .kernarg_segment_align: 8
    .kernarg_segment_size: 112
    .language:       OpenCL C
    .language_version:
      - 2
      - 0
    .max_flat_workgroup_size: 256
    .name:           _ZN7rocprim17ROCPRIM_400000_NS6detail17trampoline_kernelINS0_14default_configENS1_27scan_by_key_config_selectorIifEEZZNS1_16scan_by_key_implILNS1_25lookback_scan_determinismE0ELb1ES3_N6thrust23THRUST_200600_302600_NS6detail15normal_iteratorINS9_10device_ptrIiEEEENSB_INSC_IfEEEESG_fNS9_4plusIvEENS9_8equal_toIvEEfEE10hipError_tPvRmT2_T3_T4_T5_mT6_T7_P12ihipStream_tbENKUlT_T0_E_clISt17integral_constantIbLb0EES11_EEDaSW_SX_EUlSW_E_NS1_11comp_targetILNS1_3genE8ELNS1_11target_archE1030ELNS1_3gpuE2ELNS1_3repE0EEENS1_30default_config_static_selectorELNS0_4arch9wavefront6targetE0EEEvT1_
    .private_segment_fixed_size: 0
    .sgpr_count:     31
    .sgpr_spill_count: 0
    .symbol:         _ZN7rocprim17ROCPRIM_400000_NS6detail17trampoline_kernelINS0_14default_configENS1_27scan_by_key_config_selectorIifEEZZNS1_16scan_by_key_implILNS1_25lookback_scan_determinismE0ELb1ES3_N6thrust23THRUST_200600_302600_NS6detail15normal_iteratorINS9_10device_ptrIiEEEENSB_INSC_IfEEEESG_fNS9_4plusIvEENS9_8equal_toIvEEfEE10hipError_tPvRmT2_T3_T4_T5_mT6_T7_P12ihipStream_tbENKUlT_T0_E_clISt17integral_constantIbLb0EES11_EEDaSW_SX_EUlSW_E_NS1_11comp_targetILNS1_3genE8ELNS1_11target_archE1030ELNS1_3gpuE2ELNS1_3repE0EEENS1_30default_config_static_selectorELNS0_4arch9wavefront6targetE0EEEvT1_.kd
    .uniform_work_group_size: 1
    .uses_dynamic_stack: false
    .vgpr_count:     40
    .vgpr_spill_count: 0
    .wavefront_size: 32
    .workgroup_processor_mode: 1
  - .args:
      - .offset:         0
        .size:           112
        .value_kind:     by_value
    .group_segment_fixed_size: 0
    .kernarg_segment_align: 8
    .kernarg_segment_size: 112
    .language:       OpenCL C
    .language_version:
      - 2
      - 0
    .max_flat_workgroup_size: 256
    .name:           _ZN7rocprim17ROCPRIM_400000_NS6detail17trampoline_kernelINS0_14default_configENS1_27scan_by_key_config_selectorIifEEZZNS1_16scan_by_key_implILNS1_25lookback_scan_determinismE0ELb1ES3_N6thrust23THRUST_200600_302600_NS6detail15normal_iteratorINS9_10device_ptrIiEEEENSB_INSC_IfEEEESG_fNS9_4plusIvEENS9_8equal_toIvEEfEE10hipError_tPvRmT2_T3_T4_T5_mT6_T7_P12ihipStream_tbENKUlT_T0_E_clISt17integral_constantIbLb1EES11_EEDaSW_SX_EUlSW_E_NS1_11comp_targetILNS1_3genE0ELNS1_11target_archE4294967295ELNS1_3gpuE0ELNS1_3repE0EEENS1_30default_config_static_selectorELNS0_4arch9wavefront6targetE0EEEvT1_
    .private_segment_fixed_size: 0
    .sgpr_count:     0
    .sgpr_spill_count: 0
    .symbol:         _ZN7rocprim17ROCPRIM_400000_NS6detail17trampoline_kernelINS0_14default_configENS1_27scan_by_key_config_selectorIifEEZZNS1_16scan_by_key_implILNS1_25lookback_scan_determinismE0ELb1ES3_N6thrust23THRUST_200600_302600_NS6detail15normal_iteratorINS9_10device_ptrIiEEEENSB_INSC_IfEEEESG_fNS9_4plusIvEENS9_8equal_toIvEEfEE10hipError_tPvRmT2_T3_T4_T5_mT6_T7_P12ihipStream_tbENKUlT_T0_E_clISt17integral_constantIbLb1EES11_EEDaSW_SX_EUlSW_E_NS1_11comp_targetILNS1_3genE0ELNS1_11target_archE4294967295ELNS1_3gpuE0ELNS1_3repE0EEENS1_30default_config_static_selectorELNS0_4arch9wavefront6targetE0EEEvT1_.kd
    .uniform_work_group_size: 1
    .uses_dynamic_stack: false
    .vgpr_count:     0
    .vgpr_spill_count: 0
    .wavefront_size: 32
    .workgroup_processor_mode: 1
  - .args:
      - .offset:         0
        .size:           112
        .value_kind:     by_value
    .group_segment_fixed_size: 0
    .kernarg_segment_align: 8
    .kernarg_segment_size: 112
    .language:       OpenCL C
    .language_version:
      - 2
      - 0
    .max_flat_workgroup_size: 256
    .name:           _ZN7rocprim17ROCPRIM_400000_NS6detail17trampoline_kernelINS0_14default_configENS1_27scan_by_key_config_selectorIifEEZZNS1_16scan_by_key_implILNS1_25lookback_scan_determinismE0ELb1ES3_N6thrust23THRUST_200600_302600_NS6detail15normal_iteratorINS9_10device_ptrIiEEEENSB_INSC_IfEEEESG_fNS9_4plusIvEENS9_8equal_toIvEEfEE10hipError_tPvRmT2_T3_T4_T5_mT6_T7_P12ihipStream_tbENKUlT_T0_E_clISt17integral_constantIbLb1EES11_EEDaSW_SX_EUlSW_E_NS1_11comp_targetILNS1_3genE10ELNS1_11target_archE1201ELNS1_3gpuE5ELNS1_3repE0EEENS1_30default_config_static_selectorELNS0_4arch9wavefront6targetE0EEEvT1_
    .private_segment_fixed_size: 0
    .sgpr_count:     0
    .sgpr_spill_count: 0
    .symbol:         _ZN7rocprim17ROCPRIM_400000_NS6detail17trampoline_kernelINS0_14default_configENS1_27scan_by_key_config_selectorIifEEZZNS1_16scan_by_key_implILNS1_25lookback_scan_determinismE0ELb1ES3_N6thrust23THRUST_200600_302600_NS6detail15normal_iteratorINS9_10device_ptrIiEEEENSB_INSC_IfEEEESG_fNS9_4plusIvEENS9_8equal_toIvEEfEE10hipError_tPvRmT2_T3_T4_T5_mT6_T7_P12ihipStream_tbENKUlT_T0_E_clISt17integral_constantIbLb1EES11_EEDaSW_SX_EUlSW_E_NS1_11comp_targetILNS1_3genE10ELNS1_11target_archE1201ELNS1_3gpuE5ELNS1_3repE0EEENS1_30default_config_static_selectorELNS0_4arch9wavefront6targetE0EEEvT1_.kd
    .uniform_work_group_size: 1
    .uses_dynamic_stack: false
    .vgpr_count:     0
    .vgpr_spill_count: 0
    .wavefront_size: 32
    .workgroup_processor_mode: 1
  - .args:
      - .offset:         0
        .size:           112
        .value_kind:     by_value
    .group_segment_fixed_size: 0
    .kernarg_segment_align: 8
    .kernarg_segment_size: 112
    .language:       OpenCL C
    .language_version:
      - 2
      - 0
    .max_flat_workgroup_size: 256
    .name:           _ZN7rocprim17ROCPRIM_400000_NS6detail17trampoline_kernelINS0_14default_configENS1_27scan_by_key_config_selectorIifEEZZNS1_16scan_by_key_implILNS1_25lookback_scan_determinismE0ELb1ES3_N6thrust23THRUST_200600_302600_NS6detail15normal_iteratorINS9_10device_ptrIiEEEENSB_INSC_IfEEEESG_fNS9_4plusIvEENS9_8equal_toIvEEfEE10hipError_tPvRmT2_T3_T4_T5_mT6_T7_P12ihipStream_tbENKUlT_T0_E_clISt17integral_constantIbLb1EES11_EEDaSW_SX_EUlSW_E_NS1_11comp_targetILNS1_3genE5ELNS1_11target_archE942ELNS1_3gpuE9ELNS1_3repE0EEENS1_30default_config_static_selectorELNS0_4arch9wavefront6targetE0EEEvT1_
    .private_segment_fixed_size: 0
    .sgpr_count:     0
    .sgpr_spill_count: 0
    .symbol:         _ZN7rocprim17ROCPRIM_400000_NS6detail17trampoline_kernelINS0_14default_configENS1_27scan_by_key_config_selectorIifEEZZNS1_16scan_by_key_implILNS1_25lookback_scan_determinismE0ELb1ES3_N6thrust23THRUST_200600_302600_NS6detail15normal_iteratorINS9_10device_ptrIiEEEENSB_INSC_IfEEEESG_fNS9_4plusIvEENS9_8equal_toIvEEfEE10hipError_tPvRmT2_T3_T4_T5_mT6_T7_P12ihipStream_tbENKUlT_T0_E_clISt17integral_constantIbLb1EES11_EEDaSW_SX_EUlSW_E_NS1_11comp_targetILNS1_3genE5ELNS1_11target_archE942ELNS1_3gpuE9ELNS1_3repE0EEENS1_30default_config_static_selectorELNS0_4arch9wavefront6targetE0EEEvT1_.kd
    .uniform_work_group_size: 1
    .uses_dynamic_stack: false
    .vgpr_count:     0
    .vgpr_spill_count: 0
    .wavefront_size: 32
    .workgroup_processor_mode: 1
  - .args:
      - .offset:         0
        .size:           112
        .value_kind:     by_value
    .group_segment_fixed_size: 0
    .kernarg_segment_align: 8
    .kernarg_segment_size: 112
    .language:       OpenCL C
    .language_version:
      - 2
      - 0
    .max_flat_workgroup_size: 256
    .name:           _ZN7rocprim17ROCPRIM_400000_NS6detail17trampoline_kernelINS0_14default_configENS1_27scan_by_key_config_selectorIifEEZZNS1_16scan_by_key_implILNS1_25lookback_scan_determinismE0ELb1ES3_N6thrust23THRUST_200600_302600_NS6detail15normal_iteratorINS9_10device_ptrIiEEEENSB_INSC_IfEEEESG_fNS9_4plusIvEENS9_8equal_toIvEEfEE10hipError_tPvRmT2_T3_T4_T5_mT6_T7_P12ihipStream_tbENKUlT_T0_E_clISt17integral_constantIbLb1EES11_EEDaSW_SX_EUlSW_E_NS1_11comp_targetILNS1_3genE4ELNS1_11target_archE910ELNS1_3gpuE8ELNS1_3repE0EEENS1_30default_config_static_selectorELNS0_4arch9wavefront6targetE0EEEvT1_
    .private_segment_fixed_size: 0
    .sgpr_count:     0
    .sgpr_spill_count: 0
    .symbol:         _ZN7rocprim17ROCPRIM_400000_NS6detail17trampoline_kernelINS0_14default_configENS1_27scan_by_key_config_selectorIifEEZZNS1_16scan_by_key_implILNS1_25lookback_scan_determinismE0ELb1ES3_N6thrust23THRUST_200600_302600_NS6detail15normal_iteratorINS9_10device_ptrIiEEEENSB_INSC_IfEEEESG_fNS9_4plusIvEENS9_8equal_toIvEEfEE10hipError_tPvRmT2_T3_T4_T5_mT6_T7_P12ihipStream_tbENKUlT_T0_E_clISt17integral_constantIbLb1EES11_EEDaSW_SX_EUlSW_E_NS1_11comp_targetILNS1_3genE4ELNS1_11target_archE910ELNS1_3gpuE8ELNS1_3repE0EEENS1_30default_config_static_selectorELNS0_4arch9wavefront6targetE0EEEvT1_.kd
    .uniform_work_group_size: 1
    .uses_dynamic_stack: false
    .vgpr_count:     0
    .vgpr_spill_count: 0
    .wavefront_size: 32
    .workgroup_processor_mode: 1
  - .args:
      - .offset:         0
        .size:           112
        .value_kind:     by_value
    .group_segment_fixed_size: 0
    .kernarg_segment_align: 8
    .kernarg_segment_size: 112
    .language:       OpenCL C
    .language_version:
      - 2
      - 0
    .max_flat_workgroup_size: 256
    .name:           _ZN7rocprim17ROCPRIM_400000_NS6detail17trampoline_kernelINS0_14default_configENS1_27scan_by_key_config_selectorIifEEZZNS1_16scan_by_key_implILNS1_25lookback_scan_determinismE0ELb1ES3_N6thrust23THRUST_200600_302600_NS6detail15normal_iteratorINS9_10device_ptrIiEEEENSB_INSC_IfEEEESG_fNS9_4plusIvEENS9_8equal_toIvEEfEE10hipError_tPvRmT2_T3_T4_T5_mT6_T7_P12ihipStream_tbENKUlT_T0_E_clISt17integral_constantIbLb1EES11_EEDaSW_SX_EUlSW_E_NS1_11comp_targetILNS1_3genE3ELNS1_11target_archE908ELNS1_3gpuE7ELNS1_3repE0EEENS1_30default_config_static_selectorELNS0_4arch9wavefront6targetE0EEEvT1_
    .private_segment_fixed_size: 0
    .sgpr_count:     0
    .sgpr_spill_count: 0
    .symbol:         _ZN7rocprim17ROCPRIM_400000_NS6detail17trampoline_kernelINS0_14default_configENS1_27scan_by_key_config_selectorIifEEZZNS1_16scan_by_key_implILNS1_25lookback_scan_determinismE0ELb1ES3_N6thrust23THRUST_200600_302600_NS6detail15normal_iteratorINS9_10device_ptrIiEEEENSB_INSC_IfEEEESG_fNS9_4plusIvEENS9_8equal_toIvEEfEE10hipError_tPvRmT2_T3_T4_T5_mT6_T7_P12ihipStream_tbENKUlT_T0_E_clISt17integral_constantIbLb1EES11_EEDaSW_SX_EUlSW_E_NS1_11comp_targetILNS1_3genE3ELNS1_11target_archE908ELNS1_3gpuE7ELNS1_3repE0EEENS1_30default_config_static_selectorELNS0_4arch9wavefront6targetE0EEEvT1_.kd
    .uniform_work_group_size: 1
    .uses_dynamic_stack: false
    .vgpr_count:     0
    .vgpr_spill_count: 0
    .wavefront_size: 32
    .workgroup_processor_mode: 1
  - .args:
      - .offset:         0
        .size:           112
        .value_kind:     by_value
    .group_segment_fixed_size: 0
    .kernarg_segment_align: 8
    .kernarg_segment_size: 112
    .language:       OpenCL C
    .language_version:
      - 2
      - 0
    .max_flat_workgroup_size: 256
    .name:           _ZN7rocprim17ROCPRIM_400000_NS6detail17trampoline_kernelINS0_14default_configENS1_27scan_by_key_config_selectorIifEEZZNS1_16scan_by_key_implILNS1_25lookback_scan_determinismE0ELb1ES3_N6thrust23THRUST_200600_302600_NS6detail15normal_iteratorINS9_10device_ptrIiEEEENSB_INSC_IfEEEESG_fNS9_4plusIvEENS9_8equal_toIvEEfEE10hipError_tPvRmT2_T3_T4_T5_mT6_T7_P12ihipStream_tbENKUlT_T0_E_clISt17integral_constantIbLb1EES11_EEDaSW_SX_EUlSW_E_NS1_11comp_targetILNS1_3genE2ELNS1_11target_archE906ELNS1_3gpuE6ELNS1_3repE0EEENS1_30default_config_static_selectorELNS0_4arch9wavefront6targetE0EEEvT1_
    .private_segment_fixed_size: 0
    .sgpr_count:     0
    .sgpr_spill_count: 0
    .symbol:         _ZN7rocprim17ROCPRIM_400000_NS6detail17trampoline_kernelINS0_14default_configENS1_27scan_by_key_config_selectorIifEEZZNS1_16scan_by_key_implILNS1_25lookback_scan_determinismE0ELb1ES3_N6thrust23THRUST_200600_302600_NS6detail15normal_iteratorINS9_10device_ptrIiEEEENSB_INSC_IfEEEESG_fNS9_4plusIvEENS9_8equal_toIvEEfEE10hipError_tPvRmT2_T3_T4_T5_mT6_T7_P12ihipStream_tbENKUlT_T0_E_clISt17integral_constantIbLb1EES11_EEDaSW_SX_EUlSW_E_NS1_11comp_targetILNS1_3genE2ELNS1_11target_archE906ELNS1_3gpuE6ELNS1_3repE0EEENS1_30default_config_static_selectorELNS0_4arch9wavefront6targetE0EEEvT1_.kd
    .uniform_work_group_size: 1
    .uses_dynamic_stack: false
    .vgpr_count:     0
    .vgpr_spill_count: 0
    .wavefront_size: 32
    .workgroup_processor_mode: 1
  - .args:
      - .offset:         0
        .size:           112
        .value_kind:     by_value
    .group_segment_fixed_size: 0
    .kernarg_segment_align: 8
    .kernarg_segment_size: 112
    .language:       OpenCL C
    .language_version:
      - 2
      - 0
    .max_flat_workgroup_size: 256
    .name:           _ZN7rocprim17ROCPRIM_400000_NS6detail17trampoline_kernelINS0_14default_configENS1_27scan_by_key_config_selectorIifEEZZNS1_16scan_by_key_implILNS1_25lookback_scan_determinismE0ELb1ES3_N6thrust23THRUST_200600_302600_NS6detail15normal_iteratorINS9_10device_ptrIiEEEENSB_INSC_IfEEEESG_fNS9_4plusIvEENS9_8equal_toIvEEfEE10hipError_tPvRmT2_T3_T4_T5_mT6_T7_P12ihipStream_tbENKUlT_T0_E_clISt17integral_constantIbLb1EES11_EEDaSW_SX_EUlSW_E_NS1_11comp_targetILNS1_3genE10ELNS1_11target_archE1200ELNS1_3gpuE4ELNS1_3repE0EEENS1_30default_config_static_selectorELNS0_4arch9wavefront6targetE0EEEvT1_
    .private_segment_fixed_size: 0
    .sgpr_count:     0
    .sgpr_spill_count: 0
    .symbol:         _ZN7rocprim17ROCPRIM_400000_NS6detail17trampoline_kernelINS0_14default_configENS1_27scan_by_key_config_selectorIifEEZZNS1_16scan_by_key_implILNS1_25lookback_scan_determinismE0ELb1ES3_N6thrust23THRUST_200600_302600_NS6detail15normal_iteratorINS9_10device_ptrIiEEEENSB_INSC_IfEEEESG_fNS9_4plusIvEENS9_8equal_toIvEEfEE10hipError_tPvRmT2_T3_T4_T5_mT6_T7_P12ihipStream_tbENKUlT_T0_E_clISt17integral_constantIbLb1EES11_EEDaSW_SX_EUlSW_E_NS1_11comp_targetILNS1_3genE10ELNS1_11target_archE1200ELNS1_3gpuE4ELNS1_3repE0EEENS1_30default_config_static_selectorELNS0_4arch9wavefront6targetE0EEEvT1_.kd
    .uniform_work_group_size: 1
    .uses_dynamic_stack: false
    .vgpr_count:     0
    .vgpr_spill_count: 0
    .wavefront_size: 32
    .workgroup_processor_mode: 1
  - .args:
      - .offset:         0
        .size:           112
        .value_kind:     by_value
    .group_segment_fixed_size: 0
    .kernarg_segment_align: 8
    .kernarg_segment_size: 112
    .language:       OpenCL C
    .language_version:
      - 2
      - 0
    .max_flat_workgroup_size: 256
    .name:           _ZN7rocprim17ROCPRIM_400000_NS6detail17trampoline_kernelINS0_14default_configENS1_27scan_by_key_config_selectorIifEEZZNS1_16scan_by_key_implILNS1_25lookback_scan_determinismE0ELb1ES3_N6thrust23THRUST_200600_302600_NS6detail15normal_iteratorINS9_10device_ptrIiEEEENSB_INSC_IfEEEESG_fNS9_4plusIvEENS9_8equal_toIvEEfEE10hipError_tPvRmT2_T3_T4_T5_mT6_T7_P12ihipStream_tbENKUlT_T0_E_clISt17integral_constantIbLb1EES11_EEDaSW_SX_EUlSW_E_NS1_11comp_targetILNS1_3genE9ELNS1_11target_archE1100ELNS1_3gpuE3ELNS1_3repE0EEENS1_30default_config_static_selectorELNS0_4arch9wavefront6targetE0EEEvT1_
    .private_segment_fixed_size: 0
    .sgpr_count:     0
    .sgpr_spill_count: 0
    .symbol:         _ZN7rocprim17ROCPRIM_400000_NS6detail17trampoline_kernelINS0_14default_configENS1_27scan_by_key_config_selectorIifEEZZNS1_16scan_by_key_implILNS1_25lookback_scan_determinismE0ELb1ES3_N6thrust23THRUST_200600_302600_NS6detail15normal_iteratorINS9_10device_ptrIiEEEENSB_INSC_IfEEEESG_fNS9_4plusIvEENS9_8equal_toIvEEfEE10hipError_tPvRmT2_T3_T4_T5_mT6_T7_P12ihipStream_tbENKUlT_T0_E_clISt17integral_constantIbLb1EES11_EEDaSW_SX_EUlSW_E_NS1_11comp_targetILNS1_3genE9ELNS1_11target_archE1100ELNS1_3gpuE3ELNS1_3repE0EEENS1_30default_config_static_selectorELNS0_4arch9wavefront6targetE0EEEvT1_.kd
    .uniform_work_group_size: 1
    .uses_dynamic_stack: false
    .vgpr_count:     0
    .vgpr_spill_count: 0
    .wavefront_size: 32
    .workgroup_processor_mode: 1
  - .args:
      - .offset:         0
        .size:           112
        .value_kind:     by_value
    .group_segment_fixed_size: 0
    .kernarg_segment_align: 8
    .kernarg_segment_size: 112
    .language:       OpenCL C
    .language_version:
      - 2
      - 0
    .max_flat_workgroup_size: 256
    .name:           _ZN7rocprim17ROCPRIM_400000_NS6detail17trampoline_kernelINS0_14default_configENS1_27scan_by_key_config_selectorIifEEZZNS1_16scan_by_key_implILNS1_25lookback_scan_determinismE0ELb1ES3_N6thrust23THRUST_200600_302600_NS6detail15normal_iteratorINS9_10device_ptrIiEEEENSB_INSC_IfEEEESG_fNS9_4plusIvEENS9_8equal_toIvEEfEE10hipError_tPvRmT2_T3_T4_T5_mT6_T7_P12ihipStream_tbENKUlT_T0_E_clISt17integral_constantIbLb1EES11_EEDaSW_SX_EUlSW_E_NS1_11comp_targetILNS1_3genE8ELNS1_11target_archE1030ELNS1_3gpuE2ELNS1_3repE0EEENS1_30default_config_static_selectorELNS0_4arch9wavefront6targetE0EEEvT1_
    .private_segment_fixed_size: 0
    .sgpr_count:     0
    .sgpr_spill_count: 0
    .symbol:         _ZN7rocprim17ROCPRIM_400000_NS6detail17trampoline_kernelINS0_14default_configENS1_27scan_by_key_config_selectorIifEEZZNS1_16scan_by_key_implILNS1_25lookback_scan_determinismE0ELb1ES3_N6thrust23THRUST_200600_302600_NS6detail15normal_iteratorINS9_10device_ptrIiEEEENSB_INSC_IfEEEESG_fNS9_4plusIvEENS9_8equal_toIvEEfEE10hipError_tPvRmT2_T3_T4_T5_mT6_T7_P12ihipStream_tbENKUlT_T0_E_clISt17integral_constantIbLb1EES11_EEDaSW_SX_EUlSW_E_NS1_11comp_targetILNS1_3genE8ELNS1_11target_archE1030ELNS1_3gpuE2ELNS1_3repE0EEENS1_30default_config_static_selectorELNS0_4arch9wavefront6targetE0EEEvT1_.kd
    .uniform_work_group_size: 1
    .uses_dynamic_stack: false
    .vgpr_count:     0
    .vgpr_spill_count: 0
    .wavefront_size: 32
    .workgroup_processor_mode: 1
  - .args:
      - .offset:         0
        .size:           112
        .value_kind:     by_value
    .group_segment_fixed_size: 0
    .kernarg_segment_align: 8
    .kernarg_segment_size: 112
    .language:       OpenCL C
    .language_version:
      - 2
      - 0
    .max_flat_workgroup_size: 256
    .name:           _ZN7rocprim17ROCPRIM_400000_NS6detail17trampoline_kernelINS0_14default_configENS1_27scan_by_key_config_selectorIifEEZZNS1_16scan_by_key_implILNS1_25lookback_scan_determinismE0ELb1ES3_N6thrust23THRUST_200600_302600_NS6detail15normal_iteratorINS9_10device_ptrIiEEEENSB_INSC_IfEEEESG_fNS9_4plusIvEENS9_8equal_toIvEEfEE10hipError_tPvRmT2_T3_T4_T5_mT6_T7_P12ihipStream_tbENKUlT_T0_E_clISt17integral_constantIbLb1EES10_IbLb0EEEEDaSW_SX_EUlSW_E_NS1_11comp_targetILNS1_3genE0ELNS1_11target_archE4294967295ELNS1_3gpuE0ELNS1_3repE0EEENS1_30default_config_static_selectorELNS0_4arch9wavefront6targetE0EEEvT1_
    .private_segment_fixed_size: 0
    .sgpr_count:     0
    .sgpr_spill_count: 0
    .symbol:         _ZN7rocprim17ROCPRIM_400000_NS6detail17trampoline_kernelINS0_14default_configENS1_27scan_by_key_config_selectorIifEEZZNS1_16scan_by_key_implILNS1_25lookback_scan_determinismE0ELb1ES3_N6thrust23THRUST_200600_302600_NS6detail15normal_iteratorINS9_10device_ptrIiEEEENSB_INSC_IfEEEESG_fNS9_4plusIvEENS9_8equal_toIvEEfEE10hipError_tPvRmT2_T3_T4_T5_mT6_T7_P12ihipStream_tbENKUlT_T0_E_clISt17integral_constantIbLb1EES10_IbLb0EEEEDaSW_SX_EUlSW_E_NS1_11comp_targetILNS1_3genE0ELNS1_11target_archE4294967295ELNS1_3gpuE0ELNS1_3repE0EEENS1_30default_config_static_selectorELNS0_4arch9wavefront6targetE0EEEvT1_.kd
    .uniform_work_group_size: 1
    .uses_dynamic_stack: false
    .vgpr_count:     0
    .vgpr_spill_count: 0
    .wavefront_size: 32
    .workgroup_processor_mode: 1
  - .args:
      - .offset:         0
        .size:           112
        .value_kind:     by_value
    .group_segment_fixed_size: 0
    .kernarg_segment_align: 8
    .kernarg_segment_size: 112
    .language:       OpenCL C
    .language_version:
      - 2
      - 0
    .max_flat_workgroup_size: 256
    .name:           _ZN7rocprim17ROCPRIM_400000_NS6detail17trampoline_kernelINS0_14default_configENS1_27scan_by_key_config_selectorIifEEZZNS1_16scan_by_key_implILNS1_25lookback_scan_determinismE0ELb1ES3_N6thrust23THRUST_200600_302600_NS6detail15normal_iteratorINS9_10device_ptrIiEEEENSB_INSC_IfEEEESG_fNS9_4plusIvEENS9_8equal_toIvEEfEE10hipError_tPvRmT2_T3_T4_T5_mT6_T7_P12ihipStream_tbENKUlT_T0_E_clISt17integral_constantIbLb1EES10_IbLb0EEEEDaSW_SX_EUlSW_E_NS1_11comp_targetILNS1_3genE10ELNS1_11target_archE1201ELNS1_3gpuE5ELNS1_3repE0EEENS1_30default_config_static_selectorELNS0_4arch9wavefront6targetE0EEEvT1_
    .private_segment_fixed_size: 0
    .sgpr_count:     0
    .sgpr_spill_count: 0
    .symbol:         _ZN7rocprim17ROCPRIM_400000_NS6detail17trampoline_kernelINS0_14default_configENS1_27scan_by_key_config_selectorIifEEZZNS1_16scan_by_key_implILNS1_25lookback_scan_determinismE0ELb1ES3_N6thrust23THRUST_200600_302600_NS6detail15normal_iteratorINS9_10device_ptrIiEEEENSB_INSC_IfEEEESG_fNS9_4plusIvEENS9_8equal_toIvEEfEE10hipError_tPvRmT2_T3_T4_T5_mT6_T7_P12ihipStream_tbENKUlT_T0_E_clISt17integral_constantIbLb1EES10_IbLb0EEEEDaSW_SX_EUlSW_E_NS1_11comp_targetILNS1_3genE10ELNS1_11target_archE1201ELNS1_3gpuE5ELNS1_3repE0EEENS1_30default_config_static_selectorELNS0_4arch9wavefront6targetE0EEEvT1_.kd
    .uniform_work_group_size: 1
    .uses_dynamic_stack: false
    .vgpr_count:     0
    .vgpr_spill_count: 0
    .wavefront_size: 32
    .workgroup_processor_mode: 1
  - .args:
      - .offset:         0
        .size:           112
        .value_kind:     by_value
    .group_segment_fixed_size: 0
    .kernarg_segment_align: 8
    .kernarg_segment_size: 112
    .language:       OpenCL C
    .language_version:
      - 2
      - 0
    .max_flat_workgroup_size: 256
    .name:           _ZN7rocprim17ROCPRIM_400000_NS6detail17trampoline_kernelINS0_14default_configENS1_27scan_by_key_config_selectorIifEEZZNS1_16scan_by_key_implILNS1_25lookback_scan_determinismE0ELb1ES3_N6thrust23THRUST_200600_302600_NS6detail15normal_iteratorINS9_10device_ptrIiEEEENSB_INSC_IfEEEESG_fNS9_4plusIvEENS9_8equal_toIvEEfEE10hipError_tPvRmT2_T3_T4_T5_mT6_T7_P12ihipStream_tbENKUlT_T0_E_clISt17integral_constantIbLb1EES10_IbLb0EEEEDaSW_SX_EUlSW_E_NS1_11comp_targetILNS1_3genE5ELNS1_11target_archE942ELNS1_3gpuE9ELNS1_3repE0EEENS1_30default_config_static_selectorELNS0_4arch9wavefront6targetE0EEEvT1_
    .private_segment_fixed_size: 0
    .sgpr_count:     0
    .sgpr_spill_count: 0
    .symbol:         _ZN7rocprim17ROCPRIM_400000_NS6detail17trampoline_kernelINS0_14default_configENS1_27scan_by_key_config_selectorIifEEZZNS1_16scan_by_key_implILNS1_25lookback_scan_determinismE0ELb1ES3_N6thrust23THRUST_200600_302600_NS6detail15normal_iteratorINS9_10device_ptrIiEEEENSB_INSC_IfEEEESG_fNS9_4plusIvEENS9_8equal_toIvEEfEE10hipError_tPvRmT2_T3_T4_T5_mT6_T7_P12ihipStream_tbENKUlT_T0_E_clISt17integral_constantIbLb1EES10_IbLb0EEEEDaSW_SX_EUlSW_E_NS1_11comp_targetILNS1_3genE5ELNS1_11target_archE942ELNS1_3gpuE9ELNS1_3repE0EEENS1_30default_config_static_selectorELNS0_4arch9wavefront6targetE0EEEvT1_.kd
    .uniform_work_group_size: 1
    .uses_dynamic_stack: false
    .vgpr_count:     0
    .vgpr_spill_count: 0
    .wavefront_size: 32
    .workgroup_processor_mode: 1
  - .args:
      - .offset:         0
        .size:           112
        .value_kind:     by_value
    .group_segment_fixed_size: 0
    .kernarg_segment_align: 8
    .kernarg_segment_size: 112
    .language:       OpenCL C
    .language_version:
      - 2
      - 0
    .max_flat_workgroup_size: 256
    .name:           _ZN7rocprim17ROCPRIM_400000_NS6detail17trampoline_kernelINS0_14default_configENS1_27scan_by_key_config_selectorIifEEZZNS1_16scan_by_key_implILNS1_25lookback_scan_determinismE0ELb1ES3_N6thrust23THRUST_200600_302600_NS6detail15normal_iteratorINS9_10device_ptrIiEEEENSB_INSC_IfEEEESG_fNS9_4plusIvEENS9_8equal_toIvEEfEE10hipError_tPvRmT2_T3_T4_T5_mT6_T7_P12ihipStream_tbENKUlT_T0_E_clISt17integral_constantIbLb1EES10_IbLb0EEEEDaSW_SX_EUlSW_E_NS1_11comp_targetILNS1_3genE4ELNS1_11target_archE910ELNS1_3gpuE8ELNS1_3repE0EEENS1_30default_config_static_selectorELNS0_4arch9wavefront6targetE0EEEvT1_
    .private_segment_fixed_size: 0
    .sgpr_count:     0
    .sgpr_spill_count: 0
    .symbol:         _ZN7rocprim17ROCPRIM_400000_NS6detail17trampoline_kernelINS0_14default_configENS1_27scan_by_key_config_selectorIifEEZZNS1_16scan_by_key_implILNS1_25lookback_scan_determinismE0ELb1ES3_N6thrust23THRUST_200600_302600_NS6detail15normal_iteratorINS9_10device_ptrIiEEEENSB_INSC_IfEEEESG_fNS9_4plusIvEENS9_8equal_toIvEEfEE10hipError_tPvRmT2_T3_T4_T5_mT6_T7_P12ihipStream_tbENKUlT_T0_E_clISt17integral_constantIbLb1EES10_IbLb0EEEEDaSW_SX_EUlSW_E_NS1_11comp_targetILNS1_3genE4ELNS1_11target_archE910ELNS1_3gpuE8ELNS1_3repE0EEENS1_30default_config_static_selectorELNS0_4arch9wavefront6targetE0EEEvT1_.kd
    .uniform_work_group_size: 1
    .uses_dynamic_stack: false
    .vgpr_count:     0
    .vgpr_spill_count: 0
    .wavefront_size: 32
    .workgroup_processor_mode: 1
  - .args:
      - .offset:         0
        .size:           112
        .value_kind:     by_value
    .group_segment_fixed_size: 0
    .kernarg_segment_align: 8
    .kernarg_segment_size: 112
    .language:       OpenCL C
    .language_version:
      - 2
      - 0
    .max_flat_workgroup_size: 256
    .name:           _ZN7rocprim17ROCPRIM_400000_NS6detail17trampoline_kernelINS0_14default_configENS1_27scan_by_key_config_selectorIifEEZZNS1_16scan_by_key_implILNS1_25lookback_scan_determinismE0ELb1ES3_N6thrust23THRUST_200600_302600_NS6detail15normal_iteratorINS9_10device_ptrIiEEEENSB_INSC_IfEEEESG_fNS9_4plusIvEENS9_8equal_toIvEEfEE10hipError_tPvRmT2_T3_T4_T5_mT6_T7_P12ihipStream_tbENKUlT_T0_E_clISt17integral_constantIbLb1EES10_IbLb0EEEEDaSW_SX_EUlSW_E_NS1_11comp_targetILNS1_3genE3ELNS1_11target_archE908ELNS1_3gpuE7ELNS1_3repE0EEENS1_30default_config_static_selectorELNS0_4arch9wavefront6targetE0EEEvT1_
    .private_segment_fixed_size: 0
    .sgpr_count:     0
    .sgpr_spill_count: 0
    .symbol:         _ZN7rocprim17ROCPRIM_400000_NS6detail17trampoline_kernelINS0_14default_configENS1_27scan_by_key_config_selectorIifEEZZNS1_16scan_by_key_implILNS1_25lookback_scan_determinismE0ELb1ES3_N6thrust23THRUST_200600_302600_NS6detail15normal_iteratorINS9_10device_ptrIiEEEENSB_INSC_IfEEEESG_fNS9_4plusIvEENS9_8equal_toIvEEfEE10hipError_tPvRmT2_T3_T4_T5_mT6_T7_P12ihipStream_tbENKUlT_T0_E_clISt17integral_constantIbLb1EES10_IbLb0EEEEDaSW_SX_EUlSW_E_NS1_11comp_targetILNS1_3genE3ELNS1_11target_archE908ELNS1_3gpuE7ELNS1_3repE0EEENS1_30default_config_static_selectorELNS0_4arch9wavefront6targetE0EEEvT1_.kd
    .uniform_work_group_size: 1
    .uses_dynamic_stack: false
    .vgpr_count:     0
    .vgpr_spill_count: 0
    .wavefront_size: 32
    .workgroup_processor_mode: 1
  - .args:
      - .offset:         0
        .size:           112
        .value_kind:     by_value
    .group_segment_fixed_size: 0
    .kernarg_segment_align: 8
    .kernarg_segment_size: 112
    .language:       OpenCL C
    .language_version:
      - 2
      - 0
    .max_flat_workgroup_size: 256
    .name:           _ZN7rocprim17ROCPRIM_400000_NS6detail17trampoline_kernelINS0_14default_configENS1_27scan_by_key_config_selectorIifEEZZNS1_16scan_by_key_implILNS1_25lookback_scan_determinismE0ELb1ES3_N6thrust23THRUST_200600_302600_NS6detail15normal_iteratorINS9_10device_ptrIiEEEENSB_INSC_IfEEEESG_fNS9_4plusIvEENS9_8equal_toIvEEfEE10hipError_tPvRmT2_T3_T4_T5_mT6_T7_P12ihipStream_tbENKUlT_T0_E_clISt17integral_constantIbLb1EES10_IbLb0EEEEDaSW_SX_EUlSW_E_NS1_11comp_targetILNS1_3genE2ELNS1_11target_archE906ELNS1_3gpuE6ELNS1_3repE0EEENS1_30default_config_static_selectorELNS0_4arch9wavefront6targetE0EEEvT1_
    .private_segment_fixed_size: 0
    .sgpr_count:     0
    .sgpr_spill_count: 0
    .symbol:         _ZN7rocprim17ROCPRIM_400000_NS6detail17trampoline_kernelINS0_14default_configENS1_27scan_by_key_config_selectorIifEEZZNS1_16scan_by_key_implILNS1_25lookback_scan_determinismE0ELb1ES3_N6thrust23THRUST_200600_302600_NS6detail15normal_iteratorINS9_10device_ptrIiEEEENSB_INSC_IfEEEESG_fNS9_4plusIvEENS9_8equal_toIvEEfEE10hipError_tPvRmT2_T3_T4_T5_mT6_T7_P12ihipStream_tbENKUlT_T0_E_clISt17integral_constantIbLb1EES10_IbLb0EEEEDaSW_SX_EUlSW_E_NS1_11comp_targetILNS1_3genE2ELNS1_11target_archE906ELNS1_3gpuE6ELNS1_3repE0EEENS1_30default_config_static_selectorELNS0_4arch9wavefront6targetE0EEEvT1_.kd
    .uniform_work_group_size: 1
    .uses_dynamic_stack: false
    .vgpr_count:     0
    .vgpr_spill_count: 0
    .wavefront_size: 32
    .workgroup_processor_mode: 1
  - .args:
      - .offset:         0
        .size:           112
        .value_kind:     by_value
    .group_segment_fixed_size: 0
    .kernarg_segment_align: 8
    .kernarg_segment_size: 112
    .language:       OpenCL C
    .language_version:
      - 2
      - 0
    .max_flat_workgroup_size: 256
    .name:           _ZN7rocprim17ROCPRIM_400000_NS6detail17trampoline_kernelINS0_14default_configENS1_27scan_by_key_config_selectorIifEEZZNS1_16scan_by_key_implILNS1_25lookback_scan_determinismE0ELb1ES3_N6thrust23THRUST_200600_302600_NS6detail15normal_iteratorINS9_10device_ptrIiEEEENSB_INSC_IfEEEESG_fNS9_4plusIvEENS9_8equal_toIvEEfEE10hipError_tPvRmT2_T3_T4_T5_mT6_T7_P12ihipStream_tbENKUlT_T0_E_clISt17integral_constantIbLb1EES10_IbLb0EEEEDaSW_SX_EUlSW_E_NS1_11comp_targetILNS1_3genE10ELNS1_11target_archE1200ELNS1_3gpuE4ELNS1_3repE0EEENS1_30default_config_static_selectorELNS0_4arch9wavefront6targetE0EEEvT1_
    .private_segment_fixed_size: 0
    .sgpr_count:     0
    .sgpr_spill_count: 0
    .symbol:         _ZN7rocprim17ROCPRIM_400000_NS6detail17trampoline_kernelINS0_14default_configENS1_27scan_by_key_config_selectorIifEEZZNS1_16scan_by_key_implILNS1_25lookback_scan_determinismE0ELb1ES3_N6thrust23THRUST_200600_302600_NS6detail15normal_iteratorINS9_10device_ptrIiEEEENSB_INSC_IfEEEESG_fNS9_4plusIvEENS9_8equal_toIvEEfEE10hipError_tPvRmT2_T3_T4_T5_mT6_T7_P12ihipStream_tbENKUlT_T0_E_clISt17integral_constantIbLb1EES10_IbLb0EEEEDaSW_SX_EUlSW_E_NS1_11comp_targetILNS1_3genE10ELNS1_11target_archE1200ELNS1_3gpuE4ELNS1_3repE0EEENS1_30default_config_static_selectorELNS0_4arch9wavefront6targetE0EEEvT1_.kd
    .uniform_work_group_size: 1
    .uses_dynamic_stack: false
    .vgpr_count:     0
    .vgpr_spill_count: 0
    .wavefront_size: 32
    .workgroup_processor_mode: 1
  - .args:
      - .offset:         0
        .size:           112
        .value_kind:     by_value
    .group_segment_fixed_size: 0
    .kernarg_segment_align: 8
    .kernarg_segment_size: 112
    .language:       OpenCL C
    .language_version:
      - 2
      - 0
    .max_flat_workgroup_size: 256
    .name:           _ZN7rocprim17ROCPRIM_400000_NS6detail17trampoline_kernelINS0_14default_configENS1_27scan_by_key_config_selectorIifEEZZNS1_16scan_by_key_implILNS1_25lookback_scan_determinismE0ELb1ES3_N6thrust23THRUST_200600_302600_NS6detail15normal_iteratorINS9_10device_ptrIiEEEENSB_INSC_IfEEEESG_fNS9_4plusIvEENS9_8equal_toIvEEfEE10hipError_tPvRmT2_T3_T4_T5_mT6_T7_P12ihipStream_tbENKUlT_T0_E_clISt17integral_constantIbLb1EES10_IbLb0EEEEDaSW_SX_EUlSW_E_NS1_11comp_targetILNS1_3genE9ELNS1_11target_archE1100ELNS1_3gpuE3ELNS1_3repE0EEENS1_30default_config_static_selectorELNS0_4arch9wavefront6targetE0EEEvT1_
    .private_segment_fixed_size: 0
    .sgpr_count:     0
    .sgpr_spill_count: 0
    .symbol:         _ZN7rocprim17ROCPRIM_400000_NS6detail17trampoline_kernelINS0_14default_configENS1_27scan_by_key_config_selectorIifEEZZNS1_16scan_by_key_implILNS1_25lookback_scan_determinismE0ELb1ES3_N6thrust23THRUST_200600_302600_NS6detail15normal_iteratorINS9_10device_ptrIiEEEENSB_INSC_IfEEEESG_fNS9_4plusIvEENS9_8equal_toIvEEfEE10hipError_tPvRmT2_T3_T4_T5_mT6_T7_P12ihipStream_tbENKUlT_T0_E_clISt17integral_constantIbLb1EES10_IbLb0EEEEDaSW_SX_EUlSW_E_NS1_11comp_targetILNS1_3genE9ELNS1_11target_archE1100ELNS1_3gpuE3ELNS1_3repE0EEENS1_30default_config_static_selectorELNS0_4arch9wavefront6targetE0EEEvT1_.kd
    .uniform_work_group_size: 1
    .uses_dynamic_stack: false
    .vgpr_count:     0
    .vgpr_spill_count: 0
    .wavefront_size: 32
    .workgroup_processor_mode: 1
  - .args:
      - .offset:         0
        .size:           112
        .value_kind:     by_value
    .group_segment_fixed_size: 0
    .kernarg_segment_align: 8
    .kernarg_segment_size: 112
    .language:       OpenCL C
    .language_version:
      - 2
      - 0
    .max_flat_workgroup_size: 256
    .name:           _ZN7rocprim17ROCPRIM_400000_NS6detail17trampoline_kernelINS0_14default_configENS1_27scan_by_key_config_selectorIifEEZZNS1_16scan_by_key_implILNS1_25lookback_scan_determinismE0ELb1ES3_N6thrust23THRUST_200600_302600_NS6detail15normal_iteratorINS9_10device_ptrIiEEEENSB_INSC_IfEEEESG_fNS9_4plusIvEENS9_8equal_toIvEEfEE10hipError_tPvRmT2_T3_T4_T5_mT6_T7_P12ihipStream_tbENKUlT_T0_E_clISt17integral_constantIbLb1EES10_IbLb0EEEEDaSW_SX_EUlSW_E_NS1_11comp_targetILNS1_3genE8ELNS1_11target_archE1030ELNS1_3gpuE2ELNS1_3repE0EEENS1_30default_config_static_selectorELNS0_4arch9wavefront6targetE0EEEvT1_
    .private_segment_fixed_size: 0
    .sgpr_count:     0
    .sgpr_spill_count: 0
    .symbol:         _ZN7rocprim17ROCPRIM_400000_NS6detail17trampoline_kernelINS0_14default_configENS1_27scan_by_key_config_selectorIifEEZZNS1_16scan_by_key_implILNS1_25lookback_scan_determinismE0ELb1ES3_N6thrust23THRUST_200600_302600_NS6detail15normal_iteratorINS9_10device_ptrIiEEEENSB_INSC_IfEEEESG_fNS9_4plusIvEENS9_8equal_toIvEEfEE10hipError_tPvRmT2_T3_T4_T5_mT6_T7_P12ihipStream_tbENKUlT_T0_E_clISt17integral_constantIbLb1EES10_IbLb0EEEEDaSW_SX_EUlSW_E_NS1_11comp_targetILNS1_3genE8ELNS1_11target_archE1030ELNS1_3gpuE2ELNS1_3repE0EEENS1_30default_config_static_selectorELNS0_4arch9wavefront6targetE0EEEvT1_.kd
    .uniform_work_group_size: 1
    .uses_dynamic_stack: false
    .vgpr_count:     0
    .vgpr_spill_count: 0
    .wavefront_size: 32
    .workgroup_processor_mode: 1
  - .args:
      - .offset:         0
        .size:           112
        .value_kind:     by_value
    .group_segment_fixed_size: 0
    .kernarg_segment_align: 8
    .kernarg_segment_size: 112
    .language:       OpenCL C
    .language_version:
      - 2
      - 0
    .max_flat_workgroup_size: 256
    .name:           _ZN7rocprim17ROCPRIM_400000_NS6detail17trampoline_kernelINS0_14default_configENS1_27scan_by_key_config_selectorIifEEZZNS1_16scan_by_key_implILNS1_25lookback_scan_determinismE0ELb1ES3_N6thrust23THRUST_200600_302600_NS6detail15normal_iteratorINS9_10device_ptrIiEEEENSB_INSC_IfEEEESG_fNS9_4plusIvEENS9_8equal_toIvEEfEE10hipError_tPvRmT2_T3_T4_T5_mT6_T7_P12ihipStream_tbENKUlT_T0_E_clISt17integral_constantIbLb0EES10_IbLb1EEEEDaSW_SX_EUlSW_E_NS1_11comp_targetILNS1_3genE0ELNS1_11target_archE4294967295ELNS1_3gpuE0ELNS1_3repE0EEENS1_30default_config_static_selectorELNS0_4arch9wavefront6targetE0EEEvT1_
    .private_segment_fixed_size: 0
    .sgpr_count:     0
    .sgpr_spill_count: 0
    .symbol:         _ZN7rocprim17ROCPRIM_400000_NS6detail17trampoline_kernelINS0_14default_configENS1_27scan_by_key_config_selectorIifEEZZNS1_16scan_by_key_implILNS1_25lookback_scan_determinismE0ELb1ES3_N6thrust23THRUST_200600_302600_NS6detail15normal_iteratorINS9_10device_ptrIiEEEENSB_INSC_IfEEEESG_fNS9_4plusIvEENS9_8equal_toIvEEfEE10hipError_tPvRmT2_T3_T4_T5_mT6_T7_P12ihipStream_tbENKUlT_T0_E_clISt17integral_constantIbLb0EES10_IbLb1EEEEDaSW_SX_EUlSW_E_NS1_11comp_targetILNS1_3genE0ELNS1_11target_archE4294967295ELNS1_3gpuE0ELNS1_3repE0EEENS1_30default_config_static_selectorELNS0_4arch9wavefront6targetE0EEEvT1_.kd
    .uniform_work_group_size: 1
    .uses_dynamic_stack: false
    .vgpr_count:     0
    .vgpr_spill_count: 0
    .wavefront_size: 32
    .workgroup_processor_mode: 1
  - .args:
      - .offset:         0
        .size:           112
        .value_kind:     by_value
    .group_segment_fixed_size: 0
    .kernarg_segment_align: 8
    .kernarg_segment_size: 112
    .language:       OpenCL C
    .language_version:
      - 2
      - 0
    .max_flat_workgroup_size: 256
    .name:           _ZN7rocprim17ROCPRIM_400000_NS6detail17trampoline_kernelINS0_14default_configENS1_27scan_by_key_config_selectorIifEEZZNS1_16scan_by_key_implILNS1_25lookback_scan_determinismE0ELb1ES3_N6thrust23THRUST_200600_302600_NS6detail15normal_iteratorINS9_10device_ptrIiEEEENSB_INSC_IfEEEESG_fNS9_4plusIvEENS9_8equal_toIvEEfEE10hipError_tPvRmT2_T3_T4_T5_mT6_T7_P12ihipStream_tbENKUlT_T0_E_clISt17integral_constantIbLb0EES10_IbLb1EEEEDaSW_SX_EUlSW_E_NS1_11comp_targetILNS1_3genE10ELNS1_11target_archE1201ELNS1_3gpuE5ELNS1_3repE0EEENS1_30default_config_static_selectorELNS0_4arch9wavefront6targetE0EEEvT1_
    .private_segment_fixed_size: 0
    .sgpr_count:     0
    .sgpr_spill_count: 0
    .symbol:         _ZN7rocprim17ROCPRIM_400000_NS6detail17trampoline_kernelINS0_14default_configENS1_27scan_by_key_config_selectorIifEEZZNS1_16scan_by_key_implILNS1_25lookback_scan_determinismE0ELb1ES3_N6thrust23THRUST_200600_302600_NS6detail15normal_iteratorINS9_10device_ptrIiEEEENSB_INSC_IfEEEESG_fNS9_4plusIvEENS9_8equal_toIvEEfEE10hipError_tPvRmT2_T3_T4_T5_mT6_T7_P12ihipStream_tbENKUlT_T0_E_clISt17integral_constantIbLb0EES10_IbLb1EEEEDaSW_SX_EUlSW_E_NS1_11comp_targetILNS1_3genE10ELNS1_11target_archE1201ELNS1_3gpuE5ELNS1_3repE0EEENS1_30default_config_static_selectorELNS0_4arch9wavefront6targetE0EEEvT1_.kd
    .uniform_work_group_size: 1
    .uses_dynamic_stack: false
    .vgpr_count:     0
    .vgpr_spill_count: 0
    .wavefront_size: 32
    .workgroup_processor_mode: 1
  - .args:
      - .offset:         0
        .size:           112
        .value_kind:     by_value
    .group_segment_fixed_size: 0
    .kernarg_segment_align: 8
    .kernarg_segment_size: 112
    .language:       OpenCL C
    .language_version:
      - 2
      - 0
    .max_flat_workgroup_size: 256
    .name:           _ZN7rocprim17ROCPRIM_400000_NS6detail17trampoline_kernelINS0_14default_configENS1_27scan_by_key_config_selectorIifEEZZNS1_16scan_by_key_implILNS1_25lookback_scan_determinismE0ELb1ES3_N6thrust23THRUST_200600_302600_NS6detail15normal_iteratorINS9_10device_ptrIiEEEENSB_INSC_IfEEEESG_fNS9_4plusIvEENS9_8equal_toIvEEfEE10hipError_tPvRmT2_T3_T4_T5_mT6_T7_P12ihipStream_tbENKUlT_T0_E_clISt17integral_constantIbLb0EES10_IbLb1EEEEDaSW_SX_EUlSW_E_NS1_11comp_targetILNS1_3genE5ELNS1_11target_archE942ELNS1_3gpuE9ELNS1_3repE0EEENS1_30default_config_static_selectorELNS0_4arch9wavefront6targetE0EEEvT1_
    .private_segment_fixed_size: 0
    .sgpr_count:     0
    .sgpr_spill_count: 0
    .symbol:         _ZN7rocprim17ROCPRIM_400000_NS6detail17trampoline_kernelINS0_14default_configENS1_27scan_by_key_config_selectorIifEEZZNS1_16scan_by_key_implILNS1_25lookback_scan_determinismE0ELb1ES3_N6thrust23THRUST_200600_302600_NS6detail15normal_iteratorINS9_10device_ptrIiEEEENSB_INSC_IfEEEESG_fNS9_4plusIvEENS9_8equal_toIvEEfEE10hipError_tPvRmT2_T3_T4_T5_mT6_T7_P12ihipStream_tbENKUlT_T0_E_clISt17integral_constantIbLb0EES10_IbLb1EEEEDaSW_SX_EUlSW_E_NS1_11comp_targetILNS1_3genE5ELNS1_11target_archE942ELNS1_3gpuE9ELNS1_3repE0EEENS1_30default_config_static_selectorELNS0_4arch9wavefront6targetE0EEEvT1_.kd
    .uniform_work_group_size: 1
    .uses_dynamic_stack: false
    .vgpr_count:     0
    .vgpr_spill_count: 0
    .wavefront_size: 32
    .workgroup_processor_mode: 1
  - .args:
      - .offset:         0
        .size:           112
        .value_kind:     by_value
    .group_segment_fixed_size: 0
    .kernarg_segment_align: 8
    .kernarg_segment_size: 112
    .language:       OpenCL C
    .language_version:
      - 2
      - 0
    .max_flat_workgroup_size: 256
    .name:           _ZN7rocprim17ROCPRIM_400000_NS6detail17trampoline_kernelINS0_14default_configENS1_27scan_by_key_config_selectorIifEEZZNS1_16scan_by_key_implILNS1_25lookback_scan_determinismE0ELb1ES3_N6thrust23THRUST_200600_302600_NS6detail15normal_iteratorINS9_10device_ptrIiEEEENSB_INSC_IfEEEESG_fNS9_4plusIvEENS9_8equal_toIvEEfEE10hipError_tPvRmT2_T3_T4_T5_mT6_T7_P12ihipStream_tbENKUlT_T0_E_clISt17integral_constantIbLb0EES10_IbLb1EEEEDaSW_SX_EUlSW_E_NS1_11comp_targetILNS1_3genE4ELNS1_11target_archE910ELNS1_3gpuE8ELNS1_3repE0EEENS1_30default_config_static_selectorELNS0_4arch9wavefront6targetE0EEEvT1_
    .private_segment_fixed_size: 0
    .sgpr_count:     0
    .sgpr_spill_count: 0
    .symbol:         _ZN7rocprim17ROCPRIM_400000_NS6detail17trampoline_kernelINS0_14default_configENS1_27scan_by_key_config_selectorIifEEZZNS1_16scan_by_key_implILNS1_25lookback_scan_determinismE0ELb1ES3_N6thrust23THRUST_200600_302600_NS6detail15normal_iteratorINS9_10device_ptrIiEEEENSB_INSC_IfEEEESG_fNS9_4plusIvEENS9_8equal_toIvEEfEE10hipError_tPvRmT2_T3_T4_T5_mT6_T7_P12ihipStream_tbENKUlT_T0_E_clISt17integral_constantIbLb0EES10_IbLb1EEEEDaSW_SX_EUlSW_E_NS1_11comp_targetILNS1_3genE4ELNS1_11target_archE910ELNS1_3gpuE8ELNS1_3repE0EEENS1_30default_config_static_selectorELNS0_4arch9wavefront6targetE0EEEvT1_.kd
    .uniform_work_group_size: 1
    .uses_dynamic_stack: false
    .vgpr_count:     0
    .vgpr_spill_count: 0
    .wavefront_size: 32
    .workgroup_processor_mode: 1
  - .args:
      - .offset:         0
        .size:           112
        .value_kind:     by_value
    .group_segment_fixed_size: 0
    .kernarg_segment_align: 8
    .kernarg_segment_size: 112
    .language:       OpenCL C
    .language_version:
      - 2
      - 0
    .max_flat_workgroup_size: 256
    .name:           _ZN7rocprim17ROCPRIM_400000_NS6detail17trampoline_kernelINS0_14default_configENS1_27scan_by_key_config_selectorIifEEZZNS1_16scan_by_key_implILNS1_25lookback_scan_determinismE0ELb1ES3_N6thrust23THRUST_200600_302600_NS6detail15normal_iteratorINS9_10device_ptrIiEEEENSB_INSC_IfEEEESG_fNS9_4plusIvEENS9_8equal_toIvEEfEE10hipError_tPvRmT2_T3_T4_T5_mT6_T7_P12ihipStream_tbENKUlT_T0_E_clISt17integral_constantIbLb0EES10_IbLb1EEEEDaSW_SX_EUlSW_E_NS1_11comp_targetILNS1_3genE3ELNS1_11target_archE908ELNS1_3gpuE7ELNS1_3repE0EEENS1_30default_config_static_selectorELNS0_4arch9wavefront6targetE0EEEvT1_
    .private_segment_fixed_size: 0
    .sgpr_count:     0
    .sgpr_spill_count: 0
    .symbol:         _ZN7rocprim17ROCPRIM_400000_NS6detail17trampoline_kernelINS0_14default_configENS1_27scan_by_key_config_selectorIifEEZZNS1_16scan_by_key_implILNS1_25lookback_scan_determinismE0ELb1ES3_N6thrust23THRUST_200600_302600_NS6detail15normal_iteratorINS9_10device_ptrIiEEEENSB_INSC_IfEEEESG_fNS9_4plusIvEENS9_8equal_toIvEEfEE10hipError_tPvRmT2_T3_T4_T5_mT6_T7_P12ihipStream_tbENKUlT_T0_E_clISt17integral_constantIbLb0EES10_IbLb1EEEEDaSW_SX_EUlSW_E_NS1_11comp_targetILNS1_3genE3ELNS1_11target_archE908ELNS1_3gpuE7ELNS1_3repE0EEENS1_30default_config_static_selectorELNS0_4arch9wavefront6targetE0EEEvT1_.kd
    .uniform_work_group_size: 1
    .uses_dynamic_stack: false
    .vgpr_count:     0
    .vgpr_spill_count: 0
    .wavefront_size: 32
    .workgroup_processor_mode: 1
  - .args:
      - .offset:         0
        .size:           112
        .value_kind:     by_value
    .group_segment_fixed_size: 0
    .kernarg_segment_align: 8
    .kernarg_segment_size: 112
    .language:       OpenCL C
    .language_version:
      - 2
      - 0
    .max_flat_workgroup_size: 256
    .name:           _ZN7rocprim17ROCPRIM_400000_NS6detail17trampoline_kernelINS0_14default_configENS1_27scan_by_key_config_selectorIifEEZZNS1_16scan_by_key_implILNS1_25lookback_scan_determinismE0ELb1ES3_N6thrust23THRUST_200600_302600_NS6detail15normal_iteratorINS9_10device_ptrIiEEEENSB_INSC_IfEEEESG_fNS9_4plusIvEENS9_8equal_toIvEEfEE10hipError_tPvRmT2_T3_T4_T5_mT6_T7_P12ihipStream_tbENKUlT_T0_E_clISt17integral_constantIbLb0EES10_IbLb1EEEEDaSW_SX_EUlSW_E_NS1_11comp_targetILNS1_3genE2ELNS1_11target_archE906ELNS1_3gpuE6ELNS1_3repE0EEENS1_30default_config_static_selectorELNS0_4arch9wavefront6targetE0EEEvT1_
    .private_segment_fixed_size: 0
    .sgpr_count:     0
    .sgpr_spill_count: 0
    .symbol:         _ZN7rocprim17ROCPRIM_400000_NS6detail17trampoline_kernelINS0_14default_configENS1_27scan_by_key_config_selectorIifEEZZNS1_16scan_by_key_implILNS1_25lookback_scan_determinismE0ELb1ES3_N6thrust23THRUST_200600_302600_NS6detail15normal_iteratorINS9_10device_ptrIiEEEENSB_INSC_IfEEEESG_fNS9_4plusIvEENS9_8equal_toIvEEfEE10hipError_tPvRmT2_T3_T4_T5_mT6_T7_P12ihipStream_tbENKUlT_T0_E_clISt17integral_constantIbLb0EES10_IbLb1EEEEDaSW_SX_EUlSW_E_NS1_11comp_targetILNS1_3genE2ELNS1_11target_archE906ELNS1_3gpuE6ELNS1_3repE0EEENS1_30default_config_static_selectorELNS0_4arch9wavefront6targetE0EEEvT1_.kd
    .uniform_work_group_size: 1
    .uses_dynamic_stack: false
    .vgpr_count:     0
    .vgpr_spill_count: 0
    .wavefront_size: 32
    .workgroup_processor_mode: 1
  - .args:
      - .offset:         0
        .size:           112
        .value_kind:     by_value
    .group_segment_fixed_size: 0
    .kernarg_segment_align: 8
    .kernarg_segment_size: 112
    .language:       OpenCL C
    .language_version:
      - 2
      - 0
    .max_flat_workgroup_size: 256
    .name:           _ZN7rocprim17ROCPRIM_400000_NS6detail17trampoline_kernelINS0_14default_configENS1_27scan_by_key_config_selectorIifEEZZNS1_16scan_by_key_implILNS1_25lookback_scan_determinismE0ELb1ES3_N6thrust23THRUST_200600_302600_NS6detail15normal_iteratorINS9_10device_ptrIiEEEENSB_INSC_IfEEEESG_fNS9_4plusIvEENS9_8equal_toIvEEfEE10hipError_tPvRmT2_T3_T4_T5_mT6_T7_P12ihipStream_tbENKUlT_T0_E_clISt17integral_constantIbLb0EES10_IbLb1EEEEDaSW_SX_EUlSW_E_NS1_11comp_targetILNS1_3genE10ELNS1_11target_archE1200ELNS1_3gpuE4ELNS1_3repE0EEENS1_30default_config_static_selectorELNS0_4arch9wavefront6targetE0EEEvT1_
    .private_segment_fixed_size: 0
    .sgpr_count:     0
    .sgpr_spill_count: 0
    .symbol:         _ZN7rocprim17ROCPRIM_400000_NS6detail17trampoline_kernelINS0_14default_configENS1_27scan_by_key_config_selectorIifEEZZNS1_16scan_by_key_implILNS1_25lookback_scan_determinismE0ELb1ES3_N6thrust23THRUST_200600_302600_NS6detail15normal_iteratorINS9_10device_ptrIiEEEENSB_INSC_IfEEEESG_fNS9_4plusIvEENS9_8equal_toIvEEfEE10hipError_tPvRmT2_T3_T4_T5_mT6_T7_P12ihipStream_tbENKUlT_T0_E_clISt17integral_constantIbLb0EES10_IbLb1EEEEDaSW_SX_EUlSW_E_NS1_11comp_targetILNS1_3genE10ELNS1_11target_archE1200ELNS1_3gpuE4ELNS1_3repE0EEENS1_30default_config_static_selectorELNS0_4arch9wavefront6targetE0EEEvT1_.kd
    .uniform_work_group_size: 1
    .uses_dynamic_stack: false
    .vgpr_count:     0
    .vgpr_spill_count: 0
    .wavefront_size: 32
    .workgroup_processor_mode: 1
  - .args:
      - .offset:         0
        .size:           112
        .value_kind:     by_value
    .group_segment_fixed_size: 0
    .kernarg_segment_align: 8
    .kernarg_segment_size: 112
    .language:       OpenCL C
    .language_version:
      - 2
      - 0
    .max_flat_workgroup_size: 256
    .name:           _ZN7rocprim17ROCPRIM_400000_NS6detail17trampoline_kernelINS0_14default_configENS1_27scan_by_key_config_selectorIifEEZZNS1_16scan_by_key_implILNS1_25lookback_scan_determinismE0ELb1ES3_N6thrust23THRUST_200600_302600_NS6detail15normal_iteratorINS9_10device_ptrIiEEEENSB_INSC_IfEEEESG_fNS9_4plusIvEENS9_8equal_toIvEEfEE10hipError_tPvRmT2_T3_T4_T5_mT6_T7_P12ihipStream_tbENKUlT_T0_E_clISt17integral_constantIbLb0EES10_IbLb1EEEEDaSW_SX_EUlSW_E_NS1_11comp_targetILNS1_3genE9ELNS1_11target_archE1100ELNS1_3gpuE3ELNS1_3repE0EEENS1_30default_config_static_selectorELNS0_4arch9wavefront6targetE0EEEvT1_
    .private_segment_fixed_size: 0
    .sgpr_count:     0
    .sgpr_spill_count: 0
    .symbol:         _ZN7rocprim17ROCPRIM_400000_NS6detail17trampoline_kernelINS0_14default_configENS1_27scan_by_key_config_selectorIifEEZZNS1_16scan_by_key_implILNS1_25lookback_scan_determinismE0ELb1ES3_N6thrust23THRUST_200600_302600_NS6detail15normal_iteratorINS9_10device_ptrIiEEEENSB_INSC_IfEEEESG_fNS9_4plusIvEENS9_8equal_toIvEEfEE10hipError_tPvRmT2_T3_T4_T5_mT6_T7_P12ihipStream_tbENKUlT_T0_E_clISt17integral_constantIbLb0EES10_IbLb1EEEEDaSW_SX_EUlSW_E_NS1_11comp_targetILNS1_3genE9ELNS1_11target_archE1100ELNS1_3gpuE3ELNS1_3repE0EEENS1_30default_config_static_selectorELNS0_4arch9wavefront6targetE0EEEvT1_.kd
    .uniform_work_group_size: 1
    .uses_dynamic_stack: false
    .vgpr_count:     0
    .vgpr_spill_count: 0
    .wavefront_size: 32
    .workgroup_processor_mode: 1
  - .args:
      - .offset:         0
        .size:           112
        .value_kind:     by_value
    .group_segment_fixed_size: 5120
    .kernarg_segment_align: 8
    .kernarg_segment_size: 112
    .language:       OpenCL C
    .language_version:
      - 2
      - 0
    .max_flat_workgroup_size: 256
    .name:           _ZN7rocprim17ROCPRIM_400000_NS6detail17trampoline_kernelINS0_14default_configENS1_27scan_by_key_config_selectorIifEEZZNS1_16scan_by_key_implILNS1_25lookback_scan_determinismE0ELb1ES3_N6thrust23THRUST_200600_302600_NS6detail15normal_iteratorINS9_10device_ptrIiEEEENSB_INSC_IfEEEESG_fNS9_4plusIvEENS9_8equal_toIvEEfEE10hipError_tPvRmT2_T3_T4_T5_mT6_T7_P12ihipStream_tbENKUlT_T0_E_clISt17integral_constantIbLb0EES10_IbLb1EEEEDaSW_SX_EUlSW_E_NS1_11comp_targetILNS1_3genE8ELNS1_11target_archE1030ELNS1_3gpuE2ELNS1_3repE0EEENS1_30default_config_static_selectorELNS0_4arch9wavefront6targetE0EEEvT1_
    .private_segment_fixed_size: 0
    .sgpr_count:     26
    .sgpr_spill_count: 0
    .symbol:         _ZN7rocprim17ROCPRIM_400000_NS6detail17trampoline_kernelINS0_14default_configENS1_27scan_by_key_config_selectorIifEEZZNS1_16scan_by_key_implILNS1_25lookback_scan_determinismE0ELb1ES3_N6thrust23THRUST_200600_302600_NS6detail15normal_iteratorINS9_10device_ptrIiEEEENSB_INSC_IfEEEESG_fNS9_4plusIvEENS9_8equal_toIvEEfEE10hipError_tPvRmT2_T3_T4_T5_mT6_T7_P12ihipStream_tbENKUlT_T0_E_clISt17integral_constantIbLb0EES10_IbLb1EEEEDaSW_SX_EUlSW_E_NS1_11comp_targetILNS1_3genE8ELNS1_11target_archE1030ELNS1_3gpuE2ELNS1_3repE0EEENS1_30default_config_static_selectorELNS0_4arch9wavefront6targetE0EEEvT1_.kd
    .uniform_work_group_size: 1
    .uses_dynamic_stack: false
    .vgpr_count:     42
    .vgpr_spill_count: 0
    .wavefront_size: 32
    .workgroup_processor_mode: 1
  - .args:
      - .offset:         0
        .size:           136
        .value_kind:     by_value
    .group_segment_fixed_size: 0
    .kernarg_segment_align: 8
    .kernarg_segment_size: 136
    .language:       OpenCL C
    .language_version:
      - 2
      - 0
    .max_flat_workgroup_size: 128
    .name:           _ZN7rocprim17ROCPRIM_400000_NS6detail17trampoline_kernelINS0_14default_configENS1_27scan_by_key_config_selectorIiyEEZZNS1_16scan_by_key_implILNS1_25lookback_scan_determinismE0ELb1ES3_N6thrust23THRUST_200600_302600_NS6detail15normal_iteratorINS9_10device_ptrIiEEEENSB_INSC_IyEEEESG_yNS9_4plusIvEENS9_8equal_toIvEEyEE10hipError_tPvRmT2_T3_T4_T5_mT6_T7_P12ihipStream_tbENKUlT_T0_E_clISt17integral_constantIbLb0EES11_EEDaSW_SX_EUlSW_E_NS1_11comp_targetILNS1_3genE0ELNS1_11target_archE4294967295ELNS1_3gpuE0ELNS1_3repE0EEENS1_30default_config_static_selectorELNS0_4arch9wavefront6targetE0EEEvT1_
    .private_segment_fixed_size: 0
    .sgpr_count:     0
    .sgpr_spill_count: 0
    .symbol:         _ZN7rocprim17ROCPRIM_400000_NS6detail17trampoline_kernelINS0_14default_configENS1_27scan_by_key_config_selectorIiyEEZZNS1_16scan_by_key_implILNS1_25lookback_scan_determinismE0ELb1ES3_N6thrust23THRUST_200600_302600_NS6detail15normal_iteratorINS9_10device_ptrIiEEEENSB_INSC_IyEEEESG_yNS9_4plusIvEENS9_8equal_toIvEEyEE10hipError_tPvRmT2_T3_T4_T5_mT6_T7_P12ihipStream_tbENKUlT_T0_E_clISt17integral_constantIbLb0EES11_EEDaSW_SX_EUlSW_E_NS1_11comp_targetILNS1_3genE0ELNS1_11target_archE4294967295ELNS1_3gpuE0ELNS1_3repE0EEENS1_30default_config_static_selectorELNS0_4arch9wavefront6targetE0EEEvT1_.kd
    .uniform_work_group_size: 1
    .uses_dynamic_stack: false
    .vgpr_count:     0
    .vgpr_spill_count: 0
    .wavefront_size: 32
    .workgroup_processor_mode: 1
  - .args:
      - .offset:         0
        .size:           136
        .value_kind:     by_value
    .group_segment_fixed_size: 0
    .kernarg_segment_align: 8
    .kernarg_segment_size: 136
    .language:       OpenCL C
    .language_version:
      - 2
      - 0
    .max_flat_workgroup_size: 256
    .name:           _ZN7rocprim17ROCPRIM_400000_NS6detail17trampoline_kernelINS0_14default_configENS1_27scan_by_key_config_selectorIiyEEZZNS1_16scan_by_key_implILNS1_25lookback_scan_determinismE0ELb1ES3_N6thrust23THRUST_200600_302600_NS6detail15normal_iteratorINS9_10device_ptrIiEEEENSB_INSC_IyEEEESG_yNS9_4plusIvEENS9_8equal_toIvEEyEE10hipError_tPvRmT2_T3_T4_T5_mT6_T7_P12ihipStream_tbENKUlT_T0_E_clISt17integral_constantIbLb0EES11_EEDaSW_SX_EUlSW_E_NS1_11comp_targetILNS1_3genE10ELNS1_11target_archE1201ELNS1_3gpuE5ELNS1_3repE0EEENS1_30default_config_static_selectorELNS0_4arch9wavefront6targetE0EEEvT1_
    .private_segment_fixed_size: 0
    .sgpr_count:     0
    .sgpr_spill_count: 0
    .symbol:         _ZN7rocprim17ROCPRIM_400000_NS6detail17trampoline_kernelINS0_14default_configENS1_27scan_by_key_config_selectorIiyEEZZNS1_16scan_by_key_implILNS1_25lookback_scan_determinismE0ELb1ES3_N6thrust23THRUST_200600_302600_NS6detail15normal_iteratorINS9_10device_ptrIiEEEENSB_INSC_IyEEEESG_yNS9_4plusIvEENS9_8equal_toIvEEyEE10hipError_tPvRmT2_T3_T4_T5_mT6_T7_P12ihipStream_tbENKUlT_T0_E_clISt17integral_constantIbLb0EES11_EEDaSW_SX_EUlSW_E_NS1_11comp_targetILNS1_3genE10ELNS1_11target_archE1201ELNS1_3gpuE5ELNS1_3repE0EEENS1_30default_config_static_selectorELNS0_4arch9wavefront6targetE0EEEvT1_.kd
    .uniform_work_group_size: 1
    .uses_dynamic_stack: false
    .vgpr_count:     0
    .vgpr_spill_count: 0
    .wavefront_size: 32
    .workgroup_processor_mode: 1
  - .args:
      - .offset:         0
        .size:           136
        .value_kind:     by_value
    .group_segment_fixed_size: 0
    .kernarg_segment_align: 8
    .kernarg_segment_size: 136
    .language:       OpenCL C
    .language_version:
      - 2
      - 0
    .max_flat_workgroup_size: 256
    .name:           _ZN7rocprim17ROCPRIM_400000_NS6detail17trampoline_kernelINS0_14default_configENS1_27scan_by_key_config_selectorIiyEEZZNS1_16scan_by_key_implILNS1_25lookback_scan_determinismE0ELb1ES3_N6thrust23THRUST_200600_302600_NS6detail15normal_iteratorINS9_10device_ptrIiEEEENSB_INSC_IyEEEESG_yNS9_4plusIvEENS9_8equal_toIvEEyEE10hipError_tPvRmT2_T3_T4_T5_mT6_T7_P12ihipStream_tbENKUlT_T0_E_clISt17integral_constantIbLb0EES11_EEDaSW_SX_EUlSW_E_NS1_11comp_targetILNS1_3genE5ELNS1_11target_archE942ELNS1_3gpuE9ELNS1_3repE0EEENS1_30default_config_static_selectorELNS0_4arch9wavefront6targetE0EEEvT1_
    .private_segment_fixed_size: 0
    .sgpr_count:     0
    .sgpr_spill_count: 0
    .symbol:         _ZN7rocprim17ROCPRIM_400000_NS6detail17trampoline_kernelINS0_14default_configENS1_27scan_by_key_config_selectorIiyEEZZNS1_16scan_by_key_implILNS1_25lookback_scan_determinismE0ELb1ES3_N6thrust23THRUST_200600_302600_NS6detail15normal_iteratorINS9_10device_ptrIiEEEENSB_INSC_IyEEEESG_yNS9_4plusIvEENS9_8equal_toIvEEyEE10hipError_tPvRmT2_T3_T4_T5_mT6_T7_P12ihipStream_tbENKUlT_T0_E_clISt17integral_constantIbLb0EES11_EEDaSW_SX_EUlSW_E_NS1_11comp_targetILNS1_3genE5ELNS1_11target_archE942ELNS1_3gpuE9ELNS1_3repE0EEENS1_30default_config_static_selectorELNS0_4arch9wavefront6targetE0EEEvT1_.kd
    .uniform_work_group_size: 1
    .uses_dynamic_stack: false
    .vgpr_count:     0
    .vgpr_spill_count: 0
    .wavefront_size: 32
    .workgroup_processor_mode: 1
  - .args:
      - .offset:         0
        .size:           136
        .value_kind:     by_value
    .group_segment_fixed_size: 0
    .kernarg_segment_align: 8
    .kernarg_segment_size: 136
    .language:       OpenCL C
    .language_version:
      - 2
      - 0
    .max_flat_workgroup_size: 64
    .name:           _ZN7rocprim17ROCPRIM_400000_NS6detail17trampoline_kernelINS0_14default_configENS1_27scan_by_key_config_selectorIiyEEZZNS1_16scan_by_key_implILNS1_25lookback_scan_determinismE0ELb1ES3_N6thrust23THRUST_200600_302600_NS6detail15normal_iteratorINS9_10device_ptrIiEEEENSB_INSC_IyEEEESG_yNS9_4plusIvEENS9_8equal_toIvEEyEE10hipError_tPvRmT2_T3_T4_T5_mT6_T7_P12ihipStream_tbENKUlT_T0_E_clISt17integral_constantIbLb0EES11_EEDaSW_SX_EUlSW_E_NS1_11comp_targetILNS1_3genE4ELNS1_11target_archE910ELNS1_3gpuE8ELNS1_3repE0EEENS1_30default_config_static_selectorELNS0_4arch9wavefront6targetE0EEEvT1_
    .private_segment_fixed_size: 0
    .sgpr_count:     0
    .sgpr_spill_count: 0
    .symbol:         _ZN7rocprim17ROCPRIM_400000_NS6detail17trampoline_kernelINS0_14default_configENS1_27scan_by_key_config_selectorIiyEEZZNS1_16scan_by_key_implILNS1_25lookback_scan_determinismE0ELb1ES3_N6thrust23THRUST_200600_302600_NS6detail15normal_iteratorINS9_10device_ptrIiEEEENSB_INSC_IyEEEESG_yNS9_4plusIvEENS9_8equal_toIvEEyEE10hipError_tPvRmT2_T3_T4_T5_mT6_T7_P12ihipStream_tbENKUlT_T0_E_clISt17integral_constantIbLb0EES11_EEDaSW_SX_EUlSW_E_NS1_11comp_targetILNS1_3genE4ELNS1_11target_archE910ELNS1_3gpuE8ELNS1_3repE0EEENS1_30default_config_static_selectorELNS0_4arch9wavefront6targetE0EEEvT1_.kd
    .uniform_work_group_size: 1
    .uses_dynamic_stack: false
    .vgpr_count:     0
    .vgpr_spill_count: 0
    .wavefront_size: 32
    .workgroup_processor_mode: 1
  - .args:
      - .offset:         0
        .size:           136
        .value_kind:     by_value
    .group_segment_fixed_size: 0
    .kernarg_segment_align: 8
    .kernarg_segment_size: 136
    .language:       OpenCL C
    .language_version:
      - 2
      - 0
    .max_flat_workgroup_size: 128
    .name:           _ZN7rocprim17ROCPRIM_400000_NS6detail17trampoline_kernelINS0_14default_configENS1_27scan_by_key_config_selectorIiyEEZZNS1_16scan_by_key_implILNS1_25lookback_scan_determinismE0ELb1ES3_N6thrust23THRUST_200600_302600_NS6detail15normal_iteratorINS9_10device_ptrIiEEEENSB_INSC_IyEEEESG_yNS9_4plusIvEENS9_8equal_toIvEEyEE10hipError_tPvRmT2_T3_T4_T5_mT6_T7_P12ihipStream_tbENKUlT_T0_E_clISt17integral_constantIbLb0EES11_EEDaSW_SX_EUlSW_E_NS1_11comp_targetILNS1_3genE3ELNS1_11target_archE908ELNS1_3gpuE7ELNS1_3repE0EEENS1_30default_config_static_selectorELNS0_4arch9wavefront6targetE0EEEvT1_
    .private_segment_fixed_size: 0
    .sgpr_count:     0
    .sgpr_spill_count: 0
    .symbol:         _ZN7rocprim17ROCPRIM_400000_NS6detail17trampoline_kernelINS0_14default_configENS1_27scan_by_key_config_selectorIiyEEZZNS1_16scan_by_key_implILNS1_25lookback_scan_determinismE0ELb1ES3_N6thrust23THRUST_200600_302600_NS6detail15normal_iteratorINS9_10device_ptrIiEEEENSB_INSC_IyEEEESG_yNS9_4plusIvEENS9_8equal_toIvEEyEE10hipError_tPvRmT2_T3_T4_T5_mT6_T7_P12ihipStream_tbENKUlT_T0_E_clISt17integral_constantIbLb0EES11_EEDaSW_SX_EUlSW_E_NS1_11comp_targetILNS1_3genE3ELNS1_11target_archE908ELNS1_3gpuE7ELNS1_3repE0EEENS1_30default_config_static_selectorELNS0_4arch9wavefront6targetE0EEEvT1_.kd
    .uniform_work_group_size: 1
    .uses_dynamic_stack: false
    .vgpr_count:     0
    .vgpr_spill_count: 0
    .wavefront_size: 32
    .workgroup_processor_mode: 1
  - .args:
      - .offset:         0
        .size:           136
        .value_kind:     by_value
    .group_segment_fixed_size: 0
    .kernarg_segment_align: 8
    .kernarg_segment_size: 136
    .language:       OpenCL C
    .language_version:
      - 2
      - 0
    .max_flat_workgroup_size: 64
    .name:           _ZN7rocprim17ROCPRIM_400000_NS6detail17trampoline_kernelINS0_14default_configENS1_27scan_by_key_config_selectorIiyEEZZNS1_16scan_by_key_implILNS1_25lookback_scan_determinismE0ELb1ES3_N6thrust23THRUST_200600_302600_NS6detail15normal_iteratorINS9_10device_ptrIiEEEENSB_INSC_IyEEEESG_yNS9_4plusIvEENS9_8equal_toIvEEyEE10hipError_tPvRmT2_T3_T4_T5_mT6_T7_P12ihipStream_tbENKUlT_T0_E_clISt17integral_constantIbLb0EES11_EEDaSW_SX_EUlSW_E_NS1_11comp_targetILNS1_3genE2ELNS1_11target_archE906ELNS1_3gpuE6ELNS1_3repE0EEENS1_30default_config_static_selectorELNS0_4arch9wavefront6targetE0EEEvT1_
    .private_segment_fixed_size: 0
    .sgpr_count:     0
    .sgpr_spill_count: 0
    .symbol:         _ZN7rocprim17ROCPRIM_400000_NS6detail17trampoline_kernelINS0_14default_configENS1_27scan_by_key_config_selectorIiyEEZZNS1_16scan_by_key_implILNS1_25lookback_scan_determinismE0ELb1ES3_N6thrust23THRUST_200600_302600_NS6detail15normal_iteratorINS9_10device_ptrIiEEEENSB_INSC_IyEEEESG_yNS9_4plusIvEENS9_8equal_toIvEEyEE10hipError_tPvRmT2_T3_T4_T5_mT6_T7_P12ihipStream_tbENKUlT_T0_E_clISt17integral_constantIbLb0EES11_EEDaSW_SX_EUlSW_E_NS1_11comp_targetILNS1_3genE2ELNS1_11target_archE906ELNS1_3gpuE6ELNS1_3repE0EEENS1_30default_config_static_selectorELNS0_4arch9wavefront6targetE0EEEvT1_.kd
    .uniform_work_group_size: 1
    .uses_dynamic_stack: false
    .vgpr_count:     0
    .vgpr_spill_count: 0
    .wavefront_size: 32
    .workgroup_processor_mode: 1
  - .args:
      - .offset:         0
        .size:           136
        .value_kind:     by_value
    .group_segment_fixed_size: 0
    .kernarg_segment_align: 8
    .kernarg_segment_size: 136
    .language:       OpenCL C
    .language_version:
      - 2
      - 0
    .max_flat_workgroup_size: 256
    .name:           _ZN7rocprim17ROCPRIM_400000_NS6detail17trampoline_kernelINS0_14default_configENS1_27scan_by_key_config_selectorIiyEEZZNS1_16scan_by_key_implILNS1_25lookback_scan_determinismE0ELb1ES3_N6thrust23THRUST_200600_302600_NS6detail15normal_iteratorINS9_10device_ptrIiEEEENSB_INSC_IyEEEESG_yNS9_4plusIvEENS9_8equal_toIvEEyEE10hipError_tPvRmT2_T3_T4_T5_mT6_T7_P12ihipStream_tbENKUlT_T0_E_clISt17integral_constantIbLb0EES11_EEDaSW_SX_EUlSW_E_NS1_11comp_targetILNS1_3genE10ELNS1_11target_archE1200ELNS1_3gpuE4ELNS1_3repE0EEENS1_30default_config_static_selectorELNS0_4arch9wavefront6targetE0EEEvT1_
    .private_segment_fixed_size: 0
    .sgpr_count:     0
    .sgpr_spill_count: 0
    .symbol:         _ZN7rocprim17ROCPRIM_400000_NS6detail17trampoline_kernelINS0_14default_configENS1_27scan_by_key_config_selectorIiyEEZZNS1_16scan_by_key_implILNS1_25lookback_scan_determinismE0ELb1ES3_N6thrust23THRUST_200600_302600_NS6detail15normal_iteratorINS9_10device_ptrIiEEEENSB_INSC_IyEEEESG_yNS9_4plusIvEENS9_8equal_toIvEEyEE10hipError_tPvRmT2_T3_T4_T5_mT6_T7_P12ihipStream_tbENKUlT_T0_E_clISt17integral_constantIbLb0EES11_EEDaSW_SX_EUlSW_E_NS1_11comp_targetILNS1_3genE10ELNS1_11target_archE1200ELNS1_3gpuE4ELNS1_3repE0EEENS1_30default_config_static_selectorELNS0_4arch9wavefront6targetE0EEEvT1_.kd
    .uniform_work_group_size: 1
    .uses_dynamic_stack: false
    .vgpr_count:     0
    .vgpr_spill_count: 0
    .wavefront_size: 32
    .workgroup_processor_mode: 1
  - .args:
      - .offset:         0
        .size:           136
        .value_kind:     by_value
    .group_segment_fixed_size: 0
    .kernarg_segment_align: 8
    .kernarg_segment_size: 136
    .language:       OpenCL C
    .language_version:
      - 2
      - 0
    .max_flat_workgroup_size: 256
    .name:           _ZN7rocprim17ROCPRIM_400000_NS6detail17trampoline_kernelINS0_14default_configENS1_27scan_by_key_config_selectorIiyEEZZNS1_16scan_by_key_implILNS1_25lookback_scan_determinismE0ELb1ES3_N6thrust23THRUST_200600_302600_NS6detail15normal_iteratorINS9_10device_ptrIiEEEENSB_INSC_IyEEEESG_yNS9_4plusIvEENS9_8equal_toIvEEyEE10hipError_tPvRmT2_T3_T4_T5_mT6_T7_P12ihipStream_tbENKUlT_T0_E_clISt17integral_constantIbLb0EES11_EEDaSW_SX_EUlSW_E_NS1_11comp_targetILNS1_3genE9ELNS1_11target_archE1100ELNS1_3gpuE3ELNS1_3repE0EEENS1_30default_config_static_selectorELNS0_4arch9wavefront6targetE0EEEvT1_
    .private_segment_fixed_size: 0
    .sgpr_count:     0
    .sgpr_spill_count: 0
    .symbol:         _ZN7rocprim17ROCPRIM_400000_NS6detail17trampoline_kernelINS0_14default_configENS1_27scan_by_key_config_selectorIiyEEZZNS1_16scan_by_key_implILNS1_25lookback_scan_determinismE0ELb1ES3_N6thrust23THRUST_200600_302600_NS6detail15normal_iteratorINS9_10device_ptrIiEEEENSB_INSC_IyEEEESG_yNS9_4plusIvEENS9_8equal_toIvEEyEE10hipError_tPvRmT2_T3_T4_T5_mT6_T7_P12ihipStream_tbENKUlT_T0_E_clISt17integral_constantIbLb0EES11_EEDaSW_SX_EUlSW_E_NS1_11comp_targetILNS1_3genE9ELNS1_11target_archE1100ELNS1_3gpuE3ELNS1_3repE0EEENS1_30default_config_static_selectorELNS0_4arch9wavefront6targetE0EEEvT1_.kd
    .uniform_work_group_size: 1
    .uses_dynamic_stack: false
    .vgpr_count:     0
    .vgpr_spill_count: 0
    .wavefront_size: 32
    .workgroup_processor_mode: 1
  - .args:
      - .offset:         0
        .size:           136
        .value_kind:     by_value
    .group_segment_fixed_size: 6144
    .kernarg_segment_align: 8
    .kernarg_segment_size: 136
    .language:       OpenCL C
    .language_version:
      - 2
      - 0
    .max_flat_workgroup_size: 256
    .name:           _ZN7rocprim17ROCPRIM_400000_NS6detail17trampoline_kernelINS0_14default_configENS1_27scan_by_key_config_selectorIiyEEZZNS1_16scan_by_key_implILNS1_25lookback_scan_determinismE0ELb1ES3_N6thrust23THRUST_200600_302600_NS6detail15normal_iteratorINS9_10device_ptrIiEEEENSB_INSC_IyEEEESG_yNS9_4plusIvEENS9_8equal_toIvEEyEE10hipError_tPvRmT2_T3_T4_T5_mT6_T7_P12ihipStream_tbENKUlT_T0_E_clISt17integral_constantIbLb0EES11_EEDaSW_SX_EUlSW_E_NS1_11comp_targetILNS1_3genE8ELNS1_11target_archE1030ELNS1_3gpuE2ELNS1_3repE0EEENS1_30default_config_static_selectorELNS0_4arch9wavefront6targetE0EEEvT1_
    .private_segment_fixed_size: 0
    .sgpr_count:     38
    .sgpr_spill_count: 0
    .symbol:         _ZN7rocprim17ROCPRIM_400000_NS6detail17trampoline_kernelINS0_14default_configENS1_27scan_by_key_config_selectorIiyEEZZNS1_16scan_by_key_implILNS1_25lookback_scan_determinismE0ELb1ES3_N6thrust23THRUST_200600_302600_NS6detail15normal_iteratorINS9_10device_ptrIiEEEENSB_INSC_IyEEEESG_yNS9_4plusIvEENS9_8equal_toIvEEyEE10hipError_tPvRmT2_T3_T4_T5_mT6_T7_P12ihipStream_tbENKUlT_T0_E_clISt17integral_constantIbLb0EES11_EEDaSW_SX_EUlSW_E_NS1_11comp_targetILNS1_3genE8ELNS1_11target_archE1030ELNS1_3gpuE2ELNS1_3repE0EEENS1_30default_config_static_selectorELNS0_4arch9wavefront6targetE0EEEvT1_.kd
    .uniform_work_group_size: 1
    .uses_dynamic_stack: false
    .vgpr_count:     48
    .vgpr_spill_count: 0
    .wavefront_size: 32
    .workgroup_processor_mode: 1
  - .args:
      - .offset:         0
        .size:           136
        .value_kind:     by_value
    .group_segment_fixed_size: 0
    .kernarg_segment_align: 8
    .kernarg_segment_size: 136
    .language:       OpenCL C
    .language_version:
      - 2
      - 0
    .max_flat_workgroup_size: 128
    .name:           _ZN7rocprim17ROCPRIM_400000_NS6detail17trampoline_kernelINS0_14default_configENS1_27scan_by_key_config_selectorIiyEEZZNS1_16scan_by_key_implILNS1_25lookback_scan_determinismE0ELb1ES3_N6thrust23THRUST_200600_302600_NS6detail15normal_iteratorINS9_10device_ptrIiEEEENSB_INSC_IyEEEESG_yNS9_4plusIvEENS9_8equal_toIvEEyEE10hipError_tPvRmT2_T3_T4_T5_mT6_T7_P12ihipStream_tbENKUlT_T0_E_clISt17integral_constantIbLb1EES11_EEDaSW_SX_EUlSW_E_NS1_11comp_targetILNS1_3genE0ELNS1_11target_archE4294967295ELNS1_3gpuE0ELNS1_3repE0EEENS1_30default_config_static_selectorELNS0_4arch9wavefront6targetE0EEEvT1_
    .private_segment_fixed_size: 0
    .sgpr_count:     0
    .sgpr_spill_count: 0
    .symbol:         _ZN7rocprim17ROCPRIM_400000_NS6detail17trampoline_kernelINS0_14default_configENS1_27scan_by_key_config_selectorIiyEEZZNS1_16scan_by_key_implILNS1_25lookback_scan_determinismE0ELb1ES3_N6thrust23THRUST_200600_302600_NS6detail15normal_iteratorINS9_10device_ptrIiEEEENSB_INSC_IyEEEESG_yNS9_4plusIvEENS9_8equal_toIvEEyEE10hipError_tPvRmT2_T3_T4_T5_mT6_T7_P12ihipStream_tbENKUlT_T0_E_clISt17integral_constantIbLb1EES11_EEDaSW_SX_EUlSW_E_NS1_11comp_targetILNS1_3genE0ELNS1_11target_archE4294967295ELNS1_3gpuE0ELNS1_3repE0EEENS1_30default_config_static_selectorELNS0_4arch9wavefront6targetE0EEEvT1_.kd
    .uniform_work_group_size: 1
    .uses_dynamic_stack: false
    .vgpr_count:     0
    .vgpr_spill_count: 0
    .wavefront_size: 32
    .workgroup_processor_mode: 1
  - .args:
      - .offset:         0
        .size:           136
        .value_kind:     by_value
    .group_segment_fixed_size: 0
    .kernarg_segment_align: 8
    .kernarg_segment_size: 136
    .language:       OpenCL C
    .language_version:
      - 2
      - 0
    .max_flat_workgroup_size: 256
    .name:           _ZN7rocprim17ROCPRIM_400000_NS6detail17trampoline_kernelINS0_14default_configENS1_27scan_by_key_config_selectorIiyEEZZNS1_16scan_by_key_implILNS1_25lookback_scan_determinismE0ELb1ES3_N6thrust23THRUST_200600_302600_NS6detail15normal_iteratorINS9_10device_ptrIiEEEENSB_INSC_IyEEEESG_yNS9_4plusIvEENS9_8equal_toIvEEyEE10hipError_tPvRmT2_T3_T4_T5_mT6_T7_P12ihipStream_tbENKUlT_T0_E_clISt17integral_constantIbLb1EES11_EEDaSW_SX_EUlSW_E_NS1_11comp_targetILNS1_3genE10ELNS1_11target_archE1201ELNS1_3gpuE5ELNS1_3repE0EEENS1_30default_config_static_selectorELNS0_4arch9wavefront6targetE0EEEvT1_
    .private_segment_fixed_size: 0
    .sgpr_count:     0
    .sgpr_spill_count: 0
    .symbol:         _ZN7rocprim17ROCPRIM_400000_NS6detail17trampoline_kernelINS0_14default_configENS1_27scan_by_key_config_selectorIiyEEZZNS1_16scan_by_key_implILNS1_25lookback_scan_determinismE0ELb1ES3_N6thrust23THRUST_200600_302600_NS6detail15normal_iteratorINS9_10device_ptrIiEEEENSB_INSC_IyEEEESG_yNS9_4plusIvEENS9_8equal_toIvEEyEE10hipError_tPvRmT2_T3_T4_T5_mT6_T7_P12ihipStream_tbENKUlT_T0_E_clISt17integral_constantIbLb1EES11_EEDaSW_SX_EUlSW_E_NS1_11comp_targetILNS1_3genE10ELNS1_11target_archE1201ELNS1_3gpuE5ELNS1_3repE0EEENS1_30default_config_static_selectorELNS0_4arch9wavefront6targetE0EEEvT1_.kd
    .uniform_work_group_size: 1
    .uses_dynamic_stack: false
    .vgpr_count:     0
    .vgpr_spill_count: 0
    .wavefront_size: 32
    .workgroup_processor_mode: 1
  - .args:
      - .offset:         0
        .size:           136
        .value_kind:     by_value
    .group_segment_fixed_size: 0
    .kernarg_segment_align: 8
    .kernarg_segment_size: 136
    .language:       OpenCL C
    .language_version:
      - 2
      - 0
    .max_flat_workgroup_size: 256
    .name:           _ZN7rocprim17ROCPRIM_400000_NS6detail17trampoline_kernelINS0_14default_configENS1_27scan_by_key_config_selectorIiyEEZZNS1_16scan_by_key_implILNS1_25lookback_scan_determinismE0ELb1ES3_N6thrust23THRUST_200600_302600_NS6detail15normal_iteratorINS9_10device_ptrIiEEEENSB_INSC_IyEEEESG_yNS9_4plusIvEENS9_8equal_toIvEEyEE10hipError_tPvRmT2_T3_T4_T5_mT6_T7_P12ihipStream_tbENKUlT_T0_E_clISt17integral_constantIbLb1EES11_EEDaSW_SX_EUlSW_E_NS1_11comp_targetILNS1_3genE5ELNS1_11target_archE942ELNS1_3gpuE9ELNS1_3repE0EEENS1_30default_config_static_selectorELNS0_4arch9wavefront6targetE0EEEvT1_
    .private_segment_fixed_size: 0
    .sgpr_count:     0
    .sgpr_spill_count: 0
    .symbol:         _ZN7rocprim17ROCPRIM_400000_NS6detail17trampoline_kernelINS0_14default_configENS1_27scan_by_key_config_selectorIiyEEZZNS1_16scan_by_key_implILNS1_25lookback_scan_determinismE0ELb1ES3_N6thrust23THRUST_200600_302600_NS6detail15normal_iteratorINS9_10device_ptrIiEEEENSB_INSC_IyEEEESG_yNS9_4plusIvEENS9_8equal_toIvEEyEE10hipError_tPvRmT2_T3_T4_T5_mT6_T7_P12ihipStream_tbENKUlT_T0_E_clISt17integral_constantIbLb1EES11_EEDaSW_SX_EUlSW_E_NS1_11comp_targetILNS1_3genE5ELNS1_11target_archE942ELNS1_3gpuE9ELNS1_3repE0EEENS1_30default_config_static_selectorELNS0_4arch9wavefront6targetE0EEEvT1_.kd
    .uniform_work_group_size: 1
    .uses_dynamic_stack: false
    .vgpr_count:     0
    .vgpr_spill_count: 0
    .wavefront_size: 32
    .workgroup_processor_mode: 1
  - .args:
      - .offset:         0
        .size:           136
        .value_kind:     by_value
    .group_segment_fixed_size: 0
    .kernarg_segment_align: 8
    .kernarg_segment_size: 136
    .language:       OpenCL C
    .language_version:
      - 2
      - 0
    .max_flat_workgroup_size: 64
    .name:           _ZN7rocprim17ROCPRIM_400000_NS6detail17trampoline_kernelINS0_14default_configENS1_27scan_by_key_config_selectorIiyEEZZNS1_16scan_by_key_implILNS1_25lookback_scan_determinismE0ELb1ES3_N6thrust23THRUST_200600_302600_NS6detail15normal_iteratorINS9_10device_ptrIiEEEENSB_INSC_IyEEEESG_yNS9_4plusIvEENS9_8equal_toIvEEyEE10hipError_tPvRmT2_T3_T4_T5_mT6_T7_P12ihipStream_tbENKUlT_T0_E_clISt17integral_constantIbLb1EES11_EEDaSW_SX_EUlSW_E_NS1_11comp_targetILNS1_3genE4ELNS1_11target_archE910ELNS1_3gpuE8ELNS1_3repE0EEENS1_30default_config_static_selectorELNS0_4arch9wavefront6targetE0EEEvT1_
    .private_segment_fixed_size: 0
    .sgpr_count:     0
    .sgpr_spill_count: 0
    .symbol:         _ZN7rocprim17ROCPRIM_400000_NS6detail17trampoline_kernelINS0_14default_configENS1_27scan_by_key_config_selectorIiyEEZZNS1_16scan_by_key_implILNS1_25lookback_scan_determinismE0ELb1ES3_N6thrust23THRUST_200600_302600_NS6detail15normal_iteratorINS9_10device_ptrIiEEEENSB_INSC_IyEEEESG_yNS9_4plusIvEENS9_8equal_toIvEEyEE10hipError_tPvRmT2_T3_T4_T5_mT6_T7_P12ihipStream_tbENKUlT_T0_E_clISt17integral_constantIbLb1EES11_EEDaSW_SX_EUlSW_E_NS1_11comp_targetILNS1_3genE4ELNS1_11target_archE910ELNS1_3gpuE8ELNS1_3repE0EEENS1_30default_config_static_selectorELNS0_4arch9wavefront6targetE0EEEvT1_.kd
    .uniform_work_group_size: 1
    .uses_dynamic_stack: false
    .vgpr_count:     0
    .vgpr_spill_count: 0
    .wavefront_size: 32
    .workgroup_processor_mode: 1
  - .args:
      - .offset:         0
        .size:           136
        .value_kind:     by_value
    .group_segment_fixed_size: 0
    .kernarg_segment_align: 8
    .kernarg_segment_size: 136
    .language:       OpenCL C
    .language_version:
      - 2
      - 0
    .max_flat_workgroup_size: 128
    .name:           _ZN7rocprim17ROCPRIM_400000_NS6detail17trampoline_kernelINS0_14default_configENS1_27scan_by_key_config_selectorIiyEEZZNS1_16scan_by_key_implILNS1_25lookback_scan_determinismE0ELb1ES3_N6thrust23THRUST_200600_302600_NS6detail15normal_iteratorINS9_10device_ptrIiEEEENSB_INSC_IyEEEESG_yNS9_4plusIvEENS9_8equal_toIvEEyEE10hipError_tPvRmT2_T3_T4_T5_mT6_T7_P12ihipStream_tbENKUlT_T0_E_clISt17integral_constantIbLb1EES11_EEDaSW_SX_EUlSW_E_NS1_11comp_targetILNS1_3genE3ELNS1_11target_archE908ELNS1_3gpuE7ELNS1_3repE0EEENS1_30default_config_static_selectorELNS0_4arch9wavefront6targetE0EEEvT1_
    .private_segment_fixed_size: 0
    .sgpr_count:     0
    .sgpr_spill_count: 0
    .symbol:         _ZN7rocprim17ROCPRIM_400000_NS6detail17trampoline_kernelINS0_14default_configENS1_27scan_by_key_config_selectorIiyEEZZNS1_16scan_by_key_implILNS1_25lookback_scan_determinismE0ELb1ES3_N6thrust23THRUST_200600_302600_NS6detail15normal_iteratorINS9_10device_ptrIiEEEENSB_INSC_IyEEEESG_yNS9_4plusIvEENS9_8equal_toIvEEyEE10hipError_tPvRmT2_T3_T4_T5_mT6_T7_P12ihipStream_tbENKUlT_T0_E_clISt17integral_constantIbLb1EES11_EEDaSW_SX_EUlSW_E_NS1_11comp_targetILNS1_3genE3ELNS1_11target_archE908ELNS1_3gpuE7ELNS1_3repE0EEENS1_30default_config_static_selectorELNS0_4arch9wavefront6targetE0EEEvT1_.kd
    .uniform_work_group_size: 1
    .uses_dynamic_stack: false
    .vgpr_count:     0
    .vgpr_spill_count: 0
    .wavefront_size: 32
    .workgroup_processor_mode: 1
  - .args:
      - .offset:         0
        .size:           136
        .value_kind:     by_value
    .group_segment_fixed_size: 0
    .kernarg_segment_align: 8
    .kernarg_segment_size: 136
    .language:       OpenCL C
    .language_version:
      - 2
      - 0
    .max_flat_workgroup_size: 64
    .name:           _ZN7rocprim17ROCPRIM_400000_NS6detail17trampoline_kernelINS0_14default_configENS1_27scan_by_key_config_selectorIiyEEZZNS1_16scan_by_key_implILNS1_25lookback_scan_determinismE0ELb1ES3_N6thrust23THRUST_200600_302600_NS6detail15normal_iteratorINS9_10device_ptrIiEEEENSB_INSC_IyEEEESG_yNS9_4plusIvEENS9_8equal_toIvEEyEE10hipError_tPvRmT2_T3_T4_T5_mT6_T7_P12ihipStream_tbENKUlT_T0_E_clISt17integral_constantIbLb1EES11_EEDaSW_SX_EUlSW_E_NS1_11comp_targetILNS1_3genE2ELNS1_11target_archE906ELNS1_3gpuE6ELNS1_3repE0EEENS1_30default_config_static_selectorELNS0_4arch9wavefront6targetE0EEEvT1_
    .private_segment_fixed_size: 0
    .sgpr_count:     0
    .sgpr_spill_count: 0
    .symbol:         _ZN7rocprim17ROCPRIM_400000_NS6detail17trampoline_kernelINS0_14default_configENS1_27scan_by_key_config_selectorIiyEEZZNS1_16scan_by_key_implILNS1_25lookback_scan_determinismE0ELb1ES3_N6thrust23THRUST_200600_302600_NS6detail15normal_iteratorINS9_10device_ptrIiEEEENSB_INSC_IyEEEESG_yNS9_4plusIvEENS9_8equal_toIvEEyEE10hipError_tPvRmT2_T3_T4_T5_mT6_T7_P12ihipStream_tbENKUlT_T0_E_clISt17integral_constantIbLb1EES11_EEDaSW_SX_EUlSW_E_NS1_11comp_targetILNS1_3genE2ELNS1_11target_archE906ELNS1_3gpuE6ELNS1_3repE0EEENS1_30default_config_static_selectorELNS0_4arch9wavefront6targetE0EEEvT1_.kd
    .uniform_work_group_size: 1
    .uses_dynamic_stack: false
    .vgpr_count:     0
    .vgpr_spill_count: 0
    .wavefront_size: 32
    .workgroup_processor_mode: 1
  - .args:
      - .offset:         0
        .size:           136
        .value_kind:     by_value
    .group_segment_fixed_size: 0
    .kernarg_segment_align: 8
    .kernarg_segment_size: 136
    .language:       OpenCL C
    .language_version:
      - 2
      - 0
    .max_flat_workgroup_size: 256
    .name:           _ZN7rocprim17ROCPRIM_400000_NS6detail17trampoline_kernelINS0_14default_configENS1_27scan_by_key_config_selectorIiyEEZZNS1_16scan_by_key_implILNS1_25lookback_scan_determinismE0ELb1ES3_N6thrust23THRUST_200600_302600_NS6detail15normal_iteratorINS9_10device_ptrIiEEEENSB_INSC_IyEEEESG_yNS9_4plusIvEENS9_8equal_toIvEEyEE10hipError_tPvRmT2_T3_T4_T5_mT6_T7_P12ihipStream_tbENKUlT_T0_E_clISt17integral_constantIbLb1EES11_EEDaSW_SX_EUlSW_E_NS1_11comp_targetILNS1_3genE10ELNS1_11target_archE1200ELNS1_3gpuE4ELNS1_3repE0EEENS1_30default_config_static_selectorELNS0_4arch9wavefront6targetE0EEEvT1_
    .private_segment_fixed_size: 0
    .sgpr_count:     0
    .sgpr_spill_count: 0
    .symbol:         _ZN7rocprim17ROCPRIM_400000_NS6detail17trampoline_kernelINS0_14default_configENS1_27scan_by_key_config_selectorIiyEEZZNS1_16scan_by_key_implILNS1_25lookback_scan_determinismE0ELb1ES3_N6thrust23THRUST_200600_302600_NS6detail15normal_iteratorINS9_10device_ptrIiEEEENSB_INSC_IyEEEESG_yNS9_4plusIvEENS9_8equal_toIvEEyEE10hipError_tPvRmT2_T3_T4_T5_mT6_T7_P12ihipStream_tbENKUlT_T0_E_clISt17integral_constantIbLb1EES11_EEDaSW_SX_EUlSW_E_NS1_11comp_targetILNS1_3genE10ELNS1_11target_archE1200ELNS1_3gpuE4ELNS1_3repE0EEENS1_30default_config_static_selectorELNS0_4arch9wavefront6targetE0EEEvT1_.kd
    .uniform_work_group_size: 1
    .uses_dynamic_stack: false
    .vgpr_count:     0
    .vgpr_spill_count: 0
    .wavefront_size: 32
    .workgroup_processor_mode: 1
  - .args:
      - .offset:         0
        .size:           136
        .value_kind:     by_value
    .group_segment_fixed_size: 0
    .kernarg_segment_align: 8
    .kernarg_segment_size: 136
    .language:       OpenCL C
    .language_version:
      - 2
      - 0
    .max_flat_workgroup_size: 256
    .name:           _ZN7rocprim17ROCPRIM_400000_NS6detail17trampoline_kernelINS0_14default_configENS1_27scan_by_key_config_selectorIiyEEZZNS1_16scan_by_key_implILNS1_25lookback_scan_determinismE0ELb1ES3_N6thrust23THRUST_200600_302600_NS6detail15normal_iteratorINS9_10device_ptrIiEEEENSB_INSC_IyEEEESG_yNS9_4plusIvEENS9_8equal_toIvEEyEE10hipError_tPvRmT2_T3_T4_T5_mT6_T7_P12ihipStream_tbENKUlT_T0_E_clISt17integral_constantIbLb1EES11_EEDaSW_SX_EUlSW_E_NS1_11comp_targetILNS1_3genE9ELNS1_11target_archE1100ELNS1_3gpuE3ELNS1_3repE0EEENS1_30default_config_static_selectorELNS0_4arch9wavefront6targetE0EEEvT1_
    .private_segment_fixed_size: 0
    .sgpr_count:     0
    .sgpr_spill_count: 0
    .symbol:         _ZN7rocprim17ROCPRIM_400000_NS6detail17trampoline_kernelINS0_14default_configENS1_27scan_by_key_config_selectorIiyEEZZNS1_16scan_by_key_implILNS1_25lookback_scan_determinismE0ELb1ES3_N6thrust23THRUST_200600_302600_NS6detail15normal_iteratorINS9_10device_ptrIiEEEENSB_INSC_IyEEEESG_yNS9_4plusIvEENS9_8equal_toIvEEyEE10hipError_tPvRmT2_T3_T4_T5_mT6_T7_P12ihipStream_tbENKUlT_T0_E_clISt17integral_constantIbLb1EES11_EEDaSW_SX_EUlSW_E_NS1_11comp_targetILNS1_3genE9ELNS1_11target_archE1100ELNS1_3gpuE3ELNS1_3repE0EEENS1_30default_config_static_selectorELNS0_4arch9wavefront6targetE0EEEvT1_.kd
    .uniform_work_group_size: 1
    .uses_dynamic_stack: false
    .vgpr_count:     0
    .vgpr_spill_count: 0
    .wavefront_size: 32
    .workgroup_processor_mode: 1
  - .args:
      - .offset:         0
        .size:           136
        .value_kind:     by_value
    .group_segment_fixed_size: 0
    .kernarg_segment_align: 8
    .kernarg_segment_size: 136
    .language:       OpenCL C
    .language_version:
      - 2
      - 0
    .max_flat_workgroup_size: 256
    .name:           _ZN7rocprim17ROCPRIM_400000_NS6detail17trampoline_kernelINS0_14default_configENS1_27scan_by_key_config_selectorIiyEEZZNS1_16scan_by_key_implILNS1_25lookback_scan_determinismE0ELb1ES3_N6thrust23THRUST_200600_302600_NS6detail15normal_iteratorINS9_10device_ptrIiEEEENSB_INSC_IyEEEESG_yNS9_4plusIvEENS9_8equal_toIvEEyEE10hipError_tPvRmT2_T3_T4_T5_mT6_T7_P12ihipStream_tbENKUlT_T0_E_clISt17integral_constantIbLb1EES11_EEDaSW_SX_EUlSW_E_NS1_11comp_targetILNS1_3genE8ELNS1_11target_archE1030ELNS1_3gpuE2ELNS1_3repE0EEENS1_30default_config_static_selectorELNS0_4arch9wavefront6targetE0EEEvT1_
    .private_segment_fixed_size: 0
    .sgpr_count:     0
    .sgpr_spill_count: 0
    .symbol:         _ZN7rocprim17ROCPRIM_400000_NS6detail17trampoline_kernelINS0_14default_configENS1_27scan_by_key_config_selectorIiyEEZZNS1_16scan_by_key_implILNS1_25lookback_scan_determinismE0ELb1ES3_N6thrust23THRUST_200600_302600_NS6detail15normal_iteratorINS9_10device_ptrIiEEEENSB_INSC_IyEEEESG_yNS9_4plusIvEENS9_8equal_toIvEEyEE10hipError_tPvRmT2_T3_T4_T5_mT6_T7_P12ihipStream_tbENKUlT_T0_E_clISt17integral_constantIbLb1EES11_EEDaSW_SX_EUlSW_E_NS1_11comp_targetILNS1_3genE8ELNS1_11target_archE1030ELNS1_3gpuE2ELNS1_3repE0EEENS1_30default_config_static_selectorELNS0_4arch9wavefront6targetE0EEEvT1_.kd
    .uniform_work_group_size: 1
    .uses_dynamic_stack: false
    .vgpr_count:     0
    .vgpr_spill_count: 0
    .wavefront_size: 32
    .workgroup_processor_mode: 1
  - .args:
      - .offset:         0
        .size:           136
        .value_kind:     by_value
    .group_segment_fixed_size: 0
    .kernarg_segment_align: 8
    .kernarg_segment_size: 136
    .language:       OpenCL C
    .language_version:
      - 2
      - 0
    .max_flat_workgroup_size: 128
    .name:           _ZN7rocprim17ROCPRIM_400000_NS6detail17trampoline_kernelINS0_14default_configENS1_27scan_by_key_config_selectorIiyEEZZNS1_16scan_by_key_implILNS1_25lookback_scan_determinismE0ELb1ES3_N6thrust23THRUST_200600_302600_NS6detail15normal_iteratorINS9_10device_ptrIiEEEENSB_INSC_IyEEEESG_yNS9_4plusIvEENS9_8equal_toIvEEyEE10hipError_tPvRmT2_T3_T4_T5_mT6_T7_P12ihipStream_tbENKUlT_T0_E_clISt17integral_constantIbLb1EES10_IbLb0EEEEDaSW_SX_EUlSW_E_NS1_11comp_targetILNS1_3genE0ELNS1_11target_archE4294967295ELNS1_3gpuE0ELNS1_3repE0EEENS1_30default_config_static_selectorELNS0_4arch9wavefront6targetE0EEEvT1_
    .private_segment_fixed_size: 0
    .sgpr_count:     0
    .sgpr_spill_count: 0
    .symbol:         _ZN7rocprim17ROCPRIM_400000_NS6detail17trampoline_kernelINS0_14default_configENS1_27scan_by_key_config_selectorIiyEEZZNS1_16scan_by_key_implILNS1_25lookback_scan_determinismE0ELb1ES3_N6thrust23THRUST_200600_302600_NS6detail15normal_iteratorINS9_10device_ptrIiEEEENSB_INSC_IyEEEESG_yNS9_4plusIvEENS9_8equal_toIvEEyEE10hipError_tPvRmT2_T3_T4_T5_mT6_T7_P12ihipStream_tbENKUlT_T0_E_clISt17integral_constantIbLb1EES10_IbLb0EEEEDaSW_SX_EUlSW_E_NS1_11comp_targetILNS1_3genE0ELNS1_11target_archE4294967295ELNS1_3gpuE0ELNS1_3repE0EEENS1_30default_config_static_selectorELNS0_4arch9wavefront6targetE0EEEvT1_.kd
    .uniform_work_group_size: 1
    .uses_dynamic_stack: false
    .vgpr_count:     0
    .vgpr_spill_count: 0
    .wavefront_size: 32
    .workgroup_processor_mode: 1
  - .args:
      - .offset:         0
        .size:           136
        .value_kind:     by_value
    .group_segment_fixed_size: 0
    .kernarg_segment_align: 8
    .kernarg_segment_size: 136
    .language:       OpenCL C
    .language_version:
      - 2
      - 0
    .max_flat_workgroup_size: 256
    .name:           _ZN7rocprim17ROCPRIM_400000_NS6detail17trampoline_kernelINS0_14default_configENS1_27scan_by_key_config_selectorIiyEEZZNS1_16scan_by_key_implILNS1_25lookback_scan_determinismE0ELb1ES3_N6thrust23THRUST_200600_302600_NS6detail15normal_iteratorINS9_10device_ptrIiEEEENSB_INSC_IyEEEESG_yNS9_4plusIvEENS9_8equal_toIvEEyEE10hipError_tPvRmT2_T3_T4_T5_mT6_T7_P12ihipStream_tbENKUlT_T0_E_clISt17integral_constantIbLb1EES10_IbLb0EEEEDaSW_SX_EUlSW_E_NS1_11comp_targetILNS1_3genE10ELNS1_11target_archE1201ELNS1_3gpuE5ELNS1_3repE0EEENS1_30default_config_static_selectorELNS0_4arch9wavefront6targetE0EEEvT1_
    .private_segment_fixed_size: 0
    .sgpr_count:     0
    .sgpr_spill_count: 0
    .symbol:         _ZN7rocprim17ROCPRIM_400000_NS6detail17trampoline_kernelINS0_14default_configENS1_27scan_by_key_config_selectorIiyEEZZNS1_16scan_by_key_implILNS1_25lookback_scan_determinismE0ELb1ES3_N6thrust23THRUST_200600_302600_NS6detail15normal_iteratorINS9_10device_ptrIiEEEENSB_INSC_IyEEEESG_yNS9_4plusIvEENS9_8equal_toIvEEyEE10hipError_tPvRmT2_T3_T4_T5_mT6_T7_P12ihipStream_tbENKUlT_T0_E_clISt17integral_constantIbLb1EES10_IbLb0EEEEDaSW_SX_EUlSW_E_NS1_11comp_targetILNS1_3genE10ELNS1_11target_archE1201ELNS1_3gpuE5ELNS1_3repE0EEENS1_30default_config_static_selectorELNS0_4arch9wavefront6targetE0EEEvT1_.kd
    .uniform_work_group_size: 1
    .uses_dynamic_stack: false
    .vgpr_count:     0
    .vgpr_spill_count: 0
    .wavefront_size: 32
    .workgroup_processor_mode: 1
  - .args:
      - .offset:         0
        .size:           136
        .value_kind:     by_value
    .group_segment_fixed_size: 0
    .kernarg_segment_align: 8
    .kernarg_segment_size: 136
    .language:       OpenCL C
    .language_version:
      - 2
      - 0
    .max_flat_workgroup_size: 256
    .name:           _ZN7rocprim17ROCPRIM_400000_NS6detail17trampoline_kernelINS0_14default_configENS1_27scan_by_key_config_selectorIiyEEZZNS1_16scan_by_key_implILNS1_25lookback_scan_determinismE0ELb1ES3_N6thrust23THRUST_200600_302600_NS6detail15normal_iteratorINS9_10device_ptrIiEEEENSB_INSC_IyEEEESG_yNS9_4plusIvEENS9_8equal_toIvEEyEE10hipError_tPvRmT2_T3_T4_T5_mT6_T7_P12ihipStream_tbENKUlT_T0_E_clISt17integral_constantIbLb1EES10_IbLb0EEEEDaSW_SX_EUlSW_E_NS1_11comp_targetILNS1_3genE5ELNS1_11target_archE942ELNS1_3gpuE9ELNS1_3repE0EEENS1_30default_config_static_selectorELNS0_4arch9wavefront6targetE0EEEvT1_
    .private_segment_fixed_size: 0
    .sgpr_count:     0
    .sgpr_spill_count: 0
    .symbol:         _ZN7rocprim17ROCPRIM_400000_NS6detail17trampoline_kernelINS0_14default_configENS1_27scan_by_key_config_selectorIiyEEZZNS1_16scan_by_key_implILNS1_25lookback_scan_determinismE0ELb1ES3_N6thrust23THRUST_200600_302600_NS6detail15normal_iteratorINS9_10device_ptrIiEEEENSB_INSC_IyEEEESG_yNS9_4plusIvEENS9_8equal_toIvEEyEE10hipError_tPvRmT2_T3_T4_T5_mT6_T7_P12ihipStream_tbENKUlT_T0_E_clISt17integral_constantIbLb1EES10_IbLb0EEEEDaSW_SX_EUlSW_E_NS1_11comp_targetILNS1_3genE5ELNS1_11target_archE942ELNS1_3gpuE9ELNS1_3repE0EEENS1_30default_config_static_selectorELNS0_4arch9wavefront6targetE0EEEvT1_.kd
    .uniform_work_group_size: 1
    .uses_dynamic_stack: false
    .vgpr_count:     0
    .vgpr_spill_count: 0
    .wavefront_size: 32
    .workgroup_processor_mode: 1
  - .args:
      - .offset:         0
        .size:           136
        .value_kind:     by_value
    .group_segment_fixed_size: 0
    .kernarg_segment_align: 8
    .kernarg_segment_size: 136
    .language:       OpenCL C
    .language_version:
      - 2
      - 0
    .max_flat_workgroup_size: 64
    .name:           _ZN7rocprim17ROCPRIM_400000_NS6detail17trampoline_kernelINS0_14default_configENS1_27scan_by_key_config_selectorIiyEEZZNS1_16scan_by_key_implILNS1_25lookback_scan_determinismE0ELb1ES3_N6thrust23THRUST_200600_302600_NS6detail15normal_iteratorINS9_10device_ptrIiEEEENSB_INSC_IyEEEESG_yNS9_4plusIvEENS9_8equal_toIvEEyEE10hipError_tPvRmT2_T3_T4_T5_mT6_T7_P12ihipStream_tbENKUlT_T0_E_clISt17integral_constantIbLb1EES10_IbLb0EEEEDaSW_SX_EUlSW_E_NS1_11comp_targetILNS1_3genE4ELNS1_11target_archE910ELNS1_3gpuE8ELNS1_3repE0EEENS1_30default_config_static_selectorELNS0_4arch9wavefront6targetE0EEEvT1_
    .private_segment_fixed_size: 0
    .sgpr_count:     0
    .sgpr_spill_count: 0
    .symbol:         _ZN7rocprim17ROCPRIM_400000_NS6detail17trampoline_kernelINS0_14default_configENS1_27scan_by_key_config_selectorIiyEEZZNS1_16scan_by_key_implILNS1_25lookback_scan_determinismE0ELb1ES3_N6thrust23THRUST_200600_302600_NS6detail15normal_iteratorINS9_10device_ptrIiEEEENSB_INSC_IyEEEESG_yNS9_4plusIvEENS9_8equal_toIvEEyEE10hipError_tPvRmT2_T3_T4_T5_mT6_T7_P12ihipStream_tbENKUlT_T0_E_clISt17integral_constantIbLb1EES10_IbLb0EEEEDaSW_SX_EUlSW_E_NS1_11comp_targetILNS1_3genE4ELNS1_11target_archE910ELNS1_3gpuE8ELNS1_3repE0EEENS1_30default_config_static_selectorELNS0_4arch9wavefront6targetE0EEEvT1_.kd
    .uniform_work_group_size: 1
    .uses_dynamic_stack: false
    .vgpr_count:     0
    .vgpr_spill_count: 0
    .wavefront_size: 32
    .workgroup_processor_mode: 1
  - .args:
      - .offset:         0
        .size:           136
        .value_kind:     by_value
    .group_segment_fixed_size: 0
    .kernarg_segment_align: 8
    .kernarg_segment_size: 136
    .language:       OpenCL C
    .language_version:
      - 2
      - 0
    .max_flat_workgroup_size: 128
    .name:           _ZN7rocprim17ROCPRIM_400000_NS6detail17trampoline_kernelINS0_14default_configENS1_27scan_by_key_config_selectorIiyEEZZNS1_16scan_by_key_implILNS1_25lookback_scan_determinismE0ELb1ES3_N6thrust23THRUST_200600_302600_NS6detail15normal_iteratorINS9_10device_ptrIiEEEENSB_INSC_IyEEEESG_yNS9_4plusIvEENS9_8equal_toIvEEyEE10hipError_tPvRmT2_T3_T4_T5_mT6_T7_P12ihipStream_tbENKUlT_T0_E_clISt17integral_constantIbLb1EES10_IbLb0EEEEDaSW_SX_EUlSW_E_NS1_11comp_targetILNS1_3genE3ELNS1_11target_archE908ELNS1_3gpuE7ELNS1_3repE0EEENS1_30default_config_static_selectorELNS0_4arch9wavefront6targetE0EEEvT1_
    .private_segment_fixed_size: 0
    .sgpr_count:     0
    .sgpr_spill_count: 0
    .symbol:         _ZN7rocprim17ROCPRIM_400000_NS6detail17trampoline_kernelINS0_14default_configENS1_27scan_by_key_config_selectorIiyEEZZNS1_16scan_by_key_implILNS1_25lookback_scan_determinismE0ELb1ES3_N6thrust23THRUST_200600_302600_NS6detail15normal_iteratorINS9_10device_ptrIiEEEENSB_INSC_IyEEEESG_yNS9_4plusIvEENS9_8equal_toIvEEyEE10hipError_tPvRmT2_T3_T4_T5_mT6_T7_P12ihipStream_tbENKUlT_T0_E_clISt17integral_constantIbLb1EES10_IbLb0EEEEDaSW_SX_EUlSW_E_NS1_11comp_targetILNS1_3genE3ELNS1_11target_archE908ELNS1_3gpuE7ELNS1_3repE0EEENS1_30default_config_static_selectorELNS0_4arch9wavefront6targetE0EEEvT1_.kd
    .uniform_work_group_size: 1
    .uses_dynamic_stack: false
    .vgpr_count:     0
    .vgpr_spill_count: 0
    .wavefront_size: 32
    .workgroup_processor_mode: 1
  - .args:
      - .offset:         0
        .size:           136
        .value_kind:     by_value
    .group_segment_fixed_size: 0
    .kernarg_segment_align: 8
    .kernarg_segment_size: 136
    .language:       OpenCL C
    .language_version:
      - 2
      - 0
    .max_flat_workgroup_size: 64
    .name:           _ZN7rocprim17ROCPRIM_400000_NS6detail17trampoline_kernelINS0_14default_configENS1_27scan_by_key_config_selectorIiyEEZZNS1_16scan_by_key_implILNS1_25lookback_scan_determinismE0ELb1ES3_N6thrust23THRUST_200600_302600_NS6detail15normal_iteratorINS9_10device_ptrIiEEEENSB_INSC_IyEEEESG_yNS9_4plusIvEENS9_8equal_toIvEEyEE10hipError_tPvRmT2_T3_T4_T5_mT6_T7_P12ihipStream_tbENKUlT_T0_E_clISt17integral_constantIbLb1EES10_IbLb0EEEEDaSW_SX_EUlSW_E_NS1_11comp_targetILNS1_3genE2ELNS1_11target_archE906ELNS1_3gpuE6ELNS1_3repE0EEENS1_30default_config_static_selectorELNS0_4arch9wavefront6targetE0EEEvT1_
    .private_segment_fixed_size: 0
    .sgpr_count:     0
    .sgpr_spill_count: 0
    .symbol:         _ZN7rocprim17ROCPRIM_400000_NS6detail17trampoline_kernelINS0_14default_configENS1_27scan_by_key_config_selectorIiyEEZZNS1_16scan_by_key_implILNS1_25lookback_scan_determinismE0ELb1ES3_N6thrust23THRUST_200600_302600_NS6detail15normal_iteratorINS9_10device_ptrIiEEEENSB_INSC_IyEEEESG_yNS9_4plusIvEENS9_8equal_toIvEEyEE10hipError_tPvRmT2_T3_T4_T5_mT6_T7_P12ihipStream_tbENKUlT_T0_E_clISt17integral_constantIbLb1EES10_IbLb0EEEEDaSW_SX_EUlSW_E_NS1_11comp_targetILNS1_3genE2ELNS1_11target_archE906ELNS1_3gpuE6ELNS1_3repE0EEENS1_30default_config_static_selectorELNS0_4arch9wavefront6targetE0EEEvT1_.kd
    .uniform_work_group_size: 1
    .uses_dynamic_stack: false
    .vgpr_count:     0
    .vgpr_spill_count: 0
    .wavefront_size: 32
    .workgroup_processor_mode: 1
  - .args:
      - .offset:         0
        .size:           136
        .value_kind:     by_value
    .group_segment_fixed_size: 0
    .kernarg_segment_align: 8
    .kernarg_segment_size: 136
    .language:       OpenCL C
    .language_version:
      - 2
      - 0
    .max_flat_workgroup_size: 256
    .name:           _ZN7rocprim17ROCPRIM_400000_NS6detail17trampoline_kernelINS0_14default_configENS1_27scan_by_key_config_selectorIiyEEZZNS1_16scan_by_key_implILNS1_25lookback_scan_determinismE0ELb1ES3_N6thrust23THRUST_200600_302600_NS6detail15normal_iteratorINS9_10device_ptrIiEEEENSB_INSC_IyEEEESG_yNS9_4plusIvEENS9_8equal_toIvEEyEE10hipError_tPvRmT2_T3_T4_T5_mT6_T7_P12ihipStream_tbENKUlT_T0_E_clISt17integral_constantIbLb1EES10_IbLb0EEEEDaSW_SX_EUlSW_E_NS1_11comp_targetILNS1_3genE10ELNS1_11target_archE1200ELNS1_3gpuE4ELNS1_3repE0EEENS1_30default_config_static_selectorELNS0_4arch9wavefront6targetE0EEEvT1_
    .private_segment_fixed_size: 0
    .sgpr_count:     0
    .sgpr_spill_count: 0
    .symbol:         _ZN7rocprim17ROCPRIM_400000_NS6detail17trampoline_kernelINS0_14default_configENS1_27scan_by_key_config_selectorIiyEEZZNS1_16scan_by_key_implILNS1_25lookback_scan_determinismE0ELb1ES3_N6thrust23THRUST_200600_302600_NS6detail15normal_iteratorINS9_10device_ptrIiEEEENSB_INSC_IyEEEESG_yNS9_4plusIvEENS9_8equal_toIvEEyEE10hipError_tPvRmT2_T3_T4_T5_mT6_T7_P12ihipStream_tbENKUlT_T0_E_clISt17integral_constantIbLb1EES10_IbLb0EEEEDaSW_SX_EUlSW_E_NS1_11comp_targetILNS1_3genE10ELNS1_11target_archE1200ELNS1_3gpuE4ELNS1_3repE0EEENS1_30default_config_static_selectorELNS0_4arch9wavefront6targetE0EEEvT1_.kd
    .uniform_work_group_size: 1
    .uses_dynamic_stack: false
    .vgpr_count:     0
    .vgpr_spill_count: 0
    .wavefront_size: 32
    .workgroup_processor_mode: 1
  - .args:
      - .offset:         0
        .size:           136
        .value_kind:     by_value
    .group_segment_fixed_size: 0
    .kernarg_segment_align: 8
    .kernarg_segment_size: 136
    .language:       OpenCL C
    .language_version:
      - 2
      - 0
    .max_flat_workgroup_size: 256
    .name:           _ZN7rocprim17ROCPRIM_400000_NS6detail17trampoline_kernelINS0_14default_configENS1_27scan_by_key_config_selectorIiyEEZZNS1_16scan_by_key_implILNS1_25lookback_scan_determinismE0ELb1ES3_N6thrust23THRUST_200600_302600_NS6detail15normal_iteratorINS9_10device_ptrIiEEEENSB_INSC_IyEEEESG_yNS9_4plusIvEENS9_8equal_toIvEEyEE10hipError_tPvRmT2_T3_T4_T5_mT6_T7_P12ihipStream_tbENKUlT_T0_E_clISt17integral_constantIbLb1EES10_IbLb0EEEEDaSW_SX_EUlSW_E_NS1_11comp_targetILNS1_3genE9ELNS1_11target_archE1100ELNS1_3gpuE3ELNS1_3repE0EEENS1_30default_config_static_selectorELNS0_4arch9wavefront6targetE0EEEvT1_
    .private_segment_fixed_size: 0
    .sgpr_count:     0
    .sgpr_spill_count: 0
    .symbol:         _ZN7rocprim17ROCPRIM_400000_NS6detail17trampoline_kernelINS0_14default_configENS1_27scan_by_key_config_selectorIiyEEZZNS1_16scan_by_key_implILNS1_25lookback_scan_determinismE0ELb1ES3_N6thrust23THRUST_200600_302600_NS6detail15normal_iteratorINS9_10device_ptrIiEEEENSB_INSC_IyEEEESG_yNS9_4plusIvEENS9_8equal_toIvEEyEE10hipError_tPvRmT2_T3_T4_T5_mT6_T7_P12ihipStream_tbENKUlT_T0_E_clISt17integral_constantIbLb1EES10_IbLb0EEEEDaSW_SX_EUlSW_E_NS1_11comp_targetILNS1_3genE9ELNS1_11target_archE1100ELNS1_3gpuE3ELNS1_3repE0EEENS1_30default_config_static_selectorELNS0_4arch9wavefront6targetE0EEEvT1_.kd
    .uniform_work_group_size: 1
    .uses_dynamic_stack: false
    .vgpr_count:     0
    .vgpr_spill_count: 0
    .wavefront_size: 32
    .workgroup_processor_mode: 1
  - .args:
      - .offset:         0
        .size:           136
        .value_kind:     by_value
    .group_segment_fixed_size: 0
    .kernarg_segment_align: 8
    .kernarg_segment_size: 136
    .language:       OpenCL C
    .language_version:
      - 2
      - 0
    .max_flat_workgroup_size: 256
    .name:           _ZN7rocprim17ROCPRIM_400000_NS6detail17trampoline_kernelINS0_14default_configENS1_27scan_by_key_config_selectorIiyEEZZNS1_16scan_by_key_implILNS1_25lookback_scan_determinismE0ELb1ES3_N6thrust23THRUST_200600_302600_NS6detail15normal_iteratorINS9_10device_ptrIiEEEENSB_INSC_IyEEEESG_yNS9_4plusIvEENS9_8equal_toIvEEyEE10hipError_tPvRmT2_T3_T4_T5_mT6_T7_P12ihipStream_tbENKUlT_T0_E_clISt17integral_constantIbLb1EES10_IbLb0EEEEDaSW_SX_EUlSW_E_NS1_11comp_targetILNS1_3genE8ELNS1_11target_archE1030ELNS1_3gpuE2ELNS1_3repE0EEENS1_30default_config_static_selectorELNS0_4arch9wavefront6targetE0EEEvT1_
    .private_segment_fixed_size: 0
    .sgpr_count:     0
    .sgpr_spill_count: 0
    .symbol:         _ZN7rocprim17ROCPRIM_400000_NS6detail17trampoline_kernelINS0_14default_configENS1_27scan_by_key_config_selectorIiyEEZZNS1_16scan_by_key_implILNS1_25lookback_scan_determinismE0ELb1ES3_N6thrust23THRUST_200600_302600_NS6detail15normal_iteratorINS9_10device_ptrIiEEEENSB_INSC_IyEEEESG_yNS9_4plusIvEENS9_8equal_toIvEEyEE10hipError_tPvRmT2_T3_T4_T5_mT6_T7_P12ihipStream_tbENKUlT_T0_E_clISt17integral_constantIbLb1EES10_IbLb0EEEEDaSW_SX_EUlSW_E_NS1_11comp_targetILNS1_3genE8ELNS1_11target_archE1030ELNS1_3gpuE2ELNS1_3repE0EEENS1_30default_config_static_selectorELNS0_4arch9wavefront6targetE0EEEvT1_.kd
    .uniform_work_group_size: 1
    .uses_dynamic_stack: false
    .vgpr_count:     0
    .vgpr_spill_count: 0
    .wavefront_size: 32
    .workgroup_processor_mode: 1
  - .args:
      - .offset:         0
        .size:           136
        .value_kind:     by_value
    .group_segment_fixed_size: 0
    .kernarg_segment_align: 8
    .kernarg_segment_size: 136
    .language:       OpenCL C
    .language_version:
      - 2
      - 0
    .max_flat_workgroup_size: 128
    .name:           _ZN7rocprim17ROCPRIM_400000_NS6detail17trampoline_kernelINS0_14default_configENS1_27scan_by_key_config_selectorIiyEEZZNS1_16scan_by_key_implILNS1_25lookback_scan_determinismE0ELb1ES3_N6thrust23THRUST_200600_302600_NS6detail15normal_iteratorINS9_10device_ptrIiEEEENSB_INSC_IyEEEESG_yNS9_4plusIvEENS9_8equal_toIvEEyEE10hipError_tPvRmT2_T3_T4_T5_mT6_T7_P12ihipStream_tbENKUlT_T0_E_clISt17integral_constantIbLb0EES10_IbLb1EEEEDaSW_SX_EUlSW_E_NS1_11comp_targetILNS1_3genE0ELNS1_11target_archE4294967295ELNS1_3gpuE0ELNS1_3repE0EEENS1_30default_config_static_selectorELNS0_4arch9wavefront6targetE0EEEvT1_
    .private_segment_fixed_size: 0
    .sgpr_count:     0
    .sgpr_spill_count: 0
    .symbol:         _ZN7rocprim17ROCPRIM_400000_NS6detail17trampoline_kernelINS0_14default_configENS1_27scan_by_key_config_selectorIiyEEZZNS1_16scan_by_key_implILNS1_25lookback_scan_determinismE0ELb1ES3_N6thrust23THRUST_200600_302600_NS6detail15normal_iteratorINS9_10device_ptrIiEEEENSB_INSC_IyEEEESG_yNS9_4plusIvEENS9_8equal_toIvEEyEE10hipError_tPvRmT2_T3_T4_T5_mT6_T7_P12ihipStream_tbENKUlT_T0_E_clISt17integral_constantIbLb0EES10_IbLb1EEEEDaSW_SX_EUlSW_E_NS1_11comp_targetILNS1_3genE0ELNS1_11target_archE4294967295ELNS1_3gpuE0ELNS1_3repE0EEENS1_30default_config_static_selectorELNS0_4arch9wavefront6targetE0EEEvT1_.kd
    .uniform_work_group_size: 1
    .uses_dynamic_stack: false
    .vgpr_count:     0
    .vgpr_spill_count: 0
    .wavefront_size: 32
    .workgroup_processor_mode: 1
  - .args:
      - .offset:         0
        .size:           136
        .value_kind:     by_value
    .group_segment_fixed_size: 0
    .kernarg_segment_align: 8
    .kernarg_segment_size: 136
    .language:       OpenCL C
    .language_version:
      - 2
      - 0
    .max_flat_workgroup_size: 256
    .name:           _ZN7rocprim17ROCPRIM_400000_NS6detail17trampoline_kernelINS0_14default_configENS1_27scan_by_key_config_selectorIiyEEZZNS1_16scan_by_key_implILNS1_25lookback_scan_determinismE0ELb1ES3_N6thrust23THRUST_200600_302600_NS6detail15normal_iteratorINS9_10device_ptrIiEEEENSB_INSC_IyEEEESG_yNS9_4plusIvEENS9_8equal_toIvEEyEE10hipError_tPvRmT2_T3_T4_T5_mT6_T7_P12ihipStream_tbENKUlT_T0_E_clISt17integral_constantIbLb0EES10_IbLb1EEEEDaSW_SX_EUlSW_E_NS1_11comp_targetILNS1_3genE10ELNS1_11target_archE1201ELNS1_3gpuE5ELNS1_3repE0EEENS1_30default_config_static_selectorELNS0_4arch9wavefront6targetE0EEEvT1_
    .private_segment_fixed_size: 0
    .sgpr_count:     0
    .sgpr_spill_count: 0
    .symbol:         _ZN7rocprim17ROCPRIM_400000_NS6detail17trampoline_kernelINS0_14default_configENS1_27scan_by_key_config_selectorIiyEEZZNS1_16scan_by_key_implILNS1_25lookback_scan_determinismE0ELb1ES3_N6thrust23THRUST_200600_302600_NS6detail15normal_iteratorINS9_10device_ptrIiEEEENSB_INSC_IyEEEESG_yNS9_4plusIvEENS9_8equal_toIvEEyEE10hipError_tPvRmT2_T3_T4_T5_mT6_T7_P12ihipStream_tbENKUlT_T0_E_clISt17integral_constantIbLb0EES10_IbLb1EEEEDaSW_SX_EUlSW_E_NS1_11comp_targetILNS1_3genE10ELNS1_11target_archE1201ELNS1_3gpuE5ELNS1_3repE0EEENS1_30default_config_static_selectorELNS0_4arch9wavefront6targetE0EEEvT1_.kd
    .uniform_work_group_size: 1
    .uses_dynamic_stack: false
    .vgpr_count:     0
    .vgpr_spill_count: 0
    .wavefront_size: 32
    .workgroup_processor_mode: 1
  - .args:
      - .offset:         0
        .size:           136
        .value_kind:     by_value
    .group_segment_fixed_size: 0
    .kernarg_segment_align: 8
    .kernarg_segment_size: 136
    .language:       OpenCL C
    .language_version:
      - 2
      - 0
    .max_flat_workgroup_size: 256
    .name:           _ZN7rocprim17ROCPRIM_400000_NS6detail17trampoline_kernelINS0_14default_configENS1_27scan_by_key_config_selectorIiyEEZZNS1_16scan_by_key_implILNS1_25lookback_scan_determinismE0ELb1ES3_N6thrust23THRUST_200600_302600_NS6detail15normal_iteratorINS9_10device_ptrIiEEEENSB_INSC_IyEEEESG_yNS9_4plusIvEENS9_8equal_toIvEEyEE10hipError_tPvRmT2_T3_T4_T5_mT6_T7_P12ihipStream_tbENKUlT_T0_E_clISt17integral_constantIbLb0EES10_IbLb1EEEEDaSW_SX_EUlSW_E_NS1_11comp_targetILNS1_3genE5ELNS1_11target_archE942ELNS1_3gpuE9ELNS1_3repE0EEENS1_30default_config_static_selectorELNS0_4arch9wavefront6targetE0EEEvT1_
    .private_segment_fixed_size: 0
    .sgpr_count:     0
    .sgpr_spill_count: 0
    .symbol:         _ZN7rocprim17ROCPRIM_400000_NS6detail17trampoline_kernelINS0_14default_configENS1_27scan_by_key_config_selectorIiyEEZZNS1_16scan_by_key_implILNS1_25lookback_scan_determinismE0ELb1ES3_N6thrust23THRUST_200600_302600_NS6detail15normal_iteratorINS9_10device_ptrIiEEEENSB_INSC_IyEEEESG_yNS9_4plusIvEENS9_8equal_toIvEEyEE10hipError_tPvRmT2_T3_T4_T5_mT6_T7_P12ihipStream_tbENKUlT_T0_E_clISt17integral_constantIbLb0EES10_IbLb1EEEEDaSW_SX_EUlSW_E_NS1_11comp_targetILNS1_3genE5ELNS1_11target_archE942ELNS1_3gpuE9ELNS1_3repE0EEENS1_30default_config_static_selectorELNS0_4arch9wavefront6targetE0EEEvT1_.kd
    .uniform_work_group_size: 1
    .uses_dynamic_stack: false
    .vgpr_count:     0
    .vgpr_spill_count: 0
    .wavefront_size: 32
    .workgroup_processor_mode: 1
  - .args:
      - .offset:         0
        .size:           136
        .value_kind:     by_value
    .group_segment_fixed_size: 0
    .kernarg_segment_align: 8
    .kernarg_segment_size: 136
    .language:       OpenCL C
    .language_version:
      - 2
      - 0
    .max_flat_workgroup_size: 64
    .name:           _ZN7rocprim17ROCPRIM_400000_NS6detail17trampoline_kernelINS0_14default_configENS1_27scan_by_key_config_selectorIiyEEZZNS1_16scan_by_key_implILNS1_25lookback_scan_determinismE0ELb1ES3_N6thrust23THRUST_200600_302600_NS6detail15normal_iteratorINS9_10device_ptrIiEEEENSB_INSC_IyEEEESG_yNS9_4plusIvEENS9_8equal_toIvEEyEE10hipError_tPvRmT2_T3_T4_T5_mT6_T7_P12ihipStream_tbENKUlT_T0_E_clISt17integral_constantIbLb0EES10_IbLb1EEEEDaSW_SX_EUlSW_E_NS1_11comp_targetILNS1_3genE4ELNS1_11target_archE910ELNS1_3gpuE8ELNS1_3repE0EEENS1_30default_config_static_selectorELNS0_4arch9wavefront6targetE0EEEvT1_
    .private_segment_fixed_size: 0
    .sgpr_count:     0
    .sgpr_spill_count: 0
    .symbol:         _ZN7rocprim17ROCPRIM_400000_NS6detail17trampoline_kernelINS0_14default_configENS1_27scan_by_key_config_selectorIiyEEZZNS1_16scan_by_key_implILNS1_25lookback_scan_determinismE0ELb1ES3_N6thrust23THRUST_200600_302600_NS6detail15normal_iteratorINS9_10device_ptrIiEEEENSB_INSC_IyEEEESG_yNS9_4plusIvEENS9_8equal_toIvEEyEE10hipError_tPvRmT2_T3_T4_T5_mT6_T7_P12ihipStream_tbENKUlT_T0_E_clISt17integral_constantIbLb0EES10_IbLb1EEEEDaSW_SX_EUlSW_E_NS1_11comp_targetILNS1_3genE4ELNS1_11target_archE910ELNS1_3gpuE8ELNS1_3repE0EEENS1_30default_config_static_selectorELNS0_4arch9wavefront6targetE0EEEvT1_.kd
    .uniform_work_group_size: 1
    .uses_dynamic_stack: false
    .vgpr_count:     0
    .vgpr_spill_count: 0
    .wavefront_size: 32
    .workgroup_processor_mode: 1
  - .args:
      - .offset:         0
        .size:           136
        .value_kind:     by_value
    .group_segment_fixed_size: 0
    .kernarg_segment_align: 8
    .kernarg_segment_size: 136
    .language:       OpenCL C
    .language_version:
      - 2
      - 0
    .max_flat_workgroup_size: 128
    .name:           _ZN7rocprim17ROCPRIM_400000_NS6detail17trampoline_kernelINS0_14default_configENS1_27scan_by_key_config_selectorIiyEEZZNS1_16scan_by_key_implILNS1_25lookback_scan_determinismE0ELb1ES3_N6thrust23THRUST_200600_302600_NS6detail15normal_iteratorINS9_10device_ptrIiEEEENSB_INSC_IyEEEESG_yNS9_4plusIvEENS9_8equal_toIvEEyEE10hipError_tPvRmT2_T3_T4_T5_mT6_T7_P12ihipStream_tbENKUlT_T0_E_clISt17integral_constantIbLb0EES10_IbLb1EEEEDaSW_SX_EUlSW_E_NS1_11comp_targetILNS1_3genE3ELNS1_11target_archE908ELNS1_3gpuE7ELNS1_3repE0EEENS1_30default_config_static_selectorELNS0_4arch9wavefront6targetE0EEEvT1_
    .private_segment_fixed_size: 0
    .sgpr_count:     0
    .sgpr_spill_count: 0
    .symbol:         _ZN7rocprim17ROCPRIM_400000_NS6detail17trampoline_kernelINS0_14default_configENS1_27scan_by_key_config_selectorIiyEEZZNS1_16scan_by_key_implILNS1_25lookback_scan_determinismE0ELb1ES3_N6thrust23THRUST_200600_302600_NS6detail15normal_iteratorINS9_10device_ptrIiEEEENSB_INSC_IyEEEESG_yNS9_4plusIvEENS9_8equal_toIvEEyEE10hipError_tPvRmT2_T3_T4_T5_mT6_T7_P12ihipStream_tbENKUlT_T0_E_clISt17integral_constantIbLb0EES10_IbLb1EEEEDaSW_SX_EUlSW_E_NS1_11comp_targetILNS1_3genE3ELNS1_11target_archE908ELNS1_3gpuE7ELNS1_3repE0EEENS1_30default_config_static_selectorELNS0_4arch9wavefront6targetE0EEEvT1_.kd
    .uniform_work_group_size: 1
    .uses_dynamic_stack: false
    .vgpr_count:     0
    .vgpr_spill_count: 0
    .wavefront_size: 32
    .workgroup_processor_mode: 1
  - .args:
      - .offset:         0
        .size:           136
        .value_kind:     by_value
    .group_segment_fixed_size: 0
    .kernarg_segment_align: 8
    .kernarg_segment_size: 136
    .language:       OpenCL C
    .language_version:
      - 2
      - 0
    .max_flat_workgroup_size: 64
    .name:           _ZN7rocprim17ROCPRIM_400000_NS6detail17trampoline_kernelINS0_14default_configENS1_27scan_by_key_config_selectorIiyEEZZNS1_16scan_by_key_implILNS1_25lookback_scan_determinismE0ELb1ES3_N6thrust23THRUST_200600_302600_NS6detail15normal_iteratorINS9_10device_ptrIiEEEENSB_INSC_IyEEEESG_yNS9_4plusIvEENS9_8equal_toIvEEyEE10hipError_tPvRmT2_T3_T4_T5_mT6_T7_P12ihipStream_tbENKUlT_T0_E_clISt17integral_constantIbLb0EES10_IbLb1EEEEDaSW_SX_EUlSW_E_NS1_11comp_targetILNS1_3genE2ELNS1_11target_archE906ELNS1_3gpuE6ELNS1_3repE0EEENS1_30default_config_static_selectorELNS0_4arch9wavefront6targetE0EEEvT1_
    .private_segment_fixed_size: 0
    .sgpr_count:     0
    .sgpr_spill_count: 0
    .symbol:         _ZN7rocprim17ROCPRIM_400000_NS6detail17trampoline_kernelINS0_14default_configENS1_27scan_by_key_config_selectorIiyEEZZNS1_16scan_by_key_implILNS1_25lookback_scan_determinismE0ELb1ES3_N6thrust23THRUST_200600_302600_NS6detail15normal_iteratorINS9_10device_ptrIiEEEENSB_INSC_IyEEEESG_yNS9_4plusIvEENS9_8equal_toIvEEyEE10hipError_tPvRmT2_T3_T4_T5_mT6_T7_P12ihipStream_tbENKUlT_T0_E_clISt17integral_constantIbLb0EES10_IbLb1EEEEDaSW_SX_EUlSW_E_NS1_11comp_targetILNS1_3genE2ELNS1_11target_archE906ELNS1_3gpuE6ELNS1_3repE0EEENS1_30default_config_static_selectorELNS0_4arch9wavefront6targetE0EEEvT1_.kd
    .uniform_work_group_size: 1
    .uses_dynamic_stack: false
    .vgpr_count:     0
    .vgpr_spill_count: 0
    .wavefront_size: 32
    .workgroup_processor_mode: 1
  - .args:
      - .offset:         0
        .size:           136
        .value_kind:     by_value
    .group_segment_fixed_size: 0
    .kernarg_segment_align: 8
    .kernarg_segment_size: 136
    .language:       OpenCL C
    .language_version:
      - 2
      - 0
    .max_flat_workgroup_size: 256
    .name:           _ZN7rocprim17ROCPRIM_400000_NS6detail17trampoline_kernelINS0_14default_configENS1_27scan_by_key_config_selectorIiyEEZZNS1_16scan_by_key_implILNS1_25lookback_scan_determinismE0ELb1ES3_N6thrust23THRUST_200600_302600_NS6detail15normal_iteratorINS9_10device_ptrIiEEEENSB_INSC_IyEEEESG_yNS9_4plusIvEENS9_8equal_toIvEEyEE10hipError_tPvRmT2_T3_T4_T5_mT6_T7_P12ihipStream_tbENKUlT_T0_E_clISt17integral_constantIbLb0EES10_IbLb1EEEEDaSW_SX_EUlSW_E_NS1_11comp_targetILNS1_3genE10ELNS1_11target_archE1200ELNS1_3gpuE4ELNS1_3repE0EEENS1_30default_config_static_selectorELNS0_4arch9wavefront6targetE0EEEvT1_
    .private_segment_fixed_size: 0
    .sgpr_count:     0
    .sgpr_spill_count: 0
    .symbol:         _ZN7rocprim17ROCPRIM_400000_NS6detail17trampoline_kernelINS0_14default_configENS1_27scan_by_key_config_selectorIiyEEZZNS1_16scan_by_key_implILNS1_25lookback_scan_determinismE0ELb1ES3_N6thrust23THRUST_200600_302600_NS6detail15normal_iteratorINS9_10device_ptrIiEEEENSB_INSC_IyEEEESG_yNS9_4plusIvEENS9_8equal_toIvEEyEE10hipError_tPvRmT2_T3_T4_T5_mT6_T7_P12ihipStream_tbENKUlT_T0_E_clISt17integral_constantIbLb0EES10_IbLb1EEEEDaSW_SX_EUlSW_E_NS1_11comp_targetILNS1_3genE10ELNS1_11target_archE1200ELNS1_3gpuE4ELNS1_3repE0EEENS1_30default_config_static_selectorELNS0_4arch9wavefront6targetE0EEEvT1_.kd
    .uniform_work_group_size: 1
    .uses_dynamic_stack: false
    .vgpr_count:     0
    .vgpr_spill_count: 0
    .wavefront_size: 32
    .workgroup_processor_mode: 1
  - .args:
      - .offset:         0
        .size:           136
        .value_kind:     by_value
    .group_segment_fixed_size: 0
    .kernarg_segment_align: 8
    .kernarg_segment_size: 136
    .language:       OpenCL C
    .language_version:
      - 2
      - 0
    .max_flat_workgroup_size: 256
    .name:           _ZN7rocprim17ROCPRIM_400000_NS6detail17trampoline_kernelINS0_14default_configENS1_27scan_by_key_config_selectorIiyEEZZNS1_16scan_by_key_implILNS1_25lookback_scan_determinismE0ELb1ES3_N6thrust23THRUST_200600_302600_NS6detail15normal_iteratorINS9_10device_ptrIiEEEENSB_INSC_IyEEEESG_yNS9_4plusIvEENS9_8equal_toIvEEyEE10hipError_tPvRmT2_T3_T4_T5_mT6_T7_P12ihipStream_tbENKUlT_T0_E_clISt17integral_constantIbLb0EES10_IbLb1EEEEDaSW_SX_EUlSW_E_NS1_11comp_targetILNS1_3genE9ELNS1_11target_archE1100ELNS1_3gpuE3ELNS1_3repE0EEENS1_30default_config_static_selectorELNS0_4arch9wavefront6targetE0EEEvT1_
    .private_segment_fixed_size: 0
    .sgpr_count:     0
    .sgpr_spill_count: 0
    .symbol:         _ZN7rocprim17ROCPRIM_400000_NS6detail17trampoline_kernelINS0_14default_configENS1_27scan_by_key_config_selectorIiyEEZZNS1_16scan_by_key_implILNS1_25lookback_scan_determinismE0ELb1ES3_N6thrust23THRUST_200600_302600_NS6detail15normal_iteratorINS9_10device_ptrIiEEEENSB_INSC_IyEEEESG_yNS9_4plusIvEENS9_8equal_toIvEEyEE10hipError_tPvRmT2_T3_T4_T5_mT6_T7_P12ihipStream_tbENKUlT_T0_E_clISt17integral_constantIbLb0EES10_IbLb1EEEEDaSW_SX_EUlSW_E_NS1_11comp_targetILNS1_3genE9ELNS1_11target_archE1100ELNS1_3gpuE3ELNS1_3repE0EEENS1_30default_config_static_selectorELNS0_4arch9wavefront6targetE0EEEvT1_.kd
    .uniform_work_group_size: 1
    .uses_dynamic_stack: false
    .vgpr_count:     0
    .vgpr_spill_count: 0
    .wavefront_size: 32
    .workgroup_processor_mode: 1
  - .args:
      - .offset:         0
        .size:           136
        .value_kind:     by_value
    .group_segment_fixed_size: 6144
    .kernarg_segment_align: 8
    .kernarg_segment_size: 136
    .language:       OpenCL C
    .language_version:
      - 2
      - 0
    .max_flat_workgroup_size: 256
    .name:           _ZN7rocprim17ROCPRIM_400000_NS6detail17trampoline_kernelINS0_14default_configENS1_27scan_by_key_config_selectorIiyEEZZNS1_16scan_by_key_implILNS1_25lookback_scan_determinismE0ELb1ES3_N6thrust23THRUST_200600_302600_NS6detail15normal_iteratorINS9_10device_ptrIiEEEENSB_INSC_IyEEEESG_yNS9_4plusIvEENS9_8equal_toIvEEyEE10hipError_tPvRmT2_T3_T4_T5_mT6_T7_P12ihipStream_tbENKUlT_T0_E_clISt17integral_constantIbLb0EES10_IbLb1EEEEDaSW_SX_EUlSW_E_NS1_11comp_targetILNS1_3genE8ELNS1_11target_archE1030ELNS1_3gpuE2ELNS1_3repE0EEENS1_30default_config_static_selectorELNS0_4arch9wavefront6targetE0EEEvT1_
    .private_segment_fixed_size: 0
    .sgpr_count:     39
    .sgpr_spill_count: 0
    .symbol:         _ZN7rocprim17ROCPRIM_400000_NS6detail17trampoline_kernelINS0_14default_configENS1_27scan_by_key_config_selectorIiyEEZZNS1_16scan_by_key_implILNS1_25lookback_scan_determinismE0ELb1ES3_N6thrust23THRUST_200600_302600_NS6detail15normal_iteratorINS9_10device_ptrIiEEEENSB_INSC_IyEEEESG_yNS9_4plusIvEENS9_8equal_toIvEEyEE10hipError_tPvRmT2_T3_T4_T5_mT6_T7_P12ihipStream_tbENKUlT_T0_E_clISt17integral_constantIbLb0EES10_IbLb1EEEEDaSW_SX_EUlSW_E_NS1_11comp_targetILNS1_3genE8ELNS1_11target_archE1030ELNS1_3gpuE2ELNS1_3repE0EEENS1_30default_config_static_selectorELNS0_4arch9wavefront6targetE0EEEvT1_.kd
    .uniform_work_group_size: 1
    .uses_dynamic_stack: false
    .vgpr_count:     48
    .vgpr_spill_count: 0
    .wavefront_size: 32
    .workgroup_processor_mode: 1
  - .args:
      - .offset:         0
        .size:           112
        .value_kind:     by_value
    .group_segment_fixed_size: 0
    .kernarg_segment_align: 8
    .kernarg_segment_size: 112
    .language:       OpenCL C
    .language_version:
      - 2
      - 0
    .max_flat_workgroup_size: 256
    .name:           _ZN7rocprim17ROCPRIM_400000_NS6detail17trampoline_kernelINS0_14default_configENS1_27scan_by_key_config_selectorIijEEZZNS1_16scan_by_key_implILNS1_25lookback_scan_determinismE0ELb1ES3_N6thrust23THRUST_200600_302600_NS6detail15normal_iteratorINS9_10device_ptrIiEEEENSB_INSC_IjEEEESG_jNS9_4plusIvEENS9_8equal_toIvEEjEE10hipError_tPvRmT2_T3_T4_T5_mT6_T7_P12ihipStream_tbENKUlT_T0_E_clISt17integral_constantIbLb0EES11_EEDaSW_SX_EUlSW_E_NS1_11comp_targetILNS1_3genE0ELNS1_11target_archE4294967295ELNS1_3gpuE0ELNS1_3repE0EEENS1_30default_config_static_selectorELNS0_4arch9wavefront6targetE0EEEvT1_
    .private_segment_fixed_size: 0
    .sgpr_count:     0
    .sgpr_spill_count: 0
    .symbol:         _ZN7rocprim17ROCPRIM_400000_NS6detail17trampoline_kernelINS0_14default_configENS1_27scan_by_key_config_selectorIijEEZZNS1_16scan_by_key_implILNS1_25lookback_scan_determinismE0ELb1ES3_N6thrust23THRUST_200600_302600_NS6detail15normal_iteratorINS9_10device_ptrIiEEEENSB_INSC_IjEEEESG_jNS9_4plusIvEENS9_8equal_toIvEEjEE10hipError_tPvRmT2_T3_T4_T5_mT6_T7_P12ihipStream_tbENKUlT_T0_E_clISt17integral_constantIbLb0EES11_EEDaSW_SX_EUlSW_E_NS1_11comp_targetILNS1_3genE0ELNS1_11target_archE4294967295ELNS1_3gpuE0ELNS1_3repE0EEENS1_30default_config_static_selectorELNS0_4arch9wavefront6targetE0EEEvT1_.kd
    .uniform_work_group_size: 1
    .uses_dynamic_stack: false
    .vgpr_count:     0
    .vgpr_spill_count: 0
    .wavefront_size: 32
    .workgroup_processor_mode: 1
  - .args:
      - .offset:         0
        .size:           112
        .value_kind:     by_value
    .group_segment_fixed_size: 0
    .kernarg_segment_align: 8
    .kernarg_segment_size: 112
    .language:       OpenCL C
    .language_version:
      - 2
      - 0
    .max_flat_workgroup_size: 256
    .name:           _ZN7rocprim17ROCPRIM_400000_NS6detail17trampoline_kernelINS0_14default_configENS1_27scan_by_key_config_selectorIijEEZZNS1_16scan_by_key_implILNS1_25lookback_scan_determinismE0ELb1ES3_N6thrust23THRUST_200600_302600_NS6detail15normal_iteratorINS9_10device_ptrIiEEEENSB_INSC_IjEEEESG_jNS9_4plusIvEENS9_8equal_toIvEEjEE10hipError_tPvRmT2_T3_T4_T5_mT6_T7_P12ihipStream_tbENKUlT_T0_E_clISt17integral_constantIbLb0EES11_EEDaSW_SX_EUlSW_E_NS1_11comp_targetILNS1_3genE10ELNS1_11target_archE1201ELNS1_3gpuE5ELNS1_3repE0EEENS1_30default_config_static_selectorELNS0_4arch9wavefront6targetE0EEEvT1_
    .private_segment_fixed_size: 0
    .sgpr_count:     0
    .sgpr_spill_count: 0
    .symbol:         _ZN7rocprim17ROCPRIM_400000_NS6detail17trampoline_kernelINS0_14default_configENS1_27scan_by_key_config_selectorIijEEZZNS1_16scan_by_key_implILNS1_25lookback_scan_determinismE0ELb1ES3_N6thrust23THRUST_200600_302600_NS6detail15normal_iteratorINS9_10device_ptrIiEEEENSB_INSC_IjEEEESG_jNS9_4plusIvEENS9_8equal_toIvEEjEE10hipError_tPvRmT2_T3_T4_T5_mT6_T7_P12ihipStream_tbENKUlT_T0_E_clISt17integral_constantIbLb0EES11_EEDaSW_SX_EUlSW_E_NS1_11comp_targetILNS1_3genE10ELNS1_11target_archE1201ELNS1_3gpuE5ELNS1_3repE0EEENS1_30default_config_static_selectorELNS0_4arch9wavefront6targetE0EEEvT1_.kd
    .uniform_work_group_size: 1
    .uses_dynamic_stack: false
    .vgpr_count:     0
    .vgpr_spill_count: 0
    .wavefront_size: 32
    .workgroup_processor_mode: 1
  - .args:
      - .offset:         0
        .size:           112
        .value_kind:     by_value
    .group_segment_fixed_size: 0
    .kernarg_segment_align: 8
    .kernarg_segment_size: 112
    .language:       OpenCL C
    .language_version:
      - 2
      - 0
    .max_flat_workgroup_size: 256
    .name:           _ZN7rocprim17ROCPRIM_400000_NS6detail17trampoline_kernelINS0_14default_configENS1_27scan_by_key_config_selectorIijEEZZNS1_16scan_by_key_implILNS1_25lookback_scan_determinismE0ELb1ES3_N6thrust23THRUST_200600_302600_NS6detail15normal_iteratorINS9_10device_ptrIiEEEENSB_INSC_IjEEEESG_jNS9_4plusIvEENS9_8equal_toIvEEjEE10hipError_tPvRmT2_T3_T4_T5_mT6_T7_P12ihipStream_tbENKUlT_T0_E_clISt17integral_constantIbLb0EES11_EEDaSW_SX_EUlSW_E_NS1_11comp_targetILNS1_3genE5ELNS1_11target_archE942ELNS1_3gpuE9ELNS1_3repE0EEENS1_30default_config_static_selectorELNS0_4arch9wavefront6targetE0EEEvT1_
    .private_segment_fixed_size: 0
    .sgpr_count:     0
    .sgpr_spill_count: 0
    .symbol:         _ZN7rocprim17ROCPRIM_400000_NS6detail17trampoline_kernelINS0_14default_configENS1_27scan_by_key_config_selectorIijEEZZNS1_16scan_by_key_implILNS1_25lookback_scan_determinismE0ELb1ES3_N6thrust23THRUST_200600_302600_NS6detail15normal_iteratorINS9_10device_ptrIiEEEENSB_INSC_IjEEEESG_jNS9_4plusIvEENS9_8equal_toIvEEjEE10hipError_tPvRmT2_T3_T4_T5_mT6_T7_P12ihipStream_tbENKUlT_T0_E_clISt17integral_constantIbLb0EES11_EEDaSW_SX_EUlSW_E_NS1_11comp_targetILNS1_3genE5ELNS1_11target_archE942ELNS1_3gpuE9ELNS1_3repE0EEENS1_30default_config_static_selectorELNS0_4arch9wavefront6targetE0EEEvT1_.kd
    .uniform_work_group_size: 1
    .uses_dynamic_stack: false
    .vgpr_count:     0
    .vgpr_spill_count: 0
    .wavefront_size: 32
    .workgroup_processor_mode: 1
  - .args:
      - .offset:         0
        .size:           112
        .value_kind:     by_value
    .group_segment_fixed_size: 0
    .kernarg_segment_align: 8
    .kernarg_segment_size: 112
    .language:       OpenCL C
    .language_version:
      - 2
      - 0
    .max_flat_workgroup_size: 256
    .name:           _ZN7rocprim17ROCPRIM_400000_NS6detail17trampoline_kernelINS0_14default_configENS1_27scan_by_key_config_selectorIijEEZZNS1_16scan_by_key_implILNS1_25lookback_scan_determinismE0ELb1ES3_N6thrust23THRUST_200600_302600_NS6detail15normal_iteratorINS9_10device_ptrIiEEEENSB_INSC_IjEEEESG_jNS9_4plusIvEENS9_8equal_toIvEEjEE10hipError_tPvRmT2_T3_T4_T5_mT6_T7_P12ihipStream_tbENKUlT_T0_E_clISt17integral_constantIbLb0EES11_EEDaSW_SX_EUlSW_E_NS1_11comp_targetILNS1_3genE4ELNS1_11target_archE910ELNS1_3gpuE8ELNS1_3repE0EEENS1_30default_config_static_selectorELNS0_4arch9wavefront6targetE0EEEvT1_
    .private_segment_fixed_size: 0
    .sgpr_count:     0
    .sgpr_spill_count: 0
    .symbol:         _ZN7rocprim17ROCPRIM_400000_NS6detail17trampoline_kernelINS0_14default_configENS1_27scan_by_key_config_selectorIijEEZZNS1_16scan_by_key_implILNS1_25lookback_scan_determinismE0ELb1ES3_N6thrust23THRUST_200600_302600_NS6detail15normal_iteratorINS9_10device_ptrIiEEEENSB_INSC_IjEEEESG_jNS9_4plusIvEENS9_8equal_toIvEEjEE10hipError_tPvRmT2_T3_T4_T5_mT6_T7_P12ihipStream_tbENKUlT_T0_E_clISt17integral_constantIbLb0EES11_EEDaSW_SX_EUlSW_E_NS1_11comp_targetILNS1_3genE4ELNS1_11target_archE910ELNS1_3gpuE8ELNS1_3repE0EEENS1_30default_config_static_selectorELNS0_4arch9wavefront6targetE0EEEvT1_.kd
    .uniform_work_group_size: 1
    .uses_dynamic_stack: false
    .vgpr_count:     0
    .vgpr_spill_count: 0
    .wavefront_size: 32
    .workgroup_processor_mode: 1
  - .args:
      - .offset:         0
        .size:           112
        .value_kind:     by_value
    .group_segment_fixed_size: 0
    .kernarg_segment_align: 8
    .kernarg_segment_size: 112
    .language:       OpenCL C
    .language_version:
      - 2
      - 0
    .max_flat_workgroup_size: 256
    .name:           _ZN7rocprim17ROCPRIM_400000_NS6detail17trampoline_kernelINS0_14default_configENS1_27scan_by_key_config_selectorIijEEZZNS1_16scan_by_key_implILNS1_25lookback_scan_determinismE0ELb1ES3_N6thrust23THRUST_200600_302600_NS6detail15normal_iteratorINS9_10device_ptrIiEEEENSB_INSC_IjEEEESG_jNS9_4plusIvEENS9_8equal_toIvEEjEE10hipError_tPvRmT2_T3_T4_T5_mT6_T7_P12ihipStream_tbENKUlT_T0_E_clISt17integral_constantIbLb0EES11_EEDaSW_SX_EUlSW_E_NS1_11comp_targetILNS1_3genE3ELNS1_11target_archE908ELNS1_3gpuE7ELNS1_3repE0EEENS1_30default_config_static_selectorELNS0_4arch9wavefront6targetE0EEEvT1_
    .private_segment_fixed_size: 0
    .sgpr_count:     0
    .sgpr_spill_count: 0
    .symbol:         _ZN7rocprim17ROCPRIM_400000_NS6detail17trampoline_kernelINS0_14default_configENS1_27scan_by_key_config_selectorIijEEZZNS1_16scan_by_key_implILNS1_25lookback_scan_determinismE0ELb1ES3_N6thrust23THRUST_200600_302600_NS6detail15normal_iteratorINS9_10device_ptrIiEEEENSB_INSC_IjEEEESG_jNS9_4plusIvEENS9_8equal_toIvEEjEE10hipError_tPvRmT2_T3_T4_T5_mT6_T7_P12ihipStream_tbENKUlT_T0_E_clISt17integral_constantIbLb0EES11_EEDaSW_SX_EUlSW_E_NS1_11comp_targetILNS1_3genE3ELNS1_11target_archE908ELNS1_3gpuE7ELNS1_3repE0EEENS1_30default_config_static_selectorELNS0_4arch9wavefront6targetE0EEEvT1_.kd
    .uniform_work_group_size: 1
    .uses_dynamic_stack: false
    .vgpr_count:     0
    .vgpr_spill_count: 0
    .wavefront_size: 32
    .workgroup_processor_mode: 1
  - .args:
      - .offset:         0
        .size:           112
        .value_kind:     by_value
    .group_segment_fixed_size: 0
    .kernarg_segment_align: 8
    .kernarg_segment_size: 112
    .language:       OpenCL C
    .language_version:
      - 2
      - 0
    .max_flat_workgroup_size: 256
    .name:           _ZN7rocprim17ROCPRIM_400000_NS6detail17trampoline_kernelINS0_14default_configENS1_27scan_by_key_config_selectorIijEEZZNS1_16scan_by_key_implILNS1_25lookback_scan_determinismE0ELb1ES3_N6thrust23THRUST_200600_302600_NS6detail15normal_iteratorINS9_10device_ptrIiEEEENSB_INSC_IjEEEESG_jNS9_4plusIvEENS9_8equal_toIvEEjEE10hipError_tPvRmT2_T3_T4_T5_mT6_T7_P12ihipStream_tbENKUlT_T0_E_clISt17integral_constantIbLb0EES11_EEDaSW_SX_EUlSW_E_NS1_11comp_targetILNS1_3genE2ELNS1_11target_archE906ELNS1_3gpuE6ELNS1_3repE0EEENS1_30default_config_static_selectorELNS0_4arch9wavefront6targetE0EEEvT1_
    .private_segment_fixed_size: 0
    .sgpr_count:     0
    .sgpr_spill_count: 0
    .symbol:         _ZN7rocprim17ROCPRIM_400000_NS6detail17trampoline_kernelINS0_14default_configENS1_27scan_by_key_config_selectorIijEEZZNS1_16scan_by_key_implILNS1_25lookback_scan_determinismE0ELb1ES3_N6thrust23THRUST_200600_302600_NS6detail15normal_iteratorINS9_10device_ptrIiEEEENSB_INSC_IjEEEESG_jNS9_4plusIvEENS9_8equal_toIvEEjEE10hipError_tPvRmT2_T3_T4_T5_mT6_T7_P12ihipStream_tbENKUlT_T0_E_clISt17integral_constantIbLb0EES11_EEDaSW_SX_EUlSW_E_NS1_11comp_targetILNS1_3genE2ELNS1_11target_archE906ELNS1_3gpuE6ELNS1_3repE0EEENS1_30default_config_static_selectorELNS0_4arch9wavefront6targetE0EEEvT1_.kd
    .uniform_work_group_size: 1
    .uses_dynamic_stack: false
    .vgpr_count:     0
    .vgpr_spill_count: 0
    .wavefront_size: 32
    .workgroup_processor_mode: 1
  - .args:
      - .offset:         0
        .size:           112
        .value_kind:     by_value
    .group_segment_fixed_size: 0
    .kernarg_segment_align: 8
    .kernarg_segment_size: 112
    .language:       OpenCL C
    .language_version:
      - 2
      - 0
    .max_flat_workgroup_size: 256
    .name:           _ZN7rocprim17ROCPRIM_400000_NS6detail17trampoline_kernelINS0_14default_configENS1_27scan_by_key_config_selectorIijEEZZNS1_16scan_by_key_implILNS1_25lookback_scan_determinismE0ELb1ES3_N6thrust23THRUST_200600_302600_NS6detail15normal_iteratorINS9_10device_ptrIiEEEENSB_INSC_IjEEEESG_jNS9_4plusIvEENS9_8equal_toIvEEjEE10hipError_tPvRmT2_T3_T4_T5_mT6_T7_P12ihipStream_tbENKUlT_T0_E_clISt17integral_constantIbLb0EES11_EEDaSW_SX_EUlSW_E_NS1_11comp_targetILNS1_3genE10ELNS1_11target_archE1200ELNS1_3gpuE4ELNS1_3repE0EEENS1_30default_config_static_selectorELNS0_4arch9wavefront6targetE0EEEvT1_
    .private_segment_fixed_size: 0
    .sgpr_count:     0
    .sgpr_spill_count: 0
    .symbol:         _ZN7rocprim17ROCPRIM_400000_NS6detail17trampoline_kernelINS0_14default_configENS1_27scan_by_key_config_selectorIijEEZZNS1_16scan_by_key_implILNS1_25lookback_scan_determinismE0ELb1ES3_N6thrust23THRUST_200600_302600_NS6detail15normal_iteratorINS9_10device_ptrIiEEEENSB_INSC_IjEEEESG_jNS9_4plusIvEENS9_8equal_toIvEEjEE10hipError_tPvRmT2_T3_T4_T5_mT6_T7_P12ihipStream_tbENKUlT_T0_E_clISt17integral_constantIbLb0EES11_EEDaSW_SX_EUlSW_E_NS1_11comp_targetILNS1_3genE10ELNS1_11target_archE1200ELNS1_3gpuE4ELNS1_3repE0EEENS1_30default_config_static_selectorELNS0_4arch9wavefront6targetE0EEEvT1_.kd
    .uniform_work_group_size: 1
    .uses_dynamic_stack: false
    .vgpr_count:     0
    .vgpr_spill_count: 0
    .wavefront_size: 32
    .workgroup_processor_mode: 1
  - .args:
      - .offset:         0
        .size:           112
        .value_kind:     by_value
    .group_segment_fixed_size: 0
    .kernarg_segment_align: 8
    .kernarg_segment_size: 112
    .language:       OpenCL C
    .language_version:
      - 2
      - 0
    .max_flat_workgroup_size: 256
    .name:           _ZN7rocprim17ROCPRIM_400000_NS6detail17trampoline_kernelINS0_14default_configENS1_27scan_by_key_config_selectorIijEEZZNS1_16scan_by_key_implILNS1_25lookback_scan_determinismE0ELb1ES3_N6thrust23THRUST_200600_302600_NS6detail15normal_iteratorINS9_10device_ptrIiEEEENSB_INSC_IjEEEESG_jNS9_4plusIvEENS9_8equal_toIvEEjEE10hipError_tPvRmT2_T3_T4_T5_mT6_T7_P12ihipStream_tbENKUlT_T0_E_clISt17integral_constantIbLb0EES11_EEDaSW_SX_EUlSW_E_NS1_11comp_targetILNS1_3genE9ELNS1_11target_archE1100ELNS1_3gpuE3ELNS1_3repE0EEENS1_30default_config_static_selectorELNS0_4arch9wavefront6targetE0EEEvT1_
    .private_segment_fixed_size: 0
    .sgpr_count:     0
    .sgpr_spill_count: 0
    .symbol:         _ZN7rocprim17ROCPRIM_400000_NS6detail17trampoline_kernelINS0_14default_configENS1_27scan_by_key_config_selectorIijEEZZNS1_16scan_by_key_implILNS1_25lookback_scan_determinismE0ELb1ES3_N6thrust23THRUST_200600_302600_NS6detail15normal_iteratorINS9_10device_ptrIiEEEENSB_INSC_IjEEEESG_jNS9_4plusIvEENS9_8equal_toIvEEjEE10hipError_tPvRmT2_T3_T4_T5_mT6_T7_P12ihipStream_tbENKUlT_T0_E_clISt17integral_constantIbLb0EES11_EEDaSW_SX_EUlSW_E_NS1_11comp_targetILNS1_3genE9ELNS1_11target_archE1100ELNS1_3gpuE3ELNS1_3repE0EEENS1_30default_config_static_selectorELNS0_4arch9wavefront6targetE0EEEvT1_.kd
    .uniform_work_group_size: 1
    .uses_dynamic_stack: false
    .vgpr_count:     0
    .vgpr_spill_count: 0
    .wavefront_size: 32
    .workgroup_processor_mode: 1
  - .args:
      - .offset:         0
        .size:           112
        .value_kind:     by_value
    .group_segment_fixed_size: 5120
    .kernarg_segment_align: 8
    .kernarg_segment_size: 112
    .language:       OpenCL C
    .language_version:
      - 2
      - 0
    .max_flat_workgroup_size: 256
    .name:           _ZN7rocprim17ROCPRIM_400000_NS6detail17trampoline_kernelINS0_14default_configENS1_27scan_by_key_config_selectorIijEEZZNS1_16scan_by_key_implILNS1_25lookback_scan_determinismE0ELb1ES3_N6thrust23THRUST_200600_302600_NS6detail15normal_iteratorINS9_10device_ptrIiEEEENSB_INSC_IjEEEESG_jNS9_4plusIvEENS9_8equal_toIvEEjEE10hipError_tPvRmT2_T3_T4_T5_mT6_T7_P12ihipStream_tbENKUlT_T0_E_clISt17integral_constantIbLb0EES11_EEDaSW_SX_EUlSW_E_NS1_11comp_targetILNS1_3genE8ELNS1_11target_archE1030ELNS1_3gpuE2ELNS1_3repE0EEENS1_30default_config_static_selectorELNS0_4arch9wavefront6targetE0EEEvT1_
    .private_segment_fixed_size: 0
    .sgpr_count:     32
    .sgpr_spill_count: 0
    .symbol:         _ZN7rocprim17ROCPRIM_400000_NS6detail17trampoline_kernelINS0_14default_configENS1_27scan_by_key_config_selectorIijEEZZNS1_16scan_by_key_implILNS1_25lookback_scan_determinismE0ELb1ES3_N6thrust23THRUST_200600_302600_NS6detail15normal_iteratorINS9_10device_ptrIiEEEENSB_INSC_IjEEEESG_jNS9_4plusIvEENS9_8equal_toIvEEjEE10hipError_tPvRmT2_T3_T4_T5_mT6_T7_P12ihipStream_tbENKUlT_T0_E_clISt17integral_constantIbLb0EES11_EEDaSW_SX_EUlSW_E_NS1_11comp_targetILNS1_3genE8ELNS1_11target_archE1030ELNS1_3gpuE2ELNS1_3repE0EEENS1_30default_config_static_selectorELNS0_4arch9wavefront6targetE0EEEvT1_.kd
    .uniform_work_group_size: 1
    .uses_dynamic_stack: false
    .vgpr_count:     42
    .vgpr_spill_count: 0
    .wavefront_size: 32
    .workgroup_processor_mode: 1
  - .args:
      - .offset:         0
        .size:           112
        .value_kind:     by_value
    .group_segment_fixed_size: 0
    .kernarg_segment_align: 8
    .kernarg_segment_size: 112
    .language:       OpenCL C
    .language_version:
      - 2
      - 0
    .max_flat_workgroup_size: 256
    .name:           _ZN7rocprim17ROCPRIM_400000_NS6detail17trampoline_kernelINS0_14default_configENS1_27scan_by_key_config_selectorIijEEZZNS1_16scan_by_key_implILNS1_25lookback_scan_determinismE0ELb1ES3_N6thrust23THRUST_200600_302600_NS6detail15normal_iteratorINS9_10device_ptrIiEEEENSB_INSC_IjEEEESG_jNS9_4plusIvEENS9_8equal_toIvEEjEE10hipError_tPvRmT2_T3_T4_T5_mT6_T7_P12ihipStream_tbENKUlT_T0_E_clISt17integral_constantIbLb1EES11_EEDaSW_SX_EUlSW_E_NS1_11comp_targetILNS1_3genE0ELNS1_11target_archE4294967295ELNS1_3gpuE0ELNS1_3repE0EEENS1_30default_config_static_selectorELNS0_4arch9wavefront6targetE0EEEvT1_
    .private_segment_fixed_size: 0
    .sgpr_count:     0
    .sgpr_spill_count: 0
    .symbol:         _ZN7rocprim17ROCPRIM_400000_NS6detail17trampoline_kernelINS0_14default_configENS1_27scan_by_key_config_selectorIijEEZZNS1_16scan_by_key_implILNS1_25lookback_scan_determinismE0ELb1ES3_N6thrust23THRUST_200600_302600_NS6detail15normal_iteratorINS9_10device_ptrIiEEEENSB_INSC_IjEEEESG_jNS9_4plusIvEENS9_8equal_toIvEEjEE10hipError_tPvRmT2_T3_T4_T5_mT6_T7_P12ihipStream_tbENKUlT_T0_E_clISt17integral_constantIbLb1EES11_EEDaSW_SX_EUlSW_E_NS1_11comp_targetILNS1_3genE0ELNS1_11target_archE4294967295ELNS1_3gpuE0ELNS1_3repE0EEENS1_30default_config_static_selectorELNS0_4arch9wavefront6targetE0EEEvT1_.kd
    .uniform_work_group_size: 1
    .uses_dynamic_stack: false
    .vgpr_count:     0
    .vgpr_spill_count: 0
    .wavefront_size: 32
    .workgroup_processor_mode: 1
  - .args:
      - .offset:         0
        .size:           112
        .value_kind:     by_value
    .group_segment_fixed_size: 0
    .kernarg_segment_align: 8
    .kernarg_segment_size: 112
    .language:       OpenCL C
    .language_version:
      - 2
      - 0
    .max_flat_workgroup_size: 256
    .name:           _ZN7rocprim17ROCPRIM_400000_NS6detail17trampoline_kernelINS0_14default_configENS1_27scan_by_key_config_selectorIijEEZZNS1_16scan_by_key_implILNS1_25lookback_scan_determinismE0ELb1ES3_N6thrust23THRUST_200600_302600_NS6detail15normal_iteratorINS9_10device_ptrIiEEEENSB_INSC_IjEEEESG_jNS9_4plusIvEENS9_8equal_toIvEEjEE10hipError_tPvRmT2_T3_T4_T5_mT6_T7_P12ihipStream_tbENKUlT_T0_E_clISt17integral_constantIbLb1EES11_EEDaSW_SX_EUlSW_E_NS1_11comp_targetILNS1_3genE10ELNS1_11target_archE1201ELNS1_3gpuE5ELNS1_3repE0EEENS1_30default_config_static_selectorELNS0_4arch9wavefront6targetE0EEEvT1_
    .private_segment_fixed_size: 0
    .sgpr_count:     0
    .sgpr_spill_count: 0
    .symbol:         _ZN7rocprim17ROCPRIM_400000_NS6detail17trampoline_kernelINS0_14default_configENS1_27scan_by_key_config_selectorIijEEZZNS1_16scan_by_key_implILNS1_25lookback_scan_determinismE0ELb1ES3_N6thrust23THRUST_200600_302600_NS6detail15normal_iteratorINS9_10device_ptrIiEEEENSB_INSC_IjEEEESG_jNS9_4plusIvEENS9_8equal_toIvEEjEE10hipError_tPvRmT2_T3_T4_T5_mT6_T7_P12ihipStream_tbENKUlT_T0_E_clISt17integral_constantIbLb1EES11_EEDaSW_SX_EUlSW_E_NS1_11comp_targetILNS1_3genE10ELNS1_11target_archE1201ELNS1_3gpuE5ELNS1_3repE0EEENS1_30default_config_static_selectorELNS0_4arch9wavefront6targetE0EEEvT1_.kd
    .uniform_work_group_size: 1
    .uses_dynamic_stack: false
    .vgpr_count:     0
    .vgpr_spill_count: 0
    .wavefront_size: 32
    .workgroup_processor_mode: 1
  - .args:
      - .offset:         0
        .size:           112
        .value_kind:     by_value
    .group_segment_fixed_size: 0
    .kernarg_segment_align: 8
    .kernarg_segment_size: 112
    .language:       OpenCL C
    .language_version:
      - 2
      - 0
    .max_flat_workgroup_size: 256
    .name:           _ZN7rocprim17ROCPRIM_400000_NS6detail17trampoline_kernelINS0_14default_configENS1_27scan_by_key_config_selectorIijEEZZNS1_16scan_by_key_implILNS1_25lookback_scan_determinismE0ELb1ES3_N6thrust23THRUST_200600_302600_NS6detail15normal_iteratorINS9_10device_ptrIiEEEENSB_INSC_IjEEEESG_jNS9_4plusIvEENS9_8equal_toIvEEjEE10hipError_tPvRmT2_T3_T4_T5_mT6_T7_P12ihipStream_tbENKUlT_T0_E_clISt17integral_constantIbLb1EES11_EEDaSW_SX_EUlSW_E_NS1_11comp_targetILNS1_3genE5ELNS1_11target_archE942ELNS1_3gpuE9ELNS1_3repE0EEENS1_30default_config_static_selectorELNS0_4arch9wavefront6targetE0EEEvT1_
    .private_segment_fixed_size: 0
    .sgpr_count:     0
    .sgpr_spill_count: 0
    .symbol:         _ZN7rocprim17ROCPRIM_400000_NS6detail17trampoline_kernelINS0_14default_configENS1_27scan_by_key_config_selectorIijEEZZNS1_16scan_by_key_implILNS1_25lookback_scan_determinismE0ELb1ES3_N6thrust23THRUST_200600_302600_NS6detail15normal_iteratorINS9_10device_ptrIiEEEENSB_INSC_IjEEEESG_jNS9_4plusIvEENS9_8equal_toIvEEjEE10hipError_tPvRmT2_T3_T4_T5_mT6_T7_P12ihipStream_tbENKUlT_T0_E_clISt17integral_constantIbLb1EES11_EEDaSW_SX_EUlSW_E_NS1_11comp_targetILNS1_3genE5ELNS1_11target_archE942ELNS1_3gpuE9ELNS1_3repE0EEENS1_30default_config_static_selectorELNS0_4arch9wavefront6targetE0EEEvT1_.kd
    .uniform_work_group_size: 1
    .uses_dynamic_stack: false
    .vgpr_count:     0
    .vgpr_spill_count: 0
    .wavefront_size: 32
    .workgroup_processor_mode: 1
  - .args:
      - .offset:         0
        .size:           112
        .value_kind:     by_value
    .group_segment_fixed_size: 0
    .kernarg_segment_align: 8
    .kernarg_segment_size: 112
    .language:       OpenCL C
    .language_version:
      - 2
      - 0
    .max_flat_workgroup_size: 256
    .name:           _ZN7rocprim17ROCPRIM_400000_NS6detail17trampoline_kernelINS0_14default_configENS1_27scan_by_key_config_selectorIijEEZZNS1_16scan_by_key_implILNS1_25lookback_scan_determinismE0ELb1ES3_N6thrust23THRUST_200600_302600_NS6detail15normal_iteratorINS9_10device_ptrIiEEEENSB_INSC_IjEEEESG_jNS9_4plusIvEENS9_8equal_toIvEEjEE10hipError_tPvRmT2_T3_T4_T5_mT6_T7_P12ihipStream_tbENKUlT_T0_E_clISt17integral_constantIbLb1EES11_EEDaSW_SX_EUlSW_E_NS1_11comp_targetILNS1_3genE4ELNS1_11target_archE910ELNS1_3gpuE8ELNS1_3repE0EEENS1_30default_config_static_selectorELNS0_4arch9wavefront6targetE0EEEvT1_
    .private_segment_fixed_size: 0
    .sgpr_count:     0
    .sgpr_spill_count: 0
    .symbol:         _ZN7rocprim17ROCPRIM_400000_NS6detail17trampoline_kernelINS0_14default_configENS1_27scan_by_key_config_selectorIijEEZZNS1_16scan_by_key_implILNS1_25lookback_scan_determinismE0ELb1ES3_N6thrust23THRUST_200600_302600_NS6detail15normal_iteratorINS9_10device_ptrIiEEEENSB_INSC_IjEEEESG_jNS9_4plusIvEENS9_8equal_toIvEEjEE10hipError_tPvRmT2_T3_T4_T5_mT6_T7_P12ihipStream_tbENKUlT_T0_E_clISt17integral_constantIbLb1EES11_EEDaSW_SX_EUlSW_E_NS1_11comp_targetILNS1_3genE4ELNS1_11target_archE910ELNS1_3gpuE8ELNS1_3repE0EEENS1_30default_config_static_selectorELNS0_4arch9wavefront6targetE0EEEvT1_.kd
    .uniform_work_group_size: 1
    .uses_dynamic_stack: false
    .vgpr_count:     0
    .vgpr_spill_count: 0
    .wavefront_size: 32
    .workgroup_processor_mode: 1
  - .args:
      - .offset:         0
        .size:           112
        .value_kind:     by_value
    .group_segment_fixed_size: 0
    .kernarg_segment_align: 8
    .kernarg_segment_size: 112
    .language:       OpenCL C
    .language_version:
      - 2
      - 0
    .max_flat_workgroup_size: 256
    .name:           _ZN7rocprim17ROCPRIM_400000_NS6detail17trampoline_kernelINS0_14default_configENS1_27scan_by_key_config_selectorIijEEZZNS1_16scan_by_key_implILNS1_25lookback_scan_determinismE0ELb1ES3_N6thrust23THRUST_200600_302600_NS6detail15normal_iteratorINS9_10device_ptrIiEEEENSB_INSC_IjEEEESG_jNS9_4plusIvEENS9_8equal_toIvEEjEE10hipError_tPvRmT2_T3_T4_T5_mT6_T7_P12ihipStream_tbENKUlT_T0_E_clISt17integral_constantIbLb1EES11_EEDaSW_SX_EUlSW_E_NS1_11comp_targetILNS1_3genE3ELNS1_11target_archE908ELNS1_3gpuE7ELNS1_3repE0EEENS1_30default_config_static_selectorELNS0_4arch9wavefront6targetE0EEEvT1_
    .private_segment_fixed_size: 0
    .sgpr_count:     0
    .sgpr_spill_count: 0
    .symbol:         _ZN7rocprim17ROCPRIM_400000_NS6detail17trampoline_kernelINS0_14default_configENS1_27scan_by_key_config_selectorIijEEZZNS1_16scan_by_key_implILNS1_25lookback_scan_determinismE0ELb1ES3_N6thrust23THRUST_200600_302600_NS6detail15normal_iteratorINS9_10device_ptrIiEEEENSB_INSC_IjEEEESG_jNS9_4plusIvEENS9_8equal_toIvEEjEE10hipError_tPvRmT2_T3_T4_T5_mT6_T7_P12ihipStream_tbENKUlT_T0_E_clISt17integral_constantIbLb1EES11_EEDaSW_SX_EUlSW_E_NS1_11comp_targetILNS1_3genE3ELNS1_11target_archE908ELNS1_3gpuE7ELNS1_3repE0EEENS1_30default_config_static_selectorELNS0_4arch9wavefront6targetE0EEEvT1_.kd
    .uniform_work_group_size: 1
    .uses_dynamic_stack: false
    .vgpr_count:     0
    .vgpr_spill_count: 0
    .wavefront_size: 32
    .workgroup_processor_mode: 1
  - .args:
      - .offset:         0
        .size:           112
        .value_kind:     by_value
    .group_segment_fixed_size: 0
    .kernarg_segment_align: 8
    .kernarg_segment_size: 112
    .language:       OpenCL C
    .language_version:
      - 2
      - 0
    .max_flat_workgroup_size: 256
    .name:           _ZN7rocprim17ROCPRIM_400000_NS6detail17trampoline_kernelINS0_14default_configENS1_27scan_by_key_config_selectorIijEEZZNS1_16scan_by_key_implILNS1_25lookback_scan_determinismE0ELb1ES3_N6thrust23THRUST_200600_302600_NS6detail15normal_iteratorINS9_10device_ptrIiEEEENSB_INSC_IjEEEESG_jNS9_4plusIvEENS9_8equal_toIvEEjEE10hipError_tPvRmT2_T3_T4_T5_mT6_T7_P12ihipStream_tbENKUlT_T0_E_clISt17integral_constantIbLb1EES11_EEDaSW_SX_EUlSW_E_NS1_11comp_targetILNS1_3genE2ELNS1_11target_archE906ELNS1_3gpuE6ELNS1_3repE0EEENS1_30default_config_static_selectorELNS0_4arch9wavefront6targetE0EEEvT1_
    .private_segment_fixed_size: 0
    .sgpr_count:     0
    .sgpr_spill_count: 0
    .symbol:         _ZN7rocprim17ROCPRIM_400000_NS6detail17trampoline_kernelINS0_14default_configENS1_27scan_by_key_config_selectorIijEEZZNS1_16scan_by_key_implILNS1_25lookback_scan_determinismE0ELb1ES3_N6thrust23THRUST_200600_302600_NS6detail15normal_iteratorINS9_10device_ptrIiEEEENSB_INSC_IjEEEESG_jNS9_4plusIvEENS9_8equal_toIvEEjEE10hipError_tPvRmT2_T3_T4_T5_mT6_T7_P12ihipStream_tbENKUlT_T0_E_clISt17integral_constantIbLb1EES11_EEDaSW_SX_EUlSW_E_NS1_11comp_targetILNS1_3genE2ELNS1_11target_archE906ELNS1_3gpuE6ELNS1_3repE0EEENS1_30default_config_static_selectorELNS0_4arch9wavefront6targetE0EEEvT1_.kd
    .uniform_work_group_size: 1
    .uses_dynamic_stack: false
    .vgpr_count:     0
    .vgpr_spill_count: 0
    .wavefront_size: 32
    .workgroup_processor_mode: 1
  - .args:
      - .offset:         0
        .size:           112
        .value_kind:     by_value
    .group_segment_fixed_size: 0
    .kernarg_segment_align: 8
    .kernarg_segment_size: 112
    .language:       OpenCL C
    .language_version:
      - 2
      - 0
    .max_flat_workgroup_size: 256
    .name:           _ZN7rocprim17ROCPRIM_400000_NS6detail17trampoline_kernelINS0_14default_configENS1_27scan_by_key_config_selectorIijEEZZNS1_16scan_by_key_implILNS1_25lookback_scan_determinismE0ELb1ES3_N6thrust23THRUST_200600_302600_NS6detail15normal_iteratorINS9_10device_ptrIiEEEENSB_INSC_IjEEEESG_jNS9_4plusIvEENS9_8equal_toIvEEjEE10hipError_tPvRmT2_T3_T4_T5_mT6_T7_P12ihipStream_tbENKUlT_T0_E_clISt17integral_constantIbLb1EES11_EEDaSW_SX_EUlSW_E_NS1_11comp_targetILNS1_3genE10ELNS1_11target_archE1200ELNS1_3gpuE4ELNS1_3repE0EEENS1_30default_config_static_selectorELNS0_4arch9wavefront6targetE0EEEvT1_
    .private_segment_fixed_size: 0
    .sgpr_count:     0
    .sgpr_spill_count: 0
    .symbol:         _ZN7rocprim17ROCPRIM_400000_NS6detail17trampoline_kernelINS0_14default_configENS1_27scan_by_key_config_selectorIijEEZZNS1_16scan_by_key_implILNS1_25lookback_scan_determinismE0ELb1ES3_N6thrust23THRUST_200600_302600_NS6detail15normal_iteratorINS9_10device_ptrIiEEEENSB_INSC_IjEEEESG_jNS9_4plusIvEENS9_8equal_toIvEEjEE10hipError_tPvRmT2_T3_T4_T5_mT6_T7_P12ihipStream_tbENKUlT_T0_E_clISt17integral_constantIbLb1EES11_EEDaSW_SX_EUlSW_E_NS1_11comp_targetILNS1_3genE10ELNS1_11target_archE1200ELNS1_3gpuE4ELNS1_3repE0EEENS1_30default_config_static_selectorELNS0_4arch9wavefront6targetE0EEEvT1_.kd
    .uniform_work_group_size: 1
    .uses_dynamic_stack: false
    .vgpr_count:     0
    .vgpr_spill_count: 0
    .wavefront_size: 32
    .workgroup_processor_mode: 1
  - .args:
      - .offset:         0
        .size:           112
        .value_kind:     by_value
    .group_segment_fixed_size: 0
    .kernarg_segment_align: 8
    .kernarg_segment_size: 112
    .language:       OpenCL C
    .language_version:
      - 2
      - 0
    .max_flat_workgroup_size: 256
    .name:           _ZN7rocprim17ROCPRIM_400000_NS6detail17trampoline_kernelINS0_14default_configENS1_27scan_by_key_config_selectorIijEEZZNS1_16scan_by_key_implILNS1_25lookback_scan_determinismE0ELb1ES3_N6thrust23THRUST_200600_302600_NS6detail15normal_iteratorINS9_10device_ptrIiEEEENSB_INSC_IjEEEESG_jNS9_4plusIvEENS9_8equal_toIvEEjEE10hipError_tPvRmT2_T3_T4_T5_mT6_T7_P12ihipStream_tbENKUlT_T0_E_clISt17integral_constantIbLb1EES11_EEDaSW_SX_EUlSW_E_NS1_11comp_targetILNS1_3genE9ELNS1_11target_archE1100ELNS1_3gpuE3ELNS1_3repE0EEENS1_30default_config_static_selectorELNS0_4arch9wavefront6targetE0EEEvT1_
    .private_segment_fixed_size: 0
    .sgpr_count:     0
    .sgpr_spill_count: 0
    .symbol:         _ZN7rocprim17ROCPRIM_400000_NS6detail17trampoline_kernelINS0_14default_configENS1_27scan_by_key_config_selectorIijEEZZNS1_16scan_by_key_implILNS1_25lookback_scan_determinismE0ELb1ES3_N6thrust23THRUST_200600_302600_NS6detail15normal_iteratorINS9_10device_ptrIiEEEENSB_INSC_IjEEEESG_jNS9_4plusIvEENS9_8equal_toIvEEjEE10hipError_tPvRmT2_T3_T4_T5_mT6_T7_P12ihipStream_tbENKUlT_T0_E_clISt17integral_constantIbLb1EES11_EEDaSW_SX_EUlSW_E_NS1_11comp_targetILNS1_3genE9ELNS1_11target_archE1100ELNS1_3gpuE3ELNS1_3repE0EEENS1_30default_config_static_selectorELNS0_4arch9wavefront6targetE0EEEvT1_.kd
    .uniform_work_group_size: 1
    .uses_dynamic_stack: false
    .vgpr_count:     0
    .vgpr_spill_count: 0
    .wavefront_size: 32
    .workgroup_processor_mode: 1
  - .args:
      - .offset:         0
        .size:           112
        .value_kind:     by_value
    .group_segment_fixed_size: 0
    .kernarg_segment_align: 8
    .kernarg_segment_size: 112
    .language:       OpenCL C
    .language_version:
      - 2
      - 0
    .max_flat_workgroup_size: 256
    .name:           _ZN7rocprim17ROCPRIM_400000_NS6detail17trampoline_kernelINS0_14default_configENS1_27scan_by_key_config_selectorIijEEZZNS1_16scan_by_key_implILNS1_25lookback_scan_determinismE0ELb1ES3_N6thrust23THRUST_200600_302600_NS6detail15normal_iteratorINS9_10device_ptrIiEEEENSB_INSC_IjEEEESG_jNS9_4plusIvEENS9_8equal_toIvEEjEE10hipError_tPvRmT2_T3_T4_T5_mT6_T7_P12ihipStream_tbENKUlT_T0_E_clISt17integral_constantIbLb1EES11_EEDaSW_SX_EUlSW_E_NS1_11comp_targetILNS1_3genE8ELNS1_11target_archE1030ELNS1_3gpuE2ELNS1_3repE0EEENS1_30default_config_static_selectorELNS0_4arch9wavefront6targetE0EEEvT1_
    .private_segment_fixed_size: 0
    .sgpr_count:     0
    .sgpr_spill_count: 0
    .symbol:         _ZN7rocprim17ROCPRIM_400000_NS6detail17trampoline_kernelINS0_14default_configENS1_27scan_by_key_config_selectorIijEEZZNS1_16scan_by_key_implILNS1_25lookback_scan_determinismE0ELb1ES3_N6thrust23THRUST_200600_302600_NS6detail15normal_iteratorINS9_10device_ptrIiEEEENSB_INSC_IjEEEESG_jNS9_4plusIvEENS9_8equal_toIvEEjEE10hipError_tPvRmT2_T3_T4_T5_mT6_T7_P12ihipStream_tbENKUlT_T0_E_clISt17integral_constantIbLb1EES11_EEDaSW_SX_EUlSW_E_NS1_11comp_targetILNS1_3genE8ELNS1_11target_archE1030ELNS1_3gpuE2ELNS1_3repE0EEENS1_30default_config_static_selectorELNS0_4arch9wavefront6targetE0EEEvT1_.kd
    .uniform_work_group_size: 1
    .uses_dynamic_stack: false
    .vgpr_count:     0
    .vgpr_spill_count: 0
    .wavefront_size: 32
    .workgroup_processor_mode: 1
  - .args:
      - .offset:         0
        .size:           112
        .value_kind:     by_value
    .group_segment_fixed_size: 0
    .kernarg_segment_align: 8
    .kernarg_segment_size: 112
    .language:       OpenCL C
    .language_version:
      - 2
      - 0
    .max_flat_workgroup_size: 256
    .name:           _ZN7rocprim17ROCPRIM_400000_NS6detail17trampoline_kernelINS0_14default_configENS1_27scan_by_key_config_selectorIijEEZZNS1_16scan_by_key_implILNS1_25lookback_scan_determinismE0ELb1ES3_N6thrust23THRUST_200600_302600_NS6detail15normal_iteratorINS9_10device_ptrIiEEEENSB_INSC_IjEEEESG_jNS9_4plusIvEENS9_8equal_toIvEEjEE10hipError_tPvRmT2_T3_T4_T5_mT6_T7_P12ihipStream_tbENKUlT_T0_E_clISt17integral_constantIbLb1EES10_IbLb0EEEEDaSW_SX_EUlSW_E_NS1_11comp_targetILNS1_3genE0ELNS1_11target_archE4294967295ELNS1_3gpuE0ELNS1_3repE0EEENS1_30default_config_static_selectorELNS0_4arch9wavefront6targetE0EEEvT1_
    .private_segment_fixed_size: 0
    .sgpr_count:     0
    .sgpr_spill_count: 0
    .symbol:         _ZN7rocprim17ROCPRIM_400000_NS6detail17trampoline_kernelINS0_14default_configENS1_27scan_by_key_config_selectorIijEEZZNS1_16scan_by_key_implILNS1_25lookback_scan_determinismE0ELb1ES3_N6thrust23THRUST_200600_302600_NS6detail15normal_iteratorINS9_10device_ptrIiEEEENSB_INSC_IjEEEESG_jNS9_4plusIvEENS9_8equal_toIvEEjEE10hipError_tPvRmT2_T3_T4_T5_mT6_T7_P12ihipStream_tbENKUlT_T0_E_clISt17integral_constantIbLb1EES10_IbLb0EEEEDaSW_SX_EUlSW_E_NS1_11comp_targetILNS1_3genE0ELNS1_11target_archE4294967295ELNS1_3gpuE0ELNS1_3repE0EEENS1_30default_config_static_selectorELNS0_4arch9wavefront6targetE0EEEvT1_.kd
    .uniform_work_group_size: 1
    .uses_dynamic_stack: false
    .vgpr_count:     0
    .vgpr_spill_count: 0
    .wavefront_size: 32
    .workgroup_processor_mode: 1
  - .args:
      - .offset:         0
        .size:           112
        .value_kind:     by_value
    .group_segment_fixed_size: 0
    .kernarg_segment_align: 8
    .kernarg_segment_size: 112
    .language:       OpenCL C
    .language_version:
      - 2
      - 0
    .max_flat_workgroup_size: 256
    .name:           _ZN7rocprim17ROCPRIM_400000_NS6detail17trampoline_kernelINS0_14default_configENS1_27scan_by_key_config_selectorIijEEZZNS1_16scan_by_key_implILNS1_25lookback_scan_determinismE0ELb1ES3_N6thrust23THRUST_200600_302600_NS6detail15normal_iteratorINS9_10device_ptrIiEEEENSB_INSC_IjEEEESG_jNS9_4plusIvEENS9_8equal_toIvEEjEE10hipError_tPvRmT2_T3_T4_T5_mT6_T7_P12ihipStream_tbENKUlT_T0_E_clISt17integral_constantIbLb1EES10_IbLb0EEEEDaSW_SX_EUlSW_E_NS1_11comp_targetILNS1_3genE10ELNS1_11target_archE1201ELNS1_3gpuE5ELNS1_3repE0EEENS1_30default_config_static_selectorELNS0_4arch9wavefront6targetE0EEEvT1_
    .private_segment_fixed_size: 0
    .sgpr_count:     0
    .sgpr_spill_count: 0
    .symbol:         _ZN7rocprim17ROCPRIM_400000_NS6detail17trampoline_kernelINS0_14default_configENS1_27scan_by_key_config_selectorIijEEZZNS1_16scan_by_key_implILNS1_25lookback_scan_determinismE0ELb1ES3_N6thrust23THRUST_200600_302600_NS6detail15normal_iteratorINS9_10device_ptrIiEEEENSB_INSC_IjEEEESG_jNS9_4plusIvEENS9_8equal_toIvEEjEE10hipError_tPvRmT2_T3_T4_T5_mT6_T7_P12ihipStream_tbENKUlT_T0_E_clISt17integral_constantIbLb1EES10_IbLb0EEEEDaSW_SX_EUlSW_E_NS1_11comp_targetILNS1_3genE10ELNS1_11target_archE1201ELNS1_3gpuE5ELNS1_3repE0EEENS1_30default_config_static_selectorELNS0_4arch9wavefront6targetE0EEEvT1_.kd
    .uniform_work_group_size: 1
    .uses_dynamic_stack: false
    .vgpr_count:     0
    .vgpr_spill_count: 0
    .wavefront_size: 32
    .workgroup_processor_mode: 1
  - .args:
      - .offset:         0
        .size:           112
        .value_kind:     by_value
    .group_segment_fixed_size: 0
    .kernarg_segment_align: 8
    .kernarg_segment_size: 112
    .language:       OpenCL C
    .language_version:
      - 2
      - 0
    .max_flat_workgroup_size: 256
    .name:           _ZN7rocprim17ROCPRIM_400000_NS6detail17trampoline_kernelINS0_14default_configENS1_27scan_by_key_config_selectorIijEEZZNS1_16scan_by_key_implILNS1_25lookback_scan_determinismE0ELb1ES3_N6thrust23THRUST_200600_302600_NS6detail15normal_iteratorINS9_10device_ptrIiEEEENSB_INSC_IjEEEESG_jNS9_4plusIvEENS9_8equal_toIvEEjEE10hipError_tPvRmT2_T3_T4_T5_mT6_T7_P12ihipStream_tbENKUlT_T0_E_clISt17integral_constantIbLb1EES10_IbLb0EEEEDaSW_SX_EUlSW_E_NS1_11comp_targetILNS1_3genE5ELNS1_11target_archE942ELNS1_3gpuE9ELNS1_3repE0EEENS1_30default_config_static_selectorELNS0_4arch9wavefront6targetE0EEEvT1_
    .private_segment_fixed_size: 0
    .sgpr_count:     0
    .sgpr_spill_count: 0
    .symbol:         _ZN7rocprim17ROCPRIM_400000_NS6detail17trampoline_kernelINS0_14default_configENS1_27scan_by_key_config_selectorIijEEZZNS1_16scan_by_key_implILNS1_25lookback_scan_determinismE0ELb1ES3_N6thrust23THRUST_200600_302600_NS6detail15normal_iteratorINS9_10device_ptrIiEEEENSB_INSC_IjEEEESG_jNS9_4plusIvEENS9_8equal_toIvEEjEE10hipError_tPvRmT2_T3_T4_T5_mT6_T7_P12ihipStream_tbENKUlT_T0_E_clISt17integral_constantIbLb1EES10_IbLb0EEEEDaSW_SX_EUlSW_E_NS1_11comp_targetILNS1_3genE5ELNS1_11target_archE942ELNS1_3gpuE9ELNS1_3repE0EEENS1_30default_config_static_selectorELNS0_4arch9wavefront6targetE0EEEvT1_.kd
    .uniform_work_group_size: 1
    .uses_dynamic_stack: false
    .vgpr_count:     0
    .vgpr_spill_count: 0
    .wavefront_size: 32
    .workgroup_processor_mode: 1
  - .args:
      - .offset:         0
        .size:           112
        .value_kind:     by_value
    .group_segment_fixed_size: 0
    .kernarg_segment_align: 8
    .kernarg_segment_size: 112
    .language:       OpenCL C
    .language_version:
      - 2
      - 0
    .max_flat_workgroup_size: 256
    .name:           _ZN7rocprim17ROCPRIM_400000_NS6detail17trampoline_kernelINS0_14default_configENS1_27scan_by_key_config_selectorIijEEZZNS1_16scan_by_key_implILNS1_25lookback_scan_determinismE0ELb1ES3_N6thrust23THRUST_200600_302600_NS6detail15normal_iteratorINS9_10device_ptrIiEEEENSB_INSC_IjEEEESG_jNS9_4plusIvEENS9_8equal_toIvEEjEE10hipError_tPvRmT2_T3_T4_T5_mT6_T7_P12ihipStream_tbENKUlT_T0_E_clISt17integral_constantIbLb1EES10_IbLb0EEEEDaSW_SX_EUlSW_E_NS1_11comp_targetILNS1_3genE4ELNS1_11target_archE910ELNS1_3gpuE8ELNS1_3repE0EEENS1_30default_config_static_selectorELNS0_4arch9wavefront6targetE0EEEvT1_
    .private_segment_fixed_size: 0
    .sgpr_count:     0
    .sgpr_spill_count: 0
    .symbol:         _ZN7rocprim17ROCPRIM_400000_NS6detail17trampoline_kernelINS0_14default_configENS1_27scan_by_key_config_selectorIijEEZZNS1_16scan_by_key_implILNS1_25lookback_scan_determinismE0ELb1ES3_N6thrust23THRUST_200600_302600_NS6detail15normal_iteratorINS9_10device_ptrIiEEEENSB_INSC_IjEEEESG_jNS9_4plusIvEENS9_8equal_toIvEEjEE10hipError_tPvRmT2_T3_T4_T5_mT6_T7_P12ihipStream_tbENKUlT_T0_E_clISt17integral_constantIbLb1EES10_IbLb0EEEEDaSW_SX_EUlSW_E_NS1_11comp_targetILNS1_3genE4ELNS1_11target_archE910ELNS1_3gpuE8ELNS1_3repE0EEENS1_30default_config_static_selectorELNS0_4arch9wavefront6targetE0EEEvT1_.kd
    .uniform_work_group_size: 1
    .uses_dynamic_stack: false
    .vgpr_count:     0
    .vgpr_spill_count: 0
    .wavefront_size: 32
    .workgroup_processor_mode: 1
  - .args:
      - .offset:         0
        .size:           112
        .value_kind:     by_value
    .group_segment_fixed_size: 0
    .kernarg_segment_align: 8
    .kernarg_segment_size: 112
    .language:       OpenCL C
    .language_version:
      - 2
      - 0
    .max_flat_workgroup_size: 256
    .name:           _ZN7rocprim17ROCPRIM_400000_NS6detail17trampoline_kernelINS0_14default_configENS1_27scan_by_key_config_selectorIijEEZZNS1_16scan_by_key_implILNS1_25lookback_scan_determinismE0ELb1ES3_N6thrust23THRUST_200600_302600_NS6detail15normal_iteratorINS9_10device_ptrIiEEEENSB_INSC_IjEEEESG_jNS9_4plusIvEENS9_8equal_toIvEEjEE10hipError_tPvRmT2_T3_T4_T5_mT6_T7_P12ihipStream_tbENKUlT_T0_E_clISt17integral_constantIbLb1EES10_IbLb0EEEEDaSW_SX_EUlSW_E_NS1_11comp_targetILNS1_3genE3ELNS1_11target_archE908ELNS1_3gpuE7ELNS1_3repE0EEENS1_30default_config_static_selectorELNS0_4arch9wavefront6targetE0EEEvT1_
    .private_segment_fixed_size: 0
    .sgpr_count:     0
    .sgpr_spill_count: 0
    .symbol:         _ZN7rocprim17ROCPRIM_400000_NS6detail17trampoline_kernelINS0_14default_configENS1_27scan_by_key_config_selectorIijEEZZNS1_16scan_by_key_implILNS1_25lookback_scan_determinismE0ELb1ES3_N6thrust23THRUST_200600_302600_NS6detail15normal_iteratorINS9_10device_ptrIiEEEENSB_INSC_IjEEEESG_jNS9_4plusIvEENS9_8equal_toIvEEjEE10hipError_tPvRmT2_T3_T4_T5_mT6_T7_P12ihipStream_tbENKUlT_T0_E_clISt17integral_constantIbLb1EES10_IbLb0EEEEDaSW_SX_EUlSW_E_NS1_11comp_targetILNS1_3genE3ELNS1_11target_archE908ELNS1_3gpuE7ELNS1_3repE0EEENS1_30default_config_static_selectorELNS0_4arch9wavefront6targetE0EEEvT1_.kd
    .uniform_work_group_size: 1
    .uses_dynamic_stack: false
    .vgpr_count:     0
    .vgpr_spill_count: 0
    .wavefront_size: 32
    .workgroup_processor_mode: 1
  - .args:
      - .offset:         0
        .size:           112
        .value_kind:     by_value
    .group_segment_fixed_size: 0
    .kernarg_segment_align: 8
    .kernarg_segment_size: 112
    .language:       OpenCL C
    .language_version:
      - 2
      - 0
    .max_flat_workgroup_size: 256
    .name:           _ZN7rocprim17ROCPRIM_400000_NS6detail17trampoline_kernelINS0_14default_configENS1_27scan_by_key_config_selectorIijEEZZNS1_16scan_by_key_implILNS1_25lookback_scan_determinismE0ELb1ES3_N6thrust23THRUST_200600_302600_NS6detail15normal_iteratorINS9_10device_ptrIiEEEENSB_INSC_IjEEEESG_jNS9_4plusIvEENS9_8equal_toIvEEjEE10hipError_tPvRmT2_T3_T4_T5_mT6_T7_P12ihipStream_tbENKUlT_T0_E_clISt17integral_constantIbLb1EES10_IbLb0EEEEDaSW_SX_EUlSW_E_NS1_11comp_targetILNS1_3genE2ELNS1_11target_archE906ELNS1_3gpuE6ELNS1_3repE0EEENS1_30default_config_static_selectorELNS0_4arch9wavefront6targetE0EEEvT1_
    .private_segment_fixed_size: 0
    .sgpr_count:     0
    .sgpr_spill_count: 0
    .symbol:         _ZN7rocprim17ROCPRIM_400000_NS6detail17trampoline_kernelINS0_14default_configENS1_27scan_by_key_config_selectorIijEEZZNS1_16scan_by_key_implILNS1_25lookback_scan_determinismE0ELb1ES3_N6thrust23THRUST_200600_302600_NS6detail15normal_iteratorINS9_10device_ptrIiEEEENSB_INSC_IjEEEESG_jNS9_4plusIvEENS9_8equal_toIvEEjEE10hipError_tPvRmT2_T3_T4_T5_mT6_T7_P12ihipStream_tbENKUlT_T0_E_clISt17integral_constantIbLb1EES10_IbLb0EEEEDaSW_SX_EUlSW_E_NS1_11comp_targetILNS1_3genE2ELNS1_11target_archE906ELNS1_3gpuE6ELNS1_3repE0EEENS1_30default_config_static_selectorELNS0_4arch9wavefront6targetE0EEEvT1_.kd
    .uniform_work_group_size: 1
    .uses_dynamic_stack: false
    .vgpr_count:     0
    .vgpr_spill_count: 0
    .wavefront_size: 32
    .workgroup_processor_mode: 1
  - .args:
      - .offset:         0
        .size:           112
        .value_kind:     by_value
    .group_segment_fixed_size: 0
    .kernarg_segment_align: 8
    .kernarg_segment_size: 112
    .language:       OpenCL C
    .language_version:
      - 2
      - 0
    .max_flat_workgroup_size: 256
    .name:           _ZN7rocprim17ROCPRIM_400000_NS6detail17trampoline_kernelINS0_14default_configENS1_27scan_by_key_config_selectorIijEEZZNS1_16scan_by_key_implILNS1_25lookback_scan_determinismE0ELb1ES3_N6thrust23THRUST_200600_302600_NS6detail15normal_iteratorINS9_10device_ptrIiEEEENSB_INSC_IjEEEESG_jNS9_4plusIvEENS9_8equal_toIvEEjEE10hipError_tPvRmT2_T3_T4_T5_mT6_T7_P12ihipStream_tbENKUlT_T0_E_clISt17integral_constantIbLb1EES10_IbLb0EEEEDaSW_SX_EUlSW_E_NS1_11comp_targetILNS1_3genE10ELNS1_11target_archE1200ELNS1_3gpuE4ELNS1_3repE0EEENS1_30default_config_static_selectorELNS0_4arch9wavefront6targetE0EEEvT1_
    .private_segment_fixed_size: 0
    .sgpr_count:     0
    .sgpr_spill_count: 0
    .symbol:         _ZN7rocprim17ROCPRIM_400000_NS6detail17trampoline_kernelINS0_14default_configENS1_27scan_by_key_config_selectorIijEEZZNS1_16scan_by_key_implILNS1_25lookback_scan_determinismE0ELb1ES3_N6thrust23THRUST_200600_302600_NS6detail15normal_iteratorINS9_10device_ptrIiEEEENSB_INSC_IjEEEESG_jNS9_4plusIvEENS9_8equal_toIvEEjEE10hipError_tPvRmT2_T3_T4_T5_mT6_T7_P12ihipStream_tbENKUlT_T0_E_clISt17integral_constantIbLb1EES10_IbLb0EEEEDaSW_SX_EUlSW_E_NS1_11comp_targetILNS1_3genE10ELNS1_11target_archE1200ELNS1_3gpuE4ELNS1_3repE0EEENS1_30default_config_static_selectorELNS0_4arch9wavefront6targetE0EEEvT1_.kd
    .uniform_work_group_size: 1
    .uses_dynamic_stack: false
    .vgpr_count:     0
    .vgpr_spill_count: 0
    .wavefront_size: 32
    .workgroup_processor_mode: 1
  - .args:
      - .offset:         0
        .size:           112
        .value_kind:     by_value
    .group_segment_fixed_size: 0
    .kernarg_segment_align: 8
    .kernarg_segment_size: 112
    .language:       OpenCL C
    .language_version:
      - 2
      - 0
    .max_flat_workgroup_size: 256
    .name:           _ZN7rocprim17ROCPRIM_400000_NS6detail17trampoline_kernelINS0_14default_configENS1_27scan_by_key_config_selectorIijEEZZNS1_16scan_by_key_implILNS1_25lookback_scan_determinismE0ELb1ES3_N6thrust23THRUST_200600_302600_NS6detail15normal_iteratorINS9_10device_ptrIiEEEENSB_INSC_IjEEEESG_jNS9_4plusIvEENS9_8equal_toIvEEjEE10hipError_tPvRmT2_T3_T4_T5_mT6_T7_P12ihipStream_tbENKUlT_T0_E_clISt17integral_constantIbLb1EES10_IbLb0EEEEDaSW_SX_EUlSW_E_NS1_11comp_targetILNS1_3genE9ELNS1_11target_archE1100ELNS1_3gpuE3ELNS1_3repE0EEENS1_30default_config_static_selectorELNS0_4arch9wavefront6targetE0EEEvT1_
    .private_segment_fixed_size: 0
    .sgpr_count:     0
    .sgpr_spill_count: 0
    .symbol:         _ZN7rocprim17ROCPRIM_400000_NS6detail17trampoline_kernelINS0_14default_configENS1_27scan_by_key_config_selectorIijEEZZNS1_16scan_by_key_implILNS1_25lookback_scan_determinismE0ELb1ES3_N6thrust23THRUST_200600_302600_NS6detail15normal_iteratorINS9_10device_ptrIiEEEENSB_INSC_IjEEEESG_jNS9_4plusIvEENS9_8equal_toIvEEjEE10hipError_tPvRmT2_T3_T4_T5_mT6_T7_P12ihipStream_tbENKUlT_T0_E_clISt17integral_constantIbLb1EES10_IbLb0EEEEDaSW_SX_EUlSW_E_NS1_11comp_targetILNS1_3genE9ELNS1_11target_archE1100ELNS1_3gpuE3ELNS1_3repE0EEENS1_30default_config_static_selectorELNS0_4arch9wavefront6targetE0EEEvT1_.kd
    .uniform_work_group_size: 1
    .uses_dynamic_stack: false
    .vgpr_count:     0
    .vgpr_spill_count: 0
    .wavefront_size: 32
    .workgroup_processor_mode: 1
  - .args:
      - .offset:         0
        .size:           112
        .value_kind:     by_value
    .group_segment_fixed_size: 0
    .kernarg_segment_align: 8
    .kernarg_segment_size: 112
    .language:       OpenCL C
    .language_version:
      - 2
      - 0
    .max_flat_workgroup_size: 256
    .name:           _ZN7rocprim17ROCPRIM_400000_NS6detail17trampoline_kernelINS0_14default_configENS1_27scan_by_key_config_selectorIijEEZZNS1_16scan_by_key_implILNS1_25lookback_scan_determinismE0ELb1ES3_N6thrust23THRUST_200600_302600_NS6detail15normal_iteratorINS9_10device_ptrIiEEEENSB_INSC_IjEEEESG_jNS9_4plusIvEENS9_8equal_toIvEEjEE10hipError_tPvRmT2_T3_T4_T5_mT6_T7_P12ihipStream_tbENKUlT_T0_E_clISt17integral_constantIbLb1EES10_IbLb0EEEEDaSW_SX_EUlSW_E_NS1_11comp_targetILNS1_3genE8ELNS1_11target_archE1030ELNS1_3gpuE2ELNS1_3repE0EEENS1_30default_config_static_selectorELNS0_4arch9wavefront6targetE0EEEvT1_
    .private_segment_fixed_size: 0
    .sgpr_count:     0
    .sgpr_spill_count: 0
    .symbol:         _ZN7rocprim17ROCPRIM_400000_NS6detail17trampoline_kernelINS0_14default_configENS1_27scan_by_key_config_selectorIijEEZZNS1_16scan_by_key_implILNS1_25lookback_scan_determinismE0ELb1ES3_N6thrust23THRUST_200600_302600_NS6detail15normal_iteratorINS9_10device_ptrIiEEEENSB_INSC_IjEEEESG_jNS9_4plusIvEENS9_8equal_toIvEEjEE10hipError_tPvRmT2_T3_T4_T5_mT6_T7_P12ihipStream_tbENKUlT_T0_E_clISt17integral_constantIbLb1EES10_IbLb0EEEEDaSW_SX_EUlSW_E_NS1_11comp_targetILNS1_3genE8ELNS1_11target_archE1030ELNS1_3gpuE2ELNS1_3repE0EEENS1_30default_config_static_selectorELNS0_4arch9wavefront6targetE0EEEvT1_.kd
    .uniform_work_group_size: 1
    .uses_dynamic_stack: false
    .vgpr_count:     0
    .vgpr_spill_count: 0
    .wavefront_size: 32
    .workgroup_processor_mode: 1
  - .args:
      - .offset:         0
        .size:           112
        .value_kind:     by_value
    .group_segment_fixed_size: 0
    .kernarg_segment_align: 8
    .kernarg_segment_size: 112
    .language:       OpenCL C
    .language_version:
      - 2
      - 0
    .max_flat_workgroup_size: 256
    .name:           _ZN7rocprim17ROCPRIM_400000_NS6detail17trampoline_kernelINS0_14default_configENS1_27scan_by_key_config_selectorIijEEZZNS1_16scan_by_key_implILNS1_25lookback_scan_determinismE0ELb1ES3_N6thrust23THRUST_200600_302600_NS6detail15normal_iteratorINS9_10device_ptrIiEEEENSB_INSC_IjEEEESG_jNS9_4plusIvEENS9_8equal_toIvEEjEE10hipError_tPvRmT2_T3_T4_T5_mT6_T7_P12ihipStream_tbENKUlT_T0_E_clISt17integral_constantIbLb0EES10_IbLb1EEEEDaSW_SX_EUlSW_E_NS1_11comp_targetILNS1_3genE0ELNS1_11target_archE4294967295ELNS1_3gpuE0ELNS1_3repE0EEENS1_30default_config_static_selectorELNS0_4arch9wavefront6targetE0EEEvT1_
    .private_segment_fixed_size: 0
    .sgpr_count:     0
    .sgpr_spill_count: 0
    .symbol:         _ZN7rocprim17ROCPRIM_400000_NS6detail17trampoline_kernelINS0_14default_configENS1_27scan_by_key_config_selectorIijEEZZNS1_16scan_by_key_implILNS1_25lookback_scan_determinismE0ELb1ES3_N6thrust23THRUST_200600_302600_NS6detail15normal_iteratorINS9_10device_ptrIiEEEENSB_INSC_IjEEEESG_jNS9_4plusIvEENS9_8equal_toIvEEjEE10hipError_tPvRmT2_T3_T4_T5_mT6_T7_P12ihipStream_tbENKUlT_T0_E_clISt17integral_constantIbLb0EES10_IbLb1EEEEDaSW_SX_EUlSW_E_NS1_11comp_targetILNS1_3genE0ELNS1_11target_archE4294967295ELNS1_3gpuE0ELNS1_3repE0EEENS1_30default_config_static_selectorELNS0_4arch9wavefront6targetE0EEEvT1_.kd
    .uniform_work_group_size: 1
    .uses_dynamic_stack: false
    .vgpr_count:     0
    .vgpr_spill_count: 0
    .wavefront_size: 32
    .workgroup_processor_mode: 1
  - .args:
      - .offset:         0
        .size:           112
        .value_kind:     by_value
    .group_segment_fixed_size: 0
    .kernarg_segment_align: 8
    .kernarg_segment_size: 112
    .language:       OpenCL C
    .language_version:
      - 2
      - 0
    .max_flat_workgroup_size: 256
    .name:           _ZN7rocprim17ROCPRIM_400000_NS6detail17trampoline_kernelINS0_14default_configENS1_27scan_by_key_config_selectorIijEEZZNS1_16scan_by_key_implILNS1_25lookback_scan_determinismE0ELb1ES3_N6thrust23THRUST_200600_302600_NS6detail15normal_iteratorINS9_10device_ptrIiEEEENSB_INSC_IjEEEESG_jNS9_4plusIvEENS9_8equal_toIvEEjEE10hipError_tPvRmT2_T3_T4_T5_mT6_T7_P12ihipStream_tbENKUlT_T0_E_clISt17integral_constantIbLb0EES10_IbLb1EEEEDaSW_SX_EUlSW_E_NS1_11comp_targetILNS1_3genE10ELNS1_11target_archE1201ELNS1_3gpuE5ELNS1_3repE0EEENS1_30default_config_static_selectorELNS0_4arch9wavefront6targetE0EEEvT1_
    .private_segment_fixed_size: 0
    .sgpr_count:     0
    .sgpr_spill_count: 0
    .symbol:         _ZN7rocprim17ROCPRIM_400000_NS6detail17trampoline_kernelINS0_14default_configENS1_27scan_by_key_config_selectorIijEEZZNS1_16scan_by_key_implILNS1_25lookback_scan_determinismE0ELb1ES3_N6thrust23THRUST_200600_302600_NS6detail15normal_iteratorINS9_10device_ptrIiEEEENSB_INSC_IjEEEESG_jNS9_4plusIvEENS9_8equal_toIvEEjEE10hipError_tPvRmT2_T3_T4_T5_mT6_T7_P12ihipStream_tbENKUlT_T0_E_clISt17integral_constantIbLb0EES10_IbLb1EEEEDaSW_SX_EUlSW_E_NS1_11comp_targetILNS1_3genE10ELNS1_11target_archE1201ELNS1_3gpuE5ELNS1_3repE0EEENS1_30default_config_static_selectorELNS0_4arch9wavefront6targetE0EEEvT1_.kd
    .uniform_work_group_size: 1
    .uses_dynamic_stack: false
    .vgpr_count:     0
    .vgpr_spill_count: 0
    .wavefront_size: 32
    .workgroup_processor_mode: 1
  - .args:
      - .offset:         0
        .size:           112
        .value_kind:     by_value
    .group_segment_fixed_size: 0
    .kernarg_segment_align: 8
    .kernarg_segment_size: 112
    .language:       OpenCL C
    .language_version:
      - 2
      - 0
    .max_flat_workgroup_size: 256
    .name:           _ZN7rocprim17ROCPRIM_400000_NS6detail17trampoline_kernelINS0_14default_configENS1_27scan_by_key_config_selectorIijEEZZNS1_16scan_by_key_implILNS1_25lookback_scan_determinismE0ELb1ES3_N6thrust23THRUST_200600_302600_NS6detail15normal_iteratorINS9_10device_ptrIiEEEENSB_INSC_IjEEEESG_jNS9_4plusIvEENS9_8equal_toIvEEjEE10hipError_tPvRmT2_T3_T4_T5_mT6_T7_P12ihipStream_tbENKUlT_T0_E_clISt17integral_constantIbLb0EES10_IbLb1EEEEDaSW_SX_EUlSW_E_NS1_11comp_targetILNS1_3genE5ELNS1_11target_archE942ELNS1_3gpuE9ELNS1_3repE0EEENS1_30default_config_static_selectorELNS0_4arch9wavefront6targetE0EEEvT1_
    .private_segment_fixed_size: 0
    .sgpr_count:     0
    .sgpr_spill_count: 0
    .symbol:         _ZN7rocprim17ROCPRIM_400000_NS6detail17trampoline_kernelINS0_14default_configENS1_27scan_by_key_config_selectorIijEEZZNS1_16scan_by_key_implILNS1_25lookback_scan_determinismE0ELb1ES3_N6thrust23THRUST_200600_302600_NS6detail15normal_iteratorINS9_10device_ptrIiEEEENSB_INSC_IjEEEESG_jNS9_4plusIvEENS9_8equal_toIvEEjEE10hipError_tPvRmT2_T3_T4_T5_mT6_T7_P12ihipStream_tbENKUlT_T0_E_clISt17integral_constantIbLb0EES10_IbLb1EEEEDaSW_SX_EUlSW_E_NS1_11comp_targetILNS1_3genE5ELNS1_11target_archE942ELNS1_3gpuE9ELNS1_3repE0EEENS1_30default_config_static_selectorELNS0_4arch9wavefront6targetE0EEEvT1_.kd
    .uniform_work_group_size: 1
    .uses_dynamic_stack: false
    .vgpr_count:     0
    .vgpr_spill_count: 0
    .wavefront_size: 32
    .workgroup_processor_mode: 1
  - .args:
      - .offset:         0
        .size:           112
        .value_kind:     by_value
    .group_segment_fixed_size: 0
    .kernarg_segment_align: 8
    .kernarg_segment_size: 112
    .language:       OpenCL C
    .language_version:
      - 2
      - 0
    .max_flat_workgroup_size: 256
    .name:           _ZN7rocprim17ROCPRIM_400000_NS6detail17trampoline_kernelINS0_14default_configENS1_27scan_by_key_config_selectorIijEEZZNS1_16scan_by_key_implILNS1_25lookback_scan_determinismE0ELb1ES3_N6thrust23THRUST_200600_302600_NS6detail15normal_iteratorINS9_10device_ptrIiEEEENSB_INSC_IjEEEESG_jNS9_4plusIvEENS9_8equal_toIvEEjEE10hipError_tPvRmT2_T3_T4_T5_mT6_T7_P12ihipStream_tbENKUlT_T0_E_clISt17integral_constantIbLb0EES10_IbLb1EEEEDaSW_SX_EUlSW_E_NS1_11comp_targetILNS1_3genE4ELNS1_11target_archE910ELNS1_3gpuE8ELNS1_3repE0EEENS1_30default_config_static_selectorELNS0_4arch9wavefront6targetE0EEEvT1_
    .private_segment_fixed_size: 0
    .sgpr_count:     0
    .sgpr_spill_count: 0
    .symbol:         _ZN7rocprim17ROCPRIM_400000_NS6detail17trampoline_kernelINS0_14default_configENS1_27scan_by_key_config_selectorIijEEZZNS1_16scan_by_key_implILNS1_25lookback_scan_determinismE0ELb1ES3_N6thrust23THRUST_200600_302600_NS6detail15normal_iteratorINS9_10device_ptrIiEEEENSB_INSC_IjEEEESG_jNS9_4plusIvEENS9_8equal_toIvEEjEE10hipError_tPvRmT2_T3_T4_T5_mT6_T7_P12ihipStream_tbENKUlT_T0_E_clISt17integral_constantIbLb0EES10_IbLb1EEEEDaSW_SX_EUlSW_E_NS1_11comp_targetILNS1_3genE4ELNS1_11target_archE910ELNS1_3gpuE8ELNS1_3repE0EEENS1_30default_config_static_selectorELNS0_4arch9wavefront6targetE0EEEvT1_.kd
    .uniform_work_group_size: 1
    .uses_dynamic_stack: false
    .vgpr_count:     0
    .vgpr_spill_count: 0
    .wavefront_size: 32
    .workgroup_processor_mode: 1
  - .args:
      - .offset:         0
        .size:           112
        .value_kind:     by_value
    .group_segment_fixed_size: 0
    .kernarg_segment_align: 8
    .kernarg_segment_size: 112
    .language:       OpenCL C
    .language_version:
      - 2
      - 0
    .max_flat_workgroup_size: 256
    .name:           _ZN7rocprim17ROCPRIM_400000_NS6detail17trampoline_kernelINS0_14default_configENS1_27scan_by_key_config_selectorIijEEZZNS1_16scan_by_key_implILNS1_25lookback_scan_determinismE0ELb1ES3_N6thrust23THRUST_200600_302600_NS6detail15normal_iteratorINS9_10device_ptrIiEEEENSB_INSC_IjEEEESG_jNS9_4plusIvEENS9_8equal_toIvEEjEE10hipError_tPvRmT2_T3_T4_T5_mT6_T7_P12ihipStream_tbENKUlT_T0_E_clISt17integral_constantIbLb0EES10_IbLb1EEEEDaSW_SX_EUlSW_E_NS1_11comp_targetILNS1_3genE3ELNS1_11target_archE908ELNS1_3gpuE7ELNS1_3repE0EEENS1_30default_config_static_selectorELNS0_4arch9wavefront6targetE0EEEvT1_
    .private_segment_fixed_size: 0
    .sgpr_count:     0
    .sgpr_spill_count: 0
    .symbol:         _ZN7rocprim17ROCPRIM_400000_NS6detail17trampoline_kernelINS0_14default_configENS1_27scan_by_key_config_selectorIijEEZZNS1_16scan_by_key_implILNS1_25lookback_scan_determinismE0ELb1ES3_N6thrust23THRUST_200600_302600_NS6detail15normal_iteratorINS9_10device_ptrIiEEEENSB_INSC_IjEEEESG_jNS9_4plusIvEENS9_8equal_toIvEEjEE10hipError_tPvRmT2_T3_T4_T5_mT6_T7_P12ihipStream_tbENKUlT_T0_E_clISt17integral_constantIbLb0EES10_IbLb1EEEEDaSW_SX_EUlSW_E_NS1_11comp_targetILNS1_3genE3ELNS1_11target_archE908ELNS1_3gpuE7ELNS1_3repE0EEENS1_30default_config_static_selectorELNS0_4arch9wavefront6targetE0EEEvT1_.kd
    .uniform_work_group_size: 1
    .uses_dynamic_stack: false
    .vgpr_count:     0
    .vgpr_spill_count: 0
    .wavefront_size: 32
    .workgroup_processor_mode: 1
  - .args:
      - .offset:         0
        .size:           112
        .value_kind:     by_value
    .group_segment_fixed_size: 0
    .kernarg_segment_align: 8
    .kernarg_segment_size: 112
    .language:       OpenCL C
    .language_version:
      - 2
      - 0
    .max_flat_workgroup_size: 256
    .name:           _ZN7rocprim17ROCPRIM_400000_NS6detail17trampoline_kernelINS0_14default_configENS1_27scan_by_key_config_selectorIijEEZZNS1_16scan_by_key_implILNS1_25lookback_scan_determinismE0ELb1ES3_N6thrust23THRUST_200600_302600_NS6detail15normal_iteratorINS9_10device_ptrIiEEEENSB_INSC_IjEEEESG_jNS9_4plusIvEENS9_8equal_toIvEEjEE10hipError_tPvRmT2_T3_T4_T5_mT6_T7_P12ihipStream_tbENKUlT_T0_E_clISt17integral_constantIbLb0EES10_IbLb1EEEEDaSW_SX_EUlSW_E_NS1_11comp_targetILNS1_3genE2ELNS1_11target_archE906ELNS1_3gpuE6ELNS1_3repE0EEENS1_30default_config_static_selectorELNS0_4arch9wavefront6targetE0EEEvT1_
    .private_segment_fixed_size: 0
    .sgpr_count:     0
    .sgpr_spill_count: 0
    .symbol:         _ZN7rocprim17ROCPRIM_400000_NS6detail17trampoline_kernelINS0_14default_configENS1_27scan_by_key_config_selectorIijEEZZNS1_16scan_by_key_implILNS1_25lookback_scan_determinismE0ELb1ES3_N6thrust23THRUST_200600_302600_NS6detail15normal_iteratorINS9_10device_ptrIiEEEENSB_INSC_IjEEEESG_jNS9_4plusIvEENS9_8equal_toIvEEjEE10hipError_tPvRmT2_T3_T4_T5_mT6_T7_P12ihipStream_tbENKUlT_T0_E_clISt17integral_constantIbLb0EES10_IbLb1EEEEDaSW_SX_EUlSW_E_NS1_11comp_targetILNS1_3genE2ELNS1_11target_archE906ELNS1_3gpuE6ELNS1_3repE0EEENS1_30default_config_static_selectorELNS0_4arch9wavefront6targetE0EEEvT1_.kd
    .uniform_work_group_size: 1
    .uses_dynamic_stack: false
    .vgpr_count:     0
    .vgpr_spill_count: 0
    .wavefront_size: 32
    .workgroup_processor_mode: 1
  - .args:
      - .offset:         0
        .size:           112
        .value_kind:     by_value
    .group_segment_fixed_size: 0
    .kernarg_segment_align: 8
    .kernarg_segment_size: 112
    .language:       OpenCL C
    .language_version:
      - 2
      - 0
    .max_flat_workgroup_size: 256
    .name:           _ZN7rocprim17ROCPRIM_400000_NS6detail17trampoline_kernelINS0_14default_configENS1_27scan_by_key_config_selectorIijEEZZNS1_16scan_by_key_implILNS1_25lookback_scan_determinismE0ELb1ES3_N6thrust23THRUST_200600_302600_NS6detail15normal_iteratorINS9_10device_ptrIiEEEENSB_INSC_IjEEEESG_jNS9_4plusIvEENS9_8equal_toIvEEjEE10hipError_tPvRmT2_T3_T4_T5_mT6_T7_P12ihipStream_tbENKUlT_T0_E_clISt17integral_constantIbLb0EES10_IbLb1EEEEDaSW_SX_EUlSW_E_NS1_11comp_targetILNS1_3genE10ELNS1_11target_archE1200ELNS1_3gpuE4ELNS1_3repE0EEENS1_30default_config_static_selectorELNS0_4arch9wavefront6targetE0EEEvT1_
    .private_segment_fixed_size: 0
    .sgpr_count:     0
    .sgpr_spill_count: 0
    .symbol:         _ZN7rocprim17ROCPRIM_400000_NS6detail17trampoline_kernelINS0_14default_configENS1_27scan_by_key_config_selectorIijEEZZNS1_16scan_by_key_implILNS1_25lookback_scan_determinismE0ELb1ES3_N6thrust23THRUST_200600_302600_NS6detail15normal_iteratorINS9_10device_ptrIiEEEENSB_INSC_IjEEEESG_jNS9_4plusIvEENS9_8equal_toIvEEjEE10hipError_tPvRmT2_T3_T4_T5_mT6_T7_P12ihipStream_tbENKUlT_T0_E_clISt17integral_constantIbLb0EES10_IbLb1EEEEDaSW_SX_EUlSW_E_NS1_11comp_targetILNS1_3genE10ELNS1_11target_archE1200ELNS1_3gpuE4ELNS1_3repE0EEENS1_30default_config_static_selectorELNS0_4arch9wavefront6targetE0EEEvT1_.kd
    .uniform_work_group_size: 1
    .uses_dynamic_stack: false
    .vgpr_count:     0
    .vgpr_spill_count: 0
    .wavefront_size: 32
    .workgroup_processor_mode: 1
  - .args:
      - .offset:         0
        .size:           112
        .value_kind:     by_value
    .group_segment_fixed_size: 0
    .kernarg_segment_align: 8
    .kernarg_segment_size: 112
    .language:       OpenCL C
    .language_version:
      - 2
      - 0
    .max_flat_workgroup_size: 256
    .name:           _ZN7rocprim17ROCPRIM_400000_NS6detail17trampoline_kernelINS0_14default_configENS1_27scan_by_key_config_selectorIijEEZZNS1_16scan_by_key_implILNS1_25lookback_scan_determinismE0ELb1ES3_N6thrust23THRUST_200600_302600_NS6detail15normal_iteratorINS9_10device_ptrIiEEEENSB_INSC_IjEEEESG_jNS9_4plusIvEENS9_8equal_toIvEEjEE10hipError_tPvRmT2_T3_T4_T5_mT6_T7_P12ihipStream_tbENKUlT_T0_E_clISt17integral_constantIbLb0EES10_IbLb1EEEEDaSW_SX_EUlSW_E_NS1_11comp_targetILNS1_3genE9ELNS1_11target_archE1100ELNS1_3gpuE3ELNS1_3repE0EEENS1_30default_config_static_selectorELNS0_4arch9wavefront6targetE0EEEvT1_
    .private_segment_fixed_size: 0
    .sgpr_count:     0
    .sgpr_spill_count: 0
    .symbol:         _ZN7rocprim17ROCPRIM_400000_NS6detail17trampoline_kernelINS0_14default_configENS1_27scan_by_key_config_selectorIijEEZZNS1_16scan_by_key_implILNS1_25lookback_scan_determinismE0ELb1ES3_N6thrust23THRUST_200600_302600_NS6detail15normal_iteratorINS9_10device_ptrIiEEEENSB_INSC_IjEEEESG_jNS9_4plusIvEENS9_8equal_toIvEEjEE10hipError_tPvRmT2_T3_T4_T5_mT6_T7_P12ihipStream_tbENKUlT_T0_E_clISt17integral_constantIbLb0EES10_IbLb1EEEEDaSW_SX_EUlSW_E_NS1_11comp_targetILNS1_3genE9ELNS1_11target_archE1100ELNS1_3gpuE3ELNS1_3repE0EEENS1_30default_config_static_selectorELNS0_4arch9wavefront6targetE0EEEvT1_.kd
    .uniform_work_group_size: 1
    .uses_dynamic_stack: false
    .vgpr_count:     0
    .vgpr_spill_count: 0
    .wavefront_size: 32
    .workgroup_processor_mode: 1
  - .args:
      - .offset:         0
        .size:           112
        .value_kind:     by_value
    .group_segment_fixed_size: 5120
    .kernarg_segment_align: 8
    .kernarg_segment_size: 112
    .language:       OpenCL C
    .language_version:
      - 2
      - 0
    .max_flat_workgroup_size: 256
    .name:           _ZN7rocprim17ROCPRIM_400000_NS6detail17trampoline_kernelINS0_14default_configENS1_27scan_by_key_config_selectorIijEEZZNS1_16scan_by_key_implILNS1_25lookback_scan_determinismE0ELb1ES3_N6thrust23THRUST_200600_302600_NS6detail15normal_iteratorINS9_10device_ptrIiEEEENSB_INSC_IjEEEESG_jNS9_4plusIvEENS9_8equal_toIvEEjEE10hipError_tPvRmT2_T3_T4_T5_mT6_T7_P12ihipStream_tbENKUlT_T0_E_clISt17integral_constantIbLb0EES10_IbLb1EEEEDaSW_SX_EUlSW_E_NS1_11comp_targetILNS1_3genE8ELNS1_11target_archE1030ELNS1_3gpuE2ELNS1_3repE0EEENS1_30default_config_static_selectorELNS0_4arch9wavefront6targetE0EEEvT1_
    .private_segment_fixed_size: 0
    .sgpr_count:     26
    .sgpr_spill_count: 0
    .symbol:         _ZN7rocprim17ROCPRIM_400000_NS6detail17trampoline_kernelINS0_14default_configENS1_27scan_by_key_config_selectorIijEEZZNS1_16scan_by_key_implILNS1_25lookback_scan_determinismE0ELb1ES3_N6thrust23THRUST_200600_302600_NS6detail15normal_iteratorINS9_10device_ptrIiEEEENSB_INSC_IjEEEESG_jNS9_4plusIvEENS9_8equal_toIvEEjEE10hipError_tPvRmT2_T3_T4_T5_mT6_T7_P12ihipStream_tbENKUlT_T0_E_clISt17integral_constantIbLb0EES10_IbLb1EEEEDaSW_SX_EUlSW_E_NS1_11comp_targetILNS1_3genE8ELNS1_11target_archE1030ELNS1_3gpuE2ELNS1_3repE0EEENS1_30default_config_static_selectorELNS0_4arch9wavefront6targetE0EEEvT1_.kd
    .uniform_work_group_size: 1
    .uses_dynamic_stack: false
    .vgpr_count:     44
    .vgpr_spill_count: 0
    .wavefront_size: 32
    .workgroup_processor_mode: 1
  - .args:
      - .offset:         0
        .size:           112
        .value_kind:     by_value
    .group_segment_fixed_size: 0
    .kernarg_segment_align: 8
    .kernarg_segment_size: 112
    .language:       OpenCL C
    .language_version:
      - 2
      - 0
    .max_flat_workgroup_size: 256
    .name:           _ZN7rocprim17ROCPRIM_400000_NS6detail17trampoline_kernelINS0_14default_configENS1_27scan_by_key_config_selectorIitEEZZNS1_16scan_by_key_implILNS1_25lookback_scan_determinismE0ELb1ES3_N6thrust23THRUST_200600_302600_NS6detail15normal_iteratorINS9_10device_ptrIiEEEENSB_INSC_ItEEEESG_tNS9_4plusIvEENS9_8equal_toIvEEtEE10hipError_tPvRmT2_T3_T4_T5_mT6_T7_P12ihipStream_tbENKUlT_T0_E_clISt17integral_constantIbLb0EES11_EEDaSW_SX_EUlSW_E_NS1_11comp_targetILNS1_3genE0ELNS1_11target_archE4294967295ELNS1_3gpuE0ELNS1_3repE0EEENS1_30default_config_static_selectorELNS0_4arch9wavefront6targetE0EEEvT1_
    .private_segment_fixed_size: 0
    .sgpr_count:     0
    .sgpr_spill_count: 0
    .symbol:         _ZN7rocprim17ROCPRIM_400000_NS6detail17trampoline_kernelINS0_14default_configENS1_27scan_by_key_config_selectorIitEEZZNS1_16scan_by_key_implILNS1_25lookback_scan_determinismE0ELb1ES3_N6thrust23THRUST_200600_302600_NS6detail15normal_iteratorINS9_10device_ptrIiEEEENSB_INSC_ItEEEESG_tNS9_4plusIvEENS9_8equal_toIvEEtEE10hipError_tPvRmT2_T3_T4_T5_mT6_T7_P12ihipStream_tbENKUlT_T0_E_clISt17integral_constantIbLb0EES11_EEDaSW_SX_EUlSW_E_NS1_11comp_targetILNS1_3genE0ELNS1_11target_archE4294967295ELNS1_3gpuE0ELNS1_3repE0EEENS1_30default_config_static_selectorELNS0_4arch9wavefront6targetE0EEEvT1_.kd
    .uniform_work_group_size: 1
    .uses_dynamic_stack: false
    .vgpr_count:     0
    .vgpr_spill_count: 0
    .wavefront_size: 32
    .workgroup_processor_mode: 1
  - .args:
      - .offset:         0
        .size:           112
        .value_kind:     by_value
    .group_segment_fixed_size: 0
    .kernarg_segment_align: 8
    .kernarg_segment_size: 112
    .language:       OpenCL C
    .language_version:
      - 2
      - 0
    .max_flat_workgroup_size: 256
    .name:           _ZN7rocprim17ROCPRIM_400000_NS6detail17trampoline_kernelINS0_14default_configENS1_27scan_by_key_config_selectorIitEEZZNS1_16scan_by_key_implILNS1_25lookback_scan_determinismE0ELb1ES3_N6thrust23THRUST_200600_302600_NS6detail15normal_iteratorINS9_10device_ptrIiEEEENSB_INSC_ItEEEESG_tNS9_4plusIvEENS9_8equal_toIvEEtEE10hipError_tPvRmT2_T3_T4_T5_mT6_T7_P12ihipStream_tbENKUlT_T0_E_clISt17integral_constantIbLb0EES11_EEDaSW_SX_EUlSW_E_NS1_11comp_targetILNS1_3genE10ELNS1_11target_archE1201ELNS1_3gpuE5ELNS1_3repE0EEENS1_30default_config_static_selectorELNS0_4arch9wavefront6targetE0EEEvT1_
    .private_segment_fixed_size: 0
    .sgpr_count:     0
    .sgpr_spill_count: 0
    .symbol:         _ZN7rocprim17ROCPRIM_400000_NS6detail17trampoline_kernelINS0_14default_configENS1_27scan_by_key_config_selectorIitEEZZNS1_16scan_by_key_implILNS1_25lookback_scan_determinismE0ELb1ES3_N6thrust23THRUST_200600_302600_NS6detail15normal_iteratorINS9_10device_ptrIiEEEENSB_INSC_ItEEEESG_tNS9_4plusIvEENS9_8equal_toIvEEtEE10hipError_tPvRmT2_T3_T4_T5_mT6_T7_P12ihipStream_tbENKUlT_T0_E_clISt17integral_constantIbLb0EES11_EEDaSW_SX_EUlSW_E_NS1_11comp_targetILNS1_3genE10ELNS1_11target_archE1201ELNS1_3gpuE5ELNS1_3repE0EEENS1_30default_config_static_selectorELNS0_4arch9wavefront6targetE0EEEvT1_.kd
    .uniform_work_group_size: 1
    .uses_dynamic_stack: false
    .vgpr_count:     0
    .vgpr_spill_count: 0
    .wavefront_size: 32
    .workgroup_processor_mode: 1
  - .args:
      - .offset:         0
        .size:           112
        .value_kind:     by_value
    .group_segment_fixed_size: 0
    .kernarg_segment_align: 8
    .kernarg_segment_size: 112
    .language:       OpenCL C
    .language_version:
      - 2
      - 0
    .max_flat_workgroup_size: 256
    .name:           _ZN7rocprim17ROCPRIM_400000_NS6detail17trampoline_kernelINS0_14default_configENS1_27scan_by_key_config_selectorIitEEZZNS1_16scan_by_key_implILNS1_25lookback_scan_determinismE0ELb1ES3_N6thrust23THRUST_200600_302600_NS6detail15normal_iteratorINS9_10device_ptrIiEEEENSB_INSC_ItEEEESG_tNS9_4plusIvEENS9_8equal_toIvEEtEE10hipError_tPvRmT2_T3_T4_T5_mT6_T7_P12ihipStream_tbENKUlT_T0_E_clISt17integral_constantIbLb0EES11_EEDaSW_SX_EUlSW_E_NS1_11comp_targetILNS1_3genE5ELNS1_11target_archE942ELNS1_3gpuE9ELNS1_3repE0EEENS1_30default_config_static_selectorELNS0_4arch9wavefront6targetE0EEEvT1_
    .private_segment_fixed_size: 0
    .sgpr_count:     0
    .sgpr_spill_count: 0
    .symbol:         _ZN7rocprim17ROCPRIM_400000_NS6detail17trampoline_kernelINS0_14default_configENS1_27scan_by_key_config_selectorIitEEZZNS1_16scan_by_key_implILNS1_25lookback_scan_determinismE0ELb1ES3_N6thrust23THRUST_200600_302600_NS6detail15normal_iteratorINS9_10device_ptrIiEEEENSB_INSC_ItEEEESG_tNS9_4plusIvEENS9_8equal_toIvEEtEE10hipError_tPvRmT2_T3_T4_T5_mT6_T7_P12ihipStream_tbENKUlT_T0_E_clISt17integral_constantIbLb0EES11_EEDaSW_SX_EUlSW_E_NS1_11comp_targetILNS1_3genE5ELNS1_11target_archE942ELNS1_3gpuE9ELNS1_3repE0EEENS1_30default_config_static_selectorELNS0_4arch9wavefront6targetE0EEEvT1_.kd
    .uniform_work_group_size: 1
    .uses_dynamic_stack: false
    .vgpr_count:     0
    .vgpr_spill_count: 0
    .wavefront_size: 32
    .workgroup_processor_mode: 1
  - .args:
      - .offset:         0
        .size:           112
        .value_kind:     by_value
    .group_segment_fixed_size: 0
    .kernarg_segment_align: 8
    .kernarg_segment_size: 112
    .language:       OpenCL C
    .language_version:
      - 2
      - 0
    .max_flat_workgroup_size: 64
    .name:           _ZN7rocprim17ROCPRIM_400000_NS6detail17trampoline_kernelINS0_14default_configENS1_27scan_by_key_config_selectorIitEEZZNS1_16scan_by_key_implILNS1_25lookback_scan_determinismE0ELb1ES3_N6thrust23THRUST_200600_302600_NS6detail15normal_iteratorINS9_10device_ptrIiEEEENSB_INSC_ItEEEESG_tNS9_4plusIvEENS9_8equal_toIvEEtEE10hipError_tPvRmT2_T3_T4_T5_mT6_T7_P12ihipStream_tbENKUlT_T0_E_clISt17integral_constantIbLb0EES11_EEDaSW_SX_EUlSW_E_NS1_11comp_targetILNS1_3genE4ELNS1_11target_archE910ELNS1_3gpuE8ELNS1_3repE0EEENS1_30default_config_static_selectorELNS0_4arch9wavefront6targetE0EEEvT1_
    .private_segment_fixed_size: 0
    .sgpr_count:     0
    .sgpr_spill_count: 0
    .symbol:         _ZN7rocprim17ROCPRIM_400000_NS6detail17trampoline_kernelINS0_14default_configENS1_27scan_by_key_config_selectorIitEEZZNS1_16scan_by_key_implILNS1_25lookback_scan_determinismE0ELb1ES3_N6thrust23THRUST_200600_302600_NS6detail15normal_iteratorINS9_10device_ptrIiEEEENSB_INSC_ItEEEESG_tNS9_4plusIvEENS9_8equal_toIvEEtEE10hipError_tPvRmT2_T3_T4_T5_mT6_T7_P12ihipStream_tbENKUlT_T0_E_clISt17integral_constantIbLb0EES11_EEDaSW_SX_EUlSW_E_NS1_11comp_targetILNS1_3genE4ELNS1_11target_archE910ELNS1_3gpuE8ELNS1_3repE0EEENS1_30default_config_static_selectorELNS0_4arch9wavefront6targetE0EEEvT1_.kd
    .uniform_work_group_size: 1
    .uses_dynamic_stack: false
    .vgpr_count:     0
    .vgpr_spill_count: 0
    .wavefront_size: 32
    .workgroup_processor_mode: 1
  - .args:
      - .offset:         0
        .size:           112
        .value_kind:     by_value
    .group_segment_fixed_size: 0
    .kernarg_segment_align: 8
    .kernarg_segment_size: 112
    .language:       OpenCL C
    .language_version:
      - 2
      - 0
    .max_flat_workgroup_size: 256
    .name:           _ZN7rocprim17ROCPRIM_400000_NS6detail17trampoline_kernelINS0_14default_configENS1_27scan_by_key_config_selectorIitEEZZNS1_16scan_by_key_implILNS1_25lookback_scan_determinismE0ELb1ES3_N6thrust23THRUST_200600_302600_NS6detail15normal_iteratorINS9_10device_ptrIiEEEENSB_INSC_ItEEEESG_tNS9_4plusIvEENS9_8equal_toIvEEtEE10hipError_tPvRmT2_T3_T4_T5_mT6_T7_P12ihipStream_tbENKUlT_T0_E_clISt17integral_constantIbLb0EES11_EEDaSW_SX_EUlSW_E_NS1_11comp_targetILNS1_3genE3ELNS1_11target_archE908ELNS1_3gpuE7ELNS1_3repE0EEENS1_30default_config_static_selectorELNS0_4arch9wavefront6targetE0EEEvT1_
    .private_segment_fixed_size: 0
    .sgpr_count:     0
    .sgpr_spill_count: 0
    .symbol:         _ZN7rocprim17ROCPRIM_400000_NS6detail17trampoline_kernelINS0_14default_configENS1_27scan_by_key_config_selectorIitEEZZNS1_16scan_by_key_implILNS1_25lookback_scan_determinismE0ELb1ES3_N6thrust23THRUST_200600_302600_NS6detail15normal_iteratorINS9_10device_ptrIiEEEENSB_INSC_ItEEEESG_tNS9_4plusIvEENS9_8equal_toIvEEtEE10hipError_tPvRmT2_T3_T4_T5_mT6_T7_P12ihipStream_tbENKUlT_T0_E_clISt17integral_constantIbLb0EES11_EEDaSW_SX_EUlSW_E_NS1_11comp_targetILNS1_3genE3ELNS1_11target_archE908ELNS1_3gpuE7ELNS1_3repE0EEENS1_30default_config_static_selectorELNS0_4arch9wavefront6targetE0EEEvT1_.kd
    .uniform_work_group_size: 1
    .uses_dynamic_stack: false
    .vgpr_count:     0
    .vgpr_spill_count: 0
    .wavefront_size: 32
    .workgroup_processor_mode: 1
  - .args:
      - .offset:         0
        .size:           112
        .value_kind:     by_value
    .group_segment_fixed_size: 0
    .kernarg_segment_align: 8
    .kernarg_segment_size: 112
    .language:       OpenCL C
    .language_version:
      - 2
      - 0
    .max_flat_workgroup_size: 64
    .name:           _ZN7rocprim17ROCPRIM_400000_NS6detail17trampoline_kernelINS0_14default_configENS1_27scan_by_key_config_selectorIitEEZZNS1_16scan_by_key_implILNS1_25lookback_scan_determinismE0ELb1ES3_N6thrust23THRUST_200600_302600_NS6detail15normal_iteratorINS9_10device_ptrIiEEEENSB_INSC_ItEEEESG_tNS9_4plusIvEENS9_8equal_toIvEEtEE10hipError_tPvRmT2_T3_T4_T5_mT6_T7_P12ihipStream_tbENKUlT_T0_E_clISt17integral_constantIbLb0EES11_EEDaSW_SX_EUlSW_E_NS1_11comp_targetILNS1_3genE2ELNS1_11target_archE906ELNS1_3gpuE6ELNS1_3repE0EEENS1_30default_config_static_selectorELNS0_4arch9wavefront6targetE0EEEvT1_
    .private_segment_fixed_size: 0
    .sgpr_count:     0
    .sgpr_spill_count: 0
    .symbol:         _ZN7rocprim17ROCPRIM_400000_NS6detail17trampoline_kernelINS0_14default_configENS1_27scan_by_key_config_selectorIitEEZZNS1_16scan_by_key_implILNS1_25lookback_scan_determinismE0ELb1ES3_N6thrust23THRUST_200600_302600_NS6detail15normal_iteratorINS9_10device_ptrIiEEEENSB_INSC_ItEEEESG_tNS9_4plusIvEENS9_8equal_toIvEEtEE10hipError_tPvRmT2_T3_T4_T5_mT6_T7_P12ihipStream_tbENKUlT_T0_E_clISt17integral_constantIbLb0EES11_EEDaSW_SX_EUlSW_E_NS1_11comp_targetILNS1_3genE2ELNS1_11target_archE906ELNS1_3gpuE6ELNS1_3repE0EEENS1_30default_config_static_selectorELNS0_4arch9wavefront6targetE0EEEvT1_.kd
    .uniform_work_group_size: 1
    .uses_dynamic_stack: false
    .vgpr_count:     0
    .vgpr_spill_count: 0
    .wavefront_size: 32
    .workgroup_processor_mode: 1
  - .args:
      - .offset:         0
        .size:           112
        .value_kind:     by_value
    .group_segment_fixed_size: 0
    .kernarg_segment_align: 8
    .kernarg_segment_size: 112
    .language:       OpenCL C
    .language_version:
      - 2
      - 0
    .max_flat_workgroup_size: 256
    .name:           _ZN7rocprim17ROCPRIM_400000_NS6detail17trampoline_kernelINS0_14default_configENS1_27scan_by_key_config_selectorIitEEZZNS1_16scan_by_key_implILNS1_25lookback_scan_determinismE0ELb1ES3_N6thrust23THRUST_200600_302600_NS6detail15normal_iteratorINS9_10device_ptrIiEEEENSB_INSC_ItEEEESG_tNS9_4plusIvEENS9_8equal_toIvEEtEE10hipError_tPvRmT2_T3_T4_T5_mT6_T7_P12ihipStream_tbENKUlT_T0_E_clISt17integral_constantIbLb0EES11_EEDaSW_SX_EUlSW_E_NS1_11comp_targetILNS1_3genE10ELNS1_11target_archE1200ELNS1_3gpuE4ELNS1_3repE0EEENS1_30default_config_static_selectorELNS0_4arch9wavefront6targetE0EEEvT1_
    .private_segment_fixed_size: 0
    .sgpr_count:     0
    .sgpr_spill_count: 0
    .symbol:         _ZN7rocprim17ROCPRIM_400000_NS6detail17trampoline_kernelINS0_14default_configENS1_27scan_by_key_config_selectorIitEEZZNS1_16scan_by_key_implILNS1_25lookback_scan_determinismE0ELb1ES3_N6thrust23THRUST_200600_302600_NS6detail15normal_iteratorINS9_10device_ptrIiEEEENSB_INSC_ItEEEESG_tNS9_4plusIvEENS9_8equal_toIvEEtEE10hipError_tPvRmT2_T3_T4_T5_mT6_T7_P12ihipStream_tbENKUlT_T0_E_clISt17integral_constantIbLb0EES11_EEDaSW_SX_EUlSW_E_NS1_11comp_targetILNS1_3genE10ELNS1_11target_archE1200ELNS1_3gpuE4ELNS1_3repE0EEENS1_30default_config_static_selectorELNS0_4arch9wavefront6targetE0EEEvT1_.kd
    .uniform_work_group_size: 1
    .uses_dynamic_stack: false
    .vgpr_count:     0
    .vgpr_spill_count: 0
    .wavefront_size: 32
    .workgroup_processor_mode: 1
  - .args:
      - .offset:         0
        .size:           112
        .value_kind:     by_value
    .group_segment_fixed_size: 0
    .kernarg_segment_align: 8
    .kernarg_segment_size: 112
    .language:       OpenCL C
    .language_version:
      - 2
      - 0
    .max_flat_workgroup_size: 64
    .name:           _ZN7rocprim17ROCPRIM_400000_NS6detail17trampoline_kernelINS0_14default_configENS1_27scan_by_key_config_selectorIitEEZZNS1_16scan_by_key_implILNS1_25lookback_scan_determinismE0ELb1ES3_N6thrust23THRUST_200600_302600_NS6detail15normal_iteratorINS9_10device_ptrIiEEEENSB_INSC_ItEEEESG_tNS9_4plusIvEENS9_8equal_toIvEEtEE10hipError_tPvRmT2_T3_T4_T5_mT6_T7_P12ihipStream_tbENKUlT_T0_E_clISt17integral_constantIbLb0EES11_EEDaSW_SX_EUlSW_E_NS1_11comp_targetILNS1_3genE9ELNS1_11target_archE1100ELNS1_3gpuE3ELNS1_3repE0EEENS1_30default_config_static_selectorELNS0_4arch9wavefront6targetE0EEEvT1_
    .private_segment_fixed_size: 0
    .sgpr_count:     0
    .sgpr_spill_count: 0
    .symbol:         _ZN7rocprim17ROCPRIM_400000_NS6detail17trampoline_kernelINS0_14default_configENS1_27scan_by_key_config_selectorIitEEZZNS1_16scan_by_key_implILNS1_25lookback_scan_determinismE0ELb1ES3_N6thrust23THRUST_200600_302600_NS6detail15normal_iteratorINS9_10device_ptrIiEEEENSB_INSC_ItEEEESG_tNS9_4plusIvEENS9_8equal_toIvEEtEE10hipError_tPvRmT2_T3_T4_T5_mT6_T7_P12ihipStream_tbENKUlT_T0_E_clISt17integral_constantIbLb0EES11_EEDaSW_SX_EUlSW_E_NS1_11comp_targetILNS1_3genE9ELNS1_11target_archE1100ELNS1_3gpuE3ELNS1_3repE0EEENS1_30default_config_static_selectorELNS0_4arch9wavefront6targetE0EEEvT1_.kd
    .uniform_work_group_size: 1
    .uses_dynamic_stack: false
    .vgpr_count:     0
    .vgpr_spill_count: 0
    .wavefront_size: 32
    .workgroup_processor_mode: 1
  - .args:
      - .offset:         0
        .size:           112
        .value_kind:     by_value
    .group_segment_fixed_size: 2304
    .kernarg_segment_align: 8
    .kernarg_segment_size: 112
    .language:       OpenCL C
    .language_version:
      - 2
      - 0
    .max_flat_workgroup_size: 64
    .name:           _ZN7rocprim17ROCPRIM_400000_NS6detail17trampoline_kernelINS0_14default_configENS1_27scan_by_key_config_selectorIitEEZZNS1_16scan_by_key_implILNS1_25lookback_scan_determinismE0ELb1ES3_N6thrust23THRUST_200600_302600_NS6detail15normal_iteratorINS9_10device_ptrIiEEEENSB_INSC_ItEEEESG_tNS9_4plusIvEENS9_8equal_toIvEEtEE10hipError_tPvRmT2_T3_T4_T5_mT6_T7_P12ihipStream_tbENKUlT_T0_E_clISt17integral_constantIbLb0EES11_EEDaSW_SX_EUlSW_E_NS1_11comp_targetILNS1_3genE8ELNS1_11target_archE1030ELNS1_3gpuE2ELNS1_3repE0EEENS1_30default_config_static_selectorELNS0_4arch9wavefront6targetE0EEEvT1_
    .private_segment_fixed_size: 0
    .sgpr_count:     33
    .sgpr_spill_count: 0
    .symbol:         _ZN7rocprim17ROCPRIM_400000_NS6detail17trampoline_kernelINS0_14default_configENS1_27scan_by_key_config_selectorIitEEZZNS1_16scan_by_key_implILNS1_25lookback_scan_determinismE0ELb1ES3_N6thrust23THRUST_200600_302600_NS6detail15normal_iteratorINS9_10device_ptrIiEEEENSB_INSC_ItEEEESG_tNS9_4plusIvEENS9_8equal_toIvEEtEE10hipError_tPvRmT2_T3_T4_T5_mT6_T7_P12ihipStream_tbENKUlT_T0_E_clISt17integral_constantIbLb0EES11_EEDaSW_SX_EUlSW_E_NS1_11comp_targetILNS1_3genE8ELNS1_11target_archE1030ELNS1_3gpuE2ELNS1_3repE0EEENS1_30default_config_static_selectorELNS0_4arch9wavefront6targetE0EEEvT1_.kd
    .uniform_work_group_size: 1
    .uses_dynamic_stack: false
    .vgpr_count:     38
    .vgpr_spill_count: 0
    .wavefront_size: 32
    .workgroup_processor_mode: 1
  - .args:
      - .offset:         0
        .size:           112
        .value_kind:     by_value
    .group_segment_fixed_size: 0
    .kernarg_segment_align: 8
    .kernarg_segment_size: 112
    .language:       OpenCL C
    .language_version:
      - 2
      - 0
    .max_flat_workgroup_size: 256
    .name:           _ZN7rocprim17ROCPRIM_400000_NS6detail17trampoline_kernelINS0_14default_configENS1_27scan_by_key_config_selectorIitEEZZNS1_16scan_by_key_implILNS1_25lookback_scan_determinismE0ELb1ES3_N6thrust23THRUST_200600_302600_NS6detail15normal_iteratorINS9_10device_ptrIiEEEENSB_INSC_ItEEEESG_tNS9_4plusIvEENS9_8equal_toIvEEtEE10hipError_tPvRmT2_T3_T4_T5_mT6_T7_P12ihipStream_tbENKUlT_T0_E_clISt17integral_constantIbLb1EES11_EEDaSW_SX_EUlSW_E_NS1_11comp_targetILNS1_3genE0ELNS1_11target_archE4294967295ELNS1_3gpuE0ELNS1_3repE0EEENS1_30default_config_static_selectorELNS0_4arch9wavefront6targetE0EEEvT1_
    .private_segment_fixed_size: 0
    .sgpr_count:     0
    .sgpr_spill_count: 0
    .symbol:         _ZN7rocprim17ROCPRIM_400000_NS6detail17trampoline_kernelINS0_14default_configENS1_27scan_by_key_config_selectorIitEEZZNS1_16scan_by_key_implILNS1_25lookback_scan_determinismE0ELb1ES3_N6thrust23THRUST_200600_302600_NS6detail15normal_iteratorINS9_10device_ptrIiEEEENSB_INSC_ItEEEESG_tNS9_4plusIvEENS9_8equal_toIvEEtEE10hipError_tPvRmT2_T3_T4_T5_mT6_T7_P12ihipStream_tbENKUlT_T0_E_clISt17integral_constantIbLb1EES11_EEDaSW_SX_EUlSW_E_NS1_11comp_targetILNS1_3genE0ELNS1_11target_archE4294967295ELNS1_3gpuE0ELNS1_3repE0EEENS1_30default_config_static_selectorELNS0_4arch9wavefront6targetE0EEEvT1_.kd
    .uniform_work_group_size: 1
    .uses_dynamic_stack: false
    .vgpr_count:     0
    .vgpr_spill_count: 0
    .wavefront_size: 32
    .workgroup_processor_mode: 1
  - .args:
      - .offset:         0
        .size:           112
        .value_kind:     by_value
    .group_segment_fixed_size: 0
    .kernarg_segment_align: 8
    .kernarg_segment_size: 112
    .language:       OpenCL C
    .language_version:
      - 2
      - 0
    .max_flat_workgroup_size: 256
    .name:           _ZN7rocprim17ROCPRIM_400000_NS6detail17trampoline_kernelINS0_14default_configENS1_27scan_by_key_config_selectorIitEEZZNS1_16scan_by_key_implILNS1_25lookback_scan_determinismE0ELb1ES3_N6thrust23THRUST_200600_302600_NS6detail15normal_iteratorINS9_10device_ptrIiEEEENSB_INSC_ItEEEESG_tNS9_4plusIvEENS9_8equal_toIvEEtEE10hipError_tPvRmT2_T3_T4_T5_mT6_T7_P12ihipStream_tbENKUlT_T0_E_clISt17integral_constantIbLb1EES11_EEDaSW_SX_EUlSW_E_NS1_11comp_targetILNS1_3genE10ELNS1_11target_archE1201ELNS1_3gpuE5ELNS1_3repE0EEENS1_30default_config_static_selectorELNS0_4arch9wavefront6targetE0EEEvT1_
    .private_segment_fixed_size: 0
    .sgpr_count:     0
    .sgpr_spill_count: 0
    .symbol:         _ZN7rocprim17ROCPRIM_400000_NS6detail17trampoline_kernelINS0_14default_configENS1_27scan_by_key_config_selectorIitEEZZNS1_16scan_by_key_implILNS1_25lookback_scan_determinismE0ELb1ES3_N6thrust23THRUST_200600_302600_NS6detail15normal_iteratorINS9_10device_ptrIiEEEENSB_INSC_ItEEEESG_tNS9_4plusIvEENS9_8equal_toIvEEtEE10hipError_tPvRmT2_T3_T4_T5_mT6_T7_P12ihipStream_tbENKUlT_T0_E_clISt17integral_constantIbLb1EES11_EEDaSW_SX_EUlSW_E_NS1_11comp_targetILNS1_3genE10ELNS1_11target_archE1201ELNS1_3gpuE5ELNS1_3repE0EEENS1_30default_config_static_selectorELNS0_4arch9wavefront6targetE0EEEvT1_.kd
    .uniform_work_group_size: 1
    .uses_dynamic_stack: false
    .vgpr_count:     0
    .vgpr_spill_count: 0
    .wavefront_size: 32
    .workgroup_processor_mode: 1
  - .args:
      - .offset:         0
        .size:           112
        .value_kind:     by_value
    .group_segment_fixed_size: 0
    .kernarg_segment_align: 8
    .kernarg_segment_size: 112
    .language:       OpenCL C
    .language_version:
      - 2
      - 0
    .max_flat_workgroup_size: 256
    .name:           _ZN7rocprim17ROCPRIM_400000_NS6detail17trampoline_kernelINS0_14default_configENS1_27scan_by_key_config_selectorIitEEZZNS1_16scan_by_key_implILNS1_25lookback_scan_determinismE0ELb1ES3_N6thrust23THRUST_200600_302600_NS6detail15normal_iteratorINS9_10device_ptrIiEEEENSB_INSC_ItEEEESG_tNS9_4plusIvEENS9_8equal_toIvEEtEE10hipError_tPvRmT2_T3_T4_T5_mT6_T7_P12ihipStream_tbENKUlT_T0_E_clISt17integral_constantIbLb1EES11_EEDaSW_SX_EUlSW_E_NS1_11comp_targetILNS1_3genE5ELNS1_11target_archE942ELNS1_3gpuE9ELNS1_3repE0EEENS1_30default_config_static_selectorELNS0_4arch9wavefront6targetE0EEEvT1_
    .private_segment_fixed_size: 0
    .sgpr_count:     0
    .sgpr_spill_count: 0
    .symbol:         _ZN7rocprim17ROCPRIM_400000_NS6detail17trampoline_kernelINS0_14default_configENS1_27scan_by_key_config_selectorIitEEZZNS1_16scan_by_key_implILNS1_25lookback_scan_determinismE0ELb1ES3_N6thrust23THRUST_200600_302600_NS6detail15normal_iteratorINS9_10device_ptrIiEEEENSB_INSC_ItEEEESG_tNS9_4plusIvEENS9_8equal_toIvEEtEE10hipError_tPvRmT2_T3_T4_T5_mT6_T7_P12ihipStream_tbENKUlT_T0_E_clISt17integral_constantIbLb1EES11_EEDaSW_SX_EUlSW_E_NS1_11comp_targetILNS1_3genE5ELNS1_11target_archE942ELNS1_3gpuE9ELNS1_3repE0EEENS1_30default_config_static_selectorELNS0_4arch9wavefront6targetE0EEEvT1_.kd
    .uniform_work_group_size: 1
    .uses_dynamic_stack: false
    .vgpr_count:     0
    .vgpr_spill_count: 0
    .wavefront_size: 32
    .workgroup_processor_mode: 1
  - .args:
      - .offset:         0
        .size:           112
        .value_kind:     by_value
    .group_segment_fixed_size: 0
    .kernarg_segment_align: 8
    .kernarg_segment_size: 112
    .language:       OpenCL C
    .language_version:
      - 2
      - 0
    .max_flat_workgroup_size: 64
    .name:           _ZN7rocprim17ROCPRIM_400000_NS6detail17trampoline_kernelINS0_14default_configENS1_27scan_by_key_config_selectorIitEEZZNS1_16scan_by_key_implILNS1_25lookback_scan_determinismE0ELb1ES3_N6thrust23THRUST_200600_302600_NS6detail15normal_iteratorINS9_10device_ptrIiEEEENSB_INSC_ItEEEESG_tNS9_4plusIvEENS9_8equal_toIvEEtEE10hipError_tPvRmT2_T3_T4_T5_mT6_T7_P12ihipStream_tbENKUlT_T0_E_clISt17integral_constantIbLb1EES11_EEDaSW_SX_EUlSW_E_NS1_11comp_targetILNS1_3genE4ELNS1_11target_archE910ELNS1_3gpuE8ELNS1_3repE0EEENS1_30default_config_static_selectorELNS0_4arch9wavefront6targetE0EEEvT1_
    .private_segment_fixed_size: 0
    .sgpr_count:     0
    .sgpr_spill_count: 0
    .symbol:         _ZN7rocprim17ROCPRIM_400000_NS6detail17trampoline_kernelINS0_14default_configENS1_27scan_by_key_config_selectorIitEEZZNS1_16scan_by_key_implILNS1_25lookback_scan_determinismE0ELb1ES3_N6thrust23THRUST_200600_302600_NS6detail15normal_iteratorINS9_10device_ptrIiEEEENSB_INSC_ItEEEESG_tNS9_4plusIvEENS9_8equal_toIvEEtEE10hipError_tPvRmT2_T3_T4_T5_mT6_T7_P12ihipStream_tbENKUlT_T0_E_clISt17integral_constantIbLb1EES11_EEDaSW_SX_EUlSW_E_NS1_11comp_targetILNS1_3genE4ELNS1_11target_archE910ELNS1_3gpuE8ELNS1_3repE0EEENS1_30default_config_static_selectorELNS0_4arch9wavefront6targetE0EEEvT1_.kd
    .uniform_work_group_size: 1
    .uses_dynamic_stack: false
    .vgpr_count:     0
    .vgpr_spill_count: 0
    .wavefront_size: 32
    .workgroup_processor_mode: 1
  - .args:
      - .offset:         0
        .size:           112
        .value_kind:     by_value
    .group_segment_fixed_size: 0
    .kernarg_segment_align: 8
    .kernarg_segment_size: 112
    .language:       OpenCL C
    .language_version:
      - 2
      - 0
    .max_flat_workgroup_size: 256
    .name:           _ZN7rocprim17ROCPRIM_400000_NS6detail17trampoline_kernelINS0_14default_configENS1_27scan_by_key_config_selectorIitEEZZNS1_16scan_by_key_implILNS1_25lookback_scan_determinismE0ELb1ES3_N6thrust23THRUST_200600_302600_NS6detail15normal_iteratorINS9_10device_ptrIiEEEENSB_INSC_ItEEEESG_tNS9_4plusIvEENS9_8equal_toIvEEtEE10hipError_tPvRmT2_T3_T4_T5_mT6_T7_P12ihipStream_tbENKUlT_T0_E_clISt17integral_constantIbLb1EES11_EEDaSW_SX_EUlSW_E_NS1_11comp_targetILNS1_3genE3ELNS1_11target_archE908ELNS1_3gpuE7ELNS1_3repE0EEENS1_30default_config_static_selectorELNS0_4arch9wavefront6targetE0EEEvT1_
    .private_segment_fixed_size: 0
    .sgpr_count:     0
    .sgpr_spill_count: 0
    .symbol:         _ZN7rocprim17ROCPRIM_400000_NS6detail17trampoline_kernelINS0_14default_configENS1_27scan_by_key_config_selectorIitEEZZNS1_16scan_by_key_implILNS1_25lookback_scan_determinismE0ELb1ES3_N6thrust23THRUST_200600_302600_NS6detail15normal_iteratorINS9_10device_ptrIiEEEENSB_INSC_ItEEEESG_tNS9_4plusIvEENS9_8equal_toIvEEtEE10hipError_tPvRmT2_T3_T4_T5_mT6_T7_P12ihipStream_tbENKUlT_T0_E_clISt17integral_constantIbLb1EES11_EEDaSW_SX_EUlSW_E_NS1_11comp_targetILNS1_3genE3ELNS1_11target_archE908ELNS1_3gpuE7ELNS1_3repE0EEENS1_30default_config_static_selectorELNS0_4arch9wavefront6targetE0EEEvT1_.kd
    .uniform_work_group_size: 1
    .uses_dynamic_stack: false
    .vgpr_count:     0
    .vgpr_spill_count: 0
    .wavefront_size: 32
    .workgroup_processor_mode: 1
  - .args:
      - .offset:         0
        .size:           112
        .value_kind:     by_value
    .group_segment_fixed_size: 0
    .kernarg_segment_align: 8
    .kernarg_segment_size: 112
    .language:       OpenCL C
    .language_version:
      - 2
      - 0
    .max_flat_workgroup_size: 64
    .name:           _ZN7rocprim17ROCPRIM_400000_NS6detail17trampoline_kernelINS0_14default_configENS1_27scan_by_key_config_selectorIitEEZZNS1_16scan_by_key_implILNS1_25lookback_scan_determinismE0ELb1ES3_N6thrust23THRUST_200600_302600_NS6detail15normal_iteratorINS9_10device_ptrIiEEEENSB_INSC_ItEEEESG_tNS9_4plusIvEENS9_8equal_toIvEEtEE10hipError_tPvRmT2_T3_T4_T5_mT6_T7_P12ihipStream_tbENKUlT_T0_E_clISt17integral_constantIbLb1EES11_EEDaSW_SX_EUlSW_E_NS1_11comp_targetILNS1_3genE2ELNS1_11target_archE906ELNS1_3gpuE6ELNS1_3repE0EEENS1_30default_config_static_selectorELNS0_4arch9wavefront6targetE0EEEvT1_
    .private_segment_fixed_size: 0
    .sgpr_count:     0
    .sgpr_spill_count: 0
    .symbol:         _ZN7rocprim17ROCPRIM_400000_NS6detail17trampoline_kernelINS0_14default_configENS1_27scan_by_key_config_selectorIitEEZZNS1_16scan_by_key_implILNS1_25lookback_scan_determinismE0ELb1ES3_N6thrust23THRUST_200600_302600_NS6detail15normal_iteratorINS9_10device_ptrIiEEEENSB_INSC_ItEEEESG_tNS9_4plusIvEENS9_8equal_toIvEEtEE10hipError_tPvRmT2_T3_T4_T5_mT6_T7_P12ihipStream_tbENKUlT_T0_E_clISt17integral_constantIbLb1EES11_EEDaSW_SX_EUlSW_E_NS1_11comp_targetILNS1_3genE2ELNS1_11target_archE906ELNS1_3gpuE6ELNS1_3repE0EEENS1_30default_config_static_selectorELNS0_4arch9wavefront6targetE0EEEvT1_.kd
    .uniform_work_group_size: 1
    .uses_dynamic_stack: false
    .vgpr_count:     0
    .vgpr_spill_count: 0
    .wavefront_size: 32
    .workgroup_processor_mode: 1
  - .args:
      - .offset:         0
        .size:           112
        .value_kind:     by_value
    .group_segment_fixed_size: 0
    .kernarg_segment_align: 8
    .kernarg_segment_size: 112
    .language:       OpenCL C
    .language_version:
      - 2
      - 0
    .max_flat_workgroup_size: 256
    .name:           _ZN7rocprim17ROCPRIM_400000_NS6detail17trampoline_kernelINS0_14default_configENS1_27scan_by_key_config_selectorIitEEZZNS1_16scan_by_key_implILNS1_25lookback_scan_determinismE0ELb1ES3_N6thrust23THRUST_200600_302600_NS6detail15normal_iteratorINS9_10device_ptrIiEEEENSB_INSC_ItEEEESG_tNS9_4plusIvEENS9_8equal_toIvEEtEE10hipError_tPvRmT2_T3_T4_T5_mT6_T7_P12ihipStream_tbENKUlT_T0_E_clISt17integral_constantIbLb1EES11_EEDaSW_SX_EUlSW_E_NS1_11comp_targetILNS1_3genE10ELNS1_11target_archE1200ELNS1_3gpuE4ELNS1_3repE0EEENS1_30default_config_static_selectorELNS0_4arch9wavefront6targetE0EEEvT1_
    .private_segment_fixed_size: 0
    .sgpr_count:     0
    .sgpr_spill_count: 0
    .symbol:         _ZN7rocprim17ROCPRIM_400000_NS6detail17trampoline_kernelINS0_14default_configENS1_27scan_by_key_config_selectorIitEEZZNS1_16scan_by_key_implILNS1_25lookback_scan_determinismE0ELb1ES3_N6thrust23THRUST_200600_302600_NS6detail15normal_iteratorINS9_10device_ptrIiEEEENSB_INSC_ItEEEESG_tNS9_4plusIvEENS9_8equal_toIvEEtEE10hipError_tPvRmT2_T3_T4_T5_mT6_T7_P12ihipStream_tbENKUlT_T0_E_clISt17integral_constantIbLb1EES11_EEDaSW_SX_EUlSW_E_NS1_11comp_targetILNS1_3genE10ELNS1_11target_archE1200ELNS1_3gpuE4ELNS1_3repE0EEENS1_30default_config_static_selectorELNS0_4arch9wavefront6targetE0EEEvT1_.kd
    .uniform_work_group_size: 1
    .uses_dynamic_stack: false
    .vgpr_count:     0
    .vgpr_spill_count: 0
    .wavefront_size: 32
    .workgroup_processor_mode: 1
  - .args:
      - .offset:         0
        .size:           112
        .value_kind:     by_value
    .group_segment_fixed_size: 0
    .kernarg_segment_align: 8
    .kernarg_segment_size: 112
    .language:       OpenCL C
    .language_version:
      - 2
      - 0
    .max_flat_workgroup_size: 64
    .name:           _ZN7rocprim17ROCPRIM_400000_NS6detail17trampoline_kernelINS0_14default_configENS1_27scan_by_key_config_selectorIitEEZZNS1_16scan_by_key_implILNS1_25lookback_scan_determinismE0ELb1ES3_N6thrust23THRUST_200600_302600_NS6detail15normal_iteratorINS9_10device_ptrIiEEEENSB_INSC_ItEEEESG_tNS9_4plusIvEENS9_8equal_toIvEEtEE10hipError_tPvRmT2_T3_T4_T5_mT6_T7_P12ihipStream_tbENKUlT_T0_E_clISt17integral_constantIbLb1EES11_EEDaSW_SX_EUlSW_E_NS1_11comp_targetILNS1_3genE9ELNS1_11target_archE1100ELNS1_3gpuE3ELNS1_3repE0EEENS1_30default_config_static_selectorELNS0_4arch9wavefront6targetE0EEEvT1_
    .private_segment_fixed_size: 0
    .sgpr_count:     0
    .sgpr_spill_count: 0
    .symbol:         _ZN7rocprim17ROCPRIM_400000_NS6detail17trampoline_kernelINS0_14default_configENS1_27scan_by_key_config_selectorIitEEZZNS1_16scan_by_key_implILNS1_25lookback_scan_determinismE0ELb1ES3_N6thrust23THRUST_200600_302600_NS6detail15normal_iteratorINS9_10device_ptrIiEEEENSB_INSC_ItEEEESG_tNS9_4plusIvEENS9_8equal_toIvEEtEE10hipError_tPvRmT2_T3_T4_T5_mT6_T7_P12ihipStream_tbENKUlT_T0_E_clISt17integral_constantIbLb1EES11_EEDaSW_SX_EUlSW_E_NS1_11comp_targetILNS1_3genE9ELNS1_11target_archE1100ELNS1_3gpuE3ELNS1_3repE0EEENS1_30default_config_static_selectorELNS0_4arch9wavefront6targetE0EEEvT1_.kd
    .uniform_work_group_size: 1
    .uses_dynamic_stack: false
    .vgpr_count:     0
    .vgpr_spill_count: 0
    .wavefront_size: 32
    .workgroup_processor_mode: 1
  - .args:
      - .offset:         0
        .size:           112
        .value_kind:     by_value
    .group_segment_fixed_size: 0
    .kernarg_segment_align: 8
    .kernarg_segment_size: 112
    .language:       OpenCL C
    .language_version:
      - 2
      - 0
    .max_flat_workgroup_size: 64
    .name:           _ZN7rocprim17ROCPRIM_400000_NS6detail17trampoline_kernelINS0_14default_configENS1_27scan_by_key_config_selectorIitEEZZNS1_16scan_by_key_implILNS1_25lookback_scan_determinismE0ELb1ES3_N6thrust23THRUST_200600_302600_NS6detail15normal_iteratorINS9_10device_ptrIiEEEENSB_INSC_ItEEEESG_tNS9_4plusIvEENS9_8equal_toIvEEtEE10hipError_tPvRmT2_T3_T4_T5_mT6_T7_P12ihipStream_tbENKUlT_T0_E_clISt17integral_constantIbLb1EES11_EEDaSW_SX_EUlSW_E_NS1_11comp_targetILNS1_3genE8ELNS1_11target_archE1030ELNS1_3gpuE2ELNS1_3repE0EEENS1_30default_config_static_selectorELNS0_4arch9wavefront6targetE0EEEvT1_
    .private_segment_fixed_size: 0
    .sgpr_count:     0
    .sgpr_spill_count: 0
    .symbol:         _ZN7rocprim17ROCPRIM_400000_NS6detail17trampoline_kernelINS0_14default_configENS1_27scan_by_key_config_selectorIitEEZZNS1_16scan_by_key_implILNS1_25lookback_scan_determinismE0ELb1ES3_N6thrust23THRUST_200600_302600_NS6detail15normal_iteratorINS9_10device_ptrIiEEEENSB_INSC_ItEEEESG_tNS9_4plusIvEENS9_8equal_toIvEEtEE10hipError_tPvRmT2_T3_T4_T5_mT6_T7_P12ihipStream_tbENKUlT_T0_E_clISt17integral_constantIbLb1EES11_EEDaSW_SX_EUlSW_E_NS1_11comp_targetILNS1_3genE8ELNS1_11target_archE1030ELNS1_3gpuE2ELNS1_3repE0EEENS1_30default_config_static_selectorELNS0_4arch9wavefront6targetE0EEEvT1_.kd
    .uniform_work_group_size: 1
    .uses_dynamic_stack: false
    .vgpr_count:     0
    .vgpr_spill_count: 0
    .wavefront_size: 32
    .workgroup_processor_mode: 1
  - .args:
      - .offset:         0
        .size:           112
        .value_kind:     by_value
    .group_segment_fixed_size: 0
    .kernarg_segment_align: 8
    .kernarg_segment_size: 112
    .language:       OpenCL C
    .language_version:
      - 2
      - 0
    .max_flat_workgroup_size: 256
    .name:           _ZN7rocprim17ROCPRIM_400000_NS6detail17trampoline_kernelINS0_14default_configENS1_27scan_by_key_config_selectorIitEEZZNS1_16scan_by_key_implILNS1_25lookback_scan_determinismE0ELb1ES3_N6thrust23THRUST_200600_302600_NS6detail15normal_iteratorINS9_10device_ptrIiEEEENSB_INSC_ItEEEESG_tNS9_4plusIvEENS9_8equal_toIvEEtEE10hipError_tPvRmT2_T3_T4_T5_mT6_T7_P12ihipStream_tbENKUlT_T0_E_clISt17integral_constantIbLb1EES10_IbLb0EEEEDaSW_SX_EUlSW_E_NS1_11comp_targetILNS1_3genE0ELNS1_11target_archE4294967295ELNS1_3gpuE0ELNS1_3repE0EEENS1_30default_config_static_selectorELNS0_4arch9wavefront6targetE0EEEvT1_
    .private_segment_fixed_size: 0
    .sgpr_count:     0
    .sgpr_spill_count: 0
    .symbol:         _ZN7rocprim17ROCPRIM_400000_NS6detail17trampoline_kernelINS0_14default_configENS1_27scan_by_key_config_selectorIitEEZZNS1_16scan_by_key_implILNS1_25lookback_scan_determinismE0ELb1ES3_N6thrust23THRUST_200600_302600_NS6detail15normal_iteratorINS9_10device_ptrIiEEEENSB_INSC_ItEEEESG_tNS9_4plusIvEENS9_8equal_toIvEEtEE10hipError_tPvRmT2_T3_T4_T5_mT6_T7_P12ihipStream_tbENKUlT_T0_E_clISt17integral_constantIbLb1EES10_IbLb0EEEEDaSW_SX_EUlSW_E_NS1_11comp_targetILNS1_3genE0ELNS1_11target_archE4294967295ELNS1_3gpuE0ELNS1_3repE0EEENS1_30default_config_static_selectorELNS0_4arch9wavefront6targetE0EEEvT1_.kd
    .uniform_work_group_size: 1
    .uses_dynamic_stack: false
    .vgpr_count:     0
    .vgpr_spill_count: 0
    .wavefront_size: 32
    .workgroup_processor_mode: 1
  - .args:
      - .offset:         0
        .size:           112
        .value_kind:     by_value
    .group_segment_fixed_size: 0
    .kernarg_segment_align: 8
    .kernarg_segment_size: 112
    .language:       OpenCL C
    .language_version:
      - 2
      - 0
    .max_flat_workgroup_size: 256
    .name:           _ZN7rocprim17ROCPRIM_400000_NS6detail17trampoline_kernelINS0_14default_configENS1_27scan_by_key_config_selectorIitEEZZNS1_16scan_by_key_implILNS1_25lookback_scan_determinismE0ELb1ES3_N6thrust23THRUST_200600_302600_NS6detail15normal_iteratorINS9_10device_ptrIiEEEENSB_INSC_ItEEEESG_tNS9_4plusIvEENS9_8equal_toIvEEtEE10hipError_tPvRmT2_T3_T4_T5_mT6_T7_P12ihipStream_tbENKUlT_T0_E_clISt17integral_constantIbLb1EES10_IbLb0EEEEDaSW_SX_EUlSW_E_NS1_11comp_targetILNS1_3genE10ELNS1_11target_archE1201ELNS1_3gpuE5ELNS1_3repE0EEENS1_30default_config_static_selectorELNS0_4arch9wavefront6targetE0EEEvT1_
    .private_segment_fixed_size: 0
    .sgpr_count:     0
    .sgpr_spill_count: 0
    .symbol:         _ZN7rocprim17ROCPRIM_400000_NS6detail17trampoline_kernelINS0_14default_configENS1_27scan_by_key_config_selectorIitEEZZNS1_16scan_by_key_implILNS1_25lookback_scan_determinismE0ELb1ES3_N6thrust23THRUST_200600_302600_NS6detail15normal_iteratorINS9_10device_ptrIiEEEENSB_INSC_ItEEEESG_tNS9_4plusIvEENS9_8equal_toIvEEtEE10hipError_tPvRmT2_T3_T4_T5_mT6_T7_P12ihipStream_tbENKUlT_T0_E_clISt17integral_constantIbLb1EES10_IbLb0EEEEDaSW_SX_EUlSW_E_NS1_11comp_targetILNS1_3genE10ELNS1_11target_archE1201ELNS1_3gpuE5ELNS1_3repE0EEENS1_30default_config_static_selectorELNS0_4arch9wavefront6targetE0EEEvT1_.kd
    .uniform_work_group_size: 1
    .uses_dynamic_stack: false
    .vgpr_count:     0
    .vgpr_spill_count: 0
    .wavefront_size: 32
    .workgroup_processor_mode: 1
  - .args:
      - .offset:         0
        .size:           112
        .value_kind:     by_value
    .group_segment_fixed_size: 0
    .kernarg_segment_align: 8
    .kernarg_segment_size: 112
    .language:       OpenCL C
    .language_version:
      - 2
      - 0
    .max_flat_workgroup_size: 256
    .name:           _ZN7rocprim17ROCPRIM_400000_NS6detail17trampoline_kernelINS0_14default_configENS1_27scan_by_key_config_selectorIitEEZZNS1_16scan_by_key_implILNS1_25lookback_scan_determinismE0ELb1ES3_N6thrust23THRUST_200600_302600_NS6detail15normal_iteratorINS9_10device_ptrIiEEEENSB_INSC_ItEEEESG_tNS9_4plusIvEENS9_8equal_toIvEEtEE10hipError_tPvRmT2_T3_T4_T5_mT6_T7_P12ihipStream_tbENKUlT_T0_E_clISt17integral_constantIbLb1EES10_IbLb0EEEEDaSW_SX_EUlSW_E_NS1_11comp_targetILNS1_3genE5ELNS1_11target_archE942ELNS1_3gpuE9ELNS1_3repE0EEENS1_30default_config_static_selectorELNS0_4arch9wavefront6targetE0EEEvT1_
    .private_segment_fixed_size: 0
    .sgpr_count:     0
    .sgpr_spill_count: 0
    .symbol:         _ZN7rocprim17ROCPRIM_400000_NS6detail17trampoline_kernelINS0_14default_configENS1_27scan_by_key_config_selectorIitEEZZNS1_16scan_by_key_implILNS1_25lookback_scan_determinismE0ELb1ES3_N6thrust23THRUST_200600_302600_NS6detail15normal_iteratorINS9_10device_ptrIiEEEENSB_INSC_ItEEEESG_tNS9_4plusIvEENS9_8equal_toIvEEtEE10hipError_tPvRmT2_T3_T4_T5_mT6_T7_P12ihipStream_tbENKUlT_T0_E_clISt17integral_constantIbLb1EES10_IbLb0EEEEDaSW_SX_EUlSW_E_NS1_11comp_targetILNS1_3genE5ELNS1_11target_archE942ELNS1_3gpuE9ELNS1_3repE0EEENS1_30default_config_static_selectorELNS0_4arch9wavefront6targetE0EEEvT1_.kd
    .uniform_work_group_size: 1
    .uses_dynamic_stack: false
    .vgpr_count:     0
    .vgpr_spill_count: 0
    .wavefront_size: 32
    .workgroup_processor_mode: 1
  - .args:
      - .offset:         0
        .size:           112
        .value_kind:     by_value
    .group_segment_fixed_size: 0
    .kernarg_segment_align: 8
    .kernarg_segment_size: 112
    .language:       OpenCL C
    .language_version:
      - 2
      - 0
    .max_flat_workgroup_size: 64
    .name:           _ZN7rocprim17ROCPRIM_400000_NS6detail17trampoline_kernelINS0_14default_configENS1_27scan_by_key_config_selectorIitEEZZNS1_16scan_by_key_implILNS1_25lookback_scan_determinismE0ELb1ES3_N6thrust23THRUST_200600_302600_NS6detail15normal_iteratorINS9_10device_ptrIiEEEENSB_INSC_ItEEEESG_tNS9_4plusIvEENS9_8equal_toIvEEtEE10hipError_tPvRmT2_T3_T4_T5_mT6_T7_P12ihipStream_tbENKUlT_T0_E_clISt17integral_constantIbLb1EES10_IbLb0EEEEDaSW_SX_EUlSW_E_NS1_11comp_targetILNS1_3genE4ELNS1_11target_archE910ELNS1_3gpuE8ELNS1_3repE0EEENS1_30default_config_static_selectorELNS0_4arch9wavefront6targetE0EEEvT1_
    .private_segment_fixed_size: 0
    .sgpr_count:     0
    .sgpr_spill_count: 0
    .symbol:         _ZN7rocprim17ROCPRIM_400000_NS6detail17trampoline_kernelINS0_14default_configENS1_27scan_by_key_config_selectorIitEEZZNS1_16scan_by_key_implILNS1_25lookback_scan_determinismE0ELb1ES3_N6thrust23THRUST_200600_302600_NS6detail15normal_iteratorINS9_10device_ptrIiEEEENSB_INSC_ItEEEESG_tNS9_4plusIvEENS9_8equal_toIvEEtEE10hipError_tPvRmT2_T3_T4_T5_mT6_T7_P12ihipStream_tbENKUlT_T0_E_clISt17integral_constantIbLb1EES10_IbLb0EEEEDaSW_SX_EUlSW_E_NS1_11comp_targetILNS1_3genE4ELNS1_11target_archE910ELNS1_3gpuE8ELNS1_3repE0EEENS1_30default_config_static_selectorELNS0_4arch9wavefront6targetE0EEEvT1_.kd
    .uniform_work_group_size: 1
    .uses_dynamic_stack: false
    .vgpr_count:     0
    .vgpr_spill_count: 0
    .wavefront_size: 32
    .workgroup_processor_mode: 1
  - .args:
      - .offset:         0
        .size:           112
        .value_kind:     by_value
    .group_segment_fixed_size: 0
    .kernarg_segment_align: 8
    .kernarg_segment_size: 112
    .language:       OpenCL C
    .language_version:
      - 2
      - 0
    .max_flat_workgroup_size: 256
    .name:           _ZN7rocprim17ROCPRIM_400000_NS6detail17trampoline_kernelINS0_14default_configENS1_27scan_by_key_config_selectorIitEEZZNS1_16scan_by_key_implILNS1_25lookback_scan_determinismE0ELb1ES3_N6thrust23THRUST_200600_302600_NS6detail15normal_iteratorINS9_10device_ptrIiEEEENSB_INSC_ItEEEESG_tNS9_4plusIvEENS9_8equal_toIvEEtEE10hipError_tPvRmT2_T3_T4_T5_mT6_T7_P12ihipStream_tbENKUlT_T0_E_clISt17integral_constantIbLb1EES10_IbLb0EEEEDaSW_SX_EUlSW_E_NS1_11comp_targetILNS1_3genE3ELNS1_11target_archE908ELNS1_3gpuE7ELNS1_3repE0EEENS1_30default_config_static_selectorELNS0_4arch9wavefront6targetE0EEEvT1_
    .private_segment_fixed_size: 0
    .sgpr_count:     0
    .sgpr_spill_count: 0
    .symbol:         _ZN7rocprim17ROCPRIM_400000_NS6detail17trampoline_kernelINS0_14default_configENS1_27scan_by_key_config_selectorIitEEZZNS1_16scan_by_key_implILNS1_25lookback_scan_determinismE0ELb1ES3_N6thrust23THRUST_200600_302600_NS6detail15normal_iteratorINS9_10device_ptrIiEEEENSB_INSC_ItEEEESG_tNS9_4plusIvEENS9_8equal_toIvEEtEE10hipError_tPvRmT2_T3_T4_T5_mT6_T7_P12ihipStream_tbENKUlT_T0_E_clISt17integral_constantIbLb1EES10_IbLb0EEEEDaSW_SX_EUlSW_E_NS1_11comp_targetILNS1_3genE3ELNS1_11target_archE908ELNS1_3gpuE7ELNS1_3repE0EEENS1_30default_config_static_selectorELNS0_4arch9wavefront6targetE0EEEvT1_.kd
    .uniform_work_group_size: 1
    .uses_dynamic_stack: false
    .vgpr_count:     0
    .vgpr_spill_count: 0
    .wavefront_size: 32
    .workgroup_processor_mode: 1
  - .args:
      - .offset:         0
        .size:           112
        .value_kind:     by_value
    .group_segment_fixed_size: 0
    .kernarg_segment_align: 8
    .kernarg_segment_size: 112
    .language:       OpenCL C
    .language_version:
      - 2
      - 0
    .max_flat_workgroup_size: 64
    .name:           _ZN7rocprim17ROCPRIM_400000_NS6detail17trampoline_kernelINS0_14default_configENS1_27scan_by_key_config_selectorIitEEZZNS1_16scan_by_key_implILNS1_25lookback_scan_determinismE0ELb1ES3_N6thrust23THRUST_200600_302600_NS6detail15normal_iteratorINS9_10device_ptrIiEEEENSB_INSC_ItEEEESG_tNS9_4plusIvEENS9_8equal_toIvEEtEE10hipError_tPvRmT2_T3_T4_T5_mT6_T7_P12ihipStream_tbENKUlT_T0_E_clISt17integral_constantIbLb1EES10_IbLb0EEEEDaSW_SX_EUlSW_E_NS1_11comp_targetILNS1_3genE2ELNS1_11target_archE906ELNS1_3gpuE6ELNS1_3repE0EEENS1_30default_config_static_selectorELNS0_4arch9wavefront6targetE0EEEvT1_
    .private_segment_fixed_size: 0
    .sgpr_count:     0
    .sgpr_spill_count: 0
    .symbol:         _ZN7rocprim17ROCPRIM_400000_NS6detail17trampoline_kernelINS0_14default_configENS1_27scan_by_key_config_selectorIitEEZZNS1_16scan_by_key_implILNS1_25lookback_scan_determinismE0ELb1ES3_N6thrust23THRUST_200600_302600_NS6detail15normal_iteratorINS9_10device_ptrIiEEEENSB_INSC_ItEEEESG_tNS9_4plusIvEENS9_8equal_toIvEEtEE10hipError_tPvRmT2_T3_T4_T5_mT6_T7_P12ihipStream_tbENKUlT_T0_E_clISt17integral_constantIbLb1EES10_IbLb0EEEEDaSW_SX_EUlSW_E_NS1_11comp_targetILNS1_3genE2ELNS1_11target_archE906ELNS1_3gpuE6ELNS1_3repE0EEENS1_30default_config_static_selectorELNS0_4arch9wavefront6targetE0EEEvT1_.kd
    .uniform_work_group_size: 1
    .uses_dynamic_stack: false
    .vgpr_count:     0
    .vgpr_spill_count: 0
    .wavefront_size: 32
    .workgroup_processor_mode: 1
  - .args:
      - .offset:         0
        .size:           112
        .value_kind:     by_value
    .group_segment_fixed_size: 0
    .kernarg_segment_align: 8
    .kernarg_segment_size: 112
    .language:       OpenCL C
    .language_version:
      - 2
      - 0
    .max_flat_workgroup_size: 256
    .name:           _ZN7rocprim17ROCPRIM_400000_NS6detail17trampoline_kernelINS0_14default_configENS1_27scan_by_key_config_selectorIitEEZZNS1_16scan_by_key_implILNS1_25lookback_scan_determinismE0ELb1ES3_N6thrust23THRUST_200600_302600_NS6detail15normal_iteratorINS9_10device_ptrIiEEEENSB_INSC_ItEEEESG_tNS9_4plusIvEENS9_8equal_toIvEEtEE10hipError_tPvRmT2_T3_T4_T5_mT6_T7_P12ihipStream_tbENKUlT_T0_E_clISt17integral_constantIbLb1EES10_IbLb0EEEEDaSW_SX_EUlSW_E_NS1_11comp_targetILNS1_3genE10ELNS1_11target_archE1200ELNS1_3gpuE4ELNS1_3repE0EEENS1_30default_config_static_selectorELNS0_4arch9wavefront6targetE0EEEvT1_
    .private_segment_fixed_size: 0
    .sgpr_count:     0
    .sgpr_spill_count: 0
    .symbol:         _ZN7rocprim17ROCPRIM_400000_NS6detail17trampoline_kernelINS0_14default_configENS1_27scan_by_key_config_selectorIitEEZZNS1_16scan_by_key_implILNS1_25lookback_scan_determinismE0ELb1ES3_N6thrust23THRUST_200600_302600_NS6detail15normal_iteratorINS9_10device_ptrIiEEEENSB_INSC_ItEEEESG_tNS9_4plusIvEENS9_8equal_toIvEEtEE10hipError_tPvRmT2_T3_T4_T5_mT6_T7_P12ihipStream_tbENKUlT_T0_E_clISt17integral_constantIbLb1EES10_IbLb0EEEEDaSW_SX_EUlSW_E_NS1_11comp_targetILNS1_3genE10ELNS1_11target_archE1200ELNS1_3gpuE4ELNS1_3repE0EEENS1_30default_config_static_selectorELNS0_4arch9wavefront6targetE0EEEvT1_.kd
    .uniform_work_group_size: 1
    .uses_dynamic_stack: false
    .vgpr_count:     0
    .vgpr_spill_count: 0
    .wavefront_size: 32
    .workgroup_processor_mode: 1
  - .args:
      - .offset:         0
        .size:           112
        .value_kind:     by_value
    .group_segment_fixed_size: 0
    .kernarg_segment_align: 8
    .kernarg_segment_size: 112
    .language:       OpenCL C
    .language_version:
      - 2
      - 0
    .max_flat_workgroup_size: 64
    .name:           _ZN7rocprim17ROCPRIM_400000_NS6detail17trampoline_kernelINS0_14default_configENS1_27scan_by_key_config_selectorIitEEZZNS1_16scan_by_key_implILNS1_25lookback_scan_determinismE0ELb1ES3_N6thrust23THRUST_200600_302600_NS6detail15normal_iteratorINS9_10device_ptrIiEEEENSB_INSC_ItEEEESG_tNS9_4plusIvEENS9_8equal_toIvEEtEE10hipError_tPvRmT2_T3_T4_T5_mT6_T7_P12ihipStream_tbENKUlT_T0_E_clISt17integral_constantIbLb1EES10_IbLb0EEEEDaSW_SX_EUlSW_E_NS1_11comp_targetILNS1_3genE9ELNS1_11target_archE1100ELNS1_3gpuE3ELNS1_3repE0EEENS1_30default_config_static_selectorELNS0_4arch9wavefront6targetE0EEEvT1_
    .private_segment_fixed_size: 0
    .sgpr_count:     0
    .sgpr_spill_count: 0
    .symbol:         _ZN7rocprim17ROCPRIM_400000_NS6detail17trampoline_kernelINS0_14default_configENS1_27scan_by_key_config_selectorIitEEZZNS1_16scan_by_key_implILNS1_25lookback_scan_determinismE0ELb1ES3_N6thrust23THRUST_200600_302600_NS6detail15normal_iteratorINS9_10device_ptrIiEEEENSB_INSC_ItEEEESG_tNS9_4plusIvEENS9_8equal_toIvEEtEE10hipError_tPvRmT2_T3_T4_T5_mT6_T7_P12ihipStream_tbENKUlT_T0_E_clISt17integral_constantIbLb1EES10_IbLb0EEEEDaSW_SX_EUlSW_E_NS1_11comp_targetILNS1_3genE9ELNS1_11target_archE1100ELNS1_3gpuE3ELNS1_3repE0EEENS1_30default_config_static_selectorELNS0_4arch9wavefront6targetE0EEEvT1_.kd
    .uniform_work_group_size: 1
    .uses_dynamic_stack: false
    .vgpr_count:     0
    .vgpr_spill_count: 0
    .wavefront_size: 32
    .workgroup_processor_mode: 1
  - .args:
      - .offset:         0
        .size:           112
        .value_kind:     by_value
    .group_segment_fixed_size: 0
    .kernarg_segment_align: 8
    .kernarg_segment_size: 112
    .language:       OpenCL C
    .language_version:
      - 2
      - 0
    .max_flat_workgroup_size: 64
    .name:           _ZN7rocprim17ROCPRIM_400000_NS6detail17trampoline_kernelINS0_14default_configENS1_27scan_by_key_config_selectorIitEEZZNS1_16scan_by_key_implILNS1_25lookback_scan_determinismE0ELb1ES3_N6thrust23THRUST_200600_302600_NS6detail15normal_iteratorINS9_10device_ptrIiEEEENSB_INSC_ItEEEESG_tNS9_4plusIvEENS9_8equal_toIvEEtEE10hipError_tPvRmT2_T3_T4_T5_mT6_T7_P12ihipStream_tbENKUlT_T0_E_clISt17integral_constantIbLb1EES10_IbLb0EEEEDaSW_SX_EUlSW_E_NS1_11comp_targetILNS1_3genE8ELNS1_11target_archE1030ELNS1_3gpuE2ELNS1_3repE0EEENS1_30default_config_static_selectorELNS0_4arch9wavefront6targetE0EEEvT1_
    .private_segment_fixed_size: 0
    .sgpr_count:     0
    .sgpr_spill_count: 0
    .symbol:         _ZN7rocprim17ROCPRIM_400000_NS6detail17trampoline_kernelINS0_14default_configENS1_27scan_by_key_config_selectorIitEEZZNS1_16scan_by_key_implILNS1_25lookback_scan_determinismE0ELb1ES3_N6thrust23THRUST_200600_302600_NS6detail15normal_iteratorINS9_10device_ptrIiEEEENSB_INSC_ItEEEESG_tNS9_4plusIvEENS9_8equal_toIvEEtEE10hipError_tPvRmT2_T3_T4_T5_mT6_T7_P12ihipStream_tbENKUlT_T0_E_clISt17integral_constantIbLb1EES10_IbLb0EEEEDaSW_SX_EUlSW_E_NS1_11comp_targetILNS1_3genE8ELNS1_11target_archE1030ELNS1_3gpuE2ELNS1_3repE0EEENS1_30default_config_static_selectorELNS0_4arch9wavefront6targetE0EEEvT1_.kd
    .uniform_work_group_size: 1
    .uses_dynamic_stack: false
    .vgpr_count:     0
    .vgpr_spill_count: 0
    .wavefront_size: 32
    .workgroup_processor_mode: 1
  - .args:
      - .offset:         0
        .size:           112
        .value_kind:     by_value
    .group_segment_fixed_size: 0
    .kernarg_segment_align: 8
    .kernarg_segment_size: 112
    .language:       OpenCL C
    .language_version:
      - 2
      - 0
    .max_flat_workgroup_size: 256
    .name:           _ZN7rocprim17ROCPRIM_400000_NS6detail17trampoline_kernelINS0_14default_configENS1_27scan_by_key_config_selectorIitEEZZNS1_16scan_by_key_implILNS1_25lookback_scan_determinismE0ELb1ES3_N6thrust23THRUST_200600_302600_NS6detail15normal_iteratorINS9_10device_ptrIiEEEENSB_INSC_ItEEEESG_tNS9_4plusIvEENS9_8equal_toIvEEtEE10hipError_tPvRmT2_T3_T4_T5_mT6_T7_P12ihipStream_tbENKUlT_T0_E_clISt17integral_constantIbLb0EES10_IbLb1EEEEDaSW_SX_EUlSW_E_NS1_11comp_targetILNS1_3genE0ELNS1_11target_archE4294967295ELNS1_3gpuE0ELNS1_3repE0EEENS1_30default_config_static_selectorELNS0_4arch9wavefront6targetE0EEEvT1_
    .private_segment_fixed_size: 0
    .sgpr_count:     0
    .sgpr_spill_count: 0
    .symbol:         _ZN7rocprim17ROCPRIM_400000_NS6detail17trampoline_kernelINS0_14default_configENS1_27scan_by_key_config_selectorIitEEZZNS1_16scan_by_key_implILNS1_25lookback_scan_determinismE0ELb1ES3_N6thrust23THRUST_200600_302600_NS6detail15normal_iteratorINS9_10device_ptrIiEEEENSB_INSC_ItEEEESG_tNS9_4plusIvEENS9_8equal_toIvEEtEE10hipError_tPvRmT2_T3_T4_T5_mT6_T7_P12ihipStream_tbENKUlT_T0_E_clISt17integral_constantIbLb0EES10_IbLb1EEEEDaSW_SX_EUlSW_E_NS1_11comp_targetILNS1_3genE0ELNS1_11target_archE4294967295ELNS1_3gpuE0ELNS1_3repE0EEENS1_30default_config_static_selectorELNS0_4arch9wavefront6targetE0EEEvT1_.kd
    .uniform_work_group_size: 1
    .uses_dynamic_stack: false
    .vgpr_count:     0
    .vgpr_spill_count: 0
    .wavefront_size: 32
    .workgroup_processor_mode: 1
  - .args:
      - .offset:         0
        .size:           112
        .value_kind:     by_value
    .group_segment_fixed_size: 0
    .kernarg_segment_align: 8
    .kernarg_segment_size: 112
    .language:       OpenCL C
    .language_version:
      - 2
      - 0
    .max_flat_workgroup_size: 256
    .name:           _ZN7rocprim17ROCPRIM_400000_NS6detail17trampoline_kernelINS0_14default_configENS1_27scan_by_key_config_selectorIitEEZZNS1_16scan_by_key_implILNS1_25lookback_scan_determinismE0ELb1ES3_N6thrust23THRUST_200600_302600_NS6detail15normal_iteratorINS9_10device_ptrIiEEEENSB_INSC_ItEEEESG_tNS9_4plusIvEENS9_8equal_toIvEEtEE10hipError_tPvRmT2_T3_T4_T5_mT6_T7_P12ihipStream_tbENKUlT_T0_E_clISt17integral_constantIbLb0EES10_IbLb1EEEEDaSW_SX_EUlSW_E_NS1_11comp_targetILNS1_3genE10ELNS1_11target_archE1201ELNS1_3gpuE5ELNS1_3repE0EEENS1_30default_config_static_selectorELNS0_4arch9wavefront6targetE0EEEvT1_
    .private_segment_fixed_size: 0
    .sgpr_count:     0
    .sgpr_spill_count: 0
    .symbol:         _ZN7rocprim17ROCPRIM_400000_NS6detail17trampoline_kernelINS0_14default_configENS1_27scan_by_key_config_selectorIitEEZZNS1_16scan_by_key_implILNS1_25lookback_scan_determinismE0ELb1ES3_N6thrust23THRUST_200600_302600_NS6detail15normal_iteratorINS9_10device_ptrIiEEEENSB_INSC_ItEEEESG_tNS9_4plusIvEENS9_8equal_toIvEEtEE10hipError_tPvRmT2_T3_T4_T5_mT6_T7_P12ihipStream_tbENKUlT_T0_E_clISt17integral_constantIbLb0EES10_IbLb1EEEEDaSW_SX_EUlSW_E_NS1_11comp_targetILNS1_3genE10ELNS1_11target_archE1201ELNS1_3gpuE5ELNS1_3repE0EEENS1_30default_config_static_selectorELNS0_4arch9wavefront6targetE0EEEvT1_.kd
    .uniform_work_group_size: 1
    .uses_dynamic_stack: false
    .vgpr_count:     0
    .vgpr_spill_count: 0
    .wavefront_size: 32
    .workgroup_processor_mode: 1
  - .args:
      - .offset:         0
        .size:           112
        .value_kind:     by_value
    .group_segment_fixed_size: 0
    .kernarg_segment_align: 8
    .kernarg_segment_size: 112
    .language:       OpenCL C
    .language_version:
      - 2
      - 0
    .max_flat_workgroup_size: 256
    .name:           _ZN7rocprim17ROCPRIM_400000_NS6detail17trampoline_kernelINS0_14default_configENS1_27scan_by_key_config_selectorIitEEZZNS1_16scan_by_key_implILNS1_25lookback_scan_determinismE0ELb1ES3_N6thrust23THRUST_200600_302600_NS6detail15normal_iteratorINS9_10device_ptrIiEEEENSB_INSC_ItEEEESG_tNS9_4plusIvEENS9_8equal_toIvEEtEE10hipError_tPvRmT2_T3_T4_T5_mT6_T7_P12ihipStream_tbENKUlT_T0_E_clISt17integral_constantIbLb0EES10_IbLb1EEEEDaSW_SX_EUlSW_E_NS1_11comp_targetILNS1_3genE5ELNS1_11target_archE942ELNS1_3gpuE9ELNS1_3repE0EEENS1_30default_config_static_selectorELNS0_4arch9wavefront6targetE0EEEvT1_
    .private_segment_fixed_size: 0
    .sgpr_count:     0
    .sgpr_spill_count: 0
    .symbol:         _ZN7rocprim17ROCPRIM_400000_NS6detail17trampoline_kernelINS0_14default_configENS1_27scan_by_key_config_selectorIitEEZZNS1_16scan_by_key_implILNS1_25lookback_scan_determinismE0ELb1ES3_N6thrust23THRUST_200600_302600_NS6detail15normal_iteratorINS9_10device_ptrIiEEEENSB_INSC_ItEEEESG_tNS9_4plusIvEENS9_8equal_toIvEEtEE10hipError_tPvRmT2_T3_T4_T5_mT6_T7_P12ihipStream_tbENKUlT_T0_E_clISt17integral_constantIbLb0EES10_IbLb1EEEEDaSW_SX_EUlSW_E_NS1_11comp_targetILNS1_3genE5ELNS1_11target_archE942ELNS1_3gpuE9ELNS1_3repE0EEENS1_30default_config_static_selectorELNS0_4arch9wavefront6targetE0EEEvT1_.kd
    .uniform_work_group_size: 1
    .uses_dynamic_stack: false
    .vgpr_count:     0
    .vgpr_spill_count: 0
    .wavefront_size: 32
    .workgroup_processor_mode: 1
  - .args:
      - .offset:         0
        .size:           112
        .value_kind:     by_value
    .group_segment_fixed_size: 0
    .kernarg_segment_align: 8
    .kernarg_segment_size: 112
    .language:       OpenCL C
    .language_version:
      - 2
      - 0
    .max_flat_workgroup_size: 64
    .name:           _ZN7rocprim17ROCPRIM_400000_NS6detail17trampoline_kernelINS0_14default_configENS1_27scan_by_key_config_selectorIitEEZZNS1_16scan_by_key_implILNS1_25lookback_scan_determinismE0ELb1ES3_N6thrust23THRUST_200600_302600_NS6detail15normal_iteratorINS9_10device_ptrIiEEEENSB_INSC_ItEEEESG_tNS9_4plusIvEENS9_8equal_toIvEEtEE10hipError_tPvRmT2_T3_T4_T5_mT6_T7_P12ihipStream_tbENKUlT_T0_E_clISt17integral_constantIbLb0EES10_IbLb1EEEEDaSW_SX_EUlSW_E_NS1_11comp_targetILNS1_3genE4ELNS1_11target_archE910ELNS1_3gpuE8ELNS1_3repE0EEENS1_30default_config_static_selectorELNS0_4arch9wavefront6targetE0EEEvT1_
    .private_segment_fixed_size: 0
    .sgpr_count:     0
    .sgpr_spill_count: 0
    .symbol:         _ZN7rocprim17ROCPRIM_400000_NS6detail17trampoline_kernelINS0_14default_configENS1_27scan_by_key_config_selectorIitEEZZNS1_16scan_by_key_implILNS1_25lookback_scan_determinismE0ELb1ES3_N6thrust23THRUST_200600_302600_NS6detail15normal_iteratorINS9_10device_ptrIiEEEENSB_INSC_ItEEEESG_tNS9_4plusIvEENS9_8equal_toIvEEtEE10hipError_tPvRmT2_T3_T4_T5_mT6_T7_P12ihipStream_tbENKUlT_T0_E_clISt17integral_constantIbLb0EES10_IbLb1EEEEDaSW_SX_EUlSW_E_NS1_11comp_targetILNS1_3genE4ELNS1_11target_archE910ELNS1_3gpuE8ELNS1_3repE0EEENS1_30default_config_static_selectorELNS0_4arch9wavefront6targetE0EEEvT1_.kd
    .uniform_work_group_size: 1
    .uses_dynamic_stack: false
    .vgpr_count:     0
    .vgpr_spill_count: 0
    .wavefront_size: 32
    .workgroup_processor_mode: 1
  - .args:
      - .offset:         0
        .size:           112
        .value_kind:     by_value
    .group_segment_fixed_size: 0
    .kernarg_segment_align: 8
    .kernarg_segment_size: 112
    .language:       OpenCL C
    .language_version:
      - 2
      - 0
    .max_flat_workgroup_size: 256
    .name:           _ZN7rocprim17ROCPRIM_400000_NS6detail17trampoline_kernelINS0_14default_configENS1_27scan_by_key_config_selectorIitEEZZNS1_16scan_by_key_implILNS1_25lookback_scan_determinismE0ELb1ES3_N6thrust23THRUST_200600_302600_NS6detail15normal_iteratorINS9_10device_ptrIiEEEENSB_INSC_ItEEEESG_tNS9_4plusIvEENS9_8equal_toIvEEtEE10hipError_tPvRmT2_T3_T4_T5_mT6_T7_P12ihipStream_tbENKUlT_T0_E_clISt17integral_constantIbLb0EES10_IbLb1EEEEDaSW_SX_EUlSW_E_NS1_11comp_targetILNS1_3genE3ELNS1_11target_archE908ELNS1_3gpuE7ELNS1_3repE0EEENS1_30default_config_static_selectorELNS0_4arch9wavefront6targetE0EEEvT1_
    .private_segment_fixed_size: 0
    .sgpr_count:     0
    .sgpr_spill_count: 0
    .symbol:         _ZN7rocprim17ROCPRIM_400000_NS6detail17trampoline_kernelINS0_14default_configENS1_27scan_by_key_config_selectorIitEEZZNS1_16scan_by_key_implILNS1_25lookback_scan_determinismE0ELb1ES3_N6thrust23THRUST_200600_302600_NS6detail15normal_iteratorINS9_10device_ptrIiEEEENSB_INSC_ItEEEESG_tNS9_4plusIvEENS9_8equal_toIvEEtEE10hipError_tPvRmT2_T3_T4_T5_mT6_T7_P12ihipStream_tbENKUlT_T0_E_clISt17integral_constantIbLb0EES10_IbLb1EEEEDaSW_SX_EUlSW_E_NS1_11comp_targetILNS1_3genE3ELNS1_11target_archE908ELNS1_3gpuE7ELNS1_3repE0EEENS1_30default_config_static_selectorELNS0_4arch9wavefront6targetE0EEEvT1_.kd
    .uniform_work_group_size: 1
    .uses_dynamic_stack: false
    .vgpr_count:     0
    .vgpr_spill_count: 0
    .wavefront_size: 32
    .workgroup_processor_mode: 1
  - .args:
      - .offset:         0
        .size:           112
        .value_kind:     by_value
    .group_segment_fixed_size: 0
    .kernarg_segment_align: 8
    .kernarg_segment_size: 112
    .language:       OpenCL C
    .language_version:
      - 2
      - 0
    .max_flat_workgroup_size: 64
    .name:           _ZN7rocprim17ROCPRIM_400000_NS6detail17trampoline_kernelINS0_14default_configENS1_27scan_by_key_config_selectorIitEEZZNS1_16scan_by_key_implILNS1_25lookback_scan_determinismE0ELb1ES3_N6thrust23THRUST_200600_302600_NS6detail15normal_iteratorINS9_10device_ptrIiEEEENSB_INSC_ItEEEESG_tNS9_4plusIvEENS9_8equal_toIvEEtEE10hipError_tPvRmT2_T3_T4_T5_mT6_T7_P12ihipStream_tbENKUlT_T0_E_clISt17integral_constantIbLb0EES10_IbLb1EEEEDaSW_SX_EUlSW_E_NS1_11comp_targetILNS1_3genE2ELNS1_11target_archE906ELNS1_3gpuE6ELNS1_3repE0EEENS1_30default_config_static_selectorELNS0_4arch9wavefront6targetE0EEEvT1_
    .private_segment_fixed_size: 0
    .sgpr_count:     0
    .sgpr_spill_count: 0
    .symbol:         _ZN7rocprim17ROCPRIM_400000_NS6detail17trampoline_kernelINS0_14default_configENS1_27scan_by_key_config_selectorIitEEZZNS1_16scan_by_key_implILNS1_25lookback_scan_determinismE0ELb1ES3_N6thrust23THRUST_200600_302600_NS6detail15normal_iteratorINS9_10device_ptrIiEEEENSB_INSC_ItEEEESG_tNS9_4plusIvEENS9_8equal_toIvEEtEE10hipError_tPvRmT2_T3_T4_T5_mT6_T7_P12ihipStream_tbENKUlT_T0_E_clISt17integral_constantIbLb0EES10_IbLb1EEEEDaSW_SX_EUlSW_E_NS1_11comp_targetILNS1_3genE2ELNS1_11target_archE906ELNS1_3gpuE6ELNS1_3repE0EEENS1_30default_config_static_selectorELNS0_4arch9wavefront6targetE0EEEvT1_.kd
    .uniform_work_group_size: 1
    .uses_dynamic_stack: false
    .vgpr_count:     0
    .vgpr_spill_count: 0
    .wavefront_size: 32
    .workgroup_processor_mode: 1
  - .args:
      - .offset:         0
        .size:           112
        .value_kind:     by_value
    .group_segment_fixed_size: 0
    .kernarg_segment_align: 8
    .kernarg_segment_size: 112
    .language:       OpenCL C
    .language_version:
      - 2
      - 0
    .max_flat_workgroup_size: 256
    .name:           _ZN7rocprim17ROCPRIM_400000_NS6detail17trampoline_kernelINS0_14default_configENS1_27scan_by_key_config_selectorIitEEZZNS1_16scan_by_key_implILNS1_25lookback_scan_determinismE0ELb1ES3_N6thrust23THRUST_200600_302600_NS6detail15normal_iteratorINS9_10device_ptrIiEEEENSB_INSC_ItEEEESG_tNS9_4plusIvEENS9_8equal_toIvEEtEE10hipError_tPvRmT2_T3_T4_T5_mT6_T7_P12ihipStream_tbENKUlT_T0_E_clISt17integral_constantIbLb0EES10_IbLb1EEEEDaSW_SX_EUlSW_E_NS1_11comp_targetILNS1_3genE10ELNS1_11target_archE1200ELNS1_3gpuE4ELNS1_3repE0EEENS1_30default_config_static_selectorELNS0_4arch9wavefront6targetE0EEEvT1_
    .private_segment_fixed_size: 0
    .sgpr_count:     0
    .sgpr_spill_count: 0
    .symbol:         _ZN7rocprim17ROCPRIM_400000_NS6detail17trampoline_kernelINS0_14default_configENS1_27scan_by_key_config_selectorIitEEZZNS1_16scan_by_key_implILNS1_25lookback_scan_determinismE0ELb1ES3_N6thrust23THRUST_200600_302600_NS6detail15normal_iteratorINS9_10device_ptrIiEEEENSB_INSC_ItEEEESG_tNS9_4plusIvEENS9_8equal_toIvEEtEE10hipError_tPvRmT2_T3_T4_T5_mT6_T7_P12ihipStream_tbENKUlT_T0_E_clISt17integral_constantIbLb0EES10_IbLb1EEEEDaSW_SX_EUlSW_E_NS1_11comp_targetILNS1_3genE10ELNS1_11target_archE1200ELNS1_3gpuE4ELNS1_3repE0EEENS1_30default_config_static_selectorELNS0_4arch9wavefront6targetE0EEEvT1_.kd
    .uniform_work_group_size: 1
    .uses_dynamic_stack: false
    .vgpr_count:     0
    .vgpr_spill_count: 0
    .wavefront_size: 32
    .workgroup_processor_mode: 1
  - .args:
      - .offset:         0
        .size:           112
        .value_kind:     by_value
    .group_segment_fixed_size: 0
    .kernarg_segment_align: 8
    .kernarg_segment_size: 112
    .language:       OpenCL C
    .language_version:
      - 2
      - 0
    .max_flat_workgroup_size: 64
    .name:           _ZN7rocprim17ROCPRIM_400000_NS6detail17trampoline_kernelINS0_14default_configENS1_27scan_by_key_config_selectorIitEEZZNS1_16scan_by_key_implILNS1_25lookback_scan_determinismE0ELb1ES3_N6thrust23THRUST_200600_302600_NS6detail15normal_iteratorINS9_10device_ptrIiEEEENSB_INSC_ItEEEESG_tNS9_4plusIvEENS9_8equal_toIvEEtEE10hipError_tPvRmT2_T3_T4_T5_mT6_T7_P12ihipStream_tbENKUlT_T0_E_clISt17integral_constantIbLb0EES10_IbLb1EEEEDaSW_SX_EUlSW_E_NS1_11comp_targetILNS1_3genE9ELNS1_11target_archE1100ELNS1_3gpuE3ELNS1_3repE0EEENS1_30default_config_static_selectorELNS0_4arch9wavefront6targetE0EEEvT1_
    .private_segment_fixed_size: 0
    .sgpr_count:     0
    .sgpr_spill_count: 0
    .symbol:         _ZN7rocprim17ROCPRIM_400000_NS6detail17trampoline_kernelINS0_14default_configENS1_27scan_by_key_config_selectorIitEEZZNS1_16scan_by_key_implILNS1_25lookback_scan_determinismE0ELb1ES3_N6thrust23THRUST_200600_302600_NS6detail15normal_iteratorINS9_10device_ptrIiEEEENSB_INSC_ItEEEESG_tNS9_4plusIvEENS9_8equal_toIvEEtEE10hipError_tPvRmT2_T3_T4_T5_mT6_T7_P12ihipStream_tbENKUlT_T0_E_clISt17integral_constantIbLb0EES10_IbLb1EEEEDaSW_SX_EUlSW_E_NS1_11comp_targetILNS1_3genE9ELNS1_11target_archE1100ELNS1_3gpuE3ELNS1_3repE0EEENS1_30default_config_static_selectorELNS0_4arch9wavefront6targetE0EEEvT1_.kd
    .uniform_work_group_size: 1
    .uses_dynamic_stack: false
    .vgpr_count:     0
    .vgpr_spill_count: 0
    .wavefront_size: 32
    .workgroup_processor_mode: 1
  - .args:
      - .offset:         0
        .size:           112
        .value_kind:     by_value
    .group_segment_fixed_size: 2304
    .kernarg_segment_align: 8
    .kernarg_segment_size: 112
    .language:       OpenCL C
    .language_version:
      - 2
      - 0
    .max_flat_workgroup_size: 64
    .name:           _ZN7rocprim17ROCPRIM_400000_NS6detail17trampoline_kernelINS0_14default_configENS1_27scan_by_key_config_selectorIitEEZZNS1_16scan_by_key_implILNS1_25lookback_scan_determinismE0ELb1ES3_N6thrust23THRUST_200600_302600_NS6detail15normal_iteratorINS9_10device_ptrIiEEEENSB_INSC_ItEEEESG_tNS9_4plusIvEENS9_8equal_toIvEEtEE10hipError_tPvRmT2_T3_T4_T5_mT6_T7_P12ihipStream_tbENKUlT_T0_E_clISt17integral_constantIbLb0EES10_IbLb1EEEEDaSW_SX_EUlSW_E_NS1_11comp_targetILNS1_3genE8ELNS1_11target_archE1030ELNS1_3gpuE2ELNS1_3repE0EEENS1_30default_config_static_selectorELNS0_4arch9wavefront6targetE0EEEvT1_
    .private_segment_fixed_size: 0
    .sgpr_count:     34
    .sgpr_spill_count: 0
    .symbol:         _ZN7rocprim17ROCPRIM_400000_NS6detail17trampoline_kernelINS0_14default_configENS1_27scan_by_key_config_selectorIitEEZZNS1_16scan_by_key_implILNS1_25lookback_scan_determinismE0ELb1ES3_N6thrust23THRUST_200600_302600_NS6detail15normal_iteratorINS9_10device_ptrIiEEEENSB_INSC_ItEEEESG_tNS9_4plusIvEENS9_8equal_toIvEEtEE10hipError_tPvRmT2_T3_T4_T5_mT6_T7_P12ihipStream_tbENKUlT_T0_E_clISt17integral_constantIbLb0EES10_IbLb1EEEEDaSW_SX_EUlSW_E_NS1_11comp_targetILNS1_3genE8ELNS1_11target_archE1030ELNS1_3gpuE2ELNS1_3repE0EEENS1_30default_config_static_selectorELNS0_4arch9wavefront6targetE0EEEvT1_.kd
    .uniform_work_group_size: 1
    .uses_dynamic_stack: false
    .vgpr_count:     38
    .vgpr_spill_count: 0
    .wavefront_size: 32
    .workgroup_processor_mode: 1
  - .args:
      - .offset:         0
        .size:           136
        .value_kind:     by_value
    .group_segment_fixed_size: 0
    .kernarg_segment_align: 8
    .kernarg_segment_size: 136
    .language:       OpenCL C
    .language_version:
      - 2
      - 0
    .max_flat_workgroup_size: 128
    .name:           _ZN7rocprim17ROCPRIM_400000_NS6detail17trampoline_kernelINS0_14default_configENS1_27scan_by_key_config_selectorIixEEZZNS1_16scan_by_key_implILNS1_25lookback_scan_determinismE0ELb1ES3_N6thrust23THRUST_200600_302600_NS6detail15normal_iteratorINS9_10device_ptrIiEEEENSB_INSC_IxEEEESG_xNS9_4plusIvEENS9_8equal_toIvEExEE10hipError_tPvRmT2_T3_T4_T5_mT6_T7_P12ihipStream_tbENKUlT_T0_E_clISt17integral_constantIbLb0EES11_EEDaSW_SX_EUlSW_E_NS1_11comp_targetILNS1_3genE0ELNS1_11target_archE4294967295ELNS1_3gpuE0ELNS1_3repE0EEENS1_30default_config_static_selectorELNS0_4arch9wavefront6targetE0EEEvT1_
    .private_segment_fixed_size: 0
    .sgpr_count:     0
    .sgpr_spill_count: 0
    .symbol:         _ZN7rocprim17ROCPRIM_400000_NS6detail17trampoline_kernelINS0_14default_configENS1_27scan_by_key_config_selectorIixEEZZNS1_16scan_by_key_implILNS1_25lookback_scan_determinismE0ELb1ES3_N6thrust23THRUST_200600_302600_NS6detail15normal_iteratorINS9_10device_ptrIiEEEENSB_INSC_IxEEEESG_xNS9_4plusIvEENS9_8equal_toIvEExEE10hipError_tPvRmT2_T3_T4_T5_mT6_T7_P12ihipStream_tbENKUlT_T0_E_clISt17integral_constantIbLb0EES11_EEDaSW_SX_EUlSW_E_NS1_11comp_targetILNS1_3genE0ELNS1_11target_archE4294967295ELNS1_3gpuE0ELNS1_3repE0EEENS1_30default_config_static_selectorELNS0_4arch9wavefront6targetE0EEEvT1_.kd
    .uniform_work_group_size: 1
    .uses_dynamic_stack: false
    .vgpr_count:     0
    .vgpr_spill_count: 0
    .wavefront_size: 32
    .workgroup_processor_mode: 1
  - .args:
      - .offset:         0
        .size:           136
        .value_kind:     by_value
    .group_segment_fixed_size: 0
    .kernarg_segment_align: 8
    .kernarg_segment_size: 136
    .language:       OpenCL C
    .language_version:
      - 2
      - 0
    .max_flat_workgroup_size: 256
    .name:           _ZN7rocprim17ROCPRIM_400000_NS6detail17trampoline_kernelINS0_14default_configENS1_27scan_by_key_config_selectorIixEEZZNS1_16scan_by_key_implILNS1_25lookback_scan_determinismE0ELb1ES3_N6thrust23THRUST_200600_302600_NS6detail15normal_iteratorINS9_10device_ptrIiEEEENSB_INSC_IxEEEESG_xNS9_4plusIvEENS9_8equal_toIvEExEE10hipError_tPvRmT2_T3_T4_T5_mT6_T7_P12ihipStream_tbENKUlT_T0_E_clISt17integral_constantIbLb0EES11_EEDaSW_SX_EUlSW_E_NS1_11comp_targetILNS1_3genE10ELNS1_11target_archE1201ELNS1_3gpuE5ELNS1_3repE0EEENS1_30default_config_static_selectorELNS0_4arch9wavefront6targetE0EEEvT1_
    .private_segment_fixed_size: 0
    .sgpr_count:     0
    .sgpr_spill_count: 0
    .symbol:         _ZN7rocprim17ROCPRIM_400000_NS6detail17trampoline_kernelINS0_14default_configENS1_27scan_by_key_config_selectorIixEEZZNS1_16scan_by_key_implILNS1_25lookback_scan_determinismE0ELb1ES3_N6thrust23THRUST_200600_302600_NS6detail15normal_iteratorINS9_10device_ptrIiEEEENSB_INSC_IxEEEESG_xNS9_4plusIvEENS9_8equal_toIvEExEE10hipError_tPvRmT2_T3_T4_T5_mT6_T7_P12ihipStream_tbENKUlT_T0_E_clISt17integral_constantIbLb0EES11_EEDaSW_SX_EUlSW_E_NS1_11comp_targetILNS1_3genE10ELNS1_11target_archE1201ELNS1_3gpuE5ELNS1_3repE0EEENS1_30default_config_static_selectorELNS0_4arch9wavefront6targetE0EEEvT1_.kd
    .uniform_work_group_size: 1
    .uses_dynamic_stack: false
    .vgpr_count:     0
    .vgpr_spill_count: 0
    .wavefront_size: 32
    .workgroup_processor_mode: 1
  - .args:
      - .offset:         0
        .size:           136
        .value_kind:     by_value
    .group_segment_fixed_size: 0
    .kernarg_segment_align: 8
    .kernarg_segment_size: 136
    .language:       OpenCL C
    .language_version:
      - 2
      - 0
    .max_flat_workgroup_size: 256
    .name:           _ZN7rocprim17ROCPRIM_400000_NS6detail17trampoline_kernelINS0_14default_configENS1_27scan_by_key_config_selectorIixEEZZNS1_16scan_by_key_implILNS1_25lookback_scan_determinismE0ELb1ES3_N6thrust23THRUST_200600_302600_NS6detail15normal_iteratorINS9_10device_ptrIiEEEENSB_INSC_IxEEEESG_xNS9_4plusIvEENS9_8equal_toIvEExEE10hipError_tPvRmT2_T3_T4_T5_mT6_T7_P12ihipStream_tbENKUlT_T0_E_clISt17integral_constantIbLb0EES11_EEDaSW_SX_EUlSW_E_NS1_11comp_targetILNS1_3genE5ELNS1_11target_archE942ELNS1_3gpuE9ELNS1_3repE0EEENS1_30default_config_static_selectorELNS0_4arch9wavefront6targetE0EEEvT1_
    .private_segment_fixed_size: 0
    .sgpr_count:     0
    .sgpr_spill_count: 0
    .symbol:         _ZN7rocprim17ROCPRIM_400000_NS6detail17trampoline_kernelINS0_14default_configENS1_27scan_by_key_config_selectorIixEEZZNS1_16scan_by_key_implILNS1_25lookback_scan_determinismE0ELb1ES3_N6thrust23THRUST_200600_302600_NS6detail15normal_iteratorINS9_10device_ptrIiEEEENSB_INSC_IxEEEESG_xNS9_4plusIvEENS9_8equal_toIvEExEE10hipError_tPvRmT2_T3_T4_T5_mT6_T7_P12ihipStream_tbENKUlT_T0_E_clISt17integral_constantIbLb0EES11_EEDaSW_SX_EUlSW_E_NS1_11comp_targetILNS1_3genE5ELNS1_11target_archE942ELNS1_3gpuE9ELNS1_3repE0EEENS1_30default_config_static_selectorELNS0_4arch9wavefront6targetE0EEEvT1_.kd
    .uniform_work_group_size: 1
    .uses_dynamic_stack: false
    .vgpr_count:     0
    .vgpr_spill_count: 0
    .wavefront_size: 32
    .workgroup_processor_mode: 1
  - .args:
      - .offset:         0
        .size:           136
        .value_kind:     by_value
    .group_segment_fixed_size: 0
    .kernarg_segment_align: 8
    .kernarg_segment_size: 136
    .language:       OpenCL C
    .language_version:
      - 2
      - 0
    .max_flat_workgroup_size: 64
    .name:           _ZN7rocprim17ROCPRIM_400000_NS6detail17trampoline_kernelINS0_14default_configENS1_27scan_by_key_config_selectorIixEEZZNS1_16scan_by_key_implILNS1_25lookback_scan_determinismE0ELb1ES3_N6thrust23THRUST_200600_302600_NS6detail15normal_iteratorINS9_10device_ptrIiEEEENSB_INSC_IxEEEESG_xNS9_4plusIvEENS9_8equal_toIvEExEE10hipError_tPvRmT2_T3_T4_T5_mT6_T7_P12ihipStream_tbENKUlT_T0_E_clISt17integral_constantIbLb0EES11_EEDaSW_SX_EUlSW_E_NS1_11comp_targetILNS1_3genE4ELNS1_11target_archE910ELNS1_3gpuE8ELNS1_3repE0EEENS1_30default_config_static_selectorELNS0_4arch9wavefront6targetE0EEEvT1_
    .private_segment_fixed_size: 0
    .sgpr_count:     0
    .sgpr_spill_count: 0
    .symbol:         _ZN7rocprim17ROCPRIM_400000_NS6detail17trampoline_kernelINS0_14default_configENS1_27scan_by_key_config_selectorIixEEZZNS1_16scan_by_key_implILNS1_25lookback_scan_determinismE0ELb1ES3_N6thrust23THRUST_200600_302600_NS6detail15normal_iteratorINS9_10device_ptrIiEEEENSB_INSC_IxEEEESG_xNS9_4plusIvEENS9_8equal_toIvEExEE10hipError_tPvRmT2_T3_T4_T5_mT6_T7_P12ihipStream_tbENKUlT_T0_E_clISt17integral_constantIbLb0EES11_EEDaSW_SX_EUlSW_E_NS1_11comp_targetILNS1_3genE4ELNS1_11target_archE910ELNS1_3gpuE8ELNS1_3repE0EEENS1_30default_config_static_selectorELNS0_4arch9wavefront6targetE0EEEvT1_.kd
    .uniform_work_group_size: 1
    .uses_dynamic_stack: false
    .vgpr_count:     0
    .vgpr_spill_count: 0
    .wavefront_size: 32
    .workgroup_processor_mode: 1
  - .args:
      - .offset:         0
        .size:           136
        .value_kind:     by_value
    .group_segment_fixed_size: 0
    .kernarg_segment_align: 8
    .kernarg_segment_size: 136
    .language:       OpenCL C
    .language_version:
      - 2
      - 0
    .max_flat_workgroup_size: 128
    .name:           _ZN7rocprim17ROCPRIM_400000_NS6detail17trampoline_kernelINS0_14default_configENS1_27scan_by_key_config_selectorIixEEZZNS1_16scan_by_key_implILNS1_25lookback_scan_determinismE0ELb1ES3_N6thrust23THRUST_200600_302600_NS6detail15normal_iteratorINS9_10device_ptrIiEEEENSB_INSC_IxEEEESG_xNS9_4plusIvEENS9_8equal_toIvEExEE10hipError_tPvRmT2_T3_T4_T5_mT6_T7_P12ihipStream_tbENKUlT_T0_E_clISt17integral_constantIbLb0EES11_EEDaSW_SX_EUlSW_E_NS1_11comp_targetILNS1_3genE3ELNS1_11target_archE908ELNS1_3gpuE7ELNS1_3repE0EEENS1_30default_config_static_selectorELNS0_4arch9wavefront6targetE0EEEvT1_
    .private_segment_fixed_size: 0
    .sgpr_count:     0
    .sgpr_spill_count: 0
    .symbol:         _ZN7rocprim17ROCPRIM_400000_NS6detail17trampoline_kernelINS0_14default_configENS1_27scan_by_key_config_selectorIixEEZZNS1_16scan_by_key_implILNS1_25lookback_scan_determinismE0ELb1ES3_N6thrust23THRUST_200600_302600_NS6detail15normal_iteratorINS9_10device_ptrIiEEEENSB_INSC_IxEEEESG_xNS9_4plusIvEENS9_8equal_toIvEExEE10hipError_tPvRmT2_T3_T4_T5_mT6_T7_P12ihipStream_tbENKUlT_T0_E_clISt17integral_constantIbLb0EES11_EEDaSW_SX_EUlSW_E_NS1_11comp_targetILNS1_3genE3ELNS1_11target_archE908ELNS1_3gpuE7ELNS1_3repE0EEENS1_30default_config_static_selectorELNS0_4arch9wavefront6targetE0EEEvT1_.kd
    .uniform_work_group_size: 1
    .uses_dynamic_stack: false
    .vgpr_count:     0
    .vgpr_spill_count: 0
    .wavefront_size: 32
    .workgroup_processor_mode: 1
  - .args:
      - .offset:         0
        .size:           136
        .value_kind:     by_value
    .group_segment_fixed_size: 0
    .kernarg_segment_align: 8
    .kernarg_segment_size: 136
    .language:       OpenCL C
    .language_version:
      - 2
      - 0
    .max_flat_workgroup_size: 64
    .name:           _ZN7rocprim17ROCPRIM_400000_NS6detail17trampoline_kernelINS0_14default_configENS1_27scan_by_key_config_selectorIixEEZZNS1_16scan_by_key_implILNS1_25lookback_scan_determinismE0ELb1ES3_N6thrust23THRUST_200600_302600_NS6detail15normal_iteratorINS9_10device_ptrIiEEEENSB_INSC_IxEEEESG_xNS9_4plusIvEENS9_8equal_toIvEExEE10hipError_tPvRmT2_T3_T4_T5_mT6_T7_P12ihipStream_tbENKUlT_T0_E_clISt17integral_constantIbLb0EES11_EEDaSW_SX_EUlSW_E_NS1_11comp_targetILNS1_3genE2ELNS1_11target_archE906ELNS1_3gpuE6ELNS1_3repE0EEENS1_30default_config_static_selectorELNS0_4arch9wavefront6targetE0EEEvT1_
    .private_segment_fixed_size: 0
    .sgpr_count:     0
    .sgpr_spill_count: 0
    .symbol:         _ZN7rocprim17ROCPRIM_400000_NS6detail17trampoline_kernelINS0_14default_configENS1_27scan_by_key_config_selectorIixEEZZNS1_16scan_by_key_implILNS1_25lookback_scan_determinismE0ELb1ES3_N6thrust23THRUST_200600_302600_NS6detail15normal_iteratorINS9_10device_ptrIiEEEENSB_INSC_IxEEEESG_xNS9_4plusIvEENS9_8equal_toIvEExEE10hipError_tPvRmT2_T3_T4_T5_mT6_T7_P12ihipStream_tbENKUlT_T0_E_clISt17integral_constantIbLb0EES11_EEDaSW_SX_EUlSW_E_NS1_11comp_targetILNS1_3genE2ELNS1_11target_archE906ELNS1_3gpuE6ELNS1_3repE0EEENS1_30default_config_static_selectorELNS0_4arch9wavefront6targetE0EEEvT1_.kd
    .uniform_work_group_size: 1
    .uses_dynamic_stack: false
    .vgpr_count:     0
    .vgpr_spill_count: 0
    .wavefront_size: 32
    .workgroup_processor_mode: 1
  - .args:
      - .offset:         0
        .size:           136
        .value_kind:     by_value
    .group_segment_fixed_size: 0
    .kernarg_segment_align: 8
    .kernarg_segment_size: 136
    .language:       OpenCL C
    .language_version:
      - 2
      - 0
    .max_flat_workgroup_size: 256
    .name:           _ZN7rocprim17ROCPRIM_400000_NS6detail17trampoline_kernelINS0_14default_configENS1_27scan_by_key_config_selectorIixEEZZNS1_16scan_by_key_implILNS1_25lookback_scan_determinismE0ELb1ES3_N6thrust23THRUST_200600_302600_NS6detail15normal_iteratorINS9_10device_ptrIiEEEENSB_INSC_IxEEEESG_xNS9_4plusIvEENS9_8equal_toIvEExEE10hipError_tPvRmT2_T3_T4_T5_mT6_T7_P12ihipStream_tbENKUlT_T0_E_clISt17integral_constantIbLb0EES11_EEDaSW_SX_EUlSW_E_NS1_11comp_targetILNS1_3genE10ELNS1_11target_archE1200ELNS1_3gpuE4ELNS1_3repE0EEENS1_30default_config_static_selectorELNS0_4arch9wavefront6targetE0EEEvT1_
    .private_segment_fixed_size: 0
    .sgpr_count:     0
    .sgpr_spill_count: 0
    .symbol:         _ZN7rocprim17ROCPRIM_400000_NS6detail17trampoline_kernelINS0_14default_configENS1_27scan_by_key_config_selectorIixEEZZNS1_16scan_by_key_implILNS1_25lookback_scan_determinismE0ELb1ES3_N6thrust23THRUST_200600_302600_NS6detail15normal_iteratorINS9_10device_ptrIiEEEENSB_INSC_IxEEEESG_xNS9_4plusIvEENS9_8equal_toIvEExEE10hipError_tPvRmT2_T3_T4_T5_mT6_T7_P12ihipStream_tbENKUlT_T0_E_clISt17integral_constantIbLb0EES11_EEDaSW_SX_EUlSW_E_NS1_11comp_targetILNS1_3genE10ELNS1_11target_archE1200ELNS1_3gpuE4ELNS1_3repE0EEENS1_30default_config_static_selectorELNS0_4arch9wavefront6targetE0EEEvT1_.kd
    .uniform_work_group_size: 1
    .uses_dynamic_stack: false
    .vgpr_count:     0
    .vgpr_spill_count: 0
    .wavefront_size: 32
    .workgroup_processor_mode: 1
  - .args:
      - .offset:         0
        .size:           136
        .value_kind:     by_value
    .group_segment_fixed_size: 0
    .kernarg_segment_align: 8
    .kernarg_segment_size: 136
    .language:       OpenCL C
    .language_version:
      - 2
      - 0
    .max_flat_workgroup_size: 256
    .name:           _ZN7rocprim17ROCPRIM_400000_NS6detail17trampoline_kernelINS0_14default_configENS1_27scan_by_key_config_selectorIixEEZZNS1_16scan_by_key_implILNS1_25lookback_scan_determinismE0ELb1ES3_N6thrust23THRUST_200600_302600_NS6detail15normal_iteratorINS9_10device_ptrIiEEEENSB_INSC_IxEEEESG_xNS9_4plusIvEENS9_8equal_toIvEExEE10hipError_tPvRmT2_T3_T4_T5_mT6_T7_P12ihipStream_tbENKUlT_T0_E_clISt17integral_constantIbLb0EES11_EEDaSW_SX_EUlSW_E_NS1_11comp_targetILNS1_3genE9ELNS1_11target_archE1100ELNS1_3gpuE3ELNS1_3repE0EEENS1_30default_config_static_selectorELNS0_4arch9wavefront6targetE0EEEvT1_
    .private_segment_fixed_size: 0
    .sgpr_count:     0
    .sgpr_spill_count: 0
    .symbol:         _ZN7rocprim17ROCPRIM_400000_NS6detail17trampoline_kernelINS0_14default_configENS1_27scan_by_key_config_selectorIixEEZZNS1_16scan_by_key_implILNS1_25lookback_scan_determinismE0ELb1ES3_N6thrust23THRUST_200600_302600_NS6detail15normal_iteratorINS9_10device_ptrIiEEEENSB_INSC_IxEEEESG_xNS9_4plusIvEENS9_8equal_toIvEExEE10hipError_tPvRmT2_T3_T4_T5_mT6_T7_P12ihipStream_tbENKUlT_T0_E_clISt17integral_constantIbLb0EES11_EEDaSW_SX_EUlSW_E_NS1_11comp_targetILNS1_3genE9ELNS1_11target_archE1100ELNS1_3gpuE3ELNS1_3repE0EEENS1_30default_config_static_selectorELNS0_4arch9wavefront6targetE0EEEvT1_.kd
    .uniform_work_group_size: 1
    .uses_dynamic_stack: false
    .vgpr_count:     0
    .vgpr_spill_count: 0
    .wavefront_size: 32
    .workgroup_processor_mode: 1
  - .args:
      - .offset:         0
        .size:           136
        .value_kind:     by_value
    .group_segment_fixed_size: 6144
    .kernarg_segment_align: 8
    .kernarg_segment_size: 136
    .language:       OpenCL C
    .language_version:
      - 2
      - 0
    .max_flat_workgroup_size: 256
    .name:           _ZN7rocprim17ROCPRIM_400000_NS6detail17trampoline_kernelINS0_14default_configENS1_27scan_by_key_config_selectorIixEEZZNS1_16scan_by_key_implILNS1_25lookback_scan_determinismE0ELb1ES3_N6thrust23THRUST_200600_302600_NS6detail15normal_iteratorINS9_10device_ptrIiEEEENSB_INSC_IxEEEESG_xNS9_4plusIvEENS9_8equal_toIvEExEE10hipError_tPvRmT2_T3_T4_T5_mT6_T7_P12ihipStream_tbENKUlT_T0_E_clISt17integral_constantIbLb0EES11_EEDaSW_SX_EUlSW_E_NS1_11comp_targetILNS1_3genE8ELNS1_11target_archE1030ELNS1_3gpuE2ELNS1_3repE0EEENS1_30default_config_static_selectorELNS0_4arch9wavefront6targetE0EEEvT1_
    .private_segment_fixed_size: 0
    .sgpr_count:     38
    .sgpr_spill_count: 0
    .symbol:         _ZN7rocprim17ROCPRIM_400000_NS6detail17trampoline_kernelINS0_14default_configENS1_27scan_by_key_config_selectorIixEEZZNS1_16scan_by_key_implILNS1_25lookback_scan_determinismE0ELb1ES3_N6thrust23THRUST_200600_302600_NS6detail15normal_iteratorINS9_10device_ptrIiEEEENSB_INSC_IxEEEESG_xNS9_4plusIvEENS9_8equal_toIvEExEE10hipError_tPvRmT2_T3_T4_T5_mT6_T7_P12ihipStream_tbENKUlT_T0_E_clISt17integral_constantIbLb0EES11_EEDaSW_SX_EUlSW_E_NS1_11comp_targetILNS1_3genE8ELNS1_11target_archE1030ELNS1_3gpuE2ELNS1_3repE0EEENS1_30default_config_static_selectorELNS0_4arch9wavefront6targetE0EEEvT1_.kd
    .uniform_work_group_size: 1
    .uses_dynamic_stack: false
    .vgpr_count:     48
    .vgpr_spill_count: 0
    .wavefront_size: 32
    .workgroup_processor_mode: 1
  - .args:
      - .offset:         0
        .size:           136
        .value_kind:     by_value
    .group_segment_fixed_size: 0
    .kernarg_segment_align: 8
    .kernarg_segment_size: 136
    .language:       OpenCL C
    .language_version:
      - 2
      - 0
    .max_flat_workgroup_size: 128
    .name:           _ZN7rocprim17ROCPRIM_400000_NS6detail17trampoline_kernelINS0_14default_configENS1_27scan_by_key_config_selectorIixEEZZNS1_16scan_by_key_implILNS1_25lookback_scan_determinismE0ELb1ES3_N6thrust23THRUST_200600_302600_NS6detail15normal_iteratorINS9_10device_ptrIiEEEENSB_INSC_IxEEEESG_xNS9_4plusIvEENS9_8equal_toIvEExEE10hipError_tPvRmT2_T3_T4_T5_mT6_T7_P12ihipStream_tbENKUlT_T0_E_clISt17integral_constantIbLb1EES11_EEDaSW_SX_EUlSW_E_NS1_11comp_targetILNS1_3genE0ELNS1_11target_archE4294967295ELNS1_3gpuE0ELNS1_3repE0EEENS1_30default_config_static_selectorELNS0_4arch9wavefront6targetE0EEEvT1_
    .private_segment_fixed_size: 0
    .sgpr_count:     0
    .sgpr_spill_count: 0
    .symbol:         _ZN7rocprim17ROCPRIM_400000_NS6detail17trampoline_kernelINS0_14default_configENS1_27scan_by_key_config_selectorIixEEZZNS1_16scan_by_key_implILNS1_25lookback_scan_determinismE0ELb1ES3_N6thrust23THRUST_200600_302600_NS6detail15normal_iteratorINS9_10device_ptrIiEEEENSB_INSC_IxEEEESG_xNS9_4plusIvEENS9_8equal_toIvEExEE10hipError_tPvRmT2_T3_T4_T5_mT6_T7_P12ihipStream_tbENKUlT_T0_E_clISt17integral_constantIbLb1EES11_EEDaSW_SX_EUlSW_E_NS1_11comp_targetILNS1_3genE0ELNS1_11target_archE4294967295ELNS1_3gpuE0ELNS1_3repE0EEENS1_30default_config_static_selectorELNS0_4arch9wavefront6targetE0EEEvT1_.kd
    .uniform_work_group_size: 1
    .uses_dynamic_stack: false
    .vgpr_count:     0
    .vgpr_spill_count: 0
    .wavefront_size: 32
    .workgroup_processor_mode: 1
  - .args:
      - .offset:         0
        .size:           136
        .value_kind:     by_value
    .group_segment_fixed_size: 0
    .kernarg_segment_align: 8
    .kernarg_segment_size: 136
    .language:       OpenCL C
    .language_version:
      - 2
      - 0
    .max_flat_workgroup_size: 256
    .name:           _ZN7rocprim17ROCPRIM_400000_NS6detail17trampoline_kernelINS0_14default_configENS1_27scan_by_key_config_selectorIixEEZZNS1_16scan_by_key_implILNS1_25lookback_scan_determinismE0ELb1ES3_N6thrust23THRUST_200600_302600_NS6detail15normal_iteratorINS9_10device_ptrIiEEEENSB_INSC_IxEEEESG_xNS9_4plusIvEENS9_8equal_toIvEExEE10hipError_tPvRmT2_T3_T4_T5_mT6_T7_P12ihipStream_tbENKUlT_T0_E_clISt17integral_constantIbLb1EES11_EEDaSW_SX_EUlSW_E_NS1_11comp_targetILNS1_3genE10ELNS1_11target_archE1201ELNS1_3gpuE5ELNS1_3repE0EEENS1_30default_config_static_selectorELNS0_4arch9wavefront6targetE0EEEvT1_
    .private_segment_fixed_size: 0
    .sgpr_count:     0
    .sgpr_spill_count: 0
    .symbol:         _ZN7rocprim17ROCPRIM_400000_NS6detail17trampoline_kernelINS0_14default_configENS1_27scan_by_key_config_selectorIixEEZZNS1_16scan_by_key_implILNS1_25lookback_scan_determinismE0ELb1ES3_N6thrust23THRUST_200600_302600_NS6detail15normal_iteratorINS9_10device_ptrIiEEEENSB_INSC_IxEEEESG_xNS9_4plusIvEENS9_8equal_toIvEExEE10hipError_tPvRmT2_T3_T4_T5_mT6_T7_P12ihipStream_tbENKUlT_T0_E_clISt17integral_constantIbLb1EES11_EEDaSW_SX_EUlSW_E_NS1_11comp_targetILNS1_3genE10ELNS1_11target_archE1201ELNS1_3gpuE5ELNS1_3repE0EEENS1_30default_config_static_selectorELNS0_4arch9wavefront6targetE0EEEvT1_.kd
    .uniform_work_group_size: 1
    .uses_dynamic_stack: false
    .vgpr_count:     0
    .vgpr_spill_count: 0
    .wavefront_size: 32
    .workgroup_processor_mode: 1
  - .args:
      - .offset:         0
        .size:           136
        .value_kind:     by_value
    .group_segment_fixed_size: 0
    .kernarg_segment_align: 8
    .kernarg_segment_size: 136
    .language:       OpenCL C
    .language_version:
      - 2
      - 0
    .max_flat_workgroup_size: 256
    .name:           _ZN7rocprim17ROCPRIM_400000_NS6detail17trampoline_kernelINS0_14default_configENS1_27scan_by_key_config_selectorIixEEZZNS1_16scan_by_key_implILNS1_25lookback_scan_determinismE0ELb1ES3_N6thrust23THRUST_200600_302600_NS6detail15normal_iteratorINS9_10device_ptrIiEEEENSB_INSC_IxEEEESG_xNS9_4plusIvEENS9_8equal_toIvEExEE10hipError_tPvRmT2_T3_T4_T5_mT6_T7_P12ihipStream_tbENKUlT_T0_E_clISt17integral_constantIbLb1EES11_EEDaSW_SX_EUlSW_E_NS1_11comp_targetILNS1_3genE5ELNS1_11target_archE942ELNS1_3gpuE9ELNS1_3repE0EEENS1_30default_config_static_selectorELNS0_4arch9wavefront6targetE0EEEvT1_
    .private_segment_fixed_size: 0
    .sgpr_count:     0
    .sgpr_spill_count: 0
    .symbol:         _ZN7rocprim17ROCPRIM_400000_NS6detail17trampoline_kernelINS0_14default_configENS1_27scan_by_key_config_selectorIixEEZZNS1_16scan_by_key_implILNS1_25lookback_scan_determinismE0ELb1ES3_N6thrust23THRUST_200600_302600_NS6detail15normal_iteratorINS9_10device_ptrIiEEEENSB_INSC_IxEEEESG_xNS9_4plusIvEENS9_8equal_toIvEExEE10hipError_tPvRmT2_T3_T4_T5_mT6_T7_P12ihipStream_tbENKUlT_T0_E_clISt17integral_constantIbLb1EES11_EEDaSW_SX_EUlSW_E_NS1_11comp_targetILNS1_3genE5ELNS1_11target_archE942ELNS1_3gpuE9ELNS1_3repE0EEENS1_30default_config_static_selectorELNS0_4arch9wavefront6targetE0EEEvT1_.kd
    .uniform_work_group_size: 1
    .uses_dynamic_stack: false
    .vgpr_count:     0
    .vgpr_spill_count: 0
    .wavefront_size: 32
    .workgroup_processor_mode: 1
  - .args:
      - .offset:         0
        .size:           136
        .value_kind:     by_value
    .group_segment_fixed_size: 0
    .kernarg_segment_align: 8
    .kernarg_segment_size: 136
    .language:       OpenCL C
    .language_version:
      - 2
      - 0
    .max_flat_workgroup_size: 64
    .name:           _ZN7rocprim17ROCPRIM_400000_NS6detail17trampoline_kernelINS0_14default_configENS1_27scan_by_key_config_selectorIixEEZZNS1_16scan_by_key_implILNS1_25lookback_scan_determinismE0ELb1ES3_N6thrust23THRUST_200600_302600_NS6detail15normal_iteratorINS9_10device_ptrIiEEEENSB_INSC_IxEEEESG_xNS9_4plusIvEENS9_8equal_toIvEExEE10hipError_tPvRmT2_T3_T4_T5_mT6_T7_P12ihipStream_tbENKUlT_T0_E_clISt17integral_constantIbLb1EES11_EEDaSW_SX_EUlSW_E_NS1_11comp_targetILNS1_3genE4ELNS1_11target_archE910ELNS1_3gpuE8ELNS1_3repE0EEENS1_30default_config_static_selectorELNS0_4arch9wavefront6targetE0EEEvT1_
    .private_segment_fixed_size: 0
    .sgpr_count:     0
    .sgpr_spill_count: 0
    .symbol:         _ZN7rocprim17ROCPRIM_400000_NS6detail17trampoline_kernelINS0_14default_configENS1_27scan_by_key_config_selectorIixEEZZNS1_16scan_by_key_implILNS1_25lookback_scan_determinismE0ELb1ES3_N6thrust23THRUST_200600_302600_NS6detail15normal_iteratorINS9_10device_ptrIiEEEENSB_INSC_IxEEEESG_xNS9_4plusIvEENS9_8equal_toIvEExEE10hipError_tPvRmT2_T3_T4_T5_mT6_T7_P12ihipStream_tbENKUlT_T0_E_clISt17integral_constantIbLb1EES11_EEDaSW_SX_EUlSW_E_NS1_11comp_targetILNS1_3genE4ELNS1_11target_archE910ELNS1_3gpuE8ELNS1_3repE0EEENS1_30default_config_static_selectorELNS0_4arch9wavefront6targetE0EEEvT1_.kd
    .uniform_work_group_size: 1
    .uses_dynamic_stack: false
    .vgpr_count:     0
    .vgpr_spill_count: 0
    .wavefront_size: 32
    .workgroup_processor_mode: 1
  - .args:
      - .offset:         0
        .size:           136
        .value_kind:     by_value
    .group_segment_fixed_size: 0
    .kernarg_segment_align: 8
    .kernarg_segment_size: 136
    .language:       OpenCL C
    .language_version:
      - 2
      - 0
    .max_flat_workgroup_size: 128
    .name:           _ZN7rocprim17ROCPRIM_400000_NS6detail17trampoline_kernelINS0_14default_configENS1_27scan_by_key_config_selectorIixEEZZNS1_16scan_by_key_implILNS1_25lookback_scan_determinismE0ELb1ES3_N6thrust23THRUST_200600_302600_NS6detail15normal_iteratorINS9_10device_ptrIiEEEENSB_INSC_IxEEEESG_xNS9_4plusIvEENS9_8equal_toIvEExEE10hipError_tPvRmT2_T3_T4_T5_mT6_T7_P12ihipStream_tbENKUlT_T0_E_clISt17integral_constantIbLb1EES11_EEDaSW_SX_EUlSW_E_NS1_11comp_targetILNS1_3genE3ELNS1_11target_archE908ELNS1_3gpuE7ELNS1_3repE0EEENS1_30default_config_static_selectorELNS0_4arch9wavefront6targetE0EEEvT1_
    .private_segment_fixed_size: 0
    .sgpr_count:     0
    .sgpr_spill_count: 0
    .symbol:         _ZN7rocprim17ROCPRIM_400000_NS6detail17trampoline_kernelINS0_14default_configENS1_27scan_by_key_config_selectorIixEEZZNS1_16scan_by_key_implILNS1_25lookback_scan_determinismE0ELb1ES3_N6thrust23THRUST_200600_302600_NS6detail15normal_iteratorINS9_10device_ptrIiEEEENSB_INSC_IxEEEESG_xNS9_4plusIvEENS9_8equal_toIvEExEE10hipError_tPvRmT2_T3_T4_T5_mT6_T7_P12ihipStream_tbENKUlT_T0_E_clISt17integral_constantIbLb1EES11_EEDaSW_SX_EUlSW_E_NS1_11comp_targetILNS1_3genE3ELNS1_11target_archE908ELNS1_3gpuE7ELNS1_3repE0EEENS1_30default_config_static_selectorELNS0_4arch9wavefront6targetE0EEEvT1_.kd
    .uniform_work_group_size: 1
    .uses_dynamic_stack: false
    .vgpr_count:     0
    .vgpr_spill_count: 0
    .wavefront_size: 32
    .workgroup_processor_mode: 1
  - .args:
      - .offset:         0
        .size:           136
        .value_kind:     by_value
    .group_segment_fixed_size: 0
    .kernarg_segment_align: 8
    .kernarg_segment_size: 136
    .language:       OpenCL C
    .language_version:
      - 2
      - 0
    .max_flat_workgroup_size: 64
    .name:           _ZN7rocprim17ROCPRIM_400000_NS6detail17trampoline_kernelINS0_14default_configENS1_27scan_by_key_config_selectorIixEEZZNS1_16scan_by_key_implILNS1_25lookback_scan_determinismE0ELb1ES3_N6thrust23THRUST_200600_302600_NS6detail15normal_iteratorINS9_10device_ptrIiEEEENSB_INSC_IxEEEESG_xNS9_4plusIvEENS9_8equal_toIvEExEE10hipError_tPvRmT2_T3_T4_T5_mT6_T7_P12ihipStream_tbENKUlT_T0_E_clISt17integral_constantIbLb1EES11_EEDaSW_SX_EUlSW_E_NS1_11comp_targetILNS1_3genE2ELNS1_11target_archE906ELNS1_3gpuE6ELNS1_3repE0EEENS1_30default_config_static_selectorELNS0_4arch9wavefront6targetE0EEEvT1_
    .private_segment_fixed_size: 0
    .sgpr_count:     0
    .sgpr_spill_count: 0
    .symbol:         _ZN7rocprim17ROCPRIM_400000_NS6detail17trampoline_kernelINS0_14default_configENS1_27scan_by_key_config_selectorIixEEZZNS1_16scan_by_key_implILNS1_25lookback_scan_determinismE0ELb1ES3_N6thrust23THRUST_200600_302600_NS6detail15normal_iteratorINS9_10device_ptrIiEEEENSB_INSC_IxEEEESG_xNS9_4plusIvEENS9_8equal_toIvEExEE10hipError_tPvRmT2_T3_T4_T5_mT6_T7_P12ihipStream_tbENKUlT_T0_E_clISt17integral_constantIbLb1EES11_EEDaSW_SX_EUlSW_E_NS1_11comp_targetILNS1_3genE2ELNS1_11target_archE906ELNS1_3gpuE6ELNS1_3repE0EEENS1_30default_config_static_selectorELNS0_4arch9wavefront6targetE0EEEvT1_.kd
    .uniform_work_group_size: 1
    .uses_dynamic_stack: false
    .vgpr_count:     0
    .vgpr_spill_count: 0
    .wavefront_size: 32
    .workgroup_processor_mode: 1
  - .args:
      - .offset:         0
        .size:           136
        .value_kind:     by_value
    .group_segment_fixed_size: 0
    .kernarg_segment_align: 8
    .kernarg_segment_size: 136
    .language:       OpenCL C
    .language_version:
      - 2
      - 0
    .max_flat_workgroup_size: 256
    .name:           _ZN7rocprim17ROCPRIM_400000_NS6detail17trampoline_kernelINS0_14default_configENS1_27scan_by_key_config_selectorIixEEZZNS1_16scan_by_key_implILNS1_25lookback_scan_determinismE0ELb1ES3_N6thrust23THRUST_200600_302600_NS6detail15normal_iteratorINS9_10device_ptrIiEEEENSB_INSC_IxEEEESG_xNS9_4plusIvEENS9_8equal_toIvEExEE10hipError_tPvRmT2_T3_T4_T5_mT6_T7_P12ihipStream_tbENKUlT_T0_E_clISt17integral_constantIbLb1EES11_EEDaSW_SX_EUlSW_E_NS1_11comp_targetILNS1_3genE10ELNS1_11target_archE1200ELNS1_3gpuE4ELNS1_3repE0EEENS1_30default_config_static_selectorELNS0_4arch9wavefront6targetE0EEEvT1_
    .private_segment_fixed_size: 0
    .sgpr_count:     0
    .sgpr_spill_count: 0
    .symbol:         _ZN7rocprim17ROCPRIM_400000_NS6detail17trampoline_kernelINS0_14default_configENS1_27scan_by_key_config_selectorIixEEZZNS1_16scan_by_key_implILNS1_25lookback_scan_determinismE0ELb1ES3_N6thrust23THRUST_200600_302600_NS6detail15normal_iteratorINS9_10device_ptrIiEEEENSB_INSC_IxEEEESG_xNS9_4plusIvEENS9_8equal_toIvEExEE10hipError_tPvRmT2_T3_T4_T5_mT6_T7_P12ihipStream_tbENKUlT_T0_E_clISt17integral_constantIbLb1EES11_EEDaSW_SX_EUlSW_E_NS1_11comp_targetILNS1_3genE10ELNS1_11target_archE1200ELNS1_3gpuE4ELNS1_3repE0EEENS1_30default_config_static_selectorELNS0_4arch9wavefront6targetE0EEEvT1_.kd
    .uniform_work_group_size: 1
    .uses_dynamic_stack: false
    .vgpr_count:     0
    .vgpr_spill_count: 0
    .wavefront_size: 32
    .workgroup_processor_mode: 1
  - .args:
      - .offset:         0
        .size:           136
        .value_kind:     by_value
    .group_segment_fixed_size: 0
    .kernarg_segment_align: 8
    .kernarg_segment_size: 136
    .language:       OpenCL C
    .language_version:
      - 2
      - 0
    .max_flat_workgroup_size: 256
    .name:           _ZN7rocprim17ROCPRIM_400000_NS6detail17trampoline_kernelINS0_14default_configENS1_27scan_by_key_config_selectorIixEEZZNS1_16scan_by_key_implILNS1_25lookback_scan_determinismE0ELb1ES3_N6thrust23THRUST_200600_302600_NS6detail15normal_iteratorINS9_10device_ptrIiEEEENSB_INSC_IxEEEESG_xNS9_4plusIvEENS9_8equal_toIvEExEE10hipError_tPvRmT2_T3_T4_T5_mT6_T7_P12ihipStream_tbENKUlT_T0_E_clISt17integral_constantIbLb1EES11_EEDaSW_SX_EUlSW_E_NS1_11comp_targetILNS1_3genE9ELNS1_11target_archE1100ELNS1_3gpuE3ELNS1_3repE0EEENS1_30default_config_static_selectorELNS0_4arch9wavefront6targetE0EEEvT1_
    .private_segment_fixed_size: 0
    .sgpr_count:     0
    .sgpr_spill_count: 0
    .symbol:         _ZN7rocprim17ROCPRIM_400000_NS6detail17trampoline_kernelINS0_14default_configENS1_27scan_by_key_config_selectorIixEEZZNS1_16scan_by_key_implILNS1_25lookback_scan_determinismE0ELb1ES3_N6thrust23THRUST_200600_302600_NS6detail15normal_iteratorINS9_10device_ptrIiEEEENSB_INSC_IxEEEESG_xNS9_4plusIvEENS9_8equal_toIvEExEE10hipError_tPvRmT2_T3_T4_T5_mT6_T7_P12ihipStream_tbENKUlT_T0_E_clISt17integral_constantIbLb1EES11_EEDaSW_SX_EUlSW_E_NS1_11comp_targetILNS1_3genE9ELNS1_11target_archE1100ELNS1_3gpuE3ELNS1_3repE0EEENS1_30default_config_static_selectorELNS0_4arch9wavefront6targetE0EEEvT1_.kd
    .uniform_work_group_size: 1
    .uses_dynamic_stack: false
    .vgpr_count:     0
    .vgpr_spill_count: 0
    .wavefront_size: 32
    .workgroup_processor_mode: 1
  - .args:
      - .offset:         0
        .size:           136
        .value_kind:     by_value
    .group_segment_fixed_size: 0
    .kernarg_segment_align: 8
    .kernarg_segment_size: 136
    .language:       OpenCL C
    .language_version:
      - 2
      - 0
    .max_flat_workgroup_size: 256
    .name:           _ZN7rocprim17ROCPRIM_400000_NS6detail17trampoline_kernelINS0_14default_configENS1_27scan_by_key_config_selectorIixEEZZNS1_16scan_by_key_implILNS1_25lookback_scan_determinismE0ELb1ES3_N6thrust23THRUST_200600_302600_NS6detail15normal_iteratorINS9_10device_ptrIiEEEENSB_INSC_IxEEEESG_xNS9_4plusIvEENS9_8equal_toIvEExEE10hipError_tPvRmT2_T3_T4_T5_mT6_T7_P12ihipStream_tbENKUlT_T0_E_clISt17integral_constantIbLb1EES11_EEDaSW_SX_EUlSW_E_NS1_11comp_targetILNS1_3genE8ELNS1_11target_archE1030ELNS1_3gpuE2ELNS1_3repE0EEENS1_30default_config_static_selectorELNS0_4arch9wavefront6targetE0EEEvT1_
    .private_segment_fixed_size: 0
    .sgpr_count:     0
    .sgpr_spill_count: 0
    .symbol:         _ZN7rocprim17ROCPRIM_400000_NS6detail17trampoline_kernelINS0_14default_configENS1_27scan_by_key_config_selectorIixEEZZNS1_16scan_by_key_implILNS1_25lookback_scan_determinismE0ELb1ES3_N6thrust23THRUST_200600_302600_NS6detail15normal_iteratorINS9_10device_ptrIiEEEENSB_INSC_IxEEEESG_xNS9_4plusIvEENS9_8equal_toIvEExEE10hipError_tPvRmT2_T3_T4_T5_mT6_T7_P12ihipStream_tbENKUlT_T0_E_clISt17integral_constantIbLb1EES11_EEDaSW_SX_EUlSW_E_NS1_11comp_targetILNS1_3genE8ELNS1_11target_archE1030ELNS1_3gpuE2ELNS1_3repE0EEENS1_30default_config_static_selectorELNS0_4arch9wavefront6targetE0EEEvT1_.kd
    .uniform_work_group_size: 1
    .uses_dynamic_stack: false
    .vgpr_count:     0
    .vgpr_spill_count: 0
    .wavefront_size: 32
    .workgroup_processor_mode: 1
  - .args:
      - .offset:         0
        .size:           136
        .value_kind:     by_value
    .group_segment_fixed_size: 0
    .kernarg_segment_align: 8
    .kernarg_segment_size: 136
    .language:       OpenCL C
    .language_version:
      - 2
      - 0
    .max_flat_workgroup_size: 128
    .name:           _ZN7rocprim17ROCPRIM_400000_NS6detail17trampoline_kernelINS0_14default_configENS1_27scan_by_key_config_selectorIixEEZZNS1_16scan_by_key_implILNS1_25lookback_scan_determinismE0ELb1ES3_N6thrust23THRUST_200600_302600_NS6detail15normal_iteratorINS9_10device_ptrIiEEEENSB_INSC_IxEEEESG_xNS9_4plusIvEENS9_8equal_toIvEExEE10hipError_tPvRmT2_T3_T4_T5_mT6_T7_P12ihipStream_tbENKUlT_T0_E_clISt17integral_constantIbLb1EES10_IbLb0EEEEDaSW_SX_EUlSW_E_NS1_11comp_targetILNS1_3genE0ELNS1_11target_archE4294967295ELNS1_3gpuE0ELNS1_3repE0EEENS1_30default_config_static_selectorELNS0_4arch9wavefront6targetE0EEEvT1_
    .private_segment_fixed_size: 0
    .sgpr_count:     0
    .sgpr_spill_count: 0
    .symbol:         _ZN7rocprim17ROCPRIM_400000_NS6detail17trampoline_kernelINS0_14default_configENS1_27scan_by_key_config_selectorIixEEZZNS1_16scan_by_key_implILNS1_25lookback_scan_determinismE0ELb1ES3_N6thrust23THRUST_200600_302600_NS6detail15normal_iteratorINS9_10device_ptrIiEEEENSB_INSC_IxEEEESG_xNS9_4plusIvEENS9_8equal_toIvEExEE10hipError_tPvRmT2_T3_T4_T5_mT6_T7_P12ihipStream_tbENKUlT_T0_E_clISt17integral_constantIbLb1EES10_IbLb0EEEEDaSW_SX_EUlSW_E_NS1_11comp_targetILNS1_3genE0ELNS1_11target_archE4294967295ELNS1_3gpuE0ELNS1_3repE0EEENS1_30default_config_static_selectorELNS0_4arch9wavefront6targetE0EEEvT1_.kd
    .uniform_work_group_size: 1
    .uses_dynamic_stack: false
    .vgpr_count:     0
    .vgpr_spill_count: 0
    .wavefront_size: 32
    .workgroup_processor_mode: 1
  - .args:
      - .offset:         0
        .size:           136
        .value_kind:     by_value
    .group_segment_fixed_size: 0
    .kernarg_segment_align: 8
    .kernarg_segment_size: 136
    .language:       OpenCL C
    .language_version:
      - 2
      - 0
    .max_flat_workgroup_size: 256
    .name:           _ZN7rocprim17ROCPRIM_400000_NS6detail17trampoline_kernelINS0_14default_configENS1_27scan_by_key_config_selectorIixEEZZNS1_16scan_by_key_implILNS1_25lookback_scan_determinismE0ELb1ES3_N6thrust23THRUST_200600_302600_NS6detail15normal_iteratorINS9_10device_ptrIiEEEENSB_INSC_IxEEEESG_xNS9_4plusIvEENS9_8equal_toIvEExEE10hipError_tPvRmT2_T3_T4_T5_mT6_T7_P12ihipStream_tbENKUlT_T0_E_clISt17integral_constantIbLb1EES10_IbLb0EEEEDaSW_SX_EUlSW_E_NS1_11comp_targetILNS1_3genE10ELNS1_11target_archE1201ELNS1_3gpuE5ELNS1_3repE0EEENS1_30default_config_static_selectorELNS0_4arch9wavefront6targetE0EEEvT1_
    .private_segment_fixed_size: 0
    .sgpr_count:     0
    .sgpr_spill_count: 0
    .symbol:         _ZN7rocprim17ROCPRIM_400000_NS6detail17trampoline_kernelINS0_14default_configENS1_27scan_by_key_config_selectorIixEEZZNS1_16scan_by_key_implILNS1_25lookback_scan_determinismE0ELb1ES3_N6thrust23THRUST_200600_302600_NS6detail15normal_iteratorINS9_10device_ptrIiEEEENSB_INSC_IxEEEESG_xNS9_4plusIvEENS9_8equal_toIvEExEE10hipError_tPvRmT2_T3_T4_T5_mT6_T7_P12ihipStream_tbENKUlT_T0_E_clISt17integral_constantIbLb1EES10_IbLb0EEEEDaSW_SX_EUlSW_E_NS1_11comp_targetILNS1_3genE10ELNS1_11target_archE1201ELNS1_3gpuE5ELNS1_3repE0EEENS1_30default_config_static_selectorELNS0_4arch9wavefront6targetE0EEEvT1_.kd
    .uniform_work_group_size: 1
    .uses_dynamic_stack: false
    .vgpr_count:     0
    .vgpr_spill_count: 0
    .wavefront_size: 32
    .workgroup_processor_mode: 1
  - .args:
      - .offset:         0
        .size:           136
        .value_kind:     by_value
    .group_segment_fixed_size: 0
    .kernarg_segment_align: 8
    .kernarg_segment_size: 136
    .language:       OpenCL C
    .language_version:
      - 2
      - 0
    .max_flat_workgroup_size: 256
    .name:           _ZN7rocprim17ROCPRIM_400000_NS6detail17trampoline_kernelINS0_14default_configENS1_27scan_by_key_config_selectorIixEEZZNS1_16scan_by_key_implILNS1_25lookback_scan_determinismE0ELb1ES3_N6thrust23THRUST_200600_302600_NS6detail15normal_iteratorINS9_10device_ptrIiEEEENSB_INSC_IxEEEESG_xNS9_4plusIvEENS9_8equal_toIvEExEE10hipError_tPvRmT2_T3_T4_T5_mT6_T7_P12ihipStream_tbENKUlT_T0_E_clISt17integral_constantIbLb1EES10_IbLb0EEEEDaSW_SX_EUlSW_E_NS1_11comp_targetILNS1_3genE5ELNS1_11target_archE942ELNS1_3gpuE9ELNS1_3repE0EEENS1_30default_config_static_selectorELNS0_4arch9wavefront6targetE0EEEvT1_
    .private_segment_fixed_size: 0
    .sgpr_count:     0
    .sgpr_spill_count: 0
    .symbol:         _ZN7rocprim17ROCPRIM_400000_NS6detail17trampoline_kernelINS0_14default_configENS1_27scan_by_key_config_selectorIixEEZZNS1_16scan_by_key_implILNS1_25lookback_scan_determinismE0ELb1ES3_N6thrust23THRUST_200600_302600_NS6detail15normal_iteratorINS9_10device_ptrIiEEEENSB_INSC_IxEEEESG_xNS9_4plusIvEENS9_8equal_toIvEExEE10hipError_tPvRmT2_T3_T4_T5_mT6_T7_P12ihipStream_tbENKUlT_T0_E_clISt17integral_constantIbLb1EES10_IbLb0EEEEDaSW_SX_EUlSW_E_NS1_11comp_targetILNS1_3genE5ELNS1_11target_archE942ELNS1_3gpuE9ELNS1_3repE0EEENS1_30default_config_static_selectorELNS0_4arch9wavefront6targetE0EEEvT1_.kd
    .uniform_work_group_size: 1
    .uses_dynamic_stack: false
    .vgpr_count:     0
    .vgpr_spill_count: 0
    .wavefront_size: 32
    .workgroup_processor_mode: 1
  - .args:
      - .offset:         0
        .size:           136
        .value_kind:     by_value
    .group_segment_fixed_size: 0
    .kernarg_segment_align: 8
    .kernarg_segment_size: 136
    .language:       OpenCL C
    .language_version:
      - 2
      - 0
    .max_flat_workgroup_size: 64
    .name:           _ZN7rocprim17ROCPRIM_400000_NS6detail17trampoline_kernelINS0_14default_configENS1_27scan_by_key_config_selectorIixEEZZNS1_16scan_by_key_implILNS1_25lookback_scan_determinismE0ELb1ES3_N6thrust23THRUST_200600_302600_NS6detail15normal_iteratorINS9_10device_ptrIiEEEENSB_INSC_IxEEEESG_xNS9_4plusIvEENS9_8equal_toIvEExEE10hipError_tPvRmT2_T3_T4_T5_mT6_T7_P12ihipStream_tbENKUlT_T0_E_clISt17integral_constantIbLb1EES10_IbLb0EEEEDaSW_SX_EUlSW_E_NS1_11comp_targetILNS1_3genE4ELNS1_11target_archE910ELNS1_3gpuE8ELNS1_3repE0EEENS1_30default_config_static_selectorELNS0_4arch9wavefront6targetE0EEEvT1_
    .private_segment_fixed_size: 0
    .sgpr_count:     0
    .sgpr_spill_count: 0
    .symbol:         _ZN7rocprim17ROCPRIM_400000_NS6detail17trampoline_kernelINS0_14default_configENS1_27scan_by_key_config_selectorIixEEZZNS1_16scan_by_key_implILNS1_25lookback_scan_determinismE0ELb1ES3_N6thrust23THRUST_200600_302600_NS6detail15normal_iteratorINS9_10device_ptrIiEEEENSB_INSC_IxEEEESG_xNS9_4plusIvEENS9_8equal_toIvEExEE10hipError_tPvRmT2_T3_T4_T5_mT6_T7_P12ihipStream_tbENKUlT_T0_E_clISt17integral_constantIbLb1EES10_IbLb0EEEEDaSW_SX_EUlSW_E_NS1_11comp_targetILNS1_3genE4ELNS1_11target_archE910ELNS1_3gpuE8ELNS1_3repE0EEENS1_30default_config_static_selectorELNS0_4arch9wavefront6targetE0EEEvT1_.kd
    .uniform_work_group_size: 1
    .uses_dynamic_stack: false
    .vgpr_count:     0
    .vgpr_spill_count: 0
    .wavefront_size: 32
    .workgroup_processor_mode: 1
  - .args:
      - .offset:         0
        .size:           136
        .value_kind:     by_value
    .group_segment_fixed_size: 0
    .kernarg_segment_align: 8
    .kernarg_segment_size: 136
    .language:       OpenCL C
    .language_version:
      - 2
      - 0
    .max_flat_workgroup_size: 128
    .name:           _ZN7rocprim17ROCPRIM_400000_NS6detail17trampoline_kernelINS0_14default_configENS1_27scan_by_key_config_selectorIixEEZZNS1_16scan_by_key_implILNS1_25lookback_scan_determinismE0ELb1ES3_N6thrust23THRUST_200600_302600_NS6detail15normal_iteratorINS9_10device_ptrIiEEEENSB_INSC_IxEEEESG_xNS9_4plusIvEENS9_8equal_toIvEExEE10hipError_tPvRmT2_T3_T4_T5_mT6_T7_P12ihipStream_tbENKUlT_T0_E_clISt17integral_constantIbLb1EES10_IbLb0EEEEDaSW_SX_EUlSW_E_NS1_11comp_targetILNS1_3genE3ELNS1_11target_archE908ELNS1_3gpuE7ELNS1_3repE0EEENS1_30default_config_static_selectorELNS0_4arch9wavefront6targetE0EEEvT1_
    .private_segment_fixed_size: 0
    .sgpr_count:     0
    .sgpr_spill_count: 0
    .symbol:         _ZN7rocprim17ROCPRIM_400000_NS6detail17trampoline_kernelINS0_14default_configENS1_27scan_by_key_config_selectorIixEEZZNS1_16scan_by_key_implILNS1_25lookback_scan_determinismE0ELb1ES3_N6thrust23THRUST_200600_302600_NS6detail15normal_iteratorINS9_10device_ptrIiEEEENSB_INSC_IxEEEESG_xNS9_4plusIvEENS9_8equal_toIvEExEE10hipError_tPvRmT2_T3_T4_T5_mT6_T7_P12ihipStream_tbENKUlT_T0_E_clISt17integral_constantIbLb1EES10_IbLb0EEEEDaSW_SX_EUlSW_E_NS1_11comp_targetILNS1_3genE3ELNS1_11target_archE908ELNS1_3gpuE7ELNS1_3repE0EEENS1_30default_config_static_selectorELNS0_4arch9wavefront6targetE0EEEvT1_.kd
    .uniform_work_group_size: 1
    .uses_dynamic_stack: false
    .vgpr_count:     0
    .vgpr_spill_count: 0
    .wavefront_size: 32
    .workgroup_processor_mode: 1
  - .args:
      - .offset:         0
        .size:           136
        .value_kind:     by_value
    .group_segment_fixed_size: 0
    .kernarg_segment_align: 8
    .kernarg_segment_size: 136
    .language:       OpenCL C
    .language_version:
      - 2
      - 0
    .max_flat_workgroup_size: 64
    .name:           _ZN7rocprim17ROCPRIM_400000_NS6detail17trampoline_kernelINS0_14default_configENS1_27scan_by_key_config_selectorIixEEZZNS1_16scan_by_key_implILNS1_25lookback_scan_determinismE0ELb1ES3_N6thrust23THRUST_200600_302600_NS6detail15normal_iteratorINS9_10device_ptrIiEEEENSB_INSC_IxEEEESG_xNS9_4plusIvEENS9_8equal_toIvEExEE10hipError_tPvRmT2_T3_T4_T5_mT6_T7_P12ihipStream_tbENKUlT_T0_E_clISt17integral_constantIbLb1EES10_IbLb0EEEEDaSW_SX_EUlSW_E_NS1_11comp_targetILNS1_3genE2ELNS1_11target_archE906ELNS1_3gpuE6ELNS1_3repE0EEENS1_30default_config_static_selectorELNS0_4arch9wavefront6targetE0EEEvT1_
    .private_segment_fixed_size: 0
    .sgpr_count:     0
    .sgpr_spill_count: 0
    .symbol:         _ZN7rocprim17ROCPRIM_400000_NS6detail17trampoline_kernelINS0_14default_configENS1_27scan_by_key_config_selectorIixEEZZNS1_16scan_by_key_implILNS1_25lookback_scan_determinismE0ELb1ES3_N6thrust23THRUST_200600_302600_NS6detail15normal_iteratorINS9_10device_ptrIiEEEENSB_INSC_IxEEEESG_xNS9_4plusIvEENS9_8equal_toIvEExEE10hipError_tPvRmT2_T3_T4_T5_mT6_T7_P12ihipStream_tbENKUlT_T0_E_clISt17integral_constantIbLb1EES10_IbLb0EEEEDaSW_SX_EUlSW_E_NS1_11comp_targetILNS1_3genE2ELNS1_11target_archE906ELNS1_3gpuE6ELNS1_3repE0EEENS1_30default_config_static_selectorELNS0_4arch9wavefront6targetE0EEEvT1_.kd
    .uniform_work_group_size: 1
    .uses_dynamic_stack: false
    .vgpr_count:     0
    .vgpr_spill_count: 0
    .wavefront_size: 32
    .workgroup_processor_mode: 1
  - .args:
      - .offset:         0
        .size:           136
        .value_kind:     by_value
    .group_segment_fixed_size: 0
    .kernarg_segment_align: 8
    .kernarg_segment_size: 136
    .language:       OpenCL C
    .language_version:
      - 2
      - 0
    .max_flat_workgroup_size: 256
    .name:           _ZN7rocprim17ROCPRIM_400000_NS6detail17trampoline_kernelINS0_14default_configENS1_27scan_by_key_config_selectorIixEEZZNS1_16scan_by_key_implILNS1_25lookback_scan_determinismE0ELb1ES3_N6thrust23THRUST_200600_302600_NS6detail15normal_iteratorINS9_10device_ptrIiEEEENSB_INSC_IxEEEESG_xNS9_4plusIvEENS9_8equal_toIvEExEE10hipError_tPvRmT2_T3_T4_T5_mT6_T7_P12ihipStream_tbENKUlT_T0_E_clISt17integral_constantIbLb1EES10_IbLb0EEEEDaSW_SX_EUlSW_E_NS1_11comp_targetILNS1_3genE10ELNS1_11target_archE1200ELNS1_3gpuE4ELNS1_3repE0EEENS1_30default_config_static_selectorELNS0_4arch9wavefront6targetE0EEEvT1_
    .private_segment_fixed_size: 0
    .sgpr_count:     0
    .sgpr_spill_count: 0
    .symbol:         _ZN7rocprim17ROCPRIM_400000_NS6detail17trampoline_kernelINS0_14default_configENS1_27scan_by_key_config_selectorIixEEZZNS1_16scan_by_key_implILNS1_25lookback_scan_determinismE0ELb1ES3_N6thrust23THRUST_200600_302600_NS6detail15normal_iteratorINS9_10device_ptrIiEEEENSB_INSC_IxEEEESG_xNS9_4plusIvEENS9_8equal_toIvEExEE10hipError_tPvRmT2_T3_T4_T5_mT6_T7_P12ihipStream_tbENKUlT_T0_E_clISt17integral_constantIbLb1EES10_IbLb0EEEEDaSW_SX_EUlSW_E_NS1_11comp_targetILNS1_3genE10ELNS1_11target_archE1200ELNS1_3gpuE4ELNS1_3repE0EEENS1_30default_config_static_selectorELNS0_4arch9wavefront6targetE0EEEvT1_.kd
    .uniform_work_group_size: 1
    .uses_dynamic_stack: false
    .vgpr_count:     0
    .vgpr_spill_count: 0
    .wavefront_size: 32
    .workgroup_processor_mode: 1
  - .args:
      - .offset:         0
        .size:           136
        .value_kind:     by_value
    .group_segment_fixed_size: 0
    .kernarg_segment_align: 8
    .kernarg_segment_size: 136
    .language:       OpenCL C
    .language_version:
      - 2
      - 0
    .max_flat_workgroup_size: 256
    .name:           _ZN7rocprim17ROCPRIM_400000_NS6detail17trampoline_kernelINS0_14default_configENS1_27scan_by_key_config_selectorIixEEZZNS1_16scan_by_key_implILNS1_25lookback_scan_determinismE0ELb1ES3_N6thrust23THRUST_200600_302600_NS6detail15normal_iteratorINS9_10device_ptrIiEEEENSB_INSC_IxEEEESG_xNS9_4plusIvEENS9_8equal_toIvEExEE10hipError_tPvRmT2_T3_T4_T5_mT6_T7_P12ihipStream_tbENKUlT_T0_E_clISt17integral_constantIbLb1EES10_IbLb0EEEEDaSW_SX_EUlSW_E_NS1_11comp_targetILNS1_3genE9ELNS1_11target_archE1100ELNS1_3gpuE3ELNS1_3repE0EEENS1_30default_config_static_selectorELNS0_4arch9wavefront6targetE0EEEvT1_
    .private_segment_fixed_size: 0
    .sgpr_count:     0
    .sgpr_spill_count: 0
    .symbol:         _ZN7rocprim17ROCPRIM_400000_NS6detail17trampoline_kernelINS0_14default_configENS1_27scan_by_key_config_selectorIixEEZZNS1_16scan_by_key_implILNS1_25lookback_scan_determinismE0ELb1ES3_N6thrust23THRUST_200600_302600_NS6detail15normal_iteratorINS9_10device_ptrIiEEEENSB_INSC_IxEEEESG_xNS9_4plusIvEENS9_8equal_toIvEExEE10hipError_tPvRmT2_T3_T4_T5_mT6_T7_P12ihipStream_tbENKUlT_T0_E_clISt17integral_constantIbLb1EES10_IbLb0EEEEDaSW_SX_EUlSW_E_NS1_11comp_targetILNS1_3genE9ELNS1_11target_archE1100ELNS1_3gpuE3ELNS1_3repE0EEENS1_30default_config_static_selectorELNS0_4arch9wavefront6targetE0EEEvT1_.kd
    .uniform_work_group_size: 1
    .uses_dynamic_stack: false
    .vgpr_count:     0
    .vgpr_spill_count: 0
    .wavefront_size: 32
    .workgroup_processor_mode: 1
  - .args:
      - .offset:         0
        .size:           136
        .value_kind:     by_value
    .group_segment_fixed_size: 0
    .kernarg_segment_align: 8
    .kernarg_segment_size: 136
    .language:       OpenCL C
    .language_version:
      - 2
      - 0
    .max_flat_workgroup_size: 256
    .name:           _ZN7rocprim17ROCPRIM_400000_NS6detail17trampoline_kernelINS0_14default_configENS1_27scan_by_key_config_selectorIixEEZZNS1_16scan_by_key_implILNS1_25lookback_scan_determinismE0ELb1ES3_N6thrust23THRUST_200600_302600_NS6detail15normal_iteratorINS9_10device_ptrIiEEEENSB_INSC_IxEEEESG_xNS9_4plusIvEENS9_8equal_toIvEExEE10hipError_tPvRmT2_T3_T4_T5_mT6_T7_P12ihipStream_tbENKUlT_T0_E_clISt17integral_constantIbLb1EES10_IbLb0EEEEDaSW_SX_EUlSW_E_NS1_11comp_targetILNS1_3genE8ELNS1_11target_archE1030ELNS1_3gpuE2ELNS1_3repE0EEENS1_30default_config_static_selectorELNS0_4arch9wavefront6targetE0EEEvT1_
    .private_segment_fixed_size: 0
    .sgpr_count:     0
    .sgpr_spill_count: 0
    .symbol:         _ZN7rocprim17ROCPRIM_400000_NS6detail17trampoline_kernelINS0_14default_configENS1_27scan_by_key_config_selectorIixEEZZNS1_16scan_by_key_implILNS1_25lookback_scan_determinismE0ELb1ES3_N6thrust23THRUST_200600_302600_NS6detail15normal_iteratorINS9_10device_ptrIiEEEENSB_INSC_IxEEEESG_xNS9_4plusIvEENS9_8equal_toIvEExEE10hipError_tPvRmT2_T3_T4_T5_mT6_T7_P12ihipStream_tbENKUlT_T0_E_clISt17integral_constantIbLb1EES10_IbLb0EEEEDaSW_SX_EUlSW_E_NS1_11comp_targetILNS1_3genE8ELNS1_11target_archE1030ELNS1_3gpuE2ELNS1_3repE0EEENS1_30default_config_static_selectorELNS0_4arch9wavefront6targetE0EEEvT1_.kd
    .uniform_work_group_size: 1
    .uses_dynamic_stack: false
    .vgpr_count:     0
    .vgpr_spill_count: 0
    .wavefront_size: 32
    .workgroup_processor_mode: 1
  - .args:
      - .offset:         0
        .size:           136
        .value_kind:     by_value
    .group_segment_fixed_size: 0
    .kernarg_segment_align: 8
    .kernarg_segment_size: 136
    .language:       OpenCL C
    .language_version:
      - 2
      - 0
    .max_flat_workgroup_size: 128
    .name:           _ZN7rocprim17ROCPRIM_400000_NS6detail17trampoline_kernelINS0_14default_configENS1_27scan_by_key_config_selectorIixEEZZNS1_16scan_by_key_implILNS1_25lookback_scan_determinismE0ELb1ES3_N6thrust23THRUST_200600_302600_NS6detail15normal_iteratorINS9_10device_ptrIiEEEENSB_INSC_IxEEEESG_xNS9_4plusIvEENS9_8equal_toIvEExEE10hipError_tPvRmT2_T3_T4_T5_mT6_T7_P12ihipStream_tbENKUlT_T0_E_clISt17integral_constantIbLb0EES10_IbLb1EEEEDaSW_SX_EUlSW_E_NS1_11comp_targetILNS1_3genE0ELNS1_11target_archE4294967295ELNS1_3gpuE0ELNS1_3repE0EEENS1_30default_config_static_selectorELNS0_4arch9wavefront6targetE0EEEvT1_
    .private_segment_fixed_size: 0
    .sgpr_count:     0
    .sgpr_spill_count: 0
    .symbol:         _ZN7rocprim17ROCPRIM_400000_NS6detail17trampoline_kernelINS0_14default_configENS1_27scan_by_key_config_selectorIixEEZZNS1_16scan_by_key_implILNS1_25lookback_scan_determinismE0ELb1ES3_N6thrust23THRUST_200600_302600_NS6detail15normal_iteratorINS9_10device_ptrIiEEEENSB_INSC_IxEEEESG_xNS9_4plusIvEENS9_8equal_toIvEExEE10hipError_tPvRmT2_T3_T4_T5_mT6_T7_P12ihipStream_tbENKUlT_T0_E_clISt17integral_constantIbLb0EES10_IbLb1EEEEDaSW_SX_EUlSW_E_NS1_11comp_targetILNS1_3genE0ELNS1_11target_archE4294967295ELNS1_3gpuE0ELNS1_3repE0EEENS1_30default_config_static_selectorELNS0_4arch9wavefront6targetE0EEEvT1_.kd
    .uniform_work_group_size: 1
    .uses_dynamic_stack: false
    .vgpr_count:     0
    .vgpr_spill_count: 0
    .wavefront_size: 32
    .workgroup_processor_mode: 1
  - .args:
      - .offset:         0
        .size:           136
        .value_kind:     by_value
    .group_segment_fixed_size: 0
    .kernarg_segment_align: 8
    .kernarg_segment_size: 136
    .language:       OpenCL C
    .language_version:
      - 2
      - 0
    .max_flat_workgroup_size: 256
    .name:           _ZN7rocprim17ROCPRIM_400000_NS6detail17trampoline_kernelINS0_14default_configENS1_27scan_by_key_config_selectorIixEEZZNS1_16scan_by_key_implILNS1_25lookback_scan_determinismE0ELb1ES3_N6thrust23THRUST_200600_302600_NS6detail15normal_iteratorINS9_10device_ptrIiEEEENSB_INSC_IxEEEESG_xNS9_4plusIvEENS9_8equal_toIvEExEE10hipError_tPvRmT2_T3_T4_T5_mT6_T7_P12ihipStream_tbENKUlT_T0_E_clISt17integral_constantIbLb0EES10_IbLb1EEEEDaSW_SX_EUlSW_E_NS1_11comp_targetILNS1_3genE10ELNS1_11target_archE1201ELNS1_3gpuE5ELNS1_3repE0EEENS1_30default_config_static_selectorELNS0_4arch9wavefront6targetE0EEEvT1_
    .private_segment_fixed_size: 0
    .sgpr_count:     0
    .sgpr_spill_count: 0
    .symbol:         _ZN7rocprim17ROCPRIM_400000_NS6detail17trampoline_kernelINS0_14default_configENS1_27scan_by_key_config_selectorIixEEZZNS1_16scan_by_key_implILNS1_25lookback_scan_determinismE0ELb1ES3_N6thrust23THRUST_200600_302600_NS6detail15normal_iteratorINS9_10device_ptrIiEEEENSB_INSC_IxEEEESG_xNS9_4plusIvEENS9_8equal_toIvEExEE10hipError_tPvRmT2_T3_T4_T5_mT6_T7_P12ihipStream_tbENKUlT_T0_E_clISt17integral_constantIbLb0EES10_IbLb1EEEEDaSW_SX_EUlSW_E_NS1_11comp_targetILNS1_3genE10ELNS1_11target_archE1201ELNS1_3gpuE5ELNS1_3repE0EEENS1_30default_config_static_selectorELNS0_4arch9wavefront6targetE0EEEvT1_.kd
    .uniform_work_group_size: 1
    .uses_dynamic_stack: false
    .vgpr_count:     0
    .vgpr_spill_count: 0
    .wavefront_size: 32
    .workgroup_processor_mode: 1
  - .args:
      - .offset:         0
        .size:           136
        .value_kind:     by_value
    .group_segment_fixed_size: 0
    .kernarg_segment_align: 8
    .kernarg_segment_size: 136
    .language:       OpenCL C
    .language_version:
      - 2
      - 0
    .max_flat_workgroup_size: 256
    .name:           _ZN7rocprim17ROCPRIM_400000_NS6detail17trampoline_kernelINS0_14default_configENS1_27scan_by_key_config_selectorIixEEZZNS1_16scan_by_key_implILNS1_25lookback_scan_determinismE0ELb1ES3_N6thrust23THRUST_200600_302600_NS6detail15normal_iteratorINS9_10device_ptrIiEEEENSB_INSC_IxEEEESG_xNS9_4plusIvEENS9_8equal_toIvEExEE10hipError_tPvRmT2_T3_T4_T5_mT6_T7_P12ihipStream_tbENKUlT_T0_E_clISt17integral_constantIbLb0EES10_IbLb1EEEEDaSW_SX_EUlSW_E_NS1_11comp_targetILNS1_3genE5ELNS1_11target_archE942ELNS1_3gpuE9ELNS1_3repE0EEENS1_30default_config_static_selectorELNS0_4arch9wavefront6targetE0EEEvT1_
    .private_segment_fixed_size: 0
    .sgpr_count:     0
    .sgpr_spill_count: 0
    .symbol:         _ZN7rocprim17ROCPRIM_400000_NS6detail17trampoline_kernelINS0_14default_configENS1_27scan_by_key_config_selectorIixEEZZNS1_16scan_by_key_implILNS1_25lookback_scan_determinismE0ELb1ES3_N6thrust23THRUST_200600_302600_NS6detail15normal_iteratorINS9_10device_ptrIiEEEENSB_INSC_IxEEEESG_xNS9_4plusIvEENS9_8equal_toIvEExEE10hipError_tPvRmT2_T3_T4_T5_mT6_T7_P12ihipStream_tbENKUlT_T0_E_clISt17integral_constantIbLb0EES10_IbLb1EEEEDaSW_SX_EUlSW_E_NS1_11comp_targetILNS1_3genE5ELNS1_11target_archE942ELNS1_3gpuE9ELNS1_3repE0EEENS1_30default_config_static_selectorELNS0_4arch9wavefront6targetE0EEEvT1_.kd
    .uniform_work_group_size: 1
    .uses_dynamic_stack: false
    .vgpr_count:     0
    .vgpr_spill_count: 0
    .wavefront_size: 32
    .workgroup_processor_mode: 1
  - .args:
      - .offset:         0
        .size:           136
        .value_kind:     by_value
    .group_segment_fixed_size: 0
    .kernarg_segment_align: 8
    .kernarg_segment_size: 136
    .language:       OpenCL C
    .language_version:
      - 2
      - 0
    .max_flat_workgroup_size: 64
    .name:           _ZN7rocprim17ROCPRIM_400000_NS6detail17trampoline_kernelINS0_14default_configENS1_27scan_by_key_config_selectorIixEEZZNS1_16scan_by_key_implILNS1_25lookback_scan_determinismE0ELb1ES3_N6thrust23THRUST_200600_302600_NS6detail15normal_iteratorINS9_10device_ptrIiEEEENSB_INSC_IxEEEESG_xNS9_4plusIvEENS9_8equal_toIvEExEE10hipError_tPvRmT2_T3_T4_T5_mT6_T7_P12ihipStream_tbENKUlT_T0_E_clISt17integral_constantIbLb0EES10_IbLb1EEEEDaSW_SX_EUlSW_E_NS1_11comp_targetILNS1_3genE4ELNS1_11target_archE910ELNS1_3gpuE8ELNS1_3repE0EEENS1_30default_config_static_selectorELNS0_4arch9wavefront6targetE0EEEvT1_
    .private_segment_fixed_size: 0
    .sgpr_count:     0
    .sgpr_spill_count: 0
    .symbol:         _ZN7rocprim17ROCPRIM_400000_NS6detail17trampoline_kernelINS0_14default_configENS1_27scan_by_key_config_selectorIixEEZZNS1_16scan_by_key_implILNS1_25lookback_scan_determinismE0ELb1ES3_N6thrust23THRUST_200600_302600_NS6detail15normal_iteratorINS9_10device_ptrIiEEEENSB_INSC_IxEEEESG_xNS9_4plusIvEENS9_8equal_toIvEExEE10hipError_tPvRmT2_T3_T4_T5_mT6_T7_P12ihipStream_tbENKUlT_T0_E_clISt17integral_constantIbLb0EES10_IbLb1EEEEDaSW_SX_EUlSW_E_NS1_11comp_targetILNS1_3genE4ELNS1_11target_archE910ELNS1_3gpuE8ELNS1_3repE0EEENS1_30default_config_static_selectorELNS0_4arch9wavefront6targetE0EEEvT1_.kd
    .uniform_work_group_size: 1
    .uses_dynamic_stack: false
    .vgpr_count:     0
    .vgpr_spill_count: 0
    .wavefront_size: 32
    .workgroup_processor_mode: 1
  - .args:
      - .offset:         0
        .size:           136
        .value_kind:     by_value
    .group_segment_fixed_size: 0
    .kernarg_segment_align: 8
    .kernarg_segment_size: 136
    .language:       OpenCL C
    .language_version:
      - 2
      - 0
    .max_flat_workgroup_size: 128
    .name:           _ZN7rocprim17ROCPRIM_400000_NS6detail17trampoline_kernelINS0_14default_configENS1_27scan_by_key_config_selectorIixEEZZNS1_16scan_by_key_implILNS1_25lookback_scan_determinismE0ELb1ES3_N6thrust23THRUST_200600_302600_NS6detail15normal_iteratorINS9_10device_ptrIiEEEENSB_INSC_IxEEEESG_xNS9_4plusIvEENS9_8equal_toIvEExEE10hipError_tPvRmT2_T3_T4_T5_mT6_T7_P12ihipStream_tbENKUlT_T0_E_clISt17integral_constantIbLb0EES10_IbLb1EEEEDaSW_SX_EUlSW_E_NS1_11comp_targetILNS1_3genE3ELNS1_11target_archE908ELNS1_3gpuE7ELNS1_3repE0EEENS1_30default_config_static_selectorELNS0_4arch9wavefront6targetE0EEEvT1_
    .private_segment_fixed_size: 0
    .sgpr_count:     0
    .sgpr_spill_count: 0
    .symbol:         _ZN7rocprim17ROCPRIM_400000_NS6detail17trampoline_kernelINS0_14default_configENS1_27scan_by_key_config_selectorIixEEZZNS1_16scan_by_key_implILNS1_25lookback_scan_determinismE0ELb1ES3_N6thrust23THRUST_200600_302600_NS6detail15normal_iteratorINS9_10device_ptrIiEEEENSB_INSC_IxEEEESG_xNS9_4plusIvEENS9_8equal_toIvEExEE10hipError_tPvRmT2_T3_T4_T5_mT6_T7_P12ihipStream_tbENKUlT_T0_E_clISt17integral_constantIbLb0EES10_IbLb1EEEEDaSW_SX_EUlSW_E_NS1_11comp_targetILNS1_3genE3ELNS1_11target_archE908ELNS1_3gpuE7ELNS1_3repE0EEENS1_30default_config_static_selectorELNS0_4arch9wavefront6targetE0EEEvT1_.kd
    .uniform_work_group_size: 1
    .uses_dynamic_stack: false
    .vgpr_count:     0
    .vgpr_spill_count: 0
    .wavefront_size: 32
    .workgroup_processor_mode: 1
  - .args:
      - .offset:         0
        .size:           136
        .value_kind:     by_value
    .group_segment_fixed_size: 0
    .kernarg_segment_align: 8
    .kernarg_segment_size: 136
    .language:       OpenCL C
    .language_version:
      - 2
      - 0
    .max_flat_workgroup_size: 64
    .name:           _ZN7rocprim17ROCPRIM_400000_NS6detail17trampoline_kernelINS0_14default_configENS1_27scan_by_key_config_selectorIixEEZZNS1_16scan_by_key_implILNS1_25lookback_scan_determinismE0ELb1ES3_N6thrust23THRUST_200600_302600_NS6detail15normal_iteratorINS9_10device_ptrIiEEEENSB_INSC_IxEEEESG_xNS9_4plusIvEENS9_8equal_toIvEExEE10hipError_tPvRmT2_T3_T4_T5_mT6_T7_P12ihipStream_tbENKUlT_T0_E_clISt17integral_constantIbLb0EES10_IbLb1EEEEDaSW_SX_EUlSW_E_NS1_11comp_targetILNS1_3genE2ELNS1_11target_archE906ELNS1_3gpuE6ELNS1_3repE0EEENS1_30default_config_static_selectorELNS0_4arch9wavefront6targetE0EEEvT1_
    .private_segment_fixed_size: 0
    .sgpr_count:     0
    .sgpr_spill_count: 0
    .symbol:         _ZN7rocprim17ROCPRIM_400000_NS6detail17trampoline_kernelINS0_14default_configENS1_27scan_by_key_config_selectorIixEEZZNS1_16scan_by_key_implILNS1_25lookback_scan_determinismE0ELb1ES3_N6thrust23THRUST_200600_302600_NS6detail15normal_iteratorINS9_10device_ptrIiEEEENSB_INSC_IxEEEESG_xNS9_4plusIvEENS9_8equal_toIvEExEE10hipError_tPvRmT2_T3_T4_T5_mT6_T7_P12ihipStream_tbENKUlT_T0_E_clISt17integral_constantIbLb0EES10_IbLb1EEEEDaSW_SX_EUlSW_E_NS1_11comp_targetILNS1_3genE2ELNS1_11target_archE906ELNS1_3gpuE6ELNS1_3repE0EEENS1_30default_config_static_selectorELNS0_4arch9wavefront6targetE0EEEvT1_.kd
    .uniform_work_group_size: 1
    .uses_dynamic_stack: false
    .vgpr_count:     0
    .vgpr_spill_count: 0
    .wavefront_size: 32
    .workgroup_processor_mode: 1
  - .args:
      - .offset:         0
        .size:           136
        .value_kind:     by_value
    .group_segment_fixed_size: 0
    .kernarg_segment_align: 8
    .kernarg_segment_size: 136
    .language:       OpenCL C
    .language_version:
      - 2
      - 0
    .max_flat_workgroup_size: 256
    .name:           _ZN7rocprim17ROCPRIM_400000_NS6detail17trampoline_kernelINS0_14default_configENS1_27scan_by_key_config_selectorIixEEZZNS1_16scan_by_key_implILNS1_25lookback_scan_determinismE0ELb1ES3_N6thrust23THRUST_200600_302600_NS6detail15normal_iteratorINS9_10device_ptrIiEEEENSB_INSC_IxEEEESG_xNS9_4plusIvEENS9_8equal_toIvEExEE10hipError_tPvRmT2_T3_T4_T5_mT6_T7_P12ihipStream_tbENKUlT_T0_E_clISt17integral_constantIbLb0EES10_IbLb1EEEEDaSW_SX_EUlSW_E_NS1_11comp_targetILNS1_3genE10ELNS1_11target_archE1200ELNS1_3gpuE4ELNS1_3repE0EEENS1_30default_config_static_selectorELNS0_4arch9wavefront6targetE0EEEvT1_
    .private_segment_fixed_size: 0
    .sgpr_count:     0
    .sgpr_spill_count: 0
    .symbol:         _ZN7rocprim17ROCPRIM_400000_NS6detail17trampoline_kernelINS0_14default_configENS1_27scan_by_key_config_selectorIixEEZZNS1_16scan_by_key_implILNS1_25lookback_scan_determinismE0ELb1ES3_N6thrust23THRUST_200600_302600_NS6detail15normal_iteratorINS9_10device_ptrIiEEEENSB_INSC_IxEEEESG_xNS9_4plusIvEENS9_8equal_toIvEExEE10hipError_tPvRmT2_T3_T4_T5_mT6_T7_P12ihipStream_tbENKUlT_T0_E_clISt17integral_constantIbLb0EES10_IbLb1EEEEDaSW_SX_EUlSW_E_NS1_11comp_targetILNS1_3genE10ELNS1_11target_archE1200ELNS1_3gpuE4ELNS1_3repE0EEENS1_30default_config_static_selectorELNS0_4arch9wavefront6targetE0EEEvT1_.kd
    .uniform_work_group_size: 1
    .uses_dynamic_stack: false
    .vgpr_count:     0
    .vgpr_spill_count: 0
    .wavefront_size: 32
    .workgroup_processor_mode: 1
  - .args:
      - .offset:         0
        .size:           136
        .value_kind:     by_value
    .group_segment_fixed_size: 0
    .kernarg_segment_align: 8
    .kernarg_segment_size: 136
    .language:       OpenCL C
    .language_version:
      - 2
      - 0
    .max_flat_workgroup_size: 256
    .name:           _ZN7rocprim17ROCPRIM_400000_NS6detail17trampoline_kernelINS0_14default_configENS1_27scan_by_key_config_selectorIixEEZZNS1_16scan_by_key_implILNS1_25lookback_scan_determinismE0ELb1ES3_N6thrust23THRUST_200600_302600_NS6detail15normal_iteratorINS9_10device_ptrIiEEEENSB_INSC_IxEEEESG_xNS9_4plusIvEENS9_8equal_toIvEExEE10hipError_tPvRmT2_T3_T4_T5_mT6_T7_P12ihipStream_tbENKUlT_T0_E_clISt17integral_constantIbLb0EES10_IbLb1EEEEDaSW_SX_EUlSW_E_NS1_11comp_targetILNS1_3genE9ELNS1_11target_archE1100ELNS1_3gpuE3ELNS1_3repE0EEENS1_30default_config_static_selectorELNS0_4arch9wavefront6targetE0EEEvT1_
    .private_segment_fixed_size: 0
    .sgpr_count:     0
    .sgpr_spill_count: 0
    .symbol:         _ZN7rocprim17ROCPRIM_400000_NS6detail17trampoline_kernelINS0_14default_configENS1_27scan_by_key_config_selectorIixEEZZNS1_16scan_by_key_implILNS1_25lookback_scan_determinismE0ELb1ES3_N6thrust23THRUST_200600_302600_NS6detail15normal_iteratorINS9_10device_ptrIiEEEENSB_INSC_IxEEEESG_xNS9_4plusIvEENS9_8equal_toIvEExEE10hipError_tPvRmT2_T3_T4_T5_mT6_T7_P12ihipStream_tbENKUlT_T0_E_clISt17integral_constantIbLb0EES10_IbLb1EEEEDaSW_SX_EUlSW_E_NS1_11comp_targetILNS1_3genE9ELNS1_11target_archE1100ELNS1_3gpuE3ELNS1_3repE0EEENS1_30default_config_static_selectorELNS0_4arch9wavefront6targetE0EEEvT1_.kd
    .uniform_work_group_size: 1
    .uses_dynamic_stack: false
    .vgpr_count:     0
    .vgpr_spill_count: 0
    .wavefront_size: 32
    .workgroup_processor_mode: 1
  - .args:
      - .offset:         0
        .size:           136
        .value_kind:     by_value
    .group_segment_fixed_size: 6144
    .kernarg_segment_align: 8
    .kernarg_segment_size: 136
    .language:       OpenCL C
    .language_version:
      - 2
      - 0
    .max_flat_workgroup_size: 256
    .name:           _ZN7rocprim17ROCPRIM_400000_NS6detail17trampoline_kernelINS0_14default_configENS1_27scan_by_key_config_selectorIixEEZZNS1_16scan_by_key_implILNS1_25lookback_scan_determinismE0ELb1ES3_N6thrust23THRUST_200600_302600_NS6detail15normal_iteratorINS9_10device_ptrIiEEEENSB_INSC_IxEEEESG_xNS9_4plusIvEENS9_8equal_toIvEExEE10hipError_tPvRmT2_T3_T4_T5_mT6_T7_P12ihipStream_tbENKUlT_T0_E_clISt17integral_constantIbLb0EES10_IbLb1EEEEDaSW_SX_EUlSW_E_NS1_11comp_targetILNS1_3genE8ELNS1_11target_archE1030ELNS1_3gpuE2ELNS1_3repE0EEENS1_30default_config_static_selectorELNS0_4arch9wavefront6targetE0EEEvT1_
    .private_segment_fixed_size: 0
    .sgpr_count:     39
    .sgpr_spill_count: 0
    .symbol:         _ZN7rocprim17ROCPRIM_400000_NS6detail17trampoline_kernelINS0_14default_configENS1_27scan_by_key_config_selectorIixEEZZNS1_16scan_by_key_implILNS1_25lookback_scan_determinismE0ELb1ES3_N6thrust23THRUST_200600_302600_NS6detail15normal_iteratorINS9_10device_ptrIiEEEENSB_INSC_IxEEEESG_xNS9_4plusIvEENS9_8equal_toIvEExEE10hipError_tPvRmT2_T3_T4_T5_mT6_T7_P12ihipStream_tbENKUlT_T0_E_clISt17integral_constantIbLb0EES10_IbLb1EEEEDaSW_SX_EUlSW_E_NS1_11comp_targetILNS1_3genE8ELNS1_11target_archE1030ELNS1_3gpuE2ELNS1_3repE0EEENS1_30default_config_static_selectorELNS0_4arch9wavefront6targetE0EEEvT1_.kd
    .uniform_work_group_size: 1
    .uses_dynamic_stack: false
    .vgpr_count:     48
    .vgpr_spill_count: 0
    .wavefront_size: 32
    .workgroup_processor_mode: 1
  - .args:
      - .offset:         0
        .size:           112
        .value_kind:     by_value
    .group_segment_fixed_size: 0
    .kernarg_segment_align: 8
    .kernarg_segment_size: 112
    .language:       OpenCL C
    .language_version:
      - 2
      - 0
    .max_flat_workgroup_size: 256
    .name:           _ZN7rocprim17ROCPRIM_400000_NS6detail17trampoline_kernelINS0_14default_configENS1_27scan_by_key_config_selectorIisEEZZNS1_16scan_by_key_implILNS1_25lookback_scan_determinismE0ELb1ES3_N6thrust23THRUST_200600_302600_NS6detail15normal_iteratorINS9_10device_ptrIiEEEENSB_INSC_IsEEEESG_sNS9_4plusIvEENS9_8equal_toIvEEsEE10hipError_tPvRmT2_T3_T4_T5_mT6_T7_P12ihipStream_tbENKUlT_T0_E_clISt17integral_constantIbLb0EES11_EEDaSW_SX_EUlSW_E_NS1_11comp_targetILNS1_3genE0ELNS1_11target_archE4294967295ELNS1_3gpuE0ELNS1_3repE0EEENS1_30default_config_static_selectorELNS0_4arch9wavefront6targetE0EEEvT1_
    .private_segment_fixed_size: 0
    .sgpr_count:     0
    .sgpr_spill_count: 0
    .symbol:         _ZN7rocprim17ROCPRIM_400000_NS6detail17trampoline_kernelINS0_14default_configENS1_27scan_by_key_config_selectorIisEEZZNS1_16scan_by_key_implILNS1_25lookback_scan_determinismE0ELb1ES3_N6thrust23THRUST_200600_302600_NS6detail15normal_iteratorINS9_10device_ptrIiEEEENSB_INSC_IsEEEESG_sNS9_4plusIvEENS9_8equal_toIvEEsEE10hipError_tPvRmT2_T3_T4_T5_mT6_T7_P12ihipStream_tbENKUlT_T0_E_clISt17integral_constantIbLb0EES11_EEDaSW_SX_EUlSW_E_NS1_11comp_targetILNS1_3genE0ELNS1_11target_archE4294967295ELNS1_3gpuE0ELNS1_3repE0EEENS1_30default_config_static_selectorELNS0_4arch9wavefront6targetE0EEEvT1_.kd
    .uniform_work_group_size: 1
    .uses_dynamic_stack: false
    .vgpr_count:     0
    .vgpr_spill_count: 0
    .wavefront_size: 32
    .workgroup_processor_mode: 1
  - .args:
      - .offset:         0
        .size:           112
        .value_kind:     by_value
    .group_segment_fixed_size: 0
    .kernarg_segment_align: 8
    .kernarg_segment_size: 112
    .language:       OpenCL C
    .language_version:
      - 2
      - 0
    .max_flat_workgroup_size: 256
    .name:           _ZN7rocprim17ROCPRIM_400000_NS6detail17trampoline_kernelINS0_14default_configENS1_27scan_by_key_config_selectorIisEEZZNS1_16scan_by_key_implILNS1_25lookback_scan_determinismE0ELb1ES3_N6thrust23THRUST_200600_302600_NS6detail15normal_iteratorINS9_10device_ptrIiEEEENSB_INSC_IsEEEESG_sNS9_4plusIvEENS9_8equal_toIvEEsEE10hipError_tPvRmT2_T3_T4_T5_mT6_T7_P12ihipStream_tbENKUlT_T0_E_clISt17integral_constantIbLb0EES11_EEDaSW_SX_EUlSW_E_NS1_11comp_targetILNS1_3genE10ELNS1_11target_archE1201ELNS1_3gpuE5ELNS1_3repE0EEENS1_30default_config_static_selectorELNS0_4arch9wavefront6targetE0EEEvT1_
    .private_segment_fixed_size: 0
    .sgpr_count:     0
    .sgpr_spill_count: 0
    .symbol:         _ZN7rocprim17ROCPRIM_400000_NS6detail17trampoline_kernelINS0_14default_configENS1_27scan_by_key_config_selectorIisEEZZNS1_16scan_by_key_implILNS1_25lookback_scan_determinismE0ELb1ES3_N6thrust23THRUST_200600_302600_NS6detail15normal_iteratorINS9_10device_ptrIiEEEENSB_INSC_IsEEEESG_sNS9_4plusIvEENS9_8equal_toIvEEsEE10hipError_tPvRmT2_T3_T4_T5_mT6_T7_P12ihipStream_tbENKUlT_T0_E_clISt17integral_constantIbLb0EES11_EEDaSW_SX_EUlSW_E_NS1_11comp_targetILNS1_3genE10ELNS1_11target_archE1201ELNS1_3gpuE5ELNS1_3repE0EEENS1_30default_config_static_selectorELNS0_4arch9wavefront6targetE0EEEvT1_.kd
    .uniform_work_group_size: 1
    .uses_dynamic_stack: false
    .vgpr_count:     0
    .vgpr_spill_count: 0
    .wavefront_size: 32
    .workgroup_processor_mode: 1
  - .args:
      - .offset:         0
        .size:           112
        .value_kind:     by_value
    .group_segment_fixed_size: 0
    .kernarg_segment_align: 8
    .kernarg_segment_size: 112
    .language:       OpenCL C
    .language_version:
      - 2
      - 0
    .max_flat_workgroup_size: 256
    .name:           _ZN7rocprim17ROCPRIM_400000_NS6detail17trampoline_kernelINS0_14default_configENS1_27scan_by_key_config_selectorIisEEZZNS1_16scan_by_key_implILNS1_25lookback_scan_determinismE0ELb1ES3_N6thrust23THRUST_200600_302600_NS6detail15normal_iteratorINS9_10device_ptrIiEEEENSB_INSC_IsEEEESG_sNS9_4plusIvEENS9_8equal_toIvEEsEE10hipError_tPvRmT2_T3_T4_T5_mT6_T7_P12ihipStream_tbENKUlT_T0_E_clISt17integral_constantIbLb0EES11_EEDaSW_SX_EUlSW_E_NS1_11comp_targetILNS1_3genE5ELNS1_11target_archE942ELNS1_3gpuE9ELNS1_3repE0EEENS1_30default_config_static_selectorELNS0_4arch9wavefront6targetE0EEEvT1_
    .private_segment_fixed_size: 0
    .sgpr_count:     0
    .sgpr_spill_count: 0
    .symbol:         _ZN7rocprim17ROCPRIM_400000_NS6detail17trampoline_kernelINS0_14default_configENS1_27scan_by_key_config_selectorIisEEZZNS1_16scan_by_key_implILNS1_25lookback_scan_determinismE0ELb1ES3_N6thrust23THRUST_200600_302600_NS6detail15normal_iteratorINS9_10device_ptrIiEEEENSB_INSC_IsEEEESG_sNS9_4plusIvEENS9_8equal_toIvEEsEE10hipError_tPvRmT2_T3_T4_T5_mT6_T7_P12ihipStream_tbENKUlT_T0_E_clISt17integral_constantIbLb0EES11_EEDaSW_SX_EUlSW_E_NS1_11comp_targetILNS1_3genE5ELNS1_11target_archE942ELNS1_3gpuE9ELNS1_3repE0EEENS1_30default_config_static_selectorELNS0_4arch9wavefront6targetE0EEEvT1_.kd
    .uniform_work_group_size: 1
    .uses_dynamic_stack: false
    .vgpr_count:     0
    .vgpr_spill_count: 0
    .wavefront_size: 32
    .workgroup_processor_mode: 1
  - .args:
      - .offset:         0
        .size:           112
        .value_kind:     by_value
    .group_segment_fixed_size: 0
    .kernarg_segment_align: 8
    .kernarg_segment_size: 112
    .language:       OpenCL C
    .language_version:
      - 2
      - 0
    .max_flat_workgroup_size: 64
    .name:           _ZN7rocprim17ROCPRIM_400000_NS6detail17trampoline_kernelINS0_14default_configENS1_27scan_by_key_config_selectorIisEEZZNS1_16scan_by_key_implILNS1_25lookback_scan_determinismE0ELb1ES3_N6thrust23THRUST_200600_302600_NS6detail15normal_iteratorINS9_10device_ptrIiEEEENSB_INSC_IsEEEESG_sNS9_4plusIvEENS9_8equal_toIvEEsEE10hipError_tPvRmT2_T3_T4_T5_mT6_T7_P12ihipStream_tbENKUlT_T0_E_clISt17integral_constantIbLb0EES11_EEDaSW_SX_EUlSW_E_NS1_11comp_targetILNS1_3genE4ELNS1_11target_archE910ELNS1_3gpuE8ELNS1_3repE0EEENS1_30default_config_static_selectorELNS0_4arch9wavefront6targetE0EEEvT1_
    .private_segment_fixed_size: 0
    .sgpr_count:     0
    .sgpr_spill_count: 0
    .symbol:         _ZN7rocprim17ROCPRIM_400000_NS6detail17trampoline_kernelINS0_14default_configENS1_27scan_by_key_config_selectorIisEEZZNS1_16scan_by_key_implILNS1_25lookback_scan_determinismE0ELb1ES3_N6thrust23THRUST_200600_302600_NS6detail15normal_iteratorINS9_10device_ptrIiEEEENSB_INSC_IsEEEESG_sNS9_4plusIvEENS9_8equal_toIvEEsEE10hipError_tPvRmT2_T3_T4_T5_mT6_T7_P12ihipStream_tbENKUlT_T0_E_clISt17integral_constantIbLb0EES11_EEDaSW_SX_EUlSW_E_NS1_11comp_targetILNS1_3genE4ELNS1_11target_archE910ELNS1_3gpuE8ELNS1_3repE0EEENS1_30default_config_static_selectorELNS0_4arch9wavefront6targetE0EEEvT1_.kd
    .uniform_work_group_size: 1
    .uses_dynamic_stack: false
    .vgpr_count:     0
    .vgpr_spill_count: 0
    .wavefront_size: 32
    .workgroup_processor_mode: 1
  - .args:
      - .offset:         0
        .size:           112
        .value_kind:     by_value
    .group_segment_fixed_size: 0
    .kernarg_segment_align: 8
    .kernarg_segment_size: 112
    .language:       OpenCL C
    .language_version:
      - 2
      - 0
    .max_flat_workgroup_size: 256
    .name:           _ZN7rocprim17ROCPRIM_400000_NS6detail17trampoline_kernelINS0_14default_configENS1_27scan_by_key_config_selectorIisEEZZNS1_16scan_by_key_implILNS1_25lookback_scan_determinismE0ELb1ES3_N6thrust23THRUST_200600_302600_NS6detail15normal_iteratorINS9_10device_ptrIiEEEENSB_INSC_IsEEEESG_sNS9_4plusIvEENS9_8equal_toIvEEsEE10hipError_tPvRmT2_T3_T4_T5_mT6_T7_P12ihipStream_tbENKUlT_T0_E_clISt17integral_constantIbLb0EES11_EEDaSW_SX_EUlSW_E_NS1_11comp_targetILNS1_3genE3ELNS1_11target_archE908ELNS1_3gpuE7ELNS1_3repE0EEENS1_30default_config_static_selectorELNS0_4arch9wavefront6targetE0EEEvT1_
    .private_segment_fixed_size: 0
    .sgpr_count:     0
    .sgpr_spill_count: 0
    .symbol:         _ZN7rocprim17ROCPRIM_400000_NS6detail17trampoline_kernelINS0_14default_configENS1_27scan_by_key_config_selectorIisEEZZNS1_16scan_by_key_implILNS1_25lookback_scan_determinismE0ELb1ES3_N6thrust23THRUST_200600_302600_NS6detail15normal_iteratorINS9_10device_ptrIiEEEENSB_INSC_IsEEEESG_sNS9_4plusIvEENS9_8equal_toIvEEsEE10hipError_tPvRmT2_T3_T4_T5_mT6_T7_P12ihipStream_tbENKUlT_T0_E_clISt17integral_constantIbLb0EES11_EEDaSW_SX_EUlSW_E_NS1_11comp_targetILNS1_3genE3ELNS1_11target_archE908ELNS1_3gpuE7ELNS1_3repE0EEENS1_30default_config_static_selectorELNS0_4arch9wavefront6targetE0EEEvT1_.kd
    .uniform_work_group_size: 1
    .uses_dynamic_stack: false
    .vgpr_count:     0
    .vgpr_spill_count: 0
    .wavefront_size: 32
    .workgroup_processor_mode: 1
  - .args:
      - .offset:         0
        .size:           112
        .value_kind:     by_value
    .group_segment_fixed_size: 0
    .kernarg_segment_align: 8
    .kernarg_segment_size: 112
    .language:       OpenCL C
    .language_version:
      - 2
      - 0
    .max_flat_workgroup_size: 64
    .name:           _ZN7rocprim17ROCPRIM_400000_NS6detail17trampoline_kernelINS0_14default_configENS1_27scan_by_key_config_selectorIisEEZZNS1_16scan_by_key_implILNS1_25lookback_scan_determinismE0ELb1ES3_N6thrust23THRUST_200600_302600_NS6detail15normal_iteratorINS9_10device_ptrIiEEEENSB_INSC_IsEEEESG_sNS9_4plusIvEENS9_8equal_toIvEEsEE10hipError_tPvRmT2_T3_T4_T5_mT6_T7_P12ihipStream_tbENKUlT_T0_E_clISt17integral_constantIbLb0EES11_EEDaSW_SX_EUlSW_E_NS1_11comp_targetILNS1_3genE2ELNS1_11target_archE906ELNS1_3gpuE6ELNS1_3repE0EEENS1_30default_config_static_selectorELNS0_4arch9wavefront6targetE0EEEvT1_
    .private_segment_fixed_size: 0
    .sgpr_count:     0
    .sgpr_spill_count: 0
    .symbol:         _ZN7rocprim17ROCPRIM_400000_NS6detail17trampoline_kernelINS0_14default_configENS1_27scan_by_key_config_selectorIisEEZZNS1_16scan_by_key_implILNS1_25lookback_scan_determinismE0ELb1ES3_N6thrust23THRUST_200600_302600_NS6detail15normal_iteratorINS9_10device_ptrIiEEEENSB_INSC_IsEEEESG_sNS9_4plusIvEENS9_8equal_toIvEEsEE10hipError_tPvRmT2_T3_T4_T5_mT6_T7_P12ihipStream_tbENKUlT_T0_E_clISt17integral_constantIbLb0EES11_EEDaSW_SX_EUlSW_E_NS1_11comp_targetILNS1_3genE2ELNS1_11target_archE906ELNS1_3gpuE6ELNS1_3repE0EEENS1_30default_config_static_selectorELNS0_4arch9wavefront6targetE0EEEvT1_.kd
    .uniform_work_group_size: 1
    .uses_dynamic_stack: false
    .vgpr_count:     0
    .vgpr_spill_count: 0
    .wavefront_size: 32
    .workgroup_processor_mode: 1
  - .args:
      - .offset:         0
        .size:           112
        .value_kind:     by_value
    .group_segment_fixed_size: 0
    .kernarg_segment_align: 8
    .kernarg_segment_size: 112
    .language:       OpenCL C
    .language_version:
      - 2
      - 0
    .max_flat_workgroup_size: 256
    .name:           _ZN7rocprim17ROCPRIM_400000_NS6detail17trampoline_kernelINS0_14default_configENS1_27scan_by_key_config_selectorIisEEZZNS1_16scan_by_key_implILNS1_25lookback_scan_determinismE0ELb1ES3_N6thrust23THRUST_200600_302600_NS6detail15normal_iteratorINS9_10device_ptrIiEEEENSB_INSC_IsEEEESG_sNS9_4plusIvEENS9_8equal_toIvEEsEE10hipError_tPvRmT2_T3_T4_T5_mT6_T7_P12ihipStream_tbENKUlT_T0_E_clISt17integral_constantIbLb0EES11_EEDaSW_SX_EUlSW_E_NS1_11comp_targetILNS1_3genE10ELNS1_11target_archE1200ELNS1_3gpuE4ELNS1_3repE0EEENS1_30default_config_static_selectorELNS0_4arch9wavefront6targetE0EEEvT1_
    .private_segment_fixed_size: 0
    .sgpr_count:     0
    .sgpr_spill_count: 0
    .symbol:         _ZN7rocprim17ROCPRIM_400000_NS6detail17trampoline_kernelINS0_14default_configENS1_27scan_by_key_config_selectorIisEEZZNS1_16scan_by_key_implILNS1_25lookback_scan_determinismE0ELb1ES3_N6thrust23THRUST_200600_302600_NS6detail15normal_iteratorINS9_10device_ptrIiEEEENSB_INSC_IsEEEESG_sNS9_4plusIvEENS9_8equal_toIvEEsEE10hipError_tPvRmT2_T3_T4_T5_mT6_T7_P12ihipStream_tbENKUlT_T0_E_clISt17integral_constantIbLb0EES11_EEDaSW_SX_EUlSW_E_NS1_11comp_targetILNS1_3genE10ELNS1_11target_archE1200ELNS1_3gpuE4ELNS1_3repE0EEENS1_30default_config_static_selectorELNS0_4arch9wavefront6targetE0EEEvT1_.kd
    .uniform_work_group_size: 1
    .uses_dynamic_stack: false
    .vgpr_count:     0
    .vgpr_spill_count: 0
    .wavefront_size: 32
    .workgroup_processor_mode: 1
  - .args:
      - .offset:         0
        .size:           112
        .value_kind:     by_value
    .group_segment_fixed_size: 0
    .kernarg_segment_align: 8
    .kernarg_segment_size: 112
    .language:       OpenCL C
    .language_version:
      - 2
      - 0
    .max_flat_workgroup_size: 64
    .name:           _ZN7rocprim17ROCPRIM_400000_NS6detail17trampoline_kernelINS0_14default_configENS1_27scan_by_key_config_selectorIisEEZZNS1_16scan_by_key_implILNS1_25lookback_scan_determinismE0ELb1ES3_N6thrust23THRUST_200600_302600_NS6detail15normal_iteratorINS9_10device_ptrIiEEEENSB_INSC_IsEEEESG_sNS9_4plusIvEENS9_8equal_toIvEEsEE10hipError_tPvRmT2_T3_T4_T5_mT6_T7_P12ihipStream_tbENKUlT_T0_E_clISt17integral_constantIbLb0EES11_EEDaSW_SX_EUlSW_E_NS1_11comp_targetILNS1_3genE9ELNS1_11target_archE1100ELNS1_3gpuE3ELNS1_3repE0EEENS1_30default_config_static_selectorELNS0_4arch9wavefront6targetE0EEEvT1_
    .private_segment_fixed_size: 0
    .sgpr_count:     0
    .sgpr_spill_count: 0
    .symbol:         _ZN7rocprim17ROCPRIM_400000_NS6detail17trampoline_kernelINS0_14default_configENS1_27scan_by_key_config_selectorIisEEZZNS1_16scan_by_key_implILNS1_25lookback_scan_determinismE0ELb1ES3_N6thrust23THRUST_200600_302600_NS6detail15normal_iteratorINS9_10device_ptrIiEEEENSB_INSC_IsEEEESG_sNS9_4plusIvEENS9_8equal_toIvEEsEE10hipError_tPvRmT2_T3_T4_T5_mT6_T7_P12ihipStream_tbENKUlT_T0_E_clISt17integral_constantIbLb0EES11_EEDaSW_SX_EUlSW_E_NS1_11comp_targetILNS1_3genE9ELNS1_11target_archE1100ELNS1_3gpuE3ELNS1_3repE0EEENS1_30default_config_static_selectorELNS0_4arch9wavefront6targetE0EEEvT1_.kd
    .uniform_work_group_size: 1
    .uses_dynamic_stack: false
    .vgpr_count:     0
    .vgpr_spill_count: 0
    .wavefront_size: 32
    .workgroup_processor_mode: 1
  - .args:
      - .offset:         0
        .size:           112
        .value_kind:     by_value
    .group_segment_fixed_size: 2304
    .kernarg_segment_align: 8
    .kernarg_segment_size: 112
    .language:       OpenCL C
    .language_version:
      - 2
      - 0
    .max_flat_workgroup_size: 64
    .name:           _ZN7rocprim17ROCPRIM_400000_NS6detail17trampoline_kernelINS0_14default_configENS1_27scan_by_key_config_selectorIisEEZZNS1_16scan_by_key_implILNS1_25lookback_scan_determinismE0ELb1ES3_N6thrust23THRUST_200600_302600_NS6detail15normal_iteratorINS9_10device_ptrIiEEEENSB_INSC_IsEEEESG_sNS9_4plusIvEENS9_8equal_toIvEEsEE10hipError_tPvRmT2_T3_T4_T5_mT6_T7_P12ihipStream_tbENKUlT_T0_E_clISt17integral_constantIbLb0EES11_EEDaSW_SX_EUlSW_E_NS1_11comp_targetILNS1_3genE8ELNS1_11target_archE1030ELNS1_3gpuE2ELNS1_3repE0EEENS1_30default_config_static_selectorELNS0_4arch9wavefront6targetE0EEEvT1_
    .private_segment_fixed_size: 0
    .sgpr_count:     33
    .sgpr_spill_count: 0
    .symbol:         _ZN7rocprim17ROCPRIM_400000_NS6detail17trampoline_kernelINS0_14default_configENS1_27scan_by_key_config_selectorIisEEZZNS1_16scan_by_key_implILNS1_25lookback_scan_determinismE0ELb1ES3_N6thrust23THRUST_200600_302600_NS6detail15normal_iteratorINS9_10device_ptrIiEEEENSB_INSC_IsEEEESG_sNS9_4plusIvEENS9_8equal_toIvEEsEE10hipError_tPvRmT2_T3_T4_T5_mT6_T7_P12ihipStream_tbENKUlT_T0_E_clISt17integral_constantIbLb0EES11_EEDaSW_SX_EUlSW_E_NS1_11comp_targetILNS1_3genE8ELNS1_11target_archE1030ELNS1_3gpuE2ELNS1_3repE0EEENS1_30default_config_static_selectorELNS0_4arch9wavefront6targetE0EEEvT1_.kd
    .uniform_work_group_size: 1
    .uses_dynamic_stack: false
    .vgpr_count:     38
    .vgpr_spill_count: 0
    .wavefront_size: 32
    .workgroup_processor_mode: 1
  - .args:
      - .offset:         0
        .size:           112
        .value_kind:     by_value
    .group_segment_fixed_size: 0
    .kernarg_segment_align: 8
    .kernarg_segment_size: 112
    .language:       OpenCL C
    .language_version:
      - 2
      - 0
    .max_flat_workgroup_size: 256
    .name:           _ZN7rocprim17ROCPRIM_400000_NS6detail17trampoline_kernelINS0_14default_configENS1_27scan_by_key_config_selectorIisEEZZNS1_16scan_by_key_implILNS1_25lookback_scan_determinismE0ELb1ES3_N6thrust23THRUST_200600_302600_NS6detail15normal_iteratorINS9_10device_ptrIiEEEENSB_INSC_IsEEEESG_sNS9_4plusIvEENS9_8equal_toIvEEsEE10hipError_tPvRmT2_T3_T4_T5_mT6_T7_P12ihipStream_tbENKUlT_T0_E_clISt17integral_constantIbLb1EES11_EEDaSW_SX_EUlSW_E_NS1_11comp_targetILNS1_3genE0ELNS1_11target_archE4294967295ELNS1_3gpuE0ELNS1_3repE0EEENS1_30default_config_static_selectorELNS0_4arch9wavefront6targetE0EEEvT1_
    .private_segment_fixed_size: 0
    .sgpr_count:     0
    .sgpr_spill_count: 0
    .symbol:         _ZN7rocprim17ROCPRIM_400000_NS6detail17trampoline_kernelINS0_14default_configENS1_27scan_by_key_config_selectorIisEEZZNS1_16scan_by_key_implILNS1_25lookback_scan_determinismE0ELb1ES3_N6thrust23THRUST_200600_302600_NS6detail15normal_iteratorINS9_10device_ptrIiEEEENSB_INSC_IsEEEESG_sNS9_4plusIvEENS9_8equal_toIvEEsEE10hipError_tPvRmT2_T3_T4_T5_mT6_T7_P12ihipStream_tbENKUlT_T0_E_clISt17integral_constantIbLb1EES11_EEDaSW_SX_EUlSW_E_NS1_11comp_targetILNS1_3genE0ELNS1_11target_archE4294967295ELNS1_3gpuE0ELNS1_3repE0EEENS1_30default_config_static_selectorELNS0_4arch9wavefront6targetE0EEEvT1_.kd
    .uniform_work_group_size: 1
    .uses_dynamic_stack: false
    .vgpr_count:     0
    .vgpr_spill_count: 0
    .wavefront_size: 32
    .workgroup_processor_mode: 1
  - .args:
      - .offset:         0
        .size:           112
        .value_kind:     by_value
    .group_segment_fixed_size: 0
    .kernarg_segment_align: 8
    .kernarg_segment_size: 112
    .language:       OpenCL C
    .language_version:
      - 2
      - 0
    .max_flat_workgroup_size: 256
    .name:           _ZN7rocprim17ROCPRIM_400000_NS6detail17trampoline_kernelINS0_14default_configENS1_27scan_by_key_config_selectorIisEEZZNS1_16scan_by_key_implILNS1_25lookback_scan_determinismE0ELb1ES3_N6thrust23THRUST_200600_302600_NS6detail15normal_iteratorINS9_10device_ptrIiEEEENSB_INSC_IsEEEESG_sNS9_4plusIvEENS9_8equal_toIvEEsEE10hipError_tPvRmT2_T3_T4_T5_mT6_T7_P12ihipStream_tbENKUlT_T0_E_clISt17integral_constantIbLb1EES11_EEDaSW_SX_EUlSW_E_NS1_11comp_targetILNS1_3genE10ELNS1_11target_archE1201ELNS1_3gpuE5ELNS1_3repE0EEENS1_30default_config_static_selectorELNS0_4arch9wavefront6targetE0EEEvT1_
    .private_segment_fixed_size: 0
    .sgpr_count:     0
    .sgpr_spill_count: 0
    .symbol:         _ZN7rocprim17ROCPRIM_400000_NS6detail17trampoline_kernelINS0_14default_configENS1_27scan_by_key_config_selectorIisEEZZNS1_16scan_by_key_implILNS1_25lookback_scan_determinismE0ELb1ES3_N6thrust23THRUST_200600_302600_NS6detail15normal_iteratorINS9_10device_ptrIiEEEENSB_INSC_IsEEEESG_sNS9_4plusIvEENS9_8equal_toIvEEsEE10hipError_tPvRmT2_T3_T4_T5_mT6_T7_P12ihipStream_tbENKUlT_T0_E_clISt17integral_constantIbLb1EES11_EEDaSW_SX_EUlSW_E_NS1_11comp_targetILNS1_3genE10ELNS1_11target_archE1201ELNS1_3gpuE5ELNS1_3repE0EEENS1_30default_config_static_selectorELNS0_4arch9wavefront6targetE0EEEvT1_.kd
    .uniform_work_group_size: 1
    .uses_dynamic_stack: false
    .vgpr_count:     0
    .vgpr_spill_count: 0
    .wavefront_size: 32
    .workgroup_processor_mode: 1
  - .args:
      - .offset:         0
        .size:           112
        .value_kind:     by_value
    .group_segment_fixed_size: 0
    .kernarg_segment_align: 8
    .kernarg_segment_size: 112
    .language:       OpenCL C
    .language_version:
      - 2
      - 0
    .max_flat_workgroup_size: 256
    .name:           _ZN7rocprim17ROCPRIM_400000_NS6detail17trampoline_kernelINS0_14default_configENS1_27scan_by_key_config_selectorIisEEZZNS1_16scan_by_key_implILNS1_25lookback_scan_determinismE0ELb1ES3_N6thrust23THRUST_200600_302600_NS6detail15normal_iteratorINS9_10device_ptrIiEEEENSB_INSC_IsEEEESG_sNS9_4plusIvEENS9_8equal_toIvEEsEE10hipError_tPvRmT2_T3_T4_T5_mT6_T7_P12ihipStream_tbENKUlT_T0_E_clISt17integral_constantIbLb1EES11_EEDaSW_SX_EUlSW_E_NS1_11comp_targetILNS1_3genE5ELNS1_11target_archE942ELNS1_3gpuE9ELNS1_3repE0EEENS1_30default_config_static_selectorELNS0_4arch9wavefront6targetE0EEEvT1_
    .private_segment_fixed_size: 0
    .sgpr_count:     0
    .sgpr_spill_count: 0
    .symbol:         _ZN7rocprim17ROCPRIM_400000_NS6detail17trampoline_kernelINS0_14default_configENS1_27scan_by_key_config_selectorIisEEZZNS1_16scan_by_key_implILNS1_25lookback_scan_determinismE0ELb1ES3_N6thrust23THRUST_200600_302600_NS6detail15normal_iteratorINS9_10device_ptrIiEEEENSB_INSC_IsEEEESG_sNS9_4plusIvEENS9_8equal_toIvEEsEE10hipError_tPvRmT2_T3_T4_T5_mT6_T7_P12ihipStream_tbENKUlT_T0_E_clISt17integral_constantIbLb1EES11_EEDaSW_SX_EUlSW_E_NS1_11comp_targetILNS1_3genE5ELNS1_11target_archE942ELNS1_3gpuE9ELNS1_3repE0EEENS1_30default_config_static_selectorELNS0_4arch9wavefront6targetE0EEEvT1_.kd
    .uniform_work_group_size: 1
    .uses_dynamic_stack: false
    .vgpr_count:     0
    .vgpr_spill_count: 0
    .wavefront_size: 32
    .workgroup_processor_mode: 1
  - .args:
      - .offset:         0
        .size:           112
        .value_kind:     by_value
    .group_segment_fixed_size: 0
    .kernarg_segment_align: 8
    .kernarg_segment_size: 112
    .language:       OpenCL C
    .language_version:
      - 2
      - 0
    .max_flat_workgroup_size: 64
    .name:           _ZN7rocprim17ROCPRIM_400000_NS6detail17trampoline_kernelINS0_14default_configENS1_27scan_by_key_config_selectorIisEEZZNS1_16scan_by_key_implILNS1_25lookback_scan_determinismE0ELb1ES3_N6thrust23THRUST_200600_302600_NS6detail15normal_iteratorINS9_10device_ptrIiEEEENSB_INSC_IsEEEESG_sNS9_4plusIvEENS9_8equal_toIvEEsEE10hipError_tPvRmT2_T3_T4_T5_mT6_T7_P12ihipStream_tbENKUlT_T0_E_clISt17integral_constantIbLb1EES11_EEDaSW_SX_EUlSW_E_NS1_11comp_targetILNS1_3genE4ELNS1_11target_archE910ELNS1_3gpuE8ELNS1_3repE0EEENS1_30default_config_static_selectorELNS0_4arch9wavefront6targetE0EEEvT1_
    .private_segment_fixed_size: 0
    .sgpr_count:     0
    .sgpr_spill_count: 0
    .symbol:         _ZN7rocprim17ROCPRIM_400000_NS6detail17trampoline_kernelINS0_14default_configENS1_27scan_by_key_config_selectorIisEEZZNS1_16scan_by_key_implILNS1_25lookback_scan_determinismE0ELb1ES3_N6thrust23THRUST_200600_302600_NS6detail15normal_iteratorINS9_10device_ptrIiEEEENSB_INSC_IsEEEESG_sNS9_4plusIvEENS9_8equal_toIvEEsEE10hipError_tPvRmT2_T3_T4_T5_mT6_T7_P12ihipStream_tbENKUlT_T0_E_clISt17integral_constantIbLb1EES11_EEDaSW_SX_EUlSW_E_NS1_11comp_targetILNS1_3genE4ELNS1_11target_archE910ELNS1_3gpuE8ELNS1_3repE0EEENS1_30default_config_static_selectorELNS0_4arch9wavefront6targetE0EEEvT1_.kd
    .uniform_work_group_size: 1
    .uses_dynamic_stack: false
    .vgpr_count:     0
    .vgpr_spill_count: 0
    .wavefront_size: 32
    .workgroup_processor_mode: 1
  - .args:
      - .offset:         0
        .size:           112
        .value_kind:     by_value
    .group_segment_fixed_size: 0
    .kernarg_segment_align: 8
    .kernarg_segment_size: 112
    .language:       OpenCL C
    .language_version:
      - 2
      - 0
    .max_flat_workgroup_size: 256
    .name:           _ZN7rocprim17ROCPRIM_400000_NS6detail17trampoline_kernelINS0_14default_configENS1_27scan_by_key_config_selectorIisEEZZNS1_16scan_by_key_implILNS1_25lookback_scan_determinismE0ELb1ES3_N6thrust23THRUST_200600_302600_NS6detail15normal_iteratorINS9_10device_ptrIiEEEENSB_INSC_IsEEEESG_sNS9_4plusIvEENS9_8equal_toIvEEsEE10hipError_tPvRmT2_T3_T4_T5_mT6_T7_P12ihipStream_tbENKUlT_T0_E_clISt17integral_constantIbLb1EES11_EEDaSW_SX_EUlSW_E_NS1_11comp_targetILNS1_3genE3ELNS1_11target_archE908ELNS1_3gpuE7ELNS1_3repE0EEENS1_30default_config_static_selectorELNS0_4arch9wavefront6targetE0EEEvT1_
    .private_segment_fixed_size: 0
    .sgpr_count:     0
    .sgpr_spill_count: 0
    .symbol:         _ZN7rocprim17ROCPRIM_400000_NS6detail17trampoline_kernelINS0_14default_configENS1_27scan_by_key_config_selectorIisEEZZNS1_16scan_by_key_implILNS1_25lookback_scan_determinismE0ELb1ES3_N6thrust23THRUST_200600_302600_NS6detail15normal_iteratorINS9_10device_ptrIiEEEENSB_INSC_IsEEEESG_sNS9_4plusIvEENS9_8equal_toIvEEsEE10hipError_tPvRmT2_T3_T4_T5_mT6_T7_P12ihipStream_tbENKUlT_T0_E_clISt17integral_constantIbLb1EES11_EEDaSW_SX_EUlSW_E_NS1_11comp_targetILNS1_3genE3ELNS1_11target_archE908ELNS1_3gpuE7ELNS1_3repE0EEENS1_30default_config_static_selectorELNS0_4arch9wavefront6targetE0EEEvT1_.kd
    .uniform_work_group_size: 1
    .uses_dynamic_stack: false
    .vgpr_count:     0
    .vgpr_spill_count: 0
    .wavefront_size: 32
    .workgroup_processor_mode: 1
  - .args:
      - .offset:         0
        .size:           112
        .value_kind:     by_value
    .group_segment_fixed_size: 0
    .kernarg_segment_align: 8
    .kernarg_segment_size: 112
    .language:       OpenCL C
    .language_version:
      - 2
      - 0
    .max_flat_workgroup_size: 64
    .name:           _ZN7rocprim17ROCPRIM_400000_NS6detail17trampoline_kernelINS0_14default_configENS1_27scan_by_key_config_selectorIisEEZZNS1_16scan_by_key_implILNS1_25lookback_scan_determinismE0ELb1ES3_N6thrust23THRUST_200600_302600_NS6detail15normal_iteratorINS9_10device_ptrIiEEEENSB_INSC_IsEEEESG_sNS9_4plusIvEENS9_8equal_toIvEEsEE10hipError_tPvRmT2_T3_T4_T5_mT6_T7_P12ihipStream_tbENKUlT_T0_E_clISt17integral_constantIbLb1EES11_EEDaSW_SX_EUlSW_E_NS1_11comp_targetILNS1_3genE2ELNS1_11target_archE906ELNS1_3gpuE6ELNS1_3repE0EEENS1_30default_config_static_selectorELNS0_4arch9wavefront6targetE0EEEvT1_
    .private_segment_fixed_size: 0
    .sgpr_count:     0
    .sgpr_spill_count: 0
    .symbol:         _ZN7rocprim17ROCPRIM_400000_NS6detail17trampoline_kernelINS0_14default_configENS1_27scan_by_key_config_selectorIisEEZZNS1_16scan_by_key_implILNS1_25lookback_scan_determinismE0ELb1ES3_N6thrust23THRUST_200600_302600_NS6detail15normal_iteratorINS9_10device_ptrIiEEEENSB_INSC_IsEEEESG_sNS9_4plusIvEENS9_8equal_toIvEEsEE10hipError_tPvRmT2_T3_T4_T5_mT6_T7_P12ihipStream_tbENKUlT_T0_E_clISt17integral_constantIbLb1EES11_EEDaSW_SX_EUlSW_E_NS1_11comp_targetILNS1_3genE2ELNS1_11target_archE906ELNS1_3gpuE6ELNS1_3repE0EEENS1_30default_config_static_selectorELNS0_4arch9wavefront6targetE0EEEvT1_.kd
    .uniform_work_group_size: 1
    .uses_dynamic_stack: false
    .vgpr_count:     0
    .vgpr_spill_count: 0
    .wavefront_size: 32
    .workgroup_processor_mode: 1
  - .args:
      - .offset:         0
        .size:           112
        .value_kind:     by_value
    .group_segment_fixed_size: 0
    .kernarg_segment_align: 8
    .kernarg_segment_size: 112
    .language:       OpenCL C
    .language_version:
      - 2
      - 0
    .max_flat_workgroup_size: 256
    .name:           _ZN7rocprim17ROCPRIM_400000_NS6detail17trampoline_kernelINS0_14default_configENS1_27scan_by_key_config_selectorIisEEZZNS1_16scan_by_key_implILNS1_25lookback_scan_determinismE0ELb1ES3_N6thrust23THRUST_200600_302600_NS6detail15normal_iteratorINS9_10device_ptrIiEEEENSB_INSC_IsEEEESG_sNS9_4plusIvEENS9_8equal_toIvEEsEE10hipError_tPvRmT2_T3_T4_T5_mT6_T7_P12ihipStream_tbENKUlT_T0_E_clISt17integral_constantIbLb1EES11_EEDaSW_SX_EUlSW_E_NS1_11comp_targetILNS1_3genE10ELNS1_11target_archE1200ELNS1_3gpuE4ELNS1_3repE0EEENS1_30default_config_static_selectorELNS0_4arch9wavefront6targetE0EEEvT1_
    .private_segment_fixed_size: 0
    .sgpr_count:     0
    .sgpr_spill_count: 0
    .symbol:         _ZN7rocprim17ROCPRIM_400000_NS6detail17trampoline_kernelINS0_14default_configENS1_27scan_by_key_config_selectorIisEEZZNS1_16scan_by_key_implILNS1_25lookback_scan_determinismE0ELb1ES3_N6thrust23THRUST_200600_302600_NS6detail15normal_iteratorINS9_10device_ptrIiEEEENSB_INSC_IsEEEESG_sNS9_4plusIvEENS9_8equal_toIvEEsEE10hipError_tPvRmT2_T3_T4_T5_mT6_T7_P12ihipStream_tbENKUlT_T0_E_clISt17integral_constantIbLb1EES11_EEDaSW_SX_EUlSW_E_NS1_11comp_targetILNS1_3genE10ELNS1_11target_archE1200ELNS1_3gpuE4ELNS1_3repE0EEENS1_30default_config_static_selectorELNS0_4arch9wavefront6targetE0EEEvT1_.kd
    .uniform_work_group_size: 1
    .uses_dynamic_stack: false
    .vgpr_count:     0
    .vgpr_spill_count: 0
    .wavefront_size: 32
    .workgroup_processor_mode: 1
  - .args:
      - .offset:         0
        .size:           112
        .value_kind:     by_value
    .group_segment_fixed_size: 0
    .kernarg_segment_align: 8
    .kernarg_segment_size: 112
    .language:       OpenCL C
    .language_version:
      - 2
      - 0
    .max_flat_workgroup_size: 64
    .name:           _ZN7rocprim17ROCPRIM_400000_NS6detail17trampoline_kernelINS0_14default_configENS1_27scan_by_key_config_selectorIisEEZZNS1_16scan_by_key_implILNS1_25lookback_scan_determinismE0ELb1ES3_N6thrust23THRUST_200600_302600_NS6detail15normal_iteratorINS9_10device_ptrIiEEEENSB_INSC_IsEEEESG_sNS9_4plusIvEENS9_8equal_toIvEEsEE10hipError_tPvRmT2_T3_T4_T5_mT6_T7_P12ihipStream_tbENKUlT_T0_E_clISt17integral_constantIbLb1EES11_EEDaSW_SX_EUlSW_E_NS1_11comp_targetILNS1_3genE9ELNS1_11target_archE1100ELNS1_3gpuE3ELNS1_3repE0EEENS1_30default_config_static_selectorELNS0_4arch9wavefront6targetE0EEEvT1_
    .private_segment_fixed_size: 0
    .sgpr_count:     0
    .sgpr_spill_count: 0
    .symbol:         _ZN7rocprim17ROCPRIM_400000_NS6detail17trampoline_kernelINS0_14default_configENS1_27scan_by_key_config_selectorIisEEZZNS1_16scan_by_key_implILNS1_25lookback_scan_determinismE0ELb1ES3_N6thrust23THRUST_200600_302600_NS6detail15normal_iteratorINS9_10device_ptrIiEEEENSB_INSC_IsEEEESG_sNS9_4plusIvEENS9_8equal_toIvEEsEE10hipError_tPvRmT2_T3_T4_T5_mT6_T7_P12ihipStream_tbENKUlT_T0_E_clISt17integral_constantIbLb1EES11_EEDaSW_SX_EUlSW_E_NS1_11comp_targetILNS1_3genE9ELNS1_11target_archE1100ELNS1_3gpuE3ELNS1_3repE0EEENS1_30default_config_static_selectorELNS0_4arch9wavefront6targetE0EEEvT1_.kd
    .uniform_work_group_size: 1
    .uses_dynamic_stack: false
    .vgpr_count:     0
    .vgpr_spill_count: 0
    .wavefront_size: 32
    .workgroup_processor_mode: 1
  - .args:
      - .offset:         0
        .size:           112
        .value_kind:     by_value
    .group_segment_fixed_size: 0
    .kernarg_segment_align: 8
    .kernarg_segment_size: 112
    .language:       OpenCL C
    .language_version:
      - 2
      - 0
    .max_flat_workgroup_size: 64
    .name:           _ZN7rocprim17ROCPRIM_400000_NS6detail17trampoline_kernelINS0_14default_configENS1_27scan_by_key_config_selectorIisEEZZNS1_16scan_by_key_implILNS1_25lookback_scan_determinismE0ELb1ES3_N6thrust23THRUST_200600_302600_NS6detail15normal_iteratorINS9_10device_ptrIiEEEENSB_INSC_IsEEEESG_sNS9_4plusIvEENS9_8equal_toIvEEsEE10hipError_tPvRmT2_T3_T4_T5_mT6_T7_P12ihipStream_tbENKUlT_T0_E_clISt17integral_constantIbLb1EES11_EEDaSW_SX_EUlSW_E_NS1_11comp_targetILNS1_3genE8ELNS1_11target_archE1030ELNS1_3gpuE2ELNS1_3repE0EEENS1_30default_config_static_selectorELNS0_4arch9wavefront6targetE0EEEvT1_
    .private_segment_fixed_size: 0
    .sgpr_count:     0
    .sgpr_spill_count: 0
    .symbol:         _ZN7rocprim17ROCPRIM_400000_NS6detail17trampoline_kernelINS0_14default_configENS1_27scan_by_key_config_selectorIisEEZZNS1_16scan_by_key_implILNS1_25lookback_scan_determinismE0ELb1ES3_N6thrust23THRUST_200600_302600_NS6detail15normal_iteratorINS9_10device_ptrIiEEEENSB_INSC_IsEEEESG_sNS9_4plusIvEENS9_8equal_toIvEEsEE10hipError_tPvRmT2_T3_T4_T5_mT6_T7_P12ihipStream_tbENKUlT_T0_E_clISt17integral_constantIbLb1EES11_EEDaSW_SX_EUlSW_E_NS1_11comp_targetILNS1_3genE8ELNS1_11target_archE1030ELNS1_3gpuE2ELNS1_3repE0EEENS1_30default_config_static_selectorELNS0_4arch9wavefront6targetE0EEEvT1_.kd
    .uniform_work_group_size: 1
    .uses_dynamic_stack: false
    .vgpr_count:     0
    .vgpr_spill_count: 0
    .wavefront_size: 32
    .workgroup_processor_mode: 1
  - .args:
      - .offset:         0
        .size:           112
        .value_kind:     by_value
    .group_segment_fixed_size: 0
    .kernarg_segment_align: 8
    .kernarg_segment_size: 112
    .language:       OpenCL C
    .language_version:
      - 2
      - 0
    .max_flat_workgroup_size: 256
    .name:           _ZN7rocprim17ROCPRIM_400000_NS6detail17trampoline_kernelINS0_14default_configENS1_27scan_by_key_config_selectorIisEEZZNS1_16scan_by_key_implILNS1_25lookback_scan_determinismE0ELb1ES3_N6thrust23THRUST_200600_302600_NS6detail15normal_iteratorINS9_10device_ptrIiEEEENSB_INSC_IsEEEESG_sNS9_4plusIvEENS9_8equal_toIvEEsEE10hipError_tPvRmT2_T3_T4_T5_mT6_T7_P12ihipStream_tbENKUlT_T0_E_clISt17integral_constantIbLb1EES10_IbLb0EEEEDaSW_SX_EUlSW_E_NS1_11comp_targetILNS1_3genE0ELNS1_11target_archE4294967295ELNS1_3gpuE0ELNS1_3repE0EEENS1_30default_config_static_selectorELNS0_4arch9wavefront6targetE0EEEvT1_
    .private_segment_fixed_size: 0
    .sgpr_count:     0
    .sgpr_spill_count: 0
    .symbol:         _ZN7rocprim17ROCPRIM_400000_NS6detail17trampoline_kernelINS0_14default_configENS1_27scan_by_key_config_selectorIisEEZZNS1_16scan_by_key_implILNS1_25lookback_scan_determinismE0ELb1ES3_N6thrust23THRUST_200600_302600_NS6detail15normal_iteratorINS9_10device_ptrIiEEEENSB_INSC_IsEEEESG_sNS9_4plusIvEENS9_8equal_toIvEEsEE10hipError_tPvRmT2_T3_T4_T5_mT6_T7_P12ihipStream_tbENKUlT_T0_E_clISt17integral_constantIbLb1EES10_IbLb0EEEEDaSW_SX_EUlSW_E_NS1_11comp_targetILNS1_3genE0ELNS1_11target_archE4294967295ELNS1_3gpuE0ELNS1_3repE0EEENS1_30default_config_static_selectorELNS0_4arch9wavefront6targetE0EEEvT1_.kd
    .uniform_work_group_size: 1
    .uses_dynamic_stack: false
    .vgpr_count:     0
    .vgpr_spill_count: 0
    .wavefront_size: 32
    .workgroup_processor_mode: 1
  - .args:
      - .offset:         0
        .size:           112
        .value_kind:     by_value
    .group_segment_fixed_size: 0
    .kernarg_segment_align: 8
    .kernarg_segment_size: 112
    .language:       OpenCL C
    .language_version:
      - 2
      - 0
    .max_flat_workgroup_size: 256
    .name:           _ZN7rocprim17ROCPRIM_400000_NS6detail17trampoline_kernelINS0_14default_configENS1_27scan_by_key_config_selectorIisEEZZNS1_16scan_by_key_implILNS1_25lookback_scan_determinismE0ELb1ES3_N6thrust23THRUST_200600_302600_NS6detail15normal_iteratorINS9_10device_ptrIiEEEENSB_INSC_IsEEEESG_sNS9_4plusIvEENS9_8equal_toIvEEsEE10hipError_tPvRmT2_T3_T4_T5_mT6_T7_P12ihipStream_tbENKUlT_T0_E_clISt17integral_constantIbLb1EES10_IbLb0EEEEDaSW_SX_EUlSW_E_NS1_11comp_targetILNS1_3genE10ELNS1_11target_archE1201ELNS1_3gpuE5ELNS1_3repE0EEENS1_30default_config_static_selectorELNS0_4arch9wavefront6targetE0EEEvT1_
    .private_segment_fixed_size: 0
    .sgpr_count:     0
    .sgpr_spill_count: 0
    .symbol:         _ZN7rocprim17ROCPRIM_400000_NS6detail17trampoline_kernelINS0_14default_configENS1_27scan_by_key_config_selectorIisEEZZNS1_16scan_by_key_implILNS1_25lookback_scan_determinismE0ELb1ES3_N6thrust23THRUST_200600_302600_NS6detail15normal_iteratorINS9_10device_ptrIiEEEENSB_INSC_IsEEEESG_sNS9_4plusIvEENS9_8equal_toIvEEsEE10hipError_tPvRmT2_T3_T4_T5_mT6_T7_P12ihipStream_tbENKUlT_T0_E_clISt17integral_constantIbLb1EES10_IbLb0EEEEDaSW_SX_EUlSW_E_NS1_11comp_targetILNS1_3genE10ELNS1_11target_archE1201ELNS1_3gpuE5ELNS1_3repE0EEENS1_30default_config_static_selectorELNS0_4arch9wavefront6targetE0EEEvT1_.kd
    .uniform_work_group_size: 1
    .uses_dynamic_stack: false
    .vgpr_count:     0
    .vgpr_spill_count: 0
    .wavefront_size: 32
    .workgroup_processor_mode: 1
  - .args:
      - .offset:         0
        .size:           112
        .value_kind:     by_value
    .group_segment_fixed_size: 0
    .kernarg_segment_align: 8
    .kernarg_segment_size: 112
    .language:       OpenCL C
    .language_version:
      - 2
      - 0
    .max_flat_workgroup_size: 256
    .name:           _ZN7rocprim17ROCPRIM_400000_NS6detail17trampoline_kernelINS0_14default_configENS1_27scan_by_key_config_selectorIisEEZZNS1_16scan_by_key_implILNS1_25lookback_scan_determinismE0ELb1ES3_N6thrust23THRUST_200600_302600_NS6detail15normal_iteratorINS9_10device_ptrIiEEEENSB_INSC_IsEEEESG_sNS9_4plusIvEENS9_8equal_toIvEEsEE10hipError_tPvRmT2_T3_T4_T5_mT6_T7_P12ihipStream_tbENKUlT_T0_E_clISt17integral_constantIbLb1EES10_IbLb0EEEEDaSW_SX_EUlSW_E_NS1_11comp_targetILNS1_3genE5ELNS1_11target_archE942ELNS1_3gpuE9ELNS1_3repE0EEENS1_30default_config_static_selectorELNS0_4arch9wavefront6targetE0EEEvT1_
    .private_segment_fixed_size: 0
    .sgpr_count:     0
    .sgpr_spill_count: 0
    .symbol:         _ZN7rocprim17ROCPRIM_400000_NS6detail17trampoline_kernelINS0_14default_configENS1_27scan_by_key_config_selectorIisEEZZNS1_16scan_by_key_implILNS1_25lookback_scan_determinismE0ELb1ES3_N6thrust23THRUST_200600_302600_NS6detail15normal_iteratorINS9_10device_ptrIiEEEENSB_INSC_IsEEEESG_sNS9_4plusIvEENS9_8equal_toIvEEsEE10hipError_tPvRmT2_T3_T4_T5_mT6_T7_P12ihipStream_tbENKUlT_T0_E_clISt17integral_constantIbLb1EES10_IbLb0EEEEDaSW_SX_EUlSW_E_NS1_11comp_targetILNS1_3genE5ELNS1_11target_archE942ELNS1_3gpuE9ELNS1_3repE0EEENS1_30default_config_static_selectorELNS0_4arch9wavefront6targetE0EEEvT1_.kd
    .uniform_work_group_size: 1
    .uses_dynamic_stack: false
    .vgpr_count:     0
    .vgpr_spill_count: 0
    .wavefront_size: 32
    .workgroup_processor_mode: 1
  - .args:
      - .offset:         0
        .size:           112
        .value_kind:     by_value
    .group_segment_fixed_size: 0
    .kernarg_segment_align: 8
    .kernarg_segment_size: 112
    .language:       OpenCL C
    .language_version:
      - 2
      - 0
    .max_flat_workgroup_size: 64
    .name:           _ZN7rocprim17ROCPRIM_400000_NS6detail17trampoline_kernelINS0_14default_configENS1_27scan_by_key_config_selectorIisEEZZNS1_16scan_by_key_implILNS1_25lookback_scan_determinismE0ELb1ES3_N6thrust23THRUST_200600_302600_NS6detail15normal_iteratorINS9_10device_ptrIiEEEENSB_INSC_IsEEEESG_sNS9_4plusIvEENS9_8equal_toIvEEsEE10hipError_tPvRmT2_T3_T4_T5_mT6_T7_P12ihipStream_tbENKUlT_T0_E_clISt17integral_constantIbLb1EES10_IbLb0EEEEDaSW_SX_EUlSW_E_NS1_11comp_targetILNS1_3genE4ELNS1_11target_archE910ELNS1_3gpuE8ELNS1_3repE0EEENS1_30default_config_static_selectorELNS0_4arch9wavefront6targetE0EEEvT1_
    .private_segment_fixed_size: 0
    .sgpr_count:     0
    .sgpr_spill_count: 0
    .symbol:         _ZN7rocprim17ROCPRIM_400000_NS6detail17trampoline_kernelINS0_14default_configENS1_27scan_by_key_config_selectorIisEEZZNS1_16scan_by_key_implILNS1_25lookback_scan_determinismE0ELb1ES3_N6thrust23THRUST_200600_302600_NS6detail15normal_iteratorINS9_10device_ptrIiEEEENSB_INSC_IsEEEESG_sNS9_4plusIvEENS9_8equal_toIvEEsEE10hipError_tPvRmT2_T3_T4_T5_mT6_T7_P12ihipStream_tbENKUlT_T0_E_clISt17integral_constantIbLb1EES10_IbLb0EEEEDaSW_SX_EUlSW_E_NS1_11comp_targetILNS1_3genE4ELNS1_11target_archE910ELNS1_3gpuE8ELNS1_3repE0EEENS1_30default_config_static_selectorELNS0_4arch9wavefront6targetE0EEEvT1_.kd
    .uniform_work_group_size: 1
    .uses_dynamic_stack: false
    .vgpr_count:     0
    .vgpr_spill_count: 0
    .wavefront_size: 32
    .workgroup_processor_mode: 1
  - .args:
      - .offset:         0
        .size:           112
        .value_kind:     by_value
    .group_segment_fixed_size: 0
    .kernarg_segment_align: 8
    .kernarg_segment_size: 112
    .language:       OpenCL C
    .language_version:
      - 2
      - 0
    .max_flat_workgroup_size: 256
    .name:           _ZN7rocprim17ROCPRIM_400000_NS6detail17trampoline_kernelINS0_14default_configENS1_27scan_by_key_config_selectorIisEEZZNS1_16scan_by_key_implILNS1_25lookback_scan_determinismE0ELb1ES3_N6thrust23THRUST_200600_302600_NS6detail15normal_iteratorINS9_10device_ptrIiEEEENSB_INSC_IsEEEESG_sNS9_4plusIvEENS9_8equal_toIvEEsEE10hipError_tPvRmT2_T3_T4_T5_mT6_T7_P12ihipStream_tbENKUlT_T0_E_clISt17integral_constantIbLb1EES10_IbLb0EEEEDaSW_SX_EUlSW_E_NS1_11comp_targetILNS1_3genE3ELNS1_11target_archE908ELNS1_3gpuE7ELNS1_3repE0EEENS1_30default_config_static_selectorELNS0_4arch9wavefront6targetE0EEEvT1_
    .private_segment_fixed_size: 0
    .sgpr_count:     0
    .sgpr_spill_count: 0
    .symbol:         _ZN7rocprim17ROCPRIM_400000_NS6detail17trampoline_kernelINS0_14default_configENS1_27scan_by_key_config_selectorIisEEZZNS1_16scan_by_key_implILNS1_25lookback_scan_determinismE0ELb1ES3_N6thrust23THRUST_200600_302600_NS6detail15normal_iteratorINS9_10device_ptrIiEEEENSB_INSC_IsEEEESG_sNS9_4plusIvEENS9_8equal_toIvEEsEE10hipError_tPvRmT2_T3_T4_T5_mT6_T7_P12ihipStream_tbENKUlT_T0_E_clISt17integral_constantIbLb1EES10_IbLb0EEEEDaSW_SX_EUlSW_E_NS1_11comp_targetILNS1_3genE3ELNS1_11target_archE908ELNS1_3gpuE7ELNS1_3repE0EEENS1_30default_config_static_selectorELNS0_4arch9wavefront6targetE0EEEvT1_.kd
    .uniform_work_group_size: 1
    .uses_dynamic_stack: false
    .vgpr_count:     0
    .vgpr_spill_count: 0
    .wavefront_size: 32
    .workgroup_processor_mode: 1
  - .args:
      - .offset:         0
        .size:           112
        .value_kind:     by_value
    .group_segment_fixed_size: 0
    .kernarg_segment_align: 8
    .kernarg_segment_size: 112
    .language:       OpenCL C
    .language_version:
      - 2
      - 0
    .max_flat_workgroup_size: 64
    .name:           _ZN7rocprim17ROCPRIM_400000_NS6detail17trampoline_kernelINS0_14default_configENS1_27scan_by_key_config_selectorIisEEZZNS1_16scan_by_key_implILNS1_25lookback_scan_determinismE0ELb1ES3_N6thrust23THRUST_200600_302600_NS6detail15normal_iteratorINS9_10device_ptrIiEEEENSB_INSC_IsEEEESG_sNS9_4plusIvEENS9_8equal_toIvEEsEE10hipError_tPvRmT2_T3_T4_T5_mT6_T7_P12ihipStream_tbENKUlT_T0_E_clISt17integral_constantIbLb1EES10_IbLb0EEEEDaSW_SX_EUlSW_E_NS1_11comp_targetILNS1_3genE2ELNS1_11target_archE906ELNS1_3gpuE6ELNS1_3repE0EEENS1_30default_config_static_selectorELNS0_4arch9wavefront6targetE0EEEvT1_
    .private_segment_fixed_size: 0
    .sgpr_count:     0
    .sgpr_spill_count: 0
    .symbol:         _ZN7rocprim17ROCPRIM_400000_NS6detail17trampoline_kernelINS0_14default_configENS1_27scan_by_key_config_selectorIisEEZZNS1_16scan_by_key_implILNS1_25lookback_scan_determinismE0ELb1ES3_N6thrust23THRUST_200600_302600_NS6detail15normal_iteratorINS9_10device_ptrIiEEEENSB_INSC_IsEEEESG_sNS9_4plusIvEENS9_8equal_toIvEEsEE10hipError_tPvRmT2_T3_T4_T5_mT6_T7_P12ihipStream_tbENKUlT_T0_E_clISt17integral_constantIbLb1EES10_IbLb0EEEEDaSW_SX_EUlSW_E_NS1_11comp_targetILNS1_3genE2ELNS1_11target_archE906ELNS1_3gpuE6ELNS1_3repE0EEENS1_30default_config_static_selectorELNS0_4arch9wavefront6targetE0EEEvT1_.kd
    .uniform_work_group_size: 1
    .uses_dynamic_stack: false
    .vgpr_count:     0
    .vgpr_spill_count: 0
    .wavefront_size: 32
    .workgroup_processor_mode: 1
  - .args:
      - .offset:         0
        .size:           112
        .value_kind:     by_value
    .group_segment_fixed_size: 0
    .kernarg_segment_align: 8
    .kernarg_segment_size: 112
    .language:       OpenCL C
    .language_version:
      - 2
      - 0
    .max_flat_workgroup_size: 256
    .name:           _ZN7rocprim17ROCPRIM_400000_NS6detail17trampoline_kernelINS0_14default_configENS1_27scan_by_key_config_selectorIisEEZZNS1_16scan_by_key_implILNS1_25lookback_scan_determinismE0ELb1ES3_N6thrust23THRUST_200600_302600_NS6detail15normal_iteratorINS9_10device_ptrIiEEEENSB_INSC_IsEEEESG_sNS9_4plusIvEENS9_8equal_toIvEEsEE10hipError_tPvRmT2_T3_T4_T5_mT6_T7_P12ihipStream_tbENKUlT_T0_E_clISt17integral_constantIbLb1EES10_IbLb0EEEEDaSW_SX_EUlSW_E_NS1_11comp_targetILNS1_3genE10ELNS1_11target_archE1200ELNS1_3gpuE4ELNS1_3repE0EEENS1_30default_config_static_selectorELNS0_4arch9wavefront6targetE0EEEvT1_
    .private_segment_fixed_size: 0
    .sgpr_count:     0
    .sgpr_spill_count: 0
    .symbol:         _ZN7rocprim17ROCPRIM_400000_NS6detail17trampoline_kernelINS0_14default_configENS1_27scan_by_key_config_selectorIisEEZZNS1_16scan_by_key_implILNS1_25lookback_scan_determinismE0ELb1ES3_N6thrust23THRUST_200600_302600_NS6detail15normal_iteratorINS9_10device_ptrIiEEEENSB_INSC_IsEEEESG_sNS9_4plusIvEENS9_8equal_toIvEEsEE10hipError_tPvRmT2_T3_T4_T5_mT6_T7_P12ihipStream_tbENKUlT_T0_E_clISt17integral_constantIbLb1EES10_IbLb0EEEEDaSW_SX_EUlSW_E_NS1_11comp_targetILNS1_3genE10ELNS1_11target_archE1200ELNS1_3gpuE4ELNS1_3repE0EEENS1_30default_config_static_selectorELNS0_4arch9wavefront6targetE0EEEvT1_.kd
    .uniform_work_group_size: 1
    .uses_dynamic_stack: false
    .vgpr_count:     0
    .vgpr_spill_count: 0
    .wavefront_size: 32
    .workgroup_processor_mode: 1
  - .args:
      - .offset:         0
        .size:           112
        .value_kind:     by_value
    .group_segment_fixed_size: 0
    .kernarg_segment_align: 8
    .kernarg_segment_size: 112
    .language:       OpenCL C
    .language_version:
      - 2
      - 0
    .max_flat_workgroup_size: 64
    .name:           _ZN7rocprim17ROCPRIM_400000_NS6detail17trampoline_kernelINS0_14default_configENS1_27scan_by_key_config_selectorIisEEZZNS1_16scan_by_key_implILNS1_25lookback_scan_determinismE0ELb1ES3_N6thrust23THRUST_200600_302600_NS6detail15normal_iteratorINS9_10device_ptrIiEEEENSB_INSC_IsEEEESG_sNS9_4plusIvEENS9_8equal_toIvEEsEE10hipError_tPvRmT2_T3_T4_T5_mT6_T7_P12ihipStream_tbENKUlT_T0_E_clISt17integral_constantIbLb1EES10_IbLb0EEEEDaSW_SX_EUlSW_E_NS1_11comp_targetILNS1_3genE9ELNS1_11target_archE1100ELNS1_3gpuE3ELNS1_3repE0EEENS1_30default_config_static_selectorELNS0_4arch9wavefront6targetE0EEEvT1_
    .private_segment_fixed_size: 0
    .sgpr_count:     0
    .sgpr_spill_count: 0
    .symbol:         _ZN7rocprim17ROCPRIM_400000_NS6detail17trampoline_kernelINS0_14default_configENS1_27scan_by_key_config_selectorIisEEZZNS1_16scan_by_key_implILNS1_25lookback_scan_determinismE0ELb1ES3_N6thrust23THRUST_200600_302600_NS6detail15normal_iteratorINS9_10device_ptrIiEEEENSB_INSC_IsEEEESG_sNS9_4plusIvEENS9_8equal_toIvEEsEE10hipError_tPvRmT2_T3_T4_T5_mT6_T7_P12ihipStream_tbENKUlT_T0_E_clISt17integral_constantIbLb1EES10_IbLb0EEEEDaSW_SX_EUlSW_E_NS1_11comp_targetILNS1_3genE9ELNS1_11target_archE1100ELNS1_3gpuE3ELNS1_3repE0EEENS1_30default_config_static_selectorELNS0_4arch9wavefront6targetE0EEEvT1_.kd
    .uniform_work_group_size: 1
    .uses_dynamic_stack: false
    .vgpr_count:     0
    .vgpr_spill_count: 0
    .wavefront_size: 32
    .workgroup_processor_mode: 1
  - .args:
      - .offset:         0
        .size:           112
        .value_kind:     by_value
    .group_segment_fixed_size: 0
    .kernarg_segment_align: 8
    .kernarg_segment_size: 112
    .language:       OpenCL C
    .language_version:
      - 2
      - 0
    .max_flat_workgroup_size: 64
    .name:           _ZN7rocprim17ROCPRIM_400000_NS6detail17trampoline_kernelINS0_14default_configENS1_27scan_by_key_config_selectorIisEEZZNS1_16scan_by_key_implILNS1_25lookback_scan_determinismE0ELb1ES3_N6thrust23THRUST_200600_302600_NS6detail15normal_iteratorINS9_10device_ptrIiEEEENSB_INSC_IsEEEESG_sNS9_4plusIvEENS9_8equal_toIvEEsEE10hipError_tPvRmT2_T3_T4_T5_mT6_T7_P12ihipStream_tbENKUlT_T0_E_clISt17integral_constantIbLb1EES10_IbLb0EEEEDaSW_SX_EUlSW_E_NS1_11comp_targetILNS1_3genE8ELNS1_11target_archE1030ELNS1_3gpuE2ELNS1_3repE0EEENS1_30default_config_static_selectorELNS0_4arch9wavefront6targetE0EEEvT1_
    .private_segment_fixed_size: 0
    .sgpr_count:     0
    .sgpr_spill_count: 0
    .symbol:         _ZN7rocprim17ROCPRIM_400000_NS6detail17trampoline_kernelINS0_14default_configENS1_27scan_by_key_config_selectorIisEEZZNS1_16scan_by_key_implILNS1_25lookback_scan_determinismE0ELb1ES3_N6thrust23THRUST_200600_302600_NS6detail15normal_iteratorINS9_10device_ptrIiEEEENSB_INSC_IsEEEESG_sNS9_4plusIvEENS9_8equal_toIvEEsEE10hipError_tPvRmT2_T3_T4_T5_mT6_T7_P12ihipStream_tbENKUlT_T0_E_clISt17integral_constantIbLb1EES10_IbLb0EEEEDaSW_SX_EUlSW_E_NS1_11comp_targetILNS1_3genE8ELNS1_11target_archE1030ELNS1_3gpuE2ELNS1_3repE0EEENS1_30default_config_static_selectorELNS0_4arch9wavefront6targetE0EEEvT1_.kd
    .uniform_work_group_size: 1
    .uses_dynamic_stack: false
    .vgpr_count:     0
    .vgpr_spill_count: 0
    .wavefront_size: 32
    .workgroup_processor_mode: 1
  - .args:
      - .offset:         0
        .size:           112
        .value_kind:     by_value
    .group_segment_fixed_size: 0
    .kernarg_segment_align: 8
    .kernarg_segment_size: 112
    .language:       OpenCL C
    .language_version:
      - 2
      - 0
    .max_flat_workgroup_size: 256
    .name:           _ZN7rocprim17ROCPRIM_400000_NS6detail17trampoline_kernelINS0_14default_configENS1_27scan_by_key_config_selectorIisEEZZNS1_16scan_by_key_implILNS1_25lookback_scan_determinismE0ELb1ES3_N6thrust23THRUST_200600_302600_NS6detail15normal_iteratorINS9_10device_ptrIiEEEENSB_INSC_IsEEEESG_sNS9_4plusIvEENS9_8equal_toIvEEsEE10hipError_tPvRmT2_T3_T4_T5_mT6_T7_P12ihipStream_tbENKUlT_T0_E_clISt17integral_constantIbLb0EES10_IbLb1EEEEDaSW_SX_EUlSW_E_NS1_11comp_targetILNS1_3genE0ELNS1_11target_archE4294967295ELNS1_3gpuE0ELNS1_3repE0EEENS1_30default_config_static_selectorELNS0_4arch9wavefront6targetE0EEEvT1_
    .private_segment_fixed_size: 0
    .sgpr_count:     0
    .sgpr_spill_count: 0
    .symbol:         _ZN7rocprim17ROCPRIM_400000_NS6detail17trampoline_kernelINS0_14default_configENS1_27scan_by_key_config_selectorIisEEZZNS1_16scan_by_key_implILNS1_25lookback_scan_determinismE0ELb1ES3_N6thrust23THRUST_200600_302600_NS6detail15normal_iteratorINS9_10device_ptrIiEEEENSB_INSC_IsEEEESG_sNS9_4plusIvEENS9_8equal_toIvEEsEE10hipError_tPvRmT2_T3_T4_T5_mT6_T7_P12ihipStream_tbENKUlT_T0_E_clISt17integral_constantIbLb0EES10_IbLb1EEEEDaSW_SX_EUlSW_E_NS1_11comp_targetILNS1_3genE0ELNS1_11target_archE4294967295ELNS1_3gpuE0ELNS1_3repE0EEENS1_30default_config_static_selectorELNS0_4arch9wavefront6targetE0EEEvT1_.kd
    .uniform_work_group_size: 1
    .uses_dynamic_stack: false
    .vgpr_count:     0
    .vgpr_spill_count: 0
    .wavefront_size: 32
    .workgroup_processor_mode: 1
  - .args:
      - .offset:         0
        .size:           112
        .value_kind:     by_value
    .group_segment_fixed_size: 0
    .kernarg_segment_align: 8
    .kernarg_segment_size: 112
    .language:       OpenCL C
    .language_version:
      - 2
      - 0
    .max_flat_workgroup_size: 256
    .name:           _ZN7rocprim17ROCPRIM_400000_NS6detail17trampoline_kernelINS0_14default_configENS1_27scan_by_key_config_selectorIisEEZZNS1_16scan_by_key_implILNS1_25lookback_scan_determinismE0ELb1ES3_N6thrust23THRUST_200600_302600_NS6detail15normal_iteratorINS9_10device_ptrIiEEEENSB_INSC_IsEEEESG_sNS9_4plusIvEENS9_8equal_toIvEEsEE10hipError_tPvRmT2_T3_T4_T5_mT6_T7_P12ihipStream_tbENKUlT_T0_E_clISt17integral_constantIbLb0EES10_IbLb1EEEEDaSW_SX_EUlSW_E_NS1_11comp_targetILNS1_3genE10ELNS1_11target_archE1201ELNS1_3gpuE5ELNS1_3repE0EEENS1_30default_config_static_selectorELNS0_4arch9wavefront6targetE0EEEvT1_
    .private_segment_fixed_size: 0
    .sgpr_count:     0
    .sgpr_spill_count: 0
    .symbol:         _ZN7rocprim17ROCPRIM_400000_NS6detail17trampoline_kernelINS0_14default_configENS1_27scan_by_key_config_selectorIisEEZZNS1_16scan_by_key_implILNS1_25lookback_scan_determinismE0ELb1ES3_N6thrust23THRUST_200600_302600_NS6detail15normal_iteratorINS9_10device_ptrIiEEEENSB_INSC_IsEEEESG_sNS9_4plusIvEENS9_8equal_toIvEEsEE10hipError_tPvRmT2_T3_T4_T5_mT6_T7_P12ihipStream_tbENKUlT_T0_E_clISt17integral_constantIbLb0EES10_IbLb1EEEEDaSW_SX_EUlSW_E_NS1_11comp_targetILNS1_3genE10ELNS1_11target_archE1201ELNS1_3gpuE5ELNS1_3repE0EEENS1_30default_config_static_selectorELNS0_4arch9wavefront6targetE0EEEvT1_.kd
    .uniform_work_group_size: 1
    .uses_dynamic_stack: false
    .vgpr_count:     0
    .vgpr_spill_count: 0
    .wavefront_size: 32
    .workgroup_processor_mode: 1
  - .args:
      - .offset:         0
        .size:           112
        .value_kind:     by_value
    .group_segment_fixed_size: 0
    .kernarg_segment_align: 8
    .kernarg_segment_size: 112
    .language:       OpenCL C
    .language_version:
      - 2
      - 0
    .max_flat_workgroup_size: 256
    .name:           _ZN7rocprim17ROCPRIM_400000_NS6detail17trampoline_kernelINS0_14default_configENS1_27scan_by_key_config_selectorIisEEZZNS1_16scan_by_key_implILNS1_25lookback_scan_determinismE0ELb1ES3_N6thrust23THRUST_200600_302600_NS6detail15normal_iteratorINS9_10device_ptrIiEEEENSB_INSC_IsEEEESG_sNS9_4plusIvEENS9_8equal_toIvEEsEE10hipError_tPvRmT2_T3_T4_T5_mT6_T7_P12ihipStream_tbENKUlT_T0_E_clISt17integral_constantIbLb0EES10_IbLb1EEEEDaSW_SX_EUlSW_E_NS1_11comp_targetILNS1_3genE5ELNS1_11target_archE942ELNS1_3gpuE9ELNS1_3repE0EEENS1_30default_config_static_selectorELNS0_4arch9wavefront6targetE0EEEvT1_
    .private_segment_fixed_size: 0
    .sgpr_count:     0
    .sgpr_spill_count: 0
    .symbol:         _ZN7rocprim17ROCPRIM_400000_NS6detail17trampoline_kernelINS0_14default_configENS1_27scan_by_key_config_selectorIisEEZZNS1_16scan_by_key_implILNS1_25lookback_scan_determinismE0ELb1ES3_N6thrust23THRUST_200600_302600_NS6detail15normal_iteratorINS9_10device_ptrIiEEEENSB_INSC_IsEEEESG_sNS9_4plusIvEENS9_8equal_toIvEEsEE10hipError_tPvRmT2_T3_T4_T5_mT6_T7_P12ihipStream_tbENKUlT_T0_E_clISt17integral_constantIbLb0EES10_IbLb1EEEEDaSW_SX_EUlSW_E_NS1_11comp_targetILNS1_3genE5ELNS1_11target_archE942ELNS1_3gpuE9ELNS1_3repE0EEENS1_30default_config_static_selectorELNS0_4arch9wavefront6targetE0EEEvT1_.kd
    .uniform_work_group_size: 1
    .uses_dynamic_stack: false
    .vgpr_count:     0
    .vgpr_spill_count: 0
    .wavefront_size: 32
    .workgroup_processor_mode: 1
  - .args:
      - .offset:         0
        .size:           112
        .value_kind:     by_value
    .group_segment_fixed_size: 0
    .kernarg_segment_align: 8
    .kernarg_segment_size: 112
    .language:       OpenCL C
    .language_version:
      - 2
      - 0
    .max_flat_workgroup_size: 64
    .name:           _ZN7rocprim17ROCPRIM_400000_NS6detail17trampoline_kernelINS0_14default_configENS1_27scan_by_key_config_selectorIisEEZZNS1_16scan_by_key_implILNS1_25lookback_scan_determinismE0ELb1ES3_N6thrust23THRUST_200600_302600_NS6detail15normal_iteratorINS9_10device_ptrIiEEEENSB_INSC_IsEEEESG_sNS9_4plusIvEENS9_8equal_toIvEEsEE10hipError_tPvRmT2_T3_T4_T5_mT6_T7_P12ihipStream_tbENKUlT_T0_E_clISt17integral_constantIbLb0EES10_IbLb1EEEEDaSW_SX_EUlSW_E_NS1_11comp_targetILNS1_3genE4ELNS1_11target_archE910ELNS1_3gpuE8ELNS1_3repE0EEENS1_30default_config_static_selectorELNS0_4arch9wavefront6targetE0EEEvT1_
    .private_segment_fixed_size: 0
    .sgpr_count:     0
    .sgpr_spill_count: 0
    .symbol:         _ZN7rocprim17ROCPRIM_400000_NS6detail17trampoline_kernelINS0_14default_configENS1_27scan_by_key_config_selectorIisEEZZNS1_16scan_by_key_implILNS1_25lookback_scan_determinismE0ELb1ES3_N6thrust23THRUST_200600_302600_NS6detail15normal_iteratorINS9_10device_ptrIiEEEENSB_INSC_IsEEEESG_sNS9_4plusIvEENS9_8equal_toIvEEsEE10hipError_tPvRmT2_T3_T4_T5_mT6_T7_P12ihipStream_tbENKUlT_T0_E_clISt17integral_constantIbLb0EES10_IbLb1EEEEDaSW_SX_EUlSW_E_NS1_11comp_targetILNS1_3genE4ELNS1_11target_archE910ELNS1_3gpuE8ELNS1_3repE0EEENS1_30default_config_static_selectorELNS0_4arch9wavefront6targetE0EEEvT1_.kd
    .uniform_work_group_size: 1
    .uses_dynamic_stack: false
    .vgpr_count:     0
    .vgpr_spill_count: 0
    .wavefront_size: 32
    .workgroup_processor_mode: 1
  - .args:
      - .offset:         0
        .size:           112
        .value_kind:     by_value
    .group_segment_fixed_size: 0
    .kernarg_segment_align: 8
    .kernarg_segment_size: 112
    .language:       OpenCL C
    .language_version:
      - 2
      - 0
    .max_flat_workgroup_size: 256
    .name:           _ZN7rocprim17ROCPRIM_400000_NS6detail17trampoline_kernelINS0_14default_configENS1_27scan_by_key_config_selectorIisEEZZNS1_16scan_by_key_implILNS1_25lookback_scan_determinismE0ELb1ES3_N6thrust23THRUST_200600_302600_NS6detail15normal_iteratorINS9_10device_ptrIiEEEENSB_INSC_IsEEEESG_sNS9_4plusIvEENS9_8equal_toIvEEsEE10hipError_tPvRmT2_T3_T4_T5_mT6_T7_P12ihipStream_tbENKUlT_T0_E_clISt17integral_constantIbLb0EES10_IbLb1EEEEDaSW_SX_EUlSW_E_NS1_11comp_targetILNS1_3genE3ELNS1_11target_archE908ELNS1_3gpuE7ELNS1_3repE0EEENS1_30default_config_static_selectorELNS0_4arch9wavefront6targetE0EEEvT1_
    .private_segment_fixed_size: 0
    .sgpr_count:     0
    .sgpr_spill_count: 0
    .symbol:         _ZN7rocprim17ROCPRIM_400000_NS6detail17trampoline_kernelINS0_14default_configENS1_27scan_by_key_config_selectorIisEEZZNS1_16scan_by_key_implILNS1_25lookback_scan_determinismE0ELb1ES3_N6thrust23THRUST_200600_302600_NS6detail15normal_iteratorINS9_10device_ptrIiEEEENSB_INSC_IsEEEESG_sNS9_4plusIvEENS9_8equal_toIvEEsEE10hipError_tPvRmT2_T3_T4_T5_mT6_T7_P12ihipStream_tbENKUlT_T0_E_clISt17integral_constantIbLb0EES10_IbLb1EEEEDaSW_SX_EUlSW_E_NS1_11comp_targetILNS1_3genE3ELNS1_11target_archE908ELNS1_3gpuE7ELNS1_3repE0EEENS1_30default_config_static_selectorELNS0_4arch9wavefront6targetE0EEEvT1_.kd
    .uniform_work_group_size: 1
    .uses_dynamic_stack: false
    .vgpr_count:     0
    .vgpr_spill_count: 0
    .wavefront_size: 32
    .workgroup_processor_mode: 1
  - .args:
      - .offset:         0
        .size:           112
        .value_kind:     by_value
    .group_segment_fixed_size: 0
    .kernarg_segment_align: 8
    .kernarg_segment_size: 112
    .language:       OpenCL C
    .language_version:
      - 2
      - 0
    .max_flat_workgroup_size: 64
    .name:           _ZN7rocprim17ROCPRIM_400000_NS6detail17trampoline_kernelINS0_14default_configENS1_27scan_by_key_config_selectorIisEEZZNS1_16scan_by_key_implILNS1_25lookback_scan_determinismE0ELb1ES3_N6thrust23THRUST_200600_302600_NS6detail15normal_iteratorINS9_10device_ptrIiEEEENSB_INSC_IsEEEESG_sNS9_4plusIvEENS9_8equal_toIvEEsEE10hipError_tPvRmT2_T3_T4_T5_mT6_T7_P12ihipStream_tbENKUlT_T0_E_clISt17integral_constantIbLb0EES10_IbLb1EEEEDaSW_SX_EUlSW_E_NS1_11comp_targetILNS1_3genE2ELNS1_11target_archE906ELNS1_3gpuE6ELNS1_3repE0EEENS1_30default_config_static_selectorELNS0_4arch9wavefront6targetE0EEEvT1_
    .private_segment_fixed_size: 0
    .sgpr_count:     0
    .sgpr_spill_count: 0
    .symbol:         _ZN7rocprim17ROCPRIM_400000_NS6detail17trampoline_kernelINS0_14default_configENS1_27scan_by_key_config_selectorIisEEZZNS1_16scan_by_key_implILNS1_25lookback_scan_determinismE0ELb1ES3_N6thrust23THRUST_200600_302600_NS6detail15normal_iteratorINS9_10device_ptrIiEEEENSB_INSC_IsEEEESG_sNS9_4plusIvEENS9_8equal_toIvEEsEE10hipError_tPvRmT2_T3_T4_T5_mT6_T7_P12ihipStream_tbENKUlT_T0_E_clISt17integral_constantIbLb0EES10_IbLb1EEEEDaSW_SX_EUlSW_E_NS1_11comp_targetILNS1_3genE2ELNS1_11target_archE906ELNS1_3gpuE6ELNS1_3repE0EEENS1_30default_config_static_selectorELNS0_4arch9wavefront6targetE0EEEvT1_.kd
    .uniform_work_group_size: 1
    .uses_dynamic_stack: false
    .vgpr_count:     0
    .vgpr_spill_count: 0
    .wavefront_size: 32
    .workgroup_processor_mode: 1
  - .args:
      - .offset:         0
        .size:           112
        .value_kind:     by_value
    .group_segment_fixed_size: 0
    .kernarg_segment_align: 8
    .kernarg_segment_size: 112
    .language:       OpenCL C
    .language_version:
      - 2
      - 0
    .max_flat_workgroup_size: 256
    .name:           _ZN7rocprim17ROCPRIM_400000_NS6detail17trampoline_kernelINS0_14default_configENS1_27scan_by_key_config_selectorIisEEZZNS1_16scan_by_key_implILNS1_25lookback_scan_determinismE0ELb1ES3_N6thrust23THRUST_200600_302600_NS6detail15normal_iteratorINS9_10device_ptrIiEEEENSB_INSC_IsEEEESG_sNS9_4plusIvEENS9_8equal_toIvEEsEE10hipError_tPvRmT2_T3_T4_T5_mT6_T7_P12ihipStream_tbENKUlT_T0_E_clISt17integral_constantIbLb0EES10_IbLb1EEEEDaSW_SX_EUlSW_E_NS1_11comp_targetILNS1_3genE10ELNS1_11target_archE1200ELNS1_3gpuE4ELNS1_3repE0EEENS1_30default_config_static_selectorELNS0_4arch9wavefront6targetE0EEEvT1_
    .private_segment_fixed_size: 0
    .sgpr_count:     0
    .sgpr_spill_count: 0
    .symbol:         _ZN7rocprim17ROCPRIM_400000_NS6detail17trampoline_kernelINS0_14default_configENS1_27scan_by_key_config_selectorIisEEZZNS1_16scan_by_key_implILNS1_25lookback_scan_determinismE0ELb1ES3_N6thrust23THRUST_200600_302600_NS6detail15normal_iteratorINS9_10device_ptrIiEEEENSB_INSC_IsEEEESG_sNS9_4plusIvEENS9_8equal_toIvEEsEE10hipError_tPvRmT2_T3_T4_T5_mT6_T7_P12ihipStream_tbENKUlT_T0_E_clISt17integral_constantIbLb0EES10_IbLb1EEEEDaSW_SX_EUlSW_E_NS1_11comp_targetILNS1_3genE10ELNS1_11target_archE1200ELNS1_3gpuE4ELNS1_3repE0EEENS1_30default_config_static_selectorELNS0_4arch9wavefront6targetE0EEEvT1_.kd
    .uniform_work_group_size: 1
    .uses_dynamic_stack: false
    .vgpr_count:     0
    .vgpr_spill_count: 0
    .wavefront_size: 32
    .workgroup_processor_mode: 1
  - .args:
      - .offset:         0
        .size:           112
        .value_kind:     by_value
    .group_segment_fixed_size: 0
    .kernarg_segment_align: 8
    .kernarg_segment_size: 112
    .language:       OpenCL C
    .language_version:
      - 2
      - 0
    .max_flat_workgroup_size: 64
    .name:           _ZN7rocprim17ROCPRIM_400000_NS6detail17trampoline_kernelINS0_14default_configENS1_27scan_by_key_config_selectorIisEEZZNS1_16scan_by_key_implILNS1_25lookback_scan_determinismE0ELb1ES3_N6thrust23THRUST_200600_302600_NS6detail15normal_iteratorINS9_10device_ptrIiEEEENSB_INSC_IsEEEESG_sNS9_4plusIvEENS9_8equal_toIvEEsEE10hipError_tPvRmT2_T3_T4_T5_mT6_T7_P12ihipStream_tbENKUlT_T0_E_clISt17integral_constantIbLb0EES10_IbLb1EEEEDaSW_SX_EUlSW_E_NS1_11comp_targetILNS1_3genE9ELNS1_11target_archE1100ELNS1_3gpuE3ELNS1_3repE0EEENS1_30default_config_static_selectorELNS0_4arch9wavefront6targetE0EEEvT1_
    .private_segment_fixed_size: 0
    .sgpr_count:     0
    .sgpr_spill_count: 0
    .symbol:         _ZN7rocprim17ROCPRIM_400000_NS6detail17trampoline_kernelINS0_14default_configENS1_27scan_by_key_config_selectorIisEEZZNS1_16scan_by_key_implILNS1_25lookback_scan_determinismE0ELb1ES3_N6thrust23THRUST_200600_302600_NS6detail15normal_iteratorINS9_10device_ptrIiEEEENSB_INSC_IsEEEESG_sNS9_4plusIvEENS9_8equal_toIvEEsEE10hipError_tPvRmT2_T3_T4_T5_mT6_T7_P12ihipStream_tbENKUlT_T0_E_clISt17integral_constantIbLb0EES10_IbLb1EEEEDaSW_SX_EUlSW_E_NS1_11comp_targetILNS1_3genE9ELNS1_11target_archE1100ELNS1_3gpuE3ELNS1_3repE0EEENS1_30default_config_static_selectorELNS0_4arch9wavefront6targetE0EEEvT1_.kd
    .uniform_work_group_size: 1
    .uses_dynamic_stack: false
    .vgpr_count:     0
    .vgpr_spill_count: 0
    .wavefront_size: 32
    .workgroup_processor_mode: 1
  - .args:
      - .offset:         0
        .size:           112
        .value_kind:     by_value
    .group_segment_fixed_size: 2304
    .kernarg_segment_align: 8
    .kernarg_segment_size: 112
    .language:       OpenCL C
    .language_version:
      - 2
      - 0
    .max_flat_workgroup_size: 64
    .name:           _ZN7rocprim17ROCPRIM_400000_NS6detail17trampoline_kernelINS0_14default_configENS1_27scan_by_key_config_selectorIisEEZZNS1_16scan_by_key_implILNS1_25lookback_scan_determinismE0ELb1ES3_N6thrust23THRUST_200600_302600_NS6detail15normal_iteratorINS9_10device_ptrIiEEEENSB_INSC_IsEEEESG_sNS9_4plusIvEENS9_8equal_toIvEEsEE10hipError_tPvRmT2_T3_T4_T5_mT6_T7_P12ihipStream_tbENKUlT_T0_E_clISt17integral_constantIbLb0EES10_IbLb1EEEEDaSW_SX_EUlSW_E_NS1_11comp_targetILNS1_3genE8ELNS1_11target_archE1030ELNS1_3gpuE2ELNS1_3repE0EEENS1_30default_config_static_selectorELNS0_4arch9wavefront6targetE0EEEvT1_
    .private_segment_fixed_size: 0
    .sgpr_count:     34
    .sgpr_spill_count: 0
    .symbol:         _ZN7rocprim17ROCPRIM_400000_NS6detail17trampoline_kernelINS0_14default_configENS1_27scan_by_key_config_selectorIisEEZZNS1_16scan_by_key_implILNS1_25lookback_scan_determinismE0ELb1ES3_N6thrust23THRUST_200600_302600_NS6detail15normal_iteratorINS9_10device_ptrIiEEEENSB_INSC_IsEEEESG_sNS9_4plusIvEENS9_8equal_toIvEEsEE10hipError_tPvRmT2_T3_T4_T5_mT6_T7_P12ihipStream_tbENKUlT_T0_E_clISt17integral_constantIbLb0EES10_IbLb1EEEEDaSW_SX_EUlSW_E_NS1_11comp_targetILNS1_3genE8ELNS1_11target_archE1030ELNS1_3gpuE2ELNS1_3repE0EEENS1_30default_config_static_selectorELNS0_4arch9wavefront6targetE0EEEvT1_.kd
    .uniform_work_group_size: 1
    .uses_dynamic_stack: false
    .vgpr_count:     38
    .vgpr_spill_count: 0
    .wavefront_size: 32
    .workgroup_processor_mode: 1
  - .args:
      - .offset:         0
        .size:           16
        .value_kind:     by_value
      - .offset:         16
        .size:           8
        .value_kind:     by_value
      - .offset:         24
        .size:           8
        .value_kind:     by_value
    .group_segment_fixed_size: 0
    .kernarg_segment_align: 8
    .kernarg_segment_size: 32
    .language:       OpenCL C
    .language_version:
      - 2
      - 0
    .max_flat_workgroup_size: 256
    .name:           _ZN6thrust23THRUST_200600_302600_NS11hip_rocprim14__parallel_for6kernelILj256ENS1_20__uninitialized_fill7functorINS0_10device_ptrIfEEfEEmLj1EEEvT0_T1_SA_
    .private_segment_fixed_size: 0
    .sgpr_count:     14
    .sgpr_spill_count: 0
    .symbol:         _ZN6thrust23THRUST_200600_302600_NS11hip_rocprim14__parallel_for6kernelILj256ENS1_20__uninitialized_fill7functorINS0_10device_ptrIfEEfEEmLj1EEEvT0_T1_SA_.kd
    .uniform_work_group_size: 1
    .uses_dynamic_stack: false
    .vgpr_count:     4
    .vgpr_spill_count: 0
    .wavefront_size: 32
    .workgroup_processor_mode: 1
  - .args:
      - .offset:         0
        .size:           112
        .value_kind:     by_value
    .group_segment_fixed_size: 0
    .kernarg_segment_align: 8
    .kernarg_segment_size: 112
    .language:       OpenCL C
    .language_version:
      - 2
      - 0
    .max_flat_workgroup_size: 256
    .name:           _ZN7rocprim17ROCPRIM_400000_NS6detail17trampoline_kernelINS0_14default_configENS1_27scan_by_key_config_selectorIijEEZZNS1_16scan_by_key_implILNS1_25lookback_scan_determinismE0ELb0ES3_N6thrust23THRUST_200600_302600_NS6detail15normal_iteratorINS9_10device_ptrIiEEEENSB_INSC_IjEEEENSB_INSC_IfEEEEjNS9_4plusIvEENS9_8equal_toIvEEjEE10hipError_tPvRmT2_T3_T4_T5_mT6_T7_P12ihipStream_tbENKUlT_T0_E_clISt17integral_constantIbLb0EES13_EEDaSY_SZ_EUlSY_E_NS1_11comp_targetILNS1_3genE0ELNS1_11target_archE4294967295ELNS1_3gpuE0ELNS1_3repE0EEENS1_30default_config_static_selectorELNS0_4arch9wavefront6targetE0EEEvT1_
    .private_segment_fixed_size: 0
    .sgpr_count:     0
    .sgpr_spill_count: 0
    .symbol:         _ZN7rocprim17ROCPRIM_400000_NS6detail17trampoline_kernelINS0_14default_configENS1_27scan_by_key_config_selectorIijEEZZNS1_16scan_by_key_implILNS1_25lookback_scan_determinismE0ELb0ES3_N6thrust23THRUST_200600_302600_NS6detail15normal_iteratorINS9_10device_ptrIiEEEENSB_INSC_IjEEEENSB_INSC_IfEEEEjNS9_4plusIvEENS9_8equal_toIvEEjEE10hipError_tPvRmT2_T3_T4_T5_mT6_T7_P12ihipStream_tbENKUlT_T0_E_clISt17integral_constantIbLb0EES13_EEDaSY_SZ_EUlSY_E_NS1_11comp_targetILNS1_3genE0ELNS1_11target_archE4294967295ELNS1_3gpuE0ELNS1_3repE0EEENS1_30default_config_static_selectorELNS0_4arch9wavefront6targetE0EEEvT1_.kd
    .uniform_work_group_size: 1
    .uses_dynamic_stack: false
    .vgpr_count:     0
    .vgpr_spill_count: 0
    .wavefront_size: 32
    .workgroup_processor_mode: 1
  - .args:
      - .offset:         0
        .size:           112
        .value_kind:     by_value
    .group_segment_fixed_size: 0
    .kernarg_segment_align: 8
    .kernarg_segment_size: 112
    .language:       OpenCL C
    .language_version:
      - 2
      - 0
    .max_flat_workgroup_size: 256
    .name:           _ZN7rocprim17ROCPRIM_400000_NS6detail17trampoline_kernelINS0_14default_configENS1_27scan_by_key_config_selectorIijEEZZNS1_16scan_by_key_implILNS1_25lookback_scan_determinismE0ELb0ES3_N6thrust23THRUST_200600_302600_NS6detail15normal_iteratorINS9_10device_ptrIiEEEENSB_INSC_IjEEEENSB_INSC_IfEEEEjNS9_4plusIvEENS9_8equal_toIvEEjEE10hipError_tPvRmT2_T3_T4_T5_mT6_T7_P12ihipStream_tbENKUlT_T0_E_clISt17integral_constantIbLb0EES13_EEDaSY_SZ_EUlSY_E_NS1_11comp_targetILNS1_3genE10ELNS1_11target_archE1201ELNS1_3gpuE5ELNS1_3repE0EEENS1_30default_config_static_selectorELNS0_4arch9wavefront6targetE0EEEvT1_
    .private_segment_fixed_size: 0
    .sgpr_count:     0
    .sgpr_spill_count: 0
    .symbol:         _ZN7rocprim17ROCPRIM_400000_NS6detail17trampoline_kernelINS0_14default_configENS1_27scan_by_key_config_selectorIijEEZZNS1_16scan_by_key_implILNS1_25lookback_scan_determinismE0ELb0ES3_N6thrust23THRUST_200600_302600_NS6detail15normal_iteratorINS9_10device_ptrIiEEEENSB_INSC_IjEEEENSB_INSC_IfEEEEjNS9_4plusIvEENS9_8equal_toIvEEjEE10hipError_tPvRmT2_T3_T4_T5_mT6_T7_P12ihipStream_tbENKUlT_T0_E_clISt17integral_constantIbLb0EES13_EEDaSY_SZ_EUlSY_E_NS1_11comp_targetILNS1_3genE10ELNS1_11target_archE1201ELNS1_3gpuE5ELNS1_3repE0EEENS1_30default_config_static_selectorELNS0_4arch9wavefront6targetE0EEEvT1_.kd
    .uniform_work_group_size: 1
    .uses_dynamic_stack: false
    .vgpr_count:     0
    .vgpr_spill_count: 0
    .wavefront_size: 32
    .workgroup_processor_mode: 1
  - .args:
      - .offset:         0
        .size:           112
        .value_kind:     by_value
    .group_segment_fixed_size: 0
    .kernarg_segment_align: 8
    .kernarg_segment_size: 112
    .language:       OpenCL C
    .language_version:
      - 2
      - 0
    .max_flat_workgroup_size: 256
    .name:           _ZN7rocprim17ROCPRIM_400000_NS6detail17trampoline_kernelINS0_14default_configENS1_27scan_by_key_config_selectorIijEEZZNS1_16scan_by_key_implILNS1_25lookback_scan_determinismE0ELb0ES3_N6thrust23THRUST_200600_302600_NS6detail15normal_iteratorINS9_10device_ptrIiEEEENSB_INSC_IjEEEENSB_INSC_IfEEEEjNS9_4plusIvEENS9_8equal_toIvEEjEE10hipError_tPvRmT2_T3_T4_T5_mT6_T7_P12ihipStream_tbENKUlT_T0_E_clISt17integral_constantIbLb0EES13_EEDaSY_SZ_EUlSY_E_NS1_11comp_targetILNS1_3genE5ELNS1_11target_archE942ELNS1_3gpuE9ELNS1_3repE0EEENS1_30default_config_static_selectorELNS0_4arch9wavefront6targetE0EEEvT1_
    .private_segment_fixed_size: 0
    .sgpr_count:     0
    .sgpr_spill_count: 0
    .symbol:         _ZN7rocprim17ROCPRIM_400000_NS6detail17trampoline_kernelINS0_14default_configENS1_27scan_by_key_config_selectorIijEEZZNS1_16scan_by_key_implILNS1_25lookback_scan_determinismE0ELb0ES3_N6thrust23THRUST_200600_302600_NS6detail15normal_iteratorINS9_10device_ptrIiEEEENSB_INSC_IjEEEENSB_INSC_IfEEEEjNS9_4plusIvEENS9_8equal_toIvEEjEE10hipError_tPvRmT2_T3_T4_T5_mT6_T7_P12ihipStream_tbENKUlT_T0_E_clISt17integral_constantIbLb0EES13_EEDaSY_SZ_EUlSY_E_NS1_11comp_targetILNS1_3genE5ELNS1_11target_archE942ELNS1_3gpuE9ELNS1_3repE0EEENS1_30default_config_static_selectorELNS0_4arch9wavefront6targetE0EEEvT1_.kd
    .uniform_work_group_size: 1
    .uses_dynamic_stack: false
    .vgpr_count:     0
    .vgpr_spill_count: 0
    .wavefront_size: 32
    .workgroup_processor_mode: 1
  - .args:
      - .offset:         0
        .size:           112
        .value_kind:     by_value
    .group_segment_fixed_size: 0
    .kernarg_segment_align: 8
    .kernarg_segment_size: 112
    .language:       OpenCL C
    .language_version:
      - 2
      - 0
    .max_flat_workgroup_size: 256
    .name:           _ZN7rocprim17ROCPRIM_400000_NS6detail17trampoline_kernelINS0_14default_configENS1_27scan_by_key_config_selectorIijEEZZNS1_16scan_by_key_implILNS1_25lookback_scan_determinismE0ELb0ES3_N6thrust23THRUST_200600_302600_NS6detail15normal_iteratorINS9_10device_ptrIiEEEENSB_INSC_IjEEEENSB_INSC_IfEEEEjNS9_4plusIvEENS9_8equal_toIvEEjEE10hipError_tPvRmT2_T3_T4_T5_mT6_T7_P12ihipStream_tbENKUlT_T0_E_clISt17integral_constantIbLb0EES13_EEDaSY_SZ_EUlSY_E_NS1_11comp_targetILNS1_3genE4ELNS1_11target_archE910ELNS1_3gpuE8ELNS1_3repE0EEENS1_30default_config_static_selectorELNS0_4arch9wavefront6targetE0EEEvT1_
    .private_segment_fixed_size: 0
    .sgpr_count:     0
    .sgpr_spill_count: 0
    .symbol:         _ZN7rocprim17ROCPRIM_400000_NS6detail17trampoline_kernelINS0_14default_configENS1_27scan_by_key_config_selectorIijEEZZNS1_16scan_by_key_implILNS1_25lookback_scan_determinismE0ELb0ES3_N6thrust23THRUST_200600_302600_NS6detail15normal_iteratorINS9_10device_ptrIiEEEENSB_INSC_IjEEEENSB_INSC_IfEEEEjNS9_4plusIvEENS9_8equal_toIvEEjEE10hipError_tPvRmT2_T3_T4_T5_mT6_T7_P12ihipStream_tbENKUlT_T0_E_clISt17integral_constantIbLb0EES13_EEDaSY_SZ_EUlSY_E_NS1_11comp_targetILNS1_3genE4ELNS1_11target_archE910ELNS1_3gpuE8ELNS1_3repE0EEENS1_30default_config_static_selectorELNS0_4arch9wavefront6targetE0EEEvT1_.kd
    .uniform_work_group_size: 1
    .uses_dynamic_stack: false
    .vgpr_count:     0
    .vgpr_spill_count: 0
    .wavefront_size: 32
    .workgroup_processor_mode: 1
  - .args:
      - .offset:         0
        .size:           112
        .value_kind:     by_value
    .group_segment_fixed_size: 0
    .kernarg_segment_align: 8
    .kernarg_segment_size: 112
    .language:       OpenCL C
    .language_version:
      - 2
      - 0
    .max_flat_workgroup_size: 256
    .name:           _ZN7rocprim17ROCPRIM_400000_NS6detail17trampoline_kernelINS0_14default_configENS1_27scan_by_key_config_selectorIijEEZZNS1_16scan_by_key_implILNS1_25lookback_scan_determinismE0ELb0ES3_N6thrust23THRUST_200600_302600_NS6detail15normal_iteratorINS9_10device_ptrIiEEEENSB_INSC_IjEEEENSB_INSC_IfEEEEjNS9_4plusIvEENS9_8equal_toIvEEjEE10hipError_tPvRmT2_T3_T4_T5_mT6_T7_P12ihipStream_tbENKUlT_T0_E_clISt17integral_constantIbLb0EES13_EEDaSY_SZ_EUlSY_E_NS1_11comp_targetILNS1_3genE3ELNS1_11target_archE908ELNS1_3gpuE7ELNS1_3repE0EEENS1_30default_config_static_selectorELNS0_4arch9wavefront6targetE0EEEvT1_
    .private_segment_fixed_size: 0
    .sgpr_count:     0
    .sgpr_spill_count: 0
    .symbol:         _ZN7rocprim17ROCPRIM_400000_NS6detail17trampoline_kernelINS0_14default_configENS1_27scan_by_key_config_selectorIijEEZZNS1_16scan_by_key_implILNS1_25lookback_scan_determinismE0ELb0ES3_N6thrust23THRUST_200600_302600_NS6detail15normal_iteratorINS9_10device_ptrIiEEEENSB_INSC_IjEEEENSB_INSC_IfEEEEjNS9_4plusIvEENS9_8equal_toIvEEjEE10hipError_tPvRmT2_T3_T4_T5_mT6_T7_P12ihipStream_tbENKUlT_T0_E_clISt17integral_constantIbLb0EES13_EEDaSY_SZ_EUlSY_E_NS1_11comp_targetILNS1_3genE3ELNS1_11target_archE908ELNS1_3gpuE7ELNS1_3repE0EEENS1_30default_config_static_selectorELNS0_4arch9wavefront6targetE0EEEvT1_.kd
    .uniform_work_group_size: 1
    .uses_dynamic_stack: false
    .vgpr_count:     0
    .vgpr_spill_count: 0
    .wavefront_size: 32
    .workgroup_processor_mode: 1
  - .args:
      - .offset:         0
        .size:           112
        .value_kind:     by_value
    .group_segment_fixed_size: 0
    .kernarg_segment_align: 8
    .kernarg_segment_size: 112
    .language:       OpenCL C
    .language_version:
      - 2
      - 0
    .max_flat_workgroup_size: 256
    .name:           _ZN7rocprim17ROCPRIM_400000_NS6detail17trampoline_kernelINS0_14default_configENS1_27scan_by_key_config_selectorIijEEZZNS1_16scan_by_key_implILNS1_25lookback_scan_determinismE0ELb0ES3_N6thrust23THRUST_200600_302600_NS6detail15normal_iteratorINS9_10device_ptrIiEEEENSB_INSC_IjEEEENSB_INSC_IfEEEEjNS9_4plusIvEENS9_8equal_toIvEEjEE10hipError_tPvRmT2_T3_T4_T5_mT6_T7_P12ihipStream_tbENKUlT_T0_E_clISt17integral_constantIbLb0EES13_EEDaSY_SZ_EUlSY_E_NS1_11comp_targetILNS1_3genE2ELNS1_11target_archE906ELNS1_3gpuE6ELNS1_3repE0EEENS1_30default_config_static_selectorELNS0_4arch9wavefront6targetE0EEEvT1_
    .private_segment_fixed_size: 0
    .sgpr_count:     0
    .sgpr_spill_count: 0
    .symbol:         _ZN7rocprim17ROCPRIM_400000_NS6detail17trampoline_kernelINS0_14default_configENS1_27scan_by_key_config_selectorIijEEZZNS1_16scan_by_key_implILNS1_25lookback_scan_determinismE0ELb0ES3_N6thrust23THRUST_200600_302600_NS6detail15normal_iteratorINS9_10device_ptrIiEEEENSB_INSC_IjEEEENSB_INSC_IfEEEEjNS9_4plusIvEENS9_8equal_toIvEEjEE10hipError_tPvRmT2_T3_T4_T5_mT6_T7_P12ihipStream_tbENKUlT_T0_E_clISt17integral_constantIbLb0EES13_EEDaSY_SZ_EUlSY_E_NS1_11comp_targetILNS1_3genE2ELNS1_11target_archE906ELNS1_3gpuE6ELNS1_3repE0EEENS1_30default_config_static_selectorELNS0_4arch9wavefront6targetE0EEEvT1_.kd
    .uniform_work_group_size: 1
    .uses_dynamic_stack: false
    .vgpr_count:     0
    .vgpr_spill_count: 0
    .wavefront_size: 32
    .workgroup_processor_mode: 1
  - .args:
      - .offset:         0
        .size:           112
        .value_kind:     by_value
    .group_segment_fixed_size: 0
    .kernarg_segment_align: 8
    .kernarg_segment_size: 112
    .language:       OpenCL C
    .language_version:
      - 2
      - 0
    .max_flat_workgroup_size: 256
    .name:           _ZN7rocprim17ROCPRIM_400000_NS6detail17trampoline_kernelINS0_14default_configENS1_27scan_by_key_config_selectorIijEEZZNS1_16scan_by_key_implILNS1_25lookback_scan_determinismE0ELb0ES3_N6thrust23THRUST_200600_302600_NS6detail15normal_iteratorINS9_10device_ptrIiEEEENSB_INSC_IjEEEENSB_INSC_IfEEEEjNS9_4plusIvEENS9_8equal_toIvEEjEE10hipError_tPvRmT2_T3_T4_T5_mT6_T7_P12ihipStream_tbENKUlT_T0_E_clISt17integral_constantIbLb0EES13_EEDaSY_SZ_EUlSY_E_NS1_11comp_targetILNS1_3genE10ELNS1_11target_archE1200ELNS1_3gpuE4ELNS1_3repE0EEENS1_30default_config_static_selectorELNS0_4arch9wavefront6targetE0EEEvT1_
    .private_segment_fixed_size: 0
    .sgpr_count:     0
    .sgpr_spill_count: 0
    .symbol:         _ZN7rocprim17ROCPRIM_400000_NS6detail17trampoline_kernelINS0_14default_configENS1_27scan_by_key_config_selectorIijEEZZNS1_16scan_by_key_implILNS1_25lookback_scan_determinismE0ELb0ES3_N6thrust23THRUST_200600_302600_NS6detail15normal_iteratorINS9_10device_ptrIiEEEENSB_INSC_IjEEEENSB_INSC_IfEEEEjNS9_4plusIvEENS9_8equal_toIvEEjEE10hipError_tPvRmT2_T3_T4_T5_mT6_T7_P12ihipStream_tbENKUlT_T0_E_clISt17integral_constantIbLb0EES13_EEDaSY_SZ_EUlSY_E_NS1_11comp_targetILNS1_3genE10ELNS1_11target_archE1200ELNS1_3gpuE4ELNS1_3repE0EEENS1_30default_config_static_selectorELNS0_4arch9wavefront6targetE0EEEvT1_.kd
    .uniform_work_group_size: 1
    .uses_dynamic_stack: false
    .vgpr_count:     0
    .vgpr_spill_count: 0
    .wavefront_size: 32
    .workgroup_processor_mode: 1
  - .args:
      - .offset:         0
        .size:           112
        .value_kind:     by_value
    .group_segment_fixed_size: 0
    .kernarg_segment_align: 8
    .kernarg_segment_size: 112
    .language:       OpenCL C
    .language_version:
      - 2
      - 0
    .max_flat_workgroup_size: 256
    .name:           _ZN7rocprim17ROCPRIM_400000_NS6detail17trampoline_kernelINS0_14default_configENS1_27scan_by_key_config_selectorIijEEZZNS1_16scan_by_key_implILNS1_25lookback_scan_determinismE0ELb0ES3_N6thrust23THRUST_200600_302600_NS6detail15normal_iteratorINS9_10device_ptrIiEEEENSB_INSC_IjEEEENSB_INSC_IfEEEEjNS9_4plusIvEENS9_8equal_toIvEEjEE10hipError_tPvRmT2_T3_T4_T5_mT6_T7_P12ihipStream_tbENKUlT_T0_E_clISt17integral_constantIbLb0EES13_EEDaSY_SZ_EUlSY_E_NS1_11comp_targetILNS1_3genE9ELNS1_11target_archE1100ELNS1_3gpuE3ELNS1_3repE0EEENS1_30default_config_static_selectorELNS0_4arch9wavefront6targetE0EEEvT1_
    .private_segment_fixed_size: 0
    .sgpr_count:     0
    .sgpr_spill_count: 0
    .symbol:         _ZN7rocprim17ROCPRIM_400000_NS6detail17trampoline_kernelINS0_14default_configENS1_27scan_by_key_config_selectorIijEEZZNS1_16scan_by_key_implILNS1_25lookback_scan_determinismE0ELb0ES3_N6thrust23THRUST_200600_302600_NS6detail15normal_iteratorINS9_10device_ptrIiEEEENSB_INSC_IjEEEENSB_INSC_IfEEEEjNS9_4plusIvEENS9_8equal_toIvEEjEE10hipError_tPvRmT2_T3_T4_T5_mT6_T7_P12ihipStream_tbENKUlT_T0_E_clISt17integral_constantIbLb0EES13_EEDaSY_SZ_EUlSY_E_NS1_11comp_targetILNS1_3genE9ELNS1_11target_archE1100ELNS1_3gpuE3ELNS1_3repE0EEENS1_30default_config_static_selectorELNS0_4arch9wavefront6targetE0EEEvT1_.kd
    .uniform_work_group_size: 1
    .uses_dynamic_stack: false
    .vgpr_count:     0
    .vgpr_spill_count: 0
    .wavefront_size: 32
    .workgroup_processor_mode: 1
  - .args:
      - .offset:         0
        .size:           112
        .value_kind:     by_value
    .group_segment_fixed_size: 5120
    .kernarg_segment_align: 8
    .kernarg_segment_size: 112
    .language:       OpenCL C
    .language_version:
      - 2
      - 0
    .max_flat_workgroup_size: 256
    .name:           _ZN7rocprim17ROCPRIM_400000_NS6detail17trampoline_kernelINS0_14default_configENS1_27scan_by_key_config_selectorIijEEZZNS1_16scan_by_key_implILNS1_25lookback_scan_determinismE0ELb0ES3_N6thrust23THRUST_200600_302600_NS6detail15normal_iteratorINS9_10device_ptrIiEEEENSB_INSC_IjEEEENSB_INSC_IfEEEEjNS9_4plusIvEENS9_8equal_toIvEEjEE10hipError_tPvRmT2_T3_T4_T5_mT6_T7_P12ihipStream_tbENKUlT_T0_E_clISt17integral_constantIbLb0EES13_EEDaSY_SZ_EUlSY_E_NS1_11comp_targetILNS1_3genE8ELNS1_11target_archE1030ELNS1_3gpuE2ELNS1_3repE0EEENS1_30default_config_static_selectorELNS0_4arch9wavefront6targetE0EEEvT1_
    .private_segment_fixed_size: 0
    .sgpr_count:     33
    .sgpr_spill_count: 0
    .symbol:         _ZN7rocprim17ROCPRIM_400000_NS6detail17trampoline_kernelINS0_14default_configENS1_27scan_by_key_config_selectorIijEEZZNS1_16scan_by_key_implILNS1_25lookback_scan_determinismE0ELb0ES3_N6thrust23THRUST_200600_302600_NS6detail15normal_iteratorINS9_10device_ptrIiEEEENSB_INSC_IjEEEENSB_INSC_IfEEEEjNS9_4plusIvEENS9_8equal_toIvEEjEE10hipError_tPvRmT2_T3_T4_T5_mT6_T7_P12ihipStream_tbENKUlT_T0_E_clISt17integral_constantIbLb0EES13_EEDaSY_SZ_EUlSY_E_NS1_11comp_targetILNS1_3genE8ELNS1_11target_archE1030ELNS1_3gpuE2ELNS1_3repE0EEENS1_30default_config_static_selectorELNS0_4arch9wavefront6targetE0EEEvT1_.kd
    .uniform_work_group_size: 1
    .uses_dynamic_stack: false
    .vgpr_count:     42
    .vgpr_spill_count: 0
    .wavefront_size: 32
    .workgroup_processor_mode: 1
  - .args:
      - .offset:         0
        .size:           112
        .value_kind:     by_value
    .group_segment_fixed_size: 0
    .kernarg_segment_align: 8
    .kernarg_segment_size: 112
    .language:       OpenCL C
    .language_version:
      - 2
      - 0
    .max_flat_workgroup_size: 256
    .name:           _ZN7rocprim17ROCPRIM_400000_NS6detail17trampoline_kernelINS0_14default_configENS1_27scan_by_key_config_selectorIijEEZZNS1_16scan_by_key_implILNS1_25lookback_scan_determinismE0ELb0ES3_N6thrust23THRUST_200600_302600_NS6detail15normal_iteratorINS9_10device_ptrIiEEEENSB_INSC_IjEEEENSB_INSC_IfEEEEjNS9_4plusIvEENS9_8equal_toIvEEjEE10hipError_tPvRmT2_T3_T4_T5_mT6_T7_P12ihipStream_tbENKUlT_T0_E_clISt17integral_constantIbLb1EES13_EEDaSY_SZ_EUlSY_E_NS1_11comp_targetILNS1_3genE0ELNS1_11target_archE4294967295ELNS1_3gpuE0ELNS1_3repE0EEENS1_30default_config_static_selectorELNS0_4arch9wavefront6targetE0EEEvT1_
    .private_segment_fixed_size: 0
    .sgpr_count:     0
    .sgpr_spill_count: 0
    .symbol:         _ZN7rocprim17ROCPRIM_400000_NS6detail17trampoline_kernelINS0_14default_configENS1_27scan_by_key_config_selectorIijEEZZNS1_16scan_by_key_implILNS1_25lookback_scan_determinismE0ELb0ES3_N6thrust23THRUST_200600_302600_NS6detail15normal_iteratorINS9_10device_ptrIiEEEENSB_INSC_IjEEEENSB_INSC_IfEEEEjNS9_4plusIvEENS9_8equal_toIvEEjEE10hipError_tPvRmT2_T3_T4_T5_mT6_T7_P12ihipStream_tbENKUlT_T0_E_clISt17integral_constantIbLb1EES13_EEDaSY_SZ_EUlSY_E_NS1_11comp_targetILNS1_3genE0ELNS1_11target_archE4294967295ELNS1_3gpuE0ELNS1_3repE0EEENS1_30default_config_static_selectorELNS0_4arch9wavefront6targetE0EEEvT1_.kd
    .uniform_work_group_size: 1
    .uses_dynamic_stack: false
    .vgpr_count:     0
    .vgpr_spill_count: 0
    .wavefront_size: 32
    .workgroup_processor_mode: 1
  - .args:
      - .offset:         0
        .size:           112
        .value_kind:     by_value
    .group_segment_fixed_size: 0
    .kernarg_segment_align: 8
    .kernarg_segment_size: 112
    .language:       OpenCL C
    .language_version:
      - 2
      - 0
    .max_flat_workgroup_size: 256
    .name:           _ZN7rocprim17ROCPRIM_400000_NS6detail17trampoline_kernelINS0_14default_configENS1_27scan_by_key_config_selectorIijEEZZNS1_16scan_by_key_implILNS1_25lookback_scan_determinismE0ELb0ES3_N6thrust23THRUST_200600_302600_NS6detail15normal_iteratorINS9_10device_ptrIiEEEENSB_INSC_IjEEEENSB_INSC_IfEEEEjNS9_4plusIvEENS9_8equal_toIvEEjEE10hipError_tPvRmT2_T3_T4_T5_mT6_T7_P12ihipStream_tbENKUlT_T0_E_clISt17integral_constantIbLb1EES13_EEDaSY_SZ_EUlSY_E_NS1_11comp_targetILNS1_3genE10ELNS1_11target_archE1201ELNS1_3gpuE5ELNS1_3repE0EEENS1_30default_config_static_selectorELNS0_4arch9wavefront6targetE0EEEvT1_
    .private_segment_fixed_size: 0
    .sgpr_count:     0
    .sgpr_spill_count: 0
    .symbol:         _ZN7rocprim17ROCPRIM_400000_NS6detail17trampoline_kernelINS0_14default_configENS1_27scan_by_key_config_selectorIijEEZZNS1_16scan_by_key_implILNS1_25lookback_scan_determinismE0ELb0ES3_N6thrust23THRUST_200600_302600_NS6detail15normal_iteratorINS9_10device_ptrIiEEEENSB_INSC_IjEEEENSB_INSC_IfEEEEjNS9_4plusIvEENS9_8equal_toIvEEjEE10hipError_tPvRmT2_T3_T4_T5_mT6_T7_P12ihipStream_tbENKUlT_T0_E_clISt17integral_constantIbLb1EES13_EEDaSY_SZ_EUlSY_E_NS1_11comp_targetILNS1_3genE10ELNS1_11target_archE1201ELNS1_3gpuE5ELNS1_3repE0EEENS1_30default_config_static_selectorELNS0_4arch9wavefront6targetE0EEEvT1_.kd
    .uniform_work_group_size: 1
    .uses_dynamic_stack: false
    .vgpr_count:     0
    .vgpr_spill_count: 0
    .wavefront_size: 32
    .workgroup_processor_mode: 1
  - .args:
      - .offset:         0
        .size:           112
        .value_kind:     by_value
    .group_segment_fixed_size: 0
    .kernarg_segment_align: 8
    .kernarg_segment_size: 112
    .language:       OpenCL C
    .language_version:
      - 2
      - 0
    .max_flat_workgroup_size: 256
    .name:           _ZN7rocprim17ROCPRIM_400000_NS6detail17trampoline_kernelINS0_14default_configENS1_27scan_by_key_config_selectorIijEEZZNS1_16scan_by_key_implILNS1_25lookback_scan_determinismE0ELb0ES3_N6thrust23THRUST_200600_302600_NS6detail15normal_iteratorINS9_10device_ptrIiEEEENSB_INSC_IjEEEENSB_INSC_IfEEEEjNS9_4plusIvEENS9_8equal_toIvEEjEE10hipError_tPvRmT2_T3_T4_T5_mT6_T7_P12ihipStream_tbENKUlT_T0_E_clISt17integral_constantIbLb1EES13_EEDaSY_SZ_EUlSY_E_NS1_11comp_targetILNS1_3genE5ELNS1_11target_archE942ELNS1_3gpuE9ELNS1_3repE0EEENS1_30default_config_static_selectorELNS0_4arch9wavefront6targetE0EEEvT1_
    .private_segment_fixed_size: 0
    .sgpr_count:     0
    .sgpr_spill_count: 0
    .symbol:         _ZN7rocprim17ROCPRIM_400000_NS6detail17trampoline_kernelINS0_14default_configENS1_27scan_by_key_config_selectorIijEEZZNS1_16scan_by_key_implILNS1_25lookback_scan_determinismE0ELb0ES3_N6thrust23THRUST_200600_302600_NS6detail15normal_iteratorINS9_10device_ptrIiEEEENSB_INSC_IjEEEENSB_INSC_IfEEEEjNS9_4plusIvEENS9_8equal_toIvEEjEE10hipError_tPvRmT2_T3_T4_T5_mT6_T7_P12ihipStream_tbENKUlT_T0_E_clISt17integral_constantIbLb1EES13_EEDaSY_SZ_EUlSY_E_NS1_11comp_targetILNS1_3genE5ELNS1_11target_archE942ELNS1_3gpuE9ELNS1_3repE0EEENS1_30default_config_static_selectorELNS0_4arch9wavefront6targetE0EEEvT1_.kd
    .uniform_work_group_size: 1
    .uses_dynamic_stack: false
    .vgpr_count:     0
    .vgpr_spill_count: 0
    .wavefront_size: 32
    .workgroup_processor_mode: 1
  - .args:
      - .offset:         0
        .size:           112
        .value_kind:     by_value
    .group_segment_fixed_size: 0
    .kernarg_segment_align: 8
    .kernarg_segment_size: 112
    .language:       OpenCL C
    .language_version:
      - 2
      - 0
    .max_flat_workgroup_size: 256
    .name:           _ZN7rocprim17ROCPRIM_400000_NS6detail17trampoline_kernelINS0_14default_configENS1_27scan_by_key_config_selectorIijEEZZNS1_16scan_by_key_implILNS1_25lookback_scan_determinismE0ELb0ES3_N6thrust23THRUST_200600_302600_NS6detail15normal_iteratorINS9_10device_ptrIiEEEENSB_INSC_IjEEEENSB_INSC_IfEEEEjNS9_4plusIvEENS9_8equal_toIvEEjEE10hipError_tPvRmT2_T3_T4_T5_mT6_T7_P12ihipStream_tbENKUlT_T0_E_clISt17integral_constantIbLb1EES13_EEDaSY_SZ_EUlSY_E_NS1_11comp_targetILNS1_3genE4ELNS1_11target_archE910ELNS1_3gpuE8ELNS1_3repE0EEENS1_30default_config_static_selectorELNS0_4arch9wavefront6targetE0EEEvT1_
    .private_segment_fixed_size: 0
    .sgpr_count:     0
    .sgpr_spill_count: 0
    .symbol:         _ZN7rocprim17ROCPRIM_400000_NS6detail17trampoline_kernelINS0_14default_configENS1_27scan_by_key_config_selectorIijEEZZNS1_16scan_by_key_implILNS1_25lookback_scan_determinismE0ELb0ES3_N6thrust23THRUST_200600_302600_NS6detail15normal_iteratorINS9_10device_ptrIiEEEENSB_INSC_IjEEEENSB_INSC_IfEEEEjNS9_4plusIvEENS9_8equal_toIvEEjEE10hipError_tPvRmT2_T3_T4_T5_mT6_T7_P12ihipStream_tbENKUlT_T0_E_clISt17integral_constantIbLb1EES13_EEDaSY_SZ_EUlSY_E_NS1_11comp_targetILNS1_3genE4ELNS1_11target_archE910ELNS1_3gpuE8ELNS1_3repE0EEENS1_30default_config_static_selectorELNS0_4arch9wavefront6targetE0EEEvT1_.kd
    .uniform_work_group_size: 1
    .uses_dynamic_stack: false
    .vgpr_count:     0
    .vgpr_spill_count: 0
    .wavefront_size: 32
    .workgroup_processor_mode: 1
  - .args:
      - .offset:         0
        .size:           112
        .value_kind:     by_value
    .group_segment_fixed_size: 0
    .kernarg_segment_align: 8
    .kernarg_segment_size: 112
    .language:       OpenCL C
    .language_version:
      - 2
      - 0
    .max_flat_workgroup_size: 256
    .name:           _ZN7rocprim17ROCPRIM_400000_NS6detail17trampoline_kernelINS0_14default_configENS1_27scan_by_key_config_selectorIijEEZZNS1_16scan_by_key_implILNS1_25lookback_scan_determinismE0ELb0ES3_N6thrust23THRUST_200600_302600_NS6detail15normal_iteratorINS9_10device_ptrIiEEEENSB_INSC_IjEEEENSB_INSC_IfEEEEjNS9_4plusIvEENS9_8equal_toIvEEjEE10hipError_tPvRmT2_T3_T4_T5_mT6_T7_P12ihipStream_tbENKUlT_T0_E_clISt17integral_constantIbLb1EES13_EEDaSY_SZ_EUlSY_E_NS1_11comp_targetILNS1_3genE3ELNS1_11target_archE908ELNS1_3gpuE7ELNS1_3repE0EEENS1_30default_config_static_selectorELNS0_4arch9wavefront6targetE0EEEvT1_
    .private_segment_fixed_size: 0
    .sgpr_count:     0
    .sgpr_spill_count: 0
    .symbol:         _ZN7rocprim17ROCPRIM_400000_NS6detail17trampoline_kernelINS0_14default_configENS1_27scan_by_key_config_selectorIijEEZZNS1_16scan_by_key_implILNS1_25lookback_scan_determinismE0ELb0ES3_N6thrust23THRUST_200600_302600_NS6detail15normal_iteratorINS9_10device_ptrIiEEEENSB_INSC_IjEEEENSB_INSC_IfEEEEjNS9_4plusIvEENS9_8equal_toIvEEjEE10hipError_tPvRmT2_T3_T4_T5_mT6_T7_P12ihipStream_tbENKUlT_T0_E_clISt17integral_constantIbLb1EES13_EEDaSY_SZ_EUlSY_E_NS1_11comp_targetILNS1_3genE3ELNS1_11target_archE908ELNS1_3gpuE7ELNS1_3repE0EEENS1_30default_config_static_selectorELNS0_4arch9wavefront6targetE0EEEvT1_.kd
    .uniform_work_group_size: 1
    .uses_dynamic_stack: false
    .vgpr_count:     0
    .vgpr_spill_count: 0
    .wavefront_size: 32
    .workgroup_processor_mode: 1
  - .args:
      - .offset:         0
        .size:           112
        .value_kind:     by_value
    .group_segment_fixed_size: 0
    .kernarg_segment_align: 8
    .kernarg_segment_size: 112
    .language:       OpenCL C
    .language_version:
      - 2
      - 0
    .max_flat_workgroup_size: 256
    .name:           _ZN7rocprim17ROCPRIM_400000_NS6detail17trampoline_kernelINS0_14default_configENS1_27scan_by_key_config_selectorIijEEZZNS1_16scan_by_key_implILNS1_25lookback_scan_determinismE0ELb0ES3_N6thrust23THRUST_200600_302600_NS6detail15normal_iteratorINS9_10device_ptrIiEEEENSB_INSC_IjEEEENSB_INSC_IfEEEEjNS9_4plusIvEENS9_8equal_toIvEEjEE10hipError_tPvRmT2_T3_T4_T5_mT6_T7_P12ihipStream_tbENKUlT_T0_E_clISt17integral_constantIbLb1EES13_EEDaSY_SZ_EUlSY_E_NS1_11comp_targetILNS1_3genE2ELNS1_11target_archE906ELNS1_3gpuE6ELNS1_3repE0EEENS1_30default_config_static_selectorELNS0_4arch9wavefront6targetE0EEEvT1_
    .private_segment_fixed_size: 0
    .sgpr_count:     0
    .sgpr_spill_count: 0
    .symbol:         _ZN7rocprim17ROCPRIM_400000_NS6detail17trampoline_kernelINS0_14default_configENS1_27scan_by_key_config_selectorIijEEZZNS1_16scan_by_key_implILNS1_25lookback_scan_determinismE0ELb0ES3_N6thrust23THRUST_200600_302600_NS6detail15normal_iteratorINS9_10device_ptrIiEEEENSB_INSC_IjEEEENSB_INSC_IfEEEEjNS9_4plusIvEENS9_8equal_toIvEEjEE10hipError_tPvRmT2_T3_T4_T5_mT6_T7_P12ihipStream_tbENKUlT_T0_E_clISt17integral_constantIbLb1EES13_EEDaSY_SZ_EUlSY_E_NS1_11comp_targetILNS1_3genE2ELNS1_11target_archE906ELNS1_3gpuE6ELNS1_3repE0EEENS1_30default_config_static_selectorELNS0_4arch9wavefront6targetE0EEEvT1_.kd
    .uniform_work_group_size: 1
    .uses_dynamic_stack: false
    .vgpr_count:     0
    .vgpr_spill_count: 0
    .wavefront_size: 32
    .workgroup_processor_mode: 1
  - .args:
      - .offset:         0
        .size:           112
        .value_kind:     by_value
    .group_segment_fixed_size: 0
    .kernarg_segment_align: 8
    .kernarg_segment_size: 112
    .language:       OpenCL C
    .language_version:
      - 2
      - 0
    .max_flat_workgroup_size: 256
    .name:           _ZN7rocprim17ROCPRIM_400000_NS6detail17trampoline_kernelINS0_14default_configENS1_27scan_by_key_config_selectorIijEEZZNS1_16scan_by_key_implILNS1_25lookback_scan_determinismE0ELb0ES3_N6thrust23THRUST_200600_302600_NS6detail15normal_iteratorINS9_10device_ptrIiEEEENSB_INSC_IjEEEENSB_INSC_IfEEEEjNS9_4plusIvEENS9_8equal_toIvEEjEE10hipError_tPvRmT2_T3_T4_T5_mT6_T7_P12ihipStream_tbENKUlT_T0_E_clISt17integral_constantIbLb1EES13_EEDaSY_SZ_EUlSY_E_NS1_11comp_targetILNS1_3genE10ELNS1_11target_archE1200ELNS1_3gpuE4ELNS1_3repE0EEENS1_30default_config_static_selectorELNS0_4arch9wavefront6targetE0EEEvT1_
    .private_segment_fixed_size: 0
    .sgpr_count:     0
    .sgpr_spill_count: 0
    .symbol:         _ZN7rocprim17ROCPRIM_400000_NS6detail17trampoline_kernelINS0_14default_configENS1_27scan_by_key_config_selectorIijEEZZNS1_16scan_by_key_implILNS1_25lookback_scan_determinismE0ELb0ES3_N6thrust23THRUST_200600_302600_NS6detail15normal_iteratorINS9_10device_ptrIiEEEENSB_INSC_IjEEEENSB_INSC_IfEEEEjNS9_4plusIvEENS9_8equal_toIvEEjEE10hipError_tPvRmT2_T3_T4_T5_mT6_T7_P12ihipStream_tbENKUlT_T0_E_clISt17integral_constantIbLb1EES13_EEDaSY_SZ_EUlSY_E_NS1_11comp_targetILNS1_3genE10ELNS1_11target_archE1200ELNS1_3gpuE4ELNS1_3repE0EEENS1_30default_config_static_selectorELNS0_4arch9wavefront6targetE0EEEvT1_.kd
    .uniform_work_group_size: 1
    .uses_dynamic_stack: false
    .vgpr_count:     0
    .vgpr_spill_count: 0
    .wavefront_size: 32
    .workgroup_processor_mode: 1
  - .args:
      - .offset:         0
        .size:           112
        .value_kind:     by_value
    .group_segment_fixed_size: 0
    .kernarg_segment_align: 8
    .kernarg_segment_size: 112
    .language:       OpenCL C
    .language_version:
      - 2
      - 0
    .max_flat_workgroup_size: 256
    .name:           _ZN7rocprim17ROCPRIM_400000_NS6detail17trampoline_kernelINS0_14default_configENS1_27scan_by_key_config_selectorIijEEZZNS1_16scan_by_key_implILNS1_25lookback_scan_determinismE0ELb0ES3_N6thrust23THRUST_200600_302600_NS6detail15normal_iteratorINS9_10device_ptrIiEEEENSB_INSC_IjEEEENSB_INSC_IfEEEEjNS9_4plusIvEENS9_8equal_toIvEEjEE10hipError_tPvRmT2_T3_T4_T5_mT6_T7_P12ihipStream_tbENKUlT_T0_E_clISt17integral_constantIbLb1EES13_EEDaSY_SZ_EUlSY_E_NS1_11comp_targetILNS1_3genE9ELNS1_11target_archE1100ELNS1_3gpuE3ELNS1_3repE0EEENS1_30default_config_static_selectorELNS0_4arch9wavefront6targetE0EEEvT1_
    .private_segment_fixed_size: 0
    .sgpr_count:     0
    .sgpr_spill_count: 0
    .symbol:         _ZN7rocprim17ROCPRIM_400000_NS6detail17trampoline_kernelINS0_14default_configENS1_27scan_by_key_config_selectorIijEEZZNS1_16scan_by_key_implILNS1_25lookback_scan_determinismE0ELb0ES3_N6thrust23THRUST_200600_302600_NS6detail15normal_iteratorINS9_10device_ptrIiEEEENSB_INSC_IjEEEENSB_INSC_IfEEEEjNS9_4plusIvEENS9_8equal_toIvEEjEE10hipError_tPvRmT2_T3_T4_T5_mT6_T7_P12ihipStream_tbENKUlT_T0_E_clISt17integral_constantIbLb1EES13_EEDaSY_SZ_EUlSY_E_NS1_11comp_targetILNS1_3genE9ELNS1_11target_archE1100ELNS1_3gpuE3ELNS1_3repE0EEENS1_30default_config_static_selectorELNS0_4arch9wavefront6targetE0EEEvT1_.kd
    .uniform_work_group_size: 1
    .uses_dynamic_stack: false
    .vgpr_count:     0
    .vgpr_spill_count: 0
    .wavefront_size: 32
    .workgroup_processor_mode: 1
  - .args:
      - .offset:         0
        .size:           112
        .value_kind:     by_value
    .group_segment_fixed_size: 0
    .kernarg_segment_align: 8
    .kernarg_segment_size: 112
    .language:       OpenCL C
    .language_version:
      - 2
      - 0
    .max_flat_workgroup_size: 256
    .name:           _ZN7rocprim17ROCPRIM_400000_NS6detail17trampoline_kernelINS0_14default_configENS1_27scan_by_key_config_selectorIijEEZZNS1_16scan_by_key_implILNS1_25lookback_scan_determinismE0ELb0ES3_N6thrust23THRUST_200600_302600_NS6detail15normal_iteratorINS9_10device_ptrIiEEEENSB_INSC_IjEEEENSB_INSC_IfEEEEjNS9_4plusIvEENS9_8equal_toIvEEjEE10hipError_tPvRmT2_T3_T4_T5_mT6_T7_P12ihipStream_tbENKUlT_T0_E_clISt17integral_constantIbLb1EES13_EEDaSY_SZ_EUlSY_E_NS1_11comp_targetILNS1_3genE8ELNS1_11target_archE1030ELNS1_3gpuE2ELNS1_3repE0EEENS1_30default_config_static_selectorELNS0_4arch9wavefront6targetE0EEEvT1_
    .private_segment_fixed_size: 0
    .sgpr_count:     0
    .sgpr_spill_count: 0
    .symbol:         _ZN7rocprim17ROCPRIM_400000_NS6detail17trampoline_kernelINS0_14default_configENS1_27scan_by_key_config_selectorIijEEZZNS1_16scan_by_key_implILNS1_25lookback_scan_determinismE0ELb0ES3_N6thrust23THRUST_200600_302600_NS6detail15normal_iteratorINS9_10device_ptrIiEEEENSB_INSC_IjEEEENSB_INSC_IfEEEEjNS9_4plusIvEENS9_8equal_toIvEEjEE10hipError_tPvRmT2_T3_T4_T5_mT6_T7_P12ihipStream_tbENKUlT_T0_E_clISt17integral_constantIbLb1EES13_EEDaSY_SZ_EUlSY_E_NS1_11comp_targetILNS1_3genE8ELNS1_11target_archE1030ELNS1_3gpuE2ELNS1_3repE0EEENS1_30default_config_static_selectorELNS0_4arch9wavefront6targetE0EEEvT1_.kd
    .uniform_work_group_size: 1
    .uses_dynamic_stack: false
    .vgpr_count:     0
    .vgpr_spill_count: 0
    .wavefront_size: 32
    .workgroup_processor_mode: 1
  - .args:
      - .offset:         0
        .size:           112
        .value_kind:     by_value
    .group_segment_fixed_size: 0
    .kernarg_segment_align: 8
    .kernarg_segment_size: 112
    .language:       OpenCL C
    .language_version:
      - 2
      - 0
    .max_flat_workgroup_size: 256
    .name:           _ZN7rocprim17ROCPRIM_400000_NS6detail17trampoline_kernelINS0_14default_configENS1_27scan_by_key_config_selectorIijEEZZNS1_16scan_by_key_implILNS1_25lookback_scan_determinismE0ELb0ES3_N6thrust23THRUST_200600_302600_NS6detail15normal_iteratorINS9_10device_ptrIiEEEENSB_INSC_IjEEEENSB_INSC_IfEEEEjNS9_4plusIvEENS9_8equal_toIvEEjEE10hipError_tPvRmT2_T3_T4_T5_mT6_T7_P12ihipStream_tbENKUlT_T0_E_clISt17integral_constantIbLb1EES12_IbLb0EEEEDaSY_SZ_EUlSY_E_NS1_11comp_targetILNS1_3genE0ELNS1_11target_archE4294967295ELNS1_3gpuE0ELNS1_3repE0EEENS1_30default_config_static_selectorELNS0_4arch9wavefront6targetE0EEEvT1_
    .private_segment_fixed_size: 0
    .sgpr_count:     0
    .sgpr_spill_count: 0
    .symbol:         _ZN7rocprim17ROCPRIM_400000_NS6detail17trampoline_kernelINS0_14default_configENS1_27scan_by_key_config_selectorIijEEZZNS1_16scan_by_key_implILNS1_25lookback_scan_determinismE0ELb0ES3_N6thrust23THRUST_200600_302600_NS6detail15normal_iteratorINS9_10device_ptrIiEEEENSB_INSC_IjEEEENSB_INSC_IfEEEEjNS9_4plusIvEENS9_8equal_toIvEEjEE10hipError_tPvRmT2_T3_T4_T5_mT6_T7_P12ihipStream_tbENKUlT_T0_E_clISt17integral_constantIbLb1EES12_IbLb0EEEEDaSY_SZ_EUlSY_E_NS1_11comp_targetILNS1_3genE0ELNS1_11target_archE4294967295ELNS1_3gpuE0ELNS1_3repE0EEENS1_30default_config_static_selectorELNS0_4arch9wavefront6targetE0EEEvT1_.kd
    .uniform_work_group_size: 1
    .uses_dynamic_stack: false
    .vgpr_count:     0
    .vgpr_spill_count: 0
    .wavefront_size: 32
    .workgroup_processor_mode: 1
  - .args:
      - .offset:         0
        .size:           112
        .value_kind:     by_value
    .group_segment_fixed_size: 0
    .kernarg_segment_align: 8
    .kernarg_segment_size: 112
    .language:       OpenCL C
    .language_version:
      - 2
      - 0
    .max_flat_workgroup_size: 256
    .name:           _ZN7rocprim17ROCPRIM_400000_NS6detail17trampoline_kernelINS0_14default_configENS1_27scan_by_key_config_selectorIijEEZZNS1_16scan_by_key_implILNS1_25lookback_scan_determinismE0ELb0ES3_N6thrust23THRUST_200600_302600_NS6detail15normal_iteratorINS9_10device_ptrIiEEEENSB_INSC_IjEEEENSB_INSC_IfEEEEjNS9_4plusIvEENS9_8equal_toIvEEjEE10hipError_tPvRmT2_T3_T4_T5_mT6_T7_P12ihipStream_tbENKUlT_T0_E_clISt17integral_constantIbLb1EES12_IbLb0EEEEDaSY_SZ_EUlSY_E_NS1_11comp_targetILNS1_3genE10ELNS1_11target_archE1201ELNS1_3gpuE5ELNS1_3repE0EEENS1_30default_config_static_selectorELNS0_4arch9wavefront6targetE0EEEvT1_
    .private_segment_fixed_size: 0
    .sgpr_count:     0
    .sgpr_spill_count: 0
    .symbol:         _ZN7rocprim17ROCPRIM_400000_NS6detail17trampoline_kernelINS0_14default_configENS1_27scan_by_key_config_selectorIijEEZZNS1_16scan_by_key_implILNS1_25lookback_scan_determinismE0ELb0ES3_N6thrust23THRUST_200600_302600_NS6detail15normal_iteratorINS9_10device_ptrIiEEEENSB_INSC_IjEEEENSB_INSC_IfEEEEjNS9_4plusIvEENS9_8equal_toIvEEjEE10hipError_tPvRmT2_T3_T4_T5_mT6_T7_P12ihipStream_tbENKUlT_T0_E_clISt17integral_constantIbLb1EES12_IbLb0EEEEDaSY_SZ_EUlSY_E_NS1_11comp_targetILNS1_3genE10ELNS1_11target_archE1201ELNS1_3gpuE5ELNS1_3repE0EEENS1_30default_config_static_selectorELNS0_4arch9wavefront6targetE0EEEvT1_.kd
    .uniform_work_group_size: 1
    .uses_dynamic_stack: false
    .vgpr_count:     0
    .vgpr_spill_count: 0
    .wavefront_size: 32
    .workgroup_processor_mode: 1
  - .args:
      - .offset:         0
        .size:           112
        .value_kind:     by_value
    .group_segment_fixed_size: 0
    .kernarg_segment_align: 8
    .kernarg_segment_size: 112
    .language:       OpenCL C
    .language_version:
      - 2
      - 0
    .max_flat_workgroup_size: 256
    .name:           _ZN7rocprim17ROCPRIM_400000_NS6detail17trampoline_kernelINS0_14default_configENS1_27scan_by_key_config_selectorIijEEZZNS1_16scan_by_key_implILNS1_25lookback_scan_determinismE0ELb0ES3_N6thrust23THRUST_200600_302600_NS6detail15normal_iteratorINS9_10device_ptrIiEEEENSB_INSC_IjEEEENSB_INSC_IfEEEEjNS9_4plusIvEENS9_8equal_toIvEEjEE10hipError_tPvRmT2_T3_T4_T5_mT6_T7_P12ihipStream_tbENKUlT_T0_E_clISt17integral_constantIbLb1EES12_IbLb0EEEEDaSY_SZ_EUlSY_E_NS1_11comp_targetILNS1_3genE5ELNS1_11target_archE942ELNS1_3gpuE9ELNS1_3repE0EEENS1_30default_config_static_selectorELNS0_4arch9wavefront6targetE0EEEvT1_
    .private_segment_fixed_size: 0
    .sgpr_count:     0
    .sgpr_spill_count: 0
    .symbol:         _ZN7rocprim17ROCPRIM_400000_NS6detail17trampoline_kernelINS0_14default_configENS1_27scan_by_key_config_selectorIijEEZZNS1_16scan_by_key_implILNS1_25lookback_scan_determinismE0ELb0ES3_N6thrust23THRUST_200600_302600_NS6detail15normal_iteratorINS9_10device_ptrIiEEEENSB_INSC_IjEEEENSB_INSC_IfEEEEjNS9_4plusIvEENS9_8equal_toIvEEjEE10hipError_tPvRmT2_T3_T4_T5_mT6_T7_P12ihipStream_tbENKUlT_T0_E_clISt17integral_constantIbLb1EES12_IbLb0EEEEDaSY_SZ_EUlSY_E_NS1_11comp_targetILNS1_3genE5ELNS1_11target_archE942ELNS1_3gpuE9ELNS1_3repE0EEENS1_30default_config_static_selectorELNS0_4arch9wavefront6targetE0EEEvT1_.kd
    .uniform_work_group_size: 1
    .uses_dynamic_stack: false
    .vgpr_count:     0
    .vgpr_spill_count: 0
    .wavefront_size: 32
    .workgroup_processor_mode: 1
  - .args:
      - .offset:         0
        .size:           112
        .value_kind:     by_value
    .group_segment_fixed_size: 0
    .kernarg_segment_align: 8
    .kernarg_segment_size: 112
    .language:       OpenCL C
    .language_version:
      - 2
      - 0
    .max_flat_workgroup_size: 256
    .name:           _ZN7rocprim17ROCPRIM_400000_NS6detail17trampoline_kernelINS0_14default_configENS1_27scan_by_key_config_selectorIijEEZZNS1_16scan_by_key_implILNS1_25lookback_scan_determinismE0ELb0ES3_N6thrust23THRUST_200600_302600_NS6detail15normal_iteratorINS9_10device_ptrIiEEEENSB_INSC_IjEEEENSB_INSC_IfEEEEjNS9_4plusIvEENS9_8equal_toIvEEjEE10hipError_tPvRmT2_T3_T4_T5_mT6_T7_P12ihipStream_tbENKUlT_T0_E_clISt17integral_constantIbLb1EES12_IbLb0EEEEDaSY_SZ_EUlSY_E_NS1_11comp_targetILNS1_3genE4ELNS1_11target_archE910ELNS1_3gpuE8ELNS1_3repE0EEENS1_30default_config_static_selectorELNS0_4arch9wavefront6targetE0EEEvT1_
    .private_segment_fixed_size: 0
    .sgpr_count:     0
    .sgpr_spill_count: 0
    .symbol:         _ZN7rocprim17ROCPRIM_400000_NS6detail17trampoline_kernelINS0_14default_configENS1_27scan_by_key_config_selectorIijEEZZNS1_16scan_by_key_implILNS1_25lookback_scan_determinismE0ELb0ES3_N6thrust23THRUST_200600_302600_NS6detail15normal_iteratorINS9_10device_ptrIiEEEENSB_INSC_IjEEEENSB_INSC_IfEEEEjNS9_4plusIvEENS9_8equal_toIvEEjEE10hipError_tPvRmT2_T3_T4_T5_mT6_T7_P12ihipStream_tbENKUlT_T0_E_clISt17integral_constantIbLb1EES12_IbLb0EEEEDaSY_SZ_EUlSY_E_NS1_11comp_targetILNS1_3genE4ELNS1_11target_archE910ELNS1_3gpuE8ELNS1_3repE0EEENS1_30default_config_static_selectorELNS0_4arch9wavefront6targetE0EEEvT1_.kd
    .uniform_work_group_size: 1
    .uses_dynamic_stack: false
    .vgpr_count:     0
    .vgpr_spill_count: 0
    .wavefront_size: 32
    .workgroup_processor_mode: 1
  - .args:
      - .offset:         0
        .size:           112
        .value_kind:     by_value
    .group_segment_fixed_size: 0
    .kernarg_segment_align: 8
    .kernarg_segment_size: 112
    .language:       OpenCL C
    .language_version:
      - 2
      - 0
    .max_flat_workgroup_size: 256
    .name:           _ZN7rocprim17ROCPRIM_400000_NS6detail17trampoline_kernelINS0_14default_configENS1_27scan_by_key_config_selectorIijEEZZNS1_16scan_by_key_implILNS1_25lookback_scan_determinismE0ELb0ES3_N6thrust23THRUST_200600_302600_NS6detail15normal_iteratorINS9_10device_ptrIiEEEENSB_INSC_IjEEEENSB_INSC_IfEEEEjNS9_4plusIvEENS9_8equal_toIvEEjEE10hipError_tPvRmT2_T3_T4_T5_mT6_T7_P12ihipStream_tbENKUlT_T0_E_clISt17integral_constantIbLb1EES12_IbLb0EEEEDaSY_SZ_EUlSY_E_NS1_11comp_targetILNS1_3genE3ELNS1_11target_archE908ELNS1_3gpuE7ELNS1_3repE0EEENS1_30default_config_static_selectorELNS0_4arch9wavefront6targetE0EEEvT1_
    .private_segment_fixed_size: 0
    .sgpr_count:     0
    .sgpr_spill_count: 0
    .symbol:         _ZN7rocprim17ROCPRIM_400000_NS6detail17trampoline_kernelINS0_14default_configENS1_27scan_by_key_config_selectorIijEEZZNS1_16scan_by_key_implILNS1_25lookback_scan_determinismE0ELb0ES3_N6thrust23THRUST_200600_302600_NS6detail15normal_iteratorINS9_10device_ptrIiEEEENSB_INSC_IjEEEENSB_INSC_IfEEEEjNS9_4plusIvEENS9_8equal_toIvEEjEE10hipError_tPvRmT2_T3_T4_T5_mT6_T7_P12ihipStream_tbENKUlT_T0_E_clISt17integral_constantIbLb1EES12_IbLb0EEEEDaSY_SZ_EUlSY_E_NS1_11comp_targetILNS1_3genE3ELNS1_11target_archE908ELNS1_3gpuE7ELNS1_3repE0EEENS1_30default_config_static_selectorELNS0_4arch9wavefront6targetE0EEEvT1_.kd
    .uniform_work_group_size: 1
    .uses_dynamic_stack: false
    .vgpr_count:     0
    .vgpr_spill_count: 0
    .wavefront_size: 32
    .workgroup_processor_mode: 1
  - .args:
      - .offset:         0
        .size:           112
        .value_kind:     by_value
    .group_segment_fixed_size: 0
    .kernarg_segment_align: 8
    .kernarg_segment_size: 112
    .language:       OpenCL C
    .language_version:
      - 2
      - 0
    .max_flat_workgroup_size: 256
    .name:           _ZN7rocprim17ROCPRIM_400000_NS6detail17trampoline_kernelINS0_14default_configENS1_27scan_by_key_config_selectorIijEEZZNS1_16scan_by_key_implILNS1_25lookback_scan_determinismE0ELb0ES3_N6thrust23THRUST_200600_302600_NS6detail15normal_iteratorINS9_10device_ptrIiEEEENSB_INSC_IjEEEENSB_INSC_IfEEEEjNS9_4plusIvEENS9_8equal_toIvEEjEE10hipError_tPvRmT2_T3_T4_T5_mT6_T7_P12ihipStream_tbENKUlT_T0_E_clISt17integral_constantIbLb1EES12_IbLb0EEEEDaSY_SZ_EUlSY_E_NS1_11comp_targetILNS1_3genE2ELNS1_11target_archE906ELNS1_3gpuE6ELNS1_3repE0EEENS1_30default_config_static_selectorELNS0_4arch9wavefront6targetE0EEEvT1_
    .private_segment_fixed_size: 0
    .sgpr_count:     0
    .sgpr_spill_count: 0
    .symbol:         _ZN7rocprim17ROCPRIM_400000_NS6detail17trampoline_kernelINS0_14default_configENS1_27scan_by_key_config_selectorIijEEZZNS1_16scan_by_key_implILNS1_25lookback_scan_determinismE0ELb0ES3_N6thrust23THRUST_200600_302600_NS6detail15normal_iteratorINS9_10device_ptrIiEEEENSB_INSC_IjEEEENSB_INSC_IfEEEEjNS9_4plusIvEENS9_8equal_toIvEEjEE10hipError_tPvRmT2_T3_T4_T5_mT6_T7_P12ihipStream_tbENKUlT_T0_E_clISt17integral_constantIbLb1EES12_IbLb0EEEEDaSY_SZ_EUlSY_E_NS1_11comp_targetILNS1_3genE2ELNS1_11target_archE906ELNS1_3gpuE6ELNS1_3repE0EEENS1_30default_config_static_selectorELNS0_4arch9wavefront6targetE0EEEvT1_.kd
    .uniform_work_group_size: 1
    .uses_dynamic_stack: false
    .vgpr_count:     0
    .vgpr_spill_count: 0
    .wavefront_size: 32
    .workgroup_processor_mode: 1
  - .args:
      - .offset:         0
        .size:           112
        .value_kind:     by_value
    .group_segment_fixed_size: 0
    .kernarg_segment_align: 8
    .kernarg_segment_size: 112
    .language:       OpenCL C
    .language_version:
      - 2
      - 0
    .max_flat_workgroup_size: 256
    .name:           _ZN7rocprim17ROCPRIM_400000_NS6detail17trampoline_kernelINS0_14default_configENS1_27scan_by_key_config_selectorIijEEZZNS1_16scan_by_key_implILNS1_25lookback_scan_determinismE0ELb0ES3_N6thrust23THRUST_200600_302600_NS6detail15normal_iteratorINS9_10device_ptrIiEEEENSB_INSC_IjEEEENSB_INSC_IfEEEEjNS9_4plusIvEENS9_8equal_toIvEEjEE10hipError_tPvRmT2_T3_T4_T5_mT6_T7_P12ihipStream_tbENKUlT_T0_E_clISt17integral_constantIbLb1EES12_IbLb0EEEEDaSY_SZ_EUlSY_E_NS1_11comp_targetILNS1_3genE10ELNS1_11target_archE1200ELNS1_3gpuE4ELNS1_3repE0EEENS1_30default_config_static_selectorELNS0_4arch9wavefront6targetE0EEEvT1_
    .private_segment_fixed_size: 0
    .sgpr_count:     0
    .sgpr_spill_count: 0
    .symbol:         _ZN7rocprim17ROCPRIM_400000_NS6detail17trampoline_kernelINS0_14default_configENS1_27scan_by_key_config_selectorIijEEZZNS1_16scan_by_key_implILNS1_25lookback_scan_determinismE0ELb0ES3_N6thrust23THRUST_200600_302600_NS6detail15normal_iteratorINS9_10device_ptrIiEEEENSB_INSC_IjEEEENSB_INSC_IfEEEEjNS9_4plusIvEENS9_8equal_toIvEEjEE10hipError_tPvRmT2_T3_T4_T5_mT6_T7_P12ihipStream_tbENKUlT_T0_E_clISt17integral_constantIbLb1EES12_IbLb0EEEEDaSY_SZ_EUlSY_E_NS1_11comp_targetILNS1_3genE10ELNS1_11target_archE1200ELNS1_3gpuE4ELNS1_3repE0EEENS1_30default_config_static_selectorELNS0_4arch9wavefront6targetE0EEEvT1_.kd
    .uniform_work_group_size: 1
    .uses_dynamic_stack: false
    .vgpr_count:     0
    .vgpr_spill_count: 0
    .wavefront_size: 32
    .workgroup_processor_mode: 1
  - .args:
      - .offset:         0
        .size:           112
        .value_kind:     by_value
    .group_segment_fixed_size: 0
    .kernarg_segment_align: 8
    .kernarg_segment_size: 112
    .language:       OpenCL C
    .language_version:
      - 2
      - 0
    .max_flat_workgroup_size: 256
    .name:           _ZN7rocprim17ROCPRIM_400000_NS6detail17trampoline_kernelINS0_14default_configENS1_27scan_by_key_config_selectorIijEEZZNS1_16scan_by_key_implILNS1_25lookback_scan_determinismE0ELb0ES3_N6thrust23THRUST_200600_302600_NS6detail15normal_iteratorINS9_10device_ptrIiEEEENSB_INSC_IjEEEENSB_INSC_IfEEEEjNS9_4plusIvEENS9_8equal_toIvEEjEE10hipError_tPvRmT2_T3_T4_T5_mT6_T7_P12ihipStream_tbENKUlT_T0_E_clISt17integral_constantIbLb1EES12_IbLb0EEEEDaSY_SZ_EUlSY_E_NS1_11comp_targetILNS1_3genE9ELNS1_11target_archE1100ELNS1_3gpuE3ELNS1_3repE0EEENS1_30default_config_static_selectorELNS0_4arch9wavefront6targetE0EEEvT1_
    .private_segment_fixed_size: 0
    .sgpr_count:     0
    .sgpr_spill_count: 0
    .symbol:         _ZN7rocprim17ROCPRIM_400000_NS6detail17trampoline_kernelINS0_14default_configENS1_27scan_by_key_config_selectorIijEEZZNS1_16scan_by_key_implILNS1_25lookback_scan_determinismE0ELb0ES3_N6thrust23THRUST_200600_302600_NS6detail15normal_iteratorINS9_10device_ptrIiEEEENSB_INSC_IjEEEENSB_INSC_IfEEEEjNS9_4plusIvEENS9_8equal_toIvEEjEE10hipError_tPvRmT2_T3_T4_T5_mT6_T7_P12ihipStream_tbENKUlT_T0_E_clISt17integral_constantIbLb1EES12_IbLb0EEEEDaSY_SZ_EUlSY_E_NS1_11comp_targetILNS1_3genE9ELNS1_11target_archE1100ELNS1_3gpuE3ELNS1_3repE0EEENS1_30default_config_static_selectorELNS0_4arch9wavefront6targetE0EEEvT1_.kd
    .uniform_work_group_size: 1
    .uses_dynamic_stack: false
    .vgpr_count:     0
    .vgpr_spill_count: 0
    .wavefront_size: 32
    .workgroup_processor_mode: 1
  - .args:
      - .offset:         0
        .size:           112
        .value_kind:     by_value
    .group_segment_fixed_size: 0
    .kernarg_segment_align: 8
    .kernarg_segment_size: 112
    .language:       OpenCL C
    .language_version:
      - 2
      - 0
    .max_flat_workgroup_size: 256
    .name:           _ZN7rocprim17ROCPRIM_400000_NS6detail17trampoline_kernelINS0_14default_configENS1_27scan_by_key_config_selectorIijEEZZNS1_16scan_by_key_implILNS1_25lookback_scan_determinismE0ELb0ES3_N6thrust23THRUST_200600_302600_NS6detail15normal_iteratorINS9_10device_ptrIiEEEENSB_INSC_IjEEEENSB_INSC_IfEEEEjNS9_4plusIvEENS9_8equal_toIvEEjEE10hipError_tPvRmT2_T3_T4_T5_mT6_T7_P12ihipStream_tbENKUlT_T0_E_clISt17integral_constantIbLb1EES12_IbLb0EEEEDaSY_SZ_EUlSY_E_NS1_11comp_targetILNS1_3genE8ELNS1_11target_archE1030ELNS1_3gpuE2ELNS1_3repE0EEENS1_30default_config_static_selectorELNS0_4arch9wavefront6targetE0EEEvT1_
    .private_segment_fixed_size: 0
    .sgpr_count:     0
    .sgpr_spill_count: 0
    .symbol:         _ZN7rocprim17ROCPRIM_400000_NS6detail17trampoline_kernelINS0_14default_configENS1_27scan_by_key_config_selectorIijEEZZNS1_16scan_by_key_implILNS1_25lookback_scan_determinismE0ELb0ES3_N6thrust23THRUST_200600_302600_NS6detail15normal_iteratorINS9_10device_ptrIiEEEENSB_INSC_IjEEEENSB_INSC_IfEEEEjNS9_4plusIvEENS9_8equal_toIvEEjEE10hipError_tPvRmT2_T3_T4_T5_mT6_T7_P12ihipStream_tbENKUlT_T0_E_clISt17integral_constantIbLb1EES12_IbLb0EEEEDaSY_SZ_EUlSY_E_NS1_11comp_targetILNS1_3genE8ELNS1_11target_archE1030ELNS1_3gpuE2ELNS1_3repE0EEENS1_30default_config_static_selectorELNS0_4arch9wavefront6targetE0EEEvT1_.kd
    .uniform_work_group_size: 1
    .uses_dynamic_stack: false
    .vgpr_count:     0
    .vgpr_spill_count: 0
    .wavefront_size: 32
    .workgroup_processor_mode: 1
  - .args:
      - .offset:         0
        .size:           112
        .value_kind:     by_value
    .group_segment_fixed_size: 0
    .kernarg_segment_align: 8
    .kernarg_segment_size: 112
    .language:       OpenCL C
    .language_version:
      - 2
      - 0
    .max_flat_workgroup_size: 256
    .name:           _ZN7rocprim17ROCPRIM_400000_NS6detail17trampoline_kernelINS0_14default_configENS1_27scan_by_key_config_selectorIijEEZZNS1_16scan_by_key_implILNS1_25lookback_scan_determinismE0ELb0ES3_N6thrust23THRUST_200600_302600_NS6detail15normal_iteratorINS9_10device_ptrIiEEEENSB_INSC_IjEEEENSB_INSC_IfEEEEjNS9_4plusIvEENS9_8equal_toIvEEjEE10hipError_tPvRmT2_T3_T4_T5_mT6_T7_P12ihipStream_tbENKUlT_T0_E_clISt17integral_constantIbLb0EES12_IbLb1EEEEDaSY_SZ_EUlSY_E_NS1_11comp_targetILNS1_3genE0ELNS1_11target_archE4294967295ELNS1_3gpuE0ELNS1_3repE0EEENS1_30default_config_static_selectorELNS0_4arch9wavefront6targetE0EEEvT1_
    .private_segment_fixed_size: 0
    .sgpr_count:     0
    .sgpr_spill_count: 0
    .symbol:         _ZN7rocprim17ROCPRIM_400000_NS6detail17trampoline_kernelINS0_14default_configENS1_27scan_by_key_config_selectorIijEEZZNS1_16scan_by_key_implILNS1_25lookback_scan_determinismE0ELb0ES3_N6thrust23THRUST_200600_302600_NS6detail15normal_iteratorINS9_10device_ptrIiEEEENSB_INSC_IjEEEENSB_INSC_IfEEEEjNS9_4plusIvEENS9_8equal_toIvEEjEE10hipError_tPvRmT2_T3_T4_T5_mT6_T7_P12ihipStream_tbENKUlT_T0_E_clISt17integral_constantIbLb0EES12_IbLb1EEEEDaSY_SZ_EUlSY_E_NS1_11comp_targetILNS1_3genE0ELNS1_11target_archE4294967295ELNS1_3gpuE0ELNS1_3repE0EEENS1_30default_config_static_selectorELNS0_4arch9wavefront6targetE0EEEvT1_.kd
    .uniform_work_group_size: 1
    .uses_dynamic_stack: false
    .vgpr_count:     0
    .vgpr_spill_count: 0
    .wavefront_size: 32
    .workgroup_processor_mode: 1
  - .args:
      - .offset:         0
        .size:           112
        .value_kind:     by_value
    .group_segment_fixed_size: 0
    .kernarg_segment_align: 8
    .kernarg_segment_size: 112
    .language:       OpenCL C
    .language_version:
      - 2
      - 0
    .max_flat_workgroup_size: 256
    .name:           _ZN7rocprim17ROCPRIM_400000_NS6detail17trampoline_kernelINS0_14default_configENS1_27scan_by_key_config_selectorIijEEZZNS1_16scan_by_key_implILNS1_25lookback_scan_determinismE0ELb0ES3_N6thrust23THRUST_200600_302600_NS6detail15normal_iteratorINS9_10device_ptrIiEEEENSB_INSC_IjEEEENSB_INSC_IfEEEEjNS9_4plusIvEENS9_8equal_toIvEEjEE10hipError_tPvRmT2_T3_T4_T5_mT6_T7_P12ihipStream_tbENKUlT_T0_E_clISt17integral_constantIbLb0EES12_IbLb1EEEEDaSY_SZ_EUlSY_E_NS1_11comp_targetILNS1_3genE10ELNS1_11target_archE1201ELNS1_3gpuE5ELNS1_3repE0EEENS1_30default_config_static_selectorELNS0_4arch9wavefront6targetE0EEEvT1_
    .private_segment_fixed_size: 0
    .sgpr_count:     0
    .sgpr_spill_count: 0
    .symbol:         _ZN7rocprim17ROCPRIM_400000_NS6detail17trampoline_kernelINS0_14default_configENS1_27scan_by_key_config_selectorIijEEZZNS1_16scan_by_key_implILNS1_25lookback_scan_determinismE0ELb0ES3_N6thrust23THRUST_200600_302600_NS6detail15normal_iteratorINS9_10device_ptrIiEEEENSB_INSC_IjEEEENSB_INSC_IfEEEEjNS9_4plusIvEENS9_8equal_toIvEEjEE10hipError_tPvRmT2_T3_T4_T5_mT6_T7_P12ihipStream_tbENKUlT_T0_E_clISt17integral_constantIbLb0EES12_IbLb1EEEEDaSY_SZ_EUlSY_E_NS1_11comp_targetILNS1_3genE10ELNS1_11target_archE1201ELNS1_3gpuE5ELNS1_3repE0EEENS1_30default_config_static_selectorELNS0_4arch9wavefront6targetE0EEEvT1_.kd
    .uniform_work_group_size: 1
    .uses_dynamic_stack: false
    .vgpr_count:     0
    .vgpr_spill_count: 0
    .wavefront_size: 32
    .workgroup_processor_mode: 1
  - .args:
      - .offset:         0
        .size:           112
        .value_kind:     by_value
    .group_segment_fixed_size: 0
    .kernarg_segment_align: 8
    .kernarg_segment_size: 112
    .language:       OpenCL C
    .language_version:
      - 2
      - 0
    .max_flat_workgroup_size: 256
    .name:           _ZN7rocprim17ROCPRIM_400000_NS6detail17trampoline_kernelINS0_14default_configENS1_27scan_by_key_config_selectorIijEEZZNS1_16scan_by_key_implILNS1_25lookback_scan_determinismE0ELb0ES3_N6thrust23THRUST_200600_302600_NS6detail15normal_iteratorINS9_10device_ptrIiEEEENSB_INSC_IjEEEENSB_INSC_IfEEEEjNS9_4plusIvEENS9_8equal_toIvEEjEE10hipError_tPvRmT2_T3_T4_T5_mT6_T7_P12ihipStream_tbENKUlT_T0_E_clISt17integral_constantIbLb0EES12_IbLb1EEEEDaSY_SZ_EUlSY_E_NS1_11comp_targetILNS1_3genE5ELNS1_11target_archE942ELNS1_3gpuE9ELNS1_3repE0EEENS1_30default_config_static_selectorELNS0_4arch9wavefront6targetE0EEEvT1_
    .private_segment_fixed_size: 0
    .sgpr_count:     0
    .sgpr_spill_count: 0
    .symbol:         _ZN7rocprim17ROCPRIM_400000_NS6detail17trampoline_kernelINS0_14default_configENS1_27scan_by_key_config_selectorIijEEZZNS1_16scan_by_key_implILNS1_25lookback_scan_determinismE0ELb0ES3_N6thrust23THRUST_200600_302600_NS6detail15normal_iteratorINS9_10device_ptrIiEEEENSB_INSC_IjEEEENSB_INSC_IfEEEEjNS9_4plusIvEENS9_8equal_toIvEEjEE10hipError_tPvRmT2_T3_T4_T5_mT6_T7_P12ihipStream_tbENKUlT_T0_E_clISt17integral_constantIbLb0EES12_IbLb1EEEEDaSY_SZ_EUlSY_E_NS1_11comp_targetILNS1_3genE5ELNS1_11target_archE942ELNS1_3gpuE9ELNS1_3repE0EEENS1_30default_config_static_selectorELNS0_4arch9wavefront6targetE0EEEvT1_.kd
    .uniform_work_group_size: 1
    .uses_dynamic_stack: false
    .vgpr_count:     0
    .vgpr_spill_count: 0
    .wavefront_size: 32
    .workgroup_processor_mode: 1
  - .args:
      - .offset:         0
        .size:           112
        .value_kind:     by_value
    .group_segment_fixed_size: 0
    .kernarg_segment_align: 8
    .kernarg_segment_size: 112
    .language:       OpenCL C
    .language_version:
      - 2
      - 0
    .max_flat_workgroup_size: 256
    .name:           _ZN7rocprim17ROCPRIM_400000_NS6detail17trampoline_kernelINS0_14default_configENS1_27scan_by_key_config_selectorIijEEZZNS1_16scan_by_key_implILNS1_25lookback_scan_determinismE0ELb0ES3_N6thrust23THRUST_200600_302600_NS6detail15normal_iteratorINS9_10device_ptrIiEEEENSB_INSC_IjEEEENSB_INSC_IfEEEEjNS9_4plusIvEENS9_8equal_toIvEEjEE10hipError_tPvRmT2_T3_T4_T5_mT6_T7_P12ihipStream_tbENKUlT_T0_E_clISt17integral_constantIbLb0EES12_IbLb1EEEEDaSY_SZ_EUlSY_E_NS1_11comp_targetILNS1_3genE4ELNS1_11target_archE910ELNS1_3gpuE8ELNS1_3repE0EEENS1_30default_config_static_selectorELNS0_4arch9wavefront6targetE0EEEvT1_
    .private_segment_fixed_size: 0
    .sgpr_count:     0
    .sgpr_spill_count: 0
    .symbol:         _ZN7rocprim17ROCPRIM_400000_NS6detail17trampoline_kernelINS0_14default_configENS1_27scan_by_key_config_selectorIijEEZZNS1_16scan_by_key_implILNS1_25lookback_scan_determinismE0ELb0ES3_N6thrust23THRUST_200600_302600_NS6detail15normal_iteratorINS9_10device_ptrIiEEEENSB_INSC_IjEEEENSB_INSC_IfEEEEjNS9_4plusIvEENS9_8equal_toIvEEjEE10hipError_tPvRmT2_T3_T4_T5_mT6_T7_P12ihipStream_tbENKUlT_T0_E_clISt17integral_constantIbLb0EES12_IbLb1EEEEDaSY_SZ_EUlSY_E_NS1_11comp_targetILNS1_3genE4ELNS1_11target_archE910ELNS1_3gpuE8ELNS1_3repE0EEENS1_30default_config_static_selectorELNS0_4arch9wavefront6targetE0EEEvT1_.kd
    .uniform_work_group_size: 1
    .uses_dynamic_stack: false
    .vgpr_count:     0
    .vgpr_spill_count: 0
    .wavefront_size: 32
    .workgroup_processor_mode: 1
  - .args:
      - .offset:         0
        .size:           112
        .value_kind:     by_value
    .group_segment_fixed_size: 0
    .kernarg_segment_align: 8
    .kernarg_segment_size: 112
    .language:       OpenCL C
    .language_version:
      - 2
      - 0
    .max_flat_workgroup_size: 256
    .name:           _ZN7rocprim17ROCPRIM_400000_NS6detail17trampoline_kernelINS0_14default_configENS1_27scan_by_key_config_selectorIijEEZZNS1_16scan_by_key_implILNS1_25lookback_scan_determinismE0ELb0ES3_N6thrust23THRUST_200600_302600_NS6detail15normal_iteratorINS9_10device_ptrIiEEEENSB_INSC_IjEEEENSB_INSC_IfEEEEjNS9_4plusIvEENS9_8equal_toIvEEjEE10hipError_tPvRmT2_T3_T4_T5_mT6_T7_P12ihipStream_tbENKUlT_T0_E_clISt17integral_constantIbLb0EES12_IbLb1EEEEDaSY_SZ_EUlSY_E_NS1_11comp_targetILNS1_3genE3ELNS1_11target_archE908ELNS1_3gpuE7ELNS1_3repE0EEENS1_30default_config_static_selectorELNS0_4arch9wavefront6targetE0EEEvT1_
    .private_segment_fixed_size: 0
    .sgpr_count:     0
    .sgpr_spill_count: 0
    .symbol:         _ZN7rocprim17ROCPRIM_400000_NS6detail17trampoline_kernelINS0_14default_configENS1_27scan_by_key_config_selectorIijEEZZNS1_16scan_by_key_implILNS1_25lookback_scan_determinismE0ELb0ES3_N6thrust23THRUST_200600_302600_NS6detail15normal_iteratorINS9_10device_ptrIiEEEENSB_INSC_IjEEEENSB_INSC_IfEEEEjNS9_4plusIvEENS9_8equal_toIvEEjEE10hipError_tPvRmT2_T3_T4_T5_mT6_T7_P12ihipStream_tbENKUlT_T0_E_clISt17integral_constantIbLb0EES12_IbLb1EEEEDaSY_SZ_EUlSY_E_NS1_11comp_targetILNS1_3genE3ELNS1_11target_archE908ELNS1_3gpuE7ELNS1_3repE0EEENS1_30default_config_static_selectorELNS0_4arch9wavefront6targetE0EEEvT1_.kd
    .uniform_work_group_size: 1
    .uses_dynamic_stack: false
    .vgpr_count:     0
    .vgpr_spill_count: 0
    .wavefront_size: 32
    .workgroup_processor_mode: 1
  - .args:
      - .offset:         0
        .size:           112
        .value_kind:     by_value
    .group_segment_fixed_size: 0
    .kernarg_segment_align: 8
    .kernarg_segment_size: 112
    .language:       OpenCL C
    .language_version:
      - 2
      - 0
    .max_flat_workgroup_size: 256
    .name:           _ZN7rocprim17ROCPRIM_400000_NS6detail17trampoline_kernelINS0_14default_configENS1_27scan_by_key_config_selectorIijEEZZNS1_16scan_by_key_implILNS1_25lookback_scan_determinismE0ELb0ES3_N6thrust23THRUST_200600_302600_NS6detail15normal_iteratorINS9_10device_ptrIiEEEENSB_INSC_IjEEEENSB_INSC_IfEEEEjNS9_4plusIvEENS9_8equal_toIvEEjEE10hipError_tPvRmT2_T3_T4_T5_mT6_T7_P12ihipStream_tbENKUlT_T0_E_clISt17integral_constantIbLb0EES12_IbLb1EEEEDaSY_SZ_EUlSY_E_NS1_11comp_targetILNS1_3genE2ELNS1_11target_archE906ELNS1_3gpuE6ELNS1_3repE0EEENS1_30default_config_static_selectorELNS0_4arch9wavefront6targetE0EEEvT1_
    .private_segment_fixed_size: 0
    .sgpr_count:     0
    .sgpr_spill_count: 0
    .symbol:         _ZN7rocprim17ROCPRIM_400000_NS6detail17trampoline_kernelINS0_14default_configENS1_27scan_by_key_config_selectorIijEEZZNS1_16scan_by_key_implILNS1_25lookback_scan_determinismE0ELb0ES3_N6thrust23THRUST_200600_302600_NS6detail15normal_iteratorINS9_10device_ptrIiEEEENSB_INSC_IjEEEENSB_INSC_IfEEEEjNS9_4plusIvEENS9_8equal_toIvEEjEE10hipError_tPvRmT2_T3_T4_T5_mT6_T7_P12ihipStream_tbENKUlT_T0_E_clISt17integral_constantIbLb0EES12_IbLb1EEEEDaSY_SZ_EUlSY_E_NS1_11comp_targetILNS1_3genE2ELNS1_11target_archE906ELNS1_3gpuE6ELNS1_3repE0EEENS1_30default_config_static_selectorELNS0_4arch9wavefront6targetE0EEEvT1_.kd
    .uniform_work_group_size: 1
    .uses_dynamic_stack: false
    .vgpr_count:     0
    .vgpr_spill_count: 0
    .wavefront_size: 32
    .workgroup_processor_mode: 1
  - .args:
      - .offset:         0
        .size:           112
        .value_kind:     by_value
    .group_segment_fixed_size: 0
    .kernarg_segment_align: 8
    .kernarg_segment_size: 112
    .language:       OpenCL C
    .language_version:
      - 2
      - 0
    .max_flat_workgroup_size: 256
    .name:           _ZN7rocprim17ROCPRIM_400000_NS6detail17trampoline_kernelINS0_14default_configENS1_27scan_by_key_config_selectorIijEEZZNS1_16scan_by_key_implILNS1_25lookback_scan_determinismE0ELb0ES3_N6thrust23THRUST_200600_302600_NS6detail15normal_iteratorINS9_10device_ptrIiEEEENSB_INSC_IjEEEENSB_INSC_IfEEEEjNS9_4plusIvEENS9_8equal_toIvEEjEE10hipError_tPvRmT2_T3_T4_T5_mT6_T7_P12ihipStream_tbENKUlT_T0_E_clISt17integral_constantIbLb0EES12_IbLb1EEEEDaSY_SZ_EUlSY_E_NS1_11comp_targetILNS1_3genE10ELNS1_11target_archE1200ELNS1_3gpuE4ELNS1_3repE0EEENS1_30default_config_static_selectorELNS0_4arch9wavefront6targetE0EEEvT1_
    .private_segment_fixed_size: 0
    .sgpr_count:     0
    .sgpr_spill_count: 0
    .symbol:         _ZN7rocprim17ROCPRIM_400000_NS6detail17trampoline_kernelINS0_14default_configENS1_27scan_by_key_config_selectorIijEEZZNS1_16scan_by_key_implILNS1_25lookback_scan_determinismE0ELb0ES3_N6thrust23THRUST_200600_302600_NS6detail15normal_iteratorINS9_10device_ptrIiEEEENSB_INSC_IjEEEENSB_INSC_IfEEEEjNS9_4plusIvEENS9_8equal_toIvEEjEE10hipError_tPvRmT2_T3_T4_T5_mT6_T7_P12ihipStream_tbENKUlT_T0_E_clISt17integral_constantIbLb0EES12_IbLb1EEEEDaSY_SZ_EUlSY_E_NS1_11comp_targetILNS1_3genE10ELNS1_11target_archE1200ELNS1_3gpuE4ELNS1_3repE0EEENS1_30default_config_static_selectorELNS0_4arch9wavefront6targetE0EEEvT1_.kd
    .uniform_work_group_size: 1
    .uses_dynamic_stack: false
    .vgpr_count:     0
    .vgpr_spill_count: 0
    .wavefront_size: 32
    .workgroup_processor_mode: 1
  - .args:
      - .offset:         0
        .size:           112
        .value_kind:     by_value
    .group_segment_fixed_size: 0
    .kernarg_segment_align: 8
    .kernarg_segment_size: 112
    .language:       OpenCL C
    .language_version:
      - 2
      - 0
    .max_flat_workgroup_size: 256
    .name:           _ZN7rocprim17ROCPRIM_400000_NS6detail17trampoline_kernelINS0_14default_configENS1_27scan_by_key_config_selectorIijEEZZNS1_16scan_by_key_implILNS1_25lookback_scan_determinismE0ELb0ES3_N6thrust23THRUST_200600_302600_NS6detail15normal_iteratorINS9_10device_ptrIiEEEENSB_INSC_IjEEEENSB_INSC_IfEEEEjNS9_4plusIvEENS9_8equal_toIvEEjEE10hipError_tPvRmT2_T3_T4_T5_mT6_T7_P12ihipStream_tbENKUlT_T0_E_clISt17integral_constantIbLb0EES12_IbLb1EEEEDaSY_SZ_EUlSY_E_NS1_11comp_targetILNS1_3genE9ELNS1_11target_archE1100ELNS1_3gpuE3ELNS1_3repE0EEENS1_30default_config_static_selectorELNS0_4arch9wavefront6targetE0EEEvT1_
    .private_segment_fixed_size: 0
    .sgpr_count:     0
    .sgpr_spill_count: 0
    .symbol:         _ZN7rocprim17ROCPRIM_400000_NS6detail17trampoline_kernelINS0_14default_configENS1_27scan_by_key_config_selectorIijEEZZNS1_16scan_by_key_implILNS1_25lookback_scan_determinismE0ELb0ES3_N6thrust23THRUST_200600_302600_NS6detail15normal_iteratorINS9_10device_ptrIiEEEENSB_INSC_IjEEEENSB_INSC_IfEEEEjNS9_4plusIvEENS9_8equal_toIvEEjEE10hipError_tPvRmT2_T3_T4_T5_mT6_T7_P12ihipStream_tbENKUlT_T0_E_clISt17integral_constantIbLb0EES12_IbLb1EEEEDaSY_SZ_EUlSY_E_NS1_11comp_targetILNS1_3genE9ELNS1_11target_archE1100ELNS1_3gpuE3ELNS1_3repE0EEENS1_30default_config_static_selectorELNS0_4arch9wavefront6targetE0EEEvT1_.kd
    .uniform_work_group_size: 1
    .uses_dynamic_stack: false
    .vgpr_count:     0
    .vgpr_spill_count: 0
    .wavefront_size: 32
    .workgroup_processor_mode: 1
  - .args:
      - .offset:         0
        .size:           112
        .value_kind:     by_value
    .group_segment_fixed_size: 5120
    .kernarg_segment_align: 8
    .kernarg_segment_size: 112
    .language:       OpenCL C
    .language_version:
      - 2
      - 0
    .max_flat_workgroup_size: 256
    .name:           _ZN7rocprim17ROCPRIM_400000_NS6detail17trampoline_kernelINS0_14default_configENS1_27scan_by_key_config_selectorIijEEZZNS1_16scan_by_key_implILNS1_25lookback_scan_determinismE0ELb0ES3_N6thrust23THRUST_200600_302600_NS6detail15normal_iteratorINS9_10device_ptrIiEEEENSB_INSC_IjEEEENSB_INSC_IfEEEEjNS9_4plusIvEENS9_8equal_toIvEEjEE10hipError_tPvRmT2_T3_T4_T5_mT6_T7_P12ihipStream_tbENKUlT_T0_E_clISt17integral_constantIbLb0EES12_IbLb1EEEEDaSY_SZ_EUlSY_E_NS1_11comp_targetILNS1_3genE8ELNS1_11target_archE1030ELNS1_3gpuE2ELNS1_3repE0EEENS1_30default_config_static_selectorELNS0_4arch9wavefront6targetE0EEEvT1_
    .private_segment_fixed_size: 0
    .sgpr_count:     36
    .sgpr_spill_count: 0
    .symbol:         _ZN7rocprim17ROCPRIM_400000_NS6detail17trampoline_kernelINS0_14default_configENS1_27scan_by_key_config_selectorIijEEZZNS1_16scan_by_key_implILNS1_25lookback_scan_determinismE0ELb0ES3_N6thrust23THRUST_200600_302600_NS6detail15normal_iteratorINS9_10device_ptrIiEEEENSB_INSC_IjEEEENSB_INSC_IfEEEEjNS9_4plusIvEENS9_8equal_toIvEEjEE10hipError_tPvRmT2_T3_T4_T5_mT6_T7_P12ihipStream_tbENKUlT_T0_E_clISt17integral_constantIbLb0EES12_IbLb1EEEEDaSY_SZ_EUlSY_E_NS1_11comp_targetILNS1_3genE8ELNS1_11target_archE1030ELNS1_3gpuE2ELNS1_3repE0EEENS1_30default_config_static_selectorELNS0_4arch9wavefront6targetE0EEEvT1_.kd
    .uniform_work_group_size: 1
    .uses_dynamic_stack: false
    .vgpr_count:     42
    .vgpr_spill_count: 0
    .wavefront_size: 32
    .workgroup_processor_mode: 1
  - .args:
      - .offset:         0
        .size:           112
        .value_kind:     by_value
    .group_segment_fixed_size: 0
    .kernarg_segment_align: 8
    .kernarg_segment_size: 112
    .language:       OpenCL C
    .language_version:
      - 2
      - 0
    .max_flat_workgroup_size: 256
    .name:           _ZN7rocprim17ROCPRIM_400000_NS6detail17trampoline_kernelINS0_14default_configENS1_27scan_by_key_config_selectorIifEEZZNS1_16scan_by_key_implILNS1_25lookback_scan_determinismE0ELb1ES3_N6thrust23THRUST_200600_302600_NS6detail15normal_iteratorINS9_10device_ptrIiEEEENSB_INSC_IjEEEENSB_INSC_IfEEEEfNS9_4plusIvEENS9_8equal_toIvEEfEE10hipError_tPvRmT2_T3_T4_T5_mT6_T7_P12ihipStream_tbENKUlT_T0_E_clISt17integral_constantIbLb0EES13_EEDaSY_SZ_EUlSY_E_NS1_11comp_targetILNS1_3genE0ELNS1_11target_archE4294967295ELNS1_3gpuE0ELNS1_3repE0EEENS1_30default_config_static_selectorELNS0_4arch9wavefront6targetE0EEEvT1_
    .private_segment_fixed_size: 0
    .sgpr_count:     0
    .sgpr_spill_count: 0
    .symbol:         _ZN7rocprim17ROCPRIM_400000_NS6detail17trampoline_kernelINS0_14default_configENS1_27scan_by_key_config_selectorIifEEZZNS1_16scan_by_key_implILNS1_25lookback_scan_determinismE0ELb1ES3_N6thrust23THRUST_200600_302600_NS6detail15normal_iteratorINS9_10device_ptrIiEEEENSB_INSC_IjEEEENSB_INSC_IfEEEEfNS9_4plusIvEENS9_8equal_toIvEEfEE10hipError_tPvRmT2_T3_T4_T5_mT6_T7_P12ihipStream_tbENKUlT_T0_E_clISt17integral_constantIbLb0EES13_EEDaSY_SZ_EUlSY_E_NS1_11comp_targetILNS1_3genE0ELNS1_11target_archE4294967295ELNS1_3gpuE0ELNS1_3repE0EEENS1_30default_config_static_selectorELNS0_4arch9wavefront6targetE0EEEvT1_.kd
    .uniform_work_group_size: 1
    .uses_dynamic_stack: false
    .vgpr_count:     0
    .vgpr_spill_count: 0
    .wavefront_size: 32
    .workgroup_processor_mode: 1
  - .args:
      - .offset:         0
        .size:           112
        .value_kind:     by_value
    .group_segment_fixed_size: 0
    .kernarg_segment_align: 8
    .kernarg_segment_size: 112
    .language:       OpenCL C
    .language_version:
      - 2
      - 0
    .max_flat_workgroup_size: 256
    .name:           _ZN7rocprim17ROCPRIM_400000_NS6detail17trampoline_kernelINS0_14default_configENS1_27scan_by_key_config_selectorIifEEZZNS1_16scan_by_key_implILNS1_25lookback_scan_determinismE0ELb1ES3_N6thrust23THRUST_200600_302600_NS6detail15normal_iteratorINS9_10device_ptrIiEEEENSB_INSC_IjEEEENSB_INSC_IfEEEEfNS9_4plusIvEENS9_8equal_toIvEEfEE10hipError_tPvRmT2_T3_T4_T5_mT6_T7_P12ihipStream_tbENKUlT_T0_E_clISt17integral_constantIbLb0EES13_EEDaSY_SZ_EUlSY_E_NS1_11comp_targetILNS1_3genE10ELNS1_11target_archE1201ELNS1_3gpuE5ELNS1_3repE0EEENS1_30default_config_static_selectorELNS0_4arch9wavefront6targetE0EEEvT1_
    .private_segment_fixed_size: 0
    .sgpr_count:     0
    .sgpr_spill_count: 0
    .symbol:         _ZN7rocprim17ROCPRIM_400000_NS6detail17trampoline_kernelINS0_14default_configENS1_27scan_by_key_config_selectorIifEEZZNS1_16scan_by_key_implILNS1_25lookback_scan_determinismE0ELb1ES3_N6thrust23THRUST_200600_302600_NS6detail15normal_iteratorINS9_10device_ptrIiEEEENSB_INSC_IjEEEENSB_INSC_IfEEEEfNS9_4plusIvEENS9_8equal_toIvEEfEE10hipError_tPvRmT2_T3_T4_T5_mT6_T7_P12ihipStream_tbENKUlT_T0_E_clISt17integral_constantIbLb0EES13_EEDaSY_SZ_EUlSY_E_NS1_11comp_targetILNS1_3genE10ELNS1_11target_archE1201ELNS1_3gpuE5ELNS1_3repE0EEENS1_30default_config_static_selectorELNS0_4arch9wavefront6targetE0EEEvT1_.kd
    .uniform_work_group_size: 1
    .uses_dynamic_stack: false
    .vgpr_count:     0
    .vgpr_spill_count: 0
    .wavefront_size: 32
    .workgroup_processor_mode: 1
  - .args:
      - .offset:         0
        .size:           112
        .value_kind:     by_value
    .group_segment_fixed_size: 0
    .kernarg_segment_align: 8
    .kernarg_segment_size: 112
    .language:       OpenCL C
    .language_version:
      - 2
      - 0
    .max_flat_workgroup_size: 256
    .name:           _ZN7rocprim17ROCPRIM_400000_NS6detail17trampoline_kernelINS0_14default_configENS1_27scan_by_key_config_selectorIifEEZZNS1_16scan_by_key_implILNS1_25lookback_scan_determinismE0ELb1ES3_N6thrust23THRUST_200600_302600_NS6detail15normal_iteratorINS9_10device_ptrIiEEEENSB_INSC_IjEEEENSB_INSC_IfEEEEfNS9_4plusIvEENS9_8equal_toIvEEfEE10hipError_tPvRmT2_T3_T4_T5_mT6_T7_P12ihipStream_tbENKUlT_T0_E_clISt17integral_constantIbLb0EES13_EEDaSY_SZ_EUlSY_E_NS1_11comp_targetILNS1_3genE5ELNS1_11target_archE942ELNS1_3gpuE9ELNS1_3repE0EEENS1_30default_config_static_selectorELNS0_4arch9wavefront6targetE0EEEvT1_
    .private_segment_fixed_size: 0
    .sgpr_count:     0
    .sgpr_spill_count: 0
    .symbol:         _ZN7rocprim17ROCPRIM_400000_NS6detail17trampoline_kernelINS0_14default_configENS1_27scan_by_key_config_selectorIifEEZZNS1_16scan_by_key_implILNS1_25lookback_scan_determinismE0ELb1ES3_N6thrust23THRUST_200600_302600_NS6detail15normal_iteratorINS9_10device_ptrIiEEEENSB_INSC_IjEEEENSB_INSC_IfEEEEfNS9_4plusIvEENS9_8equal_toIvEEfEE10hipError_tPvRmT2_T3_T4_T5_mT6_T7_P12ihipStream_tbENKUlT_T0_E_clISt17integral_constantIbLb0EES13_EEDaSY_SZ_EUlSY_E_NS1_11comp_targetILNS1_3genE5ELNS1_11target_archE942ELNS1_3gpuE9ELNS1_3repE0EEENS1_30default_config_static_selectorELNS0_4arch9wavefront6targetE0EEEvT1_.kd
    .uniform_work_group_size: 1
    .uses_dynamic_stack: false
    .vgpr_count:     0
    .vgpr_spill_count: 0
    .wavefront_size: 32
    .workgroup_processor_mode: 1
  - .args:
      - .offset:         0
        .size:           112
        .value_kind:     by_value
    .group_segment_fixed_size: 0
    .kernarg_segment_align: 8
    .kernarg_segment_size: 112
    .language:       OpenCL C
    .language_version:
      - 2
      - 0
    .max_flat_workgroup_size: 256
    .name:           _ZN7rocprim17ROCPRIM_400000_NS6detail17trampoline_kernelINS0_14default_configENS1_27scan_by_key_config_selectorIifEEZZNS1_16scan_by_key_implILNS1_25lookback_scan_determinismE0ELb1ES3_N6thrust23THRUST_200600_302600_NS6detail15normal_iteratorINS9_10device_ptrIiEEEENSB_INSC_IjEEEENSB_INSC_IfEEEEfNS9_4plusIvEENS9_8equal_toIvEEfEE10hipError_tPvRmT2_T3_T4_T5_mT6_T7_P12ihipStream_tbENKUlT_T0_E_clISt17integral_constantIbLb0EES13_EEDaSY_SZ_EUlSY_E_NS1_11comp_targetILNS1_3genE4ELNS1_11target_archE910ELNS1_3gpuE8ELNS1_3repE0EEENS1_30default_config_static_selectorELNS0_4arch9wavefront6targetE0EEEvT1_
    .private_segment_fixed_size: 0
    .sgpr_count:     0
    .sgpr_spill_count: 0
    .symbol:         _ZN7rocprim17ROCPRIM_400000_NS6detail17trampoline_kernelINS0_14default_configENS1_27scan_by_key_config_selectorIifEEZZNS1_16scan_by_key_implILNS1_25lookback_scan_determinismE0ELb1ES3_N6thrust23THRUST_200600_302600_NS6detail15normal_iteratorINS9_10device_ptrIiEEEENSB_INSC_IjEEEENSB_INSC_IfEEEEfNS9_4plusIvEENS9_8equal_toIvEEfEE10hipError_tPvRmT2_T3_T4_T5_mT6_T7_P12ihipStream_tbENKUlT_T0_E_clISt17integral_constantIbLb0EES13_EEDaSY_SZ_EUlSY_E_NS1_11comp_targetILNS1_3genE4ELNS1_11target_archE910ELNS1_3gpuE8ELNS1_3repE0EEENS1_30default_config_static_selectorELNS0_4arch9wavefront6targetE0EEEvT1_.kd
    .uniform_work_group_size: 1
    .uses_dynamic_stack: false
    .vgpr_count:     0
    .vgpr_spill_count: 0
    .wavefront_size: 32
    .workgroup_processor_mode: 1
  - .args:
      - .offset:         0
        .size:           112
        .value_kind:     by_value
    .group_segment_fixed_size: 0
    .kernarg_segment_align: 8
    .kernarg_segment_size: 112
    .language:       OpenCL C
    .language_version:
      - 2
      - 0
    .max_flat_workgroup_size: 256
    .name:           _ZN7rocprim17ROCPRIM_400000_NS6detail17trampoline_kernelINS0_14default_configENS1_27scan_by_key_config_selectorIifEEZZNS1_16scan_by_key_implILNS1_25lookback_scan_determinismE0ELb1ES3_N6thrust23THRUST_200600_302600_NS6detail15normal_iteratorINS9_10device_ptrIiEEEENSB_INSC_IjEEEENSB_INSC_IfEEEEfNS9_4plusIvEENS9_8equal_toIvEEfEE10hipError_tPvRmT2_T3_T4_T5_mT6_T7_P12ihipStream_tbENKUlT_T0_E_clISt17integral_constantIbLb0EES13_EEDaSY_SZ_EUlSY_E_NS1_11comp_targetILNS1_3genE3ELNS1_11target_archE908ELNS1_3gpuE7ELNS1_3repE0EEENS1_30default_config_static_selectorELNS0_4arch9wavefront6targetE0EEEvT1_
    .private_segment_fixed_size: 0
    .sgpr_count:     0
    .sgpr_spill_count: 0
    .symbol:         _ZN7rocprim17ROCPRIM_400000_NS6detail17trampoline_kernelINS0_14default_configENS1_27scan_by_key_config_selectorIifEEZZNS1_16scan_by_key_implILNS1_25lookback_scan_determinismE0ELb1ES3_N6thrust23THRUST_200600_302600_NS6detail15normal_iteratorINS9_10device_ptrIiEEEENSB_INSC_IjEEEENSB_INSC_IfEEEEfNS9_4plusIvEENS9_8equal_toIvEEfEE10hipError_tPvRmT2_T3_T4_T5_mT6_T7_P12ihipStream_tbENKUlT_T0_E_clISt17integral_constantIbLb0EES13_EEDaSY_SZ_EUlSY_E_NS1_11comp_targetILNS1_3genE3ELNS1_11target_archE908ELNS1_3gpuE7ELNS1_3repE0EEENS1_30default_config_static_selectorELNS0_4arch9wavefront6targetE0EEEvT1_.kd
    .uniform_work_group_size: 1
    .uses_dynamic_stack: false
    .vgpr_count:     0
    .vgpr_spill_count: 0
    .wavefront_size: 32
    .workgroup_processor_mode: 1
  - .args:
      - .offset:         0
        .size:           112
        .value_kind:     by_value
    .group_segment_fixed_size: 0
    .kernarg_segment_align: 8
    .kernarg_segment_size: 112
    .language:       OpenCL C
    .language_version:
      - 2
      - 0
    .max_flat_workgroup_size: 256
    .name:           _ZN7rocprim17ROCPRIM_400000_NS6detail17trampoline_kernelINS0_14default_configENS1_27scan_by_key_config_selectorIifEEZZNS1_16scan_by_key_implILNS1_25lookback_scan_determinismE0ELb1ES3_N6thrust23THRUST_200600_302600_NS6detail15normal_iteratorINS9_10device_ptrIiEEEENSB_INSC_IjEEEENSB_INSC_IfEEEEfNS9_4plusIvEENS9_8equal_toIvEEfEE10hipError_tPvRmT2_T3_T4_T5_mT6_T7_P12ihipStream_tbENKUlT_T0_E_clISt17integral_constantIbLb0EES13_EEDaSY_SZ_EUlSY_E_NS1_11comp_targetILNS1_3genE2ELNS1_11target_archE906ELNS1_3gpuE6ELNS1_3repE0EEENS1_30default_config_static_selectorELNS0_4arch9wavefront6targetE0EEEvT1_
    .private_segment_fixed_size: 0
    .sgpr_count:     0
    .sgpr_spill_count: 0
    .symbol:         _ZN7rocprim17ROCPRIM_400000_NS6detail17trampoline_kernelINS0_14default_configENS1_27scan_by_key_config_selectorIifEEZZNS1_16scan_by_key_implILNS1_25lookback_scan_determinismE0ELb1ES3_N6thrust23THRUST_200600_302600_NS6detail15normal_iteratorINS9_10device_ptrIiEEEENSB_INSC_IjEEEENSB_INSC_IfEEEEfNS9_4plusIvEENS9_8equal_toIvEEfEE10hipError_tPvRmT2_T3_T4_T5_mT6_T7_P12ihipStream_tbENKUlT_T0_E_clISt17integral_constantIbLb0EES13_EEDaSY_SZ_EUlSY_E_NS1_11comp_targetILNS1_3genE2ELNS1_11target_archE906ELNS1_3gpuE6ELNS1_3repE0EEENS1_30default_config_static_selectorELNS0_4arch9wavefront6targetE0EEEvT1_.kd
    .uniform_work_group_size: 1
    .uses_dynamic_stack: false
    .vgpr_count:     0
    .vgpr_spill_count: 0
    .wavefront_size: 32
    .workgroup_processor_mode: 1
  - .args:
      - .offset:         0
        .size:           112
        .value_kind:     by_value
    .group_segment_fixed_size: 0
    .kernarg_segment_align: 8
    .kernarg_segment_size: 112
    .language:       OpenCL C
    .language_version:
      - 2
      - 0
    .max_flat_workgroup_size: 256
    .name:           _ZN7rocprim17ROCPRIM_400000_NS6detail17trampoline_kernelINS0_14default_configENS1_27scan_by_key_config_selectorIifEEZZNS1_16scan_by_key_implILNS1_25lookback_scan_determinismE0ELb1ES3_N6thrust23THRUST_200600_302600_NS6detail15normal_iteratorINS9_10device_ptrIiEEEENSB_INSC_IjEEEENSB_INSC_IfEEEEfNS9_4plusIvEENS9_8equal_toIvEEfEE10hipError_tPvRmT2_T3_T4_T5_mT6_T7_P12ihipStream_tbENKUlT_T0_E_clISt17integral_constantIbLb0EES13_EEDaSY_SZ_EUlSY_E_NS1_11comp_targetILNS1_3genE10ELNS1_11target_archE1200ELNS1_3gpuE4ELNS1_3repE0EEENS1_30default_config_static_selectorELNS0_4arch9wavefront6targetE0EEEvT1_
    .private_segment_fixed_size: 0
    .sgpr_count:     0
    .sgpr_spill_count: 0
    .symbol:         _ZN7rocprim17ROCPRIM_400000_NS6detail17trampoline_kernelINS0_14default_configENS1_27scan_by_key_config_selectorIifEEZZNS1_16scan_by_key_implILNS1_25lookback_scan_determinismE0ELb1ES3_N6thrust23THRUST_200600_302600_NS6detail15normal_iteratorINS9_10device_ptrIiEEEENSB_INSC_IjEEEENSB_INSC_IfEEEEfNS9_4plusIvEENS9_8equal_toIvEEfEE10hipError_tPvRmT2_T3_T4_T5_mT6_T7_P12ihipStream_tbENKUlT_T0_E_clISt17integral_constantIbLb0EES13_EEDaSY_SZ_EUlSY_E_NS1_11comp_targetILNS1_3genE10ELNS1_11target_archE1200ELNS1_3gpuE4ELNS1_3repE0EEENS1_30default_config_static_selectorELNS0_4arch9wavefront6targetE0EEEvT1_.kd
    .uniform_work_group_size: 1
    .uses_dynamic_stack: false
    .vgpr_count:     0
    .vgpr_spill_count: 0
    .wavefront_size: 32
    .workgroup_processor_mode: 1
  - .args:
      - .offset:         0
        .size:           112
        .value_kind:     by_value
    .group_segment_fixed_size: 0
    .kernarg_segment_align: 8
    .kernarg_segment_size: 112
    .language:       OpenCL C
    .language_version:
      - 2
      - 0
    .max_flat_workgroup_size: 256
    .name:           _ZN7rocprim17ROCPRIM_400000_NS6detail17trampoline_kernelINS0_14default_configENS1_27scan_by_key_config_selectorIifEEZZNS1_16scan_by_key_implILNS1_25lookback_scan_determinismE0ELb1ES3_N6thrust23THRUST_200600_302600_NS6detail15normal_iteratorINS9_10device_ptrIiEEEENSB_INSC_IjEEEENSB_INSC_IfEEEEfNS9_4plusIvEENS9_8equal_toIvEEfEE10hipError_tPvRmT2_T3_T4_T5_mT6_T7_P12ihipStream_tbENKUlT_T0_E_clISt17integral_constantIbLb0EES13_EEDaSY_SZ_EUlSY_E_NS1_11comp_targetILNS1_3genE9ELNS1_11target_archE1100ELNS1_3gpuE3ELNS1_3repE0EEENS1_30default_config_static_selectorELNS0_4arch9wavefront6targetE0EEEvT1_
    .private_segment_fixed_size: 0
    .sgpr_count:     0
    .sgpr_spill_count: 0
    .symbol:         _ZN7rocprim17ROCPRIM_400000_NS6detail17trampoline_kernelINS0_14default_configENS1_27scan_by_key_config_selectorIifEEZZNS1_16scan_by_key_implILNS1_25lookback_scan_determinismE0ELb1ES3_N6thrust23THRUST_200600_302600_NS6detail15normal_iteratorINS9_10device_ptrIiEEEENSB_INSC_IjEEEENSB_INSC_IfEEEEfNS9_4plusIvEENS9_8equal_toIvEEfEE10hipError_tPvRmT2_T3_T4_T5_mT6_T7_P12ihipStream_tbENKUlT_T0_E_clISt17integral_constantIbLb0EES13_EEDaSY_SZ_EUlSY_E_NS1_11comp_targetILNS1_3genE9ELNS1_11target_archE1100ELNS1_3gpuE3ELNS1_3repE0EEENS1_30default_config_static_selectorELNS0_4arch9wavefront6targetE0EEEvT1_.kd
    .uniform_work_group_size: 1
    .uses_dynamic_stack: false
    .vgpr_count:     0
    .vgpr_spill_count: 0
    .wavefront_size: 32
    .workgroup_processor_mode: 1
  - .args:
      - .offset:         0
        .size:           112
        .value_kind:     by_value
    .group_segment_fixed_size: 5120
    .kernarg_segment_align: 8
    .kernarg_segment_size: 112
    .language:       OpenCL C
    .language_version:
      - 2
      - 0
    .max_flat_workgroup_size: 256
    .name:           _ZN7rocprim17ROCPRIM_400000_NS6detail17trampoline_kernelINS0_14default_configENS1_27scan_by_key_config_selectorIifEEZZNS1_16scan_by_key_implILNS1_25lookback_scan_determinismE0ELb1ES3_N6thrust23THRUST_200600_302600_NS6detail15normal_iteratorINS9_10device_ptrIiEEEENSB_INSC_IjEEEENSB_INSC_IfEEEEfNS9_4plusIvEENS9_8equal_toIvEEfEE10hipError_tPvRmT2_T3_T4_T5_mT6_T7_P12ihipStream_tbENKUlT_T0_E_clISt17integral_constantIbLb0EES13_EEDaSY_SZ_EUlSY_E_NS1_11comp_targetILNS1_3genE8ELNS1_11target_archE1030ELNS1_3gpuE2ELNS1_3repE0EEENS1_30default_config_static_selectorELNS0_4arch9wavefront6targetE0EEEvT1_
    .private_segment_fixed_size: 0
    .sgpr_count:     31
    .sgpr_spill_count: 0
    .symbol:         _ZN7rocprim17ROCPRIM_400000_NS6detail17trampoline_kernelINS0_14default_configENS1_27scan_by_key_config_selectorIifEEZZNS1_16scan_by_key_implILNS1_25lookback_scan_determinismE0ELb1ES3_N6thrust23THRUST_200600_302600_NS6detail15normal_iteratorINS9_10device_ptrIiEEEENSB_INSC_IjEEEENSB_INSC_IfEEEEfNS9_4plusIvEENS9_8equal_toIvEEfEE10hipError_tPvRmT2_T3_T4_T5_mT6_T7_P12ihipStream_tbENKUlT_T0_E_clISt17integral_constantIbLb0EES13_EEDaSY_SZ_EUlSY_E_NS1_11comp_targetILNS1_3genE8ELNS1_11target_archE1030ELNS1_3gpuE2ELNS1_3repE0EEENS1_30default_config_static_selectorELNS0_4arch9wavefront6targetE0EEEvT1_.kd
    .uniform_work_group_size: 1
    .uses_dynamic_stack: false
    .vgpr_count:     40
    .vgpr_spill_count: 0
    .wavefront_size: 32
    .workgroup_processor_mode: 1
  - .args:
      - .offset:         0
        .size:           112
        .value_kind:     by_value
    .group_segment_fixed_size: 0
    .kernarg_segment_align: 8
    .kernarg_segment_size: 112
    .language:       OpenCL C
    .language_version:
      - 2
      - 0
    .max_flat_workgroup_size: 256
    .name:           _ZN7rocprim17ROCPRIM_400000_NS6detail17trampoline_kernelINS0_14default_configENS1_27scan_by_key_config_selectorIifEEZZNS1_16scan_by_key_implILNS1_25lookback_scan_determinismE0ELb1ES3_N6thrust23THRUST_200600_302600_NS6detail15normal_iteratorINS9_10device_ptrIiEEEENSB_INSC_IjEEEENSB_INSC_IfEEEEfNS9_4plusIvEENS9_8equal_toIvEEfEE10hipError_tPvRmT2_T3_T4_T5_mT6_T7_P12ihipStream_tbENKUlT_T0_E_clISt17integral_constantIbLb1EES13_EEDaSY_SZ_EUlSY_E_NS1_11comp_targetILNS1_3genE0ELNS1_11target_archE4294967295ELNS1_3gpuE0ELNS1_3repE0EEENS1_30default_config_static_selectorELNS0_4arch9wavefront6targetE0EEEvT1_
    .private_segment_fixed_size: 0
    .sgpr_count:     0
    .sgpr_spill_count: 0
    .symbol:         _ZN7rocprim17ROCPRIM_400000_NS6detail17trampoline_kernelINS0_14default_configENS1_27scan_by_key_config_selectorIifEEZZNS1_16scan_by_key_implILNS1_25lookback_scan_determinismE0ELb1ES3_N6thrust23THRUST_200600_302600_NS6detail15normal_iteratorINS9_10device_ptrIiEEEENSB_INSC_IjEEEENSB_INSC_IfEEEEfNS9_4plusIvEENS9_8equal_toIvEEfEE10hipError_tPvRmT2_T3_T4_T5_mT6_T7_P12ihipStream_tbENKUlT_T0_E_clISt17integral_constantIbLb1EES13_EEDaSY_SZ_EUlSY_E_NS1_11comp_targetILNS1_3genE0ELNS1_11target_archE4294967295ELNS1_3gpuE0ELNS1_3repE0EEENS1_30default_config_static_selectorELNS0_4arch9wavefront6targetE0EEEvT1_.kd
    .uniform_work_group_size: 1
    .uses_dynamic_stack: false
    .vgpr_count:     0
    .vgpr_spill_count: 0
    .wavefront_size: 32
    .workgroup_processor_mode: 1
  - .args:
      - .offset:         0
        .size:           112
        .value_kind:     by_value
    .group_segment_fixed_size: 0
    .kernarg_segment_align: 8
    .kernarg_segment_size: 112
    .language:       OpenCL C
    .language_version:
      - 2
      - 0
    .max_flat_workgroup_size: 256
    .name:           _ZN7rocprim17ROCPRIM_400000_NS6detail17trampoline_kernelINS0_14default_configENS1_27scan_by_key_config_selectorIifEEZZNS1_16scan_by_key_implILNS1_25lookback_scan_determinismE0ELb1ES3_N6thrust23THRUST_200600_302600_NS6detail15normal_iteratorINS9_10device_ptrIiEEEENSB_INSC_IjEEEENSB_INSC_IfEEEEfNS9_4plusIvEENS9_8equal_toIvEEfEE10hipError_tPvRmT2_T3_T4_T5_mT6_T7_P12ihipStream_tbENKUlT_T0_E_clISt17integral_constantIbLb1EES13_EEDaSY_SZ_EUlSY_E_NS1_11comp_targetILNS1_3genE10ELNS1_11target_archE1201ELNS1_3gpuE5ELNS1_3repE0EEENS1_30default_config_static_selectorELNS0_4arch9wavefront6targetE0EEEvT1_
    .private_segment_fixed_size: 0
    .sgpr_count:     0
    .sgpr_spill_count: 0
    .symbol:         _ZN7rocprim17ROCPRIM_400000_NS6detail17trampoline_kernelINS0_14default_configENS1_27scan_by_key_config_selectorIifEEZZNS1_16scan_by_key_implILNS1_25lookback_scan_determinismE0ELb1ES3_N6thrust23THRUST_200600_302600_NS6detail15normal_iteratorINS9_10device_ptrIiEEEENSB_INSC_IjEEEENSB_INSC_IfEEEEfNS9_4plusIvEENS9_8equal_toIvEEfEE10hipError_tPvRmT2_T3_T4_T5_mT6_T7_P12ihipStream_tbENKUlT_T0_E_clISt17integral_constantIbLb1EES13_EEDaSY_SZ_EUlSY_E_NS1_11comp_targetILNS1_3genE10ELNS1_11target_archE1201ELNS1_3gpuE5ELNS1_3repE0EEENS1_30default_config_static_selectorELNS0_4arch9wavefront6targetE0EEEvT1_.kd
    .uniform_work_group_size: 1
    .uses_dynamic_stack: false
    .vgpr_count:     0
    .vgpr_spill_count: 0
    .wavefront_size: 32
    .workgroup_processor_mode: 1
  - .args:
      - .offset:         0
        .size:           112
        .value_kind:     by_value
    .group_segment_fixed_size: 0
    .kernarg_segment_align: 8
    .kernarg_segment_size: 112
    .language:       OpenCL C
    .language_version:
      - 2
      - 0
    .max_flat_workgroup_size: 256
    .name:           _ZN7rocprim17ROCPRIM_400000_NS6detail17trampoline_kernelINS0_14default_configENS1_27scan_by_key_config_selectorIifEEZZNS1_16scan_by_key_implILNS1_25lookback_scan_determinismE0ELb1ES3_N6thrust23THRUST_200600_302600_NS6detail15normal_iteratorINS9_10device_ptrIiEEEENSB_INSC_IjEEEENSB_INSC_IfEEEEfNS9_4plusIvEENS9_8equal_toIvEEfEE10hipError_tPvRmT2_T3_T4_T5_mT6_T7_P12ihipStream_tbENKUlT_T0_E_clISt17integral_constantIbLb1EES13_EEDaSY_SZ_EUlSY_E_NS1_11comp_targetILNS1_3genE5ELNS1_11target_archE942ELNS1_3gpuE9ELNS1_3repE0EEENS1_30default_config_static_selectorELNS0_4arch9wavefront6targetE0EEEvT1_
    .private_segment_fixed_size: 0
    .sgpr_count:     0
    .sgpr_spill_count: 0
    .symbol:         _ZN7rocprim17ROCPRIM_400000_NS6detail17trampoline_kernelINS0_14default_configENS1_27scan_by_key_config_selectorIifEEZZNS1_16scan_by_key_implILNS1_25lookback_scan_determinismE0ELb1ES3_N6thrust23THRUST_200600_302600_NS6detail15normal_iteratorINS9_10device_ptrIiEEEENSB_INSC_IjEEEENSB_INSC_IfEEEEfNS9_4plusIvEENS9_8equal_toIvEEfEE10hipError_tPvRmT2_T3_T4_T5_mT6_T7_P12ihipStream_tbENKUlT_T0_E_clISt17integral_constantIbLb1EES13_EEDaSY_SZ_EUlSY_E_NS1_11comp_targetILNS1_3genE5ELNS1_11target_archE942ELNS1_3gpuE9ELNS1_3repE0EEENS1_30default_config_static_selectorELNS0_4arch9wavefront6targetE0EEEvT1_.kd
    .uniform_work_group_size: 1
    .uses_dynamic_stack: false
    .vgpr_count:     0
    .vgpr_spill_count: 0
    .wavefront_size: 32
    .workgroup_processor_mode: 1
  - .args:
      - .offset:         0
        .size:           112
        .value_kind:     by_value
    .group_segment_fixed_size: 0
    .kernarg_segment_align: 8
    .kernarg_segment_size: 112
    .language:       OpenCL C
    .language_version:
      - 2
      - 0
    .max_flat_workgroup_size: 256
    .name:           _ZN7rocprim17ROCPRIM_400000_NS6detail17trampoline_kernelINS0_14default_configENS1_27scan_by_key_config_selectorIifEEZZNS1_16scan_by_key_implILNS1_25lookback_scan_determinismE0ELb1ES3_N6thrust23THRUST_200600_302600_NS6detail15normal_iteratorINS9_10device_ptrIiEEEENSB_INSC_IjEEEENSB_INSC_IfEEEEfNS9_4plusIvEENS9_8equal_toIvEEfEE10hipError_tPvRmT2_T3_T4_T5_mT6_T7_P12ihipStream_tbENKUlT_T0_E_clISt17integral_constantIbLb1EES13_EEDaSY_SZ_EUlSY_E_NS1_11comp_targetILNS1_3genE4ELNS1_11target_archE910ELNS1_3gpuE8ELNS1_3repE0EEENS1_30default_config_static_selectorELNS0_4arch9wavefront6targetE0EEEvT1_
    .private_segment_fixed_size: 0
    .sgpr_count:     0
    .sgpr_spill_count: 0
    .symbol:         _ZN7rocprim17ROCPRIM_400000_NS6detail17trampoline_kernelINS0_14default_configENS1_27scan_by_key_config_selectorIifEEZZNS1_16scan_by_key_implILNS1_25lookback_scan_determinismE0ELb1ES3_N6thrust23THRUST_200600_302600_NS6detail15normal_iteratorINS9_10device_ptrIiEEEENSB_INSC_IjEEEENSB_INSC_IfEEEEfNS9_4plusIvEENS9_8equal_toIvEEfEE10hipError_tPvRmT2_T3_T4_T5_mT6_T7_P12ihipStream_tbENKUlT_T0_E_clISt17integral_constantIbLb1EES13_EEDaSY_SZ_EUlSY_E_NS1_11comp_targetILNS1_3genE4ELNS1_11target_archE910ELNS1_3gpuE8ELNS1_3repE0EEENS1_30default_config_static_selectorELNS0_4arch9wavefront6targetE0EEEvT1_.kd
    .uniform_work_group_size: 1
    .uses_dynamic_stack: false
    .vgpr_count:     0
    .vgpr_spill_count: 0
    .wavefront_size: 32
    .workgroup_processor_mode: 1
  - .args:
      - .offset:         0
        .size:           112
        .value_kind:     by_value
    .group_segment_fixed_size: 0
    .kernarg_segment_align: 8
    .kernarg_segment_size: 112
    .language:       OpenCL C
    .language_version:
      - 2
      - 0
    .max_flat_workgroup_size: 256
    .name:           _ZN7rocprim17ROCPRIM_400000_NS6detail17trampoline_kernelINS0_14default_configENS1_27scan_by_key_config_selectorIifEEZZNS1_16scan_by_key_implILNS1_25lookback_scan_determinismE0ELb1ES3_N6thrust23THRUST_200600_302600_NS6detail15normal_iteratorINS9_10device_ptrIiEEEENSB_INSC_IjEEEENSB_INSC_IfEEEEfNS9_4plusIvEENS9_8equal_toIvEEfEE10hipError_tPvRmT2_T3_T4_T5_mT6_T7_P12ihipStream_tbENKUlT_T0_E_clISt17integral_constantIbLb1EES13_EEDaSY_SZ_EUlSY_E_NS1_11comp_targetILNS1_3genE3ELNS1_11target_archE908ELNS1_3gpuE7ELNS1_3repE0EEENS1_30default_config_static_selectorELNS0_4arch9wavefront6targetE0EEEvT1_
    .private_segment_fixed_size: 0
    .sgpr_count:     0
    .sgpr_spill_count: 0
    .symbol:         _ZN7rocprim17ROCPRIM_400000_NS6detail17trampoline_kernelINS0_14default_configENS1_27scan_by_key_config_selectorIifEEZZNS1_16scan_by_key_implILNS1_25lookback_scan_determinismE0ELb1ES3_N6thrust23THRUST_200600_302600_NS6detail15normal_iteratorINS9_10device_ptrIiEEEENSB_INSC_IjEEEENSB_INSC_IfEEEEfNS9_4plusIvEENS9_8equal_toIvEEfEE10hipError_tPvRmT2_T3_T4_T5_mT6_T7_P12ihipStream_tbENKUlT_T0_E_clISt17integral_constantIbLb1EES13_EEDaSY_SZ_EUlSY_E_NS1_11comp_targetILNS1_3genE3ELNS1_11target_archE908ELNS1_3gpuE7ELNS1_3repE0EEENS1_30default_config_static_selectorELNS0_4arch9wavefront6targetE0EEEvT1_.kd
    .uniform_work_group_size: 1
    .uses_dynamic_stack: false
    .vgpr_count:     0
    .vgpr_spill_count: 0
    .wavefront_size: 32
    .workgroup_processor_mode: 1
  - .args:
      - .offset:         0
        .size:           112
        .value_kind:     by_value
    .group_segment_fixed_size: 0
    .kernarg_segment_align: 8
    .kernarg_segment_size: 112
    .language:       OpenCL C
    .language_version:
      - 2
      - 0
    .max_flat_workgroup_size: 256
    .name:           _ZN7rocprim17ROCPRIM_400000_NS6detail17trampoline_kernelINS0_14default_configENS1_27scan_by_key_config_selectorIifEEZZNS1_16scan_by_key_implILNS1_25lookback_scan_determinismE0ELb1ES3_N6thrust23THRUST_200600_302600_NS6detail15normal_iteratorINS9_10device_ptrIiEEEENSB_INSC_IjEEEENSB_INSC_IfEEEEfNS9_4plusIvEENS9_8equal_toIvEEfEE10hipError_tPvRmT2_T3_T4_T5_mT6_T7_P12ihipStream_tbENKUlT_T0_E_clISt17integral_constantIbLb1EES13_EEDaSY_SZ_EUlSY_E_NS1_11comp_targetILNS1_3genE2ELNS1_11target_archE906ELNS1_3gpuE6ELNS1_3repE0EEENS1_30default_config_static_selectorELNS0_4arch9wavefront6targetE0EEEvT1_
    .private_segment_fixed_size: 0
    .sgpr_count:     0
    .sgpr_spill_count: 0
    .symbol:         _ZN7rocprim17ROCPRIM_400000_NS6detail17trampoline_kernelINS0_14default_configENS1_27scan_by_key_config_selectorIifEEZZNS1_16scan_by_key_implILNS1_25lookback_scan_determinismE0ELb1ES3_N6thrust23THRUST_200600_302600_NS6detail15normal_iteratorINS9_10device_ptrIiEEEENSB_INSC_IjEEEENSB_INSC_IfEEEEfNS9_4plusIvEENS9_8equal_toIvEEfEE10hipError_tPvRmT2_T3_T4_T5_mT6_T7_P12ihipStream_tbENKUlT_T0_E_clISt17integral_constantIbLb1EES13_EEDaSY_SZ_EUlSY_E_NS1_11comp_targetILNS1_3genE2ELNS1_11target_archE906ELNS1_3gpuE6ELNS1_3repE0EEENS1_30default_config_static_selectorELNS0_4arch9wavefront6targetE0EEEvT1_.kd
    .uniform_work_group_size: 1
    .uses_dynamic_stack: false
    .vgpr_count:     0
    .vgpr_spill_count: 0
    .wavefront_size: 32
    .workgroup_processor_mode: 1
  - .args:
      - .offset:         0
        .size:           112
        .value_kind:     by_value
    .group_segment_fixed_size: 0
    .kernarg_segment_align: 8
    .kernarg_segment_size: 112
    .language:       OpenCL C
    .language_version:
      - 2
      - 0
    .max_flat_workgroup_size: 256
    .name:           _ZN7rocprim17ROCPRIM_400000_NS6detail17trampoline_kernelINS0_14default_configENS1_27scan_by_key_config_selectorIifEEZZNS1_16scan_by_key_implILNS1_25lookback_scan_determinismE0ELb1ES3_N6thrust23THRUST_200600_302600_NS6detail15normal_iteratorINS9_10device_ptrIiEEEENSB_INSC_IjEEEENSB_INSC_IfEEEEfNS9_4plusIvEENS9_8equal_toIvEEfEE10hipError_tPvRmT2_T3_T4_T5_mT6_T7_P12ihipStream_tbENKUlT_T0_E_clISt17integral_constantIbLb1EES13_EEDaSY_SZ_EUlSY_E_NS1_11comp_targetILNS1_3genE10ELNS1_11target_archE1200ELNS1_3gpuE4ELNS1_3repE0EEENS1_30default_config_static_selectorELNS0_4arch9wavefront6targetE0EEEvT1_
    .private_segment_fixed_size: 0
    .sgpr_count:     0
    .sgpr_spill_count: 0
    .symbol:         _ZN7rocprim17ROCPRIM_400000_NS6detail17trampoline_kernelINS0_14default_configENS1_27scan_by_key_config_selectorIifEEZZNS1_16scan_by_key_implILNS1_25lookback_scan_determinismE0ELb1ES3_N6thrust23THRUST_200600_302600_NS6detail15normal_iteratorINS9_10device_ptrIiEEEENSB_INSC_IjEEEENSB_INSC_IfEEEEfNS9_4plusIvEENS9_8equal_toIvEEfEE10hipError_tPvRmT2_T3_T4_T5_mT6_T7_P12ihipStream_tbENKUlT_T0_E_clISt17integral_constantIbLb1EES13_EEDaSY_SZ_EUlSY_E_NS1_11comp_targetILNS1_3genE10ELNS1_11target_archE1200ELNS1_3gpuE4ELNS1_3repE0EEENS1_30default_config_static_selectorELNS0_4arch9wavefront6targetE0EEEvT1_.kd
    .uniform_work_group_size: 1
    .uses_dynamic_stack: false
    .vgpr_count:     0
    .vgpr_spill_count: 0
    .wavefront_size: 32
    .workgroup_processor_mode: 1
  - .args:
      - .offset:         0
        .size:           112
        .value_kind:     by_value
    .group_segment_fixed_size: 0
    .kernarg_segment_align: 8
    .kernarg_segment_size: 112
    .language:       OpenCL C
    .language_version:
      - 2
      - 0
    .max_flat_workgroup_size: 256
    .name:           _ZN7rocprim17ROCPRIM_400000_NS6detail17trampoline_kernelINS0_14default_configENS1_27scan_by_key_config_selectorIifEEZZNS1_16scan_by_key_implILNS1_25lookback_scan_determinismE0ELb1ES3_N6thrust23THRUST_200600_302600_NS6detail15normal_iteratorINS9_10device_ptrIiEEEENSB_INSC_IjEEEENSB_INSC_IfEEEEfNS9_4plusIvEENS9_8equal_toIvEEfEE10hipError_tPvRmT2_T3_T4_T5_mT6_T7_P12ihipStream_tbENKUlT_T0_E_clISt17integral_constantIbLb1EES13_EEDaSY_SZ_EUlSY_E_NS1_11comp_targetILNS1_3genE9ELNS1_11target_archE1100ELNS1_3gpuE3ELNS1_3repE0EEENS1_30default_config_static_selectorELNS0_4arch9wavefront6targetE0EEEvT1_
    .private_segment_fixed_size: 0
    .sgpr_count:     0
    .sgpr_spill_count: 0
    .symbol:         _ZN7rocprim17ROCPRIM_400000_NS6detail17trampoline_kernelINS0_14default_configENS1_27scan_by_key_config_selectorIifEEZZNS1_16scan_by_key_implILNS1_25lookback_scan_determinismE0ELb1ES3_N6thrust23THRUST_200600_302600_NS6detail15normal_iteratorINS9_10device_ptrIiEEEENSB_INSC_IjEEEENSB_INSC_IfEEEEfNS9_4plusIvEENS9_8equal_toIvEEfEE10hipError_tPvRmT2_T3_T4_T5_mT6_T7_P12ihipStream_tbENKUlT_T0_E_clISt17integral_constantIbLb1EES13_EEDaSY_SZ_EUlSY_E_NS1_11comp_targetILNS1_3genE9ELNS1_11target_archE1100ELNS1_3gpuE3ELNS1_3repE0EEENS1_30default_config_static_selectorELNS0_4arch9wavefront6targetE0EEEvT1_.kd
    .uniform_work_group_size: 1
    .uses_dynamic_stack: false
    .vgpr_count:     0
    .vgpr_spill_count: 0
    .wavefront_size: 32
    .workgroup_processor_mode: 1
  - .args:
      - .offset:         0
        .size:           112
        .value_kind:     by_value
    .group_segment_fixed_size: 0
    .kernarg_segment_align: 8
    .kernarg_segment_size: 112
    .language:       OpenCL C
    .language_version:
      - 2
      - 0
    .max_flat_workgroup_size: 256
    .name:           _ZN7rocprim17ROCPRIM_400000_NS6detail17trampoline_kernelINS0_14default_configENS1_27scan_by_key_config_selectorIifEEZZNS1_16scan_by_key_implILNS1_25lookback_scan_determinismE0ELb1ES3_N6thrust23THRUST_200600_302600_NS6detail15normal_iteratorINS9_10device_ptrIiEEEENSB_INSC_IjEEEENSB_INSC_IfEEEEfNS9_4plusIvEENS9_8equal_toIvEEfEE10hipError_tPvRmT2_T3_T4_T5_mT6_T7_P12ihipStream_tbENKUlT_T0_E_clISt17integral_constantIbLb1EES13_EEDaSY_SZ_EUlSY_E_NS1_11comp_targetILNS1_3genE8ELNS1_11target_archE1030ELNS1_3gpuE2ELNS1_3repE0EEENS1_30default_config_static_selectorELNS0_4arch9wavefront6targetE0EEEvT1_
    .private_segment_fixed_size: 0
    .sgpr_count:     0
    .sgpr_spill_count: 0
    .symbol:         _ZN7rocprim17ROCPRIM_400000_NS6detail17trampoline_kernelINS0_14default_configENS1_27scan_by_key_config_selectorIifEEZZNS1_16scan_by_key_implILNS1_25lookback_scan_determinismE0ELb1ES3_N6thrust23THRUST_200600_302600_NS6detail15normal_iteratorINS9_10device_ptrIiEEEENSB_INSC_IjEEEENSB_INSC_IfEEEEfNS9_4plusIvEENS9_8equal_toIvEEfEE10hipError_tPvRmT2_T3_T4_T5_mT6_T7_P12ihipStream_tbENKUlT_T0_E_clISt17integral_constantIbLb1EES13_EEDaSY_SZ_EUlSY_E_NS1_11comp_targetILNS1_3genE8ELNS1_11target_archE1030ELNS1_3gpuE2ELNS1_3repE0EEENS1_30default_config_static_selectorELNS0_4arch9wavefront6targetE0EEEvT1_.kd
    .uniform_work_group_size: 1
    .uses_dynamic_stack: false
    .vgpr_count:     0
    .vgpr_spill_count: 0
    .wavefront_size: 32
    .workgroup_processor_mode: 1
  - .args:
      - .offset:         0
        .size:           112
        .value_kind:     by_value
    .group_segment_fixed_size: 0
    .kernarg_segment_align: 8
    .kernarg_segment_size: 112
    .language:       OpenCL C
    .language_version:
      - 2
      - 0
    .max_flat_workgroup_size: 256
    .name:           _ZN7rocprim17ROCPRIM_400000_NS6detail17trampoline_kernelINS0_14default_configENS1_27scan_by_key_config_selectorIifEEZZNS1_16scan_by_key_implILNS1_25lookback_scan_determinismE0ELb1ES3_N6thrust23THRUST_200600_302600_NS6detail15normal_iteratorINS9_10device_ptrIiEEEENSB_INSC_IjEEEENSB_INSC_IfEEEEfNS9_4plusIvEENS9_8equal_toIvEEfEE10hipError_tPvRmT2_T3_T4_T5_mT6_T7_P12ihipStream_tbENKUlT_T0_E_clISt17integral_constantIbLb1EES12_IbLb0EEEEDaSY_SZ_EUlSY_E_NS1_11comp_targetILNS1_3genE0ELNS1_11target_archE4294967295ELNS1_3gpuE0ELNS1_3repE0EEENS1_30default_config_static_selectorELNS0_4arch9wavefront6targetE0EEEvT1_
    .private_segment_fixed_size: 0
    .sgpr_count:     0
    .sgpr_spill_count: 0
    .symbol:         _ZN7rocprim17ROCPRIM_400000_NS6detail17trampoline_kernelINS0_14default_configENS1_27scan_by_key_config_selectorIifEEZZNS1_16scan_by_key_implILNS1_25lookback_scan_determinismE0ELb1ES3_N6thrust23THRUST_200600_302600_NS6detail15normal_iteratorINS9_10device_ptrIiEEEENSB_INSC_IjEEEENSB_INSC_IfEEEEfNS9_4plusIvEENS9_8equal_toIvEEfEE10hipError_tPvRmT2_T3_T4_T5_mT6_T7_P12ihipStream_tbENKUlT_T0_E_clISt17integral_constantIbLb1EES12_IbLb0EEEEDaSY_SZ_EUlSY_E_NS1_11comp_targetILNS1_3genE0ELNS1_11target_archE4294967295ELNS1_3gpuE0ELNS1_3repE0EEENS1_30default_config_static_selectorELNS0_4arch9wavefront6targetE0EEEvT1_.kd
    .uniform_work_group_size: 1
    .uses_dynamic_stack: false
    .vgpr_count:     0
    .vgpr_spill_count: 0
    .wavefront_size: 32
    .workgroup_processor_mode: 1
  - .args:
      - .offset:         0
        .size:           112
        .value_kind:     by_value
    .group_segment_fixed_size: 0
    .kernarg_segment_align: 8
    .kernarg_segment_size: 112
    .language:       OpenCL C
    .language_version:
      - 2
      - 0
    .max_flat_workgroup_size: 256
    .name:           _ZN7rocprim17ROCPRIM_400000_NS6detail17trampoline_kernelINS0_14default_configENS1_27scan_by_key_config_selectorIifEEZZNS1_16scan_by_key_implILNS1_25lookback_scan_determinismE0ELb1ES3_N6thrust23THRUST_200600_302600_NS6detail15normal_iteratorINS9_10device_ptrIiEEEENSB_INSC_IjEEEENSB_INSC_IfEEEEfNS9_4plusIvEENS9_8equal_toIvEEfEE10hipError_tPvRmT2_T3_T4_T5_mT6_T7_P12ihipStream_tbENKUlT_T0_E_clISt17integral_constantIbLb1EES12_IbLb0EEEEDaSY_SZ_EUlSY_E_NS1_11comp_targetILNS1_3genE10ELNS1_11target_archE1201ELNS1_3gpuE5ELNS1_3repE0EEENS1_30default_config_static_selectorELNS0_4arch9wavefront6targetE0EEEvT1_
    .private_segment_fixed_size: 0
    .sgpr_count:     0
    .sgpr_spill_count: 0
    .symbol:         _ZN7rocprim17ROCPRIM_400000_NS6detail17trampoline_kernelINS0_14default_configENS1_27scan_by_key_config_selectorIifEEZZNS1_16scan_by_key_implILNS1_25lookback_scan_determinismE0ELb1ES3_N6thrust23THRUST_200600_302600_NS6detail15normal_iteratorINS9_10device_ptrIiEEEENSB_INSC_IjEEEENSB_INSC_IfEEEEfNS9_4plusIvEENS9_8equal_toIvEEfEE10hipError_tPvRmT2_T3_T4_T5_mT6_T7_P12ihipStream_tbENKUlT_T0_E_clISt17integral_constantIbLb1EES12_IbLb0EEEEDaSY_SZ_EUlSY_E_NS1_11comp_targetILNS1_3genE10ELNS1_11target_archE1201ELNS1_3gpuE5ELNS1_3repE0EEENS1_30default_config_static_selectorELNS0_4arch9wavefront6targetE0EEEvT1_.kd
    .uniform_work_group_size: 1
    .uses_dynamic_stack: false
    .vgpr_count:     0
    .vgpr_spill_count: 0
    .wavefront_size: 32
    .workgroup_processor_mode: 1
  - .args:
      - .offset:         0
        .size:           112
        .value_kind:     by_value
    .group_segment_fixed_size: 0
    .kernarg_segment_align: 8
    .kernarg_segment_size: 112
    .language:       OpenCL C
    .language_version:
      - 2
      - 0
    .max_flat_workgroup_size: 256
    .name:           _ZN7rocprim17ROCPRIM_400000_NS6detail17trampoline_kernelINS0_14default_configENS1_27scan_by_key_config_selectorIifEEZZNS1_16scan_by_key_implILNS1_25lookback_scan_determinismE0ELb1ES3_N6thrust23THRUST_200600_302600_NS6detail15normal_iteratorINS9_10device_ptrIiEEEENSB_INSC_IjEEEENSB_INSC_IfEEEEfNS9_4plusIvEENS9_8equal_toIvEEfEE10hipError_tPvRmT2_T3_T4_T5_mT6_T7_P12ihipStream_tbENKUlT_T0_E_clISt17integral_constantIbLb1EES12_IbLb0EEEEDaSY_SZ_EUlSY_E_NS1_11comp_targetILNS1_3genE5ELNS1_11target_archE942ELNS1_3gpuE9ELNS1_3repE0EEENS1_30default_config_static_selectorELNS0_4arch9wavefront6targetE0EEEvT1_
    .private_segment_fixed_size: 0
    .sgpr_count:     0
    .sgpr_spill_count: 0
    .symbol:         _ZN7rocprim17ROCPRIM_400000_NS6detail17trampoline_kernelINS0_14default_configENS1_27scan_by_key_config_selectorIifEEZZNS1_16scan_by_key_implILNS1_25lookback_scan_determinismE0ELb1ES3_N6thrust23THRUST_200600_302600_NS6detail15normal_iteratorINS9_10device_ptrIiEEEENSB_INSC_IjEEEENSB_INSC_IfEEEEfNS9_4plusIvEENS9_8equal_toIvEEfEE10hipError_tPvRmT2_T3_T4_T5_mT6_T7_P12ihipStream_tbENKUlT_T0_E_clISt17integral_constantIbLb1EES12_IbLb0EEEEDaSY_SZ_EUlSY_E_NS1_11comp_targetILNS1_3genE5ELNS1_11target_archE942ELNS1_3gpuE9ELNS1_3repE0EEENS1_30default_config_static_selectorELNS0_4arch9wavefront6targetE0EEEvT1_.kd
    .uniform_work_group_size: 1
    .uses_dynamic_stack: false
    .vgpr_count:     0
    .vgpr_spill_count: 0
    .wavefront_size: 32
    .workgroup_processor_mode: 1
  - .args:
      - .offset:         0
        .size:           112
        .value_kind:     by_value
    .group_segment_fixed_size: 0
    .kernarg_segment_align: 8
    .kernarg_segment_size: 112
    .language:       OpenCL C
    .language_version:
      - 2
      - 0
    .max_flat_workgroup_size: 256
    .name:           _ZN7rocprim17ROCPRIM_400000_NS6detail17trampoline_kernelINS0_14default_configENS1_27scan_by_key_config_selectorIifEEZZNS1_16scan_by_key_implILNS1_25lookback_scan_determinismE0ELb1ES3_N6thrust23THRUST_200600_302600_NS6detail15normal_iteratorINS9_10device_ptrIiEEEENSB_INSC_IjEEEENSB_INSC_IfEEEEfNS9_4plusIvEENS9_8equal_toIvEEfEE10hipError_tPvRmT2_T3_T4_T5_mT6_T7_P12ihipStream_tbENKUlT_T0_E_clISt17integral_constantIbLb1EES12_IbLb0EEEEDaSY_SZ_EUlSY_E_NS1_11comp_targetILNS1_3genE4ELNS1_11target_archE910ELNS1_3gpuE8ELNS1_3repE0EEENS1_30default_config_static_selectorELNS0_4arch9wavefront6targetE0EEEvT1_
    .private_segment_fixed_size: 0
    .sgpr_count:     0
    .sgpr_spill_count: 0
    .symbol:         _ZN7rocprim17ROCPRIM_400000_NS6detail17trampoline_kernelINS0_14default_configENS1_27scan_by_key_config_selectorIifEEZZNS1_16scan_by_key_implILNS1_25lookback_scan_determinismE0ELb1ES3_N6thrust23THRUST_200600_302600_NS6detail15normal_iteratorINS9_10device_ptrIiEEEENSB_INSC_IjEEEENSB_INSC_IfEEEEfNS9_4plusIvEENS9_8equal_toIvEEfEE10hipError_tPvRmT2_T3_T4_T5_mT6_T7_P12ihipStream_tbENKUlT_T0_E_clISt17integral_constantIbLb1EES12_IbLb0EEEEDaSY_SZ_EUlSY_E_NS1_11comp_targetILNS1_3genE4ELNS1_11target_archE910ELNS1_3gpuE8ELNS1_3repE0EEENS1_30default_config_static_selectorELNS0_4arch9wavefront6targetE0EEEvT1_.kd
    .uniform_work_group_size: 1
    .uses_dynamic_stack: false
    .vgpr_count:     0
    .vgpr_spill_count: 0
    .wavefront_size: 32
    .workgroup_processor_mode: 1
  - .args:
      - .offset:         0
        .size:           112
        .value_kind:     by_value
    .group_segment_fixed_size: 0
    .kernarg_segment_align: 8
    .kernarg_segment_size: 112
    .language:       OpenCL C
    .language_version:
      - 2
      - 0
    .max_flat_workgroup_size: 256
    .name:           _ZN7rocprim17ROCPRIM_400000_NS6detail17trampoline_kernelINS0_14default_configENS1_27scan_by_key_config_selectorIifEEZZNS1_16scan_by_key_implILNS1_25lookback_scan_determinismE0ELb1ES3_N6thrust23THRUST_200600_302600_NS6detail15normal_iteratorINS9_10device_ptrIiEEEENSB_INSC_IjEEEENSB_INSC_IfEEEEfNS9_4plusIvEENS9_8equal_toIvEEfEE10hipError_tPvRmT2_T3_T4_T5_mT6_T7_P12ihipStream_tbENKUlT_T0_E_clISt17integral_constantIbLb1EES12_IbLb0EEEEDaSY_SZ_EUlSY_E_NS1_11comp_targetILNS1_3genE3ELNS1_11target_archE908ELNS1_3gpuE7ELNS1_3repE0EEENS1_30default_config_static_selectorELNS0_4arch9wavefront6targetE0EEEvT1_
    .private_segment_fixed_size: 0
    .sgpr_count:     0
    .sgpr_spill_count: 0
    .symbol:         _ZN7rocprim17ROCPRIM_400000_NS6detail17trampoline_kernelINS0_14default_configENS1_27scan_by_key_config_selectorIifEEZZNS1_16scan_by_key_implILNS1_25lookback_scan_determinismE0ELb1ES3_N6thrust23THRUST_200600_302600_NS6detail15normal_iteratorINS9_10device_ptrIiEEEENSB_INSC_IjEEEENSB_INSC_IfEEEEfNS9_4plusIvEENS9_8equal_toIvEEfEE10hipError_tPvRmT2_T3_T4_T5_mT6_T7_P12ihipStream_tbENKUlT_T0_E_clISt17integral_constantIbLb1EES12_IbLb0EEEEDaSY_SZ_EUlSY_E_NS1_11comp_targetILNS1_3genE3ELNS1_11target_archE908ELNS1_3gpuE7ELNS1_3repE0EEENS1_30default_config_static_selectorELNS0_4arch9wavefront6targetE0EEEvT1_.kd
    .uniform_work_group_size: 1
    .uses_dynamic_stack: false
    .vgpr_count:     0
    .vgpr_spill_count: 0
    .wavefront_size: 32
    .workgroup_processor_mode: 1
  - .args:
      - .offset:         0
        .size:           112
        .value_kind:     by_value
    .group_segment_fixed_size: 0
    .kernarg_segment_align: 8
    .kernarg_segment_size: 112
    .language:       OpenCL C
    .language_version:
      - 2
      - 0
    .max_flat_workgroup_size: 256
    .name:           _ZN7rocprim17ROCPRIM_400000_NS6detail17trampoline_kernelINS0_14default_configENS1_27scan_by_key_config_selectorIifEEZZNS1_16scan_by_key_implILNS1_25lookback_scan_determinismE0ELb1ES3_N6thrust23THRUST_200600_302600_NS6detail15normal_iteratorINS9_10device_ptrIiEEEENSB_INSC_IjEEEENSB_INSC_IfEEEEfNS9_4plusIvEENS9_8equal_toIvEEfEE10hipError_tPvRmT2_T3_T4_T5_mT6_T7_P12ihipStream_tbENKUlT_T0_E_clISt17integral_constantIbLb1EES12_IbLb0EEEEDaSY_SZ_EUlSY_E_NS1_11comp_targetILNS1_3genE2ELNS1_11target_archE906ELNS1_3gpuE6ELNS1_3repE0EEENS1_30default_config_static_selectorELNS0_4arch9wavefront6targetE0EEEvT1_
    .private_segment_fixed_size: 0
    .sgpr_count:     0
    .sgpr_spill_count: 0
    .symbol:         _ZN7rocprim17ROCPRIM_400000_NS6detail17trampoline_kernelINS0_14default_configENS1_27scan_by_key_config_selectorIifEEZZNS1_16scan_by_key_implILNS1_25lookback_scan_determinismE0ELb1ES3_N6thrust23THRUST_200600_302600_NS6detail15normal_iteratorINS9_10device_ptrIiEEEENSB_INSC_IjEEEENSB_INSC_IfEEEEfNS9_4plusIvEENS9_8equal_toIvEEfEE10hipError_tPvRmT2_T3_T4_T5_mT6_T7_P12ihipStream_tbENKUlT_T0_E_clISt17integral_constantIbLb1EES12_IbLb0EEEEDaSY_SZ_EUlSY_E_NS1_11comp_targetILNS1_3genE2ELNS1_11target_archE906ELNS1_3gpuE6ELNS1_3repE0EEENS1_30default_config_static_selectorELNS0_4arch9wavefront6targetE0EEEvT1_.kd
    .uniform_work_group_size: 1
    .uses_dynamic_stack: false
    .vgpr_count:     0
    .vgpr_spill_count: 0
    .wavefront_size: 32
    .workgroup_processor_mode: 1
  - .args:
      - .offset:         0
        .size:           112
        .value_kind:     by_value
    .group_segment_fixed_size: 0
    .kernarg_segment_align: 8
    .kernarg_segment_size: 112
    .language:       OpenCL C
    .language_version:
      - 2
      - 0
    .max_flat_workgroup_size: 256
    .name:           _ZN7rocprim17ROCPRIM_400000_NS6detail17trampoline_kernelINS0_14default_configENS1_27scan_by_key_config_selectorIifEEZZNS1_16scan_by_key_implILNS1_25lookback_scan_determinismE0ELb1ES3_N6thrust23THRUST_200600_302600_NS6detail15normal_iteratorINS9_10device_ptrIiEEEENSB_INSC_IjEEEENSB_INSC_IfEEEEfNS9_4plusIvEENS9_8equal_toIvEEfEE10hipError_tPvRmT2_T3_T4_T5_mT6_T7_P12ihipStream_tbENKUlT_T0_E_clISt17integral_constantIbLb1EES12_IbLb0EEEEDaSY_SZ_EUlSY_E_NS1_11comp_targetILNS1_3genE10ELNS1_11target_archE1200ELNS1_3gpuE4ELNS1_3repE0EEENS1_30default_config_static_selectorELNS0_4arch9wavefront6targetE0EEEvT1_
    .private_segment_fixed_size: 0
    .sgpr_count:     0
    .sgpr_spill_count: 0
    .symbol:         _ZN7rocprim17ROCPRIM_400000_NS6detail17trampoline_kernelINS0_14default_configENS1_27scan_by_key_config_selectorIifEEZZNS1_16scan_by_key_implILNS1_25lookback_scan_determinismE0ELb1ES3_N6thrust23THRUST_200600_302600_NS6detail15normal_iteratorINS9_10device_ptrIiEEEENSB_INSC_IjEEEENSB_INSC_IfEEEEfNS9_4plusIvEENS9_8equal_toIvEEfEE10hipError_tPvRmT2_T3_T4_T5_mT6_T7_P12ihipStream_tbENKUlT_T0_E_clISt17integral_constantIbLb1EES12_IbLb0EEEEDaSY_SZ_EUlSY_E_NS1_11comp_targetILNS1_3genE10ELNS1_11target_archE1200ELNS1_3gpuE4ELNS1_3repE0EEENS1_30default_config_static_selectorELNS0_4arch9wavefront6targetE0EEEvT1_.kd
    .uniform_work_group_size: 1
    .uses_dynamic_stack: false
    .vgpr_count:     0
    .vgpr_spill_count: 0
    .wavefront_size: 32
    .workgroup_processor_mode: 1
  - .args:
      - .offset:         0
        .size:           112
        .value_kind:     by_value
    .group_segment_fixed_size: 0
    .kernarg_segment_align: 8
    .kernarg_segment_size: 112
    .language:       OpenCL C
    .language_version:
      - 2
      - 0
    .max_flat_workgroup_size: 256
    .name:           _ZN7rocprim17ROCPRIM_400000_NS6detail17trampoline_kernelINS0_14default_configENS1_27scan_by_key_config_selectorIifEEZZNS1_16scan_by_key_implILNS1_25lookback_scan_determinismE0ELb1ES3_N6thrust23THRUST_200600_302600_NS6detail15normal_iteratorINS9_10device_ptrIiEEEENSB_INSC_IjEEEENSB_INSC_IfEEEEfNS9_4plusIvEENS9_8equal_toIvEEfEE10hipError_tPvRmT2_T3_T4_T5_mT6_T7_P12ihipStream_tbENKUlT_T0_E_clISt17integral_constantIbLb1EES12_IbLb0EEEEDaSY_SZ_EUlSY_E_NS1_11comp_targetILNS1_3genE9ELNS1_11target_archE1100ELNS1_3gpuE3ELNS1_3repE0EEENS1_30default_config_static_selectorELNS0_4arch9wavefront6targetE0EEEvT1_
    .private_segment_fixed_size: 0
    .sgpr_count:     0
    .sgpr_spill_count: 0
    .symbol:         _ZN7rocprim17ROCPRIM_400000_NS6detail17trampoline_kernelINS0_14default_configENS1_27scan_by_key_config_selectorIifEEZZNS1_16scan_by_key_implILNS1_25lookback_scan_determinismE0ELb1ES3_N6thrust23THRUST_200600_302600_NS6detail15normal_iteratorINS9_10device_ptrIiEEEENSB_INSC_IjEEEENSB_INSC_IfEEEEfNS9_4plusIvEENS9_8equal_toIvEEfEE10hipError_tPvRmT2_T3_T4_T5_mT6_T7_P12ihipStream_tbENKUlT_T0_E_clISt17integral_constantIbLb1EES12_IbLb0EEEEDaSY_SZ_EUlSY_E_NS1_11comp_targetILNS1_3genE9ELNS1_11target_archE1100ELNS1_3gpuE3ELNS1_3repE0EEENS1_30default_config_static_selectorELNS0_4arch9wavefront6targetE0EEEvT1_.kd
    .uniform_work_group_size: 1
    .uses_dynamic_stack: false
    .vgpr_count:     0
    .vgpr_spill_count: 0
    .wavefront_size: 32
    .workgroup_processor_mode: 1
  - .args:
      - .offset:         0
        .size:           112
        .value_kind:     by_value
    .group_segment_fixed_size: 0
    .kernarg_segment_align: 8
    .kernarg_segment_size: 112
    .language:       OpenCL C
    .language_version:
      - 2
      - 0
    .max_flat_workgroup_size: 256
    .name:           _ZN7rocprim17ROCPRIM_400000_NS6detail17trampoline_kernelINS0_14default_configENS1_27scan_by_key_config_selectorIifEEZZNS1_16scan_by_key_implILNS1_25lookback_scan_determinismE0ELb1ES3_N6thrust23THRUST_200600_302600_NS6detail15normal_iteratorINS9_10device_ptrIiEEEENSB_INSC_IjEEEENSB_INSC_IfEEEEfNS9_4plusIvEENS9_8equal_toIvEEfEE10hipError_tPvRmT2_T3_T4_T5_mT6_T7_P12ihipStream_tbENKUlT_T0_E_clISt17integral_constantIbLb1EES12_IbLb0EEEEDaSY_SZ_EUlSY_E_NS1_11comp_targetILNS1_3genE8ELNS1_11target_archE1030ELNS1_3gpuE2ELNS1_3repE0EEENS1_30default_config_static_selectorELNS0_4arch9wavefront6targetE0EEEvT1_
    .private_segment_fixed_size: 0
    .sgpr_count:     0
    .sgpr_spill_count: 0
    .symbol:         _ZN7rocprim17ROCPRIM_400000_NS6detail17trampoline_kernelINS0_14default_configENS1_27scan_by_key_config_selectorIifEEZZNS1_16scan_by_key_implILNS1_25lookback_scan_determinismE0ELb1ES3_N6thrust23THRUST_200600_302600_NS6detail15normal_iteratorINS9_10device_ptrIiEEEENSB_INSC_IjEEEENSB_INSC_IfEEEEfNS9_4plusIvEENS9_8equal_toIvEEfEE10hipError_tPvRmT2_T3_T4_T5_mT6_T7_P12ihipStream_tbENKUlT_T0_E_clISt17integral_constantIbLb1EES12_IbLb0EEEEDaSY_SZ_EUlSY_E_NS1_11comp_targetILNS1_3genE8ELNS1_11target_archE1030ELNS1_3gpuE2ELNS1_3repE0EEENS1_30default_config_static_selectorELNS0_4arch9wavefront6targetE0EEEvT1_.kd
    .uniform_work_group_size: 1
    .uses_dynamic_stack: false
    .vgpr_count:     0
    .vgpr_spill_count: 0
    .wavefront_size: 32
    .workgroup_processor_mode: 1
  - .args:
      - .offset:         0
        .size:           112
        .value_kind:     by_value
    .group_segment_fixed_size: 0
    .kernarg_segment_align: 8
    .kernarg_segment_size: 112
    .language:       OpenCL C
    .language_version:
      - 2
      - 0
    .max_flat_workgroup_size: 256
    .name:           _ZN7rocprim17ROCPRIM_400000_NS6detail17trampoline_kernelINS0_14default_configENS1_27scan_by_key_config_selectorIifEEZZNS1_16scan_by_key_implILNS1_25lookback_scan_determinismE0ELb1ES3_N6thrust23THRUST_200600_302600_NS6detail15normal_iteratorINS9_10device_ptrIiEEEENSB_INSC_IjEEEENSB_INSC_IfEEEEfNS9_4plusIvEENS9_8equal_toIvEEfEE10hipError_tPvRmT2_T3_T4_T5_mT6_T7_P12ihipStream_tbENKUlT_T0_E_clISt17integral_constantIbLb0EES12_IbLb1EEEEDaSY_SZ_EUlSY_E_NS1_11comp_targetILNS1_3genE0ELNS1_11target_archE4294967295ELNS1_3gpuE0ELNS1_3repE0EEENS1_30default_config_static_selectorELNS0_4arch9wavefront6targetE0EEEvT1_
    .private_segment_fixed_size: 0
    .sgpr_count:     0
    .sgpr_spill_count: 0
    .symbol:         _ZN7rocprim17ROCPRIM_400000_NS6detail17trampoline_kernelINS0_14default_configENS1_27scan_by_key_config_selectorIifEEZZNS1_16scan_by_key_implILNS1_25lookback_scan_determinismE0ELb1ES3_N6thrust23THRUST_200600_302600_NS6detail15normal_iteratorINS9_10device_ptrIiEEEENSB_INSC_IjEEEENSB_INSC_IfEEEEfNS9_4plusIvEENS9_8equal_toIvEEfEE10hipError_tPvRmT2_T3_T4_T5_mT6_T7_P12ihipStream_tbENKUlT_T0_E_clISt17integral_constantIbLb0EES12_IbLb1EEEEDaSY_SZ_EUlSY_E_NS1_11comp_targetILNS1_3genE0ELNS1_11target_archE4294967295ELNS1_3gpuE0ELNS1_3repE0EEENS1_30default_config_static_selectorELNS0_4arch9wavefront6targetE0EEEvT1_.kd
    .uniform_work_group_size: 1
    .uses_dynamic_stack: false
    .vgpr_count:     0
    .vgpr_spill_count: 0
    .wavefront_size: 32
    .workgroup_processor_mode: 1
  - .args:
      - .offset:         0
        .size:           112
        .value_kind:     by_value
    .group_segment_fixed_size: 0
    .kernarg_segment_align: 8
    .kernarg_segment_size: 112
    .language:       OpenCL C
    .language_version:
      - 2
      - 0
    .max_flat_workgroup_size: 256
    .name:           _ZN7rocprim17ROCPRIM_400000_NS6detail17trampoline_kernelINS0_14default_configENS1_27scan_by_key_config_selectorIifEEZZNS1_16scan_by_key_implILNS1_25lookback_scan_determinismE0ELb1ES3_N6thrust23THRUST_200600_302600_NS6detail15normal_iteratorINS9_10device_ptrIiEEEENSB_INSC_IjEEEENSB_INSC_IfEEEEfNS9_4plusIvEENS9_8equal_toIvEEfEE10hipError_tPvRmT2_T3_T4_T5_mT6_T7_P12ihipStream_tbENKUlT_T0_E_clISt17integral_constantIbLb0EES12_IbLb1EEEEDaSY_SZ_EUlSY_E_NS1_11comp_targetILNS1_3genE10ELNS1_11target_archE1201ELNS1_3gpuE5ELNS1_3repE0EEENS1_30default_config_static_selectorELNS0_4arch9wavefront6targetE0EEEvT1_
    .private_segment_fixed_size: 0
    .sgpr_count:     0
    .sgpr_spill_count: 0
    .symbol:         _ZN7rocprim17ROCPRIM_400000_NS6detail17trampoline_kernelINS0_14default_configENS1_27scan_by_key_config_selectorIifEEZZNS1_16scan_by_key_implILNS1_25lookback_scan_determinismE0ELb1ES3_N6thrust23THRUST_200600_302600_NS6detail15normal_iteratorINS9_10device_ptrIiEEEENSB_INSC_IjEEEENSB_INSC_IfEEEEfNS9_4plusIvEENS9_8equal_toIvEEfEE10hipError_tPvRmT2_T3_T4_T5_mT6_T7_P12ihipStream_tbENKUlT_T0_E_clISt17integral_constantIbLb0EES12_IbLb1EEEEDaSY_SZ_EUlSY_E_NS1_11comp_targetILNS1_3genE10ELNS1_11target_archE1201ELNS1_3gpuE5ELNS1_3repE0EEENS1_30default_config_static_selectorELNS0_4arch9wavefront6targetE0EEEvT1_.kd
    .uniform_work_group_size: 1
    .uses_dynamic_stack: false
    .vgpr_count:     0
    .vgpr_spill_count: 0
    .wavefront_size: 32
    .workgroup_processor_mode: 1
  - .args:
      - .offset:         0
        .size:           112
        .value_kind:     by_value
    .group_segment_fixed_size: 0
    .kernarg_segment_align: 8
    .kernarg_segment_size: 112
    .language:       OpenCL C
    .language_version:
      - 2
      - 0
    .max_flat_workgroup_size: 256
    .name:           _ZN7rocprim17ROCPRIM_400000_NS6detail17trampoline_kernelINS0_14default_configENS1_27scan_by_key_config_selectorIifEEZZNS1_16scan_by_key_implILNS1_25lookback_scan_determinismE0ELb1ES3_N6thrust23THRUST_200600_302600_NS6detail15normal_iteratorINS9_10device_ptrIiEEEENSB_INSC_IjEEEENSB_INSC_IfEEEEfNS9_4plusIvEENS9_8equal_toIvEEfEE10hipError_tPvRmT2_T3_T4_T5_mT6_T7_P12ihipStream_tbENKUlT_T0_E_clISt17integral_constantIbLb0EES12_IbLb1EEEEDaSY_SZ_EUlSY_E_NS1_11comp_targetILNS1_3genE5ELNS1_11target_archE942ELNS1_3gpuE9ELNS1_3repE0EEENS1_30default_config_static_selectorELNS0_4arch9wavefront6targetE0EEEvT1_
    .private_segment_fixed_size: 0
    .sgpr_count:     0
    .sgpr_spill_count: 0
    .symbol:         _ZN7rocprim17ROCPRIM_400000_NS6detail17trampoline_kernelINS0_14default_configENS1_27scan_by_key_config_selectorIifEEZZNS1_16scan_by_key_implILNS1_25lookback_scan_determinismE0ELb1ES3_N6thrust23THRUST_200600_302600_NS6detail15normal_iteratorINS9_10device_ptrIiEEEENSB_INSC_IjEEEENSB_INSC_IfEEEEfNS9_4plusIvEENS9_8equal_toIvEEfEE10hipError_tPvRmT2_T3_T4_T5_mT6_T7_P12ihipStream_tbENKUlT_T0_E_clISt17integral_constantIbLb0EES12_IbLb1EEEEDaSY_SZ_EUlSY_E_NS1_11comp_targetILNS1_3genE5ELNS1_11target_archE942ELNS1_3gpuE9ELNS1_3repE0EEENS1_30default_config_static_selectorELNS0_4arch9wavefront6targetE0EEEvT1_.kd
    .uniform_work_group_size: 1
    .uses_dynamic_stack: false
    .vgpr_count:     0
    .vgpr_spill_count: 0
    .wavefront_size: 32
    .workgroup_processor_mode: 1
  - .args:
      - .offset:         0
        .size:           112
        .value_kind:     by_value
    .group_segment_fixed_size: 0
    .kernarg_segment_align: 8
    .kernarg_segment_size: 112
    .language:       OpenCL C
    .language_version:
      - 2
      - 0
    .max_flat_workgroup_size: 256
    .name:           _ZN7rocprim17ROCPRIM_400000_NS6detail17trampoline_kernelINS0_14default_configENS1_27scan_by_key_config_selectorIifEEZZNS1_16scan_by_key_implILNS1_25lookback_scan_determinismE0ELb1ES3_N6thrust23THRUST_200600_302600_NS6detail15normal_iteratorINS9_10device_ptrIiEEEENSB_INSC_IjEEEENSB_INSC_IfEEEEfNS9_4plusIvEENS9_8equal_toIvEEfEE10hipError_tPvRmT2_T3_T4_T5_mT6_T7_P12ihipStream_tbENKUlT_T0_E_clISt17integral_constantIbLb0EES12_IbLb1EEEEDaSY_SZ_EUlSY_E_NS1_11comp_targetILNS1_3genE4ELNS1_11target_archE910ELNS1_3gpuE8ELNS1_3repE0EEENS1_30default_config_static_selectorELNS0_4arch9wavefront6targetE0EEEvT1_
    .private_segment_fixed_size: 0
    .sgpr_count:     0
    .sgpr_spill_count: 0
    .symbol:         _ZN7rocprim17ROCPRIM_400000_NS6detail17trampoline_kernelINS0_14default_configENS1_27scan_by_key_config_selectorIifEEZZNS1_16scan_by_key_implILNS1_25lookback_scan_determinismE0ELb1ES3_N6thrust23THRUST_200600_302600_NS6detail15normal_iteratorINS9_10device_ptrIiEEEENSB_INSC_IjEEEENSB_INSC_IfEEEEfNS9_4plusIvEENS9_8equal_toIvEEfEE10hipError_tPvRmT2_T3_T4_T5_mT6_T7_P12ihipStream_tbENKUlT_T0_E_clISt17integral_constantIbLb0EES12_IbLb1EEEEDaSY_SZ_EUlSY_E_NS1_11comp_targetILNS1_3genE4ELNS1_11target_archE910ELNS1_3gpuE8ELNS1_3repE0EEENS1_30default_config_static_selectorELNS0_4arch9wavefront6targetE0EEEvT1_.kd
    .uniform_work_group_size: 1
    .uses_dynamic_stack: false
    .vgpr_count:     0
    .vgpr_spill_count: 0
    .wavefront_size: 32
    .workgroup_processor_mode: 1
  - .args:
      - .offset:         0
        .size:           112
        .value_kind:     by_value
    .group_segment_fixed_size: 0
    .kernarg_segment_align: 8
    .kernarg_segment_size: 112
    .language:       OpenCL C
    .language_version:
      - 2
      - 0
    .max_flat_workgroup_size: 256
    .name:           _ZN7rocprim17ROCPRIM_400000_NS6detail17trampoline_kernelINS0_14default_configENS1_27scan_by_key_config_selectorIifEEZZNS1_16scan_by_key_implILNS1_25lookback_scan_determinismE0ELb1ES3_N6thrust23THRUST_200600_302600_NS6detail15normal_iteratorINS9_10device_ptrIiEEEENSB_INSC_IjEEEENSB_INSC_IfEEEEfNS9_4plusIvEENS9_8equal_toIvEEfEE10hipError_tPvRmT2_T3_T4_T5_mT6_T7_P12ihipStream_tbENKUlT_T0_E_clISt17integral_constantIbLb0EES12_IbLb1EEEEDaSY_SZ_EUlSY_E_NS1_11comp_targetILNS1_3genE3ELNS1_11target_archE908ELNS1_3gpuE7ELNS1_3repE0EEENS1_30default_config_static_selectorELNS0_4arch9wavefront6targetE0EEEvT1_
    .private_segment_fixed_size: 0
    .sgpr_count:     0
    .sgpr_spill_count: 0
    .symbol:         _ZN7rocprim17ROCPRIM_400000_NS6detail17trampoline_kernelINS0_14default_configENS1_27scan_by_key_config_selectorIifEEZZNS1_16scan_by_key_implILNS1_25lookback_scan_determinismE0ELb1ES3_N6thrust23THRUST_200600_302600_NS6detail15normal_iteratorINS9_10device_ptrIiEEEENSB_INSC_IjEEEENSB_INSC_IfEEEEfNS9_4plusIvEENS9_8equal_toIvEEfEE10hipError_tPvRmT2_T3_T4_T5_mT6_T7_P12ihipStream_tbENKUlT_T0_E_clISt17integral_constantIbLb0EES12_IbLb1EEEEDaSY_SZ_EUlSY_E_NS1_11comp_targetILNS1_3genE3ELNS1_11target_archE908ELNS1_3gpuE7ELNS1_3repE0EEENS1_30default_config_static_selectorELNS0_4arch9wavefront6targetE0EEEvT1_.kd
    .uniform_work_group_size: 1
    .uses_dynamic_stack: false
    .vgpr_count:     0
    .vgpr_spill_count: 0
    .wavefront_size: 32
    .workgroup_processor_mode: 1
  - .args:
      - .offset:         0
        .size:           112
        .value_kind:     by_value
    .group_segment_fixed_size: 0
    .kernarg_segment_align: 8
    .kernarg_segment_size: 112
    .language:       OpenCL C
    .language_version:
      - 2
      - 0
    .max_flat_workgroup_size: 256
    .name:           _ZN7rocprim17ROCPRIM_400000_NS6detail17trampoline_kernelINS0_14default_configENS1_27scan_by_key_config_selectorIifEEZZNS1_16scan_by_key_implILNS1_25lookback_scan_determinismE0ELb1ES3_N6thrust23THRUST_200600_302600_NS6detail15normal_iteratorINS9_10device_ptrIiEEEENSB_INSC_IjEEEENSB_INSC_IfEEEEfNS9_4plusIvEENS9_8equal_toIvEEfEE10hipError_tPvRmT2_T3_T4_T5_mT6_T7_P12ihipStream_tbENKUlT_T0_E_clISt17integral_constantIbLb0EES12_IbLb1EEEEDaSY_SZ_EUlSY_E_NS1_11comp_targetILNS1_3genE2ELNS1_11target_archE906ELNS1_3gpuE6ELNS1_3repE0EEENS1_30default_config_static_selectorELNS0_4arch9wavefront6targetE0EEEvT1_
    .private_segment_fixed_size: 0
    .sgpr_count:     0
    .sgpr_spill_count: 0
    .symbol:         _ZN7rocprim17ROCPRIM_400000_NS6detail17trampoline_kernelINS0_14default_configENS1_27scan_by_key_config_selectorIifEEZZNS1_16scan_by_key_implILNS1_25lookback_scan_determinismE0ELb1ES3_N6thrust23THRUST_200600_302600_NS6detail15normal_iteratorINS9_10device_ptrIiEEEENSB_INSC_IjEEEENSB_INSC_IfEEEEfNS9_4plusIvEENS9_8equal_toIvEEfEE10hipError_tPvRmT2_T3_T4_T5_mT6_T7_P12ihipStream_tbENKUlT_T0_E_clISt17integral_constantIbLb0EES12_IbLb1EEEEDaSY_SZ_EUlSY_E_NS1_11comp_targetILNS1_3genE2ELNS1_11target_archE906ELNS1_3gpuE6ELNS1_3repE0EEENS1_30default_config_static_selectorELNS0_4arch9wavefront6targetE0EEEvT1_.kd
    .uniform_work_group_size: 1
    .uses_dynamic_stack: false
    .vgpr_count:     0
    .vgpr_spill_count: 0
    .wavefront_size: 32
    .workgroup_processor_mode: 1
  - .args:
      - .offset:         0
        .size:           112
        .value_kind:     by_value
    .group_segment_fixed_size: 0
    .kernarg_segment_align: 8
    .kernarg_segment_size: 112
    .language:       OpenCL C
    .language_version:
      - 2
      - 0
    .max_flat_workgroup_size: 256
    .name:           _ZN7rocprim17ROCPRIM_400000_NS6detail17trampoline_kernelINS0_14default_configENS1_27scan_by_key_config_selectorIifEEZZNS1_16scan_by_key_implILNS1_25lookback_scan_determinismE0ELb1ES3_N6thrust23THRUST_200600_302600_NS6detail15normal_iteratorINS9_10device_ptrIiEEEENSB_INSC_IjEEEENSB_INSC_IfEEEEfNS9_4plusIvEENS9_8equal_toIvEEfEE10hipError_tPvRmT2_T3_T4_T5_mT6_T7_P12ihipStream_tbENKUlT_T0_E_clISt17integral_constantIbLb0EES12_IbLb1EEEEDaSY_SZ_EUlSY_E_NS1_11comp_targetILNS1_3genE10ELNS1_11target_archE1200ELNS1_3gpuE4ELNS1_3repE0EEENS1_30default_config_static_selectorELNS0_4arch9wavefront6targetE0EEEvT1_
    .private_segment_fixed_size: 0
    .sgpr_count:     0
    .sgpr_spill_count: 0
    .symbol:         _ZN7rocprim17ROCPRIM_400000_NS6detail17trampoline_kernelINS0_14default_configENS1_27scan_by_key_config_selectorIifEEZZNS1_16scan_by_key_implILNS1_25lookback_scan_determinismE0ELb1ES3_N6thrust23THRUST_200600_302600_NS6detail15normal_iteratorINS9_10device_ptrIiEEEENSB_INSC_IjEEEENSB_INSC_IfEEEEfNS9_4plusIvEENS9_8equal_toIvEEfEE10hipError_tPvRmT2_T3_T4_T5_mT6_T7_P12ihipStream_tbENKUlT_T0_E_clISt17integral_constantIbLb0EES12_IbLb1EEEEDaSY_SZ_EUlSY_E_NS1_11comp_targetILNS1_3genE10ELNS1_11target_archE1200ELNS1_3gpuE4ELNS1_3repE0EEENS1_30default_config_static_selectorELNS0_4arch9wavefront6targetE0EEEvT1_.kd
    .uniform_work_group_size: 1
    .uses_dynamic_stack: false
    .vgpr_count:     0
    .vgpr_spill_count: 0
    .wavefront_size: 32
    .workgroup_processor_mode: 1
  - .args:
      - .offset:         0
        .size:           112
        .value_kind:     by_value
    .group_segment_fixed_size: 0
    .kernarg_segment_align: 8
    .kernarg_segment_size: 112
    .language:       OpenCL C
    .language_version:
      - 2
      - 0
    .max_flat_workgroup_size: 256
    .name:           _ZN7rocprim17ROCPRIM_400000_NS6detail17trampoline_kernelINS0_14default_configENS1_27scan_by_key_config_selectorIifEEZZNS1_16scan_by_key_implILNS1_25lookback_scan_determinismE0ELb1ES3_N6thrust23THRUST_200600_302600_NS6detail15normal_iteratorINS9_10device_ptrIiEEEENSB_INSC_IjEEEENSB_INSC_IfEEEEfNS9_4plusIvEENS9_8equal_toIvEEfEE10hipError_tPvRmT2_T3_T4_T5_mT6_T7_P12ihipStream_tbENKUlT_T0_E_clISt17integral_constantIbLb0EES12_IbLb1EEEEDaSY_SZ_EUlSY_E_NS1_11comp_targetILNS1_3genE9ELNS1_11target_archE1100ELNS1_3gpuE3ELNS1_3repE0EEENS1_30default_config_static_selectorELNS0_4arch9wavefront6targetE0EEEvT1_
    .private_segment_fixed_size: 0
    .sgpr_count:     0
    .sgpr_spill_count: 0
    .symbol:         _ZN7rocprim17ROCPRIM_400000_NS6detail17trampoline_kernelINS0_14default_configENS1_27scan_by_key_config_selectorIifEEZZNS1_16scan_by_key_implILNS1_25lookback_scan_determinismE0ELb1ES3_N6thrust23THRUST_200600_302600_NS6detail15normal_iteratorINS9_10device_ptrIiEEEENSB_INSC_IjEEEENSB_INSC_IfEEEEfNS9_4plusIvEENS9_8equal_toIvEEfEE10hipError_tPvRmT2_T3_T4_T5_mT6_T7_P12ihipStream_tbENKUlT_T0_E_clISt17integral_constantIbLb0EES12_IbLb1EEEEDaSY_SZ_EUlSY_E_NS1_11comp_targetILNS1_3genE9ELNS1_11target_archE1100ELNS1_3gpuE3ELNS1_3repE0EEENS1_30default_config_static_selectorELNS0_4arch9wavefront6targetE0EEEvT1_.kd
    .uniform_work_group_size: 1
    .uses_dynamic_stack: false
    .vgpr_count:     0
    .vgpr_spill_count: 0
    .wavefront_size: 32
    .workgroup_processor_mode: 1
  - .args:
      - .offset:         0
        .size:           112
        .value_kind:     by_value
    .group_segment_fixed_size: 5120
    .kernarg_segment_align: 8
    .kernarg_segment_size: 112
    .language:       OpenCL C
    .language_version:
      - 2
      - 0
    .max_flat_workgroup_size: 256
    .name:           _ZN7rocprim17ROCPRIM_400000_NS6detail17trampoline_kernelINS0_14default_configENS1_27scan_by_key_config_selectorIifEEZZNS1_16scan_by_key_implILNS1_25lookback_scan_determinismE0ELb1ES3_N6thrust23THRUST_200600_302600_NS6detail15normal_iteratorINS9_10device_ptrIiEEEENSB_INSC_IjEEEENSB_INSC_IfEEEEfNS9_4plusIvEENS9_8equal_toIvEEfEE10hipError_tPvRmT2_T3_T4_T5_mT6_T7_P12ihipStream_tbENKUlT_T0_E_clISt17integral_constantIbLb0EES12_IbLb1EEEEDaSY_SZ_EUlSY_E_NS1_11comp_targetILNS1_3genE8ELNS1_11target_archE1030ELNS1_3gpuE2ELNS1_3repE0EEENS1_30default_config_static_selectorELNS0_4arch9wavefront6targetE0EEEvT1_
    .private_segment_fixed_size: 0
    .sgpr_count:     26
    .sgpr_spill_count: 0
    .symbol:         _ZN7rocprim17ROCPRIM_400000_NS6detail17trampoline_kernelINS0_14default_configENS1_27scan_by_key_config_selectorIifEEZZNS1_16scan_by_key_implILNS1_25lookback_scan_determinismE0ELb1ES3_N6thrust23THRUST_200600_302600_NS6detail15normal_iteratorINS9_10device_ptrIiEEEENSB_INSC_IjEEEENSB_INSC_IfEEEEfNS9_4plusIvEENS9_8equal_toIvEEfEE10hipError_tPvRmT2_T3_T4_T5_mT6_T7_P12ihipStream_tbENKUlT_T0_E_clISt17integral_constantIbLb0EES12_IbLb1EEEEDaSY_SZ_EUlSY_E_NS1_11comp_targetILNS1_3genE8ELNS1_11target_archE1030ELNS1_3gpuE2ELNS1_3repE0EEENS1_30default_config_static_selectorELNS0_4arch9wavefront6targetE0EEEvT1_.kd
    .uniform_work_group_size: 1
    .uses_dynamic_stack: false
    .vgpr_count:     42
    .vgpr_spill_count: 0
    .wavefront_size: 32
    .workgroup_processor_mode: 1
  - .args:
      - .offset:         0
        .size:           112
        .value_kind:     by_value
    .group_segment_fixed_size: 0
    .kernarg_segment_align: 8
    .kernarg_segment_size: 112
    .language:       OpenCL C
    .language_version:
      - 2
      - 0
    .max_flat_workgroup_size: 256
    .name:           _ZN7rocprim17ROCPRIM_400000_NS6detail17trampoline_kernelINS0_14default_configENS1_27scan_by_key_config_selectorIiiEEZZNS1_16scan_by_key_implILNS1_25lookback_scan_determinismE0ELb1ES3_N6thrust23THRUST_200600_302600_NS6detail15normal_iteratorINS9_10device_ptrIiEEEENSB_INSC_IjEEEENSB_INSC_IfEEEEiNS9_4plusIvEENS9_8equal_toIvEEiEE10hipError_tPvRmT2_T3_T4_T5_mT6_T7_P12ihipStream_tbENKUlT_T0_E_clISt17integral_constantIbLb0EES13_EEDaSY_SZ_EUlSY_E_NS1_11comp_targetILNS1_3genE0ELNS1_11target_archE4294967295ELNS1_3gpuE0ELNS1_3repE0EEENS1_30default_config_static_selectorELNS0_4arch9wavefront6targetE0EEEvT1_
    .private_segment_fixed_size: 0
    .sgpr_count:     0
    .sgpr_spill_count: 0
    .symbol:         _ZN7rocprim17ROCPRIM_400000_NS6detail17trampoline_kernelINS0_14default_configENS1_27scan_by_key_config_selectorIiiEEZZNS1_16scan_by_key_implILNS1_25lookback_scan_determinismE0ELb1ES3_N6thrust23THRUST_200600_302600_NS6detail15normal_iteratorINS9_10device_ptrIiEEEENSB_INSC_IjEEEENSB_INSC_IfEEEEiNS9_4plusIvEENS9_8equal_toIvEEiEE10hipError_tPvRmT2_T3_T4_T5_mT6_T7_P12ihipStream_tbENKUlT_T0_E_clISt17integral_constantIbLb0EES13_EEDaSY_SZ_EUlSY_E_NS1_11comp_targetILNS1_3genE0ELNS1_11target_archE4294967295ELNS1_3gpuE0ELNS1_3repE0EEENS1_30default_config_static_selectorELNS0_4arch9wavefront6targetE0EEEvT1_.kd
    .uniform_work_group_size: 1
    .uses_dynamic_stack: false
    .vgpr_count:     0
    .vgpr_spill_count: 0
    .wavefront_size: 32
    .workgroup_processor_mode: 1
  - .args:
      - .offset:         0
        .size:           112
        .value_kind:     by_value
    .group_segment_fixed_size: 0
    .kernarg_segment_align: 8
    .kernarg_segment_size: 112
    .language:       OpenCL C
    .language_version:
      - 2
      - 0
    .max_flat_workgroup_size: 256
    .name:           _ZN7rocprim17ROCPRIM_400000_NS6detail17trampoline_kernelINS0_14default_configENS1_27scan_by_key_config_selectorIiiEEZZNS1_16scan_by_key_implILNS1_25lookback_scan_determinismE0ELb1ES3_N6thrust23THRUST_200600_302600_NS6detail15normal_iteratorINS9_10device_ptrIiEEEENSB_INSC_IjEEEENSB_INSC_IfEEEEiNS9_4plusIvEENS9_8equal_toIvEEiEE10hipError_tPvRmT2_T3_T4_T5_mT6_T7_P12ihipStream_tbENKUlT_T0_E_clISt17integral_constantIbLb0EES13_EEDaSY_SZ_EUlSY_E_NS1_11comp_targetILNS1_3genE10ELNS1_11target_archE1201ELNS1_3gpuE5ELNS1_3repE0EEENS1_30default_config_static_selectorELNS0_4arch9wavefront6targetE0EEEvT1_
    .private_segment_fixed_size: 0
    .sgpr_count:     0
    .sgpr_spill_count: 0
    .symbol:         _ZN7rocprim17ROCPRIM_400000_NS6detail17trampoline_kernelINS0_14default_configENS1_27scan_by_key_config_selectorIiiEEZZNS1_16scan_by_key_implILNS1_25lookback_scan_determinismE0ELb1ES3_N6thrust23THRUST_200600_302600_NS6detail15normal_iteratorINS9_10device_ptrIiEEEENSB_INSC_IjEEEENSB_INSC_IfEEEEiNS9_4plusIvEENS9_8equal_toIvEEiEE10hipError_tPvRmT2_T3_T4_T5_mT6_T7_P12ihipStream_tbENKUlT_T0_E_clISt17integral_constantIbLb0EES13_EEDaSY_SZ_EUlSY_E_NS1_11comp_targetILNS1_3genE10ELNS1_11target_archE1201ELNS1_3gpuE5ELNS1_3repE0EEENS1_30default_config_static_selectorELNS0_4arch9wavefront6targetE0EEEvT1_.kd
    .uniform_work_group_size: 1
    .uses_dynamic_stack: false
    .vgpr_count:     0
    .vgpr_spill_count: 0
    .wavefront_size: 32
    .workgroup_processor_mode: 1
  - .args:
      - .offset:         0
        .size:           112
        .value_kind:     by_value
    .group_segment_fixed_size: 0
    .kernarg_segment_align: 8
    .kernarg_segment_size: 112
    .language:       OpenCL C
    .language_version:
      - 2
      - 0
    .max_flat_workgroup_size: 256
    .name:           _ZN7rocprim17ROCPRIM_400000_NS6detail17trampoline_kernelINS0_14default_configENS1_27scan_by_key_config_selectorIiiEEZZNS1_16scan_by_key_implILNS1_25lookback_scan_determinismE0ELb1ES3_N6thrust23THRUST_200600_302600_NS6detail15normal_iteratorINS9_10device_ptrIiEEEENSB_INSC_IjEEEENSB_INSC_IfEEEEiNS9_4plusIvEENS9_8equal_toIvEEiEE10hipError_tPvRmT2_T3_T4_T5_mT6_T7_P12ihipStream_tbENKUlT_T0_E_clISt17integral_constantIbLb0EES13_EEDaSY_SZ_EUlSY_E_NS1_11comp_targetILNS1_3genE5ELNS1_11target_archE942ELNS1_3gpuE9ELNS1_3repE0EEENS1_30default_config_static_selectorELNS0_4arch9wavefront6targetE0EEEvT1_
    .private_segment_fixed_size: 0
    .sgpr_count:     0
    .sgpr_spill_count: 0
    .symbol:         _ZN7rocprim17ROCPRIM_400000_NS6detail17trampoline_kernelINS0_14default_configENS1_27scan_by_key_config_selectorIiiEEZZNS1_16scan_by_key_implILNS1_25lookback_scan_determinismE0ELb1ES3_N6thrust23THRUST_200600_302600_NS6detail15normal_iteratorINS9_10device_ptrIiEEEENSB_INSC_IjEEEENSB_INSC_IfEEEEiNS9_4plusIvEENS9_8equal_toIvEEiEE10hipError_tPvRmT2_T3_T4_T5_mT6_T7_P12ihipStream_tbENKUlT_T0_E_clISt17integral_constantIbLb0EES13_EEDaSY_SZ_EUlSY_E_NS1_11comp_targetILNS1_3genE5ELNS1_11target_archE942ELNS1_3gpuE9ELNS1_3repE0EEENS1_30default_config_static_selectorELNS0_4arch9wavefront6targetE0EEEvT1_.kd
    .uniform_work_group_size: 1
    .uses_dynamic_stack: false
    .vgpr_count:     0
    .vgpr_spill_count: 0
    .wavefront_size: 32
    .workgroup_processor_mode: 1
  - .args:
      - .offset:         0
        .size:           112
        .value_kind:     by_value
    .group_segment_fixed_size: 0
    .kernarg_segment_align: 8
    .kernarg_segment_size: 112
    .language:       OpenCL C
    .language_version:
      - 2
      - 0
    .max_flat_workgroup_size: 256
    .name:           _ZN7rocprim17ROCPRIM_400000_NS6detail17trampoline_kernelINS0_14default_configENS1_27scan_by_key_config_selectorIiiEEZZNS1_16scan_by_key_implILNS1_25lookback_scan_determinismE0ELb1ES3_N6thrust23THRUST_200600_302600_NS6detail15normal_iteratorINS9_10device_ptrIiEEEENSB_INSC_IjEEEENSB_INSC_IfEEEEiNS9_4plusIvEENS9_8equal_toIvEEiEE10hipError_tPvRmT2_T3_T4_T5_mT6_T7_P12ihipStream_tbENKUlT_T0_E_clISt17integral_constantIbLb0EES13_EEDaSY_SZ_EUlSY_E_NS1_11comp_targetILNS1_3genE4ELNS1_11target_archE910ELNS1_3gpuE8ELNS1_3repE0EEENS1_30default_config_static_selectorELNS0_4arch9wavefront6targetE0EEEvT1_
    .private_segment_fixed_size: 0
    .sgpr_count:     0
    .sgpr_spill_count: 0
    .symbol:         _ZN7rocprim17ROCPRIM_400000_NS6detail17trampoline_kernelINS0_14default_configENS1_27scan_by_key_config_selectorIiiEEZZNS1_16scan_by_key_implILNS1_25lookback_scan_determinismE0ELb1ES3_N6thrust23THRUST_200600_302600_NS6detail15normal_iteratorINS9_10device_ptrIiEEEENSB_INSC_IjEEEENSB_INSC_IfEEEEiNS9_4plusIvEENS9_8equal_toIvEEiEE10hipError_tPvRmT2_T3_T4_T5_mT6_T7_P12ihipStream_tbENKUlT_T0_E_clISt17integral_constantIbLb0EES13_EEDaSY_SZ_EUlSY_E_NS1_11comp_targetILNS1_3genE4ELNS1_11target_archE910ELNS1_3gpuE8ELNS1_3repE0EEENS1_30default_config_static_selectorELNS0_4arch9wavefront6targetE0EEEvT1_.kd
    .uniform_work_group_size: 1
    .uses_dynamic_stack: false
    .vgpr_count:     0
    .vgpr_spill_count: 0
    .wavefront_size: 32
    .workgroup_processor_mode: 1
  - .args:
      - .offset:         0
        .size:           112
        .value_kind:     by_value
    .group_segment_fixed_size: 0
    .kernarg_segment_align: 8
    .kernarg_segment_size: 112
    .language:       OpenCL C
    .language_version:
      - 2
      - 0
    .max_flat_workgroup_size: 256
    .name:           _ZN7rocprim17ROCPRIM_400000_NS6detail17trampoline_kernelINS0_14default_configENS1_27scan_by_key_config_selectorIiiEEZZNS1_16scan_by_key_implILNS1_25lookback_scan_determinismE0ELb1ES3_N6thrust23THRUST_200600_302600_NS6detail15normal_iteratorINS9_10device_ptrIiEEEENSB_INSC_IjEEEENSB_INSC_IfEEEEiNS9_4plusIvEENS9_8equal_toIvEEiEE10hipError_tPvRmT2_T3_T4_T5_mT6_T7_P12ihipStream_tbENKUlT_T0_E_clISt17integral_constantIbLb0EES13_EEDaSY_SZ_EUlSY_E_NS1_11comp_targetILNS1_3genE3ELNS1_11target_archE908ELNS1_3gpuE7ELNS1_3repE0EEENS1_30default_config_static_selectorELNS0_4arch9wavefront6targetE0EEEvT1_
    .private_segment_fixed_size: 0
    .sgpr_count:     0
    .sgpr_spill_count: 0
    .symbol:         _ZN7rocprim17ROCPRIM_400000_NS6detail17trampoline_kernelINS0_14default_configENS1_27scan_by_key_config_selectorIiiEEZZNS1_16scan_by_key_implILNS1_25lookback_scan_determinismE0ELb1ES3_N6thrust23THRUST_200600_302600_NS6detail15normal_iteratorINS9_10device_ptrIiEEEENSB_INSC_IjEEEENSB_INSC_IfEEEEiNS9_4plusIvEENS9_8equal_toIvEEiEE10hipError_tPvRmT2_T3_T4_T5_mT6_T7_P12ihipStream_tbENKUlT_T0_E_clISt17integral_constantIbLb0EES13_EEDaSY_SZ_EUlSY_E_NS1_11comp_targetILNS1_3genE3ELNS1_11target_archE908ELNS1_3gpuE7ELNS1_3repE0EEENS1_30default_config_static_selectorELNS0_4arch9wavefront6targetE0EEEvT1_.kd
    .uniform_work_group_size: 1
    .uses_dynamic_stack: false
    .vgpr_count:     0
    .vgpr_spill_count: 0
    .wavefront_size: 32
    .workgroup_processor_mode: 1
  - .args:
      - .offset:         0
        .size:           112
        .value_kind:     by_value
    .group_segment_fixed_size: 0
    .kernarg_segment_align: 8
    .kernarg_segment_size: 112
    .language:       OpenCL C
    .language_version:
      - 2
      - 0
    .max_flat_workgroup_size: 256
    .name:           _ZN7rocprim17ROCPRIM_400000_NS6detail17trampoline_kernelINS0_14default_configENS1_27scan_by_key_config_selectorIiiEEZZNS1_16scan_by_key_implILNS1_25lookback_scan_determinismE0ELb1ES3_N6thrust23THRUST_200600_302600_NS6detail15normal_iteratorINS9_10device_ptrIiEEEENSB_INSC_IjEEEENSB_INSC_IfEEEEiNS9_4plusIvEENS9_8equal_toIvEEiEE10hipError_tPvRmT2_T3_T4_T5_mT6_T7_P12ihipStream_tbENKUlT_T0_E_clISt17integral_constantIbLb0EES13_EEDaSY_SZ_EUlSY_E_NS1_11comp_targetILNS1_3genE2ELNS1_11target_archE906ELNS1_3gpuE6ELNS1_3repE0EEENS1_30default_config_static_selectorELNS0_4arch9wavefront6targetE0EEEvT1_
    .private_segment_fixed_size: 0
    .sgpr_count:     0
    .sgpr_spill_count: 0
    .symbol:         _ZN7rocprim17ROCPRIM_400000_NS6detail17trampoline_kernelINS0_14default_configENS1_27scan_by_key_config_selectorIiiEEZZNS1_16scan_by_key_implILNS1_25lookback_scan_determinismE0ELb1ES3_N6thrust23THRUST_200600_302600_NS6detail15normal_iteratorINS9_10device_ptrIiEEEENSB_INSC_IjEEEENSB_INSC_IfEEEEiNS9_4plusIvEENS9_8equal_toIvEEiEE10hipError_tPvRmT2_T3_T4_T5_mT6_T7_P12ihipStream_tbENKUlT_T0_E_clISt17integral_constantIbLb0EES13_EEDaSY_SZ_EUlSY_E_NS1_11comp_targetILNS1_3genE2ELNS1_11target_archE906ELNS1_3gpuE6ELNS1_3repE0EEENS1_30default_config_static_selectorELNS0_4arch9wavefront6targetE0EEEvT1_.kd
    .uniform_work_group_size: 1
    .uses_dynamic_stack: false
    .vgpr_count:     0
    .vgpr_spill_count: 0
    .wavefront_size: 32
    .workgroup_processor_mode: 1
  - .args:
      - .offset:         0
        .size:           112
        .value_kind:     by_value
    .group_segment_fixed_size: 0
    .kernarg_segment_align: 8
    .kernarg_segment_size: 112
    .language:       OpenCL C
    .language_version:
      - 2
      - 0
    .max_flat_workgroup_size: 256
    .name:           _ZN7rocprim17ROCPRIM_400000_NS6detail17trampoline_kernelINS0_14default_configENS1_27scan_by_key_config_selectorIiiEEZZNS1_16scan_by_key_implILNS1_25lookback_scan_determinismE0ELb1ES3_N6thrust23THRUST_200600_302600_NS6detail15normal_iteratorINS9_10device_ptrIiEEEENSB_INSC_IjEEEENSB_INSC_IfEEEEiNS9_4plusIvEENS9_8equal_toIvEEiEE10hipError_tPvRmT2_T3_T4_T5_mT6_T7_P12ihipStream_tbENKUlT_T0_E_clISt17integral_constantIbLb0EES13_EEDaSY_SZ_EUlSY_E_NS1_11comp_targetILNS1_3genE10ELNS1_11target_archE1200ELNS1_3gpuE4ELNS1_3repE0EEENS1_30default_config_static_selectorELNS0_4arch9wavefront6targetE0EEEvT1_
    .private_segment_fixed_size: 0
    .sgpr_count:     0
    .sgpr_spill_count: 0
    .symbol:         _ZN7rocprim17ROCPRIM_400000_NS6detail17trampoline_kernelINS0_14default_configENS1_27scan_by_key_config_selectorIiiEEZZNS1_16scan_by_key_implILNS1_25lookback_scan_determinismE0ELb1ES3_N6thrust23THRUST_200600_302600_NS6detail15normal_iteratorINS9_10device_ptrIiEEEENSB_INSC_IjEEEENSB_INSC_IfEEEEiNS9_4plusIvEENS9_8equal_toIvEEiEE10hipError_tPvRmT2_T3_T4_T5_mT6_T7_P12ihipStream_tbENKUlT_T0_E_clISt17integral_constantIbLb0EES13_EEDaSY_SZ_EUlSY_E_NS1_11comp_targetILNS1_3genE10ELNS1_11target_archE1200ELNS1_3gpuE4ELNS1_3repE0EEENS1_30default_config_static_selectorELNS0_4arch9wavefront6targetE0EEEvT1_.kd
    .uniform_work_group_size: 1
    .uses_dynamic_stack: false
    .vgpr_count:     0
    .vgpr_spill_count: 0
    .wavefront_size: 32
    .workgroup_processor_mode: 1
  - .args:
      - .offset:         0
        .size:           112
        .value_kind:     by_value
    .group_segment_fixed_size: 0
    .kernarg_segment_align: 8
    .kernarg_segment_size: 112
    .language:       OpenCL C
    .language_version:
      - 2
      - 0
    .max_flat_workgroup_size: 256
    .name:           _ZN7rocprim17ROCPRIM_400000_NS6detail17trampoline_kernelINS0_14default_configENS1_27scan_by_key_config_selectorIiiEEZZNS1_16scan_by_key_implILNS1_25lookback_scan_determinismE0ELb1ES3_N6thrust23THRUST_200600_302600_NS6detail15normal_iteratorINS9_10device_ptrIiEEEENSB_INSC_IjEEEENSB_INSC_IfEEEEiNS9_4plusIvEENS9_8equal_toIvEEiEE10hipError_tPvRmT2_T3_T4_T5_mT6_T7_P12ihipStream_tbENKUlT_T0_E_clISt17integral_constantIbLb0EES13_EEDaSY_SZ_EUlSY_E_NS1_11comp_targetILNS1_3genE9ELNS1_11target_archE1100ELNS1_3gpuE3ELNS1_3repE0EEENS1_30default_config_static_selectorELNS0_4arch9wavefront6targetE0EEEvT1_
    .private_segment_fixed_size: 0
    .sgpr_count:     0
    .sgpr_spill_count: 0
    .symbol:         _ZN7rocprim17ROCPRIM_400000_NS6detail17trampoline_kernelINS0_14default_configENS1_27scan_by_key_config_selectorIiiEEZZNS1_16scan_by_key_implILNS1_25lookback_scan_determinismE0ELb1ES3_N6thrust23THRUST_200600_302600_NS6detail15normal_iteratorINS9_10device_ptrIiEEEENSB_INSC_IjEEEENSB_INSC_IfEEEEiNS9_4plusIvEENS9_8equal_toIvEEiEE10hipError_tPvRmT2_T3_T4_T5_mT6_T7_P12ihipStream_tbENKUlT_T0_E_clISt17integral_constantIbLb0EES13_EEDaSY_SZ_EUlSY_E_NS1_11comp_targetILNS1_3genE9ELNS1_11target_archE1100ELNS1_3gpuE3ELNS1_3repE0EEENS1_30default_config_static_selectorELNS0_4arch9wavefront6targetE0EEEvT1_.kd
    .uniform_work_group_size: 1
    .uses_dynamic_stack: false
    .vgpr_count:     0
    .vgpr_spill_count: 0
    .wavefront_size: 32
    .workgroup_processor_mode: 1
  - .args:
      - .offset:         0
        .size:           112
        .value_kind:     by_value
    .group_segment_fixed_size: 5120
    .kernarg_segment_align: 8
    .kernarg_segment_size: 112
    .language:       OpenCL C
    .language_version:
      - 2
      - 0
    .max_flat_workgroup_size: 256
    .name:           _ZN7rocprim17ROCPRIM_400000_NS6detail17trampoline_kernelINS0_14default_configENS1_27scan_by_key_config_selectorIiiEEZZNS1_16scan_by_key_implILNS1_25lookback_scan_determinismE0ELb1ES3_N6thrust23THRUST_200600_302600_NS6detail15normal_iteratorINS9_10device_ptrIiEEEENSB_INSC_IjEEEENSB_INSC_IfEEEEiNS9_4plusIvEENS9_8equal_toIvEEiEE10hipError_tPvRmT2_T3_T4_T5_mT6_T7_P12ihipStream_tbENKUlT_T0_E_clISt17integral_constantIbLb0EES13_EEDaSY_SZ_EUlSY_E_NS1_11comp_targetILNS1_3genE8ELNS1_11target_archE1030ELNS1_3gpuE2ELNS1_3repE0EEENS1_30default_config_static_selectorELNS0_4arch9wavefront6targetE0EEEvT1_
    .private_segment_fixed_size: 0
    .sgpr_count:     32
    .sgpr_spill_count: 0
    .symbol:         _ZN7rocprim17ROCPRIM_400000_NS6detail17trampoline_kernelINS0_14default_configENS1_27scan_by_key_config_selectorIiiEEZZNS1_16scan_by_key_implILNS1_25lookback_scan_determinismE0ELb1ES3_N6thrust23THRUST_200600_302600_NS6detail15normal_iteratorINS9_10device_ptrIiEEEENSB_INSC_IjEEEENSB_INSC_IfEEEEiNS9_4plusIvEENS9_8equal_toIvEEiEE10hipError_tPvRmT2_T3_T4_T5_mT6_T7_P12ihipStream_tbENKUlT_T0_E_clISt17integral_constantIbLb0EES13_EEDaSY_SZ_EUlSY_E_NS1_11comp_targetILNS1_3genE8ELNS1_11target_archE1030ELNS1_3gpuE2ELNS1_3repE0EEENS1_30default_config_static_selectorELNS0_4arch9wavefront6targetE0EEEvT1_.kd
    .uniform_work_group_size: 1
    .uses_dynamic_stack: false
    .vgpr_count:     42
    .vgpr_spill_count: 0
    .wavefront_size: 32
    .workgroup_processor_mode: 1
  - .args:
      - .offset:         0
        .size:           112
        .value_kind:     by_value
    .group_segment_fixed_size: 0
    .kernarg_segment_align: 8
    .kernarg_segment_size: 112
    .language:       OpenCL C
    .language_version:
      - 2
      - 0
    .max_flat_workgroup_size: 256
    .name:           _ZN7rocprim17ROCPRIM_400000_NS6detail17trampoline_kernelINS0_14default_configENS1_27scan_by_key_config_selectorIiiEEZZNS1_16scan_by_key_implILNS1_25lookback_scan_determinismE0ELb1ES3_N6thrust23THRUST_200600_302600_NS6detail15normal_iteratorINS9_10device_ptrIiEEEENSB_INSC_IjEEEENSB_INSC_IfEEEEiNS9_4plusIvEENS9_8equal_toIvEEiEE10hipError_tPvRmT2_T3_T4_T5_mT6_T7_P12ihipStream_tbENKUlT_T0_E_clISt17integral_constantIbLb1EES13_EEDaSY_SZ_EUlSY_E_NS1_11comp_targetILNS1_3genE0ELNS1_11target_archE4294967295ELNS1_3gpuE0ELNS1_3repE0EEENS1_30default_config_static_selectorELNS0_4arch9wavefront6targetE0EEEvT1_
    .private_segment_fixed_size: 0
    .sgpr_count:     0
    .sgpr_spill_count: 0
    .symbol:         _ZN7rocprim17ROCPRIM_400000_NS6detail17trampoline_kernelINS0_14default_configENS1_27scan_by_key_config_selectorIiiEEZZNS1_16scan_by_key_implILNS1_25lookback_scan_determinismE0ELb1ES3_N6thrust23THRUST_200600_302600_NS6detail15normal_iteratorINS9_10device_ptrIiEEEENSB_INSC_IjEEEENSB_INSC_IfEEEEiNS9_4plusIvEENS9_8equal_toIvEEiEE10hipError_tPvRmT2_T3_T4_T5_mT6_T7_P12ihipStream_tbENKUlT_T0_E_clISt17integral_constantIbLb1EES13_EEDaSY_SZ_EUlSY_E_NS1_11comp_targetILNS1_3genE0ELNS1_11target_archE4294967295ELNS1_3gpuE0ELNS1_3repE0EEENS1_30default_config_static_selectorELNS0_4arch9wavefront6targetE0EEEvT1_.kd
    .uniform_work_group_size: 1
    .uses_dynamic_stack: false
    .vgpr_count:     0
    .vgpr_spill_count: 0
    .wavefront_size: 32
    .workgroup_processor_mode: 1
  - .args:
      - .offset:         0
        .size:           112
        .value_kind:     by_value
    .group_segment_fixed_size: 0
    .kernarg_segment_align: 8
    .kernarg_segment_size: 112
    .language:       OpenCL C
    .language_version:
      - 2
      - 0
    .max_flat_workgroup_size: 256
    .name:           _ZN7rocprim17ROCPRIM_400000_NS6detail17trampoline_kernelINS0_14default_configENS1_27scan_by_key_config_selectorIiiEEZZNS1_16scan_by_key_implILNS1_25lookback_scan_determinismE0ELb1ES3_N6thrust23THRUST_200600_302600_NS6detail15normal_iteratorINS9_10device_ptrIiEEEENSB_INSC_IjEEEENSB_INSC_IfEEEEiNS9_4plusIvEENS9_8equal_toIvEEiEE10hipError_tPvRmT2_T3_T4_T5_mT6_T7_P12ihipStream_tbENKUlT_T0_E_clISt17integral_constantIbLb1EES13_EEDaSY_SZ_EUlSY_E_NS1_11comp_targetILNS1_3genE10ELNS1_11target_archE1201ELNS1_3gpuE5ELNS1_3repE0EEENS1_30default_config_static_selectorELNS0_4arch9wavefront6targetE0EEEvT1_
    .private_segment_fixed_size: 0
    .sgpr_count:     0
    .sgpr_spill_count: 0
    .symbol:         _ZN7rocprim17ROCPRIM_400000_NS6detail17trampoline_kernelINS0_14default_configENS1_27scan_by_key_config_selectorIiiEEZZNS1_16scan_by_key_implILNS1_25lookback_scan_determinismE0ELb1ES3_N6thrust23THRUST_200600_302600_NS6detail15normal_iteratorINS9_10device_ptrIiEEEENSB_INSC_IjEEEENSB_INSC_IfEEEEiNS9_4plusIvEENS9_8equal_toIvEEiEE10hipError_tPvRmT2_T3_T4_T5_mT6_T7_P12ihipStream_tbENKUlT_T0_E_clISt17integral_constantIbLb1EES13_EEDaSY_SZ_EUlSY_E_NS1_11comp_targetILNS1_3genE10ELNS1_11target_archE1201ELNS1_3gpuE5ELNS1_3repE0EEENS1_30default_config_static_selectorELNS0_4arch9wavefront6targetE0EEEvT1_.kd
    .uniform_work_group_size: 1
    .uses_dynamic_stack: false
    .vgpr_count:     0
    .vgpr_spill_count: 0
    .wavefront_size: 32
    .workgroup_processor_mode: 1
  - .args:
      - .offset:         0
        .size:           112
        .value_kind:     by_value
    .group_segment_fixed_size: 0
    .kernarg_segment_align: 8
    .kernarg_segment_size: 112
    .language:       OpenCL C
    .language_version:
      - 2
      - 0
    .max_flat_workgroup_size: 256
    .name:           _ZN7rocprim17ROCPRIM_400000_NS6detail17trampoline_kernelINS0_14default_configENS1_27scan_by_key_config_selectorIiiEEZZNS1_16scan_by_key_implILNS1_25lookback_scan_determinismE0ELb1ES3_N6thrust23THRUST_200600_302600_NS6detail15normal_iteratorINS9_10device_ptrIiEEEENSB_INSC_IjEEEENSB_INSC_IfEEEEiNS9_4plusIvEENS9_8equal_toIvEEiEE10hipError_tPvRmT2_T3_T4_T5_mT6_T7_P12ihipStream_tbENKUlT_T0_E_clISt17integral_constantIbLb1EES13_EEDaSY_SZ_EUlSY_E_NS1_11comp_targetILNS1_3genE5ELNS1_11target_archE942ELNS1_3gpuE9ELNS1_3repE0EEENS1_30default_config_static_selectorELNS0_4arch9wavefront6targetE0EEEvT1_
    .private_segment_fixed_size: 0
    .sgpr_count:     0
    .sgpr_spill_count: 0
    .symbol:         _ZN7rocprim17ROCPRIM_400000_NS6detail17trampoline_kernelINS0_14default_configENS1_27scan_by_key_config_selectorIiiEEZZNS1_16scan_by_key_implILNS1_25lookback_scan_determinismE0ELb1ES3_N6thrust23THRUST_200600_302600_NS6detail15normal_iteratorINS9_10device_ptrIiEEEENSB_INSC_IjEEEENSB_INSC_IfEEEEiNS9_4plusIvEENS9_8equal_toIvEEiEE10hipError_tPvRmT2_T3_T4_T5_mT6_T7_P12ihipStream_tbENKUlT_T0_E_clISt17integral_constantIbLb1EES13_EEDaSY_SZ_EUlSY_E_NS1_11comp_targetILNS1_3genE5ELNS1_11target_archE942ELNS1_3gpuE9ELNS1_3repE0EEENS1_30default_config_static_selectorELNS0_4arch9wavefront6targetE0EEEvT1_.kd
    .uniform_work_group_size: 1
    .uses_dynamic_stack: false
    .vgpr_count:     0
    .vgpr_spill_count: 0
    .wavefront_size: 32
    .workgroup_processor_mode: 1
  - .args:
      - .offset:         0
        .size:           112
        .value_kind:     by_value
    .group_segment_fixed_size: 0
    .kernarg_segment_align: 8
    .kernarg_segment_size: 112
    .language:       OpenCL C
    .language_version:
      - 2
      - 0
    .max_flat_workgroup_size: 256
    .name:           _ZN7rocprim17ROCPRIM_400000_NS6detail17trampoline_kernelINS0_14default_configENS1_27scan_by_key_config_selectorIiiEEZZNS1_16scan_by_key_implILNS1_25lookback_scan_determinismE0ELb1ES3_N6thrust23THRUST_200600_302600_NS6detail15normal_iteratorINS9_10device_ptrIiEEEENSB_INSC_IjEEEENSB_INSC_IfEEEEiNS9_4plusIvEENS9_8equal_toIvEEiEE10hipError_tPvRmT2_T3_T4_T5_mT6_T7_P12ihipStream_tbENKUlT_T0_E_clISt17integral_constantIbLb1EES13_EEDaSY_SZ_EUlSY_E_NS1_11comp_targetILNS1_3genE4ELNS1_11target_archE910ELNS1_3gpuE8ELNS1_3repE0EEENS1_30default_config_static_selectorELNS0_4arch9wavefront6targetE0EEEvT1_
    .private_segment_fixed_size: 0
    .sgpr_count:     0
    .sgpr_spill_count: 0
    .symbol:         _ZN7rocprim17ROCPRIM_400000_NS6detail17trampoline_kernelINS0_14default_configENS1_27scan_by_key_config_selectorIiiEEZZNS1_16scan_by_key_implILNS1_25lookback_scan_determinismE0ELb1ES3_N6thrust23THRUST_200600_302600_NS6detail15normal_iteratorINS9_10device_ptrIiEEEENSB_INSC_IjEEEENSB_INSC_IfEEEEiNS9_4plusIvEENS9_8equal_toIvEEiEE10hipError_tPvRmT2_T3_T4_T5_mT6_T7_P12ihipStream_tbENKUlT_T0_E_clISt17integral_constantIbLb1EES13_EEDaSY_SZ_EUlSY_E_NS1_11comp_targetILNS1_3genE4ELNS1_11target_archE910ELNS1_3gpuE8ELNS1_3repE0EEENS1_30default_config_static_selectorELNS0_4arch9wavefront6targetE0EEEvT1_.kd
    .uniform_work_group_size: 1
    .uses_dynamic_stack: false
    .vgpr_count:     0
    .vgpr_spill_count: 0
    .wavefront_size: 32
    .workgroup_processor_mode: 1
  - .args:
      - .offset:         0
        .size:           112
        .value_kind:     by_value
    .group_segment_fixed_size: 0
    .kernarg_segment_align: 8
    .kernarg_segment_size: 112
    .language:       OpenCL C
    .language_version:
      - 2
      - 0
    .max_flat_workgroup_size: 256
    .name:           _ZN7rocprim17ROCPRIM_400000_NS6detail17trampoline_kernelINS0_14default_configENS1_27scan_by_key_config_selectorIiiEEZZNS1_16scan_by_key_implILNS1_25lookback_scan_determinismE0ELb1ES3_N6thrust23THRUST_200600_302600_NS6detail15normal_iteratorINS9_10device_ptrIiEEEENSB_INSC_IjEEEENSB_INSC_IfEEEEiNS9_4plusIvEENS9_8equal_toIvEEiEE10hipError_tPvRmT2_T3_T4_T5_mT6_T7_P12ihipStream_tbENKUlT_T0_E_clISt17integral_constantIbLb1EES13_EEDaSY_SZ_EUlSY_E_NS1_11comp_targetILNS1_3genE3ELNS1_11target_archE908ELNS1_3gpuE7ELNS1_3repE0EEENS1_30default_config_static_selectorELNS0_4arch9wavefront6targetE0EEEvT1_
    .private_segment_fixed_size: 0
    .sgpr_count:     0
    .sgpr_spill_count: 0
    .symbol:         _ZN7rocprim17ROCPRIM_400000_NS6detail17trampoline_kernelINS0_14default_configENS1_27scan_by_key_config_selectorIiiEEZZNS1_16scan_by_key_implILNS1_25lookback_scan_determinismE0ELb1ES3_N6thrust23THRUST_200600_302600_NS6detail15normal_iteratorINS9_10device_ptrIiEEEENSB_INSC_IjEEEENSB_INSC_IfEEEEiNS9_4plusIvEENS9_8equal_toIvEEiEE10hipError_tPvRmT2_T3_T4_T5_mT6_T7_P12ihipStream_tbENKUlT_T0_E_clISt17integral_constantIbLb1EES13_EEDaSY_SZ_EUlSY_E_NS1_11comp_targetILNS1_3genE3ELNS1_11target_archE908ELNS1_3gpuE7ELNS1_3repE0EEENS1_30default_config_static_selectorELNS0_4arch9wavefront6targetE0EEEvT1_.kd
    .uniform_work_group_size: 1
    .uses_dynamic_stack: false
    .vgpr_count:     0
    .vgpr_spill_count: 0
    .wavefront_size: 32
    .workgroup_processor_mode: 1
  - .args:
      - .offset:         0
        .size:           112
        .value_kind:     by_value
    .group_segment_fixed_size: 0
    .kernarg_segment_align: 8
    .kernarg_segment_size: 112
    .language:       OpenCL C
    .language_version:
      - 2
      - 0
    .max_flat_workgroup_size: 256
    .name:           _ZN7rocprim17ROCPRIM_400000_NS6detail17trampoline_kernelINS0_14default_configENS1_27scan_by_key_config_selectorIiiEEZZNS1_16scan_by_key_implILNS1_25lookback_scan_determinismE0ELb1ES3_N6thrust23THRUST_200600_302600_NS6detail15normal_iteratorINS9_10device_ptrIiEEEENSB_INSC_IjEEEENSB_INSC_IfEEEEiNS9_4plusIvEENS9_8equal_toIvEEiEE10hipError_tPvRmT2_T3_T4_T5_mT6_T7_P12ihipStream_tbENKUlT_T0_E_clISt17integral_constantIbLb1EES13_EEDaSY_SZ_EUlSY_E_NS1_11comp_targetILNS1_3genE2ELNS1_11target_archE906ELNS1_3gpuE6ELNS1_3repE0EEENS1_30default_config_static_selectorELNS0_4arch9wavefront6targetE0EEEvT1_
    .private_segment_fixed_size: 0
    .sgpr_count:     0
    .sgpr_spill_count: 0
    .symbol:         _ZN7rocprim17ROCPRIM_400000_NS6detail17trampoline_kernelINS0_14default_configENS1_27scan_by_key_config_selectorIiiEEZZNS1_16scan_by_key_implILNS1_25lookback_scan_determinismE0ELb1ES3_N6thrust23THRUST_200600_302600_NS6detail15normal_iteratorINS9_10device_ptrIiEEEENSB_INSC_IjEEEENSB_INSC_IfEEEEiNS9_4plusIvEENS9_8equal_toIvEEiEE10hipError_tPvRmT2_T3_T4_T5_mT6_T7_P12ihipStream_tbENKUlT_T0_E_clISt17integral_constantIbLb1EES13_EEDaSY_SZ_EUlSY_E_NS1_11comp_targetILNS1_3genE2ELNS1_11target_archE906ELNS1_3gpuE6ELNS1_3repE0EEENS1_30default_config_static_selectorELNS0_4arch9wavefront6targetE0EEEvT1_.kd
    .uniform_work_group_size: 1
    .uses_dynamic_stack: false
    .vgpr_count:     0
    .vgpr_spill_count: 0
    .wavefront_size: 32
    .workgroup_processor_mode: 1
  - .args:
      - .offset:         0
        .size:           112
        .value_kind:     by_value
    .group_segment_fixed_size: 0
    .kernarg_segment_align: 8
    .kernarg_segment_size: 112
    .language:       OpenCL C
    .language_version:
      - 2
      - 0
    .max_flat_workgroup_size: 256
    .name:           _ZN7rocprim17ROCPRIM_400000_NS6detail17trampoline_kernelINS0_14default_configENS1_27scan_by_key_config_selectorIiiEEZZNS1_16scan_by_key_implILNS1_25lookback_scan_determinismE0ELb1ES3_N6thrust23THRUST_200600_302600_NS6detail15normal_iteratorINS9_10device_ptrIiEEEENSB_INSC_IjEEEENSB_INSC_IfEEEEiNS9_4plusIvEENS9_8equal_toIvEEiEE10hipError_tPvRmT2_T3_T4_T5_mT6_T7_P12ihipStream_tbENKUlT_T0_E_clISt17integral_constantIbLb1EES13_EEDaSY_SZ_EUlSY_E_NS1_11comp_targetILNS1_3genE10ELNS1_11target_archE1200ELNS1_3gpuE4ELNS1_3repE0EEENS1_30default_config_static_selectorELNS0_4arch9wavefront6targetE0EEEvT1_
    .private_segment_fixed_size: 0
    .sgpr_count:     0
    .sgpr_spill_count: 0
    .symbol:         _ZN7rocprim17ROCPRIM_400000_NS6detail17trampoline_kernelINS0_14default_configENS1_27scan_by_key_config_selectorIiiEEZZNS1_16scan_by_key_implILNS1_25lookback_scan_determinismE0ELb1ES3_N6thrust23THRUST_200600_302600_NS6detail15normal_iteratorINS9_10device_ptrIiEEEENSB_INSC_IjEEEENSB_INSC_IfEEEEiNS9_4plusIvEENS9_8equal_toIvEEiEE10hipError_tPvRmT2_T3_T4_T5_mT6_T7_P12ihipStream_tbENKUlT_T0_E_clISt17integral_constantIbLb1EES13_EEDaSY_SZ_EUlSY_E_NS1_11comp_targetILNS1_3genE10ELNS1_11target_archE1200ELNS1_3gpuE4ELNS1_3repE0EEENS1_30default_config_static_selectorELNS0_4arch9wavefront6targetE0EEEvT1_.kd
    .uniform_work_group_size: 1
    .uses_dynamic_stack: false
    .vgpr_count:     0
    .vgpr_spill_count: 0
    .wavefront_size: 32
    .workgroup_processor_mode: 1
  - .args:
      - .offset:         0
        .size:           112
        .value_kind:     by_value
    .group_segment_fixed_size: 0
    .kernarg_segment_align: 8
    .kernarg_segment_size: 112
    .language:       OpenCL C
    .language_version:
      - 2
      - 0
    .max_flat_workgroup_size: 256
    .name:           _ZN7rocprim17ROCPRIM_400000_NS6detail17trampoline_kernelINS0_14default_configENS1_27scan_by_key_config_selectorIiiEEZZNS1_16scan_by_key_implILNS1_25lookback_scan_determinismE0ELb1ES3_N6thrust23THRUST_200600_302600_NS6detail15normal_iteratorINS9_10device_ptrIiEEEENSB_INSC_IjEEEENSB_INSC_IfEEEEiNS9_4plusIvEENS9_8equal_toIvEEiEE10hipError_tPvRmT2_T3_T4_T5_mT6_T7_P12ihipStream_tbENKUlT_T0_E_clISt17integral_constantIbLb1EES13_EEDaSY_SZ_EUlSY_E_NS1_11comp_targetILNS1_3genE9ELNS1_11target_archE1100ELNS1_3gpuE3ELNS1_3repE0EEENS1_30default_config_static_selectorELNS0_4arch9wavefront6targetE0EEEvT1_
    .private_segment_fixed_size: 0
    .sgpr_count:     0
    .sgpr_spill_count: 0
    .symbol:         _ZN7rocprim17ROCPRIM_400000_NS6detail17trampoline_kernelINS0_14default_configENS1_27scan_by_key_config_selectorIiiEEZZNS1_16scan_by_key_implILNS1_25lookback_scan_determinismE0ELb1ES3_N6thrust23THRUST_200600_302600_NS6detail15normal_iteratorINS9_10device_ptrIiEEEENSB_INSC_IjEEEENSB_INSC_IfEEEEiNS9_4plusIvEENS9_8equal_toIvEEiEE10hipError_tPvRmT2_T3_T4_T5_mT6_T7_P12ihipStream_tbENKUlT_T0_E_clISt17integral_constantIbLb1EES13_EEDaSY_SZ_EUlSY_E_NS1_11comp_targetILNS1_3genE9ELNS1_11target_archE1100ELNS1_3gpuE3ELNS1_3repE0EEENS1_30default_config_static_selectorELNS0_4arch9wavefront6targetE0EEEvT1_.kd
    .uniform_work_group_size: 1
    .uses_dynamic_stack: false
    .vgpr_count:     0
    .vgpr_spill_count: 0
    .wavefront_size: 32
    .workgroup_processor_mode: 1
  - .args:
      - .offset:         0
        .size:           112
        .value_kind:     by_value
    .group_segment_fixed_size: 0
    .kernarg_segment_align: 8
    .kernarg_segment_size: 112
    .language:       OpenCL C
    .language_version:
      - 2
      - 0
    .max_flat_workgroup_size: 256
    .name:           _ZN7rocprim17ROCPRIM_400000_NS6detail17trampoline_kernelINS0_14default_configENS1_27scan_by_key_config_selectorIiiEEZZNS1_16scan_by_key_implILNS1_25lookback_scan_determinismE0ELb1ES3_N6thrust23THRUST_200600_302600_NS6detail15normal_iteratorINS9_10device_ptrIiEEEENSB_INSC_IjEEEENSB_INSC_IfEEEEiNS9_4plusIvEENS9_8equal_toIvEEiEE10hipError_tPvRmT2_T3_T4_T5_mT6_T7_P12ihipStream_tbENKUlT_T0_E_clISt17integral_constantIbLb1EES13_EEDaSY_SZ_EUlSY_E_NS1_11comp_targetILNS1_3genE8ELNS1_11target_archE1030ELNS1_3gpuE2ELNS1_3repE0EEENS1_30default_config_static_selectorELNS0_4arch9wavefront6targetE0EEEvT1_
    .private_segment_fixed_size: 0
    .sgpr_count:     0
    .sgpr_spill_count: 0
    .symbol:         _ZN7rocprim17ROCPRIM_400000_NS6detail17trampoline_kernelINS0_14default_configENS1_27scan_by_key_config_selectorIiiEEZZNS1_16scan_by_key_implILNS1_25lookback_scan_determinismE0ELb1ES3_N6thrust23THRUST_200600_302600_NS6detail15normal_iteratorINS9_10device_ptrIiEEEENSB_INSC_IjEEEENSB_INSC_IfEEEEiNS9_4plusIvEENS9_8equal_toIvEEiEE10hipError_tPvRmT2_T3_T4_T5_mT6_T7_P12ihipStream_tbENKUlT_T0_E_clISt17integral_constantIbLb1EES13_EEDaSY_SZ_EUlSY_E_NS1_11comp_targetILNS1_3genE8ELNS1_11target_archE1030ELNS1_3gpuE2ELNS1_3repE0EEENS1_30default_config_static_selectorELNS0_4arch9wavefront6targetE0EEEvT1_.kd
    .uniform_work_group_size: 1
    .uses_dynamic_stack: false
    .vgpr_count:     0
    .vgpr_spill_count: 0
    .wavefront_size: 32
    .workgroup_processor_mode: 1
  - .args:
      - .offset:         0
        .size:           112
        .value_kind:     by_value
    .group_segment_fixed_size: 0
    .kernarg_segment_align: 8
    .kernarg_segment_size: 112
    .language:       OpenCL C
    .language_version:
      - 2
      - 0
    .max_flat_workgroup_size: 256
    .name:           _ZN7rocprim17ROCPRIM_400000_NS6detail17trampoline_kernelINS0_14default_configENS1_27scan_by_key_config_selectorIiiEEZZNS1_16scan_by_key_implILNS1_25lookback_scan_determinismE0ELb1ES3_N6thrust23THRUST_200600_302600_NS6detail15normal_iteratorINS9_10device_ptrIiEEEENSB_INSC_IjEEEENSB_INSC_IfEEEEiNS9_4plusIvEENS9_8equal_toIvEEiEE10hipError_tPvRmT2_T3_T4_T5_mT6_T7_P12ihipStream_tbENKUlT_T0_E_clISt17integral_constantIbLb1EES12_IbLb0EEEEDaSY_SZ_EUlSY_E_NS1_11comp_targetILNS1_3genE0ELNS1_11target_archE4294967295ELNS1_3gpuE0ELNS1_3repE0EEENS1_30default_config_static_selectorELNS0_4arch9wavefront6targetE0EEEvT1_
    .private_segment_fixed_size: 0
    .sgpr_count:     0
    .sgpr_spill_count: 0
    .symbol:         _ZN7rocprim17ROCPRIM_400000_NS6detail17trampoline_kernelINS0_14default_configENS1_27scan_by_key_config_selectorIiiEEZZNS1_16scan_by_key_implILNS1_25lookback_scan_determinismE0ELb1ES3_N6thrust23THRUST_200600_302600_NS6detail15normal_iteratorINS9_10device_ptrIiEEEENSB_INSC_IjEEEENSB_INSC_IfEEEEiNS9_4plusIvEENS9_8equal_toIvEEiEE10hipError_tPvRmT2_T3_T4_T5_mT6_T7_P12ihipStream_tbENKUlT_T0_E_clISt17integral_constantIbLb1EES12_IbLb0EEEEDaSY_SZ_EUlSY_E_NS1_11comp_targetILNS1_3genE0ELNS1_11target_archE4294967295ELNS1_3gpuE0ELNS1_3repE0EEENS1_30default_config_static_selectorELNS0_4arch9wavefront6targetE0EEEvT1_.kd
    .uniform_work_group_size: 1
    .uses_dynamic_stack: false
    .vgpr_count:     0
    .vgpr_spill_count: 0
    .wavefront_size: 32
    .workgroup_processor_mode: 1
  - .args:
      - .offset:         0
        .size:           112
        .value_kind:     by_value
    .group_segment_fixed_size: 0
    .kernarg_segment_align: 8
    .kernarg_segment_size: 112
    .language:       OpenCL C
    .language_version:
      - 2
      - 0
    .max_flat_workgroup_size: 256
    .name:           _ZN7rocprim17ROCPRIM_400000_NS6detail17trampoline_kernelINS0_14default_configENS1_27scan_by_key_config_selectorIiiEEZZNS1_16scan_by_key_implILNS1_25lookback_scan_determinismE0ELb1ES3_N6thrust23THRUST_200600_302600_NS6detail15normal_iteratorINS9_10device_ptrIiEEEENSB_INSC_IjEEEENSB_INSC_IfEEEEiNS9_4plusIvEENS9_8equal_toIvEEiEE10hipError_tPvRmT2_T3_T4_T5_mT6_T7_P12ihipStream_tbENKUlT_T0_E_clISt17integral_constantIbLb1EES12_IbLb0EEEEDaSY_SZ_EUlSY_E_NS1_11comp_targetILNS1_3genE10ELNS1_11target_archE1201ELNS1_3gpuE5ELNS1_3repE0EEENS1_30default_config_static_selectorELNS0_4arch9wavefront6targetE0EEEvT1_
    .private_segment_fixed_size: 0
    .sgpr_count:     0
    .sgpr_spill_count: 0
    .symbol:         _ZN7rocprim17ROCPRIM_400000_NS6detail17trampoline_kernelINS0_14default_configENS1_27scan_by_key_config_selectorIiiEEZZNS1_16scan_by_key_implILNS1_25lookback_scan_determinismE0ELb1ES3_N6thrust23THRUST_200600_302600_NS6detail15normal_iteratorINS9_10device_ptrIiEEEENSB_INSC_IjEEEENSB_INSC_IfEEEEiNS9_4plusIvEENS9_8equal_toIvEEiEE10hipError_tPvRmT2_T3_T4_T5_mT6_T7_P12ihipStream_tbENKUlT_T0_E_clISt17integral_constantIbLb1EES12_IbLb0EEEEDaSY_SZ_EUlSY_E_NS1_11comp_targetILNS1_3genE10ELNS1_11target_archE1201ELNS1_3gpuE5ELNS1_3repE0EEENS1_30default_config_static_selectorELNS0_4arch9wavefront6targetE0EEEvT1_.kd
    .uniform_work_group_size: 1
    .uses_dynamic_stack: false
    .vgpr_count:     0
    .vgpr_spill_count: 0
    .wavefront_size: 32
    .workgroup_processor_mode: 1
  - .args:
      - .offset:         0
        .size:           112
        .value_kind:     by_value
    .group_segment_fixed_size: 0
    .kernarg_segment_align: 8
    .kernarg_segment_size: 112
    .language:       OpenCL C
    .language_version:
      - 2
      - 0
    .max_flat_workgroup_size: 256
    .name:           _ZN7rocprim17ROCPRIM_400000_NS6detail17trampoline_kernelINS0_14default_configENS1_27scan_by_key_config_selectorIiiEEZZNS1_16scan_by_key_implILNS1_25lookback_scan_determinismE0ELb1ES3_N6thrust23THRUST_200600_302600_NS6detail15normal_iteratorINS9_10device_ptrIiEEEENSB_INSC_IjEEEENSB_INSC_IfEEEEiNS9_4plusIvEENS9_8equal_toIvEEiEE10hipError_tPvRmT2_T3_T4_T5_mT6_T7_P12ihipStream_tbENKUlT_T0_E_clISt17integral_constantIbLb1EES12_IbLb0EEEEDaSY_SZ_EUlSY_E_NS1_11comp_targetILNS1_3genE5ELNS1_11target_archE942ELNS1_3gpuE9ELNS1_3repE0EEENS1_30default_config_static_selectorELNS0_4arch9wavefront6targetE0EEEvT1_
    .private_segment_fixed_size: 0
    .sgpr_count:     0
    .sgpr_spill_count: 0
    .symbol:         _ZN7rocprim17ROCPRIM_400000_NS6detail17trampoline_kernelINS0_14default_configENS1_27scan_by_key_config_selectorIiiEEZZNS1_16scan_by_key_implILNS1_25lookback_scan_determinismE0ELb1ES3_N6thrust23THRUST_200600_302600_NS6detail15normal_iteratorINS9_10device_ptrIiEEEENSB_INSC_IjEEEENSB_INSC_IfEEEEiNS9_4plusIvEENS9_8equal_toIvEEiEE10hipError_tPvRmT2_T3_T4_T5_mT6_T7_P12ihipStream_tbENKUlT_T0_E_clISt17integral_constantIbLb1EES12_IbLb0EEEEDaSY_SZ_EUlSY_E_NS1_11comp_targetILNS1_3genE5ELNS1_11target_archE942ELNS1_3gpuE9ELNS1_3repE0EEENS1_30default_config_static_selectorELNS0_4arch9wavefront6targetE0EEEvT1_.kd
    .uniform_work_group_size: 1
    .uses_dynamic_stack: false
    .vgpr_count:     0
    .vgpr_spill_count: 0
    .wavefront_size: 32
    .workgroup_processor_mode: 1
  - .args:
      - .offset:         0
        .size:           112
        .value_kind:     by_value
    .group_segment_fixed_size: 0
    .kernarg_segment_align: 8
    .kernarg_segment_size: 112
    .language:       OpenCL C
    .language_version:
      - 2
      - 0
    .max_flat_workgroup_size: 256
    .name:           _ZN7rocprim17ROCPRIM_400000_NS6detail17trampoline_kernelINS0_14default_configENS1_27scan_by_key_config_selectorIiiEEZZNS1_16scan_by_key_implILNS1_25lookback_scan_determinismE0ELb1ES3_N6thrust23THRUST_200600_302600_NS6detail15normal_iteratorINS9_10device_ptrIiEEEENSB_INSC_IjEEEENSB_INSC_IfEEEEiNS9_4plusIvEENS9_8equal_toIvEEiEE10hipError_tPvRmT2_T3_T4_T5_mT6_T7_P12ihipStream_tbENKUlT_T0_E_clISt17integral_constantIbLb1EES12_IbLb0EEEEDaSY_SZ_EUlSY_E_NS1_11comp_targetILNS1_3genE4ELNS1_11target_archE910ELNS1_3gpuE8ELNS1_3repE0EEENS1_30default_config_static_selectorELNS0_4arch9wavefront6targetE0EEEvT1_
    .private_segment_fixed_size: 0
    .sgpr_count:     0
    .sgpr_spill_count: 0
    .symbol:         _ZN7rocprim17ROCPRIM_400000_NS6detail17trampoline_kernelINS0_14default_configENS1_27scan_by_key_config_selectorIiiEEZZNS1_16scan_by_key_implILNS1_25lookback_scan_determinismE0ELb1ES3_N6thrust23THRUST_200600_302600_NS6detail15normal_iteratorINS9_10device_ptrIiEEEENSB_INSC_IjEEEENSB_INSC_IfEEEEiNS9_4plusIvEENS9_8equal_toIvEEiEE10hipError_tPvRmT2_T3_T4_T5_mT6_T7_P12ihipStream_tbENKUlT_T0_E_clISt17integral_constantIbLb1EES12_IbLb0EEEEDaSY_SZ_EUlSY_E_NS1_11comp_targetILNS1_3genE4ELNS1_11target_archE910ELNS1_3gpuE8ELNS1_3repE0EEENS1_30default_config_static_selectorELNS0_4arch9wavefront6targetE0EEEvT1_.kd
    .uniform_work_group_size: 1
    .uses_dynamic_stack: false
    .vgpr_count:     0
    .vgpr_spill_count: 0
    .wavefront_size: 32
    .workgroup_processor_mode: 1
  - .args:
      - .offset:         0
        .size:           112
        .value_kind:     by_value
    .group_segment_fixed_size: 0
    .kernarg_segment_align: 8
    .kernarg_segment_size: 112
    .language:       OpenCL C
    .language_version:
      - 2
      - 0
    .max_flat_workgroup_size: 256
    .name:           _ZN7rocprim17ROCPRIM_400000_NS6detail17trampoline_kernelINS0_14default_configENS1_27scan_by_key_config_selectorIiiEEZZNS1_16scan_by_key_implILNS1_25lookback_scan_determinismE0ELb1ES3_N6thrust23THRUST_200600_302600_NS6detail15normal_iteratorINS9_10device_ptrIiEEEENSB_INSC_IjEEEENSB_INSC_IfEEEEiNS9_4plusIvEENS9_8equal_toIvEEiEE10hipError_tPvRmT2_T3_T4_T5_mT6_T7_P12ihipStream_tbENKUlT_T0_E_clISt17integral_constantIbLb1EES12_IbLb0EEEEDaSY_SZ_EUlSY_E_NS1_11comp_targetILNS1_3genE3ELNS1_11target_archE908ELNS1_3gpuE7ELNS1_3repE0EEENS1_30default_config_static_selectorELNS0_4arch9wavefront6targetE0EEEvT1_
    .private_segment_fixed_size: 0
    .sgpr_count:     0
    .sgpr_spill_count: 0
    .symbol:         _ZN7rocprim17ROCPRIM_400000_NS6detail17trampoline_kernelINS0_14default_configENS1_27scan_by_key_config_selectorIiiEEZZNS1_16scan_by_key_implILNS1_25lookback_scan_determinismE0ELb1ES3_N6thrust23THRUST_200600_302600_NS6detail15normal_iteratorINS9_10device_ptrIiEEEENSB_INSC_IjEEEENSB_INSC_IfEEEEiNS9_4plusIvEENS9_8equal_toIvEEiEE10hipError_tPvRmT2_T3_T4_T5_mT6_T7_P12ihipStream_tbENKUlT_T0_E_clISt17integral_constantIbLb1EES12_IbLb0EEEEDaSY_SZ_EUlSY_E_NS1_11comp_targetILNS1_3genE3ELNS1_11target_archE908ELNS1_3gpuE7ELNS1_3repE0EEENS1_30default_config_static_selectorELNS0_4arch9wavefront6targetE0EEEvT1_.kd
    .uniform_work_group_size: 1
    .uses_dynamic_stack: false
    .vgpr_count:     0
    .vgpr_spill_count: 0
    .wavefront_size: 32
    .workgroup_processor_mode: 1
  - .args:
      - .offset:         0
        .size:           112
        .value_kind:     by_value
    .group_segment_fixed_size: 0
    .kernarg_segment_align: 8
    .kernarg_segment_size: 112
    .language:       OpenCL C
    .language_version:
      - 2
      - 0
    .max_flat_workgroup_size: 256
    .name:           _ZN7rocprim17ROCPRIM_400000_NS6detail17trampoline_kernelINS0_14default_configENS1_27scan_by_key_config_selectorIiiEEZZNS1_16scan_by_key_implILNS1_25lookback_scan_determinismE0ELb1ES3_N6thrust23THRUST_200600_302600_NS6detail15normal_iteratorINS9_10device_ptrIiEEEENSB_INSC_IjEEEENSB_INSC_IfEEEEiNS9_4plusIvEENS9_8equal_toIvEEiEE10hipError_tPvRmT2_T3_T4_T5_mT6_T7_P12ihipStream_tbENKUlT_T0_E_clISt17integral_constantIbLb1EES12_IbLb0EEEEDaSY_SZ_EUlSY_E_NS1_11comp_targetILNS1_3genE2ELNS1_11target_archE906ELNS1_3gpuE6ELNS1_3repE0EEENS1_30default_config_static_selectorELNS0_4arch9wavefront6targetE0EEEvT1_
    .private_segment_fixed_size: 0
    .sgpr_count:     0
    .sgpr_spill_count: 0
    .symbol:         _ZN7rocprim17ROCPRIM_400000_NS6detail17trampoline_kernelINS0_14default_configENS1_27scan_by_key_config_selectorIiiEEZZNS1_16scan_by_key_implILNS1_25lookback_scan_determinismE0ELb1ES3_N6thrust23THRUST_200600_302600_NS6detail15normal_iteratorINS9_10device_ptrIiEEEENSB_INSC_IjEEEENSB_INSC_IfEEEEiNS9_4plusIvEENS9_8equal_toIvEEiEE10hipError_tPvRmT2_T3_T4_T5_mT6_T7_P12ihipStream_tbENKUlT_T0_E_clISt17integral_constantIbLb1EES12_IbLb0EEEEDaSY_SZ_EUlSY_E_NS1_11comp_targetILNS1_3genE2ELNS1_11target_archE906ELNS1_3gpuE6ELNS1_3repE0EEENS1_30default_config_static_selectorELNS0_4arch9wavefront6targetE0EEEvT1_.kd
    .uniform_work_group_size: 1
    .uses_dynamic_stack: false
    .vgpr_count:     0
    .vgpr_spill_count: 0
    .wavefront_size: 32
    .workgroup_processor_mode: 1
  - .args:
      - .offset:         0
        .size:           112
        .value_kind:     by_value
    .group_segment_fixed_size: 0
    .kernarg_segment_align: 8
    .kernarg_segment_size: 112
    .language:       OpenCL C
    .language_version:
      - 2
      - 0
    .max_flat_workgroup_size: 256
    .name:           _ZN7rocprim17ROCPRIM_400000_NS6detail17trampoline_kernelINS0_14default_configENS1_27scan_by_key_config_selectorIiiEEZZNS1_16scan_by_key_implILNS1_25lookback_scan_determinismE0ELb1ES3_N6thrust23THRUST_200600_302600_NS6detail15normal_iteratorINS9_10device_ptrIiEEEENSB_INSC_IjEEEENSB_INSC_IfEEEEiNS9_4plusIvEENS9_8equal_toIvEEiEE10hipError_tPvRmT2_T3_T4_T5_mT6_T7_P12ihipStream_tbENKUlT_T0_E_clISt17integral_constantIbLb1EES12_IbLb0EEEEDaSY_SZ_EUlSY_E_NS1_11comp_targetILNS1_3genE10ELNS1_11target_archE1200ELNS1_3gpuE4ELNS1_3repE0EEENS1_30default_config_static_selectorELNS0_4arch9wavefront6targetE0EEEvT1_
    .private_segment_fixed_size: 0
    .sgpr_count:     0
    .sgpr_spill_count: 0
    .symbol:         _ZN7rocprim17ROCPRIM_400000_NS6detail17trampoline_kernelINS0_14default_configENS1_27scan_by_key_config_selectorIiiEEZZNS1_16scan_by_key_implILNS1_25lookback_scan_determinismE0ELb1ES3_N6thrust23THRUST_200600_302600_NS6detail15normal_iteratorINS9_10device_ptrIiEEEENSB_INSC_IjEEEENSB_INSC_IfEEEEiNS9_4plusIvEENS9_8equal_toIvEEiEE10hipError_tPvRmT2_T3_T4_T5_mT6_T7_P12ihipStream_tbENKUlT_T0_E_clISt17integral_constantIbLb1EES12_IbLb0EEEEDaSY_SZ_EUlSY_E_NS1_11comp_targetILNS1_3genE10ELNS1_11target_archE1200ELNS1_3gpuE4ELNS1_3repE0EEENS1_30default_config_static_selectorELNS0_4arch9wavefront6targetE0EEEvT1_.kd
    .uniform_work_group_size: 1
    .uses_dynamic_stack: false
    .vgpr_count:     0
    .vgpr_spill_count: 0
    .wavefront_size: 32
    .workgroup_processor_mode: 1
  - .args:
      - .offset:         0
        .size:           112
        .value_kind:     by_value
    .group_segment_fixed_size: 0
    .kernarg_segment_align: 8
    .kernarg_segment_size: 112
    .language:       OpenCL C
    .language_version:
      - 2
      - 0
    .max_flat_workgroup_size: 256
    .name:           _ZN7rocprim17ROCPRIM_400000_NS6detail17trampoline_kernelINS0_14default_configENS1_27scan_by_key_config_selectorIiiEEZZNS1_16scan_by_key_implILNS1_25lookback_scan_determinismE0ELb1ES3_N6thrust23THRUST_200600_302600_NS6detail15normal_iteratorINS9_10device_ptrIiEEEENSB_INSC_IjEEEENSB_INSC_IfEEEEiNS9_4plusIvEENS9_8equal_toIvEEiEE10hipError_tPvRmT2_T3_T4_T5_mT6_T7_P12ihipStream_tbENKUlT_T0_E_clISt17integral_constantIbLb1EES12_IbLb0EEEEDaSY_SZ_EUlSY_E_NS1_11comp_targetILNS1_3genE9ELNS1_11target_archE1100ELNS1_3gpuE3ELNS1_3repE0EEENS1_30default_config_static_selectorELNS0_4arch9wavefront6targetE0EEEvT1_
    .private_segment_fixed_size: 0
    .sgpr_count:     0
    .sgpr_spill_count: 0
    .symbol:         _ZN7rocprim17ROCPRIM_400000_NS6detail17trampoline_kernelINS0_14default_configENS1_27scan_by_key_config_selectorIiiEEZZNS1_16scan_by_key_implILNS1_25lookback_scan_determinismE0ELb1ES3_N6thrust23THRUST_200600_302600_NS6detail15normal_iteratorINS9_10device_ptrIiEEEENSB_INSC_IjEEEENSB_INSC_IfEEEEiNS9_4plusIvEENS9_8equal_toIvEEiEE10hipError_tPvRmT2_T3_T4_T5_mT6_T7_P12ihipStream_tbENKUlT_T0_E_clISt17integral_constantIbLb1EES12_IbLb0EEEEDaSY_SZ_EUlSY_E_NS1_11comp_targetILNS1_3genE9ELNS1_11target_archE1100ELNS1_3gpuE3ELNS1_3repE0EEENS1_30default_config_static_selectorELNS0_4arch9wavefront6targetE0EEEvT1_.kd
    .uniform_work_group_size: 1
    .uses_dynamic_stack: false
    .vgpr_count:     0
    .vgpr_spill_count: 0
    .wavefront_size: 32
    .workgroup_processor_mode: 1
  - .args:
      - .offset:         0
        .size:           112
        .value_kind:     by_value
    .group_segment_fixed_size: 0
    .kernarg_segment_align: 8
    .kernarg_segment_size: 112
    .language:       OpenCL C
    .language_version:
      - 2
      - 0
    .max_flat_workgroup_size: 256
    .name:           _ZN7rocprim17ROCPRIM_400000_NS6detail17trampoline_kernelINS0_14default_configENS1_27scan_by_key_config_selectorIiiEEZZNS1_16scan_by_key_implILNS1_25lookback_scan_determinismE0ELb1ES3_N6thrust23THRUST_200600_302600_NS6detail15normal_iteratorINS9_10device_ptrIiEEEENSB_INSC_IjEEEENSB_INSC_IfEEEEiNS9_4plusIvEENS9_8equal_toIvEEiEE10hipError_tPvRmT2_T3_T4_T5_mT6_T7_P12ihipStream_tbENKUlT_T0_E_clISt17integral_constantIbLb1EES12_IbLb0EEEEDaSY_SZ_EUlSY_E_NS1_11comp_targetILNS1_3genE8ELNS1_11target_archE1030ELNS1_3gpuE2ELNS1_3repE0EEENS1_30default_config_static_selectorELNS0_4arch9wavefront6targetE0EEEvT1_
    .private_segment_fixed_size: 0
    .sgpr_count:     0
    .sgpr_spill_count: 0
    .symbol:         _ZN7rocprim17ROCPRIM_400000_NS6detail17trampoline_kernelINS0_14default_configENS1_27scan_by_key_config_selectorIiiEEZZNS1_16scan_by_key_implILNS1_25lookback_scan_determinismE0ELb1ES3_N6thrust23THRUST_200600_302600_NS6detail15normal_iteratorINS9_10device_ptrIiEEEENSB_INSC_IjEEEENSB_INSC_IfEEEEiNS9_4plusIvEENS9_8equal_toIvEEiEE10hipError_tPvRmT2_T3_T4_T5_mT6_T7_P12ihipStream_tbENKUlT_T0_E_clISt17integral_constantIbLb1EES12_IbLb0EEEEDaSY_SZ_EUlSY_E_NS1_11comp_targetILNS1_3genE8ELNS1_11target_archE1030ELNS1_3gpuE2ELNS1_3repE0EEENS1_30default_config_static_selectorELNS0_4arch9wavefront6targetE0EEEvT1_.kd
    .uniform_work_group_size: 1
    .uses_dynamic_stack: false
    .vgpr_count:     0
    .vgpr_spill_count: 0
    .wavefront_size: 32
    .workgroup_processor_mode: 1
  - .args:
      - .offset:         0
        .size:           112
        .value_kind:     by_value
    .group_segment_fixed_size: 0
    .kernarg_segment_align: 8
    .kernarg_segment_size: 112
    .language:       OpenCL C
    .language_version:
      - 2
      - 0
    .max_flat_workgroup_size: 256
    .name:           _ZN7rocprim17ROCPRIM_400000_NS6detail17trampoline_kernelINS0_14default_configENS1_27scan_by_key_config_selectorIiiEEZZNS1_16scan_by_key_implILNS1_25lookback_scan_determinismE0ELb1ES3_N6thrust23THRUST_200600_302600_NS6detail15normal_iteratorINS9_10device_ptrIiEEEENSB_INSC_IjEEEENSB_INSC_IfEEEEiNS9_4plusIvEENS9_8equal_toIvEEiEE10hipError_tPvRmT2_T3_T4_T5_mT6_T7_P12ihipStream_tbENKUlT_T0_E_clISt17integral_constantIbLb0EES12_IbLb1EEEEDaSY_SZ_EUlSY_E_NS1_11comp_targetILNS1_3genE0ELNS1_11target_archE4294967295ELNS1_3gpuE0ELNS1_3repE0EEENS1_30default_config_static_selectorELNS0_4arch9wavefront6targetE0EEEvT1_
    .private_segment_fixed_size: 0
    .sgpr_count:     0
    .sgpr_spill_count: 0
    .symbol:         _ZN7rocprim17ROCPRIM_400000_NS6detail17trampoline_kernelINS0_14default_configENS1_27scan_by_key_config_selectorIiiEEZZNS1_16scan_by_key_implILNS1_25lookback_scan_determinismE0ELb1ES3_N6thrust23THRUST_200600_302600_NS6detail15normal_iteratorINS9_10device_ptrIiEEEENSB_INSC_IjEEEENSB_INSC_IfEEEEiNS9_4plusIvEENS9_8equal_toIvEEiEE10hipError_tPvRmT2_T3_T4_T5_mT6_T7_P12ihipStream_tbENKUlT_T0_E_clISt17integral_constantIbLb0EES12_IbLb1EEEEDaSY_SZ_EUlSY_E_NS1_11comp_targetILNS1_3genE0ELNS1_11target_archE4294967295ELNS1_3gpuE0ELNS1_3repE0EEENS1_30default_config_static_selectorELNS0_4arch9wavefront6targetE0EEEvT1_.kd
    .uniform_work_group_size: 1
    .uses_dynamic_stack: false
    .vgpr_count:     0
    .vgpr_spill_count: 0
    .wavefront_size: 32
    .workgroup_processor_mode: 1
  - .args:
      - .offset:         0
        .size:           112
        .value_kind:     by_value
    .group_segment_fixed_size: 0
    .kernarg_segment_align: 8
    .kernarg_segment_size: 112
    .language:       OpenCL C
    .language_version:
      - 2
      - 0
    .max_flat_workgroup_size: 256
    .name:           _ZN7rocprim17ROCPRIM_400000_NS6detail17trampoline_kernelINS0_14default_configENS1_27scan_by_key_config_selectorIiiEEZZNS1_16scan_by_key_implILNS1_25lookback_scan_determinismE0ELb1ES3_N6thrust23THRUST_200600_302600_NS6detail15normal_iteratorINS9_10device_ptrIiEEEENSB_INSC_IjEEEENSB_INSC_IfEEEEiNS9_4plusIvEENS9_8equal_toIvEEiEE10hipError_tPvRmT2_T3_T4_T5_mT6_T7_P12ihipStream_tbENKUlT_T0_E_clISt17integral_constantIbLb0EES12_IbLb1EEEEDaSY_SZ_EUlSY_E_NS1_11comp_targetILNS1_3genE10ELNS1_11target_archE1201ELNS1_3gpuE5ELNS1_3repE0EEENS1_30default_config_static_selectorELNS0_4arch9wavefront6targetE0EEEvT1_
    .private_segment_fixed_size: 0
    .sgpr_count:     0
    .sgpr_spill_count: 0
    .symbol:         _ZN7rocprim17ROCPRIM_400000_NS6detail17trampoline_kernelINS0_14default_configENS1_27scan_by_key_config_selectorIiiEEZZNS1_16scan_by_key_implILNS1_25lookback_scan_determinismE0ELb1ES3_N6thrust23THRUST_200600_302600_NS6detail15normal_iteratorINS9_10device_ptrIiEEEENSB_INSC_IjEEEENSB_INSC_IfEEEEiNS9_4plusIvEENS9_8equal_toIvEEiEE10hipError_tPvRmT2_T3_T4_T5_mT6_T7_P12ihipStream_tbENKUlT_T0_E_clISt17integral_constantIbLb0EES12_IbLb1EEEEDaSY_SZ_EUlSY_E_NS1_11comp_targetILNS1_3genE10ELNS1_11target_archE1201ELNS1_3gpuE5ELNS1_3repE0EEENS1_30default_config_static_selectorELNS0_4arch9wavefront6targetE0EEEvT1_.kd
    .uniform_work_group_size: 1
    .uses_dynamic_stack: false
    .vgpr_count:     0
    .vgpr_spill_count: 0
    .wavefront_size: 32
    .workgroup_processor_mode: 1
  - .args:
      - .offset:         0
        .size:           112
        .value_kind:     by_value
    .group_segment_fixed_size: 0
    .kernarg_segment_align: 8
    .kernarg_segment_size: 112
    .language:       OpenCL C
    .language_version:
      - 2
      - 0
    .max_flat_workgroup_size: 256
    .name:           _ZN7rocprim17ROCPRIM_400000_NS6detail17trampoline_kernelINS0_14default_configENS1_27scan_by_key_config_selectorIiiEEZZNS1_16scan_by_key_implILNS1_25lookback_scan_determinismE0ELb1ES3_N6thrust23THRUST_200600_302600_NS6detail15normal_iteratorINS9_10device_ptrIiEEEENSB_INSC_IjEEEENSB_INSC_IfEEEEiNS9_4plusIvEENS9_8equal_toIvEEiEE10hipError_tPvRmT2_T3_T4_T5_mT6_T7_P12ihipStream_tbENKUlT_T0_E_clISt17integral_constantIbLb0EES12_IbLb1EEEEDaSY_SZ_EUlSY_E_NS1_11comp_targetILNS1_3genE5ELNS1_11target_archE942ELNS1_3gpuE9ELNS1_3repE0EEENS1_30default_config_static_selectorELNS0_4arch9wavefront6targetE0EEEvT1_
    .private_segment_fixed_size: 0
    .sgpr_count:     0
    .sgpr_spill_count: 0
    .symbol:         _ZN7rocprim17ROCPRIM_400000_NS6detail17trampoline_kernelINS0_14default_configENS1_27scan_by_key_config_selectorIiiEEZZNS1_16scan_by_key_implILNS1_25lookback_scan_determinismE0ELb1ES3_N6thrust23THRUST_200600_302600_NS6detail15normal_iteratorINS9_10device_ptrIiEEEENSB_INSC_IjEEEENSB_INSC_IfEEEEiNS9_4plusIvEENS9_8equal_toIvEEiEE10hipError_tPvRmT2_T3_T4_T5_mT6_T7_P12ihipStream_tbENKUlT_T0_E_clISt17integral_constantIbLb0EES12_IbLb1EEEEDaSY_SZ_EUlSY_E_NS1_11comp_targetILNS1_3genE5ELNS1_11target_archE942ELNS1_3gpuE9ELNS1_3repE0EEENS1_30default_config_static_selectorELNS0_4arch9wavefront6targetE0EEEvT1_.kd
    .uniform_work_group_size: 1
    .uses_dynamic_stack: false
    .vgpr_count:     0
    .vgpr_spill_count: 0
    .wavefront_size: 32
    .workgroup_processor_mode: 1
  - .args:
      - .offset:         0
        .size:           112
        .value_kind:     by_value
    .group_segment_fixed_size: 0
    .kernarg_segment_align: 8
    .kernarg_segment_size: 112
    .language:       OpenCL C
    .language_version:
      - 2
      - 0
    .max_flat_workgroup_size: 256
    .name:           _ZN7rocprim17ROCPRIM_400000_NS6detail17trampoline_kernelINS0_14default_configENS1_27scan_by_key_config_selectorIiiEEZZNS1_16scan_by_key_implILNS1_25lookback_scan_determinismE0ELb1ES3_N6thrust23THRUST_200600_302600_NS6detail15normal_iteratorINS9_10device_ptrIiEEEENSB_INSC_IjEEEENSB_INSC_IfEEEEiNS9_4plusIvEENS9_8equal_toIvEEiEE10hipError_tPvRmT2_T3_T4_T5_mT6_T7_P12ihipStream_tbENKUlT_T0_E_clISt17integral_constantIbLb0EES12_IbLb1EEEEDaSY_SZ_EUlSY_E_NS1_11comp_targetILNS1_3genE4ELNS1_11target_archE910ELNS1_3gpuE8ELNS1_3repE0EEENS1_30default_config_static_selectorELNS0_4arch9wavefront6targetE0EEEvT1_
    .private_segment_fixed_size: 0
    .sgpr_count:     0
    .sgpr_spill_count: 0
    .symbol:         _ZN7rocprim17ROCPRIM_400000_NS6detail17trampoline_kernelINS0_14default_configENS1_27scan_by_key_config_selectorIiiEEZZNS1_16scan_by_key_implILNS1_25lookback_scan_determinismE0ELb1ES3_N6thrust23THRUST_200600_302600_NS6detail15normal_iteratorINS9_10device_ptrIiEEEENSB_INSC_IjEEEENSB_INSC_IfEEEEiNS9_4plusIvEENS9_8equal_toIvEEiEE10hipError_tPvRmT2_T3_T4_T5_mT6_T7_P12ihipStream_tbENKUlT_T0_E_clISt17integral_constantIbLb0EES12_IbLb1EEEEDaSY_SZ_EUlSY_E_NS1_11comp_targetILNS1_3genE4ELNS1_11target_archE910ELNS1_3gpuE8ELNS1_3repE0EEENS1_30default_config_static_selectorELNS0_4arch9wavefront6targetE0EEEvT1_.kd
    .uniform_work_group_size: 1
    .uses_dynamic_stack: false
    .vgpr_count:     0
    .vgpr_spill_count: 0
    .wavefront_size: 32
    .workgroup_processor_mode: 1
  - .args:
      - .offset:         0
        .size:           112
        .value_kind:     by_value
    .group_segment_fixed_size: 0
    .kernarg_segment_align: 8
    .kernarg_segment_size: 112
    .language:       OpenCL C
    .language_version:
      - 2
      - 0
    .max_flat_workgroup_size: 256
    .name:           _ZN7rocprim17ROCPRIM_400000_NS6detail17trampoline_kernelINS0_14default_configENS1_27scan_by_key_config_selectorIiiEEZZNS1_16scan_by_key_implILNS1_25lookback_scan_determinismE0ELb1ES3_N6thrust23THRUST_200600_302600_NS6detail15normal_iteratorINS9_10device_ptrIiEEEENSB_INSC_IjEEEENSB_INSC_IfEEEEiNS9_4plusIvEENS9_8equal_toIvEEiEE10hipError_tPvRmT2_T3_T4_T5_mT6_T7_P12ihipStream_tbENKUlT_T0_E_clISt17integral_constantIbLb0EES12_IbLb1EEEEDaSY_SZ_EUlSY_E_NS1_11comp_targetILNS1_3genE3ELNS1_11target_archE908ELNS1_3gpuE7ELNS1_3repE0EEENS1_30default_config_static_selectorELNS0_4arch9wavefront6targetE0EEEvT1_
    .private_segment_fixed_size: 0
    .sgpr_count:     0
    .sgpr_spill_count: 0
    .symbol:         _ZN7rocprim17ROCPRIM_400000_NS6detail17trampoline_kernelINS0_14default_configENS1_27scan_by_key_config_selectorIiiEEZZNS1_16scan_by_key_implILNS1_25lookback_scan_determinismE0ELb1ES3_N6thrust23THRUST_200600_302600_NS6detail15normal_iteratorINS9_10device_ptrIiEEEENSB_INSC_IjEEEENSB_INSC_IfEEEEiNS9_4plusIvEENS9_8equal_toIvEEiEE10hipError_tPvRmT2_T3_T4_T5_mT6_T7_P12ihipStream_tbENKUlT_T0_E_clISt17integral_constantIbLb0EES12_IbLb1EEEEDaSY_SZ_EUlSY_E_NS1_11comp_targetILNS1_3genE3ELNS1_11target_archE908ELNS1_3gpuE7ELNS1_3repE0EEENS1_30default_config_static_selectorELNS0_4arch9wavefront6targetE0EEEvT1_.kd
    .uniform_work_group_size: 1
    .uses_dynamic_stack: false
    .vgpr_count:     0
    .vgpr_spill_count: 0
    .wavefront_size: 32
    .workgroup_processor_mode: 1
  - .args:
      - .offset:         0
        .size:           112
        .value_kind:     by_value
    .group_segment_fixed_size: 0
    .kernarg_segment_align: 8
    .kernarg_segment_size: 112
    .language:       OpenCL C
    .language_version:
      - 2
      - 0
    .max_flat_workgroup_size: 256
    .name:           _ZN7rocprim17ROCPRIM_400000_NS6detail17trampoline_kernelINS0_14default_configENS1_27scan_by_key_config_selectorIiiEEZZNS1_16scan_by_key_implILNS1_25lookback_scan_determinismE0ELb1ES3_N6thrust23THRUST_200600_302600_NS6detail15normal_iteratorINS9_10device_ptrIiEEEENSB_INSC_IjEEEENSB_INSC_IfEEEEiNS9_4plusIvEENS9_8equal_toIvEEiEE10hipError_tPvRmT2_T3_T4_T5_mT6_T7_P12ihipStream_tbENKUlT_T0_E_clISt17integral_constantIbLb0EES12_IbLb1EEEEDaSY_SZ_EUlSY_E_NS1_11comp_targetILNS1_3genE2ELNS1_11target_archE906ELNS1_3gpuE6ELNS1_3repE0EEENS1_30default_config_static_selectorELNS0_4arch9wavefront6targetE0EEEvT1_
    .private_segment_fixed_size: 0
    .sgpr_count:     0
    .sgpr_spill_count: 0
    .symbol:         _ZN7rocprim17ROCPRIM_400000_NS6detail17trampoline_kernelINS0_14default_configENS1_27scan_by_key_config_selectorIiiEEZZNS1_16scan_by_key_implILNS1_25lookback_scan_determinismE0ELb1ES3_N6thrust23THRUST_200600_302600_NS6detail15normal_iteratorINS9_10device_ptrIiEEEENSB_INSC_IjEEEENSB_INSC_IfEEEEiNS9_4plusIvEENS9_8equal_toIvEEiEE10hipError_tPvRmT2_T3_T4_T5_mT6_T7_P12ihipStream_tbENKUlT_T0_E_clISt17integral_constantIbLb0EES12_IbLb1EEEEDaSY_SZ_EUlSY_E_NS1_11comp_targetILNS1_3genE2ELNS1_11target_archE906ELNS1_3gpuE6ELNS1_3repE0EEENS1_30default_config_static_selectorELNS0_4arch9wavefront6targetE0EEEvT1_.kd
    .uniform_work_group_size: 1
    .uses_dynamic_stack: false
    .vgpr_count:     0
    .vgpr_spill_count: 0
    .wavefront_size: 32
    .workgroup_processor_mode: 1
  - .args:
      - .offset:         0
        .size:           112
        .value_kind:     by_value
    .group_segment_fixed_size: 0
    .kernarg_segment_align: 8
    .kernarg_segment_size: 112
    .language:       OpenCL C
    .language_version:
      - 2
      - 0
    .max_flat_workgroup_size: 256
    .name:           _ZN7rocprim17ROCPRIM_400000_NS6detail17trampoline_kernelINS0_14default_configENS1_27scan_by_key_config_selectorIiiEEZZNS1_16scan_by_key_implILNS1_25lookback_scan_determinismE0ELb1ES3_N6thrust23THRUST_200600_302600_NS6detail15normal_iteratorINS9_10device_ptrIiEEEENSB_INSC_IjEEEENSB_INSC_IfEEEEiNS9_4plusIvEENS9_8equal_toIvEEiEE10hipError_tPvRmT2_T3_T4_T5_mT6_T7_P12ihipStream_tbENKUlT_T0_E_clISt17integral_constantIbLb0EES12_IbLb1EEEEDaSY_SZ_EUlSY_E_NS1_11comp_targetILNS1_3genE10ELNS1_11target_archE1200ELNS1_3gpuE4ELNS1_3repE0EEENS1_30default_config_static_selectorELNS0_4arch9wavefront6targetE0EEEvT1_
    .private_segment_fixed_size: 0
    .sgpr_count:     0
    .sgpr_spill_count: 0
    .symbol:         _ZN7rocprim17ROCPRIM_400000_NS6detail17trampoline_kernelINS0_14default_configENS1_27scan_by_key_config_selectorIiiEEZZNS1_16scan_by_key_implILNS1_25lookback_scan_determinismE0ELb1ES3_N6thrust23THRUST_200600_302600_NS6detail15normal_iteratorINS9_10device_ptrIiEEEENSB_INSC_IjEEEENSB_INSC_IfEEEEiNS9_4plusIvEENS9_8equal_toIvEEiEE10hipError_tPvRmT2_T3_T4_T5_mT6_T7_P12ihipStream_tbENKUlT_T0_E_clISt17integral_constantIbLb0EES12_IbLb1EEEEDaSY_SZ_EUlSY_E_NS1_11comp_targetILNS1_3genE10ELNS1_11target_archE1200ELNS1_3gpuE4ELNS1_3repE0EEENS1_30default_config_static_selectorELNS0_4arch9wavefront6targetE0EEEvT1_.kd
    .uniform_work_group_size: 1
    .uses_dynamic_stack: false
    .vgpr_count:     0
    .vgpr_spill_count: 0
    .wavefront_size: 32
    .workgroup_processor_mode: 1
  - .args:
      - .offset:         0
        .size:           112
        .value_kind:     by_value
    .group_segment_fixed_size: 0
    .kernarg_segment_align: 8
    .kernarg_segment_size: 112
    .language:       OpenCL C
    .language_version:
      - 2
      - 0
    .max_flat_workgroup_size: 256
    .name:           _ZN7rocprim17ROCPRIM_400000_NS6detail17trampoline_kernelINS0_14default_configENS1_27scan_by_key_config_selectorIiiEEZZNS1_16scan_by_key_implILNS1_25lookback_scan_determinismE0ELb1ES3_N6thrust23THRUST_200600_302600_NS6detail15normal_iteratorINS9_10device_ptrIiEEEENSB_INSC_IjEEEENSB_INSC_IfEEEEiNS9_4plusIvEENS9_8equal_toIvEEiEE10hipError_tPvRmT2_T3_T4_T5_mT6_T7_P12ihipStream_tbENKUlT_T0_E_clISt17integral_constantIbLb0EES12_IbLb1EEEEDaSY_SZ_EUlSY_E_NS1_11comp_targetILNS1_3genE9ELNS1_11target_archE1100ELNS1_3gpuE3ELNS1_3repE0EEENS1_30default_config_static_selectorELNS0_4arch9wavefront6targetE0EEEvT1_
    .private_segment_fixed_size: 0
    .sgpr_count:     0
    .sgpr_spill_count: 0
    .symbol:         _ZN7rocprim17ROCPRIM_400000_NS6detail17trampoline_kernelINS0_14default_configENS1_27scan_by_key_config_selectorIiiEEZZNS1_16scan_by_key_implILNS1_25lookback_scan_determinismE0ELb1ES3_N6thrust23THRUST_200600_302600_NS6detail15normal_iteratorINS9_10device_ptrIiEEEENSB_INSC_IjEEEENSB_INSC_IfEEEEiNS9_4plusIvEENS9_8equal_toIvEEiEE10hipError_tPvRmT2_T3_T4_T5_mT6_T7_P12ihipStream_tbENKUlT_T0_E_clISt17integral_constantIbLb0EES12_IbLb1EEEEDaSY_SZ_EUlSY_E_NS1_11comp_targetILNS1_3genE9ELNS1_11target_archE1100ELNS1_3gpuE3ELNS1_3repE0EEENS1_30default_config_static_selectorELNS0_4arch9wavefront6targetE0EEEvT1_.kd
    .uniform_work_group_size: 1
    .uses_dynamic_stack: false
    .vgpr_count:     0
    .vgpr_spill_count: 0
    .wavefront_size: 32
    .workgroup_processor_mode: 1
  - .args:
      - .offset:         0
        .size:           112
        .value_kind:     by_value
    .group_segment_fixed_size: 5120
    .kernarg_segment_align: 8
    .kernarg_segment_size: 112
    .language:       OpenCL C
    .language_version:
      - 2
      - 0
    .max_flat_workgroup_size: 256
    .name:           _ZN7rocprim17ROCPRIM_400000_NS6detail17trampoline_kernelINS0_14default_configENS1_27scan_by_key_config_selectorIiiEEZZNS1_16scan_by_key_implILNS1_25lookback_scan_determinismE0ELb1ES3_N6thrust23THRUST_200600_302600_NS6detail15normal_iteratorINS9_10device_ptrIiEEEENSB_INSC_IjEEEENSB_INSC_IfEEEEiNS9_4plusIvEENS9_8equal_toIvEEiEE10hipError_tPvRmT2_T3_T4_T5_mT6_T7_P12ihipStream_tbENKUlT_T0_E_clISt17integral_constantIbLb0EES12_IbLb1EEEEDaSY_SZ_EUlSY_E_NS1_11comp_targetILNS1_3genE8ELNS1_11target_archE1030ELNS1_3gpuE2ELNS1_3repE0EEENS1_30default_config_static_selectorELNS0_4arch9wavefront6targetE0EEEvT1_
    .private_segment_fixed_size: 0
    .sgpr_count:     26
    .sgpr_spill_count: 0
    .symbol:         _ZN7rocprim17ROCPRIM_400000_NS6detail17trampoline_kernelINS0_14default_configENS1_27scan_by_key_config_selectorIiiEEZZNS1_16scan_by_key_implILNS1_25lookback_scan_determinismE0ELb1ES3_N6thrust23THRUST_200600_302600_NS6detail15normal_iteratorINS9_10device_ptrIiEEEENSB_INSC_IjEEEENSB_INSC_IfEEEEiNS9_4plusIvEENS9_8equal_toIvEEiEE10hipError_tPvRmT2_T3_T4_T5_mT6_T7_P12ihipStream_tbENKUlT_T0_E_clISt17integral_constantIbLb0EES12_IbLb1EEEEDaSY_SZ_EUlSY_E_NS1_11comp_targetILNS1_3genE8ELNS1_11target_archE1030ELNS1_3gpuE2ELNS1_3repE0EEENS1_30default_config_static_selectorELNS0_4arch9wavefront6targetE0EEEvT1_.kd
    .uniform_work_group_size: 1
    .uses_dynamic_stack: false
    .vgpr_count:     44
    .vgpr_spill_count: 0
    .wavefront_size: 32
    .workgroup_processor_mode: 1
  - .args:
      - .offset:         0
        .size:           112
        .value_kind:     by_value
    .group_segment_fixed_size: 0
    .kernarg_segment_align: 8
    .kernarg_segment_size: 112
    .language:       OpenCL C
    .language_version:
      - 2
      - 0
    .max_flat_workgroup_size: 256
    .name:           _ZN7rocprim17ROCPRIM_400000_NS6detail17trampoline_kernelINS0_14default_configENS1_27scan_by_key_config_selectorIiiEEZZNS1_16scan_by_key_implILNS1_25lookback_scan_determinismE0ELb1ES3_N6thrust23THRUST_200600_302600_NS6detail15normal_iteratorINS9_10device_ptrIiEEEENSB_INSC_IjEEEESE_iNS9_4plusIvEENS9_8equal_toIvEEiEE10hipError_tPvRmT2_T3_T4_T5_mT6_T7_P12ihipStream_tbENKUlT_T0_E_clISt17integral_constantIbLb0EES11_EEDaSW_SX_EUlSW_E_NS1_11comp_targetILNS1_3genE0ELNS1_11target_archE4294967295ELNS1_3gpuE0ELNS1_3repE0EEENS1_30default_config_static_selectorELNS0_4arch9wavefront6targetE0EEEvT1_
    .private_segment_fixed_size: 0
    .sgpr_count:     0
    .sgpr_spill_count: 0
    .symbol:         _ZN7rocprim17ROCPRIM_400000_NS6detail17trampoline_kernelINS0_14default_configENS1_27scan_by_key_config_selectorIiiEEZZNS1_16scan_by_key_implILNS1_25lookback_scan_determinismE0ELb1ES3_N6thrust23THRUST_200600_302600_NS6detail15normal_iteratorINS9_10device_ptrIiEEEENSB_INSC_IjEEEESE_iNS9_4plusIvEENS9_8equal_toIvEEiEE10hipError_tPvRmT2_T3_T4_T5_mT6_T7_P12ihipStream_tbENKUlT_T0_E_clISt17integral_constantIbLb0EES11_EEDaSW_SX_EUlSW_E_NS1_11comp_targetILNS1_3genE0ELNS1_11target_archE4294967295ELNS1_3gpuE0ELNS1_3repE0EEENS1_30default_config_static_selectorELNS0_4arch9wavefront6targetE0EEEvT1_.kd
    .uniform_work_group_size: 1
    .uses_dynamic_stack: false
    .vgpr_count:     0
    .vgpr_spill_count: 0
    .wavefront_size: 32
    .workgroup_processor_mode: 1
  - .args:
      - .offset:         0
        .size:           112
        .value_kind:     by_value
    .group_segment_fixed_size: 0
    .kernarg_segment_align: 8
    .kernarg_segment_size: 112
    .language:       OpenCL C
    .language_version:
      - 2
      - 0
    .max_flat_workgroup_size: 256
    .name:           _ZN7rocprim17ROCPRIM_400000_NS6detail17trampoline_kernelINS0_14default_configENS1_27scan_by_key_config_selectorIiiEEZZNS1_16scan_by_key_implILNS1_25lookback_scan_determinismE0ELb1ES3_N6thrust23THRUST_200600_302600_NS6detail15normal_iteratorINS9_10device_ptrIiEEEENSB_INSC_IjEEEESE_iNS9_4plusIvEENS9_8equal_toIvEEiEE10hipError_tPvRmT2_T3_T4_T5_mT6_T7_P12ihipStream_tbENKUlT_T0_E_clISt17integral_constantIbLb0EES11_EEDaSW_SX_EUlSW_E_NS1_11comp_targetILNS1_3genE10ELNS1_11target_archE1201ELNS1_3gpuE5ELNS1_3repE0EEENS1_30default_config_static_selectorELNS0_4arch9wavefront6targetE0EEEvT1_
    .private_segment_fixed_size: 0
    .sgpr_count:     0
    .sgpr_spill_count: 0
    .symbol:         _ZN7rocprim17ROCPRIM_400000_NS6detail17trampoline_kernelINS0_14default_configENS1_27scan_by_key_config_selectorIiiEEZZNS1_16scan_by_key_implILNS1_25lookback_scan_determinismE0ELb1ES3_N6thrust23THRUST_200600_302600_NS6detail15normal_iteratorINS9_10device_ptrIiEEEENSB_INSC_IjEEEESE_iNS9_4plusIvEENS9_8equal_toIvEEiEE10hipError_tPvRmT2_T3_T4_T5_mT6_T7_P12ihipStream_tbENKUlT_T0_E_clISt17integral_constantIbLb0EES11_EEDaSW_SX_EUlSW_E_NS1_11comp_targetILNS1_3genE10ELNS1_11target_archE1201ELNS1_3gpuE5ELNS1_3repE0EEENS1_30default_config_static_selectorELNS0_4arch9wavefront6targetE0EEEvT1_.kd
    .uniform_work_group_size: 1
    .uses_dynamic_stack: false
    .vgpr_count:     0
    .vgpr_spill_count: 0
    .wavefront_size: 32
    .workgroup_processor_mode: 1
  - .args:
      - .offset:         0
        .size:           112
        .value_kind:     by_value
    .group_segment_fixed_size: 0
    .kernarg_segment_align: 8
    .kernarg_segment_size: 112
    .language:       OpenCL C
    .language_version:
      - 2
      - 0
    .max_flat_workgroup_size: 256
    .name:           _ZN7rocprim17ROCPRIM_400000_NS6detail17trampoline_kernelINS0_14default_configENS1_27scan_by_key_config_selectorIiiEEZZNS1_16scan_by_key_implILNS1_25lookback_scan_determinismE0ELb1ES3_N6thrust23THRUST_200600_302600_NS6detail15normal_iteratorINS9_10device_ptrIiEEEENSB_INSC_IjEEEESE_iNS9_4plusIvEENS9_8equal_toIvEEiEE10hipError_tPvRmT2_T3_T4_T5_mT6_T7_P12ihipStream_tbENKUlT_T0_E_clISt17integral_constantIbLb0EES11_EEDaSW_SX_EUlSW_E_NS1_11comp_targetILNS1_3genE5ELNS1_11target_archE942ELNS1_3gpuE9ELNS1_3repE0EEENS1_30default_config_static_selectorELNS0_4arch9wavefront6targetE0EEEvT1_
    .private_segment_fixed_size: 0
    .sgpr_count:     0
    .sgpr_spill_count: 0
    .symbol:         _ZN7rocprim17ROCPRIM_400000_NS6detail17trampoline_kernelINS0_14default_configENS1_27scan_by_key_config_selectorIiiEEZZNS1_16scan_by_key_implILNS1_25lookback_scan_determinismE0ELb1ES3_N6thrust23THRUST_200600_302600_NS6detail15normal_iteratorINS9_10device_ptrIiEEEENSB_INSC_IjEEEESE_iNS9_4plusIvEENS9_8equal_toIvEEiEE10hipError_tPvRmT2_T3_T4_T5_mT6_T7_P12ihipStream_tbENKUlT_T0_E_clISt17integral_constantIbLb0EES11_EEDaSW_SX_EUlSW_E_NS1_11comp_targetILNS1_3genE5ELNS1_11target_archE942ELNS1_3gpuE9ELNS1_3repE0EEENS1_30default_config_static_selectorELNS0_4arch9wavefront6targetE0EEEvT1_.kd
    .uniform_work_group_size: 1
    .uses_dynamic_stack: false
    .vgpr_count:     0
    .vgpr_spill_count: 0
    .wavefront_size: 32
    .workgroup_processor_mode: 1
  - .args:
      - .offset:         0
        .size:           112
        .value_kind:     by_value
    .group_segment_fixed_size: 0
    .kernarg_segment_align: 8
    .kernarg_segment_size: 112
    .language:       OpenCL C
    .language_version:
      - 2
      - 0
    .max_flat_workgroup_size: 256
    .name:           _ZN7rocprim17ROCPRIM_400000_NS6detail17trampoline_kernelINS0_14default_configENS1_27scan_by_key_config_selectorIiiEEZZNS1_16scan_by_key_implILNS1_25lookback_scan_determinismE0ELb1ES3_N6thrust23THRUST_200600_302600_NS6detail15normal_iteratorINS9_10device_ptrIiEEEENSB_INSC_IjEEEESE_iNS9_4plusIvEENS9_8equal_toIvEEiEE10hipError_tPvRmT2_T3_T4_T5_mT6_T7_P12ihipStream_tbENKUlT_T0_E_clISt17integral_constantIbLb0EES11_EEDaSW_SX_EUlSW_E_NS1_11comp_targetILNS1_3genE4ELNS1_11target_archE910ELNS1_3gpuE8ELNS1_3repE0EEENS1_30default_config_static_selectorELNS0_4arch9wavefront6targetE0EEEvT1_
    .private_segment_fixed_size: 0
    .sgpr_count:     0
    .sgpr_spill_count: 0
    .symbol:         _ZN7rocprim17ROCPRIM_400000_NS6detail17trampoline_kernelINS0_14default_configENS1_27scan_by_key_config_selectorIiiEEZZNS1_16scan_by_key_implILNS1_25lookback_scan_determinismE0ELb1ES3_N6thrust23THRUST_200600_302600_NS6detail15normal_iteratorINS9_10device_ptrIiEEEENSB_INSC_IjEEEESE_iNS9_4plusIvEENS9_8equal_toIvEEiEE10hipError_tPvRmT2_T3_T4_T5_mT6_T7_P12ihipStream_tbENKUlT_T0_E_clISt17integral_constantIbLb0EES11_EEDaSW_SX_EUlSW_E_NS1_11comp_targetILNS1_3genE4ELNS1_11target_archE910ELNS1_3gpuE8ELNS1_3repE0EEENS1_30default_config_static_selectorELNS0_4arch9wavefront6targetE0EEEvT1_.kd
    .uniform_work_group_size: 1
    .uses_dynamic_stack: false
    .vgpr_count:     0
    .vgpr_spill_count: 0
    .wavefront_size: 32
    .workgroup_processor_mode: 1
  - .args:
      - .offset:         0
        .size:           112
        .value_kind:     by_value
    .group_segment_fixed_size: 0
    .kernarg_segment_align: 8
    .kernarg_segment_size: 112
    .language:       OpenCL C
    .language_version:
      - 2
      - 0
    .max_flat_workgroup_size: 256
    .name:           _ZN7rocprim17ROCPRIM_400000_NS6detail17trampoline_kernelINS0_14default_configENS1_27scan_by_key_config_selectorIiiEEZZNS1_16scan_by_key_implILNS1_25lookback_scan_determinismE0ELb1ES3_N6thrust23THRUST_200600_302600_NS6detail15normal_iteratorINS9_10device_ptrIiEEEENSB_INSC_IjEEEESE_iNS9_4plusIvEENS9_8equal_toIvEEiEE10hipError_tPvRmT2_T3_T4_T5_mT6_T7_P12ihipStream_tbENKUlT_T0_E_clISt17integral_constantIbLb0EES11_EEDaSW_SX_EUlSW_E_NS1_11comp_targetILNS1_3genE3ELNS1_11target_archE908ELNS1_3gpuE7ELNS1_3repE0EEENS1_30default_config_static_selectorELNS0_4arch9wavefront6targetE0EEEvT1_
    .private_segment_fixed_size: 0
    .sgpr_count:     0
    .sgpr_spill_count: 0
    .symbol:         _ZN7rocprim17ROCPRIM_400000_NS6detail17trampoline_kernelINS0_14default_configENS1_27scan_by_key_config_selectorIiiEEZZNS1_16scan_by_key_implILNS1_25lookback_scan_determinismE0ELb1ES3_N6thrust23THRUST_200600_302600_NS6detail15normal_iteratorINS9_10device_ptrIiEEEENSB_INSC_IjEEEESE_iNS9_4plusIvEENS9_8equal_toIvEEiEE10hipError_tPvRmT2_T3_T4_T5_mT6_T7_P12ihipStream_tbENKUlT_T0_E_clISt17integral_constantIbLb0EES11_EEDaSW_SX_EUlSW_E_NS1_11comp_targetILNS1_3genE3ELNS1_11target_archE908ELNS1_3gpuE7ELNS1_3repE0EEENS1_30default_config_static_selectorELNS0_4arch9wavefront6targetE0EEEvT1_.kd
    .uniform_work_group_size: 1
    .uses_dynamic_stack: false
    .vgpr_count:     0
    .vgpr_spill_count: 0
    .wavefront_size: 32
    .workgroup_processor_mode: 1
  - .args:
      - .offset:         0
        .size:           112
        .value_kind:     by_value
    .group_segment_fixed_size: 0
    .kernarg_segment_align: 8
    .kernarg_segment_size: 112
    .language:       OpenCL C
    .language_version:
      - 2
      - 0
    .max_flat_workgroup_size: 256
    .name:           _ZN7rocprim17ROCPRIM_400000_NS6detail17trampoline_kernelINS0_14default_configENS1_27scan_by_key_config_selectorIiiEEZZNS1_16scan_by_key_implILNS1_25lookback_scan_determinismE0ELb1ES3_N6thrust23THRUST_200600_302600_NS6detail15normal_iteratorINS9_10device_ptrIiEEEENSB_INSC_IjEEEESE_iNS9_4plusIvEENS9_8equal_toIvEEiEE10hipError_tPvRmT2_T3_T4_T5_mT6_T7_P12ihipStream_tbENKUlT_T0_E_clISt17integral_constantIbLb0EES11_EEDaSW_SX_EUlSW_E_NS1_11comp_targetILNS1_3genE2ELNS1_11target_archE906ELNS1_3gpuE6ELNS1_3repE0EEENS1_30default_config_static_selectorELNS0_4arch9wavefront6targetE0EEEvT1_
    .private_segment_fixed_size: 0
    .sgpr_count:     0
    .sgpr_spill_count: 0
    .symbol:         _ZN7rocprim17ROCPRIM_400000_NS6detail17trampoline_kernelINS0_14default_configENS1_27scan_by_key_config_selectorIiiEEZZNS1_16scan_by_key_implILNS1_25lookback_scan_determinismE0ELb1ES3_N6thrust23THRUST_200600_302600_NS6detail15normal_iteratorINS9_10device_ptrIiEEEENSB_INSC_IjEEEESE_iNS9_4plusIvEENS9_8equal_toIvEEiEE10hipError_tPvRmT2_T3_T4_T5_mT6_T7_P12ihipStream_tbENKUlT_T0_E_clISt17integral_constantIbLb0EES11_EEDaSW_SX_EUlSW_E_NS1_11comp_targetILNS1_3genE2ELNS1_11target_archE906ELNS1_3gpuE6ELNS1_3repE0EEENS1_30default_config_static_selectorELNS0_4arch9wavefront6targetE0EEEvT1_.kd
    .uniform_work_group_size: 1
    .uses_dynamic_stack: false
    .vgpr_count:     0
    .vgpr_spill_count: 0
    .wavefront_size: 32
    .workgroup_processor_mode: 1
  - .args:
      - .offset:         0
        .size:           112
        .value_kind:     by_value
    .group_segment_fixed_size: 0
    .kernarg_segment_align: 8
    .kernarg_segment_size: 112
    .language:       OpenCL C
    .language_version:
      - 2
      - 0
    .max_flat_workgroup_size: 256
    .name:           _ZN7rocprim17ROCPRIM_400000_NS6detail17trampoline_kernelINS0_14default_configENS1_27scan_by_key_config_selectorIiiEEZZNS1_16scan_by_key_implILNS1_25lookback_scan_determinismE0ELb1ES3_N6thrust23THRUST_200600_302600_NS6detail15normal_iteratorINS9_10device_ptrIiEEEENSB_INSC_IjEEEESE_iNS9_4plusIvEENS9_8equal_toIvEEiEE10hipError_tPvRmT2_T3_T4_T5_mT6_T7_P12ihipStream_tbENKUlT_T0_E_clISt17integral_constantIbLb0EES11_EEDaSW_SX_EUlSW_E_NS1_11comp_targetILNS1_3genE10ELNS1_11target_archE1200ELNS1_3gpuE4ELNS1_3repE0EEENS1_30default_config_static_selectorELNS0_4arch9wavefront6targetE0EEEvT1_
    .private_segment_fixed_size: 0
    .sgpr_count:     0
    .sgpr_spill_count: 0
    .symbol:         _ZN7rocprim17ROCPRIM_400000_NS6detail17trampoline_kernelINS0_14default_configENS1_27scan_by_key_config_selectorIiiEEZZNS1_16scan_by_key_implILNS1_25lookback_scan_determinismE0ELb1ES3_N6thrust23THRUST_200600_302600_NS6detail15normal_iteratorINS9_10device_ptrIiEEEENSB_INSC_IjEEEESE_iNS9_4plusIvEENS9_8equal_toIvEEiEE10hipError_tPvRmT2_T3_T4_T5_mT6_T7_P12ihipStream_tbENKUlT_T0_E_clISt17integral_constantIbLb0EES11_EEDaSW_SX_EUlSW_E_NS1_11comp_targetILNS1_3genE10ELNS1_11target_archE1200ELNS1_3gpuE4ELNS1_3repE0EEENS1_30default_config_static_selectorELNS0_4arch9wavefront6targetE0EEEvT1_.kd
    .uniform_work_group_size: 1
    .uses_dynamic_stack: false
    .vgpr_count:     0
    .vgpr_spill_count: 0
    .wavefront_size: 32
    .workgroup_processor_mode: 1
  - .args:
      - .offset:         0
        .size:           112
        .value_kind:     by_value
    .group_segment_fixed_size: 0
    .kernarg_segment_align: 8
    .kernarg_segment_size: 112
    .language:       OpenCL C
    .language_version:
      - 2
      - 0
    .max_flat_workgroup_size: 256
    .name:           _ZN7rocprim17ROCPRIM_400000_NS6detail17trampoline_kernelINS0_14default_configENS1_27scan_by_key_config_selectorIiiEEZZNS1_16scan_by_key_implILNS1_25lookback_scan_determinismE0ELb1ES3_N6thrust23THRUST_200600_302600_NS6detail15normal_iteratorINS9_10device_ptrIiEEEENSB_INSC_IjEEEESE_iNS9_4plusIvEENS9_8equal_toIvEEiEE10hipError_tPvRmT2_T3_T4_T5_mT6_T7_P12ihipStream_tbENKUlT_T0_E_clISt17integral_constantIbLb0EES11_EEDaSW_SX_EUlSW_E_NS1_11comp_targetILNS1_3genE9ELNS1_11target_archE1100ELNS1_3gpuE3ELNS1_3repE0EEENS1_30default_config_static_selectorELNS0_4arch9wavefront6targetE0EEEvT1_
    .private_segment_fixed_size: 0
    .sgpr_count:     0
    .sgpr_spill_count: 0
    .symbol:         _ZN7rocprim17ROCPRIM_400000_NS6detail17trampoline_kernelINS0_14default_configENS1_27scan_by_key_config_selectorIiiEEZZNS1_16scan_by_key_implILNS1_25lookback_scan_determinismE0ELb1ES3_N6thrust23THRUST_200600_302600_NS6detail15normal_iteratorINS9_10device_ptrIiEEEENSB_INSC_IjEEEESE_iNS9_4plusIvEENS9_8equal_toIvEEiEE10hipError_tPvRmT2_T3_T4_T5_mT6_T7_P12ihipStream_tbENKUlT_T0_E_clISt17integral_constantIbLb0EES11_EEDaSW_SX_EUlSW_E_NS1_11comp_targetILNS1_3genE9ELNS1_11target_archE1100ELNS1_3gpuE3ELNS1_3repE0EEENS1_30default_config_static_selectorELNS0_4arch9wavefront6targetE0EEEvT1_.kd
    .uniform_work_group_size: 1
    .uses_dynamic_stack: false
    .vgpr_count:     0
    .vgpr_spill_count: 0
    .wavefront_size: 32
    .workgroup_processor_mode: 1
  - .args:
      - .offset:         0
        .size:           112
        .value_kind:     by_value
    .group_segment_fixed_size: 5120
    .kernarg_segment_align: 8
    .kernarg_segment_size: 112
    .language:       OpenCL C
    .language_version:
      - 2
      - 0
    .max_flat_workgroup_size: 256
    .name:           _ZN7rocprim17ROCPRIM_400000_NS6detail17trampoline_kernelINS0_14default_configENS1_27scan_by_key_config_selectorIiiEEZZNS1_16scan_by_key_implILNS1_25lookback_scan_determinismE0ELb1ES3_N6thrust23THRUST_200600_302600_NS6detail15normal_iteratorINS9_10device_ptrIiEEEENSB_INSC_IjEEEESE_iNS9_4plusIvEENS9_8equal_toIvEEiEE10hipError_tPvRmT2_T3_T4_T5_mT6_T7_P12ihipStream_tbENKUlT_T0_E_clISt17integral_constantIbLb0EES11_EEDaSW_SX_EUlSW_E_NS1_11comp_targetILNS1_3genE8ELNS1_11target_archE1030ELNS1_3gpuE2ELNS1_3repE0EEENS1_30default_config_static_selectorELNS0_4arch9wavefront6targetE0EEEvT1_
    .private_segment_fixed_size: 0
    .sgpr_count:     32
    .sgpr_spill_count: 0
    .symbol:         _ZN7rocprim17ROCPRIM_400000_NS6detail17trampoline_kernelINS0_14default_configENS1_27scan_by_key_config_selectorIiiEEZZNS1_16scan_by_key_implILNS1_25lookback_scan_determinismE0ELb1ES3_N6thrust23THRUST_200600_302600_NS6detail15normal_iteratorINS9_10device_ptrIiEEEENSB_INSC_IjEEEESE_iNS9_4plusIvEENS9_8equal_toIvEEiEE10hipError_tPvRmT2_T3_T4_T5_mT6_T7_P12ihipStream_tbENKUlT_T0_E_clISt17integral_constantIbLb0EES11_EEDaSW_SX_EUlSW_E_NS1_11comp_targetILNS1_3genE8ELNS1_11target_archE1030ELNS1_3gpuE2ELNS1_3repE0EEENS1_30default_config_static_selectorELNS0_4arch9wavefront6targetE0EEEvT1_.kd
    .uniform_work_group_size: 1
    .uses_dynamic_stack: false
    .vgpr_count:     42
    .vgpr_spill_count: 0
    .wavefront_size: 32
    .workgroup_processor_mode: 1
  - .args:
      - .offset:         0
        .size:           112
        .value_kind:     by_value
    .group_segment_fixed_size: 0
    .kernarg_segment_align: 8
    .kernarg_segment_size: 112
    .language:       OpenCL C
    .language_version:
      - 2
      - 0
    .max_flat_workgroup_size: 256
    .name:           _ZN7rocprim17ROCPRIM_400000_NS6detail17trampoline_kernelINS0_14default_configENS1_27scan_by_key_config_selectorIiiEEZZNS1_16scan_by_key_implILNS1_25lookback_scan_determinismE0ELb1ES3_N6thrust23THRUST_200600_302600_NS6detail15normal_iteratorINS9_10device_ptrIiEEEENSB_INSC_IjEEEESE_iNS9_4plusIvEENS9_8equal_toIvEEiEE10hipError_tPvRmT2_T3_T4_T5_mT6_T7_P12ihipStream_tbENKUlT_T0_E_clISt17integral_constantIbLb1EES11_EEDaSW_SX_EUlSW_E_NS1_11comp_targetILNS1_3genE0ELNS1_11target_archE4294967295ELNS1_3gpuE0ELNS1_3repE0EEENS1_30default_config_static_selectorELNS0_4arch9wavefront6targetE0EEEvT1_
    .private_segment_fixed_size: 0
    .sgpr_count:     0
    .sgpr_spill_count: 0
    .symbol:         _ZN7rocprim17ROCPRIM_400000_NS6detail17trampoline_kernelINS0_14default_configENS1_27scan_by_key_config_selectorIiiEEZZNS1_16scan_by_key_implILNS1_25lookback_scan_determinismE0ELb1ES3_N6thrust23THRUST_200600_302600_NS6detail15normal_iteratorINS9_10device_ptrIiEEEENSB_INSC_IjEEEESE_iNS9_4plusIvEENS9_8equal_toIvEEiEE10hipError_tPvRmT2_T3_T4_T5_mT6_T7_P12ihipStream_tbENKUlT_T0_E_clISt17integral_constantIbLb1EES11_EEDaSW_SX_EUlSW_E_NS1_11comp_targetILNS1_3genE0ELNS1_11target_archE4294967295ELNS1_3gpuE0ELNS1_3repE0EEENS1_30default_config_static_selectorELNS0_4arch9wavefront6targetE0EEEvT1_.kd
    .uniform_work_group_size: 1
    .uses_dynamic_stack: false
    .vgpr_count:     0
    .vgpr_spill_count: 0
    .wavefront_size: 32
    .workgroup_processor_mode: 1
  - .args:
      - .offset:         0
        .size:           112
        .value_kind:     by_value
    .group_segment_fixed_size: 0
    .kernarg_segment_align: 8
    .kernarg_segment_size: 112
    .language:       OpenCL C
    .language_version:
      - 2
      - 0
    .max_flat_workgroup_size: 256
    .name:           _ZN7rocprim17ROCPRIM_400000_NS6detail17trampoline_kernelINS0_14default_configENS1_27scan_by_key_config_selectorIiiEEZZNS1_16scan_by_key_implILNS1_25lookback_scan_determinismE0ELb1ES3_N6thrust23THRUST_200600_302600_NS6detail15normal_iteratorINS9_10device_ptrIiEEEENSB_INSC_IjEEEESE_iNS9_4plusIvEENS9_8equal_toIvEEiEE10hipError_tPvRmT2_T3_T4_T5_mT6_T7_P12ihipStream_tbENKUlT_T0_E_clISt17integral_constantIbLb1EES11_EEDaSW_SX_EUlSW_E_NS1_11comp_targetILNS1_3genE10ELNS1_11target_archE1201ELNS1_3gpuE5ELNS1_3repE0EEENS1_30default_config_static_selectorELNS0_4arch9wavefront6targetE0EEEvT1_
    .private_segment_fixed_size: 0
    .sgpr_count:     0
    .sgpr_spill_count: 0
    .symbol:         _ZN7rocprim17ROCPRIM_400000_NS6detail17trampoline_kernelINS0_14default_configENS1_27scan_by_key_config_selectorIiiEEZZNS1_16scan_by_key_implILNS1_25lookback_scan_determinismE0ELb1ES3_N6thrust23THRUST_200600_302600_NS6detail15normal_iteratorINS9_10device_ptrIiEEEENSB_INSC_IjEEEESE_iNS9_4plusIvEENS9_8equal_toIvEEiEE10hipError_tPvRmT2_T3_T4_T5_mT6_T7_P12ihipStream_tbENKUlT_T0_E_clISt17integral_constantIbLb1EES11_EEDaSW_SX_EUlSW_E_NS1_11comp_targetILNS1_3genE10ELNS1_11target_archE1201ELNS1_3gpuE5ELNS1_3repE0EEENS1_30default_config_static_selectorELNS0_4arch9wavefront6targetE0EEEvT1_.kd
    .uniform_work_group_size: 1
    .uses_dynamic_stack: false
    .vgpr_count:     0
    .vgpr_spill_count: 0
    .wavefront_size: 32
    .workgroup_processor_mode: 1
  - .args:
      - .offset:         0
        .size:           112
        .value_kind:     by_value
    .group_segment_fixed_size: 0
    .kernarg_segment_align: 8
    .kernarg_segment_size: 112
    .language:       OpenCL C
    .language_version:
      - 2
      - 0
    .max_flat_workgroup_size: 256
    .name:           _ZN7rocprim17ROCPRIM_400000_NS6detail17trampoline_kernelINS0_14default_configENS1_27scan_by_key_config_selectorIiiEEZZNS1_16scan_by_key_implILNS1_25lookback_scan_determinismE0ELb1ES3_N6thrust23THRUST_200600_302600_NS6detail15normal_iteratorINS9_10device_ptrIiEEEENSB_INSC_IjEEEESE_iNS9_4plusIvEENS9_8equal_toIvEEiEE10hipError_tPvRmT2_T3_T4_T5_mT6_T7_P12ihipStream_tbENKUlT_T0_E_clISt17integral_constantIbLb1EES11_EEDaSW_SX_EUlSW_E_NS1_11comp_targetILNS1_3genE5ELNS1_11target_archE942ELNS1_3gpuE9ELNS1_3repE0EEENS1_30default_config_static_selectorELNS0_4arch9wavefront6targetE0EEEvT1_
    .private_segment_fixed_size: 0
    .sgpr_count:     0
    .sgpr_spill_count: 0
    .symbol:         _ZN7rocprim17ROCPRIM_400000_NS6detail17trampoline_kernelINS0_14default_configENS1_27scan_by_key_config_selectorIiiEEZZNS1_16scan_by_key_implILNS1_25lookback_scan_determinismE0ELb1ES3_N6thrust23THRUST_200600_302600_NS6detail15normal_iteratorINS9_10device_ptrIiEEEENSB_INSC_IjEEEESE_iNS9_4plusIvEENS9_8equal_toIvEEiEE10hipError_tPvRmT2_T3_T4_T5_mT6_T7_P12ihipStream_tbENKUlT_T0_E_clISt17integral_constantIbLb1EES11_EEDaSW_SX_EUlSW_E_NS1_11comp_targetILNS1_3genE5ELNS1_11target_archE942ELNS1_3gpuE9ELNS1_3repE0EEENS1_30default_config_static_selectorELNS0_4arch9wavefront6targetE0EEEvT1_.kd
    .uniform_work_group_size: 1
    .uses_dynamic_stack: false
    .vgpr_count:     0
    .vgpr_spill_count: 0
    .wavefront_size: 32
    .workgroup_processor_mode: 1
  - .args:
      - .offset:         0
        .size:           112
        .value_kind:     by_value
    .group_segment_fixed_size: 0
    .kernarg_segment_align: 8
    .kernarg_segment_size: 112
    .language:       OpenCL C
    .language_version:
      - 2
      - 0
    .max_flat_workgroup_size: 256
    .name:           _ZN7rocprim17ROCPRIM_400000_NS6detail17trampoline_kernelINS0_14default_configENS1_27scan_by_key_config_selectorIiiEEZZNS1_16scan_by_key_implILNS1_25lookback_scan_determinismE0ELb1ES3_N6thrust23THRUST_200600_302600_NS6detail15normal_iteratorINS9_10device_ptrIiEEEENSB_INSC_IjEEEESE_iNS9_4plusIvEENS9_8equal_toIvEEiEE10hipError_tPvRmT2_T3_T4_T5_mT6_T7_P12ihipStream_tbENKUlT_T0_E_clISt17integral_constantIbLb1EES11_EEDaSW_SX_EUlSW_E_NS1_11comp_targetILNS1_3genE4ELNS1_11target_archE910ELNS1_3gpuE8ELNS1_3repE0EEENS1_30default_config_static_selectorELNS0_4arch9wavefront6targetE0EEEvT1_
    .private_segment_fixed_size: 0
    .sgpr_count:     0
    .sgpr_spill_count: 0
    .symbol:         _ZN7rocprim17ROCPRIM_400000_NS6detail17trampoline_kernelINS0_14default_configENS1_27scan_by_key_config_selectorIiiEEZZNS1_16scan_by_key_implILNS1_25lookback_scan_determinismE0ELb1ES3_N6thrust23THRUST_200600_302600_NS6detail15normal_iteratorINS9_10device_ptrIiEEEENSB_INSC_IjEEEESE_iNS9_4plusIvEENS9_8equal_toIvEEiEE10hipError_tPvRmT2_T3_T4_T5_mT6_T7_P12ihipStream_tbENKUlT_T0_E_clISt17integral_constantIbLb1EES11_EEDaSW_SX_EUlSW_E_NS1_11comp_targetILNS1_3genE4ELNS1_11target_archE910ELNS1_3gpuE8ELNS1_3repE0EEENS1_30default_config_static_selectorELNS0_4arch9wavefront6targetE0EEEvT1_.kd
    .uniform_work_group_size: 1
    .uses_dynamic_stack: false
    .vgpr_count:     0
    .vgpr_spill_count: 0
    .wavefront_size: 32
    .workgroup_processor_mode: 1
  - .args:
      - .offset:         0
        .size:           112
        .value_kind:     by_value
    .group_segment_fixed_size: 0
    .kernarg_segment_align: 8
    .kernarg_segment_size: 112
    .language:       OpenCL C
    .language_version:
      - 2
      - 0
    .max_flat_workgroup_size: 256
    .name:           _ZN7rocprim17ROCPRIM_400000_NS6detail17trampoline_kernelINS0_14default_configENS1_27scan_by_key_config_selectorIiiEEZZNS1_16scan_by_key_implILNS1_25lookback_scan_determinismE0ELb1ES3_N6thrust23THRUST_200600_302600_NS6detail15normal_iteratorINS9_10device_ptrIiEEEENSB_INSC_IjEEEESE_iNS9_4plusIvEENS9_8equal_toIvEEiEE10hipError_tPvRmT2_T3_T4_T5_mT6_T7_P12ihipStream_tbENKUlT_T0_E_clISt17integral_constantIbLb1EES11_EEDaSW_SX_EUlSW_E_NS1_11comp_targetILNS1_3genE3ELNS1_11target_archE908ELNS1_3gpuE7ELNS1_3repE0EEENS1_30default_config_static_selectorELNS0_4arch9wavefront6targetE0EEEvT1_
    .private_segment_fixed_size: 0
    .sgpr_count:     0
    .sgpr_spill_count: 0
    .symbol:         _ZN7rocprim17ROCPRIM_400000_NS6detail17trampoline_kernelINS0_14default_configENS1_27scan_by_key_config_selectorIiiEEZZNS1_16scan_by_key_implILNS1_25lookback_scan_determinismE0ELb1ES3_N6thrust23THRUST_200600_302600_NS6detail15normal_iteratorINS9_10device_ptrIiEEEENSB_INSC_IjEEEESE_iNS9_4plusIvEENS9_8equal_toIvEEiEE10hipError_tPvRmT2_T3_T4_T5_mT6_T7_P12ihipStream_tbENKUlT_T0_E_clISt17integral_constantIbLb1EES11_EEDaSW_SX_EUlSW_E_NS1_11comp_targetILNS1_3genE3ELNS1_11target_archE908ELNS1_3gpuE7ELNS1_3repE0EEENS1_30default_config_static_selectorELNS0_4arch9wavefront6targetE0EEEvT1_.kd
    .uniform_work_group_size: 1
    .uses_dynamic_stack: false
    .vgpr_count:     0
    .vgpr_spill_count: 0
    .wavefront_size: 32
    .workgroup_processor_mode: 1
  - .args:
      - .offset:         0
        .size:           112
        .value_kind:     by_value
    .group_segment_fixed_size: 0
    .kernarg_segment_align: 8
    .kernarg_segment_size: 112
    .language:       OpenCL C
    .language_version:
      - 2
      - 0
    .max_flat_workgroup_size: 256
    .name:           _ZN7rocprim17ROCPRIM_400000_NS6detail17trampoline_kernelINS0_14default_configENS1_27scan_by_key_config_selectorIiiEEZZNS1_16scan_by_key_implILNS1_25lookback_scan_determinismE0ELb1ES3_N6thrust23THRUST_200600_302600_NS6detail15normal_iteratorINS9_10device_ptrIiEEEENSB_INSC_IjEEEESE_iNS9_4plusIvEENS9_8equal_toIvEEiEE10hipError_tPvRmT2_T3_T4_T5_mT6_T7_P12ihipStream_tbENKUlT_T0_E_clISt17integral_constantIbLb1EES11_EEDaSW_SX_EUlSW_E_NS1_11comp_targetILNS1_3genE2ELNS1_11target_archE906ELNS1_3gpuE6ELNS1_3repE0EEENS1_30default_config_static_selectorELNS0_4arch9wavefront6targetE0EEEvT1_
    .private_segment_fixed_size: 0
    .sgpr_count:     0
    .sgpr_spill_count: 0
    .symbol:         _ZN7rocprim17ROCPRIM_400000_NS6detail17trampoline_kernelINS0_14default_configENS1_27scan_by_key_config_selectorIiiEEZZNS1_16scan_by_key_implILNS1_25lookback_scan_determinismE0ELb1ES3_N6thrust23THRUST_200600_302600_NS6detail15normal_iteratorINS9_10device_ptrIiEEEENSB_INSC_IjEEEESE_iNS9_4plusIvEENS9_8equal_toIvEEiEE10hipError_tPvRmT2_T3_T4_T5_mT6_T7_P12ihipStream_tbENKUlT_T0_E_clISt17integral_constantIbLb1EES11_EEDaSW_SX_EUlSW_E_NS1_11comp_targetILNS1_3genE2ELNS1_11target_archE906ELNS1_3gpuE6ELNS1_3repE0EEENS1_30default_config_static_selectorELNS0_4arch9wavefront6targetE0EEEvT1_.kd
    .uniform_work_group_size: 1
    .uses_dynamic_stack: false
    .vgpr_count:     0
    .vgpr_spill_count: 0
    .wavefront_size: 32
    .workgroup_processor_mode: 1
  - .args:
      - .offset:         0
        .size:           112
        .value_kind:     by_value
    .group_segment_fixed_size: 0
    .kernarg_segment_align: 8
    .kernarg_segment_size: 112
    .language:       OpenCL C
    .language_version:
      - 2
      - 0
    .max_flat_workgroup_size: 256
    .name:           _ZN7rocprim17ROCPRIM_400000_NS6detail17trampoline_kernelINS0_14default_configENS1_27scan_by_key_config_selectorIiiEEZZNS1_16scan_by_key_implILNS1_25lookback_scan_determinismE0ELb1ES3_N6thrust23THRUST_200600_302600_NS6detail15normal_iteratorINS9_10device_ptrIiEEEENSB_INSC_IjEEEESE_iNS9_4plusIvEENS9_8equal_toIvEEiEE10hipError_tPvRmT2_T3_T4_T5_mT6_T7_P12ihipStream_tbENKUlT_T0_E_clISt17integral_constantIbLb1EES11_EEDaSW_SX_EUlSW_E_NS1_11comp_targetILNS1_3genE10ELNS1_11target_archE1200ELNS1_3gpuE4ELNS1_3repE0EEENS1_30default_config_static_selectorELNS0_4arch9wavefront6targetE0EEEvT1_
    .private_segment_fixed_size: 0
    .sgpr_count:     0
    .sgpr_spill_count: 0
    .symbol:         _ZN7rocprim17ROCPRIM_400000_NS6detail17trampoline_kernelINS0_14default_configENS1_27scan_by_key_config_selectorIiiEEZZNS1_16scan_by_key_implILNS1_25lookback_scan_determinismE0ELb1ES3_N6thrust23THRUST_200600_302600_NS6detail15normal_iteratorINS9_10device_ptrIiEEEENSB_INSC_IjEEEESE_iNS9_4plusIvEENS9_8equal_toIvEEiEE10hipError_tPvRmT2_T3_T4_T5_mT6_T7_P12ihipStream_tbENKUlT_T0_E_clISt17integral_constantIbLb1EES11_EEDaSW_SX_EUlSW_E_NS1_11comp_targetILNS1_3genE10ELNS1_11target_archE1200ELNS1_3gpuE4ELNS1_3repE0EEENS1_30default_config_static_selectorELNS0_4arch9wavefront6targetE0EEEvT1_.kd
    .uniform_work_group_size: 1
    .uses_dynamic_stack: false
    .vgpr_count:     0
    .vgpr_spill_count: 0
    .wavefront_size: 32
    .workgroup_processor_mode: 1
  - .args:
      - .offset:         0
        .size:           112
        .value_kind:     by_value
    .group_segment_fixed_size: 0
    .kernarg_segment_align: 8
    .kernarg_segment_size: 112
    .language:       OpenCL C
    .language_version:
      - 2
      - 0
    .max_flat_workgroup_size: 256
    .name:           _ZN7rocprim17ROCPRIM_400000_NS6detail17trampoline_kernelINS0_14default_configENS1_27scan_by_key_config_selectorIiiEEZZNS1_16scan_by_key_implILNS1_25lookback_scan_determinismE0ELb1ES3_N6thrust23THRUST_200600_302600_NS6detail15normal_iteratorINS9_10device_ptrIiEEEENSB_INSC_IjEEEESE_iNS9_4plusIvEENS9_8equal_toIvEEiEE10hipError_tPvRmT2_T3_T4_T5_mT6_T7_P12ihipStream_tbENKUlT_T0_E_clISt17integral_constantIbLb1EES11_EEDaSW_SX_EUlSW_E_NS1_11comp_targetILNS1_3genE9ELNS1_11target_archE1100ELNS1_3gpuE3ELNS1_3repE0EEENS1_30default_config_static_selectorELNS0_4arch9wavefront6targetE0EEEvT1_
    .private_segment_fixed_size: 0
    .sgpr_count:     0
    .sgpr_spill_count: 0
    .symbol:         _ZN7rocprim17ROCPRIM_400000_NS6detail17trampoline_kernelINS0_14default_configENS1_27scan_by_key_config_selectorIiiEEZZNS1_16scan_by_key_implILNS1_25lookback_scan_determinismE0ELb1ES3_N6thrust23THRUST_200600_302600_NS6detail15normal_iteratorINS9_10device_ptrIiEEEENSB_INSC_IjEEEESE_iNS9_4plusIvEENS9_8equal_toIvEEiEE10hipError_tPvRmT2_T3_T4_T5_mT6_T7_P12ihipStream_tbENKUlT_T0_E_clISt17integral_constantIbLb1EES11_EEDaSW_SX_EUlSW_E_NS1_11comp_targetILNS1_3genE9ELNS1_11target_archE1100ELNS1_3gpuE3ELNS1_3repE0EEENS1_30default_config_static_selectorELNS0_4arch9wavefront6targetE0EEEvT1_.kd
    .uniform_work_group_size: 1
    .uses_dynamic_stack: false
    .vgpr_count:     0
    .vgpr_spill_count: 0
    .wavefront_size: 32
    .workgroup_processor_mode: 1
  - .args:
      - .offset:         0
        .size:           112
        .value_kind:     by_value
    .group_segment_fixed_size: 0
    .kernarg_segment_align: 8
    .kernarg_segment_size: 112
    .language:       OpenCL C
    .language_version:
      - 2
      - 0
    .max_flat_workgroup_size: 256
    .name:           _ZN7rocprim17ROCPRIM_400000_NS6detail17trampoline_kernelINS0_14default_configENS1_27scan_by_key_config_selectorIiiEEZZNS1_16scan_by_key_implILNS1_25lookback_scan_determinismE0ELb1ES3_N6thrust23THRUST_200600_302600_NS6detail15normal_iteratorINS9_10device_ptrIiEEEENSB_INSC_IjEEEESE_iNS9_4plusIvEENS9_8equal_toIvEEiEE10hipError_tPvRmT2_T3_T4_T5_mT6_T7_P12ihipStream_tbENKUlT_T0_E_clISt17integral_constantIbLb1EES11_EEDaSW_SX_EUlSW_E_NS1_11comp_targetILNS1_3genE8ELNS1_11target_archE1030ELNS1_3gpuE2ELNS1_3repE0EEENS1_30default_config_static_selectorELNS0_4arch9wavefront6targetE0EEEvT1_
    .private_segment_fixed_size: 0
    .sgpr_count:     0
    .sgpr_spill_count: 0
    .symbol:         _ZN7rocprim17ROCPRIM_400000_NS6detail17trampoline_kernelINS0_14default_configENS1_27scan_by_key_config_selectorIiiEEZZNS1_16scan_by_key_implILNS1_25lookback_scan_determinismE0ELb1ES3_N6thrust23THRUST_200600_302600_NS6detail15normal_iteratorINS9_10device_ptrIiEEEENSB_INSC_IjEEEESE_iNS9_4plusIvEENS9_8equal_toIvEEiEE10hipError_tPvRmT2_T3_T4_T5_mT6_T7_P12ihipStream_tbENKUlT_T0_E_clISt17integral_constantIbLb1EES11_EEDaSW_SX_EUlSW_E_NS1_11comp_targetILNS1_3genE8ELNS1_11target_archE1030ELNS1_3gpuE2ELNS1_3repE0EEENS1_30default_config_static_selectorELNS0_4arch9wavefront6targetE0EEEvT1_.kd
    .uniform_work_group_size: 1
    .uses_dynamic_stack: false
    .vgpr_count:     0
    .vgpr_spill_count: 0
    .wavefront_size: 32
    .workgroup_processor_mode: 1
  - .args:
      - .offset:         0
        .size:           112
        .value_kind:     by_value
    .group_segment_fixed_size: 0
    .kernarg_segment_align: 8
    .kernarg_segment_size: 112
    .language:       OpenCL C
    .language_version:
      - 2
      - 0
    .max_flat_workgroup_size: 256
    .name:           _ZN7rocprim17ROCPRIM_400000_NS6detail17trampoline_kernelINS0_14default_configENS1_27scan_by_key_config_selectorIiiEEZZNS1_16scan_by_key_implILNS1_25lookback_scan_determinismE0ELb1ES3_N6thrust23THRUST_200600_302600_NS6detail15normal_iteratorINS9_10device_ptrIiEEEENSB_INSC_IjEEEESE_iNS9_4plusIvEENS9_8equal_toIvEEiEE10hipError_tPvRmT2_T3_T4_T5_mT6_T7_P12ihipStream_tbENKUlT_T0_E_clISt17integral_constantIbLb1EES10_IbLb0EEEEDaSW_SX_EUlSW_E_NS1_11comp_targetILNS1_3genE0ELNS1_11target_archE4294967295ELNS1_3gpuE0ELNS1_3repE0EEENS1_30default_config_static_selectorELNS0_4arch9wavefront6targetE0EEEvT1_
    .private_segment_fixed_size: 0
    .sgpr_count:     0
    .sgpr_spill_count: 0
    .symbol:         _ZN7rocprim17ROCPRIM_400000_NS6detail17trampoline_kernelINS0_14default_configENS1_27scan_by_key_config_selectorIiiEEZZNS1_16scan_by_key_implILNS1_25lookback_scan_determinismE0ELb1ES3_N6thrust23THRUST_200600_302600_NS6detail15normal_iteratorINS9_10device_ptrIiEEEENSB_INSC_IjEEEESE_iNS9_4plusIvEENS9_8equal_toIvEEiEE10hipError_tPvRmT2_T3_T4_T5_mT6_T7_P12ihipStream_tbENKUlT_T0_E_clISt17integral_constantIbLb1EES10_IbLb0EEEEDaSW_SX_EUlSW_E_NS1_11comp_targetILNS1_3genE0ELNS1_11target_archE4294967295ELNS1_3gpuE0ELNS1_3repE0EEENS1_30default_config_static_selectorELNS0_4arch9wavefront6targetE0EEEvT1_.kd
    .uniform_work_group_size: 1
    .uses_dynamic_stack: false
    .vgpr_count:     0
    .vgpr_spill_count: 0
    .wavefront_size: 32
    .workgroup_processor_mode: 1
  - .args:
      - .offset:         0
        .size:           112
        .value_kind:     by_value
    .group_segment_fixed_size: 0
    .kernarg_segment_align: 8
    .kernarg_segment_size: 112
    .language:       OpenCL C
    .language_version:
      - 2
      - 0
    .max_flat_workgroup_size: 256
    .name:           _ZN7rocprim17ROCPRIM_400000_NS6detail17trampoline_kernelINS0_14default_configENS1_27scan_by_key_config_selectorIiiEEZZNS1_16scan_by_key_implILNS1_25lookback_scan_determinismE0ELb1ES3_N6thrust23THRUST_200600_302600_NS6detail15normal_iteratorINS9_10device_ptrIiEEEENSB_INSC_IjEEEESE_iNS9_4plusIvEENS9_8equal_toIvEEiEE10hipError_tPvRmT2_T3_T4_T5_mT6_T7_P12ihipStream_tbENKUlT_T0_E_clISt17integral_constantIbLb1EES10_IbLb0EEEEDaSW_SX_EUlSW_E_NS1_11comp_targetILNS1_3genE10ELNS1_11target_archE1201ELNS1_3gpuE5ELNS1_3repE0EEENS1_30default_config_static_selectorELNS0_4arch9wavefront6targetE0EEEvT1_
    .private_segment_fixed_size: 0
    .sgpr_count:     0
    .sgpr_spill_count: 0
    .symbol:         _ZN7rocprim17ROCPRIM_400000_NS6detail17trampoline_kernelINS0_14default_configENS1_27scan_by_key_config_selectorIiiEEZZNS1_16scan_by_key_implILNS1_25lookback_scan_determinismE0ELb1ES3_N6thrust23THRUST_200600_302600_NS6detail15normal_iteratorINS9_10device_ptrIiEEEENSB_INSC_IjEEEESE_iNS9_4plusIvEENS9_8equal_toIvEEiEE10hipError_tPvRmT2_T3_T4_T5_mT6_T7_P12ihipStream_tbENKUlT_T0_E_clISt17integral_constantIbLb1EES10_IbLb0EEEEDaSW_SX_EUlSW_E_NS1_11comp_targetILNS1_3genE10ELNS1_11target_archE1201ELNS1_3gpuE5ELNS1_3repE0EEENS1_30default_config_static_selectorELNS0_4arch9wavefront6targetE0EEEvT1_.kd
    .uniform_work_group_size: 1
    .uses_dynamic_stack: false
    .vgpr_count:     0
    .vgpr_spill_count: 0
    .wavefront_size: 32
    .workgroup_processor_mode: 1
  - .args:
      - .offset:         0
        .size:           112
        .value_kind:     by_value
    .group_segment_fixed_size: 0
    .kernarg_segment_align: 8
    .kernarg_segment_size: 112
    .language:       OpenCL C
    .language_version:
      - 2
      - 0
    .max_flat_workgroup_size: 256
    .name:           _ZN7rocprim17ROCPRIM_400000_NS6detail17trampoline_kernelINS0_14default_configENS1_27scan_by_key_config_selectorIiiEEZZNS1_16scan_by_key_implILNS1_25lookback_scan_determinismE0ELb1ES3_N6thrust23THRUST_200600_302600_NS6detail15normal_iteratorINS9_10device_ptrIiEEEENSB_INSC_IjEEEESE_iNS9_4plusIvEENS9_8equal_toIvEEiEE10hipError_tPvRmT2_T3_T4_T5_mT6_T7_P12ihipStream_tbENKUlT_T0_E_clISt17integral_constantIbLb1EES10_IbLb0EEEEDaSW_SX_EUlSW_E_NS1_11comp_targetILNS1_3genE5ELNS1_11target_archE942ELNS1_3gpuE9ELNS1_3repE0EEENS1_30default_config_static_selectorELNS0_4arch9wavefront6targetE0EEEvT1_
    .private_segment_fixed_size: 0
    .sgpr_count:     0
    .sgpr_spill_count: 0
    .symbol:         _ZN7rocprim17ROCPRIM_400000_NS6detail17trampoline_kernelINS0_14default_configENS1_27scan_by_key_config_selectorIiiEEZZNS1_16scan_by_key_implILNS1_25lookback_scan_determinismE0ELb1ES3_N6thrust23THRUST_200600_302600_NS6detail15normal_iteratorINS9_10device_ptrIiEEEENSB_INSC_IjEEEESE_iNS9_4plusIvEENS9_8equal_toIvEEiEE10hipError_tPvRmT2_T3_T4_T5_mT6_T7_P12ihipStream_tbENKUlT_T0_E_clISt17integral_constantIbLb1EES10_IbLb0EEEEDaSW_SX_EUlSW_E_NS1_11comp_targetILNS1_3genE5ELNS1_11target_archE942ELNS1_3gpuE9ELNS1_3repE0EEENS1_30default_config_static_selectorELNS0_4arch9wavefront6targetE0EEEvT1_.kd
    .uniform_work_group_size: 1
    .uses_dynamic_stack: false
    .vgpr_count:     0
    .vgpr_spill_count: 0
    .wavefront_size: 32
    .workgroup_processor_mode: 1
  - .args:
      - .offset:         0
        .size:           112
        .value_kind:     by_value
    .group_segment_fixed_size: 0
    .kernarg_segment_align: 8
    .kernarg_segment_size: 112
    .language:       OpenCL C
    .language_version:
      - 2
      - 0
    .max_flat_workgroup_size: 256
    .name:           _ZN7rocprim17ROCPRIM_400000_NS6detail17trampoline_kernelINS0_14default_configENS1_27scan_by_key_config_selectorIiiEEZZNS1_16scan_by_key_implILNS1_25lookback_scan_determinismE0ELb1ES3_N6thrust23THRUST_200600_302600_NS6detail15normal_iteratorINS9_10device_ptrIiEEEENSB_INSC_IjEEEESE_iNS9_4plusIvEENS9_8equal_toIvEEiEE10hipError_tPvRmT2_T3_T4_T5_mT6_T7_P12ihipStream_tbENKUlT_T0_E_clISt17integral_constantIbLb1EES10_IbLb0EEEEDaSW_SX_EUlSW_E_NS1_11comp_targetILNS1_3genE4ELNS1_11target_archE910ELNS1_3gpuE8ELNS1_3repE0EEENS1_30default_config_static_selectorELNS0_4arch9wavefront6targetE0EEEvT1_
    .private_segment_fixed_size: 0
    .sgpr_count:     0
    .sgpr_spill_count: 0
    .symbol:         _ZN7rocprim17ROCPRIM_400000_NS6detail17trampoline_kernelINS0_14default_configENS1_27scan_by_key_config_selectorIiiEEZZNS1_16scan_by_key_implILNS1_25lookback_scan_determinismE0ELb1ES3_N6thrust23THRUST_200600_302600_NS6detail15normal_iteratorINS9_10device_ptrIiEEEENSB_INSC_IjEEEESE_iNS9_4plusIvEENS9_8equal_toIvEEiEE10hipError_tPvRmT2_T3_T4_T5_mT6_T7_P12ihipStream_tbENKUlT_T0_E_clISt17integral_constantIbLb1EES10_IbLb0EEEEDaSW_SX_EUlSW_E_NS1_11comp_targetILNS1_3genE4ELNS1_11target_archE910ELNS1_3gpuE8ELNS1_3repE0EEENS1_30default_config_static_selectorELNS0_4arch9wavefront6targetE0EEEvT1_.kd
    .uniform_work_group_size: 1
    .uses_dynamic_stack: false
    .vgpr_count:     0
    .vgpr_spill_count: 0
    .wavefront_size: 32
    .workgroup_processor_mode: 1
  - .args:
      - .offset:         0
        .size:           112
        .value_kind:     by_value
    .group_segment_fixed_size: 0
    .kernarg_segment_align: 8
    .kernarg_segment_size: 112
    .language:       OpenCL C
    .language_version:
      - 2
      - 0
    .max_flat_workgroup_size: 256
    .name:           _ZN7rocprim17ROCPRIM_400000_NS6detail17trampoline_kernelINS0_14default_configENS1_27scan_by_key_config_selectorIiiEEZZNS1_16scan_by_key_implILNS1_25lookback_scan_determinismE0ELb1ES3_N6thrust23THRUST_200600_302600_NS6detail15normal_iteratorINS9_10device_ptrIiEEEENSB_INSC_IjEEEESE_iNS9_4plusIvEENS9_8equal_toIvEEiEE10hipError_tPvRmT2_T3_T4_T5_mT6_T7_P12ihipStream_tbENKUlT_T0_E_clISt17integral_constantIbLb1EES10_IbLb0EEEEDaSW_SX_EUlSW_E_NS1_11comp_targetILNS1_3genE3ELNS1_11target_archE908ELNS1_3gpuE7ELNS1_3repE0EEENS1_30default_config_static_selectorELNS0_4arch9wavefront6targetE0EEEvT1_
    .private_segment_fixed_size: 0
    .sgpr_count:     0
    .sgpr_spill_count: 0
    .symbol:         _ZN7rocprim17ROCPRIM_400000_NS6detail17trampoline_kernelINS0_14default_configENS1_27scan_by_key_config_selectorIiiEEZZNS1_16scan_by_key_implILNS1_25lookback_scan_determinismE0ELb1ES3_N6thrust23THRUST_200600_302600_NS6detail15normal_iteratorINS9_10device_ptrIiEEEENSB_INSC_IjEEEESE_iNS9_4plusIvEENS9_8equal_toIvEEiEE10hipError_tPvRmT2_T3_T4_T5_mT6_T7_P12ihipStream_tbENKUlT_T0_E_clISt17integral_constantIbLb1EES10_IbLb0EEEEDaSW_SX_EUlSW_E_NS1_11comp_targetILNS1_3genE3ELNS1_11target_archE908ELNS1_3gpuE7ELNS1_3repE0EEENS1_30default_config_static_selectorELNS0_4arch9wavefront6targetE0EEEvT1_.kd
    .uniform_work_group_size: 1
    .uses_dynamic_stack: false
    .vgpr_count:     0
    .vgpr_spill_count: 0
    .wavefront_size: 32
    .workgroup_processor_mode: 1
  - .args:
      - .offset:         0
        .size:           112
        .value_kind:     by_value
    .group_segment_fixed_size: 0
    .kernarg_segment_align: 8
    .kernarg_segment_size: 112
    .language:       OpenCL C
    .language_version:
      - 2
      - 0
    .max_flat_workgroup_size: 256
    .name:           _ZN7rocprim17ROCPRIM_400000_NS6detail17trampoline_kernelINS0_14default_configENS1_27scan_by_key_config_selectorIiiEEZZNS1_16scan_by_key_implILNS1_25lookback_scan_determinismE0ELb1ES3_N6thrust23THRUST_200600_302600_NS6detail15normal_iteratorINS9_10device_ptrIiEEEENSB_INSC_IjEEEESE_iNS9_4plusIvEENS9_8equal_toIvEEiEE10hipError_tPvRmT2_T3_T4_T5_mT6_T7_P12ihipStream_tbENKUlT_T0_E_clISt17integral_constantIbLb1EES10_IbLb0EEEEDaSW_SX_EUlSW_E_NS1_11comp_targetILNS1_3genE2ELNS1_11target_archE906ELNS1_3gpuE6ELNS1_3repE0EEENS1_30default_config_static_selectorELNS0_4arch9wavefront6targetE0EEEvT1_
    .private_segment_fixed_size: 0
    .sgpr_count:     0
    .sgpr_spill_count: 0
    .symbol:         _ZN7rocprim17ROCPRIM_400000_NS6detail17trampoline_kernelINS0_14default_configENS1_27scan_by_key_config_selectorIiiEEZZNS1_16scan_by_key_implILNS1_25lookback_scan_determinismE0ELb1ES3_N6thrust23THRUST_200600_302600_NS6detail15normal_iteratorINS9_10device_ptrIiEEEENSB_INSC_IjEEEESE_iNS9_4plusIvEENS9_8equal_toIvEEiEE10hipError_tPvRmT2_T3_T4_T5_mT6_T7_P12ihipStream_tbENKUlT_T0_E_clISt17integral_constantIbLb1EES10_IbLb0EEEEDaSW_SX_EUlSW_E_NS1_11comp_targetILNS1_3genE2ELNS1_11target_archE906ELNS1_3gpuE6ELNS1_3repE0EEENS1_30default_config_static_selectorELNS0_4arch9wavefront6targetE0EEEvT1_.kd
    .uniform_work_group_size: 1
    .uses_dynamic_stack: false
    .vgpr_count:     0
    .vgpr_spill_count: 0
    .wavefront_size: 32
    .workgroup_processor_mode: 1
  - .args:
      - .offset:         0
        .size:           112
        .value_kind:     by_value
    .group_segment_fixed_size: 0
    .kernarg_segment_align: 8
    .kernarg_segment_size: 112
    .language:       OpenCL C
    .language_version:
      - 2
      - 0
    .max_flat_workgroup_size: 256
    .name:           _ZN7rocprim17ROCPRIM_400000_NS6detail17trampoline_kernelINS0_14default_configENS1_27scan_by_key_config_selectorIiiEEZZNS1_16scan_by_key_implILNS1_25lookback_scan_determinismE0ELb1ES3_N6thrust23THRUST_200600_302600_NS6detail15normal_iteratorINS9_10device_ptrIiEEEENSB_INSC_IjEEEESE_iNS9_4plusIvEENS9_8equal_toIvEEiEE10hipError_tPvRmT2_T3_T4_T5_mT6_T7_P12ihipStream_tbENKUlT_T0_E_clISt17integral_constantIbLb1EES10_IbLb0EEEEDaSW_SX_EUlSW_E_NS1_11comp_targetILNS1_3genE10ELNS1_11target_archE1200ELNS1_3gpuE4ELNS1_3repE0EEENS1_30default_config_static_selectorELNS0_4arch9wavefront6targetE0EEEvT1_
    .private_segment_fixed_size: 0
    .sgpr_count:     0
    .sgpr_spill_count: 0
    .symbol:         _ZN7rocprim17ROCPRIM_400000_NS6detail17trampoline_kernelINS0_14default_configENS1_27scan_by_key_config_selectorIiiEEZZNS1_16scan_by_key_implILNS1_25lookback_scan_determinismE0ELb1ES3_N6thrust23THRUST_200600_302600_NS6detail15normal_iteratorINS9_10device_ptrIiEEEENSB_INSC_IjEEEESE_iNS9_4plusIvEENS9_8equal_toIvEEiEE10hipError_tPvRmT2_T3_T4_T5_mT6_T7_P12ihipStream_tbENKUlT_T0_E_clISt17integral_constantIbLb1EES10_IbLb0EEEEDaSW_SX_EUlSW_E_NS1_11comp_targetILNS1_3genE10ELNS1_11target_archE1200ELNS1_3gpuE4ELNS1_3repE0EEENS1_30default_config_static_selectorELNS0_4arch9wavefront6targetE0EEEvT1_.kd
    .uniform_work_group_size: 1
    .uses_dynamic_stack: false
    .vgpr_count:     0
    .vgpr_spill_count: 0
    .wavefront_size: 32
    .workgroup_processor_mode: 1
  - .args:
      - .offset:         0
        .size:           112
        .value_kind:     by_value
    .group_segment_fixed_size: 0
    .kernarg_segment_align: 8
    .kernarg_segment_size: 112
    .language:       OpenCL C
    .language_version:
      - 2
      - 0
    .max_flat_workgroup_size: 256
    .name:           _ZN7rocprim17ROCPRIM_400000_NS6detail17trampoline_kernelINS0_14default_configENS1_27scan_by_key_config_selectorIiiEEZZNS1_16scan_by_key_implILNS1_25lookback_scan_determinismE0ELb1ES3_N6thrust23THRUST_200600_302600_NS6detail15normal_iteratorINS9_10device_ptrIiEEEENSB_INSC_IjEEEESE_iNS9_4plusIvEENS9_8equal_toIvEEiEE10hipError_tPvRmT2_T3_T4_T5_mT6_T7_P12ihipStream_tbENKUlT_T0_E_clISt17integral_constantIbLb1EES10_IbLb0EEEEDaSW_SX_EUlSW_E_NS1_11comp_targetILNS1_3genE9ELNS1_11target_archE1100ELNS1_3gpuE3ELNS1_3repE0EEENS1_30default_config_static_selectorELNS0_4arch9wavefront6targetE0EEEvT1_
    .private_segment_fixed_size: 0
    .sgpr_count:     0
    .sgpr_spill_count: 0
    .symbol:         _ZN7rocprim17ROCPRIM_400000_NS6detail17trampoline_kernelINS0_14default_configENS1_27scan_by_key_config_selectorIiiEEZZNS1_16scan_by_key_implILNS1_25lookback_scan_determinismE0ELb1ES3_N6thrust23THRUST_200600_302600_NS6detail15normal_iteratorINS9_10device_ptrIiEEEENSB_INSC_IjEEEESE_iNS9_4plusIvEENS9_8equal_toIvEEiEE10hipError_tPvRmT2_T3_T4_T5_mT6_T7_P12ihipStream_tbENKUlT_T0_E_clISt17integral_constantIbLb1EES10_IbLb0EEEEDaSW_SX_EUlSW_E_NS1_11comp_targetILNS1_3genE9ELNS1_11target_archE1100ELNS1_3gpuE3ELNS1_3repE0EEENS1_30default_config_static_selectorELNS0_4arch9wavefront6targetE0EEEvT1_.kd
    .uniform_work_group_size: 1
    .uses_dynamic_stack: false
    .vgpr_count:     0
    .vgpr_spill_count: 0
    .wavefront_size: 32
    .workgroup_processor_mode: 1
  - .args:
      - .offset:         0
        .size:           112
        .value_kind:     by_value
    .group_segment_fixed_size: 0
    .kernarg_segment_align: 8
    .kernarg_segment_size: 112
    .language:       OpenCL C
    .language_version:
      - 2
      - 0
    .max_flat_workgroup_size: 256
    .name:           _ZN7rocprim17ROCPRIM_400000_NS6detail17trampoline_kernelINS0_14default_configENS1_27scan_by_key_config_selectorIiiEEZZNS1_16scan_by_key_implILNS1_25lookback_scan_determinismE0ELb1ES3_N6thrust23THRUST_200600_302600_NS6detail15normal_iteratorINS9_10device_ptrIiEEEENSB_INSC_IjEEEESE_iNS9_4plusIvEENS9_8equal_toIvEEiEE10hipError_tPvRmT2_T3_T4_T5_mT6_T7_P12ihipStream_tbENKUlT_T0_E_clISt17integral_constantIbLb1EES10_IbLb0EEEEDaSW_SX_EUlSW_E_NS1_11comp_targetILNS1_3genE8ELNS1_11target_archE1030ELNS1_3gpuE2ELNS1_3repE0EEENS1_30default_config_static_selectorELNS0_4arch9wavefront6targetE0EEEvT1_
    .private_segment_fixed_size: 0
    .sgpr_count:     0
    .sgpr_spill_count: 0
    .symbol:         _ZN7rocprim17ROCPRIM_400000_NS6detail17trampoline_kernelINS0_14default_configENS1_27scan_by_key_config_selectorIiiEEZZNS1_16scan_by_key_implILNS1_25lookback_scan_determinismE0ELb1ES3_N6thrust23THRUST_200600_302600_NS6detail15normal_iteratorINS9_10device_ptrIiEEEENSB_INSC_IjEEEESE_iNS9_4plusIvEENS9_8equal_toIvEEiEE10hipError_tPvRmT2_T3_T4_T5_mT6_T7_P12ihipStream_tbENKUlT_T0_E_clISt17integral_constantIbLb1EES10_IbLb0EEEEDaSW_SX_EUlSW_E_NS1_11comp_targetILNS1_3genE8ELNS1_11target_archE1030ELNS1_3gpuE2ELNS1_3repE0EEENS1_30default_config_static_selectorELNS0_4arch9wavefront6targetE0EEEvT1_.kd
    .uniform_work_group_size: 1
    .uses_dynamic_stack: false
    .vgpr_count:     0
    .vgpr_spill_count: 0
    .wavefront_size: 32
    .workgroup_processor_mode: 1
  - .args:
      - .offset:         0
        .size:           112
        .value_kind:     by_value
    .group_segment_fixed_size: 0
    .kernarg_segment_align: 8
    .kernarg_segment_size: 112
    .language:       OpenCL C
    .language_version:
      - 2
      - 0
    .max_flat_workgroup_size: 256
    .name:           _ZN7rocprim17ROCPRIM_400000_NS6detail17trampoline_kernelINS0_14default_configENS1_27scan_by_key_config_selectorIiiEEZZNS1_16scan_by_key_implILNS1_25lookback_scan_determinismE0ELb1ES3_N6thrust23THRUST_200600_302600_NS6detail15normal_iteratorINS9_10device_ptrIiEEEENSB_INSC_IjEEEESE_iNS9_4plusIvEENS9_8equal_toIvEEiEE10hipError_tPvRmT2_T3_T4_T5_mT6_T7_P12ihipStream_tbENKUlT_T0_E_clISt17integral_constantIbLb0EES10_IbLb1EEEEDaSW_SX_EUlSW_E_NS1_11comp_targetILNS1_3genE0ELNS1_11target_archE4294967295ELNS1_3gpuE0ELNS1_3repE0EEENS1_30default_config_static_selectorELNS0_4arch9wavefront6targetE0EEEvT1_
    .private_segment_fixed_size: 0
    .sgpr_count:     0
    .sgpr_spill_count: 0
    .symbol:         _ZN7rocprim17ROCPRIM_400000_NS6detail17trampoline_kernelINS0_14default_configENS1_27scan_by_key_config_selectorIiiEEZZNS1_16scan_by_key_implILNS1_25lookback_scan_determinismE0ELb1ES3_N6thrust23THRUST_200600_302600_NS6detail15normal_iteratorINS9_10device_ptrIiEEEENSB_INSC_IjEEEESE_iNS9_4plusIvEENS9_8equal_toIvEEiEE10hipError_tPvRmT2_T3_T4_T5_mT6_T7_P12ihipStream_tbENKUlT_T0_E_clISt17integral_constantIbLb0EES10_IbLb1EEEEDaSW_SX_EUlSW_E_NS1_11comp_targetILNS1_3genE0ELNS1_11target_archE4294967295ELNS1_3gpuE0ELNS1_3repE0EEENS1_30default_config_static_selectorELNS0_4arch9wavefront6targetE0EEEvT1_.kd
    .uniform_work_group_size: 1
    .uses_dynamic_stack: false
    .vgpr_count:     0
    .vgpr_spill_count: 0
    .wavefront_size: 32
    .workgroup_processor_mode: 1
  - .args:
      - .offset:         0
        .size:           112
        .value_kind:     by_value
    .group_segment_fixed_size: 0
    .kernarg_segment_align: 8
    .kernarg_segment_size: 112
    .language:       OpenCL C
    .language_version:
      - 2
      - 0
    .max_flat_workgroup_size: 256
    .name:           _ZN7rocprim17ROCPRIM_400000_NS6detail17trampoline_kernelINS0_14default_configENS1_27scan_by_key_config_selectorIiiEEZZNS1_16scan_by_key_implILNS1_25lookback_scan_determinismE0ELb1ES3_N6thrust23THRUST_200600_302600_NS6detail15normal_iteratorINS9_10device_ptrIiEEEENSB_INSC_IjEEEESE_iNS9_4plusIvEENS9_8equal_toIvEEiEE10hipError_tPvRmT2_T3_T4_T5_mT6_T7_P12ihipStream_tbENKUlT_T0_E_clISt17integral_constantIbLb0EES10_IbLb1EEEEDaSW_SX_EUlSW_E_NS1_11comp_targetILNS1_3genE10ELNS1_11target_archE1201ELNS1_3gpuE5ELNS1_3repE0EEENS1_30default_config_static_selectorELNS0_4arch9wavefront6targetE0EEEvT1_
    .private_segment_fixed_size: 0
    .sgpr_count:     0
    .sgpr_spill_count: 0
    .symbol:         _ZN7rocprim17ROCPRIM_400000_NS6detail17trampoline_kernelINS0_14default_configENS1_27scan_by_key_config_selectorIiiEEZZNS1_16scan_by_key_implILNS1_25lookback_scan_determinismE0ELb1ES3_N6thrust23THRUST_200600_302600_NS6detail15normal_iteratorINS9_10device_ptrIiEEEENSB_INSC_IjEEEESE_iNS9_4plusIvEENS9_8equal_toIvEEiEE10hipError_tPvRmT2_T3_T4_T5_mT6_T7_P12ihipStream_tbENKUlT_T0_E_clISt17integral_constantIbLb0EES10_IbLb1EEEEDaSW_SX_EUlSW_E_NS1_11comp_targetILNS1_3genE10ELNS1_11target_archE1201ELNS1_3gpuE5ELNS1_3repE0EEENS1_30default_config_static_selectorELNS0_4arch9wavefront6targetE0EEEvT1_.kd
    .uniform_work_group_size: 1
    .uses_dynamic_stack: false
    .vgpr_count:     0
    .vgpr_spill_count: 0
    .wavefront_size: 32
    .workgroup_processor_mode: 1
  - .args:
      - .offset:         0
        .size:           112
        .value_kind:     by_value
    .group_segment_fixed_size: 0
    .kernarg_segment_align: 8
    .kernarg_segment_size: 112
    .language:       OpenCL C
    .language_version:
      - 2
      - 0
    .max_flat_workgroup_size: 256
    .name:           _ZN7rocprim17ROCPRIM_400000_NS6detail17trampoline_kernelINS0_14default_configENS1_27scan_by_key_config_selectorIiiEEZZNS1_16scan_by_key_implILNS1_25lookback_scan_determinismE0ELb1ES3_N6thrust23THRUST_200600_302600_NS6detail15normal_iteratorINS9_10device_ptrIiEEEENSB_INSC_IjEEEESE_iNS9_4plusIvEENS9_8equal_toIvEEiEE10hipError_tPvRmT2_T3_T4_T5_mT6_T7_P12ihipStream_tbENKUlT_T0_E_clISt17integral_constantIbLb0EES10_IbLb1EEEEDaSW_SX_EUlSW_E_NS1_11comp_targetILNS1_3genE5ELNS1_11target_archE942ELNS1_3gpuE9ELNS1_3repE0EEENS1_30default_config_static_selectorELNS0_4arch9wavefront6targetE0EEEvT1_
    .private_segment_fixed_size: 0
    .sgpr_count:     0
    .sgpr_spill_count: 0
    .symbol:         _ZN7rocprim17ROCPRIM_400000_NS6detail17trampoline_kernelINS0_14default_configENS1_27scan_by_key_config_selectorIiiEEZZNS1_16scan_by_key_implILNS1_25lookback_scan_determinismE0ELb1ES3_N6thrust23THRUST_200600_302600_NS6detail15normal_iteratorINS9_10device_ptrIiEEEENSB_INSC_IjEEEESE_iNS9_4plusIvEENS9_8equal_toIvEEiEE10hipError_tPvRmT2_T3_T4_T5_mT6_T7_P12ihipStream_tbENKUlT_T0_E_clISt17integral_constantIbLb0EES10_IbLb1EEEEDaSW_SX_EUlSW_E_NS1_11comp_targetILNS1_3genE5ELNS1_11target_archE942ELNS1_3gpuE9ELNS1_3repE0EEENS1_30default_config_static_selectorELNS0_4arch9wavefront6targetE0EEEvT1_.kd
    .uniform_work_group_size: 1
    .uses_dynamic_stack: false
    .vgpr_count:     0
    .vgpr_spill_count: 0
    .wavefront_size: 32
    .workgroup_processor_mode: 1
  - .args:
      - .offset:         0
        .size:           112
        .value_kind:     by_value
    .group_segment_fixed_size: 0
    .kernarg_segment_align: 8
    .kernarg_segment_size: 112
    .language:       OpenCL C
    .language_version:
      - 2
      - 0
    .max_flat_workgroup_size: 256
    .name:           _ZN7rocprim17ROCPRIM_400000_NS6detail17trampoline_kernelINS0_14default_configENS1_27scan_by_key_config_selectorIiiEEZZNS1_16scan_by_key_implILNS1_25lookback_scan_determinismE0ELb1ES3_N6thrust23THRUST_200600_302600_NS6detail15normal_iteratorINS9_10device_ptrIiEEEENSB_INSC_IjEEEESE_iNS9_4plusIvEENS9_8equal_toIvEEiEE10hipError_tPvRmT2_T3_T4_T5_mT6_T7_P12ihipStream_tbENKUlT_T0_E_clISt17integral_constantIbLb0EES10_IbLb1EEEEDaSW_SX_EUlSW_E_NS1_11comp_targetILNS1_3genE4ELNS1_11target_archE910ELNS1_3gpuE8ELNS1_3repE0EEENS1_30default_config_static_selectorELNS0_4arch9wavefront6targetE0EEEvT1_
    .private_segment_fixed_size: 0
    .sgpr_count:     0
    .sgpr_spill_count: 0
    .symbol:         _ZN7rocprim17ROCPRIM_400000_NS6detail17trampoline_kernelINS0_14default_configENS1_27scan_by_key_config_selectorIiiEEZZNS1_16scan_by_key_implILNS1_25lookback_scan_determinismE0ELb1ES3_N6thrust23THRUST_200600_302600_NS6detail15normal_iteratorINS9_10device_ptrIiEEEENSB_INSC_IjEEEESE_iNS9_4plusIvEENS9_8equal_toIvEEiEE10hipError_tPvRmT2_T3_T4_T5_mT6_T7_P12ihipStream_tbENKUlT_T0_E_clISt17integral_constantIbLb0EES10_IbLb1EEEEDaSW_SX_EUlSW_E_NS1_11comp_targetILNS1_3genE4ELNS1_11target_archE910ELNS1_3gpuE8ELNS1_3repE0EEENS1_30default_config_static_selectorELNS0_4arch9wavefront6targetE0EEEvT1_.kd
    .uniform_work_group_size: 1
    .uses_dynamic_stack: false
    .vgpr_count:     0
    .vgpr_spill_count: 0
    .wavefront_size: 32
    .workgroup_processor_mode: 1
  - .args:
      - .offset:         0
        .size:           112
        .value_kind:     by_value
    .group_segment_fixed_size: 0
    .kernarg_segment_align: 8
    .kernarg_segment_size: 112
    .language:       OpenCL C
    .language_version:
      - 2
      - 0
    .max_flat_workgroup_size: 256
    .name:           _ZN7rocprim17ROCPRIM_400000_NS6detail17trampoline_kernelINS0_14default_configENS1_27scan_by_key_config_selectorIiiEEZZNS1_16scan_by_key_implILNS1_25lookback_scan_determinismE0ELb1ES3_N6thrust23THRUST_200600_302600_NS6detail15normal_iteratorINS9_10device_ptrIiEEEENSB_INSC_IjEEEESE_iNS9_4plusIvEENS9_8equal_toIvEEiEE10hipError_tPvRmT2_T3_T4_T5_mT6_T7_P12ihipStream_tbENKUlT_T0_E_clISt17integral_constantIbLb0EES10_IbLb1EEEEDaSW_SX_EUlSW_E_NS1_11comp_targetILNS1_3genE3ELNS1_11target_archE908ELNS1_3gpuE7ELNS1_3repE0EEENS1_30default_config_static_selectorELNS0_4arch9wavefront6targetE0EEEvT1_
    .private_segment_fixed_size: 0
    .sgpr_count:     0
    .sgpr_spill_count: 0
    .symbol:         _ZN7rocprim17ROCPRIM_400000_NS6detail17trampoline_kernelINS0_14default_configENS1_27scan_by_key_config_selectorIiiEEZZNS1_16scan_by_key_implILNS1_25lookback_scan_determinismE0ELb1ES3_N6thrust23THRUST_200600_302600_NS6detail15normal_iteratorINS9_10device_ptrIiEEEENSB_INSC_IjEEEESE_iNS9_4plusIvEENS9_8equal_toIvEEiEE10hipError_tPvRmT2_T3_T4_T5_mT6_T7_P12ihipStream_tbENKUlT_T0_E_clISt17integral_constantIbLb0EES10_IbLb1EEEEDaSW_SX_EUlSW_E_NS1_11comp_targetILNS1_3genE3ELNS1_11target_archE908ELNS1_3gpuE7ELNS1_3repE0EEENS1_30default_config_static_selectorELNS0_4arch9wavefront6targetE0EEEvT1_.kd
    .uniform_work_group_size: 1
    .uses_dynamic_stack: false
    .vgpr_count:     0
    .vgpr_spill_count: 0
    .wavefront_size: 32
    .workgroup_processor_mode: 1
  - .args:
      - .offset:         0
        .size:           112
        .value_kind:     by_value
    .group_segment_fixed_size: 0
    .kernarg_segment_align: 8
    .kernarg_segment_size: 112
    .language:       OpenCL C
    .language_version:
      - 2
      - 0
    .max_flat_workgroup_size: 256
    .name:           _ZN7rocprim17ROCPRIM_400000_NS6detail17trampoline_kernelINS0_14default_configENS1_27scan_by_key_config_selectorIiiEEZZNS1_16scan_by_key_implILNS1_25lookback_scan_determinismE0ELb1ES3_N6thrust23THRUST_200600_302600_NS6detail15normal_iteratorINS9_10device_ptrIiEEEENSB_INSC_IjEEEESE_iNS9_4plusIvEENS9_8equal_toIvEEiEE10hipError_tPvRmT2_T3_T4_T5_mT6_T7_P12ihipStream_tbENKUlT_T0_E_clISt17integral_constantIbLb0EES10_IbLb1EEEEDaSW_SX_EUlSW_E_NS1_11comp_targetILNS1_3genE2ELNS1_11target_archE906ELNS1_3gpuE6ELNS1_3repE0EEENS1_30default_config_static_selectorELNS0_4arch9wavefront6targetE0EEEvT1_
    .private_segment_fixed_size: 0
    .sgpr_count:     0
    .sgpr_spill_count: 0
    .symbol:         _ZN7rocprim17ROCPRIM_400000_NS6detail17trampoline_kernelINS0_14default_configENS1_27scan_by_key_config_selectorIiiEEZZNS1_16scan_by_key_implILNS1_25lookback_scan_determinismE0ELb1ES3_N6thrust23THRUST_200600_302600_NS6detail15normal_iteratorINS9_10device_ptrIiEEEENSB_INSC_IjEEEESE_iNS9_4plusIvEENS9_8equal_toIvEEiEE10hipError_tPvRmT2_T3_T4_T5_mT6_T7_P12ihipStream_tbENKUlT_T0_E_clISt17integral_constantIbLb0EES10_IbLb1EEEEDaSW_SX_EUlSW_E_NS1_11comp_targetILNS1_3genE2ELNS1_11target_archE906ELNS1_3gpuE6ELNS1_3repE0EEENS1_30default_config_static_selectorELNS0_4arch9wavefront6targetE0EEEvT1_.kd
    .uniform_work_group_size: 1
    .uses_dynamic_stack: false
    .vgpr_count:     0
    .vgpr_spill_count: 0
    .wavefront_size: 32
    .workgroup_processor_mode: 1
  - .args:
      - .offset:         0
        .size:           112
        .value_kind:     by_value
    .group_segment_fixed_size: 0
    .kernarg_segment_align: 8
    .kernarg_segment_size: 112
    .language:       OpenCL C
    .language_version:
      - 2
      - 0
    .max_flat_workgroup_size: 256
    .name:           _ZN7rocprim17ROCPRIM_400000_NS6detail17trampoline_kernelINS0_14default_configENS1_27scan_by_key_config_selectorIiiEEZZNS1_16scan_by_key_implILNS1_25lookback_scan_determinismE0ELb1ES3_N6thrust23THRUST_200600_302600_NS6detail15normal_iteratorINS9_10device_ptrIiEEEENSB_INSC_IjEEEESE_iNS9_4plusIvEENS9_8equal_toIvEEiEE10hipError_tPvRmT2_T3_T4_T5_mT6_T7_P12ihipStream_tbENKUlT_T0_E_clISt17integral_constantIbLb0EES10_IbLb1EEEEDaSW_SX_EUlSW_E_NS1_11comp_targetILNS1_3genE10ELNS1_11target_archE1200ELNS1_3gpuE4ELNS1_3repE0EEENS1_30default_config_static_selectorELNS0_4arch9wavefront6targetE0EEEvT1_
    .private_segment_fixed_size: 0
    .sgpr_count:     0
    .sgpr_spill_count: 0
    .symbol:         _ZN7rocprim17ROCPRIM_400000_NS6detail17trampoline_kernelINS0_14default_configENS1_27scan_by_key_config_selectorIiiEEZZNS1_16scan_by_key_implILNS1_25lookback_scan_determinismE0ELb1ES3_N6thrust23THRUST_200600_302600_NS6detail15normal_iteratorINS9_10device_ptrIiEEEENSB_INSC_IjEEEESE_iNS9_4plusIvEENS9_8equal_toIvEEiEE10hipError_tPvRmT2_T3_T4_T5_mT6_T7_P12ihipStream_tbENKUlT_T0_E_clISt17integral_constantIbLb0EES10_IbLb1EEEEDaSW_SX_EUlSW_E_NS1_11comp_targetILNS1_3genE10ELNS1_11target_archE1200ELNS1_3gpuE4ELNS1_3repE0EEENS1_30default_config_static_selectorELNS0_4arch9wavefront6targetE0EEEvT1_.kd
    .uniform_work_group_size: 1
    .uses_dynamic_stack: false
    .vgpr_count:     0
    .vgpr_spill_count: 0
    .wavefront_size: 32
    .workgroup_processor_mode: 1
  - .args:
      - .offset:         0
        .size:           112
        .value_kind:     by_value
    .group_segment_fixed_size: 0
    .kernarg_segment_align: 8
    .kernarg_segment_size: 112
    .language:       OpenCL C
    .language_version:
      - 2
      - 0
    .max_flat_workgroup_size: 256
    .name:           _ZN7rocprim17ROCPRIM_400000_NS6detail17trampoline_kernelINS0_14default_configENS1_27scan_by_key_config_selectorIiiEEZZNS1_16scan_by_key_implILNS1_25lookback_scan_determinismE0ELb1ES3_N6thrust23THRUST_200600_302600_NS6detail15normal_iteratorINS9_10device_ptrIiEEEENSB_INSC_IjEEEESE_iNS9_4plusIvEENS9_8equal_toIvEEiEE10hipError_tPvRmT2_T3_T4_T5_mT6_T7_P12ihipStream_tbENKUlT_T0_E_clISt17integral_constantIbLb0EES10_IbLb1EEEEDaSW_SX_EUlSW_E_NS1_11comp_targetILNS1_3genE9ELNS1_11target_archE1100ELNS1_3gpuE3ELNS1_3repE0EEENS1_30default_config_static_selectorELNS0_4arch9wavefront6targetE0EEEvT1_
    .private_segment_fixed_size: 0
    .sgpr_count:     0
    .sgpr_spill_count: 0
    .symbol:         _ZN7rocprim17ROCPRIM_400000_NS6detail17trampoline_kernelINS0_14default_configENS1_27scan_by_key_config_selectorIiiEEZZNS1_16scan_by_key_implILNS1_25lookback_scan_determinismE0ELb1ES3_N6thrust23THRUST_200600_302600_NS6detail15normal_iteratorINS9_10device_ptrIiEEEENSB_INSC_IjEEEESE_iNS9_4plusIvEENS9_8equal_toIvEEiEE10hipError_tPvRmT2_T3_T4_T5_mT6_T7_P12ihipStream_tbENKUlT_T0_E_clISt17integral_constantIbLb0EES10_IbLb1EEEEDaSW_SX_EUlSW_E_NS1_11comp_targetILNS1_3genE9ELNS1_11target_archE1100ELNS1_3gpuE3ELNS1_3repE0EEENS1_30default_config_static_selectorELNS0_4arch9wavefront6targetE0EEEvT1_.kd
    .uniform_work_group_size: 1
    .uses_dynamic_stack: false
    .vgpr_count:     0
    .vgpr_spill_count: 0
    .wavefront_size: 32
    .workgroup_processor_mode: 1
  - .args:
      - .offset:         0
        .size:           112
        .value_kind:     by_value
    .group_segment_fixed_size: 5120
    .kernarg_segment_align: 8
    .kernarg_segment_size: 112
    .language:       OpenCL C
    .language_version:
      - 2
      - 0
    .max_flat_workgroup_size: 256
    .name:           _ZN7rocprim17ROCPRIM_400000_NS6detail17trampoline_kernelINS0_14default_configENS1_27scan_by_key_config_selectorIiiEEZZNS1_16scan_by_key_implILNS1_25lookback_scan_determinismE0ELb1ES3_N6thrust23THRUST_200600_302600_NS6detail15normal_iteratorINS9_10device_ptrIiEEEENSB_INSC_IjEEEESE_iNS9_4plusIvEENS9_8equal_toIvEEiEE10hipError_tPvRmT2_T3_T4_T5_mT6_T7_P12ihipStream_tbENKUlT_T0_E_clISt17integral_constantIbLb0EES10_IbLb1EEEEDaSW_SX_EUlSW_E_NS1_11comp_targetILNS1_3genE8ELNS1_11target_archE1030ELNS1_3gpuE2ELNS1_3repE0EEENS1_30default_config_static_selectorELNS0_4arch9wavefront6targetE0EEEvT1_
    .private_segment_fixed_size: 0
    .sgpr_count:     26
    .sgpr_spill_count: 0
    .symbol:         _ZN7rocprim17ROCPRIM_400000_NS6detail17trampoline_kernelINS0_14default_configENS1_27scan_by_key_config_selectorIiiEEZZNS1_16scan_by_key_implILNS1_25lookback_scan_determinismE0ELb1ES3_N6thrust23THRUST_200600_302600_NS6detail15normal_iteratorINS9_10device_ptrIiEEEENSB_INSC_IjEEEESE_iNS9_4plusIvEENS9_8equal_toIvEEiEE10hipError_tPvRmT2_T3_T4_T5_mT6_T7_P12ihipStream_tbENKUlT_T0_E_clISt17integral_constantIbLb0EES10_IbLb1EEEEDaSW_SX_EUlSW_E_NS1_11comp_targetILNS1_3genE8ELNS1_11target_archE1030ELNS1_3gpuE2ELNS1_3repE0EEENS1_30default_config_static_selectorELNS0_4arch9wavefront6targetE0EEEvT1_.kd
    .uniform_work_group_size: 1
    .uses_dynamic_stack: false
    .vgpr_count:     44
    .vgpr_spill_count: 0
    .wavefront_size: 32
    .workgroup_processor_mode: 1
  - .args:
      - .offset:         0
        .size:           112
        .value_kind:     by_value
    .group_segment_fixed_size: 0
    .kernarg_segment_align: 8
    .kernarg_segment_size: 112
    .language:       OpenCL C
    .language_version:
      - 2
      - 0
    .max_flat_workgroup_size: 256
    .name:           _ZN7rocprim17ROCPRIM_400000_NS6detail17trampoline_kernelINS0_14default_configENS1_27scan_by_key_config_selectorIifEEZZNS1_16scan_by_key_implILNS1_25lookback_scan_determinismE0ELb1ES3_N6thrust23THRUST_200600_302600_NS6detail15normal_iteratorINS9_10device_ptrIiEEEENSB_INSC_IjEEEESE_fNS9_4plusIvEENS9_8equal_toIvEEfEE10hipError_tPvRmT2_T3_T4_T5_mT6_T7_P12ihipStream_tbENKUlT_T0_E_clISt17integral_constantIbLb0EES11_EEDaSW_SX_EUlSW_E_NS1_11comp_targetILNS1_3genE0ELNS1_11target_archE4294967295ELNS1_3gpuE0ELNS1_3repE0EEENS1_30default_config_static_selectorELNS0_4arch9wavefront6targetE0EEEvT1_
    .private_segment_fixed_size: 0
    .sgpr_count:     0
    .sgpr_spill_count: 0
    .symbol:         _ZN7rocprim17ROCPRIM_400000_NS6detail17trampoline_kernelINS0_14default_configENS1_27scan_by_key_config_selectorIifEEZZNS1_16scan_by_key_implILNS1_25lookback_scan_determinismE0ELb1ES3_N6thrust23THRUST_200600_302600_NS6detail15normal_iteratorINS9_10device_ptrIiEEEENSB_INSC_IjEEEESE_fNS9_4plusIvEENS9_8equal_toIvEEfEE10hipError_tPvRmT2_T3_T4_T5_mT6_T7_P12ihipStream_tbENKUlT_T0_E_clISt17integral_constantIbLb0EES11_EEDaSW_SX_EUlSW_E_NS1_11comp_targetILNS1_3genE0ELNS1_11target_archE4294967295ELNS1_3gpuE0ELNS1_3repE0EEENS1_30default_config_static_selectorELNS0_4arch9wavefront6targetE0EEEvT1_.kd
    .uniform_work_group_size: 1
    .uses_dynamic_stack: false
    .vgpr_count:     0
    .vgpr_spill_count: 0
    .wavefront_size: 32
    .workgroup_processor_mode: 1
  - .args:
      - .offset:         0
        .size:           112
        .value_kind:     by_value
    .group_segment_fixed_size: 0
    .kernarg_segment_align: 8
    .kernarg_segment_size: 112
    .language:       OpenCL C
    .language_version:
      - 2
      - 0
    .max_flat_workgroup_size: 256
    .name:           _ZN7rocprim17ROCPRIM_400000_NS6detail17trampoline_kernelINS0_14default_configENS1_27scan_by_key_config_selectorIifEEZZNS1_16scan_by_key_implILNS1_25lookback_scan_determinismE0ELb1ES3_N6thrust23THRUST_200600_302600_NS6detail15normal_iteratorINS9_10device_ptrIiEEEENSB_INSC_IjEEEESE_fNS9_4plusIvEENS9_8equal_toIvEEfEE10hipError_tPvRmT2_T3_T4_T5_mT6_T7_P12ihipStream_tbENKUlT_T0_E_clISt17integral_constantIbLb0EES11_EEDaSW_SX_EUlSW_E_NS1_11comp_targetILNS1_3genE10ELNS1_11target_archE1201ELNS1_3gpuE5ELNS1_3repE0EEENS1_30default_config_static_selectorELNS0_4arch9wavefront6targetE0EEEvT1_
    .private_segment_fixed_size: 0
    .sgpr_count:     0
    .sgpr_spill_count: 0
    .symbol:         _ZN7rocprim17ROCPRIM_400000_NS6detail17trampoline_kernelINS0_14default_configENS1_27scan_by_key_config_selectorIifEEZZNS1_16scan_by_key_implILNS1_25lookback_scan_determinismE0ELb1ES3_N6thrust23THRUST_200600_302600_NS6detail15normal_iteratorINS9_10device_ptrIiEEEENSB_INSC_IjEEEESE_fNS9_4plusIvEENS9_8equal_toIvEEfEE10hipError_tPvRmT2_T3_T4_T5_mT6_T7_P12ihipStream_tbENKUlT_T0_E_clISt17integral_constantIbLb0EES11_EEDaSW_SX_EUlSW_E_NS1_11comp_targetILNS1_3genE10ELNS1_11target_archE1201ELNS1_3gpuE5ELNS1_3repE0EEENS1_30default_config_static_selectorELNS0_4arch9wavefront6targetE0EEEvT1_.kd
    .uniform_work_group_size: 1
    .uses_dynamic_stack: false
    .vgpr_count:     0
    .vgpr_spill_count: 0
    .wavefront_size: 32
    .workgroup_processor_mode: 1
  - .args:
      - .offset:         0
        .size:           112
        .value_kind:     by_value
    .group_segment_fixed_size: 0
    .kernarg_segment_align: 8
    .kernarg_segment_size: 112
    .language:       OpenCL C
    .language_version:
      - 2
      - 0
    .max_flat_workgroup_size: 256
    .name:           _ZN7rocprim17ROCPRIM_400000_NS6detail17trampoline_kernelINS0_14default_configENS1_27scan_by_key_config_selectorIifEEZZNS1_16scan_by_key_implILNS1_25lookback_scan_determinismE0ELb1ES3_N6thrust23THRUST_200600_302600_NS6detail15normal_iteratorINS9_10device_ptrIiEEEENSB_INSC_IjEEEESE_fNS9_4plusIvEENS9_8equal_toIvEEfEE10hipError_tPvRmT2_T3_T4_T5_mT6_T7_P12ihipStream_tbENKUlT_T0_E_clISt17integral_constantIbLb0EES11_EEDaSW_SX_EUlSW_E_NS1_11comp_targetILNS1_3genE5ELNS1_11target_archE942ELNS1_3gpuE9ELNS1_3repE0EEENS1_30default_config_static_selectorELNS0_4arch9wavefront6targetE0EEEvT1_
    .private_segment_fixed_size: 0
    .sgpr_count:     0
    .sgpr_spill_count: 0
    .symbol:         _ZN7rocprim17ROCPRIM_400000_NS6detail17trampoline_kernelINS0_14default_configENS1_27scan_by_key_config_selectorIifEEZZNS1_16scan_by_key_implILNS1_25lookback_scan_determinismE0ELb1ES3_N6thrust23THRUST_200600_302600_NS6detail15normal_iteratorINS9_10device_ptrIiEEEENSB_INSC_IjEEEESE_fNS9_4plusIvEENS9_8equal_toIvEEfEE10hipError_tPvRmT2_T3_T4_T5_mT6_T7_P12ihipStream_tbENKUlT_T0_E_clISt17integral_constantIbLb0EES11_EEDaSW_SX_EUlSW_E_NS1_11comp_targetILNS1_3genE5ELNS1_11target_archE942ELNS1_3gpuE9ELNS1_3repE0EEENS1_30default_config_static_selectorELNS0_4arch9wavefront6targetE0EEEvT1_.kd
    .uniform_work_group_size: 1
    .uses_dynamic_stack: false
    .vgpr_count:     0
    .vgpr_spill_count: 0
    .wavefront_size: 32
    .workgroup_processor_mode: 1
  - .args:
      - .offset:         0
        .size:           112
        .value_kind:     by_value
    .group_segment_fixed_size: 0
    .kernarg_segment_align: 8
    .kernarg_segment_size: 112
    .language:       OpenCL C
    .language_version:
      - 2
      - 0
    .max_flat_workgroup_size: 256
    .name:           _ZN7rocprim17ROCPRIM_400000_NS6detail17trampoline_kernelINS0_14default_configENS1_27scan_by_key_config_selectorIifEEZZNS1_16scan_by_key_implILNS1_25lookback_scan_determinismE0ELb1ES3_N6thrust23THRUST_200600_302600_NS6detail15normal_iteratorINS9_10device_ptrIiEEEENSB_INSC_IjEEEESE_fNS9_4plusIvEENS9_8equal_toIvEEfEE10hipError_tPvRmT2_T3_T4_T5_mT6_T7_P12ihipStream_tbENKUlT_T0_E_clISt17integral_constantIbLb0EES11_EEDaSW_SX_EUlSW_E_NS1_11comp_targetILNS1_3genE4ELNS1_11target_archE910ELNS1_3gpuE8ELNS1_3repE0EEENS1_30default_config_static_selectorELNS0_4arch9wavefront6targetE0EEEvT1_
    .private_segment_fixed_size: 0
    .sgpr_count:     0
    .sgpr_spill_count: 0
    .symbol:         _ZN7rocprim17ROCPRIM_400000_NS6detail17trampoline_kernelINS0_14default_configENS1_27scan_by_key_config_selectorIifEEZZNS1_16scan_by_key_implILNS1_25lookback_scan_determinismE0ELb1ES3_N6thrust23THRUST_200600_302600_NS6detail15normal_iteratorINS9_10device_ptrIiEEEENSB_INSC_IjEEEESE_fNS9_4plusIvEENS9_8equal_toIvEEfEE10hipError_tPvRmT2_T3_T4_T5_mT6_T7_P12ihipStream_tbENKUlT_T0_E_clISt17integral_constantIbLb0EES11_EEDaSW_SX_EUlSW_E_NS1_11comp_targetILNS1_3genE4ELNS1_11target_archE910ELNS1_3gpuE8ELNS1_3repE0EEENS1_30default_config_static_selectorELNS0_4arch9wavefront6targetE0EEEvT1_.kd
    .uniform_work_group_size: 1
    .uses_dynamic_stack: false
    .vgpr_count:     0
    .vgpr_spill_count: 0
    .wavefront_size: 32
    .workgroup_processor_mode: 1
  - .args:
      - .offset:         0
        .size:           112
        .value_kind:     by_value
    .group_segment_fixed_size: 0
    .kernarg_segment_align: 8
    .kernarg_segment_size: 112
    .language:       OpenCL C
    .language_version:
      - 2
      - 0
    .max_flat_workgroup_size: 256
    .name:           _ZN7rocprim17ROCPRIM_400000_NS6detail17trampoline_kernelINS0_14default_configENS1_27scan_by_key_config_selectorIifEEZZNS1_16scan_by_key_implILNS1_25lookback_scan_determinismE0ELb1ES3_N6thrust23THRUST_200600_302600_NS6detail15normal_iteratorINS9_10device_ptrIiEEEENSB_INSC_IjEEEESE_fNS9_4plusIvEENS9_8equal_toIvEEfEE10hipError_tPvRmT2_T3_T4_T5_mT6_T7_P12ihipStream_tbENKUlT_T0_E_clISt17integral_constantIbLb0EES11_EEDaSW_SX_EUlSW_E_NS1_11comp_targetILNS1_3genE3ELNS1_11target_archE908ELNS1_3gpuE7ELNS1_3repE0EEENS1_30default_config_static_selectorELNS0_4arch9wavefront6targetE0EEEvT1_
    .private_segment_fixed_size: 0
    .sgpr_count:     0
    .sgpr_spill_count: 0
    .symbol:         _ZN7rocprim17ROCPRIM_400000_NS6detail17trampoline_kernelINS0_14default_configENS1_27scan_by_key_config_selectorIifEEZZNS1_16scan_by_key_implILNS1_25lookback_scan_determinismE0ELb1ES3_N6thrust23THRUST_200600_302600_NS6detail15normal_iteratorINS9_10device_ptrIiEEEENSB_INSC_IjEEEESE_fNS9_4plusIvEENS9_8equal_toIvEEfEE10hipError_tPvRmT2_T3_T4_T5_mT6_T7_P12ihipStream_tbENKUlT_T0_E_clISt17integral_constantIbLb0EES11_EEDaSW_SX_EUlSW_E_NS1_11comp_targetILNS1_3genE3ELNS1_11target_archE908ELNS1_3gpuE7ELNS1_3repE0EEENS1_30default_config_static_selectorELNS0_4arch9wavefront6targetE0EEEvT1_.kd
    .uniform_work_group_size: 1
    .uses_dynamic_stack: false
    .vgpr_count:     0
    .vgpr_spill_count: 0
    .wavefront_size: 32
    .workgroup_processor_mode: 1
  - .args:
      - .offset:         0
        .size:           112
        .value_kind:     by_value
    .group_segment_fixed_size: 0
    .kernarg_segment_align: 8
    .kernarg_segment_size: 112
    .language:       OpenCL C
    .language_version:
      - 2
      - 0
    .max_flat_workgroup_size: 256
    .name:           _ZN7rocprim17ROCPRIM_400000_NS6detail17trampoline_kernelINS0_14default_configENS1_27scan_by_key_config_selectorIifEEZZNS1_16scan_by_key_implILNS1_25lookback_scan_determinismE0ELb1ES3_N6thrust23THRUST_200600_302600_NS6detail15normal_iteratorINS9_10device_ptrIiEEEENSB_INSC_IjEEEESE_fNS9_4plusIvEENS9_8equal_toIvEEfEE10hipError_tPvRmT2_T3_T4_T5_mT6_T7_P12ihipStream_tbENKUlT_T0_E_clISt17integral_constantIbLb0EES11_EEDaSW_SX_EUlSW_E_NS1_11comp_targetILNS1_3genE2ELNS1_11target_archE906ELNS1_3gpuE6ELNS1_3repE0EEENS1_30default_config_static_selectorELNS0_4arch9wavefront6targetE0EEEvT1_
    .private_segment_fixed_size: 0
    .sgpr_count:     0
    .sgpr_spill_count: 0
    .symbol:         _ZN7rocprim17ROCPRIM_400000_NS6detail17trampoline_kernelINS0_14default_configENS1_27scan_by_key_config_selectorIifEEZZNS1_16scan_by_key_implILNS1_25lookback_scan_determinismE0ELb1ES3_N6thrust23THRUST_200600_302600_NS6detail15normal_iteratorINS9_10device_ptrIiEEEENSB_INSC_IjEEEESE_fNS9_4plusIvEENS9_8equal_toIvEEfEE10hipError_tPvRmT2_T3_T4_T5_mT6_T7_P12ihipStream_tbENKUlT_T0_E_clISt17integral_constantIbLb0EES11_EEDaSW_SX_EUlSW_E_NS1_11comp_targetILNS1_3genE2ELNS1_11target_archE906ELNS1_3gpuE6ELNS1_3repE0EEENS1_30default_config_static_selectorELNS0_4arch9wavefront6targetE0EEEvT1_.kd
    .uniform_work_group_size: 1
    .uses_dynamic_stack: false
    .vgpr_count:     0
    .vgpr_spill_count: 0
    .wavefront_size: 32
    .workgroup_processor_mode: 1
  - .args:
      - .offset:         0
        .size:           112
        .value_kind:     by_value
    .group_segment_fixed_size: 0
    .kernarg_segment_align: 8
    .kernarg_segment_size: 112
    .language:       OpenCL C
    .language_version:
      - 2
      - 0
    .max_flat_workgroup_size: 256
    .name:           _ZN7rocprim17ROCPRIM_400000_NS6detail17trampoline_kernelINS0_14default_configENS1_27scan_by_key_config_selectorIifEEZZNS1_16scan_by_key_implILNS1_25lookback_scan_determinismE0ELb1ES3_N6thrust23THRUST_200600_302600_NS6detail15normal_iteratorINS9_10device_ptrIiEEEENSB_INSC_IjEEEESE_fNS9_4plusIvEENS9_8equal_toIvEEfEE10hipError_tPvRmT2_T3_T4_T5_mT6_T7_P12ihipStream_tbENKUlT_T0_E_clISt17integral_constantIbLb0EES11_EEDaSW_SX_EUlSW_E_NS1_11comp_targetILNS1_3genE10ELNS1_11target_archE1200ELNS1_3gpuE4ELNS1_3repE0EEENS1_30default_config_static_selectorELNS0_4arch9wavefront6targetE0EEEvT1_
    .private_segment_fixed_size: 0
    .sgpr_count:     0
    .sgpr_spill_count: 0
    .symbol:         _ZN7rocprim17ROCPRIM_400000_NS6detail17trampoline_kernelINS0_14default_configENS1_27scan_by_key_config_selectorIifEEZZNS1_16scan_by_key_implILNS1_25lookback_scan_determinismE0ELb1ES3_N6thrust23THRUST_200600_302600_NS6detail15normal_iteratorINS9_10device_ptrIiEEEENSB_INSC_IjEEEESE_fNS9_4plusIvEENS9_8equal_toIvEEfEE10hipError_tPvRmT2_T3_T4_T5_mT6_T7_P12ihipStream_tbENKUlT_T0_E_clISt17integral_constantIbLb0EES11_EEDaSW_SX_EUlSW_E_NS1_11comp_targetILNS1_3genE10ELNS1_11target_archE1200ELNS1_3gpuE4ELNS1_3repE0EEENS1_30default_config_static_selectorELNS0_4arch9wavefront6targetE0EEEvT1_.kd
    .uniform_work_group_size: 1
    .uses_dynamic_stack: false
    .vgpr_count:     0
    .vgpr_spill_count: 0
    .wavefront_size: 32
    .workgroup_processor_mode: 1
  - .args:
      - .offset:         0
        .size:           112
        .value_kind:     by_value
    .group_segment_fixed_size: 0
    .kernarg_segment_align: 8
    .kernarg_segment_size: 112
    .language:       OpenCL C
    .language_version:
      - 2
      - 0
    .max_flat_workgroup_size: 256
    .name:           _ZN7rocprim17ROCPRIM_400000_NS6detail17trampoline_kernelINS0_14default_configENS1_27scan_by_key_config_selectorIifEEZZNS1_16scan_by_key_implILNS1_25lookback_scan_determinismE0ELb1ES3_N6thrust23THRUST_200600_302600_NS6detail15normal_iteratorINS9_10device_ptrIiEEEENSB_INSC_IjEEEESE_fNS9_4plusIvEENS9_8equal_toIvEEfEE10hipError_tPvRmT2_T3_T4_T5_mT6_T7_P12ihipStream_tbENKUlT_T0_E_clISt17integral_constantIbLb0EES11_EEDaSW_SX_EUlSW_E_NS1_11comp_targetILNS1_3genE9ELNS1_11target_archE1100ELNS1_3gpuE3ELNS1_3repE0EEENS1_30default_config_static_selectorELNS0_4arch9wavefront6targetE0EEEvT1_
    .private_segment_fixed_size: 0
    .sgpr_count:     0
    .sgpr_spill_count: 0
    .symbol:         _ZN7rocprim17ROCPRIM_400000_NS6detail17trampoline_kernelINS0_14default_configENS1_27scan_by_key_config_selectorIifEEZZNS1_16scan_by_key_implILNS1_25lookback_scan_determinismE0ELb1ES3_N6thrust23THRUST_200600_302600_NS6detail15normal_iteratorINS9_10device_ptrIiEEEENSB_INSC_IjEEEESE_fNS9_4plusIvEENS9_8equal_toIvEEfEE10hipError_tPvRmT2_T3_T4_T5_mT6_T7_P12ihipStream_tbENKUlT_T0_E_clISt17integral_constantIbLb0EES11_EEDaSW_SX_EUlSW_E_NS1_11comp_targetILNS1_3genE9ELNS1_11target_archE1100ELNS1_3gpuE3ELNS1_3repE0EEENS1_30default_config_static_selectorELNS0_4arch9wavefront6targetE0EEEvT1_.kd
    .uniform_work_group_size: 1
    .uses_dynamic_stack: false
    .vgpr_count:     0
    .vgpr_spill_count: 0
    .wavefront_size: 32
    .workgroup_processor_mode: 1
  - .args:
      - .offset:         0
        .size:           112
        .value_kind:     by_value
    .group_segment_fixed_size: 5120
    .kernarg_segment_align: 8
    .kernarg_segment_size: 112
    .language:       OpenCL C
    .language_version:
      - 2
      - 0
    .max_flat_workgroup_size: 256
    .name:           _ZN7rocprim17ROCPRIM_400000_NS6detail17trampoline_kernelINS0_14default_configENS1_27scan_by_key_config_selectorIifEEZZNS1_16scan_by_key_implILNS1_25lookback_scan_determinismE0ELb1ES3_N6thrust23THRUST_200600_302600_NS6detail15normal_iteratorINS9_10device_ptrIiEEEENSB_INSC_IjEEEESE_fNS9_4plusIvEENS9_8equal_toIvEEfEE10hipError_tPvRmT2_T3_T4_T5_mT6_T7_P12ihipStream_tbENKUlT_T0_E_clISt17integral_constantIbLb0EES11_EEDaSW_SX_EUlSW_E_NS1_11comp_targetILNS1_3genE8ELNS1_11target_archE1030ELNS1_3gpuE2ELNS1_3repE0EEENS1_30default_config_static_selectorELNS0_4arch9wavefront6targetE0EEEvT1_
    .private_segment_fixed_size: 0
    .sgpr_count:     31
    .sgpr_spill_count: 0
    .symbol:         _ZN7rocprim17ROCPRIM_400000_NS6detail17trampoline_kernelINS0_14default_configENS1_27scan_by_key_config_selectorIifEEZZNS1_16scan_by_key_implILNS1_25lookback_scan_determinismE0ELb1ES3_N6thrust23THRUST_200600_302600_NS6detail15normal_iteratorINS9_10device_ptrIiEEEENSB_INSC_IjEEEESE_fNS9_4plusIvEENS9_8equal_toIvEEfEE10hipError_tPvRmT2_T3_T4_T5_mT6_T7_P12ihipStream_tbENKUlT_T0_E_clISt17integral_constantIbLb0EES11_EEDaSW_SX_EUlSW_E_NS1_11comp_targetILNS1_3genE8ELNS1_11target_archE1030ELNS1_3gpuE2ELNS1_3repE0EEENS1_30default_config_static_selectorELNS0_4arch9wavefront6targetE0EEEvT1_.kd
    .uniform_work_group_size: 1
    .uses_dynamic_stack: false
    .vgpr_count:     40
    .vgpr_spill_count: 0
    .wavefront_size: 32
    .workgroup_processor_mode: 1
  - .args:
      - .offset:         0
        .size:           112
        .value_kind:     by_value
    .group_segment_fixed_size: 0
    .kernarg_segment_align: 8
    .kernarg_segment_size: 112
    .language:       OpenCL C
    .language_version:
      - 2
      - 0
    .max_flat_workgroup_size: 256
    .name:           _ZN7rocprim17ROCPRIM_400000_NS6detail17trampoline_kernelINS0_14default_configENS1_27scan_by_key_config_selectorIifEEZZNS1_16scan_by_key_implILNS1_25lookback_scan_determinismE0ELb1ES3_N6thrust23THRUST_200600_302600_NS6detail15normal_iteratorINS9_10device_ptrIiEEEENSB_INSC_IjEEEESE_fNS9_4plusIvEENS9_8equal_toIvEEfEE10hipError_tPvRmT2_T3_T4_T5_mT6_T7_P12ihipStream_tbENKUlT_T0_E_clISt17integral_constantIbLb1EES11_EEDaSW_SX_EUlSW_E_NS1_11comp_targetILNS1_3genE0ELNS1_11target_archE4294967295ELNS1_3gpuE0ELNS1_3repE0EEENS1_30default_config_static_selectorELNS0_4arch9wavefront6targetE0EEEvT1_
    .private_segment_fixed_size: 0
    .sgpr_count:     0
    .sgpr_spill_count: 0
    .symbol:         _ZN7rocprim17ROCPRIM_400000_NS6detail17trampoline_kernelINS0_14default_configENS1_27scan_by_key_config_selectorIifEEZZNS1_16scan_by_key_implILNS1_25lookback_scan_determinismE0ELb1ES3_N6thrust23THRUST_200600_302600_NS6detail15normal_iteratorINS9_10device_ptrIiEEEENSB_INSC_IjEEEESE_fNS9_4plusIvEENS9_8equal_toIvEEfEE10hipError_tPvRmT2_T3_T4_T5_mT6_T7_P12ihipStream_tbENKUlT_T0_E_clISt17integral_constantIbLb1EES11_EEDaSW_SX_EUlSW_E_NS1_11comp_targetILNS1_3genE0ELNS1_11target_archE4294967295ELNS1_3gpuE0ELNS1_3repE0EEENS1_30default_config_static_selectorELNS0_4arch9wavefront6targetE0EEEvT1_.kd
    .uniform_work_group_size: 1
    .uses_dynamic_stack: false
    .vgpr_count:     0
    .vgpr_spill_count: 0
    .wavefront_size: 32
    .workgroup_processor_mode: 1
  - .args:
      - .offset:         0
        .size:           112
        .value_kind:     by_value
    .group_segment_fixed_size: 0
    .kernarg_segment_align: 8
    .kernarg_segment_size: 112
    .language:       OpenCL C
    .language_version:
      - 2
      - 0
    .max_flat_workgroup_size: 256
    .name:           _ZN7rocprim17ROCPRIM_400000_NS6detail17trampoline_kernelINS0_14default_configENS1_27scan_by_key_config_selectorIifEEZZNS1_16scan_by_key_implILNS1_25lookback_scan_determinismE0ELb1ES3_N6thrust23THRUST_200600_302600_NS6detail15normal_iteratorINS9_10device_ptrIiEEEENSB_INSC_IjEEEESE_fNS9_4plusIvEENS9_8equal_toIvEEfEE10hipError_tPvRmT2_T3_T4_T5_mT6_T7_P12ihipStream_tbENKUlT_T0_E_clISt17integral_constantIbLb1EES11_EEDaSW_SX_EUlSW_E_NS1_11comp_targetILNS1_3genE10ELNS1_11target_archE1201ELNS1_3gpuE5ELNS1_3repE0EEENS1_30default_config_static_selectorELNS0_4arch9wavefront6targetE0EEEvT1_
    .private_segment_fixed_size: 0
    .sgpr_count:     0
    .sgpr_spill_count: 0
    .symbol:         _ZN7rocprim17ROCPRIM_400000_NS6detail17trampoline_kernelINS0_14default_configENS1_27scan_by_key_config_selectorIifEEZZNS1_16scan_by_key_implILNS1_25lookback_scan_determinismE0ELb1ES3_N6thrust23THRUST_200600_302600_NS6detail15normal_iteratorINS9_10device_ptrIiEEEENSB_INSC_IjEEEESE_fNS9_4plusIvEENS9_8equal_toIvEEfEE10hipError_tPvRmT2_T3_T4_T5_mT6_T7_P12ihipStream_tbENKUlT_T0_E_clISt17integral_constantIbLb1EES11_EEDaSW_SX_EUlSW_E_NS1_11comp_targetILNS1_3genE10ELNS1_11target_archE1201ELNS1_3gpuE5ELNS1_3repE0EEENS1_30default_config_static_selectorELNS0_4arch9wavefront6targetE0EEEvT1_.kd
    .uniform_work_group_size: 1
    .uses_dynamic_stack: false
    .vgpr_count:     0
    .vgpr_spill_count: 0
    .wavefront_size: 32
    .workgroup_processor_mode: 1
  - .args:
      - .offset:         0
        .size:           112
        .value_kind:     by_value
    .group_segment_fixed_size: 0
    .kernarg_segment_align: 8
    .kernarg_segment_size: 112
    .language:       OpenCL C
    .language_version:
      - 2
      - 0
    .max_flat_workgroup_size: 256
    .name:           _ZN7rocprim17ROCPRIM_400000_NS6detail17trampoline_kernelINS0_14default_configENS1_27scan_by_key_config_selectorIifEEZZNS1_16scan_by_key_implILNS1_25lookback_scan_determinismE0ELb1ES3_N6thrust23THRUST_200600_302600_NS6detail15normal_iteratorINS9_10device_ptrIiEEEENSB_INSC_IjEEEESE_fNS9_4plusIvEENS9_8equal_toIvEEfEE10hipError_tPvRmT2_T3_T4_T5_mT6_T7_P12ihipStream_tbENKUlT_T0_E_clISt17integral_constantIbLb1EES11_EEDaSW_SX_EUlSW_E_NS1_11comp_targetILNS1_3genE5ELNS1_11target_archE942ELNS1_3gpuE9ELNS1_3repE0EEENS1_30default_config_static_selectorELNS0_4arch9wavefront6targetE0EEEvT1_
    .private_segment_fixed_size: 0
    .sgpr_count:     0
    .sgpr_spill_count: 0
    .symbol:         _ZN7rocprim17ROCPRIM_400000_NS6detail17trampoline_kernelINS0_14default_configENS1_27scan_by_key_config_selectorIifEEZZNS1_16scan_by_key_implILNS1_25lookback_scan_determinismE0ELb1ES3_N6thrust23THRUST_200600_302600_NS6detail15normal_iteratorINS9_10device_ptrIiEEEENSB_INSC_IjEEEESE_fNS9_4plusIvEENS9_8equal_toIvEEfEE10hipError_tPvRmT2_T3_T4_T5_mT6_T7_P12ihipStream_tbENKUlT_T0_E_clISt17integral_constantIbLb1EES11_EEDaSW_SX_EUlSW_E_NS1_11comp_targetILNS1_3genE5ELNS1_11target_archE942ELNS1_3gpuE9ELNS1_3repE0EEENS1_30default_config_static_selectorELNS0_4arch9wavefront6targetE0EEEvT1_.kd
    .uniform_work_group_size: 1
    .uses_dynamic_stack: false
    .vgpr_count:     0
    .vgpr_spill_count: 0
    .wavefront_size: 32
    .workgroup_processor_mode: 1
  - .args:
      - .offset:         0
        .size:           112
        .value_kind:     by_value
    .group_segment_fixed_size: 0
    .kernarg_segment_align: 8
    .kernarg_segment_size: 112
    .language:       OpenCL C
    .language_version:
      - 2
      - 0
    .max_flat_workgroup_size: 256
    .name:           _ZN7rocprim17ROCPRIM_400000_NS6detail17trampoline_kernelINS0_14default_configENS1_27scan_by_key_config_selectorIifEEZZNS1_16scan_by_key_implILNS1_25lookback_scan_determinismE0ELb1ES3_N6thrust23THRUST_200600_302600_NS6detail15normal_iteratorINS9_10device_ptrIiEEEENSB_INSC_IjEEEESE_fNS9_4plusIvEENS9_8equal_toIvEEfEE10hipError_tPvRmT2_T3_T4_T5_mT6_T7_P12ihipStream_tbENKUlT_T0_E_clISt17integral_constantIbLb1EES11_EEDaSW_SX_EUlSW_E_NS1_11comp_targetILNS1_3genE4ELNS1_11target_archE910ELNS1_3gpuE8ELNS1_3repE0EEENS1_30default_config_static_selectorELNS0_4arch9wavefront6targetE0EEEvT1_
    .private_segment_fixed_size: 0
    .sgpr_count:     0
    .sgpr_spill_count: 0
    .symbol:         _ZN7rocprim17ROCPRIM_400000_NS6detail17trampoline_kernelINS0_14default_configENS1_27scan_by_key_config_selectorIifEEZZNS1_16scan_by_key_implILNS1_25lookback_scan_determinismE0ELb1ES3_N6thrust23THRUST_200600_302600_NS6detail15normal_iteratorINS9_10device_ptrIiEEEENSB_INSC_IjEEEESE_fNS9_4plusIvEENS9_8equal_toIvEEfEE10hipError_tPvRmT2_T3_T4_T5_mT6_T7_P12ihipStream_tbENKUlT_T0_E_clISt17integral_constantIbLb1EES11_EEDaSW_SX_EUlSW_E_NS1_11comp_targetILNS1_3genE4ELNS1_11target_archE910ELNS1_3gpuE8ELNS1_3repE0EEENS1_30default_config_static_selectorELNS0_4arch9wavefront6targetE0EEEvT1_.kd
    .uniform_work_group_size: 1
    .uses_dynamic_stack: false
    .vgpr_count:     0
    .vgpr_spill_count: 0
    .wavefront_size: 32
    .workgroup_processor_mode: 1
  - .args:
      - .offset:         0
        .size:           112
        .value_kind:     by_value
    .group_segment_fixed_size: 0
    .kernarg_segment_align: 8
    .kernarg_segment_size: 112
    .language:       OpenCL C
    .language_version:
      - 2
      - 0
    .max_flat_workgroup_size: 256
    .name:           _ZN7rocprim17ROCPRIM_400000_NS6detail17trampoline_kernelINS0_14default_configENS1_27scan_by_key_config_selectorIifEEZZNS1_16scan_by_key_implILNS1_25lookback_scan_determinismE0ELb1ES3_N6thrust23THRUST_200600_302600_NS6detail15normal_iteratorINS9_10device_ptrIiEEEENSB_INSC_IjEEEESE_fNS9_4plusIvEENS9_8equal_toIvEEfEE10hipError_tPvRmT2_T3_T4_T5_mT6_T7_P12ihipStream_tbENKUlT_T0_E_clISt17integral_constantIbLb1EES11_EEDaSW_SX_EUlSW_E_NS1_11comp_targetILNS1_3genE3ELNS1_11target_archE908ELNS1_3gpuE7ELNS1_3repE0EEENS1_30default_config_static_selectorELNS0_4arch9wavefront6targetE0EEEvT1_
    .private_segment_fixed_size: 0
    .sgpr_count:     0
    .sgpr_spill_count: 0
    .symbol:         _ZN7rocprim17ROCPRIM_400000_NS6detail17trampoline_kernelINS0_14default_configENS1_27scan_by_key_config_selectorIifEEZZNS1_16scan_by_key_implILNS1_25lookback_scan_determinismE0ELb1ES3_N6thrust23THRUST_200600_302600_NS6detail15normal_iteratorINS9_10device_ptrIiEEEENSB_INSC_IjEEEESE_fNS9_4plusIvEENS9_8equal_toIvEEfEE10hipError_tPvRmT2_T3_T4_T5_mT6_T7_P12ihipStream_tbENKUlT_T0_E_clISt17integral_constantIbLb1EES11_EEDaSW_SX_EUlSW_E_NS1_11comp_targetILNS1_3genE3ELNS1_11target_archE908ELNS1_3gpuE7ELNS1_3repE0EEENS1_30default_config_static_selectorELNS0_4arch9wavefront6targetE0EEEvT1_.kd
    .uniform_work_group_size: 1
    .uses_dynamic_stack: false
    .vgpr_count:     0
    .vgpr_spill_count: 0
    .wavefront_size: 32
    .workgroup_processor_mode: 1
  - .args:
      - .offset:         0
        .size:           112
        .value_kind:     by_value
    .group_segment_fixed_size: 0
    .kernarg_segment_align: 8
    .kernarg_segment_size: 112
    .language:       OpenCL C
    .language_version:
      - 2
      - 0
    .max_flat_workgroup_size: 256
    .name:           _ZN7rocprim17ROCPRIM_400000_NS6detail17trampoline_kernelINS0_14default_configENS1_27scan_by_key_config_selectorIifEEZZNS1_16scan_by_key_implILNS1_25lookback_scan_determinismE0ELb1ES3_N6thrust23THRUST_200600_302600_NS6detail15normal_iteratorINS9_10device_ptrIiEEEENSB_INSC_IjEEEESE_fNS9_4plusIvEENS9_8equal_toIvEEfEE10hipError_tPvRmT2_T3_T4_T5_mT6_T7_P12ihipStream_tbENKUlT_T0_E_clISt17integral_constantIbLb1EES11_EEDaSW_SX_EUlSW_E_NS1_11comp_targetILNS1_3genE2ELNS1_11target_archE906ELNS1_3gpuE6ELNS1_3repE0EEENS1_30default_config_static_selectorELNS0_4arch9wavefront6targetE0EEEvT1_
    .private_segment_fixed_size: 0
    .sgpr_count:     0
    .sgpr_spill_count: 0
    .symbol:         _ZN7rocprim17ROCPRIM_400000_NS6detail17trampoline_kernelINS0_14default_configENS1_27scan_by_key_config_selectorIifEEZZNS1_16scan_by_key_implILNS1_25lookback_scan_determinismE0ELb1ES3_N6thrust23THRUST_200600_302600_NS6detail15normal_iteratorINS9_10device_ptrIiEEEENSB_INSC_IjEEEESE_fNS9_4plusIvEENS9_8equal_toIvEEfEE10hipError_tPvRmT2_T3_T4_T5_mT6_T7_P12ihipStream_tbENKUlT_T0_E_clISt17integral_constantIbLb1EES11_EEDaSW_SX_EUlSW_E_NS1_11comp_targetILNS1_3genE2ELNS1_11target_archE906ELNS1_3gpuE6ELNS1_3repE0EEENS1_30default_config_static_selectorELNS0_4arch9wavefront6targetE0EEEvT1_.kd
    .uniform_work_group_size: 1
    .uses_dynamic_stack: false
    .vgpr_count:     0
    .vgpr_spill_count: 0
    .wavefront_size: 32
    .workgroup_processor_mode: 1
  - .args:
      - .offset:         0
        .size:           112
        .value_kind:     by_value
    .group_segment_fixed_size: 0
    .kernarg_segment_align: 8
    .kernarg_segment_size: 112
    .language:       OpenCL C
    .language_version:
      - 2
      - 0
    .max_flat_workgroup_size: 256
    .name:           _ZN7rocprim17ROCPRIM_400000_NS6detail17trampoline_kernelINS0_14default_configENS1_27scan_by_key_config_selectorIifEEZZNS1_16scan_by_key_implILNS1_25lookback_scan_determinismE0ELb1ES3_N6thrust23THRUST_200600_302600_NS6detail15normal_iteratorINS9_10device_ptrIiEEEENSB_INSC_IjEEEESE_fNS9_4plusIvEENS9_8equal_toIvEEfEE10hipError_tPvRmT2_T3_T4_T5_mT6_T7_P12ihipStream_tbENKUlT_T0_E_clISt17integral_constantIbLb1EES11_EEDaSW_SX_EUlSW_E_NS1_11comp_targetILNS1_3genE10ELNS1_11target_archE1200ELNS1_3gpuE4ELNS1_3repE0EEENS1_30default_config_static_selectorELNS0_4arch9wavefront6targetE0EEEvT1_
    .private_segment_fixed_size: 0
    .sgpr_count:     0
    .sgpr_spill_count: 0
    .symbol:         _ZN7rocprim17ROCPRIM_400000_NS6detail17trampoline_kernelINS0_14default_configENS1_27scan_by_key_config_selectorIifEEZZNS1_16scan_by_key_implILNS1_25lookback_scan_determinismE0ELb1ES3_N6thrust23THRUST_200600_302600_NS6detail15normal_iteratorINS9_10device_ptrIiEEEENSB_INSC_IjEEEESE_fNS9_4plusIvEENS9_8equal_toIvEEfEE10hipError_tPvRmT2_T3_T4_T5_mT6_T7_P12ihipStream_tbENKUlT_T0_E_clISt17integral_constantIbLb1EES11_EEDaSW_SX_EUlSW_E_NS1_11comp_targetILNS1_3genE10ELNS1_11target_archE1200ELNS1_3gpuE4ELNS1_3repE0EEENS1_30default_config_static_selectorELNS0_4arch9wavefront6targetE0EEEvT1_.kd
    .uniform_work_group_size: 1
    .uses_dynamic_stack: false
    .vgpr_count:     0
    .vgpr_spill_count: 0
    .wavefront_size: 32
    .workgroup_processor_mode: 1
  - .args:
      - .offset:         0
        .size:           112
        .value_kind:     by_value
    .group_segment_fixed_size: 0
    .kernarg_segment_align: 8
    .kernarg_segment_size: 112
    .language:       OpenCL C
    .language_version:
      - 2
      - 0
    .max_flat_workgroup_size: 256
    .name:           _ZN7rocprim17ROCPRIM_400000_NS6detail17trampoline_kernelINS0_14default_configENS1_27scan_by_key_config_selectorIifEEZZNS1_16scan_by_key_implILNS1_25lookback_scan_determinismE0ELb1ES3_N6thrust23THRUST_200600_302600_NS6detail15normal_iteratorINS9_10device_ptrIiEEEENSB_INSC_IjEEEESE_fNS9_4plusIvEENS9_8equal_toIvEEfEE10hipError_tPvRmT2_T3_T4_T5_mT6_T7_P12ihipStream_tbENKUlT_T0_E_clISt17integral_constantIbLb1EES11_EEDaSW_SX_EUlSW_E_NS1_11comp_targetILNS1_3genE9ELNS1_11target_archE1100ELNS1_3gpuE3ELNS1_3repE0EEENS1_30default_config_static_selectorELNS0_4arch9wavefront6targetE0EEEvT1_
    .private_segment_fixed_size: 0
    .sgpr_count:     0
    .sgpr_spill_count: 0
    .symbol:         _ZN7rocprim17ROCPRIM_400000_NS6detail17trampoline_kernelINS0_14default_configENS1_27scan_by_key_config_selectorIifEEZZNS1_16scan_by_key_implILNS1_25lookback_scan_determinismE0ELb1ES3_N6thrust23THRUST_200600_302600_NS6detail15normal_iteratorINS9_10device_ptrIiEEEENSB_INSC_IjEEEESE_fNS9_4plusIvEENS9_8equal_toIvEEfEE10hipError_tPvRmT2_T3_T4_T5_mT6_T7_P12ihipStream_tbENKUlT_T0_E_clISt17integral_constantIbLb1EES11_EEDaSW_SX_EUlSW_E_NS1_11comp_targetILNS1_3genE9ELNS1_11target_archE1100ELNS1_3gpuE3ELNS1_3repE0EEENS1_30default_config_static_selectorELNS0_4arch9wavefront6targetE0EEEvT1_.kd
    .uniform_work_group_size: 1
    .uses_dynamic_stack: false
    .vgpr_count:     0
    .vgpr_spill_count: 0
    .wavefront_size: 32
    .workgroup_processor_mode: 1
  - .args:
      - .offset:         0
        .size:           112
        .value_kind:     by_value
    .group_segment_fixed_size: 0
    .kernarg_segment_align: 8
    .kernarg_segment_size: 112
    .language:       OpenCL C
    .language_version:
      - 2
      - 0
    .max_flat_workgroup_size: 256
    .name:           _ZN7rocprim17ROCPRIM_400000_NS6detail17trampoline_kernelINS0_14default_configENS1_27scan_by_key_config_selectorIifEEZZNS1_16scan_by_key_implILNS1_25lookback_scan_determinismE0ELb1ES3_N6thrust23THRUST_200600_302600_NS6detail15normal_iteratorINS9_10device_ptrIiEEEENSB_INSC_IjEEEESE_fNS9_4plusIvEENS9_8equal_toIvEEfEE10hipError_tPvRmT2_T3_T4_T5_mT6_T7_P12ihipStream_tbENKUlT_T0_E_clISt17integral_constantIbLb1EES11_EEDaSW_SX_EUlSW_E_NS1_11comp_targetILNS1_3genE8ELNS1_11target_archE1030ELNS1_3gpuE2ELNS1_3repE0EEENS1_30default_config_static_selectorELNS0_4arch9wavefront6targetE0EEEvT1_
    .private_segment_fixed_size: 0
    .sgpr_count:     0
    .sgpr_spill_count: 0
    .symbol:         _ZN7rocprim17ROCPRIM_400000_NS6detail17trampoline_kernelINS0_14default_configENS1_27scan_by_key_config_selectorIifEEZZNS1_16scan_by_key_implILNS1_25lookback_scan_determinismE0ELb1ES3_N6thrust23THRUST_200600_302600_NS6detail15normal_iteratorINS9_10device_ptrIiEEEENSB_INSC_IjEEEESE_fNS9_4plusIvEENS9_8equal_toIvEEfEE10hipError_tPvRmT2_T3_T4_T5_mT6_T7_P12ihipStream_tbENKUlT_T0_E_clISt17integral_constantIbLb1EES11_EEDaSW_SX_EUlSW_E_NS1_11comp_targetILNS1_3genE8ELNS1_11target_archE1030ELNS1_3gpuE2ELNS1_3repE0EEENS1_30default_config_static_selectorELNS0_4arch9wavefront6targetE0EEEvT1_.kd
    .uniform_work_group_size: 1
    .uses_dynamic_stack: false
    .vgpr_count:     0
    .vgpr_spill_count: 0
    .wavefront_size: 32
    .workgroup_processor_mode: 1
  - .args:
      - .offset:         0
        .size:           112
        .value_kind:     by_value
    .group_segment_fixed_size: 0
    .kernarg_segment_align: 8
    .kernarg_segment_size: 112
    .language:       OpenCL C
    .language_version:
      - 2
      - 0
    .max_flat_workgroup_size: 256
    .name:           _ZN7rocprim17ROCPRIM_400000_NS6detail17trampoline_kernelINS0_14default_configENS1_27scan_by_key_config_selectorIifEEZZNS1_16scan_by_key_implILNS1_25lookback_scan_determinismE0ELb1ES3_N6thrust23THRUST_200600_302600_NS6detail15normal_iteratorINS9_10device_ptrIiEEEENSB_INSC_IjEEEESE_fNS9_4plusIvEENS9_8equal_toIvEEfEE10hipError_tPvRmT2_T3_T4_T5_mT6_T7_P12ihipStream_tbENKUlT_T0_E_clISt17integral_constantIbLb1EES10_IbLb0EEEEDaSW_SX_EUlSW_E_NS1_11comp_targetILNS1_3genE0ELNS1_11target_archE4294967295ELNS1_3gpuE0ELNS1_3repE0EEENS1_30default_config_static_selectorELNS0_4arch9wavefront6targetE0EEEvT1_
    .private_segment_fixed_size: 0
    .sgpr_count:     0
    .sgpr_spill_count: 0
    .symbol:         _ZN7rocprim17ROCPRIM_400000_NS6detail17trampoline_kernelINS0_14default_configENS1_27scan_by_key_config_selectorIifEEZZNS1_16scan_by_key_implILNS1_25lookback_scan_determinismE0ELb1ES3_N6thrust23THRUST_200600_302600_NS6detail15normal_iteratorINS9_10device_ptrIiEEEENSB_INSC_IjEEEESE_fNS9_4plusIvEENS9_8equal_toIvEEfEE10hipError_tPvRmT2_T3_T4_T5_mT6_T7_P12ihipStream_tbENKUlT_T0_E_clISt17integral_constantIbLb1EES10_IbLb0EEEEDaSW_SX_EUlSW_E_NS1_11comp_targetILNS1_3genE0ELNS1_11target_archE4294967295ELNS1_3gpuE0ELNS1_3repE0EEENS1_30default_config_static_selectorELNS0_4arch9wavefront6targetE0EEEvT1_.kd
    .uniform_work_group_size: 1
    .uses_dynamic_stack: false
    .vgpr_count:     0
    .vgpr_spill_count: 0
    .wavefront_size: 32
    .workgroup_processor_mode: 1
  - .args:
      - .offset:         0
        .size:           112
        .value_kind:     by_value
    .group_segment_fixed_size: 0
    .kernarg_segment_align: 8
    .kernarg_segment_size: 112
    .language:       OpenCL C
    .language_version:
      - 2
      - 0
    .max_flat_workgroup_size: 256
    .name:           _ZN7rocprim17ROCPRIM_400000_NS6detail17trampoline_kernelINS0_14default_configENS1_27scan_by_key_config_selectorIifEEZZNS1_16scan_by_key_implILNS1_25lookback_scan_determinismE0ELb1ES3_N6thrust23THRUST_200600_302600_NS6detail15normal_iteratorINS9_10device_ptrIiEEEENSB_INSC_IjEEEESE_fNS9_4plusIvEENS9_8equal_toIvEEfEE10hipError_tPvRmT2_T3_T4_T5_mT6_T7_P12ihipStream_tbENKUlT_T0_E_clISt17integral_constantIbLb1EES10_IbLb0EEEEDaSW_SX_EUlSW_E_NS1_11comp_targetILNS1_3genE10ELNS1_11target_archE1201ELNS1_3gpuE5ELNS1_3repE0EEENS1_30default_config_static_selectorELNS0_4arch9wavefront6targetE0EEEvT1_
    .private_segment_fixed_size: 0
    .sgpr_count:     0
    .sgpr_spill_count: 0
    .symbol:         _ZN7rocprim17ROCPRIM_400000_NS6detail17trampoline_kernelINS0_14default_configENS1_27scan_by_key_config_selectorIifEEZZNS1_16scan_by_key_implILNS1_25lookback_scan_determinismE0ELb1ES3_N6thrust23THRUST_200600_302600_NS6detail15normal_iteratorINS9_10device_ptrIiEEEENSB_INSC_IjEEEESE_fNS9_4plusIvEENS9_8equal_toIvEEfEE10hipError_tPvRmT2_T3_T4_T5_mT6_T7_P12ihipStream_tbENKUlT_T0_E_clISt17integral_constantIbLb1EES10_IbLb0EEEEDaSW_SX_EUlSW_E_NS1_11comp_targetILNS1_3genE10ELNS1_11target_archE1201ELNS1_3gpuE5ELNS1_3repE0EEENS1_30default_config_static_selectorELNS0_4arch9wavefront6targetE0EEEvT1_.kd
    .uniform_work_group_size: 1
    .uses_dynamic_stack: false
    .vgpr_count:     0
    .vgpr_spill_count: 0
    .wavefront_size: 32
    .workgroup_processor_mode: 1
  - .args:
      - .offset:         0
        .size:           112
        .value_kind:     by_value
    .group_segment_fixed_size: 0
    .kernarg_segment_align: 8
    .kernarg_segment_size: 112
    .language:       OpenCL C
    .language_version:
      - 2
      - 0
    .max_flat_workgroup_size: 256
    .name:           _ZN7rocprim17ROCPRIM_400000_NS6detail17trampoline_kernelINS0_14default_configENS1_27scan_by_key_config_selectorIifEEZZNS1_16scan_by_key_implILNS1_25lookback_scan_determinismE0ELb1ES3_N6thrust23THRUST_200600_302600_NS6detail15normal_iteratorINS9_10device_ptrIiEEEENSB_INSC_IjEEEESE_fNS9_4plusIvEENS9_8equal_toIvEEfEE10hipError_tPvRmT2_T3_T4_T5_mT6_T7_P12ihipStream_tbENKUlT_T0_E_clISt17integral_constantIbLb1EES10_IbLb0EEEEDaSW_SX_EUlSW_E_NS1_11comp_targetILNS1_3genE5ELNS1_11target_archE942ELNS1_3gpuE9ELNS1_3repE0EEENS1_30default_config_static_selectorELNS0_4arch9wavefront6targetE0EEEvT1_
    .private_segment_fixed_size: 0
    .sgpr_count:     0
    .sgpr_spill_count: 0
    .symbol:         _ZN7rocprim17ROCPRIM_400000_NS6detail17trampoline_kernelINS0_14default_configENS1_27scan_by_key_config_selectorIifEEZZNS1_16scan_by_key_implILNS1_25lookback_scan_determinismE0ELb1ES3_N6thrust23THRUST_200600_302600_NS6detail15normal_iteratorINS9_10device_ptrIiEEEENSB_INSC_IjEEEESE_fNS9_4plusIvEENS9_8equal_toIvEEfEE10hipError_tPvRmT2_T3_T4_T5_mT6_T7_P12ihipStream_tbENKUlT_T0_E_clISt17integral_constantIbLb1EES10_IbLb0EEEEDaSW_SX_EUlSW_E_NS1_11comp_targetILNS1_3genE5ELNS1_11target_archE942ELNS1_3gpuE9ELNS1_3repE0EEENS1_30default_config_static_selectorELNS0_4arch9wavefront6targetE0EEEvT1_.kd
    .uniform_work_group_size: 1
    .uses_dynamic_stack: false
    .vgpr_count:     0
    .vgpr_spill_count: 0
    .wavefront_size: 32
    .workgroup_processor_mode: 1
  - .args:
      - .offset:         0
        .size:           112
        .value_kind:     by_value
    .group_segment_fixed_size: 0
    .kernarg_segment_align: 8
    .kernarg_segment_size: 112
    .language:       OpenCL C
    .language_version:
      - 2
      - 0
    .max_flat_workgroup_size: 256
    .name:           _ZN7rocprim17ROCPRIM_400000_NS6detail17trampoline_kernelINS0_14default_configENS1_27scan_by_key_config_selectorIifEEZZNS1_16scan_by_key_implILNS1_25lookback_scan_determinismE0ELb1ES3_N6thrust23THRUST_200600_302600_NS6detail15normal_iteratorINS9_10device_ptrIiEEEENSB_INSC_IjEEEESE_fNS9_4plusIvEENS9_8equal_toIvEEfEE10hipError_tPvRmT2_T3_T4_T5_mT6_T7_P12ihipStream_tbENKUlT_T0_E_clISt17integral_constantIbLb1EES10_IbLb0EEEEDaSW_SX_EUlSW_E_NS1_11comp_targetILNS1_3genE4ELNS1_11target_archE910ELNS1_3gpuE8ELNS1_3repE0EEENS1_30default_config_static_selectorELNS0_4arch9wavefront6targetE0EEEvT1_
    .private_segment_fixed_size: 0
    .sgpr_count:     0
    .sgpr_spill_count: 0
    .symbol:         _ZN7rocprim17ROCPRIM_400000_NS6detail17trampoline_kernelINS0_14default_configENS1_27scan_by_key_config_selectorIifEEZZNS1_16scan_by_key_implILNS1_25lookback_scan_determinismE0ELb1ES3_N6thrust23THRUST_200600_302600_NS6detail15normal_iteratorINS9_10device_ptrIiEEEENSB_INSC_IjEEEESE_fNS9_4plusIvEENS9_8equal_toIvEEfEE10hipError_tPvRmT2_T3_T4_T5_mT6_T7_P12ihipStream_tbENKUlT_T0_E_clISt17integral_constantIbLb1EES10_IbLb0EEEEDaSW_SX_EUlSW_E_NS1_11comp_targetILNS1_3genE4ELNS1_11target_archE910ELNS1_3gpuE8ELNS1_3repE0EEENS1_30default_config_static_selectorELNS0_4arch9wavefront6targetE0EEEvT1_.kd
    .uniform_work_group_size: 1
    .uses_dynamic_stack: false
    .vgpr_count:     0
    .vgpr_spill_count: 0
    .wavefront_size: 32
    .workgroup_processor_mode: 1
  - .args:
      - .offset:         0
        .size:           112
        .value_kind:     by_value
    .group_segment_fixed_size: 0
    .kernarg_segment_align: 8
    .kernarg_segment_size: 112
    .language:       OpenCL C
    .language_version:
      - 2
      - 0
    .max_flat_workgroup_size: 256
    .name:           _ZN7rocprim17ROCPRIM_400000_NS6detail17trampoline_kernelINS0_14default_configENS1_27scan_by_key_config_selectorIifEEZZNS1_16scan_by_key_implILNS1_25lookback_scan_determinismE0ELb1ES3_N6thrust23THRUST_200600_302600_NS6detail15normal_iteratorINS9_10device_ptrIiEEEENSB_INSC_IjEEEESE_fNS9_4plusIvEENS9_8equal_toIvEEfEE10hipError_tPvRmT2_T3_T4_T5_mT6_T7_P12ihipStream_tbENKUlT_T0_E_clISt17integral_constantIbLb1EES10_IbLb0EEEEDaSW_SX_EUlSW_E_NS1_11comp_targetILNS1_3genE3ELNS1_11target_archE908ELNS1_3gpuE7ELNS1_3repE0EEENS1_30default_config_static_selectorELNS0_4arch9wavefront6targetE0EEEvT1_
    .private_segment_fixed_size: 0
    .sgpr_count:     0
    .sgpr_spill_count: 0
    .symbol:         _ZN7rocprim17ROCPRIM_400000_NS6detail17trampoline_kernelINS0_14default_configENS1_27scan_by_key_config_selectorIifEEZZNS1_16scan_by_key_implILNS1_25lookback_scan_determinismE0ELb1ES3_N6thrust23THRUST_200600_302600_NS6detail15normal_iteratorINS9_10device_ptrIiEEEENSB_INSC_IjEEEESE_fNS9_4plusIvEENS9_8equal_toIvEEfEE10hipError_tPvRmT2_T3_T4_T5_mT6_T7_P12ihipStream_tbENKUlT_T0_E_clISt17integral_constantIbLb1EES10_IbLb0EEEEDaSW_SX_EUlSW_E_NS1_11comp_targetILNS1_3genE3ELNS1_11target_archE908ELNS1_3gpuE7ELNS1_3repE0EEENS1_30default_config_static_selectorELNS0_4arch9wavefront6targetE0EEEvT1_.kd
    .uniform_work_group_size: 1
    .uses_dynamic_stack: false
    .vgpr_count:     0
    .vgpr_spill_count: 0
    .wavefront_size: 32
    .workgroup_processor_mode: 1
  - .args:
      - .offset:         0
        .size:           112
        .value_kind:     by_value
    .group_segment_fixed_size: 0
    .kernarg_segment_align: 8
    .kernarg_segment_size: 112
    .language:       OpenCL C
    .language_version:
      - 2
      - 0
    .max_flat_workgroup_size: 256
    .name:           _ZN7rocprim17ROCPRIM_400000_NS6detail17trampoline_kernelINS0_14default_configENS1_27scan_by_key_config_selectorIifEEZZNS1_16scan_by_key_implILNS1_25lookback_scan_determinismE0ELb1ES3_N6thrust23THRUST_200600_302600_NS6detail15normal_iteratorINS9_10device_ptrIiEEEENSB_INSC_IjEEEESE_fNS9_4plusIvEENS9_8equal_toIvEEfEE10hipError_tPvRmT2_T3_T4_T5_mT6_T7_P12ihipStream_tbENKUlT_T0_E_clISt17integral_constantIbLb1EES10_IbLb0EEEEDaSW_SX_EUlSW_E_NS1_11comp_targetILNS1_3genE2ELNS1_11target_archE906ELNS1_3gpuE6ELNS1_3repE0EEENS1_30default_config_static_selectorELNS0_4arch9wavefront6targetE0EEEvT1_
    .private_segment_fixed_size: 0
    .sgpr_count:     0
    .sgpr_spill_count: 0
    .symbol:         _ZN7rocprim17ROCPRIM_400000_NS6detail17trampoline_kernelINS0_14default_configENS1_27scan_by_key_config_selectorIifEEZZNS1_16scan_by_key_implILNS1_25lookback_scan_determinismE0ELb1ES3_N6thrust23THRUST_200600_302600_NS6detail15normal_iteratorINS9_10device_ptrIiEEEENSB_INSC_IjEEEESE_fNS9_4plusIvEENS9_8equal_toIvEEfEE10hipError_tPvRmT2_T3_T4_T5_mT6_T7_P12ihipStream_tbENKUlT_T0_E_clISt17integral_constantIbLb1EES10_IbLb0EEEEDaSW_SX_EUlSW_E_NS1_11comp_targetILNS1_3genE2ELNS1_11target_archE906ELNS1_3gpuE6ELNS1_3repE0EEENS1_30default_config_static_selectorELNS0_4arch9wavefront6targetE0EEEvT1_.kd
    .uniform_work_group_size: 1
    .uses_dynamic_stack: false
    .vgpr_count:     0
    .vgpr_spill_count: 0
    .wavefront_size: 32
    .workgroup_processor_mode: 1
  - .args:
      - .offset:         0
        .size:           112
        .value_kind:     by_value
    .group_segment_fixed_size: 0
    .kernarg_segment_align: 8
    .kernarg_segment_size: 112
    .language:       OpenCL C
    .language_version:
      - 2
      - 0
    .max_flat_workgroup_size: 256
    .name:           _ZN7rocprim17ROCPRIM_400000_NS6detail17trampoline_kernelINS0_14default_configENS1_27scan_by_key_config_selectorIifEEZZNS1_16scan_by_key_implILNS1_25lookback_scan_determinismE0ELb1ES3_N6thrust23THRUST_200600_302600_NS6detail15normal_iteratorINS9_10device_ptrIiEEEENSB_INSC_IjEEEESE_fNS9_4plusIvEENS9_8equal_toIvEEfEE10hipError_tPvRmT2_T3_T4_T5_mT6_T7_P12ihipStream_tbENKUlT_T0_E_clISt17integral_constantIbLb1EES10_IbLb0EEEEDaSW_SX_EUlSW_E_NS1_11comp_targetILNS1_3genE10ELNS1_11target_archE1200ELNS1_3gpuE4ELNS1_3repE0EEENS1_30default_config_static_selectorELNS0_4arch9wavefront6targetE0EEEvT1_
    .private_segment_fixed_size: 0
    .sgpr_count:     0
    .sgpr_spill_count: 0
    .symbol:         _ZN7rocprim17ROCPRIM_400000_NS6detail17trampoline_kernelINS0_14default_configENS1_27scan_by_key_config_selectorIifEEZZNS1_16scan_by_key_implILNS1_25lookback_scan_determinismE0ELb1ES3_N6thrust23THRUST_200600_302600_NS6detail15normal_iteratorINS9_10device_ptrIiEEEENSB_INSC_IjEEEESE_fNS9_4plusIvEENS9_8equal_toIvEEfEE10hipError_tPvRmT2_T3_T4_T5_mT6_T7_P12ihipStream_tbENKUlT_T0_E_clISt17integral_constantIbLb1EES10_IbLb0EEEEDaSW_SX_EUlSW_E_NS1_11comp_targetILNS1_3genE10ELNS1_11target_archE1200ELNS1_3gpuE4ELNS1_3repE0EEENS1_30default_config_static_selectorELNS0_4arch9wavefront6targetE0EEEvT1_.kd
    .uniform_work_group_size: 1
    .uses_dynamic_stack: false
    .vgpr_count:     0
    .vgpr_spill_count: 0
    .wavefront_size: 32
    .workgroup_processor_mode: 1
  - .args:
      - .offset:         0
        .size:           112
        .value_kind:     by_value
    .group_segment_fixed_size: 0
    .kernarg_segment_align: 8
    .kernarg_segment_size: 112
    .language:       OpenCL C
    .language_version:
      - 2
      - 0
    .max_flat_workgroup_size: 256
    .name:           _ZN7rocprim17ROCPRIM_400000_NS6detail17trampoline_kernelINS0_14default_configENS1_27scan_by_key_config_selectorIifEEZZNS1_16scan_by_key_implILNS1_25lookback_scan_determinismE0ELb1ES3_N6thrust23THRUST_200600_302600_NS6detail15normal_iteratorINS9_10device_ptrIiEEEENSB_INSC_IjEEEESE_fNS9_4plusIvEENS9_8equal_toIvEEfEE10hipError_tPvRmT2_T3_T4_T5_mT6_T7_P12ihipStream_tbENKUlT_T0_E_clISt17integral_constantIbLb1EES10_IbLb0EEEEDaSW_SX_EUlSW_E_NS1_11comp_targetILNS1_3genE9ELNS1_11target_archE1100ELNS1_3gpuE3ELNS1_3repE0EEENS1_30default_config_static_selectorELNS0_4arch9wavefront6targetE0EEEvT1_
    .private_segment_fixed_size: 0
    .sgpr_count:     0
    .sgpr_spill_count: 0
    .symbol:         _ZN7rocprim17ROCPRIM_400000_NS6detail17trampoline_kernelINS0_14default_configENS1_27scan_by_key_config_selectorIifEEZZNS1_16scan_by_key_implILNS1_25lookback_scan_determinismE0ELb1ES3_N6thrust23THRUST_200600_302600_NS6detail15normal_iteratorINS9_10device_ptrIiEEEENSB_INSC_IjEEEESE_fNS9_4plusIvEENS9_8equal_toIvEEfEE10hipError_tPvRmT2_T3_T4_T5_mT6_T7_P12ihipStream_tbENKUlT_T0_E_clISt17integral_constantIbLb1EES10_IbLb0EEEEDaSW_SX_EUlSW_E_NS1_11comp_targetILNS1_3genE9ELNS1_11target_archE1100ELNS1_3gpuE3ELNS1_3repE0EEENS1_30default_config_static_selectorELNS0_4arch9wavefront6targetE0EEEvT1_.kd
    .uniform_work_group_size: 1
    .uses_dynamic_stack: false
    .vgpr_count:     0
    .vgpr_spill_count: 0
    .wavefront_size: 32
    .workgroup_processor_mode: 1
  - .args:
      - .offset:         0
        .size:           112
        .value_kind:     by_value
    .group_segment_fixed_size: 0
    .kernarg_segment_align: 8
    .kernarg_segment_size: 112
    .language:       OpenCL C
    .language_version:
      - 2
      - 0
    .max_flat_workgroup_size: 256
    .name:           _ZN7rocprim17ROCPRIM_400000_NS6detail17trampoline_kernelINS0_14default_configENS1_27scan_by_key_config_selectorIifEEZZNS1_16scan_by_key_implILNS1_25lookback_scan_determinismE0ELb1ES3_N6thrust23THRUST_200600_302600_NS6detail15normal_iteratorINS9_10device_ptrIiEEEENSB_INSC_IjEEEESE_fNS9_4plusIvEENS9_8equal_toIvEEfEE10hipError_tPvRmT2_T3_T4_T5_mT6_T7_P12ihipStream_tbENKUlT_T0_E_clISt17integral_constantIbLb1EES10_IbLb0EEEEDaSW_SX_EUlSW_E_NS1_11comp_targetILNS1_3genE8ELNS1_11target_archE1030ELNS1_3gpuE2ELNS1_3repE0EEENS1_30default_config_static_selectorELNS0_4arch9wavefront6targetE0EEEvT1_
    .private_segment_fixed_size: 0
    .sgpr_count:     0
    .sgpr_spill_count: 0
    .symbol:         _ZN7rocprim17ROCPRIM_400000_NS6detail17trampoline_kernelINS0_14default_configENS1_27scan_by_key_config_selectorIifEEZZNS1_16scan_by_key_implILNS1_25lookback_scan_determinismE0ELb1ES3_N6thrust23THRUST_200600_302600_NS6detail15normal_iteratorINS9_10device_ptrIiEEEENSB_INSC_IjEEEESE_fNS9_4plusIvEENS9_8equal_toIvEEfEE10hipError_tPvRmT2_T3_T4_T5_mT6_T7_P12ihipStream_tbENKUlT_T0_E_clISt17integral_constantIbLb1EES10_IbLb0EEEEDaSW_SX_EUlSW_E_NS1_11comp_targetILNS1_3genE8ELNS1_11target_archE1030ELNS1_3gpuE2ELNS1_3repE0EEENS1_30default_config_static_selectorELNS0_4arch9wavefront6targetE0EEEvT1_.kd
    .uniform_work_group_size: 1
    .uses_dynamic_stack: false
    .vgpr_count:     0
    .vgpr_spill_count: 0
    .wavefront_size: 32
    .workgroup_processor_mode: 1
  - .args:
      - .offset:         0
        .size:           112
        .value_kind:     by_value
    .group_segment_fixed_size: 0
    .kernarg_segment_align: 8
    .kernarg_segment_size: 112
    .language:       OpenCL C
    .language_version:
      - 2
      - 0
    .max_flat_workgroup_size: 256
    .name:           _ZN7rocprim17ROCPRIM_400000_NS6detail17trampoline_kernelINS0_14default_configENS1_27scan_by_key_config_selectorIifEEZZNS1_16scan_by_key_implILNS1_25lookback_scan_determinismE0ELb1ES3_N6thrust23THRUST_200600_302600_NS6detail15normal_iteratorINS9_10device_ptrIiEEEENSB_INSC_IjEEEESE_fNS9_4plusIvEENS9_8equal_toIvEEfEE10hipError_tPvRmT2_T3_T4_T5_mT6_T7_P12ihipStream_tbENKUlT_T0_E_clISt17integral_constantIbLb0EES10_IbLb1EEEEDaSW_SX_EUlSW_E_NS1_11comp_targetILNS1_3genE0ELNS1_11target_archE4294967295ELNS1_3gpuE0ELNS1_3repE0EEENS1_30default_config_static_selectorELNS0_4arch9wavefront6targetE0EEEvT1_
    .private_segment_fixed_size: 0
    .sgpr_count:     0
    .sgpr_spill_count: 0
    .symbol:         _ZN7rocprim17ROCPRIM_400000_NS6detail17trampoline_kernelINS0_14default_configENS1_27scan_by_key_config_selectorIifEEZZNS1_16scan_by_key_implILNS1_25lookback_scan_determinismE0ELb1ES3_N6thrust23THRUST_200600_302600_NS6detail15normal_iteratorINS9_10device_ptrIiEEEENSB_INSC_IjEEEESE_fNS9_4plusIvEENS9_8equal_toIvEEfEE10hipError_tPvRmT2_T3_T4_T5_mT6_T7_P12ihipStream_tbENKUlT_T0_E_clISt17integral_constantIbLb0EES10_IbLb1EEEEDaSW_SX_EUlSW_E_NS1_11comp_targetILNS1_3genE0ELNS1_11target_archE4294967295ELNS1_3gpuE0ELNS1_3repE0EEENS1_30default_config_static_selectorELNS0_4arch9wavefront6targetE0EEEvT1_.kd
    .uniform_work_group_size: 1
    .uses_dynamic_stack: false
    .vgpr_count:     0
    .vgpr_spill_count: 0
    .wavefront_size: 32
    .workgroup_processor_mode: 1
  - .args:
      - .offset:         0
        .size:           112
        .value_kind:     by_value
    .group_segment_fixed_size: 0
    .kernarg_segment_align: 8
    .kernarg_segment_size: 112
    .language:       OpenCL C
    .language_version:
      - 2
      - 0
    .max_flat_workgroup_size: 256
    .name:           _ZN7rocprim17ROCPRIM_400000_NS6detail17trampoline_kernelINS0_14default_configENS1_27scan_by_key_config_selectorIifEEZZNS1_16scan_by_key_implILNS1_25lookback_scan_determinismE0ELb1ES3_N6thrust23THRUST_200600_302600_NS6detail15normal_iteratorINS9_10device_ptrIiEEEENSB_INSC_IjEEEESE_fNS9_4plusIvEENS9_8equal_toIvEEfEE10hipError_tPvRmT2_T3_T4_T5_mT6_T7_P12ihipStream_tbENKUlT_T0_E_clISt17integral_constantIbLb0EES10_IbLb1EEEEDaSW_SX_EUlSW_E_NS1_11comp_targetILNS1_3genE10ELNS1_11target_archE1201ELNS1_3gpuE5ELNS1_3repE0EEENS1_30default_config_static_selectorELNS0_4arch9wavefront6targetE0EEEvT1_
    .private_segment_fixed_size: 0
    .sgpr_count:     0
    .sgpr_spill_count: 0
    .symbol:         _ZN7rocprim17ROCPRIM_400000_NS6detail17trampoline_kernelINS0_14default_configENS1_27scan_by_key_config_selectorIifEEZZNS1_16scan_by_key_implILNS1_25lookback_scan_determinismE0ELb1ES3_N6thrust23THRUST_200600_302600_NS6detail15normal_iteratorINS9_10device_ptrIiEEEENSB_INSC_IjEEEESE_fNS9_4plusIvEENS9_8equal_toIvEEfEE10hipError_tPvRmT2_T3_T4_T5_mT6_T7_P12ihipStream_tbENKUlT_T0_E_clISt17integral_constantIbLb0EES10_IbLb1EEEEDaSW_SX_EUlSW_E_NS1_11comp_targetILNS1_3genE10ELNS1_11target_archE1201ELNS1_3gpuE5ELNS1_3repE0EEENS1_30default_config_static_selectorELNS0_4arch9wavefront6targetE0EEEvT1_.kd
    .uniform_work_group_size: 1
    .uses_dynamic_stack: false
    .vgpr_count:     0
    .vgpr_spill_count: 0
    .wavefront_size: 32
    .workgroup_processor_mode: 1
  - .args:
      - .offset:         0
        .size:           112
        .value_kind:     by_value
    .group_segment_fixed_size: 0
    .kernarg_segment_align: 8
    .kernarg_segment_size: 112
    .language:       OpenCL C
    .language_version:
      - 2
      - 0
    .max_flat_workgroup_size: 256
    .name:           _ZN7rocprim17ROCPRIM_400000_NS6detail17trampoline_kernelINS0_14default_configENS1_27scan_by_key_config_selectorIifEEZZNS1_16scan_by_key_implILNS1_25lookback_scan_determinismE0ELb1ES3_N6thrust23THRUST_200600_302600_NS6detail15normal_iteratorINS9_10device_ptrIiEEEENSB_INSC_IjEEEESE_fNS9_4plusIvEENS9_8equal_toIvEEfEE10hipError_tPvRmT2_T3_T4_T5_mT6_T7_P12ihipStream_tbENKUlT_T0_E_clISt17integral_constantIbLb0EES10_IbLb1EEEEDaSW_SX_EUlSW_E_NS1_11comp_targetILNS1_3genE5ELNS1_11target_archE942ELNS1_3gpuE9ELNS1_3repE0EEENS1_30default_config_static_selectorELNS0_4arch9wavefront6targetE0EEEvT1_
    .private_segment_fixed_size: 0
    .sgpr_count:     0
    .sgpr_spill_count: 0
    .symbol:         _ZN7rocprim17ROCPRIM_400000_NS6detail17trampoline_kernelINS0_14default_configENS1_27scan_by_key_config_selectorIifEEZZNS1_16scan_by_key_implILNS1_25lookback_scan_determinismE0ELb1ES3_N6thrust23THRUST_200600_302600_NS6detail15normal_iteratorINS9_10device_ptrIiEEEENSB_INSC_IjEEEESE_fNS9_4plusIvEENS9_8equal_toIvEEfEE10hipError_tPvRmT2_T3_T4_T5_mT6_T7_P12ihipStream_tbENKUlT_T0_E_clISt17integral_constantIbLb0EES10_IbLb1EEEEDaSW_SX_EUlSW_E_NS1_11comp_targetILNS1_3genE5ELNS1_11target_archE942ELNS1_3gpuE9ELNS1_3repE0EEENS1_30default_config_static_selectorELNS0_4arch9wavefront6targetE0EEEvT1_.kd
    .uniform_work_group_size: 1
    .uses_dynamic_stack: false
    .vgpr_count:     0
    .vgpr_spill_count: 0
    .wavefront_size: 32
    .workgroup_processor_mode: 1
  - .args:
      - .offset:         0
        .size:           112
        .value_kind:     by_value
    .group_segment_fixed_size: 0
    .kernarg_segment_align: 8
    .kernarg_segment_size: 112
    .language:       OpenCL C
    .language_version:
      - 2
      - 0
    .max_flat_workgroup_size: 256
    .name:           _ZN7rocprim17ROCPRIM_400000_NS6detail17trampoline_kernelINS0_14default_configENS1_27scan_by_key_config_selectorIifEEZZNS1_16scan_by_key_implILNS1_25lookback_scan_determinismE0ELb1ES3_N6thrust23THRUST_200600_302600_NS6detail15normal_iteratorINS9_10device_ptrIiEEEENSB_INSC_IjEEEESE_fNS9_4plusIvEENS9_8equal_toIvEEfEE10hipError_tPvRmT2_T3_T4_T5_mT6_T7_P12ihipStream_tbENKUlT_T0_E_clISt17integral_constantIbLb0EES10_IbLb1EEEEDaSW_SX_EUlSW_E_NS1_11comp_targetILNS1_3genE4ELNS1_11target_archE910ELNS1_3gpuE8ELNS1_3repE0EEENS1_30default_config_static_selectorELNS0_4arch9wavefront6targetE0EEEvT1_
    .private_segment_fixed_size: 0
    .sgpr_count:     0
    .sgpr_spill_count: 0
    .symbol:         _ZN7rocprim17ROCPRIM_400000_NS6detail17trampoline_kernelINS0_14default_configENS1_27scan_by_key_config_selectorIifEEZZNS1_16scan_by_key_implILNS1_25lookback_scan_determinismE0ELb1ES3_N6thrust23THRUST_200600_302600_NS6detail15normal_iteratorINS9_10device_ptrIiEEEENSB_INSC_IjEEEESE_fNS9_4plusIvEENS9_8equal_toIvEEfEE10hipError_tPvRmT2_T3_T4_T5_mT6_T7_P12ihipStream_tbENKUlT_T0_E_clISt17integral_constantIbLb0EES10_IbLb1EEEEDaSW_SX_EUlSW_E_NS1_11comp_targetILNS1_3genE4ELNS1_11target_archE910ELNS1_3gpuE8ELNS1_3repE0EEENS1_30default_config_static_selectorELNS0_4arch9wavefront6targetE0EEEvT1_.kd
    .uniform_work_group_size: 1
    .uses_dynamic_stack: false
    .vgpr_count:     0
    .vgpr_spill_count: 0
    .wavefront_size: 32
    .workgroup_processor_mode: 1
  - .args:
      - .offset:         0
        .size:           112
        .value_kind:     by_value
    .group_segment_fixed_size: 0
    .kernarg_segment_align: 8
    .kernarg_segment_size: 112
    .language:       OpenCL C
    .language_version:
      - 2
      - 0
    .max_flat_workgroup_size: 256
    .name:           _ZN7rocprim17ROCPRIM_400000_NS6detail17trampoline_kernelINS0_14default_configENS1_27scan_by_key_config_selectorIifEEZZNS1_16scan_by_key_implILNS1_25lookback_scan_determinismE0ELb1ES3_N6thrust23THRUST_200600_302600_NS6detail15normal_iteratorINS9_10device_ptrIiEEEENSB_INSC_IjEEEESE_fNS9_4plusIvEENS9_8equal_toIvEEfEE10hipError_tPvRmT2_T3_T4_T5_mT6_T7_P12ihipStream_tbENKUlT_T0_E_clISt17integral_constantIbLb0EES10_IbLb1EEEEDaSW_SX_EUlSW_E_NS1_11comp_targetILNS1_3genE3ELNS1_11target_archE908ELNS1_3gpuE7ELNS1_3repE0EEENS1_30default_config_static_selectorELNS0_4arch9wavefront6targetE0EEEvT1_
    .private_segment_fixed_size: 0
    .sgpr_count:     0
    .sgpr_spill_count: 0
    .symbol:         _ZN7rocprim17ROCPRIM_400000_NS6detail17trampoline_kernelINS0_14default_configENS1_27scan_by_key_config_selectorIifEEZZNS1_16scan_by_key_implILNS1_25lookback_scan_determinismE0ELb1ES3_N6thrust23THRUST_200600_302600_NS6detail15normal_iteratorINS9_10device_ptrIiEEEENSB_INSC_IjEEEESE_fNS9_4plusIvEENS9_8equal_toIvEEfEE10hipError_tPvRmT2_T3_T4_T5_mT6_T7_P12ihipStream_tbENKUlT_T0_E_clISt17integral_constantIbLb0EES10_IbLb1EEEEDaSW_SX_EUlSW_E_NS1_11comp_targetILNS1_3genE3ELNS1_11target_archE908ELNS1_3gpuE7ELNS1_3repE0EEENS1_30default_config_static_selectorELNS0_4arch9wavefront6targetE0EEEvT1_.kd
    .uniform_work_group_size: 1
    .uses_dynamic_stack: false
    .vgpr_count:     0
    .vgpr_spill_count: 0
    .wavefront_size: 32
    .workgroup_processor_mode: 1
  - .args:
      - .offset:         0
        .size:           112
        .value_kind:     by_value
    .group_segment_fixed_size: 0
    .kernarg_segment_align: 8
    .kernarg_segment_size: 112
    .language:       OpenCL C
    .language_version:
      - 2
      - 0
    .max_flat_workgroup_size: 256
    .name:           _ZN7rocprim17ROCPRIM_400000_NS6detail17trampoline_kernelINS0_14default_configENS1_27scan_by_key_config_selectorIifEEZZNS1_16scan_by_key_implILNS1_25lookback_scan_determinismE0ELb1ES3_N6thrust23THRUST_200600_302600_NS6detail15normal_iteratorINS9_10device_ptrIiEEEENSB_INSC_IjEEEESE_fNS9_4plusIvEENS9_8equal_toIvEEfEE10hipError_tPvRmT2_T3_T4_T5_mT6_T7_P12ihipStream_tbENKUlT_T0_E_clISt17integral_constantIbLb0EES10_IbLb1EEEEDaSW_SX_EUlSW_E_NS1_11comp_targetILNS1_3genE2ELNS1_11target_archE906ELNS1_3gpuE6ELNS1_3repE0EEENS1_30default_config_static_selectorELNS0_4arch9wavefront6targetE0EEEvT1_
    .private_segment_fixed_size: 0
    .sgpr_count:     0
    .sgpr_spill_count: 0
    .symbol:         _ZN7rocprim17ROCPRIM_400000_NS6detail17trampoline_kernelINS0_14default_configENS1_27scan_by_key_config_selectorIifEEZZNS1_16scan_by_key_implILNS1_25lookback_scan_determinismE0ELb1ES3_N6thrust23THRUST_200600_302600_NS6detail15normal_iteratorINS9_10device_ptrIiEEEENSB_INSC_IjEEEESE_fNS9_4plusIvEENS9_8equal_toIvEEfEE10hipError_tPvRmT2_T3_T4_T5_mT6_T7_P12ihipStream_tbENKUlT_T0_E_clISt17integral_constantIbLb0EES10_IbLb1EEEEDaSW_SX_EUlSW_E_NS1_11comp_targetILNS1_3genE2ELNS1_11target_archE906ELNS1_3gpuE6ELNS1_3repE0EEENS1_30default_config_static_selectorELNS0_4arch9wavefront6targetE0EEEvT1_.kd
    .uniform_work_group_size: 1
    .uses_dynamic_stack: false
    .vgpr_count:     0
    .vgpr_spill_count: 0
    .wavefront_size: 32
    .workgroup_processor_mode: 1
  - .args:
      - .offset:         0
        .size:           112
        .value_kind:     by_value
    .group_segment_fixed_size: 0
    .kernarg_segment_align: 8
    .kernarg_segment_size: 112
    .language:       OpenCL C
    .language_version:
      - 2
      - 0
    .max_flat_workgroup_size: 256
    .name:           _ZN7rocprim17ROCPRIM_400000_NS6detail17trampoline_kernelINS0_14default_configENS1_27scan_by_key_config_selectorIifEEZZNS1_16scan_by_key_implILNS1_25lookback_scan_determinismE0ELb1ES3_N6thrust23THRUST_200600_302600_NS6detail15normal_iteratorINS9_10device_ptrIiEEEENSB_INSC_IjEEEESE_fNS9_4plusIvEENS9_8equal_toIvEEfEE10hipError_tPvRmT2_T3_T4_T5_mT6_T7_P12ihipStream_tbENKUlT_T0_E_clISt17integral_constantIbLb0EES10_IbLb1EEEEDaSW_SX_EUlSW_E_NS1_11comp_targetILNS1_3genE10ELNS1_11target_archE1200ELNS1_3gpuE4ELNS1_3repE0EEENS1_30default_config_static_selectorELNS0_4arch9wavefront6targetE0EEEvT1_
    .private_segment_fixed_size: 0
    .sgpr_count:     0
    .sgpr_spill_count: 0
    .symbol:         _ZN7rocprim17ROCPRIM_400000_NS6detail17trampoline_kernelINS0_14default_configENS1_27scan_by_key_config_selectorIifEEZZNS1_16scan_by_key_implILNS1_25lookback_scan_determinismE0ELb1ES3_N6thrust23THRUST_200600_302600_NS6detail15normal_iteratorINS9_10device_ptrIiEEEENSB_INSC_IjEEEESE_fNS9_4plusIvEENS9_8equal_toIvEEfEE10hipError_tPvRmT2_T3_T4_T5_mT6_T7_P12ihipStream_tbENKUlT_T0_E_clISt17integral_constantIbLb0EES10_IbLb1EEEEDaSW_SX_EUlSW_E_NS1_11comp_targetILNS1_3genE10ELNS1_11target_archE1200ELNS1_3gpuE4ELNS1_3repE0EEENS1_30default_config_static_selectorELNS0_4arch9wavefront6targetE0EEEvT1_.kd
    .uniform_work_group_size: 1
    .uses_dynamic_stack: false
    .vgpr_count:     0
    .vgpr_spill_count: 0
    .wavefront_size: 32
    .workgroup_processor_mode: 1
  - .args:
      - .offset:         0
        .size:           112
        .value_kind:     by_value
    .group_segment_fixed_size: 0
    .kernarg_segment_align: 8
    .kernarg_segment_size: 112
    .language:       OpenCL C
    .language_version:
      - 2
      - 0
    .max_flat_workgroup_size: 256
    .name:           _ZN7rocprim17ROCPRIM_400000_NS6detail17trampoline_kernelINS0_14default_configENS1_27scan_by_key_config_selectorIifEEZZNS1_16scan_by_key_implILNS1_25lookback_scan_determinismE0ELb1ES3_N6thrust23THRUST_200600_302600_NS6detail15normal_iteratorINS9_10device_ptrIiEEEENSB_INSC_IjEEEESE_fNS9_4plusIvEENS9_8equal_toIvEEfEE10hipError_tPvRmT2_T3_T4_T5_mT6_T7_P12ihipStream_tbENKUlT_T0_E_clISt17integral_constantIbLb0EES10_IbLb1EEEEDaSW_SX_EUlSW_E_NS1_11comp_targetILNS1_3genE9ELNS1_11target_archE1100ELNS1_3gpuE3ELNS1_3repE0EEENS1_30default_config_static_selectorELNS0_4arch9wavefront6targetE0EEEvT1_
    .private_segment_fixed_size: 0
    .sgpr_count:     0
    .sgpr_spill_count: 0
    .symbol:         _ZN7rocprim17ROCPRIM_400000_NS6detail17trampoline_kernelINS0_14default_configENS1_27scan_by_key_config_selectorIifEEZZNS1_16scan_by_key_implILNS1_25lookback_scan_determinismE0ELb1ES3_N6thrust23THRUST_200600_302600_NS6detail15normal_iteratorINS9_10device_ptrIiEEEENSB_INSC_IjEEEESE_fNS9_4plusIvEENS9_8equal_toIvEEfEE10hipError_tPvRmT2_T3_T4_T5_mT6_T7_P12ihipStream_tbENKUlT_T0_E_clISt17integral_constantIbLb0EES10_IbLb1EEEEDaSW_SX_EUlSW_E_NS1_11comp_targetILNS1_3genE9ELNS1_11target_archE1100ELNS1_3gpuE3ELNS1_3repE0EEENS1_30default_config_static_selectorELNS0_4arch9wavefront6targetE0EEEvT1_.kd
    .uniform_work_group_size: 1
    .uses_dynamic_stack: false
    .vgpr_count:     0
    .vgpr_spill_count: 0
    .wavefront_size: 32
    .workgroup_processor_mode: 1
  - .args:
      - .offset:         0
        .size:           112
        .value_kind:     by_value
    .group_segment_fixed_size: 5120
    .kernarg_segment_align: 8
    .kernarg_segment_size: 112
    .language:       OpenCL C
    .language_version:
      - 2
      - 0
    .max_flat_workgroup_size: 256
    .name:           _ZN7rocprim17ROCPRIM_400000_NS6detail17trampoline_kernelINS0_14default_configENS1_27scan_by_key_config_selectorIifEEZZNS1_16scan_by_key_implILNS1_25lookback_scan_determinismE0ELb1ES3_N6thrust23THRUST_200600_302600_NS6detail15normal_iteratorINS9_10device_ptrIiEEEENSB_INSC_IjEEEESE_fNS9_4plusIvEENS9_8equal_toIvEEfEE10hipError_tPvRmT2_T3_T4_T5_mT6_T7_P12ihipStream_tbENKUlT_T0_E_clISt17integral_constantIbLb0EES10_IbLb1EEEEDaSW_SX_EUlSW_E_NS1_11comp_targetILNS1_3genE8ELNS1_11target_archE1030ELNS1_3gpuE2ELNS1_3repE0EEENS1_30default_config_static_selectorELNS0_4arch9wavefront6targetE0EEEvT1_
    .private_segment_fixed_size: 0
    .sgpr_count:     26
    .sgpr_spill_count: 0
    .symbol:         _ZN7rocprim17ROCPRIM_400000_NS6detail17trampoline_kernelINS0_14default_configENS1_27scan_by_key_config_selectorIifEEZZNS1_16scan_by_key_implILNS1_25lookback_scan_determinismE0ELb1ES3_N6thrust23THRUST_200600_302600_NS6detail15normal_iteratorINS9_10device_ptrIiEEEENSB_INSC_IjEEEESE_fNS9_4plusIvEENS9_8equal_toIvEEfEE10hipError_tPvRmT2_T3_T4_T5_mT6_T7_P12ihipStream_tbENKUlT_T0_E_clISt17integral_constantIbLb0EES10_IbLb1EEEEDaSW_SX_EUlSW_E_NS1_11comp_targetILNS1_3genE8ELNS1_11target_archE1030ELNS1_3gpuE2ELNS1_3repE0EEENS1_30default_config_static_selectorELNS0_4arch9wavefront6targetE0EEEvT1_.kd
    .uniform_work_group_size: 1
    .uses_dynamic_stack: false
    .vgpr_count:     42
    .vgpr_spill_count: 0
    .wavefront_size: 32
    .workgroup_processor_mode: 1
  - .args:
      - .offset:         0
        .size:           24
        .value_kind:     by_value
      - .offset:         24
        .size:           8
        .value_kind:     by_value
      - .offset:         32
        .size:           8
        .value_kind:     by_value
    .group_segment_fixed_size: 0
    .kernarg_segment_align: 8
    .kernarg_segment_size: 40
    .language:       OpenCL C
    .language_version:
      - 2
      - 0
    .max_flat_workgroup_size: 256
    .name:           _ZN6thrust23THRUST_200600_302600_NS11hip_rocprim14__parallel_for6kernelILj256ENS1_11__transform17unary_transform_fINS0_7pointerIiNS1_3tagENS0_11use_defaultES8_EENS0_10device_ptrIjEENS4_14no_stencil_tagENS0_8identityIiEENS4_21always_true_predicateEEElLj1EEEvT0_T1_SI_
    .private_segment_fixed_size: 0
    .sgpr_count:     14
    .sgpr_spill_count: 0
    .symbol:         _ZN6thrust23THRUST_200600_302600_NS11hip_rocprim14__parallel_for6kernelILj256ENS1_11__transform17unary_transform_fINS0_7pointerIiNS1_3tagENS0_11use_defaultES8_EENS0_10device_ptrIjEENS4_14no_stencil_tagENS0_8identityIiEENS4_21always_true_predicateEEElLj1EEEvT0_T1_SI_.kd
    .uniform_work_group_size: 1
    .uses_dynamic_stack: false
    .vgpr_count:     5
    .vgpr_spill_count: 0
    .wavefront_size: 32
    .workgroup_processor_mode: 1
  - .args:
      - .address_space:  global
        .offset:         0
        .size:           8
        .value_kind:     global_buffer
      - .offset:         8
        .size:           4
        .value_kind:     by_value
      - .offset:         12
        .size:           4
        .value_kind:     by_value
      - .address_space:  global
        .offset:         16
        .size:           8
        .value_kind:     global_buffer
      - .address_space:  global
        .offset:         24
        .size:           8
        .value_kind:     global_buffer
      - .actual_access:  write_only
        .address_space:  global
        .offset:         32
        .size:           8
        .value_kind:     global_buffer
      - .offset:         40
        .size:           8
        .value_kind:     by_value
      - .offset:         48
        .size:           4
        .value_kind:     by_value
      - .offset:         52
        .size:           1
        .value_kind:     by_value
      - .offset:         56
        .size:           4
        .value_kind:     hidden_block_count_x
      - .offset:         60
        .size:           4
        .value_kind:     hidden_block_count_y
      - .offset:         64
        .size:           4
        .value_kind:     hidden_block_count_z
      - .offset:         68
        .size:           2
        .value_kind:     hidden_group_size_x
      - .offset:         70
        .size:           2
        .value_kind:     hidden_group_size_y
      - .offset:         72
        .size:           2
        .value_kind:     hidden_group_size_z
      - .offset:         74
        .size:           2
        .value_kind:     hidden_remainder_x
      - .offset:         76
        .size:           2
        .value_kind:     hidden_remainder_y
      - .offset:         78
        .size:           2
        .value_kind:     hidden_remainder_z
      - .offset:         96
        .size:           8
        .value_kind:     hidden_global_offset_x
      - .offset:         104
        .size:           8
        .value_kind:     hidden_global_offset_y
      - .offset:         112
        .size:           8
        .value_kind:     hidden_global_offset_z
      - .offset:         120
        .size:           2
        .value_kind:     hidden_grid_dims
    .group_segment_fixed_size: 0
    .kernarg_segment_align: 8
    .kernarg_segment_size: 312
    .language:       OpenCL C
    .language_version:
      - 2
      - 0
    .max_flat_workgroup_size: 256
    .name:           _ZN7rocprim17ROCPRIM_400000_NS6detail30init_device_scan_by_key_kernelINS1_19lookback_scan_stateINS0_5tupleIJjbEEELb0ELb1EEEN6thrust23THRUST_200600_302600_NS6detail15normal_iteratorINS8_10device_ptrIjEEEEjNS1_16block_id_wrapperIjLb0EEEEEvT_jjPNSG_10value_typeET0_PNSt15iterator_traitsISJ_E10value_typeEmT1_T2_
    .private_segment_fixed_size: 0
    .sgpr_count:     19
    .sgpr_spill_count: 0
    .symbol:         _ZN7rocprim17ROCPRIM_400000_NS6detail30init_device_scan_by_key_kernelINS1_19lookback_scan_stateINS0_5tupleIJjbEEELb0ELb1EEEN6thrust23THRUST_200600_302600_NS6detail15normal_iteratorINS8_10device_ptrIjEEEEjNS1_16block_id_wrapperIjLb0EEEEEvT_jjPNSG_10value_typeET0_PNSt15iterator_traitsISJ_E10value_typeEmT1_T2_.kd
    .uniform_work_group_size: 1
    .uses_dynamic_stack: false
    .vgpr_count:     9
    .vgpr_spill_count: 0
    .wavefront_size: 32
    .workgroup_processor_mode: 1
  - .args:
      - .offset:         0
        .size:           112
        .value_kind:     by_value
    .group_segment_fixed_size: 0
    .kernarg_segment_align: 8
    .kernarg_segment_size: 112
    .language:       OpenCL C
    .language_version:
      - 2
      - 0
    .max_flat_workgroup_size: 256
    .name:           _ZN7rocprim17ROCPRIM_400000_NS6detail17trampoline_kernelINS0_14default_configENS1_27scan_by_key_config_selectorIjjEEZZNS1_16scan_by_key_implILNS1_25lookback_scan_determinismE0ELb0ES3_N6thrust23THRUST_200600_302600_NS6detail15normal_iteratorINS9_10device_ptrIjEEEESE_SE_jNS9_4plusIvEENS9_8equal_toIvEEjEE10hipError_tPvRmT2_T3_T4_T5_mT6_T7_P12ihipStream_tbENKUlT_T0_E_clISt17integral_constantIbLb0EESZ_EEDaSU_SV_EUlSU_E_NS1_11comp_targetILNS1_3genE0ELNS1_11target_archE4294967295ELNS1_3gpuE0ELNS1_3repE0EEENS1_30default_config_static_selectorELNS0_4arch9wavefront6targetE0EEEvT1_
    .private_segment_fixed_size: 0
    .sgpr_count:     0
    .sgpr_spill_count: 0
    .symbol:         _ZN7rocprim17ROCPRIM_400000_NS6detail17trampoline_kernelINS0_14default_configENS1_27scan_by_key_config_selectorIjjEEZZNS1_16scan_by_key_implILNS1_25lookback_scan_determinismE0ELb0ES3_N6thrust23THRUST_200600_302600_NS6detail15normal_iteratorINS9_10device_ptrIjEEEESE_SE_jNS9_4plusIvEENS9_8equal_toIvEEjEE10hipError_tPvRmT2_T3_T4_T5_mT6_T7_P12ihipStream_tbENKUlT_T0_E_clISt17integral_constantIbLb0EESZ_EEDaSU_SV_EUlSU_E_NS1_11comp_targetILNS1_3genE0ELNS1_11target_archE4294967295ELNS1_3gpuE0ELNS1_3repE0EEENS1_30default_config_static_selectorELNS0_4arch9wavefront6targetE0EEEvT1_.kd
    .uniform_work_group_size: 1
    .uses_dynamic_stack: false
    .vgpr_count:     0
    .vgpr_spill_count: 0
    .wavefront_size: 32
    .workgroup_processor_mode: 1
  - .args:
      - .offset:         0
        .size:           112
        .value_kind:     by_value
    .group_segment_fixed_size: 0
    .kernarg_segment_align: 8
    .kernarg_segment_size: 112
    .language:       OpenCL C
    .language_version:
      - 2
      - 0
    .max_flat_workgroup_size: 256
    .name:           _ZN7rocprim17ROCPRIM_400000_NS6detail17trampoline_kernelINS0_14default_configENS1_27scan_by_key_config_selectorIjjEEZZNS1_16scan_by_key_implILNS1_25lookback_scan_determinismE0ELb0ES3_N6thrust23THRUST_200600_302600_NS6detail15normal_iteratorINS9_10device_ptrIjEEEESE_SE_jNS9_4plusIvEENS9_8equal_toIvEEjEE10hipError_tPvRmT2_T3_T4_T5_mT6_T7_P12ihipStream_tbENKUlT_T0_E_clISt17integral_constantIbLb0EESZ_EEDaSU_SV_EUlSU_E_NS1_11comp_targetILNS1_3genE10ELNS1_11target_archE1201ELNS1_3gpuE5ELNS1_3repE0EEENS1_30default_config_static_selectorELNS0_4arch9wavefront6targetE0EEEvT1_
    .private_segment_fixed_size: 0
    .sgpr_count:     0
    .sgpr_spill_count: 0
    .symbol:         _ZN7rocprim17ROCPRIM_400000_NS6detail17trampoline_kernelINS0_14default_configENS1_27scan_by_key_config_selectorIjjEEZZNS1_16scan_by_key_implILNS1_25lookback_scan_determinismE0ELb0ES3_N6thrust23THRUST_200600_302600_NS6detail15normal_iteratorINS9_10device_ptrIjEEEESE_SE_jNS9_4plusIvEENS9_8equal_toIvEEjEE10hipError_tPvRmT2_T3_T4_T5_mT6_T7_P12ihipStream_tbENKUlT_T0_E_clISt17integral_constantIbLb0EESZ_EEDaSU_SV_EUlSU_E_NS1_11comp_targetILNS1_3genE10ELNS1_11target_archE1201ELNS1_3gpuE5ELNS1_3repE0EEENS1_30default_config_static_selectorELNS0_4arch9wavefront6targetE0EEEvT1_.kd
    .uniform_work_group_size: 1
    .uses_dynamic_stack: false
    .vgpr_count:     0
    .vgpr_spill_count: 0
    .wavefront_size: 32
    .workgroup_processor_mode: 1
  - .args:
      - .offset:         0
        .size:           112
        .value_kind:     by_value
    .group_segment_fixed_size: 0
    .kernarg_segment_align: 8
    .kernarg_segment_size: 112
    .language:       OpenCL C
    .language_version:
      - 2
      - 0
    .max_flat_workgroup_size: 256
    .name:           _ZN7rocprim17ROCPRIM_400000_NS6detail17trampoline_kernelINS0_14default_configENS1_27scan_by_key_config_selectorIjjEEZZNS1_16scan_by_key_implILNS1_25lookback_scan_determinismE0ELb0ES3_N6thrust23THRUST_200600_302600_NS6detail15normal_iteratorINS9_10device_ptrIjEEEESE_SE_jNS9_4plusIvEENS9_8equal_toIvEEjEE10hipError_tPvRmT2_T3_T4_T5_mT6_T7_P12ihipStream_tbENKUlT_T0_E_clISt17integral_constantIbLb0EESZ_EEDaSU_SV_EUlSU_E_NS1_11comp_targetILNS1_3genE5ELNS1_11target_archE942ELNS1_3gpuE9ELNS1_3repE0EEENS1_30default_config_static_selectorELNS0_4arch9wavefront6targetE0EEEvT1_
    .private_segment_fixed_size: 0
    .sgpr_count:     0
    .sgpr_spill_count: 0
    .symbol:         _ZN7rocprim17ROCPRIM_400000_NS6detail17trampoline_kernelINS0_14default_configENS1_27scan_by_key_config_selectorIjjEEZZNS1_16scan_by_key_implILNS1_25lookback_scan_determinismE0ELb0ES3_N6thrust23THRUST_200600_302600_NS6detail15normal_iteratorINS9_10device_ptrIjEEEESE_SE_jNS9_4plusIvEENS9_8equal_toIvEEjEE10hipError_tPvRmT2_T3_T4_T5_mT6_T7_P12ihipStream_tbENKUlT_T0_E_clISt17integral_constantIbLb0EESZ_EEDaSU_SV_EUlSU_E_NS1_11comp_targetILNS1_3genE5ELNS1_11target_archE942ELNS1_3gpuE9ELNS1_3repE0EEENS1_30default_config_static_selectorELNS0_4arch9wavefront6targetE0EEEvT1_.kd
    .uniform_work_group_size: 1
    .uses_dynamic_stack: false
    .vgpr_count:     0
    .vgpr_spill_count: 0
    .wavefront_size: 32
    .workgroup_processor_mode: 1
  - .args:
      - .offset:         0
        .size:           112
        .value_kind:     by_value
    .group_segment_fixed_size: 0
    .kernarg_segment_align: 8
    .kernarg_segment_size: 112
    .language:       OpenCL C
    .language_version:
      - 2
      - 0
    .max_flat_workgroup_size: 256
    .name:           _ZN7rocprim17ROCPRIM_400000_NS6detail17trampoline_kernelINS0_14default_configENS1_27scan_by_key_config_selectorIjjEEZZNS1_16scan_by_key_implILNS1_25lookback_scan_determinismE0ELb0ES3_N6thrust23THRUST_200600_302600_NS6detail15normal_iteratorINS9_10device_ptrIjEEEESE_SE_jNS9_4plusIvEENS9_8equal_toIvEEjEE10hipError_tPvRmT2_T3_T4_T5_mT6_T7_P12ihipStream_tbENKUlT_T0_E_clISt17integral_constantIbLb0EESZ_EEDaSU_SV_EUlSU_E_NS1_11comp_targetILNS1_3genE4ELNS1_11target_archE910ELNS1_3gpuE8ELNS1_3repE0EEENS1_30default_config_static_selectorELNS0_4arch9wavefront6targetE0EEEvT1_
    .private_segment_fixed_size: 0
    .sgpr_count:     0
    .sgpr_spill_count: 0
    .symbol:         _ZN7rocprim17ROCPRIM_400000_NS6detail17trampoline_kernelINS0_14default_configENS1_27scan_by_key_config_selectorIjjEEZZNS1_16scan_by_key_implILNS1_25lookback_scan_determinismE0ELb0ES3_N6thrust23THRUST_200600_302600_NS6detail15normal_iteratorINS9_10device_ptrIjEEEESE_SE_jNS9_4plusIvEENS9_8equal_toIvEEjEE10hipError_tPvRmT2_T3_T4_T5_mT6_T7_P12ihipStream_tbENKUlT_T0_E_clISt17integral_constantIbLb0EESZ_EEDaSU_SV_EUlSU_E_NS1_11comp_targetILNS1_3genE4ELNS1_11target_archE910ELNS1_3gpuE8ELNS1_3repE0EEENS1_30default_config_static_selectorELNS0_4arch9wavefront6targetE0EEEvT1_.kd
    .uniform_work_group_size: 1
    .uses_dynamic_stack: false
    .vgpr_count:     0
    .vgpr_spill_count: 0
    .wavefront_size: 32
    .workgroup_processor_mode: 1
  - .args:
      - .offset:         0
        .size:           112
        .value_kind:     by_value
    .group_segment_fixed_size: 0
    .kernarg_segment_align: 8
    .kernarg_segment_size: 112
    .language:       OpenCL C
    .language_version:
      - 2
      - 0
    .max_flat_workgroup_size: 256
    .name:           _ZN7rocprim17ROCPRIM_400000_NS6detail17trampoline_kernelINS0_14default_configENS1_27scan_by_key_config_selectorIjjEEZZNS1_16scan_by_key_implILNS1_25lookback_scan_determinismE0ELb0ES3_N6thrust23THRUST_200600_302600_NS6detail15normal_iteratorINS9_10device_ptrIjEEEESE_SE_jNS9_4plusIvEENS9_8equal_toIvEEjEE10hipError_tPvRmT2_T3_T4_T5_mT6_T7_P12ihipStream_tbENKUlT_T0_E_clISt17integral_constantIbLb0EESZ_EEDaSU_SV_EUlSU_E_NS1_11comp_targetILNS1_3genE3ELNS1_11target_archE908ELNS1_3gpuE7ELNS1_3repE0EEENS1_30default_config_static_selectorELNS0_4arch9wavefront6targetE0EEEvT1_
    .private_segment_fixed_size: 0
    .sgpr_count:     0
    .sgpr_spill_count: 0
    .symbol:         _ZN7rocprim17ROCPRIM_400000_NS6detail17trampoline_kernelINS0_14default_configENS1_27scan_by_key_config_selectorIjjEEZZNS1_16scan_by_key_implILNS1_25lookback_scan_determinismE0ELb0ES3_N6thrust23THRUST_200600_302600_NS6detail15normal_iteratorINS9_10device_ptrIjEEEESE_SE_jNS9_4plusIvEENS9_8equal_toIvEEjEE10hipError_tPvRmT2_T3_T4_T5_mT6_T7_P12ihipStream_tbENKUlT_T0_E_clISt17integral_constantIbLb0EESZ_EEDaSU_SV_EUlSU_E_NS1_11comp_targetILNS1_3genE3ELNS1_11target_archE908ELNS1_3gpuE7ELNS1_3repE0EEENS1_30default_config_static_selectorELNS0_4arch9wavefront6targetE0EEEvT1_.kd
    .uniform_work_group_size: 1
    .uses_dynamic_stack: false
    .vgpr_count:     0
    .vgpr_spill_count: 0
    .wavefront_size: 32
    .workgroup_processor_mode: 1
  - .args:
      - .offset:         0
        .size:           112
        .value_kind:     by_value
    .group_segment_fixed_size: 0
    .kernarg_segment_align: 8
    .kernarg_segment_size: 112
    .language:       OpenCL C
    .language_version:
      - 2
      - 0
    .max_flat_workgroup_size: 256
    .name:           _ZN7rocprim17ROCPRIM_400000_NS6detail17trampoline_kernelINS0_14default_configENS1_27scan_by_key_config_selectorIjjEEZZNS1_16scan_by_key_implILNS1_25lookback_scan_determinismE0ELb0ES3_N6thrust23THRUST_200600_302600_NS6detail15normal_iteratorINS9_10device_ptrIjEEEESE_SE_jNS9_4plusIvEENS9_8equal_toIvEEjEE10hipError_tPvRmT2_T3_T4_T5_mT6_T7_P12ihipStream_tbENKUlT_T0_E_clISt17integral_constantIbLb0EESZ_EEDaSU_SV_EUlSU_E_NS1_11comp_targetILNS1_3genE2ELNS1_11target_archE906ELNS1_3gpuE6ELNS1_3repE0EEENS1_30default_config_static_selectorELNS0_4arch9wavefront6targetE0EEEvT1_
    .private_segment_fixed_size: 0
    .sgpr_count:     0
    .sgpr_spill_count: 0
    .symbol:         _ZN7rocprim17ROCPRIM_400000_NS6detail17trampoline_kernelINS0_14default_configENS1_27scan_by_key_config_selectorIjjEEZZNS1_16scan_by_key_implILNS1_25lookback_scan_determinismE0ELb0ES3_N6thrust23THRUST_200600_302600_NS6detail15normal_iteratorINS9_10device_ptrIjEEEESE_SE_jNS9_4plusIvEENS9_8equal_toIvEEjEE10hipError_tPvRmT2_T3_T4_T5_mT6_T7_P12ihipStream_tbENKUlT_T0_E_clISt17integral_constantIbLb0EESZ_EEDaSU_SV_EUlSU_E_NS1_11comp_targetILNS1_3genE2ELNS1_11target_archE906ELNS1_3gpuE6ELNS1_3repE0EEENS1_30default_config_static_selectorELNS0_4arch9wavefront6targetE0EEEvT1_.kd
    .uniform_work_group_size: 1
    .uses_dynamic_stack: false
    .vgpr_count:     0
    .vgpr_spill_count: 0
    .wavefront_size: 32
    .workgroup_processor_mode: 1
  - .args:
      - .offset:         0
        .size:           112
        .value_kind:     by_value
    .group_segment_fixed_size: 0
    .kernarg_segment_align: 8
    .kernarg_segment_size: 112
    .language:       OpenCL C
    .language_version:
      - 2
      - 0
    .max_flat_workgroup_size: 256
    .name:           _ZN7rocprim17ROCPRIM_400000_NS6detail17trampoline_kernelINS0_14default_configENS1_27scan_by_key_config_selectorIjjEEZZNS1_16scan_by_key_implILNS1_25lookback_scan_determinismE0ELb0ES3_N6thrust23THRUST_200600_302600_NS6detail15normal_iteratorINS9_10device_ptrIjEEEESE_SE_jNS9_4plusIvEENS9_8equal_toIvEEjEE10hipError_tPvRmT2_T3_T4_T5_mT6_T7_P12ihipStream_tbENKUlT_T0_E_clISt17integral_constantIbLb0EESZ_EEDaSU_SV_EUlSU_E_NS1_11comp_targetILNS1_3genE10ELNS1_11target_archE1200ELNS1_3gpuE4ELNS1_3repE0EEENS1_30default_config_static_selectorELNS0_4arch9wavefront6targetE0EEEvT1_
    .private_segment_fixed_size: 0
    .sgpr_count:     0
    .sgpr_spill_count: 0
    .symbol:         _ZN7rocprim17ROCPRIM_400000_NS6detail17trampoline_kernelINS0_14default_configENS1_27scan_by_key_config_selectorIjjEEZZNS1_16scan_by_key_implILNS1_25lookback_scan_determinismE0ELb0ES3_N6thrust23THRUST_200600_302600_NS6detail15normal_iteratorINS9_10device_ptrIjEEEESE_SE_jNS9_4plusIvEENS9_8equal_toIvEEjEE10hipError_tPvRmT2_T3_T4_T5_mT6_T7_P12ihipStream_tbENKUlT_T0_E_clISt17integral_constantIbLb0EESZ_EEDaSU_SV_EUlSU_E_NS1_11comp_targetILNS1_3genE10ELNS1_11target_archE1200ELNS1_3gpuE4ELNS1_3repE0EEENS1_30default_config_static_selectorELNS0_4arch9wavefront6targetE0EEEvT1_.kd
    .uniform_work_group_size: 1
    .uses_dynamic_stack: false
    .vgpr_count:     0
    .vgpr_spill_count: 0
    .wavefront_size: 32
    .workgroup_processor_mode: 1
  - .args:
      - .offset:         0
        .size:           112
        .value_kind:     by_value
    .group_segment_fixed_size: 0
    .kernarg_segment_align: 8
    .kernarg_segment_size: 112
    .language:       OpenCL C
    .language_version:
      - 2
      - 0
    .max_flat_workgroup_size: 256
    .name:           _ZN7rocprim17ROCPRIM_400000_NS6detail17trampoline_kernelINS0_14default_configENS1_27scan_by_key_config_selectorIjjEEZZNS1_16scan_by_key_implILNS1_25lookback_scan_determinismE0ELb0ES3_N6thrust23THRUST_200600_302600_NS6detail15normal_iteratorINS9_10device_ptrIjEEEESE_SE_jNS9_4plusIvEENS9_8equal_toIvEEjEE10hipError_tPvRmT2_T3_T4_T5_mT6_T7_P12ihipStream_tbENKUlT_T0_E_clISt17integral_constantIbLb0EESZ_EEDaSU_SV_EUlSU_E_NS1_11comp_targetILNS1_3genE9ELNS1_11target_archE1100ELNS1_3gpuE3ELNS1_3repE0EEENS1_30default_config_static_selectorELNS0_4arch9wavefront6targetE0EEEvT1_
    .private_segment_fixed_size: 0
    .sgpr_count:     0
    .sgpr_spill_count: 0
    .symbol:         _ZN7rocprim17ROCPRIM_400000_NS6detail17trampoline_kernelINS0_14default_configENS1_27scan_by_key_config_selectorIjjEEZZNS1_16scan_by_key_implILNS1_25lookback_scan_determinismE0ELb0ES3_N6thrust23THRUST_200600_302600_NS6detail15normal_iteratorINS9_10device_ptrIjEEEESE_SE_jNS9_4plusIvEENS9_8equal_toIvEEjEE10hipError_tPvRmT2_T3_T4_T5_mT6_T7_P12ihipStream_tbENKUlT_T0_E_clISt17integral_constantIbLb0EESZ_EEDaSU_SV_EUlSU_E_NS1_11comp_targetILNS1_3genE9ELNS1_11target_archE1100ELNS1_3gpuE3ELNS1_3repE0EEENS1_30default_config_static_selectorELNS0_4arch9wavefront6targetE0EEEvT1_.kd
    .uniform_work_group_size: 1
    .uses_dynamic_stack: false
    .vgpr_count:     0
    .vgpr_spill_count: 0
    .wavefront_size: 32
    .workgroup_processor_mode: 1
  - .args:
      - .offset:         0
        .size:           112
        .value_kind:     by_value
    .group_segment_fixed_size: 5120
    .kernarg_segment_align: 8
    .kernarg_segment_size: 112
    .language:       OpenCL C
    .language_version:
      - 2
      - 0
    .max_flat_workgroup_size: 256
    .name:           _ZN7rocprim17ROCPRIM_400000_NS6detail17trampoline_kernelINS0_14default_configENS1_27scan_by_key_config_selectorIjjEEZZNS1_16scan_by_key_implILNS1_25lookback_scan_determinismE0ELb0ES3_N6thrust23THRUST_200600_302600_NS6detail15normal_iteratorINS9_10device_ptrIjEEEESE_SE_jNS9_4plusIvEENS9_8equal_toIvEEjEE10hipError_tPvRmT2_T3_T4_T5_mT6_T7_P12ihipStream_tbENKUlT_T0_E_clISt17integral_constantIbLb0EESZ_EEDaSU_SV_EUlSU_E_NS1_11comp_targetILNS1_3genE8ELNS1_11target_archE1030ELNS1_3gpuE2ELNS1_3repE0EEENS1_30default_config_static_selectorELNS0_4arch9wavefront6targetE0EEEvT1_
    .private_segment_fixed_size: 0
    .sgpr_count:     33
    .sgpr_spill_count: 0
    .symbol:         _ZN7rocprim17ROCPRIM_400000_NS6detail17trampoline_kernelINS0_14default_configENS1_27scan_by_key_config_selectorIjjEEZZNS1_16scan_by_key_implILNS1_25lookback_scan_determinismE0ELb0ES3_N6thrust23THRUST_200600_302600_NS6detail15normal_iteratorINS9_10device_ptrIjEEEESE_SE_jNS9_4plusIvEENS9_8equal_toIvEEjEE10hipError_tPvRmT2_T3_T4_T5_mT6_T7_P12ihipStream_tbENKUlT_T0_E_clISt17integral_constantIbLb0EESZ_EEDaSU_SV_EUlSU_E_NS1_11comp_targetILNS1_3genE8ELNS1_11target_archE1030ELNS1_3gpuE2ELNS1_3repE0EEENS1_30default_config_static_selectorELNS0_4arch9wavefront6targetE0EEEvT1_.kd
    .uniform_work_group_size: 1
    .uses_dynamic_stack: false
    .vgpr_count:     42
    .vgpr_spill_count: 0
    .wavefront_size: 32
    .workgroup_processor_mode: 1
  - .args:
      - .address_space:  global
        .offset:         0
        .size:           8
        .value_kind:     global_buffer
      - .offset:         8
        .size:           4
        .value_kind:     by_value
      - .offset:         12
        .size:           4
        .value_kind:     by_value
      - .address_space:  global
        .offset:         16
        .size:           8
        .value_kind:     global_buffer
      - .address_space:  global
        .offset:         24
        .size:           8
        .value_kind:     global_buffer
      - .actual_access:  write_only
        .address_space:  global
        .offset:         32
        .size:           8
        .value_kind:     global_buffer
      - .offset:         40
        .size:           8
        .value_kind:     by_value
      - .offset:         48
        .size:           4
        .value_kind:     by_value
      - .address_space:  global
        .offset:         56
        .size:           8
        .value_kind:     global_buffer
      - .offset:         64
        .size:           4
        .value_kind:     hidden_block_count_x
      - .offset:         68
        .size:           4
        .value_kind:     hidden_block_count_y
      - .offset:         72
        .size:           4
        .value_kind:     hidden_block_count_z
      - .offset:         76
        .size:           2
        .value_kind:     hidden_group_size_x
      - .offset:         78
        .size:           2
        .value_kind:     hidden_group_size_y
      - .offset:         80
        .size:           2
        .value_kind:     hidden_group_size_z
      - .offset:         82
        .size:           2
        .value_kind:     hidden_remainder_x
      - .offset:         84
        .size:           2
        .value_kind:     hidden_remainder_y
      - .offset:         86
        .size:           2
        .value_kind:     hidden_remainder_z
      - .offset:         104
        .size:           8
        .value_kind:     hidden_global_offset_x
      - .offset:         112
        .size:           8
        .value_kind:     hidden_global_offset_y
      - .offset:         120
        .size:           8
        .value_kind:     hidden_global_offset_z
      - .offset:         128
        .size:           2
        .value_kind:     hidden_grid_dims
    .group_segment_fixed_size: 0
    .kernarg_segment_align: 8
    .kernarg_segment_size: 320
    .language:       OpenCL C
    .language_version:
      - 2
      - 0
    .max_flat_workgroup_size: 256
    .name:           _ZN7rocprim17ROCPRIM_400000_NS6detail30init_device_scan_by_key_kernelINS1_19lookback_scan_stateINS0_5tupleIJjbEEELb1ELb1EEEN6thrust23THRUST_200600_302600_NS6detail15normal_iteratorINS8_10device_ptrIjEEEEjNS1_16block_id_wrapperIjLb1EEEEEvT_jjPNSG_10value_typeET0_PNSt15iterator_traitsISJ_E10value_typeEmT1_T2_
    .private_segment_fixed_size: 0
    .sgpr_count:     19
    .sgpr_spill_count: 0
    .symbol:         _ZN7rocprim17ROCPRIM_400000_NS6detail30init_device_scan_by_key_kernelINS1_19lookback_scan_stateINS0_5tupleIJjbEEELb1ELb1EEEN6thrust23THRUST_200600_302600_NS6detail15normal_iteratorINS8_10device_ptrIjEEEEjNS1_16block_id_wrapperIjLb1EEEEEvT_jjPNSG_10value_typeET0_PNSt15iterator_traitsISJ_E10value_typeEmT1_T2_.kd
    .uniform_work_group_size: 1
    .uses_dynamic_stack: false
    .vgpr_count:     9
    .vgpr_spill_count: 0
    .wavefront_size: 32
    .workgroup_processor_mode: 1
  - .args:
      - .offset:         0
        .size:           112
        .value_kind:     by_value
    .group_segment_fixed_size: 0
    .kernarg_segment_align: 8
    .kernarg_segment_size: 112
    .language:       OpenCL C
    .language_version:
      - 2
      - 0
    .max_flat_workgroup_size: 256
    .name:           _ZN7rocprim17ROCPRIM_400000_NS6detail17trampoline_kernelINS0_14default_configENS1_27scan_by_key_config_selectorIjjEEZZNS1_16scan_by_key_implILNS1_25lookback_scan_determinismE0ELb0ES3_N6thrust23THRUST_200600_302600_NS6detail15normal_iteratorINS9_10device_ptrIjEEEESE_SE_jNS9_4plusIvEENS9_8equal_toIvEEjEE10hipError_tPvRmT2_T3_T4_T5_mT6_T7_P12ihipStream_tbENKUlT_T0_E_clISt17integral_constantIbLb1EESZ_EEDaSU_SV_EUlSU_E_NS1_11comp_targetILNS1_3genE0ELNS1_11target_archE4294967295ELNS1_3gpuE0ELNS1_3repE0EEENS1_30default_config_static_selectorELNS0_4arch9wavefront6targetE0EEEvT1_
    .private_segment_fixed_size: 0
    .sgpr_count:     0
    .sgpr_spill_count: 0
    .symbol:         _ZN7rocprim17ROCPRIM_400000_NS6detail17trampoline_kernelINS0_14default_configENS1_27scan_by_key_config_selectorIjjEEZZNS1_16scan_by_key_implILNS1_25lookback_scan_determinismE0ELb0ES3_N6thrust23THRUST_200600_302600_NS6detail15normal_iteratorINS9_10device_ptrIjEEEESE_SE_jNS9_4plusIvEENS9_8equal_toIvEEjEE10hipError_tPvRmT2_T3_T4_T5_mT6_T7_P12ihipStream_tbENKUlT_T0_E_clISt17integral_constantIbLb1EESZ_EEDaSU_SV_EUlSU_E_NS1_11comp_targetILNS1_3genE0ELNS1_11target_archE4294967295ELNS1_3gpuE0ELNS1_3repE0EEENS1_30default_config_static_selectorELNS0_4arch9wavefront6targetE0EEEvT1_.kd
    .uniform_work_group_size: 1
    .uses_dynamic_stack: false
    .vgpr_count:     0
    .vgpr_spill_count: 0
    .wavefront_size: 32
    .workgroup_processor_mode: 1
  - .args:
      - .offset:         0
        .size:           112
        .value_kind:     by_value
    .group_segment_fixed_size: 0
    .kernarg_segment_align: 8
    .kernarg_segment_size: 112
    .language:       OpenCL C
    .language_version:
      - 2
      - 0
    .max_flat_workgroup_size: 256
    .name:           _ZN7rocprim17ROCPRIM_400000_NS6detail17trampoline_kernelINS0_14default_configENS1_27scan_by_key_config_selectorIjjEEZZNS1_16scan_by_key_implILNS1_25lookback_scan_determinismE0ELb0ES3_N6thrust23THRUST_200600_302600_NS6detail15normal_iteratorINS9_10device_ptrIjEEEESE_SE_jNS9_4plusIvEENS9_8equal_toIvEEjEE10hipError_tPvRmT2_T3_T4_T5_mT6_T7_P12ihipStream_tbENKUlT_T0_E_clISt17integral_constantIbLb1EESZ_EEDaSU_SV_EUlSU_E_NS1_11comp_targetILNS1_3genE10ELNS1_11target_archE1201ELNS1_3gpuE5ELNS1_3repE0EEENS1_30default_config_static_selectorELNS0_4arch9wavefront6targetE0EEEvT1_
    .private_segment_fixed_size: 0
    .sgpr_count:     0
    .sgpr_spill_count: 0
    .symbol:         _ZN7rocprim17ROCPRIM_400000_NS6detail17trampoline_kernelINS0_14default_configENS1_27scan_by_key_config_selectorIjjEEZZNS1_16scan_by_key_implILNS1_25lookback_scan_determinismE0ELb0ES3_N6thrust23THRUST_200600_302600_NS6detail15normal_iteratorINS9_10device_ptrIjEEEESE_SE_jNS9_4plusIvEENS9_8equal_toIvEEjEE10hipError_tPvRmT2_T3_T4_T5_mT6_T7_P12ihipStream_tbENKUlT_T0_E_clISt17integral_constantIbLb1EESZ_EEDaSU_SV_EUlSU_E_NS1_11comp_targetILNS1_3genE10ELNS1_11target_archE1201ELNS1_3gpuE5ELNS1_3repE0EEENS1_30default_config_static_selectorELNS0_4arch9wavefront6targetE0EEEvT1_.kd
    .uniform_work_group_size: 1
    .uses_dynamic_stack: false
    .vgpr_count:     0
    .vgpr_spill_count: 0
    .wavefront_size: 32
    .workgroup_processor_mode: 1
  - .args:
      - .offset:         0
        .size:           112
        .value_kind:     by_value
    .group_segment_fixed_size: 0
    .kernarg_segment_align: 8
    .kernarg_segment_size: 112
    .language:       OpenCL C
    .language_version:
      - 2
      - 0
    .max_flat_workgroup_size: 256
    .name:           _ZN7rocprim17ROCPRIM_400000_NS6detail17trampoline_kernelINS0_14default_configENS1_27scan_by_key_config_selectorIjjEEZZNS1_16scan_by_key_implILNS1_25lookback_scan_determinismE0ELb0ES3_N6thrust23THRUST_200600_302600_NS6detail15normal_iteratorINS9_10device_ptrIjEEEESE_SE_jNS9_4plusIvEENS9_8equal_toIvEEjEE10hipError_tPvRmT2_T3_T4_T5_mT6_T7_P12ihipStream_tbENKUlT_T0_E_clISt17integral_constantIbLb1EESZ_EEDaSU_SV_EUlSU_E_NS1_11comp_targetILNS1_3genE5ELNS1_11target_archE942ELNS1_3gpuE9ELNS1_3repE0EEENS1_30default_config_static_selectorELNS0_4arch9wavefront6targetE0EEEvT1_
    .private_segment_fixed_size: 0
    .sgpr_count:     0
    .sgpr_spill_count: 0
    .symbol:         _ZN7rocprim17ROCPRIM_400000_NS6detail17trampoline_kernelINS0_14default_configENS1_27scan_by_key_config_selectorIjjEEZZNS1_16scan_by_key_implILNS1_25lookback_scan_determinismE0ELb0ES3_N6thrust23THRUST_200600_302600_NS6detail15normal_iteratorINS9_10device_ptrIjEEEESE_SE_jNS9_4plusIvEENS9_8equal_toIvEEjEE10hipError_tPvRmT2_T3_T4_T5_mT6_T7_P12ihipStream_tbENKUlT_T0_E_clISt17integral_constantIbLb1EESZ_EEDaSU_SV_EUlSU_E_NS1_11comp_targetILNS1_3genE5ELNS1_11target_archE942ELNS1_3gpuE9ELNS1_3repE0EEENS1_30default_config_static_selectorELNS0_4arch9wavefront6targetE0EEEvT1_.kd
    .uniform_work_group_size: 1
    .uses_dynamic_stack: false
    .vgpr_count:     0
    .vgpr_spill_count: 0
    .wavefront_size: 32
    .workgroup_processor_mode: 1
  - .args:
      - .offset:         0
        .size:           112
        .value_kind:     by_value
    .group_segment_fixed_size: 0
    .kernarg_segment_align: 8
    .kernarg_segment_size: 112
    .language:       OpenCL C
    .language_version:
      - 2
      - 0
    .max_flat_workgroup_size: 256
    .name:           _ZN7rocprim17ROCPRIM_400000_NS6detail17trampoline_kernelINS0_14default_configENS1_27scan_by_key_config_selectorIjjEEZZNS1_16scan_by_key_implILNS1_25lookback_scan_determinismE0ELb0ES3_N6thrust23THRUST_200600_302600_NS6detail15normal_iteratorINS9_10device_ptrIjEEEESE_SE_jNS9_4plusIvEENS9_8equal_toIvEEjEE10hipError_tPvRmT2_T3_T4_T5_mT6_T7_P12ihipStream_tbENKUlT_T0_E_clISt17integral_constantIbLb1EESZ_EEDaSU_SV_EUlSU_E_NS1_11comp_targetILNS1_3genE4ELNS1_11target_archE910ELNS1_3gpuE8ELNS1_3repE0EEENS1_30default_config_static_selectorELNS0_4arch9wavefront6targetE0EEEvT1_
    .private_segment_fixed_size: 0
    .sgpr_count:     0
    .sgpr_spill_count: 0
    .symbol:         _ZN7rocprim17ROCPRIM_400000_NS6detail17trampoline_kernelINS0_14default_configENS1_27scan_by_key_config_selectorIjjEEZZNS1_16scan_by_key_implILNS1_25lookback_scan_determinismE0ELb0ES3_N6thrust23THRUST_200600_302600_NS6detail15normal_iteratorINS9_10device_ptrIjEEEESE_SE_jNS9_4plusIvEENS9_8equal_toIvEEjEE10hipError_tPvRmT2_T3_T4_T5_mT6_T7_P12ihipStream_tbENKUlT_T0_E_clISt17integral_constantIbLb1EESZ_EEDaSU_SV_EUlSU_E_NS1_11comp_targetILNS1_3genE4ELNS1_11target_archE910ELNS1_3gpuE8ELNS1_3repE0EEENS1_30default_config_static_selectorELNS0_4arch9wavefront6targetE0EEEvT1_.kd
    .uniform_work_group_size: 1
    .uses_dynamic_stack: false
    .vgpr_count:     0
    .vgpr_spill_count: 0
    .wavefront_size: 32
    .workgroup_processor_mode: 1
  - .args:
      - .offset:         0
        .size:           112
        .value_kind:     by_value
    .group_segment_fixed_size: 0
    .kernarg_segment_align: 8
    .kernarg_segment_size: 112
    .language:       OpenCL C
    .language_version:
      - 2
      - 0
    .max_flat_workgroup_size: 256
    .name:           _ZN7rocprim17ROCPRIM_400000_NS6detail17trampoline_kernelINS0_14default_configENS1_27scan_by_key_config_selectorIjjEEZZNS1_16scan_by_key_implILNS1_25lookback_scan_determinismE0ELb0ES3_N6thrust23THRUST_200600_302600_NS6detail15normal_iteratorINS9_10device_ptrIjEEEESE_SE_jNS9_4plusIvEENS9_8equal_toIvEEjEE10hipError_tPvRmT2_T3_T4_T5_mT6_T7_P12ihipStream_tbENKUlT_T0_E_clISt17integral_constantIbLb1EESZ_EEDaSU_SV_EUlSU_E_NS1_11comp_targetILNS1_3genE3ELNS1_11target_archE908ELNS1_3gpuE7ELNS1_3repE0EEENS1_30default_config_static_selectorELNS0_4arch9wavefront6targetE0EEEvT1_
    .private_segment_fixed_size: 0
    .sgpr_count:     0
    .sgpr_spill_count: 0
    .symbol:         _ZN7rocprim17ROCPRIM_400000_NS6detail17trampoline_kernelINS0_14default_configENS1_27scan_by_key_config_selectorIjjEEZZNS1_16scan_by_key_implILNS1_25lookback_scan_determinismE0ELb0ES3_N6thrust23THRUST_200600_302600_NS6detail15normal_iteratorINS9_10device_ptrIjEEEESE_SE_jNS9_4plusIvEENS9_8equal_toIvEEjEE10hipError_tPvRmT2_T3_T4_T5_mT6_T7_P12ihipStream_tbENKUlT_T0_E_clISt17integral_constantIbLb1EESZ_EEDaSU_SV_EUlSU_E_NS1_11comp_targetILNS1_3genE3ELNS1_11target_archE908ELNS1_3gpuE7ELNS1_3repE0EEENS1_30default_config_static_selectorELNS0_4arch9wavefront6targetE0EEEvT1_.kd
    .uniform_work_group_size: 1
    .uses_dynamic_stack: false
    .vgpr_count:     0
    .vgpr_spill_count: 0
    .wavefront_size: 32
    .workgroup_processor_mode: 1
  - .args:
      - .offset:         0
        .size:           112
        .value_kind:     by_value
    .group_segment_fixed_size: 0
    .kernarg_segment_align: 8
    .kernarg_segment_size: 112
    .language:       OpenCL C
    .language_version:
      - 2
      - 0
    .max_flat_workgroup_size: 256
    .name:           _ZN7rocprim17ROCPRIM_400000_NS6detail17trampoline_kernelINS0_14default_configENS1_27scan_by_key_config_selectorIjjEEZZNS1_16scan_by_key_implILNS1_25lookback_scan_determinismE0ELb0ES3_N6thrust23THRUST_200600_302600_NS6detail15normal_iteratorINS9_10device_ptrIjEEEESE_SE_jNS9_4plusIvEENS9_8equal_toIvEEjEE10hipError_tPvRmT2_T3_T4_T5_mT6_T7_P12ihipStream_tbENKUlT_T0_E_clISt17integral_constantIbLb1EESZ_EEDaSU_SV_EUlSU_E_NS1_11comp_targetILNS1_3genE2ELNS1_11target_archE906ELNS1_3gpuE6ELNS1_3repE0EEENS1_30default_config_static_selectorELNS0_4arch9wavefront6targetE0EEEvT1_
    .private_segment_fixed_size: 0
    .sgpr_count:     0
    .sgpr_spill_count: 0
    .symbol:         _ZN7rocprim17ROCPRIM_400000_NS6detail17trampoline_kernelINS0_14default_configENS1_27scan_by_key_config_selectorIjjEEZZNS1_16scan_by_key_implILNS1_25lookback_scan_determinismE0ELb0ES3_N6thrust23THRUST_200600_302600_NS6detail15normal_iteratorINS9_10device_ptrIjEEEESE_SE_jNS9_4plusIvEENS9_8equal_toIvEEjEE10hipError_tPvRmT2_T3_T4_T5_mT6_T7_P12ihipStream_tbENKUlT_T0_E_clISt17integral_constantIbLb1EESZ_EEDaSU_SV_EUlSU_E_NS1_11comp_targetILNS1_3genE2ELNS1_11target_archE906ELNS1_3gpuE6ELNS1_3repE0EEENS1_30default_config_static_selectorELNS0_4arch9wavefront6targetE0EEEvT1_.kd
    .uniform_work_group_size: 1
    .uses_dynamic_stack: false
    .vgpr_count:     0
    .vgpr_spill_count: 0
    .wavefront_size: 32
    .workgroup_processor_mode: 1
  - .args:
      - .offset:         0
        .size:           112
        .value_kind:     by_value
    .group_segment_fixed_size: 0
    .kernarg_segment_align: 8
    .kernarg_segment_size: 112
    .language:       OpenCL C
    .language_version:
      - 2
      - 0
    .max_flat_workgroup_size: 256
    .name:           _ZN7rocprim17ROCPRIM_400000_NS6detail17trampoline_kernelINS0_14default_configENS1_27scan_by_key_config_selectorIjjEEZZNS1_16scan_by_key_implILNS1_25lookback_scan_determinismE0ELb0ES3_N6thrust23THRUST_200600_302600_NS6detail15normal_iteratorINS9_10device_ptrIjEEEESE_SE_jNS9_4plusIvEENS9_8equal_toIvEEjEE10hipError_tPvRmT2_T3_T4_T5_mT6_T7_P12ihipStream_tbENKUlT_T0_E_clISt17integral_constantIbLb1EESZ_EEDaSU_SV_EUlSU_E_NS1_11comp_targetILNS1_3genE10ELNS1_11target_archE1200ELNS1_3gpuE4ELNS1_3repE0EEENS1_30default_config_static_selectorELNS0_4arch9wavefront6targetE0EEEvT1_
    .private_segment_fixed_size: 0
    .sgpr_count:     0
    .sgpr_spill_count: 0
    .symbol:         _ZN7rocprim17ROCPRIM_400000_NS6detail17trampoline_kernelINS0_14default_configENS1_27scan_by_key_config_selectorIjjEEZZNS1_16scan_by_key_implILNS1_25lookback_scan_determinismE0ELb0ES3_N6thrust23THRUST_200600_302600_NS6detail15normal_iteratorINS9_10device_ptrIjEEEESE_SE_jNS9_4plusIvEENS9_8equal_toIvEEjEE10hipError_tPvRmT2_T3_T4_T5_mT6_T7_P12ihipStream_tbENKUlT_T0_E_clISt17integral_constantIbLb1EESZ_EEDaSU_SV_EUlSU_E_NS1_11comp_targetILNS1_3genE10ELNS1_11target_archE1200ELNS1_3gpuE4ELNS1_3repE0EEENS1_30default_config_static_selectorELNS0_4arch9wavefront6targetE0EEEvT1_.kd
    .uniform_work_group_size: 1
    .uses_dynamic_stack: false
    .vgpr_count:     0
    .vgpr_spill_count: 0
    .wavefront_size: 32
    .workgroup_processor_mode: 1
  - .args:
      - .offset:         0
        .size:           112
        .value_kind:     by_value
    .group_segment_fixed_size: 0
    .kernarg_segment_align: 8
    .kernarg_segment_size: 112
    .language:       OpenCL C
    .language_version:
      - 2
      - 0
    .max_flat_workgroup_size: 256
    .name:           _ZN7rocprim17ROCPRIM_400000_NS6detail17trampoline_kernelINS0_14default_configENS1_27scan_by_key_config_selectorIjjEEZZNS1_16scan_by_key_implILNS1_25lookback_scan_determinismE0ELb0ES3_N6thrust23THRUST_200600_302600_NS6detail15normal_iteratorINS9_10device_ptrIjEEEESE_SE_jNS9_4plusIvEENS9_8equal_toIvEEjEE10hipError_tPvRmT2_T3_T4_T5_mT6_T7_P12ihipStream_tbENKUlT_T0_E_clISt17integral_constantIbLb1EESZ_EEDaSU_SV_EUlSU_E_NS1_11comp_targetILNS1_3genE9ELNS1_11target_archE1100ELNS1_3gpuE3ELNS1_3repE0EEENS1_30default_config_static_selectorELNS0_4arch9wavefront6targetE0EEEvT1_
    .private_segment_fixed_size: 0
    .sgpr_count:     0
    .sgpr_spill_count: 0
    .symbol:         _ZN7rocprim17ROCPRIM_400000_NS6detail17trampoline_kernelINS0_14default_configENS1_27scan_by_key_config_selectorIjjEEZZNS1_16scan_by_key_implILNS1_25lookback_scan_determinismE0ELb0ES3_N6thrust23THRUST_200600_302600_NS6detail15normal_iteratorINS9_10device_ptrIjEEEESE_SE_jNS9_4plusIvEENS9_8equal_toIvEEjEE10hipError_tPvRmT2_T3_T4_T5_mT6_T7_P12ihipStream_tbENKUlT_T0_E_clISt17integral_constantIbLb1EESZ_EEDaSU_SV_EUlSU_E_NS1_11comp_targetILNS1_3genE9ELNS1_11target_archE1100ELNS1_3gpuE3ELNS1_3repE0EEENS1_30default_config_static_selectorELNS0_4arch9wavefront6targetE0EEEvT1_.kd
    .uniform_work_group_size: 1
    .uses_dynamic_stack: false
    .vgpr_count:     0
    .vgpr_spill_count: 0
    .wavefront_size: 32
    .workgroup_processor_mode: 1
  - .args:
      - .offset:         0
        .size:           112
        .value_kind:     by_value
    .group_segment_fixed_size: 0
    .kernarg_segment_align: 8
    .kernarg_segment_size: 112
    .language:       OpenCL C
    .language_version:
      - 2
      - 0
    .max_flat_workgroup_size: 256
    .name:           _ZN7rocprim17ROCPRIM_400000_NS6detail17trampoline_kernelINS0_14default_configENS1_27scan_by_key_config_selectorIjjEEZZNS1_16scan_by_key_implILNS1_25lookback_scan_determinismE0ELb0ES3_N6thrust23THRUST_200600_302600_NS6detail15normal_iteratorINS9_10device_ptrIjEEEESE_SE_jNS9_4plusIvEENS9_8equal_toIvEEjEE10hipError_tPvRmT2_T3_T4_T5_mT6_T7_P12ihipStream_tbENKUlT_T0_E_clISt17integral_constantIbLb1EESZ_EEDaSU_SV_EUlSU_E_NS1_11comp_targetILNS1_3genE8ELNS1_11target_archE1030ELNS1_3gpuE2ELNS1_3repE0EEENS1_30default_config_static_selectorELNS0_4arch9wavefront6targetE0EEEvT1_
    .private_segment_fixed_size: 0
    .sgpr_count:     0
    .sgpr_spill_count: 0
    .symbol:         _ZN7rocprim17ROCPRIM_400000_NS6detail17trampoline_kernelINS0_14default_configENS1_27scan_by_key_config_selectorIjjEEZZNS1_16scan_by_key_implILNS1_25lookback_scan_determinismE0ELb0ES3_N6thrust23THRUST_200600_302600_NS6detail15normal_iteratorINS9_10device_ptrIjEEEESE_SE_jNS9_4plusIvEENS9_8equal_toIvEEjEE10hipError_tPvRmT2_T3_T4_T5_mT6_T7_P12ihipStream_tbENKUlT_T0_E_clISt17integral_constantIbLb1EESZ_EEDaSU_SV_EUlSU_E_NS1_11comp_targetILNS1_3genE8ELNS1_11target_archE1030ELNS1_3gpuE2ELNS1_3repE0EEENS1_30default_config_static_selectorELNS0_4arch9wavefront6targetE0EEEvT1_.kd
    .uniform_work_group_size: 1
    .uses_dynamic_stack: false
    .vgpr_count:     0
    .vgpr_spill_count: 0
    .wavefront_size: 32
    .workgroup_processor_mode: 1
  - .args:
      - .address_space:  global
        .offset:         0
        .size:           8
        .value_kind:     global_buffer
      - .offset:         8
        .size:           4
        .value_kind:     by_value
      - .offset:         12
        .size:           4
        .value_kind:     by_value
      - .address_space:  global
        .offset:         16
        .size:           8
        .value_kind:     global_buffer
      - .address_space:  global
        .offset:         24
        .size:           8
        .value_kind:     global_buffer
      - .actual_access:  write_only
        .address_space:  global
        .offset:         32
        .size:           8
        .value_kind:     global_buffer
      - .offset:         40
        .size:           8
        .value_kind:     by_value
      - .offset:         48
        .size:           4
        .value_kind:     by_value
      - .offset:         52
        .size:           1
        .value_kind:     by_value
      - .offset:         56
        .size:           4
        .value_kind:     hidden_block_count_x
      - .offset:         60
        .size:           4
        .value_kind:     hidden_block_count_y
      - .offset:         64
        .size:           4
        .value_kind:     hidden_block_count_z
      - .offset:         68
        .size:           2
        .value_kind:     hidden_group_size_x
      - .offset:         70
        .size:           2
        .value_kind:     hidden_group_size_y
      - .offset:         72
        .size:           2
        .value_kind:     hidden_group_size_z
      - .offset:         74
        .size:           2
        .value_kind:     hidden_remainder_x
      - .offset:         76
        .size:           2
        .value_kind:     hidden_remainder_y
      - .offset:         78
        .size:           2
        .value_kind:     hidden_remainder_z
      - .offset:         96
        .size:           8
        .value_kind:     hidden_global_offset_x
      - .offset:         104
        .size:           8
        .value_kind:     hidden_global_offset_y
      - .offset:         112
        .size:           8
        .value_kind:     hidden_global_offset_z
      - .offset:         120
        .size:           2
        .value_kind:     hidden_grid_dims
    .group_segment_fixed_size: 0
    .kernarg_segment_align: 8
    .kernarg_segment_size: 312
    .language:       OpenCL C
    .language_version:
      - 2
      - 0
    .max_flat_workgroup_size: 256
    .name:           _ZN7rocprim17ROCPRIM_400000_NS6detail30init_device_scan_by_key_kernelINS1_19lookback_scan_stateINS0_5tupleIJjbEEELb1ELb1EEEN6thrust23THRUST_200600_302600_NS6detail15normal_iteratorINS8_10device_ptrIjEEEEjNS1_16block_id_wrapperIjLb0EEEEEvT_jjPNSG_10value_typeET0_PNSt15iterator_traitsISJ_E10value_typeEmT1_T2_
    .private_segment_fixed_size: 0
    .sgpr_count:     19
    .sgpr_spill_count: 0
    .symbol:         _ZN7rocprim17ROCPRIM_400000_NS6detail30init_device_scan_by_key_kernelINS1_19lookback_scan_stateINS0_5tupleIJjbEEELb1ELb1EEEN6thrust23THRUST_200600_302600_NS6detail15normal_iteratorINS8_10device_ptrIjEEEEjNS1_16block_id_wrapperIjLb0EEEEEvT_jjPNSG_10value_typeET0_PNSt15iterator_traitsISJ_E10value_typeEmT1_T2_.kd
    .uniform_work_group_size: 1
    .uses_dynamic_stack: false
    .vgpr_count:     9
    .vgpr_spill_count: 0
    .wavefront_size: 32
    .workgroup_processor_mode: 1
  - .args:
      - .offset:         0
        .size:           112
        .value_kind:     by_value
    .group_segment_fixed_size: 0
    .kernarg_segment_align: 8
    .kernarg_segment_size: 112
    .language:       OpenCL C
    .language_version:
      - 2
      - 0
    .max_flat_workgroup_size: 256
    .name:           _ZN7rocprim17ROCPRIM_400000_NS6detail17trampoline_kernelINS0_14default_configENS1_27scan_by_key_config_selectorIjjEEZZNS1_16scan_by_key_implILNS1_25lookback_scan_determinismE0ELb0ES3_N6thrust23THRUST_200600_302600_NS6detail15normal_iteratorINS9_10device_ptrIjEEEESE_SE_jNS9_4plusIvEENS9_8equal_toIvEEjEE10hipError_tPvRmT2_T3_T4_T5_mT6_T7_P12ihipStream_tbENKUlT_T0_E_clISt17integral_constantIbLb1EESY_IbLb0EEEEDaSU_SV_EUlSU_E_NS1_11comp_targetILNS1_3genE0ELNS1_11target_archE4294967295ELNS1_3gpuE0ELNS1_3repE0EEENS1_30default_config_static_selectorELNS0_4arch9wavefront6targetE0EEEvT1_
    .private_segment_fixed_size: 0
    .sgpr_count:     0
    .sgpr_spill_count: 0
    .symbol:         _ZN7rocprim17ROCPRIM_400000_NS6detail17trampoline_kernelINS0_14default_configENS1_27scan_by_key_config_selectorIjjEEZZNS1_16scan_by_key_implILNS1_25lookback_scan_determinismE0ELb0ES3_N6thrust23THRUST_200600_302600_NS6detail15normal_iteratorINS9_10device_ptrIjEEEESE_SE_jNS9_4plusIvEENS9_8equal_toIvEEjEE10hipError_tPvRmT2_T3_T4_T5_mT6_T7_P12ihipStream_tbENKUlT_T0_E_clISt17integral_constantIbLb1EESY_IbLb0EEEEDaSU_SV_EUlSU_E_NS1_11comp_targetILNS1_3genE0ELNS1_11target_archE4294967295ELNS1_3gpuE0ELNS1_3repE0EEENS1_30default_config_static_selectorELNS0_4arch9wavefront6targetE0EEEvT1_.kd
    .uniform_work_group_size: 1
    .uses_dynamic_stack: false
    .vgpr_count:     0
    .vgpr_spill_count: 0
    .wavefront_size: 32
    .workgroup_processor_mode: 1
  - .args:
      - .offset:         0
        .size:           112
        .value_kind:     by_value
    .group_segment_fixed_size: 0
    .kernarg_segment_align: 8
    .kernarg_segment_size: 112
    .language:       OpenCL C
    .language_version:
      - 2
      - 0
    .max_flat_workgroup_size: 256
    .name:           _ZN7rocprim17ROCPRIM_400000_NS6detail17trampoline_kernelINS0_14default_configENS1_27scan_by_key_config_selectorIjjEEZZNS1_16scan_by_key_implILNS1_25lookback_scan_determinismE0ELb0ES3_N6thrust23THRUST_200600_302600_NS6detail15normal_iteratorINS9_10device_ptrIjEEEESE_SE_jNS9_4plusIvEENS9_8equal_toIvEEjEE10hipError_tPvRmT2_T3_T4_T5_mT6_T7_P12ihipStream_tbENKUlT_T0_E_clISt17integral_constantIbLb1EESY_IbLb0EEEEDaSU_SV_EUlSU_E_NS1_11comp_targetILNS1_3genE10ELNS1_11target_archE1201ELNS1_3gpuE5ELNS1_3repE0EEENS1_30default_config_static_selectorELNS0_4arch9wavefront6targetE0EEEvT1_
    .private_segment_fixed_size: 0
    .sgpr_count:     0
    .sgpr_spill_count: 0
    .symbol:         _ZN7rocprim17ROCPRIM_400000_NS6detail17trampoline_kernelINS0_14default_configENS1_27scan_by_key_config_selectorIjjEEZZNS1_16scan_by_key_implILNS1_25lookback_scan_determinismE0ELb0ES3_N6thrust23THRUST_200600_302600_NS6detail15normal_iteratorINS9_10device_ptrIjEEEESE_SE_jNS9_4plusIvEENS9_8equal_toIvEEjEE10hipError_tPvRmT2_T3_T4_T5_mT6_T7_P12ihipStream_tbENKUlT_T0_E_clISt17integral_constantIbLb1EESY_IbLb0EEEEDaSU_SV_EUlSU_E_NS1_11comp_targetILNS1_3genE10ELNS1_11target_archE1201ELNS1_3gpuE5ELNS1_3repE0EEENS1_30default_config_static_selectorELNS0_4arch9wavefront6targetE0EEEvT1_.kd
    .uniform_work_group_size: 1
    .uses_dynamic_stack: false
    .vgpr_count:     0
    .vgpr_spill_count: 0
    .wavefront_size: 32
    .workgroup_processor_mode: 1
  - .args:
      - .offset:         0
        .size:           112
        .value_kind:     by_value
    .group_segment_fixed_size: 0
    .kernarg_segment_align: 8
    .kernarg_segment_size: 112
    .language:       OpenCL C
    .language_version:
      - 2
      - 0
    .max_flat_workgroup_size: 256
    .name:           _ZN7rocprim17ROCPRIM_400000_NS6detail17trampoline_kernelINS0_14default_configENS1_27scan_by_key_config_selectorIjjEEZZNS1_16scan_by_key_implILNS1_25lookback_scan_determinismE0ELb0ES3_N6thrust23THRUST_200600_302600_NS6detail15normal_iteratorINS9_10device_ptrIjEEEESE_SE_jNS9_4plusIvEENS9_8equal_toIvEEjEE10hipError_tPvRmT2_T3_T4_T5_mT6_T7_P12ihipStream_tbENKUlT_T0_E_clISt17integral_constantIbLb1EESY_IbLb0EEEEDaSU_SV_EUlSU_E_NS1_11comp_targetILNS1_3genE5ELNS1_11target_archE942ELNS1_3gpuE9ELNS1_3repE0EEENS1_30default_config_static_selectorELNS0_4arch9wavefront6targetE0EEEvT1_
    .private_segment_fixed_size: 0
    .sgpr_count:     0
    .sgpr_spill_count: 0
    .symbol:         _ZN7rocprim17ROCPRIM_400000_NS6detail17trampoline_kernelINS0_14default_configENS1_27scan_by_key_config_selectorIjjEEZZNS1_16scan_by_key_implILNS1_25lookback_scan_determinismE0ELb0ES3_N6thrust23THRUST_200600_302600_NS6detail15normal_iteratorINS9_10device_ptrIjEEEESE_SE_jNS9_4plusIvEENS9_8equal_toIvEEjEE10hipError_tPvRmT2_T3_T4_T5_mT6_T7_P12ihipStream_tbENKUlT_T0_E_clISt17integral_constantIbLb1EESY_IbLb0EEEEDaSU_SV_EUlSU_E_NS1_11comp_targetILNS1_3genE5ELNS1_11target_archE942ELNS1_3gpuE9ELNS1_3repE0EEENS1_30default_config_static_selectorELNS0_4arch9wavefront6targetE0EEEvT1_.kd
    .uniform_work_group_size: 1
    .uses_dynamic_stack: false
    .vgpr_count:     0
    .vgpr_spill_count: 0
    .wavefront_size: 32
    .workgroup_processor_mode: 1
  - .args:
      - .offset:         0
        .size:           112
        .value_kind:     by_value
    .group_segment_fixed_size: 0
    .kernarg_segment_align: 8
    .kernarg_segment_size: 112
    .language:       OpenCL C
    .language_version:
      - 2
      - 0
    .max_flat_workgroup_size: 256
    .name:           _ZN7rocprim17ROCPRIM_400000_NS6detail17trampoline_kernelINS0_14default_configENS1_27scan_by_key_config_selectorIjjEEZZNS1_16scan_by_key_implILNS1_25lookback_scan_determinismE0ELb0ES3_N6thrust23THRUST_200600_302600_NS6detail15normal_iteratorINS9_10device_ptrIjEEEESE_SE_jNS9_4plusIvEENS9_8equal_toIvEEjEE10hipError_tPvRmT2_T3_T4_T5_mT6_T7_P12ihipStream_tbENKUlT_T0_E_clISt17integral_constantIbLb1EESY_IbLb0EEEEDaSU_SV_EUlSU_E_NS1_11comp_targetILNS1_3genE4ELNS1_11target_archE910ELNS1_3gpuE8ELNS1_3repE0EEENS1_30default_config_static_selectorELNS0_4arch9wavefront6targetE0EEEvT1_
    .private_segment_fixed_size: 0
    .sgpr_count:     0
    .sgpr_spill_count: 0
    .symbol:         _ZN7rocprim17ROCPRIM_400000_NS6detail17trampoline_kernelINS0_14default_configENS1_27scan_by_key_config_selectorIjjEEZZNS1_16scan_by_key_implILNS1_25lookback_scan_determinismE0ELb0ES3_N6thrust23THRUST_200600_302600_NS6detail15normal_iteratorINS9_10device_ptrIjEEEESE_SE_jNS9_4plusIvEENS9_8equal_toIvEEjEE10hipError_tPvRmT2_T3_T4_T5_mT6_T7_P12ihipStream_tbENKUlT_T0_E_clISt17integral_constantIbLb1EESY_IbLb0EEEEDaSU_SV_EUlSU_E_NS1_11comp_targetILNS1_3genE4ELNS1_11target_archE910ELNS1_3gpuE8ELNS1_3repE0EEENS1_30default_config_static_selectorELNS0_4arch9wavefront6targetE0EEEvT1_.kd
    .uniform_work_group_size: 1
    .uses_dynamic_stack: false
    .vgpr_count:     0
    .vgpr_spill_count: 0
    .wavefront_size: 32
    .workgroup_processor_mode: 1
  - .args:
      - .offset:         0
        .size:           112
        .value_kind:     by_value
    .group_segment_fixed_size: 0
    .kernarg_segment_align: 8
    .kernarg_segment_size: 112
    .language:       OpenCL C
    .language_version:
      - 2
      - 0
    .max_flat_workgroup_size: 256
    .name:           _ZN7rocprim17ROCPRIM_400000_NS6detail17trampoline_kernelINS0_14default_configENS1_27scan_by_key_config_selectorIjjEEZZNS1_16scan_by_key_implILNS1_25lookback_scan_determinismE0ELb0ES3_N6thrust23THRUST_200600_302600_NS6detail15normal_iteratorINS9_10device_ptrIjEEEESE_SE_jNS9_4plusIvEENS9_8equal_toIvEEjEE10hipError_tPvRmT2_T3_T4_T5_mT6_T7_P12ihipStream_tbENKUlT_T0_E_clISt17integral_constantIbLb1EESY_IbLb0EEEEDaSU_SV_EUlSU_E_NS1_11comp_targetILNS1_3genE3ELNS1_11target_archE908ELNS1_3gpuE7ELNS1_3repE0EEENS1_30default_config_static_selectorELNS0_4arch9wavefront6targetE0EEEvT1_
    .private_segment_fixed_size: 0
    .sgpr_count:     0
    .sgpr_spill_count: 0
    .symbol:         _ZN7rocprim17ROCPRIM_400000_NS6detail17trampoline_kernelINS0_14default_configENS1_27scan_by_key_config_selectorIjjEEZZNS1_16scan_by_key_implILNS1_25lookback_scan_determinismE0ELb0ES3_N6thrust23THRUST_200600_302600_NS6detail15normal_iteratorINS9_10device_ptrIjEEEESE_SE_jNS9_4plusIvEENS9_8equal_toIvEEjEE10hipError_tPvRmT2_T3_T4_T5_mT6_T7_P12ihipStream_tbENKUlT_T0_E_clISt17integral_constantIbLb1EESY_IbLb0EEEEDaSU_SV_EUlSU_E_NS1_11comp_targetILNS1_3genE3ELNS1_11target_archE908ELNS1_3gpuE7ELNS1_3repE0EEENS1_30default_config_static_selectorELNS0_4arch9wavefront6targetE0EEEvT1_.kd
    .uniform_work_group_size: 1
    .uses_dynamic_stack: false
    .vgpr_count:     0
    .vgpr_spill_count: 0
    .wavefront_size: 32
    .workgroup_processor_mode: 1
  - .args:
      - .offset:         0
        .size:           112
        .value_kind:     by_value
    .group_segment_fixed_size: 0
    .kernarg_segment_align: 8
    .kernarg_segment_size: 112
    .language:       OpenCL C
    .language_version:
      - 2
      - 0
    .max_flat_workgroup_size: 256
    .name:           _ZN7rocprim17ROCPRIM_400000_NS6detail17trampoline_kernelINS0_14default_configENS1_27scan_by_key_config_selectorIjjEEZZNS1_16scan_by_key_implILNS1_25lookback_scan_determinismE0ELb0ES3_N6thrust23THRUST_200600_302600_NS6detail15normal_iteratorINS9_10device_ptrIjEEEESE_SE_jNS9_4plusIvEENS9_8equal_toIvEEjEE10hipError_tPvRmT2_T3_T4_T5_mT6_T7_P12ihipStream_tbENKUlT_T0_E_clISt17integral_constantIbLb1EESY_IbLb0EEEEDaSU_SV_EUlSU_E_NS1_11comp_targetILNS1_3genE2ELNS1_11target_archE906ELNS1_3gpuE6ELNS1_3repE0EEENS1_30default_config_static_selectorELNS0_4arch9wavefront6targetE0EEEvT1_
    .private_segment_fixed_size: 0
    .sgpr_count:     0
    .sgpr_spill_count: 0
    .symbol:         _ZN7rocprim17ROCPRIM_400000_NS6detail17trampoline_kernelINS0_14default_configENS1_27scan_by_key_config_selectorIjjEEZZNS1_16scan_by_key_implILNS1_25lookback_scan_determinismE0ELb0ES3_N6thrust23THRUST_200600_302600_NS6detail15normal_iteratorINS9_10device_ptrIjEEEESE_SE_jNS9_4plusIvEENS9_8equal_toIvEEjEE10hipError_tPvRmT2_T3_T4_T5_mT6_T7_P12ihipStream_tbENKUlT_T0_E_clISt17integral_constantIbLb1EESY_IbLb0EEEEDaSU_SV_EUlSU_E_NS1_11comp_targetILNS1_3genE2ELNS1_11target_archE906ELNS1_3gpuE6ELNS1_3repE0EEENS1_30default_config_static_selectorELNS0_4arch9wavefront6targetE0EEEvT1_.kd
    .uniform_work_group_size: 1
    .uses_dynamic_stack: false
    .vgpr_count:     0
    .vgpr_spill_count: 0
    .wavefront_size: 32
    .workgroup_processor_mode: 1
  - .args:
      - .offset:         0
        .size:           112
        .value_kind:     by_value
    .group_segment_fixed_size: 0
    .kernarg_segment_align: 8
    .kernarg_segment_size: 112
    .language:       OpenCL C
    .language_version:
      - 2
      - 0
    .max_flat_workgroup_size: 256
    .name:           _ZN7rocprim17ROCPRIM_400000_NS6detail17trampoline_kernelINS0_14default_configENS1_27scan_by_key_config_selectorIjjEEZZNS1_16scan_by_key_implILNS1_25lookback_scan_determinismE0ELb0ES3_N6thrust23THRUST_200600_302600_NS6detail15normal_iteratorINS9_10device_ptrIjEEEESE_SE_jNS9_4plusIvEENS9_8equal_toIvEEjEE10hipError_tPvRmT2_T3_T4_T5_mT6_T7_P12ihipStream_tbENKUlT_T0_E_clISt17integral_constantIbLb1EESY_IbLb0EEEEDaSU_SV_EUlSU_E_NS1_11comp_targetILNS1_3genE10ELNS1_11target_archE1200ELNS1_3gpuE4ELNS1_3repE0EEENS1_30default_config_static_selectorELNS0_4arch9wavefront6targetE0EEEvT1_
    .private_segment_fixed_size: 0
    .sgpr_count:     0
    .sgpr_spill_count: 0
    .symbol:         _ZN7rocprim17ROCPRIM_400000_NS6detail17trampoline_kernelINS0_14default_configENS1_27scan_by_key_config_selectorIjjEEZZNS1_16scan_by_key_implILNS1_25lookback_scan_determinismE0ELb0ES3_N6thrust23THRUST_200600_302600_NS6detail15normal_iteratorINS9_10device_ptrIjEEEESE_SE_jNS9_4plusIvEENS9_8equal_toIvEEjEE10hipError_tPvRmT2_T3_T4_T5_mT6_T7_P12ihipStream_tbENKUlT_T0_E_clISt17integral_constantIbLb1EESY_IbLb0EEEEDaSU_SV_EUlSU_E_NS1_11comp_targetILNS1_3genE10ELNS1_11target_archE1200ELNS1_3gpuE4ELNS1_3repE0EEENS1_30default_config_static_selectorELNS0_4arch9wavefront6targetE0EEEvT1_.kd
    .uniform_work_group_size: 1
    .uses_dynamic_stack: false
    .vgpr_count:     0
    .vgpr_spill_count: 0
    .wavefront_size: 32
    .workgroup_processor_mode: 1
  - .args:
      - .offset:         0
        .size:           112
        .value_kind:     by_value
    .group_segment_fixed_size: 0
    .kernarg_segment_align: 8
    .kernarg_segment_size: 112
    .language:       OpenCL C
    .language_version:
      - 2
      - 0
    .max_flat_workgroup_size: 256
    .name:           _ZN7rocprim17ROCPRIM_400000_NS6detail17trampoline_kernelINS0_14default_configENS1_27scan_by_key_config_selectorIjjEEZZNS1_16scan_by_key_implILNS1_25lookback_scan_determinismE0ELb0ES3_N6thrust23THRUST_200600_302600_NS6detail15normal_iteratorINS9_10device_ptrIjEEEESE_SE_jNS9_4plusIvEENS9_8equal_toIvEEjEE10hipError_tPvRmT2_T3_T4_T5_mT6_T7_P12ihipStream_tbENKUlT_T0_E_clISt17integral_constantIbLb1EESY_IbLb0EEEEDaSU_SV_EUlSU_E_NS1_11comp_targetILNS1_3genE9ELNS1_11target_archE1100ELNS1_3gpuE3ELNS1_3repE0EEENS1_30default_config_static_selectorELNS0_4arch9wavefront6targetE0EEEvT1_
    .private_segment_fixed_size: 0
    .sgpr_count:     0
    .sgpr_spill_count: 0
    .symbol:         _ZN7rocprim17ROCPRIM_400000_NS6detail17trampoline_kernelINS0_14default_configENS1_27scan_by_key_config_selectorIjjEEZZNS1_16scan_by_key_implILNS1_25lookback_scan_determinismE0ELb0ES3_N6thrust23THRUST_200600_302600_NS6detail15normal_iteratorINS9_10device_ptrIjEEEESE_SE_jNS9_4plusIvEENS9_8equal_toIvEEjEE10hipError_tPvRmT2_T3_T4_T5_mT6_T7_P12ihipStream_tbENKUlT_T0_E_clISt17integral_constantIbLb1EESY_IbLb0EEEEDaSU_SV_EUlSU_E_NS1_11comp_targetILNS1_3genE9ELNS1_11target_archE1100ELNS1_3gpuE3ELNS1_3repE0EEENS1_30default_config_static_selectorELNS0_4arch9wavefront6targetE0EEEvT1_.kd
    .uniform_work_group_size: 1
    .uses_dynamic_stack: false
    .vgpr_count:     0
    .vgpr_spill_count: 0
    .wavefront_size: 32
    .workgroup_processor_mode: 1
  - .args:
      - .offset:         0
        .size:           112
        .value_kind:     by_value
    .group_segment_fixed_size: 0
    .kernarg_segment_align: 8
    .kernarg_segment_size: 112
    .language:       OpenCL C
    .language_version:
      - 2
      - 0
    .max_flat_workgroup_size: 256
    .name:           _ZN7rocprim17ROCPRIM_400000_NS6detail17trampoline_kernelINS0_14default_configENS1_27scan_by_key_config_selectorIjjEEZZNS1_16scan_by_key_implILNS1_25lookback_scan_determinismE0ELb0ES3_N6thrust23THRUST_200600_302600_NS6detail15normal_iteratorINS9_10device_ptrIjEEEESE_SE_jNS9_4plusIvEENS9_8equal_toIvEEjEE10hipError_tPvRmT2_T3_T4_T5_mT6_T7_P12ihipStream_tbENKUlT_T0_E_clISt17integral_constantIbLb1EESY_IbLb0EEEEDaSU_SV_EUlSU_E_NS1_11comp_targetILNS1_3genE8ELNS1_11target_archE1030ELNS1_3gpuE2ELNS1_3repE0EEENS1_30default_config_static_selectorELNS0_4arch9wavefront6targetE0EEEvT1_
    .private_segment_fixed_size: 0
    .sgpr_count:     0
    .sgpr_spill_count: 0
    .symbol:         _ZN7rocprim17ROCPRIM_400000_NS6detail17trampoline_kernelINS0_14default_configENS1_27scan_by_key_config_selectorIjjEEZZNS1_16scan_by_key_implILNS1_25lookback_scan_determinismE0ELb0ES3_N6thrust23THRUST_200600_302600_NS6detail15normal_iteratorINS9_10device_ptrIjEEEESE_SE_jNS9_4plusIvEENS9_8equal_toIvEEjEE10hipError_tPvRmT2_T3_T4_T5_mT6_T7_P12ihipStream_tbENKUlT_T0_E_clISt17integral_constantIbLb1EESY_IbLb0EEEEDaSU_SV_EUlSU_E_NS1_11comp_targetILNS1_3genE8ELNS1_11target_archE1030ELNS1_3gpuE2ELNS1_3repE0EEENS1_30default_config_static_selectorELNS0_4arch9wavefront6targetE0EEEvT1_.kd
    .uniform_work_group_size: 1
    .uses_dynamic_stack: false
    .vgpr_count:     0
    .vgpr_spill_count: 0
    .wavefront_size: 32
    .workgroup_processor_mode: 1
  - .args:
      - .address_space:  global
        .offset:         0
        .size:           8
        .value_kind:     global_buffer
      - .offset:         8
        .size:           4
        .value_kind:     by_value
      - .offset:         12
        .size:           4
        .value_kind:     by_value
      - .address_space:  global
        .offset:         16
        .size:           8
        .value_kind:     global_buffer
      - .address_space:  global
        .offset:         24
        .size:           8
        .value_kind:     global_buffer
      - .actual_access:  write_only
        .address_space:  global
        .offset:         32
        .size:           8
        .value_kind:     global_buffer
      - .offset:         40
        .size:           8
        .value_kind:     by_value
      - .offset:         48
        .size:           4
        .value_kind:     by_value
      - .address_space:  global
        .offset:         56
        .size:           8
        .value_kind:     global_buffer
      - .offset:         64
        .size:           4
        .value_kind:     hidden_block_count_x
      - .offset:         68
        .size:           4
        .value_kind:     hidden_block_count_y
      - .offset:         72
        .size:           4
        .value_kind:     hidden_block_count_z
      - .offset:         76
        .size:           2
        .value_kind:     hidden_group_size_x
      - .offset:         78
        .size:           2
        .value_kind:     hidden_group_size_y
      - .offset:         80
        .size:           2
        .value_kind:     hidden_group_size_z
      - .offset:         82
        .size:           2
        .value_kind:     hidden_remainder_x
      - .offset:         84
        .size:           2
        .value_kind:     hidden_remainder_y
      - .offset:         86
        .size:           2
        .value_kind:     hidden_remainder_z
      - .offset:         104
        .size:           8
        .value_kind:     hidden_global_offset_x
      - .offset:         112
        .size:           8
        .value_kind:     hidden_global_offset_y
      - .offset:         120
        .size:           8
        .value_kind:     hidden_global_offset_z
      - .offset:         128
        .size:           2
        .value_kind:     hidden_grid_dims
    .group_segment_fixed_size: 0
    .kernarg_segment_align: 8
    .kernarg_segment_size: 320
    .language:       OpenCL C
    .language_version:
      - 2
      - 0
    .max_flat_workgroup_size: 256
    .name:           _ZN7rocprim17ROCPRIM_400000_NS6detail30init_device_scan_by_key_kernelINS1_19lookback_scan_stateINS0_5tupleIJjbEEELb0ELb1EEEN6thrust23THRUST_200600_302600_NS6detail15normal_iteratorINS8_10device_ptrIjEEEEjNS1_16block_id_wrapperIjLb1EEEEEvT_jjPNSG_10value_typeET0_PNSt15iterator_traitsISJ_E10value_typeEmT1_T2_
    .private_segment_fixed_size: 0
    .sgpr_count:     19
    .sgpr_spill_count: 0
    .symbol:         _ZN7rocprim17ROCPRIM_400000_NS6detail30init_device_scan_by_key_kernelINS1_19lookback_scan_stateINS0_5tupleIJjbEEELb0ELb1EEEN6thrust23THRUST_200600_302600_NS6detail15normal_iteratorINS8_10device_ptrIjEEEEjNS1_16block_id_wrapperIjLb1EEEEEvT_jjPNSG_10value_typeET0_PNSt15iterator_traitsISJ_E10value_typeEmT1_T2_.kd
    .uniform_work_group_size: 1
    .uses_dynamic_stack: false
    .vgpr_count:     9
    .vgpr_spill_count: 0
    .wavefront_size: 32
    .workgroup_processor_mode: 1
  - .args:
      - .offset:         0
        .size:           112
        .value_kind:     by_value
    .group_segment_fixed_size: 0
    .kernarg_segment_align: 8
    .kernarg_segment_size: 112
    .language:       OpenCL C
    .language_version:
      - 2
      - 0
    .max_flat_workgroup_size: 256
    .name:           _ZN7rocprim17ROCPRIM_400000_NS6detail17trampoline_kernelINS0_14default_configENS1_27scan_by_key_config_selectorIjjEEZZNS1_16scan_by_key_implILNS1_25lookback_scan_determinismE0ELb0ES3_N6thrust23THRUST_200600_302600_NS6detail15normal_iteratorINS9_10device_ptrIjEEEESE_SE_jNS9_4plusIvEENS9_8equal_toIvEEjEE10hipError_tPvRmT2_T3_T4_T5_mT6_T7_P12ihipStream_tbENKUlT_T0_E_clISt17integral_constantIbLb0EESY_IbLb1EEEEDaSU_SV_EUlSU_E_NS1_11comp_targetILNS1_3genE0ELNS1_11target_archE4294967295ELNS1_3gpuE0ELNS1_3repE0EEENS1_30default_config_static_selectorELNS0_4arch9wavefront6targetE0EEEvT1_
    .private_segment_fixed_size: 0
    .sgpr_count:     0
    .sgpr_spill_count: 0
    .symbol:         _ZN7rocprim17ROCPRIM_400000_NS6detail17trampoline_kernelINS0_14default_configENS1_27scan_by_key_config_selectorIjjEEZZNS1_16scan_by_key_implILNS1_25lookback_scan_determinismE0ELb0ES3_N6thrust23THRUST_200600_302600_NS6detail15normal_iteratorINS9_10device_ptrIjEEEESE_SE_jNS9_4plusIvEENS9_8equal_toIvEEjEE10hipError_tPvRmT2_T3_T4_T5_mT6_T7_P12ihipStream_tbENKUlT_T0_E_clISt17integral_constantIbLb0EESY_IbLb1EEEEDaSU_SV_EUlSU_E_NS1_11comp_targetILNS1_3genE0ELNS1_11target_archE4294967295ELNS1_3gpuE0ELNS1_3repE0EEENS1_30default_config_static_selectorELNS0_4arch9wavefront6targetE0EEEvT1_.kd
    .uniform_work_group_size: 1
    .uses_dynamic_stack: false
    .vgpr_count:     0
    .vgpr_spill_count: 0
    .wavefront_size: 32
    .workgroup_processor_mode: 1
  - .args:
      - .offset:         0
        .size:           112
        .value_kind:     by_value
    .group_segment_fixed_size: 0
    .kernarg_segment_align: 8
    .kernarg_segment_size: 112
    .language:       OpenCL C
    .language_version:
      - 2
      - 0
    .max_flat_workgroup_size: 256
    .name:           _ZN7rocprim17ROCPRIM_400000_NS6detail17trampoline_kernelINS0_14default_configENS1_27scan_by_key_config_selectorIjjEEZZNS1_16scan_by_key_implILNS1_25lookback_scan_determinismE0ELb0ES3_N6thrust23THRUST_200600_302600_NS6detail15normal_iteratorINS9_10device_ptrIjEEEESE_SE_jNS9_4plusIvEENS9_8equal_toIvEEjEE10hipError_tPvRmT2_T3_T4_T5_mT6_T7_P12ihipStream_tbENKUlT_T0_E_clISt17integral_constantIbLb0EESY_IbLb1EEEEDaSU_SV_EUlSU_E_NS1_11comp_targetILNS1_3genE10ELNS1_11target_archE1201ELNS1_3gpuE5ELNS1_3repE0EEENS1_30default_config_static_selectorELNS0_4arch9wavefront6targetE0EEEvT1_
    .private_segment_fixed_size: 0
    .sgpr_count:     0
    .sgpr_spill_count: 0
    .symbol:         _ZN7rocprim17ROCPRIM_400000_NS6detail17trampoline_kernelINS0_14default_configENS1_27scan_by_key_config_selectorIjjEEZZNS1_16scan_by_key_implILNS1_25lookback_scan_determinismE0ELb0ES3_N6thrust23THRUST_200600_302600_NS6detail15normal_iteratorINS9_10device_ptrIjEEEESE_SE_jNS9_4plusIvEENS9_8equal_toIvEEjEE10hipError_tPvRmT2_T3_T4_T5_mT6_T7_P12ihipStream_tbENKUlT_T0_E_clISt17integral_constantIbLb0EESY_IbLb1EEEEDaSU_SV_EUlSU_E_NS1_11comp_targetILNS1_3genE10ELNS1_11target_archE1201ELNS1_3gpuE5ELNS1_3repE0EEENS1_30default_config_static_selectorELNS0_4arch9wavefront6targetE0EEEvT1_.kd
    .uniform_work_group_size: 1
    .uses_dynamic_stack: false
    .vgpr_count:     0
    .vgpr_spill_count: 0
    .wavefront_size: 32
    .workgroup_processor_mode: 1
  - .args:
      - .offset:         0
        .size:           112
        .value_kind:     by_value
    .group_segment_fixed_size: 0
    .kernarg_segment_align: 8
    .kernarg_segment_size: 112
    .language:       OpenCL C
    .language_version:
      - 2
      - 0
    .max_flat_workgroup_size: 256
    .name:           _ZN7rocprim17ROCPRIM_400000_NS6detail17trampoline_kernelINS0_14default_configENS1_27scan_by_key_config_selectorIjjEEZZNS1_16scan_by_key_implILNS1_25lookback_scan_determinismE0ELb0ES3_N6thrust23THRUST_200600_302600_NS6detail15normal_iteratorINS9_10device_ptrIjEEEESE_SE_jNS9_4plusIvEENS9_8equal_toIvEEjEE10hipError_tPvRmT2_T3_T4_T5_mT6_T7_P12ihipStream_tbENKUlT_T0_E_clISt17integral_constantIbLb0EESY_IbLb1EEEEDaSU_SV_EUlSU_E_NS1_11comp_targetILNS1_3genE5ELNS1_11target_archE942ELNS1_3gpuE9ELNS1_3repE0EEENS1_30default_config_static_selectorELNS0_4arch9wavefront6targetE0EEEvT1_
    .private_segment_fixed_size: 0
    .sgpr_count:     0
    .sgpr_spill_count: 0
    .symbol:         _ZN7rocprim17ROCPRIM_400000_NS6detail17trampoline_kernelINS0_14default_configENS1_27scan_by_key_config_selectorIjjEEZZNS1_16scan_by_key_implILNS1_25lookback_scan_determinismE0ELb0ES3_N6thrust23THRUST_200600_302600_NS6detail15normal_iteratorINS9_10device_ptrIjEEEESE_SE_jNS9_4plusIvEENS9_8equal_toIvEEjEE10hipError_tPvRmT2_T3_T4_T5_mT6_T7_P12ihipStream_tbENKUlT_T0_E_clISt17integral_constantIbLb0EESY_IbLb1EEEEDaSU_SV_EUlSU_E_NS1_11comp_targetILNS1_3genE5ELNS1_11target_archE942ELNS1_3gpuE9ELNS1_3repE0EEENS1_30default_config_static_selectorELNS0_4arch9wavefront6targetE0EEEvT1_.kd
    .uniform_work_group_size: 1
    .uses_dynamic_stack: false
    .vgpr_count:     0
    .vgpr_spill_count: 0
    .wavefront_size: 32
    .workgroup_processor_mode: 1
  - .args:
      - .offset:         0
        .size:           112
        .value_kind:     by_value
    .group_segment_fixed_size: 0
    .kernarg_segment_align: 8
    .kernarg_segment_size: 112
    .language:       OpenCL C
    .language_version:
      - 2
      - 0
    .max_flat_workgroup_size: 256
    .name:           _ZN7rocprim17ROCPRIM_400000_NS6detail17trampoline_kernelINS0_14default_configENS1_27scan_by_key_config_selectorIjjEEZZNS1_16scan_by_key_implILNS1_25lookback_scan_determinismE0ELb0ES3_N6thrust23THRUST_200600_302600_NS6detail15normal_iteratorINS9_10device_ptrIjEEEESE_SE_jNS9_4plusIvEENS9_8equal_toIvEEjEE10hipError_tPvRmT2_T3_T4_T5_mT6_T7_P12ihipStream_tbENKUlT_T0_E_clISt17integral_constantIbLb0EESY_IbLb1EEEEDaSU_SV_EUlSU_E_NS1_11comp_targetILNS1_3genE4ELNS1_11target_archE910ELNS1_3gpuE8ELNS1_3repE0EEENS1_30default_config_static_selectorELNS0_4arch9wavefront6targetE0EEEvT1_
    .private_segment_fixed_size: 0
    .sgpr_count:     0
    .sgpr_spill_count: 0
    .symbol:         _ZN7rocprim17ROCPRIM_400000_NS6detail17trampoline_kernelINS0_14default_configENS1_27scan_by_key_config_selectorIjjEEZZNS1_16scan_by_key_implILNS1_25lookback_scan_determinismE0ELb0ES3_N6thrust23THRUST_200600_302600_NS6detail15normal_iteratorINS9_10device_ptrIjEEEESE_SE_jNS9_4plusIvEENS9_8equal_toIvEEjEE10hipError_tPvRmT2_T3_T4_T5_mT6_T7_P12ihipStream_tbENKUlT_T0_E_clISt17integral_constantIbLb0EESY_IbLb1EEEEDaSU_SV_EUlSU_E_NS1_11comp_targetILNS1_3genE4ELNS1_11target_archE910ELNS1_3gpuE8ELNS1_3repE0EEENS1_30default_config_static_selectorELNS0_4arch9wavefront6targetE0EEEvT1_.kd
    .uniform_work_group_size: 1
    .uses_dynamic_stack: false
    .vgpr_count:     0
    .vgpr_spill_count: 0
    .wavefront_size: 32
    .workgroup_processor_mode: 1
  - .args:
      - .offset:         0
        .size:           112
        .value_kind:     by_value
    .group_segment_fixed_size: 0
    .kernarg_segment_align: 8
    .kernarg_segment_size: 112
    .language:       OpenCL C
    .language_version:
      - 2
      - 0
    .max_flat_workgroup_size: 256
    .name:           _ZN7rocprim17ROCPRIM_400000_NS6detail17trampoline_kernelINS0_14default_configENS1_27scan_by_key_config_selectorIjjEEZZNS1_16scan_by_key_implILNS1_25lookback_scan_determinismE0ELb0ES3_N6thrust23THRUST_200600_302600_NS6detail15normal_iteratorINS9_10device_ptrIjEEEESE_SE_jNS9_4plusIvEENS9_8equal_toIvEEjEE10hipError_tPvRmT2_T3_T4_T5_mT6_T7_P12ihipStream_tbENKUlT_T0_E_clISt17integral_constantIbLb0EESY_IbLb1EEEEDaSU_SV_EUlSU_E_NS1_11comp_targetILNS1_3genE3ELNS1_11target_archE908ELNS1_3gpuE7ELNS1_3repE0EEENS1_30default_config_static_selectorELNS0_4arch9wavefront6targetE0EEEvT1_
    .private_segment_fixed_size: 0
    .sgpr_count:     0
    .sgpr_spill_count: 0
    .symbol:         _ZN7rocprim17ROCPRIM_400000_NS6detail17trampoline_kernelINS0_14default_configENS1_27scan_by_key_config_selectorIjjEEZZNS1_16scan_by_key_implILNS1_25lookback_scan_determinismE0ELb0ES3_N6thrust23THRUST_200600_302600_NS6detail15normal_iteratorINS9_10device_ptrIjEEEESE_SE_jNS9_4plusIvEENS9_8equal_toIvEEjEE10hipError_tPvRmT2_T3_T4_T5_mT6_T7_P12ihipStream_tbENKUlT_T0_E_clISt17integral_constantIbLb0EESY_IbLb1EEEEDaSU_SV_EUlSU_E_NS1_11comp_targetILNS1_3genE3ELNS1_11target_archE908ELNS1_3gpuE7ELNS1_3repE0EEENS1_30default_config_static_selectorELNS0_4arch9wavefront6targetE0EEEvT1_.kd
    .uniform_work_group_size: 1
    .uses_dynamic_stack: false
    .vgpr_count:     0
    .vgpr_spill_count: 0
    .wavefront_size: 32
    .workgroup_processor_mode: 1
  - .args:
      - .offset:         0
        .size:           112
        .value_kind:     by_value
    .group_segment_fixed_size: 0
    .kernarg_segment_align: 8
    .kernarg_segment_size: 112
    .language:       OpenCL C
    .language_version:
      - 2
      - 0
    .max_flat_workgroup_size: 256
    .name:           _ZN7rocprim17ROCPRIM_400000_NS6detail17trampoline_kernelINS0_14default_configENS1_27scan_by_key_config_selectorIjjEEZZNS1_16scan_by_key_implILNS1_25lookback_scan_determinismE0ELb0ES3_N6thrust23THRUST_200600_302600_NS6detail15normal_iteratorINS9_10device_ptrIjEEEESE_SE_jNS9_4plusIvEENS9_8equal_toIvEEjEE10hipError_tPvRmT2_T3_T4_T5_mT6_T7_P12ihipStream_tbENKUlT_T0_E_clISt17integral_constantIbLb0EESY_IbLb1EEEEDaSU_SV_EUlSU_E_NS1_11comp_targetILNS1_3genE2ELNS1_11target_archE906ELNS1_3gpuE6ELNS1_3repE0EEENS1_30default_config_static_selectorELNS0_4arch9wavefront6targetE0EEEvT1_
    .private_segment_fixed_size: 0
    .sgpr_count:     0
    .sgpr_spill_count: 0
    .symbol:         _ZN7rocprim17ROCPRIM_400000_NS6detail17trampoline_kernelINS0_14default_configENS1_27scan_by_key_config_selectorIjjEEZZNS1_16scan_by_key_implILNS1_25lookback_scan_determinismE0ELb0ES3_N6thrust23THRUST_200600_302600_NS6detail15normal_iteratorINS9_10device_ptrIjEEEESE_SE_jNS9_4plusIvEENS9_8equal_toIvEEjEE10hipError_tPvRmT2_T3_T4_T5_mT6_T7_P12ihipStream_tbENKUlT_T0_E_clISt17integral_constantIbLb0EESY_IbLb1EEEEDaSU_SV_EUlSU_E_NS1_11comp_targetILNS1_3genE2ELNS1_11target_archE906ELNS1_3gpuE6ELNS1_3repE0EEENS1_30default_config_static_selectorELNS0_4arch9wavefront6targetE0EEEvT1_.kd
    .uniform_work_group_size: 1
    .uses_dynamic_stack: false
    .vgpr_count:     0
    .vgpr_spill_count: 0
    .wavefront_size: 32
    .workgroup_processor_mode: 1
  - .args:
      - .offset:         0
        .size:           112
        .value_kind:     by_value
    .group_segment_fixed_size: 0
    .kernarg_segment_align: 8
    .kernarg_segment_size: 112
    .language:       OpenCL C
    .language_version:
      - 2
      - 0
    .max_flat_workgroup_size: 256
    .name:           _ZN7rocprim17ROCPRIM_400000_NS6detail17trampoline_kernelINS0_14default_configENS1_27scan_by_key_config_selectorIjjEEZZNS1_16scan_by_key_implILNS1_25lookback_scan_determinismE0ELb0ES3_N6thrust23THRUST_200600_302600_NS6detail15normal_iteratorINS9_10device_ptrIjEEEESE_SE_jNS9_4plusIvEENS9_8equal_toIvEEjEE10hipError_tPvRmT2_T3_T4_T5_mT6_T7_P12ihipStream_tbENKUlT_T0_E_clISt17integral_constantIbLb0EESY_IbLb1EEEEDaSU_SV_EUlSU_E_NS1_11comp_targetILNS1_3genE10ELNS1_11target_archE1200ELNS1_3gpuE4ELNS1_3repE0EEENS1_30default_config_static_selectorELNS0_4arch9wavefront6targetE0EEEvT1_
    .private_segment_fixed_size: 0
    .sgpr_count:     0
    .sgpr_spill_count: 0
    .symbol:         _ZN7rocprim17ROCPRIM_400000_NS6detail17trampoline_kernelINS0_14default_configENS1_27scan_by_key_config_selectorIjjEEZZNS1_16scan_by_key_implILNS1_25lookback_scan_determinismE0ELb0ES3_N6thrust23THRUST_200600_302600_NS6detail15normal_iteratorINS9_10device_ptrIjEEEESE_SE_jNS9_4plusIvEENS9_8equal_toIvEEjEE10hipError_tPvRmT2_T3_T4_T5_mT6_T7_P12ihipStream_tbENKUlT_T0_E_clISt17integral_constantIbLb0EESY_IbLb1EEEEDaSU_SV_EUlSU_E_NS1_11comp_targetILNS1_3genE10ELNS1_11target_archE1200ELNS1_3gpuE4ELNS1_3repE0EEENS1_30default_config_static_selectorELNS0_4arch9wavefront6targetE0EEEvT1_.kd
    .uniform_work_group_size: 1
    .uses_dynamic_stack: false
    .vgpr_count:     0
    .vgpr_spill_count: 0
    .wavefront_size: 32
    .workgroup_processor_mode: 1
  - .args:
      - .offset:         0
        .size:           112
        .value_kind:     by_value
    .group_segment_fixed_size: 0
    .kernarg_segment_align: 8
    .kernarg_segment_size: 112
    .language:       OpenCL C
    .language_version:
      - 2
      - 0
    .max_flat_workgroup_size: 256
    .name:           _ZN7rocprim17ROCPRIM_400000_NS6detail17trampoline_kernelINS0_14default_configENS1_27scan_by_key_config_selectorIjjEEZZNS1_16scan_by_key_implILNS1_25lookback_scan_determinismE0ELb0ES3_N6thrust23THRUST_200600_302600_NS6detail15normal_iteratorINS9_10device_ptrIjEEEESE_SE_jNS9_4plusIvEENS9_8equal_toIvEEjEE10hipError_tPvRmT2_T3_T4_T5_mT6_T7_P12ihipStream_tbENKUlT_T0_E_clISt17integral_constantIbLb0EESY_IbLb1EEEEDaSU_SV_EUlSU_E_NS1_11comp_targetILNS1_3genE9ELNS1_11target_archE1100ELNS1_3gpuE3ELNS1_3repE0EEENS1_30default_config_static_selectorELNS0_4arch9wavefront6targetE0EEEvT1_
    .private_segment_fixed_size: 0
    .sgpr_count:     0
    .sgpr_spill_count: 0
    .symbol:         _ZN7rocprim17ROCPRIM_400000_NS6detail17trampoline_kernelINS0_14default_configENS1_27scan_by_key_config_selectorIjjEEZZNS1_16scan_by_key_implILNS1_25lookback_scan_determinismE0ELb0ES3_N6thrust23THRUST_200600_302600_NS6detail15normal_iteratorINS9_10device_ptrIjEEEESE_SE_jNS9_4plusIvEENS9_8equal_toIvEEjEE10hipError_tPvRmT2_T3_T4_T5_mT6_T7_P12ihipStream_tbENKUlT_T0_E_clISt17integral_constantIbLb0EESY_IbLb1EEEEDaSU_SV_EUlSU_E_NS1_11comp_targetILNS1_3genE9ELNS1_11target_archE1100ELNS1_3gpuE3ELNS1_3repE0EEENS1_30default_config_static_selectorELNS0_4arch9wavefront6targetE0EEEvT1_.kd
    .uniform_work_group_size: 1
    .uses_dynamic_stack: false
    .vgpr_count:     0
    .vgpr_spill_count: 0
    .wavefront_size: 32
    .workgroup_processor_mode: 1
  - .args:
      - .offset:         0
        .size:           112
        .value_kind:     by_value
    .group_segment_fixed_size: 5120
    .kernarg_segment_align: 8
    .kernarg_segment_size: 112
    .language:       OpenCL C
    .language_version:
      - 2
      - 0
    .max_flat_workgroup_size: 256
    .name:           _ZN7rocprim17ROCPRIM_400000_NS6detail17trampoline_kernelINS0_14default_configENS1_27scan_by_key_config_selectorIjjEEZZNS1_16scan_by_key_implILNS1_25lookback_scan_determinismE0ELb0ES3_N6thrust23THRUST_200600_302600_NS6detail15normal_iteratorINS9_10device_ptrIjEEEESE_SE_jNS9_4plusIvEENS9_8equal_toIvEEjEE10hipError_tPvRmT2_T3_T4_T5_mT6_T7_P12ihipStream_tbENKUlT_T0_E_clISt17integral_constantIbLb0EESY_IbLb1EEEEDaSU_SV_EUlSU_E_NS1_11comp_targetILNS1_3genE8ELNS1_11target_archE1030ELNS1_3gpuE2ELNS1_3repE0EEENS1_30default_config_static_selectorELNS0_4arch9wavefront6targetE0EEEvT1_
    .private_segment_fixed_size: 0
    .sgpr_count:     36
    .sgpr_spill_count: 0
    .symbol:         _ZN7rocprim17ROCPRIM_400000_NS6detail17trampoline_kernelINS0_14default_configENS1_27scan_by_key_config_selectorIjjEEZZNS1_16scan_by_key_implILNS1_25lookback_scan_determinismE0ELb0ES3_N6thrust23THRUST_200600_302600_NS6detail15normal_iteratorINS9_10device_ptrIjEEEESE_SE_jNS9_4plusIvEENS9_8equal_toIvEEjEE10hipError_tPvRmT2_T3_T4_T5_mT6_T7_P12ihipStream_tbENKUlT_T0_E_clISt17integral_constantIbLb0EESY_IbLb1EEEEDaSU_SV_EUlSU_E_NS1_11comp_targetILNS1_3genE8ELNS1_11target_archE1030ELNS1_3gpuE2ELNS1_3repE0EEENS1_30default_config_static_selectorELNS0_4arch9wavefront6targetE0EEEvT1_.kd
    .uniform_work_group_size: 1
    .uses_dynamic_stack: false
    .vgpr_count:     42
    .vgpr_spill_count: 0
    .wavefront_size: 32
    .workgroup_processor_mode: 1
  - .args:
      - .offset:         0
        .size:           16
        .value_kind:     by_value
      - .offset:         16
        .size:           8
        .value_kind:     by_value
      - .offset:         24
        .size:           8
        .value_kind:     by_value
    .group_segment_fixed_size: 0
    .kernarg_segment_align: 8
    .kernarg_segment_size: 32
    .language:       OpenCL C
    .language_version:
      - 2
      - 0
    .max_flat_workgroup_size: 256
    .name:           _ZN6thrust23THRUST_200600_302600_NS11hip_rocprim14__parallel_for6kernelILj256ENS1_10for_each_fINS0_10device_ptrI11FixedVectorIiLj1EEEENS0_6detail16wrapped_functionINS9_23allocator_traits_detail5gozerEvEEEElLj1EEEvT0_T1_SG_
    .private_segment_fixed_size: 0
    .sgpr_count:     0
    .sgpr_spill_count: 0
    .symbol:         _ZN6thrust23THRUST_200600_302600_NS11hip_rocprim14__parallel_for6kernelILj256ENS1_10for_each_fINS0_10device_ptrI11FixedVectorIiLj1EEEENS0_6detail16wrapped_functionINS9_23allocator_traits_detail5gozerEvEEEElLj1EEEvT0_T1_SG_.kd
    .uniform_work_group_size: 1
    .uses_dynamic_stack: false
    .vgpr_count:     0
    .vgpr_spill_count: 0
    .wavefront_size: 32
    .workgroup_processor_mode: 1
  - .args:
      - .offset:         0
        .size:           16
        .value_kind:     by_value
      - .offset:         16
        .size:           8
        .value_kind:     by_value
      - .offset:         24
        .size:           8
        .value_kind:     by_value
    .group_segment_fixed_size: 0
    .kernarg_segment_align: 8
    .kernarg_segment_size: 32
    .language:       OpenCL C
    .language_version:
      - 2
      - 0
    .max_flat_workgroup_size: 256
    .name:           _ZN6thrust23THRUST_200600_302600_NS11hip_rocprim14__parallel_for6kernelILj256ENS1_10for_each_fINS0_10device_ptrI11FixedVectorIiLj1EEEENS0_6detail16wrapped_functionINS9_23allocator_traits_detail24construct1_via_allocatorINS0_16device_allocatorIS7_EEEEvEEEEmLj1EEEvT0_T1_SJ_
    .private_segment_fixed_size: 0
    .sgpr_count:     14
    .sgpr_spill_count: 0
    .symbol:         _ZN6thrust23THRUST_200600_302600_NS11hip_rocprim14__parallel_for6kernelILj256ENS1_10for_each_fINS0_10device_ptrI11FixedVectorIiLj1EEEENS0_6detail16wrapped_functionINS9_23allocator_traits_detail24construct1_via_allocatorINS0_16device_allocatorIS7_EEEEvEEEEmLj1EEEvT0_T1_SJ_.kd
    .uniform_work_group_size: 1
    .uses_dynamic_stack: false
    .vgpr_count:     4
    .vgpr_spill_count: 0
    .wavefront_size: 32
    .workgroup_processor_mode: 1
  - .args:
      - .address_space:  global
        .offset:         0
        .size:           8
        .value_kind:     global_buffer
      - .offset:         8
        .size:           4
        .value_kind:     by_value
      - .offset:         12
        .size:           4
        .value_kind:     by_value
      - .address_space:  global
        .offset:         16
        .size:           8
        .value_kind:     global_buffer
      - .address_space:  global
        .offset:         24
        .size:           8
        .value_kind:     global_buffer
      - .actual_access:  write_only
        .address_space:  global
        .offset:         32
        .size:           8
        .value_kind:     global_buffer
      - .offset:         40
        .size:           8
        .value_kind:     by_value
      - .offset:         48
        .size:           4
        .value_kind:     by_value
      - .offset:         52
        .size:           1
        .value_kind:     by_value
      - .offset:         56
        .size:           4
        .value_kind:     hidden_block_count_x
      - .offset:         60
        .size:           4
        .value_kind:     hidden_block_count_y
      - .offset:         64
        .size:           4
        .value_kind:     hidden_block_count_z
      - .offset:         68
        .size:           2
        .value_kind:     hidden_group_size_x
      - .offset:         70
        .size:           2
        .value_kind:     hidden_group_size_y
      - .offset:         72
        .size:           2
        .value_kind:     hidden_group_size_z
      - .offset:         74
        .size:           2
        .value_kind:     hidden_remainder_x
      - .offset:         76
        .size:           2
        .value_kind:     hidden_remainder_y
      - .offset:         78
        .size:           2
        .value_kind:     hidden_remainder_z
      - .offset:         96
        .size:           8
        .value_kind:     hidden_global_offset_x
      - .offset:         104
        .size:           8
        .value_kind:     hidden_global_offset_y
      - .offset:         112
        .size:           8
        .value_kind:     hidden_global_offset_z
      - .offset:         120
        .size:           2
        .value_kind:     hidden_grid_dims
    .group_segment_fixed_size: 0
    .kernarg_segment_align: 8
    .kernarg_segment_size: 312
    .language:       OpenCL C
    .language_version:
      - 2
      - 0
    .max_flat_workgroup_size: 256
    .name:           _ZN7rocprim17ROCPRIM_400000_NS6detail30init_device_scan_by_key_kernelINS1_19lookback_scan_stateINS0_5tupleIJ11FixedVectorIiLj1EEbEEELb0ELb1EEEN6thrust23THRUST_200600_302600_NS6detail15normal_iteratorINSA_10device_ptrIjEEEEjNS1_16block_id_wrapperIjLb0EEEEEvT_jjPNSI_10value_typeET0_PNSt15iterator_traitsISL_E10value_typeEmT1_T2_
    .private_segment_fixed_size: 0
    .sgpr_count:     19
    .sgpr_spill_count: 0
    .symbol:         _ZN7rocprim17ROCPRIM_400000_NS6detail30init_device_scan_by_key_kernelINS1_19lookback_scan_stateINS0_5tupleIJ11FixedVectorIiLj1EEbEEELb0ELb1EEEN6thrust23THRUST_200600_302600_NS6detail15normal_iteratorINSA_10device_ptrIjEEEEjNS1_16block_id_wrapperIjLb0EEEEEvT_jjPNSI_10value_typeET0_PNSt15iterator_traitsISL_E10value_typeEmT1_T2_.kd
    .uniform_work_group_size: 1
    .uses_dynamic_stack: false
    .vgpr_count:     9
    .vgpr_spill_count: 0
    .wavefront_size: 32
    .workgroup_processor_mode: 1
  - .args:
      - .address_space:  global
        .offset:         0
        .size:           8
        .value_kind:     global_buffer
      - .offset:         8
        .size:           4
        .value_kind:     by_value
      - .offset:         12
        .size:           4
        .value_kind:     by_value
      - .address_space:  global
        .offset:         16
        .size:           8
        .value_kind:     global_buffer
      - .offset:         24
        .size:           1
        .value_kind:     by_value
      - .offset:         32
        .size:           4
        .value_kind:     hidden_block_count_x
      - .offset:         36
        .size:           4
        .value_kind:     hidden_block_count_y
      - .offset:         40
        .size:           4
        .value_kind:     hidden_block_count_z
      - .offset:         44
        .size:           2
        .value_kind:     hidden_group_size_x
      - .offset:         46
        .size:           2
        .value_kind:     hidden_group_size_y
      - .offset:         48
        .size:           2
        .value_kind:     hidden_group_size_z
      - .offset:         50
        .size:           2
        .value_kind:     hidden_remainder_x
      - .offset:         52
        .size:           2
        .value_kind:     hidden_remainder_y
      - .offset:         54
        .size:           2
        .value_kind:     hidden_remainder_z
      - .offset:         72
        .size:           8
        .value_kind:     hidden_global_offset_x
      - .offset:         80
        .size:           8
        .value_kind:     hidden_global_offset_y
      - .offset:         88
        .size:           8
        .value_kind:     hidden_global_offset_z
      - .offset:         96
        .size:           2
        .value_kind:     hidden_grid_dims
    .group_segment_fixed_size: 0
    .kernarg_segment_align: 8
    .kernarg_segment_size: 288
    .language:       OpenCL C
    .language_version:
      - 2
      - 0
    .max_flat_workgroup_size: 256
    .name:           _ZN7rocprim17ROCPRIM_400000_NS6detail30init_device_scan_by_key_kernelINS1_19lookback_scan_stateINS0_5tupleIJ11FixedVectorIiLj1EEbEEELb0ELb1EEENS1_16block_id_wrapperIjLb0EEEEEvT_jjPNSB_10value_typeET0_
    .private_segment_fixed_size: 0
    .sgpr_count:     12
    .sgpr_spill_count: 0
    .symbol:         _ZN7rocprim17ROCPRIM_400000_NS6detail30init_device_scan_by_key_kernelINS1_19lookback_scan_stateINS0_5tupleIJ11FixedVectorIiLj1EEbEEELb0ELb1EEENS1_16block_id_wrapperIjLb0EEEEEvT_jjPNSB_10value_typeET0_.kd
    .uniform_work_group_size: 1
    .uses_dynamic_stack: false
    .vgpr_count:     8
    .vgpr_spill_count: 0
    .wavefront_size: 32
    .workgroup_processor_mode: 1
  - .args:
      - .offset:         0
        .size:           112
        .value_kind:     by_value
    .group_segment_fixed_size: 0
    .kernarg_segment_align: 8
    .kernarg_segment_size: 112
    .language:       OpenCL C
    .language_version:
      - 2
      - 0
    .max_flat_workgroup_size: 256
    .name:           _ZN7rocprim17ROCPRIM_400000_NS6detail17trampoline_kernelINS0_14default_configENS1_27scan_by_key_config_selectorIj11FixedVectorIiLj1EEEEZZNS1_16scan_by_key_implILNS1_25lookback_scan_determinismE0ELb0ES3_N6thrust23THRUST_200600_302600_NS6detail15normal_iteratorINSB_10device_ptrIjEEEENSD_INSE_IS6_EEEESI_S6_NSB_4plusIvEENSB_8equal_toIvEES6_EE10hipError_tPvRmT2_T3_T4_T5_mT6_T7_P12ihipStream_tbENKUlT_T0_E_clISt17integral_constantIbLb0EES13_EEDaSY_SZ_EUlSY_E_NS1_11comp_targetILNS1_3genE0ELNS1_11target_archE4294967295ELNS1_3gpuE0ELNS1_3repE0EEENS1_30default_config_static_selectorELNS0_4arch9wavefront6targetE0EEEvT1_
    .private_segment_fixed_size: 0
    .sgpr_count:     0
    .sgpr_spill_count: 0
    .symbol:         _ZN7rocprim17ROCPRIM_400000_NS6detail17trampoline_kernelINS0_14default_configENS1_27scan_by_key_config_selectorIj11FixedVectorIiLj1EEEEZZNS1_16scan_by_key_implILNS1_25lookback_scan_determinismE0ELb0ES3_N6thrust23THRUST_200600_302600_NS6detail15normal_iteratorINSB_10device_ptrIjEEEENSD_INSE_IS6_EEEESI_S6_NSB_4plusIvEENSB_8equal_toIvEES6_EE10hipError_tPvRmT2_T3_T4_T5_mT6_T7_P12ihipStream_tbENKUlT_T0_E_clISt17integral_constantIbLb0EES13_EEDaSY_SZ_EUlSY_E_NS1_11comp_targetILNS1_3genE0ELNS1_11target_archE4294967295ELNS1_3gpuE0ELNS1_3repE0EEENS1_30default_config_static_selectorELNS0_4arch9wavefront6targetE0EEEvT1_.kd
    .uniform_work_group_size: 1
    .uses_dynamic_stack: false
    .vgpr_count:     0
    .vgpr_spill_count: 0
    .wavefront_size: 32
    .workgroup_processor_mode: 1
  - .args:
      - .offset:         0
        .size:           112
        .value_kind:     by_value
    .group_segment_fixed_size: 0
    .kernarg_segment_align: 8
    .kernarg_segment_size: 112
    .language:       OpenCL C
    .language_version:
      - 2
      - 0
    .max_flat_workgroup_size: 256
    .name:           _ZN7rocprim17ROCPRIM_400000_NS6detail17trampoline_kernelINS0_14default_configENS1_27scan_by_key_config_selectorIj11FixedVectorIiLj1EEEEZZNS1_16scan_by_key_implILNS1_25lookback_scan_determinismE0ELb0ES3_N6thrust23THRUST_200600_302600_NS6detail15normal_iteratorINSB_10device_ptrIjEEEENSD_INSE_IS6_EEEESI_S6_NSB_4plusIvEENSB_8equal_toIvEES6_EE10hipError_tPvRmT2_T3_T4_T5_mT6_T7_P12ihipStream_tbENKUlT_T0_E_clISt17integral_constantIbLb0EES13_EEDaSY_SZ_EUlSY_E_NS1_11comp_targetILNS1_3genE10ELNS1_11target_archE1201ELNS1_3gpuE5ELNS1_3repE0EEENS1_30default_config_static_selectorELNS0_4arch9wavefront6targetE0EEEvT1_
    .private_segment_fixed_size: 0
    .sgpr_count:     0
    .sgpr_spill_count: 0
    .symbol:         _ZN7rocprim17ROCPRIM_400000_NS6detail17trampoline_kernelINS0_14default_configENS1_27scan_by_key_config_selectorIj11FixedVectorIiLj1EEEEZZNS1_16scan_by_key_implILNS1_25lookback_scan_determinismE0ELb0ES3_N6thrust23THRUST_200600_302600_NS6detail15normal_iteratorINSB_10device_ptrIjEEEENSD_INSE_IS6_EEEESI_S6_NSB_4plusIvEENSB_8equal_toIvEES6_EE10hipError_tPvRmT2_T3_T4_T5_mT6_T7_P12ihipStream_tbENKUlT_T0_E_clISt17integral_constantIbLb0EES13_EEDaSY_SZ_EUlSY_E_NS1_11comp_targetILNS1_3genE10ELNS1_11target_archE1201ELNS1_3gpuE5ELNS1_3repE0EEENS1_30default_config_static_selectorELNS0_4arch9wavefront6targetE0EEEvT1_.kd
    .uniform_work_group_size: 1
    .uses_dynamic_stack: false
    .vgpr_count:     0
    .vgpr_spill_count: 0
    .wavefront_size: 32
    .workgroup_processor_mode: 1
  - .args:
      - .offset:         0
        .size:           112
        .value_kind:     by_value
    .group_segment_fixed_size: 0
    .kernarg_segment_align: 8
    .kernarg_segment_size: 112
    .language:       OpenCL C
    .language_version:
      - 2
      - 0
    .max_flat_workgroup_size: 256
    .name:           _ZN7rocprim17ROCPRIM_400000_NS6detail17trampoline_kernelINS0_14default_configENS1_27scan_by_key_config_selectorIj11FixedVectorIiLj1EEEEZZNS1_16scan_by_key_implILNS1_25lookback_scan_determinismE0ELb0ES3_N6thrust23THRUST_200600_302600_NS6detail15normal_iteratorINSB_10device_ptrIjEEEENSD_INSE_IS6_EEEESI_S6_NSB_4plusIvEENSB_8equal_toIvEES6_EE10hipError_tPvRmT2_T3_T4_T5_mT6_T7_P12ihipStream_tbENKUlT_T0_E_clISt17integral_constantIbLb0EES13_EEDaSY_SZ_EUlSY_E_NS1_11comp_targetILNS1_3genE5ELNS1_11target_archE942ELNS1_3gpuE9ELNS1_3repE0EEENS1_30default_config_static_selectorELNS0_4arch9wavefront6targetE0EEEvT1_
    .private_segment_fixed_size: 0
    .sgpr_count:     0
    .sgpr_spill_count: 0
    .symbol:         _ZN7rocprim17ROCPRIM_400000_NS6detail17trampoline_kernelINS0_14default_configENS1_27scan_by_key_config_selectorIj11FixedVectorIiLj1EEEEZZNS1_16scan_by_key_implILNS1_25lookback_scan_determinismE0ELb0ES3_N6thrust23THRUST_200600_302600_NS6detail15normal_iteratorINSB_10device_ptrIjEEEENSD_INSE_IS6_EEEESI_S6_NSB_4plusIvEENSB_8equal_toIvEES6_EE10hipError_tPvRmT2_T3_T4_T5_mT6_T7_P12ihipStream_tbENKUlT_T0_E_clISt17integral_constantIbLb0EES13_EEDaSY_SZ_EUlSY_E_NS1_11comp_targetILNS1_3genE5ELNS1_11target_archE942ELNS1_3gpuE9ELNS1_3repE0EEENS1_30default_config_static_selectorELNS0_4arch9wavefront6targetE0EEEvT1_.kd
    .uniform_work_group_size: 1
    .uses_dynamic_stack: false
    .vgpr_count:     0
    .vgpr_spill_count: 0
    .wavefront_size: 32
    .workgroup_processor_mode: 1
  - .args:
      - .offset:         0
        .size:           112
        .value_kind:     by_value
    .group_segment_fixed_size: 0
    .kernarg_segment_align: 8
    .kernarg_segment_size: 112
    .language:       OpenCL C
    .language_version:
      - 2
      - 0
    .max_flat_workgroup_size: 256
    .name:           _ZN7rocprim17ROCPRIM_400000_NS6detail17trampoline_kernelINS0_14default_configENS1_27scan_by_key_config_selectorIj11FixedVectorIiLj1EEEEZZNS1_16scan_by_key_implILNS1_25lookback_scan_determinismE0ELb0ES3_N6thrust23THRUST_200600_302600_NS6detail15normal_iteratorINSB_10device_ptrIjEEEENSD_INSE_IS6_EEEESI_S6_NSB_4plusIvEENSB_8equal_toIvEES6_EE10hipError_tPvRmT2_T3_T4_T5_mT6_T7_P12ihipStream_tbENKUlT_T0_E_clISt17integral_constantIbLb0EES13_EEDaSY_SZ_EUlSY_E_NS1_11comp_targetILNS1_3genE4ELNS1_11target_archE910ELNS1_3gpuE8ELNS1_3repE0EEENS1_30default_config_static_selectorELNS0_4arch9wavefront6targetE0EEEvT1_
    .private_segment_fixed_size: 0
    .sgpr_count:     0
    .sgpr_spill_count: 0
    .symbol:         _ZN7rocprim17ROCPRIM_400000_NS6detail17trampoline_kernelINS0_14default_configENS1_27scan_by_key_config_selectorIj11FixedVectorIiLj1EEEEZZNS1_16scan_by_key_implILNS1_25lookback_scan_determinismE0ELb0ES3_N6thrust23THRUST_200600_302600_NS6detail15normal_iteratorINSB_10device_ptrIjEEEENSD_INSE_IS6_EEEESI_S6_NSB_4plusIvEENSB_8equal_toIvEES6_EE10hipError_tPvRmT2_T3_T4_T5_mT6_T7_P12ihipStream_tbENKUlT_T0_E_clISt17integral_constantIbLb0EES13_EEDaSY_SZ_EUlSY_E_NS1_11comp_targetILNS1_3genE4ELNS1_11target_archE910ELNS1_3gpuE8ELNS1_3repE0EEENS1_30default_config_static_selectorELNS0_4arch9wavefront6targetE0EEEvT1_.kd
    .uniform_work_group_size: 1
    .uses_dynamic_stack: false
    .vgpr_count:     0
    .vgpr_spill_count: 0
    .wavefront_size: 32
    .workgroup_processor_mode: 1
  - .args:
      - .offset:         0
        .size:           112
        .value_kind:     by_value
    .group_segment_fixed_size: 0
    .kernarg_segment_align: 8
    .kernarg_segment_size: 112
    .language:       OpenCL C
    .language_version:
      - 2
      - 0
    .max_flat_workgroup_size: 256
    .name:           _ZN7rocprim17ROCPRIM_400000_NS6detail17trampoline_kernelINS0_14default_configENS1_27scan_by_key_config_selectorIj11FixedVectorIiLj1EEEEZZNS1_16scan_by_key_implILNS1_25lookback_scan_determinismE0ELb0ES3_N6thrust23THRUST_200600_302600_NS6detail15normal_iteratorINSB_10device_ptrIjEEEENSD_INSE_IS6_EEEESI_S6_NSB_4plusIvEENSB_8equal_toIvEES6_EE10hipError_tPvRmT2_T3_T4_T5_mT6_T7_P12ihipStream_tbENKUlT_T0_E_clISt17integral_constantIbLb0EES13_EEDaSY_SZ_EUlSY_E_NS1_11comp_targetILNS1_3genE3ELNS1_11target_archE908ELNS1_3gpuE7ELNS1_3repE0EEENS1_30default_config_static_selectorELNS0_4arch9wavefront6targetE0EEEvT1_
    .private_segment_fixed_size: 0
    .sgpr_count:     0
    .sgpr_spill_count: 0
    .symbol:         _ZN7rocprim17ROCPRIM_400000_NS6detail17trampoline_kernelINS0_14default_configENS1_27scan_by_key_config_selectorIj11FixedVectorIiLj1EEEEZZNS1_16scan_by_key_implILNS1_25lookback_scan_determinismE0ELb0ES3_N6thrust23THRUST_200600_302600_NS6detail15normal_iteratorINSB_10device_ptrIjEEEENSD_INSE_IS6_EEEESI_S6_NSB_4plusIvEENSB_8equal_toIvEES6_EE10hipError_tPvRmT2_T3_T4_T5_mT6_T7_P12ihipStream_tbENKUlT_T0_E_clISt17integral_constantIbLb0EES13_EEDaSY_SZ_EUlSY_E_NS1_11comp_targetILNS1_3genE3ELNS1_11target_archE908ELNS1_3gpuE7ELNS1_3repE0EEENS1_30default_config_static_selectorELNS0_4arch9wavefront6targetE0EEEvT1_.kd
    .uniform_work_group_size: 1
    .uses_dynamic_stack: false
    .vgpr_count:     0
    .vgpr_spill_count: 0
    .wavefront_size: 32
    .workgroup_processor_mode: 1
  - .args:
      - .offset:         0
        .size:           112
        .value_kind:     by_value
    .group_segment_fixed_size: 0
    .kernarg_segment_align: 8
    .kernarg_segment_size: 112
    .language:       OpenCL C
    .language_version:
      - 2
      - 0
    .max_flat_workgroup_size: 256
    .name:           _ZN7rocprim17ROCPRIM_400000_NS6detail17trampoline_kernelINS0_14default_configENS1_27scan_by_key_config_selectorIj11FixedVectorIiLj1EEEEZZNS1_16scan_by_key_implILNS1_25lookback_scan_determinismE0ELb0ES3_N6thrust23THRUST_200600_302600_NS6detail15normal_iteratorINSB_10device_ptrIjEEEENSD_INSE_IS6_EEEESI_S6_NSB_4plusIvEENSB_8equal_toIvEES6_EE10hipError_tPvRmT2_T3_T4_T5_mT6_T7_P12ihipStream_tbENKUlT_T0_E_clISt17integral_constantIbLb0EES13_EEDaSY_SZ_EUlSY_E_NS1_11comp_targetILNS1_3genE2ELNS1_11target_archE906ELNS1_3gpuE6ELNS1_3repE0EEENS1_30default_config_static_selectorELNS0_4arch9wavefront6targetE0EEEvT1_
    .private_segment_fixed_size: 0
    .sgpr_count:     0
    .sgpr_spill_count: 0
    .symbol:         _ZN7rocprim17ROCPRIM_400000_NS6detail17trampoline_kernelINS0_14default_configENS1_27scan_by_key_config_selectorIj11FixedVectorIiLj1EEEEZZNS1_16scan_by_key_implILNS1_25lookback_scan_determinismE0ELb0ES3_N6thrust23THRUST_200600_302600_NS6detail15normal_iteratorINSB_10device_ptrIjEEEENSD_INSE_IS6_EEEESI_S6_NSB_4plusIvEENSB_8equal_toIvEES6_EE10hipError_tPvRmT2_T3_T4_T5_mT6_T7_P12ihipStream_tbENKUlT_T0_E_clISt17integral_constantIbLb0EES13_EEDaSY_SZ_EUlSY_E_NS1_11comp_targetILNS1_3genE2ELNS1_11target_archE906ELNS1_3gpuE6ELNS1_3repE0EEENS1_30default_config_static_selectorELNS0_4arch9wavefront6targetE0EEEvT1_.kd
    .uniform_work_group_size: 1
    .uses_dynamic_stack: false
    .vgpr_count:     0
    .vgpr_spill_count: 0
    .wavefront_size: 32
    .workgroup_processor_mode: 1
  - .args:
      - .offset:         0
        .size:           112
        .value_kind:     by_value
    .group_segment_fixed_size: 0
    .kernarg_segment_align: 8
    .kernarg_segment_size: 112
    .language:       OpenCL C
    .language_version:
      - 2
      - 0
    .max_flat_workgroup_size: 256
    .name:           _ZN7rocprim17ROCPRIM_400000_NS6detail17trampoline_kernelINS0_14default_configENS1_27scan_by_key_config_selectorIj11FixedVectorIiLj1EEEEZZNS1_16scan_by_key_implILNS1_25lookback_scan_determinismE0ELb0ES3_N6thrust23THRUST_200600_302600_NS6detail15normal_iteratorINSB_10device_ptrIjEEEENSD_INSE_IS6_EEEESI_S6_NSB_4plusIvEENSB_8equal_toIvEES6_EE10hipError_tPvRmT2_T3_T4_T5_mT6_T7_P12ihipStream_tbENKUlT_T0_E_clISt17integral_constantIbLb0EES13_EEDaSY_SZ_EUlSY_E_NS1_11comp_targetILNS1_3genE10ELNS1_11target_archE1200ELNS1_3gpuE4ELNS1_3repE0EEENS1_30default_config_static_selectorELNS0_4arch9wavefront6targetE0EEEvT1_
    .private_segment_fixed_size: 0
    .sgpr_count:     0
    .sgpr_spill_count: 0
    .symbol:         _ZN7rocprim17ROCPRIM_400000_NS6detail17trampoline_kernelINS0_14default_configENS1_27scan_by_key_config_selectorIj11FixedVectorIiLj1EEEEZZNS1_16scan_by_key_implILNS1_25lookback_scan_determinismE0ELb0ES3_N6thrust23THRUST_200600_302600_NS6detail15normal_iteratorINSB_10device_ptrIjEEEENSD_INSE_IS6_EEEESI_S6_NSB_4plusIvEENSB_8equal_toIvEES6_EE10hipError_tPvRmT2_T3_T4_T5_mT6_T7_P12ihipStream_tbENKUlT_T0_E_clISt17integral_constantIbLb0EES13_EEDaSY_SZ_EUlSY_E_NS1_11comp_targetILNS1_3genE10ELNS1_11target_archE1200ELNS1_3gpuE4ELNS1_3repE0EEENS1_30default_config_static_selectorELNS0_4arch9wavefront6targetE0EEEvT1_.kd
    .uniform_work_group_size: 1
    .uses_dynamic_stack: false
    .vgpr_count:     0
    .vgpr_spill_count: 0
    .wavefront_size: 32
    .workgroup_processor_mode: 1
  - .args:
      - .offset:         0
        .size:           112
        .value_kind:     by_value
    .group_segment_fixed_size: 0
    .kernarg_segment_align: 8
    .kernarg_segment_size: 112
    .language:       OpenCL C
    .language_version:
      - 2
      - 0
    .max_flat_workgroup_size: 256
    .name:           _ZN7rocprim17ROCPRIM_400000_NS6detail17trampoline_kernelINS0_14default_configENS1_27scan_by_key_config_selectorIj11FixedVectorIiLj1EEEEZZNS1_16scan_by_key_implILNS1_25lookback_scan_determinismE0ELb0ES3_N6thrust23THRUST_200600_302600_NS6detail15normal_iteratorINSB_10device_ptrIjEEEENSD_INSE_IS6_EEEESI_S6_NSB_4plusIvEENSB_8equal_toIvEES6_EE10hipError_tPvRmT2_T3_T4_T5_mT6_T7_P12ihipStream_tbENKUlT_T0_E_clISt17integral_constantIbLb0EES13_EEDaSY_SZ_EUlSY_E_NS1_11comp_targetILNS1_3genE9ELNS1_11target_archE1100ELNS1_3gpuE3ELNS1_3repE0EEENS1_30default_config_static_selectorELNS0_4arch9wavefront6targetE0EEEvT1_
    .private_segment_fixed_size: 0
    .sgpr_count:     0
    .sgpr_spill_count: 0
    .symbol:         _ZN7rocprim17ROCPRIM_400000_NS6detail17trampoline_kernelINS0_14default_configENS1_27scan_by_key_config_selectorIj11FixedVectorIiLj1EEEEZZNS1_16scan_by_key_implILNS1_25lookback_scan_determinismE0ELb0ES3_N6thrust23THRUST_200600_302600_NS6detail15normal_iteratorINSB_10device_ptrIjEEEENSD_INSE_IS6_EEEESI_S6_NSB_4plusIvEENSB_8equal_toIvEES6_EE10hipError_tPvRmT2_T3_T4_T5_mT6_T7_P12ihipStream_tbENKUlT_T0_E_clISt17integral_constantIbLb0EES13_EEDaSY_SZ_EUlSY_E_NS1_11comp_targetILNS1_3genE9ELNS1_11target_archE1100ELNS1_3gpuE3ELNS1_3repE0EEENS1_30default_config_static_selectorELNS0_4arch9wavefront6targetE0EEEvT1_.kd
    .uniform_work_group_size: 1
    .uses_dynamic_stack: false
    .vgpr_count:     0
    .vgpr_spill_count: 0
    .wavefront_size: 32
    .workgroup_processor_mode: 1
  - .args:
      - .offset:         0
        .size:           112
        .value_kind:     by_value
    .group_segment_fixed_size: 5120
    .kernarg_segment_align: 8
    .kernarg_segment_size: 112
    .language:       OpenCL C
    .language_version:
      - 2
      - 0
    .max_flat_workgroup_size: 256
    .name:           _ZN7rocprim17ROCPRIM_400000_NS6detail17trampoline_kernelINS0_14default_configENS1_27scan_by_key_config_selectorIj11FixedVectorIiLj1EEEEZZNS1_16scan_by_key_implILNS1_25lookback_scan_determinismE0ELb0ES3_N6thrust23THRUST_200600_302600_NS6detail15normal_iteratorINSB_10device_ptrIjEEEENSD_INSE_IS6_EEEESI_S6_NSB_4plusIvEENSB_8equal_toIvEES6_EE10hipError_tPvRmT2_T3_T4_T5_mT6_T7_P12ihipStream_tbENKUlT_T0_E_clISt17integral_constantIbLb0EES13_EEDaSY_SZ_EUlSY_E_NS1_11comp_targetILNS1_3genE8ELNS1_11target_archE1030ELNS1_3gpuE2ELNS1_3repE0EEENS1_30default_config_static_selectorELNS0_4arch9wavefront6targetE0EEEvT1_
    .private_segment_fixed_size: 0
    .sgpr_count:     33
    .sgpr_spill_count: 0
    .symbol:         _ZN7rocprim17ROCPRIM_400000_NS6detail17trampoline_kernelINS0_14default_configENS1_27scan_by_key_config_selectorIj11FixedVectorIiLj1EEEEZZNS1_16scan_by_key_implILNS1_25lookback_scan_determinismE0ELb0ES3_N6thrust23THRUST_200600_302600_NS6detail15normal_iteratorINSB_10device_ptrIjEEEENSD_INSE_IS6_EEEESI_S6_NSB_4plusIvEENSB_8equal_toIvEES6_EE10hipError_tPvRmT2_T3_T4_T5_mT6_T7_P12ihipStream_tbENKUlT_T0_E_clISt17integral_constantIbLb0EES13_EEDaSY_SZ_EUlSY_E_NS1_11comp_targetILNS1_3genE8ELNS1_11target_archE1030ELNS1_3gpuE2ELNS1_3repE0EEENS1_30default_config_static_selectorELNS0_4arch9wavefront6targetE0EEEvT1_.kd
    .uniform_work_group_size: 1
    .uses_dynamic_stack: false
    .vgpr_count:     42
    .vgpr_spill_count: 0
    .wavefront_size: 32
    .workgroup_processor_mode: 1
  - .args:
      - .address_space:  global
        .offset:         0
        .size:           8
        .value_kind:     global_buffer
      - .offset:         8
        .size:           4
        .value_kind:     by_value
      - .offset:         12
        .size:           4
        .value_kind:     by_value
      - .address_space:  global
        .offset:         16
        .size:           8
        .value_kind:     global_buffer
      - .address_space:  global
        .offset:         24
        .size:           8
        .value_kind:     global_buffer
      - .actual_access:  write_only
        .address_space:  global
        .offset:         32
        .size:           8
        .value_kind:     global_buffer
      - .offset:         40
        .size:           8
        .value_kind:     by_value
      - .offset:         48
        .size:           4
        .value_kind:     by_value
      - .address_space:  global
        .offset:         56
        .size:           8
        .value_kind:     global_buffer
      - .offset:         64
        .size:           4
        .value_kind:     hidden_block_count_x
      - .offset:         68
        .size:           4
        .value_kind:     hidden_block_count_y
      - .offset:         72
        .size:           4
        .value_kind:     hidden_block_count_z
      - .offset:         76
        .size:           2
        .value_kind:     hidden_group_size_x
      - .offset:         78
        .size:           2
        .value_kind:     hidden_group_size_y
      - .offset:         80
        .size:           2
        .value_kind:     hidden_group_size_z
      - .offset:         82
        .size:           2
        .value_kind:     hidden_remainder_x
      - .offset:         84
        .size:           2
        .value_kind:     hidden_remainder_y
      - .offset:         86
        .size:           2
        .value_kind:     hidden_remainder_z
      - .offset:         104
        .size:           8
        .value_kind:     hidden_global_offset_x
      - .offset:         112
        .size:           8
        .value_kind:     hidden_global_offset_y
      - .offset:         120
        .size:           8
        .value_kind:     hidden_global_offset_z
      - .offset:         128
        .size:           2
        .value_kind:     hidden_grid_dims
    .group_segment_fixed_size: 0
    .kernarg_segment_align: 8
    .kernarg_segment_size: 320
    .language:       OpenCL C
    .language_version:
      - 2
      - 0
    .max_flat_workgroup_size: 256
    .name:           _ZN7rocprim17ROCPRIM_400000_NS6detail30init_device_scan_by_key_kernelINS1_19lookback_scan_stateINS0_5tupleIJ11FixedVectorIiLj1EEbEEELb1ELb1EEEN6thrust23THRUST_200600_302600_NS6detail15normal_iteratorINSA_10device_ptrIjEEEEjNS1_16block_id_wrapperIjLb1EEEEEvT_jjPNSI_10value_typeET0_PNSt15iterator_traitsISL_E10value_typeEmT1_T2_
    .private_segment_fixed_size: 0
    .sgpr_count:     19
    .sgpr_spill_count: 0
    .symbol:         _ZN7rocprim17ROCPRIM_400000_NS6detail30init_device_scan_by_key_kernelINS1_19lookback_scan_stateINS0_5tupleIJ11FixedVectorIiLj1EEbEEELb1ELb1EEEN6thrust23THRUST_200600_302600_NS6detail15normal_iteratorINSA_10device_ptrIjEEEEjNS1_16block_id_wrapperIjLb1EEEEEvT_jjPNSI_10value_typeET0_PNSt15iterator_traitsISL_E10value_typeEmT1_T2_.kd
    .uniform_work_group_size: 1
    .uses_dynamic_stack: false
    .vgpr_count:     9
    .vgpr_spill_count: 0
    .wavefront_size: 32
    .workgroup_processor_mode: 1
  - .args:
      - .address_space:  global
        .offset:         0
        .size:           8
        .value_kind:     global_buffer
      - .offset:         8
        .size:           4
        .value_kind:     by_value
      - .offset:         12
        .size:           4
        .value_kind:     by_value
      - .address_space:  global
        .offset:         16
        .size:           8
        .value_kind:     global_buffer
      - .address_space:  global
        .offset:         24
        .size:           8
        .value_kind:     global_buffer
      - .offset:         32
        .size:           4
        .value_kind:     hidden_block_count_x
      - .offset:         36
        .size:           4
        .value_kind:     hidden_block_count_y
      - .offset:         40
        .size:           4
        .value_kind:     hidden_block_count_z
      - .offset:         44
        .size:           2
        .value_kind:     hidden_group_size_x
      - .offset:         46
        .size:           2
        .value_kind:     hidden_group_size_y
      - .offset:         48
        .size:           2
        .value_kind:     hidden_group_size_z
      - .offset:         50
        .size:           2
        .value_kind:     hidden_remainder_x
      - .offset:         52
        .size:           2
        .value_kind:     hidden_remainder_y
      - .offset:         54
        .size:           2
        .value_kind:     hidden_remainder_z
      - .offset:         72
        .size:           8
        .value_kind:     hidden_global_offset_x
      - .offset:         80
        .size:           8
        .value_kind:     hidden_global_offset_y
      - .offset:         88
        .size:           8
        .value_kind:     hidden_global_offset_z
      - .offset:         96
        .size:           2
        .value_kind:     hidden_grid_dims
    .group_segment_fixed_size: 0
    .kernarg_segment_align: 8
    .kernarg_segment_size: 288
    .language:       OpenCL C
    .language_version:
      - 2
      - 0
    .max_flat_workgroup_size: 256
    .name:           _ZN7rocprim17ROCPRIM_400000_NS6detail30init_device_scan_by_key_kernelINS1_19lookback_scan_stateINS0_5tupleIJ11FixedVectorIiLj1EEbEEELb1ELb1EEENS1_16block_id_wrapperIjLb1EEEEEvT_jjPNSB_10value_typeET0_
    .private_segment_fixed_size: 0
    .sgpr_count:     18
    .sgpr_spill_count: 0
    .symbol:         _ZN7rocprim17ROCPRIM_400000_NS6detail30init_device_scan_by_key_kernelINS1_19lookback_scan_stateINS0_5tupleIJ11FixedVectorIiLj1EEbEEELb1ELb1EEENS1_16block_id_wrapperIjLb1EEEEEvT_jjPNSB_10value_typeET0_.kd
    .uniform_work_group_size: 1
    .uses_dynamic_stack: false
    .vgpr_count:     8
    .vgpr_spill_count: 0
    .wavefront_size: 32
    .workgroup_processor_mode: 1
  - .args:
      - .offset:         0
        .size:           112
        .value_kind:     by_value
    .group_segment_fixed_size: 0
    .kernarg_segment_align: 8
    .kernarg_segment_size: 112
    .language:       OpenCL C
    .language_version:
      - 2
      - 0
    .max_flat_workgroup_size: 256
    .name:           _ZN7rocprim17ROCPRIM_400000_NS6detail17trampoline_kernelINS0_14default_configENS1_27scan_by_key_config_selectorIj11FixedVectorIiLj1EEEEZZNS1_16scan_by_key_implILNS1_25lookback_scan_determinismE0ELb0ES3_N6thrust23THRUST_200600_302600_NS6detail15normal_iteratorINSB_10device_ptrIjEEEENSD_INSE_IS6_EEEESI_S6_NSB_4plusIvEENSB_8equal_toIvEES6_EE10hipError_tPvRmT2_T3_T4_T5_mT6_T7_P12ihipStream_tbENKUlT_T0_E_clISt17integral_constantIbLb1EES13_EEDaSY_SZ_EUlSY_E_NS1_11comp_targetILNS1_3genE0ELNS1_11target_archE4294967295ELNS1_3gpuE0ELNS1_3repE0EEENS1_30default_config_static_selectorELNS0_4arch9wavefront6targetE0EEEvT1_
    .private_segment_fixed_size: 0
    .sgpr_count:     0
    .sgpr_spill_count: 0
    .symbol:         _ZN7rocprim17ROCPRIM_400000_NS6detail17trampoline_kernelINS0_14default_configENS1_27scan_by_key_config_selectorIj11FixedVectorIiLj1EEEEZZNS1_16scan_by_key_implILNS1_25lookback_scan_determinismE0ELb0ES3_N6thrust23THRUST_200600_302600_NS6detail15normal_iteratorINSB_10device_ptrIjEEEENSD_INSE_IS6_EEEESI_S6_NSB_4plusIvEENSB_8equal_toIvEES6_EE10hipError_tPvRmT2_T3_T4_T5_mT6_T7_P12ihipStream_tbENKUlT_T0_E_clISt17integral_constantIbLb1EES13_EEDaSY_SZ_EUlSY_E_NS1_11comp_targetILNS1_3genE0ELNS1_11target_archE4294967295ELNS1_3gpuE0ELNS1_3repE0EEENS1_30default_config_static_selectorELNS0_4arch9wavefront6targetE0EEEvT1_.kd
    .uniform_work_group_size: 1
    .uses_dynamic_stack: false
    .vgpr_count:     0
    .vgpr_spill_count: 0
    .wavefront_size: 32
    .workgroup_processor_mode: 1
  - .args:
      - .offset:         0
        .size:           112
        .value_kind:     by_value
    .group_segment_fixed_size: 0
    .kernarg_segment_align: 8
    .kernarg_segment_size: 112
    .language:       OpenCL C
    .language_version:
      - 2
      - 0
    .max_flat_workgroup_size: 256
    .name:           _ZN7rocprim17ROCPRIM_400000_NS6detail17trampoline_kernelINS0_14default_configENS1_27scan_by_key_config_selectorIj11FixedVectorIiLj1EEEEZZNS1_16scan_by_key_implILNS1_25lookback_scan_determinismE0ELb0ES3_N6thrust23THRUST_200600_302600_NS6detail15normal_iteratorINSB_10device_ptrIjEEEENSD_INSE_IS6_EEEESI_S6_NSB_4plusIvEENSB_8equal_toIvEES6_EE10hipError_tPvRmT2_T3_T4_T5_mT6_T7_P12ihipStream_tbENKUlT_T0_E_clISt17integral_constantIbLb1EES13_EEDaSY_SZ_EUlSY_E_NS1_11comp_targetILNS1_3genE10ELNS1_11target_archE1201ELNS1_3gpuE5ELNS1_3repE0EEENS1_30default_config_static_selectorELNS0_4arch9wavefront6targetE0EEEvT1_
    .private_segment_fixed_size: 0
    .sgpr_count:     0
    .sgpr_spill_count: 0
    .symbol:         _ZN7rocprim17ROCPRIM_400000_NS6detail17trampoline_kernelINS0_14default_configENS1_27scan_by_key_config_selectorIj11FixedVectorIiLj1EEEEZZNS1_16scan_by_key_implILNS1_25lookback_scan_determinismE0ELb0ES3_N6thrust23THRUST_200600_302600_NS6detail15normal_iteratorINSB_10device_ptrIjEEEENSD_INSE_IS6_EEEESI_S6_NSB_4plusIvEENSB_8equal_toIvEES6_EE10hipError_tPvRmT2_T3_T4_T5_mT6_T7_P12ihipStream_tbENKUlT_T0_E_clISt17integral_constantIbLb1EES13_EEDaSY_SZ_EUlSY_E_NS1_11comp_targetILNS1_3genE10ELNS1_11target_archE1201ELNS1_3gpuE5ELNS1_3repE0EEENS1_30default_config_static_selectorELNS0_4arch9wavefront6targetE0EEEvT1_.kd
    .uniform_work_group_size: 1
    .uses_dynamic_stack: false
    .vgpr_count:     0
    .vgpr_spill_count: 0
    .wavefront_size: 32
    .workgroup_processor_mode: 1
  - .args:
      - .offset:         0
        .size:           112
        .value_kind:     by_value
    .group_segment_fixed_size: 0
    .kernarg_segment_align: 8
    .kernarg_segment_size: 112
    .language:       OpenCL C
    .language_version:
      - 2
      - 0
    .max_flat_workgroup_size: 256
    .name:           _ZN7rocprim17ROCPRIM_400000_NS6detail17trampoline_kernelINS0_14default_configENS1_27scan_by_key_config_selectorIj11FixedVectorIiLj1EEEEZZNS1_16scan_by_key_implILNS1_25lookback_scan_determinismE0ELb0ES3_N6thrust23THRUST_200600_302600_NS6detail15normal_iteratorINSB_10device_ptrIjEEEENSD_INSE_IS6_EEEESI_S6_NSB_4plusIvEENSB_8equal_toIvEES6_EE10hipError_tPvRmT2_T3_T4_T5_mT6_T7_P12ihipStream_tbENKUlT_T0_E_clISt17integral_constantIbLb1EES13_EEDaSY_SZ_EUlSY_E_NS1_11comp_targetILNS1_3genE5ELNS1_11target_archE942ELNS1_3gpuE9ELNS1_3repE0EEENS1_30default_config_static_selectorELNS0_4arch9wavefront6targetE0EEEvT1_
    .private_segment_fixed_size: 0
    .sgpr_count:     0
    .sgpr_spill_count: 0
    .symbol:         _ZN7rocprim17ROCPRIM_400000_NS6detail17trampoline_kernelINS0_14default_configENS1_27scan_by_key_config_selectorIj11FixedVectorIiLj1EEEEZZNS1_16scan_by_key_implILNS1_25lookback_scan_determinismE0ELb0ES3_N6thrust23THRUST_200600_302600_NS6detail15normal_iteratorINSB_10device_ptrIjEEEENSD_INSE_IS6_EEEESI_S6_NSB_4plusIvEENSB_8equal_toIvEES6_EE10hipError_tPvRmT2_T3_T4_T5_mT6_T7_P12ihipStream_tbENKUlT_T0_E_clISt17integral_constantIbLb1EES13_EEDaSY_SZ_EUlSY_E_NS1_11comp_targetILNS1_3genE5ELNS1_11target_archE942ELNS1_3gpuE9ELNS1_3repE0EEENS1_30default_config_static_selectorELNS0_4arch9wavefront6targetE0EEEvT1_.kd
    .uniform_work_group_size: 1
    .uses_dynamic_stack: false
    .vgpr_count:     0
    .vgpr_spill_count: 0
    .wavefront_size: 32
    .workgroup_processor_mode: 1
  - .args:
      - .offset:         0
        .size:           112
        .value_kind:     by_value
    .group_segment_fixed_size: 0
    .kernarg_segment_align: 8
    .kernarg_segment_size: 112
    .language:       OpenCL C
    .language_version:
      - 2
      - 0
    .max_flat_workgroup_size: 256
    .name:           _ZN7rocprim17ROCPRIM_400000_NS6detail17trampoline_kernelINS0_14default_configENS1_27scan_by_key_config_selectorIj11FixedVectorIiLj1EEEEZZNS1_16scan_by_key_implILNS1_25lookback_scan_determinismE0ELb0ES3_N6thrust23THRUST_200600_302600_NS6detail15normal_iteratorINSB_10device_ptrIjEEEENSD_INSE_IS6_EEEESI_S6_NSB_4plusIvEENSB_8equal_toIvEES6_EE10hipError_tPvRmT2_T3_T4_T5_mT6_T7_P12ihipStream_tbENKUlT_T0_E_clISt17integral_constantIbLb1EES13_EEDaSY_SZ_EUlSY_E_NS1_11comp_targetILNS1_3genE4ELNS1_11target_archE910ELNS1_3gpuE8ELNS1_3repE0EEENS1_30default_config_static_selectorELNS0_4arch9wavefront6targetE0EEEvT1_
    .private_segment_fixed_size: 0
    .sgpr_count:     0
    .sgpr_spill_count: 0
    .symbol:         _ZN7rocprim17ROCPRIM_400000_NS6detail17trampoline_kernelINS0_14default_configENS1_27scan_by_key_config_selectorIj11FixedVectorIiLj1EEEEZZNS1_16scan_by_key_implILNS1_25lookback_scan_determinismE0ELb0ES3_N6thrust23THRUST_200600_302600_NS6detail15normal_iteratorINSB_10device_ptrIjEEEENSD_INSE_IS6_EEEESI_S6_NSB_4plusIvEENSB_8equal_toIvEES6_EE10hipError_tPvRmT2_T3_T4_T5_mT6_T7_P12ihipStream_tbENKUlT_T0_E_clISt17integral_constantIbLb1EES13_EEDaSY_SZ_EUlSY_E_NS1_11comp_targetILNS1_3genE4ELNS1_11target_archE910ELNS1_3gpuE8ELNS1_3repE0EEENS1_30default_config_static_selectorELNS0_4arch9wavefront6targetE0EEEvT1_.kd
    .uniform_work_group_size: 1
    .uses_dynamic_stack: false
    .vgpr_count:     0
    .vgpr_spill_count: 0
    .wavefront_size: 32
    .workgroup_processor_mode: 1
  - .args:
      - .offset:         0
        .size:           112
        .value_kind:     by_value
    .group_segment_fixed_size: 0
    .kernarg_segment_align: 8
    .kernarg_segment_size: 112
    .language:       OpenCL C
    .language_version:
      - 2
      - 0
    .max_flat_workgroup_size: 256
    .name:           _ZN7rocprim17ROCPRIM_400000_NS6detail17trampoline_kernelINS0_14default_configENS1_27scan_by_key_config_selectorIj11FixedVectorIiLj1EEEEZZNS1_16scan_by_key_implILNS1_25lookback_scan_determinismE0ELb0ES3_N6thrust23THRUST_200600_302600_NS6detail15normal_iteratorINSB_10device_ptrIjEEEENSD_INSE_IS6_EEEESI_S6_NSB_4plusIvEENSB_8equal_toIvEES6_EE10hipError_tPvRmT2_T3_T4_T5_mT6_T7_P12ihipStream_tbENKUlT_T0_E_clISt17integral_constantIbLb1EES13_EEDaSY_SZ_EUlSY_E_NS1_11comp_targetILNS1_3genE3ELNS1_11target_archE908ELNS1_3gpuE7ELNS1_3repE0EEENS1_30default_config_static_selectorELNS0_4arch9wavefront6targetE0EEEvT1_
    .private_segment_fixed_size: 0
    .sgpr_count:     0
    .sgpr_spill_count: 0
    .symbol:         _ZN7rocprim17ROCPRIM_400000_NS6detail17trampoline_kernelINS0_14default_configENS1_27scan_by_key_config_selectorIj11FixedVectorIiLj1EEEEZZNS1_16scan_by_key_implILNS1_25lookback_scan_determinismE0ELb0ES3_N6thrust23THRUST_200600_302600_NS6detail15normal_iteratorINSB_10device_ptrIjEEEENSD_INSE_IS6_EEEESI_S6_NSB_4plusIvEENSB_8equal_toIvEES6_EE10hipError_tPvRmT2_T3_T4_T5_mT6_T7_P12ihipStream_tbENKUlT_T0_E_clISt17integral_constantIbLb1EES13_EEDaSY_SZ_EUlSY_E_NS1_11comp_targetILNS1_3genE3ELNS1_11target_archE908ELNS1_3gpuE7ELNS1_3repE0EEENS1_30default_config_static_selectorELNS0_4arch9wavefront6targetE0EEEvT1_.kd
    .uniform_work_group_size: 1
    .uses_dynamic_stack: false
    .vgpr_count:     0
    .vgpr_spill_count: 0
    .wavefront_size: 32
    .workgroup_processor_mode: 1
  - .args:
      - .offset:         0
        .size:           112
        .value_kind:     by_value
    .group_segment_fixed_size: 0
    .kernarg_segment_align: 8
    .kernarg_segment_size: 112
    .language:       OpenCL C
    .language_version:
      - 2
      - 0
    .max_flat_workgroup_size: 256
    .name:           _ZN7rocprim17ROCPRIM_400000_NS6detail17trampoline_kernelINS0_14default_configENS1_27scan_by_key_config_selectorIj11FixedVectorIiLj1EEEEZZNS1_16scan_by_key_implILNS1_25lookback_scan_determinismE0ELb0ES3_N6thrust23THRUST_200600_302600_NS6detail15normal_iteratorINSB_10device_ptrIjEEEENSD_INSE_IS6_EEEESI_S6_NSB_4plusIvEENSB_8equal_toIvEES6_EE10hipError_tPvRmT2_T3_T4_T5_mT6_T7_P12ihipStream_tbENKUlT_T0_E_clISt17integral_constantIbLb1EES13_EEDaSY_SZ_EUlSY_E_NS1_11comp_targetILNS1_3genE2ELNS1_11target_archE906ELNS1_3gpuE6ELNS1_3repE0EEENS1_30default_config_static_selectorELNS0_4arch9wavefront6targetE0EEEvT1_
    .private_segment_fixed_size: 0
    .sgpr_count:     0
    .sgpr_spill_count: 0
    .symbol:         _ZN7rocprim17ROCPRIM_400000_NS6detail17trampoline_kernelINS0_14default_configENS1_27scan_by_key_config_selectorIj11FixedVectorIiLj1EEEEZZNS1_16scan_by_key_implILNS1_25lookback_scan_determinismE0ELb0ES3_N6thrust23THRUST_200600_302600_NS6detail15normal_iteratorINSB_10device_ptrIjEEEENSD_INSE_IS6_EEEESI_S6_NSB_4plusIvEENSB_8equal_toIvEES6_EE10hipError_tPvRmT2_T3_T4_T5_mT6_T7_P12ihipStream_tbENKUlT_T0_E_clISt17integral_constantIbLb1EES13_EEDaSY_SZ_EUlSY_E_NS1_11comp_targetILNS1_3genE2ELNS1_11target_archE906ELNS1_3gpuE6ELNS1_3repE0EEENS1_30default_config_static_selectorELNS0_4arch9wavefront6targetE0EEEvT1_.kd
    .uniform_work_group_size: 1
    .uses_dynamic_stack: false
    .vgpr_count:     0
    .vgpr_spill_count: 0
    .wavefront_size: 32
    .workgroup_processor_mode: 1
  - .args:
      - .offset:         0
        .size:           112
        .value_kind:     by_value
    .group_segment_fixed_size: 0
    .kernarg_segment_align: 8
    .kernarg_segment_size: 112
    .language:       OpenCL C
    .language_version:
      - 2
      - 0
    .max_flat_workgroup_size: 256
    .name:           _ZN7rocprim17ROCPRIM_400000_NS6detail17trampoline_kernelINS0_14default_configENS1_27scan_by_key_config_selectorIj11FixedVectorIiLj1EEEEZZNS1_16scan_by_key_implILNS1_25lookback_scan_determinismE0ELb0ES3_N6thrust23THRUST_200600_302600_NS6detail15normal_iteratorINSB_10device_ptrIjEEEENSD_INSE_IS6_EEEESI_S6_NSB_4plusIvEENSB_8equal_toIvEES6_EE10hipError_tPvRmT2_T3_T4_T5_mT6_T7_P12ihipStream_tbENKUlT_T0_E_clISt17integral_constantIbLb1EES13_EEDaSY_SZ_EUlSY_E_NS1_11comp_targetILNS1_3genE10ELNS1_11target_archE1200ELNS1_3gpuE4ELNS1_3repE0EEENS1_30default_config_static_selectorELNS0_4arch9wavefront6targetE0EEEvT1_
    .private_segment_fixed_size: 0
    .sgpr_count:     0
    .sgpr_spill_count: 0
    .symbol:         _ZN7rocprim17ROCPRIM_400000_NS6detail17trampoline_kernelINS0_14default_configENS1_27scan_by_key_config_selectorIj11FixedVectorIiLj1EEEEZZNS1_16scan_by_key_implILNS1_25lookback_scan_determinismE0ELb0ES3_N6thrust23THRUST_200600_302600_NS6detail15normal_iteratorINSB_10device_ptrIjEEEENSD_INSE_IS6_EEEESI_S6_NSB_4plusIvEENSB_8equal_toIvEES6_EE10hipError_tPvRmT2_T3_T4_T5_mT6_T7_P12ihipStream_tbENKUlT_T0_E_clISt17integral_constantIbLb1EES13_EEDaSY_SZ_EUlSY_E_NS1_11comp_targetILNS1_3genE10ELNS1_11target_archE1200ELNS1_3gpuE4ELNS1_3repE0EEENS1_30default_config_static_selectorELNS0_4arch9wavefront6targetE0EEEvT1_.kd
    .uniform_work_group_size: 1
    .uses_dynamic_stack: false
    .vgpr_count:     0
    .vgpr_spill_count: 0
    .wavefront_size: 32
    .workgroup_processor_mode: 1
  - .args:
      - .offset:         0
        .size:           112
        .value_kind:     by_value
    .group_segment_fixed_size: 0
    .kernarg_segment_align: 8
    .kernarg_segment_size: 112
    .language:       OpenCL C
    .language_version:
      - 2
      - 0
    .max_flat_workgroup_size: 256
    .name:           _ZN7rocprim17ROCPRIM_400000_NS6detail17trampoline_kernelINS0_14default_configENS1_27scan_by_key_config_selectorIj11FixedVectorIiLj1EEEEZZNS1_16scan_by_key_implILNS1_25lookback_scan_determinismE0ELb0ES3_N6thrust23THRUST_200600_302600_NS6detail15normal_iteratorINSB_10device_ptrIjEEEENSD_INSE_IS6_EEEESI_S6_NSB_4plusIvEENSB_8equal_toIvEES6_EE10hipError_tPvRmT2_T3_T4_T5_mT6_T7_P12ihipStream_tbENKUlT_T0_E_clISt17integral_constantIbLb1EES13_EEDaSY_SZ_EUlSY_E_NS1_11comp_targetILNS1_3genE9ELNS1_11target_archE1100ELNS1_3gpuE3ELNS1_3repE0EEENS1_30default_config_static_selectorELNS0_4arch9wavefront6targetE0EEEvT1_
    .private_segment_fixed_size: 0
    .sgpr_count:     0
    .sgpr_spill_count: 0
    .symbol:         _ZN7rocprim17ROCPRIM_400000_NS6detail17trampoline_kernelINS0_14default_configENS1_27scan_by_key_config_selectorIj11FixedVectorIiLj1EEEEZZNS1_16scan_by_key_implILNS1_25lookback_scan_determinismE0ELb0ES3_N6thrust23THRUST_200600_302600_NS6detail15normal_iteratorINSB_10device_ptrIjEEEENSD_INSE_IS6_EEEESI_S6_NSB_4plusIvEENSB_8equal_toIvEES6_EE10hipError_tPvRmT2_T3_T4_T5_mT6_T7_P12ihipStream_tbENKUlT_T0_E_clISt17integral_constantIbLb1EES13_EEDaSY_SZ_EUlSY_E_NS1_11comp_targetILNS1_3genE9ELNS1_11target_archE1100ELNS1_3gpuE3ELNS1_3repE0EEENS1_30default_config_static_selectorELNS0_4arch9wavefront6targetE0EEEvT1_.kd
    .uniform_work_group_size: 1
    .uses_dynamic_stack: false
    .vgpr_count:     0
    .vgpr_spill_count: 0
    .wavefront_size: 32
    .workgroup_processor_mode: 1
  - .args:
      - .offset:         0
        .size:           112
        .value_kind:     by_value
    .group_segment_fixed_size: 0
    .kernarg_segment_align: 8
    .kernarg_segment_size: 112
    .language:       OpenCL C
    .language_version:
      - 2
      - 0
    .max_flat_workgroup_size: 256
    .name:           _ZN7rocprim17ROCPRIM_400000_NS6detail17trampoline_kernelINS0_14default_configENS1_27scan_by_key_config_selectorIj11FixedVectorIiLj1EEEEZZNS1_16scan_by_key_implILNS1_25lookback_scan_determinismE0ELb0ES3_N6thrust23THRUST_200600_302600_NS6detail15normal_iteratorINSB_10device_ptrIjEEEENSD_INSE_IS6_EEEESI_S6_NSB_4plusIvEENSB_8equal_toIvEES6_EE10hipError_tPvRmT2_T3_T4_T5_mT6_T7_P12ihipStream_tbENKUlT_T0_E_clISt17integral_constantIbLb1EES13_EEDaSY_SZ_EUlSY_E_NS1_11comp_targetILNS1_3genE8ELNS1_11target_archE1030ELNS1_3gpuE2ELNS1_3repE0EEENS1_30default_config_static_selectorELNS0_4arch9wavefront6targetE0EEEvT1_
    .private_segment_fixed_size: 0
    .sgpr_count:     0
    .sgpr_spill_count: 0
    .symbol:         _ZN7rocprim17ROCPRIM_400000_NS6detail17trampoline_kernelINS0_14default_configENS1_27scan_by_key_config_selectorIj11FixedVectorIiLj1EEEEZZNS1_16scan_by_key_implILNS1_25lookback_scan_determinismE0ELb0ES3_N6thrust23THRUST_200600_302600_NS6detail15normal_iteratorINSB_10device_ptrIjEEEENSD_INSE_IS6_EEEESI_S6_NSB_4plusIvEENSB_8equal_toIvEES6_EE10hipError_tPvRmT2_T3_T4_T5_mT6_T7_P12ihipStream_tbENKUlT_T0_E_clISt17integral_constantIbLb1EES13_EEDaSY_SZ_EUlSY_E_NS1_11comp_targetILNS1_3genE8ELNS1_11target_archE1030ELNS1_3gpuE2ELNS1_3repE0EEENS1_30default_config_static_selectorELNS0_4arch9wavefront6targetE0EEEvT1_.kd
    .uniform_work_group_size: 1
    .uses_dynamic_stack: false
    .vgpr_count:     0
    .vgpr_spill_count: 0
    .wavefront_size: 32
    .workgroup_processor_mode: 1
  - .args:
      - .address_space:  global
        .offset:         0
        .size:           8
        .value_kind:     global_buffer
      - .offset:         8
        .size:           4
        .value_kind:     by_value
      - .offset:         12
        .size:           4
        .value_kind:     by_value
      - .address_space:  global
        .offset:         16
        .size:           8
        .value_kind:     global_buffer
      - .address_space:  global
        .offset:         24
        .size:           8
        .value_kind:     global_buffer
      - .actual_access:  write_only
        .address_space:  global
        .offset:         32
        .size:           8
        .value_kind:     global_buffer
      - .offset:         40
        .size:           8
        .value_kind:     by_value
      - .offset:         48
        .size:           4
        .value_kind:     by_value
      - .offset:         52
        .size:           1
        .value_kind:     by_value
      - .offset:         56
        .size:           4
        .value_kind:     hidden_block_count_x
      - .offset:         60
        .size:           4
        .value_kind:     hidden_block_count_y
      - .offset:         64
        .size:           4
        .value_kind:     hidden_block_count_z
      - .offset:         68
        .size:           2
        .value_kind:     hidden_group_size_x
      - .offset:         70
        .size:           2
        .value_kind:     hidden_group_size_y
      - .offset:         72
        .size:           2
        .value_kind:     hidden_group_size_z
      - .offset:         74
        .size:           2
        .value_kind:     hidden_remainder_x
      - .offset:         76
        .size:           2
        .value_kind:     hidden_remainder_y
      - .offset:         78
        .size:           2
        .value_kind:     hidden_remainder_z
      - .offset:         96
        .size:           8
        .value_kind:     hidden_global_offset_x
      - .offset:         104
        .size:           8
        .value_kind:     hidden_global_offset_y
      - .offset:         112
        .size:           8
        .value_kind:     hidden_global_offset_z
      - .offset:         120
        .size:           2
        .value_kind:     hidden_grid_dims
    .group_segment_fixed_size: 0
    .kernarg_segment_align: 8
    .kernarg_segment_size: 312
    .language:       OpenCL C
    .language_version:
      - 2
      - 0
    .max_flat_workgroup_size: 256
    .name:           _ZN7rocprim17ROCPRIM_400000_NS6detail30init_device_scan_by_key_kernelINS1_19lookback_scan_stateINS0_5tupleIJ11FixedVectorIiLj1EEbEEELb1ELb1EEEN6thrust23THRUST_200600_302600_NS6detail15normal_iteratorINSA_10device_ptrIjEEEEjNS1_16block_id_wrapperIjLb0EEEEEvT_jjPNSI_10value_typeET0_PNSt15iterator_traitsISL_E10value_typeEmT1_T2_
    .private_segment_fixed_size: 0
    .sgpr_count:     19
    .sgpr_spill_count: 0
    .symbol:         _ZN7rocprim17ROCPRIM_400000_NS6detail30init_device_scan_by_key_kernelINS1_19lookback_scan_stateINS0_5tupleIJ11FixedVectorIiLj1EEbEEELb1ELb1EEEN6thrust23THRUST_200600_302600_NS6detail15normal_iteratorINSA_10device_ptrIjEEEEjNS1_16block_id_wrapperIjLb0EEEEEvT_jjPNSI_10value_typeET0_PNSt15iterator_traitsISL_E10value_typeEmT1_T2_.kd
    .uniform_work_group_size: 1
    .uses_dynamic_stack: false
    .vgpr_count:     9
    .vgpr_spill_count: 0
    .wavefront_size: 32
    .workgroup_processor_mode: 1
  - .args:
      - .address_space:  global
        .offset:         0
        .size:           8
        .value_kind:     global_buffer
      - .offset:         8
        .size:           4
        .value_kind:     by_value
      - .offset:         12
        .size:           4
        .value_kind:     by_value
      - .address_space:  global
        .offset:         16
        .size:           8
        .value_kind:     global_buffer
      - .offset:         24
        .size:           1
        .value_kind:     by_value
      - .offset:         32
        .size:           4
        .value_kind:     hidden_block_count_x
      - .offset:         36
        .size:           4
        .value_kind:     hidden_block_count_y
      - .offset:         40
        .size:           4
        .value_kind:     hidden_block_count_z
      - .offset:         44
        .size:           2
        .value_kind:     hidden_group_size_x
      - .offset:         46
        .size:           2
        .value_kind:     hidden_group_size_y
      - .offset:         48
        .size:           2
        .value_kind:     hidden_group_size_z
      - .offset:         50
        .size:           2
        .value_kind:     hidden_remainder_x
      - .offset:         52
        .size:           2
        .value_kind:     hidden_remainder_y
      - .offset:         54
        .size:           2
        .value_kind:     hidden_remainder_z
      - .offset:         72
        .size:           8
        .value_kind:     hidden_global_offset_x
      - .offset:         80
        .size:           8
        .value_kind:     hidden_global_offset_y
      - .offset:         88
        .size:           8
        .value_kind:     hidden_global_offset_z
      - .offset:         96
        .size:           2
        .value_kind:     hidden_grid_dims
    .group_segment_fixed_size: 0
    .kernarg_segment_align: 8
    .kernarg_segment_size: 288
    .language:       OpenCL C
    .language_version:
      - 2
      - 0
    .max_flat_workgroup_size: 256
    .name:           _ZN7rocprim17ROCPRIM_400000_NS6detail30init_device_scan_by_key_kernelINS1_19lookback_scan_stateINS0_5tupleIJ11FixedVectorIiLj1EEbEEELb1ELb1EEENS1_16block_id_wrapperIjLb0EEEEEvT_jjPNSB_10value_typeET0_
    .private_segment_fixed_size: 0
    .sgpr_count:     12
    .sgpr_spill_count: 0
    .symbol:         _ZN7rocprim17ROCPRIM_400000_NS6detail30init_device_scan_by_key_kernelINS1_19lookback_scan_stateINS0_5tupleIJ11FixedVectorIiLj1EEbEEELb1ELb1EEENS1_16block_id_wrapperIjLb0EEEEEvT_jjPNSB_10value_typeET0_.kd
    .uniform_work_group_size: 1
    .uses_dynamic_stack: false
    .vgpr_count:     8
    .vgpr_spill_count: 0
    .wavefront_size: 32
    .workgroup_processor_mode: 1
  - .args:
      - .offset:         0
        .size:           112
        .value_kind:     by_value
    .group_segment_fixed_size: 0
    .kernarg_segment_align: 8
    .kernarg_segment_size: 112
    .language:       OpenCL C
    .language_version:
      - 2
      - 0
    .max_flat_workgroup_size: 256
    .name:           _ZN7rocprim17ROCPRIM_400000_NS6detail17trampoline_kernelINS0_14default_configENS1_27scan_by_key_config_selectorIj11FixedVectorIiLj1EEEEZZNS1_16scan_by_key_implILNS1_25lookback_scan_determinismE0ELb0ES3_N6thrust23THRUST_200600_302600_NS6detail15normal_iteratorINSB_10device_ptrIjEEEENSD_INSE_IS6_EEEESI_S6_NSB_4plusIvEENSB_8equal_toIvEES6_EE10hipError_tPvRmT2_T3_T4_T5_mT6_T7_P12ihipStream_tbENKUlT_T0_E_clISt17integral_constantIbLb1EES12_IbLb0EEEEDaSY_SZ_EUlSY_E_NS1_11comp_targetILNS1_3genE0ELNS1_11target_archE4294967295ELNS1_3gpuE0ELNS1_3repE0EEENS1_30default_config_static_selectorELNS0_4arch9wavefront6targetE0EEEvT1_
    .private_segment_fixed_size: 0
    .sgpr_count:     0
    .sgpr_spill_count: 0
    .symbol:         _ZN7rocprim17ROCPRIM_400000_NS6detail17trampoline_kernelINS0_14default_configENS1_27scan_by_key_config_selectorIj11FixedVectorIiLj1EEEEZZNS1_16scan_by_key_implILNS1_25lookback_scan_determinismE0ELb0ES3_N6thrust23THRUST_200600_302600_NS6detail15normal_iteratorINSB_10device_ptrIjEEEENSD_INSE_IS6_EEEESI_S6_NSB_4plusIvEENSB_8equal_toIvEES6_EE10hipError_tPvRmT2_T3_T4_T5_mT6_T7_P12ihipStream_tbENKUlT_T0_E_clISt17integral_constantIbLb1EES12_IbLb0EEEEDaSY_SZ_EUlSY_E_NS1_11comp_targetILNS1_3genE0ELNS1_11target_archE4294967295ELNS1_3gpuE0ELNS1_3repE0EEENS1_30default_config_static_selectorELNS0_4arch9wavefront6targetE0EEEvT1_.kd
    .uniform_work_group_size: 1
    .uses_dynamic_stack: false
    .vgpr_count:     0
    .vgpr_spill_count: 0
    .wavefront_size: 32
    .workgroup_processor_mode: 1
  - .args:
      - .offset:         0
        .size:           112
        .value_kind:     by_value
    .group_segment_fixed_size: 0
    .kernarg_segment_align: 8
    .kernarg_segment_size: 112
    .language:       OpenCL C
    .language_version:
      - 2
      - 0
    .max_flat_workgroup_size: 256
    .name:           _ZN7rocprim17ROCPRIM_400000_NS6detail17trampoline_kernelINS0_14default_configENS1_27scan_by_key_config_selectorIj11FixedVectorIiLj1EEEEZZNS1_16scan_by_key_implILNS1_25lookback_scan_determinismE0ELb0ES3_N6thrust23THRUST_200600_302600_NS6detail15normal_iteratorINSB_10device_ptrIjEEEENSD_INSE_IS6_EEEESI_S6_NSB_4plusIvEENSB_8equal_toIvEES6_EE10hipError_tPvRmT2_T3_T4_T5_mT6_T7_P12ihipStream_tbENKUlT_T0_E_clISt17integral_constantIbLb1EES12_IbLb0EEEEDaSY_SZ_EUlSY_E_NS1_11comp_targetILNS1_3genE10ELNS1_11target_archE1201ELNS1_3gpuE5ELNS1_3repE0EEENS1_30default_config_static_selectorELNS0_4arch9wavefront6targetE0EEEvT1_
    .private_segment_fixed_size: 0
    .sgpr_count:     0
    .sgpr_spill_count: 0
    .symbol:         _ZN7rocprim17ROCPRIM_400000_NS6detail17trampoline_kernelINS0_14default_configENS1_27scan_by_key_config_selectorIj11FixedVectorIiLj1EEEEZZNS1_16scan_by_key_implILNS1_25lookback_scan_determinismE0ELb0ES3_N6thrust23THRUST_200600_302600_NS6detail15normal_iteratorINSB_10device_ptrIjEEEENSD_INSE_IS6_EEEESI_S6_NSB_4plusIvEENSB_8equal_toIvEES6_EE10hipError_tPvRmT2_T3_T4_T5_mT6_T7_P12ihipStream_tbENKUlT_T0_E_clISt17integral_constantIbLb1EES12_IbLb0EEEEDaSY_SZ_EUlSY_E_NS1_11comp_targetILNS1_3genE10ELNS1_11target_archE1201ELNS1_3gpuE5ELNS1_3repE0EEENS1_30default_config_static_selectorELNS0_4arch9wavefront6targetE0EEEvT1_.kd
    .uniform_work_group_size: 1
    .uses_dynamic_stack: false
    .vgpr_count:     0
    .vgpr_spill_count: 0
    .wavefront_size: 32
    .workgroup_processor_mode: 1
  - .args:
      - .offset:         0
        .size:           112
        .value_kind:     by_value
    .group_segment_fixed_size: 0
    .kernarg_segment_align: 8
    .kernarg_segment_size: 112
    .language:       OpenCL C
    .language_version:
      - 2
      - 0
    .max_flat_workgroup_size: 256
    .name:           _ZN7rocprim17ROCPRIM_400000_NS6detail17trampoline_kernelINS0_14default_configENS1_27scan_by_key_config_selectorIj11FixedVectorIiLj1EEEEZZNS1_16scan_by_key_implILNS1_25lookback_scan_determinismE0ELb0ES3_N6thrust23THRUST_200600_302600_NS6detail15normal_iteratorINSB_10device_ptrIjEEEENSD_INSE_IS6_EEEESI_S6_NSB_4plusIvEENSB_8equal_toIvEES6_EE10hipError_tPvRmT2_T3_T4_T5_mT6_T7_P12ihipStream_tbENKUlT_T0_E_clISt17integral_constantIbLb1EES12_IbLb0EEEEDaSY_SZ_EUlSY_E_NS1_11comp_targetILNS1_3genE5ELNS1_11target_archE942ELNS1_3gpuE9ELNS1_3repE0EEENS1_30default_config_static_selectorELNS0_4arch9wavefront6targetE0EEEvT1_
    .private_segment_fixed_size: 0
    .sgpr_count:     0
    .sgpr_spill_count: 0
    .symbol:         _ZN7rocprim17ROCPRIM_400000_NS6detail17trampoline_kernelINS0_14default_configENS1_27scan_by_key_config_selectorIj11FixedVectorIiLj1EEEEZZNS1_16scan_by_key_implILNS1_25lookback_scan_determinismE0ELb0ES3_N6thrust23THRUST_200600_302600_NS6detail15normal_iteratorINSB_10device_ptrIjEEEENSD_INSE_IS6_EEEESI_S6_NSB_4plusIvEENSB_8equal_toIvEES6_EE10hipError_tPvRmT2_T3_T4_T5_mT6_T7_P12ihipStream_tbENKUlT_T0_E_clISt17integral_constantIbLb1EES12_IbLb0EEEEDaSY_SZ_EUlSY_E_NS1_11comp_targetILNS1_3genE5ELNS1_11target_archE942ELNS1_3gpuE9ELNS1_3repE0EEENS1_30default_config_static_selectorELNS0_4arch9wavefront6targetE0EEEvT1_.kd
    .uniform_work_group_size: 1
    .uses_dynamic_stack: false
    .vgpr_count:     0
    .vgpr_spill_count: 0
    .wavefront_size: 32
    .workgroup_processor_mode: 1
  - .args:
      - .offset:         0
        .size:           112
        .value_kind:     by_value
    .group_segment_fixed_size: 0
    .kernarg_segment_align: 8
    .kernarg_segment_size: 112
    .language:       OpenCL C
    .language_version:
      - 2
      - 0
    .max_flat_workgroup_size: 256
    .name:           _ZN7rocprim17ROCPRIM_400000_NS6detail17trampoline_kernelINS0_14default_configENS1_27scan_by_key_config_selectorIj11FixedVectorIiLj1EEEEZZNS1_16scan_by_key_implILNS1_25lookback_scan_determinismE0ELb0ES3_N6thrust23THRUST_200600_302600_NS6detail15normal_iteratorINSB_10device_ptrIjEEEENSD_INSE_IS6_EEEESI_S6_NSB_4plusIvEENSB_8equal_toIvEES6_EE10hipError_tPvRmT2_T3_T4_T5_mT6_T7_P12ihipStream_tbENKUlT_T0_E_clISt17integral_constantIbLb1EES12_IbLb0EEEEDaSY_SZ_EUlSY_E_NS1_11comp_targetILNS1_3genE4ELNS1_11target_archE910ELNS1_3gpuE8ELNS1_3repE0EEENS1_30default_config_static_selectorELNS0_4arch9wavefront6targetE0EEEvT1_
    .private_segment_fixed_size: 0
    .sgpr_count:     0
    .sgpr_spill_count: 0
    .symbol:         _ZN7rocprim17ROCPRIM_400000_NS6detail17trampoline_kernelINS0_14default_configENS1_27scan_by_key_config_selectorIj11FixedVectorIiLj1EEEEZZNS1_16scan_by_key_implILNS1_25lookback_scan_determinismE0ELb0ES3_N6thrust23THRUST_200600_302600_NS6detail15normal_iteratorINSB_10device_ptrIjEEEENSD_INSE_IS6_EEEESI_S6_NSB_4plusIvEENSB_8equal_toIvEES6_EE10hipError_tPvRmT2_T3_T4_T5_mT6_T7_P12ihipStream_tbENKUlT_T0_E_clISt17integral_constantIbLb1EES12_IbLb0EEEEDaSY_SZ_EUlSY_E_NS1_11comp_targetILNS1_3genE4ELNS1_11target_archE910ELNS1_3gpuE8ELNS1_3repE0EEENS1_30default_config_static_selectorELNS0_4arch9wavefront6targetE0EEEvT1_.kd
    .uniform_work_group_size: 1
    .uses_dynamic_stack: false
    .vgpr_count:     0
    .vgpr_spill_count: 0
    .wavefront_size: 32
    .workgroup_processor_mode: 1
  - .args:
      - .offset:         0
        .size:           112
        .value_kind:     by_value
    .group_segment_fixed_size: 0
    .kernarg_segment_align: 8
    .kernarg_segment_size: 112
    .language:       OpenCL C
    .language_version:
      - 2
      - 0
    .max_flat_workgroup_size: 256
    .name:           _ZN7rocprim17ROCPRIM_400000_NS6detail17trampoline_kernelINS0_14default_configENS1_27scan_by_key_config_selectorIj11FixedVectorIiLj1EEEEZZNS1_16scan_by_key_implILNS1_25lookback_scan_determinismE0ELb0ES3_N6thrust23THRUST_200600_302600_NS6detail15normal_iteratorINSB_10device_ptrIjEEEENSD_INSE_IS6_EEEESI_S6_NSB_4plusIvEENSB_8equal_toIvEES6_EE10hipError_tPvRmT2_T3_T4_T5_mT6_T7_P12ihipStream_tbENKUlT_T0_E_clISt17integral_constantIbLb1EES12_IbLb0EEEEDaSY_SZ_EUlSY_E_NS1_11comp_targetILNS1_3genE3ELNS1_11target_archE908ELNS1_3gpuE7ELNS1_3repE0EEENS1_30default_config_static_selectorELNS0_4arch9wavefront6targetE0EEEvT1_
    .private_segment_fixed_size: 0
    .sgpr_count:     0
    .sgpr_spill_count: 0
    .symbol:         _ZN7rocprim17ROCPRIM_400000_NS6detail17trampoline_kernelINS0_14default_configENS1_27scan_by_key_config_selectorIj11FixedVectorIiLj1EEEEZZNS1_16scan_by_key_implILNS1_25lookback_scan_determinismE0ELb0ES3_N6thrust23THRUST_200600_302600_NS6detail15normal_iteratorINSB_10device_ptrIjEEEENSD_INSE_IS6_EEEESI_S6_NSB_4plusIvEENSB_8equal_toIvEES6_EE10hipError_tPvRmT2_T3_T4_T5_mT6_T7_P12ihipStream_tbENKUlT_T0_E_clISt17integral_constantIbLb1EES12_IbLb0EEEEDaSY_SZ_EUlSY_E_NS1_11comp_targetILNS1_3genE3ELNS1_11target_archE908ELNS1_3gpuE7ELNS1_3repE0EEENS1_30default_config_static_selectorELNS0_4arch9wavefront6targetE0EEEvT1_.kd
    .uniform_work_group_size: 1
    .uses_dynamic_stack: false
    .vgpr_count:     0
    .vgpr_spill_count: 0
    .wavefront_size: 32
    .workgroup_processor_mode: 1
  - .args:
      - .offset:         0
        .size:           112
        .value_kind:     by_value
    .group_segment_fixed_size: 0
    .kernarg_segment_align: 8
    .kernarg_segment_size: 112
    .language:       OpenCL C
    .language_version:
      - 2
      - 0
    .max_flat_workgroup_size: 256
    .name:           _ZN7rocprim17ROCPRIM_400000_NS6detail17trampoline_kernelINS0_14default_configENS1_27scan_by_key_config_selectorIj11FixedVectorIiLj1EEEEZZNS1_16scan_by_key_implILNS1_25lookback_scan_determinismE0ELb0ES3_N6thrust23THRUST_200600_302600_NS6detail15normal_iteratorINSB_10device_ptrIjEEEENSD_INSE_IS6_EEEESI_S6_NSB_4plusIvEENSB_8equal_toIvEES6_EE10hipError_tPvRmT2_T3_T4_T5_mT6_T7_P12ihipStream_tbENKUlT_T0_E_clISt17integral_constantIbLb1EES12_IbLb0EEEEDaSY_SZ_EUlSY_E_NS1_11comp_targetILNS1_3genE2ELNS1_11target_archE906ELNS1_3gpuE6ELNS1_3repE0EEENS1_30default_config_static_selectorELNS0_4arch9wavefront6targetE0EEEvT1_
    .private_segment_fixed_size: 0
    .sgpr_count:     0
    .sgpr_spill_count: 0
    .symbol:         _ZN7rocprim17ROCPRIM_400000_NS6detail17trampoline_kernelINS0_14default_configENS1_27scan_by_key_config_selectorIj11FixedVectorIiLj1EEEEZZNS1_16scan_by_key_implILNS1_25lookback_scan_determinismE0ELb0ES3_N6thrust23THRUST_200600_302600_NS6detail15normal_iteratorINSB_10device_ptrIjEEEENSD_INSE_IS6_EEEESI_S6_NSB_4plusIvEENSB_8equal_toIvEES6_EE10hipError_tPvRmT2_T3_T4_T5_mT6_T7_P12ihipStream_tbENKUlT_T0_E_clISt17integral_constantIbLb1EES12_IbLb0EEEEDaSY_SZ_EUlSY_E_NS1_11comp_targetILNS1_3genE2ELNS1_11target_archE906ELNS1_3gpuE6ELNS1_3repE0EEENS1_30default_config_static_selectorELNS0_4arch9wavefront6targetE0EEEvT1_.kd
    .uniform_work_group_size: 1
    .uses_dynamic_stack: false
    .vgpr_count:     0
    .vgpr_spill_count: 0
    .wavefront_size: 32
    .workgroup_processor_mode: 1
  - .args:
      - .offset:         0
        .size:           112
        .value_kind:     by_value
    .group_segment_fixed_size: 0
    .kernarg_segment_align: 8
    .kernarg_segment_size: 112
    .language:       OpenCL C
    .language_version:
      - 2
      - 0
    .max_flat_workgroup_size: 256
    .name:           _ZN7rocprim17ROCPRIM_400000_NS6detail17trampoline_kernelINS0_14default_configENS1_27scan_by_key_config_selectorIj11FixedVectorIiLj1EEEEZZNS1_16scan_by_key_implILNS1_25lookback_scan_determinismE0ELb0ES3_N6thrust23THRUST_200600_302600_NS6detail15normal_iteratorINSB_10device_ptrIjEEEENSD_INSE_IS6_EEEESI_S6_NSB_4plusIvEENSB_8equal_toIvEES6_EE10hipError_tPvRmT2_T3_T4_T5_mT6_T7_P12ihipStream_tbENKUlT_T0_E_clISt17integral_constantIbLb1EES12_IbLb0EEEEDaSY_SZ_EUlSY_E_NS1_11comp_targetILNS1_3genE10ELNS1_11target_archE1200ELNS1_3gpuE4ELNS1_3repE0EEENS1_30default_config_static_selectorELNS0_4arch9wavefront6targetE0EEEvT1_
    .private_segment_fixed_size: 0
    .sgpr_count:     0
    .sgpr_spill_count: 0
    .symbol:         _ZN7rocprim17ROCPRIM_400000_NS6detail17trampoline_kernelINS0_14default_configENS1_27scan_by_key_config_selectorIj11FixedVectorIiLj1EEEEZZNS1_16scan_by_key_implILNS1_25lookback_scan_determinismE0ELb0ES3_N6thrust23THRUST_200600_302600_NS6detail15normal_iteratorINSB_10device_ptrIjEEEENSD_INSE_IS6_EEEESI_S6_NSB_4plusIvEENSB_8equal_toIvEES6_EE10hipError_tPvRmT2_T3_T4_T5_mT6_T7_P12ihipStream_tbENKUlT_T0_E_clISt17integral_constantIbLb1EES12_IbLb0EEEEDaSY_SZ_EUlSY_E_NS1_11comp_targetILNS1_3genE10ELNS1_11target_archE1200ELNS1_3gpuE4ELNS1_3repE0EEENS1_30default_config_static_selectorELNS0_4arch9wavefront6targetE0EEEvT1_.kd
    .uniform_work_group_size: 1
    .uses_dynamic_stack: false
    .vgpr_count:     0
    .vgpr_spill_count: 0
    .wavefront_size: 32
    .workgroup_processor_mode: 1
  - .args:
      - .offset:         0
        .size:           112
        .value_kind:     by_value
    .group_segment_fixed_size: 0
    .kernarg_segment_align: 8
    .kernarg_segment_size: 112
    .language:       OpenCL C
    .language_version:
      - 2
      - 0
    .max_flat_workgroup_size: 256
    .name:           _ZN7rocprim17ROCPRIM_400000_NS6detail17trampoline_kernelINS0_14default_configENS1_27scan_by_key_config_selectorIj11FixedVectorIiLj1EEEEZZNS1_16scan_by_key_implILNS1_25lookback_scan_determinismE0ELb0ES3_N6thrust23THRUST_200600_302600_NS6detail15normal_iteratorINSB_10device_ptrIjEEEENSD_INSE_IS6_EEEESI_S6_NSB_4plusIvEENSB_8equal_toIvEES6_EE10hipError_tPvRmT2_T3_T4_T5_mT6_T7_P12ihipStream_tbENKUlT_T0_E_clISt17integral_constantIbLb1EES12_IbLb0EEEEDaSY_SZ_EUlSY_E_NS1_11comp_targetILNS1_3genE9ELNS1_11target_archE1100ELNS1_3gpuE3ELNS1_3repE0EEENS1_30default_config_static_selectorELNS0_4arch9wavefront6targetE0EEEvT1_
    .private_segment_fixed_size: 0
    .sgpr_count:     0
    .sgpr_spill_count: 0
    .symbol:         _ZN7rocprim17ROCPRIM_400000_NS6detail17trampoline_kernelINS0_14default_configENS1_27scan_by_key_config_selectorIj11FixedVectorIiLj1EEEEZZNS1_16scan_by_key_implILNS1_25lookback_scan_determinismE0ELb0ES3_N6thrust23THRUST_200600_302600_NS6detail15normal_iteratorINSB_10device_ptrIjEEEENSD_INSE_IS6_EEEESI_S6_NSB_4plusIvEENSB_8equal_toIvEES6_EE10hipError_tPvRmT2_T3_T4_T5_mT6_T7_P12ihipStream_tbENKUlT_T0_E_clISt17integral_constantIbLb1EES12_IbLb0EEEEDaSY_SZ_EUlSY_E_NS1_11comp_targetILNS1_3genE9ELNS1_11target_archE1100ELNS1_3gpuE3ELNS1_3repE0EEENS1_30default_config_static_selectorELNS0_4arch9wavefront6targetE0EEEvT1_.kd
    .uniform_work_group_size: 1
    .uses_dynamic_stack: false
    .vgpr_count:     0
    .vgpr_spill_count: 0
    .wavefront_size: 32
    .workgroup_processor_mode: 1
  - .args:
      - .offset:         0
        .size:           112
        .value_kind:     by_value
    .group_segment_fixed_size: 0
    .kernarg_segment_align: 8
    .kernarg_segment_size: 112
    .language:       OpenCL C
    .language_version:
      - 2
      - 0
    .max_flat_workgroup_size: 256
    .name:           _ZN7rocprim17ROCPRIM_400000_NS6detail17trampoline_kernelINS0_14default_configENS1_27scan_by_key_config_selectorIj11FixedVectorIiLj1EEEEZZNS1_16scan_by_key_implILNS1_25lookback_scan_determinismE0ELb0ES3_N6thrust23THRUST_200600_302600_NS6detail15normal_iteratorINSB_10device_ptrIjEEEENSD_INSE_IS6_EEEESI_S6_NSB_4plusIvEENSB_8equal_toIvEES6_EE10hipError_tPvRmT2_T3_T4_T5_mT6_T7_P12ihipStream_tbENKUlT_T0_E_clISt17integral_constantIbLb1EES12_IbLb0EEEEDaSY_SZ_EUlSY_E_NS1_11comp_targetILNS1_3genE8ELNS1_11target_archE1030ELNS1_3gpuE2ELNS1_3repE0EEENS1_30default_config_static_selectorELNS0_4arch9wavefront6targetE0EEEvT1_
    .private_segment_fixed_size: 0
    .sgpr_count:     0
    .sgpr_spill_count: 0
    .symbol:         _ZN7rocprim17ROCPRIM_400000_NS6detail17trampoline_kernelINS0_14default_configENS1_27scan_by_key_config_selectorIj11FixedVectorIiLj1EEEEZZNS1_16scan_by_key_implILNS1_25lookback_scan_determinismE0ELb0ES3_N6thrust23THRUST_200600_302600_NS6detail15normal_iteratorINSB_10device_ptrIjEEEENSD_INSE_IS6_EEEESI_S6_NSB_4plusIvEENSB_8equal_toIvEES6_EE10hipError_tPvRmT2_T3_T4_T5_mT6_T7_P12ihipStream_tbENKUlT_T0_E_clISt17integral_constantIbLb1EES12_IbLb0EEEEDaSY_SZ_EUlSY_E_NS1_11comp_targetILNS1_3genE8ELNS1_11target_archE1030ELNS1_3gpuE2ELNS1_3repE0EEENS1_30default_config_static_selectorELNS0_4arch9wavefront6targetE0EEEvT1_.kd
    .uniform_work_group_size: 1
    .uses_dynamic_stack: false
    .vgpr_count:     0
    .vgpr_spill_count: 0
    .wavefront_size: 32
    .workgroup_processor_mode: 1
  - .args:
      - .address_space:  global
        .offset:         0
        .size:           8
        .value_kind:     global_buffer
      - .offset:         8
        .size:           4
        .value_kind:     by_value
      - .offset:         12
        .size:           4
        .value_kind:     by_value
      - .address_space:  global
        .offset:         16
        .size:           8
        .value_kind:     global_buffer
      - .address_space:  global
        .offset:         24
        .size:           8
        .value_kind:     global_buffer
      - .actual_access:  write_only
        .address_space:  global
        .offset:         32
        .size:           8
        .value_kind:     global_buffer
      - .offset:         40
        .size:           8
        .value_kind:     by_value
      - .offset:         48
        .size:           4
        .value_kind:     by_value
      - .address_space:  global
        .offset:         56
        .size:           8
        .value_kind:     global_buffer
      - .offset:         64
        .size:           4
        .value_kind:     hidden_block_count_x
      - .offset:         68
        .size:           4
        .value_kind:     hidden_block_count_y
      - .offset:         72
        .size:           4
        .value_kind:     hidden_block_count_z
      - .offset:         76
        .size:           2
        .value_kind:     hidden_group_size_x
      - .offset:         78
        .size:           2
        .value_kind:     hidden_group_size_y
      - .offset:         80
        .size:           2
        .value_kind:     hidden_group_size_z
      - .offset:         82
        .size:           2
        .value_kind:     hidden_remainder_x
      - .offset:         84
        .size:           2
        .value_kind:     hidden_remainder_y
      - .offset:         86
        .size:           2
        .value_kind:     hidden_remainder_z
      - .offset:         104
        .size:           8
        .value_kind:     hidden_global_offset_x
      - .offset:         112
        .size:           8
        .value_kind:     hidden_global_offset_y
      - .offset:         120
        .size:           8
        .value_kind:     hidden_global_offset_z
      - .offset:         128
        .size:           2
        .value_kind:     hidden_grid_dims
    .group_segment_fixed_size: 0
    .kernarg_segment_align: 8
    .kernarg_segment_size: 320
    .language:       OpenCL C
    .language_version:
      - 2
      - 0
    .max_flat_workgroup_size: 256
    .name:           _ZN7rocprim17ROCPRIM_400000_NS6detail30init_device_scan_by_key_kernelINS1_19lookback_scan_stateINS0_5tupleIJ11FixedVectorIiLj1EEbEEELb0ELb1EEEN6thrust23THRUST_200600_302600_NS6detail15normal_iteratorINSA_10device_ptrIjEEEEjNS1_16block_id_wrapperIjLb1EEEEEvT_jjPNSI_10value_typeET0_PNSt15iterator_traitsISL_E10value_typeEmT1_T2_
    .private_segment_fixed_size: 0
    .sgpr_count:     19
    .sgpr_spill_count: 0
    .symbol:         _ZN7rocprim17ROCPRIM_400000_NS6detail30init_device_scan_by_key_kernelINS1_19lookback_scan_stateINS0_5tupleIJ11FixedVectorIiLj1EEbEEELb0ELb1EEEN6thrust23THRUST_200600_302600_NS6detail15normal_iteratorINSA_10device_ptrIjEEEEjNS1_16block_id_wrapperIjLb1EEEEEvT_jjPNSI_10value_typeET0_PNSt15iterator_traitsISL_E10value_typeEmT1_T2_.kd
    .uniform_work_group_size: 1
    .uses_dynamic_stack: false
    .vgpr_count:     9
    .vgpr_spill_count: 0
    .wavefront_size: 32
    .workgroup_processor_mode: 1
  - .args:
      - .address_space:  global
        .offset:         0
        .size:           8
        .value_kind:     global_buffer
      - .offset:         8
        .size:           4
        .value_kind:     by_value
      - .offset:         12
        .size:           4
        .value_kind:     by_value
      - .address_space:  global
        .offset:         16
        .size:           8
        .value_kind:     global_buffer
      - .address_space:  global
        .offset:         24
        .size:           8
        .value_kind:     global_buffer
      - .offset:         32
        .size:           4
        .value_kind:     hidden_block_count_x
      - .offset:         36
        .size:           4
        .value_kind:     hidden_block_count_y
      - .offset:         40
        .size:           4
        .value_kind:     hidden_block_count_z
      - .offset:         44
        .size:           2
        .value_kind:     hidden_group_size_x
      - .offset:         46
        .size:           2
        .value_kind:     hidden_group_size_y
      - .offset:         48
        .size:           2
        .value_kind:     hidden_group_size_z
      - .offset:         50
        .size:           2
        .value_kind:     hidden_remainder_x
      - .offset:         52
        .size:           2
        .value_kind:     hidden_remainder_y
      - .offset:         54
        .size:           2
        .value_kind:     hidden_remainder_z
      - .offset:         72
        .size:           8
        .value_kind:     hidden_global_offset_x
      - .offset:         80
        .size:           8
        .value_kind:     hidden_global_offset_y
      - .offset:         88
        .size:           8
        .value_kind:     hidden_global_offset_z
      - .offset:         96
        .size:           2
        .value_kind:     hidden_grid_dims
    .group_segment_fixed_size: 0
    .kernarg_segment_align: 8
    .kernarg_segment_size: 288
    .language:       OpenCL C
    .language_version:
      - 2
      - 0
    .max_flat_workgroup_size: 256
    .name:           _ZN7rocprim17ROCPRIM_400000_NS6detail30init_device_scan_by_key_kernelINS1_19lookback_scan_stateINS0_5tupleIJ11FixedVectorIiLj1EEbEEELb0ELb1EEENS1_16block_id_wrapperIjLb1EEEEEvT_jjPNSB_10value_typeET0_
    .private_segment_fixed_size: 0
    .sgpr_count:     18
    .sgpr_spill_count: 0
    .symbol:         _ZN7rocprim17ROCPRIM_400000_NS6detail30init_device_scan_by_key_kernelINS1_19lookback_scan_stateINS0_5tupleIJ11FixedVectorIiLj1EEbEEELb0ELb1EEENS1_16block_id_wrapperIjLb1EEEEEvT_jjPNSB_10value_typeET0_.kd
    .uniform_work_group_size: 1
    .uses_dynamic_stack: false
    .vgpr_count:     8
    .vgpr_spill_count: 0
    .wavefront_size: 32
    .workgroup_processor_mode: 1
  - .args:
      - .offset:         0
        .size:           112
        .value_kind:     by_value
    .group_segment_fixed_size: 0
    .kernarg_segment_align: 8
    .kernarg_segment_size: 112
    .language:       OpenCL C
    .language_version:
      - 2
      - 0
    .max_flat_workgroup_size: 256
    .name:           _ZN7rocprim17ROCPRIM_400000_NS6detail17trampoline_kernelINS0_14default_configENS1_27scan_by_key_config_selectorIj11FixedVectorIiLj1EEEEZZNS1_16scan_by_key_implILNS1_25lookback_scan_determinismE0ELb0ES3_N6thrust23THRUST_200600_302600_NS6detail15normal_iteratorINSB_10device_ptrIjEEEENSD_INSE_IS6_EEEESI_S6_NSB_4plusIvEENSB_8equal_toIvEES6_EE10hipError_tPvRmT2_T3_T4_T5_mT6_T7_P12ihipStream_tbENKUlT_T0_E_clISt17integral_constantIbLb0EES12_IbLb1EEEEDaSY_SZ_EUlSY_E_NS1_11comp_targetILNS1_3genE0ELNS1_11target_archE4294967295ELNS1_3gpuE0ELNS1_3repE0EEENS1_30default_config_static_selectorELNS0_4arch9wavefront6targetE0EEEvT1_
    .private_segment_fixed_size: 0
    .sgpr_count:     0
    .sgpr_spill_count: 0
    .symbol:         _ZN7rocprim17ROCPRIM_400000_NS6detail17trampoline_kernelINS0_14default_configENS1_27scan_by_key_config_selectorIj11FixedVectorIiLj1EEEEZZNS1_16scan_by_key_implILNS1_25lookback_scan_determinismE0ELb0ES3_N6thrust23THRUST_200600_302600_NS6detail15normal_iteratorINSB_10device_ptrIjEEEENSD_INSE_IS6_EEEESI_S6_NSB_4plusIvEENSB_8equal_toIvEES6_EE10hipError_tPvRmT2_T3_T4_T5_mT6_T7_P12ihipStream_tbENKUlT_T0_E_clISt17integral_constantIbLb0EES12_IbLb1EEEEDaSY_SZ_EUlSY_E_NS1_11comp_targetILNS1_3genE0ELNS1_11target_archE4294967295ELNS1_3gpuE0ELNS1_3repE0EEENS1_30default_config_static_selectorELNS0_4arch9wavefront6targetE0EEEvT1_.kd
    .uniform_work_group_size: 1
    .uses_dynamic_stack: false
    .vgpr_count:     0
    .vgpr_spill_count: 0
    .wavefront_size: 32
    .workgroup_processor_mode: 1
  - .args:
      - .offset:         0
        .size:           112
        .value_kind:     by_value
    .group_segment_fixed_size: 0
    .kernarg_segment_align: 8
    .kernarg_segment_size: 112
    .language:       OpenCL C
    .language_version:
      - 2
      - 0
    .max_flat_workgroup_size: 256
    .name:           _ZN7rocprim17ROCPRIM_400000_NS6detail17trampoline_kernelINS0_14default_configENS1_27scan_by_key_config_selectorIj11FixedVectorIiLj1EEEEZZNS1_16scan_by_key_implILNS1_25lookback_scan_determinismE0ELb0ES3_N6thrust23THRUST_200600_302600_NS6detail15normal_iteratorINSB_10device_ptrIjEEEENSD_INSE_IS6_EEEESI_S6_NSB_4plusIvEENSB_8equal_toIvEES6_EE10hipError_tPvRmT2_T3_T4_T5_mT6_T7_P12ihipStream_tbENKUlT_T0_E_clISt17integral_constantIbLb0EES12_IbLb1EEEEDaSY_SZ_EUlSY_E_NS1_11comp_targetILNS1_3genE10ELNS1_11target_archE1201ELNS1_3gpuE5ELNS1_3repE0EEENS1_30default_config_static_selectorELNS0_4arch9wavefront6targetE0EEEvT1_
    .private_segment_fixed_size: 0
    .sgpr_count:     0
    .sgpr_spill_count: 0
    .symbol:         _ZN7rocprim17ROCPRIM_400000_NS6detail17trampoline_kernelINS0_14default_configENS1_27scan_by_key_config_selectorIj11FixedVectorIiLj1EEEEZZNS1_16scan_by_key_implILNS1_25lookback_scan_determinismE0ELb0ES3_N6thrust23THRUST_200600_302600_NS6detail15normal_iteratorINSB_10device_ptrIjEEEENSD_INSE_IS6_EEEESI_S6_NSB_4plusIvEENSB_8equal_toIvEES6_EE10hipError_tPvRmT2_T3_T4_T5_mT6_T7_P12ihipStream_tbENKUlT_T0_E_clISt17integral_constantIbLb0EES12_IbLb1EEEEDaSY_SZ_EUlSY_E_NS1_11comp_targetILNS1_3genE10ELNS1_11target_archE1201ELNS1_3gpuE5ELNS1_3repE0EEENS1_30default_config_static_selectorELNS0_4arch9wavefront6targetE0EEEvT1_.kd
    .uniform_work_group_size: 1
    .uses_dynamic_stack: false
    .vgpr_count:     0
    .vgpr_spill_count: 0
    .wavefront_size: 32
    .workgroup_processor_mode: 1
  - .args:
      - .offset:         0
        .size:           112
        .value_kind:     by_value
    .group_segment_fixed_size: 0
    .kernarg_segment_align: 8
    .kernarg_segment_size: 112
    .language:       OpenCL C
    .language_version:
      - 2
      - 0
    .max_flat_workgroup_size: 256
    .name:           _ZN7rocprim17ROCPRIM_400000_NS6detail17trampoline_kernelINS0_14default_configENS1_27scan_by_key_config_selectorIj11FixedVectorIiLj1EEEEZZNS1_16scan_by_key_implILNS1_25lookback_scan_determinismE0ELb0ES3_N6thrust23THRUST_200600_302600_NS6detail15normal_iteratorINSB_10device_ptrIjEEEENSD_INSE_IS6_EEEESI_S6_NSB_4plusIvEENSB_8equal_toIvEES6_EE10hipError_tPvRmT2_T3_T4_T5_mT6_T7_P12ihipStream_tbENKUlT_T0_E_clISt17integral_constantIbLb0EES12_IbLb1EEEEDaSY_SZ_EUlSY_E_NS1_11comp_targetILNS1_3genE5ELNS1_11target_archE942ELNS1_3gpuE9ELNS1_3repE0EEENS1_30default_config_static_selectorELNS0_4arch9wavefront6targetE0EEEvT1_
    .private_segment_fixed_size: 0
    .sgpr_count:     0
    .sgpr_spill_count: 0
    .symbol:         _ZN7rocprim17ROCPRIM_400000_NS6detail17trampoline_kernelINS0_14default_configENS1_27scan_by_key_config_selectorIj11FixedVectorIiLj1EEEEZZNS1_16scan_by_key_implILNS1_25lookback_scan_determinismE0ELb0ES3_N6thrust23THRUST_200600_302600_NS6detail15normal_iteratorINSB_10device_ptrIjEEEENSD_INSE_IS6_EEEESI_S6_NSB_4plusIvEENSB_8equal_toIvEES6_EE10hipError_tPvRmT2_T3_T4_T5_mT6_T7_P12ihipStream_tbENKUlT_T0_E_clISt17integral_constantIbLb0EES12_IbLb1EEEEDaSY_SZ_EUlSY_E_NS1_11comp_targetILNS1_3genE5ELNS1_11target_archE942ELNS1_3gpuE9ELNS1_3repE0EEENS1_30default_config_static_selectorELNS0_4arch9wavefront6targetE0EEEvT1_.kd
    .uniform_work_group_size: 1
    .uses_dynamic_stack: false
    .vgpr_count:     0
    .vgpr_spill_count: 0
    .wavefront_size: 32
    .workgroup_processor_mode: 1
  - .args:
      - .offset:         0
        .size:           112
        .value_kind:     by_value
    .group_segment_fixed_size: 0
    .kernarg_segment_align: 8
    .kernarg_segment_size: 112
    .language:       OpenCL C
    .language_version:
      - 2
      - 0
    .max_flat_workgroup_size: 256
    .name:           _ZN7rocprim17ROCPRIM_400000_NS6detail17trampoline_kernelINS0_14default_configENS1_27scan_by_key_config_selectorIj11FixedVectorIiLj1EEEEZZNS1_16scan_by_key_implILNS1_25lookback_scan_determinismE0ELb0ES3_N6thrust23THRUST_200600_302600_NS6detail15normal_iteratorINSB_10device_ptrIjEEEENSD_INSE_IS6_EEEESI_S6_NSB_4plusIvEENSB_8equal_toIvEES6_EE10hipError_tPvRmT2_T3_T4_T5_mT6_T7_P12ihipStream_tbENKUlT_T0_E_clISt17integral_constantIbLb0EES12_IbLb1EEEEDaSY_SZ_EUlSY_E_NS1_11comp_targetILNS1_3genE4ELNS1_11target_archE910ELNS1_3gpuE8ELNS1_3repE0EEENS1_30default_config_static_selectorELNS0_4arch9wavefront6targetE0EEEvT1_
    .private_segment_fixed_size: 0
    .sgpr_count:     0
    .sgpr_spill_count: 0
    .symbol:         _ZN7rocprim17ROCPRIM_400000_NS6detail17trampoline_kernelINS0_14default_configENS1_27scan_by_key_config_selectorIj11FixedVectorIiLj1EEEEZZNS1_16scan_by_key_implILNS1_25lookback_scan_determinismE0ELb0ES3_N6thrust23THRUST_200600_302600_NS6detail15normal_iteratorINSB_10device_ptrIjEEEENSD_INSE_IS6_EEEESI_S6_NSB_4plusIvEENSB_8equal_toIvEES6_EE10hipError_tPvRmT2_T3_T4_T5_mT6_T7_P12ihipStream_tbENKUlT_T0_E_clISt17integral_constantIbLb0EES12_IbLb1EEEEDaSY_SZ_EUlSY_E_NS1_11comp_targetILNS1_3genE4ELNS1_11target_archE910ELNS1_3gpuE8ELNS1_3repE0EEENS1_30default_config_static_selectorELNS0_4arch9wavefront6targetE0EEEvT1_.kd
    .uniform_work_group_size: 1
    .uses_dynamic_stack: false
    .vgpr_count:     0
    .vgpr_spill_count: 0
    .wavefront_size: 32
    .workgroup_processor_mode: 1
  - .args:
      - .offset:         0
        .size:           112
        .value_kind:     by_value
    .group_segment_fixed_size: 0
    .kernarg_segment_align: 8
    .kernarg_segment_size: 112
    .language:       OpenCL C
    .language_version:
      - 2
      - 0
    .max_flat_workgroup_size: 256
    .name:           _ZN7rocprim17ROCPRIM_400000_NS6detail17trampoline_kernelINS0_14default_configENS1_27scan_by_key_config_selectorIj11FixedVectorIiLj1EEEEZZNS1_16scan_by_key_implILNS1_25lookback_scan_determinismE0ELb0ES3_N6thrust23THRUST_200600_302600_NS6detail15normal_iteratorINSB_10device_ptrIjEEEENSD_INSE_IS6_EEEESI_S6_NSB_4plusIvEENSB_8equal_toIvEES6_EE10hipError_tPvRmT2_T3_T4_T5_mT6_T7_P12ihipStream_tbENKUlT_T0_E_clISt17integral_constantIbLb0EES12_IbLb1EEEEDaSY_SZ_EUlSY_E_NS1_11comp_targetILNS1_3genE3ELNS1_11target_archE908ELNS1_3gpuE7ELNS1_3repE0EEENS1_30default_config_static_selectorELNS0_4arch9wavefront6targetE0EEEvT1_
    .private_segment_fixed_size: 0
    .sgpr_count:     0
    .sgpr_spill_count: 0
    .symbol:         _ZN7rocprim17ROCPRIM_400000_NS6detail17trampoline_kernelINS0_14default_configENS1_27scan_by_key_config_selectorIj11FixedVectorIiLj1EEEEZZNS1_16scan_by_key_implILNS1_25lookback_scan_determinismE0ELb0ES3_N6thrust23THRUST_200600_302600_NS6detail15normal_iteratorINSB_10device_ptrIjEEEENSD_INSE_IS6_EEEESI_S6_NSB_4plusIvEENSB_8equal_toIvEES6_EE10hipError_tPvRmT2_T3_T4_T5_mT6_T7_P12ihipStream_tbENKUlT_T0_E_clISt17integral_constantIbLb0EES12_IbLb1EEEEDaSY_SZ_EUlSY_E_NS1_11comp_targetILNS1_3genE3ELNS1_11target_archE908ELNS1_3gpuE7ELNS1_3repE0EEENS1_30default_config_static_selectorELNS0_4arch9wavefront6targetE0EEEvT1_.kd
    .uniform_work_group_size: 1
    .uses_dynamic_stack: false
    .vgpr_count:     0
    .vgpr_spill_count: 0
    .wavefront_size: 32
    .workgroup_processor_mode: 1
  - .args:
      - .offset:         0
        .size:           112
        .value_kind:     by_value
    .group_segment_fixed_size: 0
    .kernarg_segment_align: 8
    .kernarg_segment_size: 112
    .language:       OpenCL C
    .language_version:
      - 2
      - 0
    .max_flat_workgroup_size: 256
    .name:           _ZN7rocprim17ROCPRIM_400000_NS6detail17trampoline_kernelINS0_14default_configENS1_27scan_by_key_config_selectorIj11FixedVectorIiLj1EEEEZZNS1_16scan_by_key_implILNS1_25lookback_scan_determinismE0ELb0ES3_N6thrust23THRUST_200600_302600_NS6detail15normal_iteratorINSB_10device_ptrIjEEEENSD_INSE_IS6_EEEESI_S6_NSB_4plusIvEENSB_8equal_toIvEES6_EE10hipError_tPvRmT2_T3_T4_T5_mT6_T7_P12ihipStream_tbENKUlT_T0_E_clISt17integral_constantIbLb0EES12_IbLb1EEEEDaSY_SZ_EUlSY_E_NS1_11comp_targetILNS1_3genE2ELNS1_11target_archE906ELNS1_3gpuE6ELNS1_3repE0EEENS1_30default_config_static_selectorELNS0_4arch9wavefront6targetE0EEEvT1_
    .private_segment_fixed_size: 0
    .sgpr_count:     0
    .sgpr_spill_count: 0
    .symbol:         _ZN7rocprim17ROCPRIM_400000_NS6detail17trampoline_kernelINS0_14default_configENS1_27scan_by_key_config_selectorIj11FixedVectorIiLj1EEEEZZNS1_16scan_by_key_implILNS1_25lookback_scan_determinismE0ELb0ES3_N6thrust23THRUST_200600_302600_NS6detail15normal_iteratorINSB_10device_ptrIjEEEENSD_INSE_IS6_EEEESI_S6_NSB_4plusIvEENSB_8equal_toIvEES6_EE10hipError_tPvRmT2_T3_T4_T5_mT6_T7_P12ihipStream_tbENKUlT_T0_E_clISt17integral_constantIbLb0EES12_IbLb1EEEEDaSY_SZ_EUlSY_E_NS1_11comp_targetILNS1_3genE2ELNS1_11target_archE906ELNS1_3gpuE6ELNS1_3repE0EEENS1_30default_config_static_selectorELNS0_4arch9wavefront6targetE0EEEvT1_.kd
    .uniform_work_group_size: 1
    .uses_dynamic_stack: false
    .vgpr_count:     0
    .vgpr_spill_count: 0
    .wavefront_size: 32
    .workgroup_processor_mode: 1
  - .args:
      - .offset:         0
        .size:           112
        .value_kind:     by_value
    .group_segment_fixed_size: 0
    .kernarg_segment_align: 8
    .kernarg_segment_size: 112
    .language:       OpenCL C
    .language_version:
      - 2
      - 0
    .max_flat_workgroup_size: 256
    .name:           _ZN7rocprim17ROCPRIM_400000_NS6detail17trampoline_kernelINS0_14default_configENS1_27scan_by_key_config_selectorIj11FixedVectorIiLj1EEEEZZNS1_16scan_by_key_implILNS1_25lookback_scan_determinismE0ELb0ES3_N6thrust23THRUST_200600_302600_NS6detail15normal_iteratorINSB_10device_ptrIjEEEENSD_INSE_IS6_EEEESI_S6_NSB_4plusIvEENSB_8equal_toIvEES6_EE10hipError_tPvRmT2_T3_T4_T5_mT6_T7_P12ihipStream_tbENKUlT_T0_E_clISt17integral_constantIbLb0EES12_IbLb1EEEEDaSY_SZ_EUlSY_E_NS1_11comp_targetILNS1_3genE10ELNS1_11target_archE1200ELNS1_3gpuE4ELNS1_3repE0EEENS1_30default_config_static_selectorELNS0_4arch9wavefront6targetE0EEEvT1_
    .private_segment_fixed_size: 0
    .sgpr_count:     0
    .sgpr_spill_count: 0
    .symbol:         _ZN7rocprim17ROCPRIM_400000_NS6detail17trampoline_kernelINS0_14default_configENS1_27scan_by_key_config_selectorIj11FixedVectorIiLj1EEEEZZNS1_16scan_by_key_implILNS1_25lookback_scan_determinismE0ELb0ES3_N6thrust23THRUST_200600_302600_NS6detail15normal_iteratorINSB_10device_ptrIjEEEENSD_INSE_IS6_EEEESI_S6_NSB_4plusIvEENSB_8equal_toIvEES6_EE10hipError_tPvRmT2_T3_T4_T5_mT6_T7_P12ihipStream_tbENKUlT_T0_E_clISt17integral_constantIbLb0EES12_IbLb1EEEEDaSY_SZ_EUlSY_E_NS1_11comp_targetILNS1_3genE10ELNS1_11target_archE1200ELNS1_3gpuE4ELNS1_3repE0EEENS1_30default_config_static_selectorELNS0_4arch9wavefront6targetE0EEEvT1_.kd
    .uniform_work_group_size: 1
    .uses_dynamic_stack: false
    .vgpr_count:     0
    .vgpr_spill_count: 0
    .wavefront_size: 32
    .workgroup_processor_mode: 1
  - .args:
      - .offset:         0
        .size:           112
        .value_kind:     by_value
    .group_segment_fixed_size: 0
    .kernarg_segment_align: 8
    .kernarg_segment_size: 112
    .language:       OpenCL C
    .language_version:
      - 2
      - 0
    .max_flat_workgroup_size: 256
    .name:           _ZN7rocprim17ROCPRIM_400000_NS6detail17trampoline_kernelINS0_14default_configENS1_27scan_by_key_config_selectorIj11FixedVectorIiLj1EEEEZZNS1_16scan_by_key_implILNS1_25lookback_scan_determinismE0ELb0ES3_N6thrust23THRUST_200600_302600_NS6detail15normal_iteratorINSB_10device_ptrIjEEEENSD_INSE_IS6_EEEESI_S6_NSB_4plusIvEENSB_8equal_toIvEES6_EE10hipError_tPvRmT2_T3_T4_T5_mT6_T7_P12ihipStream_tbENKUlT_T0_E_clISt17integral_constantIbLb0EES12_IbLb1EEEEDaSY_SZ_EUlSY_E_NS1_11comp_targetILNS1_3genE9ELNS1_11target_archE1100ELNS1_3gpuE3ELNS1_3repE0EEENS1_30default_config_static_selectorELNS0_4arch9wavefront6targetE0EEEvT1_
    .private_segment_fixed_size: 0
    .sgpr_count:     0
    .sgpr_spill_count: 0
    .symbol:         _ZN7rocprim17ROCPRIM_400000_NS6detail17trampoline_kernelINS0_14default_configENS1_27scan_by_key_config_selectorIj11FixedVectorIiLj1EEEEZZNS1_16scan_by_key_implILNS1_25lookback_scan_determinismE0ELb0ES3_N6thrust23THRUST_200600_302600_NS6detail15normal_iteratorINSB_10device_ptrIjEEEENSD_INSE_IS6_EEEESI_S6_NSB_4plusIvEENSB_8equal_toIvEES6_EE10hipError_tPvRmT2_T3_T4_T5_mT6_T7_P12ihipStream_tbENKUlT_T0_E_clISt17integral_constantIbLb0EES12_IbLb1EEEEDaSY_SZ_EUlSY_E_NS1_11comp_targetILNS1_3genE9ELNS1_11target_archE1100ELNS1_3gpuE3ELNS1_3repE0EEENS1_30default_config_static_selectorELNS0_4arch9wavefront6targetE0EEEvT1_.kd
    .uniform_work_group_size: 1
    .uses_dynamic_stack: false
    .vgpr_count:     0
    .vgpr_spill_count: 0
    .wavefront_size: 32
    .workgroup_processor_mode: 1
  - .args:
      - .offset:         0
        .size:           112
        .value_kind:     by_value
    .group_segment_fixed_size: 5120
    .kernarg_segment_align: 8
    .kernarg_segment_size: 112
    .language:       OpenCL C
    .language_version:
      - 2
      - 0
    .max_flat_workgroup_size: 256
    .name:           _ZN7rocprim17ROCPRIM_400000_NS6detail17trampoline_kernelINS0_14default_configENS1_27scan_by_key_config_selectorIj11FixedVectorIiLj1EEEEZZNS1_16scan_by_key_implILNS1_25lookback_scan_determinismE0ELb0ES3_N6thrust23THRUST_200600_302600_NS6detail15normal_iteratorINSB_10device_ptrIjEEEENSD_INSE_IS6_EEEESI_S6_NSB_4plusIvEENSB_8equal_toIvEES6_EE10hipError_tPvRmT2_T3_T4_T5_mT6_T7_P12ihipStream_tbENKUlT_T0_E_clISt17integral_constantIbLb0EES12_IbLb1EEEEDaSY_SZ_EUlSY_E_NS1_11comp_targetILNS1_3genE8ELNS1_11target_archE1030ELNS1_3gpuE2ELNS1_3repE0EEENS1_30default_config_static_selectorELNS0_4arch9wavefront6targetE0EEEvT1_
    .private_segment_fixed_size: 0
    .sgpr_count:     36
    .sgpr_spill_count: 0
    .symbol:         _ZN7rocprim17ROCPRIM_400000_NS6detail17trampoline_kernelINS0_14default_configENS1_27scan_by_key_config_selectorIj11FixedVectorIiLj1EEEEZZNS1_16scan_by_key_implILNS1_25lookback_scan_determinismE0ELb0ES3_N6thrust23THRUST_200600_302600_NS6detail15normal_iteratorINSB_10device_ptrIjEEEENSD_INSE_IS6_EEEESI_S6_NSB_4plusIvEENSB_8equal_toIvEES6_EE10hipError_tPvRmT2_T3_T4_T5_mT6_T7_P12ihipStream_tbENKUlT_T0_E_clISt17integral_constantIbLb0EES12_IbLb1EEEEDaSY_SZ_EUlSY_E_NS1_11comp_targetILNS1_3genE8ELNS1_11target_archE1030ELNS1_3gpuE2ELNS1_3repE0EEENS1_30default_config_static_selectorELNS0_4arch9wavefront6targetE0EEEvT1_.kd
    .uniform_work_group_size: 1
    .uses_dynamic_stack: false
    .vgpr_count:     42
    .vgpr_spill_count: 0
    .wavefront_size: 32
    .workgroup_processor_mode: 1
  - .args:
      - .offset:         0
        .size:           112
        .value_kind:     by_value
    .group_segment_fixed_size: 0
    .kernarg_segment_align: 8
    .kernarg_segment_size: 112
    .language:       OpenCL C
    .language_version:
      - 2
      - 0
    .max_flat_workgroup_size: 256
    .name:           _ZN7rocprim17ROCPRIM_400000_NS6detail17trampoline_kernelINS0_14default_configENS1_27scan_by_key_config_selectorIj11FixedVectorIiLj1EEEEZZNS1_16scan_by_key_implILNS1_25lookback_scan_determinismE0ELb1ES3_N6thrust23THRUST_200600_302600_NS6detail15normal_iteratorINSB_10device_ptrIjEEEENSD_INSE_IS6_EEEESI_S6_NSB_4plusIvEENSB_8equal_toIvEES6_EE10hipError_tPvRmT2_T3_T4_T5_mT6_T7_P12ihipStream_tbENKUlT_T0_E_clISt17integral_constantIbLb0EES13_EEDaSY_SZ_EUlSY_E_NS1_11comp_targetILNS1_3genE0ELNS1_11target_archE4294967295ELNS1_3gpuE0ELNS1_3repE0EEENS1_30default_config_static_selectorELNS0_4arch9wavefront6targetE0EEEvT1_
    .private_segment_fixed_size: 0
    .sgpr_count:     0
    .sgpr_spill_count: 0
    .symbol:         _ZN7rocprim17ROCPRIM_400000_NS6detail17trampoline_kernelINS0_14default_configENS1_27scan_by_key_config_selectorIj11FixedVectorIiLj1EEEEZZNS1_16scan_by_key_implILNS1_25lookback_scan_determinismE0ELb1ES3_N6thrust23THRUST_200600_302600_NS6detail15normal_iteratorINSB_10device_ptrIjEEEENSD_INSE_IS6_EEEESI_S6_NSB_4plusIvEENSB_8equal_toIvEES6_EE10hipError_tPvRmT2_T3_T4_T5_mT6_T7_P12ihipStream_tbENKUlT_T0_E_clISt17integral_constantIbLb0EES13_EEDaSY_SZ_EUlSY_E_NS1_11comp_targetILNS1_3genE0ELNS1_11target_archE4294967295ELNS1_3gpuE0ELNS1_3repE0EEENS1_30default_config_static_selectorELNS0_4arch9wavefront6targetE0EEEvT1_.kd
    .uniform_work_group_size: 1
    .uses_dynamic_stack: false
    .vgpr_count:     0
    .vgpr_spill_count: 0
    .wavefront_size: 32
    .workgroup_processor_mode: 1
  - .args:
      - .offset:         0
        .size:           112
        .value_kind:     by_value
    .group_segment_fixed_size: 0
    .kernarg_segment_align: 8
    .kernarg_segment_size: 112
    .language:       OpenCL C
    .language_version:
      - 2
      - 0
    .max_flat_workgroup_size: 256
    .name:           _ZN7rocprim17ROCPRIM_400000_NS6detail17trampoline_kernelINS0_14default_configENS1_27scan_by_key_config_selectorIj11FixedVectorIiLj1EEEEZZNS1_16scan_by_key_implILNS1_25lookback_scan_determinismE0ELb1ES3_N6thrust23THRUST_200600_302600_NS6detail15normal_iteratorINSB_10device_ptrIjEEEENSD_INSE_IS6_EEEESI_S6_NSB_4plusIvEENSB_8equal_toIvEES6_EE10hipError_tPvRmT2_T3_T4_T5_mT6_T7_P12ihipStream_tbENKUlT_T0_E_clISt17integral_constantIbLb0EES13_EEDaSY_SZ_EUlSY_E_NS1_11comp_targetILNS1_3genE10ELNS1_11target_archE1201ELNS1_3gpuE5ELNS1_3repE0EEENS1_30default_config_static_selectorELNS0_4arch9wavefront6targetE0EEEvT1_
    .private_segment_fixed_size: 0
    .sgpr_count:     0
    .sgpr_spill_count: 0
    .symbol:         _ZN7rocprim17ROCPRIM_400000_NS6detail17trampoline_kernelINS0_14default_configENS1_27scan_by_key_config_selectorIj11FixedVectorIiLj1EEEEZZNS1_16scan_by_key_implILNS1_25lookback_scan_determinismE0ELb1ES3_N6thrust23THRUST_200600_302600_NS6detail15normal_iteratorINSB_10device_ptrIjEEEENSD_INSE_IS6_EEEESI_S6_NSB_4plusIvEENSB_8equal_toIvEES6_EE10hipError_tPvRmT2_T3_T4_T5_mT6_T7_P12ihipStream_tbENKUlT_T0_E_clISt17integral_constantIbLb0EES13_EEDaSY_SZ_EUlSY_E_NS1_11comp_targetILNS1_3genE10ELNS1_11target_archE1201ELNS1_3gpuE5ELNS1_3repE0EEENS1_30default_config_static_selectorELNS0_4arch9wavefront6targetE0EEEvT1_.kd
    .uniform_work_group_size: 1
    .uses_dynamic_stack: false
    .vgpr_count:     0
    .vgpr_spill_count: 0
    .wavefront_size: 32
    .workgroup_processor_mode: 1
  - .args:
      - .offset:         0
        .size:           112
        .value_kind:     by_value
    .group_segment_fixed_size: 0
    .kernarg_segment_align: 8
    .kernarg_segment_size: 112
    .language:       OpenCL C
    .language_version:
      - 2
      - 0
    .max_flat_workgroup_size: 256
    .name:           _ZN7rocprim17ROCPRIM_400000_NS6detail17trampoline_kernelINS0_14default_configENS1_27scan_by_key_config_selectorIj11FixedVectorIiLj1EEEEZZNS1_16scan_by_key_implILNS1_25lookback_scan_determinismE0ELb1ES3_N6thrust23THRUST_200600_302600_NS6detail15normal_iteratorINSB_10device_ptrIjEEEENSD_INSE_IS6_EEEESI_S6_NSB_4plusIvEENSB_8equal_toIvEES6_EE10hipError_tPvRmT2_T3_T4_T5_mT6_T7_P12ihipStream_tbENKUlT_T0_E_clISt17integral_constantIbLb0EES13_EEDaSY_SZ_EUlSY_E_NS1_11comp_targetILNS1_3genE5ELNS1_11target_archE942ELNS1_3gpuE9ELNS1_3repE0EEENS1_30default_config_static_selectorELNS0_4arch9wavefront6targetE0EEEvT1_
    .private_segment_fixed_size: 0
    .sgpr_count:     0
    .sgpr_spill_count: 0
    .symbol:         _ZN7rocprim17ROCPRIM_400000_NS6detail17trampoline_kernelINS0_14default_configENS1_27scan_by_key_config_selectorIj11FixedVectorIiLj1EEEEZZNS1_16scan_by_key_implILNS1_25lookback_scan_determinismE0ELb1ES3_N6thrust23THRUST_200600_302600_NS6detail15normal_iteratorINSB_10device_ptrIjEEEENSD_INSE_IS6_EEEESI_S6_NSB_4plusIvEENSB_8equal_toIvEES6_EE10hipError_tPvRmT2_T3_T4_T5_mT6_T7_P12ihipStream_tbENKUlT_T0_E_clISt17integral_constantIbLb0EES13_EEDaSY_SZ_EUlSY_E_NS1_11comp_targetILNS1_3genE5ELNS1_11target_archE942ELNS1_3gpuE9ELNS1_3repE0EEENS1_30default_config_static_selectorELNS0_4arch9wavefront6targetE0EEEvT1_.kd
    .uniform_work_group_size: 1
    .uses_dynamic_stack: false
    .vgpr_count:     0
    .vgpr_spill_count: 0
    .wavefront_size: 32
    .workgroup_processor_mode: 1
  - .args:
      - .offset:         0
        .size:           112
        .value_kind:     by_value
    .group_segment_fixed_size: 0
    .kernarg_segment_align: 8
    .kernarg_segment_size: 112
    .language:       OpenCL C
    .language_version:
      - 2
      - 0
    .max_flat_workgroup_size: 256
    .name:           _ZN7rocprim17ROCPRIM_400000_NS6detail17trampoline_kernelINS0_14default_configENS1_27scan_by_key_config_selectorIj11FixedVectorIiLj1EEEEZZNS1_16scan_by_key_implILNS1_25lookback_scan_determinismE0ELb1ES3_N6thrust23THRUST_200600_302600_NS6detail15normal_iteratorINSB_10device_ptrIjEEEENSD_INSE_IS6_EEEESI_S6_NSB_4plusIvEENSB_8equal_toIvEES6_EE10hipError_tPvRmT2_T3_T4_T5_mT6_T7_P12ihipStream_tbENKUlT_T0_E_clISt17integral_constantIbLb0EES13_EEDaSY_SZ_EUlSY_E_NS1_11comp_targetILNS1_3genE4ELNS1_11target_archE910ELNS1_3gpuE8ELNS1_3repE0EEENS1_30default_config_static_selectorELNS0_4arch9wavefront6targetE0EEEvT1_
    .private_segment_fixed_size: 0
    .sgpr_count:     0
    .sgpr_spill_count: 0
    .symbol:         _ZN7rocprim17ROCPRIM_400000_NS6detail17trampoline_kernelINS0_14default_configENS1_27scan_by_key_config_selectorIj11FixedVectorIiLj1EEEEZZNS1_16scan_by_key_implILNS1_25lookback_scan_determinismE0ELb1ES3_N6thrust23THRUST_200600_302600_NS6detail15normal_iteratorINSB_10device_ptrIjEEEENSD_INSE_IS6_EEEESI_S6_NSB_4plusIvEENSB_8equal_toIvEES6_EE10hipError_tPvRmT2_T3_T4_T5_mT6_T7_P12ihipStream_tbENKUlT_T0_E_clISt17integral_constantIbLb0EES13_EEDaSY_SZ_EUlSY_E_NS1_11comp_targetILNS1_3genE4ELNS1_11target_archE910ELNS1_3gpuE8ELNS1_3repE0EEENS1_30default_config_static_selectorELNS0_4arch9wavefront6targetE0EEEvT1_.kd
    .uniform_work_group_size: 1
    .uses_dynamic_stack: false
    .vgpr_count:     0
    .vgpr_spill_count: 0
    .wavefront_size: 32
    .workgroup_processor_mode: 1
  - .args:
      - .offset:         0
        .size:           112
        .value_kind:     by_value
    .group_segment_fixed_size: 0
    .kernarg_segment_align: 8
    .kernarg_segment_size: 112
    .language:       OpenCL C
    .language_version:
      - 2
      - 0
    .max_flat_workgroup_size: 256
    .name:           _ZN7rocprim17ROCPRIM_400000_NS6detail17trampoline_kernelINS0_14default_configENS1_27scan_by_key_config_selectorIj11FixedVectorIiLj1EEEEZZNS1_16scan_by_key_implILNS1_25lookback_scan_determinismE0ELb1ES3_N6thrust23THRUST_200600_302600_NS6detail15normal_iteratorINSB_10device_ptrIjEEEENSD_INSE_IS6_EEEESI_S6_NSB_4plusIvEENSB_8equal_toIvEES6_EE10hipError_tPvRmT2_T3_T4_T5_mT6_T7_P12ihipStream_tbENKUlT_T0_E_clISt17integral_constantIbLb0EES13_EEDaSY_SZ_EUlSY_E_NS1_11comp_targetILNS1_3genE3ELNS1_11target_archE908ELNS1_3gpuE7ELNS1_3repE0EEENS1_30default_config_static_selectorELNS0_4arch9wavefront6targetE0EEEvT1_
    .private_segment_fixed_size: 0
    .sgpr_count:     0
    .sgpr_spill_count: 0
    .symbol:         _ZN7rocprim17ROCPRIM_400000_NS6detail17trampoline_kernelINS0_14default_configENS1_27scan_by_key_config_selectorIj11FixedVectorIiLj1EEEEZZNS1_16scan_by_key_implILNS1_25lookback_scan_determinismE0ELb1ES3_N6thrust23THRUST_200600_302600_NS6detail15normal_iteratorINSB_10device_ptrIjEEEENSD_INSE_IS6_EEEESI_S6_NSB_4plusIvEENSB_8equal_toIvEES6_EE10hipError_tPvRmT2_T3_T4_T5_mT6_T7_P12ihipStream_tbENKUlT_T0_E_clISt17integral_constantIbLb0EES13_EEDaSY_SZ_EUlSY_E_NS1_11comp_targetILNS1_3genE3ELNS1_11target_archE908ELNS1_3gpuE7ELNS1_3repE0EEENS1_30default_config_static_selectorELNS0_4arch9wavefront6targetE0EEEvT1_.kd
    .uniform_work_group_size: 1
    .uses_dynamic_stack: false
    .vgpr_count:     0
    .vgpr_spill_count: 0
    .wavefront_size: 32
    .workgroup_processor_mode: 1
  - .args:
      - .offset:         0
        .size:           112
        .value_kind:     by_value
    .group_segment_fixed_size: 0
    .kernarg_segment_align: 8
    .kernarg_segment_size: 112
    .language:       OpenCL C
    .language_version:
      - 2
      - 0
    .max_flat_workgroup_size: 256
    .name:           _ZN7rocprim17ROCPRIM_400000_NS6detail17trampoline_kernelINS0_14default_configENS1_27scan_by_key_config_selectorIj11FixedVectorIiLj1EEEEZZNS1_16scan_by_key_implILNS1_25lookback_scan_determinismE0ELb1ES3_N6thrust23THRUST_200600_302600_NS6detail15normal_iteratorINSB_10device_ptrIjEEEENSD_INSE_IS6_EEEESI_S6_NSB_4plusIvEENSB_8equal_toIvEES6_EE10hipError_tPvRmT2_T3_T4_T5_mT6_T7_P12ihipStream_tbENKUlT_T0_E_clISt17integral_constantIbLb0EES13_EEDaSY_SZ_EUlSY_E_NS1_11comp_targetILNS1_3genE2ELNS1_11target_archE906ELNS1_3gpuE6ELNS1_3repE0EEENS1_30default_config_static_selectorELNS0_4arch9wavefront6targetE0EEEvT1_
    .private_segment_fixed_size: 0
    .sgpr_count:     0
    .sgpr_spill_count: 0
    .symbol:         _ZN7rocprim17ROCPRIM_400000_NS6detail17trampoline_kernelINS0_14default_configENS1_27scan_by_key_config_selectorIj11FixedVectorIiLj1EEEEZZNS1_16scan_by_key_implILNS1_25lookback_scan_determinismE0ELb1ES3_N6thrust23THRUST_200600_302600_NS6detail15normal_iteratorINSB_10device_ptrIjEEEENSD_INSE_IS6_EEEESI_S6_NSB_4plusIvEENSB_8equal_toIvEES6_EE10hipError_tPvRmT2_T3_T4_T5_mT6_T7_P12ihipStream_tbENKUlT_T0_E_clISt17integral_constantIbLb0EES13_EEDaSY_SZ_EUlSY_E_NS1_11comp_targetILNS1_3genE2ELNS1_11target_archE906ELNS1_3gpuE6ELNS1_3repE0EEENS1_30default_config_static_selectorELNS0_4arch9wavefront6targetE0EEEvT1_.kd
    .uniform_work_group_size: 1
    .uses_dynamic_stack: false
    .vgpr_count:     0
    .vgpr_spill_count: 0
    .wavefront_size: 32
    .workgroup_processor_mode: 1
  - .args:
      - .offset:         0
        .size:           112
        .value_kind:     by_value
    .group_segment_fixed_size: 0
    .kernarg_segment_align: 8
    .kernarg_segment_size: 112
    .language:       OpenCL C
    .language_version:
      - 2
      - 0
    .max_flat_workgroup_size: 256
    .name:           _ZN7rocprim17ROCPRIM_400000_NS6detail17trampoline_kernelINS0_14default_configENS1_27scan_by_key_config_selectorIj11FixedVectorIiLj1EEEEZZNS1_16scan_by_key_implILNS1_25lookback_scan_determinismE0ELb1ES3_N6thrust23THRUST_200600_302600_NS6detail15normal_iteratorINSB_10device_ptrIjEEEENSD_INSE_IS6_EEEESI_S6_NSB_4plusIvEENSB_8equal_toIvEES6_EE10hipError_tPvRmT2_T3_T4_T5_mT6_T7_P12ihipStream_tbENKUlT_T0_E_clISt17integral_constantIbLb0EES13_EEDaSY_SZ_EUlSY_E_NS1_11comp_targetILNS1_3genE10ELNS1_11target_archE1200ELNS1_3gpuE4ELNS1_3repE0EEENS1_30default_config_static_selectorELNS0_4arch9wavefront6targetE0EEEvT1_
    .private_segment_fixed_size: 0
    .sgpr_count:     0
    .sgpr_spill_count: 0
    .symbol:         _ZN7rocprim17ROCPRIM_400000_NS6detail17trampoline_kernelINS0_14default_configENS1_27scan_by_key_config_selectorIj11FixedVectorIiLj1EEEEZZNS1_16scan_by_key_implILNS1_25lookback_scan_determinismE0ELb1ES3_N6thrust23THRUST_200600_302600_NS6detail15normal_iteratorINSB_10device_ptrIjEEEENSD_INSE_IS6_EEEESI_S6_NSB_4plusIvEENSB_8equal_toIvEES6_EE10hipError_tPvRmT2_T3_T4_T5_mT6_T7_P12ihipStream_tbENKUlT_T0_E_clISt17integral_constantIbLb0EES13_EEDaSY_SZ_EUlSY_E_NS1_11comp_targetILNS1_3genE10ELNS1_11target_archE1200ELNS1_3gpuE4ELNS1_3repE0EEENS1_30default_config_static_selectorELNS0_4arch9wavefront6targetE0EEEvT1_.kd
    .uniform_work_group_size: 1
    .uses_dynamic_stack: false
    .vgpr_count:     0
    .vgpr_spill_count: 0
    .wavefront_size: 32
    .workgroup_processor_mode: 1
  - .args:
      - .offset:         0
        .size:           112
        .value_kind:     by_value
    .group_segment_fixed_size: 0
    .kernarg_segment_align: 8
    .kernarg_segment_size: 112
    .language:       OpenCL C
    .language_version:
      - 2
      - 0
    .max_flat_workgroup_size: 256
    .name:           _ZN7rocprim17ROCPRIM_400000_NS6detail17trampoline_kernelINS0_14default_configENS1_27scan_by_key_config_selectorIj11FixedVectorIiLj1EEEEZZNS1_16scan_by_key_implILNS1_25lookback_scan_determinismE0ELb1ES3_N6thrust23THRUST_200600_302600_NS6detail15normal_iteratorINSB_10device_ptrIjEEEENSD_INSE_IS6_EEEESI_S6_NSB_4plusIvEENSB_8equal_toIvEES6_EE10hipError_tPvRmT2_T3_T4_T5_mT6_T7_P12ihipStream_tbENKUlT_T0_E_clISt17integral_constantIbLb0EES13_EEDaSY_SZ_EUlSY_E_NS1_11comp_targetILNS1_3genE9ELNS1_11target_archE1100ELNS1_3gpuE3ELNS1_3repE0EEENS1_30default_config_static_selectorELNS0_4arch9wavefront6targetE0EEEvT1_
    .private_segment_fixed_size: 0
    .sgpr_count:     0
    .sgpr_spill_count: 0
    .symbol:         _ZN7rocprim17ROCPRIM_400000_NS6detail17trampoline_kernelINS0_14default_configENS1_27scan_by_key_config_selectorIj11FixedVectorIiLj1EEEEZZNS1_16scan_by_key_implILNS1_25lookback_scan_determinismE0ELb1ES3_N6thrust23THRUST_200600_302600_NS6detail15normal_iteratorINSB_10device_ptrIjEEEENSD_INSE_IS6_EEEESI_S6_NSB_4plusIvEENSB_8equal_toIvEES6_EE10hipError_tPvRmT2_T3_T4_T5_mT6_T7_P12ihipStream_tbENKUlT_T0_E_clISt17integral_constantIbLb0EES13_EEDaSY_SZ_EUlSY_E_NS1_11comp_targetILNS1_3genE9ELNS1_11target_archE1100ELNS1_3gpuE3ELNS1_3repE0EEENS1_30default_config_static_selectorELNS0_4arch9wavefront6targetE0EEEvT1_.kd
    .uniform_work_group_size: 1
    .uses_dynamic_stack: false
    .vgpr_count:     0
    .vgpr_spill_count: 0
    .wavefront_size: 32
    .workgroup_processor_mode: 1
  - .args:
      - .offset:         0
        .size:           112
        .value_kind:     by_value
    .group_segment_fixed_size: 5120
    .kernarg_segment_align: 8
    .kernarg_segment_size: 112
    .language:       OpenCL C
    .language_version:
      - 2
      - 0
    .max_flat_workgroup_size: 256
    .name:           _ZN7rocprim17ROCPRIM_400000_NS6detail17trampoline_kernelINS0_14default_configENS1_27scan_by_key_config_selectorIj11FixedVectorIiLj1EEEEZZNS1_16scan_by_key_implILNS1_25lookback_scan_determinismE0ELb1ES3_N6thrust23THRUST_200600_302600_NS6detail15normal_iteratorINSB_10device_ptrIjEEEENSD_INSE_IS6_EEEESI_S6_NSB_4plusIvEENSB_8equal_toIvEES6_EE10hipError_tPvRmT2_T3_T4_T5_mT6_T7_P12ihipStream_tbENKUlT_T0_E_clISt17integral_constantIbLb0EES13_EEDaSY_SZ_EUlSY_E_NS1_11comp_targetILNS1_3genE8ELNS1_11target_archE1030ELNS1_3gpuE2ELNS1_3repE0EEENS1_30default_config_static_selectorELNS0_4arch9wavefront6targetE0EEEvT1_
    .private_segment_fixed_size: 0
    .sgpr_count:     32
    .sgpr_spill_count: 0
    .symbol:         _ZN7rocprim17ROCPRIM_400000_NS6detail17trampoline_kernelINS0_14default_configENS1_27scan_by_key_config_selectorIj11FixedVectorIiLj1EEEEZZNS1_16scan_by_key_implILNS1_25lookback_scan_determinismE0ELb1ES3_N6thrust23THRUST_200600_302600_NS6detail15normal_iteratorINSB_10device_ptrIjEEEENSD_INSE_IS6_EEEESI_S6_NSB_4plusIvEENSB_8equal_toIvEES6_EE10hipError_tPvRmT2_T3_T4_T5_mT6_T7_P12ihipStream_tbENKUlT_T0_E_clISt17integral_constantIbLb0EES13_EEDaSY_SZ_EUlSY_E_NS1_11comp_targetILNS1_3genE8ELNS1_11target_archE1030ELNS1_3gpuE2ELNS1_3repE0EEENS1_30default_config_static_selectorELNS0_4arch9wavefront6targetE0EEEvT1_.kd
    .uniform_work_group_size: 1
    .uses_dynamic_stack: false
    .vgpr_count:     42
    .vgpr_spill_count: 0
    .wavefront_size: 32
    .workgroup_processor_mode: 1
  - .args:
      - .offset:         0
        .size:           112
        .value_kind:     by_value
    .group_segment_fixed_size: 0
    .kernarg_segment_align: 8
    .kernarg_segment_size: 112
    .language:       OpenCL C
    .language_version:
      - 2
      - 0
    .max_flat_workgroup_size: 256
    .name:           _ZN7rocprim17ROCPRIM_400000_NS6detail17trampoline_kernelINS0_14default_configENS1_27scan_by_key_config_selectorIj11FixedVectorIiLj1EEEEZZNS1_16scan_by_key_implILNS1_25lookback_scan_determinismE0ELb1ES3_N6thrust23THRUST_200600_302600_NS6detail15normal_iteratorINSB_10device_ptrIjEEEENSD_INSE_IS6_EEEESI_S6_NSB_4plusIvEENSB_8equal_toIvEES6_EE10hipError_tPvRmT2_T3_T4_T5_mT6_T7_P12ihipStream_tbENKUlT_T0_E_clISt17integral_constantIbLb1EES13_EEDaSY_SZ_EUlSY_E_NS1_11comp_targetILNS1_3genE0ELNS1_11target_archE4294967295ELNS1_3gpuE0ELNS1_3repE0EEENS1_30default_config_static_selectorELNS0_4arch9wavefront6targetE0EEEvT1_
    .private_segment_fixed_size: 0
    .sgpr_count:     0
    .sgpr_spill_count: 0
    .symbol:         _ZN7rocprim17ROCPRIM_400000_NS6detail17trampoline_kernelINS0_14default_configENS1_27scan_by_key_config_selectorIj11FixedVectorIiLj1EEEEZZNS1_16scan_by_key_implILNS1_25lookback_scan_determinismE0ELb1ES3_N6thrust23THRUST_200600_302600_NS6detail15normal_iteratorINSB_10device_ptrIjEEEENSD_INSE_IS6_EEEESI_S6_NSB_4plusIvEENSB_8equal_toIvEES6_EE10hipError_tPvRmT2_T3_T4_T5_mT6_T7_P12ihipStream_tbENKUlT_T0_E_clISt17integral_constantIbLb1EES13_EEDaSY_SZ_EUlSY_E_NS1_11comp_targetILNS1_3genE0ELNS1_11target_archE4294967295ELNS1_3gpuE0ELNS1_3repE0EEENS1_30default_config_static_selectorELNS0_4arch9wavefront6targetE0EEEvT1_.kd
    .uniform_work_group_size: 1
    .uses_dynamic_stack: false
    .vgpr_count:     0
    .vgpr_spill_count: 0
    .wavefront_size: 32
    .workgroup_processor_mode: 1
  - .args:
      - .offset:         0
        .size:           112
        .value_kind:     by_value
    .group_segment_fixed_size: 0
    .kernarg_segment_align: 8
    .kernarg_segment_size: 112
    .language:       OpenCL C
    .language_version:
      - 2
      - 0
    .max_flat_workgroup_size: 256
    .name:           _ZN7rocprim17ROCPRIM_400000_NS6detail17trampoline_kernelINS0_14default_configENS1_27scan_by_key_config_selectorIj11FixedVectorIiLj1EEEEZZNS1_16scan_by_key_implILNS1_25lookback_scan_determinismE0ELb1ES3_N6thrust23THRUST_200600_302600_NS6detail15normal_iteratorINSB_10device_ptrIjEEEENSD_INSE_IS6_EEEESI_S6_NSB_4plusIvEENSB_8equal_toIvEES6_EE10hipError_tPvRmT2_T3_T4_T5_mT6_T7_P12ihipStream_tbENKUlT_T0_E_clISt17integral_constantIbLb1EES13_EEDaSY_SZ_EUlSY_E_NS1_11comp_targetILNS1_3genE10ELNS1_11target_archE1201ELNS1_3gpuE5ELNS1_3repE0EEENS1_30default_config_static_selectorELNS0_4arch9wavefront6targetE0EEEvT1_
    .private_segment_fixed_size: 0
    .sgpr_count:     0
    .sgpr_spill_count: 0
    .symbol:         _ZN7rocprim17ROCPRIM_400000_NS6detail17trampoline_kernelINS0_14default_configENS1_27scan_by_key_config_selectorIj11FixedVectorIiLj1EEEEZZNS1_16scan_by_key_implILNS1_25lookback_scan_determinismE0ELb1ES3_N6thrust23THRUST_200600_302600_NS6detail15normal_iteratorINSB_10device_ptrIjEEEENSD_INSE_IS6_EEEESI_S6_NSB_4plusIvEENSB_8equal_toIvEES6_EE10hipError_tPvRmT2_T3_T4_T5_mT6_T7_P12ihipStream_tbENKUlT_T0_E_clISt17integral_constantIbLb1EES13_EEDaSY_SZ_EUlSY_E_NS1_11comp_targetILNS1_3genE10ELNS1_11target_archE1201ELNS1_3gpuE5ELNS1_3repE0EEENS1_30default_config_static_selectorELNS0_4arch9wavefront6targetE0EEEvT1_.kd
    .uniform_work_group_size: 1
    .uses_dynamic_stack: false
    .vgpr_count:     0
    .vgpr_spill_count: 0
    .wavefront_size: 32
    .workgroup_processor_mode: 1
  - .args:
      - .offset:         0
        .size:           112
        .value_kind:     by_value
    .group_segment_fixed_size: 0
    .kernarg_segment_align: 8
    .kernarg_segment_size: 112
    .language:       OpenCL C
    .language_version:
      - 2
      - 0
    .max_flat_workgroup_size: 256
    .name:           _ZN7rocprim17ROCPRIM_400000_NS6detail17trampoline_kernelINS0_14default_configENS1_27scan_by_key_config_selectorIj11FixedVectorIiLj1EEEEZZNS1_16scan_by_key_implILNS1_25lookback_scan_determinismE0ELb1ES3_N6thrust23THRUST_200600_302600_NS6detail15normal_iteratorINSB_10device_ptrIjEEEENSD_INSE_IS6_EEEESI_S6_NSB_4plusIvEENSB_8equal_toIvEES6_EE10hipError_tPvRmT2_T3_T4_T5_mT6_T7_P12ihipStream_tbENKUlT_T0_E_clISt17integral_constantIbLb1EES13_EEDaSY_SZ_EUlSY_E_NS1_11comp_targetILNS1_3genE5ELNS1_11target_archE942ELNS1_3gpuE9ELNS1_3repE0EEENS1_30default_config_static_selectorELNS0_4arch9wavefront6targetE0EEEvT1_
    .private_segment_fixed_size: 0
    .sgpr_count:     0
    .sgpr_spill_count: 0
    .symbol:         _ZN7rocprim17ROCPRIM_400000_NS6detail17trampoline_kernelINS0_14default_configENS1_27scan_by_key_config_selectorIj11FixedVectorIiLj1EEEEZZNS1_16scan_by_key_implILNS1_25lookback_scan_determinismE0ELb1ES3_N6thrust23THRUST_200600_302600_NS6detail15normal_iteratorINSB_10device_ptrIjEEEENSD_INSE_IS6_EEEESI_S6_NSB_4plusIvEENSB_8equal_toIvEES6_EE10hipError_tPvRmT2_T3_T4_T5_mT6_T7_P12ihipStream_tbENKUlT_T0_E_clISt17integral_constantIbLb1EES13_EEDaSY_SZ_EUlSY_E_NS1_11comp_targetILNS1_3genE5ELNS1_11target_archE942ELNS1_3gpuE9ELNS1_3repE0EEENS1_30default_config_static_selectorELNS0_4arch9wavefront6targetE0EEEvT1_.kd
    .uniform_work_group_size: 1
    .uses_dynamic_stack: false
    .vgpr_count:     0
    .vgpr_spill_count: 0
    .wavefront_size: 32
    .workgroup_processor_mode: 1
  - .args:
      - .offset:         0
        .size:           112
        .value_kind:     by_value
    .group_segment_fixed_size: 0
    .kernarg_segment_align: 8
    .kernarg_segment_size: 112
    .language:       OpenCL C
    .language_version:
      - 2
      - 0
    .max_flat_workgroup_size: 256
    .name:           _ZN7rocprim17ROCPRIM_400000_NS6detail17trampoline_kernelINS0_14default_configENS1_27scan_by_key_config_selectorIj11FixedVectorIiLj1EEEEZZNS1_16scan_by_key_implILNS1_25lookback_scan_determinismE0ELb1ES3_N6thrust23THRUST_200600_302600_NS6detail15normal_iteratorINSB_10device_ptrIjEEEENSD_INSE_IS6_EEEESI_S6_NSB_4plusIvEENSB_8equal_toIvEES6_EE10hipError_tPvRmT2_T3_T4_T5_mT6_T7_P12ihipStream_tbENKUlT_T0_E_clISt17integral_constantIbLb1EES13_EEDaSY_SZ_EUlSY_E_NS1_11comp_targetILNS1_3genE4ELNS1_11target_archE910ELNS1_3gpuE8ELNS1_3repE0EEENS1_30default_config_static_selectorELNS0_4arch9wavefront6targetE0EEEvT1_
    .private_segment_fixed_size: 0
    .sgpr_count:     0
    .sgpr_spill_count: 0
    .symbol:         _ZN7rocprim17ROCPRIM_400000_NS6detail17trampoline_kernelINS0_14default_configENS1_27scan_by_key_config_selectorIj11FixedVectorIiLj1EEEEZZNS1_16scan_by_key_implILNS1_25lookback_scan_determinismE0ELb1ES3_N6thrust23THRUST_200600_302600_NS6detail15normal_iteratorINSB_10device_ptrIjEEEENSD_INSE_IS6_EEEESI_S6_NSB_4plusIvEENSB_8equal_toIvEES6_EE10hipError_tPvRmT2_T3_T4_T5_mT6_T7_P12ihipStream_tbENKUlT_T0_E_clISt17integral_constantIbLb1EES13_EEDaSY_SZ_EUlSY_E_NS1_11comp_targetILNS1_3genE4ELNS1_11target_archE910ELNS1_3gpuE8ELNS1_3repE0EEENS1_30default_config_static_selectorELNS0_4arch9wavefront6targetE0EEEvT1_.kd
    .uniform_work_group_size: 1
    .uses_dynamic_stack: false
    .vgpr_count:     0
    .vgpr_spill_count: 0
    .wavefront_size: 32
    .workgroup_processor_mode: 1
  - .args:
      - .offset:         0
        .size:           112
        .value_kind:     by_value
    .group_segment_fixed_size: 0
    .kernarg_segment_align: 8
    .kernarg_segment_size: 112
    .language:       OpenCL C
    .language_version:
      - 2
      - 0
    .max_flat_workgroup_size: 256
    .name:           _ZN7rocprim17ROCPRIM_400000_NS6detail17trampoline_kernelINS0_14default_configENS1_27scan_by_key_config_selectorIj11FixedVectorIiLj1EEEEZZNS1_16scan_by_key_implILNS1_25lookback_scan_determinismE0ELb1ES3_N6thrust23THRUST_200600_302600_NS6detail15normal_iteratorINSB_10device_ptrIjEEEENSD_INSE_IS6_EEEESI_S6_NSB_4plusIvEENSB_8equal_toIvEES6_EE10hipError_tPvRmT2_T3_T4_T5_mT6_T7_P12ihipStream_tbENKUlT_T0_E_clISt17integral_constantIbLb1EES13_EEDaSY_SZ_EUlSY_E_NS1_11comp_targetILNS1_3genE3ELNS1_11target_archE908ELNS1_3gpuE7ELNS1_3repE0EEENS1_30default_config_static_selectorELNS0_4arch9wavefront6targetE0EEEvT1_
    .private_segment_fixed_size: 0
    .sgpr_count:     0
    .sgpr_spill_count: 0
    .symbol:         _ZN7rocprim17ROCPRIM_400000_NS6detail17trampoline_kernelINS0_14default_configENS1_27scan_by_key_config_selectorIj11FixedVectorIiLj1EEEEZZNS1_16scan_by_key_implILNS1_25lookback_scan_determinismE0ELb1ES3_N6thrust23THRUST_200600_302600_NS6detail15normal_iteratorINSB_10device_ptrIjEEEENSD_INSE_IS6_EEEESI_S6_NSB_4plusIvEENSB_8equal_toIvEES6_EE10hipError_tPvRmT2_T3_T4_T5_mT6_T7_P12ihipStream_tbENKUlT_T0_E_clISt17integral_constantIbLb1EES13_EEDaSY_SZ_EUlSY_E_NS1_11comp_targetILNS1_3genE3ELNS1_11target_archE908ELNS1_3gpuE7ELNS1_3repE0EEENS1_30default_config_static_selectorELNS0_4arch9wavefront6targetE0EEEvT1_.kd
    .uniform_work_group_size: 1
    .uses_dynamic_stack: false
    .vgpr_count:     0
    .vgpr_spill_count: 0
    .wavefront_size: 32
    .workgroup_processor_mode: 1
  - .args:
      - .offset:         0
        .size:           112
        .value_kind:     by_value
    .group_segment_fixed_size: 0
    .kernarg_segment_align: 8
    .kernarg_segment_size: 112
    .language:       OpenCL C
    .language_version:
      - 2
      - 0
    .max_flat_workgroup_size: 256
    .name:           _ZN7rocprim17ROCPRIM_400000_NS6detail17trampoline_kernelINS0_14default_configENS1_27scan_by_key_config_selectorIj11FixedVectorIiLj1EEEEZZNS1_16scan_by_key_implILNS1_25lookback_scan_determinismE0ELb1ES3_N6thrust23THRUST_200600_302600_NS6detail15normal_iteratorINSB_10device_ptrIjEEEENSD_INSE_IS6_EEEESI_S6_NSB_4plusIvEENSB_8equal_toIvEES6_EE10hipError_tPvRmT2_T3_T4_T5_mT6_T7_P12ihipStream_tbENKUlT_T0_E_clISt17integral_constantIbLb1EES13_EEDaSY_SZ_EUlSY_E_NS1_11comp_targetILNS1_3genE2ELNS1_11target_archE906ELNS1_3gpuE6ELNS1_3repE0EEENS1_30default_config_static_selectorELNS0_4arch9wavefront6targetE0EEEvT1_
    .private_segment_fixed_size: 0
    .sgpr_count:     0
    .sgpr_spill_count: 0
    .symbol:         _ZN7rocprim17ROCPRIM_400000_NS6detail17trampoline_kernelINS0_14default_configENS1_27scan_by_key_config_selectorIj11FixedVectorIiLj1EEEEZZNS1_16scan_by_key_implILNS1_25lookback_scan_determinismE0ELb1ES3_N6thrust23THRUST_200600_302600_NS6detail15normal_iteratorINSB_10device_ptrIjEEEENSD_INSE_IS6_EEEESI_S6_NSB_4plusIvEENSB_8equal_toIvEES6_EE10hipError_tPvRmT2_T3_T4_T5_mT6_T7_P12ihipStream_tbENKUlT_T0_E_clISt17integral_constantIbLb1EES13_EEDaSY_SZ_EUlSY_E_NS1_11comp_targetILNS1_3genE2ELNS1_11target_archE906ELNS1_3gpuE6ELNS1_3repE0EEENS1_30default_config_static_selectorELNS0_4arch9wavefront6targetE0EEEvT1_.kd
    .uniform_work_group_size: 1
    .uses_dynamic_stack: false
    .vgpr_count:     0
    .vgpr_spill_count: 0
    .wavefront_size: 32
    .workgroup_processor_mode: 1
  - .args:
      - .offset:         0
        .size:           112
        .value_kind:     by_value
    .group_segment_fixed_size: 0
    .kernarg_segment_align: 8
    .kernarg_segment_size: 112
    .language:       OpenCL C
    .language_version:
      - 2
      - 0
    .max_flat_workgroup_size: 256
    .name:           _ZN7rocprim17ROCPRIM_400000_NS6detail17trampoline_kernelINS0_14default_configENS1_27scan_by_key_config_selectorIj11FixedVectorIiLj1EEEEZZNS1_16scan_by_key_implILNS1_25lookback_scan_determinismE0ELb1ES3_N6thrust23THRUST_200600_302600_NS6detail15normal_iteratorINSB_10device_ptrIjEEEENSD_INSE_IS6_EEEESI_S6_NSB_4plusIvEENSB_8equal_toIvEES6_EE10hipError_tPvRmT2_T3_T4_T5_mT6_T7_P12ihipStream_tbENKUlT_T0_E_clISt17integral_constantIbLb1EES13_EEDaSY_SZ_EUlSY_E_NS1_11comp_targetILNS1_3genE10ELNS1_11target_archE1200ELNS1_3gpuE4ELNS1_3repE0EEENS1_30default_config_static_selectorELNS0_4arch9wavefront6targetE0EEEvT1_
    .private_segment_fixed_size: 0
    .sgpr_count:     0
    .sgpr_spill_count: 0
    .symbol:         _ZN7rocprim17ROCPRIM_400000_NS6detail17trampoline_kernelINS0_14default_configENS1_27scan_by_key_config_selectorIj11FixedVectorIiLj1EEEEZZNS1_16scan_by_key_implILNS1_25lookback_scan_determinismE0ELb1ES3_N6thrust23THRUST_200600_302600_NS6detail15normal_iteratorINSB_10device_ptrIjEEEENSD_INSE_IS6_EEEESI_S6_NSB_4plusIvEENSB_8equal_toIvEES6_EE10hipError_tPvRmT2_T3_T4_T5_mT6_T7_P12ihipStream_tbENKUlT_T0_E_clISt17integral_constantIbLb1EES13_EEDaSY_SZ_EUlSY_E_NS1_11comp_targetILNS1_3genE10ELNS1_11target_archE1200ELNS1_3gpuE4ELNS1_3repE0EEENS1_30default_config_static_selectorELNS0_4arch9wavefront6targetE0EEEvT1_.kd
    .uniform_work_group_size: 1
    .uses_dynamic_stack: false
    .vgpr_count:     0
    .vgpr_spill_count: 0
    .wavefront_size: 32
    .workgroup_processor_mode: 1
  - .args:
      - .offset:         0
        .size:           112
        .value_kind:     by_value
    .group_segment_fixed_size: 0
    .kernarg_segment_align: 8
    .kernarg_segment_size: 112
    .language:       OpenCL C
    .language_version:
      - 2
      - 0
    .max_flat_workgroup_size: 256
    .name:           _ZN7rocprim17ROCPRIM_400000_NS6detail17trampoline_kernelINS0_14default_configENS1_27scan_by_key_config_selectorIj11FixedVectorIiLj1EEEEZZNS1_16scan_by_key_implILNS1_25lookback_scan_determinismE0ELb1ES3_N6thrust23THRUST_200600_302600_NS6detail15normal_iteratorINSB_10device_ptrIjEEEENSD_INSE_IS6_EEEESI_S6_NSB_4plusIvEENSB_8equal_toIvEES6_EE10hipError_tPvRmT2_T3_T4_T5_mT6_T7_P12ihipStream_tbENKUlT_T0_E_clISt17integral_constantIbLb1EES13_EEDaSY_SZ_EUlSY_E_NS1_11comp_targetILNS1_3genE9ELNS1_11target_archE1100ELNS1_3gpuE3ELNS1_3repE0EEENS1_30default_config_static_selectorELNS0_4arch9wavefront6targetE0EEEvT1_
    .private_segment_fixed_size: 0
    .sgpr_count:     0
    .sgpr_spill_count: 0
    .symbol:         _ZN7rocprim17ROCPRIM_400000_NS6detail17trampoline_kernelINS0_14default_configENS1_27scan_by_key_config_selectorIj11FixedVectorIiLj1EEEEZZNS1_16scan_by_key_implILNS1_25lookback_scan_determinismE0ELb1ES3_N6thrust23THRUST_200600_302600_NS6detail15normal_iteratorINSB_10device_ptrIjEEEENSD_INSE_IS6_EEEESI_S6_NSB_4plusIvEENSB_8equal_toIvEES6_EE10hipError_tPvRmT2_T3_T4_T5_mT6_T7_P12ihipStream_tbENKUlT_T0_E_clISt17integral_constantIbLb1EES13_EEDaSY_SZ_EUlSY_E_NS1_11comp_targetILNS1_3genE9ELNS1_11target_archE1100ELNS1_3gpuE3ELNS1_3repE0EEENS1_30default_config_static_selectorELNS0_4arch9wavefront6targetE0EEEvT1_.kd
    .uniform_work_group_size: 1
    .uses_dynamic_stack: false
    .vgpr_count:     0
    .vgpr_spill_count: 0
    .wavefront_size: 32
    .workgroup_processor_mode: 1
  - .args:
      - .offset:         0
        .size:           112
        .value_kind:     by_value
    .group_segment_fixed_size: 0
    .kernarg_segment_align: 8
    .kernarg_segment_size: 112
    .language:       OpenCL C
    .language_version:
      - 2
      - 0
    .max_flat_workgroup_size: 256
    .name:           _ZN7rocprim17ROCPRIM_400000_NS6detail17trampoline_kernelINS0_14default_configENS1_27scan_by_key_config_selectorIj11FixedVectorIiLj1EEEEZZNS1_16scan_by_key_implILNS1_25lookback_scan_determinismE0ELb1ES3_N6thrust23THRUST_200600_302600_NS6detail15normal_iteratorINSB_10device_ptrIjEEEENSD_INSE_IS6_EEEESI_S6_NSB_4plusIvEENSB_8equal_toIvEES6_EE10hipError_tPvRmT2_T3_T4_T5_mT6_T7_P12ihipStream_tbENKUlT_T0_E_clISt17integral_constantIbLb1EES13_EEDaSY_SZ_EUlSY_E_NS1_11comp_targetILNS1_3genE8ELNS1_11target_archE1030ELNS1_3gpuE2ELNS1_3repE0EEENS1_30default_config_static_selectorELNS0_4arch9wavefront6targetE0EEEvT1_
    .private_segment_fixed_size: 0
    .sgpr_count:     0
    .sgpr_spill_count: 0
    .symbol:         _ZN7rocprim17ROCPRIM_400000_NS6detail17trampoline_kernelINS0_14default_configENS1_27scan_by_key_config_selectorIj11FixedVectorIiLj1EEEEZZNS1_16scan_by_key_implILNS1_25lookback_scan_determinismE0ELb1ES3_N6thrust23THRUST_200600_302600_NS6detail15normal_iteratorINSB_10device_ptrIjEEEENSD_INSE_IS6_EEEESI_S6_NSB_4plusIvEENSB_8equal_toIvEES6_EE10hipError_tPvRmT2_T3_T4_T5_mT6_T7_P12ihipStream_tbENKUlT_T0_E_clISt17integral_constantIbLb1EES13_EEDaSY_SZ_EUlSY_E_NS1_11comp_targetILNS1_3genE8ELNS1_11target_archE1030ELNS1_3gpuE2ELNS1_3repE0EEENS1_30default_config_static_selectorELNS0_4arch9wavefront6targetE0EEEvT1_.kd
    .uniform_work_group_size: 1
    .uses_dynamic_stack: false
    .vgpr_count:     0
    .vgpr_spill_count: 0
    .wavefront_size: 32
    .workgroup_processor_mode: 1
  - .args:
      - .offset:         0
        .size:           112
        .value_kind:     by_value
    .group_segment_fixed_size: 0
    .kernarg_segment_align: 8
    .kernarg_segment_size: 112
    .language:       OpenCL C
    .language_version:
      - 2
      - 0
    .max_flat_workgroup_size: 256
    .name:           _ZN7rocprim17ROCPRIM_400000_NS6detail17trampoline_kernelINS0_14default_configENS1_27scan_by_key_config_selectorIj11FixedVectorIiLj1EEEEZZNS1_16scan_by_key_implILNS1_25lookback_scan_determinismE0ELb1ES3_N6thrust23THRUST_200600_302600_NS6detail15normal_iteratorINSB_10device_ptrIjEEEENSD_INSE_IS6_EEEESI_S6_NSB_4plusIvEENSB_8equal_toIvEES6_EE10hipError_tPvRmT2_T3_T4_T5_mT6_T7_P12ihipStream_tbENKUlT_T0_E_clISt17integral_constantIbLb1EES12_IbLb0EEEEDaSY_SZ_EUlSY_E_NS1_11comp_targetILNS1_3genE0ELNS1_11target_archE4294967295ELNS1_3gpuE0ELNS1_3repE0EEENS1_30default_config_static_selectorELNS0_4arch9wavefront6targetE0EEEvT1_
    .private_segment_fixed_size: 0
    .sgpr_count:     0
    .sgpr_spill_count: 0
    .symbol:         _ZN7rocprim17ROCPRIM_400000_NS6detail17trampoline_kernelINS0_14default_configENS1_27scan_by_key_config_selectorIj11FixedVectorIiLj1EEEEZZNS1_16scan_by_key_implILNS1_25lookback_scan_determinismE0ELb1ES3_N6thrust23THRUST_200600_302600_NS6detail15normal_iteratorINSB_10device_ptrIjEEEENSD_INSE_IS6_EEEESI_S6_NSB_4plusIvEENSB_8equal_toIvEES6_EE10hipError_tPvRmT2_T3_T4_T5_mT6_T7_P12ihipStream_tbENKUlT_T0_E_clISt17integral_constantIbLb1EES12_IbLb0EEEEDaSY_SZ_EUlSY_E_NS1_11comp_targetILNS1_3genE0ELNS1_11target_archE4294967295ELNS1_3gpuE0ELNS1_3repE0EEENS1_30default_config_static_selectorELNS0_4arch9wavefront6targetE0EEEvT1_.kd
    .uniform_work_group_size: 1
    .uses_dynamic_stack: false
    .vgpr_count:     0
    .vgpr_spill_count: 0
    .wavefront_size: 32
    .workgroup_processor_mode: 1
  - .args:
      - .offset:         0
        .size:           112
        .value_kind:     by_value
    .group_segment_fixed_size: 0
    .kernarg_segment_align: 8
    .kernarg_segment_size: 112
    .language:       OpenCL C
    .language_version:
      - 2
      - 0
    .max_flat_workgroup_size: 256
    .name:           _ZN7rocprim17ROCPRIM_400000_NS6detail17trampoline_kernelINS0_14default_configENS1_27scan_by_key_config_selectorIj11FixedVectorIiLj1EEEEZZNS1_16scan_by_key_implILNS1_25lookback_scan_determinismE0ELb1ES3_N6thrust23THRUST_200600_302600_NS6detail15normal_iteratorINSB_10device_ptrIjEEEENSD_INSE_IS6_EEEESI_S6_NSB_4plusIvEENSB_8equal_toIvEES6_EE10hipError_tPvRmT2_T3_T4_T5_mT6_T7_P12ihipStream_tbENKUlT_T0_E_clISt17integral_constantIbLb1EES12_IbLb0EEEEDaSY_SZ_EUlSY_E_NS1_11comp_targetILNS1_3genE10ELNS1_11target_archE1201ELNS1_3gpuE5ELNS1_3repE0EEENS1_30default_config_static_selectorELNS0_4arch9wavefront6targetE0EEEvT1_
    .private_segment_fixed_size: 0
    .sgpr_count:     0
    .sgpr_spill_count: 0
    .symbol:         _ZN7rocprim17ROCPRIM_400000_NS6detail17trampoline_kernelINS0_14default_configENS1_27scan_by_key_config_selectorIj11FixedVectorIiLj1EEEEZZNS1_16scan_by_key_implILNS1_25lookback_scan_determinismE0ELb1ES3_N6thrust23THRUST_200600_302600_NS6detail15normal_iteratorINSB_10device_ptrIjEEEENSD_INSE_IS6_EEEESI_S6_NSB_4plusIvEENSB_8equal_toIvEES6_EE10hipError_tPvRmT2_T3_T4_T5_mT6_T7_P12ihipStream_tbENKUlT_T0_E_clISt17integral_constantIbLb1EES12_IbLb0EEEEDaSY_SZ_EUlSY_E_NS1_11comp_targetILNS1_3genE10ELNS1_11target_archE1201ELNS1_3gpuE5ELNS1_3repE0EEENS1_30default_config_static_selectorELNS0_4arch9wavefront6targetE0EEEvT1_.kd
    .uniform_work_group_size: 1
    .uses_dynamic_stack: false
    .vgpr_count:     0
    .vgpr_spill_count: 0
    .wavefront_size: 32
    .workgroup_processor_mode: 1
  - .args:
      - .offset:         0
        .size:           112
        .value_kind:     by_value
    .group_segment_fixed_size: 0
    .kernarg_segment_align: 8
    .kernarg_segment_size: 112
    .language:       OpenCL C
    .language_version:
      - 2
      - 0
    .max_flat_workgroup_size: 256
    .name:           _ZN7rocprim17ROCPRIM_400000_NS6detail17trampoline_kernelINS0_14default_configENS1_27scan_by_key_config_selectorIj11FixedVectorIiLj1EEEEZZNS1_16scan_by_key_implILNS1_25lookback_scan_determinismE0ELb1ES3_N6thrust23THRUST_200600_302600_NS6detail15normal_iteratorINSB_10device_ptrIjEEEENSD_INSE_IS6_EEEESI_S6_NSB_4plusIvEENSB_8equal_toIvEES6_EE10hipError_tPvRmT2_T3_T4_T5_mT6_T7_P12ihipStream_tbENKUlT_T0_E_clISt17integral_constantIbLb1EES12_IbLb0EEEEDaSY_SZ_EUlSY_E_NS1_11comp_targetILNS1_3genE5ELNS1_11target_archE942ELNS1_3gpuE9ELNS1_3repE0EEENS1_30default_config_static_selectorELNS0_4arch9wavefront6targetE0EEEvT1_
    .private_segment_fixed_size: 0
    .sgpr_count:     0
    .sgpr_spill_count: 0
    .symbol:         _ZN7rocprim17ROCPRIM_400000_NS6detail17trampoline_kernelINS0_14default_configENS1_27scan_by_key_config_selectorIj11FixedVectorIiLj1EEEEZZNS1_16scan_by_key_implILNS1_25lookback_scan_determinismE0ELb1ES3_N6thrust23THRUST_200600_302600_NS6detail15normal_iteratorINSB_10device_ptrIjEEEENSD_INSE_IS6_EEEESI_S6_NSB_4plusIvEENSB_8equal_toIvEES6_EE10hipError_tPvRmT2_T3_T4_T5_mT6_T7_P12ihipStream_tbENKUlT_T0_E_clISt17integral_constantIbLb1EES12_IbLb0EEEEDaSY_SZ_EUlSY_E_NS1_11comp_targetILNS1_3genE5ELNS1_11target_archE942ELNS1_3gpuE9ELNS1_3repE0EEENS1_30default_config_static_selectorELNS0_4arch9wavefront6targetE0EEEvT1_.kd
    .uniform_work_group_size: 1
    .uses_dynamic_stack: false
    .vgpr_count:     0
    .vgpr_spill_count: 0
    .wavefront_size: 32
    .workgroup_processor_mode: 1
  - .args:
      - .offset:         0
        .size:           112
        .value_kind:     by_value
    .group_segment_fixed_size: 0
    .kernarg_segment_align: 8
    .kernarg_segment_size: 112
    .language:       OpenCL C
    .language_version:
      - 2
      - 0
    .max_flat_workgroup_size: 256
    .name:           _ZN7rocprim17ROCPRIM_400000_NS6detail17trampoline_kernelINS0_14default_configENS1_27scan_by_key_config_selectorIj11FixedVectorIiLj1EEEEZZNS1_16scan_by_key_implILNS1_25lookback_scan_determinismE0ELb1ES3_N6thrust23THRUST_200600_302600_NS6detail15normal_iteratorINSB_10device_ptrIjEEEENSD_INSE_IS6_EEEESI_S6_NSB_4plusIvEENSB_8equal_toIvEES6_EE10hipError_tPvRmT2_T3_T4_T5_mT6_T7_P12ihipStream_tbENKUlT_T0_E_clISt17integral_constantIbLb1EES12_IbLb0EEEEDaSY_SZ_EUlSY_E_NS1_11comp_targetILNS1_3genE4ELNS1_11target_archE910ELNS1_3gpuE8ELNS1_3repE0EEENS1_30default_config_static_selectorELNS0_4arch9wavefront6targetE0EEEvT1_
    .private_segment_fixed_size: 0
    .sgpr_count:     0
    .sgpr_spill_count: 0
    .symbol:         _ZN7rocprim17ROCPRIM_400000_NS6detail17trampoline_kernelINS0_14default_configENS1_27scan_by_key_config_selectorIj11FixedVectorIiLj1EEEEZZNS1_16scan_by_key_implILNS1_25lookback_scan_determinismE0ELb1ES3_N6thrust23THRUST_200600_302600_NS6detail15normal_iteratorINSB_10device_ptrIjEEEENSD_INSE_IS6_EEEESI_S6_NSB_4plusIvEENSB_8equal_toIvEES6_EE10hipError_tPvRmT2_T3_T4_T5_mT6_T7_P12ihipStream_tbENKUlT_T0_E_clISt17integral_constantIbLb1EES12_IbLb0EEEEDaSY_SZ_EUlSY_E_NS1_11comp_targetILNS1_3genE4ELNS1_11target_archE910ELNS1_3gpuE8ELNS1_3repE0EEENS1_30default_config_static_selectorELNS0_4arch9wavefront6targetE0EEEvT1_.kd
    .uniform_work_group_size: 1
    .uses_dynamic_stack: false
    .vgpr_count:     0
    .vgpr_spill_count: 0
    .wavefront_size: 32
    .workgroup_processor_mode: 1
  - .args:
      - .offset:         0
        .size:           112
        .value_kind:     by_value
    .group_segment_fixed_size: 0
    .kernarg_segment_align: 8
    .kernarg_segment_size: 112
    .language:       OpenCL C
    .language_version:
      - 2
      - 0
    .max_flat_workgroup_size: 256
    .name:           _ZN7rocprim17ROCPRIM_400000_NS6detail17trampoline_kernelINS0_14default_configENS1_27scan_by_key_config_selectorIj11FixedVectorIiLj1EEEEZZNS1_16scan_by_key_implILNS1_25lookback_scan_determinismE0ELb1ES3_N6thrust23THRUST_200600_302600_NS6detail15normal_iteratorINSB_10device_ptrIjEEEENSD_INSE_IS6_EEEESI_S6_NSB_4plusIvEENSB_8equal_toIvEES6_EE10hipError_tPvRmT2_T3_T4_T5_mT6_T7_P12ihipStream_tbENKUlT_T0_E_clISt17integral_constantIbLb1EES12_IbLb0EEEEDaSY_SZ_EUlSY_E_NS1_11comp_targetILNS1_3genE3ELNS1_11target_archE908ELNS1_3gpuE7ELNS1_3repE0EEENS1_30default_config_static_selectorELNS0_4arch9wavefront6targetE0EEEvT1_
    .private_segment_fixed_size: 0
    .sgpr_count:     0
    .sgpr_spill_count: 0
    .symbol:         _ZN7rocprim17ROCPRIM_400000_NS6detail17trampoline_kernelINS0_14default_configENS1_27scan_by_key_config_selectorIj11FixedVectorIiLj1EEEEZZNS1_16scan_by_key_implILNS1_25lookback_scan_determinismE0ELb1ES3_N6thrust23THRUST_200600_302600_NS6detail15normal_iteratorINSB_10device_ptrIjEEEENSD_INSE_IS6_EEEESI_S6_NSB_4plusIvEENSB_8equal_toIvEES6_EE10hipError_tPvRmT2_T3_T4_T5_mT6_T7_P12ihipStream_tbENKUlT_T0_E_clISt17integral_constantIbLb1EES12_IbLb0EEEEDaSY_SZ_EUlSY_E_NS1_11comp_targetILNS1_3genE3ELNS1_11target_archE908ELNS1_3gpuE7ELNS1_3repE0EEENS1_30default_config_static_selectorELNS0_4arch9wavefront6targetE0EEEvT1_.kd
    .uniform_work_group_size: 1
    .uses_dynamic_stack: false
    .vgpr_count:     0
    .vgpr_spill_count: 0
    .wavefront_size: 32
    .workgroup_processor_mode: 1
  - .args:
      - .offset:         0
        .size:           112
        .value_kind:     by_value
    .group_segment_fixed_size: 0
    .kernarg_segment_align: 8
    .kernarg_segment_size: 112
    .language:       OpenCL C
    .language_version:
      - 2
      - 0
    .max_flat_workgroup_size: 256
    .name:           _ZN7rocprim17ROCPRIM_400000_NS6detail17trampoline_kernelINS0_14default_configENS1_27scan_by_key_config_selectorIj11FixedVectorIiLj1EEEEZZNS1_16scan_by_key_implILNS1_25lookback_scan_determinismE0ELb1ES3_N6thrust23THRUST_200600_302600_NS6detail15normal_iteratorINSB_10device_ptrIjEEEENSD_INSE_IS6_EEEESI_S6_NSB_4plusIvEENSB_8equal_toIvEES6_EE10hipError_tPvRmT2_T3_T4_T5_mT6_T7_P12ihipStream_tbENKUlT_T0_E_clISt17integral_constantIbLb1EES12_IbLb0EEEEDaSY_SZ_EUlSY_E_NS1_11comp_targetILNS1_3genE2ELNS1_11target_archE906ELNS1_3gpuE6ELNS1_3repE0EEENS1_30default_config_static_selectorELNS0_4arch9wavefront6targetE0EEEvT1_
    .private_segment_fixed_size: 0
    .sgpr_count:     0
    .sgpr_spill_count: 0
    .symbol:         _ZN7rocprim17ROCPRIM_400000_NS6detail17trampoline_kernelINS0_14default_configENS1_27scan_by_key_config_selectorIj11FixedVectorIiLj1EEEEZZNS1_16scan_by_key_implILNS1_25lookback_scan_determinismE0ELb1ES3_N6thrust23THRUST_200600_302600_NS6detail15normal_iteratorINSB_10device_ptrIjEEEENSD_INSE_IS6_EEEESI_S6_NSB_4plusIvEENSB_8equal_toIvEES6_EE10hipError_tPvRmT2_T3_T4_T5_mT6_T7_P12ihipStream_tbENKUlT_T0_E_clISt17integral_constantIbLb1EES12_IbLb0EEEEDaSY_SZ_EUlSY_E_NS1_11comp_targetILNS1_3genE2ELNS1_11target_archE906ELNS1_3gpuE6ELNS1_3repE0EEENS1_30default_config_static_selectorELNS0_4arch9wavefront6targetE0EEEvT1_.kd
    .uniform_work_group_size: 1
    .uses_dynamic_stack: false
    .vgpr_count:     0
    .vgpr_spill_count: 0
    .wavefront_size: 32
    .workgroup_processor_mode: 1
  - .args:
      - .offset:         0
        .size:           112
        .value_kind:     by_value
    .group_segment_fixed_size: 0
    .kernarg_segment_align: 8
    .kernarg_segment_size: 112
    .language:       OpenCL C
    .language_version:
      - 2
      - 0
    .max_flat_workgroup_size: 256
    .name:           _ZN7rocprim17ROCPRIM_400000_NS6detail17trampoline_kernelINS0_14default_configENS1_27scan_by_key_config_selectorIj11FixedVectorIiLj1EEEEZZNS1_16scan_by_key_implILNS1_25lookback_scan_determinismE0ELb1ES3_N6thrust23THRUST_200600_302600_NS6detail15normal_iteratorINSB_10device_ptrIjEEEENSD_INSE_IS6_EEEESI_S6_NSB_4plusIvEENSB_8equal_toIvEES6_EE10hipError_tPvRmT2_T3_T4_T5_mT6_T7_P12ihipStream_tbENKUlT_T0_E_clISt17integral_constantIbLb1EES12_IbLb0EEEEDaSY_SZ_EUlSY_E_NS1_11comp_targetILNS1_3genE10ELNS1_11target_archE1200ELNS1_3gpuE4ELNS1_3repE0EEENS1_30default_config_static_selectorELNS0_4arch9wavefront6targetE0EEEvT1_
    .private_segment_fixed_size: 0
    .sgpr_count:     0
    .sgpr_spill_count: 0
    .symbol:         _ZN7rocprim17ROCPRIM_400000_NS6detail17trampoline_kernelINS0_14default_configENS1_27scan_by_key_config_selectorIj11FixedVectorIiLj1EEEEZZNS1_16scan_by_key_implILNS1_25lookback_scan_determinismE0ELb1ES3_N6thrust23THRUST_200600_302600_NS6detail15normal_iteratorINSB_10device_ptrIjEEEENSD_INSE_IS6_EEEESI_S6_NSB_4plusIvEENSB_8equal_toIvEES6_EE10hipError_tPvRmT2_T3_T4_T5_mT6_T7_P12ihipStream_tbENKUlT_T0_E_clISt17integral_constantIbLb1EES12_IbLb0EEEEDaSY_SZ_EUlSY_E_NS1_11comp_targetILNS1_3genE10ELNS1_11target_archE1200ELNS1_3gpuE4ELNS1_3repE0EEENS1_30default_config_static_selectorELNS0_4arch9wavefront6targetE0EEEvT1_.kd
    .uniform_work_group_size: 1
    .uses_dynamic_stack: false
    .vgpr_count:     0
    .vgpr_spill_count: 0
    .wavefront_size: 32
    .workgroup_processor_mode: 1
  - .args:
      - .offset:         0
        .size:           112
        .value_kind:     by_value
    .group_segment_fixed_size: 0
    .kernarg_segment_align: 8
    .kernarg_segment_size: 112
    .language:       OpenCL C
    .language_version:
      - 2
      - 0
    .max_flat_workgroup_size: 256
    .name:           _ZN7rocprim17ROCPRIM_400000_NS6detail17trampoline_kernelINS0_14default_configENS1_27scan_by_key_config_selectorIj11FixedVectorIiLj1EEEEZZNS1_16scan_by_key_implILNS1_25lookback_scan_determinismE0ELb1ES3_N6thrust23THRUST_200600_302600_NS6detail15normal_iteratorINSB_10device_ptrIjEEEENSD_INSE_IS6_EEEESI_S6_NSB_4plusIvEENSB_8equal_toIvEES6_EE10hipError_tPvRmT2_T3_T4_T5_mT6_T7_P12ihipStream_tbENKUlT_T0_E_clISt17integral_constantIbLb1EES12_IbLb0EEEEDaSY_SZ_EUlSY_E_NS1_11comp_targetILNS1_3genE9ELNS1_11target_archE1100ELNS1_3gpuE3ELNS1_3repE0EEENS1_30default_config_static_selectorELNS0_4arch9wavefront6targetE0EEEvT1_
    .private_segment_fixed_size: 0
    .sgpr_count:     0
    .sgpr_spill_count: 0
    .symbol:         _ZN7rocprim17ROCPRIM_400000_NS6detail17trampoline_kernelINS0_14default_configENS1_27scan_by_key_config_selectorIj11FixedVectorIiLj1EEEEZZNS1_16scan_by_key_implILNS1_25lookback_scan_determinismE0ELb1ES3_N6thrust23THRUST_200600_302600_NS6detail15normal_iteratorINSB_10device_ptrIjEEEENSD_INSE_IS6_EEEESI_S6_NSB_4plusIvEENSB_8equal_toIvEES6_EE10hipError_tPvRmT2_T3_T4_T5_mT6_T7_P12ihipStream_tbENKUlT_T0_E_clISt17integral_constantIbLb1EES12_IbLb0EEEEDaSY_SZ_EUlSY_E_NS1_11comp_targetILNS1_3genE9ELNS1_11target_archE1100ELNS1_3gpuE3ELNS1_3repE0EEENS1_30default_config_static_selectorELNS0_4arch9wavefront6targetE0EEEvT1_.kd
    .uniform_work_group_size: 1
    .uses_dynamic_stack: false
    .vgpr_count:     0
    .vgpr_spill_count: 0
    .wavefront_size: 32
    .workgroup_processor_mode: 1
  - .args:
      - .offset:         0
        .size:           112
        .value_kind:     by_value
    .group_segment_fixed_size: 0
    .kernarg_segment_align: 8
    .kernarg_segment_size: 112
    .language:       OpenCL C
    .language_version:
      - 2
      - 0
    .max_flat_workgroup_size: 256
    .name:           _ZN7rocprim17ROCPRIM_400000_NS6detail17trampoline_kernelINS0_14default_configENS1_27scan_by_key_config_selectorIj11FixedVectorIiLj1EEEEZZNS1_16scan_by_key_implILNS1_25lookback_scan_determinismE0ELb1ES3_N6thrust23THRUST_200600_302600_NS6detail15normal_iteratorINSB_10device_ptrIjEEEENSD_INSE_IS6_EEEESI_S6_NSB_4plusIvEENSB_8equal_toIvEES6_EE10hipError_tPvRmT2_T3_T4_T5_mT6_T7_P12ihipStream_tbENKUlT_T0_E_clISt17integral_constantIbLb1EES12_IbLb0EEEEDaSY_SZ_EUlSY_E_NS1_11comp_targetILNS1_3genE8ELNS1_11target_archE1030ELNS1_3gpuE2ELNS1_3repE0EEENS1_30default_config_static_selectorELNS0_4arch9wavefront6targetE0EEEvT1_
    .private_segment_fixed_size: 0
    .sgpr_count:     0
    .sgpr_spill_count: 0
    .symbol:         _ZN7rocprim17ROCPRIM_400000_NS6detail17trampoline_kernelINS0_14default_configENS1_27scan_by_key_config_selectorIj11FixedVectorIiLj1EEEEZZNS1_16scan_by_key_implILNS1_25lookback_scan_determinismE0ELb1ES3_N6thrust23THRUST_200600_302600_NS6detail15normal_iteratorINSB_10device_ptrIjEEEENSD_INSE_IS6_EEEESI_S6_NSB_4plusIvEENSB_8equal_toIvEES6_EE10hipError_tPvRmT2_T3_T4_T5_mT6_T7_P12ihipStream_tbENKUlT_T0_E_clISt17integral_constantIbLb1EES12_IbLb0EEEEDaSY_SZ_EUlSY_E_NS1_11comp_targetILNS1_3genE8ELNS1_11target_archE1030ELNS1_3gpuE2ELNS1_3repE0EEENS1_30default_config_static_selectorELNS0_4arch9wavefront6targetE0EEEvT1_.kd
    .uniform_work_group_size: 1
    .uses_dynamic_stack: false
    .vgpr_count:     0
    .vgpr_spill_count: 0
    .wavefront_size: 32
    .workgroup_processor_mode: 1
  - .args:
      - .offset:         0
        .size:           112
        .value_kind:     by_value
    .group_segment_fixed_size: 0
    .kernarg_segment_align: 8
    .kernarg_segment_size: 112
    .language:       OpenCL C
    .language_version:
      - 2
      - 0
    .max_flat_workgroup_size: 256
    .name:           _ZN7rocprim17ROCPRIM_400000_NS6detail17trampoline_kernelINS0_14default_configENS1_27scan_by_key_config_selectorIj11FixedVectorIiLj1EEEEZZNS1_16scan_by_key_implILNS1_25lookback_scan_determinismE0ELb1ES3_N6thrust23THRUST_200600_302600_NS6detail15normal_iteratorINSB_10device_ptrIjEEEENSD_INSE_IS6_EEEESI_S6_NSB_4plusIvEENSB_8equal_toIvEES6_EE10hipError_tPvRmT2_T3_T4_T5_mT6_T7_P12ihipStream_tbENKUlT_T0_E_clISt17integral_constantIbLb0EES12_IbLb1EEEEDaSY_SZ_EUlSY_E_NS1_11comp_targetILNS1_3genE0ELNS1_11target_archE4294967295ELNS1_3gpuE0ELNS1_3repE0EEENS1_30default_config_static_selectorELNS0_4arch9wavefront6targetE0EEEvT1_
    .private_segment_fixed_size: 0
    .sgpr_count:     0
    .sgpr_spill_count: 0
    .symbol:         _ZN7rocprim17ROCPRIM_400000_NS6detail17trampoline_kernelINS0_14default_configENS1_27scan_by_key_config_selectorIj11FixedVectorIiLj1EEEEZZNS1_16scan_by_key_implILNS1_25lookback_scan_determinismE0ELb1ES3_N6thrust23THRUST_200600_302600_NS6detail15normal_iteratorINSB_10device_ptrIjEEEENSD_INSE_IS6_EEEESI_S6_NSB_4plusIvEENSB_8equal_toIvEES6_EE10hipError_tPvRmT2_T3_T4_T5_mT6_T7_P12ihipStream_tbENKUlT_T0_E_clISt17integral_constantIbLb0EES12_IbLb1EEEEDaSY_SZ_EUlSY_E_NS1_11comp_targetILNS1_3genE0ELNS1_11target_archE4294967295ELNS1_3gpuE0ELNS1_3repE0EEENS1_30default_config_static_selectorELNS0_4arch9wavefront6targetE0EEEvT1_.kd
    .uniform_work_group_size: 1
    .uses_dynamic_stack: false
    .vgpr_count:     0
    .vgpr_spill_count: 0
    .wavefront_size: 32
    .workgroup_processor_mode: 1
  - .args:
      - .offset:         0
        .size:           112
        .value_kind:     by_value
    .group_segment_fixed_size: 0
    .kernarg_segment_align: 8
    .kernarg_segment_size: 112
    .language:       OpenCL C
    .language_version:
      - 2
      - 0
    .max_flat_workgroup_size: 256
    .name:           _ZN7rocprim17ROCPRIM_400000_NS6detail17trampoline_kernelINS0_14default_configENS1_27scan_by_key_config_selectorIj11FixedVectorIiLj1EEEEZZNS1_16scan_by_key_implILNS1_25lookback_scan_determinismE0ELb1ES3_N6thrust23THRUST_200600_302600_NS6detail15normal_iteratorINSB_10device_ptrIjEEEENSD_INSE_IS6_EEEESI_S6_NSB_4plusIvEENSB_8equal_toIvEES6_EE10hipError_tPvRmT2_T3_T4_T5_mT6_T7_P12ihipStream_tbENKUlT_T0_E_clISt17integral_constantIbLb0EES12_IbLb1EEEEDaSY_SZ_EUlSY_E_NS1_11comp_targetILNS1_3genE10ELNS1_11target_archE1201ELNS1_3gpuE5ELNS1_3repE0EEENS1_30default_config_static_selectorELNS0_4arch9wavefront6targetE0EEEvT1_
    .private_segment_fixed_size: 0
    .sgpr_count:     0
    .sgpr_spill_count: 0
    .symbol:         _ZN7rocprim17ROCPRIM_400000_NS6detail17trampoline_kernelINS0_14default_configENS1_27scan_by_key_config_selectorIj11FixedVectorIiLj1EEEEZZNS1_16scan_by_key_implILNS1_25lookback_scan_determinismE0ELb1ES3_N6thrust23THRUST_200600_302600_NS6detail15normal_iteratorINSB_10device_ptrIjEEEENSD_INSE_IS6_EEEESI_S6_NSB_4plusIvEENSB_8equal_toIvEES6_EE10hipError_tPvRmT2_T3_T4_T5_mT6_T7_P12ihipStream_tbENKUlT_T0_E_clISt17integral_constantIbLb0EES12_IbLb1EEEEDaSY_SZ_EUlSY_E_NS1_11comp_targetILNS1_3genE10ELNS1_11target_archE1201ELNS1_3gpuE5ELNS1_3repE0EEENS1_30default_config_static_selectorELNS0_4arch9wavefront6targetE0EEEvT1_.kd
    .uniform_work_group_size: 1
    .uses_dynamic_stack: false
    .vgpr_count:     0
    .vgpr_spill_count: 0
    .wavefront_size: 32
    .workgroup_processor_mode: 1
  - .args:
      - .offset:         0
        .size:           112
        .value_kind:     by_value
    .group_segment_fixed_size: 0
    .kernarg_segment_align: 8
    .kernarg_segment_size: 112
    .language:       OpenCL C
    .language_version:
      - 2
      - 0
    .max_flat_workgroup_size: 256
    .name:           _ZN7rocprim17ROCPRIM_400000_NS6detail17trampoline_kernelINS0_14default_configENS1_27scan_by_key_config_selectorIj11FixedVectorIiLj1EEEEZZNS1_16scan_by_key_implILNS1_25lookback_scan_determinismE0ELb1ES3_N6thrust23THRUST_200600_302600_NS6detail15normal_iteratorINSB_10device_ptrIjEEEENSD_INSE_IS6_EEEESI_S6_NSB_4plusIvEENSB_8equal_toIvEES6_EE10hipError_tPvRmT2_T3_T4_T5_mT6_T7_P12ihipStream_tbENKUlT_T0_E_clISt17integral_constantIbLb0EES12_IbLb1EEEEDaSY_SZ_EUlSY_E_NS1_11comp_targetILNS1_3genE5ELNS1_11target_archE942ELNS1_3gpuE9ELNS1_3repE0EEENS1_30default_config_static_selectorELNS0_4arch9wavefront6targetE0EEEvT1_
    .private_segment_fixed_size: 0
    .sgpr_count:     0
    .sgpr_spill_count: 0
    .symbol:         _ZN7rocprim17ROCPRIM_400000_NS6detail17trampoline_kernelINS0_14default_configENS1_27scan_by_key_config_selectorIj11FixedVectorIiLj1EEEEZZNS1_16scan_by_key_implILNS1_25lookback_scan_determinismE0ELb1ES3_N6thrust23THRUST_200600_302600_NS6detail15normal_iteratorINSB_10device_ptrIjEEEENSD_INSE_IS6_EEEESI_S6_NSB_4plusIvEENSB_8equal_toIvEES6_EE10hipError_tPvRmT2_T3_T4_T5_mT6_T7_P12ihipStream_tbENKUlT_T0_E_clISt17integral_constantIbLb0EES12_IbLb1EEEEDaSY_SZ_EUlSY_E_NS1_11comp_targetILNS1_3genE5ELNS1_11target_archE942ELNS1_3gpuE9ELNS1_3repE0EEENS1_30default_config_static_selectorELNS0_4arch9wavefront6targetE0EEEvT1_.kd
    .uniform_work_group_size: 1
    .uses_dynamic_stack: false
    .vgpr_count:     0
    .vgpr_spill_count: 0
    .wavefront_size: 32
    .workgroup_processor_mode: 1
  - .args:
      - .offset:         0
        .size:           112
        .value_kind:     by_value
    .group_segment_fixed_size: 0
    .kernarg_segment_align: 8
    .kernarg_segment_size: 112
    .language:       OpenCL C
    .language_version:
      - 2
      - 0
    .max_flat_workgroup_size: 256
    .name:           _ZN7rocprim17ROCPRIM_400000_NS6detail17trampoline_kernelINS0_14default_configENS1_27scan_by_key_config_selectorIj11FixedVectorIiLj1EEEEZZNS1_16scan_by_key_implILNS1_25lookback_scan_determinismE0ELb1ES3_N6thrust23THRUST_200600_302600_NS6detail15normal_iteratorINSB_10device_ptrIjEEEENSD_INSE_IS6_EEEESI_S6_NSB_4plusIvEENSB_8equal_toIvEES6_EE10hipError_tPvRmT2_T3_T4_T5_mT6_T7_P12ihipStream_tbENKUlT_T0_E_clISt17integral_constantIbLb0EES12_IbLb1EEEEDaSY_SZ_EUlSY_E_NS1_11comp_targetILNS1_3genE4ELNS1_11target_archE910ELNS1_3gpuE8ELNS1_3repE0EEENS1_30default_config_static_selectorELNS0_4arch9wavefront6targetE0EEEvT1_
    .private_segment_fixed_size: 0
    .sgpr_count:     0
    .sgpr_spill_count: 0
    .symbol:         _ZN7rocprim17ROCPRIM_400000_NS6detail17trampoline_kernelINS0_14default_configENS1_27scan_by_key_config_selectorIj11FixedVectorIiLj1EEEEZZNS1_16scan_by_key_implILNS1_25lookback_scan_determinismE0ELb1ES3_N6thrust23THRUST_200600_302600_NS6detail15normal_iteratorINSB_10device_ptrIjEEEENSD_INSE_IS6_EEEESI_S6_NSB_4plusIvEENSB_8equal_toIvEES6_EE10hipError_tPvRmT2_T3_T4_T5_mT6_T7_P12ihipStream_tbENKUlT_T0_E_clISt17integral_constantIbLb0EES12_IbLb1EEEEDaSY_SZ_EUlSY_E_NS1_11comp_targetILNS1_3genE4ELNS1_11target_archE910ELNS1_3gpuE8ELNS1_3repE0EEENS1_30default_config_static_selectorELNS0_4arch9wavefront6targetE0EEEvT1_.kd
    .uniform_work_group_size: 1
    .uses_dynamic_stack: false
    .vgpr_count:     0
    .vgpr_spill_count: 0
    .wavefront_size: 32
    .workgroup_processor_mode: 1
  - .args:
      - .offset:         0
        .size:           112
        .value_kind:     by_value
    .group_segment_fixed_size: 0
    .kernarg_segment_align: 8
    .kernarg_segment_size: 112
    .language:       OpenCL C
    .language_version:
      - 2
      - 0
    .max_flat_workgroup_size: 256
    .name:           _ZN7rocprim17ROCPRIM_400000_NS6detail17trampoline_kernelINS0_14default_configENS1_27scan_by_key_config_selectorIj11FixedVectorIiLj1EEEEZZNS1_16scan_by_key_implILNS1_25lookback_scan_determinismE0ELb1ES3_N6thrust23THRUST_200600_302600_NS6detail15normal_iteratorINSB_10device_ptrIjEEEENSD_INSE_IS6_EEEESI_S6_NSB_4plusIvEENSB_8equal_toIvEES6_EE10hipError_tPvRmT2_T3_T4_T5_mT6_T7_P12ihipStream_tbENKUlT_T0_E_clISt17integral_constantIbLb0EES12_IbLb1EEEEDaSY_SZ_EUlSY_E_NS1_11comp_targetILNS1_3genE3ELNS1_11target_archE908ELNS1_3gpuE7ELNS1_3repE0EEENS1_30default_config_static_selectorELNS0_4arch9wavefront6targetE0EEEvT1_
    .private_segment_fixed_size: 0
    .sgpr_count:     0
    .sgpr_spill_count: 0
    .symbol:         _ZN7rocprim17ROCPRIM_400000_NS6detail17trampoline_kernelINS0_14default_configENS1_27scan_by_key_config_selectorIj11FixedVectorIiLj1EEEEZZNS1_16scan_by_key_implILNS1_25lookback_scan_determinismE0ELb1ES3_N6thrust23THRUST_200600_302600_NS6detail15normal_iteratorINSB_10device_ptrIjEEEENSD_INSE_IS6_EEEESI_S6_NSB_4plusIvEENSB_8equal_toIvEES6_EE10hipError_tPvRmT2_T3_T4_T5_mT6_T7_P12ihipStream_tbENKUlT_T0_E_clISt17integral_constantIbLb0EES12_IbLb1EEEEDaSY_SZ_EUlSY_E_NS1_11comp_targetILNS1_3genE3ELNS1_11target_archE908ELNS1_3gpuE7ELNS1_3repE0EEENS1_30default_config_static_selectorELNS0_4arch9wavefront6targetE0EEEvT1_.kd
    .uniform_work_group_size: 1
    .uses_dynamic_stack: false
    .vgpr_count:     0
    .vgpr_spill_count: 0
    .wavefront_size: 32
    .workgroup_processor_mode: 1
  - .args:
      - .offset:         0
        .size:           112
        .value_kind:     by_value
    .group_segment_fixed_size: 0
    .kernarg_segment_align: 8
    .kernarg_segment_size: 112
    .language:       OpenCL C
    .language_version:
      - 2
      - 0
    .max_flat_workgroup_size: 256
    .name:           _ZN7rocprim17ROCPRIM_400000_NS6detail17trampoline_kernelINS0_14default_configENS1_27scan_by_key_config_selectorIj11FixedVectorIiLj1EEEEZZNS1_16scan_by_key_implILNS1_25lookback_scan_determinismE0ELb1ES3_N6thrust23THRUST_200600_302600_NS6detail15normal_iteratorINSB_10device_ptrIjEEEENSD_INSE_IS6_EEEESI_S6_NSB_4plusIvEENSB_8equal_toIvEES6_EE10hipError_tPvRmT2_T3_T4_T5_mT6_T7_P12ihipStream_tbENKUlT_T0_E_clISt17integral_constantIbLb0EES12_IbLb1EEEEDaSY_SZ_EUlSY_E_NS1_11comp_targetILNS1_3genE2ELNS1_11target_archE906ELNS1_3gpuE6ELNS1_3repE0EEENS1_30default_config_static_selectorELNS0_4arch9wavefront6targetE0EEEvT1_
    .private_segment_fixed_size: 0
    .sgpr_count:     0
    .sgpr_spill_count: 0
    .symbol:         _ZN7rocprim17ROCPRIM_400000_NS6detail17trampoline_kernelINS0_14default_configENS1_27scan_by_key_config_selectorIj11FixedVectorIiLj1EEEEZZNS1_16scan_by_key_implILNS1_25lookback_scan_determinismE0ELb1ES3_N6thrust23THRUST_200600_302600_NS6detail15normal_iteratorINSB_10device_ptrIjEEEENSD_INSE_IS6_EEEESI_S6_NSB_4plusIvEENSB_8equal_toIvEES6_EE10hipError_tPvRmT2_T3_T4_T5_mT6_T7_P12ihipStream_tbENKUlT_T0_E_clISt17integral_constantIbLb0EES12_IbLb1EEEEDaSY_SZ_EUlSY_E_NS1_11comp_targetILNS1_3genE2ELNS1_11target_archE906ELNS1_3gpuE6ELNS1_3repE0EEENS1_30default_config_static_selectorELNS0_4arch9wavefront6targetE0EEEvT1_.kd
    .uniform_work_group_size: 1
    .uses_dynamic_stack: false
    .vgpr_count:     0
    .vgpr_spill_count: 0
    .wavefront_size: 32
    .workgroup_processor_mode: 1
  - .args:
      - .offset:         0
        .size:           112
        .value_kind:     by_value
    .group_segment_fixed_size: 0
    .kernarg_segment_align: 8
    .kernarg_segment_size: 112
    .language:       OpenCL C
    .language_version:
      - 2
      - 0
    .max_flat_workgroup_size: 256
    .name:           _ZN7rocprim17ROCPRIM_400000_NS6detail17trampoline_kernelINS0_14default_configENS1_27scan_by_key_config_selectorIj11FixedVectorIiLj1EEEEZZNS1_16scan_by_key_implILNS1_25lookback_scan_determinismE0ELb1ES3_N6thrust23THRUST_200600_302600_NS6detail15normal_iteratorINSB_10device_ptrIjEEEENSD_INSE_IS6_EEEESI_S6_NSB_4plusIvEENSB_8equal_toIvEES6_EE10hipError_tPvRmT2_T3_T4_T5_mT6_T7_P12ihipStream_tbENKUlT_T0_E_clISt17integral_constantIbLb0EES12_IbLb1EEEEDaSY_SZ_EUlSY_E_NS1_11comp_targetILNS1_3genE10ELNS1_11target_archE1200ELNS1_3gpuE4ELNS1_3repE0EEENS1_30default_config_static_selectorELNS0_4arch9wavefront6targetE0EEEvT1_
    .private_segment_fixed_size: 0
    .sgpr_count:     0
    .sgpr_spill_count: 0
    .symbol:         _ZN7rocprim17ROCPRIM_400000_NS6detail17trampoline_kernelINS0_14default_configENS1_27scan_by_key_config_selectorIj11FixedVectorIiLj1EEEEZZNS1_16scan_by_key_implILNS1_25lookback_scan_determinismE0ELb1ES3_N6thrust23THRUST_200600_302600_NS6detail15normal_iteratorINSB_10device_ptrIjEEEENSD_INSE_IS6_EEEESI_S6_NSB_4plusIvEENSB_8equal_toIvEES6_EE10hipError_tPvRmT2_T3_T4_T5_mT6_T7_P12ihipStream_tbENKUlT_T0_E_clISt17integral_constantIbLb0EES12_IbLb1EEEEDaSY_SZ_EUlSY_E_NS1_11comp_targetILNS1_3genE10ELNS1_11target_archE1200ELNS1_3gpuE4ELNS1_3repE0EEENS1_30default_config_static_selectorELNS0_4arch9wavefront6targetE0EEEvT1_.kd
    .uniform_work_group_size: 1
    .uses_dynamic_stack: false
    .vgpr_count:     0
    .vgpr_spill_count: 0
    .wavefront_size: 32
    .workgroup_processor_mode: 1
  - .args:
      - .offset:         0
        .size:           112
        .value_kind:     by_value
    .group_segment_fixed_size: 0
    .kernarg_segment_align: 8
    .kernarg_segment_size: 112
    .language:       OpenCL C
    .language_version:
      - 2
      - 0
    .max_flat_workgroup_size: 256
    .name:           _ZN7rocprim17ROCPRIM_400000_NS6detail17trampoline_kernelINS0_14default_configENS1_27scan_by_key_config_selectorIj11FixedVectorIiLj1EEEEZZNS1_16scan_by_key_implILNS1_25lookback_scan_determinismE0ELb1ES3_N6thrust23THRUST_200600_302600_NS6detail15normal_iteratorINSB_10device_ptrIjEEEENSD_INSE_IS6_EEEESI_S6_NSB_4plusIvEENSB_8equal_toIvEES6_EE10hipError_tPvRmT2_T3_T4_T5_mT6_T7_P12ihipStream_tbENKUlT_T0_E_clISt17integral_constantIbLb0EES12_IbLb1EEEEDaSY_SZ_EUlSY_E_NS1_11comp_targetILNS1_3genE9ELNS1_11target_archE1100ELNS1_3gpuE3ELNS1_3repE0EEENS1_30default_config_static_selectorELNS0_4arch9wavefront6targetE0EEEvT1_
    .private_segment_fixed_size: 0
    .sgpr_count:     0
    .sgpr_spill_count: 0
    .symbol:         _ZN7rocprim17ROCPRIM_400000_NS6detail17trampoline_kernelINS0_14default_configENS1_27scan_by_key_config_selectorIj11FixedVectorIiLj1EEEEZZNS1_16scan_by_key_implILNS1_25lookback_scan_determinismE0ELb1ES3_N6thrust23THRUST_200600_302600_NS6detail15normal_iteratorINSB_10device_ptrIjEEEENSD_INSE_IS6_EEEESI_S6_NSB_4plusIvEENSB_8equal_toIvEES6_EE10hipError_tPvRmT2_T3_T4_T5_mT6_T7_P12ihipStream_tbENKUlT_T0_E_clISt17integral_constantIbLb0EES12_IbLb1EEEEDaSY_SZ_EUlSY_E_NS1_11comp_targetILNS1_3genE9ELNS1_11target_archE1100ELNS1_3gpuE3ELNS1_3repE0EEENS1_30default_config_static_selectorELNS0_4arch9wavefront6targetE0EEEvT1_.kd
    .uniform_work_group_size: 1
    .uses_dynamic_stack: false
    .vgpr_count:     0
    .vgpr_spill_count: 0
    .wavefront_size: 32
    .workgroup_processor_mode: 1
  - .args:
      - .offset:         0
        .size:           112
        .value_kind:     by_value
    .group_segment_fixed_size: 5120
    .kernarg_segment_align: 8
    .kernarg_segment_size: 112
    .language:       OpenCL C
    .language_version:
      - 2
      - 0
    .max_flat_workgroup_size: 256
    .name:           _ZN7rocprim17ROCPRIM_400000_NS6detail17trampoline_kernelINS0_14default_configENS1_27scan_by_key_config_selectorIj11FixedVectorIiLj1EEEEZZNS1_16scan_by_key_implILNS1_25lookback_scan_determinismE0ELb1ES3_N6thrust23THRUST_200600_302600_NS6detail15normal_iteratorINSB_10device_ptrIjEEEENSD_INSE_IS6_EEEESI_S6_NSB_4plusIvEENSB_8equal_toIvEES6_EE10hipError_tPvRmT2_T3_T4_T5_mT6_T7_P12ihipStream_tbENKUlT_T0_E_clISt17integral_constantIbLb0EES12_IbLb1EEEEDaSY_SZ_EUlSY_E_NS1_11comp_targetILNS1_3genE8ELNS1_11target_archE1030ELNS1_3gpuE2ELNS1_3repE0EEENS1_30default_config_static_selectorELNS0_4arch9wavefront6targetE0EEEvT1_
    .private_segment_fixed_size: 0
    .sgpr_count:     26
    .sgpr_spill_count: 0
    .symbol:         _ZN7rocprim17ROCPRIM_400000_NS6detail17trampoline_kernelINS0_14default_configENS1_27scan_by_key_config_selectorIj11FixedVectorIiLj1EEEEZZNS1_16scan_by_key_implILNS1_25lookback_scan_determinismE0ELb1ES3_N6thrust23THRUST_200600_302600_NS6detail15normal_iteratorINSB_10device_ptrIjEEEENSD_INSE_IS6_EEEESI_S6_NSB_4plusIvEENSB_8equal_toIvEES6_EE10hipError_tPvRmT2_T3_T4_T5_mT6_T7_P12ihipStream_tbENKUlT_T0_E_clISt17integral_constantIbLb0EES12_IbLb1EEEEDaSY_SZ_EUlSY_E_NS1_11comp_targetILNS1_3genE8ELNS1_11target_archE1030ELNS1_3gpuE2ELNS1_3repE0EEENS1_30default_config_static_selectorELNS0_4arch9wavefront6targetE0EEEvT1_.kd
    .uniform_work_group_size: 1
    .uses_dynamic_stack: false
    .vgpr_count:     44
    .vgpr_spill_count: 0
    .wavefront_size: 32
    .workgroup_processor_mode: 1
  - .args:
      - .offset:         0
        .size:           16
        .value_kind:     by_value
      - .offset:         16
        .size:           8
        .value_kind:     by_value
      - .offset:         24
        .size:           8
        .value_kind:     by_value
    .group_segment_fixed_size: 0
    .kernarg_segment_align: 8
    .kernarg_segment_size: 32
    .language:       OpenCL C
    .language_version:
      - 2
      - 0
    .max_flat_workgroup_size: 256
    .name:           _ZN6thrust23THRUST_200600_302600_NS11hip_rocprim14__parallel_for6kernelILj256ENS1_10for_each_fINS0_10device_ptrI11FixedVectorIiLj2EEEENS0_6detail16wrapped_functionINS9_23allocator_traits_detail5gozerEvEEEElLj1EEEvT0_T1_SG_
    .private_segment_fixed_size: 0
    .sgpr_count:     0
    .sgpr_spill_count: 0
    .symbol:         _ZN6thrust23THRUST_200600_302600_NS11hip_rocprim14__parallel_for6kernelILj256ENS1_10for_each_fINS0_10device_ptrI11FixedVectorIiLj2EEEENS0_6detail16wrapped_functionINS9_23allocator_traits_detail5gozerEvEEEElLj1EEEvT0_T1_SG_.kd
    .uniform_work_group_size: 1
    .uses_dynamic_stack: false
    .vgpr_count:     0
    .vgpr_spill_count: 0
    .wavefront_size: 32
    .workgroup_processor_mode: 1
  - .args:
      - .offset:         0
        .size:           16
        .value_kind:     by_value
      - .offset:         16
        .size:           8
        .value_kind:     by_value
      - .offset:         24
        .size:           8
        .value_kind:     by_value
    .group_segment_fixed_size: 0
    .kernarg_segment_align: 8
    .kernarg_segment_size: 32
    .language:       OpenCL C
    .language_version:
      - 2
      - 0
    .max_flat_workgroup_size: 256
    .name:           _ZN6thrust23THRUST_200600_302600_NS11hip_rocprim14__parallel_for6kernelILj256ENS1_10for_each_fINS0_10device_ptrI11FixedVectorIiLj2EEEENS0_6detail16wrapped_functionINS9_23allocator_traits_detail24construct1_via_allocatorINS0_16device_allocatorIS7_EEEEvEEEEmLj1EEEvT0_T1_SJ_
    .private_segment_fixed_size: 0
    .sgpr_count:     14
    .sgpr_spill_count: 0
    .symbol:         _ZN6thrust23THRUST_200600_302600_NS11hip_rocprim14__parallel_for6kernelILj256ENS1_10for_each_fINS0_10device_ptrI11FixedVectorIiLj2EEEENS0_6detail16wrapped_functionINS9_23allocator_traits_detail24construct1_via_allocatorINS0_16device_allocatorIS7_EEEEvEEEEmLj1EEEvT0_T1_SJ_.kd
    .uniform_work_group_size: 1
    .uses_dynamic_stack: false
    .vgpr_count:     4
    .vgpr_spill_count: 0
    .wavefront_size: 32
    .workgroup_processor_mode: 1
  - .args:
      - .address_space:  global
        .offset:         0
        .size:           8
        .value_kind:     global_buffer
      - .offset:         8
        .size:           4
        .value_kind:     by_value
      - .offset:         12
        .size:           4
        .value_kind:     by_value
      - .address_space:  global
        .offset:         16
        .size:           8
        .value_kind:     global_buffer
      - .address_space:  global
        .offset:         24
        .size:           8
        .value_kind:     global_buffer
      - .actual_access:  write_only
        .address_space:  global
        .offset:         32
        .size:           8
        .value_kind:     global_buffer
      - .offset:         40
        .size:           8
        .value_kind:     by_value
      - .offset:         48
        .size:           4
        .value_kind:     by_value
      - .offset:         52
        .size:           1
        .value_kind:     by_value
      - .offset:         56
        .size:           4
        .value_kind:     hidden_block_count_x
      - .offset:         60
        .size:           4
        .value_kind:     hidden_block_count_y
      - .offset:         64
        .size:           4
        .value_kind:     hidden_block_count_z
      - .offset:         68
        .size:           2
        .value_kind:     hidden_group_size_x
      - .offset:         70
        .size:           2
        .value_kind:     hidden_group_size_y
      - .offset:         72
        .size:           2
        .value_kind:     hidden_group_size_z
      - .offset:         74
        .size:           2
        .value_kind:     hidden_remainder_x
      - .offset:         76
        .size:           2
        .value_kind:     hidden_remainder_y
      - .offset:         78
        .size:           2
        .value_kind:     hidden_remainder_z
      - .offset:         96
        .size:           8
        .value_kind:     hidden_global_offset_x
      - .offset:         104
        .size:           8
        .value_kind:     hidden_global_offset_y
      - .offset:         112
        .size:           8
        .value_kind:     hidden_global_offset_z
      - .offset:         120
        .size:           2
        .value_kind:     hidden_grid_dims
    .group_segment_fixed_size: 0
    .kernarg_segment_align: 8
    .kernarg_segment_size: 312
    .language:       OpenCL C
    .language_version:
      - 2
      - 0
    .max_flat_workgroup_size: 256
    .name:           _ZN7rocprim17ROCPRIM_400000_NS6detail30init_device_scan_by_key_kernelINS1_19lookback_scan_stateINS0_5tupleIJ11FixedVectorIiLj2EEbEEELb0ELb1EEEN6thrust23THRUST_200600_302600_NS6detail15normal_iteratorINSA_10device_ptrIjEEEEjNS1_16block_id_wrapperIjLb0EEEEEvT_jjPNSI_10value_typeET0_PNSt15iterator_traitsISL_E10value_typeEmT1_T2_
    .private_segment_fixed_size: 0
    .sgpr_count:     19
    .sgpr_spill_count: 0
    .symbol:         _ZN7rocprim17ROCPRIM_400000_NS6detail30init_device_scan_by_key_kernelINS1_19lookback_scan_stateINS0_5tupleIJ11FixedVectorIiLj2EEbEEELb0ELb1EEEN6thrust23THRUST_200600_302600_NS6detail15normal_iteratorINSA_10device_ptrIjEEEEjNS1_16block_id_wrapperIjLb0EEEEEvT_jjPNSI_10value_typeET0_PNSt15iterator_traitsISL_E10value_typeEmT1_T2_.kd
    .uniform_work_group_size: 1
    .uses_dynamic_stack: false
    .vgpr_count:     9
    .vgpr_spill_count: 0
    .wavefront_size: 32
    .workgroup_processor_mode: 1
  - .args:
      - .address_space:  global
        .offset:         0
        .size:           8
        .value_kind:     global_buffer
      - .offset:         8
        .size:           4
        .value_kind:     by_value
      - .offset:         12
        .size:           4
        .value_kind:     by_value
      - .address_space:  global
        .offset:         16
        .size:           8
        .value_kind:     global_buffer
      - .offset:         24
        .size:           1
        .value_kind:     by_value
      - .offset:         32
        .size:           4
        .value_kind:     hidden_block_count_x
      - .offset:         36
        .size:           4
        .value_kind:     hidden_block_count_y
      - .offset:         40
        .size:           4
        .value_kind:     hidden_block_count_z
      - .offset:         44
        .size:           2
        .value_kind:     hidden_group_size_x
      - .offset:         46
        .size:           2
        .value_kind:     hidden_group_size_y
      - .offset:         48
        .size:           2
        .value_kind:     hidden_group_size_z
      - .offset:         50
        .size:           2
        .value_kind:     hidden_remainder_x
      - .offset:         52
        .size:           2
        .value_kind:     hidden_remainder_y
      - .offset:         54
        .size:           2
        .value_kind:     hidden_remainder_z
      - .offset:         72
        .size:           8
        .value_kind:     hidden_global_offset_x
      - .offset:         80
        .size:           8
        .value_kind:     hidden_global_offset_y
      - .offset:         88
        .size:           8
        .value_kind:     hidden_global_offset_z
      - .offset:         96
        .size:           2
        .value_kind:     hidden_grid_dims
    .group_segment_fixed_size: 0
    .kernarg_segment_align: 8
    .kernarg_segment_size: 288
    .language:       OpenCL C
    .language_version:
      - 2
      - 0
    .max_flat_workgroup_size: 256
    .name:           _ZN7rocprim17ROCPRIM_400000_NS6detail30init_device_scan_by_key_kernelINS1_19lookback_scan_stateINS0_5tupleIJ11FixedVectorIiLj2EEbEEELb0ELb1EEENS1_16block_id_wrapperIjLb0EEEEEvT_jjPNSB_10value_typeET0_
    .private_segment_fixed_size: 0
    .sgpr_count:     12
    .sgpr_spill_count: 0
    .symbol:         _ZN7rocprim17ROCPRIM_400000_NS6detail30init_device_scan_by_key_kernelINS1_19lookback_scan_stateINS0_5tupleIJ11FixedVectorIiLj2EEbEEELb0ELb1EEENS1_16block_id_wrapperIjLb0EEEEEvT_jjPNSB_10value_typeET0_.kd
    .uniform_work_group_size: 1
    .uses_dynamic_stack: false
    .vgpr_count:     9
    .vgpr_spill_count: 0
    .wavefront_size: 32
    .workgroup_processor_mode: 1
  - .args:
      - .offset:         0
        .size:           120
        .value_kind:     by_value
    .group_segment_fixed_size: 0
    .kernarg_segment_align: 8
    .kernarg_segment_size: 120
    .language:       OpenCL C
    .language_version:
      - 2
      - 0
    .max_flat_workgroup_size: 128
    .name:           _ZN7rocprim17ROCPRIM_400000_NS6detail17trampoline_kernelINS0_14default_configENS1_27scan_by_key_config_selectorIj11FixedVectorIiLj2EEEEZZNS1_16scan_by_key_implILNS1_25lookback_scan_determinismE0ELb0ES3_N6thrust23THRUST_200600_302600_NS6detail15normal_iteratorINSB_10device_ptrIjEEEENSD_INSE_IS6_EEEESI_S6_NSB_4plusIvEENSB_8equal_toIvEES6_EE10hipError_tPvRmT2_T3_T4_T5_mT6_T7_P12ihipStream_tbENKUlT_T0_E_clISt17integral_constantIbLb0EES13_EEDaSY_SZ_EUlSY_E_NS1_11comp_targetILNS1_3genE0ELNS1_11target_archE4294967295ELNS1_3gpuE0ELNS1_3repE0EEENS1_30default_config_static_selectorELNS0_4arch9wavefront6targetE0EEEvT1_
    .private_segment_fixed_size: 0
    .sgpr_count:     0
    .sgpr_spill_count: 0
    .symbol:         _ZN7rocprim17ROCPRIM_400000_NS6detail17trampoline_kernelINS0_14default_configENS1_27scan_by_key_config_selectorIj11FixedVectorIiLj2EEEEZZNS1_16scan_by_key_implILNS1_25lookback_scan_determinismE0ELb0ES3_N6thrust23THRUST_200600_302600_NS6detail15normal_iteratorINSB_10device_ptrIjEEEENSD_INSE_IS6_EEEESI_S6_NSB_4plusIvEENSB_8equal_toIvEES6_EE10hipError_tPvRmT2_T3_T4_T5_mT6_T7_P12ihipStream_tbENKUlT_T0_E_clISt17integral_constantIbLb0EES13_EEDaSY_SZ_EUlSY_E_NS1_11comp_targetILNS1_3genE0ELNS1_11target_archE4294967295ELNS1_3gpuE0ELNS1_3repE0EEENS1_30default_config_static_selectorELNS0_4arch9wavefront6targetE0EEEvT1_.kd
    .uniform_work_group_size: 1
    .uses_dynamic_stack: false
    .vgpr_count:     0
    .vgpr_spill_count: 0
    .wavefront_size: 32
    .workgroup_processor_mode: 1
  - .args:
      - .offset:         0
        .size:           120
        .value_kind:     by_value
    .group_segment_fixed_size: 0
    .kernarg_segment_align: 8
    .kernarg_segment_size: 120
    .language:       OpenCL C
    .language_version:
      - 2
      - 0
    .max_flat_workgroup_size: 256
    .name:           _ZN7rocprim17ROCPRIM_400000_NS6detail17trampoline_kernelINS0_14default_configENS1_27scan_by_key_config_selectorIj11FixedVectorIiLj2EEEEZZNS1_16scan_by_key_implILNS1_25lookback_scan_determinismE0ELb0ES3_N6thrust23THRUST_200600_302600_NS6detail15normal_iteratorINSB_10device_ptrIjEEEENSD_INSE_IS6_EEEESI_S6_NSB_4plusIvEENSB_8equal_toIvEES6_EE10hipError_tPvRmT2_T3_T4_T5_mT6_T7_P12ihipStream_tbENKUlT_T0_E_clISt17integral_constantIbLb0EES13_EEDaSY_SZ_EUlSY_E_NS1_11comp_targetILNS1_3genE10ELNS1_11target_archE1201ELNS1_3gpuE5ELNS1_3repE0EEENS1_30default_config_static_selectorELNS0_4arch9wavefront6targetE0EEEvT1_
    .private_segment_fixed_size: 0
    .sgpr_count:     0
    .sgpr_spill_count: 0
    .symbol:         _ZN7rocprim17ROCPRIM_400000_NS6detail17trampoline_kernelINS0_14default_configENS1_27scan_by_key_config_selectorIj11FixedVectorIiLj2EEEEZZNS1_16scan_by_key_implILNS1_25lookback_scan_determinismE0ELb0ES3_N6thrust23THRUST_200600_302600_NS6detail15normal_iteratorINSB_10device_ptrIjEEEENSD_INSE_IS6_EEEESI_S6_NSB_4plusIvEENSB_8equal_toIvEES6_EE10hipError_tPvRmT2_T3_T4_T5_mT6_T7_P12ihipStream_tbENKUlT_T0_E_clISt17integral_constantIbLb0EES13_EEDaSY_SZ_EUlSY_E_NS1_11comp_targetILNS1_3genE10ELNS1_11target_archE1201ELNS1_3gpuE5ELNS1_3repE0EEENS1_30default_config_static_selectorELNS0_4arch9wavefront6targetE0EEEvT1_.kd
    .uniform_work_group_size: 1
    .uses_dynamic_stack: false
    .vgpr_count:     0
    .vgpr_spill_count: 0
    .wavefront_size: 32
    .workgroup_processor_mode: 1
  - .args:
      - .offset:         0
        .size:           120
        .value_kind:     by_value
    .group_segment_fixed_size: 0
    .kernarg_segment_align: 8
    .kernarg_segment_size: 120
    .language:       OpenCL C
    .language_version:
      - 2
      - 0
    .max_flat_workgroup_size: 256
    .name:           _ZN7rocprim17ROCPRIM_400000_NS6detail17trampoline_kernelINS0_14default_configENS1_27scan_by_key_config_selectorIj11FixedVectorIiLj2EEEEZZNS1_16scan_by_key_implILNS1_25lookback_scan_determinismE0ELb0ES3_N6thrust23THRUST_200600_302600_NS6detail15normal_iteratorINSB_10device_ptrIjEEEENSD_INSE_IS6_EEEESI_S6_NSB_4plusIvEENSB_8equal_toIvEES6_EE10hipError_tPvRmT2_T3_T4_T5_mT6_T7_P12ihipStream_tbENKUlT_T0_E_clISt17integral_constantIbLb0EES13_EEDaSY_SZ_EUlSY_E_NS1_11comp_targetILNS1_3genE5ELNS1_11target_archE942ELNS1_3gpuE9ELNS1_3repE0EEENS1_30default_config_static_selectorELNS0_4arch9wavefront6targetE0EEEvT1_
    .private_segment_fixed_size: 0
    .sgpr_count:     0
    .sgpr_spill_count: 0
    .symbol:         _ZN7rocprim17ROCPRIM_400000_NS6detail17trampoline_kernelINS0_14default_configENS1_27scan_by_key_config_selectorIj11FixedVectorIiLj2EEEEZZNS1_16scan_by_key_implILNS1_25lookback_scan_determinismE0ELb0ES3_N6thrust23THRUST_200600_302600_NS6detail15normal_iteratorINSB_10device_ptrIjEEEENSD_INSE_IS6_EEEESI_S6_NSB_4plusIvEENSB_8equal_toIvEES6_EE10hipError_tPvRmT2_T3_T4_T5_mT6_T7_P12ihipStream_tbENKUlT_T0_E_clISt17integral_constantIbLb0EES13_EEDaSY_SZ_EUlSY_E_NS1_11comp_targetILNS1_3genE5ELNS1_11target_archE942ELNS1_3gpuE9ELNS1_3repE0EEENS1_30default_config_static_selectorELNS0_4arch9wavefront6targetE0EEEvT1_.kd
    .uniform_work_group_size: 1
    .uses_dynamic_stack: false
    .vgpr_count:     0
    .vgpr_spill_count: 0
    .wavefront_size: 32
    .workgroup_processor_mode: 1
  - .args:
      - .offset:         0
        .size:           120
        .value_kind:     by_value
    .group_segment_fixed_size: 0
    .kernarg_segment_align: 8
    .kernarg_segment_size: 120
    .language:       OpenCL C
    .language_version:
      - 2
      - 0
    .max_flat_workgroup_size: 64
    .name:           _ZN7rocprim17ROCPRIM_400000_NS6detail17trampoline_kernelINS0_14default_configENS1_27scan_by_key_config_selectorIj11FixedVectorIiLj2EEEEZZNS1_16scan_by_key_implILNS1_25lookback_scan_determinismE0ELb0ES3_N6thrust23THRUST_200600_302600_NS6detail15normal_iteratorINSB_10device_ptrIjEEEENSD_INSE_IS6_EEEESI_S6_NSB_4plusIvEENSB_8equal_toIvEES6_EE10hipError_tPvRmT2_T3_T4_T5_mT6_T7_P12ihipStream_tbENKUlT_T0_E_clISt17integral_constantIbLb0EES13_EEDaSY_SZ_EUlSY_E_NS1_11comp_targetILNS1_3genE4ELNS1_11target_archE910ELNS1_3gpuE8ELNS1_3repE0EEENS1_30default_config_static_selectorELNS0_4arch9wavefront6targetE0EEEvT1_
    .private_segment_fixed_size: 0
    .sgpr_count:     0
    .sgpr_spill_count: 0
    .symbol:         _ZN7rocprim17ROCPRIM_400000_NS6detail17trampoline_kernelINS0_14default_configENS1_27scan_by_key_config_selectorIj11FixedVectorIiLj2EEEEZZNS1_16scan_by_key_implILNS1_25lookback_scan_determinismE0ELb0ES3_N6thrust23THRUST_200600_302600_NS6detail15normal_iteratorINSB_10device_ptrIjEEEENSD_INSE_IS6_EEEESI_S6_NSB_4plusIvEENSB_8equal_toIvEES6_EE10hipError_tPvRmT2_T3_T4_T5_mT6_T7_P12ihipStream_tbENKUlT_T0_E_clISt17integral_constantIbLb0EES13_EEDaSY_SZ_EUlSY_E_NS1_11comp_targetILNS1_3genE4ELNS1_11target_archE910ELNS1_3gpuE8ELNS1_3repE0EEENS1_30default_config_static_selectorELNS0_4arch9wavefront6targetE0EEEvT1_.kd
    .uniform_work_group_size: 1
    .uses_dynamic_stack: false
    .vgpr_count:     0
    .vgpr_spill_count: 0
    .wavefront_size: 32
    .workgroup_processor_mode: 1
  - .args:
      - .offset:         0
        .size:           120
        .value_kind:     by_value
    .group_segment_fixed_size: 0
    .kernarg_segment_align: 8
    .kernarg_segment_size: 120
    .language:       OpenCL C
    .language_version:
      - 2
      - 0
    .max_flat_workgroup_size: 128
    .name:           _ZN7rocprim17ROCPRIM_400000_NS6detail17trampoline_kernelINS0_14default_configENS1_27scan_by_key_config_selectorIj11FixedVectorIiLj2EEEEZZNS1_16scan_by_key_implILNS1_25lookback_scan_determinismE0ELb0ES3_N6thrust23THRUST_200600_302600_NS6detail15normal_iteratorINSB_10device_ptrIjEEEENSD_INSE_IS6_EEEESI_S6_NSB_4plusIvEENSB_8equal_toIvEES6_EE10hipError_tPvRmT2_T3_T4_T5_mT6_T7_P12ihipStream_tbENKUlT_T0_E_clISt17integral_constantIbLb0EES13_EEDaSY_SZ_EUlSY_E_NS1_11comp_targetILNS1_3genE3ELNS1_11target_archE908ELNS1_3gpuE7ELNS1_3repE0EEENS1_30default_config_static_selectorELNS0_4arch9wavefront6targetE0EEEvT1_
    .private_segment_fixed_size: 0
    .sgpr_count:     0
    .sgpr_spill_count: 0
    .symbol:         _ZN7rocprim17ROCPRIM_400000_NS6detail17trampoline_kernelINS0_14default_configENS1_27scan_by_key_config_selectorIj11FixedVectorIiLj2EEEEZZNS1_16scan_by_key_implILNS1_25lookback_scan_determinismE0ELb0ES3_N6thrust23THRUST_200600_302600_NS6detail15normal_iteratorINSB_10device_ptrIjEEEENSD_INSE_IS6_EEEESI_S6_NSB_4plusIvEENSB_8equal_toIvEES6_EE10hipError_tPvRmT2_T3_T4_T5_mT6_T7_P12ihipStream_tbENKUlT_T0_E_clISt17integral_constantIbLb0EES13_EEDaSY_SZ_EUlSY_E_NS1_11comp_targetILNS1_3genE3ELNS1_11target_archE908ELNS1_3gpuE7ELNS1_3repE0EEENS1_30default_config_static_selectorELNS0_4arch9wavefront6targetE0EEEvT1_.kd
    .uniform_work_group_size: 1
    .uses_dynamic_stack: false
    .vgpr_count:     0
    .vgpr_spill_count: 0
    .wavefront_size: 32
    .workgroup_processor_mode: 1
  - .args:
      - .offset:         0
        .size:           120
        .value_kind:     by_value
    .group_segment_fixed_size: 0
    .kernarg_segment_align: 8
    .kernarg_segment_size: 120
    .language:       OpenCL C
    .language_version:
      - 2
      - 0
    .max_flat_workgroup_size: 64
    .name:           _ZN7rocprim17ROCPRIM_400000_NS6detail17trampoline_kernelINS0_14default_configENS1_27scan_by_key_config_selectorIj11FixedVectorIiLj2EEEEZZNS1_16scan_by_key_implILNS1_25lookback_scan_determinismE0ELb0ES3_N6thrust23THRUST_200600_302600_NS6detail15normal_iteratorINSB_10device_ptrIjEEEENSD_INSE_IS6_EEEESI_S6_NSB_4plusIvEENSB_8equal_toIvEES6_EE10hipError_tPvRmT2_T3_T4_T5_mT6_T7_P12ihipStream_tbENKUlT_T0_E_clISt17integral_constantIbLb0EES13_EEDaSY_SZ_EUlSY_E_NS1_11comp_targetILNS1_3genE2ELNS1_11target_archE906ELNS1_3gpuE6ELNS1_3repE0EEENS1_30default_config_static_selectorELNS0_4arch9wavefront6targetE0EEEvT1_
    .private_segment_fixed_size: 0
    .sgpr_count:     0
    .sgpr_spill_count: 0
    .symbol:         _ZN7rocprim17ROCPRIM_400000_NS6detail17trampoline_kernelINS0_14default_configENS1_27scan_by_key_config_selectorIj11FixedVectorIiLj2EEEEZZNS1_16scan_by_key_implILNS1_25lookback_scan_determinismE0ELb0ES3_N6thrust23THRUST_200600_302600_NS6detail15normal_iteratorINSB_10device_ptrIjEEEENSD_INSE_IS6_EEEESI_S6_NSB_4plusIvEENSB_8equal_toIvEES6_EE10hipError_tPvRmT2_T3_T4_T5_mT6_T7_P12ihipStream_tbENKUlT_T0_E_clISt17integral_constantIbLb0EES13_EEDaSY_SZ_EUlSY_E_NS1_11comp_targetILNS1_3genE2ELNS1_11target_archE906ELNS1_3gpuE6ELNS1_3repE0EEENS1_30default_config_static_selectorELNS0_4arch9wavefront6targetE0EEEvT1_.kd
    .uniform_work_group_size: 1
    .uses_dynamic_stack: false
    .vgpr_count:     0
    .vgpr_spill_count: 0
    .wavefront_size: 32
    .workgroup_processor_mode: 1
  - .args:
      - .offset:         0
        .size:           120
        .value_kind:     by_value
    .group_segment_fixed_size: 0
    .kernarg_segment_align: 8
    .kernarg_segment_size: 120
    .language:       OpenCL C
    .language_version:
      - 2
      - 0
    .max_flat_workgroup_size: 256
    .name:           _ZN7rocprim17ROCPRIM_400000_NS6detail17trampoline_kernelINS0_14default_configENS1_27scan_by_key_config_selectorIj11FixedVectorIiLj2EEEEZZNS1_16scan_by_key_implILNS1_25lookback_scan_determinismE0ELb0ES3_N6thrust23THRUST_200600_302600_NS6detail15normal_iteratorINSB_10device_ptrIjEEEENSD_INSE_IS6_EEEESI_S6_NSB_4plusIvEENSB_8equal_toIvEES6_EE10hipError_tPvRmT2_T3_T4_T5_mT6_T7_P12ihipStream_tbENKUlT_T0_E_clISt17integral_constantIbLb0EES13_EEDaSY_SZ_EUlSY_E_NS1_11comp_targetILNS1_3genE10ELNS1_11target_archE1200ELNS1_3gpuE4ELNS1_3repE0EEENS1_30default_config_static_selectorELNS0_4arch9wavefront6targetE0EEEvT1_
    .private_segment_fixed_size: 0
    .sgpr_count:     0
    .sgpr_spill_count: 0
    .symbol:         _ZN7rocprim17ROCPRIM_400000_NS6detail17trampoline_kernelINS0_14default_configENS1_27scan_by_key_config_selectorIj11FixedVectorIiLj2EEEEZZNS1_16scan_by_key_implILNS1_25lookback_scan_determinismE0ELb0ES3_N6thrust23THRUST_200600_302600_NS6detail15normal_iteratorINSB_10device_ptrIjEEEENSD_INSE_IS6_EEEESI_S6_NSB_4plusIvEENSB_8equal_toIvEES6_EE10hipError_tPvRmT2_T3_T4_T5_mT6_T7_P12ihipStream_tbENKUlT_T0_E_clISt17integral_constantIbLb0EES13_EEDaSY_SZ_EUlSY_E_NS1_11comp_targetILNS1_3genE10ELNS1_11target_archE1200ELNS1_3gpuE4ELNS1_3repE0EEENS1_30default_config_static_selectorELNS0_4arch9wavefront6targetE0EEEvT1_.kd
    .uniform_work_group_size: 1
    .uses_dynamic_stack: false
    .vgpr_count:     0
    .vgpr_spill_count: 0
    .wavefront_size: 32
    .workgroup_processor_mode: 1
  - .args:
      - .offset:         0
        .size:           120
        .value_kind:     by_value
    .group_segment_fixed_size: 0
    .kernarg_segment_align: 8
    .kernarg_segment_size: 120
    .language:       OpenCL C
    .language_version:
      - 2
      - 0
    .max_flat_workgroup_size: 256
    .name:           _ZN7rocprim17ROCPRIM_400000_NS6detail17trampoline_kernelINS0_14default_configENS1_27scan_by_key_config_selectorIj11FixedVectorIiLj2EEEEZZNS1_16scan_by_key_implILNS1_25lookback_scan_determinismE0ELb0ES3_N6thrust23THRUST_200600_302600_NS6detail15normal_iteratorINSB_10device_ptrIjEEEENSD_INSE_IS6_EEEESI_S6_NSB_4plusIvEENSB_8equal_toIvEES6_EE10hipError_tPvRmT2_T3_T4_T5_mT6_T7_P12ihipStream_tbENKUlT_T0_E_clISt17integral_constantIbLb0EES13_EEDaSY_SZ_EUlSY_E_NS1_11comp_targetILNS1_3genE9ELNS1_11target_archE1100ELNS1_3gpuE3ELNS1_3repE0EEENS1_30default_config_static_selectorELNS0_4arch9wavefront6targetE0EEEvT1_
    .private_segment_fixed_size: 0
    .sgpr_count:     0
    .sgpr_spill_count: 0
    .symbol:         _ZN7rocprim17ROCPRIM_400000_NS6detail17trampoline_kernelINS0_14default_configENS1_27scan_by_key_config_selectorIj11FixedVectorIiLj2EEEEZZNS1_16scan_by_key_implILNS1_25lookback_scan_determinismE0ELb0ES3_N6thrust23THRUST_200600_302600_NS6detail15normal_iteratorINSB_10device_ptrIjEEEENSD_INSE_IS6_EEEESI_S6_NSB_4plusIvEENSB_8equal_toIvEES6_EE10hipError_tPvRmT2_T3_T4_T5_mT6_T7_P12ihipStream_tbENKUlT_T0_E_clISt17integral_constantIbLb0EES13_EEDaSY_SZ_EUlSY_E_NS1_11comp_targetILNS1_3genE9ELNS1_11target_archE1100ELNS1_3gpuE3ELNS1_3repE0EEENS1_30default_config_static_selectorELNS0_4arch9wavefront6targetE0EEEvT1_.kd
    .uniform_work_group_size: 1
    .uses_dynamic_stack: false
    .vgpr_count:     0
    .vgpr_spill_count: 0
    .wavefront_size: 32
    .workgroup_processor_mode: 1
  - .args:
      - .offset:         0
        .size:           120
        .value_kind:     by_value
    .group_segment_fixed_size: 6144
    .kernarg_segment_align: 8
    .kernarg_segment_size: 120
    .language:       OpenCL C
    .language_version:
      - 2
      - 0
    .max_flat_workgroup_size: 256
    .name:           _ZN7rocprim17ROCPRIM_400000_NS6detail17trampoline_kernelINS0_14default_configENS1_27scan_by_key_config_selectorIj11FixedVectorIiLj2EEEEZZNS1_16scan_by_key_implILNS1_25lookback_scan_determinismE0ELb0ES3_N6thrust23THRUST_200600_302600_NS6detail15normal_iteratorINSB_10device_ptrIjEEEENSD_INSE_IS6_EEEESI_S6_NSB_4plusIvEENSB_8equal_toIvEES6_EE10hipError_tPvRmT2_T3_T4_T5_mT6_T7_P12ihipStream_tbENKUlT_T0_E_clISt17integral_constantIbLb0EES13_EEDaSY_SZ_EUlSY_E_NS1_11comp_targetILNS1_3genE8ELNS1_11target_archE1030ELNS1_3gpuE2ELNS1_3repE0EEENS1_30default_config_static_selectorELNS0_4arch9wavefront6targetE0EEEvT1_
    .private_segment_fixed_size: 0
    .sgpr_count:     34
    .sgpr_spill_count: 0
    .symbol:         _ZN7rocprim17ROCPRIM_400000_NS6detail17trampoline_kernelINS0_14default_configENS1_27scan_by_key_config_selectorIj11FixedVectorIiLj2EEEEZZNS1_16scan_by_key_implILNS1_25lookback_scan_determinismE0ELb0ES3_N6thrust23THRUST_200600_302600_NS6detail15normal_iteratorINSB_10device_ptrIjEEEENSD_INSE_IS6_EEEESI_S6_NSB_4plusIvEENSB_8equal_toIvEES6_EE10hipError_tPvRmT2_T3_T4_T5_mT6_T7_P12ihipStream_tbENKUlT_T0_E_clISt17integral_constantIbLb0EES13_EEDaSY_SZ_EUlSY_E_NS1_11comp_targetILNS1_3genE8ELNS1_11target_archE1030ELNS1_3gpuE2ELNS1_3repE0EEENS1_30default_config_static_selectorELNS0_4arch9wavefront6targetE0EEEvT1_.kd
    .uniform_work_group_size: 1
    .uses_dynamic_stack: false
    .vgpr_count:     50
    .vgpr_spill_count: 0
    .wavefront_size: 32
    .workgroup_processor_mode: 1
  - .args:
      - .address_space:  global
        .offset:         0
        .size:           8
        .value_kind:     global_buffer
      - .offset:         8
        .size:           4
        .value_kind:     by_value
      - .offset:         12
        .size:           4
        .value_kind:     by_value
      - .address_space:  global
        .offset:         16
        .size:           8
        .value_kind:     global_buffer
      - .address_space:  global
        .offset:         24
        .size:           8
        .value_kind:     global_buffer
      - .actual_access:  write_only
        .address_space:  global
        .offset:         32
        .size:           8
        .value_kind:     global_buffer
      - .offset:         40
        .size:           8
        .value_kind:     by_value
      - .offset:         48
        .size:           4
        .value_kind:     by_value
      - .address_space:  global
        .offset:         56
        .size:           8
        .value_kind:     global_buffer
      - .offset:         64
        .size:           4
        .value_kind:     hidden_block_count_x
      - .offset:         68
        .size:           4
        .value_kind:     hidden_block_count_y
      - .offset:         72
        .size:           4
        .value_kind:     hidden_block_count_z
      - .offset:         76
        .size:           2
        .value_kind:     hidden_group_size_x
      - .offset:         78
        .size:           2
        .value_kind:     hidden_group_size_y
      - .offset:         80
        .size:           2
        .value_kind:     hidden_group_size_z
      - .offset:         82
        .size:           2
        .value_kind:     hidden_remainder_x
      - .offset:         84
        .size:           2
        .value_kind:     hidden_remainder_y
      - .offset:         86
        .size:           2
        .value_kind:     hidden_remainder_z
      - .offset:         104
        .size:           8
        .value_kind:     hidden_global_offset_x
      - .offset:         112
        .size:           8
        .value_kind:     hidden_global_offset_y
      - .offset:         120
        .size:           8
        .value_kind:     hidden_global_offset_z
      - .offset:         128
        .size:           2
        .value_kind:     hidden_grid_dims
    .group_segment_fixed_size: 0
    .kernarg_segment_align: 8
    .kernarg_segment_size: 320
    .language:       OpenCL C
    .language_version:
      - 2
      - 0
    .max_flat_workgroup_size: 256
    .name:           _ZN7rocprim17ROCPRIM_400000_NS6detail30init_device_scan_by_key_kernelINS1_19lookback_scan_stateINS0_5tupleIJ11FixedVectorIiLj2EEbEEELb1ELb1EEEN6thrust23THRUST_200600_302600_NS6detail15normal_iteratorINSA_10device_ptrIjEEEEjNS1_16block_id_wrapperIjLb1EEEEEvT_jjPNSI_10value_typeET0_PNSt15iterator_traitsISL_E10value_typeEmT1_T2_
    .private_segment_fixed_size: 0
    .sgpr_count:     19
    .sgpr_spill_count: 0
    .symbol:         _ZN7rocprim17ROCPRIM_400000_NS6detail30init_device_scan_by_key_kernelINS1_19lookback_scan_stateINS0_5tupleIJ11FixedVectorIiLj2EEbEEELb1ELb1EEEN6thrust23THRUST_200600_302600_NS6detail15normal_iteratorINSA_10device_ptrIjEEEEjNS1_16block_id_wrapperIjLb1EEEEEvT_jjPNSI_10value_typeET0_PNSt15iterator_traitsISL_E10value_typeEmT1_T2_.kd
    .uniform_work_group_size: 1
    .uses_dynamic_stack: false
    .vgpr_count:     9
    .vgpr_spill_count: 0
    .wavefront_size: 32
    .workgroup_processor_mode: 1
  - .args:
      - .address_space:  global
        .offset:         0
        .size:           8
        .value_kind:     global_buffer
      - .offset:         8
        .size:           4
        .value_kind:     by_value
      - .offset:         12
        .size:           4
        .value_kind:     by_value
      - .address_space:  global
        .offset:         16
        .size:           8
        .value_kind:     global_buffer
      - .address_space:  global
        .offset:         24
        .size:           8
        .value_kind:     global_buffer
      - .offset:         32
        .size:           4
        .value_kind:     hidden_block_count_x
      - .offset:         36
        .size:           4
        .value_kind:     hidden_block_count_y
      - .offset:         40
        .size:           4
        .value_kind:     hidden_block_count_z
      - .offset:         44
        .size:           2
        .value_kind:     hidden_group_size_x
      - .offset:         46
        .size:           2
        .value_kind:     hidden_group_size_y
      - .offset:         48
        .size:           2
        .value_kind:     hidden_group_size_z
      - .offset:         50
        .size:           2
        .value_kind:     hidden_remainder_x
      - .offset:         52
        .size:           2
        .value_kind:     hidden_remainder_y
      - .offset:         54
        .size:           2
        .value_kind:     hidden_remainder_z
      - .offset:         72
        .size:           8
        .value_kind:     hidden_global_offset_x
      - .offset:         80
        .size:           8
        .value_kind:     hidden_global_offset_y
      - .offset:         88
        .size:           8
        .value_kind:     hidden_global_offset_z
      - .offset:         96
        .size:           2
        .value_kind:     hidden_grid_dims
    .group_segment_fixed_size: 0
    .kernarg_segment_align: 8
    .kernarg_segment_size: 288
    .language:       OpenCL C
    .language_version:
      - 2
      - 0
    .max_flat_workgroup_size: 256
    .name:           _ZN7rocprim17ROCPRIM_400000_NS6detail30init_device_scan_by_key_kernelINS1_19lookback_scan_stateINS0_5tupleIJ11FixedVectorIiLj2EEbEEELb1ELb1EEENS1_16block_id_wrapperIjLb1EEEEEvT_jjPNSB_10value_typeET0_
    .private_segment_fixed_size: 0
    .sgpr_count:     18
    .sgpr_spill_count: 0
    .symbol:         _ZN7rocprim17ROCPRIM_400000_NS6detail30init_device_scan_by_key_kernelINS1_19lookback_scan_stateINS0_5tupleIJ11FixedVectorIiLj2EEbEEELb1ELb1EEENS1_16block_id_wrapperIjLb1EEEEEvT_jjPNSB_10value_typeET0_.kd
    .uniform_work_group_size: 1
    .uses_dynamic_stack: false
    .vgpr_count:     9
    .vgpr_spill_count: 0
    .wavefront_size: 32
    .workgroup_processor_mode: 1
  - .args:
      - .offset:         0
        .size:           120
        .value_kind:     by_value
    .group_segment_fixed_size: 0
    .kernarg_segment_align: 8
    .kernarg_segment_size: 120
    .language:       OpenCL C
    .language_version:
      - 2
      - 0
    .max_flat_workgroup_size: 128
    .name:           _ZN7rocprim17ROCPRIM_400000_NS6detail17trampoline_kernelINS0_14default_configENS1_27scan_by_key_config_selectorIj11FixedVectorIiLj2EEEEZZNS1_16scan_by_key_implILNS1_25lookback_scan_determinismE0ELb0ES3_N6thrust23THRUST_200600_302600_NS6detail15normal_iteratorINSB_10device_ptrIjEEEENSD_INSE_IS6_EEEESI_S6_NSB_4plusIvEENSB_8equal_toIvEES6_EE10hipError_tPvRmT2_T3_T4_T5_mT6_T7_P12ihipStream_tbENKUlT_T0_E_clISt17integral_constantIbLb1EES13_EEDaSY_SZ_EUlSY_E_NS1_11comp_targetILNS1_3genE0ELNS1_11target_archE4294967295ELNS1_3gpuE0ELNS1_3repE0EEENS1_30default_config_static_selectorELNS0_4arch9wavefront6targetE0EEEvT1_
    .private_segment_fixed_size: 0
    .sgpr_count:     0
    .sgpr_spill_count: 0
    .symbol:         _ZN7rocprim17ROCPRIM_400000_NS6detail17trampoline_kernelINS0_14default_configENS1_27scan_by_key_config_selectorIj11FixedVectorIiLj2EEEEZZNS1_16scan_by_key_implILNS1_25lookback_scan_determinismE0ELb0ES3_N6thrust23THRUST_200600_302600_NS6detail15normal_iteratorINSB_10device_ptrIjEEEENSD_INSE_IS6_EEEESI_S6_NSB_4plusIvEENSB_8equal_toIvEES6_EE10hipError_tPvRmT2_T3_T4_T5_mT6_T7_P12ihipStream_tbENKUlT_T0_E_clISt17integral_constantIbLb1EES13_EEDaSY_SZ_EUlSY_E_NS1_11comp_targetILNS1_3genE0ELNS1_11target_archE4294967295ELNS1_3gpuE0ELNS1_3repE0EEENS1_30default_config_static_selectorELNS0_4arch9wavefront6targetE0EEEvT1_.kd
    .uniform_work_group_size: 1
    .uses_dynamic_stack: false
    .vgpr_count:     0
    .vgpr_spill_count: 0
    .wavefront_size: 32
    .workgroup_processor_mode: 1
  - .args:
      - .offset:         0
        .size:           120
        .value_kind:     by_value
    .group_segment_fixed_size: 0
    .kernarg_segment_align: 8
    .kernarg_segment_size: 120
    .language:       OpenCL C
    .language_version:
      - 2
      - 0
    .max_flat_workgroup_size: 256
    .name:           _ZN7rocprim17ROCPRIM_400000_NS6detail17trampoline_kernelINS0_14default_configENS1_27scan_by_key_config_selectorIj11FixedVectorIiLj2EEEEZZNS1_16scan_by_key_implILNS1_25lookback_scan_determinismE0ELb0ES3_N6thrust23THRUST_200600_302600_NS6detail15normal_iteratorINSB_10device_ptrIjEEEENSD_INSE_IS6_EEEESI_S6_NSB_4plusIvEENSB_8equal_toIvEES6_EE10hipError_tPvRmT2_T3_T4_T5_mT6_T7_P12ihipStream_tbENKUlT_T0_E_clISt17integral_constantIbLb1EES13_EEDaSY_SZ_EUlSY_E_NS1_11comp_targetILNS1_3genE10ELNS1_11target_archE1201ELNS1_3gpuE5ELNS1_3repE0EEENS1_30default_config_static_selectorELNS0_4arch9wavefront6targetE0EEEvT1_
    .private_segment_fixed_size: 0
    .sgpr_count:     0
    .sgpr_spill_count: 0
    .symbol:         _ZN7rocprim17ROCPRIM_400000_NS6detail17trampoline_kernelINS0_14default_configENS1_27scan_by_key_config_selectorIj11FixedVectorIiLj2EEEEZZNS1_16scan_by_key_implILNS1_25lookback_scan_determinismE0ELb0ES3_N6thrust23THRUST_200600_302600_NS6detail15normal_iteratorINSB_10device_ptrIjEEEENSD_INSE_IS6_EEEESI_S6_NSB_4plusIvEENSB_8equal_toIvEES6_EE10hipError_tPvRmT2_T3_T4_T5_mT6_T7_P12ihipStream_tbENKUlT_T0_E_clISt17integral_constantIbLb1EES13_EEDaSY_SZ_EUlSY_E_NS1_11comp_targetILNS1_3genE10ELNS1_11target_archE1201ELNS1_3gpuE5ELNS1_3repE0EEENS1_30default_config_static_selectorELNS0_4arch9wavefront6targetE0EEEvT1_.kd
    .uniform_work_group_size: 1
    .uses_dynamic_stack: false
    .vgpr_count:     0
    .vgpr_spill_count: 0
    .wavefront_size: 32
    .workgroup_processor_mode: 1
  - .args:
      - .offset:         0
        .size:           120
        .value_kind:     by_value
    .group_segment_fixed_size: 0
    .kernarg_segment_align: 8
    .kernarg_segment_size: 120
    .language:       OpenCL C
    .language_version:
      - 2
      - 0
    .max_flat_workgroup_size: 256
    .name:           _ZN7rocprim17ROCPRIM_400000_NS6detail17trampoline_kernelINS0_14default_configENS1_27scan_by_key_config_selectorIj11FixedVectorIiLj2EEEEZZNS1_16scan_by_key_implILNS1_25lookback_scan_determinismE0ELb0ES3_N6thrust23THRUST_200600_302600_NS6detail15normal_iteratorINSB_10device_ptrIjEEEENSD_INSE_IS6_EEEESI_S6_NSB_4plusIvEENSB_8equal_toIvEES6_EE10hipError_tPvRmT2_T3_T4_T5_mT6_T7_P12ihipStream_tbENKUlT_T0_E_clISt17integral_constantIbLb1EES13_EEDaSY_SZ_EUlSY_E_NS1_11comp_targetILNS1_3genE5ELNS1_11target_archE942ELNS1_3gpuE9ELNS1_3repE0EEENS1_30default_config_static_selectorELNS0_4arch9wavefront6targetE0EEEvT1_
    .private_segment_fixed_size: 0
    .sgpr_count:     0
    .sgpr_spill_count: 0
    .symbol:         _ZN7rocprim17ROCPRIM_400000_NS6detail17trampoline_kernelINS0_14default_configENS1_27scan_by_key_config_selectorIj11FixedVectorIiLj2EEEEZZNS1_16scan_by_key_implILNS1_25lookback_scan_determinismE0ELb0ES3_N6thrust23THRUST_200600_302600_NS6detail15normal_iteratorINSB_10device_ptrIjEEEENSD_INSE_IS6_EEEESI_S6_NSB_4plusIvEENSB_8equal_toIvEES6_EE10hipError_tPvRmT2_T3_T4_T5_mT6_T7_P12ihipStream_tbENKUlT_T0_E_clISt17integral_constantIbLb1EES13_EEDaSY_SZ_EUlSY_E_NS1_11comp_targetILNS1_3genE5ELNS1_11target_archE942ELNS1_3gpuE9ELNS1_3repE0EEENS1_30default_config_static_selectorELNS0_4arch9wavefront6targetE0EEEvT1_.kd
    .uniform_work_group_size: 1
    .uses_dynamic_stack: false
    .vgpr_count:     0
    .vgpr_spill_count: 0
    .wavefront_size: 32
    .workgroup_processor_mode: 1
  - .args:
      - .offset:         0
        .size:           120
        .value_kind:     by_value
    .group_segment_fixed_size: 0
    .kernarg_segment_align: 8
    .kernarg_segment_size: 120
    .language:       OpenCL C
    .language_version:
      - 2
      - 0
    .max_flat_workgroup_size: 64
    .name:           _ZN7rocprim17ROCPRIM_400000_NS6detail17trampoline_kernelINS0_14default_configENS1_27scan_by_key_config_selectorIj11FixedVectorIiLj2EEEEZZNS1_16scan_by_key_implILNS1_25lookback_scan_determinismE0ELb0ES3_N6thrust23THRUST_200600_302600_NS6detail15normal_iteratorINSB_10device_ptrIjEEEENSD_INSE_IS6_EEEESI_S6_NSB_4plusIvEENSB_8equal_toIvEES6_EE10hipError_tPvRmT2_T3_T4_T5_mT6_T7_P12ihipStream_tbENKUlT_T0_E_clISt17integral_constantIbLb1EES13_EEDaSY_SZ_EUlSY_E_NS1_11comp_targetILNS1_3genE4ELNS1_11target_archE910ELNS1_3gpuE8ELNS1_3repE0EEENS1_30default_config_static_selectorELNS0_4arch9wavefront6targetE0EEEvT1_
    .private_segment_fixed_size: 0
    .sgpr_count:     0
    .sgpr_spill_count: 0
    .symbol:         _ZN7rocprim17ROCPRIM_400000_NS6detail17trampoline_kernelINS0_14default_configENS1_27scan_by_key_config_selectorIj11FixedVectorIiLj2EEEEZZNS1_16scan_by_key_implILNS1_25lookback_scan_determinismE0ELb0ES3_N6thrust23THRUST_200600_302600_NS6detail15normal_iteratorINSB_10device_ptrIjEEEENSD_INSE_IS6_EEEESI_S6_NSB_4plusIvEENSB_8equal_toIvEES6_EE10hipError_tPvRmT2_T3_T4_T5_mT6_T7_P12ihipStream_tbENKUlT_T0_E_clISt17integral_constantIbLb1EES13_EEDaSY_SZ_EUlSY_E_NS1_11comp_targetILNS1_3genE4ELNS1_11target_archE910ELNS1_3gpuE8ELNS1_3repE0EEENS1_30default_config_static_selectorELNS0_4arch9wavefront6targetE0EEEvT1_.kd
    .uniform_work_group_size: 1
    .uses_dynamic_stack: false
    .vgpr_count:     0
    .vgpr_spill_count: 0
    .wavefront_size: 32
    .workgroup_processor_mode: 1
  - .args:
      - .offset:         0
        .size:           120
        .value_kind:     by_value
    .group_segment_fixed_size: 0
    .kernarg_segment_align: 8
    .kernarg_segment_size: 120
    .language:       OpenCL C
    .language_version:
      - 2
      - 0
    .max_flat_workgroup_size: 128
    .name:           _ZN7rocprim17ROCPRIM_400000_NS6detail17trampoline_kernelINS0_14default_configENS1_27scan_by_key_config_selectorIj11FixedVectorIiLj2EEEEZZNS1_16scan_by_key_implILNS1_25lookback_scan_determinismE0ELb0ES3_N6thrust23THRUST_200600_302600_NS6detail15normal_iteratorINSB_10device_ptrIjEEEENSD_INSE_IS6_EEEESI_S6_NSB_4plusIvEENSB_8equal_toIvEES6_EE10hipError_tPvRmT2_T3_T4_T5_mT6_T7_P12ihipStream_tbENKUlT_T0_E_clISt17integral_constantIbLb1EES13_EEDaSY_SZ_EUlSY_E_NS1_11comp_targetILNS1_3genE3ELNS1_11target_archE908ELNS1_3gpuE7ELNS1_3repE0EEENS1_30default_config_static_selectorELNS0_4arch9wavefront6targetE0EEEvT1_
    .private_segment_fixed_size: 0
    .sgpr_count:     0
    .sgpr_spill_count: 0
    .symbol:         _ZN7rocprim17ROCPRIM_400000_NS6detail17trampoline_kernelINS0_14default_configENS1_27scan_by_key_config_selectorIj11FixedVectorIiLj2EEEEZZNS1_16scan_by_key_implILNS1_25lookback_scan_determinismE0ELb0ES3_N6thrust23THRUST_200600_302600_NS6detail15normal_iteratorINSB_10device_ptrIjEEEENSD_INSE_IS6_EEEESI_S6_NSB_4plusIvEENSB_8equal_toIvEES6_EE10hipError_tPvRmT2_T3_T4_T5_mT6_T7_P12ihipStream_tbENKUlT_T0_E_clISt17integral_constantIbLb1EES13_EEDaSY_SZ_EUlSY_E_NS1_11comp_targetILNS1_3genE3ELNS1_11target_archE908ELNS1_3gpuE7ELNS1_3repE0EEENS1_30default_config_static_selectorELNS0_4arch9wavefront6targetE0EEEvT1_.kd
    .uniform_work_group_size: 1
    .uses_dynamic_stack: false
    .vgpr_count:     0
    .vgpr_spill_count: 0
    .wavefront_size: 32
    .workgroup_processor_mode: 1
  - .args:
      - .offset:         0
        .size:           120
        .value_kind:     by_value
    .group_segment_fixed_size: 0
    .kernarg_segment_align: 8
    .kernarg_segment_size: 120
    .language:       OpenCL C
    .language_version:
      - 2
      - 0
    .max_flat_workgroup_size: 64
    .name:           _ZN7rocprim17ROCPRIM_400000_NS6detail17trampoline_kernelINS0_14default_configENS1_27scan_by_key_config_selectorIj11FixedVectorIiLj2EEEEZZNS1_16scan_by_key_implILNS1_25lookback_scan_determinismE0ELb0ES3_N6thrust23THRUST_200600_302600_NS6detail15normal_iteratorINSB_10device_ptrIjEEEENSD_INSE_IS6_EEEESI_S6_NSB_4plusIvEENSB_8equal_toIvEES6_EE10hipError_tPvRmT2_T3_T4_T5_mT6_T7_P12ihipStream_tbENKUlT_T0_E_clISt17integral_constantIbLb1EES13_EEDaSY_SZ_EUlSY_E_NS1_11comp_targetILNS1_3genE2ELNS1_11target_archE906ELNS1_3gpuE6ELNS1_3repE0EEENS1_30default_config_static_selectorELNS0_4arch9wavefront6targetE0EEEvT1_
    .private_segment_fixed_size: 0
    .sgpr_count:     0
    .sgpr_spill_count: 0
    .symbol:         _ZN7rocprim17ROCPRIM_400000_NS6detail17trampoline_kernelINS0_14default_configENS1_27scan_by_key_config_selectorIj11FixedVectorIiLj2EEEEZZNS1_16scan_by_key_implILNS1_25lookback_scan_determinismE0ELb0ES3_N6thrust23THRUST_200600_302600_NS6detail15normal_iteratorINSB_10device_ptrIjEEEENSD_INSE_IS6_EEEESI_S6_NSB_4plusIvEENSB_8equal_toIvEES6_EE10hipError_tPvRmT2_T3_T4_T5_mT6_T7_P12ihipStream_tbENKUlT_T0_E_clISt17integral_constantIbLb1EES13_EEDaSY_SZ_EUlSY_E_NS1_11comp_targetILNS1_3genE2ELNS1_11target_archE906ELNS1_3gpuE6ELNS1_3repE0EEENS1_30default_config_static_selectorELNS0_4arch9wavefront6targetE0EEEvT1_.kd
    .uniform_work_group_size: 1
    .uses_dynamic_stack: false
    .vgpr_count:     0
    .vgpr_spill_count: 0
    .wavefront_size: 32
    .workgroup_processor_mode: 1
  - .args:
      - .offset:         0
        .size:           120
        .value_kind:     by_value
    .group_segment_fixed_size: 0
    .kernarg_segment_align: 8
    .kernarg_segment_size: 120
    .language:       OpenCL C
    .language_version:
      - 2
      - 0
    .max_flat_workgroup_size: 256
    .name:           _ZN7rocprim17ROCPRIM_400000_NS6detail17trampoline_kernelINS0_14default_configENS1_27scan_by_key_config_selectorIj11FixedVectorIiLj2EEEEZZNS1_16scan_by_key_implILNS1_25lookback_scan_determinismE0ELb0ES3_N6thrust23THRUST_200600_302600_NS6detail15normal_iteratorINSB_10device_ptrIjEEEENSD_INSE_IS6_EEEESI_S6_NSB_4plusIvEENSB_8equal_toIvEES6_EE10hipError_tPvRmT2_T3_T4_T5_mT6_T7_P12ihipStream_tbENKUlT_T0_E_clISt17integral_constantIbLb1EES13_EEDaSY_SZ_EUlSY_E_NS1_11comp_targetILNS1_3genE10ELNS1_11target_archE1200ELNS1_3gpuE4ELNS1_3repE0EEENS1_30default_config_static_selectorELNS0_4arch9wavefront6targetE0EEEvT1_
    .private_segment_fixed_size: 0
    .sgpr_count:     0
    .sgpr_spill_count: 0
    .symbol:         _ZN7rocprim17ROCPRIM_400000_NS6detail17trampoline_kernelINS0_14default_configENS1_27scan_by_key_config_selectorIj11FixedVectorIiLj2EEEEZZNS1_16scan_by_key_implILNS1_25lookback_scan_determinismE0ELb0ES3_N6thrust23THRUST_200600_302600_NS6detail15normal_iteratorINSB_10device_ptrIjEEEENSD_INSE_IS6_EEEESI_S6_NSB_4plusIvEENSB_8equal_toIvEES6_EE10hipError_tPvRmT2_T3_T4_T5_mT6_T7_P12ihipStream_tbENKUlT_T0_E_clISt17integral_constantIbLb1EES13_EEDaSY_SZ_EUlSY_E_NS1_11comp_targetILNS1_3genE10ELNS1_11target_archE1200ELNS1_3gpuE4ELNS1_3repE0EEENS1_30default_config_static_selectorELNS0_4arch9wavefront6targetE0EEEvT1_.kd
    .uniform_work_group_size: 1
    .uses_dynamic_stack: false
    .vgpr_count:     0
    .vgpr_spill_count: 0
    .wavefront_size: 32
    .workgroup_processor_mode: 1
  - .args:
      - .offset:         0
        .size:           120
        .value_kind:     by_value
    .group_segment_fixed_size: 0
    .kernarg_segment_align: 8
    .kernarg_segment_size: 120
    .language:       OpenCL C
    .language_version:
      - 2
      - 0
    .max_flat_workgroup_size: 256
    .name:           _ZN7rocprim17ROCPRIM_400000_NS6detail17trampoline_kernelINS0_14default_configENS1_27scan_by_key_config_selectorIj11FixedVectorIiLj2EEEEZZNS1_16scan_by_key_implILNS1_25lookback_scan_determinismE0ELb0ES3_N6thrust23THRUST_200600_302600_NS6detail15normal_iteratorINSB_10device_ptrIjEEEENSD_INSE_IS6_EEEESI_S6_NSB_4plusIvEENSB_8equal_toIvEES6_EE10hipError_tPvRmT2_T3_T4_T5_mT6_T7_P12ihipStream_tbENKUlT_T0_E_clISt17integral_constantIbLb1EES13_EEDaSY_SZ_EUlSY_E_NS1_11comp_targetILNS1_3genE9ELNS1_11target_archE1100ELNS1_3gpuE3ELNS1_3repE0EEENS1_30default_config_static_selectorELNS0_4arch9wavefront6targetE0EEEvT1_
    .private_segment_fixed_size: 0
    .sgpr_count:     0
    .sgpr_spill_count: 0
    .symbol:         _ZN7rocprim17ROCPRIM_400000_NS6detail17trampoline_kernelINS0_14default_configENS1_27scan_by_key_config_selectorIj11FixedVectorIiLj2EEEEZZNS1_16scan_by_key_implILNS1_25lookback_scan_determinismE0ELb0ES3_N6thrust23THRUST_200600_302600_NS6detail15normal_iteratorINSB_10device_ptrIjEEEENSD_INSE_IS6_EEEESI_S6_NSB_4plusIvEENSB_8equal_toIvEES6_EE10hipError_tPvRmT2_T3_T4_T5_mT6_T7_P12ihipStream_tbENKUlT_T0_E_clISt17integral_constantIbLb1EES13_EEDaSY_SZ_EUlSY_E_NS1_11comp_targetILNS1_3genE9ELNS1_11target_archE1100ELNS1_3gpuE3ELNS1_3repE0EEENS1_30default_config_static_selectorELNS0_4arch9wavefront6targetE0EEEvT1_.kd
    .uniform_work_group_size: 1
    .uses_dynamic_stack: false
    .vgpr_count:     0
    .vgpr_spill_count: 0
    .wavefront_size: 32
    .workgroup_processor_mode: 1
  - .args:
      - .offset:         0
        .size:           120
        .value_kind:     by_value
    .group_segment_fixed_size: 0
    .kernarg_segment_align: 8
    .kernarg_segment_size: 120
    .language:       OpenCL C
    .language_version:
      - 2
      - 0
    .max_flat_workgroup_size: 256
    .name:           _ZN7rocprim17ROCPRIM_400000_NS6detail17trampoline_kernelINS0_14default_configENS1_27scan_by_key_config_selectorIj11FixedVectorIiLj2EEEEZZNS1_16scan_by_key_implILNS1_25lookback_scan_determinismE0ELb0ES3_N6thrust23THRUST_200600_302600_NS6detail15normal_iteratorINSB_10device_ptrIjEEEENSD_INSE_IS6_EEEESI_S6_NSB_4plusIvEENSB_8equal_toIvEES6_EE10hipError_tPvRmT2_T3_T4_T5_mT6_T7_P12ihipStream_tbENKUlT_T0_E_clISt17integral_constantIbLb1EES13_EEDaSY_SZ_EUlSY_E_NS1_11comp_targetILNS1_3genE8ELNS1_11target_archE1030ELNS1_3gpuE2ELNS1_3repE0EEENS1_30default_config_static_selectorELNS0_4arch9wavefront6targetE0EEEvT1_
    .private_segment_fixed_size: 0
    .sgpr_count:     0
    .sgpr_spill_count: 0
    .symbol:         _ZN7rocprim17ROCPRIM_400000_NS6detail17trampoline_kernelINS0_14default_configENS1_27scan_by_key_config_selectorIj11FixedVectorIiLj2EEEEZZNS1_16scan_by_key_implILNS1_25lookback_scan_determinismE0ELb0ES3_N6thrust23THRUST_200600_302600_NS6detail15normal_iteratorINSB_10device_ptrIjEEEENSD_INSE_IS6_EEEESI_S6_NSB_4plusIvEENSB_8equal_toIvEES6_EE10hipError_tPvRmT2_T3_T4_T5_mT6_T7_P12ihipStream_tbENKUlT_T0_E_clISt17integral_constantIbLb1EES13_EEDaSY_SZ_EUlSY_E_NS1_11comp_targetILNS1_3genE8ELNS1_11target_archE1030ELNS1_3gpuE2ELNS1_3repE0EEENS1_30default_config_static_selectorELNS0_4arch9wavefront6targetE0EEEvT1_.kd
    .uniform_work_group_size: 1
    .uses_dynamic_stack: false
    .vgpr_count:     0
    .vgpr_spill_count: 0
    .wavefront_size: 32
    .workgroup_processor_mode: 1
  - .args:
      - .address_space:  global
        .offset:         0
        .size:           8
        .value_kind:     global_buffer
      - .offset:         8
        .size:           4
        .value_kind:     by_value
      - .offset:         12
        .size:           4
        .value_kind:     by_value
      - .address_space:  global
        .offset:         16
        .size:           8
        .value_kind:     global_buffer
      - .address_space:  global
        .offset:         24
        .size:           8
        .value_kind:     global_buffer
      - .actual_access:  write_only
        .address_space:  global
        .offset:         32
        .size:           8
        .value_kind:     global_buffer
      - .offset:         40
        .size:           8
        .value_kind:     by_value
      - .offset:         48
        .size:           4
        .value_kind:     by_value
      - .offset:         52
        .size:           1
        .value_kind:     by_value
      - .offset:         56
        .size:           4
        .value_kind:     hidden_block_count_x
      - .offset:         60
        .size:           4
        .value_kind:     hidden_block_count_y
      - .offset:         64
        .size:           4
        .value_kind:     hidden_block_count_z
      - .offset:         68
        .size:           2
        .value_kind:     hidden_group_size_x
      - .offset:         70
        .size:           2
        .value_kind:     hidden_group_size_y
      - .offset:         72
        .size:           2
        .value_kind:     hidden_group_size_z
      - .offset:         74
        .size:           2
        .value_kind:     hidden_remainder_x
      - .offset:         76
        .size:           2
        .value_kind:     hidden_remainder_y
      - .offset:         78
        .size:           2
        .value_kind:     hidden_remainder_z
      - .offset:         96
        .size:           8
        .value_kind:     hidden_global_offset_x
      - .offset:         104
        .size:           8
        .value_kind:     hidden_global_offset_y
      - .offset:         112
        .size:           8
        .value_kind:     hidden_global_offset_z
      - .offset:         120
        .size:           2
        .value_kind:     hidden_grid_dims
    .group_segment_fixed_size: 0
    .kernarg_segment_align: 8
    .kernarg_segment_size: 312
    .language:       OpenCL C
    .language_version:
      - 2
      - 0
    .max_flat_workgroup_size: 256
    .name:           _ZN7rocprim17ROCPRIM_400000_NS6detail30init_device_scan_by_key_kernelINS1_19lookback_scan_stateINS0_5tupleIJ11FixedVectorIiLj2EEbEEELb1ELb1EEEN6thrust23THRUST_200600_302600_NS6detail15normal_iteratorINSA_10device_ptrIjEEEEjNS1_16block_id_wrapperIjLb0EEEEEvT_jjPNSI_10value_typeET0_PNSt15iterator_traitsISL_E10value_typeEmT1_T2_
    .private_segment_fixed_size: 0
    .sgpr_count:     19
    .sgpr_spill_count: 0
    .symbol:         _ZN7rocprim17ROCPRIM_400000_NS6detail30init_device_scan_by_key_kernelINS1_19lookback_scan_stateINS0_5tupleIJ11FixedVectorIiLj2EEbEEELb1ELb1EEEN6thrust23THRUST_200600_302600_NS6detail15normal_iteratorINSA_10device_ptrIjEEEEjNS1_16block_id_wrapperIjLb0EEEEEvT_jjPNSI_10value_typeET0_PNSt15iterator_traitsISL_E10value_typeEmT1_T2_.kd
    .uniform_work_group_size: 1
    .uses_dynamic_stack: false
    .vgpr_count:     9
    .vgpr_spill_count: 0
    .wavefront_size: 32
    .workgroup_processor_mode: 1
  - .args:
      - .address_space:  global
        .offset:         0
        .size:           8
        .value_kind:     global_buffer
      - .offset:         8
        .size:           4
        .value_kind:     by_value
      - .offset:         12
        .size:           4
        .value_kind:     by_value
      - .address_space:  global
        .offset:         16
        .size:           8
        .value_kind:     global_buffer
      - .offset:         24
        .size:           1
        .value_kind:     by_value
      - .offset:         32
        .size:           4
        .value_kind:     hidden_block_count_x
      - .offset:         36
        .size:           4
        .value_kind:     hidden_block_count_y
      - .offset:         40
        .size:           4
        .value_kind:     hidden_block_count_z
      - .offset:         44
        .size:           2
        .value_kind:     hidden_group_size_x
      - .offset:         46
        .size:           2
        .value_kind:     hidden_group_size_y
      - .offset:         48
        .size:           2
        .value_kind:     hidden_group_size_z
      - .offset:         50
        .size:           2
        .value_kind:     hidden_remainder_x
      - .offset:         52
        .size:           2
        .value_kind:     hidden_remainder_y
      - .offset:         54
        .size:           2
        .value_kind:     hidden_remainder_z
      - .offset:         72
        .size:           8
        .value_kind:     hidden_global_offset_x
      - .offset:         80
        .size:           8
        .value_kind:     hidden_global_offset_y
      - .offset:         88
        .size:           8
        .value_kind:     hidden_global_offset_z
      - .offset:         96
        .size:           2
        .value_kind:     hidden_grid_dims
    .group_segment_fixed_size: 0
    .kernarg_segment_align: 8
    .kernarg_segment_size: 288
    .language:       OpenCL C
    .language_version:
      - 2
      - 0
    .max_flat_workgroup_size: 256
    .name:           _ZN7rocprim17ROCPRIM_400000_NS6detail30init_device_scan_by_key_kernelINS1_19lookback_scan_stateINS0_5tupleIJ11FixedVectorIiLj2EEbEEELb1ELb1EEENS1_16block_id_wrapperIjLb0EEEEEvT_jjPNSB_10value_typeET0_
    .private_segment_fixed_size: 0
    .sgpr_count:     12
    .sgpr_spill_count: 0
    .symbol:         _ZN7rocprim17ROCPRIM_400000_NS6detail30init_device_scan_by_key_kernelINS1_19lookback_scan_stateINS0_5tupleIJ11FixedVectorIiLj2EEbEEELb1ELb1EEENS1_16block_id_wrapperIjLb0EEEEEvT_jjPNSB_10value_typeET0_.kd
    .uniform_work_group_size: 1
    .uses_dynamic_stack: false
    .vgpr_count:     9
    .vgpr_spill_count: 0
    .wavefront_size: 32
    .workgroup_processor_mode: 1
  - .args:
      - .offset:         0
        .size:           120
        .value_kind:     by_value
    .group_segment_fixed_size: 0
    .kernarg_segment_align: 8
    .kernarg_segment_size: 120
    .language:       OpenCL C
    .language_version:
      - 2
      - 0
    .max_flat_workgroup_size: 128
    .name:           _ZN7rocprim17ROCPRIM_400000_NS6detail17trampoline_kernelINS0_14default_configENS1_27scan_by_key_config_selectorIj11FixedVectorIiLj2EEEEZZNS1_16scan_by_key_implILNS1_25lookback_scan_determinismE0ELb0ES3_N6thrust23THRUST_200600_302600_NS6detail15normal_iteratorINSB_10device_ptrIjEEEENSD_INSE_IS6_EEEESI_S6_NSB_4plusIvEENSB_8equal_toIvEES6_EE10hipError_tPvRmT2_T3_T4_T5_mT6_T7_P12ihipStream_tbENKUlT_T0_E_clISt17integral_constantIbLb1EES12_IbLb0EEEEDaSY_SZ_EUlSY_E_NS1_11comp_targetILNS1_3genE0ELNS1_11target_archE4294967295ELNS1_3gpuE0ELNS1_3repE0EEENS1_30default_config_static_selectorELNS0_4arch9wavefront6targetE0EEEvT1_
    .private_segment_fixed_size: 0
    .sgpr_count:     0
    .sgpr_spill_count: 0
    .symbol:         _ZN7rocprim17ROCPRIM_400000_NS6detail17trampoline_kernelINS0_14default_configENS1_27scan_by_key_config_selectorIj11FixedVectorIiLj2EEEEZZNS1_16scan_by_key_implILNS1_25lookback_scan_determinismE0ELb0ES3_N6thrust23THRUST_200600_302600_NS6detail15normal_iteratorINSB_10device_ptrIjEEEENSD_INSE_IS6_EEEESI_S6_NSB_4plusIvEENSB_8equal_toIvEES6_EE10hipError_tPvRmT2_T3_T4_T5_mT6_T7_P12ihipStream_tbENKUlT_T0_E_clISt17integral_constantIbLb1EES12_IbLb0EEEEDaSY_SZ_EUlSY_E_NS1_11comp_targetILNS1_3genE0ELNS1_11target_archE4294967295ELNS1_3gpuE0ELNS1_3repE0EEENS1_30default_config_static_selectorELNS0_4arch9wavefront6targetE0EEEvT1_.kd
    .uniform_work_group_size: 1
    .uses_dynamic_stack: false
    .vgpr_count:     0
    .vgpr_spill_count: 0
    .wavefront_size: 32
    .workgroup_processor_mode: 1
  - .args:
      - .offset:         0
        .size:           120
        .value_kind:     by_value
    .group_segment_fixed_size: 0
    .kernarg_segment_align: 8
    .kernarg_segment_size: 120
    .language:       OpenCL C
    .language_version:
      - 2
      - 0
    .max_flat_workgroup_size: 256
    .name:           _ZN7rocprim17ROCPRIM_400000_NS6detail17trampoline_kernelINS0_14default_configENS1_27scan_by_key_config_selectorIj11FixedVectorIiLj2EEEEZZNS1_16scan_by_key_implILNS1_25lookback_scan_determinismE0ELb0ES3_N6thrust23THRUST_200600_302600_NS6detail15normal_iteratorINSB_10device_ptrIjEEEENSD_INSE_IS6_EEEESI_S6_NSB_4plusIvEENSB_8equal_toIvEES6_EE10hipError_tPvRmT2_T3_T4_T5_mT6_T7_P12ihipStream_tbENKUlT_T0_E_clISt17integral_constantIbLb1EES12_IbLb0EEEEDaSY_SZ_EUlSY_E_NS1_11comp_targetILNS1_3genE10ELNS1_11target_archE1201ELNS1_3gpuE5ELNS1_3repE0EEENS1_30default_config_static_selectorELNS0_4arch9wavefront6targetE0EEEvT1_
    .private_segment_fixed_size: 0
    .sgpr_count:     0
    .sgpr_spill_count: 0
    .symbol:         _ZN7rocprim17ROCPRIM_400000_NS6detail17trampoline_kernelINS0_14default_configENS1_27scan_by_key_config_selectorIj11FixedVectorIiLj2EEEEZZNS1_16scan_by_key_implILNS1_25lookback_scan_determinismE0ELb0ES3_N6thrust23THRUST_200600_302600_NS6detail15normal_iteratorINSB_10device_ptrIjEEEENSD_INSE_IS6_EEEESI_S6_NSB_4plusIvEENSB_8equal_toIvEES6_EE10hipError_tPvRmT2_T3_T4_T5_mT6_T7_P12ihipStream_tbENKUlT_T0_E_clISt17integral_constantIbLb1EES12_IbLb0EEEEDaSY_SZ_EUlSY_E_NS1_11comp_targetILNS1_3genE10ELNS1_11target_archE1201ELNS1_3gpuE5ELNS1_3repE0EEENS1_30default_config_static_selectorELNS0_4arch9wavefront6targetE0EEEvT1_.kd
    .uniform_work_group_size: 1
    .uses_dynamic_stack: false
    .vgpr_count:     0
    .vgpr_spill_count: 0
    .wavefront_size: 32
    .workgroup_processor_mode: 1
  - .args:
      - .offset:         0
        .size:           120
        .value_kind:     by_value
    .group_segment_fixed_size: 0
    .kernarg_segment_align: 8
    .kernarg_segment_size: 120
    .language:       OpenCL C
    .language_version:
      - 2
      - 0
    .max_flat_workgroup_size: 256
    .name:           _ZN7rocprim17ROCPRIM_400000_NS6detail17trampoline_kernelINS0_14default_configENS1_27scan_by_key_config_selectorIj11FixedVectorIiLj2EEEEZZNS1_16scan_by_key_implILNS1_25lookback_scan_determinismE0ELb0ES3_N6thrust23THRUST_200600_302600_NS6detail15normal_iteratorINSB_10device_ptrIjEEEENSD_INSE_IS6_EEEESI_S6_NSB_4plusIvEENSB_8equal_toIvEES6_EE10hipError_tPvRmT2_T3_T4_T5_mT6_T7_P12ihipStream_tbENKUlT_T0_E_clISt17integral_constantIbLb1EES12_IbLb0EEEEDaSY_SZ_EUlSY_E_NS1_11comp_targetILNS1_3genE5ELNS1_11target_archE942ELNS1_3gpuE9ELNS1_3repE0EEENS1_30default_config_static_selectorELNS0_4arch9wavefront6targetE0EEEvT1_
    .private_segment_fixed_size: 0
    .sgpr_count:     0
    .sgpr_spill_count: 0
    .symbol:         _ZN7rocprim17ROCPRIM_400000_NS6detail17trampoline_kernelINS0_14default_configENS1_27scan_by_key_config_selectorIj11FixedVectorIiLj2EEEEZZNS1_16scan_by_key_implILNS1_25lookback_scan_determinismE0ELb0ES3_N6thrust23THRUST_200600_302600_NS6detail15normal_iteratorINSB_10device_ptrIjEEEENSD_INSE_IS6_EEEESI_S6_NSB_4plusIvEENSB_8equal_toIvEES6_EE10hipError_tPvRmT2_T3_T4_T5_mT6_T7_P12ihipStream_tbENKUlT_T0_E_clISt17integral_constantIbLb1EES12_IbLb0EEEEDaSY_SZ_EUlSY_E_NS1_11comp_targetILNS1_3genE5ELNS1_11target_archE942ELNS1_3gpuE9ELNS1_3repE0EEENS1_30default_config_static_selectorELNS0_4arch9wavefront6targetE0EEEvT1_.kd
    .uniform_work_group_size: 1
    .uses_dynamic_stack: false
    .vgpr_count:     0
    .vgpr_spill_count: 0
    .wavefront_size: 32
    .workgroup_processor_mode: 1
  - .args:
      - .offset:         0
        .size:           120
        .value_kind:     by_value
    .group_segment_fixed_size: 0
    .kernarg_segment_align: 8
    .kernarg_segment_size: 120
    .language:       OpenCL C
    .language_version:
      - 2
      - 0
    .max_flat_workgroup_size: 64
    .name:           _ZN7rocprim17ROCPRIM_400000_NS6detail17trampoline_kernelINS0_14default_configENS1_27scan_by_key_config_selectorIj11FixedVectorIiLj2EEEEZZNS1_16scan_by_key_implILNS1_25lookback_scan_determinismE0ELb0ES3_N6thrust23THRUST_200600_302600_NS6detail15normal_iteratorINSB_10device_ptrIjEEEENSD_INSE_IS6_EEEESI_S6_NSB_4plusIvEENSB_8equal_toIvEES6_EE10hipError_tPvRmT2_T3_T4_T5_mT6_T7_P12ihipStream_tbENKUlT_T0_E_clISt17integral_constantIbLb1EES12_IbLb0EEEEDaSY_SZ_EUlSY_E_NS1_11comp_targetILNS1_3genE4ELNS1_11target_archE910ELNS1_3gpuE8ELNS1_3repE0EEENS1_30default_config_static_selectorELNS0_4arch9wavefront6targetE0EEEvT1_
    .private_segment_fixed_size: 0
    .sgpr_count:     0
    .sgpr_spill_count: 0
    .symbol:         _ZN7rocprim17ROCPRIM_400000_NS6detail17trampoline_kernelINS0_14default_configENS1_27scan_by_key_config_selectorIj11FixedVectorIiLj2EEEEZZNS1_16scan_by_key_implILNS1_25lookback_scan_determinismE0ELb0ES3_N6thrust23THRUST_200600_302600_NS6detail15normal_iteratorINSB_10device_ptrIjEEEENSD_INSE_IS6_EEEESI_S6_NSB_4plusIvEENSB_8equal_toIvEES6_EE10hipError_tPvRmT2_T3_T4_T5_mT6_T7_P12ihipStream_tbENKUlT_T0_E_clISt17integral_constantIbLb1EES12_IbLb0EEEEDaSY_SZ_EUlSY_E_NS1_11comp_targetILNS1_3genE4ELNS1_11target_archE910ELNS1_3gpuE8ELNS1_3repE0EEENS1_30default_config_static_selectorELNS0_4arch9wavefront6targetE0EEEvT1_.kd
    .uniform_work_group_size: 1
    .uses_dynamic_stack: false
    .vgpr_count:     0
    .vgpr_spill_count: 0
    .wavefront_size: 32
    .workgroup_processor_mode: 1
  - .args:
      - .offset:         0
        .size:           120
        .value_kind:     by_value
    .group_segment_fixed_size: 0
    .kernarg_segment_align: 8
    .kernarg_segment_size: 120
    .language:       OpenCL C
    .language_version:
      - 2
      - 0
    .max_flat_workgroup_size: 128
    .name:           _ZN7rocprim17ROCPRIM_400000_NS6detail17trampoline_kernelINS0_14default_configENS1_27scan_by_key_config_selectorIj11FixedVectorIiLj2EEEEZZNS1_16scan_by_key_implILNS1_25lookback_scan_determinismE0ELb0ES3_N6thrust23THRUST_200600_302600_NS6detail15normal_iteratorINSB_10device_ptrIjEEEENSD_INSE_IS6_EEEESI_S6_NSB_4plusIvEENSB_8equal_toIvEES6_EE10hipError_tPvRmT2_T3_T4_T5_mT6_T7_P12ihipStream_tbENKUlT_T0_E_clISt17integral_constantIbLb1EES12_IbLb0EEEEDaSY_SZ_EUlSY_E_NS1_11comp_targetILNS1_3genE3ELNS1_11target_archE908ELNS1_3gpuE7ELNS1_3repE0EEENS1_30default_config_static_selectorELNS0_4arch9wavefront6targetE0EEEvT1_
    .private_segment_fixed_size: 0
    .sgpr_count:     0
    .sgpr_spill_count: 0
    .symbol:         _ZN7rocprim17ROCPRIM_400000_NS6detail17trampoline_kernelINS0_14default_configENS1_27scan_by_key_config_selectorIj11FixedVectorIiLj2EEEEZZNS1_16scan_by_key_implILNS1_25lookback_scan_determinismE0ELb0ES3_N6thrust23THRUST_200600_302600_NS6detail15normal_iteratorINSB_10device_ptrIjEEEENSD_INSE_IS6_EEEESI_S6_NSB_4plusIvEENSB_8equal_toIvEES6_EE10hipError_tPvRmT2_T3_T4_T5_mT6_T7_P12ihipStream_tbENKUlT_T0_E_clISt17integral_constantIbLb1EES12_IbLb0EEEEDaSY_SZ_EUlSY_E_NS1_11comp_targetILNS1_3genE3ELNS1_11target_archE908ELNS1_3gpuE7ELNS1_3repE0EEENS1_30default_config_static_selectorELNS0_4arch9wavefront6targetE0EEEvT1_.kd
    .uniform_work_group_size: 1
    .uses_dynamic_stack: false
    .vgpr_count:     0
    .vgpr_spill_count: 0
    .wavefront_size: 32
    .workgroup_processor_mode: 1
  - .args:
      - .offset:         0
        .size:           120
        .value_kind:     by_value
    .group_segment_fixed_size: 0
    .kernarg_segment_align: 8
    .kernarg_segment_size: 120
    .language:       OpenCL C
    .language_version:
      - 2
      - 0
    .max_flat_workgroup_size: 64
    .name:           _ZN7rocprim17ROCPRIM_400000_NS6detail17trampoline_kernelINS0_14default_configENS1_27scan_by_key_config_selectorIj11FixedVectorIiLj2EEEEZZNS1_16scan_by_key_implILNS1_25lookback_scan_determinismE0ELb0ES3_N6thrust23THRUST_200600_302600_NS6detail15normal_iteratorINSB_10device_ptrIjEEEENSD_INSE_IS6_EEEESI_S6_NSB_4plusIvEENSB_8equal_toIvEES6_EE10hipError_tPvRmT2_T3_T4_T5_mT6_T7_P12ihipStream_tbENKUlT_T0_E_clISt17integral_constantIbLb1EES12_IbLb0EEEEDaSY_SZ_EUlSY_E_NS1_11comp_targetILNS1_3genE2ELNS1_11target_archE906ELNS1_3gpuE6ELNS1_3repE0EEENS1_30default_config_static_selectorELNS0_4arch9wavefront6targetE0EEEvT1_
    .private_segment_fixed_size: 0
    .sgpr_count:     0
    .sgpr_spill_count: 0
    .symbol:         _ZN7rocprim17ROCPRIM_400000_NS6detail17trampoline_kernelINS0_14default_configENS1_27scan_by_key_config_selectorIj11FixedVectorIiLj2EEEEZZNS1_16scan_by_key_implILNS1_25lookback_scan_determinismE0ELb0ES3_N6thrust23THRUST_200600_302600_NS6detail15normal_iteratorINSB_10device_ptrIjEEEENSD_INSE_IS6_EEEESI_S6_NSB_4plusIvEENSB_8equal_toIvEES6_EE10hipError_tPvRmT2_T3_T4_T5_mT6_T7_P12ihipStream_tbENKUlT_T0_E_clISt17integral_constantIbLb1EES12_IbLb0EEEEDaSY_SZ_EUlSY_E_NS1_11comp_targetILNS1_3genE2ELNS1_11target_archE906ELNS1_3gpuE6ELNS1_3repE0EEENS1_30default_config_static_selectorELNS0_4arch9wavefront6targetE0EEEvT1_.kd
    .uniform_work_group_size: 1
    .uses_dynamic_stack: false
    .vgpr_count:     0
    .vgpr_spill_count: 0
    .wavefront_size: 32
    .workgroup_processor_mode: 1
  - .args:
      - .offset:         0
        .size:           120
        .value_kind:     by_value
    .group_segment_fixed_size: 0
    .kernarg_segment_align: 8
    .kernarg_segment_size: 120
    .language:       OpenCL C
    .language_version:
      - 2
      - 0
    .max_flat_workgroup_size: 256
    .name:           _ZN7rocprim17ROCPRIM_400000_NS6detail17trampoline_kernelINS0_14default_configENS1_27scan_by_key_config_selectorIj11FixedVectorIiLj2EEEEZZNS1_16scan_by_key_implILNS1_25lookback_scan_determinismE0ELb0ES3_N6thrust23THRUST_200600_302600_NS6detail15normal_iteratorINSB_10device_ptrIjEEEENSD_INSE_IS6_EEEESI_S6_NSB_4plusIvEENSB_8equal_toIvEES6_EE10hipError_tPvRmT2_T3_T4_T5_mT6_T7_P12ihipStream_tbENKUlT_T0_E_clISt17integral_constantIbLb1EES12_IbLb0EEEEDaSY_SZ_EUlSY_E_NS1_11comp_targetILNS1_3genE10ELNS1_11target_archE1200ELNS1_3gpuE4ELNS1_3repE0EEENS1_30default_config_static_selectorELNS0_4arch9wavefront6targetE0EEEvT1_
    .private_segment_fixed_size: 0
    .sgpr_count:     0
    .sgpr_spill_count: 0
    .symbol:         _ZN7rocprim17ROCPRIM_400000_NS6detail17trampoline_kernelINS0_14default_configENS1_27scan_by_key_config_selectorIj11FixedVectorIiLj2EEEEZZNS1_16scan_by_key_implILNS1_25lookback_scan_determinismE0ELb0ES3_N6thrust23THRUST_200600_302600_NS6detail15normal_iteratorINSB_10device_ptrIjEEEENSD_INSE_IS6_EEEESI_S6_NSB_4plusIvEENSB_8equal_toIvEES6_EE10hipError_tPvRmT2_T3_T4_T5_mT6_T7_P12ihipStream_tbENKUlT_T0_E_clISt17integral_constantIbLb1EES12_IbLb0EEEEDaSY_SZ_EUlSY_E_NS1_11comp_targetILNS1_3genE10ELNS1_11target_archE1200ELNS1_3gpuE4ELNS1_3repE0EEENS1_30default_config_static_selectorELNS0_4arch9wavefront6targetE0EEEvT1_.kd
    .uniform_work_group_size: 1
    .uses_dynamic_stack: false
    .vgpr_count:     0
    .vgpr_spill_count: 0
    .wavefront_size: 32
    .workgroup_processor_mode: 1
  - .args:
      - .offset:         0
        .size:           120
        .value_kind:     by_value
    .group_segment_fixed_size: 0
    .kernarg_segment_align: 8
    .kernarg_segment_size: 120
    .language:       OpenCL C
    .language_version:
      - 2
      - 0
    .max_flat_workgroup_size: 256
    .name:           _ZN7rocprim17ROCPRIM_400000_NS6detail17trampoline_kernelINS0_14default_configENS1_27scan_by_key_config_selectorIj11FixedVectorIiLj2EEEEZZNS1_16scan_by_key_implILNS1_25lookback_scan_determinismE0ELb0ES3_N6thrust23THRUST_200600_302600_NS6detail15normal_iteratorINSB_10device_ptrIjEEEENSD_INSE_IS6_EEEESI_S6_NSB_4plusIvEENSB_8equal_toIvEES6_EE10hipError_tPvRmT2_T3_T4_T5_mT6_T7_P12ihipStream_tbENKUlT_T0_E_clISt17integral_constantIbLb1EES12_IbLb0EEEEDaSY_SZ_EUlSY_E_NS1_11comp_targetILNS1_3genE9ELNS1_11target_archE1100ELNS1_3gpuE3ELNS1_3repE0EEENS1_30default_config_static_selectorELNS0_4arch9wavefront6targetE0EEEvT1_
    .private_segment_fixed_size: 0
    .sgpr_count:     0
    .sgpr_spill_count: 0
    .symbol:         _ZN7rocprim17ROCPRIM_400000_NS6detail17trampoline_kernelINS0_14default_configENS1_27scan_by_key_config_selectorIj11FixedVectorIiLj2EEEEZZNS1_16scan_by_key_implILNS1_25lookback_scan_determinismE0ELb0ES3_N6thrust23THRUST_200600_302600_NS6detail15normal_iteratorINSB_10device_ptrIjEEEENSD_INSE_IS6_EEEESI_S6_NSB_4plusIvEENSB_8equal_toIvEES6_EE10hipError_tPvRmT2_T3_T4_T5_mT6_T7_P12ihipStream_tbENKUlT_T0_E_clISt17integral_constantIbLb1EES12_IbLb0EEEEDaSY_SZ_EUlSY_E_NS1_11comp_targetILNS1_3genE9ELNS1_11target_archE1100ELNS1_3gpuE3ELNS1_3repE0EEENS1_30default_config_static_selectorELNS0_4arch9wavefront6targetE0EEEvT1_.kd
    .uniform_work_group_size: 1
    .uses_dynamic_stack: false
    .vgpr_count:     0
    .vgpr_spill_count: 0
    .wavefront_size: 32
    .workgroup_processor_mode: 1
  - .args:
      - .offset:         0
        .size:           120
        .value_kind:     by_value
    .group_segment_fixed_size: 0
    .kernarg_segment_align: 8
    .kernarg_segment_size: 120
    .language:       OpenCL C
    .language_version:
      - 2
      - 0
    .max_flat_workgroup_size: 256
    .name:           _ZN7rocprim17ROCPRIM_400000_NS6detail17trampoline_kernelINS0_14default_configENS1_27scan_by_key_config_selectorIj11FixedVectorIiLj2EEEEZZNS1_16scan_by_key_implILNS1_25lookback_scan_determinismE0ELb0ES3_N6thrust23THRUST_200600_302600_NS6detail15normal_iteratorINSB_10device_ptrIjEEEENSD_INSE_IS6_EEEESI_S6_NSB_4plusIvEENSB_8equal_toIvEES6_EE10hipError_tPvRmT2_T3_T4_T5_mT6_T7_P12ihipStream_tbENKUlT_T0_E_clISt17integral_constantIbLb1EES12_IbLb0EEEEDaSY_SZ_EUlSY_E_NS1_11comp_targetILNS1_3genE8ELNS1_11target_archE1030ELNS1_3gpuE2ELNS1_3repE0EEENS1_30default_config_static_selectorELNS0_4arch9wavefront6targetE0EEEvT1_
    .private_segment_fixed_size: 0
    .sgpr_count:     0
    .sgpr_spill_count: 0
    .symbol:         _ZN7rocprim17ROCPRIM_400000_NS6detail17trampoline_kernelINS0_14default_configENS1_27scan_by_key_config_selectorIj11FixedVectorIiLj2EEEEZZNS1_16scan_by_key_implILNS1_25lookback_scan_determinismE0ELb0ES3_N6thrust23THRUST_200600_302600_NS6detail15normal_iteratorINSB_10device_ptrIjEEEENSD_INSE_IS6_EEEESI_S6_NSB_4plusIvEENSB_8equal_toIvEES6_EE10hipError_tPvRmT2_T3_T4_T5_mT6_T7_P12ihipStream_tbENKUlT_T0_E_clISt17integral_constantIbLb1EES12_IbLb0EEEEDaSY_SZ_EUlSY_E_NS1_11comp_targetILNS1_3genE8ELNS1_11target_archE1030ELNS1_3gpuE2ELNS1_3repE0EEENS1_30default_config_static_selectorELNS0_4arch9wavefront6targetE0EEEvT1_.kd
    .uniform_work_group_size: 1
    .uses_dynamic_stack: false
    .vgpr_count:     0
    .vgpr_spill_count: 0
    .wavefront_size: 32
    .workgroup_processor_mode: 1
  - .args:
      - .address_space:  global
        .offset:         0
        .size:           8
        .value_kind:     global_buffer
      - .offset:         8
        .size:           4
        .value_kind:     by_value
      - .offset:         12
        .size:           4
        .value_kind:     by_value
      - .address_space:  global
        .offset:         16
        .size:           8
        .value_kind:     global_buffer
      - .address_space:  global
        .offset:         24
        .size:           8
        .value_kind:     global_buffer
      - .actual_access:  write_only
        .address_space:  global
        .offset:         32
        .size:           8
        .value_kind:     global_buffer
      - .offset:         40
        .size:           8
        .value_kind:     by_value
      - .offset:         48
        .size:           4
        .value_kind:     by_value
      - .address_space:  global
        .offset:         56
        .size:           8
        .value_kind:     global_buffer
      - .offset:         64
        .size:           4
        .value_kind:     hidden_block_count_x
      - .offset:         68
        .size:           4
        .value_kind:     hidden_block_count_y
      - .offset:         72
        .size:           4
        .value_kind:     hidden_block_count_z
      - .offset:         76
        .size:           2
        .value_kind:     hidden_group_size_x
      - .offset:         78
        .size:           2
        .value_kind:     hidden_group_size_y
      - .offset:         80
        .size:           2
        .value_kind:     hidden_group_size_z
      - .offset:         82
        .size:           2
        .value_kind:     hidden_remainder_x
      - .offset:         84
        .size:           2
        .value_kind:     hidden_remainder_y
      - .offset:         86
        .size:           2
        .value_kind:     hidden_remainder_z
      - .offset:         104
        .size:           8
        .value_kind:     hidden_global_offset_x
      - .offset:         112
        .size:           8
        .value_kind:     hidden_global_offset_y
      - .offset:         120
        .size:           8
        .value_kind:     hidden_global_offset_z
      - .offset:         128
        .size:           2
        .value_kind:     hidden_grid_dims
    .group_segment_fixed_size: 0
    .kernarg_segment_align: 8
    .kernarg_segment_size: 320
    .language:       OpenCL C
    .language_version:
      - 2
      - 0
    .max_flat_workgroup_size: 256
    .name:           _ZN7rocprim17ROCPRIM_400000_NS6detail30init_device_scan_by_key_kernelINS1_19lookback_scan_stateINS0_5tupleIJ11FixedVectorIiLj2EEbEEELb0ELb1EEEN6thrust23THRUST_200600_302600_NS6detail15normal_iteratorINSA_10device_ptrIjEEEEjNS1_16block_id_wrapperIjLb1EEEEEvT_jjPNSI_10value_typeET0_PNSt15iterator_traitsISL_E10value_typeEmT1_T2_
    .private_segment_fixed_size: 0
    .sgpr_count:     19
    .sgpr_spill_count: 0
    .symbol:         _ZN7rocprim17ROCPRIM_400000_NS6detail30init_device_scan_by_key_kernelINS1_19lookback_scan_stateINS0_5tupleIJ11FixedVectorIiLj2EEbEEELb0ELb1EEEN6thrust23THRUST_200600_302600_NS6detail15normal_iteratorINSA_10device_ptrIjEEEEjNS1_16block_id_wrapperIjLb1EEEEEvT_jjPNSI_10value_typeET0_PNSt15iterator_traitsISL_E10value_typeEmT1_T2_.kd
    .uniform_work_group_size: 1
    .uses_dynamic_stack: false
    .vgpr_count:     9
    .vgpr_spill_count: 0
    .wavefront_size: 32
    .workgroup_processor_mode: 1
  - .args:
      - .address_space:  global
        .offset:         0
        .size:           8
        .value_kind:     global_buffer
      - .offset:         8
        .size:           4
        .value_kind:     by_value
      - .offset:         12
        .size:           4
        .value_kind:     by_value
      - .address_space:  global
        .offset:         16
        .size:           8
        .value_kind:     global_buffer
      - .address_space:  global
        .offset:         24
        .size:           8
        .value_kind:     global_buffer
      - .offset:         32
        .size:           4
        .value_kind:     hidden_block_count_x
      - .offset:         36
        .size:           4
        .value_kind:     hidden_block_count_y
      - .offset:         40
        .size:           4
        .value_kind:     hidden_block_count_z
      - .offset:         44
        .size:           2
        .value_kind:     hidden_group_size_x
      - .offset:         46
        .size:           2
        .value_kind:     hidden_group_size_y
      - .offset:         48
        .size:           2
        .value_kind:     hidden_group_size_z
      - .offset:         50
        .size:           2
        .value_kind:     hidden_remainder_x
      - .offset:         52
        .size:           2
        .value_kind:     hidden_remainder_y
      - .offset:         54
        .size:           2
        .value_kind:     hidden_remainder_z
      - .offset:         72
        .size:           8
        .value_kind:     hidden_global_offset_x
      - .offset:         80
        .size:           8
        .value_kind:     hidden_global_offset_y
      - .offset:         88
        .size:           8
        .value_kind:     hidden_global_offset_z
      - .offset:         96
        .size:           2
        .value_kind:     hidden_grid_dims
    .group_segment_fixed_size: 0
    .kernarg_segment_align: 8
    .kernarg_segment_size: 288
    .language:       OpenCL C
    .language_version:
      - 2
      - 0
    .max_flat_workgroup_size: 256
    .name:           _ZN7rocprim17ROCPRIM_400000_NS6detail30init_device_scan_by_key_kernelINS1_19lookback_scan_stateINS0_5tupleIJ11FixedVectorIiLj2EEbEEELb0ELb1EEENS1_16block_id_wrapperIjLb1EEEEEvT_jjPNSB_10value_typeET0_
    .private_segment_fixed_size: 0
    .sgpr_count:     18
    .sgpr_spill_count: 0
    .symbol:         _ZN7rocprim17ROCPRIM_400000_NS6detail30init_device_scan_by_key_kernelINS1_19lookback_scan_stateINS0_5tupleIJ11FixedVectorIiLj2EEbEEELb0ELb1EEENS1_16block_id_wrapperIjLb1EEEEEvT_jjPNSB_10value_typeET0_.kd
    .uniform_work_group_size: 1
    .uses_dynamic_stack: false
    .vgpr_count:     9
    .vgpr_spill_count: 0
    .wavefront_size: 32
    .workgroup_processor_mode: 1
  - .args:
      - .offset:         0
        .size:           120
        .value_kind:     by_value
    .group_segment_fixed_size: 0
    .kernarg_segment_align: 8
    .kernarg_segment_size: 120
    .language:       OpenCL C
    .language_version:
      - 2
      - 0
    .max_flat_workgroup_size: 128
    .name:           _ZN7rocprim17ROCPRIM_400000_NS6detail17trampoline_kernelINS0_14default_configENS1_27scan_by_key_config_selectorIj11FixedVectorIiLj2EEEEZZNS1_16scan_by_key_implILNS1_25lookback_scan_determinismE0ELb0ES3_N6thrust23THRUST_200600_302600_NS6detail15normal_iteratorINSB_10device_ptrIjEEEENSD_INSE_IS6_EEEESI_S6_NSB_4plusIvEENSB_8equal_toIvEES6_EE10hipError_tPvRmT2_T3_T4_T5_mT6_T7_P12ihipStream_tbENKUlT_T0_E_clISt17integral_constantIbLb0EES12_IbLb1EEEEDaSY_SZ_EUlSY_E_NS1_11comp_targetILNS1_3genE0ELNS1_11target_archE4294967295ELNS1_3gpuE0ELNS1_3repE0EEENS1_30default_config_static_selectorELNS0_4arch9wavefront6targetE0EEEvT1_
    .private_segment_fixed_size: 0
    .sgpr_count:     0
    .sgpr_spill_count: 0
    .symbol:         _ZN7rocprim17ROCPRIM_400000_NS6detail17trampoline_kernelINS0_14default_configENS1_27scan_by_key_config_selectorIj11FixedVectorIiLj2EEEEZZNS1_16scan_by_key_implILNS1_25lookback_scan_determinismE0ELb0ES3_N6thrust23THRUST_200600_302600_NS6detail15normal_iteratorINSB_10device_ptrIjEEEENSD_INSE_IS6_EEEESI_S6_NSB_4plusIvEENSB_8equal_toIvEES6_EE10hipError_tPvRmT2_T3_T4_T5_mT6_T7_P12ihipStream_tbENKUlT_T0_E_clISt17integral_constantIbLb0EES12_IbLb1EEEEDaSY_SZ_EUlSY_E_NS1_11comp_targetILNS1_3genE0ELNS1_11target_archE4294967295ELNS1_3gpuE0ELNS1_3repE0EEENS1_30default_config_static_selectorELNS0_4arch9wavefront6targetE0EEEvT1_.kd
    .uniform_work_group_size: 1
    .uses_dynamic_stack: false
    .vgpr_count:     0
    .vgpr_spill_count: 0
    .wavefront_size: 32
    .workgroup_processor_mode: 1
  - .args:
      - .offset:         0
        .size:           120
        .value_kind:     by_value
    .group_segment_fixed_size: 0
    .kernarg_segment_align: 8
    .kernarg_segment_size: 120
    .language:       OpenCL C
    .language_version:
      - 2
      - 0
    .max_flat_workgroup_size: 256
    .name:           _ZN7rocprim17ROCPRIM_400000_NS6detail17trampoline_kernelINS0_14default_configENS1_27scan_by_key_config_selectorIj11FixedVectorIiLj2EEEEZZNS1_16scan_by_key_implILNS1_25lookback_scan_determinismE0ELb0ES3_N6thrust23THRUST_200600_302600_NS6detail15normal_iteratorINSB_10device_ptrIjEEEENSD_INSE_IS6_EEEESI_S6_NSB_4plusIvEENSB_8equal_toIvEES6_EE10hipError_tPvRmT2_T3_T4_T5_mT6_T7_P12ihipStream_tbENKUlT_T0_E_clISt17integral_constantIbLb0EES12_IbLb1EEEEDaSY_SZ_EUlSY_E_NS1_11comp_targetILNS1_3genE10ELNS1_11target_archE1201ELNS1_3gpuE5ELNS1_3repE0EEENS1_30default_config_static_selectorELNS0_4arch9wavefront6targetE0EEEvT1_
    .private_segment_fixed_size: 0
    .sgpr_count:     0
    .sgpr_spill_count: 0
    .symbol:         _ZN7rocprim17ROCPRIM_400000_NS6detail17trampoline_kernelINS0_14default_configENS1_27scan_by_key_config_selectorIj11FixedVectorIiLj2EEEEZZNS1_16scan_by_key_implILNS1_25lookback_scan_determinismE0ELb0ES3_N6thrust23THRUST_200600_302600_NS6detail15normal_iteratorINSB_10device_ptrIjEEEENSD_INSE_IS6_EEEESI_S6_NSB_4plusIvEENSB_8equal_toIvEES6_EE10hipError_tPvRmT2_T3_T4_T5_mT6_T7_P12ihipStream_tbENKUlT_T0_E_clISt17integral_constantIbLb0EES12_IbLb1EEEEDaSY_SZ_EUlSY_E_NS1_11comp_targetILNS1_3genE10ELNS1_11target_archE1201ELNS1_3gpuE5ELNS1_3repE0EEENS1_30default_config_static_selectorELNS0_4arch9wavefront6targetE0EEEvT1_.kd
    .uniform_work_group_size: 1
    .uses_dynamic_stack: false
    .vgpr_count:     0
    .vgpr_spill_count: 0
    .wavefront_size: 32
    .workgroup_processor_mode: 1
  - .args:
      - .offset:         0
        .size:           120
        .value_kind:     by_value
    .group_segment_fixed_size: 0
    .kernarg_segment_align: 8
    .kernarg_segment_size: 120
    .language:       OpenCL C
    .language_version:
      - 2
      - 0
    .max_flat_workgroup_size: 256
    .name:           _ZN7rocprim17ROCPRIM_400000_NS6detail17trampoline_kernelINS0_14default_configENS1_27scan_by_key_config_selectorIj11FixedVectorIiLj2EEEEZZNS1_16scan_by_key_implILNS1_25lookback_scan_determinismE0ELb0ES3_N6thrust23THRUST_200600_302600_NS6detail15normal_iteratorINSB_10device_ptrIjEEEENSD_INSE_IS6_EEEESI_S6_NSB_4plusIvEENSB_8equal_toIvEES6_EE10hipError_tPvRmT2_T3_T4_T5_mT6_T7_P12ihipStream_tbENKUlT_T0_E_clISt17integral_constantIbLb0EES12_IbLb1EEEEDaSY_SZ_EUlSY_E_NS1_11comp_targetILNS1_3genE5ELNS1_11target_archE942ELNS1_3gpuE9ELNS1_3repE0EEENS1_30default_config_static_selectorELNS0_4arch9wavefront6targetE0EEEvT1_
    .private_segment_fixed_size: 0
    .sgpr_count:     0
    .sgpr_spill_count: 0
    .symbol:         _ZN7rocprim17ROCPRIM_400000_NS6detail17trampoline_kernelINS0_14default_configENS1_27scan_by_key_config_selectorIj11FixedVectorIiLj2EEEEZZNS1_16scan_by_key_implILNS1_25lookback_scan_determinismE0ELb0ES3_N6thrust23THRUST_200600_302600_NS6detail15normal_iteratorINSB_10device_ptrIjEEEENSD_INSE_IS6_EEEESI_S6_NSB_4plusIvEENSB_8equal_toIvEES6_EE10hipError_tPvRmT2_T3_T4_T5_mT6_T7_P12ihipStream_tbENKUlT_T0_E_clISt17integral_constantIbLb0EES12_IbLb1EEEEDaSY_SZ_EUlSY_E_NS1_11comp_targetILNS1_3genE5ELNS1_11target_archE942ELNS1_3gpuE9ELNS1_3repE0EEENS1_30default_config_static_selectorELNS0_4arch9wavefront6targetE0EEEvT1_.kd
    .uniform_work_group_size: 1
    .uses_dynamic_stack: false
    .vgpr_count:     0
    .vgpr_spill_count: 0
    .wavefront_size: 32
    .workgroup_processor_mode: 1
  - .args:
      - .offset:         0
        .size:           120
        .value_kind:     by_value
    .group_segment_fixed_size: 0
    .kernarg_segment_align: 8
    .kernarg_segment_size: 120
    .language:       OpenCL C
    .language_version:
      - 2
      - 0
    .max_flat_workgroup_size: 64
    .name:           _ZN7rocprim17ROCPRIM_400000_NS6detail17trampoline_kernelINS0_14default_configENS1_27scan_by_key_config_selectorIj11FixedVectorIiLj2EEEEZZNS1_16scan_by_key_implILNS1_25lookback_scan_determinismE0ELb0ES3_N6thrust23THRUST_200600_302600_NS6detail15normal_iteratorINSB_10device_ptrIjEEEENSD_INSE_IS6_EEEESI_S6_NSB_4plusIvEENSB_8equal_toIvEES6_EE10hipError_tPvRmT2_T3_T4_T5_mT6_T7_P12ihipStream_tbENKUlT_T0_E_clISt17integral_constantIbLb0EES12_IbLb1EEEEDaSY_SZ_EUlSY_E_NS1_11comp_targetILNS1_3genE4ELNS1_11target_archE910ELNS1_3gpuE8ELNS1_3repE0EEENS1_30default_config_static_selectorELNS0_4arch9wavefront6targetE0EEEvT1_
    .private_segment_fixed_size: 0
    .sgpr_count:     0
    .sgpr_spill_count: 0
    .symbol:         _ZN7rocprim17ROCPRIM_400000_NS6detail17trampoline_kernelINS0_14default_configENS1_27scan_by_key_config_selectorIj11FixedVectorIiLj2EEEEZZNS1_16scan_by_key_implILNS1_25lookback_scan_determinismE0ELb0ES3_N6thrust23THRUST_200600_302600_NS6detail15normal_iteratorINSB_10device_ptrIjEEEENSD_INSE_IS6_EEEESI_S6_NSB_4plusIvEENSB_8equal_toIvEES6_EE10hipError_tPvRmT2_T3_T4_T5_mT6_T7_P12ihipStream_tbENKUlT_T0_E_clISt17integral_constantIbLb0EES12_IbLb1EEEEDaSY_SZ_EUlSY_E_NS1_11comp_targetILNS1_3genE4ELNS1_11target_archE910ELNS1_3gpuE8ELNS1_3repE0EEENS1_30default_config_static_selectorELNS0_4arch9wavefront6targetE0EEEvT1_.kd
    .uniform_work_group_size: 1
    .uses_dynamic_stack: false
    .vgpr_count:     0
    .vgpr_spill_count: 0
    .wavefront_size: 32
    .workgroup_processor_mode: 1
  - .args:
      - .offset:         0
        .size:           120
        .value_kind:     by_value
    .group_segment_fixed_size: 0
    .kernarg_segment_align: 8
    .kernarg_segment_size: 120
    .language:       OpenCL C
    .language_version:
      - 2
      - 0
    .max_flat_workgroup_size: 128
    .name:           _ZN7rocprim17ROCPRIM_400000_NS6detail17trampoline_kernelINS0_14default_configENS1_27scan_by_key_config_selectorIj11FixedVectorIiLj2EEEEZZNS1_16scan_by_key_implILNS1_25lookback_scan_determinismE0ELb0ES3_N6thrust23THRUST_200600_302600_NS6detail15normal_iteratorINSB_10device_ptrIjEEEENSD_INSE_IS6_EEEESI_S6_NSB_4plusIvEENSB_8equal_toIvEES6_EE10hipError_tPvRmT2_T3_T4_T5_mT6_T7_P12ihipStream_tbENKUlT_T0_E_clISt17integral_constantIbLb0EES12_IbLb1EEEEDaSY_SZ_EUlSY_E_NS1_11comp_targetILNS1_3genE3ELNS1_11target_archE908ELNS1_3gpuE7ELNS1_3repE0EEENS1_30default_config_static_selectorELNS0_4arch9wavefront6targetE0EEEvT1_
    .private_segment_fixed_size: 0
    .sgpr_count:     0
    .sgpr_spill_count: 0
    .symbol:         _ZN7rocprim17ROCPRIM_400000_NS6detail17trampoline_kernelINS0_14default_configENS1_27scan_by_key_config_selectorIj11FixedVectorIiLj2EEEEZZNS1_16scan_by_key_implILNS1_25lookback_scan_determinismE0ELb0ES3_N6thrust23THRUST_200600_302600_NS6detail15normal_iteratorINSB_10device_ptrIjEEEENSD_INSE_IS6_EEEESI_S6_NSB_4plusIvEENSB_8equal_toIvEES6_EE10hipError_tPvRmT2_T3_T4_T5_mT6_T7_P12ihipStream_tbENKUlT_T0_E_clISt17integral_constantIbLb0EES12_IbLb1EEEEDaSY_SZ_EUlSY_E_NS1_11comp_targetILNS1_3genE3ELNS1_11target_archE908ELNS1_3gpuE7ELNS1_3repE0EEENS1_30default_config_static_selectorELNS0_4arch9wavefront6targetE0EEEvT1_.kd
    .uniform_work_group_size: 1
    .uses_dynamic_stack: false
    .vgpr_count:     0
    .vgpr_spill_count: 0
    .wavefront_size: 32
    .workgroup_processor_mode: 1
  - .args:
      - .offset:         0
        .size:           120
        .value_kind:     by_value
    .group_segment_fixed_size: 0
    .kernarg_segment_align: 8
    .kernarg_segment_size: 120
    .language:       OpenCL C
    .language_version:
      - 2
      - 0
    .max_flat_workgroup_size: 64
    .name:           _ZN7rocprim17ROCPRIM_400000_NS6detail17trampoline_kernelINS0_14default_configENS1_27scan_by_key_config_selectorIj11FixedVectorIiLj2EEEEZZNS1_16scan_by_key_implILNS1_25lookback_scan_determinismE0ELb0ES3_N6thrust23THRUST_200600_302600_NS6detail15normal_iteratorINSB_10device_ptrIjEEEENSD_INSE_IS6_EEEESI_S6_NSB_4plusIvEENSB_8equal_toIvEES6_EE10hipError_tPvRmT2_T3_T4_T5_mT6_T7_P12ihipStream_tbENKUlT_T0_E_clISt17integral_constantIbLb0EES12_IbLb1EEEEDaSY_SZ_EUlSY_E_NS1_11comp_targetILNS1_3genE2ELNS1_11target_archE906ELNS1_3gpuE6ELNS1_3repE0EEENS1_30default_config_static_selectorELNS0_4arch9wavefront6targetE0EEEvT1_
    .private_segment_fixed_size: 0
    .sgpr_count:     0
    .sgpr_spill_count: 0
    .symbol:         _ZN7rocprim17ROCPRIM_400000_NS6detail17trampoline_kernelINS0_14default_configENS1_27scan_by_key_config_selectorIj11FixedVectorIiLj2EEEEZZNS1_16scan_by_key_implILNS1_25lookback_scan_determinismE0ELb0ES3_N6thrust23THRUST_200600_302600_NS6detail15normal_iteratorINSB_10device_ptrIjEEEENSD_INSE_IS6_EEEESI_S6_NSB_4plusIvEENSB_8equal_toIvEES6_EE10hipError_tPvRmT2_T3_T4_T5_mT6_T7_P12ihipStream_tbENKUlT_T0_E_clISt17integral_constantIbLb0EES12_IbLb1EEEEDaSY_SZ_EUlSY_E_NS1_11comp_targetILNS1_3genE2ELNS1_11target_archE906ELNS1_3gpuE6ELNS1_3repE0EEENS1_30default_config_static_selectorELNS0_4arch9wavefront6targetE0EEEvT1_.kd
    .uniform_work_group_size: 1
    .uses_dynamic_stack: false
    .vgpr_count:     0
    .vgpr_spill_count: 0
    .wavefront_size: 32
    .workgroup_processor_mode: 1
  - .args:
      - .offset:         0
        .size:           120
        .value_kind:     by_value
    .group_segment_fixed_size: 0
    .kernarg_segment_align: 8
    .kernarg_segment_size: 120
    .language:       OpenCL C
    .language_version:
      - 2
      - 0
    .max_flat_workgroup_size: 256
    .name:           _ZN7rocprim17ROCPRIM_400000_NS6detail17trampoline_kernelINS0_14default_configENS1_27scan_by_key_config_selectorIj11FixedVectorIiLj2EEEEZZNS1_16scan_by_key_implILNS1_25lookback_scan_determinismE0ELb0ES3_N6thrust23THRUST_200600_302600_NS6detail15normal_iteratorINSB_10device_ptrIjEEEENSD_INSE_IS6_EEEESI_S6_NSB_4plusIvEENSB_8equal_toIvEES6_EE10hipError_tPvRmT2_T3_T4_T5_mT6_T7_P12ihipStream_tbENKUlT_T0_E_clISt17integral_constantIbLb0EES12_IbLb1EEEEDaSY_SZ_EUlSY_E_NS1_11comp_targetILNS1_3genE10ELNS1_11target_archE1200ELNS1_3gpuE4ELNS1_3repE0EEENS1_30default_config_static_selectorELNS0_4arch9wavefront6targetE0EEEvT1_
    .private_segment_fixed_size: 0
    .sgpr_count:     0
    .sgpr_spill_count: 0
    .symbol:         _ZN7rocprim17ROCPRIM_400000_NS6detail17trampoline_kernelINS0_14default_configENS1_27scan_by_key_config_selectorIj11FixedVectorIiLj2EEEEZZNS1_16scan_by_key_implILNS1_25lookback_scan_determinismE0ELb0ES3_N6thrust23THRUST_200600_302600_NS6detail15normal_iteratorINSB_10device_ptrIjEEEENSD_INSE_IS6_EEEESI_S6_NSB_4plusIvEENSB_8equal_toIvEES6_EE10hipError_tPvRmT2_T3_T4_T5_mT6_T7_P12ihipStream_tbENKUlT_T0_E_clISt17integral_constantIbLb0EES12_IbLb1EEEEDaSY_SZ_EUlSY_E_NS1_11comp_targetILNS1_3genE10ELNS1_11target_archE1200ELNS1_3gpuE4ELNS1_3repE0EEENS1_30default_config_static_selectorELNS0_4arch9wavefront6targetE0EEEvT1_.kd
    .uniform_work_group_size: 1
    .uses_dynamic_stack: false
    .vgpr_count:     0
    .vgpr_spill_count: 0
    .wavefront_size: 32
    .workgroup_processor_mode: 1
  - .args:
      - .offset:         0
        .size:           120
        .value_kind:     by_value
    .group_segment_fixed_size: 0
    .kernarg_segment_align: 8
    .kernarg_segment_size: 120
    .language:       OpenCL C
    .language_version:
      - 2
      - 0
    .max_flat_workgroup_size: 256
    .name:           _ZN7rocprim17ROCPRIM_400000_NS6detail17trampoline_kernelINS0_14default_configENS1_27scan_by_key_config_selectorIj11FixedVectorIiLj2EEEEZZNS1_16scan_by_key_implILNS1_25lookback_scan_determinismE0ELb0ES3_N6thrust23THRUST_200600_302600_NS6detail15normal_iteratorINSB_10device_ptrIjEEEENSD_INSE_IS6_EEEESI_S6_NSB_4plusIvEENSB_8equal_toIvEES6_EE10hipError_tPvRmT2_T3_T4_T5_mT6_T7_P12ihipStream_tbENKUlT_T0_E_clISt17integral_constantIbLb0EES12_IbLb1EEEEDaSY_SZ_EUlSY_E_NS1_11comp_targetILNS1_3genE9ELNS1_11target_archE1100ELNS1_3gpuE3ELNS1_3repE0EEENS1_30default_config_static_selectorELNS0_4arch9wavefront6targetE0EEEvT1_
    .private_segment_fixed_size: 0
    .sgpr_count:     0
    .sgpr_spill_count: 0
    .symbol:         _ZN7rocprim17ROCPRIM_400000_NS6detail17trampoline_kernelINS0_14default_configENS1_27scan_by_key_config_selectorIj11FixedVectorIiLj2EEEEZZNS1_16scan_by_key_implILNS1_25lookback_scan_determinismE0ELb0ES3_N6thrust23THRUST_200600_302600_NS6detail15normal_iteratorINSB_10device_ptrIjEEEENSD_INSE_IS6_EEEESI_S6_NSB_4plusIvEENSB_8equal_toIvEES6_EE10hipError_tPvRmT2_T3_T4_T5_mT6_T7_P12ihipStream_tbENKUlT_T0_E_clISt17integral_constantIbLb0EES12_IbLb1EEEEDaSY_SZ_EUlSY_E_NS1_11comp_targetILNS1_3genE9ELNS1_11target_archE1100ELNS1_3gpuE3ELNS1_3repE0EEENS1_30default_config_static_selectorELNS0_4arch9wavefront6targetE0EEEvT1_.kd
    .uniform_work_group_size: 1
    .uses_dynamic_stack: false
    .vgpr_count:     0
    .vgpr_spill_count: 0
    .wavefront_size: 32
    .workgroup_processor_mode: 1
  - .args:
      - .offset:         0
        .size:           120
        .value_kind:     by_value
    .group_segment_fixed_size: 6144
    .kernarg_segment_align: 8
    .kernarg_segment_size: 120
    .language:       OpenCL C
    .language_version:
      - 2
      - 0
    .max_flat_workgroup_size: 256
    .name:           _ZN7rocprim17ROCPRIM_400000_NS6detail17trampoline_kernelINS0_14default_configENS1_27scan_by_key_config_selectorIj11FixedVectorIiLj2EEEEZZNS1_16scan_by_key_implILNS1_25lookback_scan_determinismE0ELb0ES3_N6thrust23THRUST_200600_302600_NS6detail15normal_iteratorINSB_10device_ptrIjEEEENSD_INSE_IS6_EEEESI_S6_NSB_4plusIvEENSB_8equal_toIvEES6_EE10hipError_tPvRmT2_T3_T4_T5_mT6_T7_P12ihipStream_tbENKUlT_T0_E_clISt17integral_constantIbLb0EES12_IbLb1EEEEDaSY_SZ_EUlSY_E_NS1_11comp_targetILNS1_3genE8ELNS1_11target_archE1030ELNS1_3gpuE2ELNS1_3repE0EEENS1_30default_config_static_selectorELNS0_4arch9wavefront6targetE0EEEvT1_
    .private_segment_fixed_size: 0
    .sgpr_count:     37
    .sgpr_spill_count: 0
    .symbol:         _ZN7rocprim17ROCPRIM_400000_NS6detail17trampoline_kernelINS0_14default_configENS1_27scan_by_key_config_selectorIj11FixedVectorIiLj2EEEEZZNS1_16scan_by_key_implILNS1_25lookback_scan_determinismE0ELb0ES3_N6thrust23THRUST_200600_302600_NS6detail15normal_iteratorINSB_10device_ptrIjEEEENSD_INSE_IS6_EEEESI_S6_NSB_4plusIvEENSB_8equal_toIvEES6_EE10hipError_tPvRmT2_T3_T4_T5_mT6_T7_P12ihipStream_tbENKUlT_T0_E_clISt17integral_constantIbLb0EES12_IbLb1EEEEDaSY_SZ_EUlSY_E_NS1_11comp_targetILNS1_3genE8ELNS1_11target_archE1030ELNS1_3gpuE2ELNS1_3repE0EEENS1_30default_config_static_selectorELNS0_4arch9wavefront6targetE0EEEvT1_.kd
    .uniform_work_group_size: 1
    .uses_dynamic_stack: false
    .vgpr_count:     50
    .vgpr_spill_count: 0
    .wavefront_size: 32
    .workgroup_processor_mode: 1
  - .args:
      - .offset:         0
        .size:           120
        .value_kind:     by_value
    .group_segment_fixed_size: 0
    .kernarg_segment_align: 8
    .kernarg_segment_size: 120
    .language:       OpenCL C
    .language_version:
      - 2
      - 0
    .max_flat_workgroup_size: 128
    .name:           _ZN7rocprim17ROCPRIM_400000_NS6detail17trampoline_kernelINS0_14default_configENS1_27scan_by_key_config_selectorIj11FixedVectorIiLj2EEEEZZNS1_16scan_by_key_implILNS1_25lookback_scan_determinismE0ELb1ES3_N6thrust23THRUST_200600_302600_NS6detail15normal_iteratorINSB_10device_ptrIjEEEENSD_INSE_IS6_EEEESI_S6_NSB_4plusIvEENSB_8equal_toIvEES6_EE10hipError_tPvRmT2_T3_T4_T5_mT6_T7_P12ihipStream_tbENKUlT_T0_E_clISt17integral_constantIbLb0EES13_EEDaSY_SZ_EUlSY_E_NS1_11comp_targetILNS1_3genE0ELNS1_11target_archE4294967295ELNS1_3gpuE0ELNS1_3repE0EEENS1_30default_config_static_selectorELNS0_4arch9wavefront6targetE0EEEvT1_
    .private_segment_fixed_size: 0
    .sgpr_count:     0
    .sgpr_spill_count: 0
    .symbol:         _ZN7rocprim17ROCPRIM_400000_NS6detail17trampoline_kernelINS0_14default_configENS1_27scan_by_key_config_selectorIj11FixedVectorIiLj2EEEEZZNS1_16scan_by_key_implILNS1_25lookback_scan_determinismE0ELb1ES3_N6thrust23THRUST_200600_302600_NS6detail15normal_iteratorINSB_10device_ptrIjEEEENSD_INSE_IS6_EEEESI_S6_NSB_4plusIvEENSB_8equal_toIvEES6_EE10hipError_tPvRmT2_T3_T4_T5_mT6_T7_P12ihipStream_tbENKUlT_T0_E_clISt17integral_constantIbLb0EES13_EEDaSY_SZ_EUlSY_E_NS1_11comp_targetILNS1_3genE0ELNS1_11target_archE4294967295ELNS1_3gpuE0ELNS1_3repE0EEENS1_30default_config_static_selectorELNS0_4arch9wavefront6targetE0EEEvT1_.kd
    .uniform_work_group_size: 1
    .uses_dynamic_stack: false
    .vgpr_count:     0
    .vgpr_spill_count: 0
    .wavefront_size: 32
    .workgroup_processor_mode: 1
  - .args:
      - .offset:         0
        .size:           120
        .value_kind:     by_value
    .group_segment_fixed_size: 0
    .kernarg_segment_align: 8
    .kernarg_segment_size: 120
    .language:       OpenCL C
    .language_version:
      - 2
      - 0
    .max_flat_workgroup_size: 256
    .name:           _ZN7rocprim17ROCPRIM_400000_NS6detail17trampoline_kernelINS0_14default_configENS1_27scan_by_key_config_selectorIj11FixedVectorIiLj2EEEEZZNS1_16scan_by_key_implILNS1_25lookback_scan_determinismE0ELb1ES3_N6thrust23THRUST_200600_302600_NS6detail15normal_iteratorINSB_10device_ptrIjEEEENSD_INSE_IS6_EEEESI_S6_NSB_4plusIvEENSB_8equal_toIvEES6_EE10hipError_tPvRmT2_T3_T4_T5_mT6_T7_P12ihipStream_tbENKUlT_T0_E_clISt17integral_constantIbLb0EES13_EEDaSY_SZ_EUlSY_E_NS1_11comp_targetILNS1_3genE10ELNS1_11target_archE1201ELNS1_3gpuE5ELNS1_3repE0EEENS1_30default_config_static_selectorELNS0_4arch9wavefront6targetE0EEEvT1_
    .private_segment_fixed_size: 0
    .sgpr_count:     0
    .sgpr_spill_count: 0
    .symbol:         _ZN7rocprim17ROCPRIM_400000_NS6detail17trampoline_kernelINS0_14default_configENS1_27scan_by_key_config_selectorIj11FixedVectorIiLj2EEEEZZNS1_16scan_by_key_implILNS1_25lookback_scan_determinismE0ELb1ES3_N6thrust23THRUST_200600_302600_NS6detail15normal_iteratorINSB_10device_ptrIjEEEENSD_INSE_IS6_EEEESI_S6_NSB_4plusIvEENSB_8equal_toIvEES6_EE10hipError_tPvRmT2_T3_T4_T5_mT6_T7_P12ihipStream_tbENKUlT_T0_E_clISt17integral_constantIbLb0EES13_EEDaSY_SZ_EUlSY_E_NS1_11comp_targetILNS1_3genE10ELNS1_11target_archE1201ELNS1_3gpuE5ELNS1_3repE0EEENS1_30default_config_static_selectorELNS0_4arch9wavefront6targetE0EEEvT1_.kd
    .uniform_work_group_size: 1
    .uses_dynamic_stack: false
    .vgpr_count:     0
    .vgpr_spill_count: 0
    .wavefront_size: 32
    .workgroup_processor_mode: 1
  - .args:
      - .offset:         0
        .size:           120
        .value_kind:     by_value
    .group_segment_fixed_size: 0
    .kernarg_segment_align: 8
    .kernarg_segment_size: 120
    .language:       OpenCL C
    .language_version:
      - 2
      - 0
    .max_flat_workgroup_size: 256
    .name:           _ZN7rocprim17ROCPRIM_400000_NS6detail17trampoline_kernelINS0_14default_configENS1_27scan_by_key_config_selectorIj11FixedVectorIiLj2EEEEZZNS1_16scan_by_key_implILNS1_25lookback_scan_determinismE0ELb1ES3_N6thrust23THRUST_200600_302600_NS6detail15normal_iteratorINSB_10device_ptrIjEEEENSD_INSE_IS6_EEEESI_S6_NSB_4plusIvEENSB_8equal_toIvEES6_EE10hipError_tPvRmT2_T3_T4_T5_mT6_T7_P12ihipStream_tbENKUlT_T0_E_clISt17integral_constantIbLb0EES13_EEDaSY_SZ_EUlSY_E_NS1_11comp_targetILNS1_3genE5ELNS1_11target_archE942ELNS1_3gpuE9ELNS1_3repE0EEENS1_30default_config_static_selectorELNS0_4arch9wavefront6targetE0EEEvT1_
    .private_segment_fixed_size: 0
    .sgpr_count:     0
    .sgpr_spill_count: 0
    .symbol:         _ZN7rocprim17ROCPRIM_400000_NS6detail17trampoline_kernelINS0_14default_configENS1_27scan_by_key_config_selectorIj11FixedVectorIiLj2EEEEZZNS1_16scan_by_key_implILNS1_25lookback_scan_determinismE0ELb1ES3_N6thrust23THRUST_200600_302600_NS6detail15normal_iteratorINSB_10device_ptrIjEEEENSD_INSE_IS6_EEEESI_S6_NSB_4plusIvEENSB_8equal_toIvEES6_EE10hipError_tPvRmT2_T3_T4_T5_mT6_T7_P12ihipStream_tbENKUlT_T0_E_clISt17integral_constantIbLb0EES13_EEDaSY_SZ_EUlSY_E_NS1_11comp_targetILNS1_3genE5ELNS1_11target_archE942ELNS1_3gpuE9ELNS1_3repE0EEENS1_30default_config_static_selectorELNS0_4arch9wavefront6targetE0EEEvT1_.kd
    .uniform_work_group_size: 1
    .uses_dynamic_stack: false
    .vgpr_count:     0
    .vgpr_spill_count: 0
    .wavefront_size: 32
    .workgroup_processor_mode: 1
  - .args:
      - .offset:         0
        .size:           120
        .value_kind:     by_value
    .group_segment_fixed_size: 0
    .kernarg_segment_align: 8
    .kernarg_segment_size: 120
    .language:       OpenCL C
    .language_version:
      - 2
      - 0
    .max_flat_workgroup_size: 64
    .name:           _ZN7rocprim17ROCPRIM_400000_NS6detail17trampoline_kernelINS0_14default_configENS1_27scan_by_key_config_selectorIj11FixedVectorIiLj2EEEEZZNS1_16scan_by_key_implILNS1_25lookback_scan_determinismE0ELb1ES3_N6thrust23THRUST_200600_302600_NS6detail15normal_iteratorINSB_10device_ptrIjEEEENSD_INSE_IS6_EEEESI_S6_NSB_4plusIvEENSB_8equal_toIvEES6_EE10hipError_tPvRmT2_T3_T4_T5_mT6_T7_P12ihipStream_tbENKUlT_T0_E_clISt17integral_constantIbLb0EES13_EEDaSY_SZ_EUlSY_E_NS1_11comp_targetILNS1_3genE4ELNS1_11target_archE910ELNS1_3gpuE8ELNS1_3repE0EEENS1_30default_config_static_selectorELNS0_4arch9wavefront6targetE0EEEvT1_
    .private_segment_fixed_size: 0
    .sgpr_count:     0
    .sgpr_spill_count: 0
    .symbol:         _ZN7rocprim17ROCPRIM_400000_NS6detail17trampoline_kernelINS0_14default_configENS1_27scan_by_key_config_selectorIj11FixedVectorIiLj2EEEEZZNS1_16scan_by_key_implILNS1_25lookback_scan_determinismE0ELb1ES3_N6thrust23THRUST_200600_302600_NS6detail15normal_iteratorINSB_10device_ptrIjEEEENSD_INSE_IS6_EEEESI_S6_NSB_4plusIvEENSB_8equal_toIvEES6_EE10hipError_tPvRmT2_T3_T4_T5_mT6_T7_P12ihipStream_tbENKUlT_T0_E_clISt17integral_constantIbLb0EES13_EEDaSY_SZ_EUlSY_E_NS1_11comp_targetILNS1_3genE4ELNS1_11target_archE910ELNS1_3gpuE8ELNS1_3repE0EEENS1_30default_config_static_selectorELNS0_4arch9wavefront6targetE0EEEvT1_.kd
    .uniform_work_group_size: 1
    .uses_dynamic_stack: false
    .vgpr_count:     0
    .vgpr_spill_count: 0
    .wavefront_size: 32
    .workgroup_processor_mode: 1
  - .args:
      - .offset:         0
        .size:           120
        .value_kind:     by_value
    .group_segment_fixed_size: 0
    .kernarg_segment_align: 8
    .kernarg_segment_size: 120
    .language:       OpenCL C
    .language_version:
      - 2
      - 0
    .max_flat_workgroup_size: 128
    .name:           _ZN7rocprim17ROCPRIM_400000_NS6detail17trampoline_kernelINS0_14default_configENS1_27scan_by_key_config_selectorIj11FixedVectorIiLj2EEEEZZNS1_16scan_by_key_implILNS1_25lookback_scan_determinismE0ELb1ES3_N6thrust23THRUST_200600_302600_NS6detail15normal_iteratorINSB_10device_ptrIjEEEENSD_INSE_IS6_EEEESI_S6_NSB_4plusIvEENSB_8equal_toIvEES6_EE10hipError_tPvRmT2_T3_T4_T5_mT6_T7_P12ihipStream_tbENKUlT_T0_E_clISt17integral_constantIbLb0EES13_EEDaSY_SZ_EUlSY_E_NS1_11comp_targetILNS1_3genE3ELNS1_11target_archE908ELNS1_3gpuE7ELNS1_3repE0EEENS1_30default_config_static_selectorELNS0_4arch9wavefront6targetE0EEEvT1_
    .private_segment_fixed_size: 0
    .sgpr_count:     0
    .sgpr_spill_count: 0
    .symbol:         _ZN7rocprim17ROCPRIM_400000_NS6detail17trampoline_kernelINS0_14default_configENS1_27scan_by_key_config_selectorIj11FixedVectorIiLj2EEEEZZNS1_16scan_by_key_implILNS1_25lookback_scan_determinismE0ELb1ES3_N6thrust23THRUST_200600_302600_NS6detail15normal_iteratorINSB_10device_ptrIjEEEENSD_INSE_IS6_EEEESI_S6_NSB_4plusIvEENSB_8equal_toIvEES6_EE10hipError_tPvRmT2_T3_T4_T5_mT6_T7_P12ihipStream_tbENKUlT_T0_E_clISt17integral_constantIbLb0EES13_EEDaSY_SZ_EUlSY_E_NS1_11comp_targetILNS1_3genE3ELNS1_11target_archE908ELNS1_3gpuE7ELNS1_3repE0EEENS1_30default_config_static_selectorELNS0_4arch9wavefront6targetE0EEEvT1_.kd
    .uniform_work_group_size: 1
    .uses_dynamic_stack: false
    .vgpr_count:     0
    .vgpr_spill_count: 0
    .wavefront_size: 32
    .workgroup_processor_mode: 1
  - .args:
      - .offset:         0
        .size:           120
        .value_kind:     by_value
    .group_segment_fixed_size: 0
    .kernarg_segment_align: 8
    .kernarg_segment_size: 120
    .language:       OpenCL C
    .language_version:
      - 2
      - 0
    .max_flat_workgroup_size: 64
    .name:           _ZN7rocprim17ROCPRIM_400000_NS6detail17trampoline_kernelINS0_14default_configENS1_27scan_by_key_config_selectorIj11FixedVectorIiLj2EEEEZZNS1_16scan_by_key_implILNS1_25lookback_scan_determinismE0ELb1ES3_N6thrust23THRUST_200600_302600_NS6detail15normal_iteratorINSB_10device_ptrIjEEEENSD_INSE_IS6_EEEESI_S6_NSB_4plusIvEENSB_8equal_toIvEES6_EE10hipError_tPvRmT2_T3_T4_T5_mT6_T7_P12ihipStream_tbENKUlT_T0_E_clISt17integral_constantIbLb0EES13_EEDaSY_SZ_EUlSY_E_NS1_11comp_targetILNS1_3genE2ELNS1_11target_archE906ELNS1_3gpuE6ELNS1_3repE0EEENS1_30default_config_static_selectorELNS0_4arch9wavefront6targetE0EEEvT1_
    .private_segment_fixed_size: 0
    .sgpr_count:     0
    .sgpr_spill_count: 0
    .symbol:         _ZN7rocprim17ROCPRIM_400000_NS6detail17trampoline_kernelINS0_14default_configENS1_27scan_by_key_config_selectorIj11FixedVectorIiLj2EEEEZZNS1_16scan_by_key_implILNS1_25lookback_scan_determinismE0ELb1ES3_N6thrust23THRUST_200600_302600_NS6detail15normal_iteratorINSB_10device_ptrIjEEEENSD_INSE_IS6_EEEESI_S6_NSB_4plusIvEENSB_8equal_toIvEES6_EE10hipError_tPvRmT2_T3_T4_T5_mT6_T7_P12ihipStream_tbENKUlT_T0_E_clISt17integral_constantIbLb0EES13_EEDaSY_SZ_EUlSY_E_NS1_11comp_targetILNS1_3genE2ELNS1_11target_archE906ELNS1_3gpuE6ELNS1_3repE0EEENS1_30default_config_static_selectorELNS0_4arch9wavefront6targetE0EEEvT1_.kd
    .uniform_work_group_size: 1
    .uses_dynamic_stack: false
    .vgpr_count:     0
    .vgpr_spill_count: 0
    .wavefront_size: 32
    .workgroup_processor_mode: 1
  - .args:
      - .offset:         0
        .size:           120
        .value_kind:     by_value
    .group_segment_fixed_size: 0
    .kernarg_segment_align: 8
    .kernarg_segment_size: 120
    .language:       OpenCL C
    .language_version:
      - 2
      - 0
    .max_flat_workgroup_size: 256
    .name:           _ZN7rocprim17ROCPRIM_400000_NS6detail17trampoline_kernelINS0_14default_configENS1_27scan_by_key_config_selectorIj11FixedVectorIiLj2EEEEZZNS1_16scan_by_key_implILNS1_25lookback_scan_determinismE0ELb1ES3_N6thrust23THRUST_200600_302600_NS6detail15normal_iteratorINSB_10device_ptrIjEEEENSD_INSE_IS6_EEEESI_S6_NSB_4plusIvEENSB_8equal_toIvEES6_EE10hipError_tPvRmT2_T3_T4_T5_mT6_T7_P12ihipStream_tbENKUlT_T0_E_clISt17integral_constantIbLb0EES13_EEDaSY_SZ_EUlSY_E_NS1_11comp_targetILNS1_3genE10ELNS1_11target_archE1200ELNS1_3gpuE4ELNS1_3repE0EEENS1_30default_config_static_selectorELNS0_4arch9wavefront6targetE0EEEvT1_
    .private_segment_fixed_size: 0
    .sgpr_count:     0
    .sgpr_spill_count: 0
    .symbol:         _ZN7rocprim17ROCPRIM_400000_NS6detail17trampoline_kernelINS0_14default_configENS1_27scan_by_key_config_selectorIj11FixedVectorIiLj2EEEEZZNS1_16scan_by_key_implILNS1_25lookback_scan_determinismE0ELb1ES3_N6thrust23THRUST_200600_302600_NS6detail15normal_iteratorINSB_10device_ptrIjEEEENSD_INSE_IS6_EEEESI_S6_NSB_4plusIvEENSB_8equal_toIvEES6_EE10hipError_tPvRmT2_T3_T4_T5_mT6_T7_P12ihipStream_tbENKUlT_T0_E_clISt17integral_constantIbLb0EES13_EEDaSY_SZ_EUlSY_E_NS1_11comp_targetILNS1_3genE10ELNS1_11target_archE1200ELNS1_3gpuE4ELNS1_3repE0EEENS1_30default_config_static_selectorELNS0_4arch9wavefront6targetE0EEEvT1_.kd
    .uniform_work_group_size: 1
    .uses_dynamic_stack: false
    .vgpr_count:     0
    .vgpr_spill_count: 0
    .wavefront_size: 32
    .workgroup_processor_mode: 1
  - .args:
      - .offset:         0
        .size:           120
        .value_kind:     by_value
    .group_segment_fixed_size: 0
    .kernarg_segment_align: 8
    .kernarg_segment_size: 120
    .language:       OpenCL C
    .language_version:
      - 2
      - 0
    .max_flat_workgroup_size: 256
    .name:           _ZN7rocprim17ROCPRIM_400000_NS6detail17trampoline_kernelINS0_14default_configENS1_27scan_by_key_config_selectorIj11FixedVectorIiLj2EEEEZZNS1_16scan_by_key_implILNS1_25lookback_scan_determinismE0ELb1ES3_N6thrust23THRUST_200600_302600_NS6detail15normal_iteratorINSB_10device_ptrIjEEEENSD_INSE_IS6_EEEESI_S6_NSB_4plusIvEENSB_8equal_toIvEES6_EE10hipError_tPvRmT2_T3_T4_T5_mT6_T7_P12ihipStream_tbENKUlT_T0_E_clISt17integral_constantIbLb0EES13_EEDaSY_SZ_EUlSY_E_NS1_11comp_targetILNS1_3genE9ELNS1_11target_archE1100ELNS1_3gpuE3ELNS1_3repE0EEENS1_30default_config_static_selectorELNS0_4arch9wavefront6targetE0EEEvT1_
    .private_segment_fixed_size: 0
    .sgpr_count:     0
    .sgpr_spill_count: 0
    .symbol:         _ZN7rocprim17ROCPRIM_400000_NS6detail17trampoline_kernelINS0_14default_configENS1_27scan_by_key_config_selectorIj11FixedVectorIiLj2EEEEZZNS1_16scan_by_key_implILNS1_25lookback_scan_determinismE0ELb1ES3_N6thrust23THRUST_200600_302600_NS6detail15normal_iteratorINSB_10device_ptrIjEEEENSD_INSE_IS6_EEEESI_S6_NSB_4plusIvEENSB_8equal_toIvEES6_EE10hipError_tPvRmT2_T3_T4_T5_mT6_T7_P12ihipStream_tbENKUlT_T0_E_clISt17integral_constantIbLb0EES13_EEDaSY_SZ_EUlSY_E_NS1_11comp_targetILNS1_3genE9ELNS1_11target_archE1100ELNS1_3gpuE3ELNS1_3repE0EEENS1_30default_config_static_selectorELNS0_4arch9wavefront6targetE0EEEvT1_.kd
    .uniform_work_group_size: 1
    .uses_dynamic_stack: false
    .vgpr_count:     0
    .vgpr_spill_count: 0
    .wavefront_size: 32
    .workgroup_processor_mode: 1
  - .args:
      - .offset:         0
        .size:           120
        .value_kind:     by_value
    .group_segment_fixed_size: 6144
    .kernarg_segment_align: 8
    .kernarg_segment_size: 120
    .language:       OpenCL C
    .language_version:
      - 2
      - 0
    .max_flat_workgroup_size: 256
    .name:           _ZN7rocprim17ROCPRIM_400000_NS6detail17trampoline_kernelINS0_14default_configENS1_27scan_by_key_config_selectorIj11FixedVectorIiLj2EEEEZZNS1_16scan_by_key_implILNS1_25lookback_scan_determinismE0ELb1ES3_N6thrust23THRUST_200600_302600_NS6detail15normal_iteratorINSB_10device_ptrIjEEEENSD_INSE_IS6_EEEESI_S6_NSB_4plusIvEENSB_8equal_toIvEES6_EE10hipError_tPvRmT2_T3_T4_T5_mT6_T7_P12ihipStream_tbENKUlT_T0_E_clISt17integral_constantIbLb0EES13_EEDaSY_SZ_EUlSY_E_NS1_11comp_targetILNS1_3genE8ELNS1_11target_archE1030ELNS1_3gpuE2ELNS1_3repE0EEENS1_30default_config_static_selectorELNS0_4arch9wavefront6targetE0EEEvT1_
    .private_segment_fixed_size: 0
    .sgpr_count:     32
    .sgpr_spill_count: 0
    .symbol:         _ZN7rocprim17ROCPRIM_400000_NS6detail17trampoline_kernelINS0_14default_configENS1_27scan_by_key_config_selectorIj11FixedVectorIiLj2EEEEZZNS1_16scan_by_key_implILNS1_25lookback_scan_determinismE0ELb1ES3_N6thrust23THRUST_200600_302600_NS6detail15normal_iteratorINSB_10device_ptrIjEEEENSD_INSE_IS6_EEEESI_S6_NSB_4plusIvEENSB_8equal_toIvEES6_EE10hipError_tPvRmT2_T3_T4_T5_mT6_T7_P12ihipStream_tbENKUlT_T0_E_clISt17integral_constantIbLb0EES13_EEDaSY_SZ_EUlSY_E_NS1_11comp_targetILNS1_3genE8ELNS1_11target_archE1030ELNS1_3gpuE2ELNS1_3repE0EEENS1_30default_config_static_selectorELNS0_4arch9wavefront6targetE0EEEvT1_.kd
    .uniform_work_group_size: 1
    .uses_dynamic_stack: false
    .vgpr_count:     53
    .vgpr_spill_count: 0
    .wavefront_size: 32
    .workgroup_processor_mode: 1
  - .args:
      - .offset:         0
        .size:           120
        .value_kind:     by_value
    .group_segment_fixed_size: 0
    .kernarg_segment_align: 8
    .kernarg_segment_size: 120
    .language:       OpenCL C
    .language_version:
      - 2
      - 0
    .max_flat_workgroup_size: 128
    .name:           _ZN7rocprim17ROCPRIM_400000_NS6detail17trampoline_kernelINS0_14default_configENS1_27scan_by_key_config_selectorIj11FixedVectorIiLj2EEEEZZNS1_16scan_by_key_implILNS1_25lookback_scan_determinismE0ELb1ES3_N6thrust23THRUST_200600_302600_NS6detail15normal_iteratorINSB_10device_ptrIjEEEENSD_INSE_IS6_EEEESI_S6_NSB_4plusIvEENSB_8equal_toIvEES6_EE10hipError_tPvRmT2_T3_T4_T5_mT6_T7_P12ihipStream_tbENKUlT_T0_E_clISt17integral_constantIbLb1EES13_EEDaSY_SZ_EUlSY_E_NS1_11comp_targetILNS1_3genE0ELNS1_11target_archE4294967295ELNS1_3gpuE0ELNS1_3repE0EEENS1_30default_config_static_selectorELNS0_4arch9wavefront6targetE0EEEvT1_
    .private_segment_fixed_size: 0
    .sgpr_count:     0
    .sgpr_spill_count: 0
    .symbol:         _ZN7rocprim17ROCPRIM_400000_NS6detail17trampoline_kernelINS0_14default_configENS1_27scan_by_key_config_selectorIj11FixedVectorIiLj2EEEEZZNS1_16scan_by_key_implILNS1_25lookback_scan_determinismE0ELb1ES3_N6thrust23THRUST_200600_302600_NS6detail15normal_iteratorINSB_10device_ptrIjEEEENSD_INSE_IS6_EEEESI_S6_NSB_4plusIvEENSB_8equal_toIvEES6_EE10hipError_tPvRmT2_T3_T4_T5_mT6_T7_P12ihipStream_tbENKUlT_T0_E_clISt17integral_constantIbLb1EES13_EEDaSY_SZ_EUlSY_E_NS1_11comp_targetILNS1_3genE0ELNS1_11target_archE4294967295ELNS1_3gpuE0ELNS1_3repE0EEENS1_30default_config_static_selectorELNS0_4arch9wavefront6targetE0EEEvT1_.kd
    .uniform_work_group_size: 1
    .uses_dynamic_stack: false
    .vgpr_count:     0
    .vgpr_spill_count: 0
    .wavefront_size: 32
    .workgroup_processor_mode: 1
  - .args:
      - .offset:         0
        .size:           120
        .value_kind:     by_value
    .group_segment_fixed_size: 0
    .kernarg_segment_align: 8
    .kernarg_segment_size: 120
    .language:       OpenCL C
    .language_version:
      - 2
      - 0
    .max_flat_workgroup_size: 256
    .name:           _ZN7rocprim17ROCPRIM_400000_NS6detail17trampoline_kernelINS0_14default_configENS1_27scan_by_key_config_selectorIj11FixedVectorIiLj2EEEEZZNS1_16scan_by_key_implILNS1_25lookback_scan_determinismE0ELb1ES3_N6thrust23THRUST_200600_302600_NS6detail15normal_iteratorINSB_10device_ptrIjEEEENSD_INSE_IS6_EEEESI_S6_NSB_4plusIvEENSB_8equal_toIvEES6_EE10hipError_tPvRmT2_T3_T4_T5_mT6_T7_P12ihipStream_tbENKUlT_T0_E_clISt17integral_constantIbLb1EES13_EEDaSY_SZ_EUlSY_E_NS1_11comp_targetILNS1_3genE10ELNS1_11target_archE1201ELNS1_3gpuE5ELNS1_3repE0EEENS1_30default_config_static_selectorELNS0_4arch9wavefront6targetE0EEEvT1_
    .private_segment_fixed_size: 0
    .sgpr_count:     0
    .sgpr_spill_count: 0
    .symbol:         _ZN7rocprim17ROCPRIM_400000_NS6detail17trampoline_kernelINS0_14default_configENS1_27scan_by_key_config_selectorIj11FixedVectorIiLj2EEEEZZNS1_16scan_by_key_implILNS1_25lookback_scan_determinismE0ELb1ES3_N6thrust23THRUST_200600_302600_NS6detail15normal_iteratorINSB_10device_ptrIjEEEENSD_INSE_IS6_EEEESI_S6_NSB_4plusIvEENSB_8equal_toIvEES6_EE10hipError_tPvRmT2_T3_T4_T5_mT6_T7_P12ihipStream_tbENKUlT_T0_E_clISt17integral_constantIbLb1EES13_EEDaSY_SZ_EUlSY_E_NS1_11comp_targetILNS1_3genE10ELNS1_11target_archE1201ELNS1_3gpuE5ELNS1_3repE0EEENS1_30default_config_static_selectorELNS0_4arch9wavefront6targetE0EEEvT1_.kd
    .uniform_work_group_size: 1
    .uses_dynamic_stack: false
    .vgpr_count:     0
    .vgpr_spill_count: 0
    .wavefront_size: 32
    .workgroup_processor_mode: 1
  - .args:
      - .offset:         0
        .size:           120
        .value_kind:     by_value
    .group_segment_fixed_size: 0
    .kernarg_segment_align: 8
    .kernarg_segment_size: 120
    .language:       OpenCL C
    .language_version:
      - 2
      - 0
    .max_flat_workgroup_size: 256
    .name:           _ZN7rocprim17ROCPRIM_400000_NS6detail17trampoline_kernelINS0_14default_configENS1_27scan_by_key_config_selectorIj11FixedVectorIiLj2EEEEZZNS1_16scan_by_key_implILNS1_25lookback_scan_determinismE0ELb1ES3_N6thrust23THRUST_200600_302600_NS6detail15normal_iteratorINSB_10device_ptrIjEEEENSD_INSE_IS6_EEEESI_S6_NSB_4plusIvEENSB_8equal_toIvEES6_EE10hipError_tPvRmT2_T3_T4_T5_mT6_T7_P12ihipStream_tbENKUlT_T0_E_clISt17integral_constantIbLb1EES13_EEDaSY_SZ_EUlSY_E_NS1_11comp_targetILNS1_3genE5ELNS1_11target_archE942ELNS1_3gpuE9ELNS1_3repE0EEENS1_30default_config_static_selectorELNS0_4arch9wavefront6targetE0EEEvT1_
    .private_segment_fixed_size: 0
    .sgpr_count:     0
    .sgpr_spill_count: 0
    .symbol:         _ZN7rocprim17ROCPRIM_400000_NS6detail17trampoline_kernelINS0_14default_configENS1_27scan_by_key_config_selectorIj11FixedVectorIiLj2EEEEZZNS1_16scan_by_key_implILNS1_25lookback_scan_determinismE0ELb1ES3_N6thrust23THRUST_200600_302600_NS6detail15normal_iteratorINSB_10device_ptrIjEEEENSD_INSE_IS6_EEEESI_S6_NSB_4plusIvEENSB_8equal_toIvEES6_EE10hipError_tPvRmT2_T3_T4_T5_mT6_T7_P12ihipStream_tbENKUlT_T0_E_clISt17integral_constantIbLb1EES13_EEDaSY_SZ_EUlSY_E_NS1_11comp_targetILNS1_3genE5ELNS1_11target_archE942ELNS1_3gpuE9ELNS1_3repE0EEENS1_30default_config_static_selectorELNS0_4arch9wavefront6targetE0EEEvT1_.kd
    .uniform_work_group_size: 1
    .uses_dynamic_stack: false
    .vgpr_count:     0
    .vgpr_spill_count: 0
    .wavefront_size: 32
    .workgroup_processor_mode: 1
  - .args:
      - .offset:         0
        .size:           120
        .value_kind:     by_value
    .group_segment_fixed_size: 0
    .kernarg_segment_align: 8
    .kernarg_segment_size: 120
    .language:       OpenCL C
    .language_version:
      - 2
      - 0
    .max_flat_workgroup_size: 64
    .name:           _ZN7rocprim17ROCPRIM_400000_NS6detail17trampoline_kernelINS0_14default_configENS1_27scan_by_key_config_selectorIj11FixedVectorIiLj2EEEEZZNS1_16scan_by_key_implILNS1_25lookback_scan_determinismE0ELb1ES3_N6thrust23THRUST_200600_302600_NS6detail15normal_iteratorINSB_10device_ptrIjEEEENSD_INSE_IS6_EEEESI_S6_NSB_4plusIvEENSB_8equal_toIvEES6_EE10hipError_tPvRmT2_T3_T4_T5_mT6_T7_P12ihipStream_tbENKUlT_T0_E_clISt17integral_constantIbLb1EES13_EEDaSY_SZ_EUlSY_E_NS1_11comp_targetILNS1_3genE4ELNS1_11target_archE910ELNS1_3gpuE8ELNS1_3repE0EEENS1_30default_config_static_selectorELNS0_4arch9wavefront6targetE0EEEvT1_
    .private_segment_fixed_size: 0
    .sgpr_count:     0
    .sgpr_spill_count: 0
    .symbol:         _ZN7rocprim17ROCPRIM_400000_NS6detail17trampoline_kernelINS0_14default_configENS1_27scan_by_key_config_selectorIj11FixedVectorIiLj2EEEEZZNS1_16scan_by_key_implILNS1_25lookback_scan_determinismE0ELb1ES3_N6thrust23THRUST_200600_302600_NS6detail15normal_iteratorINSB_10device_ptrIjEEEENSD_INSE_IS6_EEEESI_S6_NSB_4plusIvEENSB_8equal_toIvEES6_EE10hipError_tPvRmT2_T3_T4_T5_mT6_T7_P12ihipStream_tbENKUlT_T0_E_clISt17integral_constantIbLb1EES13_EEDaSY_SZ_EUlSY_E_NS1_11comp_targetILNS1_3genE4ELNS1_11target_archE910ELNS1_3gpuE8ELNS1_3repE0EEENS1_30default_config_static_selectorELNS0_4arch9wavefront6targetE0EEEvT1_.kd
    .uniform_work_group_size: 1
    .uses_dynamic_stack: false
    .vgpr_count:     0
    .vgpr_spill_count: 0
    .wavefront_size: 32
    .workgroup_processor_mode: 1
  - .args:
      - .offset:         0
        .size:           120
        .value_kind:     by_value
    .group_segment_fixed_size: 0
    .kernarg_segment_align: 8
    .kernarg_segment_size: 120
    .language:       OpenCL C
    .language_version:
      - 2
      - 0
    .max_flat_workgroup_size: 128
    .name:           _ZN7rocprim17ROCPRIM_400000_NS6detail17trampoline_kernelINS0_14default_configENS1_27scan_by_key_config_selectorIj11FixedVectorIiLj2EEEEZZNS1_16scan_by_key_implILNS1_25lookback_scan_determinismE0ELb1ES3_N6thrust23THRUST_200600_302600_NS6detail15normal_iteratorINSB_10device_ptrIjEEEENSD_INSE_IS6_EEEESI_S6_NSB_4plusIvEENSB_8equal_toIvEES6_EE10hipError_tPvRmT2_T3_T4_T5_mT6_T7_P12ihipStream_tbENKUlT_T0_E_clISt17integral_constantIbLb1EES13_EEDaSY_SZ_EUlSY_E_NS1_11comp_targetILNS1_3genE3ELNS1_11target_archE908ELNS1_3gpuE7ELNS1_3repE0EEENS1_30default_config_static_selectorELNS0_4arch9wavefront6targetE0EEEvT1_
    .private_segment_fixed_size: 0
    .sgpr_count:     0
    .sgpr_spill_count: 0
    .symbol:         _ZN7rocprim17ROCPRIM_400000_NS6detail17trampoline_kernelINS0_14default_configENS1_27scan_by_key_config_selectorIj11FixedVectorIiLj2EEEEZZNS1_16scan_by_key_implILNS1_25lookback_scan_determinismE0ELb1ES3_N6thrust23THRUST_200600_302600_NS6detail15normal_iteratorINSB_10device_ptrIjEEEENSD_INSE_IS6_EEEESI_S6_NSB_4plusIvEENSB_8equal_toIvEES6_EE10hipError_tPvRmT2_T3_T4_T5_mT6_T7_P12ihipStream_tbENKUlT_T0_E_clISt17integral_constantIbLb1EES13_EEDaSY_SZ_EUlSY_E_NS1_11comp_targetILNS1_3genE3ELNS1_11target_archE908ELNS1_3gpuE7ELNS1_3repE0EEENS1_30default_config_static_selectorELNS0_4arch9wavefront6targetE0EEEvT1_.kd
    .uniform_work_group_size: 1
    .uses_dynamic_stack: false
    .vgpr_count:     0
    .vgpr_spill_count: 0
    .wavefront_size: 32
    .workgroup_processor_mode: 1
  - .args:
      - .offset:         0
        .size:           120
        .value_kind:     by_value
    .group_segment_fixed_size: 0
    .kernarg_segment_align: 8
    .kernarg_segment_size: 120
    .language:       OpenCL C
    .language_version:
      - 2
      - 0
    .max_flat_workgroup_size: 64
    .name:           _ZN7rocprim17ROCPRIM_400000_NS6detail17trampoline_kernelINS0_14default_configENS1_27scan_by_key_config_selectorIj11FixedVectorIiLj2EEEEZZNS1_16scan_by_key_implILNS1_25lookback_scan_determinismE0ELb1ES3_N6thrust23THRUST_200600_302600_NS6detail15normal_iteratorINSB_10device_ptrIjEEEENSD_INSE_IS6_EEEESI_S6_NSB_4plusIvEENSB_8equal_toIvEES6_EE10hipError_tPvRmT2_T3_T4_T5_mT6_T7_P12ihipStream_tbENKUlT_T0_E_clISt17integral_constantIbLb1EES13_EEDaSY_SZ_EUlSY_E_NS1_11comp_targetILNS1_3genE2ELNS1_11target_archE906ELNS1_3gpuE6ELNS1_3repE0EEENS1_30default_config_static_selectorELNS0_4arch9wavefront6targetE0EEEvT1_
    .private_segment_fixed_size: 0
    .sgpr_count:     0
    .sgpr_spill_count: 0
    .symbol:         _ZN7rocprim17ROCPRIM_400000_NS6detail17trampoline_kernelINS0_14default_configENS1_27scan_by_key_config_selectorIj11FixedVectorIiLj2EEEEZZNS1_16scan_by_key_implILNS1_25lookback_scan_determinismE0ELb1ES3_N6thrust23THRUST_200600_302600_NS6detail15normal_iteratorINSB_10device_ptrIjEEEENSD_INSE_IS6_EEEESI_S6_NSB_4plusIvEENSB_8equal_toIvEES6_EE10hipError_tPvRmT2_T3_T4_T5_mT6_T7_P12ihipStream_tbENKUlT_T0_E_clISt17integral_constantIbLb1EES13_EEDaSY_SZ_EUlSY_E_NS1_11comp_targetILNS1_3genE2ELNS1_11target_archE906ELNS1_3gpuE6ELNS1_3repE0EEENS1_30default_config_static_selectorELNS0_4arch9wavefront6targetE0EEEvT1_.kd
    .uniform_work_group_size: 1
    .uses_dynamic_stack: false
    .vgpr_count:     0
    .vgpr_spill_count: 0
    .wavefront_size: 32
    .workgroup_processor_mode: 1
  - .args:
      - .offset:         0
        .size:           120
        .value_kind:     by_value
    .group_segment_fixed_size: 0
    .kernarg_segment_align: 8
    .kernarg_segment_size: 120
    .language:       OpenCL C
    .language_version:
      - 2
      - 0
    .max_flat_workgroup_size: 256
    .name:           _ZN7rocprim17ROCPRIM_400000_NS6detail17trampoline_kernelINS0_14default_configENS1_27scan_by_key_config_selectorIj11FixedVectorIiLj2EEEEZZNS1_16scan_by_key_implILNS1_25lookback_scan_determinismE0ELb1ES3_N6thrust23THRUST_200600_302600_NS6detail15normal_iteratorINSB_10device_ptrIjEEEENSD_INSE_IS6_EEEESI_S6_NSB_4plusIvEENSB_8equal_toIvEES6_EE10hipError_tPvRmT2_T3_T4_T5_mT6_T7_P12ihipStream_tbENKUlT_T0_E_clISt17integral_constantIbLb1EES13_EEDaSY_SZ_EUlSY_E_NS1_11comp_targetILNS1_3genE10ELNS1_11target_archE1200ELNS1_3gpuE4ELNS1_3repE0EEENS1_30default_config_static_selectorELNS0_4arch9wavefront6targetE0EEEvT1_
    .private_segment_fixed_size: 0
    .sgpr_count:     0
    .sgpr_spill_count: 0
    .symbol:         _ZN7rocprim17ROCPRIM_400000_NS6detail17trampoline_kernelINS0_14default_configENS1_27scan_by_key_config_selectorIj11FixedVectorIiLj2EEEEZZNS1_16scan_by_key_implILNS1_25lookback_scan_determinismE0ELb1ES3_N6thrust23THRUST_200600_302600_NS6detail15normal_iteratorINSB_10device_ptrIjEEEENSD_INSE_IS6_EEEESI_S6_NSB_4plusIvEENSB_8equal_toIvEES6_EE10hipError_tPvRmT2_T3_T4_T5_mT6_T7_P12ihipStream_tbENKUlT_T0_E_clISt17integral_constantIbLb1EES13_EEDaSY_SZ_EUlSY_E_NS1_11comp_targetILNS1_3genE10ELNS1_11target_archE1200ELNS1_3gpuE4ELNS1_3repE0EEENS1_30default_config_static_selectorELNS0_4arch9wavefront6targetE0EEEvT1_.kd
    .uniform_work_group_size: 1
    .uses_dynamic_stack: false
    .vgpr_count:     0
    .vgpr_spill_count: 0
    .wavefront_size: 32
    .workgroup_processor_mode: 1
  - .args:
      - .offset:         0
        .size:           120
        .value_kind:     by_value
    .group_segment_fixed_size: 0
    .kernarg_segment_align: 8
    .kernarg_segment_size: 120
    .language:       OpenCL C
    .language_version:
      - 2
      - 0
    .max_flat_workgroup_size: 256
    .name:           _ZN7rocprim17ROCPRIM_400000_NS6detail17trampoline_kernelINS0_14default_configENS1_27scan_by_key_config_selectorIj11FixedVectorIiLj2EEEEZZNS1_16scan_by_key_implILNS1_25lookback_scan_determinismE0ELb1ES3_N6thrust23THRUST_200600_302600_NS6detail15normal_iteratorINSB_10device_ptrIjEEEENSD_INSE_IS6_EEEESI_S6_NSB_4plusIvEENSB_8equal_toIvEES6_EE10hipError_tPvRmT2_T3_T4_T5_mT6_T7_P12ihipStream_tbENKUlT_T0_E_clISt17integral_constantIbLb1EES13_EEDaSY_SZ_EUlSY_E_NS1_11comp_targetILNS1_3genE9ELNS1_11target_archE1100ELNS1_3gpuE3ELNS1_3repE0EEENS1_30default_config_static_selectorELNS0_4arch9wavefront6targetE0EEEvT1_
    .private_segment_fixed_size: 0
    .sgpr_count:     0
    .sgpr_spill_count: 0
    .symbol:         _ZN7rocprim17ROCPRIM_400000_NS6detail17trampoline_kernelINS0_14default_configENS1_27scan_by_key_config_selectorIj11FixedVectorIiLj2EEEEZZNS1_16scan_by_key_implILNS1_25lookback_scan_determinismE0ELb1ES3_N6thrust23THRUST_200600_302600_NS6detail15normal_iteratorINSB_10device_ptrIjEEEENSD_INSE_IS6_EEEESI_S6_NSB_4plusIvEENSB_8equal_toIvEES6_EE10hipError_tPvRmT2_T3_T4_T5_mT6_T7_P12ihipStream_tbENKUlT_T0_E_clISt17integral_constantIbLb1EES13_EEDaSY_SZ_EUlSY_E_NS1_11comp_targetILNS1_3genE9ELNS1_11target_archE1100ELNS1_3gpuE3ELNS1_3repE0EEENS1_30default_config_static_selectorELNS0_4arch9wavefront6targetE0EEEvT1_.kd
    .uniform_work_group_size: 1
    .uses_dynamic_stack: false
    .vgpr_count:     0
    .vgpr_spill_count: 0
    .wavefront_size: 32
    .workgroup_processor_mode: 1
  - .args:
      - .offset:         0
        .size:           120
        .value_kind:     by_value
    .group_segment_fixed_size: 0
    .kernarg_segment_align: 8
    .kernarg_segment_size: 120
    .language:       OpenCL C
    .language_version:
      - 2
      - 0
    .max_flat_workgroup_size: 256
    .name:           _ZN7rocprim17ROCPRIM_400000_NS6detail17trampoline_kernelINS0_14default_configENS1_27scan_by_key_config_selectorIj11FixedVectorIiLj2EEEEZZNS1_16scan_by_key_implILNS1_25lookback_scan_determinismE0ELb1ES3_N6thrust23THRUST_200600_302600_NS6detail15normal_iteratorINSB_10device_ptrIjEEEENSD_INSE_IS6_EEEESI_S6_NSB_4plusIvEENSB_8equal_toIvEES6_EE10hipError_tPvRmT2_T3_T4_T5_mT6_T7_P12ihipStream_tbENKUlT_T0_E_clISt17integral_constantIbLb1EES13_EEDaSY_SZ_EUlSY_E_NS1_11comp_targetILNS1_3genE8ELNS1_11target_archE1030ELNS1_3gpuE2ELNS1_3repE0EEENS1_30default_config_static_selectorELNS0_4arch9wavefront6targetE0EEEvT1_
    .private_segment_fixed_size: 0
    .sgpr_count:     0
    .sgpr_spill_count: 0
    .symbol:         _ZN7rocprim17ROCPRIM_400000_NS6detail17trampoline_kernelINS0_14default_configENS1_27scan_by_key_config_selectorIj11FixedVectorIiLj2EEEEZZNS1_16scan_by_key_implILNS1_25lookback_scan_determinismE0ELb1ES3_N6thrust23THRUST_200600_302600_NS6detail15normal_iteratorINSB_10device_ptrIjEEEENSD_INSE_IS6_EEEESI_S6_NSB_4plusIvEENSB_8equal_toIvEES6_EE10hipError_tPvRmT2_T3_T4_T5_mT6_T7_P12ihipStream_tbENKUlT_T0_E_clISt17integral_constantIbLb1EES13_EEDaSY_SZ_EUlSY_E_NS1_11comp_targetILNS1_3genE8ELNS1_11target_archE1030ELNS1_3gpuE2ELNS1_3repE0EEENS1_30default_config_static_selectorELNS0_4arch9wavefront6targetE0EEEvT1_.kd
    .uniform_work_group_size: 1
    .uses_dynamic_stack: false
    .vgpr_count:     0
    .vgpr_spill_count: 0
    .wavefront_size: 32
    .workgroup_processor_mode: 1
  - .args:
      - .offset:         0
        .size:           120
        .value_kind:     by_value
    .group_segment_fixed_size: 0
    .kernarg_segment_align: 8
    .kernarg_segment_size: 120
    .language:       OpenCL C
    .language_version:
      - 2
      - 0
    .max_flat_workgroup_size: 128
    .name:           _ZN7rocprim17ROCPRIM_400000_NS6detail17trampoline_kernelINS0_14default_configENS1_27scan_by_key_config_selectorIj11FixedVectorIiLj2EEEEZZNS1_16scan_by_key_implILNS1_25lookback_scan_determinismE0ELb1ES3_N6thrust23THRUST_200600_302600_NS6detail15normal_iteratorINSB_10device_ptrIjEEEENSD_INSE_IS6_EEEESI_S6_NSB_4plusIvEENSB_8equal_toIvEES6_EE10hipError_tPvRmT2_T3_T4_T5_mT6_T7_P12ihipStream_tbENKUlT_T0_E_clISt17integral_constantIbLb1EES12_IbLb0EEEEDaSY_SZ_EUlSY_E_NS1_11comp_targetILNS1_3genE0ELNS1_11target_archE4294967295ELNS1_3gpuE0ELNS1_3repE0EEENS1_30default_config_static_selectorELNS0_4arch9wavefront6targetE0EEEvT1_
    .private_segment_fixed_size: 0
    .sgpr_count:     0
    .sgpr_spill_count: 0
    .symbol:         _ZN7rocprim17ROCPRIM_400000_NS6detail17trampoline_kernelINS0_14default_configENS1_27scan_by_key_config_selectorIj11FixedVectorIiLj2EEEEZZNS1_16scan_by_key_implILNS1_25lookback_scan_determinismE0ELb1ES3_N6thrust23THRUST_200600_302600_NS6detail15normal_iteratorINSB_10device_ptrIjEEEENSD_INSE_IS6_EEEESI_S6_NSB_4plusIvEENSB_8equal_toIvEES6_EE10hipError_tPvRmT2_T3_T4_T5_mT6_T7_P12ihipStream_tbENKUlT_T0_E_clISt17integral_constantIbLb1EES12_IbLb0EEEEDaSY_SZ_EUlSY_E_NS1_11comp_targetILNS1_3genE0ELNS1_11target_archE4294967295ELNS1_3gpuE0ELNS1_3repE0EEENS1_30default_config_static_selectorELNS0_4arch9wavefront6targetE0EEEvT1_.kd
    .uniform_work_group_size: 1
    .uses_dynamic_stack: false
    .vgpr_count:     0
    .vgpr_spill_count: 0
    .wavefront_size: 32
    .workgroup_processor_mode: 1
  - .args:
      - .offset:         0
        .size:           120
        .value_kind:     by_value
    .group_segment_fixed_size: 0
    .kernarg_segment_align: 8
    .kernarg_segment_size: 120
    .language:       OpenCL C
    .language_version:
      - 2
      - 0
    .max_flat_workgroup_size: 256
    .name:           _ZN7rocprim17ROCPRIM_400000_NS6detail17trampoline_kernelINS0_14default_configENS1_27scan_by_key_config_selectorIj11FixedVectorIiLj2EEEEZZNS1_16scan_by_key_implILNS1_25lookback_scan_determinismE0ELb1ES3_N6thrust23THRUST_200600_302600_NS6detail15normal_iteratorINSB_10device_ptrIjEEEENSD_INSE_IS6_EEEESI_S6_NSB_4plusIvEENSB_8equal_toIvEES6_EE10hipError_tPvRmT2_T3_T4_T5_mT6_T7_P12ihipStream_tbENKUlT_T0_E_clISt17integral_constantIbLb1EES12_IbLb0EEEEDaSY_SZ_EUlSY_E_NS1_11comp_targetILNS1_3genE10ELNS1_11target_archE1201ELNS1_3gpuE5ELNS1_3repE0EEENS1_30default_config_static_selectorELNS0_4arch9wavefront6targetE0EEEvT1_
    .private_segment_fixed_size: 0
    .sgpr_count:     0
    .sgpr_spill_count: 0
    .symbol:         _ZN7rocprim17ROCPRIM_400000_NS6detail17trampoline_kernelINS0_14default_configENS1_27scan_by_key_config_selectorIj11FixedVectorIiLj2EEEEZZNS1_16scan_by_key_implILNS1_25lookback_scan_determinismE0ELb1ES3_N6thrust23THRUST_200600_302600_NS6detail15normal_iteratorINSB_10device_ptrIjEEEENSD_INSE_IS6_EEEESI_S6_NSB_4plusIvEENSB_8equal_toIvEES6_EE10hipError_tPvRmT2_T3_T4_T5_mT6_T7_P12ihipStream_tbENKUlT_T0_E_clISt17integral_constantIbLb1EES12_IbLb0EEEEDaSY_SZ_EUlSY_E_NS1_11comp_targetILNS1_3genE10ELNS1_11target_archE1201ELNS1_3gpuE5ELNS1_3repE0EEENS1_30default_config_static_selectorELNS0_4arch9wavefront6targetE0EEEvT1_.kd
    .uniform_work_group_size: 1
    .uses_dynamic_stack: false
    .vgpr_count:     0
    .vgpr_spill_count: 0
    .wavefront_size: 32
    .workgroup_processor_mode: 1
  - .args:
      - .offset:         0
        .size:           120
        .value_kind:     by_value
    .group_segment_fixed_size: 0
    .kernarg_segment_align: 8
    .kernarg_segment_size: 120
    .language:       OpenCL C
    .language_version:
      - 2
      - 0
    .max_flat_workgroup_size: 256
    .name:           _ZN7rocprim17ROCPRIM_400000_NS6detail17trampoline_kernelINS0_14default_configENS1_27scan_by_key_config_selectorIj11FixedVectorIiLj2EEEEZZNS1_16scan_by_key_implILNS1_25lookback_scan_determinismE0ELb1ES3_N6thrust23THRUST_200600_302600_NS6detail15normal_iteratorINSB_10device_ptrIjEEEENSD_INSE_IS6_EEEESI_S6_NSB_4plusIvEENSB_8equal_toIvEES6_EE10hipError_tPvRmT2_T3_T4_T5_mT6_T7_P12ihipStream_tbENKUlT_T0_E_clISt17integral_constantIbLb1EES12_IbLb0EEEEDaSY_SZ_EUlSY_E_NS1_11comp_targetILNS1_3genE5ELNS1_11target_archE942ELNS1_3gpuE9ELNS1_3repE0EEENS1_30default_config_static_selectorELNS0_4arch9wavefront6targetE0EEEvT1_
    .private_segment_fixed_size: 0
    .sgpr_count:     0
    .sgpr_spill_count: 0
    .symbol:         _ZN7rocprim17ROCPRIM_400000_NS6detail17trampoline_kernelINS0_14default_configENS1_27scan_by_key_config_selectorIj11FixedVectorIiLj2EEEEZZNS1_16scan_by_key_implILNS1_25lookback_scan_determinismE0ELb1ES3_N6thrust23THRUST_200600_302600_NS6detail15normal_iteratorINSB_10device_ptrIjEEEENSD_INSE_IS6_EEEESI_S6_NSB_4plusIvEENSB_8equal_toIvEES6_EE10hipError_tPvRmT2_T3_T4_T5_mT6_T7_P12ihipStream_tbENKUlT_T0_E_clISt17integral_constantIbLb1EES12_IbLb0EEEEDaSY_SZ_EUlSY_E_NS1_11comp_targetILNS1_3genE5ELNS1_11target_archE942ELNS1_3gpuE9ELNS1_3repE0EEENS1_30default_config_static_selectorELNS0_4arch9wavefront6targetE0EEEvT1_.kd
    .uniform_work_group_size: 1
    .uses_dynamic_stack: false
    .vgpr_count:     0
    .vgpr_spill_count: 0
    .wavefront_size: 32
    .workgroup_processor_mode: 1
  - .args:
      - .offset:         0
        .size:           120
        .value_kind:     by_value
    .group_segment_fixed_size: 0
    .kernarg_segment_align: 8
    .kernarg_segment_size: 120
    .language:       OpenCL C
    .language_version:
      - 2
      - 0
    .max_flat_workgroup_size: 64
    .name:           _ZN7rocprim17ROCPRIM_400000_NS6detail17trampoline_kernelINS0_14default_configENS1_27scan_by_key_config_selectorIj11FixedVectorIiLj2EEEEZZNS1_16scan_by_key_implILNS1_25lookback_scan_determinismE0ELb1ES3_N6thrust23THRUST_200600_302600_NS6detail15normal_iteratorINSB_10device_ptrIjEEEENSD_INSE_IS6_EEEESI_S6_NSB_4plusIvEENSB_8equal_toIvEES6_EE10hipError_tPvRmT2_T3_T4_T5_mT6_T7_P12ihipStream_tbENKUlT_T0_E_clISt17integral_constantIbLb1EES12_IbLb0EEEEDaSY_SZ_EUlSY_E_NS1_11comp_targetILNS1_3genE4ELNS1_11target_archE910ELNS1_3gpuE8ELNS1_3repE0EEENS1_30default_config_static_selectorELNS0_4arch9wavefront6targetE0EEEvT1_
    .private_segment_fixed_size: 0
    .sgpr_count:     0
    .sgpr_spill_count: 0
    .symbol:         _ZN7rocprim17ROCPRIM_400000_NS6detail17trampoline_kernelINS0_14default_configENS1_27scan_by_key_config_selectorIj11FixedVectorIiLj2EEEEZZNS1_16scan_by_key_implILNS1_25lookback_scan_determinismE0ELb1ES3_N6thrust23THRUST_200600_302600_NS6detail15normal_iteratorINSB_10device_ptrIjEEEENSD_INSE_IS6_EEEESI_S6_NSB_4plusIvEENSB_8equal_toIvEES6_EE10hipError_tPvRmT2_T3_T4_T5_mT6_T7_P12ihipStream_tbENKUlT_T0_E_clISt17integral_constantIbLb1EES12_IbLb0EEEEDaSY_SZ_EUlSY_E_NS1_11comp_targetILNS1_3genE4ELNS1_11target_archE910ELNS1_3gpuE8ELNS1_3repE0EEENS1_30default_config_static_selectorELNS0_4arch9wavefront6targetE0EEEvT1_.kd
    .uniform_work_group_size: 1
    .uses_dynamic_stack: false
    .vgpr_count:     0
    .vgpr_spill_count: 0
    .wavefront_size: 32
    .workgroup_processor_mode: 1
  - .args:
      - .offset:         0
        .size:           120
        .value_kind:     by_value
    .group_segment_fixed_size: 0
    .kernarg_segment_align: 8
    .kernarg_segment_size: 120
    .language:       OpenCL C
    .language_version:
      - 2
      - 0
    .max_flat_workgroup_size: 128
    .name:           _ZN7rocprim17ROCPRIM_400000_NS6detail17trampoline_kernelINS0_14default_configENS1_27scan_by_key_config_selectorIj11FixedVectorIiLj2EEEEZZNS1_16scan_by_key_implILNS1_25lookback_scan_determinismE0ELb1ES3_N6thrust23THRUST_200600_302600_NS6detail15normal_iteratorINSB_10device_ptrIjEEEENSD_INSE_IS6_EEEESI_S6_NSB_4plusIvEENSB_8equal_toIvEES6_EE10hipError_tPvRmT2_T3_T4_T5_mT6_T7_P12ihipStream_tbENKUlT_T0_E_clISt17integral_constantIbLb1EES12_IbLb0EEEEDaSY_SZ_EUlSY_E_NS1_11comp_targetILNS1_3genE3ELNS1_11target_archE908ELNS1_3gpuE7ELNS1_3repE0EEENS1_30default_config_static_selectorELNS0_4arch9wavefront6targetE0EEEvT1_
    .private_segment_fixed_size: 0
    .sgpr_count:     0
    .sgpr_spill_count: 0
    .symbol:         _ZN7rocprim17ROCPRIM_400000_NS6detail17trampoline_kernelINS0_14default_configENS1_27scan_by_key_config_selectorIj11FixedVectorIiLj2EEEEZZNS1_16scan_by_key_implILNS1_25lookback_scan_determinismE0ELb1ES3_N6thrust23THRUST_200600_302600_NS6detail15normal_iteratorINSB_10device_ptrIjEEEENSD_INSE_IS6_EEEESI_S6_NSB_4plusIvEENSB_8equal_toIvEES6_EE10hipError_tPvRmT2_T3_T4_T5_mT6_T7_P12ihipStream_tbENKUlT_T0_E_clISt17integral_constantIbLb1EES12_IbLb0EEEEDaSY_SZ_EUlSY_E_NS1_11comp_targetILNS1_3genE3ELNS1_11target_archE908ELNS1_3gpuE7ELNS1_3repE0EEENS1_30default_config_static_selectorELNS0_4arch9wavefront6targetE0EEEvT1_.kd
    .uniform_work_group_size: 1
    .uses_dynamic_stack: false
    .vgpr_count:     0
    .vgpr_spill_count: 0
    .wavefront_size: 32
    .workgroup_processor_mode: 1
  - .args:
      - .offset:         0
        .size:           120
        .value_kind:     by_value
    .group_segment_fixed_size: 0
    .kernarg_segment_align: 8
    .kernarg_segment_size: 120
    .language:       OpenCL C
    .language_version:
      - 2
      - 0
    .max_flat_workgroup_size: 64
    .name:           _ZN7rocprim17ROCPRIM_400000_NS6detail17trampoline_kernelINS0_14default_configENS1_27scan_by_key_config_selectorIj11FixedVectorIiLj2EEEEZZNS1_16scan_by_key_implILNS1_25lookback_scan_determinismE0ELb1ES3_N6thrust23THRUST_200600_302600_NS6detail15normal_iteratorINSB_10device_ptrIjEEEENSD_INSE_IS6_EEEESI_S6_NSB_4plusIvEENSB_8equal_toIvEES6_EE10hipError_tPvRmT2_T3_T4_T5_mT6_T7_P12ihipStream_tbENKUlT_T0_E_clISt17integral_constantIbLb1EES12_IbLb0EEEEDaSY_SZ_EUlSY_E_NS1_11comp_targetILNS1_3genE2ELNS1_11target_archE906ELNS1_3gpuE6ELNS1_3repE0EEENS1_30default_config_static_selectorELNS0_4arch9wavefront6targetE0EEEvT1_
    .private_segment_fixed_size: 0
    .sgpr_count:     0
    .sgpr_spill_count: 0
    .symbol:         _ZN7rocprim17ROCPRIM_400000_NS6detail17trampoline_kernelINS0_14default_configENS1_27scan_by_key_config_selectorIj11FixedVectorIiLj2EEEEZZNS1_16scan_by_key_implILNS1_25lookback_scan_determinismE0ELb1ES3_N6thrust23THRUST_200600_302600_NS6detail15normal_iteratorINSB_10device_ptrIjEEEENSD_INSE_IS6_EEEESI_S6_NSB_4plusIvEENSB_8equal_toIvEES6_EE10hipError_tPvRmT2_T3_T4_T5_mT6_T7_P12ihipStream_tbENKUlT_T0_E_clISt17integral_constantIbLb1EES12_IbLb0EEEEDaSY_SZ_EUlSY_E_NS1_11comp_targetILNS1_3genE2ELNS1_11target_archE906ELNS1_3gpuE6ELNS1_3repE0EEENS1_30default_config_static_selectorELNS0_4arch9wavefront6targetE0EEEvT1_.kd
    .uniform_work_group_size: 1
    .uses_dynamic_stack: false
    .vgpr_count:     0
    .vgpr_spill_count: 0
    .wavefront_size: 32
    .workgroup_processor_mode: 1
  - .args:
      - .offset:         0
        .size:           120
        .value_kind:     by_value
    .group_segment_fixed_size: 0
    .kernarg_segment_align: 8
    .kernarg_segment_size: 120
    .language:       OpenCL C
    .language_version:
      - 2
      - 0
    .max_flat_workgroup_size: 256
    .name:           _ZN7rocprim17ROCPRIM_400000_NS6detail17trampoline_kernelINS0_14default_configENS1_27scan_by_key_config_selectorIj11FixedVectorIiLj2EEEEZZNS1_16scan_by_key_implILNS1_25lookback_scan_determinismE0ELb1ES3_N6thrust23THRUST_200600_302600_NS6detail15normal_iteratorINSB_10device_ptrIjEEEENSD_INSE_IS6_EEEESI_S6_NSB_4plusIvEENSB_8equal_toIvEES6_EE10hipError_tPvRmT2_T3_T4_T5_mT6_T7_P12ihipStream_tbENKUlT_T0_E_clISt17integral_constantIbLb1EES12_IbLb0EEEEDaSY_SZ_EUlSY_E_NS1_11comp_targetILNS1_3genE10ELNS1_11target_archE1200ELNS1_3gpuE4ELNS1_3repE0EEENS1_30default_config_static_selectorELNS0_4arch9wavefront6targetE0EEEvT1_
    .private_segment_fixed_size: 0
    .sgpr_count:     0
    .sgpr_spill_count: 0
    .symbol:         _ZN7rocprim17ROCPRIM_400000_NS6detail17trampoline_kernelINS0_14default_configENS1_27scan_by_key_config_selectorIj11FixedVectorIiLj2EEEEZZNS1_16scan_by_key_implILNS1_25lookback_scan_determinismE0ELb1ES3_N6thrust23THRUST_200600_302600_NS6detail15normal_iteratorINSB_10device_ptrIjEEEENSD_INSE_IS6_EEEESI_S6_NSB_4plusIvEENSB_8equal_toIvEES6_EE10hipError_tPvRmT2_T3_T4_T5_mT6_T7_P12ihipStream_tbENKUlT_T0_E_clISt17integral_constantIbLb1EES12_IbLb0EEEEDaSY_SZ_EUlSY_E_NS1_11comp_targetILNS1_3genE10ELNS1_11target_archE1200ELNS1_3gpuE4ELNS1_3repE0EEENS1_30default_config_static_selectorELNS0_4arch9wavefront6targetE0EEEvT1_.kd
    .uniform_work_group_size: 1
    .uses_dynamic_stack: false
    .vgpr_count:     0
    .vgpr_spill_count: 0
    .wavefront_size: 32
    .workgroup_processor_mode: 1
  - .args:
      - .offset:         0
        .size:           120
        .value_kind:     by_value
    .group_segment_fixed_size: 0
    .kernarg_segment_align: 8
    .kernarg_segment_size: 120
    .language:       OpenCL C
    .language_version:
      - 2
      - 0
    .max_flat_workgroup_size: 256
    .name:           _ZN7rocprim17ROCPRIM_400000_NS6detail17trampoline_kernelINS0_14default_configENS1_27scan_by_key_config_selectorIj11FixedVectorIiLj2EEEEZZNS1_16scan_by_key_implILNS1_25lookback_scan_determinismE0ELb1ES3_N6thrust23THRUST_200600_302600_NS6detail15normal_iteratorINSB_10device_ptrIjEEEENSD_INSE_IS6_EEEESI_S6_NSB_4plusIvEENSB_8equal_toIvEES6_EE10hipError_tPvRmT2_T3_T4_T5_mT6_T7_P12ihipStream_tbENKUlT_T0_E_clISt17integral_constantIbLb1EES12_IbLb0EEEEDaSY_SZ_EUlSY_E_NS1_11comp_targetILNS1_3genE9ELNS1_11target_archE1100ELNS1_3gpuE3ELNS1_3repE0EEENS1_30default_config_static_selectorELNS0_4arch9wavefront6targetE0EEEvT1_
    .private_segment_fixed_size: 0
    .sgpr_count:     0
    .sgpr_spill_count: 0
    .symbol:         _ZN7rocprim17ROCPRIM_400000_NS6detail17trampoline_kernelINS0_14default_configENS1_27scan_by_key_config_selectorIj11FixedVectorIiLj2EEEEZZNS1_16scan_by_key_implILNS1_25lookback_scan_determinismE0ELb1ES3_N6thrust23THRUST_200600_302600_NS6detail15normal_iteratorINSB_10device_ptrIjEEEENSD_INSE_IS6_EEEESI_S6_NSB_4plusIvEENSB_8equal_toIvEES6_EE10hipError_tPvRmT2_T3_T4_T5_mT6_T7_P12ihipStream_tbENKUlT_T0_E_clISt17integral_constantIbLb1EES12_IbLb0EEEEDaSY_SZ_EUlSY_E_NS1_11comp_targetILNS1_3genE9ELNS1_11target_archE1100ELNS1_3gpuE3ELNS1_3repE0EEENS1_30default_config_static_selectorELNS0_4arch9wavefront6targetE0EEEvT1_.kd
    .uniform_work_group_size: 1
    .uses_dynamic_stack: false
    .vgpr_count:     0
    .vgpr_spill_count: 0
    .wavefront_size: 32
    .workgroup_processor_mode: 1
  - .args:
      - .offset:         0
        .size:           120
        .value_kind:     by_value
    .group_segment_fixed_size: 0
    .kernarg_segment_align: 8
    .kernarg_segment_size: 120
    .language:       OpenCL C
    .language_version:
      - 2
      - 0
    .max_flat_workgroup_size: 256
    .name:           _ZN7rocprim17ROCPRIM_400000_NS6detail17trampoline_kernelINS0_14default_configENS1_27scan_by_key_config_selectorIj11FixedVectorIiLj2EEEEZZNS1_16scan_by_key_implILNS1_25lookback_scan_determinismE0ELb1ES3_N6thrust23THRUST_200600_302600_NS6detail15normal_iteratorINSB_10device_ptrIjEEEENSD_INSE_IS6_EEEESI_S6_NSB_4plusIvEENSB_8equal_toIvEES6_EE10hipError_tPvRmT2_T3_T4_T5_mT6_T7_P12ihipStream_tbENKUlT_T0_E_clISt17integral_constantIbLb1EES12_IbLb0EEEEDaSY_SZ_EUlSY_E_NS1_11comp_targetILNS1_3genE8ELNS1_11target_archE1030ELNS1_3gpuE2ELNS1_3repE0EEENS1_30default_config_static_selectorELNS0_4arch9wavefront6targetE0EEEvT1_
    .private_segment_fixed_size: 0
    .sgpr_count:     0
    .sgpr_spill_count: 0
    .symbol:         _ZN7rocprim17ROCPRIM_400000_NS6detail17trampoline_kernelINS0_14default_configENS1_27scan_by_key_config_selectorIj11FixedVectorIiLj2EEEEZZNS1_16scan_by_key_implILNS1_25lookback_scan_determinismE0ELb1ES3_N6thrust23THRUST_200600_302600_NS6detail15normal_iteratorINSB_10device_ptrIjEEEENSD_INSE_IS6_EEEESI_S6_NSB_4plusIvEENSB_8equal_toIvEES6_EE10hipError_tPvRmT2_T3_T4_T5_mT6_T7_P12ihipStream_tbENKUlT_T0_E_clISt17integral_constantIbLb1EES12_IbLb0EEEEDaSY_SZ_EUlSY_E_NS1_11comp_targetILNS1_3genE8ELNS1_11target_archE1030ELNS1_3gpuE2ELNS1_3repE0EEENS1_30default_config_static_selectorELNS0_4arch9wavefront6targetE0EEEvT1_.kd
    .uniform_work_group_size: 1
    .uses_dynamic_stack: false
    .vgpr_count:     0
    .vgpr_spill_count: 0
    .wavefront_size: 32
    .workgroup_processor_mode: 1
  - .args:
      - .offset:         0
        .size:           120
        .value_kind:     by_value
    .group_segment_fixed_size: 0
    .kernarg_segment_align: 8
    .kernarg_segment_size: 120
    .language:       OpenCL C
    .language_version:
      - 2
      - 0
    .max_flat_workgroup_size: 128
    .name:           _ZN7rocprim17ROCPRIM_400000_NS6detail17trampoline_kernelINS0_14default_configENS1_27scan_by_key_config_selectorIj11FixedVectorIiLj2EEEEZZNS1_16scan_by_key_implILNS1_25lookback_scan_determinismE0ELb1ES3_N6thrust23THRUST_200600_302600_NS6detail15normal_iteratorINSB_10device_ptrIjEEEENSD_INSE_IS6_EEEESI_S6_NSB_4plusIvEENSB_8equal_toIvEES6_EE10hipError_tPvRmT2_T3_T4_T5_mT6_T7_P12ihipStream_tbENKUlT_T0_E_clISt17integral_constantIbLb0EES12_IbLb1EEEEDaSY_SZ_EUlSY_E_NS1_11comp_targetILNS1_3genE0ELNS1_11target_archE4294967295ELNS1_3gpuE0ELNS1_3repE0EEENS1_30default_config_static_selectorELNS0_4arch9wavefront6targetE0EEEvT1_
    .private_segment_fixed_size: 0
    .sgpr_count:     0
    .sgpr_spill_count: 0
    .symbol:         _ZN7rocprim17ROCPRIM_400000_NS6detail17trampoline_kernelINS0_14default_configENS1_27scan_by_key_config_selectorIj11FixedVectorIiLj2EEEEZZNS1_16scan_by_key_implILNS1_25lookback_scan_determinismE0ELb1ES3_N6thrust23THRUST_200600_302600_NS6detail15normal_iteratorINSB_10device_ptrIjEEEENSD_INSE_IS6_EEEESI_S6_NSB_4plusIvEENSB_8equal_toIvEES6_EE10hipError_tPvRmT2_T3_T4_T5_mT6_T7_P12ihipStream_tbENKUlT_T0_E_clISt17integral_constantIbLb0EES12_IbLb1EEEEDaSY_SZ_EUlSY_E_NS1_11comp_targetILNS1_3genE0ELNS1_11target_archE4294967295ELNS1_3gpuE0ELNS1_3repE0EEENS1_30default_config_static_selectorELNS0_4arch9wavefront6targetE0EEEvT1_.kd
    .uniform_work_group_size: 1
    .uses_dynamic_stack: false
    .vgpr_count:     0
    .vgpr_spill_count: 0
    .wavefront_size: 32
    .workgroup_processor_mode: 1
  - .args:
      - .offset:         0
        .size:           120
        .value_kind:     by_value
    .group_segment_fixed_size: 0
    .kernarg_segment_align: 8
    .kernarg_segment_size: 120
    .language:       OpenCL C
    .language_version:
      - 2
      - 0
    .max_flat_workgroup_size: 256
    .name:           _ZN7rocprim17ROCPRIM_400000_NS6detail17trampoline_kernelINS0_14default_configENS1_27scan_by_key_config_selectorIj11FixedVectorIiLj2EEEEZZNS1_16scan_by_key_implILNS1_25lookback_scan_determinismE0ELb1ES3_N6thrust23THRUST_200600_302600_NS6detail15normal_iteratorINSB_10device_ptrIjEEEENSD_INSE_IS6_EEEESI_S6_NSB_4plusIvEENSB_8equal_toIvEES6_EE10hipError_tPvRmT2_T3_T4_T5_mT6_T7_P12ihipStream_tbENKUlT_T0_E_clISt17integral_constantIbLb0EES12_IbLb1EEEEDaSY_SZ_EUlSY_E_NS1_11comp_targetILNS1_3genE10ELNS1_11target_archE1201ELNS1_3gpuE5ELNS1_3repE0EEENS1_30default_config_static_selectorELNS0_4arch9wavefront6targetE0EEEvT1_
    .private_segment_fixed_size: 0
    .sgpr_count:     0
    .sgpr_spill_count: 0
    .symbol:         _ZN7rocprim17ROCPRIM_400000_NS6detail17trampoline_kernelINS0_14default_configENS1_27scan_by_key_config_selectorIj11FixedVectorIiLj2EEEEZZNS1_16scan_by_key_implILNS1_25lookback_scan_determinismE0ELb1ES3_N6thrust23THRUST_200600_302600_NS6detail15normal_iteratorINSB_10device_ptrIjEEEENSD_INSE_IS6_EEEESI_S6_NSB_4plusIvEENSB_8equal_toIvEES6_EE10hipError_tPvRmT2_T3_T4_T5_mT6_T7_P12ihipStream_tbENKUlT_T0_E_clISt17integral_constantIbLb0EES12_IbLb1EEEEDaSY_SZ_EUlSY_E_NS1_11comp_targetILNS1_3genE10ELNS1_11target_archE1201ELNS1_3gpuE5ELNS1_3repE0EEENS1_30default_config_static_selectorELNS0_4arch9wavefront6targetE0EEEvT1_.kd
    .uniform_work_group_size: 1
    .uses_dynamic_stack: false
    .vgpr_count:     0
    .vgpr_spill_count: 0
    .wavefront_size: 32
    .workgroup_processor_mode: 1
  - .args:
      - .offset:         0
        .size:           120
        .value_kind:     by_value
    .group_segment_fixed_size: 0
    .kernarg_segment_align: 8
    .kernarg_segment_size: 120
    .language:       OpenCL C
    .language_version:
      - 2
      - 0
    .max_flat_workgroup_size: 256
    .name:           _ZN7rocprim17ROCPRIM_400000_NS6detail17trampoline_kernelINS0_14default_configENS1_27scan_by_key_config_selectorIj11FixedVectorIiLj2EEEEZZNS1_16scan_by_key_implILNS1_25lookback_scan_determinismE0ELb1ES3_N6thrust23THRUST_200600_302600_NS6detail15normal_iteratorINSB_10device_ptrIjEEEENSD_INSE_IS6_EEEESI_S6_NSB_4plusIvEENSB_8equal_toIvEES6_EE10hipError_tPvRmT2_T3_T4_T5_mT6_T7_P12ihipStream_tbENKUlT_T0_E_clISt17integral_constantIbLb0EES12_IbLb1EEEEDaSY_SZ_EUlSY_E_NS1_11comp_targetILNS1_3genE5ELNS1_11target_archE942ELNS1_3gpuE9ELNS1_3repE0EEENS1_30default_config_static_selectorELNS0_4arch9wavefront6targetE0EEEvT1_
    .private_segment_fixed_size: 0
    .sgpr_count:     0
    .sgpr_spill_count: 0
    .symbol:         _ZN7rocprim17ROCPRIM_400000_NS6detail17trampoline_kernelINS0_14default_configENS1_27scan_by_key_config_selectorIj11FixedVectorIiLj2EEEEZZNS1_16scan_by_key_implILNS1_25lookback_scan_determinismE0ELb1ES3_N6thrust23THRUST_200600_302600_NS6detail15normal_iteratorINSB_10device_ptrIjEEEENSD_INSE_IS6_EEEESI_S6_NSB_4plusIvEENSB_8equal_toIvEES6_EE10hipError_tPvRmT2_T3_T4_T5_mT6_T7_P12ihipStream_tbENKUlT_T0_E_clISt17integral_constantIbLb0EES12_IbLb1EEEEDaSY_SZ_EUlSY_E_NS1_11comp_targetILNS1_3genE5ELNS1_11target_archE942ELNS1_3gpuE9ELNS1_3repE0EEENS1_30default_config_static_selectorELNS0_4arch9wavefront6targetE0EEEvT1_.kd
    .uniform_work_group_size: 1
    .uses_dynamic_stack: false
    .vgpr_count:     0
    .vgpr_spill_count: 0
    .wavefront_size: 32
    .workgroup_processor_mode: 1
  - .args:
      - .offset:         0
        .size:           120
        .value_kind:     by_value
    .group_segment_fixed_size: 0
    .kernarg_segment_align: 8
    .kernarg_segment_size: 120
    .language:       OpenCL C
    .language_version:
      - 2
      - 0
    .max_flat_workgroup_size: 64
    .name:           _ZN7rocprim17ROCPRIM_400000_NS6detail17trampoline_kernelINS0_14default_configENS1_27scan_by_key_config_selectorIj11FixedVectorIiLj2EEEEZZNS1_16scan_by_key_implILNS1_25lookback_scan_determinismE0ELb1ES3_N6thrust23THRUST_200600_302600_NS6detail15normal_iteratorINSB_10device_ptrIjEEEENSD_INSE_IS6_EEEESI_S6_NSB_4plusIvEENSB_8equal_toIvEES6_EE10hipError_tPvRmT2_T3_T4_T5_mT6_T7_P12ihipStream_tbENKUlT_T0_E_clISt17integral_constantIbLb0EES12_IbLb1EEEEDaSY_SZ_EUlSY_E_NS1_11comp_targetILNS1_3genE4ELNS1_11target_archE910ELNS1_3gpuE8ELNS1_3repE0EEENS1_30default_config_static_selectorELNS0_4arch9wavefront6targetE0EEEvT1_
    .private_segment_fixed_size: 0
    .sgpr_count:     0
    .sgpr_spill_count: 0
    .symbol:         _ZN7rocprim17ROCPRIM_400000_NS6detail17trampoline_kernelINS0_14default_configENS1_27scan_by_key_config_selectorIj11FixedVectorIiLj2EEEEZZNS1_16scan_by_key_implILNS1_25lookback_scan_determinismE0ELb1ES3_N6thrust23THRUST_200600_302600_NS6detail15normal_iteratorINSB_10device_ptrIjEEEENSD_INSE_IS6_EEEESI_S6_NSB_4plusIvEENSB_8equal_toIvEES6_EE10hipError_tPvRmT2_T3_T4_T5_mT6_T7_P12ihipStream_tbENKUlT_T0_E_clISt17integral_constantIbLb0EES12_IbLb1EEEEDaSY_SZ_EUlSY_E_NS1_11comp_targetILNS1_3genE4ELNS1_11target_archE910ELNS1_3gpuE8ELNS1_3repE0EEENS1_30default_config_static_selectorELNS0_4arch9wavefront6targetE0EEEvT1_.kd
    .uniform_work_group_size: 1
    .uses_dynamic_stack: false
    .vgpr_count:     0
    .vgpr_spill_count: 0
    .wavefront_size: 32
    .workgroup_processor_mode: 1
  - .args:
      - .offset:         0
        .size:           120
        .value_kind:     by_value
    .group_segment_fixed_size: 0
    .kernarg_segment_align: 8
    .kernarg_segment_size: 120
    .language:       OpenCL C
    .language_version:
      - 2
      - 0
    .max_flat_workgroup_size: 128
    .name:           _ZN7rocprim17ROCPRIM_400000_NS6detail17trampoline_kernelINS0_14default_configENS1_27scan_by_key_config_selectorIj11FixedVectorIiLj2EEEEZZNS1_16scan_by_key_implILNS1_25lookback_scan_determinismE0ELb1ES3_N6thrust23THRUST_200600_302600_NS6detail15normal_iteratorINSB_10device_ptrIjEEEENSD_INSE_IS6_EEEESI_S6_NSB_4plusIvEENSB_8equal_toIvEES6_EE10hipError_tPvRmT2_T3_T4_T5_mT6_T7_P12ihipStream_tbENKUlT_T0_E_clISt17integral_constantIbLb0EES12_IbLb1EEEEDaSY_SZ_EUlSY_E_NS1_11comp_targetILNS1_3genE3ELNS1_11target_archE908ELNS1_3gpuE7ELNS1_3repE0EEENS1_30default_config_static_selectorELNS0_4arch9wavefront6targetE0EEEvT1_
    .private_segment_fixed_size: 0
    .sgpr_count:     0
    .sgpr_spill_count: 0
    .symbol:         _ZN7rocprim17ROCPRIM_400000_NS6detail17trampoline_kernelINS0_14default_configENS1_27scan_by_key_config_selectorIj11FixedVectorIiLj2EEEEZZNS1_16scan_by_key_implILNS1_25lookback_scan_determinismE0ELb1ES3_N6thrust23THRUST_200600_302600_NS6detail15normal_iteratorINSB_10device_ptrIjEEEENSD_INSE_IS6_EEEESI_S6_NSB_4plusIvEENSB_8equal_toIvEES6_EE10hipError_tPvRmT2_T3_T4_T5_mT6_T7_P12ihipStream_tbENKUlT_T0_E_clISt17integral_constantIbLb0EES12_IbLb1EEEEDaSY_SZ_EUlSY_E_NS1_11comp_targetILNS1_3genE3ELNS1_11target_archE908ELNS1_3gpuE7ELNS1_3repE0EEENS1_30default_config_static_selectorELNS0_4arch9wavefront6targetE0EEEvT1_.kd
    .uniform_work_group_size: 1
    .uses_dynamic_stack: false
    .vgpr_count:     0
    .vgpr_spill_count: 0
    .wavefront_size: 32
    .workgroup_processor_mode: 1
  - .args:
      - .offset:         0
        .size:           120
        .value_kind:     by_value
    .group_segment_fixed_size: 0
    .kernarg_segment_align: 8
    .kernarg_segment_size: 120
    .language:       OpenCL C
    .language_version:
      - 2
      - 0
    .max_flat_workgroup_size: 64
    .name:           _ZN7rocprim17ROCPRIM_400000_NS6detail17trampoline_kernelINS0_14default_configENS1_27scan_by_key_config_selectorIj11FixedVectorIiLj2EEEEZZNS1_16scan_by_key_implILNS1_25lookback_scan_determinismE0ELb1ES3_N6thrust23THRUST_200600_302600_NS6detail15normal_iteratorINSB_10device_ptrIjEEEENSD_INSE_IS6_EEEESI_S6_NSB_4plusIvEENSB_8equal_toIvEES6_EE10hipError_tPvRmT2_T3_T4_T5_mT6_T7_P12ihipStream_tbENKUlT_T0_E_clISt17integral_constantIbLb0EES12_IbLb1EEEEDaSY_SZ_EUlSY_E_NS1_11comp_targetILNS1_3genE2ELNS1_11target_archE906ELNS1_3gpuE6ELNS1_3repE0EEENS1_30default_config_static_selectorELNS0_4arch9wavefront6targetE0EEEvT1_
    .private_segment_fixed_size: 0
    .sgpr_count:     0
    .sgpr_spill_count: 0
    .symbol:         _ZN7rocprim17ROCPRIM_400000_NS6detail17trampoline_kernelINS0_14default_configENS1_27scan_by_key_config_selectorIj11FixedVectorIiLj2EEEEZZNS1_16scan_by_key_implILNS1_25lookback_scan_determinismE0ELb1ES3_N6thrust23THRUST_200600_302600_NS6detail15normal_iteratorINSB_10device_ptrIjEEEENSD_INSE_IS6_EEEESI_S6_NSB_4plusIvEENSB_8equal_toIvEES6_EE10hipError_tPvRmT2_T3_T4_T5_mT6_T7_P12ihipStream_tbENKUlT_T0_E_clISt17integral_constantIbLb0EES12_IbLb1EEEEDaSY_SZ_EUlSY_E_NS1_11comp_targetILNS1_3genE2ELNS1_11target_archE906ELNS1_3gpuE6ELNS1_3repE0EEENS1_30default_config_static_selectorELNS0_4arch9wavefront6targetE0EEEvT1_.kd
    .uniform_work_group_size: 1
    .uses_dynamic_stack: false
    .vgpr_count:     0
    .vgpr_spill_count: 0
    .wavefront_size: 32
    .workgroup_processor_mode: 1
  - .args:
      - .offset:         0
        .size:           120
        .value_kind:     by_value
    .group_segment_fixed_size: 0
    .kernarg_segment_align: 8
    .kernarg_segment_size: 120
    .language:       OpenCL C
    .language_version:
      - 2
      - 0
    .max_flat_workgroup_size: 256
    .name:           _ZN7rocprim17ROCPRIM_400000_NS6detail17trampoline_kernelINS0_14default_configENS1_27scan_by_key_config_selectorIj11FixedVectorIiLj2EEEEZZNS1_16scan_by_key_implILNS1_25lookback_scan_determinismE0ELb1ES3_N6thrust23THRUST_200600_302600_NS6detail15normal_iteratorINSB_10device_ptrIjEEEENSD_INSE_IS6_EEEESI_S6_NSB_4plusIvEENSB_8equal_toIvEES6_EE10hipError_tPvRmT2_T3_T4_T5_mT6_T7_P12ihipStream_tbENKUlT_T0_E_clISt17integral_constantIbLb0EES12_IbLb1EEEEDaSY_SZ_EUlSY_E_NS1_11comp_targetILNS1_3genE10ELNS1_11target_archE1200ELNS1_3gpuE4ELNS1_3repE0EEENS1_30default_config_static_selectorELNS0_4arch9wavefront6targetE0EEEvT1_
    .private_segment_fixed_size: 0
    .sgpr_count:     0
    .sgpr_spill_count: 0
    .symbol:         _ZN7rocprim17ROCPRIM_400000_NS6detail17trampoline_kernelINS0_14default_configENS1_27scan_by_key_config_selectorIj11FixedVectorIiLj2EEEEZZNS1_16scan_by_key_implILNS1_25lookback_scan_determinismE0ELb1ES3_N6thrust23THRUST_200600_302600_NS6detail15normal_iteratorINSB_10device_ptrIjEEEENSD_INSE_IS6_EEEESI_S6_NSB_4plusIvEENSB_8equal_toIvEES6_EE10hipError_tPvRmT2_T3_T4_T5_mT6_T7_P12ihipStream_tbENKUlT_T0_E_clISt17integral_constantIbLb0EES12_IbLb1EEEEDaSY_SZ_EUlSY_E_NS1_11comp_targetILNS1_3genE10ELNS1_11target_archE1200ELNS1_3gpuE4ELNS1_3repE0EEENS1_30default_config_static_selectorELNS0_4arch9wavefront6targetE0EEEvT1_.kd
    .uniform_work_group_size: 1
    .uses_dynamic_stack: false
    .vgpr_count:     0
    .vgpr_spill_count: 0
    .wavefront_size: 32
    .workgroup_processor_mode: 1
  - .args:
      - .offset:         0
        .size:           120
        .value_kind:     by_value
    .group_segment_fixed_size: 0
    .kernarg_segment_align: 8
    .kernarg_segment_size: 120
    .language:       OpenCL C
    .language_version:
      - 2
      - 0
    .max_flat_workgroup_size: 256
    .name:           _ZN7rocprim17ROCPRIM_400000_NS6detail17trampoline_kernelINS0_14default_configENS1_27scan_by_key_config_selectorIj11FixedVectorIiLj2EEEEZZNS1_16scan_by_key_implILNS1_25lookback_scan_determinismE0ELb1ES3_N6thrust23THRUST_200600_302600_NS6detail15normal_iteratorINSB_10device_ptrIjEEEENSD_INSE_IS6_EEEESI_S6_NSB_4plusIvEENSB_8equal_toIvEES6_EE10hipError_tPvRmT2_T3_T4_T5_mT6_T7_P12ihipStream_tbENKUlT_T0_E_clISt17integral_constantIbLb0EES12_IbLb1EEEEDaSY_SZ_EUlSY_E_NS1_11comp_targetILNS1_3genE9ELNS1_11target_archE1100ELNS1_3gpuE3ELNS1_3repE0EEENS1_30default_config_static_selectorELNS0_4arch9wavefront6targetE0EEEvT1_
    .private_segment_fixed_size: 0
    .sgpr_count:     0
    .sgpr_spill_count: 0
    .symbol:         _ZN7rocprim17ROCPRIM_400000_NS6detail17trampoline_kernelINS0_14default_configENS1_27scan_by_key_config_selectorIj11FixedVectorIiLj2EEEEZZNS1_16scan_by_key_implILNS1_25lookback_scan_determinismE0ELb1ES3_N6thrust23THRUST_200600_302600_NS6detail15normal_iteratorINSB_10device_ptrIjEEEENSD_INSE_IS6_EEEESI_S6_NSB_4plusIvEENSB_8equal_toIvEES6_EE10hipError_tPvRmT2_T3_T4_T5_mT6_T7_P12ihipStream_tbENKUlT_T0_E_clISt17integral_constantIbLb0EES12_IbLb1EEEEDaSY_SZ_EUlSY_E_NS1_11comp_targetILNS1_3genE9ELNS1_11target_archE1100ELNS1_3gpuE3ELNS1_3repE0EEENS1_30default_config_static_selectorELNS0_4arch9wavefront6targetE0EEEvT1_.kd
    .uniform_work_group_size: 1
    .uses_dynamic_stack: false
    .vgpr_count:     0
    .vgpr_spill_count: 0
    .wavefront_size: 32
    .workgroup_processor_mode: 1
  - .args:
      - .offset:         0
        .size:           120
        .value_kind:     by_value
    .group_segment_fixed_size: 6144
    .kernarg_segment_align: 8
    .kernarg_segment_size: 120
    .language:       OpenCL C
    .language_version:
      - 2
      - 0
    .max_flat_workgroup_size: 256
    .name:           _ZN7rocprim17ROCPRIM_400000_NS6detail17trampoline_kernelINS0_14default_configENS1_27scan_by_key_config_selectorIj11FixedVectorIiLj2EEEEZZNS1_16scan_by_key_implILNS1_25lookback_scan_determinismE0ELb1ES3_N6thrust23THRUST_200600_302600_NS6detail15normal_iteratorINSB_10device_ptrIjEEEENSD_INSE_IS6_EEEESI_S6_NSB_4plusIvEENSB_8equal_toIvEES6_EE10hipError_tPvRmT2_T3_T4_T5_mT6_T7_P12ihipStream_tbENKUlT_T0_E_clISt17integral_constantIbLb0EES12_IbLb1EEEEDaSY_SZ_EUlSY_E_NS1_11comp_targetILNS1_3genE8ELNS1_11target_archE1030ELNS1_3gpuE2ELNS1_3repE0EEENS1_30default_config_static_selectorELNS0_4arch9wavefront6targetE0EEEvT1_
    .private_segment_fixed_size: 0
    .sgpr_count:     34
    .sgpr_spill_count: 0
    .symbol:         _ZN7rocprim17ROCPRIM_400000_NS6detail17trampoline_kernelINS0_14default_configENS1_27scan_by_key_config_selectorIj11FixedVectorIiLj2EEEEZZNS1_16scan_by_key_implILNS1_25lookback_scan_determinismE0ELb1ES3_N6thrust23THRUST_200600_302600_NS6detail15normal_iteratorINSB_10device_ptrIjEEEENSD_INSE_IS6_EEEESI_S6_NSB_4plusIvEENSB_8equal_toIvEES6_EE10hipError_tPvRmT2_T3_T4_T5_mT6_T7_P12ihipStream_tbENKUlT_T0_E_clISt17integral_constantIbLb0EES12_IbLb1EEEEDaSY_SZ_EUlSY_E_NS1_11comp_targetILNS1_3genE8ELNS1_11target_archE1030ELNS1_3gpuE2ELNS1_3repE0EEENS1_30default_config_static_selectorELNS0_4arch9wavefront6targetE0EEEvT1_.kd
    .uniform_work_group_size: 1
    .uses_dynamic_stack: false
    .vgpr_count:     53
    .vgpr_spill_count: 0
    .wavefront_size: 32
    .workgroup_processor_mode: 1
  - .args:
      - .offset:         0
        .size:           16
        .value_kind:     by_value
      - .offset:         16
        .size:           8
        .value_kind:     by_value
      - .offset:         24
        .size:           8
        .value_kind:     by_value
    .group_segment_fixed_size: 0
    .kernarg_segment_align: 8
    .kernarg_segment_size: 32
    .language:       OpenCL C
    .language_version:
      - 2
      - 0
    .max_flat_workgroup_size: 256
    .name:           _ZN6thrust23THRUST_200600_302600_NS11hip_rocprim14__parallel_for6kernelILj256ENS1_10for_each_fINS0_10device_ptrI11FixedVectorIiLj4EEEENS0_6detail16wrapped_functionINS9_23allocator_traits_detail5gozerEvEEEElLj1EEEvT0_T1_SG_
    .private_segment_fixed_size: 0
    .sgpr_count:     0
    .sgpr_spill_count: 0
    .symbol:         _ZN6thrust23THRUST_200600_302600_NS11hip_rocprim14__parallel_for6kernelILj256ENS1_10for_each_fINS0_10device_ptrI11FixedVectorIiLj4EEEENS0_6detail16wrapped_functionINS9_23allocator_traits_detail5gozerEvEEEElLj1EEEvT0_T1_SG_.kd
    .uniform_work_group_size: 1
    .uses_dynamic_stack: false
    .vgpr_count:     0
    .vgpr_spill_count: 0
    .wavefront_size: 32
    .workgroup_processor_mode: 1
  - .args:
      - .offset:         0
        .size:           16
        .value_kind:     by_value
      - .offset:         16
        .size:           8
        .value_kind:     by_value
      - .offset:         24
        .size:           8
        .value_kind:     by_value
    .group_segment_fixed_size: 0
    .kernarg_segment_align: 8
    .kernarg_segment_size: 32
    .language:       OpenCL C
    .language_version:
      - 2
      - 0
    .max_flat_workgroup_size: 256
    .name:           _ZN6thrust23THRUST_200600_302600_NS11hip_rocprim14__parallel_for6kernelILj256ENS1_10for_each_fINS0_10device_ptrI11FixedVectorIiLj4EEEENS0_6detail16wrapped_functionINS9_23allocator_traits_detail24construct1_via_allocatorINS0_16device_allocatorIS7_EEEEvEEEEmLj1EEEvT0_T1_SJ_
    .private_segment_fixed_size: 0
    .sgpr_count:     14
    .sgpr_spill_count: 0
    .symbol:         _ZN6thrust23THRUST_200600_302600_NS11hip_rocprim14__parallel_for6kernelILj256ENS1_10for_each_fINS0_10device_ptrI11FixedVectorIiLj4EEEENS0_6detail16wrapped_functionINS9_23allocator_traits_detail24construct1_via_allocatorINS0_16device_allocatorIS7_EEEEvEEEEmLj1EEEvT0_T1_SJ_.kd
    .uniform_work_group_size: 1
    .uses_dynamic_stack: false
    .vgpr_count:     6
    .vgpr_spill_count: 0
    .wavefront_size: 32
    .workgroup_processor_mode: 1
  - .args:
      - .offset:         0
        .size:           24
        .value_kind:     by_value
      - .offset:         24
        .size:           4
        .value_kind:     by_value
      - .offset:         28
        .size:           4
        .value_kind:     by_value
      - .address_space:  global
        .offset:         32
        .size:           8
        .value_kind:     global_buffer
      - .address_space:  global
        .offset:         40
        .size:           8
        .value_kind:     global_buffer
      - .actual_access:  write_only
        .address_space:  global
        .offset:         48
        .size:           8
        .value_kind:     global_buffer
      - .offset:         56
        .size:           8
        .value_kind:     by_value
      - .offset:         64
        .size:           4
        .value_kind:     by_value
      - .offset:         68
        .size:           1
        .value_kind:     by_value
      - .offset:         72
        .size:           4
        .value_kind:     hidden_block_count_x
      - .offset:         76
        .size:           4
        .value_kind:     hidden_block_count_y
      - .offset:         80
        .size:           4
        .value_kind:     hidden_block_count_z
      - .offset:         84
        .size:           2
        .value_kind:     hidden_group_size_x
      - .offset:         86
        .size:           2
        .value_kind:     hidden_group_size_y
      - .offset:         88
        .size:           2
        .value_kind:     hidden_group_size_z
      - .offset:         90
        .size:           2
        .value_kind:     hidden_remainder_x
      - .offset:         92
        .size:           2
        .value_kind:     hidden_remainder_y
      - .offset:         94
        .size:           2
        .value_kind:     hidden_remainder_z
      - .offset:         112
        .size:           8
        .value_kind:     hidden_global_offset_x
      - .offset:         120
        .size:           8
        .value_kind:     hidden_global_offset_y
      - .offset:         128
        .size:           8
        .value_kind:     hidden_global_offset_z
      - .offset:         136
        .size:           2
        .value_kind:     hidden_grid_dims
    .group_segment_fixed_size: 5120
    .kernarg_segment_align: 8
    .kernarg_segment_size: 328
    .language:       OpenCL C
    .language_version:
      - 2
      - 0
    .max_flat_workgroup_size: 256
    .name:           _ZN7rocprim17ROCPRIM_400000_NS6detail30init_device_scan_by_key_kernelINS1_19lookback_scan_stateINS0_5tupleIJ11FixedVectorIiLj4EEbEEELb0ELb0EEEN6thrust23THRUST_200600_302600_NS6detail15normal_iteratorINSA_10device_ptrIjEEEEjNS1_16block_id_wrapperIjLb0EEEEEvT_jjPNSI_10value_typeET0_PNSt15iterator_traitsISL_E10value_typeEmT1_T2_
    .private_segment_fixed_size: 0
    .sgpr_count:     23
    .sgpr_spill_count: 0
    .symbol:         _ZN7rocprim17ROCPRIM_400000_NS6detail30init_device_scan_by_key_kernelINS1_19lookback_scan_stateINS0_5tupleIJ11FixedVectorIiLj4EEbEEELb0ELb0EEEN6thrust23THRUST_200600_302600_NS6detail15normal_iteratorINSA_10device_ptrIjEEEEjNS1_16block_id_wrapperIjLb0EEEEEvT_jjPNSI_10value_typeET0_PNSt15iterator_traitsISL_E10value_typeEmT1_T2_.kd
    .uniform_work_group_size: 1
    .uses_dynamic_stack: false
    .vgpr_count:     8
    .vgpr_spill_count: 0
    .wavefront_size: 32
    .workgroup_processor_mode: 1
  - .args:
      - .offset:         0
        .size:           24
        .value_kind:     by_value
      - .offset:         24
        .size:           4
        .value_kind:     by_value
      - .offset:         28
        .size:           4
        .value_kind:     by_value
      - .address_space:  global
        .offset:         32
        .size:           8
        .value_kind:     global_buffer
      - .offset:         40
        .size:           1
        .value_kind:     by_value
      - .offset:         48
        .size:           4
        .value_kind:     hidden_block_count_x
      - .offset:         52
        .size:           4
        .value_kind:     hidden_block_count_y
      - .offset:         56
        .size:           4
        .value_kind:     hidden_block_count_z
      - .offset:         60
        .size:           2
        .value_kind:     hidden_group_size_x
      - .offset:         62
        .size:           2
        .value_kind:     hidden_group_size_y
      - .offset:         64
        .size:           2
        .value_kind:     hidden_group_size_z
      - .offset:         66
        .size:           2
        .value_kind:     hidden_remainder_x
      - .offset:         68
        .size:           2
        .value_kind:     hidden_remainder_y
      - .offset:         70
        .size:           2
        .value_kind:     hidden_remainder_z
      - .offset:         88
        .size:           8
        .value_kind:     hidden_global_offset_x
      - .offset:         96
        .size:           8
        .value_kind:     hidden_global_offset_y
      - .offset:         104
        .size:           8
        .value_kind:     hidden_global_offset_z
      - .offset:         112
        .size:           2
        .value_kind:     hidden_grid_dims
    .group_segment_fixed_size: 5120
    .kernarg_segment_align: 8
    .kernarg_segment_size: 304
    .language:       OpenCL C
    .language_version:
      - 2
      - 0
    .max_flat_workgroup_size: 256
    .name:           _ZN7rocprim17ROCPRIM_400000_NS6detail30init_device_scan_by_key_kernelINS1_19lookback_scan_stateINS0_5tupleIJ11FixedVectorIiLj4EEbEEELb0ELb0EEENS1_16block_id_wrapperIjLb0EEEEEvT_jjPNSB_10value_typeET0_
    .private_segment_fixed_size: 0
    .sgpr_count:     17
    .sgpr_spill_count: 0
    .symbol:         _ZN7rocprim17ROCPRIM_400000_NS6detail30init_device_scan_by_key_kernelINS1_19lookback_scan_stateINS0_5tupleIJ11FixedVectorIiLj4EEbEEELb0ELb0EEENS1_16block_id_wrapperIjLb0EEEEEvT_jjPNSB_10value_typeET0_.kd
    .uniform_work_group_size: 1
    .uses_dynamic_stack: false
    .vgpr_count:     8
    .vgpr_spill_count: 0
    .wavefront_size: 32
    .workgroup_processor_mode: 1
  - .args:
      - .offset:         0
        .size:           144
        .value_kind:     by_value
    .group_segment_fixed_size: 0
    .kernarg_segment_align: 8
    .kernarg_segment_size: 144
    .language:       OpenCL C
    .language_version:
      - 2
      - 0
    .max_flat_workgroup_size: 64
    .name:           _ZN7rocprim17ROCPRIM_400000_NS6detail17trampoline_kernelINS0_14default_configENS1_27scan_by_key_config_selectorIj11FixedVectorIiLj4EEEEZZNS1_16scan_by_key_implILNS1_25lookback_scan_determinismE0ELb0ES3_N6thrust23THRUST_200600_302600_NS6detail15normal_iteratorINSB_10device_ptrIjEEEENSD_INSE_IS6_EEEESI_S6_NSB_4plusIvEENSB_8equal_toIvEES6_EE10hipError_tPvRmT2_T3_T4_T5_mT6_T7_P12ihipStream_tbENKUlT_T0_E_clISt17integral_constantIbLb0EES13_EEDaSY_SZ_EUlSY_E_NS1_11comp_targetILNS1_3genE0ELNS1_11target_archE4294967295ELNS1_3gpuE0ELNS1_3repE0EEENS1_30default_config_static_selectorELNS0_4arch9wavefront6targetE0EEEvT1_
    .private_segment_fixed_size: 0
    .sgpr_count:     0
    .sgpr_spill_count: 0
    .symbol:         _ZN7rocprim17ROCPRIM_400000_NS6detail17trampoline_kernelINS0_14default_configENS1_27scan_by_key_config_selectorIj11FixedVectorIiLj4EEEEZZNS1_16scan_by_key_implILNS1_25lookback_scan_determinismE0ELb0ES3_N6thrust23THRUST_200600_302600_NS6detail15normal_iteratorINSB_10device_ptrIjEEEENSD_INSE_IS6_EEEESI_S6_NSB_4plusIvEENSB_8equal_toIvEES6_EE10hipError_tPvRmT2_T3_T4_T5_mT6_T7_P12ihipStream_tbENKUlT_T0_E_clISt17integral_constantIbLb0EES13_EEDaSY_SZ_EUlSY_E_NS1_11comp_targetILNS1_3genE0ELNS1_11target_archE4294967295ELNS1_3gpuE0ELNS1_3repE0EEENS1_30default_config_static_selectorELNS0_4arch9wavefront6targetE0EEEvT1_.kd
    .uniform_work_group_size: 1
    .uses_dynamic_stack: false
    .vgpr_count:     0
    .vgpr_spill_count: 0
    .wavefront_size: 32
    .workgroup_processor_mode: 1
  - .args:
      - .offset:         0
        .size:           144
        .value_kind:     by_value
    .group_segment_fixed_size: 0
    .kernarg_segment_align: 8
    .kernarg_segment_size: 144
    .language:       OpenCL C
    .language_version:
      - 2
      - 0
    .max_flat_workgroup_size: 256
    .name:           _ZN7rocprim17ROCPRIM_400000_NS6detail17trampoline_kernelINS0_14default_configENS1_27scan_by_key_config_selectorIj11FixedVectorIiLj4EEEEZZNS1_16scan_by_key_implILNS1_25lookback_scan_determinismE0ELb0ES3_N6thrust23THRUST_200600_302600_NS6detail15normal_iteratorINSB_10device_ptrIjEEEENSD_INSE_IS6_EEEESI_S6_NSB_4plusIvEENSB_8equal_toIvEES6_EE10hipError_tPvRmT2_T3_T4_T5_mT6_T7_P12ihipStream_tbENKUlT_T0_E_clISt17integral_constantIbLb0EES13_EEDaSY_SZ_EUlSY_E_NS1_11comp_targetILNS1_3genE10ELNS1_11target_archE1201ELNS1_3gpuE5ELNS1_3repE0EEENS1_30default_config_static_selectorELNS0_4arch9wavefront6targetE0EEEvT1_
    .private_segment_fixed_size: 0
    .sgpr_count:     0
    .sgpr_spill_count: 0
    .symbol:         _ZN7rocprim17ROCPRIM_400000_NS6detail17trampoline_kernelINS0_14default_configENS1_27scan_by_key_config_selectorIj11FixedVectorIiLj4EEEEZZNS1_16scan_by_key_implILNS1_25lookback_scan_determinismE0ELb0ES3_N6thrust23THRUST_200600_302600_NS6detail15normal_iteratorINSB_10device_ptrIjEEEENSD_INSE_IS6_EEEESI_S6_NSB_4plusIvEENSB_8equal_toIvEES6_EE10hipError_tPvRmT2_T3_T4_T5_mT6_T7_P12ihipStream_tbENKUlT_T0_E_clISt17integral_constantIbLb0EES13_EEDaSY_SZ_EUlSY_E_NS1_11comp_targetILNS1_3genE10ELNS1_11target_archE1201ELNS1_3gpuE5ELNS1_3repE0EEENS1_30default_config_static_selectorELNS0_4arch9wavefront6targetE0EEEvT1_.kd
    .uniform_work_group_size: 1
    .uses_dynamic_stack: false
    .vgpr_count:     0
    .vgpr_spill_count: 0
    .wavefront_size: 32
    .workgroup_processor_mode: 1
  - .args:
      - .offset:         0
        .size:           144
        .value_kind:     by_value
    .group_segment_fixed_size: 0
    .kernarg_segment_align: 8
    .kernarg_segment_size: 144
    .language:       OpenCL C
    .language_version:
      - 2
      - 0
    .max_flat_workgroup_size: 128
    .name:           _ZN7rocprim17ROCPRIM_400000_NS6detail17trampoline_kernelINS0_14default_configENS1_27scan_by_key_config_selectorIj11FixedVectorIiLj4EEEEZZNS1_16scan_by_key_implILNS1_25lookback_scan_determinismE0ELb0ES3_N6thrust23THRUST_200600_302600_NS6detail15normal_iteratorINSB_10device_ptrIjEEEENSD_INSE_IS6_EEEESI_S6_NSB_4plusIvEENSB_8equal_toIvEES6_EE10hipError_tPvRmT2_T3_T4_T5_mT6_T7_P12ihipStream_tbENKUlT_T0_E_clISt17integral_constantIbLb0EES13_EEDaSY_SZ_EUlSY_E_NS1_11comp_targetILNS1_3genE5ELNS1_11target_archE942ELNS1_3gpuE9ELNS1_3repE0EEENS1_30default_config_static_selectorELNS0_4arch9wavefront6targetE0EEEvT1_
    .private_segment_fixed_size: 0
    .sgpr_count:     0
    .sgpr_spill_count: 0
    .symbol:         _ZN7rocprim17ROCPRIM_400000_NS6detail17trampoline_kernelINS0_14default_configENS1_27scan_by_key_config_selectorIj11FixedVectorIiLj4EEEEZZNS1_16scan_by_key_implILNS1_25lookback_scan_determinismE0ELb0ES3_N6thrust23THRUST_200600_302600_NS6detail15normal_iteratorINSB_10device_ptrIjEEEENSD_INSE_IS6_EEEESI_S6_NSB_4plusIvEENSB_8equal_toIvEES6_EE10hipError_tPvRmT2_T3_T4_T5_mT6_T7_P12ihipStream_tbENKUlT_T0_E_clISt17integral_constantIbLb0EES13_EEDaSY_SZ_EUlSY_E_NS1_11comp_targetILNS1_3genE5ELNS1_11target_archE942ELNS1_3gpuE9ELNS1_3repE0EEENS1_30default_config_static_selectorELNS0_4arch9wavefront6targetE0EEEvT1_.kd
    .uniform_work_group_size: 1
    .uses_dynamic_stack: false
    .vgpr_count:     0
    .vgpr_spill_count: 0
    .wavefront_size: 32
    .workgroup_processor_mode: 1
  - .args:
      - .offset:         0
        .size:           144
        .value_kind:     by_value
    .group_segment_fixed_size: 0
    .kernarg_segment_align: 8
    .kernarg_segment_size: 144
    .language:       OpenCL C
    .language_version:
      - 2
      - 0
    .max_flat_workgroup_size: 256
    .name:           _ZN7rocprim17ROCPRIM_400000_NS6detail17trampoline_kernelINS0_14default_configENS1_27scan_by_key_config_selectorIj11FixedVectorIiLj4EEEEZZNS1_16scan_by_key_implILNS1_25lookback_scan_determinismE0ELb0ES3_N6thrust23THRUST_200600_302600_NS6detail15normal_iteratorINSB_10device_ptrIjEEEENSD_INSE_IS6_EEEESI_S6_NSB_4plusIvEENSB_8equal_toIvEES6_EE10hipError_tPvRmT2_T3_T4_T5_mT6_T7_P12ihipStream_tbENKUlT_T0_E_clISt17integral_constantIbLb0EES13_EEDaSY_SZ_EUlSY_E_NS1_11comp_targetILNS1_3genE4ELNS1_11target_archE910ELNS1_3gpuE8ELNS1_3repE0EEENS1_30default_config_static_selectorELNS0_4arch9wavefront6targetE0EEEvT1_
    .private_segment_fixed_size: 0
    .sgpr_count:     0
    .sgpr_spill_count: 0
    .symbol:         _ZN7rocprim17ROCPRIM_400000_NS6detail17trampoline_kernelINS0_14default_configENS1_27scan_by_key_config_selectorIj11FixedVectorIiLj4EEEEZZNS1_16scan_by_key_implILNS1_25lookback_scan_determinismE0ELb0ES3_N6thrust23THRUST_200600_302600_NS6detail15normal_iteratorINSB_10device_ptrIjEEEENSD_INSE_IS6_EEEESI_S6_NSB_4plusIvEENSB_8equal_toIvEES6_EE10hipError_tPvRmT2_T3_T4_T5_mT6_T7_P12ihipStream_tbENKUlT_T0_E_clISt17integral_constantIbLb0EES13_EEDaSY_SZ_EUlSY_E_NS1_11comp_targetILNS1_3genE4ELNS1_11target_archE910ELNS1_3gpuE8ELNS1_3repE0EEENS1_30default_config_static_selectorELNS0_4arch9wavefront6targetE0EEEvT1_.kd
    .uniform_work_group_size: 1
    .uses_dynamic_stack: false
    .vgpr_count:     0
    .vgpr_spill_count: 0
    .wavefront_size: 32
    .workgroup_processor_mode: 1
  - .args:
      - .offset:         0
        .size:           144
        .value_kind:     by_value
    .group_segment_fixed_size: 0
    .kernarg_segment_align: 8
    .kernarg_segment_size: 144
    .language:       OpenCL C
    .language_version:
      - 2
      - 0
    .max_flat_workgroup_size: 64
    .name:           _ZN7rocprim17ROCPRIM_400000_NS6detail17trampoline_kernelINS0_14default_configENS1_27scan_by_key_config_selectorIj11FixedVectorIiLj4EEEEZZNS1_16scan_by_key_implILNS1_25lookback_scan_determinismE0ELb0ES3_N6thrust23THRUST_200600_302600_NS6detail15normal_iteratorINSB_10device_ptrIjEEEENSD_INSE_IS6_EEEESI_S6_NSB_4plusIvEENSB_8equal_toIvEES6_EE10hipError_tPvRmT2_T3_T4_T5_mT6_T7_P12ihipStream_tbENKUlT_T0_E_clISt17integral_constantIbLb0EES13_EEDaSY_SZ_EUlSY_E_NS1_11comp_targetILNS1_3genE3ELNS1_11target_archE908ELNS1_3gpuE7ELNS1_3repE0EEENS1_30default_config_static_selectorELNS0_4arch9wavefront6targetE0EEEvT1_
    .private_segment_fixed_size: 0
    .sgpr_count:     0
    .sgpr_spill_count: 0
    .symbol:         _ZN7rocprim17ROCPRIM_400000_NS6detail17trampoline_kernelINS0_14default_configENS1_27scan_by_key_config_selectorIj11FixedVectorIiLj4EEEEZZNS1_16scan_by_key_implILNS1_25lookback_scan_determinismE0ELb0ES3_N6thrust23THRUST_200600_302600_NS6detail15normal_iteratorINSB_10device_ptrIjEEEENSD_INSE_IS6_EEEESI_S6_NSB_4plusIvEENSB_8equal_toIvEES6_EE10hipError_tPvRmT2_T3_T4_T5_mT6_T7_P12ihipStream_tbENKUlT_T0_E_clISt17integral_constantIbLb0EES13_EEDaSY_SZ_EUlSY_E_NS1_11comp_targetILNS1_3genE3ELNS1_11target_archE908ELNS1_3gpuE7ELNS1_3repE0EEENS1_30default_config_static_selectorELNS0_4arch9wavefront6targetE0EEEvT1_.kd
    .uniform_work_group_size: 1
    .uses_dynamic_stack: false
    .vgpr_count:     0
    .vgpr_spill_count: 0
    .wavefront_size: 32
    .workgroup_processor_mode: 1
  - .args:
      - .offset:         0
        .size:           144
        .value_kind:     by_value
    .group_segment_fixed_size: 0
    .kernarg_segment_align: 8
    .kernarg_segment_size: 144
    .language:       OpenCL C
    .language_version:
      - 2
      - 0
    .max_flat_workgroup_size: 256
    .name:           _ZN7rocprim17ROCPRIM_400000_NS6detail17trampoline_kernelINS0_14default_configENS1_27scan_by_key_config_selectorIj11FixedVectorIiLj4EEEEZZNS1_16scan_by_key_implILNS1_25lookback_scan_determinismE0ELb0ES3_N6thrust23THRUST_200600_302600_NS6detail15normal_iteratorINSB_10device_ptrIjEEEENSD_INSE_IS6_EEEESI_S6_NSB_4plusIvEENSB_8equal_toIvEES6_EE10hipError_tPvRmT2_T3_T4_T5_mT6_T7_P12ihipStream_tbENKUlT_T0_E_clISt17integral_constantIbLb0EES13_EEDaSY_SZ_EUlSY_E_NS1_11comp_targetILNS1_3genE2ELNS1_11target_archE906ELNS1_3gpuE6ELNS1_3repE0EEENS1_30default_config_static_selectorELNS0_4arch9wavefront6targetE0EEEvT1_
    .private_segment_fixed_size: 0
    .sgpr_count:     0
    .sgpr_spill_count: 0
    .symbol:         _ZN7rocprim17ROCPRIM_400000_NS6detail17trampoline_kernelINS0_14default_configENS1_27scan_by_key_config_selectorIj11FixedVectorIiLj4EEEEZZNS1_16scan_by_key_implILNS1_25lookback_scan_determinismE0ELb0ES3_N6thrust23THRUST_200600_302600_NS6detail15normal_iteratorINSB_10device_ptrIjEEEENSD_INSE_IS6_EEEESI_S6_NSB_4plusIvEENSB_8equal_toIvEES6_EE10hipError_tPvRmT2_T3_T4_T5_mT6_T7_P12ihipStream_tbENKUlT_T0_E_clISt17integral_constantIbLb0EES13_EEDaSY_SZ_EUlSY_E_NS1_11comp_targetILNS1_3genE2ELNS1_11target_archE906ELNS1_3gpuE6ELNS1_3repE0EEENS1_30default_config_static_selectorELNS0_4arch9wavefront6targetE0EEEvT1_.kd
    .uniform_work_group_size: 1
    .uses_dynamic_stack: false
    .vgpr_count:     0
    .vgpr_spill_count: 0
    .wavefront_size: 32
    .workgroup_processor_mode: 1
  - .args:
      - .offset:         0
        .size:           144
        .value_kind:     by_value
    .group_segment_fixed_size: 0
    .kernarg_segment_align: 8
    .kernarg_segment_size: 144
    .language:       OpenCL C
    .language_version:
      - 2
      - 0
    .max_flat_workgroup_size: 256
    .name:           _ZN7rocprim17ROCPRIM_400000_NS6detail17trampoline_kernelINS0_14default_configENS1_27scan_by_key_config_selectorIj11FixedVectorIiLj4EEEEZZNS1_16scan_by_key_implILNS1_25lookback_scan_determinismE0ELb0ES3_N6thrust23THRUST_200600_302600_NS6detail15normal_iteratorINSB_10device_ptrIjEEEENSD_INSE_IS6_EEEESI_S6_NSB_4plusIvEENSB_8equal_toIvEES6_EE10hipError_tPvRmT2_T3_T4_T5_mT6_T7_P12ihipStream_tbENKUlT_T0_E_clISt17integral_constantIbLb0EES13_EEDaSY_SZ_EUlSY_E_NS1_11comp_targetILNS1_3genE10ELNS1_11target_archE1200ELNS1_3gpuE4ELNS1_3repE0EEENS1_30default_config_static_selectorELNS0_4arch9wavefront6targetE0EEEvT1_
    .private_segment_fixed_size: 0
    .sgpr_count:     0
    .sgpr_spill_count: 0
    .symbol:         _ZN7rocprim17ROCPRIM_400000_NS6detail17trampoline_kernelINS0_14default_configENS1_27scan_by_key_config_selectorIj11FixedVectorIiLj4EEEEZZNS1_16scan_by_key_implILNS1_25lookback_scan_determinismE0ELb0ES3_N6thrust23THRUST_200600_302600_NS6detail15normal_iteratorINSB_10device_ptrIjEEEENSD_INSE_IS6_EEEESI_S6_NSB_4plusIvEENSB_8equal_toIvEES6_EE10hipError_tPvRmT2_T3_T4_T5_mT6_T7_P12ihipStream_tbENKUlT_T0_E_clISt17integral_constantIbLb0EES13_EEDaSY_SZ_EUlSY_E_NS1_11comp_targetILNS1_3genE10ELNS1_11target_archE1200ELNS1_3gpuE4ELNS1_3repE0EEENS1_30default_config_static_selectorELNS0_4arch9wavefront6targetE0EEEvT1_.kd
    .uniform_work_group_size: 1
    .uses_dynamic_stack: false
    .vgpr_count:     0
    .vgpr_spill_count: 0
    .wavefront_size: 32
    .workgroup_processor_mode: 1
  - .args:
      - .offset:         0
        .size:           144
        .value_kind:     by_value
    .group_segment_fixed_size: 0
    .kernarg_segment_align: 8
    .kernarg_segment_size: 144
    .language:       OpenCL C
    .language_version:
      - 2
      - 0
    .max_flat_workgroup_size: 256
    .name:           _ZN7rocprim17ROCPRIM_400000_NS6detail17trampoline_kernelINS0_14default_configENS1_27scan_by_key_config_selectorIj11FixedVectorIiLj4EEEEZZNS1_16scan_by_key_implILNS1_25lookback_scan_determinismE0ELb0ES3_N6thrust23THRUST_200600_302600_NS6detail15normal_iteratorINSB_10device_ptrIjEEEENSD_INSE_IS6_EEEESI_S6_NSB_4plusIvEENSB_8equal_toIvEES6_EE10hipError_tPvRmT2_T3_T4_T5_mT6_T7_P12ihipStream_tbENKUlT_T0_E_clISt17integral_constantIbLb0EES13_EEDaSY_SZ_EUlSY_E_NS1_11comp_targetILNS1_3genE9ELNS1_11target_archE1100ELNS1_3gpuE3ELNS1_3repE0EEENS1_30default_config_static_selectorELNS0_4arch9wavefront6targetE0EEEvT1_
    .private_segment_fixed_size: 0
    .sgpr_count:     0
    .sgpr_spill_count: 0
    .symbol:         _ZN7rocprim17ROCPRIM_400000_NS6detail17trampoline_kernelINS0_14default_configENS1_27scan_by_key_config_selectorIj11FixedVectorIiLj4EEEEZZNS1_16scan_by_key_implILNS1_25lookback_scan_determinismE0ELb0ES3_N6thrust23THRUST_200600_302600_NS6detail15normal_iteratorINSB_10device_ptrIjEEEENSD_INSE_IS6_EEEESI_S6_NSB_4plusIvEENSB_8equal_toIvEES6_EE10hipError_tPvRmT2_T3_T4_T5_mT6_T7_P12ihipStream_tbENKUlT_T0_E_clISt17integral_constantIbLb0EES13_EEDaSY_SZ_EUlSY_E_NS1_11comp_targetILNS1_3genE9ELNS1_11target_archE1100ELNS1_3gpuE3ELNS1_3repE0EEENS1_30default_config_static_selectorELNS0_4arch9wavefront6targetE0EEEvT1_.kd
    .uniform_work_group_size: 1
    .uses_dynamic_stack: false
    .vgpr_count:     0
    .vgpr_spill_count: 0
    .wavefront_size: 32
    .workgroup_processor_mode: 1
  - .args:
      - .offset:         0
        .size:           144
        .value_kind:     by_value
    .group_segment_fixed_size: 20480
    .kernarg_segment_align: 8
    .kernarg_segment_size: 144
    .language:       OpenCL C
    .language_version:
      - 2
      - 0
    .max_flat_workgroup_size: 256
    .name:           _ZN7rocprim17ROCPRIM_400000_NS6detail17trampoline_kernelINS0_14default_configENS1_27scan_by_key_config_selectorIj11FixedVectorIiLj4EEEEZZNS1_16scan_by_key_implILNS1_25lookback_scan_determinismE0ELb0ES3_N6thrust23THRUST_200600_302600_NS6detail15normal_iteratorINSB_10device_ptrIjEEEENSD_INSE_IS6_EEEESI_S6_NSB_4plusIvEENSB_8equal_toIvEES6_EE10hipError_tPvRmT2_T3_T4_T5_mT6_T7_P12ihipStream_tbENKUlT_T0_E_clISt17integral_constantIbLb0EES13_EEDaSY_SZ_EUlSY_E_NS1_11comp_targetILNS1_3genE8ELNS1_11target_archE1030ELNS1_3gpuE2ELNS1_3repE0EEENS1_30default_config_static_selectorELNS0_4arch9wavefront6targetE0EEEvT1_
    .private_segment_fixed_size: 320
    .sgpr_count:     52
    .sgpr_spill_count: 0
    .symbol:         _ZN7rocprim17ROCPRIM_400000_NS6detail17trampoline_kernelINS0_14default_configENS1_27scan_by_key_config_selectorIj11FixedVectorIiLj4EEEEZZNS1_16scan_by_key_implILNS1_25lookback_scan_determinismE0ELb0ES3_N6thrust23THRUST_200600_302600_NS6detail15normal_iteratorINSB_10device_ptrIjEEEENSD_INSE_IS6_EEEESI_S6_NSB_4plusIvEENSB_8equal_toIvEES6_EE10hipError_tPvRmT2_T3_T4_T5_mT6_T7_P12ihipStream_tbENKUlT_T0_E_clISt17integral_constantIbLb0EES13_EEDaSY_SZ_EUlSY_E_NS1_11comp_targetILNS1_3genE8ELNS1_11target_archE1030ELNS1_3gpuE2ELNS1_3repE0EEENS1_30default_config_static_selectorELNS0_4arch9wavefront6targetE0EEEvT1_.kd
    .uniform_work_group_size: 1
    .uses_dynamic_stack: false
    .vgpr_count:     36
    .vgpr_spill_count: 0
    .wavefront_size: 32
    .workgroup_processor_mode: 1
  - .args:
      - .offset:         0
        .size:           24
        .value_kind:     by_value
      - .offset:         24
        .size:           4
        .value_kind:     by_value
      - .offset:         28
        .size:           4
        .value_kind:     by_value
      - .address_space:  global
        .offset:         32
        .size:           8
        .value_kind:     global_buffer
      - .address_space:  global
        .offset:         40
        .size:           8
        .value_kind:     global_buffer
      - .actual_access:  write_only
        .address_space:  global
        .offset:         48
        .size:           8
        .value_kind:     global_buffer
      - .offset:         56
        .size:           8
        .value_kind:     by_value
      - .offset:         64
        .size:           4
        .value_kind:     by_value
      - .address_space:  global
        .offset:         72
        .size:           8
        .value_kind:     global_buffer
      - .offset:         80
        .size:           4
        .value_kind:     hidden_block_count_x
      - .offset:         84
        .size:           4
        .value_kind:     hidden_block_count_y
      - .offset:         88
        .size:           4
        .value_kind:     hidden_block_count_z
      - .offset:         92
        .size:           2
        .value_kind:     hidden_group_size_x
      - .offset:         94
        .size:           2
        .value_kind:     hidden_group_size_y
      - .offset:         96
        .size:           2
        .value_kind:     hidden_group_size_z
      - .offset:         98
        .size:           2
        .value_kind:     hidden_remainder_x
      - .offset:         100
        .size:           2
        .value_kind:     hidden_remainder_y
      - .offset:         102
        .size:           2
        .value_kind:     hidden_remainder_z
      - .offset:         120
        .size:           8
        .value_kind:     hidden_global_offset_x
      - .offset:         128
        .size:           8
        .value_kind:     hidden_global_offset_y
      - .offset:         136
        .size:           8
        .value_kind:     hidden_global_offset_z
      - .offset:         144
        .size:           2
        .value_kind:     hidden_grid_dims
    .group_segment_fixed_size: 5120
    .kernarg_segment_align: 8
    .kernarg_segment_size: 336
    .language:       OpenCL C
    .language_version:
      - 2
      - 0
    .max_flat_workgroup_size: 256
    .name:           _ZN7rocprim17ROCPRIM_400000_NS6detail30init_device_scan_by_key_kernelINS1_19lookback_scan_stateINS0_5tupleIJ11FixedVectorIiLj4EEbEEELb1ELb0EEEN6thrust23THRUST_200600_302600_NS6detail15normal_iteratorINSA_10device_ptrIjEEEEjNS1_16block_id_wrapperIjLb1EEEEEvT_jjPNSI_10value_typeET0_PNSt15iterator_traitsISL_E10value_typeEmT1_T2_
    .private_segment_fixed_size: 0
    .sgpr_count:     24
    .sgpr_spill_count: 0
    .symbol:         _ZN7rocprim17ROCPRIM_400000_NS6detail30init_device_scan_by_key_kernelINS1_19lookback_scan_stateINS0_5tupleIJ11FixedVectorIiLj4EEbEEELb1ELb0EEEN6thrust23THRUST_200600_302600_NS6detail15normal_iteratorINSA_10device_ptrIjEEEEjNS1_16block_id_wrapperIjLb1EEEEEvT_jjPNSI_10value_typeET0_PNSt15iterator_traitsISL_E10value_typeEmT1_T2_.kd
    .uniform_work_group_size: 1
    .uses_dynamic_stack: false
    .vgpr_count:     8
    .vgpr_spill_count: 0
    .wavefront_size: 32
    .workgroup_processor_mode: 1
  - .args:
      - .offset:         0
        .size:           24
        .value_kind:     by_value
      - .offset:         24
        .size:           4
        .value_kind:     by_value
      - .offset:         28
        .size:           4
        .value_kind:     by_value
      - .address_space:  global
        .offset:         32
        .size:           8
        .value_kind:     global_buffer
      - .address_space:  global
        .offset:         40
        .size:           8
        .value_kind:     global_buffer
      - .offset:         48
        .size:           4
        .value_kind:     hidden_block_count_x
      - .offset:         52
        .size:           4
        .value_kind:     hidden_block_count_y
      - .offset:         56
        .size:           4
        .value_kind:     hidden_block_count_z
      - .offset:         60
        .size:           2
        .value_kind:     hidden_group_size_x
      - .offset:         62
        .size:           2
        .value_kind:     hidden_group_size_y
      - .offset:         64
        .size:           2
        .value_kind:     hidden_group_size_z
      - .offset:         66
        .size:           2
        .value_kind:     hidden_remainder_x
      - .offset:         68
        .size:           2
        .value_kind:     hidden_remainder_y
      - .offset:         70
        .size:           2
        .value_kind:     hidden_remainder_z
      - .offset:         88
        .size:           8
        .value_kind:     hidden_global_offset_x
      - .offset:         96
        .size:           8
        .value_kind:     hidden_global_offset_y
      - .offset:         104
        .size:           8
        .value_kind:     hidden_global_offset_z
      - .offset:         112
        .size:           2
        .value_kind:     hidden_grid_dims
    .group_segment_fixed_size: 5120
    .kernarg_segment_align: 8
    .kernarg_segment_size: 304
    .language:       OpenCL C
    .language_version:
      - 2
      - 0
    .max_flat_workgroup_size: 256
    .name:           _ZN7rocprim17ROCPRIM_400000_NS6detail30init_device_scan_by_key_kernelINS1_19lookback_scan_stateINS0_5tupleIJ11FixedVectorIiLj4EEbEEELb1ELb0EEENS1_16block_id_wrapperIjLb1EEEEEvT_jjPNSB_10value_typeET0_
    .private_segment_fixed_size: 0
    .sgpr_count:     22
    .sgpr_spill_count: 0
    .symbol:         _ZN7rocprim17ROCPRIM_400000_NS6detail30init_device_scan_by_key_kernelINS1_19lookback_scan_stateINS0_5tupleIJ11FixedVectorIiLj4EEbEEELb1ELb0EEENS1_16block_id_wrapperIjLb1EEEEEvT_jjPNSB_10value_typeET0_.kd
    .uniform_work_group_size: 1
    .uses_dynamic_stack: false
    .vgpr_count:     8
    .vgpr_spill_count: 0
    .wavefront_size: 32
    .workgroup_processor_mode: 1
  - .args:
      - .offset:         0
        .size:           144
        .value_kind:     by_value
    .group_segment_fixed_size: 0
    .kernarg_segment_align: 8
    .kernarg_segment_size: 144
    .language:       OpenCL C
    .language_version:
      - 2
      - 0
    .max_flat_workgroup_size: 64
    .name:           _ZN7rocprim17ROCPRIM_400000_NS6detail17trampoline_kernelINS0_14default_configENS1_27scan_by_key_config_selectorIj11FixedVectorIiLj4EEEEZZNS1_16scan_by_key_implILNS1_25lookback_scan_determinismE0ELb0ES3_N6thrust23THRUST_200600_302600_NS6detail15normal_iteratorINSB_10device_ptrIjEEEENSD_INSE_IS6_EEEESI_S6_NSB_4plusIvEENSB_8equal_toIvEES6_EE10hipError_tPvRmT2_T3_T4_T5_mT6_T7_P12ihipStream_tbENKUlT_T0_E_clISt17integral_constantIbLb1EES13_EEDaSY_SZ_EUlSY_E_NS1_11comp_targetILNS1_3genE0ELNS1_11target_archE4294967295ELNS1_3gpuE0ELNS1_3repE0EEENS1_30default_config_static_selectorELNS0_4arch9wavefront6targetE0EEEvT1_
    .private_segment_fixed_size: 0
    .sgpr_count:     0
    .sgpr_spill_count: 0
    .symbol:         _ZN7rocprim17ROCPRIM_400000_NS6detail17trampoline_kernelINS0_14default_configENS1_27scan_by_key_config_selectorIj11FixedVectorIiLj4EEEEZZNS1_16scan_by_key_implILNS1_25lookback_scan_determinismE0ELb0ES3_N6thrust23THRUST_200600_302600_NS6detail15normal_iteratorINSB_10device_ptrIjEEEENSD_INSE_IS6_EEEESI_S6_NSB_4plusIvEENSB_8equal_toIvEES6_EE10hipError_tPvRmT2_T3_T4_T5_mT6_T7_P12ihipStream_tbENKUlT_T0_E_clISt17integral_constantIbLb1EES13_EEDaSY_SZ_EUlSY_E_NS1_11comp_targetILNS1_3genE0ELNS1_11target_archE4294967295ELNS1_3gpuE0ELNS1_3repE0EEENS1_30default_config_static_selectorELNS0_4arch9wavefront6targetE0EEEvT1_.kd
    .uniform_work_group_size: 1
    .uses_dynamic_stack: false
    .vgpr_count:     0
    .vgpr_spill_count: 0
    .wavefront_size: 32
    .workgroup_processor_mode: 1
  - .args:
      - .offset:         0
        .size:           144
        .value_kind:     by_value
    .group_segment_fixed_size: 0
    .kernarg_segment_align: 8
    .kernarg_segment_size: 144
    .language:       OpenCL C
    .language_version:
      - 2
      - 0
    .max_flat_workgroup_size: 256
    .name:           _ZN7rocprim17ROCPRIM_400000_NS6detail17trampoline_kernelINS0_14default_configENS1_27scan_by_key_config_selectorIj11FixedVectorIiLj4EEEEZZNS1_16scan_by_key_implILNS1_25lookback_scan_determinismE0ELb0ES3_N6thrust23THRUST_200600_302600_NS6detail15normal_iteratorINSB_10device_ptrIjEEEENSD_INSE_IS6_EEEESI_S6_NSB_4plusIvEENSB_8equal_toIvEES6_EE10hipError_tPvRmT2_T3_T4_T5_mT6_T7_P12ihipStream_tbENKUlT_T0_E_clISt17integral_constantIbLb1EES13_EEDaSY_SZ_EUlSY_E_NS1_11comp_targetILNS1_3genE10ELNS1_11target_archE1201ELNS1_3gpuE5ELNS1_3repE0EEENS1_30default_config_static_selectorELNS0_4arch9wavefront6targetE0EEEvT1_
    .private_segment_fixed_size: 0
    .sgpr_count:     0
    .sgpr_spill_count: 0
    .symbol:         _ZN7rocprim17ROCPRIM_400000_NS6detail17trampoline_kernelINS0_14default_configENS1_27scan_by_key_config_selectorIj11FixedVectorIiLj4EEEEZZNS1_16scan_by_key_implILNS1_25lookback_scan_determinismE0ELb0ES3_N6thrust23THRUST_200600_302600_NS6detail15normal_iteratorINSB_10device_ptrIjEEEENSD_INSE_IS6_EEEESI_S6_NSB_4plusIvEENSB_8equal_toIvEES6_EE10hipError_tPvRmT2_T3_T4_T5_mT6_T7_P12ihipStream_tbENKUlT_T0_E_clISt17integral_constantIbLb1EES13_EEDaSY_SZ_EUlSY_E_NS1_11comp_targetILNS1_3genE10ELNS1_11target_archE1201ELNS1_3gpuE5ELNS1_3repE0EEENS1_30default_config_static_selectorELNS0_4arch9wavefront6targetE0EEEvT1_.kd
    .uniform_work_group_size: 1
    .uses_dynamic_stack: false
    .vgpr_count:     0
    .vgpr_spill_count: 0
    .wavefront_size: 32
    .workgroup_processor_mode: 1
  - .args:
      - .offset:         0
        .size:           144
        .value_kind:     by_value
    .group_segment_fixed_size: 0
    .kernarg_segment_align: 8
    .kernarg_segment_size: 144
    .language:       OpenCL C
    .language_version:
      - 2
      - 0
    .max_flat_workgroup_size: 128
    .name:           _ZN7rocprim17ROCPRIM_400000_NS6detail17trampoline_kernelINS0_14default_configENS1_27scan_by_key_config_selectorIj11FixedVectorIiLj4EEEEZZNS1_16scan_by_key_implILNS1_25lookback_scan_determinismE0ELb0ES3_N6thrust23THRUST_200600_302600_NS6detail15normal_iteratorINSB_10device_ptrIjEEEENSD_INSE_IS6_EEEESI_S6_NSB_4plusIvEENSB_8equal_toIvEES6_EE10hipError_tPvRmT2_T3_T4_T5_mT6_T7_P12ihipStream_tbENKUlT_T0_E_clISt17integral_constantIbLb1EES13_EEDaSY_SZ_EUlSY_E_NS1_11comp_targetILNS1_3genE5ELNS1_11target_archE942ELNS1_3gpuE9ELNS1_3repE0EEENS1_30default_config_static_selectorELNS0_4arch9wavefront6targetE0EEEvT1_
    .private_segment_fixed_size: 0
    .sgpr_count:     0
    .sgpr_spill_count: 0
    .symbol:         _ZN7rocprim17ROCPRIM_400000_NS6detail17trampoline_kernelINS0_14default_configENS1_27scan_by_key_config_selectorIj11FixedVectorIiLj4EEEEZZNS1_16scan_by_key_implILNS1_25lookback_scan_determinismE0ELb0ES3_N6thrust23THRUST_200600_302600_NS6detail15normal_iteratorINSB_10device_ptrIjEEEENSD_INSE_IS6_EEEESI_S6_NSB_4plusIvEENSB_8equal_toIvEES6_EE10hipError_tPvRmT2_T3_T4_T5_mT6_T7_P12ihipStream_tbENKUlT_T0_E_clISt17integral_constantIbLb1EES13_EEDaSY_SZ_EUlSY_E_NS1_11comp_targetILNS1_3genE5ELNS1_11target_archE942ELNS1_3gpuE9ELNS1_3repE0EEENS1_30default_config_static_selectorELNS0_4arch9wavefront6targetE0EEEvT1_.kd
    .uniform_work_group_size: 1
    .uses_dynamic_stack: false
    .vgpr_count:     0
    .vgpr_spill_count: 0
    .wavefront_size: 32
    .workgroup_processor_mode: 1
  - .args:
      - .offset:         0
        .size:           144
        .value_kind:     by_value
    .group_segment_fixed_size: 0
    .kernarg_segment_align: 8
    .kernarg_segment_size: 144
    .language:       OpenCL C
    .language_version:
      - 2
      - 0
    .max_flat_workgroup_size: 256
    .name:           _ZN7rocprim17ROCPRIM_400000_NS6detail17trampoline_kernelINS0_14default_configENS1_27scan_by_key_config_selectorIj11FixedVectorIiLj4EEEEZZNS1_16scan_by_key_implILNS1_25lookback_scan_determinismE0ELb0ES3_N6thrust23THRUST_200600_302600_NS6detail15normal_iteratorINSB_10device_ptrIjEEEENSD_INSE_IS6_EEEESI_S6_NSB_4plusIvEENSB_8equal_toIvEES6_EE10hipError_tPvRmT2_T3_T4_T5_mT6_T7_P12ihipStream_tbENKUlT_T0_E_clISt17integral_constantIbLb1EES13_EEDaSY_SZ_EUlSY_E_NS1_11comp_targetILNS1_3genE4ELNS1_11target_archE910ELNS1_3gpuE8ELNS1_3repE0EEENS1_30default_config_static_selectorELNS0_4arch9wavefront6targetE0EEEvT1_
    .private_segment_fixed_size: 0
    .sgpr_count:     0
    .sgpr_spill_count: 0
    .symbol:         _ZN7rocprim17ROCPRIM_400000_NS6detail17trampoline_kernelINS0_14default_configENS1_27scan_by_key_config_selectorIj11FixedVectorIiLj4EEEEZZNS1_16scan_by_key_implILNS1_25lookback_scan_determinismE0ELb0ES3_N6thrust23THRUST_200600_302600_NS6detail15normal_iteratorINSB_10device_ptrIjEEEENSD_INSE_IS6_EEEESI_S6_NSB_4plusIvEENSB_8equal_toIvEES6_EE10hipError_tPvRmT2_T3_T4_T5_mT6_T7_P12ihipStream_tbENKUlT_T0_E_clISt17integral_constantIbLb1EES13_EEDaSY_SZ_EUlSY_E_NS1_11comp_targetILNS1_3genE4ELNS1_11target_archE910ELNS1_3gpuE8ELNS1_3repE0EEENS1_30default_config_static_selectorELNS0_4arch9wavefront6targetE0EEEvT1_.kd
    .uniform_work_group_size: 1
    .uses_dynamic_stack: false
    .vgpr_count:     0
    .vgpr_spill_count: 0
    .wavefront_size: 32
    .workgroup_processor_mode: 1
  - .args:
      - .offset:         0
        .size:           144
        .value_kind:     by_value
    .group_segment_fixed_size: 0
    .kernarg_segment_align: 8
    .kernarg_segment_size: 144
    .language:       OpenCL C
    .language_version:
      - 2
      - 0
    .max_flat_workgroup_size: 64
    .name:           _ZN7rocprim17ROCPRIM_400000_NS6detail17trampoline_kernelINS0_14default_configENS1_27scan_by_key_config_selectorIj11FixedVectorIiLj4EEEEZZNS1_16scan_by_key_implILNS1_25lookback_scan_determinismE0ELb0ES3_N6thrust23THRUST_200600_302600_NS6detail15normal_iteratorINSB_10device_ptrIjEEEENSD_INSE_IS6_EEEESI_S6_NSB_4plusIvEENSB_8equal_toIvEES6_EE10hipError_tPvRmT2_T3_T4_T5_mT6_T7_P12ihipStream_tbENKUlT_T0_E_clISt17integral_constantIbLb1EES13_EEDaSY_SZ_EUlSY_E_NS1_11comp_targetILNS1_3genE3ELNS1_11target_archE908ELNS1_3gpuE7ELNS1_3repE0EEENS1_30default_config_static_selectorELNS0_4arch9wavefront6targetE0EEEvT1_
    .private_segment_fixed_size: 0
    .sgpr_count:     0
    .sgpr_spill_count: 0
    .symbol:         _ZN7rocprim17ROCPRIM_400000_NS6detail17trampoline_kernelINS0_14default_configENS1_27scan_by_key_config_selectorIj11FixedVectorIiLj4EEEEZZNS1_16scan_by_key_implILNS1_25lookback_scan_determinismE0ELb0ES3_N6thrust23THRUST_200600_302600_NS6detail15normal_iteratorINSB_10device_ptrIjEEEENSD_INSE_IS6_EEEESI_S6_NSB_4plusIvEENSB_8equal_toIvEES6_EE10hipError_tPvRmT2_T3_T4_T5_mT6_T7_P12ihipStream_tbENKUlT_T0_E_clISt17integral_constantIbLb1EES13_EEDaSY_SZ_EUlSY_E_NS1_11comp_targetILNS1_3genE3ELNS1_11target_archE908ELNS1_3gpuE7ELNS1_3repE0EEENS1_30default_config_static_selectorELNS0_4arch9wavefront6targetE0EEEvT1_.kd
    .uniform_work_group_size: 1
    .uses_dynamic_stack: false
    .vgpr_count:     0
    .vgpr_spill_count: 0
    .wavefront_size: 32
    .workgroup_processor_mode: 1
  - .args:
      - .offset:         0
        .size:           144
        .value_kind:     by_value
    .group_segment_fixed_size: 0
    .kernarg_segment_align: 8
    .kernarg_segment_size: 144
    .language:       OpenCL C
    .language_version:
      - 2
      - 0
    .max_flat_workgroup_size: 256
    .name:           _ZN7rocprim17ROCPRIM_400000_NS6detail17trampoline_kernelINS0_14default_configENS1_27scan_by_key_config_selectorIj11FixedVectorIiLj4EEEEZZNS1_16scan_by_key_implILNS1_25lookback_scan_determinismE0ELb0ES3_N6thrust23THRUST_200600_302600_NS6detail15normal_iteratorINSB_10device_ptrIjEEEENSD_INSE_IS6_EEEESI_S6_NSB_4plusIvEENSB_8equal_toIvEES6_EE10hipError_tPvRmT2_T3_T4_T5_mT6_T7_P12ihipStream_tbENKUlT_T0_E_clISt17integral_constantIbLb1EES13_EEDaSY_SZ_EUlSY_E_NS1_11comp_targetILNS1_3genE2ELNS1_11target_archE906ELNS1_3gpuE6ELNS1_3repE0EEENS1_30default_config_static_selectorELNS0_4arch9wavefront6targetE0EEEvT1_
    .private_segment_fixed_size: 0
    .sgpr_count:     0
    .sgpr_spill_count: 0
    .symbol:         _ZN7rocprim17ROCPRIM_400000_NS6detail17trampoline_kernelINS0_14default_configENS1_27scan_by_key_config_selectorIj11FixedVectorIiLj4EEEEZZNS1_16scan_by_key_implILNS1_25lookback_scan_determinismE0ELb0ES3_N6thrust23THRUST_200600_302600_NS6detail15normal_iteratorINSB_10device_ptrIjEEEENSD_INSE_IS6_EEEESI_S6_NSB_4plusIvEENSB_8equal_toIvEES6_EE10hipError_tPvRmT2_T3_T4_T5_mT6_T7_P12ihipStream_tbENKUlT_T0_E_clISt17integral_constantIbLb1EES13_EEDaSY_SZ_EUlSY_E_NS1_11comp_targetILNS1_3genE2ELNS1_11target_archE906ELNS1_3gpuE6ELNS1_3repE0EEENS1_30default_config_static_selectorELNS0_4arch9wavefront6targetE0EEEvT1_.kd
    .uniform_work_group_size: 1
    .uses_dynamic_stack: false
    .vgpr_count:     0
    .vgpr_spill_count: 0
    .wavefront_size: 32
    .workgroup_processor_mode: 1
  - .args:
      - .offset:         0
        .size:           144
        .value_kind:     by_value
    .group_segment_fixed_size: 0
    .kernarg_segment_align: 8
    .kernarg_segment_size: 144
    .language:       OpenCL C
    .language_version:
      - 2
      - 0
    .max_flat_workgroup_size: 256
    .name:           _ZN7rocprim17ROCPRIM_400000_NS6detail17trampoline_kernelINS0_14default_configENS1_27scan_by_key_config_selectorIj11FixedVectorIiLj4EEEEZZNS1_16scan_by_key_implILNS1_25lookback_scan_determinismE0ELb0ES3_N6thrust23THRUST_200600_302600_NS6detail15normal_iteratorINSB_10device_ptrIjEEEENSD_INSE_IS6_EEEESI_S6_NSB_4plusIvEENSB_8equal_toIvEES6_EE10hipError_tPvRmT2_T3_T4_T5_mT6_T7_P12ihipStream_tbENKUlT_T0_E_clISt17integral_constantIbLb1EES13_EEDaSY_SZ_EUlSY_E_NS1_11comp_targetILNS1_3genE10ELNS1_11target_archE1200ELNS1_3gpuE4ELNS1_3repE0EEENS1_30default_config_static_selectorELNS0_4arch9wavefront6targetE0EEEvT1_
    .private_segment_fixed_size: 0
    .sgpr_count:     0
    .sgpr_spill_count: 0
    .symbol:         _ZN7rocprim17ROCPRIM_400000_NS6detail17trampoline_kernelINS0_14default_configENS1_27scan_by_key_config_selectorIj11FixedVectorIiLj4EEEEZZNS1_16scan_by_key_implILNS1_25lookback_scan_determinismE0ELb0ES3_N6thrust23THRUST_200600_302600_NS6detail15normal_iteratorINSB_10device_ptrIjEEEENSD_INSE_IS6_EEEESI_S6_NSB_4plusIvEENSB_8equal_toIvEES6_EE10hipError_tPvRmT2_T3_T4_T5_mT6_T7_P12ihipStream_tbENKUlT_T0_E_clISt17integral_constantIbLb1EES13_EEDaSY_SZ_EUlSY_E_NS1_11comp_targetILNS1_3genE10ELNS1_11target_archE1200ELNS1_3gpuE4ELNS1_3repE0EEENS1_30default_config_static_selectorELNS0_4arch9wavefront6targetE0EEEvT1_.kd
    .uniform_work_group_size: 1
    .uses_dynamic_stack: false
    .vgpr_count:     0
    .vgpr_spill_count: 0
    .wavefront_size: 32
    .workgroup_processor_mode: 1
  - .args:
      - .offset:         0
        .size:           144
        .value_kind:     by_value
    .group_segment_fixed_size: 0
    .kernarg_segment_align: 8
    .kernarg_segment_size: 144
    .language:       OpenCL C
    .language_version:
      - 2
      - 0
    .max_flat_workgroup_size: 256
    .name:           _ZN7rocprim17ROCPRIM_400000_NS6detail17trampoline_kernelINS0_14default_configENS1_27scan_by_key_config_selectorIj11FixedVectorIiLj4EEEEZZNS1_16scan_by_key_implILNS1_25lookback_scan_determinismE0ELb0ES3_N6thrust23THRUST_200600_302600_NS6detail15normal_iteratorINSB_10device_ptrIjEEEENSD_INSE_IS6_EEEESI_S6_NSB_4plusIvEENSB_8equal_toIvEES6_EE10hipError_tPvRmT2_T3_T4_T5_mT6_T7_P12ihipStream_tbENKUlT_T0_E_clISt17integral_constantIbLb1EES13_EEDaSY_SZ_EUlSY_E_NS1_11comp_targetILNS1_3genE9ELNS1_11target_archE1100ELNS1_3gpuE3ELNS1_3repE0EEENS1_30default_config_static_selectorELNS0_4arch9wavefront6targetE0EEEvT1_
    .private_segment_fixed_size: 0
    .sgpr_count:     0
    .sgpr_spill_count: 0
    .symbol:         _ZN7rocprim17ROCPRIM_400000_NS6detail17trampoline_kernelINS0_14default_configENS1_27scan_by_key_config_selectorIj11FixedVectorIiLj4EEEEZZNS1_16scan_by_key_implILNS1_25lookback_scan_determinismE0ELb0ES3_N6thrust23THRUST_200600_302600_NS6detail15normal_iteratorINSB_10device_ptrIjEEEENSD_INSE_IS6_EEEESI_S6_NSB_4plusIvEENSB_8equal_toIvEES6_EE10hipError_tPvRmT2_T3_T4_T5_mT6_T7_P12ihipStream_tbENKUlT_T0_E_clISt17integral_constantIbLb1EES13_EEDaSY_SZ_EUlSY_E_NS1_11comp_targetILNS1_3genE9ELNS1_11target_archE1100ELNS1_3gpuE3ELNS1_3repE0EEENS1_30default_config_static_selectorELNS0_4arch9wavefront6targetE0EEEvT1_.kd
    .uniform_work_group_size: 1
    .uses_dynamic_stack: false
    .vgpr_count:     0
    .vgpr_spill_count: 0
    .wavefront_size: 32
    .workgroup_processor_mode: 1
  - .args:
      - .offset:         0
        .size:           144
        .value_kind:     by_value
    .group_segment_fixed_size: 0
    .kernarg_segment_align: 8
    .kernarg_segment_size: 144
    .language:       OpenCL C
    .language_version:
      - 2
      - 0
    .max_flat_workgroup_size: 256
    .name:           _ZN7rocprim17ROCPRIM_400000_NS6detail17trampoline_kernelINS0_14default_configENS1_27scan_by_key_config_selectorIj11FixedVectorIiLj4EEEEZZNS1_16scan_by_key_implILNS1_25lookback_scan_determinismE0ELb0ES3_N6thrust23THRUST_200600_302600_NS6detail15normal_iteratorINSB_10device_ptrIjEEEENSD_INSE_IS6_EEEESI_S6_NSB_4plusIvEENSB_8equal_toIvEES6_EE10hipError_tPvRmT2_T3_T4_T5_mT6_T7_P12ihipStream_tbENKUlT_T0_E_clISt17integral_constantIbLb1EES13_EEDaSY_SZ_EUlSY_E_NS1_11comp_targetILNS1_3genE8ELNS1_11target_archE1030ELNS1_3gpuE2ELNS1_3repE0EEENS1_30default_config_static_selectorELNS0_4arch9wavefront6targetE0EEEvT1_
    .private_segment_fixed_size: 0
    .sgpr_count:     0
    .sgpr_spill_count: 0
    .symbol:         _ZN7rocprim17ROCPRIM_400000_NS6detail17trampoline_kernelINS0_14default_configENS1_27scan_by_key_config_selectorIj11FixedVectorIiLj4EEEEZZNS1_16scan_by_key_implILNS1_25lookback_scan_determinismE0ELb0ES3_N6thrust23THRUST_200600_302600_NS6detail15normal_iteratorINSB_10device_ptrIjEEEENSD_INSE_IS6_EEEESI_S6_NSB_4plusIvEENSB_8equal_toIvEES6_EE10hipError_tPvRmT2_T3_T4_T5_mT6_T7_P12ihipStream_tbENKUlT_T0_E_clISt17integral_constantIbLb1EES13_EEDaSY_SZ_EUlSY_E_NS1_11comp_targetILNS1_3genE8ELNS1_11target_archE1030ELNS1_3gpuE2ELNS1_3repE0EEENS1_30default_config_static_selectorELNS0_4arch9wavefront6targetE0EEEvT1_.kd
    .uniform_work_group_size: 1
    .uses_dynamic_stack: false
    .vgpr_count:     0
    .vgpr_spill_count: 0
    .wavefront_size: 32
    .workgroup_processor_mode: 1
  - .args:
      - .offset:         0
        .size:           24
        .value_kind:     by_value
      - .offset:         24
        .size:           4
        .value_kind:     by_value
      - .offset:         28
        .size:           4
        .value_kind:     by_value
      - .address_space:  global
        .offset:         32
        .size:           8
        .value_kind:     global_buffer
      - .address_space:  global
        .offset:         40
        .size:           8
        .value_kind:     global_buffer
      - .actual_access:  write_only
        .address_space:  global
        .offset:         48
        .size:           8
        .value_kind:     global_buffer
      - .offset:         56
        .size:           8
        .value_kind:     by_value
      - .offset:         64
        .size:           4
        .value_kind:     by_value
      - .offset:         68
        .size:           1
        .value_kind:     by_value
      - .offset:         72
        .size:           4
        .value_kind:     hidden_block_count_x
      - .offset:         76
        .size:           4
        .value_kind:     hidden_block_count_y
      - .offset:         80
        .size:           4
        .value_kind:     hidden_block_count_z
      - .offset:         84
        .size:           2
        .value_kind:     hidden_group_size_x
      - .offset:         86
        .size:           2
        .value_kind:     hidden_group_size_y
      - .offset:         88
        .size:           2
        .value_kind:     hidden_group_size_z
      - .offset:         90
        .size:           2
        .value_kind:     hidden_remainder_x
      - .offset:         92
        .size:           2
        .value_kind:     hidden_remainder_y
      - .offset:         94
        .size:           2
        .value_kind:     hidden_remainder_z
      - .offset:         112
        .size:           8
        .value_kind:     hidden_global_offset_x
      - .offset:         120
        .size:           8
        .value_kind:     hidden_global_offset_y
      - .offset:         128
        .size:           8
        .value_kind:     hidden_global_offset_z
      - .offset:         136
        .size:           2
        .value_kind:     hidden_grid_dims
    .group_segment_fixed_size: 5120
    .kernarg_segment_align: 8
    .kernarg_segment_size: 328
    .language:       OpenCL C
    .language_version:
      - 2
      - 0
    .max_flat_workgroup_size: 256
    .name:           _ZN7rocprim17ROCPRIM_400000_NS6detail30init_device_scan_by_key_kernelINS1_19lookback_scan_stateINS0_5tupleIJ11FixedVectorIiLj4EEbEEELb1ELb0EEEN6thrust23THRUST_200600_302600_NS6detail15normal_iteratorINSA_10device_ptrIjEEEEjNS1_16block_id_wrapperIjLb0EEEEEvT_jjPNSI_10value_typeET0_PNSt15iterator_traitsISL_E10value_typeEmT1_T2_
    .private_segment_fixed_size: 0
    .sgpr_count:     24
    .sgpr_spill_count: 0
    .symbol:         _ZN7rocprim17ROCPRIM_400000_NS6detail30init_device_scan_by_key_kernelINS1_19lookback_scan_stateINS0_5tupleIJ11FixedVectorIiLj4EEbEEELb1ELb0EEEN6thrust23THRUST_200600_302600_NS6detail15normal_iteratorINSA_10device_ptrIjEEEEjNS1_16block_id_wrapperIjLb0EEEEEvT_jjPNSI_10value_typeET0_PNSt15iterator_traitsISL_E10value_typeEmT1_T2_.kd
    .uniform_work_group_size: 1
    .uses_dynamic_stack: false
    .vgpr_count:     8
    .vgpr_spill_count: 0
    .wavefront_size: 32
    .workgroup_processor_mode: 1
  - .args:
      - .offset:         0
        .size:           24
        .value_kind:     by_value
      - .offset:         24
        .size:           4
        .value_kind:     by_value
      - .offset:         28
        .size:           4
        .value_kind:     by_value
      - .address_space:  global
        .offset:         32
        .size:           8
        .value_kind:     global_buffer
      - .offset:         40
        .size:           1
        .value_kind:     by_value
      - .offset:         48
        .size:           4
        .value_kind:     hidden_block_count_x
      - .offset:         52
        .size:           4
        .value_kind:     hidden_block_count_y
      - .offset:         56
        .size:           4
        .value_kind:     hidden_block_count_z
      - .offset:         60
        .size:           2
        .value_kind:     hidden_group_size_x
      - .offset:         62
        .size:           2
        .value_kind:     hidden_group_size_y
      - .offset:         64
        .size:           2
        .value_kind:     hidden_group_size_z
      - .offset:         66
        .size:           2
        .value_kind:     hidden_remainder_x
      - .offset:         68
        .size:           2
        .value_kind:     hidden_remainder_y
      - .offset:         70
        .size:           2
        .value_kind:     hidden_remainder_z
      - .offset:         88
        .size:           8
        .value_kind:     hidden_global_offset_x
      - .offset:         96
        .size:           8
        .value_kind:     hidden_global_offset_y
      - .offset:         104
        .size:           8
        .value_kind:     hidden_global_offset_z
      - .offset:         112
        .size:           2
        .value_kind:     hidden_grid_dims
    .group_segment_fixed_size: 5120
    .kernarg_segment_align: 8
    .kernarg_segment_size: 304
    .language:       OpenCL C
    .language_version:
      - 2
      - 0
    .max_flat_workgroup_size: 256
    .name:           _ZN7rocprim17ROCPRIM_400000_NS6detail30init_device_scan_by_key_kernelINS1_19lookback_scan_stateINS0_5tupleIJ11FixedVectorIiLj4EEbEEELb1ELb0EEENS1_16block_id_wrapperIjLb0EEEEEvT_jjPNSB_10value_typeET0_
    .private_segment_fixed_size: 0
    .sgpr_count:     18
    .sgpr_spill_count: 0
    .symbol:         _ZN7rocprim17ROCPRIM_400000_NS6detail30init_device_scan_by_key_kernelINS1_19lookback_scan_stateINS0_5tupleIJ11FixedVectorIiLj4EEbEEELb1ELb0EEENS1_16block_id_wrapperIjLb0EEEEEvT_jjPNSB_10value_typeET0_.kd
    .uniform_work_group_size: 1
    .uses_dynamic_stack: false
    .vgpr_count:     8
    .vgpr_spill_count: 0
    .wavefront_size: 32
    .workgroup_processor_mode: 1
  - .args:
      - .offset:         0
        .size:           144
        .value_kind:     by_value
    .group_segment_fixed_size: 0
    .kernarg_segment_align: 8
    .kernarg_segment_size: 144
    .language:       OpenCL C
    .language_version:
      - 2
      - 0
    .max_flat_workgroup_size: 64
    .name:           _ZN7rocprim17ROCPRIM_400000_NS6detail17trampoline_kernelINS0_14default_configENS1_27scan_by_key_config_selectorIj11FixedVectorIiLj4EEEEZZNS1_16scan_by_key_implILNS1_25lookback_scan_determinismE0ELb0ES3_N6thrust23THRUST_200600_302600_NS6detail15normal_iteratorINSB_10device_ptrIjEEEENSD_INSE_IS6_EEEESI_S6_NSB_4plusIvEENSB_8equal_toIvEES6_EE10hipError_tPvRmT2_T3_T4_T5_mT6_T7_P12ihipStream_tbENKUlT_T0_E_clISt17integral_constantIbLb1EES12_IbLb0EEEEDaSY_SZ_EUlSY_E_NS1_11comp_targetILNS1_3genE0ELNS1_11target_archE4294967295ELNS1_3gpuE0ELNS1_3repE0EEENS1_30default_config_static_selectorELNS0_4arch9wavefront6targetE0EEEvT1_
    .private_segment_fixed_size: 0
    .sgpr_count:     0
    .sgpr_spill_count: 0
    .symbol:         _ZN7rocprim17ROCPRIM_400000_NS6detail17trampoline_kernelINS0_14default_configENS1_27scan_by_key_config_selectorIj11FixedVectorIiLj4EEEEZZNS1_16scan_by_key_implILNS1_25lookback_scan_determinismE0ELb0ES3_N6thrust23THRUST_200600_302600_NS6detail15normal_iteratorINSB_10device_ptrIjEEEENSD_INSE_IS6_EEEESI_S6_NSB_4plusIvEENSB_8equal_toIvEES6_EE10hipError_tPvRmT2_T3_T4_T5_mT6_T7_P12ihipStream_tbENKUlT_T0_E_clISt17integral_constantIbLb1EES12_IbLb0EEEEDaSY_SZ_EUlSY_E_NS1_11comp_targetILNS1_3genE0ELNS1_11target_archE4294967295ELNS1_3gpuE0ELNS1_3repE0EEENS1_30default_config_static_selectorELNS0_4arch9wavefront6targetE0EEEvT1_.kd
    .uniform_work_group_size: 1
    .uses_dynamic_stack: false
    .vgpr_count:     0
    .vgpr_spill_count: 0
    .wavefront_size: 32
    .workgroup_processor_mode: 1
  - .args:
      - .offset:         0
        .size:           144
        .value_kind:     by_value
    .group_segment_fixed_size: 0
    .kernarg_segment_align: 8
    .kernarg_segment_size: 144
    .language:       OpenCL C
    .language_version:
      - 2
      - 0
    .max_flat_workgroup_size: 256
    .name:           _ZN7rocprim17ROCPRIM_400000_NS6detail17trampoline_kernelINS0_14default_configENS1_27scan_by_key_config_selectorIj11FixedVectorIiLj4EEEEZZNS1_16scan_by_key_implILNS1_25lookback_scan_determinismE0ELb0ES3_N6thrust23THRUST_200600_302600_NS6detail15normal_iteratorINSB_10device_ptrIjEEEENSD_INSE_IS6_EEEESI_S6_NSB_4plusIvEENSB_8equal_toIvEES6_EE10hipError_tPvRmT2_T3_T4_T5_mT6_T7_P12ihipStream_tbENKUlT_T0_E_clISt17integral_constantIbLb1EES12_IbLb0EEEEDaSY_SZ_EUlSY_E_NS1_11comp_targetILNS1_3genE10ELNS1_11target_archE1201ELNS1_3gpuE5ELNS1_3repE0EEENS1_30default_config_static_selectorELNS0_4arch9wavefront6targetE0EEEvT1_
    .private_segment_fixed_size: 0
    .sgpr_count:     0
    .sgpr_spill_count: 0
    .symbol:         _ZN7rocprim17ROCPRIM_400000_NS6detail17trampoline_kernelINS0_14default_configENS1_27scan_by_key_config_selectorIj11FixedVectorIiLj4EEEEZZNS1_16scan_by_key_implILNS1_25lookback_scan_determinismE0ELb0ES3_N6thrust23THRUST_200600_302600_NS6detail15normal_iteratorINSB_10device_ptrIjEEEENSD_INSE_IS6_EEEESI_S6_NSB_4plusIvEENSB_8equal_toIvEES6_EE10hipError_tPvRmT2_T3_T4_T5_mT6_T7_P12ihipStream_tbENKUlT_T0_E_clISt17integral_constantIbLb1EES12_IbLb0EEEEDaSY_SZ_EUlSY_E_NS1_11comp_targetILNS1_3genE10ELNS1_11target_archE1201ELNS1_3gpuE5ELNS1_3repE0EEENS1_30default_config_static_selectorELNS0_4arch9wavefront6targetE0EEEvT1_.kd
    .uniform_work_group_size: 1
    .uses_dynamic_stack: false
    .vgpr_count:     0
    .vgpr_spill_count: 0
    .wavefront_size: 32
    .workgroup_processor_mode: 1
  - .args:
      - .offset:         0
        .size:           144
        .value_kind:     by_value
    .group_segment_fixed_size: 0
    .kernarg_segment_align: 8
    .kernarg_segment_size: 144
    .language:       OpenCL C
    .language_version:
      - 2
      - 0
    .max_flat_workgroup_size: 128
    .name:           _ZN7rocprim17ROCPRIM_400000_NS6detail17trampoline_kernelINS0_14default_configENS1_27scan_by_key_config_selectorIj11FixedVectorIiLj4EEEEZZNS1_16scan_by_key_implILNS1_25lookback_scan_determinismE0ELb0ES3_N6thrust23THRUST_200600_302600_NS6detail15normal_iteratorINSB_10device_ptrIjEEEENSD_INSE_IS6_EEEESI_S6_NSB_4plusIvEENSB_8equal_toIvEES6_EE10hipError_tPvRmT2_T3_T4_T5_mT6_T7_P12ihipStream_tbENKUlT_T0_E_clISt17integral_constantIbLb1EES12_IbLb0EEEEDaSY_SZ_EUlSY_E_NS1_11comp_targetILNS1_3genE5ELNS1_11target_archE942ELNS1_3gpuE9ELNS1_3repE0EEENS1_30default_config_static_selectorELNS0_4arch9wavefront6targetE0EEEvT1_
    .private_segment_fixed_size: 0
    .sgpr_count:     0
    .sgpr_spill_count: 0
    .symbol:         _ZN7rocprim17ROCPRIM_400000_NS6detail17trampoline_kernelINS0_14default_configENS1_27scan_by_key_config_selectorIj11FixedVectorIiLj4EEEEZZNS1_16scan_by_key_implILNS1_25lookback_scan_determinismE0ELb0ES3_N6thrust23THRUST_200600_302600_NS6detail15normal_iteratorINSB_10device_ptrIjEEEENSD_INSE_IS6_EEEESI_S6_NSB_4plusIvEENSB_8equal_toIvEES6_EE10hipError_tPvRmT2_T3_T4_T5_mT6_T7_P12ihipStream_tbENKUlT_T0_E_clISt17integral_constantIbLb1EES12_IbLb0EEEEDaSY_SZ_EUlSY_E_NS1_11comp_targetILNS1_3genE5ELNS1_11target_archE942ELNS1_3gpuE9ELNS1_3repE0EEENS1_30default_config_static_selectorELNS0_4arch9wavefront6targetE0EEEvT1_.kd
    .uniform_work_group_size: 1
    .uses_dynamic_stack: false
    .vgpr_count:     0
    .vgpr_spill_count: 0
    .wavefront_size: 32
    .workgroup_processor_mode: 1
  - .args:
      - .offset:         0
        .size:           144
        .value_kind:     by_value
    .group_segment_fixed_size: 0
    .kernarg_segment_align: 8
    .kernarg_segment_size: 144
    .language:       OpenCL C
    .language_version:
      - 2
      - 0
    .max_flat_workgroup_size: 256
    .name:           _ZN7rocprim17ROCPRIM_400000_NS6detail17trampoline_kernelINS0_14default_configENS1_27scan_by_key_config_selectorIj11FixedVectorIiLj4EEEEZZNS1_16scan_by_key_implILNS1_25lookback_scan_determinismE0ELb0ES3_N6thrust23THRUST_200600_302600_NS6detail15normal_iteratorINSB_10device_ptrIjEEEENSD_INSE_IS6_EEEESI_S6_NSB_4plusIvEENSB_8equal_toIvEES6_EE10hipError_tPvRmT2_T3_T4_T5_mT6_T7_P12ihipStream_tbENKUlT_T0_E_clISt17integral_constantIbLb1EES12_IbLb0EEEEDaSY_SZ_EUlSY_E_NS1_11comp_targetILNS1_3genE4ELNS1_11target_archE910ELNS1_3gpuE8ELNS1_3repE0EEENS1_30default_config_static_selectorELNS0_4arch9wavefront6targetE0EEEvT1_
    .private_segment_fixed_size: 0
    .sgpr_count:     0
    .sgpr_spill_count: 0
    .symbol:         _ZN7rocprim17ROCPRIM_400000_NS6detail17trampoline_kernelINS0_14default_configENS1_27scan_by_key_config_selectorIj11FixedVectorIiLj4EEEEZZNS1_16scan_by_key_implILNS1_25lookback_scan_determinismE0ELb0ES3_N6thrust23THRUST_200600_302600_NS6detail15normal_iteratorINSB_10device_ptrIjEEEENSD_INSE_IS6_EEEESI_S6_NSB_4plusIvEENSB_8equal_toIvEES6_EE10hipError_tPvRmT2_T3_T4_T5_mT6_T7_P12ihipStream_tbENKUlT_T0_E_clISt17integral_constantIbLb1EES12_IbLb0EEEEDaSY_SZ_EUlSY_E_NS1_11comp_targetILNS1_3genE4ELNS1_11target_archE910ELNS1_3gpuE8ELNS1_3repE0EEENS1_30default_config_static_selectorELNS0_4arch9wavefront6targetE0EEEvT1_.kd
    .uniform_work_group_size: 1
    .uses_dynamic_stack: false
    .vgpr_count:     0
    .vgpr_spill_count: 0
    .wavefront_size: 32
    .workgroup_processor_mode: 1
  - .args:
      - .offset:         0
        .size:           144
        .value_kind:     by_value
    .group_segment_fixed_size: 0
    .kernarg_segment_align: 8
    .kernarg_segment_size: 144
    .language:       OpenCL C
    .language_version:
      - 2
      - 0
    .max_flat_workgroup_size: 64
    .name:           _ZN7rocprim17ROCPRIM_400000_NS6detail17trampoline_kernelINS0_14default_configENS1_27scan_by_key_config_selectorIj11FixedVectorIiLj4EEEEZZNS1_16scan_by_key_implILNS1_25lookback_scan_determinismE0ELb0ES3_N6thrust23THRUST_200600_302600_NS6detail15normal_iteratorINSB_10device_ptrIjEEEENSD_INSE_IS6_EEEESI_S6_NSB_4plusIvEENSB_8equal_toIvEES6_EE10hipError_tPvRmT2_T3_T4_T5_mT6_T7_P12ihipStream_tbENKUlT_T0_E_clISt17integral_constantIbLb1EES12_IbLb0EEEEDaSY_SZ_EUlSY_E_NS1_11comp_targetILNS1_3genE3ELNS1_11target_archE908ELNS1_3gpuE7ELNS1_3repE0EEENS1_30default_config_static_selectorELNS0_4arch9wavefront6targetE0EEEvT1_
    .private_segment_fixed_size: 0
    .sgpr_count:     0
    .sgpr_spill_count: 0
    .symbol:         _ZN7rocprim17ROCPRIM_400000_NS6detail17trampoline_kernelINS0_14default_configENS1_27scan_by_key_config_selectorIj11FixedVectorIiLj4EEEEZZNS1_16scan_by_key_implILNS1_25lookback_scan_determinismE0ELb0ES3_N6thrust23THRUST_200600_302600_NS6detail15normal_iteratorINSB_10device_ptrIjEEEENSD_INSE_IS6_EEEESI_S6_NSB_4plusIvEENSB_8equal_toIvEES6_EE10hipError_tPvRmT2_T3_T4_T5_mT6_T7_P12ihipStream_tbENKUlT_T0_E_clISt17integral_constantIbLb1EES12_IbLb0EEEEDaSY_SZ_EUlSY_E_NS1_11comp_targetILNS1_3genE3ELNS1_11target_archE908ELNS1_3gpuE7ELNS1_3repE0EEENS1_30default_config_static_selectorELNS0_4arch9wavefront6targetE0EEEvT1_.kd
    .uniform_work_group_size: 1
    .uses_dynamic_stack: false
    .vgpr_count:     0
    .vgpr_spill_count: 0
    .wavefront_size: 32
    .workgroup_processor_mode: 1
  - .args:
      - .offset:         0
        .size:           144
        .value_kind:     by_value
    .group_segment_fixed_size: 0
    .kernarg_segment_align: 8
    .kernarg_segment_size: 144
    .language:       OpenCL C
    .language_version:
      - 2
      - 0
    .max_flat_workgroup_size: 256
    .name:           _ZN7rocprim17ROCPRIM_400000_NS6detail17trampoline_kernelINS0_14default_configENS1_27scan_by_key_config_selectorIj11FixedVectorIiLj4EEEEZZNS1_16scan_by_key_implILNS1_25lookback_scan_determinismE0ELb0ES3_N6thrust23THRUST_200600_302600_NS6detail15normal_iteratorINSB_10device_ptrIjEEEENSD_INSE_IS6_EEEESI_S6_NSB_4plusIvEENSB_8equal_toIvEES6_EE10hipError_tPvRmT2_T3_T4_T5_mT6_T7_P12ihipStream_tbENKUlT_T0_E_clISt17integral_constantIbLb1EES12_IbLb0EEEEDaSY_SZ_EUlSY_E_NS1_11comp_targetILNS1_3genE2ELNS1_11target_archE906ELNS1_3gpuE6ELNS1_3repE0EEENS1_30default_config_static_selectorELNS0_4arch9wavefront6targetE0EEEvT1_
    .private_segment_fixed_size: 0
    .sgpr_count:     0
    .sgpr_spill_count: 0
    .symbol:         _ZN7rocprim17ROCPRIM_400000_NS6detail17trampoline_kernelINS0_14default_configENS1_27scan_by_key_config_selectorIj11FixedVectorIiLj4EEEEZZNS1_16scan_by_key_implILNS1_25lookback_scan_determinismE0ELb0ES3_N6thrust23THRUST_200600_302600_NS6detail15normal_iteratorINSB_10device_ptrIjEEEENSD_INSE_IS6_EEEESI_S6_NSB_4plusIvEENSB_8equal_toIvEES6_EE10hipError_tPvRmT2_T3_T4_T5_mT6_T7_P12ihipStream_tbENKUlT_T0_E_clISt17integral_constantIbLb1EES12_IbLb0EEEEDaSY_SZ_EUlSY_E_NS1_11comp_targetILNS1_3genE2ELNS1_11target_archE906ELNS1_3gpuE6ELNS1_3repE0EEENS1_30default_config_static_selectorELNS0_4arch9wavefront6targetE0EEEvT1_.kd
    .uniform_work_group_size: 1
    .uses_dynamic_stack: false
    .vgpr_count:     0
    .vgpr_spill_count: 0
    .wavefront_size: 32
    .workgroup_processor_mode: 1
  - .args:
      - .offset:         0
        .size:           144
        .value_kind:     by_value
    .group_segment_fixed_size: 0
    .kernarg_segment_align: 8
    .kernarg_segment_size: 144
    .language:       OpenCL C
    .language_version:
      - 2
      - 0
    .max_flat_workgroup_size: 256
    .name:           _ZN7rocprim17ROCPRIM_400000_NS6detail17trampoline_kernelINS0_14default_configENS1_27scan_by_key_config_selectorIj11FixedVectorIiLj4EEEEZZNS1_16scan_by_key_implILNS1_25lookback_scan_determinismE0ELb0ES3_N6thrust23THRUST_200600_302600_NS6detail15normal_iteratorINSB_10device_ptrIjEEEENSD_INSE_IS6_EEEESI_S6_NSB_4plusIvEENSB_8equal_toIvEES6_EE10hipError_tPvRmT2_T3_T4_T5_mT6_T7_P12ihipStream_tbENKUlT_T0_E_clISt17integral_constantIbLb1EES12_IbLb0EEEEDaSY_SZ_EUlSY_E_NS1_11comp_targetILNS1_3genE10ELNS1_11target_archE1200ELNS1_3gpuE4ELNS1_3repE0EEENS1_30default_config_static_selectorELNS0_4arch9wavefront6targetE0EEEvT1_
    .private_segment_fixed_size: 0
    .sgpr_count:     0
    .sgpr_spill_count: 0
    .symbol:         _ZN7rocprim17ROCPRIM_400000_NS6detail17trampoline_kernelINS0_14default_configENS1_27scan_by_key_config_selectorIj11FixedVectorIiLj4EEEEZZNS1_16scan_by_key_implILNS1_25lookback_scan_determinismE0ELb0ES3_N6thrust23THRUST_200600_302600_NS6detail15normal_iteratorINSB_10device_ptrIjEEEENSD_INSE_IS6_EEEESI_S6_NSB_4plusIvEENSB_8equal_toIvEES6_EE10hipError_tPvRmT2_T3_T4_T5_mT6_T7_P12ihipStream_tbENKUlT_T0_E_clISt17integral_constantIbLb1EES12_IbLb0EEEEDaSY_SZ_EUlSY_E_NS1_11comp_targetILNS1_3genE10ELNS1_11target_archE1200ELNS1_3gpuE4ELNS1_3repE0EEENS1_30default_config_static_selectorELNS0_4arch9wavefront6targetE0EEEvT1_.kd
    .uniform_work_group_size: 1
    .uses_dynamic_stack: false
    .vgpr_count:     0
    .vgpr_spill_count: 0
    .wavefront_size: 32
    .workgroup_processor_mode: 1
  - .args:
      - .offset:         0
        .size:           144
        .value_kind:     by_value
    .group_segment_fixed_size: 0
    .kernarg_segment_align: 8
    .kernarg_segment_size: 144
    .language:       OpenCL C
    .language_version:
      - 2
      - 0
    .max_flat_workgroup_size: 256
    .name:           _ZN7rocprim17ROCPRIM_400000_NS6detail17trampoline_kernelINS0_14default_configENS1_27scan_by_key_config_selectorIj11FixedVectorIiLj4EEEEZZNS1_16scan_by_key_implILNS1_25lookback_scan_determinismE0ELb0ES3_N6thrust23THRUST_200600_302600_NS6detail15normal_iteratorINSB_10device_ptrIjEEEENSD_INSE_IS6_EEEESI_S6_NSB_4plusIvEENSB_8equal_toIvEES6_EE10hipError_tPvRmT2_T3_T4_T5_mT6_T7_P12ihipStream_tbENKUlT_T0_E_clISt17integral_constantIbLb1EES12_IbLb0EEEEDaSY_SZ_EUlSY_E_NS1_11comp_targetILNS1_3genE9ELNS1_11target_archE1100ELNS1_3gpuE3ELNS1_3repE0EEENS1_30default_config_static_selectorELNS0_4arch9wavefront6targetE0EEEvT1_
    .private_segment_fixed_size: 0
    .sgpr_count:     0
    .sgpr_spill_count: 0
    .symbol:         _ZN7rocprim17ROCPRIM_400000_NS6detail17trampoline_kernelINS0_14default_configENS1_27scan_by_key_config_selectorIj11FixedVectorIiLj4EEEEZZNS1_16scan_by_key_implILNS1_25lookback_scan_determinismE0ELb0ES3_N6thrust23THRUST_200600_302600_NS6detail15normal_iteratorINSB_10device_ptrIjEEEENSD_INSE_IS6_EEEESI_S6_NSB_4plusIvEENSB_8equal_toIvEES6_EE10hipError_tPvRmT2_T3_T4_T5_mT6_T7_P12ihipStream_tbENKUlT_T0_E_clISt17integral_constantIbLb1EES12_IbLb0EEEEDaSY_SZ_EUlSY_E_NS1_11comp_targetILNS1_3genE9ELNS1_11target_archE1100ELNS1_3gpuE3ELNS1_3repE0EEENS1_30default_config_static_selectorELNS0_4arch9wavefront6targetE0EEEvT1_.kd
    .uniform_work_group_size: 1
    .uses_dynamic_stack: false
    .vgpr_count:     0
    .vgpr_spill_count: 0
    .wavefront_size: 32
    .workgroup_processor_mode: 1
  - .args:
      - .offset:         0
        .size:           144
        .value_kind:     by_value
    .group_segment_fixed_size: 0
    .kernarg_segment_align: 8
    .kernarg_segment_size: 144
    .language:       OpenCL C
    .language_version:
      - 2
      - 0
    .max_flat_workgroup_size: 256
    .name:           _ZN7rocprim17ROCPRIM_400000_NS6detail17trampoline_kernelINS0_14default_configENS1_27scan_by_key_config_selectorIj11FixedVectorIiLj4EEEEZZNS1_16scan_by_key_implILNS1_25lookback_scan_determinismE0ELb0ES3_N6thrust23THRUST_200600_302600_NS6detail15normal_iteratorINSB_10device_ptrIjEEEENSD_INSE_IS6_EEEESI_S6_NSB_4plusIvEENSB_8equal_toIvEES6_EE10hipError_tPvRmT2_T3_T4_T5_mT6_T7_P12ihipStream_tbENKUlT_T0_E_clISt17integral_constantIbLb1EES12_IbLb0EEEEDaSY_SZ_EUlSY_E_NS1_11comp_targetILNS1_3genE8ELNS1_11target_archE1030ELNS1_3gpuE2ELNS1_3repE0EEENS1_30default_config_static_selectorELNS0_4arch9wavefront6targetE0EEEvT1_
    .private_segment_fixed_size: 0
    .sgpr_count:     0
    .sgpr_spill_count: 0
    .symbol:         _ZN7rocprim17ROCPRIM_400000_NS6detail17trampoline_kernelINS0_14default_configENS1_27scan_by_key_config_selectorIj11FixedVectorIiLj4EEEEZZNS1_16scan_by_key_implILNS1_25lookback_scan_determinismE0ELb0ES3_N6thrust23THRUST_200600_302600_NS6detail15normal_iteratorINSB_10device_ptrIjEEEENSD_INSE_IS6_EEEESI_S6_NSB_4plusIvEENSB_8equal_toIvEES6_EE10hipError_tPvRmT2_T3_T4_T5_mT6_T7_P12ihipStream_tbENKUlT_T0_E_clISt17integral_constantIbLb1EES12_IbLb0EEEEDaSY_SZ_EUlSY_E_NS1_11comp_targetILNS1_3genE8ELNS1_11target_archE1030ELNS1_3gpuE2ELNS1_3repE0EEENS1_30default_config_static_selectorELNS0_4arch9wavefront6targetE0EEEvT1_.kd
    .uniform_work_group_size: 1
    .uses_dynamic_stack: false
    .vgpr_count:     0
    .vgpr_spill_count: 0
    .wavefront_size: 32
    .workgroup_processor_mode: 1
  - .args:
      - .offset:         0
        .size:           24
        .value_kind:     by_value
      - .offset:         24
        .size:           4
        .value_kind:     by_value
      - .offset:         28
        .size:           4
        .value_kind:     by_value
      - .address_space:  global
        .offset:         32
        .size:           8
        .value_kind:     global_buffer
      - .address_space:  global
        .offset:         40
        .size:           8
        .value_kind:     global_buffer
      - .actual_access:  write_only
        .address_space:  global
        .offset:         48
        .size:           8
        .value_kind:     global_buffer
      - .offset:         56
        .size:           8
        .value_kind:     by_value
      - .offset:         64
        .size:           4
        .value_kind:     by_value
      - .address_space:  global
        .offset:         72
        .size:           8
        .value_kind:     global_buffer
      - .offset:         80
        .size:           4
        .value_kind:     hidden_block_count_x
      - .offset:         84
        .size:           4
        .value_kind:     hidden_block_count_y
      - .offset:         88
        .size:           4
        .value_kind:     hidden_block_count_z
      - .offset:         92
        .size:           2
        .value_kind:     hidden_group_size_x
      - .offset:         94
        .size:           2
        .value_kind:     hidden_group_size_y
      - .offset:         96
        .size:           2
        .value_kind:     hidden_group_size_z
      - .offset:         98
        .size:           2
        .value_kind:     hidden_remainder_x
      - .offset:         100
        .size:           2
        .value_kind:     hidden_remainder_y
      - .offset:         102
        .size:           2
        .value_kind:     hidden_remainder_z
      - .offset:         120
        .size:           8
        .value_kind:     hidden_global_offset_x
      - .offset:         128
        .size:           8
        .value_kind:     hidden_global_offset_y
      - .offset:         136
        .size:           8
        .value_kind:     hidden_global_offset_z
      - .offset:         144
        .size:           2
        .value_kind:     hidden_grid_dims
    .group_segment_fixed_size: 5120
    .kernarg_segment_align: 8
    .kernarg_segment_size: 336
    .language:       OpenCL C
    .language_version:
      - 2
      - 0
    .max_flat_workgroup_size: 256
    .name:           _ZN7rocprim17ROCPRIM_400000_NS6detail30init_device_scan_by_key_kernelINS1_19lookback_scan_stateINS0_5tupleIJ11FixedVectorIiLj4EEbEEELb0ELb0EEEN6thrust23THRUST_200600_302600_NS6detail15normal_iteratorINSA_10device_ptrIjEEEEjNS1_16block_id_wrapperIjLb1EEEEEvT_jjPNSI_10value_typeET0_PNSt15iterator_traitsISL_E10value_typeEmT1_T2_
    .private_segment_fixed_size: 0
    .sgpr_count:     23
    .sgpr_spill_count: 0
    .symbol:         _ZN7rocprim17ROCPRIM_400000_NS6detail30init_device_scan_by_key_kernelINS1_19lookback_scan_stateINS0_5tupleIJ11FixedVectorIiLj4EEbEEELb0ELb0EEEN6thrust23THRUST_200600_302600_NS6detail15normal_iteratorINSA_10device_ptrIjEEEEjNS1_16block_id_wrapperIjLb1EEEEEvT_jjPNSI_10value_typeET0_PNSt15iterator_traitsISL_E10value_typeEmT1_T2_.kd
    .uniform_work_group_size: 1
    .uses_dynamic_stack: false
    .vgpr_count:     8
    .vgpr_spill_count: 0
    .wavefront_size: 32
    .workgroup_processor_mode: 1
  - .args:
      - .offset:         0
        .size:           24
        .value_kind:     by_value
      - .offset:         24
        .size:           4
        .value_kind:     by_value
      - .offset:         28
        .size:           4
        .value_kind:     by_value
      - .address_space:  global
        .offset:         32
        .size:           8
        .value_kind:     global_buffer
      - .address_space:  global
        .offset:         40
        .size:           8
        .value_kind:     global_buffer
      - .offset:         48
        .size:           4
        .value_kind:     hidden_block_count_x
      - .offset:         52
        .size:           4
        .value_kind:     hidden_block_count_y
      - .offset:         56
        .size:           4
        .value_kind:     hidden_block_count_z
      - .offset:         60
        .size:           2
        .value_kind:     hidden_group_size_x
      - .offset:         62
        .size:           2
        .value_kind:     hidden_group_size_y
      - .offset:         64
        .size:           2
        .value_kind:     hidden_group_size_z
      - .offset:         66
        .size:           2
        .value_kind:     hidden_remainder_x
      - .offset:         68
        .size:           2
        .value_kind:     hidden_remainder_y
      - .offset:         70
        .size:           2
        .value_kind:     hidden_remainder_z
      - .offset:         88
        .size:           8
        .value_kind:     hidden_global_offset_x
      - .offset:         96
        .size:           8
        .value_kind:     hidden_global_offset_y
      - .offset:         104
        .size:           8
        .value_kind:     hidden_global_offset_z
      - .offset:         112
        .size:           2
        .value_kind:     hidden_grid_dims
    .group_segment_fixed_size: 5120
    .kernarg_segment_align: 8
    .kernarg_segment_size: 304
    .language:       OpenCL C
    .language_version:
      - 2
      - 0
    .max_flat_workgroup_size: 256
    .name:           _ZN7rocprim17ROCPRIM_400000_NS6detail30init_device_scan_by_key_kernelINS1_19lookback_scan_stateINS0_5tupleIJ11FixedVectorIiLj4EEbEEELb0ELb0EEENS1_16block_id_wrapperIjLb1EEEEEvT_jjPNSB_10value_typeET0_
    .private_segment_fixed_size: 0
    .sgpr_count:     22
    .sgpr_spill_count: 0
    .symbol:         _ZN7rocprim17ROCPRIM_400000_NS6detail30init_device_scan_by_key_kernelINS1_19lookback_scan_stateINS0_5tupleIJ11FixedVectorIiLj4EEbEEELb0ELb0EEENS1_16block_id_wrapperIjLb1EEEEEvT_jjPNSB_10value_typeET0_.kd
    .uniform_work_group_size: 1
    .uses_dynamic_stack: false
    .vgpr_count:     8
    .vgpr_spill_count: 0
    .wavefront_size: 32
    .workgroup_processor_mode: 1
  - .args:
      - .offset:         0
        .size:           144
        .value_kind:     by_value
    .group_segment_fixed_size: 0
    .kernarg_segment_align: 8
    .kernarg_segment_size: 144
    .language:       OpenCL C
    .language_version:
      - 2
      - 0
    .max_flat_workgroup_size: 64
    .name:           _ZN7rocprim17ROCPRIM_400000_NS6detail17trampoline_kernelINS0_14default_configENS1_27scan_by_key_config_selectorIj11FixedVectorIiLj4EEEEZZNS1_16scan_by_key_implILNS1_25lookback_scan_determinismE0ELb0ES3_N6thrust23THRUST_200600_302600_NS6detail15normal_iteratorINSB_10device_ptrIjEEEENSD_INSE_IS6_EEEESI_S6_NSB_4plusIvEENSB_8equal_toIvEES6_EE10hipError_tPvRmT2_T3_T4_T5_mT6_T7_P12ihipStream_tbENKUlT_T0_E_clISt17integral_constantIbLb0EES12_IbLb1EEEEDaSY_SZ_EUlSY_E_NS1_11comp_targetILNS1_3genE0ELNS1_11target_archE4294967295ELNS1_3gpuE0ELNS1_3repE0EEENS1_30default_config_static_selectorELNS0_4arch9wavefront6targetE0EEEvT1_
    .private_segment_fixed_size: 0
    .sgpr_count:     0
    .sgpr_spill_count: 0
    .symbol:         _ZN7rocprim17ROCPRIM_400000_NS6detail17trampoline_kernelINS0_14default_configENS1_27scan_by_key_config_selectorIj11FixedVectorIiLj4EEEEZZNS1_16scan_by_key_implILNS1_25lookback_scan_determinismE0ELb0ES3_N6thrust23THRUST_200600_302600_NS6detail15normal_iteratorINSB_10device_ptrIjEEEENSD_INSE_IS6_EEEESI_S6_NSB_4plusIvEENSB_8equal_toIvEES6_EE10hipError_tPvRmT2_T3_T4_T5_mT6_T7_P12ihipStream_tbENKUlT_T0_E_clISt17integral_constantIbLb0EES12_IbLb1EEEEDaSY_SZ_EUlSY_E_NS1_11comp_targetILNS1_3genE0ELNS1_11target_archE4294967295ELNS1_3gpuE0ELNS1_3repE0EEENS1_30default_config_static_selectorELNS0_4arch9wavefront6targetE0EEEvT1_.kd
    .uniform_work_group_size: 1
    .uses_dynamic_stack: false
    .vgpr_count:     0
    .vgpr_spill_count: 0
    .wavefront_size: 32
    .workgroup_processor_mode: 1
  - .args:
      - .offset:         0
        .size:           144
        .value_kind:     by_value
    .group_segment_fixed_size: 0
    .kernarg_segment_align: 8
    .kernarg_segment_size: 144
    .language:       OpenCL C
    .language_version:
      - 2
      - 0
    .max_flat_workgroup_size: 256
    .name:           _ZN7rocprim17ROCPRIM_400000_NS6detail17trampoline_kernelINS0_14default_configENS1_27scan_by_key_config_selectorIj11FixedVectorIiLj4EEEEZZNS1_16scan_by_key_implILNS1_25lookback_scan_determinismE0ELb0ES3_N6thrust23THRUST_200600_302600_NS6detail15normal_iteratorINSB_10device_ptrIjEEEENSD_INSE_IS6_EEEESI_S6_NSB_4plusIvEENSB_8equal_toIvEES6_EE10hipError_tPvRmT2_T3_T4_T5_mT6_T7_P12ihipStream_tbENKUlT_T0_E_clISt17integral_constantIbLb0EES12_IbLb1EEEEDaSY_SZ_EUlSY_E_NS1_11comp_targetILNS1_3genE10ELNS1_11target_archE1201ELNS1_3gpuE5ELNS1_3repE0EEENS1_30default_config_static_selectorELNS0_4arch9wavefront6targetE0EEEvT1_
    .private_segment_fixed_size: 0
    .sgpr_count:     0
    .sgpr_spill_count: 0
    .symbol:         _ZN7rocprim17ROCPRIM_400000_NS6detail17trampoline_kernelINS0_14default_configENS1_27scan_by_key_config_selectorIj11FixedVectorIiLj4EEEEZZNS1_16scan_by_key_implILNS1_25lookback_scan_determinismE0ELb0ES3_N6thrust23THRUST_200600_302600_NS6detail15normal_iteratorINSB_10device_ptrIjEEEENSD_INSE_IS6_EEEESI_S6_NSB_4plusIvEENSB_8equal_toIvEES6_EE10hipError_tPvRmT2_T3_T4_T5_mT6_T7_P12ihipStream_tbENKUlT_T0_E_clISt17integral_constantIbLb0EES12_IbLb1EEEEDaSY_SZ_EUlSY_E_NS1_11comp_targetILNS1_3genE10ELNS1_11target_archE1201ELNS1_3gpuE5ELNS1_3repE0EEENS1_30default_config_static_selectorELNS0_4arch9wavefront6targetE0EEEvT1_.kd
    .uniform_work_group_size: 1
    .uses_dynamic_stack: false
    .vgpr_count:     0
    .vgpr_spill_count: 0
    .wavefront_size: 32
    .workgroup_processor_mode: 1
  - .args:
      - .offset:         0
        .size:           144
        .value_kind:     by_value
    .group_segment_fixed_size: 0
    .kernarg_segment_align: 8
    .kernarg_segment_size: 144
    .language:       OpenCL C
    .language_version:
      - 2
      - 0
    .max_flat_workgroup_size: 128
    .name:           _ZN7rocprim17ROCPRIM_400000_NS6detail17trampoline_kernelINS0_14default_configENS1_27scan_by_key_config_selectorIj11FixedVectorIiLj4EEEEZZNS1_16scan_by_key_implILNS1_25lookback_scan_determinismE0ELb0ES3_N6thrust23THRUST_200600_302600_NS6detail15normal_iteratorINSB_10device_ptrIjEEEENSD_INSE_IS6_EEEESI_S6_NSB_4plusIvEENSB_8equal_toIvEES6_EE10hipError_tPvRmT2_T3_T4_T5_mT6_T7_P12ihipStream_tbENKUlT_T0_E_clISt17integral_constantIbLb0EES12_IbLb1EEEEDaSY_SZ_EUlSY_E_NS1_11comp_targetILNS1_3genE5ELNS1_11target_archE942ELNS1_3gpuE9ELNS1_3repE0EEENS1_30default_config_static_selectorELNS0_4arch9wavefront6targetE0EEEvT1_
    .private_segment_fixed_size: 0
    .sgpr_count:     0
    .sgpr_spill_count: 0
    .symbol:         _ZN7rocprim17ROCPRIM_400000_NS6detail17trampoline_kernelINS0_14default_configENS1_27scan_by_key_config_selectorIj11FixedVectorIiLj4EEEEZZNS1_16scan_by_key_implILNS1_25lookback_scan_determinismE0ELb0ES3_N6thrust23THRUST_200600_302600_NS6detail15normal_iteratorINSB_10device_ptrIjEEEENSD_INSE_IS6_EEEESI_S6_NSB_4plusIvEENSB_8equal_toIvEES6_EE10hipError_tPvRmT2_T3_T4_T5_mT6_T7_P12ihipStream_tbENKUlT_T0_E_clISt17integral_constantIbLb0EES12_IbLb1EEEEDaSY_SZ_EUlSY_E_NS1_11comp_targetILNS1_3genE5ELNS1_11target_archE942ELNS1_3gpuE9ELNS1_3repE0EEENS1_30default_config_static_selectorELNS0_4arch9wavefront6targetE0EEEvT1_.kd
    .uniform_work_group_size: 1
    .uses_dynamic_stack: false
    .vgpr_count:     0
    .vgpr_spill_count: 0
    .wavefront_size: 32
    .workgroup_processor_mode: 1
  - .args:
      - .offset:         0
        .size:           144
        .value_kind:     by_value
    .group_segment_fixed_size: 0
    .kernarg_segment_align: 8
    .kernarg_segment_size: 144
    .language:       OpenCL C
    .language_version:
      - 2
      - 0
    .max_flat_workgroup_size: 256
    .name:           _ZN7rocprim17ROCPRIM_400000_NS6detail17trampoline_kernelINS0_14default_configENS1_27scan_by_key_config_selectorIj11FixedVectorIiLj4EEEEZZNS1_16scan_by_key_implILNS1_25lookback_scan_determinismE0ELb0ES3_N6thrust23THRUST_200600_302600_NS6detail15normal_iteratorINSB_10device_ptrIjEEEENSD_INSE_IS6_EEEESI_S6_NSB_4plusIvEENSB_8equal_toIvEES6_EE10hipError_tPvRmT2_T3_T4_T5_mT6_T7_P12ihipStream_tbENKUlT_T0_E_clISt17integral_constantIbLb0EES12_IbLb1EEEEDaSY_SZ_EUlSY_E_NS1_11comp_targetILNS1_3genE4ELNS1_11target_archE910ELNS1_3gpuE8ELNS1_3repE0EEENS1_30default_config_static_selectorELNS0_4arch9wavefront6targetE0EEEvT1_
    .private_segment_fixed_size: 0
    .sgpr_count:     0
    .sgpr_spill_count: 0
    .symbol:         _ZN7rocprim17ROCPRIM_400000_NS6detail17trampoline_kernelINS0_14default_configENS1_27scan_by_key_config_selectorIj11FixedVectorIiLj4EEEEZZNS1_16scan_by_key_implILNS1_25lookback_scan_determinismE0ELb0ES3_N6thrust23THRUST_200600_302600_NS6detail15normal_iteratorINSB_10device_ptrIjEEEENSD_INSE_IS6_EEEESI_S6_NSB_4plusIvEENSB_8equal_toIvEES6_EE10hipError_tPvRmT2_T3_T4_T5_mT6_T7_P12ihipStream_tbENKUlT_T0_E_clISt17integral_constantIbLb0EES12_IbLb1EEEEDaSY_SZ_EUlSY_E_NS1_11comp_targetILNS1_3genE4ELNS1_11target_archE910ELNS1_3gpuE8ELNS1_3repE0EEENS1_30default_config_static_selectorELNS0_4arch9wavefront6targetE0EEEvT1_.kd
    .uniform_work_group_size: 1
    .uses_dynamic_stack: false
    .vgpr_count:     0
    .vgpr_spill_count: 0
    .wavefront_size: 32
    .workgroup_processor_mode: 1
  - .args:
      - .offset:         0
        .size:           144
        .value_kind:     by_value
    .group_segment_fixed_size: 0
    .kernarg_segment_align: 8
    .kernarg_segment_size: 144
    .language:       OpenCL C
    .language_version:
      - 2
      - 0
    .max_flat_workgroup_size: 64
    .name:           _ZN7rocprim17ROCPRIM_400000_NS6detail17trampoline_kernelINS0_14default_configENS1_27scan_by_key_config_selectorIj11FixedVectorIiLj4EEEEZZNS1_16scan_by_key_implILNS1_25lookback_scan_determinismE0ELb0ES3_N6thrust23THRUST_200600_302600_NS6detail15normal_iteratorINSB_10device_ptrIjEEEENSD_INSE_IS6_EEEESI_S6_NSB_4plusIvEENSB_8equal_toIvEES6_EE10hipError_tPvRmT2_T3_T4_T5_mT6_T7_P12ihipStream_tbENKUlT_T0_E_clISt17integral_constantIbLb0EES12_IbLb1EEEEDaSY_SZ_EUlSY_E_NS1_11comp_targetILNS1_3genE3ELNS1_11target_archE908ELNS1_3gpuE7ELNS1_3repE0EEENS1_30default_config_static_selectorELNS0_4arch9wavefront6targetE0EEEvT1_
    .private_segment_fixed_size: 0
    .sgpr_count:     0
    .sgpr_spill_count: 0
    .symbol:         _ZN7rocprim17ROCPRIM_400000_NS6detail17trampoline_kernelINS0_14default_configENS1_27scan_by_key_config_selectorIj11FixedVectorIiLj4EEEEZZNS1_16scan_by_key_implILNS1_25lookback_scan_determinismE0ELb0ES3_N6thrust23THRUST_200600_302600_NS6detail15normal_iteratorINSB_10device_ptrIjEEEENSD_INSE_IS6_EEEESI_S6_NSB_4plusIvEENSB_8equal_toIvEES6_EE10hipError_tPvRmT2_T3_T4_T5_mT6_T7_P12ihipStream_tbENKUlT_T0_E_clISt17integral_constantIbLb0EES12_IbLb1EEEEDaSY_SZ_EUlSY_E_NS1_11comp_targetILNS1_3genE3ELNS1_11target_archE908ELNS1_3gpuE7ELNS1_3repE0EEENS1_30default_config_static_selectorELNS0_4arch9wavefront6targetE0EEEvT1_.kd
    .uniform_work_group_size: 1
    .uses_dynamic_stack: false
    .vgpr_count:     0
    .vgpr_spill_count: 0
    .wavefront_size: 32
    .workgroup_processor_mode: 1
  - .args:
      - .offset:         0
        .size:           144
        .value_kind:     by_value
    .group_segment_fixed_size: 0
    .kernarg_segment_align: 8
    .kernarg_segment_size: 144
    .language:       OpenCL C
    .language_version:
      - 2
      - 0
    .max_flat_workgroup_size: 256
    .name:           _ZN7rocprim17ROCPRIM_400000_NS6detail17trampoline_kernelINS0_14default_configENS1_27scan_by_key_config_selectorIj11FixedVectorIiLj4EEEEZZNS1_16scan_by_key_implILNS1_25lookback_scan_determinismE0ELb0ES3_N6thrust23THRUST_200600_302600_NS6detail15normal_iteratorINSB_10device_ptrIjEEEENSD_INSE_IS6_EEEESI_S6_NSB_4plusIvEENSB_8equal_toIvEES6_EE10hipError_tPvRmT2_T3_T4_T5_mT6_T7_P12ihipStream_tbENKUlT_T0_E_clISt17integral_constantIbLb0EES12_IbLb1EEEEDaSY_SZ_EUlSY_E_NS1_11comp_targetILNS1_3genE2ELNS1_11target_archE906ELNS1_3gpuE6ELNS1_3repE0EEENS1_30default_config_static_selectorELNS0_4arch9wavefront6targetE0EEEvT1_
    .private_segment_fixed_size: 0
    .sgpr_count:     0
    .sgpr_spill_count: 0
    .symbol:         _ZN7rocprim17ROCPRIM_400000_NS6detail17trampoline_kernelINS0_14default_configENS1_27scan_by_key_config_selectorIj11FixedVectorIiLj4EEEEZZNS1_16scan_by_key_implILNS1_25lookback_scan_determinismE0ELb0ES3_N6thrust23THRUST_200600_302600_NS6detail15normal_iteratorINSB_10device_ptrIjEEEENSD_INSE_IS6_EEEESI_S6_NSB_4plusIvEENSB_8equal_toIvEES6_EE10hipError_tPvRmT2_T3_T4_T5_mT6_T7_P12ihipStream_tbENKUlT_T0_E_clISt17integral_constantIbLb0EES12_IbLb1EEEEDaSY_SZ_EUlSY_E_NS1_11comp_targetILNS1_3genE2ELNS1_11target_archE906ELNS1_3gpuE6ELNS1_3repE0EEENS1_30default_config_static_selectorELNS0_4arch9wavefront6targetE0EEEvT1_.kd
    .uniform_work_group_size: 1
    .uses_dynamic_stack: false
    .vgpr_count:     0
    .vgpr_spill_count: 0
    .wavefront_size: 32
    .workgroup_processor_mode: 1
  - .args:
      - .offset:         0
        .size:           144
        .value_kind:     by_value
    .group_segment_fixed_size: 0
    .kernarg_segment_align: 8
    .kernarg_segment_size: 144
    .language:       OpenCL C
    .language_version:
      - 2
      - 0
    .max_flat_workgroup_size: 256
    .name:           _ZN7rocprim17ROCPRIM_400000_NS6detail17trampoline_kernelINS0_14default_configENS1_27scan_by_key_config_selectorIj11FixedVectorIiLj4EEEEZZNS1_16scan_by_key_implILNS1_25lookback_scan_determinismE0ELb0ES3_N6thrust23THRUST_200600_302600_NS6detail15normal_iteratorINSB_10device_ptrIjEEEENSD_INSE_IS6_EEEESI_S6_NSB_4plusIvEENSB_8equal_toIvEES6_EE10hipError_tPvRmT2_T3_T4_T5_mT6_T7_P12ihipStream_tbENKUlT_T0_E_clISt17integral_constantIbLb0EES12_IbLb1EEEEDaSY_SZ_EUlSY_E_NS1_11comp_targetILNS1_3genE10ELNS1_11target_archE1200ELNS1_3gpuE4ELNS1_3repE0EEENS1_30default_config_static_selectorELNS0_4arch9wavefront6targetE0EEEvT1_
    .private_segment_fixed_size: 0
    .sgpr_count:     0
    .sgpr_spill_count: 0
    .symbol:         _ZN7rocprim17ROCPRIM_400000_NS6detail17trampoline_kernelINS0_14default_configENS1_27scan_by_key_config_selectorIj11FixedVectorIiLj4EEEEZZNS1_16scan_by_key_implILNS1_25lookback_scan_determinismE0ELb0ES3_N6thrust23THRUST_200600_302600_NS6detail15normal_iteratorINSB_10device_ptrIjEEEENSD_INSE_IS6_EEEESI_S6_NSB_4plusIvEENSB_8equal_toIvEES6_EE10hipError_tPvRmT2_T3_T4_T5_mT6_T7_P12ihipStream_tbENKUlT_T0_E_clISt17integral_constantIbLb0EES12_IbLb1EEEEDaSY_SZ_EUlSY_E_NS1_11comp_targetILNS1_3genE10ELNS1_11target_archE1200ELNS1_3gpuE4ELNS1_3repE0EEENS1_30default_config_static_selectorELNS0_4arch9wavefront6targetE0EEEvT1_.kd
    .uniform_work_group_size: 1
    .uses_dynamic_stack: false
    .vgpr_count:     0
    .vgpr_spill_count: 0
    .wavefront_size: 32
    .workgroup_processor_mode: 1
  - .args:
      - .offset:         0
        .size:           144
        .value_kind:     by_value
    .group_segment_fixed_size: 0
    .kernarg_segment_align: 8
    .kernarg_segment_size: 144
    .language:       OpenCL C
    .language_version:
      - 2
      - 0
    .max_flat_workgroup_size: 256
    .name:           _ZN7rocprim17ROCPRIM_400000_NS6detail17trampoline_kernelINS0_14default_configENS1_27scan_by_key_config_selectorIj11FixedVectorIiLj4EEEEZZNS1_16scan_by_key_implILNS1_25lookback_scan_determinismE0ELb0ES3_N6thrust23THRUST_200600_302600_NS6detail15normal_iteratorINSB_10device_ptrIjEEEENSD_INSE_IS6_EEEESI_S6_NSB_4plusIvEENSB_8equal_toIvEES6_EE10hipError_tPvRmT2_T3_T4_T5_mT6_T7_P12ihipStream_tbENKUlT_T0_E_clISt17integral_constantIbLb0EES12_IbLb1EEEEDaSY_SZ_EUlSY_E_NS1_11comp_targetILNS1_3genE9ELNS1_11target_archE1100ELNS1_3gpuE3ELNS1_3repE0EEENS1_30default_config_static_selectorELNS0_4arch9wavefront6targetE0EEEvT1_
    .private_segment_fixed_size: 0
    .sgpr_count:     0
    .sgpr_spill_count: 0
    .symbol:         _ZN7rocprim17ROCPRIM_400000_NS6detail17trampoline_kernelINS0_14default_configENS1_27scan_by_key_config_selectorIj11FixedVectorIiLj4EEEEZZNS1_16scan_by_key_implILNS1_25lookback_scan_determinismE0ELb0ES3_N6thrust23THRUST_200600_302600_NS6detail15normal_iteratorINSB_10device_ptrIjEEEENSD_INSE_IS6_EEEESI_S6_NSB_4plusIvEENSB_8equal_toIvEES6_EE10hipError_tPvRmT2_T3_T4_T5_mT6_T7_P12ihipStream_tbENKUlT_T0_E_clISt17integral_constantIbLb0EES12_IbLb1EEEEDaSY_SZ_EUlSY_E_NS1_11comp_targetILNS1_3genE9ELNS1_11target_archE1100ELNS1_3gpuE3ELNS1_3repE0EEENS1_30default_config_static_selectorELNS0_4arch9wavefront6targetE0EEEvT1_.kd
    .uniform_work_group_size: 1
    .uses_dynamic_stack: false
    .vgpr_count:     0
    .vgpr_spill_count: 0
    .wavefront_size: 32
    .workgroup_processor_mode: 1
  - .args:
      - .offset:         0
        .size:           144
        .value_kind:     by_value
    .group_segment_fixed_size: 20480
    .kernarg_segment_align: 8
    .kernarg_segment_size: 144
    .language:       OpenCL C
    .language_version:
      - 2
      - 0
    .max_flat_workgroup_size: 256
    .name:           _ZN7rocprim17ROCPRIM_400000_NS6detail17trampoline_kernelINS0_14default_configENS1_27scan_by_key_config_selectorIj11FixedVectorIiLj4EEEEZZNS1_16scan_by_key_implILNS1_25lookback_scan_determinismE0ELb0ES3_N6thrust23THRUST_200600_302600_NS6detail15normal_iteratorINSB_10device_ptrIjEEEENSD_INSE_IS6_EEEESI_S6_NSB_4plusIvEENSB_8equal_toIvEES6_EE10hipError_tPvRmT2_T3_T4_T5_mT6_T7_P12ihipStream_tbENKUlT_T0_E_clISt17integral_constantIbLb0EES12_IbLb1EEEEDaSY_SZ_EUlSY_E_NS1_11comp_targetILNS1_3genE8ELNS1_11target_archE1030ELNS1_3gpuE2ELNS1_3repE0EEENS1_30default_config_static_selectorELNS0_4arch9wavefront6targetE0EEEvT1_
    .private_segment_fixed_size: 320
    .sgpr_count:     54
    .sgpr_spill_count: 0
    .symbol:         _ZN7rocprim17ROCPRIM_400000_NS6detail17trampoline_kernelINS0_14default_configENS1_27scan_by_key_config_selectorIj11FixedVectorIiLj4EEEEZZNS1_16scan_by_key_implILNS1_25lookback_scan_determinismE0ELb0ES3_N6thrust23THRUST_200600_302600_NS6detail15normal_iteratorINSB_10device_ptrIjEEEENSD_INSE_IS6_EEEESI_S6_NSB_4plusIvEENSB_8equal_toIvEES6_EE10hipError_tPvRmT2_T3_T4_T5_mT6_T7_P12ihipStream_tbENKUlT_T0_E_clISt17integral_constantIbLb0EES12_IbLb1EEEEDaSY_SZ_EUlSY_E_NS1_11comp_targetILNS1_3genE8ELNS1_11target_archE1030ELNS1_3gpuE2ELNS1_3repE0EEENS1_30default_config_static_selectorELNS0_4arch9wavefront6targetE0EEEvT1_.kd
    .uniform_work_group_size: 1
    .uses_dynamic_stack: false
    .vgpr_count:     36
    .vgpr_spill_count: 0
    .wavefront_size: 32
    .workgroup_processor_mode: 1
  - .args:
      - .offset:         0
        .size:           144
        .value_kind:     by_value
    .group_segment_fixed_size: 0
    .kernarg_segment_align: 8
    .kernarg_segment_size: 144
    .language:       OpenCL C
    .language_version:
      - 2
      - 0
    .max_flat_workgroup_size: 64
    .name:           _ZN7rocprim17ROCPRIM_400000_NS6detail17trampoline_kernelINS0_14default_configENS1_27scan_by_key_config_selectorIj11FixedVectorIiLj4EEEEZZNS1_16scan_by_key_implILNS1_25lookback_scan_determinismE0ELb1ES3_N6thrust23THRUST_200600_302600_NS6detail15normal_iteratorINSB_10device_ptrIjEEEENSD_INSE_IS6_EEEESI_S6_NSB_4plusIvEENSB_8equal_toIvEES6_EE10hipError_tPvRmT2_T3_T4_T5_mT6_T7_P12ihipStream_tbENKUlT_T0_E_clISt17integral_constantIbLb0EES13_EEDaSY_SZ_EUlSY_E_NS1_11comp_targetILNS1_3genE0ELNS1_11target_archE4294967295ELNS1_3gpuE0ELNS1_3repE0EEENS1_30default_config_static_selectorELNS0_4arch9wavefront6targetE0EEEvT1_
    .private_segment_fixed_size: 0
    .sgpr_count:     0
    .sgpr_spill_count: 0
    .symbol:         _ZN7rocprim17ROCPRIM_400000_NS6detail17trampoline_kernelINS0_14default_configENS1_27scan_by_key_config_selectorIj11FixedVectorIiLj4EEEEZZNS1_16scan_by_key_implILNS1_25lookback_scan_determinismE0ELb1ES3_N6thrust23THRUST_200600_302600_NS6detail15normal_iteratorINSB_10device_ptrIjEEEENSD_INSE_IS6_EEEESI_S6_NSB_4plusIvEENSB_8equal_toIvEES6_EE10hipError_tPvRmT2_T3_T4_T5_mT6_T7_P12ihipStream_tbENKUlT_T0_E_clISt17integral_constantIbLb0EES13_EEDaSY_SZ_EUlSY_E_NS1_11comp_targetILNS1_3genE0ELNS1_11target_archE4294967295ELNS1_3gpuE0ELNS1_3repE0EEENS1_30default_config_static_selectorELNS0_4arch9wavefront6targetE0EEEvT1_.kd
    .uniform_work_group_size: 1
    .uses_dynamic_stack: false
    .vgpr_count:     0
    .vgpr_spill_count: 0
    .wavefront_size: 32
    .workgroup_processor_mode: 1
  - .args:
      - .offset:         0
        .size:           144
        .value_kind:     by_value
    .group_segment_fixed_size: 0
    .kernarg_segment_align: 8
    .kernarg_segment_size: 144
    .language:       OpenCL C
    .language_version:
      - 2
      - 0
    .max_flat_workgroup_size: 256
    .name:           _ZN7rocprim17ROCPRIM_400000_NS6detail17trampoline_kernelINS0_14default_configENS1_27scan_by_key_config_selectorIj11FixedVectorIiLj4EEEEZZNS1_16scan_by_key_implILNS1_25lookback_scan_determinismE0ELb1ES3_N6thrust23THRUST_200600_302600_NS6detail15normal_iteratorINSB_10device_ptrIjEEEENSD_INSE_IS6_EEEESI_S6_NSB_4plusIvEENSB_8equal_toIvEES6_EE10hipError_tPvRmT2_T3_T4_T5_mT6_T7_P12ihipStream_tbENKUlT_T0_E_clISt17integral_constantIbLb0EES13_EEDaSY_SZ_EUlSY_E_NS1_11comp_targetILNS1_3genE10ELNS1_11target_archE1201ELNS1_3gpuE5ELNS1_3repE0EEENS1_30default_config_static_selectorELNS0_4arch9wavefront6targetE0EEEvT1_
    .private_segment_fixed_size: 0
    .sgpr_count:     0
    .sgpr_spill_count: 0
    .symbol:         _ZN7rocprim17ROCPRIM_400000_NS6detail17trampoline_kernelINS0_14default_configENS1_27scan_by_key_config_selectorIj11FixedVectorIiLj4EEEEZZNS1_16scan_by_key_implILNS1_25lookback_scan_determinismE0ELb1ES3_N6thrust23THRUST_200600_302600_NS6detail15normal_iteratorINSB_10device_ptrIjEEEENSD_INSE_IS6_EEEESI_S6_NSB_4plusIvEENSB_8equal_toIvEES6_EE10hipError_tPvRmT2_T3_T4_T5_mT6_T7_P12ihipStream_tbENKUlT_T0_E_clISt17integral_constantIbLb0EES13_EEDaSY_SZ_EUlSY_E_NS1_11comp_targetILNS1_3genE10ELNS1_11target_archE1201ELNS1_3gpuE5ELNS1_3repE0EEENS1_30default_config_static_selectorELNS0_4arch9wavefront6targetE0EEEvT1_.kd
    .uniform_work_group_size: 1
    .uses_dynamic_stack: false
    .vgpr_count:     0
    .vgpr_spill_count: 0
    .wavefront_size: 32
    .workgroup_processor_mode: 1
  - .args:
      - .offset:         0
        .size:           144
        .value_kind:     by_value
    .group_segment_fixed_size: 0
    .kernarg_segment_align: 8
    .kernarg_segment_size: 144
    .language:       OpenCL C
    .language_version:
      - 2
      - 0
    .max_flat_workgroup_size: 128
    .name:           _ZN7rocprim17ROCPRIM_400000_NS6detail17trampoline_kernelINS0_14default_configENS1_27scan_by_key_config_selectorIj11FixedVectorIiLj4EEEEZZNS1_16scan_by_key_implILNS1_25lookback_scan_determinismE0ELb1ES3_N6thrust23THRUST_200600_302600_NS6detail15normal_iteratorINSB_10device_ptrIjEEEENSD_INSE_IS6_EEEESI_S6_NSB_4plusIvEENSB_8equal_toIvEES6_EE10hipError_tPvRmT2_T3_T4_T5_mT6_T7_P12ihipStream_tbENKUlT_T0_E_clISt17integral_constantIbLb0EES13_EEDaSY_SZ_EUlSY_E_NS1_11comp_targetILNS1_3genE5ELNS1_11target_archE942ELNS1_3gpuE9ELNS1_3repE0EEENS1_30default_config_static_selectorELNS0_4arch9wavefront6targetE0EEEvT1_
    .private_segment_fixed_size: 0
    .sgpr_count:     0
    .sgpr_spill_count: 0
    .symbol:         _ZN7rocprim17ROCPRIM_400000_NS6detail17trampoline_kernelINS0_14default_configENS1_27scan_by_key_config_selectorIj11FixedVectorIiLj4EEEEZZNS1_16scan_by_key_implILNS1_25lookback_scan_determinismE0ELb1ES3_N6thrust23THRUST_200600_302600_NS6detail15normal_iteratorINSB_10device_ptrIjEEEENSD_INSE_IS6_EEEESI_S6_NSB_4plusIvEENSB_8equal_toIvEES6_EE10hipError_tPvRmT2_T3_T4_T5_mT6_T7_P12ihipStream_tbENKUlT_T0_E_clISt17integral_constantIbLb0EES13_EEDaSY_SZ_EUlSY_E_NS1_11comp_targetILNS1_3genE5ELNS1_11target_archE942ELNS1_3gpuE9ELNS1_3repE0EEENS1_30default_config_static_selectorELNS0_4arch9wavefront6targetE0EEEvT1_.kd
    .uniform_work_group_size: 1
    .uses_dynamic_stack: false
    .vgpr_count:     0
    .vgpr_spill_count: 0
    .wavefront_size: 32
    .workgroup_processor_mode: 1
  - .args:
      - .offset:         0
        .size:           144
        .value_kind:     by_value
    .group_segment_fixed_size: 0
    .kernarg_segment_align: 8
    .kernarg_segment_size: 144
    .language:       OpenCL C
    .language_version:
      - 2
      - 0
    .max_flat_workgroup_size: 256
    .name:           _ZN7rocprim17ROCPRIM_400000_NS6detail17trampoline_kernelINS0_14default_configENS1_27scan_by_key_config_selectorIj11FixedVectorIiLj4EEEEZZNS1_16scan_by_key_implILNS1_25lookback_scan_determinismE0ELb1ES3_N6thrust23THRUST_200600_302600_NS6detail15normal_iteratorINSB_10device_ptrIjEEEENSD_INSE_IS6_EEEESI_S6_NSB_4plusIvEENSB_8equal_toIvEES6_EE10hipError_tPvRmT2_T3_T4_T5_mT6_T7_P12ihipStream_tbENKUlT_T0_E_clISt17integral_constantIbLb0EES13_EEDaSY_SZ_EUlSY_E_NS1_11comp_targetILNS1_3genE4ELNS1_11target_archE910ELNS1_3gpuE8ELNS1_3repE0EEENS1_30default_config_static_selectorELNS0_4arch9wavefront6targetE0EEEvT1_
    .private_segment_fixed_size: 0
    .sgpr_count:     0
    .sgpr_spill_count: 0
    .symbol:         _ZN7rocprim17ROCPRIM_400000_NS6detail17trampoline_kernelINS0_14default_configENS1_27scan_by_key_config_selectorIj11FixedVectorIiLj4EEEEZZNS1_16scan_by_key_implILNS1_25lookback_scan_determinismE0ELb1ES3_N6thrust23THRUST_200600_302600_NS6detail15normal_iteratorINSB_10device_ptrIjEEEENSD_INSE_IS6_EEEESI_S6_NSB_4plusIvEENSB_8equal_toIvEES6_EE10hipError_tPvRmT2_T3_T4_T5_mT6_T7_P12ihipStream_tbENKUlT_T0_E_clISt17integral_constantIbLb0EES13_EEDaSY_SZ_EUlSY_E_NS1_11comp_targetILNS1_3genE4ELNS1_11target_archE910ELNS1_3gpuE8ELNS1_3repE0EEENS1_30default_config_static_selectorELNS0_4arch9wavefront6targetE0EEEvT1_.kd
    .uniform_work_group_size: 1
    .uses_dynamic_stack: false
    .vgpr_count:     0
    .vgpr_spill_count: 0
    .wavefront_size: 32
    .workgroup_processor_mode: 1
  - .args:
      - .offset:         0
        .size:           144
        .value_kind:     by_value
    .group_segment_fixed_size: 0
    .kernarg_segment_align: 8
    .kernarg_segment_size: 144
    .language:       OpenCL C
    .language_version:
      - 2
      - 0
    .max_flat_workgroup_size: 64
    .name:           _ZN7rocprim17ROCPRIM_400000_NS6detail17trampoline_kernelINS0_14default_configENS1_27scan_by_key_config_selectorIj11FixedVectorIiLj4EEEEZZNS1_16scan_by_key_implILNS1_25lookback_scan_determinismE0ELb1ES3_N6thrust23THRUST_200600_302600_NS6detail15normal_iteratorINSB_10device_ptrIjEEEENSD_INSE_IS6_EEEESI_S6_NSB_4plusIvEENSB_8equal_toIvEES6_EE10hipError_tPvRmT2_T3_T4_T5_mT6_T7_P12ihipStream_tbENKUlT_T0_E_clISt17integral_constantIbLb0EES13_EEDaSY_SZ_EUlSY_E_NS1_11comp_targetILNS1_3genE3ELNS1_11target_archE908ELNS1_3gpuE7ELNS1_3repE0EEENS1_30default_config_static_selectorELNS0_4arch9wavefront6targetE0EEEvT1_
    .private_segment_fixed_size: 0
    .sgpr_count:     0
    .sgpr_spill_count: 0
    .symbol:         _ZN7rocprim17ROCPRIM_400000_NS6detail17trampoline_kernelINS0_14default_configENS1_27scan_by_key_config_selectorIj11FixedVectorIiLj4EEEEZZNS1_16scan_by_key_implILNS1_25lookback_scan_determinismE0ELb1ES3_N6thrust23THRUST_200600_302600_NS6detail15normal_iteratorINSB_10device_ptrIjEEEENSD_INSE_IS6_EEEESI_S6_NSB_4plusIvEENSB_8equal_toIvEES6_EE10hipError_tPvRmT2_T3_T4_T5_mT6_T7_P12ihipStream_tbENKUlT_T0_E_clISt17integral_constantIbLb0EES13_EEDaSY_SZ_EUlSY_E_NS1_11comp_targetILNS1_3genE3ELNS1_11target_archE908ELNS1_3gpuE7ELNS1_3repE0EEENS1_30default_config_static_selectorELNS0_4arch9wavefront6targetE0EEEvT1_.kd
    .uniform_work_group_size: 1
    .uses_dynamic_stack: false
    .vgpr_count:     0
    .vgpr_spill_count: 0
    .wavefront_size: 32
    .workgroup_processor_mode: 1
  - .args:
      - .offset:         0
        .size:           144
        .value_kind:     by_value
    .group_segment_fixed_size: 0
    .kernarg_segment_align: 8
    .kernarg_segment_size: 144
    .language:       OpenCL C
    .language_version:
      - 2
      - 0
    .max_flat_workgroup_size: 256
    .name:           _ZN7rocprim17ROCPRIM_400000_NS6detail17trampoline_kernelINS0_14default_configENS1_27scan_by_key_config_selectorIj11FixedVectorIiLj4EEEEZZNS1_16scan_by_key_implILNS1_25lookback_scan_determinismE0ELb1ES3_N6thrust23THRUST_200600_302600_NS6detail15normal_iteratorINSB_10device_ptrIjEEEENSD_INSE_IS6_EEEESI_S6_NSB_4plusIvEENSB_8equal_toIvEES6_EE10hipError_tPvRmT2_T3_T4_T5_mT6_T7_P12ihipStream_tbENKUlT_T0_E_clISt17integral_constantIbLb0EES13_EEDaSY_SZ_EUlSY_E_NS1_11comp_targetILNS1_3genE2ELNS1_11target_archE906ELNS1_3gpuE6ELNS1_3repE0EEENS1_30default_config_static_selectorELNS0_4arch9wavefront6targetE0EEEvT1_
    .private_segment_fixed_size: 0
    .sgpr_count:     0
    .sgpr_spill_count: 0
    .symbol:         _ZN7rocprim17ROCPRIM_400000_NS6detail17trampoline_kernelINS0_14default_configENS1_27scan_by_key_config_selectorIj11FixedVectorIiLj4EEEEZZNS1_16scan_by_key_implILNS1_25lookback_scan_determinismE0ELb1ES3_N6thrust23THRUST_200600_302600_NS6detail15normal_iteratorINSB_10device_ptrIjEEEENSD_INSE_IS6_EEEESI_S6_NSB_4plusIvEENSB_8equal_toIvEES6_EE10hipError_tPvRmT2_T3_T4_T5_mT6_T7_P12ihipStream_tbENKUlT_T0_E_clISt17integral_constantIbLb0EES13_EEDaSY_SZ_EUlSY_E_NS1_11comp_targetILNS1_3genE2ELNS1_11target_archE906ELNS1_3gpuE6ELNS1_3repE0EEENS1_30default_config_static_selectorELNS0_4arch9wavefront6targetE0EEEvT1_.kd
    .uniform_work_group_size: 1
    .uses_dynamic_stack: false
    .vgpr_count:     0
    .vgpr_spill_count: 0
    .wavefront_size: 32
    .workgroup_processor_mode: 1
  - .args:
      - .offset:         0
        .size:           144
        .value_kind:     by_value
    .group_segment_fixed_size: 0
    .kernarg_segment_align: 8
    .kernarg_segment_size: 144
    .language:       OpenCL C
    .language_version:
      - 2
      - 0
    .max_flat_workgroup_size: 256
    .name:           _ZN7rocprim17ROCPRIM_400000_NS6detail17trampoline_kernelINS0_14default_configENS1_27scan_by_key_config_selectorIj11FixedVectorIiLj4EEEEZZNS1_16scan_by_key_implILNS1_25lookback_scan_determinismE0ELb1ES3_N6thrust23THRUST_200600_302600_NS6detail15normal_iteratorINSB_10device_ptrIjEEEENSD_INSE_IS6_EEEESI_S6_NSB_4plusIvEENSB_8equal_toIvEES6_EE10hipError_tPvRmT2_T3_T4_T5_mT6_T7_P12ihipStream_tbENKUlT_T0_E_clISt17integral_constantIbLb0EES13_EEDaSY_SZ_EUlSY_E_NS1_11comp_targetILNS1_3genE10ELNS1_11target_archE1200ELNS1_3gpuE4ELNS1_3repE0EEENS1_30default_config_static_selectorELNS0_4arch9wavefront6targetE0EEEvT1_
    .private_segment_fixed_size: 0
    .sgpr_count:     0
    .sgpr_spill_count: 0
    .symbol:         _ZN7rocprim17ROCPRIM_400000_NS6detail17trampoline_kernelINS0_14default_configENS1_27scan_by_key_config_selectorIj11FixedVectorIiLj4EEEEZZNS1_16scan_by_key_implILNS1_25lookback_scan_determinismE0ELb1ES3_N6thrust23THRUST_200600_302600_NS6detail15normal_iteratorINSB_10device_ptrIjEEEENSD_INSE_IS6_EEEESI_S6_NSB_4plusIvEENSB_8equal_toIvEES6_EE10hipError_tPvRmT2_T3_T4_T5_mT6_T7_P12ihipStream_tbENKUlT_T0_E_clISt17integral_constantIbLb0EES13_EEDaSY_SZ_EUlSY_E_NS1_11comp_targetILNS1_3genE10ELNS1_11target_archE1200ELNS1_3gpuE4ELNS1_3repE0EEENS1_30default_config_static_selectorELNS0_4arch9wavefront6targetE0EEEvT1_.kd
    .uniform_work_group_size: 1
    .uses_dynamic_stack: false
    .vgpr_count:     0
    .vgpr_spill_count: 0
    .wavefront_size: 32
    .workgroup_processor_mode: 1
  - .args:
      - .offset:         0
        .size:           144
        .value_kind:     by_value
    .group_segment_fixed_size: 0
    .kernarg_segment_align: 8
    .kernarg_segment_size: 144
    .language:       OpenCL C
    .language_version:
      - 2
      - 0
    .max_flat_workgroup_size: 256
    .name:           _ZN7rocprim17ROCPRIM_400000_NS6detail17trampoline_kernelINS0_14default_configENS1_27scan_by_key_config_selectorIj11FixedVectorIiLj4EEEEZZNS1_16scan_by_key_implILNS1_25lookback_scan_determinismE0ELb1ES3_N6thrust23THRUST_200600_302600_NS6detail15normal_iteratorINSB_10device_ptrIjEEEENSD_INSE_IS6_EEEESI_S6_NSB_4plusIvEENSB_8equal_toIvEES6_EE10hipError_tPvRmT2_T3_T4_T5_mT6_T7_P12ihipStream_tbENKUlT_T0_E_clISt17integral_constantIbLb0EES13_EEDaSY_SZ_EUlSY_E_NS1_11comp_targetILNS1_3genE9ELNS1_11target_archE1100ELNS1_3gpuE3ELNS1_3repE0EEENS1_30default_config_static_selectorELNS0_4arch9wavefront6targetE0EEEvT1_
    .private_segment_fixed_size: 0
    .sgpr_count:     0
    .sgpr_spill_count: 0
    .symbol:         _ZN7rocprim17ROCPRIM_400000_NS6detail17trampoline_kernelINS0_14default_configENS1_27scan_by_key_config_selectorIj11FixedVectorIiLj4EEEEZZNS1_16scan_by_key_implILNS1_25lookback_scan_determinismE0ELb1ES3_N6thrust23THRUST_200600_302600_NS6detail15normal_iteratorINSB_10device_ptrIjEEEENSD_INSE_IS6_EEEESI_S6_NSB_4plusIvEENSB_8equal_toIvEES6_EE10hipError_tPvRmT2_T3_T4_T5_mT6_T7_P12ihipStream_tbENKUlT_T0_E_clISt17integral_constantIbLb0EES13_EEDaSY_SZ_EUlSY_E_NS1_11comp_targetILNS1_3genE9ELNS1_11target_archE1100ELNS1_3gpuE3ELNS1_3repE0EEENS1_30default_config_static_selectorELNS0_4arch9wavefront6targetE0EEEvT1_.kd
    .uniform_work_group_size: 1
    .uses_dynamic_stack: false
    .vgpr_count:     0
    .vgpr_spill_count: 0
    .wavefront_size: 32
    .workgroup_processor_mode: 1
  - .args:
      - .offset:         0
        .size:           144
        .value_kind:     by_value
    .group_segment_fixed_size: 20480
    .kernarg_segment_align: 8
    .kernarg_segment_size: 144
    .language:       OpenCL C
    .language_version:
      - 2
      - 0
    .max_flat_workgroup_size: 256
    .name:           _ZN7rocprim17ROCPRIM_400000_NS6detail17trampoline_kernelINS0_14default_configENS1_27scan_by_key_config_selectorIj11FixedVectorIiLj4EEEEZZNS1_16scan_by_key_implILNS1_25lookback_scan_determinismE0ELb1ES3_N6thrust23THRUST_200600_302600_NS6detail15normal_iteratorINSB_10device_ptrIjEEEENSD_INSE_IS6_EEEESI_S6_NSB_4plusIvEENSB_8equal_toIvEES6_EE10hipError_tPvRmT2_T3_T4_T5_mT6_T7_P12ihipStream_tbENKUlT_T0_E_clISt17integral_constantIbLb0EES13_EEDaSY_SZ_EUlSY_E_NS1_11comp_targetILNS1_3genE8ELNS1_11target_archE1030ELNS1_3gpuE2ELNS1_3repE0EEENS1_30default_config_static_selectorELNS0_4arch9wavefront6targetE0EEEvT1_
    .private_segment_fixed_size: 320
    .sgpr_count:     51
    .sgpr_spill_count: 0
    .symbol:         _ZN7rocprim17ROCPRIM_400000_NS6detail17trampoline_kernelINS0_14default_configENS1_27scan_by_key_config_selectorIj11FixedVectorIiLj4EEEEZZNS1_16scan_by_key_implILNS1_25lookback_scan_determinismE0ELb1ES3_N6thrust23THRUST_200600_302600_NS6detail15normal_iteratorINSB_10device_ptrIjEEEENSD_INSE_IS6_EEEESI_S6_NSB_4plusIvEENSB_8equal_toIvEES6_EE10hipError_tPvRmT2_T3_T4_T5_mT6_T7_P12ihipStream_tbENKUlT_T0_E_clISt17integral_constantIbLb0EES13_EEDaSY_SZ_EUlSY_E_NS1_11comp_targetILNS1_3genE8ELNS1_11target_archE1030ELNS1_3gpuE2ELNS1_3repE0EEENS1_30default_config_static_selectorELNS0_4arch9wavefront6targetE0EEEvT1_.kd
    .uniform_work_group_size: 1
    .uses_dynamic_stack: false
    .vgpr_count:     34
    .vgpr_spill_count: 0
    .wavefront_size: 32
    .workgroup_processor_mode: 1
  - .args:
      - .offset:         0
        .size:           144
        .value_kind:     by_value
    .group_segment_fixed_size: 0
    .kernarg_segment_align: 8
    .kernarg_segment_size: 144
    .language:       OpenCL C
    .language_version:
      - 2
      - 0
    .max_flat_workgroup_size: 64
    .name:           _ZN7rocprim17ROCPRIM_400000_NS6detail17trampoline_kernelINS0_14default_configENS1_27scan_by_key_config_selectorIj11FixedVectorIiLj4EEEEZZNS1_16scan_by_key_implILNS1_25lookback_scan_determinismE0ELb1ES3_N6thrust23THRUST_200600_302600_NS6detail15normal_iteratorINSB_10device_ptrIjEEEENSD_INSE_IS6_EEEESI_S6_NSB_4plusIvEENSB_8equal_toIvEES6_EE10hipError_tPvRmT2_T3_T4_T5_mT6_T7_P12ihipStream_tbENKUlT_T0_E_clISt17integral_constantIbLb1EES13_EEDaSY_SZ_EUlSY_E_NS1_11comp_targetILNS1_3genE0ELNS1_11target_archE4294967295ELNS1_3gpuE0ELNS1_3repE0EEENS1_30default_config_static_selectorELNS0_4arch9wavefront6targetE0EEEvT1_
    .private_segment_fixed_size: 0
    .sgpr_count:     0
    .sgpr_spill_count: 0
    .symbol:         _ZN7rocprim17ROCPRIM_400000_NS6detail17trampoline_kernelINS0_14default_configENS1_27scan_by_key_config_selectorIj11FixedVectorIiLj4EEEEZZNS1_16scan_by_key_implILNS1_25lookback_scan_determinismE0ELb1ES3_N6thrust23THRUST_200600_302600_NS6detail15normal_iteratorINSB_10device_ptrIjEEEENSD_INSE_IS6_EEEESI_S6_NSB_4plusIvEENSB_8equal_toIvEES6_EE10hipError_tPvRmT2_T3_T4_T5_mT6_T7_P12ihipStream_tbENKUlT_T0_E_clISt17integral_constantIbLb1EES13_EEDaSY_SZ_EUlSY_E_NS1_11comp_targetILNS1_3genE0ELNS1_11target_archE4294967295ELNS1_3gpuE0ELNS1_3repE0EEENS1_30default_config_static_selectorELNS0_4arch9wavefront6targetE0EEEvT1_.kd
    .uniform_work_group_size: 1
    .uses_dynamic_stack: false
    .vgpr_count:     0
    .vgpr_spill_count: 0
    .wavefront_size: 32
    .workgroup_processor_mode: 1
  - .args:
      - .offset:         0
        .size:           144
        .value_kind:     by_value
    .group_segment_fixed_size: 0
    .kernarg_segment_align: 8
    .kernarg_segment_size: 144
    .language:       OpenCL C
    .language_version:
      - 2
      - 0
    .max_flat_workgroup_size: 256
    .name:           _ZN7rocprim17ROCPRIM_400000_NS6detail17trampoline_kernelINS0_14default_configENS1_27scan_by_key_config_selectorIj11FixedVectorIiLj4EEEEZZNS1_16scan_by_key_implILNS1_25lookback_scan_determinismE0ELb1ES3_N6thrust23THRUST_200600_302600_NS6detail15normal_iteratorINSB_10device_ptrIjEEEENSD_INSE_IS6_EEEESI_S6_NSB_4plusIvEENSB_8equal_toIvEES6_EE10hipError_tPvRmT2_T3_T4_T5_mT6_T7_P12ihipStream_tbENKUlT_T0_E_clISt17integral_constantIbLb1EES13_EEDaSY_SZ_EUlSY_E_NS1_11comp_targetILNS1_3genE10ELNS1_11target_archE1201ELNS1_3gpuE5ELNS1_3repE0EEENS1_30default_config_static_selectorELNS0_4arch9wavefront6targetE0EEEvT1_
    .private_segment_fixed_size: 0
    .sgpr_count:     0
    .sgpr_spill_count: 0
    .symbol:         _ZN7rocprim17ROCPRIM_400000_NS6detail17trampoline_kernelINS0_14default_configENS1_27scan_by_key_config_selectorIj11FixedVectorIiLj4EEEEZZNS1_16scan_by_key_implILNS1_25lookback_scan_determinismE0ELb1ES3_N6thrust23THRUST_200600_302600_NS6detail15normal_iteratorINSB_10device_ptrIjEEEENSD_INSE_IS6_EEEESI_S6_NSB_4plusIvEENSB_8equal_toIvEES6_EE10hipError_tPvRmT2_T3_T4_T5_mT6_T7_P12ihipStream_tbENKUlT_T0_E_clISt17integral_constantIbLb1EES13_EEDaSY_SZ_EUlSY_E_NS1_11comp_targetILNS1_3genE10ELNS1_11target_archE1201ELNS1_3gpuE5ELNS1_3repE0EEENS1_30default_config_static_selectorELNS0_4arch9wavefront6targetE0EEEvT1_.kd
    .uniform_work_group_size: 1
    .uses_dynamic_stack: false
    .vgpr_count:     0
    .vgpr_spill_count: 0
    .wavefront_size: 32
    .workgroup_processor_mode: 1
  - .args:
      - .offset:         0
        .size:           144
        .value_kind:     by_value
    .group_segment_fixed_size: 0
    .kernarg_segment_align: 8
    .kernarg_segment_size: 144
    .language:       OpenCL C
    .language_version:
      - 2
      - 0
    .max_flat_workgroup_size: 128
    .name:           _ZN7rocprim17ROCPRIM_400000_NS6detail17trampoline_kernelINS0_14default_configENS1_27scan_by_key_config_selectorIj11FixedVectorIiLj4EEEEZZNS1_16scan_by_key_implILNS1_25lookback_scan_determinismE0ELb1ES3_N6thrust23THRUST_200600_302600_NS6detail15normal_iteratorINSB_10device_ptrIjEEEENSD_INSE_IS6_EEEESI_S6_NSB_4plusIvEENSB_8equal_toIvEES6_EE10hipError_tPvRmT2_T3_T4_T5_mT6_T7_P12ihipStream_tbENKUlT_T0_E_clISt17integral_constantIbLb1EES13_EEDaSY_SZ_EUlSY_E_NS1_11comp_targetILNS1_3genE5ELNS1_11target_archE942ELNS1_3gpuE9ELNS1_3repE0EEENS1_30default_config_static_selectorELNS0_4arch9wavefront6targetE0EEEvT1_
    .private_segment_fixed_size: 0
    .sgpr_count:     0
    .sgpr_spill_count: 0
    .symbol:         _ZN7rocprim17ROCPRIM_400000_NS6detail17trampoline_kernelINS0_14default_configENS1_27scan_by_key_config_selectorIj11FixedVectorIiLj4EEEEZZNS1_16scan_by_key_implILNS1_25lookback_scan_determinismE0ELb1ES3_N6thrust23THRUST_200600_302600_NS6detail15normal_iteratorINSB_10device_ptrIjEEEENSD_INSE_IS6_EEEESI_S6_NSB_4plusIvEENSB_8equal_toIvEES6_EE10hipError_tPvRmT2_T3_T4_T5_mT6_T7_P12ihipStream_tbENKUlT_T0_E_clISt17integral_constantIbLb1EES13_EEDaSY_SZ_EUlSY_E_NS1_11comp_targetILNS1_3genE5ELNS1_11target_archE942ELNS1_3gpuE9ELNS1_3repE0EEENS1_30default_config_static_selectorELNS0_4arch9wavefront6targetE0EEEvT1_.kd
    .uniform_work_group_size: 1
    .uses_dynamic_stack: false
    .vgpr_count:     0
    .vgpr_spill_count: 0
    .wavefront_size: 32
    .workgroup_processor_mode: 1
  - .args:
      - .offset:         0
        .size:           144
        .value_kind:     by_value
    .group_segment_fixed_size: 0
    .kernarg_segment_align: 8
    .kernarg_segment_size: 144
    .language:       OpenCL C
    .language_version:
      - 2
      - 0
    .max_flat_workgroup_size: 256
    .name:           _ZN7rocprim17ROCPRIM_400000_NS6detail17trampoline_kernelINS0_14default_configENS1_27scan_by_key_config_selectorIj11FixedVectorIiLj4EEEEZZNS1_16scan_by_key_implILNS1_25lookback_scan_determinismE0ELb1ES3_N6thrust23THRUST_200600_302600_NS6detail15normal_iteratorINSB_10device_ptrIjEEEENSD_INSE_IS6_EEEESI_S6_NSB_4plusIvEENSB_8equal_toIvEES6_EE10hipError_tPvRmT2_T3_T4_T5_mT6_T7_P12ihipStream_tbENKUlT_T0_E_clISt17integral_constantIbLb1EES13_EEDaSY_SZ_EUlSY_E_NS1_11comp_targetILNS1_3genE4ELNS1_11target_archE910ELNS1_3gpuE8ELNS1_3repE0EEENS1_30default_config_static_selectorELNS0_4arch9wavefront6targetE0EEEvT1_
    .private_segment_fixed_size: 0
    .sgpr_count:     0
    .sgpr_spill_count: 0
    .symbol:         _ZN7rocprim17ROCPRIM_400000_NS6detail17trampoline_kernelINS0_14default_configENS1_27scan_by_key_config_selectorIj11FixedVectorIiLj4EEEEZZNS1_16scan_by_key_implILNS1_25lookback_scan_determinismE0ELb1ES3_N6thrust23THRUST_200600_302600_NS6detail15normal_iteratorINSB_10device_ptrIjEEEENSD_INSE_IS6_EEEESI_S6_NSB_4plusIvEENSB_8equal_toIvEES6_EE10hipError_tPvRmT2_T3_T4_T5_mT6_T7_P12ihipStream_tbENKUlT_T0_E_clISt17integral_constantIbLb1EES13_EEDaSY_SZ_EUlSY_E_NS1_11comp_targetILNS1_3genE4ELNS1_11target_archE910ELNS1_3gpuE8ELNS1_3repE0EEENS1_30default_config_static_selectorELNS0_4arch9wavefront6targetE0EEEvT1_.kd
    .uniform_work_group_size: 1
    .uses_dynamic_stack: false
    .vgpr_count:     0
    .vgpr_spill_count: 0
    .wavefront_size: 32
    .workgroup_processor_mode: 1
  - .args:
      - .offset:         0
        .size:           144
        .value_kind:     by_value
    .group_segment_fixed_size: 0
    .kernarg_segment_align: 8
    .kernarg_segment_size: 144
    .language:       OpenCL C
    .language_version:
      - 2
      - 0
    .max_flat_workgroup_size: 64
    .name:           _ZN7rocprim17ROCPRIM_400000_NS6detail17trampoline_kernelINS0_14default_configENS1_27scan_by_key_config_selectorIj11FixedVectorIiLj4EEEEZZNS1_16scan_by_key_implILNS1_25lookback_scan_determinismE0ELb1ES3_N6thrust23THRUST_200600_302600_NS6detail15normal_iteratorINSB_10device_ptrIjEEEENSD_INSE_IS6_EEEESI_S6_NSB_4plusIvEENSB_8equal_toIvEES6_EE10hipError_tPvRmT2_T3_T4_T5_mT6_T7_P12ihipStream_tbENKUlT_T0_E_clISt17integral_constantIbLb1EES13_EEDaSY_SZ_EUlSY_E_NS1_11comp_targetILNS1_3genE3ELNS1_11target_archE908ELNS1_3gpuE7ELNS1_3repE0EEENS1_30default_config_static_selectorELNS0_4arch9wavefront6targetE0EEEvT1_
    .private_segment_fixed_size: 0
    .sgpr_count:     0
    .sgpr_spill_count: 0
    .symbol:         _ZN7rocprim17ROCPRIM_400000_NS6detail17trampoline_kernelINS0_14default_configENS1_27scan_by_key_config_selectorIj11FixedVectorIiLj4EEEEZZNS1_16scan_by_key_implILNS1_25lookback_scan_determinismE0ELb1ES3_N6thrust23THRUST_200600_302600_NS6detail15normal_iteratorINSB_10device_ptrIjEEEENSD_INSE_IS6_EEEESI_S6_NSB_4plusIvEENSB_8equal_toIvEES6_EE10hipError_tPvRmT2_T3_T4_T5_mT6_T7_P12ihipStream_tbENKUlT_T0_E_clISt17integral_constantIbLb1EES13_EEDaSY_SZ_EUlSY_E_NS1_11comp_targetILNS1_3genE3ELNS1_11target_archE908ELNS1_3gpuE7ELNS1_3repE0EEENS1_30default_config_static_selectorELNS0_4arch9wavefront6targetE0EEEvT1_.kd
    .uniform_work_group_size: 1
    .uses_dynamic_stack: false
    .vgpr_count:     0
    .vgpr_spill_count: 0
    .wavefront_size: 32
    .workgroup_processor_mode: 1
  - .args:
      - .offset:         0
        .size:           144
        .value_kind:     by_value
    .group_segment_fixed_size: 0
    .kernarg_segment_align: 8
    .kernarg_segment_size: 144
    .language:       OpenCL C
    .language_version:
      - 2
      - 0
    .max_flat_workgroup_size: 256
    .name:           _ZN7rocprim17ROCPRIM_400000_NS6detail17trampoline_kernelINS0_14default_configENS1_27scan_by_key_config_selectorIj11FixedVectorIiLj4EEEEZZNS1_16scan_by_key_implILNS1_25lookback_scan_determinismE0ELb1ES3_N6thrust23THRUST_200600_302600_NS6detail15normal_iteratorINSB_10device_ptrIjEEEENSD_INSE_IS6_EEEESI_S6_NSB_4plusIvEENSB_8equal_toIvEES6_EE10hipError_tPvRmT2_T3_T4_T5_mT6_T7_P12ihipStream_tbENKUlT_T0_E_clISt17integral_constantIbLb1EES13_EEDaSY_SZ_EUlSY_E_NS1_11comp_targetILNS1_3genE2ELNS1_11target_archE906ELNS1_3gpuE6ELNS1_3repE0EEENS1_30default_config_static_selectorELNS0_4arch9wavefront6targetE0EEEvT1_
    .private_segment_fixed_size: 0
    .sgpr_count:     0
    .sgpr_spill_count: 0
    .symbol:         _ZN7rocprim17ROCPRIM_400000_NS6detail17trampoline_kernelINS0_14default_configENS1_27scan_by_key_config_selectorIj11FixedVectorIiLj4EEEEZZNS1_16scan_by_key_implILNS1_25lookback_scan_determinismE0ELb1ES3_N6thrust23THRUST_200600_302600_NS6detail15normal_iteratorINSB_10device_ptrIjEEEENSD_INSE_IS6_EEEESI_S6_NSB_4plusIvEENSB_8equal_toIvEES6_EE10hipError_tPvRmT2_T3_T4_T5_mT6_T7_P12ihipStream_tbENKUlT_T0_E_clISt17integral_constantIbLb1EES13_EEDaSY_SZ_EUlSY_E_NS1_11comp_targetILNS1_3genE2ELNS1_11target_archE906ELNS1_3gpuE6ELNS1_3repE0EEENS1_30default_config_static_selectorELNS0_4arch9wavefront6targetE0EEEvT1_.kd
    .uniform_work_group_size: 1
    .uses_dynamic_stack: false
    .vgpr_count:     0
    .vgpr_spill_count: 0
    .wavefront_size: 32
    .workgroup_processor_mode: 1
  - .args:
      - .offset:         0
        .size:           144
        .value_kind:     by_value
    .group_segment_fixed_size: 0
    .kernarg_segment_align: 8
    .kernarg_segment_size: 144
    .language:       OpenCL C
    .language_version:
      - 2
      - 0
    .max_flat_workgroup_size: 256
    .name:           _ZN7rocprim17ROCPRIM_400000_NS6detail17trampoline_kernelINS0_14default_configENS1_27scan_by_key_config_selectorIj11FixedVectorIiLj4EEEEZZNS1_16scan_by_key_implILNS1_25lookback_scan_determinismE0ELb1ES3_N6thrust23THRUST_200600_302600_NS6detail15normal_iteratorINSB_10device_ptrIjEEEENSD_INSE_IS6_EEEESI_S6_NSB_4plusIvEENSB_8equal_toIvEES6_EE10hipError_tPvRmT2_T3_T4_T5_mT6_T7_P12ihipStream_tbENKUlT_T0_E_clISt17integral_constantIbLb1EES13_EEDaSY_SZ_EUlSY_E_NS1_11comp_targetILNS1_3genE10ELNS1_11target_archE1200ELNS1_3gpuE4ELNS1_3repE0EEENS1_30default_config_static_selectorELNS0_4arch9wavefront6targetE0EEEvT1_
    .private_segment_fixed_size: 0
    .sgpr_count:     0
    .sgpr_spill_count: 0
    .symbol:         _ZN7rocprim17ROCPRIM_400000_NS6detail17trampoline_kernelINS0_14default_configENS1_27scan_by_key_config_selectorIj11FixedVectorIiLj4EEEEZZNS1_16scan_by_key_implILNS1_25lookback_scan_determinismE0ELb1ES3_N6thrust23THRUST_200600_302600_NS6detail15normal_iteratorINSB_10device_ptrIjEEEENSD_INSE_IS6_EEEESI_S6_NSB_4plusIvEENSB_8equal_toIvEES6_EE10hipError_tPvRmT2_T3_T4_T5_mT6_T7_P12ihipStream_tbENKUlT_T0_E_clISt17integral_constantIbLb1EES13_EEDaSY_SZ_EUlSY_E_NS1_11comp_targetILNS1_3genE10ELNS1_11target_archE1200ELNS1_3gpuE4ELNS1_3repE0EEENS1_30default_config_static_selectorELNS0_4arch9wavefront6targetE0EEEvT1_.kd
    .uniform_work_group_size: 1
    .uses_dynamic_stack: false
    .vgpr_count:     0
    .vgpr_spill_count: 0
    .wavefront_size: 32
    .workgroup_processor_mode: 1
  - .args:
      - .offset:         0
        .size:           144
        .value_kind:     by_value
    .group_segment_fixed_size: 0
    .kernarg_segment_align: 8
    .kernarg_segment_size: 144
    .language:       OpenCL C
    .language_version:
      - 2
      - 0
    .max_flat_workgroup_size: 256
    .name:           _ZN7rocprim17ROCPRIM_400000_NS6detail17trampoline_kernelINS0_14default_configENS1_27scan_by_key_config_selectorIj11FixedVectorIiLj4EEEEZZNS1_16scan_by_key_implILNS1_25lookback_scan_determinismE0ELb1ES3_N6thrust23THRUST_200600_302600_NS6detail15normal_iteratorINSB_10device_ptrIjEEEENSD_INSE_IS6_EEEESI_S6_NSB_4plusIvEENSB_8equal_toIvEES6_EE10hipError_tPvRmT2_T3_T4_T5_mT6_T7_P12ihipStream_tbENKUlT_T0_E_clISt17integral_constantIbLb1EES13_EEDaSY_SZ_EUlSY_E_NS1_11comp_targetILNS1_3genE9ELNS1_11target_archE1100ELNS1_3gpuE3ELNS1_3repE0EEENS1_30default_config_static_selectorELNS0_4arch9wavefront6targetE0EEEvT1_
    .private_segment_fixed_size: 0
    .sgpr_count:     0
    .sgpr_spill_count: 0
    .symbol:         _ZN7rocprim17ROCPRIM_400000_NS6detail17trampoline_kernelINS0_14default_configENS1_27scan_by_key_config_selectorIj11FixedVectorIiLj4EEEEZZNS1_16scan_by_key_implILNS1_25lookback_scan_determinismE0ELb1ES3_N6thrust23THRUST_200600_302600_NS6detail15normal_iteratorINSB_10device_ptrIjEEEENSD_INSE_IS6_EEEESI_S6_NSB_4plusIvEENSB_8equal_toIvEES6_EE10hipError_tPvRmT2_T3_T4_T5_mT6_T7_P12ihipStream_tbENKUlT_T0_E_clISt17integral_constantIbLb1EES13_EEDaSY_SZ_EUlSY_E_NS1_11comp_targetILNS1_3genE9ELNS1_11target_archE1100ELNS1_3gpuE3ELNS1_3repE0EEENS1_30default_config_static_selectorELNS0_4arch9wavefront6targetE0EEEvT1_.kd
    .uniform_work_group_size: 1
    .uses_dynamic_stack: false
    .vgpr_count:     0
    .vgpr_spill_count: 0
    .wavefront_size: 32
    .workgroup_processor_mode: 1
  - .args:
      - .offset:         0
        .size:           144
        .value_kind:     by_value
    .group_segment_fixed_size: 0
    .kernarg_segment_align: 8
    .kernarg_segment_size: 144
    .language:       OpenCL C
    .language_version:
      - 2
      - 0
    .max_flat_workgroup_size: 256
    .name:           _ZN7rocprim17ROCPRIM_400000_NS6detail17trampoline_kernelINS0_14default_configENS1_27scan_by_key_config_selectorIj11FixedVectorIiLj4EEEEZZNS1_16scan_by_key_implILNS1_25lookback_scan_determinismE0ELb1ES3_N6thrust23THRUST_200600_302600_NS6detail15normal_iteratorINSB_10device_ptrIjEEEENSD_INSE_IS6_EEEESI_S6_NSB_4plusIvEENSB_8equal_toIvEES6_EE10hipError_tPvRmT2_T3_T4_T5_mT6_T7_P12ihipStream_tbENKUlT_T0_E_clISt17integral_constantIbLb1EES13_EEDaSY_SZ_EUlSY_E_NS1_11comp_targetILNS1_3genE8ELNS1_11target_archE1030ELNS1_3gpuE2ELNS1_3repE0EEENS1_30default_config_static_selectorELNS0_4arch9wavefront6targetE0EEEvT1_
    .private_segment_fixed_size: 0
    .sgpr_count:     0
    .sgpr_spill_count: 0
    .symbol:         _ZN7rocprim17ROCPRIM_400000_NS6detail17trampoline_kernelINS0_14default_configENS1_27scan_by_key_config_selectorIj11FixedVectorIiLj4EEEEZZNS1_16scan_by_key_implILNS1_25lookback_scan_determinismE0ELb1ES3_N6thrust23THRUST_200600_302600_NS6detail15normal_iteratorINSB_10device_ptrIjEEEENSD_INSE_IS6_EEEESI_S6_NSB_4plusIvEENSB_8equal_toIvEES6_EE10hipError_tPvRmT2_T3_T4_T5_mT6_T7_P12ihipStream_tbENKUlT_T0_E_clISt17integral_constantIbLb1EES13_EEDaSY_SZ_EUlSY_E_NS1_11comp_targetILNS1_3genE8ELNS1_11target_archE1030ELNS1_3gpuE2ELNS1_3repE0EEENS1_30default_config_static_selectorELNS0_4arch9wavefront6targetE0EEEvT1_.kd
    .uniform_work_group_size: 1
    .uses_dynamic_stack: false
    .vgpr_count:     0
    .vgpr_spill_count: 0
    .wavefront_size: 32
    .workgroup_processor_mode: 1
  - .args:
      - .offset:         0
        .size:           144
        .value_kind:     by_value
    .group_segment_fixed_size: 0
    .kernarg_segment_align: 8
    .kernarg_segment_size: 144
    .language:       OpenCL C
    .language_version:
      - 2
      - 0
    .max_flat_workgroup_size: 64
    .name:           _ZN7rocprim17ROCPRIM_400000_NS6detail17trampoline_kernelINS0_14default_configENS1_27scan_by_key_config_selectorIj11FixedVectorIiLj4EEEEZZNS1_16scan_by_key_implILNS1_25lookback_scan_determinismE0ELb1ES3_N6thrust23THRUST_200600_302600_NS6detail15normal_iteratorINSB_10device_ptrIjEEEENSD_INSE_IS6_EEEESI_S6_NSB_4plusIvEENSB_8equal_toIvEES6_EE10hipError_tPvRmT2_T3_T4_T5_mT6_T7_P12ihipStream_tbENKUlT_T0_E_clISt17integral_constantIbLb1EES12_IbLb0EEEEDaSY_SZ_EUlSY_E_NS1_11comp_targetILNS1_3genE0ELNS1_11target_archE4294967295ELNS1_3gpuE0ELNS1_3repE0EEENS1_30default_config_static_selectorELNS0_4arch9wavefront6targetE0EEEvT1_
    .private_segment_fixed_size: 0
    .sgpr_count:     0
    .sgpr_spill_count: 0
    .symbol:         _ZN7rocprim17ROCPRIM_400000_NS6detail17trampoline_kernelINS0_14default_configENS1_27scan_by_key_config_selectorIj11FixedVectorIiLj4EEEEZZNS1_16scan_by_key_implILNS1_25lookback_scan_determinismE0ELb1ES3_N6thrust23THRUST_200600_302600_NS6detail15normal_iteratorINSB_10device_ptrIjEEEENSD_INSE_IS6_EEEESI_S6_NSB_4plusIvEENSB_8equal_toIvEES6_EE10hipError_tPvRmT2_T3_T4_T5_mT6_T7_P12ihipStream_tbENKUlT_T0_E_clISt17integral_constantIbLb1EES12_IbLb0EEEEDaSY_SZ_EUlSY_E_NS1_11comp_targetILNS1_3genE0ELNS1_11target_archE4294967295ELNS1_3gpuE0ELNS1_3repE0EEENS1_30default_config_static_selectorELNS0_4arch9wavefront6targetE0EEEvT1_.kd
    .uniform_work_group_size: 1
    .uses_dynamic_stack: false
    .vgpr_count:     0
    .vgpr_spill_count: 0
    .wavefront_size: 32
    .workgroup_processor_mode: 1
  - .args:
      - .offset:         0
        .size:           144
        .value_kind:     by_value
    .group_segment_fixed_size: 0
    .kernarg_segment_align: 8
    .kernarg_segment_size: 144
    .language:       OpenCL C
    .language_version:
      - 2
      - 0
    .max_flat_workgroup_size: 256
    .name:           _ZN7rocprim17ROCPRIM_400000_NS6detail17trampoline_kernelINS0_14default_configENS1_27scan_by_key_config_selectorIj11FixedVectorIiLj4EEEEZZNS1_16scan_by_key_implILNS1_25lookback_scan_determinismE0ELb1ES3_N6thrust23THRUST_200600_302600_NS6detail15normal_iteratorINSB_10device_ptrIjEEEENSD_INSE_IS6_EEEESI_S6_NSB_4plusIvEENSB_8equal_toIvEES6_EE10hipError_tPvRmT2_T3_T4_T5_mT6_T7_P12ihipStream_tbENKUlT_T0_E_clISt17integral_constantIbLb1EES12_IbLb0EEEEDaSY_SZ_EUlSY_E_NS1_11comp_targetILNS1_3genE10ELNS1_11target_archE1201ELNS1_3gpuE5ELNS1_3repE0EEENS1_30default_config_static_selectorELNS0_4arch9wavefront6targetE0EEEvT1_
    .private_segment_fixed_size: 0
    .sgpr_count:     0
    .sgpr_spill_count: 0
    .symbol:         _ZN7rocprim17ROCPRIM_400000_NS6detail17trampoline_kernelINS0_14default_configENS1_27scan_by_key_config_selectorIj11FixedVectorIiLj4EEEEZZNS1_16scan_by_key_implILNS1_25lookback_scan_determinismE0ELb1ES3_N6thrust23THRUST_200600_302600_NS6detail15normal_iteratorINSB_10device_ptrIjEEEENSD_INSE_IS6_EEEESI_S6_NSB_4plusIvEENSB_8equal_toIvEES6_EE10hipError_tPvRmT2_T3_T4_T5_mT6_T7_P12ihipStream_tbENKUlT_T0_E_clISt17integral_constantIbLb1EES12_IbLb0EEEEDaSY_SZ_EUlSY_E_NS1_11comp_targetILNS1_3genE10ELNS1_11target_archE1201ELNS1_3gpuE5ELNS1_3repE0EEENS1_30default_config_static_selectorELNS0_4arch9wavefront6targetE0EEEvT1_.kd
    .uniform_work_group_size: 1
    .uses_dynamic_stack: false
    .vgpr_count:     0
    .vgpr_spill_count: 0
    .wavefront_size: 32
    .workgroup_processor_mode: 1
  - .args:
      - .offset:         0
        .size:           144
        .value_kind:     by_value
    .group_segment_fixed_size: 0
    .kernarg_segment_align: 8
    .kernarg_segment_size: 144
    .language:       OpenCL C
    .language_version:
      - 2
      - 0
    .max_flat_workgroup_size: 128
    .name:           _ZN7rocprim17ROCPRIM_400000_NS6detail17trampoline_kernelINS0_14default_configENS1_27scan_by_key_config_selectorIj11FixedVectorIiLj4EEEEZZNS1_16scan_by_key_implILNS1_25lookback_scan_determinismE0ELb1ES3_N6thrust23THRUST_200600_302600_NS6detail15normal_iteratorINSB_10device_ptrIjEEEENSD_INSE_IS6_EEEESI_S6_NSB_4plusIvEENSB_8equal_toIvEES6_EE10hipError_tPvRmT2_T3_T4_T5_mT6_T7_P12ihipStream_tbENKUlT_T0_E_clISt17integral_constantIbLb1EES12_IbLb0EEEEDaSY_SZ_EUlSY_E_NS1_11comp_targetILNS1_3genE5ELNS1_11target_archE942ELNS1_3gpuE9ELNS1_3repE0EEENS1_30default_config_static_selectorELNS0_4arch9wavefront6targetE0EEEvT1_
    .private_segment_fixed_size: 0
    .sgpr_count:     0
    .sgpr_spill_count: 0
    .symbol:         _ZN7rocprim17ROCPRIM_400000_NS6detail17trampoline_kernelINS0_14default_configENS1_27scan_by_key_config_selectorIj11FixedVectorIiLj4EEEEZZNS1_16scan_by_key_implILNS1_25lookback_scan_determinismE0ELb1ES3_N6thrust23THRUST_200600_302600_NS6detail15normal_iteratorINSB_10device_ptrIjEEEENSD_INSE_IS6_EEEESI_S6_NSB_4plusIvEENSB_8equal_toIvEES6_EE10hipError_tPvRmT2_T3_T4_T5_mT6_T7_P12ihipStream_tbENKUlT_T0_E_clISt17integral_constantIbLb1EES12_IbLb0EEEEDaSY_SZ_EUlSY_E_NS1_11comp_targetILNS1_3genE5ELNS1_11target_archE942ELNS1_3gpuE9ELNS1_3repE0EEENS1_30default_config_static_selectorELNS0_4arch9wavefront6targetE0EEEvT1_.kd
    .uniform_work_group_size: 1
    .uses_dynamic_stack: false
    .vgpr_count:     0
    .vgpr_spill_count: 0
    .wavefront_size: 32
    .workgroup_processor_mode: 1
  - .args:
      - .offset:         0
        .size:           144
        .value_kind:     by_value
    .group_segment_fixed_size: 0
    .kernarg_segment_align: 8
    .kernarg_segment_size: 144
    .language:       OpenCL C
    .language_version:
      - 2
      - 0
    .max_flat_workgroup_size: 256
    .name:           _ZN7rocprim17ROCPRIM_400000_NS6detail17trampoline_kernelINS0_14default_configENS1_27scan_by_key_config_selectorIj11FixedVectorIiLj4EEEEZZNS1_16scan_by_key_implILNS1_25lookback_scan_determinismE0ELb1ES3_N6thrust23THRUST_200600_302600_NS6detail15normal_iteratorINSB_10device_ptrIjEEEENSD_INSE_IS6_EEEESI_S6_NSB_4plusIvEENSB_8equal_toIvEES6_EE10hipError_tPvRmT2_T3_T4_T5_mT6_T7_P12ihipStream_tbENKUlT_T0_E_clISt17integral_constantIbLb1EES12_IbLb0EEEEDaSY_SZ_EUlSY_E_NS1_11comp_targetILNS1_3genE4ELNS1_11target_archE910ELNS1_3gpuE8ELNS1_3repE0EEENS1_30default_config_static_selectorELNS0_4arch9wavefront6targetE0EEEvT1_
    .private_segment_fixed_size: 0
    .sgpr_count:     0
    .sgpr_spill_count: 0
    .symbol:         _ZN7rocprim17ROCPRIM_400000_NS6detail17trampoline_kernelINS0_14default_configENS1_27scan_by_key_config_selectorIj11FixedVectorIiLj4EEEEZZNS1_16scan_by_key_implILNS1_25lookback_scan_determinismE0ELb1ES3_N6thrust23THRUST_200600_302600_NS6detail15normal_iteratorINSB_10device_ptrIjEEEENSD_INSE_IS6_EEEESI_S6_NSB_4plusIvEENSB_8equal_toIvEES6_EE10hipError_tPvRmT2_T3_T4_T5_mT6_T7_P12ihipStream_tbENKUlT_T0_E_clISt17integral_constantIbLb1EES12_IbLb0EEEEDaSY_SZ_EUlSY_E_NS1_11comp_targetILNS1_3genE4ELNS1_11target_archE910ELNS1_3gpuE8ELNS1_3repE0EEENS1_30default_config_static_selectorELNS0_4arch9wavefront6targetE0EEEvT1_.kd
    .uniform_work_group_size: 1
    .uses_dynamic_stack: false
    .vgpr_count:     0
    .vgpr_spill_count: 0
    .wavefront_size: 32
    .workgroup_processor_mode: 1
  - .args:
      - .offset:         0
        .size:           144
        .value_kind:     by_value
    .group_segment_fixed_size: 0
    .kernarg_segment_align: 8
    .kernarg_segment_size: 144
    .language:       OpenCL C
    .language_version:
      - 2
      - 0
    .max_flat_workgroup_size: 64
    .name:           _ZN7rocprim17ROCPRIM_400000_NS6detail17trampoline_kernelINS0_14default_configENS1_27scan_by_key_config_selectorIj11FixedVectorIiLj4EEEEZZNS1_16scan_by_key_implILNS1_25lookback_scan_determinismE0ELb1ES3_N6thrust23THRUST_200600_302600_NS6detail15normal_iteratorINSB_10device_ptrIjEEEENSD_INSE_IS6_EEEESI_S6_NSB_4plusIvEENSB_8equal_toIvEES6_EE10hipError_tPvRmT2_T3_T4_T5_mT6_T7_P12ihipStream_tbENKUlT_T0_E_clISt17integral_constantIbLb1EES12_IbLb0EEEEDaSY_SZ_EUlSY_E_NS1_11comp_targetILNS1_3genE3ELNS1_11target_archE908ELNS1_3gpuE7ELNS1_3repE0EEENS1_30default_config_static_selectorELNS0_4arch9wavefront6targetE0EEEvT1_
    .private_segment_fixed_size: 0
    .sgpr_count:     0
    .sgpr_spill_count: 0
    .symbol:         _ZN7rocprim17ROCPRIM_400000_NS6detail17trampoline_kernelINS0_14default_configENS1_27scan_by_key_config_selectorIj11FixedVectorIiLj4EEEEZZNS1_16scan_by_key_implILNS1_25lookback_scan_determinismE0ELb1ES3_N6thrust23THRUST_200600_302600_NS6detail15normal_iteratorINSB_10device_ptrIjEEEENSD_INSE_IS6_EEEESI_S6_NSB_4plusIvEENSB_8equal_toIvEES6_EE10hipError_tPvRmT2_T3_T4_T5_mT6_T7_P12ihipStream_tbENKUlT_T0_E_clISt17integral_constantIbLb1EES12_IbLb0EEEEDaSY_SZ_EUlSY_E_NS1_11comp_targetILNS1_3genE3ELNS1_11target_archE908ELNS1_3gpuE7ELNS1_3repE0EEENS1_30default_config_static_selectorELNS0_4arch9wavefront6targetE0EEEvT1_.kd
    .uniform_work_group_size: 1
    .uses_dynamic_stack: false
    .vgpr_count:     0
    .vgpr_spill_count: 0
    .wavefront_size: 32
    .workgroup_processor_mode: 1
  - .args:
      - .offset:         0
        .size:           144
        .value_kind:     by_value
    .group_segment_fixed_size: 0
    .kernarg_segment_align: 8
    .kernarg_segment_size: 144
    .language:       OpenCL C
    .language_version:
      - 2
      - 0
    .max_flat_workgroup_size: 256
    .name:           _ZN7rocprim17ROCPRIM_400000_NS6detail17trampoline_kernelINS0_14default_configENS1_27scan_by_key_config_selectorIj11FixedVectorIiLj4EEEEZZNS1_16scan_by_key_implILNS1_25lookback_scan_determinismE0ELb1ES3_N6thrust23THRUST_200600_302600_NS6detail15normal_iteratorINSB_10device_ptrIjEEEENSD_INSE_IS6_EEEESI_S6_NSB_4plusIvEENSB_8equal_toIvEES6_EE10hipError_tPvRmT2_T3_T4_T5_mT6_T7_P12ihipStream_tbENKUlT_T0_E_clISt17integral_constantIbLb1EES12_IbLb0EEEEDaSY_SZ_EUlSY_E_NS1_11comp_targetILNS1_3genE2ELNS1_11target_archE906ELNS1_3gpuE6ELNS1_3repE0EEENS1_30default_config_static_selectorELNS0_4arch9wavefront6targetE0EEEvT1_
    .private_segment_fixed_size: 0
    .sgpr_count:     0
    .sgpr_spill_count: 0
    .symbol:         _ZN7rocprim17ROCPRIM_400000_NS6detail17trampoline_kernelINS0_14default_configENS1_27scan_by_key_config_selectorIj11FixedVectorIiLj4EEEEZZNS1_16scan_by_key_implILNS1_25lookback_scan_determinismE0ELb1ES3_N6thrust23THRUST_200600_302600_NS6detail15normal_iteratorINSB_10device_ptrIjEEEENSD_INSE_IS6_EEEESI_S6_NSB_4plusIvEENSB_8equal_toIvEES6_EE10hipError_tPvRmT2_T3_T4_T5_mT6_T7_P12ihipStream_tbENKUlT_T0_E_clISt17integral_constantIbLb1EES12_IbLb0EEEEDaSY_SZ_EUlSY_E_NS1_11comp_targetILNS1_3genE2ELNS1_11target_archE906ELNS1_3gpuE6ELNS1_3repE0EEENS1_30default_config_static_selectorELNS0_4arch9wavefront6targetE0EEEvT1_.kd
    .uniform_work_group_size: 1
    .uses_dynamic_stack: false
    .vgpr_count:     0
    .vgpr_spill_count: 0
    .wavefront_size: 32
    .workgroup_processor_mode: 1
  - .args:
      - .offset:         0
        .size:           144
        .value_kind:     by_value
    .group_segment_fixed_size: 0
    .kernarg_segment_align: 8
    .kernarg_segment_size: 144
    .language:       OpenCL C
    .language_version:
      - 2
      - 0
    .max_flat_workgroup_size: 256
    .name:           _ZN7rocprim17ROCPRIM_400000_NS6detail17trampoline_kernelINS0_14default_configENS1_27scan_by_key_config_selectorIj11FixedVectorIiLj4EEEEZZNS1_16scan_by_key_implILNS1_25lookback_scan_determinismE0ELb1ES3_N6thrust23THRUST_200600_302600_NS6detail15normal_iteratorINSB_10device_ptrIjEEEENSD_INSE_IS6_EEEESI_S6_NSB_4plusIvEENSB_8equal_toIvEES6_EE10hipError_tPvRmT2_T3_T4_T5_mT6_T7_P12ihipStream_tbENKUlT_T0_E_clISt17integral_constantIbLb1EES12_IbLb0EEEEDaSY_SZ_EUlSY_E_NS1_11comp_targetILNS1_3genE10ELNS1_11target_archE1200ELNS1_3gpuE4ELNS1_3repE0EEENS1_30default_config_static_selectorELNS0_4arch9wavefront6targetE0EEEvT1_
    .private_segment_fixed_size: 0
    .sgpr_count:     0
    .sgpr_spill_count: 0
    .symbol:         _ZN7rocprim17ROCPRIM_400000_NS6detail17trampoline_kernelINS0_14default_configENS1_27scan_by_key_config_selectorIj11FixedVectorIiLj4EEEEZZNS1_16scan_by_key_implILNS1_25lookback_scan_determinismE0ELb1ES3_N6thrust23THRUST_200600_302600_NS6detail15normal_iteratorINSB_10device_ptrIjEEEENSD_INSE_IS6_EEEESI_S6_NSB_4plusIvEENSB_8equal_toIvEES6_EE10hipError_tPvRmT2_T3_T4_T5_mT6_T7_P12ihipStream_tbENKUlT_T0_E_clISt17integral_constantIbLb1EES12_IbLb0EEEEDaSY_SZ_EUlSY_E_NS1_11comp_targetILNS1_3genE10ELNS1_11target_archE1200ELNS1_3gpuE4ELNS1_3repE0EEENS1_30default_config_static_selectorELNS0_4arch9wavefront6targetE0EEEvT1_.kd
    .uniform_work_group_size: 1
    .uses_dynamic_stack: false
    .vgpr_count:     0
    .vgpr_spill_count: 0
    .wavefront_size: 32
    .workgroup_processor_mode: 1
  - .args:
      - .offset:         0
        .size:           144
        .value_kind:     by_value
    .group_segment_fixed_size: 0
    .kernarg_segment_align: 8
    .kernarg_segment_size: 144
    .language:       OpenCL C
    .language_version:
      - 2
      - 0
    .max_flat_workgroup_size: 256
    .name:           _ZN7rocprim17ROCPRIM_400000_NS6detail17trampoline_kernelINS0_14default_configENS1_27scan_by_key_config_selectorIj11FixedVectorIiLj4EEEEZZNS1_16scan_by_key_implILNS1_25lookback_scan_determinismE0ELb1ES3_N6thrust23THRUST_200600_302600_NS6detail15normal_iteratorINSB_10device_ptrIjEEEENSD_INSE_IS6_EEEESI_S6_NSB_4plusIvEENSB_8equal_toIvEES6_EE10hipError_tPvRmT2_T3_T4_T5_mT6_T7_P12ihipStream_tbENKUlT_T0_E_clISt17integral_constantIbLb1EES12_IbLb0EEEEDaSY_SZ_EUlSY_E_NS1_11comp_targetILNS1_3genE9ELNS1_11target_archE1100ELNS1_3gpuE3ELNS1_3repE0EEENS1_30default_config_static_selectorELNS0_4arch9wavefront6targetE0EEEvT1_
    .private_segment_fixed_size: 0
    .sgpr_count:     0
    .sgpr_spill_count: 0
    .symbol:         _ZN7rocprim17ROCPRIM_400000_NS6detail17trampoline_kernelINS0_14default_configENS1_27scan_by_key_config_selectorIj11FixedVectorIiLj4EEEEZZNS1_16scan_by_key_implILNS1_25lookback_scan_determinismE0ELb1ES3_N6thrust23THRUST_200600_302600_NS6detail15normal_iteratorINSB_10device_ptrIjEEEENSD_INSE_IS6_EEEESI_S6_NSB_4plusIvEENSB_8equal_toIvEES6_EE10hipError_tPvRmT2_T3_T4_T5_mT6_T7_P12ihipStream_tbENKUlT_T0_E_clISt17integral_constantIbLb1EES12_IbLb0EEEEDaSY_SZ_EUlSY_E_NS1_11comp_targetILNS1_3genE9ELNS1_11target_archE1100ELNS1_3gpuE3ELNS1_3repE0EEENS1_30default_config_static_selectorELNS0_4arch9wavefront6targetE0EEEvT1_.kd
    .uniform_work_group_size: 1
    .uses_dynamic_stack: false
    .vgpr_count:     0
    .vgpr_spill_count: 0
    .wavefront_size: 32
    .workgroup_processor_mode: 1
  - .args:
      - .offset:         0
        .size:           144
        .value_kind:     by_value
    .group_segment_fixed_size: 0
    .kernarg_segment_align: 8
    .kernarg_segment_size: 144
    .language:       OpenCL C
    .language_version:
      - 2
      - 0
    .max_flat_workgroup_size: 256
    .name:           _ZN7rocprim17ROCPRIM_400000_NS6detail17trampoline_kernelINS0_14default_configENS1_27scan_by_key_config_selectorIj11FixedVectorIiLj4EEEEZZNS1_16scan_by_key_implILNS1_25lookback_scan_determinismE0ELb1ES3_N6thrust23THRUST_200600_302600_NS6detail15normal_iteratorINSB_10device_ptrIjEEEENSD_INSE_IS6_EEEESI_S6_NSB_4plusIvEENSB_8equal_toIvEES6_EE10hipError_tPvRmT2_T3_T4_T5_mT6_T7_P12ihipStream_tbENKUlT_T0_E_clISt17integral_constantIbLb1EES12_IbLb0EEEEDaSY_SZ_EUlSY_E_NS1_11comp_targetILNS1_3genE8ELNS1_11target_archE1030ELNS1_3gpuE2ELNS1_3repE0EEENS1_30default_config_static_selectorELNS0_4arch9wavefront6targetE0EEEvT1_
    .private_segment_fixed_size: 0
    .sgpr_count:     0
    .sgpr_spill_count: 0
    .symbol:         _ZN7rocprim17ROCPRIM_400000_NS6detail17trampoline_kernelINS0_14default_configENS1_27scan_by_key_config_selectorIj11FixedVectorIiLj4EEEEZZNS1_16scan_by_key_implILNS1_25lookback_scan_determinismE0ELb1ES3_N6thrust23THRUST_200600_302600_NS6detail15normal_iteratorINSB_10device_ptrIjEEEENSD_INSE_IS6_EEEESI_S6_NSB_4plusIvEENSB_8equal_toIvEES6_EE10hipError_tPvRmT2_T3_T4_T5_mT6_T7_P12ihipStream_tbENKUlT_T0_E_clISt17integral_constantIbLb1EES12_IbLb0EEEEDaSY_SZ_EUlSY_E_NS1_11comp_targetILNS1_3genE8ELNS1_11target_archE1030ELNS1_3gpuE2ELNS1_3repE0EEENS1_30default_config_static_selectorELNS0_4arch9wavefront6targetE0EEEvT1_.kd
    .uniform_work_group_size: 1
    .uses_dynamic_stack: false
    .vgpr_count:     0
    .vgpr_spill_count: 0
    .wavefront_size: 32
    .workgroup_processor_mode: 1
  - .args:
      - .offset:         0
        .size:           144
        .value_kind:     by_value
    .group_segment_fixed_size: 0
    .kernarg_segment_align: 8
    .kernarg_segment_size: 144
    .language:       OpenCL C
    .language_version:
      - 2
      - 0
    .max_flat_workgroup_size: 64
    .name:           _ZN7rocprim17ROCPRIM_400000_NS6detail17trampoline_kernelINS0_14default_configENS1_27scan_by_key_config_selectorIj11FixedVectorIiLj4EEEEZZNS1_16scan_by_key_implILNS1_25lookback_scan_determinismE0ELb1ES3_N6thrust23THRUST_200600_302600_NS6detail15normal_iteratorINSB_10device_ptrIjEEEENSD_INSE_IS6_EEEESI_S6_NSB_4plusIvEENSB_8equal_toIvEES6_EE10hipError_tPvRmT2_T3_T4_T5_mT6_T7_P12ihipStream_tbENKUlT_T0_E_clISt17integral_constantIbLb0EES12_IbLb1EEEEDaSY_SZ_EUlSY_E_NS1_11comp_targetILNS1_3genE0ELNS1_11target_archE4294967295ELNS1_3gpuE0ELNS1_3repE0EEENS1_30default_config_static_selectorELNS0_4arch9wavefront6targetE0EEEvT1_
    .private_segment_fixed_size: 0
    .sgpr_count:     0
    .sgpr_spill_count: 0
    .symbol:         _ZN7rocprim17ROCPRIM_400000_NS6detail17trampoline_kernelINS0_14default_configENS1_27scan_by_key_config_selectorIj11FixedVectorIiLj4EEEEZZNS1_16scan_by_key_implILNS1_25lookback_scan_determinismE0ELb1ES3_N6thrust23THRUST_200600_302600_NS6detail15normal_iteratorINSB_10device_ptrIjEEEENSD_INSE_IS6_EEEESI_S6_NSB_4plusIvEENSB_8equal_toIvEES6_EE10hipError_tPvRmT2_T3_T4_T5_mT6_T7_P12ihipStream_tbENKUlT_T0_E_clISt17integral_constantIbLb0EES12_IbLb1EEEEDaSY_SZ_EUlSY_E_NS1_11comp_targetILNS1_3genE0ELNS1_11target_archE4294967295ELNS1_3gpuE0ELNS1_3repE0EEENS1_30default_config_static_selectorELNS0_4arch9wavefront6targetE0EEEvT1_.kd
    .uniform_work_group_size: 1
    .uses_dynamic_stack: false
    .vgpr_count:     0
    .vgpr_spill_count: 0
    .wavefront_size: 32
    .workgroup_processor_mode: 1
  - .args:
      - .offset:         0
        .size:           144
        .value_kind:     by_value
    .group_segment_fixed_size: 0
    .kernarg_segment_align: 8
    .kernarg_segment_size: 144
    .language:       OpenCL C
    .language_version:
      - 2
      - 0
    .max_flat_workgroup_size: 256
    .name:           _ZN7rocprim17ROCPRIM_400000_NS6detail17trampoline_kernelINS0_14default_configENS1_27scan_by_key_config_selectorIj11FixedVectorIiLj4EEEEZZNS1_16scan_by_key_implILNS1_25lookback_scan_determinismE0ELb1ES3_N6thrust23THRUST_200600_302600_NS6detail15normal_iteratorINSB_10device_ptrIjEEEENSD_INSE_IS6_EEEESI_S6_NSB_4plusIvEENSB_8equal_toIvEES6_EE10hipError_tPvRmT2_T3_T4_T5_mT6_T7_P12ihipStream_tbENKUlT_T0_E_clISt17integral_constantIbLb0EES12_IbLb1EEEEDaSY_SZ_EUlSY_E_NS1_11comp_targetILNS1_3genE10ELNS1_11target_archE1201ELNS1_3gpuE5ELNS1_3repE0EEENS1_30default_config_static_selectorELNS0_4arch9wavefront6targetE0EEEvT1_
    .private_segment_fixed_size: 0
    .sgpr_count:     0
    .sgpr_spill_count: 0
    .symbol:         _ZN7rocprim17ROCPRIM_400000_NS6detail17trampoline_kernelINS0_14default_configENS1_27scan_by_key_config_selectorIj11FixedVectorIiLj4EEEEZZNS1_16scan_by_key_implILNS1_25lookback_scan_determinismE0ELb1ES3_N6thrust23THRUST_200600_302600_NS6detail15normal_iteratorINSB_10device_ptrIjEEEENSD_INSE_IS6_EEEESI_S6_NSB_4plusIvEENSB_8equal_toIvEES6_EE10hipError_tPvRmT2_T3_T4_T5_mT6_T7_P12ihipStream_tbENKUlT_T0_E_clISt17integral_constantIbLb0EES12_IbLb1EEEEDaSY_SZ_EUlSY_E_NS1_11comp_targetILNS1_3genE10ELNS1_11target_archE1201ELNS1_3gpuE5ELNS1_3repE0EEENS1_30default_config_static_selectorELNS0_4arch9wavefront6targetE0EEEvT1_.kd
    .uniform_work_group_size: 1
    .uses_dynamic_stack: false
    .vgpr_count:     0
    .vgpr_spill_count: 0
    .wavefront_size: 32
    .workgroup_processor_mode: 1
  - .args:
      - .offset:         0
        .size:           144
        .value_kind:     by_value
    .group_segment_fixed_size: 0
    .kernarg_segment_align: 8
    .kernarg_segment_size: 144
    .language:       OpenCL C
    .language_version:
      - 2
      - 0
    .max_flat_workgroup_size: 128
    .name:           _ZN7rocprim17ROCPRIM_400000_NS6detail17trampoline_kernelINS0_14default_configENS1_27scan_by_key_config_selectorIj11FixedVectorIiLj4EEEEZZNS1_16scan_by_key_implILNS1_25lookback_scan_determinismE0ELb1ES3_N6thrust23THRUST_200600_302600_NS6detail15normal_iteratorINSB_10device_ptrIjEEEENSD_INSE_IS6_EEEESI_S6_NSB_4plusIvEENSB_8equal_toIvEES6_EE10hipError_tPvRmT2_T3_T4_T5_mT6_T7_P12ihipStream_tbENKUlT_T0_E_clISt17integral_constantIbLb0EES12_IbLb1EEEEDaSY_SZ_EUlSY_E_NS1_11comp_targetILNS1_3genE5ELNS1_11target_archE942ELNS1_3gpuE9ELNS1_3repE0EEENS1_30default_config_static_selectorELNS0_4arch9wavefront6targetE0EEEvT1_
    .private_segment_fixed_size: 0
    .sgpr_count:     0
    .sgpr_spill_count: 0
    .symbol:         _ZN7rocprim17ROCPRIM_400000_NS6detail17trampoline_kernelINS0_14default_configENS1_27scan_by_key_config_selectorIj11FixedVectorIiLj4EEEEZZNS1_16scan_by_key_implILNS1_25lookback_scan_determinismE0ELb1ES3_N6thrust23THRUST_200600_302600_NS6detail15normal_iteratorINSB_10device_ptrIjEEEENSD_INSE_IS6_EEEESI_S6_NSB_4plusIvEENSB_8equal_toIvEES6_EE10hipError_tPvRmT2_T3_T4_T5_mT6_T7_P12ihipStream_tbENKUlT_T0_E_clISt17integral_constantIbLb0EES12_IbLb1EEEEDaSY_SZ_EUlSY_E_NS1_11comp_targetILNS1_3genE5ELNS1_11target_archE942ELNS1_3gpuE9ELNS1_3repE0EEENS1_30default_config_static_selectorELNS0_4arch9wavefront6targetE0EEEvT1_.kd
    .uniform_work_group_size: 1
    .uses_dynamic_stack: false
    .vgpr_count:     0
    .vgpr_spill_count: 0
    .wavefront_size: 32
    .workgroup_processor_mode: 1
  - .args:
      - .offset:         0
        .size:           144
        .value_kind:     by_value
    .group_segment_fixed_size: 0
    .kernarg_segment_align: 8
    .kernarg_segment_size: 144
    .language:       OpenCL C
    .language_version:
      - 2
      - 0
    .max_flat_workgroup_size: 256
    .name:           _ZN7rocprim17ROCPRIM_400000_NS6detail17trampoline_kernelINS0_14default_configENS1_27scan_by_key_config_selectorIj11FixedVectorIiLj4EEEEZZNS1_16scan_by_key_implILNS1_25lookback_scan_determinismE0ELb1ES3_N6thrust23THRUST_200600_302600_NS6detail15normal_iteratorINSB_10device_ptrIjEEEENSD_INSE_IS6_EEEESI_S6_NSB_4plusIvEENSB_8equal_toIvEES6_EE10hipError_tPvRmT2_T3_T4_T5_mT6_T7_P12ihipStream_tbENKUlT_T0_E_clISt17integral_constantIbLb0EES12_IbLb1EEEEDaSY_SZ_EUlSY_E_NS1_11comp_targetILNS1_3genE4ELNS1_11target_archE910ELNS1_3gpuE8ELNS1_3repE0EEENS1_30default_config_static_selectorELNS0_4arch9wavefront6targetE0EEEvT1_
    .private_segment_fixed_size: 0
    .sgpr_count:     0
    .sgpr_spill_count: 0
    .symbol:         _ZN7rocprim17ROCPRIM_400000_NS6detail17trampoline_kernelINS0_14default_configENS1_27scan_by_key_config_selectorIj11FixedVectorIiLj4EEEEZZNS1_16scan_by_key_implILNS1_25lookback_scan_determinismE0ELb1ES3_N6thrust23THRUST_200600_302600_NS6detail15normal_iteratorINSB_10device_ptrIjEEEENSD_INSE_IS6_EEEESI_S6_NSB_4plusIvEENSB_8equal_toIvEES6_EE10hipError_tPvRmT2_T3_T4_T5_mT6_T7_P12ihipStream_tbENKUlT_T0_E_clISt17integral_constantIbLb0EES12_IbLb1EEEEDaSY_SZ_EUlSY_E_NS1_11comp_targetILNS1_3genE4ELNS1_11target_archE910ELNS1_3gpuE8ELNS1_3repE0EEENS1_30default_config_static_selectorELNS0_4arch9wavefront6targetE0EEEvT1_.kd
    .uniform_work_group_size: 1
    .uses_dynamic_stack: false
    .vgpr_count:     0
    .vgpr_spill_count: 0
    .wavefront_size: 32
    .workgroup_processor_mode: 1
  - .args:
      - .offset:         0
        .size:           144
        .value_kind:     by_value
    .group_segment_fixed_size: 0
    .kernarg_segment_align: 8
    .kernarg_segment_size: 144
    .language:       OpenCL C
    .language_version:
      - 2
      - 0
    .max_flat_workgroup_size: 64
    .name:           _ZN7rocprim17ROCPRIM_400000_NS6detail17trampoline_kernelINS0_14default_configENS1_27scan_by_key_config_selectorIj11FixedVectorIiLj4EEEEZZNS1_16scan_by_key_implILNS1_25lookback_scan_determinismE0ELb1ES3_N6thrust23THRUST_200600_302600_NS6detail15normal_iteratorINSB_10device_ptrIjEEEENSD_INSE_IS6_EEEESI_S6_NSB_4plusIvEENSB_8equal_toIvEES6_EE10hipError_tPvRmT2_T3_T4_T5_mT6_T7_P12ihipStream_tbENKUlT_T0_E_clISt17integral_constantIbLb0EES12_IbLb1EEEEDaSY_SZ_EUlSY_E_NS1_11comp_targetILNS1_3genE3ELNS1_11target_archE908ELNS1_3gpuE7ELNS1_3repE0EEENS1_30default_config_static_selectorELNS0_4arch9wavefront6targetE0EEEvT1_
    .private_segment_fixed_size: 0
    .sgpr_count:     0
    .sgpr_spill_count: 0
    .symbol:         _ZN7rocprim17ROCPRIM_400000_NS6detail17trampoline_kernelINS0_14default_configENS1_27scan_by_key_config_selectorIj11FixedVectorIiLj4EEEEZZNS1_16scan_by_key_implILNS1_25lookback_scan_determinismE0ELb1ES3_N6thrust23THRUST_200600_302600_NS6detail15normal_iteratorINSB_10device_ptrIjEEEENSD_INSE_IS6_EEEESI_S6_NSB_4plusIvEENSB_8equal_toIvEES6_EE10hipError_tPvRmT2_T3_T4_T5_mT6_T7_P12ihipStream_tbENKUlT_T0_E_clISt17integral_constantIbLb0EES12_IbLb1EEEEDaSY_SZ_EUlSY_E_NS1_11comp_targetILNS1_3genE3ELNS1_11target_archE908ELNS1_3gpuE7ELNS1_3repE0EEENS1_30default_config_static_selectorELNS0_4arch9wavefront6targetE0EEEvT1_.kd
    .uniform_work_group_size: 1
    .uses_dynamic_stack: false
    .vgpr_count:     0
    .vgpr_spill_count: 0
    .wavefront_size: 32
    .workgroup_processor_mode: 1
  - .args:
      - .offset:         0
        .size:           144
        .value_kind:     by_value
    .group_segment_fixed_size: 0
    .kernarg_segment_align: 8
    .kernarg_segment_size: 144
    .language:       OpenCL C
    .language_version:
      - 2
      - 0
    .max_flat_workgroup_size: 256
    .name:           _ZN7rocprim17ROCPRIM_400000_NS6detail17trampoline_kernelINS0_14default_configENS1_27scan_by_key_config_selectorIj11FixedVectorIiLj4EEEEZZNS1_16scan_by_key_implILNS1_25lookback_scan_determinismE0ELb1ES3_N6thrust23THRUST_200600_302600_NS6detail15normal_iteratorINSB_10device_ptrIjEEEENSD_INSE_IS6_EEEESI_S6_NSB_4plusIvEENSB_8equal_toIvEES6_EE10hipError_tPvRmT2_T3_T4_T5_mT6_T7_P12ihipStream_tbENKUlT_T0_E_clISt17integral_constantIbLb0EES12_IbLb1EEEEDaSY_SZ_EUlSY_E_NS1_11comp_targetILNS1_3genE2ELNS1_11target_archE906ELNS1_3gpuE6ELNS1_3repE0EEENS1_30default_config_static_selectorELNS0_4arch9wavefront6targetE0EEEvT1_
    .private_segment_fixed_size: 0
    .sgpr_count:     0
    .sgpr_spill_count: 0
    .symbol:         _ZN7rocprim17ROCPRIM_400000_NS6detail17trampoline_kernelINS0_14default_configENS1_27scan_by_key_config_selectorIj11FixedVectorIiLj4EEEEZZNS1_16scan_by_key_implILNS1_25lookback_scan_determinismE0ELb1ES3_N6thrust23THRUST_200600_302600_NS6detail15normal_iteratorINSB_10device_ptrIjEEEENSD_INSE_IS6_EEEESI_S6_NSB_4plusIvEENSB_8equal_toIvEES6_EE10hipError_tPvRmT2_T3_T4_T5_mT6_T7_P12ihipStream_tbENKUlT_T0_E_clISt17integral_constantIbLb0EES12_IbLb1EEEEDaSY_SZ_EUlSY_E_NS1_11comp_targetILNS1_3genE2ELNS1_11target_archE906ELNS1_3gpuE6ELNS1_3repE0EEENS1_30default_config_static_selectorELNS0_4arch9wavefront6targetE0EEEvT1_.kd
    .uniform_work_group_size: 1
    .uses_dynamic_stack: false
    .vgpr_count:     0
    .vgpr_spill_count: 0
    .wavefront_size: 32
    .workgroup_processor_mode: 1
  - .args:
      - .offset:         0
        .size:           144
        .value_kind:     by_value
    .group_segment_fixed_size: 0
    .kernarg_segment_align: 8
    .kernarg_segment_size: 144
    .language:       OpenCL C
    .language_version:
      - 2
      - 0
    .max_flat_workgroup_size: 256
    .name:           _ZN7rocprim17ROCPRIM_400000_NS6detail17trampoline_kernelINS0_14default_configENS1_27scan_by_key_config_selectorIj11FixedVectorIiLj4EEEEZZNS1_16scan_by_key_implILNS1_25lookback_scan_determinismE0ELb1ES3_N6thrust23THRUST_200600_302600_NS6detail15normal_iteratorINSB_10device_ptrIjEEEENSD_INSE_IS6_EEEESI_S6_NSB_4plusIvEENSB_8equal_toIvEES6_EE10hipError_tPvRmT2_T3_T4_T5_mT6_T7_P12ihipStream_tbENKUlT_T0_E_clISt17integral_constantIbLb0EES12_IbLb1EEEEDaSY_SZ_EUlSY_E_NS1_11comp_targetILNS1_3genE10ELNS1_11target_archE1200ELNS1_3gpuE4ELNS1_3repE0EEENS1_30default_config_static_selectorELNS0_4arch9wavefront6targetE0EEEvT1_
    .private_segment_fixed_size: 0
    .sgpr_count:     0
    .sgpr_spill_count: 0
    .symbol:         _ZN7rocprim17ROCPRIM_400000_NS6detail17trampoline_kernelINS0_14default_configENS1_27scan_by_key_config_selectorIj11FixedVectorIiLj4EEEEZZNS1_16scan_by_key_implILNS1_25lookback_scan_determinismE0ELb1ES3_N6thrust23THRUST_200600_302600_NS6detail15normal_iteratorINSB_10device_ptrIjEEEENSD_INSE_IS6_EEEESI_S6_NSB_4plusIvEENSB_8equal_toIvEES6_EE10hipError_tPvRmT2_T3_T4_T5_mT6_T7_P12ihipStream_tbENKUlT_T0_E_clISt17integral_constantIbLb0EES12_IbLb1EEEEDaSY_SZ_EUlSY_E_NS1_11comp_targetILNS1_3genE10ELNS1_11target_archE1200ELNS1_3gpuE4ELNS1_3repE0EEENS1_30default_config_static_selectorELNS0_4arch9wavefront6targetE0EEEvT1_.kd
    .uniform_work_group_size: 1
    .uses_dynamic_stack: false
    .vgpr_count:     0
    .vgpr_spill_count: 0
    .wavefront_size: 32
    .workgroup_processor_mode: 1
  - .args:
      - .offset:         0
        .size:           144
        .value_kind:     by_value
    .group_segment_fixed_size: 0
    .kernarg_segment_align: 8
    .kernarg_segment_size: 144
    .language:       OpenCL C
    .language_version:
      - 2
      - 0
    .max_flat_workgroup_size: 256
    .name:           _ZN7rocprim17ROCPRIM_400000_NS6detail17trampoline_kernelINS0_14default_configENS1_27scan_by_key_config_selectorIj11FixedVectorIiLj4EEEEZZNS1_16scan_by_key_implILNS1_25lookback_scan_determinismE0ELb1ES3_N6thrust23THRUST_200600_302600_NS6detail15normal_iteratorINSB_10device_ptrIjEEEENSD_INSE_IS6_EEEESI_S6_NSB_4plusIvEENSB_8equal_toIvEES6_EE10hipError_tPvRmT2_T3_T4_T5_mT6_T7_P12ihipStream_tbENKUlT_T0_E_clISt17integral_constantIbLb0EES12_IbLb1EEEEDaSY_SZ_EUlSY_E_NS1_11comp_targetILNS1_3genE9ELNS1_11target_archE1100ELNS1_3gpuE3ELNS1_3repE0EEENS1_30default_config_static_selectorELNS0_4arch9wavefront6targetE0EEEvT1_
    .private_segment_fixed_size: 0
    .sgpr_count:     0
    .sgpr_spill_count: 0
    .symbol:         _ZN7rocprim17ROCPRIM_400000_NS6detail17trampoline_kernelINS0_14default_configENS1_27scan_by_key_config_selectorIj11FixedVectorIiLj4EEEEZZNS1_16scan_by_key_implILNS1_25lookback_scan_determinismE0ELb1ES3_N6thrust23THRUST_200600_302600_NS6detail15normal_iteratorINSB_10device_ptrIjEEEENSD_INSE_IS6_EEEESI_S6_NSB_4plusIvEENSB_8equal_toIvEES6_EE10hipError_tPvRmT2_T3_T4_T5_mT6_T7_P12ihipStream_tbENKUlT_T0_E_clISt17integral_constantIbLb0EES12_IbLb1EEEEDaSY_SZ_EUlSY_E_NS1_11comp_targetILNS1_3genE9ELNS1_11target_archE1100ELNS1_3gpuE3ELNS1_3repE0EEENS1_30default_config_static_selectorELNS0_4arch9wavefront6targetE0EEEvT1_.kd
    .uniform_work_group_size: 1
    .uses_dynamic_stack: false
    .vgpr_count:     0
    .vgpr_spill_count: 0
    .wavefront_size: 32
    .workgroup_processor_mode: 1
  - .args:
      - .offset:         0
        .size:           144
        .value_kind:     by_value
    .group_segment_fixed_size: 20480
    .kernarg_segment_align: 8
    .kernarg_segment_size: 144
    .language:       OpenCL C
    .language_version:
      - 2
      - 0
    .max_flat_workgroup_size: 256
    .name:           _ZN7rocprim17ROCPRIM_400000_NS6detail17trampoline_kernelINS0_14default_configENS1_27scan_by_key_config_selectorIj11FixedVectorIiLj4EEEEZZNS1_16scan_by_key_implILNS1_25lookback_scan_determinismE0ELb1ES3_N6thrust23THRUST_200600_302600_NS6detail15normal_iteratorINSB_10device_ptrIjEEEENSD_INSE_IS6_EEEESI_S6_NSB_4plusIvEENSB_8equal_toIvEES6_EE10hipError_tPvRmT2_T3_T4_T5_mT6_T7_P12ihipStream_tbENKUlT_T0_E_clISt17integral_constantIbLb0EES12_IbLb1EEEEDaSY_SZ_EUlSY_E_NS1_11comp_targetILNS1_3genE8ELNS1_11target_archE1030ELNS1_3gpuE2ELNS1_3repE0EEENS1_30default_config_static_selectorELNS0_4arch9wavefront6targetE0EEEvT1_
    .private_segment_fixed_size: 320
    .sgpr_count:     53
    .sgpr_spill_count: 0
    .symbol:         _ZN7rocprim17ROCPRIM_400000_NS6detail17trampoline_kernelINS0_14default_configENS1_27scan_by_key_config_selectorIj11FixedVectorIiLj4EEEEZZNS1_16scan_by_key_implILNS1_25lookback_scan_determinismE0ELb1ES3_N6thrust23THRUST_200600_302600_NS6detail15normal_iteratorINSB_10device_ptrIjEEEENSD_INSE_IS6_EEEESI_S6_NSB_4plusIvEENSB_8equal_toIvEES6_EE10hipError_tPvRmT2_T3_T4_T5_mT6_T7_P12ihipStream_tbENKUlT_T0_E_clISt17integral_constantIbLb0EES12_IbLb1EEEEDaSY_SZ_EUlSY_E_NS1_11comp_targetILNS1_3genE8ELNS1_11target_archE1030ELNS1_3gpuE2ELNS1_3repE0EEENS1_30default_config_static_selectorELNS0_4arch9wavefront6targetE0EEEvT1_.kd
    .uniform_work_group_size: 1
    .uses_dynamic_stack: false
    .vgpr_count:     34
    .vgpr_spill_count: 0
    .wavefront_size: 32
    .workgroup_processor_mode: 1
  - .args:
      - .offset:         0
        .size:           16
        .value_kind:     by_value
      - .offset:         16
        .size:           8
        .value_kind:     by_value
      - .offset:         24
        .size:           8
        .value_kind:     by_value
    .group_segment_fixed_size: 0
    .kernarg_segment_align: 8
    .kernarg_segment_size: 32
    .language:       OpenCL C
    .language_version:
      - 2
      - 0
    .max_flat_workgroup_size: 256
    .name:           _ZN6thrust23THRUST_200600_302600_NS11hip_rocprim14__parallel_for6kernelILj256ENS1_10for_each_fINS0_10device_ptrI11FixedVectorIiLj8EEEENS0_6detail16wrapped_functionINS9_23allocator_traits_detail5gozerEvEEEElLj1EEEvT0_T1_SG_
    .private_segment_fixed_size: 0
    .sgpr_count:     0
    .sgpr_spill_count: 0
    .symbol:         _ZN6thrust23THRUST_200600_302600_NS11hip_rocprim14__parallel_for6kernelILj256ENS1_10for_each_fINS0_10device_ptrI11FixedVectorIiLj8EEEENS0_6detail16wrapped_functionINS9_23allocator_traits_detail5gozerEvEEEElLj1EEEvT0_T1_SG_.kd
    .uniform_work_group_size: 1
    .uses_dynamic_stack: false
    .vgpr_count:     0
    .vgpr_spill_count: 0
    .wavefront_size: 32
    .workgroup_processor_mode: 1
  - .args:
      - .offset:         0
        .size:           16
        .value_kind:     by_value
      - .offset:         16
        .size:           8
        .value_kind:     by_value
      - .offset:         24
        .size:           8
        .value_kind:     by_value
    .group_segment_fixed_size: 0
    .kernarg_segment_align: 8
    .kernarg_segment_size: 32
    .language:       OpenCL C
    .language_version:
      - 2
      - 0
    .max_flat_workgroup_size: 256
    .name:           _ZN6thrust23THRUST_200600_302600_NS11hip_rocprim14__parallel_for6kernelILj256ENS1_10for_each_fINS0_10device_ptrI11FixedVectorIiLj8EEEENS0_6detail16wrapped_functionINS9_23allocator_traits_detail24construct1_via_allocatorINS0_16device_allocatorIS7_EEEEvEEEEmLj1EEEvT0_T1_SJ_
    .private_segment_fixed_size: 0
    .sgpr_count:     14
    .sgpr_spill_count: 0
    .symbol:         _ZN6thrust23THRUST_200600_302600_NS11hip_rocprim14__parallel_for6kernelILj256ENS1_10for_each_fINS0_10device_ptrI11FixedVectorIiLj8EEEENS0_6detail16wrapped_functionINS9_23allocator_traits_detail24construct1_via_allocatorINS0_16device_allocatorIS7_EEEEvEEEEmLj1EEEvT0_T1_SJ_.kd
    .uniform_work_group_size: 1
    .uses_dynamic_stack: false
    .vgpr_count:     6
    .vgpr_spill_count: 0
    .wavefront_size: 32
    .workgroup_processor_mode: 1
  - .args:
      - .offset:         0
        .size:           24
        .value_kind:     by_value
      - .offset:         24
        .size:           4
        .value_kind:     by_value
      - .offset:         28
        .size:           4
        .value_kind:     by_value
      - .address_space:  global
        .offset:         32
        .size:           8
        .value_kind:     global_buffer
      - .address_space:  global
        .offset:         40
        .size:           8
        .value_kind:     global_buffer
      - .actual_access:  write_only
        .address_space:  global
        .offset:         48
        .size:           8
        .value_kind:     global_buffer
      - .offset:         56
        .size:           8
        .value_kind:     by_value
      - .offset:         64
        .size:           4
        .value_kind:     by_value
      - .offset:         68
        .size:           1
        .value_kind:     by_value
      - .offset:         72
        .size:           4
        .value_kind:     hidden_block_count_x
      - .offset:         76
        .size:           4
        .value_kind:     hidden_block_count_y
      - .offset:         80
        .size:           4
        .value_kind:     hidden_block_count_z
      - .offset:         84
        .size:           2
        .value_kind:     hidden_group_size_x
      - .offset:         86
        .size:           2
        .value_kind:     hidden_group_size_y
      - .offset:         88
        .size:           2
        .value_kind:     hidden_group_size_z
      - .offset:         90
        .size:           2
        .value_kind:     hidden_remainder_x
      - .offset:         92
        .size:           2
        .value_kind:     hidden_remainder_y
      - .offset:         94
        .size:           2
        .value_kind:     hidden_remainder_z
      - .offset:         112
        .size:           8
        .value_kind:     hidden_global_offset_x
      - .offset:         120
        .size:           8
        .value_kind:     hidden_global_offset_y
      - .offset:         128
        .size:           8
        .value_kind:     hidden_global_offset_z
      - .offset:         136
        .size:           2
        .value_kind:     hidden_grid_dims
    .group_segment_fixed_size: 9216
    .kernarg_segment_align: 8
    .kernarg_segment_size: 328
    .language:       OpenCL C
    .language_version:
      - 2
      - 0
    .max_flat_workgroup_size: 256
    .name:           _ZN7rocprim17ROCPRIM_400000_NS6detail30init_device_scan_by_key_kernelINS1_19lookback_scan_stateINS0_5tupleIJ11FixedVectorIiLj8EEbEEELb0ELb0EEEN6thrust23THRUST_200600_302600_NS6detail15normal_iteratorINSA_10device_ptrIjEEEEjNS1_16block_id_wrapperIjLb0EEEEEvT_jjPNSI_10value_typeET0_PNSt15iterator_traitsISL_E10value_typeEmT1_T2_
    .private_segment_fixed_size: 0
    .sgpr_count:     23
    .sgpr_spill_count: 0
    .symbol:         _ZN7rocprim17ROCPRIM_400000_NS6detail30init_device_scan_by_key_kernelINS1_19lookback_scan_stateINS0_5tupleIJ11FixedVectorIiLj8EEbEEELb0ELb0EEEN6thrust23THRUST_200600_302600_NS6detail15normal_iteratorINSA_10device_ptrIjEEEEjNS1_16block_id_wrapperIjLb0EEEEEvT_jjPNSI_10value_typeET0_PNSt15iterator_traitsISL_E10value_typeEmT1_T2_.kd
    .uniform_work_group_size: 1
    .uses_dynamic_stack: false
    .vgpr_count:     12
    .vgpr_spill_count: 0
    .wavefront_size: 32
    .workgroup_processor_mode: 1
  - .args:
      - .offset:         0
        .size:           24
        .value_kind:     by_value
      - .offset:         24
        .size:           4
        .value_kind:     by_value
      - .offset:         28
        .size:           4
        .value_kind:     by_value
      - .address_space:  global
        .offset:         32
        .size:           8
        .value_kind:     global_buffer
      - .offset:         40
        .size:           1
        .value_kind:     by_value
      - .offset:         48
        .size:           4
        .value_kind:     hidden_block_count_x
      - .offset:         52
        .size:           4
        .value_kind:     hidden_block_count_y
      - .offset:         56
        .size:           4
        .value_kind:     hidden_block_count_z
      - .offset:         60
        .size:           2
        .value_kind:     hidden_group_size_x
      - .offset:         62
        .size:           2
        .value_kind:     hidden_group_size_y
      - .offset:         64
        .size:           2
        .value_kind:     hidden_group_size_z
      - .offset:         66
        .size:           2
        .value_kind:     hidden_remainder_x
      - .offset:         68
        .size:           2
        .value_kind:     hidden_remainder_y
      - .offset:         70
        .size:           2
        .value_kind:     hidden_remainder_z
      - .offset:         88
        .size:           8
        .value_kind:     hidden_global_offset_x
      - .offset:         96
        .size:           8
        .value_kind:     hidden_global_offset_y
      - .offset:         104
        .size:           8
        .value_kind:     hidden_global_offset_z
      - .offset:         112
        .size:           2
        .value_kind:     hidden_grid_dims
    .group_segment_fixed_size: 9216
    .kernarg_segment_align: 8
    .kernarg_segment_size: 304
    .language:       OpenCL C
    .language_version:
      - 2
      - 0
    .max_flat_workgroup_size: 256
    .name:           _ZN7rocprim17ROCPRIM_400000_NS6detail30init_device_scan_by_key_kernelINS1_19lookback_scan_stateINS0_5tupleIJ11FixedVectorIiLj8EEbEEELb0ELb0EEENS1_16block_id_wrapperIjLb0EEEEEvT_jjPNSB_10value_typeET0_
    .private_segment_fixed_size: 0
    .sgpr_count:     17
    .sgpr_spill_count: 0
    .symbol:         _ZN7rocprim17ROCPRIM_400000_NS6detail30init_device_scan_by_key_kernelINS1_19lookback_scan_stateINS0_5tupleIJ11FixedVectorIiLj8EEbEEELb0ELb0EEENS1_16block_id_wrapperIjLb0EEEEEvT_jjPNSB_10value_typeET0_.kd
    .uniform_work_group_size: 1
    .uses_dynamic_stack: false
    .vgpr_count:     12
    .vgpr_spill_count: 0
    .wavefront_size: 32
    .workgroup_processor_mode: 1
  - .args:
      - .offset:         0
        .size:           160
        .value_kind:     by_value
    .group_segment_fixed_size: 0
    .kernarg_segment_align: 8
    .kernarg_segment_size: 160
    .language:       OpenCL C
    .language_version:
      - 2
      - 0
    .max_flat_workgroup_size: 256
    .name:           _ZN7rocprim17ROCPRIM_400000_NS6detail17trampoline_kernelINS0_14default_configENS1_27scan_by_key_config_selectorIj11FixedVectorIiLj8EEEEZZNS1_16scan_by_key_implILNS1_25lookback_scan_determinismE0ELb0ES3_N6thrust23THRUST_200600_302600_NS6detail15normal_iteratorINSB_10device_ptrIjEEEENSD_INSE_IS6_EEEESI_S6_NSB_4plusIvEENSB_8equal_toIvEES6_EE10hipError_tPvRmT2_T3_T4_T5_mT6_T7_P12ihipStream_tbENKUlT_T0_E_clISt17integral_constantIbLb0EES13_EEDaSY_SZ_EUlSY_E_NS1_11comp_targetILNS1_3genE0ELNS1_11target_archE4294967295ELNS1_3gpuE0ELNS1_3repE0EEENS1_30default_config_static_selectorELNS0_4arch9wavefront6targetE0EEEvT1_
    .private_segment_fixed_size: 0
    .sgpr_count:     0
    .sgpr_spill_count: 0
    .symbol:         _ZN7rocprim17ROCPRIM_400000_NS6detail17trampoline_kernelINS0_14default_configENS1_27scan_by_key_config_selectorIj11FixedVectorIiLj8EEEEZZNS1_16scan_by_key_implILNS1_25lookback_scan_determinismE0ELb0ES3_N6thrust23THRUST_200600_302600_NS6detail15normal_iteratorINSB_10device_ptrIjEEEENSD_INSE_IS6_EEEESI_S6_NSB_4plusIvEENSB_8equal_toIvEES6_EE10hipError_tPvRmT2_T3_T4_T5_mT6_T7_P12ihipStream_tbENKUlT_T0_E_clISt17integral_constantIbLb0EES13_EEDaSY_SZ_EUlSY_E_NS1_11comp_targetILNS1_3genE0ELNS1_11target_archE4294967295ELNS1_3gpuE0ELNS1_3repE0EEENS1_30default_config_static_selectorELNS0_4arch9wavefront6targetE0EEEvT1_.kd
    .uniform_work_group_size: 1
    .uses_dynamic_stack: false
    .vgpr_count:     0
    .vgpr_spill_count: 0
    .wavefront_size: 32
    .workgroup_processor_mode: 1
  - .args:
      - .offset:         0
        .size:           160
        .value_kind:     by_value
    .group_segment_fixed_size: 0
    .kernarg_segment_align: 8
    .kernarg_segment_size: 160
    .language:       OpenCL C
    .language_version:
      - 2
      - 0
    .max_flat_workgroup_size: 256
    .name:           _ZN7rocprim17ROCPRIM_400000_NS6detail17trampoline_kernelINS0_14default_configENS1_27scan_by_key_config_selectorIj11FixedVectorIiLj8EEEEZZNS1_16scan_by_key_implILNS1_25lookback_scan_determinismE0ELb0ES3_N6thrust23THRUST_200600_302600_NS6detail15normal_iteratorINSB_10device_ptrIjEEEENSD_INSE_IS6_EEEESI_S6_NSB_4plusIvEENSB_8equal_toIvEES6_EE10hipError_tPvRmT2_T3_T4_T5_mT6_T7_P12ihipStream_tbENKUlT_T0_E_clISt17integral_constantIbLb0EES13_EEDaSY_SZ_EUlSY_E_NS1_11comp_targetILNS1_3genE10ELNS1_11target_archE1201ELNS1_3gpuE5ELNS1_3repE0EEENS1_30default_config_static_selectorELNS0_4arch9wavefront6targetE0EEEvT1_
    .private_segment_fixed_size: 0
    .sgpr_count:     0
    .sgpr_spill_count: 0
    .symbol:         _ZN7rocprim17ROCPRIM_400000_NS6detail17trampoline_kernelINS0_14default_configENS1_27scan_by_key_config_selectorIj11FixedVectorIiLj8EEEEZZNS1_16scan_by_key_implILNS1_25lookback_scan_determinismE0ELb0ES3_N6thrust23THRUST_200600_302600_NS6detail15normal_iteratorINSB_10device_ptrIjEEEENSD_INSE_IS6_EEEESI_S6_NSB_4plusIvEENSB_8equal_toIvEES6_EE10hipError_tPvRmT2_T3_T4_T5_mT6_T7_P12ihipStream_tbENKUlT_T0_E_clISt17integral_constantIbLb0EES13_EEDaSY_SZ_EUlSY_E_NS1_11comp_targetILNS1_3genE10ELNS1_11target_archE1201ELNS1_3gpuE5ELNS1_3repE0EEENS1_30default_config_static_selectorELNS0_4arch9wavefront6targetE0EEEvT1_.kd
    .uniform_work_group_size: 1
    .uses_dynamic_stack: false
    .vgpr_count:     0
    .vgpr_spill_count: 0
    .wavefront_size: 32
    .workgroup_processor_mode: 1
  - .args:
      - .offset:         0
        .size:           160
        .value_kind:     by_value
    .group_segment_fixed_size: 0
    .kernarg_segment_align: 8
    .kernarg_segment_size: 160
    .language:       OpenCL C
    .language_version:
      - 2
      - 0
    .max_flat_workgroup_size: 256
    .name:           _ZN7rocprim17ROCPRIM_400000_NS6detail17trampoline_kernelINS0_14default_configENS1_27scan_by_key_config_selectorIj11FixedVectorIiLj8EEEEZZNS1_16scan_by_key_implILNS1_25lookback_scan_determinismE0ELb0ES3_N6thrust23THRUST_200600_302600_NS6detail15normal_iteratorINSB_10device_ptrIjEEEENSD_INSE_IS6_EEEESI_S6_NSB_4plusIvEENSB_8equal_toIvEES6_EE10hipError_tPvRmT2_T3_T4_T5_mT6_T7_P12ihipStream_tbENKUlT_T0_E_clISt17integral_constantIbLb0EES13_EEDaSY_SZ_EUlSY_E_NS1_11comp_targetILNS1_3genE5ELNS1_11target_archE942ELNS1_3gpuE9ELNS1_3repE0EEENS1_30default_config_static_selectorELNS0_4arch9wavefront6targetE0EEEvT1_
    .private_segment_fixed_size: 0
    .sgpr_count:     0
    .sgpr_spill_count: 0
    .symbol:         _ZN7rocprim17ROCPRIM_400000_NS6detail17trampoline_kernelINS0_14default_configENS1_27scan_by_key_config_selectorIj11FixedVectorIiLj8EEEEZZNS1_16scan_by_key_implILNS1_25lookback_scan_determinismE0ELb0ES3_N6thrust23THRUST_200600_302600_NS6detail15normal_iteratorINSB_10device_ptrIjEEEENSD_INSE_IS6_EEEESI_S6_NSB_4plusIvEENSB_8equal_toIvEES6_EE10hipError_tPvRmT2_T3_T4_T5_mT6_T7_P12ihipStream_tbENKUlT_T0_E_clISt17integral_constantIbLb0EES13_EEDaSY_SZ_EUlSY_E_NS1_11comp_targetILNS1_3genE5ELNS1_11target_archE942ELNS1_3gpuE9ELNS1_3repE0EEENS1_30default_config_static_selectorELNS0_4arch9wavefront6targetE0EEEvT1_.kd
    .uniform_work_group_size: 1
    .uses_dynamic_stack: false
    .vgpr_count:     0
    .vgpr_spill_count: 0
    .wavefront_size: 32
    .workgroup_processor_mode: 1
  - .args:
      - .offset:         0
        .size:           160
        .value_kind:     by_value
    .group_segment_fixed_size: 0
    .kernarg_segment_align: 8
    .kernarg_segment_size: 160
    .language:       OpenCL C
    .language_version:
      - 2
      - 0
    .max_flat_workgroup_size: 256
    .name:           _ZN7rocprim17ROCPRIM_400000_NS6detail17trampoline_kernelINS0_14default_configENS1_27scan_by_key_config_selectorIj11FixedVectorIiLj8EEEEZZNS1_16scan_by_key_implILNS1_25lookback_scan_determinismE0ELb0ES3_N6thrust23THRUST_200600_302600_NS6detail15normal_iteratorINSB_10device_ptrIjEEEENSD_INSE_IS6_EEEESI_S6_NSB_4plusIvEENSB_8equal_toIvEES6_EE10hipError_tPvRmT2_T3_T4_T5_mT6_T7_P12ihipStream_tbENKUlT_T0_E_clISt17integral_constantIbLb0EES13_EEDaSY_SZ_EUlSY_E_NS1_11comp_targetILNS1_3genE4ELNS1_11target_archE910ELNS1_3gpuE8ELNS1_3repE0EEENS1_30default_config_static_selectorELNS0_4arch9wavefront6targetE0EEEvT1_
    .private_segment_fixed_size: 0
    .sgpr_count:     0
    .sgpr_spill_count: 0
    .symbol:         _ZN7rocprim17ROCPRIM_400000_NS6detail17trampoline_kernelINS0_14default_configENS1_27scan_by_key_config_selectorIj11FixedVectorIiLj8EEEEZZNS1_16scan_by_key_implILNS1_25lookback_scan_determinismE0ELb0ES3_N6thrust23THRUST_200600_302600_NS6detail15normal_iteratorINSB_10device_ptrIjEEEENSD_INSE_IS6_EEEESI_S6_NSB_4plusIvEENSB_8equal_toIvEES6_EE10hipError_tPvRmT2_T3_T4_T5_mT6_T7_P12ihipStream_tbENKUlT_T0_E_clISt17integral_constantIbLb0EES13_EEDaSY_SZ_EUlSY_E_NS1_11comp_targetILNS1_3genE4ELNS1_11target_archE910ELNS1_3gpuE8ELNS1_3repE0EEENS1_30default_config_static_selectorELNS0_4arch9wavefront6targetE0EEEvT1_.kd
    .uniform_work_group_size: 1
    .uses_dynamic_stack: false
    .vgpr_count:     0
    .vgpr_spill_count: 0
    .wavefront_size: 32
    .workgroup_processor_mode: 1
  - .args:
      - .offset:         0
        .size:           160
        .value_kind:     by_value
    .group_segment_fixed_size: 0
    .kernarg_segment_align: 8
    .kernarg_segment_size: 160
    .language:       OpenCL C
    .language_version:
      - 2
      - 0
    .max_flat_workgroup_size: 256
    .name:           _ZN7rocprim17ROCPRIM_400000_NS6detail17trampoline_kernelINS0_14default_configENS1_27scan_by_key_config_selectorIj11FixedVectorIiLj8EEEEZZNS1_16scan_by_key_implILNS1_25lookback_scan_determinismE0ELb0ES3_N6thrust23THRUST_200600_302600_NS6detail15normal_iteratorINSB_10device_ptrIjEEEENSD_INSE_IS6_EEEESI_S6_NSB_4plusIvEENSB_8equal_toIvEES6_EE10hipError_tPvRmT2_T3_T4_T5_mT6_T7_P12ihipStream_tbENKUlT_T0_E_clISt17integral_constantIbLb0EES13_EEDaSY_SZ_EUlSY_E_NS1_11comp_targetILNS1_3genE3ELNS1_11target_archE908ELNS1_3gpuE7ELNS1_3repE0EEENS1_30default_config_static_selectorELNS0_4arch9wavefront6targetE0EEEvT1_
    .private_segment_fixed_size: 0
    .sgpr_count:     0
    .sgpr_spill_count: 0
    .symbol:         _ZN7rocprim17ROCPRIM_400000_NS6detail17trampoline_kernelINS0_14default_configENS1_27scan_by_key_config_selectorIj11FixedVectorIiLj8EEEEZZNS1_16scan_by_key_implILNS1_25lookback_scan_determinismE0ELb0ES3_N6thrust23THRUST_200600_302600_NS6detail15normal_iteratorINSB_10device_ptrIjEEEENSD_INSE_IS6_EEEESI_S6_NSB_4plusIvEENSB_8equal_toIvEES6_EE10hipError_tPvRmT2_T3_T4_T5_mT6_T7_P12ihipStream_tbENKUlT_T0_E_clISt17integral_constantIbLb0EES13_EEDaSY_SZ_EUlSY_E_NS1_11comp_targetILNS1_3genE3ELNS1_11target_archE908ELNS1_3gpuE7ELNS1_3repE0EEENS1_30default_config_static_selectorELNS0_4arch9wavefront6targetE0EEEvT1_.kd
    .uniform_work_group_size: 1
    .uses_dynamic_stack: false
    .vgpr_count:     0
    .vgpr_spill_count: 0
    .wavefront_size: 32
    .workgroup_processor_mode: 1
  - .args:
      - .offset:         0
        .size:           160
        .value_kind:     by_value
    .group_segment_fixed_size: 0
    .kernarg_segment_align: 8
    .kernarg_segment_size: 160
    .language:       OpenCL C
    .language_version:
      - 2
      - 0
    .max_flat_workgroup_size: 256
    .name:           _ZN7rocprim17ROCPRIM_400000_NS6detail17trampoline_kernelINS0_14default_configENS1_27scan_by_key_config_selectorIj11FixedVectorIiLj8EEEEZZNS1_16scan_by_key_implILNS1_25lookback_scan_determinismE0ELb0ES3_N6thrust23THRUST_200600_302600_NS6detail15normal_iteratorINSB_10device_ptrIjEEEENSD_INSE_IS6_EEEESI_S6_NSB_4plusIvEENSB_8equal_toIvEES6_EE10hipError_tPvRmT2_T3_T4_T5_mT6_T7_P12ihipStream_tbENKUlT_T0_E_clISt17integral_constantIbLb0EES13_EEDaSY_SZ_EUlSY_E_NS1_11comp_targetILNS1_3genE2ELNS1_11target_archE906ELNS1_3gpuE6ELNS1_3repE0EEENS1_30default_config_static_selectorELNS0_4arch9wavefront6targetE0EEEvT1_
    .private_segment_fixed_size: 0
    .sgpr_count:     0
    .sgpr_spill_count: 0
    .symbol:         _ZN7rocprim17ROCPRIM_400000_NS6detail17trampoline_kernelINS0_14default_configENS1_27scan_by_key_config_selectorIj11FixedVectorIiLj8EEEEZZNS1_16scan_by_key_implILNS1_25lookback_scan_determinismE0ELb0ES3_N6thrust23THRUST_200600_302600_NS6detail15normal_iteratorINSB_10device_ptrIjEEEENSD_INSE_IS6_EEEESI_S6_NSB_4plusIvEENSB_8equal_toIvEES6_EE10hipError_tPvRmT2_T3_T4_T5_mT6_T7_P12ihipStream_tbENKUlT_T0_E_clISt17integral_constantIbLb0EES13_EEDaSY_SZ_EUlSY_E_NS1_11comp_targetILNS1_3genE2ELNS1_11target_archE906ELNS1_3gpuE6ELNS1_3repE0EEENS1_30default_config_static_selectorELNS0_4arch9wavefront6targetE0EEEvT1_.kd
    .uniform_work_group_size: 1
    .uses_dynamic_stack: false
    .vgpr_count:     0
    .vgpr_spill_count: 0
    .wavefront_size: 32
    .workgroup_processor_mode: 1
  - .args:
      - .offset:         0
        .size:           160
        .value_kind:     by_value
    .group_segment_fixed_size: 0
    .kernarg_segment_align: 8
    .kernarg_segment_size: 160
    .language:       OpenCL C
    .language_version:
      - 2
      - 0
    .max_flat_workgroup_size: 256
    .name:           _ZN7rocprim17ROCPRIM_400000_NS6detail17trampoline_kernelINS0_14default_configENS1_27scan_by_key_config_selectorIj11FixedVectorIiLj8EEEEZZNS1_16scan_by_key_implILNS1_25lookback_scan_determinismE0ELb0ES3_N6thrust23THRUST_200600_302600_NS6detail15normal_iteratorINSB_10device_ptrIjEEEENSD_INSE_IS6_EEEESI_S6_NSB_4plusIvEENSB_8equal_toIvEES6_EE10hipError_tPvRmT2_T3_T4_T5_mT6_T7_P12ihipStream_tbENKUlT_T0_E_clISt17integral_constantIbLb0EES13_EEDaSY_SZ_EUlSY_E_NS1_11comp_targetILNS1_3genE10ELNS1_11target_archE1200ELNS1_3gpuE4ELNS1_3repE0EEENS1_30default_config_static_selectorELNS0_4arch9wavefront6targetE0EEEvT1_
    .private_segment_fixed_size: 0
    .sgpr_count:     0
    .sgpr_spill_count: 0
    .symbol:         _ZN7rocprim17ROCPRIM_400000_NS6detail17trampoline_kernelINS0_14default_configENS1_27scan_by_key_config_selectorIj11FixedVectorIiLj8EEEEZZNS1_16scan_by_key_implILNS1_25lookback_scan_determinismE0ELb0ES3_N6thrust23THRUST_200600_302600_NS6detail15normal_iteratorINSB_10device_ptrIjEEEENSD_INSE_IS6_EEEESI_S6_NSB_4plusIvEENSB_8equal_toIvEES6_EE10hipError_tPvRmT2_T3_T4_T5_mT6_T7_P12ihipStream_tbENKUlT_T0_E_clISt17integral_constantIbLb0EES13_EEDaSY_SZ_EUlSY_E_NS1_11comp_targetILNS1_3genE10ELNS1_11target_archE1200ELNS1_3gpuE4ELNS1_3repE0EEENS1_30default_config_static_selectorELNS0_4arch9wavefront6targetE0EEEvT1_.kd
    .uniform_work_group_size: 1
    .uses_dynamic_stack: false
    .vgpr_count:     0
    .vgpr_spill_count: 0
    .wavefront_size: 32
    .workgroup_processor_mode: 1
  - .args:
      - .offset:         0
        .size:           160
        .value_kind:     by_value
    .group_segment_fixed_size: 0
    .kernarg_segment_align: 8
    .kernarg_segment_size: 160
    .language:       OpenCL C
    .language_version:
      - 2
      - 0
    .max_flat_workgroup_size: 256
    .name:           _ZN7rocprim17ROCPRIM_400000_NS6detail17trampoline_kernelINS0_14default_configENS1_27scan_by_key_config_selectorIj11FixedVectorIiLj8EEEEZZNS1_16scan_by_key_implILNS1_25lookback_scan_determinismE0ELb0ES3_N6thrust23THRUST_200600_302600_NS6detail15normal_iteratorINSB_10device_ptrIjEEEENSD_INSE_IS6_EEEESI_S6_NSB_4plusIvEENSB_8equal_toIvEES6_EE10hipError_tPvRmT2_T3_T4_T5_mT6_T7_P12ihipStream_tbENKUlT_T0_E_clISt17integral_constantIbLb0EES13_EEDaSY_SZ_EUlSY_E_NS1_11comp_targetILNS1_3genE9ELNS1_11target_archE1100ELNS1_3gpuE3ELNS1_3repE0EEENS1_30default_config_static_selectorELNS0_4arch9wavefront6targetE0EEEvT1_
    .private_segment_fixed_size: 0
    .sgpr_count:     0
    .sgpr_spill_count: 0
    .symbol:         _ZN7rocprim17ROCPRIM_400000_NS6detail17trampoline_kernelINS0_14default_configENS1_27scan_by_key_config_selectorIj11FixedVectorIiLj8EEEEZZNS1_16scan_by_key_implILNS1_25lookback_scan_determinismE0ELb0ES3_N6thrust23THRUST_200600_302600_NS6detail15normal_iteratorINSB_10device_ptrIjEEEENSD_INSE_IS6_EEEESI_S6_NSB_4plusIvEENSB_8equal_toIvEES6_EE10hipError_tPvRmT2_T3_T4_T5_mT6_T7_P12ihipStream_tbENKUlT_T0_E_clISt17integral_constantIbLb0EES13_EEDaSY_SZ_EUlSY_E_NS1_11comp_targetILNS1_3genE9ELNS1_11target_archE1100ELNS1_3gpuE3ELNS1_3repE0EEENS1_30default_config_static_selectorELNS0_4arch9wavefront6targetE0EEEvT1_.kd
    .uniform_work_group_size: 1
    .uses_dynamic_stack: false
    .vgpr_count:     0
    .vgpr_spill_count: 0
    .wavefront_size: 32
    .workgroup_processor_mode: 1
  - .args:
      - .offset:         0
        .size:           160
        .value_kind:     by_value
    .group_segment_fixed_size: 24576
    .kernarg_segment_align: 8
    .kernarg_segment_size: 160
    .language:       OpenCL C
    .language_version:
      - 2
      - 0
    .max_flat_workgroup_size: 256
    .name:           _ZN7rocprim17ROCPRIM_400000_NS6detail17trampoline_kernelINS0_14default_configENS1_27scan_by_key_config_selectorIj11FixedVectorIiLj8EEEEZZNS1_16scan_by_key_implILNS1_25lookback_scan_determinismE0ELb0ES3_N6thrust23THRUST_200600_302600_NS6detail15normal_iteratorINSB_10device_ptrIjEEEENSD_INSE_IS6_EEEESI_S6_NSB_4plusIvEENSB_8equal_toIvEES6_EE10hipError_tPvRmT2_T3_T4_T5_mT6_T7_P12ihipStream_tbENKUlT_T0_E_clISt17integral_constantIbLb0EES13_EEDaSY_SZ_EUlSY_E_NS1_11comp_targetILNS1_3genE8ELNS1_11target_archE1030ELNS1_3gpuE2ELNS1_3repE0EEENS1_30default_config_static_selectorELNS0_4arch9wavefront6targetE0EEEvT1_
    .private_segment_fixed_size: 432
    .sgpr_count:     46
    .sgpr_spill_count: 0
    .symbol:         _ZN7rocprim17ROCPRIM_400000_NS6detail17trampoline_kernelINS0_14default_configENS1_27scan_by_key_config_selectorIj11FixedVectorIiLj8EEEEZZNS1_16scan_by_key_implILNS1_25lookback_scan_determinismE0ELb0ES3_N6thrust23THRUST_200600_302600_NS6detail15normal_iteratorINSB_10device_ptrIjEEEENSD_INSE_IS6_EEEESI_S6_NSB_4plusIvEENSB_8equal_toIvEES6_EE10hipError_tPvRmT2_T3_T4_T5_mT6_T7_P12ihipStream_tbENKUlT_T0_E_clISt17integral_constantIbLb0EES13_EEDaSY_SZ_EUlSY_E_NS1_11comp_targetILNS1_3genE8ELNS1_11target_archE1030ELNS1_3gpuE2ELNS1_3repE0EEENS1_30default_config_static_selectorELNS0_4arch9wavefront6targetE0EEEvT1_.kd
    .uniform_work_group_size: 1
    .uses_dynamic_stack: false
    .vgpr_count:     45
    .vgpr_spill_count: 0
    .wavefront_size: 32
    .workgroup_processor_mode: 1
  - .args:
      - .offset:         0
        .size:           24
        .value_kind:     by_value
      - .offset:         24
        .size:           4
        .value_kind:     by_value
      - .offset:         28
        .size:           4
        .value_kind:     by_value
      - .address_space:  global
        .offset:         32
        .size:           8
        .value_kind:     global_buffer
      - .address_space:  global
        .offset:         40
        .size:           8
        .value_kind:     global_buffer
      - .actual_access:  write_only
        .address_space:  global
        .offset:         48
        .size:           8
        .value_kind:     global_buffer
      - .offset:         56
        .size:           8
        .value_kind:     by_value
      - .offset:         64
        .size:           4
        .value_kind:     by_value
      - .address_space:  global
        .offset:         72
        .size:           8
        .value_kind:     global_buffer
      - .offset:         80
        .size:           4
        .value_kind:     hidden_block_count_x
      - .offset:         84
        .size:           4
        .value_kind:     hidden_block_count_y
      - .offset:         88
        .size:           4
        .value_kind:     hidden_block_count_z
      - .offset:         92
        .size:           2
        .value_kind:     hidden_group_size_x
      - .offset:         94
        .size:           2
        .value_kind:     hidden_group_size_y
      - .offset:         96
        .size:           2
        .value_kind:     hidden_group_size_z
      - .offset:         98
        .size:           2
        .value_kind:     hidden_remainder_x
      - .offset:         100
        .size:           2
        .value_kind:     hidden_remainder_y
      - .offset:         102
        .size:           2
        .value_kind:     hidden_remainder_z
      - .offset:         120
        .size:           8
        .value_kind:     hidden_global_offset_x
      - .offset:         128
        .size:           8
        .value_kind:     hidden_global_offset_y
      - .offset:         136
        .size:           8
        .value_kind:     hidden_global_offset_z
      - .offset:         144
        .size:           2
        .value_kind:     hidden_grid_dims
    .group_segment_fixed_size: 9216
    .kernarg_segment_align: 8
    .kernarg_segment_size: 336
    .language:       OpenCL C
    .language_version:
      - 2
      - 0
    .max_flat_workgroup_size: 256
    .name:           _ZN7rocprim17ROCPRIM_400000_NS6detail30init_device_scan_by_key_kernelINS1_19lookback_scan_stateINS0_5tupleIJ11FixedVectorIiLj8EEbEEELb1ELb0EEEN6thrust23THRUST_200600_302600_NS6detail15normal_iteratorINSA_10device_ptrIjEEEEjNS1_16block_id_wrapperIjLb1EEEEEvT_jjPNSI_10value_typeET0_PNSt15iterator_traitsISL_E10value_typeEmT1_T2_
    .private_segment_fixed_size: 0
    .sgpr_count:     24
    .sgpr_spill_count: 0
    .symbol:         _ZN7rocprim17ROCPRIM_400000_NS6detail30init_device_scan_by_key_kernelINS1_19lookback_scan_stateINS0_5tupleIJ11FixedVectorIiLj8EEbEEELb1ELb0EEEN6thrust23THRUST_200600_302600_NS6detail15normal_iteratorINSA_10device_ptrIjEEEEjNS1_16block_id_wrapperIjLb1EEEEEvT_jjPNSI_10value_typeET0_PNSt15iterator_traitsISL_E10value_typeEmT1_T2_.kd
    .uniform_work_group_size: 1
    .uses_dynamic_stack: false
    .vgpr_count:     12
    .vgpr_spill_count: 0
    .wavefront_size: 32
    .workgroup_processor_mode: 1
  - .args:
      - .offset:         0
        .size:           24
        .value_kind:     by_value
      - .offset:         24
        .size:           4
        .value_kind:     by_value
      - .offset:         28
        .size:           4
        .value_kind:     by_value
      - .address_space:  global
        .offset:         32
        .size:           8
        .value_kind:     global_buffer
      - .address_space:  global
        .offset:         40
        .size:           8
        .value_kind:     global_buffer
      - .offset:         48
        .size:           4
        .value_kind:     hidden_block_count_x
      - .offset:         52
        .size:           4
        .value_kind:     hidden_block_count_y
      - .offset:         56
        .size:           4
        .value_kind:     hidden_block_count_z
      - .offset:         60
        .size:           2
        .value_kind:     hidden_group_size_x
      - .offset:         62
        .size:           2
        .value_kind:     hidden_group_size_y
      - .offset:         64
        .size:           2
        .value_kind:     hidden_group_size_z
      - .offset:         66
        .size:           2
        .value_kind:     hidden_remainder_x
      - .offset:         68
        .size:           2
        .value_kind:     hidden_remainder_y
      - .offset:         70
        .size:           2
        .value_kind:     hidden_remainder_z
      - .offset:         88
        .size:           8
        .value_kind:     hidden_global_offset_x
      - .offset:         96
        .size:           8
        .value_kind:     hidden_global_offset_y
      - .offset:         104
        .size:           8
        .value_kind:     hidden_global_offset_z
      - .offset:         112
        .size:           2
        .value_kind:     hidden_grid_dims
    .group_segment_fixed_size: 9216
    .kernarg_segment_align: 8
    .kernarg_segment_size: 304
    .language:       OpenCL C
    .language_version:
      - 2
      - 0
    .max_flat_workgroup_size: 256
    .name:           _ZN7rocprim17ROCPRIM_400000_NS6detail30init_device_scan_by_key_kernelINS1_19lookback_scan_stateINS0_5tupleIJ11FixedVectorIiLj8EEbEEELb1ELb0EEENS1_16block_id_wrapperIjLb1EEEEEvT_jjPNSB_10value_typeET0_
    .private_segment_fixed_size: 0
    .sgpr_count:     22
    .sgpr_spill_count: 0
    .symbol:         _ZN7rocprim17ROCPRIM_400000_NS6detail30init_device_scan_by_key_kernelINS1_19lookback_scan_stateINS0_5tupleIJ11FixedVectorIiLj8EEbEEELb1ELb0EEENS1_16block_id_wrapperIjLb1EEEEEvT_jjPNSB_10value_typeET0_.kd
    .uniform_work_group_size: 1
    .uses_dynamic_stack: false
    .vgpr_count:     12
    .vgpr_spill_count: 0
    .wavefront_size: 32
    .workgroup_processor_mode: 1
  - .args:
      - .offset:         0
        .size:           160
        .value_kind:     by_value
    .group_segment_fixed_size: 0
    .kernarg_segment_align: 8
    .kernarg_segment_size: 160
    .language:       OpenCL C
    .language_version:
      - 2
      - 0
    .max_flat_workgroup_size: 256
    .name:           _ZN7rocprim17ROCPRIM_400000_NS6detail17trampoline_kernelINS0_14default_configENS1_27scan_by_key_config_selectorIj11FixedVectorIiLj8EEEEZZNS1_16scan_by_key_implILNS1_25lookback_scan_determinismE0ELb0ES3_N6thrust23THRUST_200600_302600_NS6detail15normal_iteratorINSB_10device_ptrIjEEEENSD_INSE_IS6_EEEESI_S6_NSB_4plusIvEENSB_8equal_toIvEES6_EE10hipError_tPvRmT2_T3_T4_T5_mT6_T7_P12ihipStream_tbENKUlT_T0_E_clISt17integral_constantIbLb1EES13_EEDaSY_SZ_EUlSY_E_NS1_11comp_targetILNS1_3genE0ELNS1_11target_archE4294967295ELNS1_3gpuE0ELNS1_3repE0EEENS1_30default_config_static_selectorELNS0_4arch9wavefront6targetE0EEEvT1_
    .private_segment_fixed_size: 0
    .sgpr_count:     0
    .sgpr_spill_count: 0
    .symbol:         _ZN7rocprim17ROCPRIM_400000_NS6detail17trampoline_kernelINS0_14default_configENS1_27scan_by_key_config_selectorIj11FixedVectorIiLj8EEEEZZNS1_16scan_by_key_implILNS1_25lookback_scan_determinismE0ELb0ES3_N6thrust23THRUST_200600_302600_NS6detail15normal_iteratorINSB_10device_ptrIjEEEENSD_INSE_IS6_EEEESI_S6_NSB_4plusIvEENSB_8equal_toIvEES6_EE10hipError_tPvRmT2_T3_T4_T5_mT6_T7_P12ihipStream_tbENKUlT_T0_E_clISt17integral_constantIbLb1EES13_EEDaSY_SZ_EUlSY_E_NS1_11comp_targetILNS1_3genE0ELNS1_11target_archE4294967295ELNS1_3gpuE0ELNS1_3repE0EEENS1_30default_config_static_selectorELNS0_4arch9wavefront6targetE0EEEvT1_.kd
    .uniform_work_group_size: 1
    .uses_dynamic_stack: false
    .vgpr_count:     0
    .vgpr_spill_count: 0
    .wavefront_size: 32
    .workgroup_processor_mode: 1
  - .args:
      - .offset:         0
        .size:           160
        .value_kind:     by_value
    .group_segment_fixed_size: 0
    .kernarg_segment_align: 8
    .kernarg_segment_size: 160
    .language:       OpenCL C
    .language_version:
      - 2
      - 0
    .max_flat_workgroup_size: 256
    .name:           _ZN7rocprim17ROCPRIM_400000_NS6detail17trampoline_kernelINS0_14default_configENS1_27scan_by_key_config_selectorIj11FixedVectorIiLj8EEEEZZNS1_16scan_by_key_implILNS1_25lookback_scan_determinismE0ELb0ES3_N6thrust23THRUST_200600_302600_NS6detail15normal_iteratorINSB_10device_ptrIjEEEENSD_INSE_IS6_EEEESI_S6_NSB_4plusIvEENSB_8equal_toIvEES6_EE10hipError_tPvRmT2_T3_T4_T5_mT6_T7_P12ihipStream_tbENKUlT_T0_E_clISt17integral_constantIbLb1EES13_EEDaSY_SZ_EUlSY_E_NS1_11comp_targetILNS1_3genE10ELNS1_11target_archE1201ELNS1_3gpuE5ELNS1_3repE0EEENS1_30default_config_static_selectorELNS0_4arch9wavefront6targetE0EEEvT1_
    .private_segment_fixed_size: 0
    .sgpr_count:     0
    .sgpr_spill_count: 0
    .symbol:         _ZN7rocprim17ROCPRIM_400000_NS6detail17trampoline_kernelINS0_14default_configENS1_27scan_by_key_config_selectorIj11FixedVectorIiLj8EEEEZZNS1_16scan_by_key_implILNS1_25lookback_scan_determinismE0ELb0ES3_N6thrust23THRUST_200600_302600_NS6detail15normal_iteratorINSB_10device_ptrIjEEEENSD_INSE_IS6_EEEESI_S6_NSB_4plusIvEENSB_8equal_toIvEES6_EE10hipError_tPvRmT2_T3_T4_T5_mT6_T7_P12ihipStream_tbENKUlT_T0_E_clISt17integral_constantIbLb1EES13_EEDaSY_SZ_EUlSY_E_NS1_11comp_targetILNS1_3genE10ELNS1_11target_archE1201ELNS1_3gpuE5ELNS1_3repE0EEENS1_30default_config_static_selectorELNS0_4arch9wavefront6targetE0EEEvT1_.kd
    .uniform_work_group_size: 1
    .uses_dynamic_stack: false
    .vgpr_count:     0
    .vgpr_spill_count: 0
    .wavefront_size: 32
    .workgroup_processor_mode: 1
  - .args:
      - .offset:         0
        .size:           160
        .value_kind:     by_value
    .group_segment_fixed_size: 0
    .kernarg_segment_align: 8
    .kernarg_segment_size: 160
    .language:       OpenCL C
    .language_version:
      - 2
      - 0
    .max_flat_workgroup_size: 256
    .name:           _ZN7rocprim17ROCPRIM_400000_NS6detail17trampoline_kernelINS0_14default_configENS1_27scan_by_key_config_selectorIj11FixedVectorIiLj8EEEEZZNS1_16scan_by_key_implILNS1_25lookback_scan_determinismE0ELb0ES3_N6thrust23THRUST_200600_302600_NS6detail15normal_iteratorINSB_10device_ptrIjEEEENSD_INSE_IS6_EEEESI_S6_NSB_4plusIvEENSB_8equal_toIvEES6_EE10hipError_tPvRmT2_T3_T4_T5_mT6_T7_P12ihipStream_tbENKUlT_T0_E_clISt17integral_constantIbLb1EES13_EEDaSY_SZ_EUlSY_E_NS1_11comp_targetILNS1_3genE5ELNS1_11target_archE942ELNS1_3gpuE9ELNS1_3repE0EEENS1_30default_config_static_selectorELNS0_4arch9wavefront6targetE0EEEvT1_
    .private_segment_fixed_size: 0
    .sgpr_count:     0
    .sgpr_spill_count: 0
    .symbol:         _ZN7rocprim17ROCPRIM_400000_NS6detail17trampoline_kernelINS0_14default_configENS1_27scan_by_key_config_selectorIj11FixedVectorIiLj8EEEEZZNS1_16scan_by_key_implILNS1_25lookback_scan_determinismE0ELb0ES3_N6thrust23THRUST_200600_302600_NS6detail15normal_iteratorINSB_10device_ptrIjEEEENSD_INSE_IS6_EEEESI_S6_NSB_4plusIvEENSB_8equal_toIvEES6_EE10hipError_tPvRmT2_T3_T4_T5_mT6_T7_P12ihipStream_tbENKUlT_T0_E_clISt17integral_constantIbLb1EES13_EEDaSY_SZ_EUlSY_E_NS1_11comp_targetILNS1_3genE5ELNS1_11target_archE942ELNS1_3gpuE9ELNS1_3repE0EEENS1_30default_config_static_selectorELNS0_4arch9wavefront6targetE0EEEvT1_.kd
    .uniform_work_group_size: 1
    .uses_dynamic_stack: false
    .vgpr_count:     0
    .vgpr_spill_count: 0
    .wavefront_size: 32
    .workgroup_processor_mode: 1
  - .args:
      - .offset:         0
        .size:           160
        .value_kind:     by_value
    .group_segment_fixed_size: 0
    .kernarg_segment_align: 8
    .kernarg_segment_size: 160
    .language:       OpenCL C
    .language_version:
      - 2
      - 0
    .max_flat_workgroup_size: 256
    .name:           _ZN7rocprim17ROCPRIM_400000_NS6detail17trampoline_kernelINS0_14default_configENS1_27scan_by_key_config_selectorIj11FixedVectorIiLj8EEEEZZNS1_16scan_by_key_implILNS1_25lookback_scan_determinismE0ELb0ES3_N6thrust23THRUST_200600_302600_NS6detail15normal_iteratorINSB_10device_ptrIjEEEENSD_INSE_IS6_EEEESI_S6_NSB_4plusIvEENSB_8equal_toIvEES6_EE10hipError_tPvRmT2_T3_T4_T5_mT6_T7_P12ihipStream_tbENKUlT_T0_E_clISt17integral_constantIbLb1EES13_EEDaSY_SZ_EUlSY_E_NS1_11comp_targetILNS1_3genE4ELNS1_11target_archE910ELNS1_3gpuE8ELNS1_3repE0EEENS1_30default_config_static_selectorELNS0_4arch9wavefront6targetE0EEEvT1_
    .private_segment_fixed_size: 0
    .sgpr_count:     0
    .sgpr_spill_count: 0
    .symbol:         _ZN7rocprim17ROCPRIM_400000_NS6detail17trampoline_kernelINS0_14default_configENS1_27scan_by_key_config_selectorIj11FixedVectorIiLj8EEEEZZNS1_16scan_by_key_implILNS1_25lookback_scan_determinismE0ELb0ES3_N6thrust23THRUST_200600_302600_NS6detail15normal_iteratorINSB_10device_ptrIjEEEENSD_INSE_IS6_EEEESI_S6_NSB_4plusIvEENSB_8equal_toIvEES6_EE10hipError_tPvRmT2_T3_T4_T5_mT6_T7_P12ihipStream_tbENKUlT_T0_E_clISt17integral_constantIbLb1EES13_EEDaSY_SZ_EUlSY_E_NS1_11comp_targetILNS1_3genE4ELNS1_11target_archE910ELNS1_3gpuE8ELNS1_3repE0EEENS1_30default_config_static_selectorELNS0_4arch9wavefront6targetE0EEEvT1_.kd
    .uniform_work_group_size: 1
    .uses_dynamic_stack: false
    .vgpr_count:     0
    .vgpr_spill_count: 0
    .wavefront_size: 32
    .workgroup_processor_mode: 1
  - .args:
      - .offset:         0
        .size:           160
        .value_kind:     by_value
    .group_segment_fixed_size: 0
    .kernarg_segment_align: 8
    .kernarg_segment_size: 160
    .language:       OpenCL C
    .language_version:
      - 2
      - 0
    .max_flat_workgroup_size: 256
    .name:           _ZN7rocprim17ROCPRIM_400000_NS6detail17trampoline_kernelINS0_14default_configENS1_27scan_by_key_config_selectorIj11FixedVectorIiLj8EEEEZZNS1_16scan_by_key_implILNS1_25lookback_scan_determinismE0ELb0ES3_N6thrust23THRUST_200600_302600_NS6detail15normal_iteratorINSB_10device_ptrIjEEEENSD_INSE_IS6_EEEESI_S6_NSB_4plusIvEENSB_8equal_toIvEES6_EE10hipError_tPvRmT2_T3_T4_T5_mT6_T7_P12ihipStream_tbENKUlT_T0_E_clISt17integral_constantIbLb1EES13_EEDaSY_SZ_EUlSY_E_NS1_11comp_targetILNS1_3genE3ELNS1_11target_archE908ELNS1_3gpuE7ELNS1_3repE0EEENS1_30default_config_static_selectorELNS0_4arch9wavefront6targetE0EEEvT1_
    .private_segment_fixed_size: 0
    .sgpr_count:     0
    .sgpr_spill_count: 0
    .symbol:         _ZN7rocprim17ROCPRIM_400000_NS6detail17trampoline_kernelINS0_14default_configENS1_27scan_by_key_config_selectorIj11FixedVectorIiLj8EEEEZZNS1_16scan_by_key_implILNS1_25lookback_scan_determinismE0ELb0ES3_N6thrust23THRUST_200600_302600_NS6detail15normal_iteratorINSB_10device_ptrIjEEEENSD_INSE_IS6_EEEESI_S6_NSB_4plusIvEENSB_8equal_toIvEES6_EE10hipError_tPvRmT2_T3_T4_T5_mT6_T7_P12ihipStream_tbENKUlT_T0_E_clISt17integral_constantIbLb1EES13_EEDaSY_SZ_EUlSY_E_NS1_11comp_targetILNS1_3genE3ELNS1_11target_archE908ELNS1_3gpuE7ELNS1_3repE0EEENS1_30default_config_static_selectorELNS0_4arch9wavefront6targetE0EEEvT1_.kd
    .uniform_work_group_size: 1
    .uses_dynamic_stack: false
    .vgpr_count:     0
    .vgpr_spill_count: 0
    .wavefront_size: 32
    .workgroup_processor_mode: 1
  - .args:
      - .offset:         0
        .size:           160
        .value_kind:     by_value
    .group_segment_fixed_size: 0
    .kernarg_segment_align: 8
    .kernarg_segment_size: 160
    .language:       OpenCL C
    .language_version:
      - 2
      - 0
    .max_flat_workgroup_size: 256
    .name:           _ZN7rocprim17ROCPRIM_400000_NS6detail17trampoline_kernelINS0_14default_configENS1_27scan_by_key_config_selectorIj11FixedVectorIiLj8EEEEZZNS1_16scan_by_key_implILNS1_25lookback_scan_determinismE0ELb0ES3_N6thrust23THRUST_200600_302600_NS6detail15normal_iteratorINSB_10device_ptrIjEEEENSD_INSE_IS6_EEEESI_S6_NSB_4plusIvEENSB_8equal_toIvEES6_EE10hipError_tPvRmT2_T3_T4_T5_mT6_T7_P12ihipStream_tbENKUlT_T0_E_clISt17integral_constantIbLb1EES13_EEDaSY_SZ_EUlSY_E_NS1_11comp_targetILNS1_3genE2ELNS1_11target_archE906ELNS1_3gpuE6ELNS1_3repE0EEENS1_30default_config_static_selectorELNS0_4arch9wavefront6targetE0EEEvT1_
    .private_segment_fixed_size: 0
    .sgpr_count:     0
    .sgpr_spill_count: 0
    .symbol:         _ZN7rocprim17ROCPRIM_400000_NS6detail17trampoline_kernelINS0_14default_configENS1_27scan_by_key_config_selectorIj11FixedVectorIiLj8EEEEZZNS1_16scan_by_key_implILNS1_25lookback_scan_determinismE0ELb0ES3_N6thrust23THRUST_200600_302600_NS6detail15normal_iteratorINSB_10device_ptrIjEEEENSD_INSE_IS6_EEEESI_S6_NSB_4plusIvEENSB_8equal_toIvEES6_EE10hipError_tPvRmT2_T3_T4_T5_mT6_T7_P12ihipStream_tbENKUlT_T0_E_clISt17integral_constantIbLb1EES13_EEDaSY_SZ_EUlSY_E_NS1_11comp_targetILNS1_3genE2ELNS1_11target_archE906ELNS1_3gpuE6ELNS1_3repE0EEENS1_30default_config_static_selectorELNS0_4arch9wavefront6targetE0EEEvT1_.kd
    .uniform_work_group_size: 1
    .uses_dynamic_stack: false
    .vgpr_count:     0
    .vgpr_spill_count: 0
    .wavefront_size: 32
    .workgroup_processor_mode: 1
  - .args:
      - .offset:         0
        .size:           160
        .value_kind:     by_value
    .group_segment_fixed_size: 0
    .kernarg_segment_align: 8
    .kernarg_segment_size: 160
    .language:       OpenCL C
    .language_version:
      - 2
      - 0
    .max_flat_workgroup_size: 256
    .name:           _ZN7rocprim17ROCPRIM_400000_NS6detail17trampoline_kernelINS0_14default_configENS1_27scan_by_key_config_selectorIj11FixedVectorIiLj8EEEEZZNS1_16scan_by_key_implILNS1_25lookback_scan_determinismE0ELb0ES3_N6thrust23THRUST_200600_302600_NS6detail15normal_iteratorINSB_10device_ptrIjEEEENSD_INSE_IS6_EEEESI_S6_NSB_4plusIvEENSB_8equal_toIvEES6_EE10hipError_tPvRmT2_T3_T4_T5_mT6_T7_P12ihipStream_tbENKUlT_T0_E_clISt17integral_constantIbLb1EES13_EEDaSY_SZ_EUlSY_E_NS1_11comp_targetILNS1_3genE10ELNS1_11target_archE1200ELNS1_3gpuE4ELNS1_3repE0EEENS1_30default_config_static_selectorELNS0_4arch9wavefront6targetE0EEEvT1_
    .private_segment_fixed_size: 0
    .sgpr_count:     0
    .sgpr_spill_count: 0
    .symbol:         _ZN7rocprim17ROCPRIM_400000_NS6detail17trampoline_kernelINS0_14default_configENS1_27scan_by_key_config_selectorIj11FixedVectorIiLj8EEEEZZNS1_16scan_by_key_implILNS1_25lookback_scan_determinismE0ELb0ES3_N6thrust23THRUST_200600_302600_NS6detail15normal_iteratorINSB_10device_ptrIjEEEENSD_INSE_IS6_EEEESI_S6_NSB_4plusIvEENSB_8equal_toIvEES6_EE10hipError_tPvRmT2_T3_T4_T5_mT6_T7_P12ihipStream_tbENKUlT_T0_E_clISt17integral_constantIbLb1EES13_EEDaSY_SZ_EUlSY_E_NS1_11comp_targetILNS1_3genE10ELNS1_11target_archE1200ELNS1_3gpuE4ELNS1_3repE0EEENS1_30default_config_static_selectorELNS0_4arch9wavefront6targetE0EEEvT1_.kd
    .uniform_work_group_size: 1
    .uses_dynamic_stack: false
    .vgpr_count:     0
    .vgpr_spill_count: 0
    .wavefront_size: 32
    .workgroup_processor_mode: 1
  - .args:
      - .offset:         0
        .size:           160
        .value_kind:     by_value
    .group_segment_fixed_size: 0
    .kernarg_segment_align: 8
    .kernarg_segment_size: 160
    .language:       OpenCL C
    .language_version:
      - 2
      - 0
    .max_flat_workgroup_size: 256
    .name:           _ZN7rocprim17ROCPRIM_400000_NS6detail17trampoline_kernelINS0_14default_configENS1_27scan_by_key_config_selectorIj11FixedVectorIiLj8EEEEZZNS1_16scan_by_key_implILNS1_25lookback_scan_determinismE0ELb0ES3_N6thrust23THRUST_200600_302600_NS6detail15normal_iteratorINSB_10device_ptrIjEEEENSD_INSE_IS6_EEEESI_S6_NSB_4plusIvEENSB_8equal_toIvEES6_EE10hipError_tPvRmT2_T3_T4_T5_mT6_T7_P12ihipStream_tbENKUlT_T0_E_clISt17integral_constantIbLb1EES13_EEDaSY_SZ_EUlSY_E_NS1_11comp_targetILNS1_3genE9ELNS1_11target_archE1100ELNS1_3gpuE3ELNS1_3repE0EEENS1_30default_config_static_selectorELNS0_4arch9wavefront6targetE0EEEvT1_
    .private_segment_fixed_size: 0
    .sgpr_count:     0
    .sgpr_spill_count: 0
    .symbol:         _ZN7rocprim17ROCPRIM_400000_NS6detail17trampoline_kernelINS0_14default_configENS1_27scan_by_key_config_selectorIj11FixedVectorIiLj8EEEEZZNS1_16scan_by_key_implILNS1_25lookback_scan_determinismE0ELb0ES3_N6thrust23THRUST_200600_302600_NS6detail15normal_iteratorINSB_10device_ptrIjEEEENSD_INSE_IS6_EEEESI_S6_NSB_4plusIvEENSB_8equal_toIvEES6_EE10hipError_tPvRmT2_T3_T4_T5_mT6_T7_P12ihipStream_tbENKUlT_T0_E_clISt17integral_constantIbLb1EES13_EEDaSY_SZ_EUlSY_E_NS1_11comp_targetILNS1_3genE9ELNS1_11target_archE1100ELNS1_3gpuE3ELNS1_3repE0EEENS1_30default_config_static_selectorELNS0_4arch9wavefront6targetE0EEEvT1_.kd
    .uniform_work_group_size: 1
    .uses_dynamic_stack: false
    .vgpr_count:     0
    .vgpr_spill_count: 0
    .wavefront_size: 32
    .workgroup_processor_mode: 1
  - .args:
      - .offset:         0
        .size:           160
        .value_kind:     by_value
    .group_segment_fixed_size: 0
    .kernarg_segment_align: 8
    .kernarg_segment_size: 160
    .language:       OpenCL C
    .language_version:
      - 2
      - 0
    .max_flat_workgroup_size: 256
    .name:           _ZN7rocprim17ROCPRIM_400000_NS6detail17trampoline_kernelINS0_14default_configENS1_27scan_by_key_config_selectorIj11FixedVectorIiLj8EEEEZZNS1_16scan_by_key_implILNS1_25lookback_scan_determinismE0ELb0ES3_N6thrust23THRUST_200600_302600_NS6detail15normal_iteratorINSB_10device_ptrIjEEEENSD_INSE_IS6_EEEESI_S6_NSB_4plusIvEENSB_8equal_toIvEES6_EE10hipError_tPvRmT2_T3_T4_T5_mT6_T7_P12ihipStream_tbENKUlT_T0_E_clISt17integral_constantIbLb1EES13_EEDaSY_SZ_EUlSY_E_NS1_11comp_targetILNS1_3genE8ELNS1_11target_archE1030ELNS1_3gpuE2ELNS1_3repE0EEENS1_30default_config_static_selectorELNS0_4arch9wavefront6targetE0EEEvT1_
    .private_segment_fixed_size: 0
    .sgpr_count:     0
    .sgpr_spill_count: 0
    .symbol:         _ZN7rocprim17ROCPRIM_400000_NS6detail17trampoline_kernelINS0_14default_configENS1_27scan_by_key_config_selectorIj11FixedVectorIiLj8EEEEZZNS1_16scan_by_key_implILNS1_25lookback_scan_determinismE0ELb0ES3_N6thrust23THRUST_200600_302600_NS6detail15normal_iteratorINSB_10device_ptrIjEEEENSD_INSE_IS6_EEEESI_S6_NSB_4plusIvEENSB_8equal_toIvEES6_EE10hipError_tPvRmT2_T3_T4_T5_mT6_T7_P12ihipStream_tbENKUlT_T0_E_clISt17integral_constantIbLb1EES13_EEDaSY_SZ_EUlSY_E_NS1_11comp_targetILNS1_3genE8ELNS1_11target_archE1030ELNS1_3gpuE2ELNS1_3repE0EEENS1_30default_config_static_selectorELNS0_4arch9wavefront6targetE0EEEvT1_.kd
    .uniform_work_group_size: 1
    .uses_dynamic_stack: false
    .vgpr_count:     0
    .vgpr_spill_count: 0
    .wavefront_size: 32
    .workgroup_processor_mode: 1
  - .args:
      - .offset:         0
        .size:           24
        .value_kind:     by_value
      - .offset:         24
        .size:           4
        .value_kind:     by_value
      - .offset:         28
        .size:           4
        .value_kind:     by_value
      - .address_space:  global
        .offset:         32
        .size:           8
        .value_kind:     global_buffer
      - .address_space:  global
        .offset:         40
        .size:           8
        .value_kind:     global_buffer
      - .actual_access:  write_only
        .address_space:  global
        .offset:         48
        .size:           8
        .value_kind:     global_buffer
      - .offset:         56
        .size:           8
        .value_kind:     by_value
      - .offset:         64
        .size:           4
        .value_kind:     by_value
      - .offset:         68
        .size:           1
        .value_kind:     by_value
      - .offset:         72
        .size:           4
        .value_kind:     hidden_block_count_x
      - .offset:         76
        .size:           4
        .value_kind:     hidden_block_count_y
      - .offset:         80
        .size:           4
        .value_kind:     hidden_block_count_z
      - .offset:         84
        .size:           2
        .value_kind:     hidden_group_size_x
      - .offset:         86
        .size:           2
        .value_kind:     hidden_group_size_y
      - .offset:         88
        .size:           2
        .value_kind:     hidden_group_size_z
      - .offset:         90
        .size:           2
        .value_kind:     hidden_remainder_x
      - .offset:         92
        .size:           2
        .value_kind:     hidden_remainder_y
      - .offset:         94
        .size:           2
        .value_kind:     hidden_remainder_z
      - .offset:         112
        .size:           8
        .value_kind:     hidden_global_offset_x
      - .offset:         120
        .size:           8
        .value_kind:     hidden_global_offset_y
      - .offset:         128
        .size:           8
        .value_kind:     hidden_global_offset_z
      - .offset:         136
        .size:           2
        .value_kind:     hidden_grid_dims
    .group_segment_fixed_size: 9216
    .kernarg_segment_align: 8
    .kernarg_segment_size: 328
    .language:       OpenCL C
    .language_version:
      - 2
      - 0
    .max_flat_workgroup_size: 256
    .name:           _ZN7rocprim17ROCPRIM_400000_NS6detail30init_device_scan_by_key_kernelINS1_19lookback_scan_stateINS0_5tupleIJ11FixedVectorIiLj8EEbEEELb1ELb0EEEN6thrust23THRUST_200600_302600_NS6detail15normal_iteratorINSA_10device_ptrIjEEEEjNS1_16block_id_wrapperIjLb0EEEEEvT_jjPNSI_10value_typeET0_PNSt15iterator_traitsISL_E10value_typeEmT1_T2_
    .private_segment_fixed_size: 0
    .sgpr_count:     24
    .sgpr_spill_count: 0
    .symbol:         _ZN7rocprim17ROCPRIM_400000_NS6detail30init_device_scan_by_key_kernelINS1_19lookback_scan_stateINS0_5tupleIJ11FixedVectorIiLj8EEbEEELb1ELb0EEEN6thrust23THRUST_200600_302600_NS6detail15normal_iteratorINSA_10device_ptrIjEEEEjNS1_16block_id_wrapperIjLb0EEEEEvT_jjPNSI_10value_typeET0_PNSt15iterator_traitsISL_E10value_typeEmT1_T2_.kd
    .uniform_work_group_size: 1
    .uses_dynamic_stack: false
    .vgpr_count:     12
    .vgpr_spill_count: 0
    .wavefront_size: 32
    .workgroup_processor_mode: 1
  - .args:
      - .offset:         0
        .size:           24
        .value_kind:     by_value
      - .offset:         24
        .size:           4
        .value_kind:     by_value
      - .offset:         28
        .size:           4
        .value_kind:     by_value
      - .address_space:  global
        .offset:         32
        .size:           8
        .value_kind:     global_buffer
      - .offset:         40
        .size:           1
        .value_kind:     by_value
      - .offset:         48
        .size:           4
        .value_kind:     hidden_block_count_x
      - .offset:         52
        .size:           4
        .value_kind:     hidden_block_count_y
      - .offset:         56
        .size:           4
        .value_kind:     hidden_block_count_z
      - .offset:         60
        .size:           2
        .value_kind:     hidden_group_size_x
      - .offset:         62
        .size:           2
        .value_kind:     hidden_group_size_y
      - .offset:         64
        .size:           2
        .value_kind:     hidden_group_size_z
      - .offset:         66
        .size:           2
        .value_kind:     hidden_remainder_x
      - .offset:         68
        .size:           2
        .value_kind:     hidden_remainder_y
      - .offset:         70
        .size:           2
        .value_kind:     hidden_remainder_z
      - .offset:         88
        .size:           8
        .value_kind:     hidden_global_offset_x
      - .offset:         96
        .size:           8
        .value_kind:     hidden_global_offset_y
      - .offset:         104
        .size:           8
        .value_kind:     hidden_global_offset_z
      - .offset:         112
        .size:           2
        .value_kind:     hidden_grid_dims
    .group_segment_fixed_size: 9216
    .kernarg_segment_align: 8
    .kernarg_segment_size: 304
    .language:       OpenCL C
    .language_version:
      - 2
      - 0
    .max_flat_workgroup_size: 256
    .name:           _ZN7rocprim17ROCPRIM_400000_NS6detail30init_device_scan_by_key_kernelINS1_19lookback_scan_stateINS0_5tupleIJ11FixedVectorIiLj8EEbEEELb1ELb0EEENS1_16block_id_wrapperIjLb0EEEEEvT_jjPNSB_10value_typeET0_
    .private_segment_fixed_size: 0
    .sgpr_count:     18
    .sgpr_spill_count: 0
    .symbol:         _ZN7rocprim17ROCPRIM_400000_NS6detail30init_device_scan_by_key_kernelINS1_19lookback_scan_stateINS0_5tupleIJ11FixedVectorIiLj8EEbEEELb1ELb0EEENS1_16block_id_wrapperIjLb0EEEEEvT_jjPNSB_10value_typeET0_.kd
    .uniform_work_group_size: 1
    .uses_dynamic_stack: false
    .vgpr_count:     12
    .vgpr_spill_count: 0
    .wavefront_size: 32
    .workgroup_processor_mode: 1
  - .args:
      - .offset:         0
        .size:           160
        .value_kind:     by_value
    .group_segment_fixed_size: 0
    .kernarg_segment_align: 8
    .kernarg_segment_size: 160
    .language:       OpenCL C
    .language_version:
      - 2
      - 0
    .max_flat_workgroup_size: 256
    .name:           _ZN7rocprim17ROCPRIM_400000_NS6detail17trampoline_kernelINS0_14default_configENS1_27scan_by_key_config_selectorIj11FixedVectorIiLj8EEEEZZNS1_16scan_by_key_implILNS1_25lookback_scan_determinismE0ELb0ES3_N6thrust23THRUST_200600_302600_NS6detail15normal_iteratorINSB_10device_ptrIjEEEENSD_INSE_IS6_EEEESI_S6_NSB_4plusIvEENSB_8equal_toIvEES6_EE10hipError_tPvRmT2_T3_T4_T5_mT6_T7_P12ihipStream_tbENKUlT_T0_E_clISt17integral_constantIbLb1EES12_IbLb0EEEEDaSY_SZ_EUlSY_E_NS1_11comp_targetILNS1_3genE0ELNS1_11target_archE4294967295ELNS1_3gpuE0ELNS1_3repE0EEENS1_30default_config_static_selectorELNS0_4arch9wavefront6targetE0EEEvT1_
    .private_segment_fixed_size: 0
    .sgpr_count:     0
    .sgpr_spill_count: 0
    .symbol:         _ZN7rocprim17ROCPRIM_400000_NS6detail17trampoline_kernelINS0_14default_configENS1_27scan_by_key_config_selectorIj11FixedVectorIiLj8EEEEZZNS1_16scan_by_key_implILNS1_25lookback_scan_determinismE0ELb0ES3_N6thrust23THRUST_200600_302600_NS6detail15normal_iteratorINSB_10device_ptrIjEEEENSD_INSE_IS6_EEEESI_S6_NSB_4plusIvEENSB_8equal_toIvEES6_EE10hipError_tPvRmT2_T3_T4_T5_mT6_T7_P12ihipStream_tbENKUlT_T0_E_clISt17integral_constantIbLb1EES12_IbLb0EEEEDaSY_SZ_EUlSY_E_NS1_11comp_targetILNS1_3genE0ELNS1_11target_archE4294967295ELNS1_3gpuE0ELNS1_3repE0EEENS1_30default_config_static_selectorELNS0_4arch9wavefront6targetE0EEEvT1_.kd
    .uniform_work_group_size: 1
    .uses_dynamic_stack: false
    .vgpr_count:     0
    .vgpr_spill_count: 0
    .wavefront_size: 32
    .workgroup_processor_mode: 1
  - .args:
      - .offset:         0
        .size:           160
        .value_kind:     by_value
    .group_segment_fixed_size: 0
    .kernarg_segment_align: 8
    .kernarg_segment_size: 160
    .language:       OpenCL C
    .language_version:
      - 2
      - 0
    .max_flat_workgroup_size: 256
    .name:           _ZN7rocprim17ROCPRIM_400000_NS6detail17trampoline_kernelINS0_14default_configENS1_27scan_by_key_config_selectorIj11FixedVectorIiLj8EEEEZZNS1_16scan_by_key_implILNS1_25lookback_scan_determinismE0ELb0ES3_N6thrust23THRUST_200600_302600_NS6detail15normal_iteratorINSB_10device_ptrIjEEEENSD_INSE_IS6_EEEESI_S6_NSB_4plusIvEENSB_8equal_toIvEES6_EE10hipError_tPvRmT2_T3_T4_T5_mT6_T7_P12ihipStream_tbENKUlT_T0_E_clISt17integral_constantIbLb1EES12_IbLb0EEEEDaSY_SZ_EUlSY_E_NS1_11comp_targetILNS1_3genE10ELNS1_11target_archE1201ELNS1_3gpuE5ELNS1_3repE0EEENS1_30default_config_static_selectorELNS0_4arch9wavefront6targetE0EEEvT1_
    .private_segment_fixed_size: 0
    .sgpr_count:     0
    .sgpr_spill_count: 0
    .symbol:         _ZN7rocprim17ROCPRIM_400000_NS6detail17trampoline_kernelINS0_14default_configENS1_27scan_by_key_config_selectorIj11FixedVectorIiLj8EEEEZZNS1_16scan_by_key_implILNS1_25lookback_scan_determinismE0ELb0ES3_N6thrust23THRUST_200600_302600_NS6detail15normal_iteratorINSB_10device_ptrIjEEEENSD_INSE_IS6_EEEESI_S6_NSB_4plusIvEENSB_8equal_toIvEES6_EE10hipError_tPvRmT2_T3_T4_T5_mT6_T7_P12ihipStream_tbENKUlT_T0_E_clISt17integral_constantIbLb1EES12_IbLb0EEEEDaSY_SZ_EUlSY_E_NS1_11comp_targetILNS1_3genE10ELNS1_11target_archE1201ELNS1_3gpuE5ELNS1_3repE0EEENS1_30default_config_static_selectorELNS0_4arch9wavefront6targetE0EEEvT1_.kd
    .uniform_work_group_size: 1
    .uses_dynamic_stack: false
    .vgpr_count:     0
    .vgpr_spill_count: 0
    .wavefront_size: 32
    .workgroup_processor_mode: 1
  - .args:
      - .offset:         0
        .size:           160
        .value_kind:     by_value
    .group_segment_fixed_size: 0
    .kernarg_segment_align: 8
    .kernarg_segment_size: 160
    .language:       OpenCL C
    .language_version:
      - 2
      - 0
    .max_flat_workgroup_size: 256
    .name:           _ZN7rocprim17ROCPRIM_400000_NS6detail17trampoline_kernelINS0_14default_configENS1_27scan_by_key_config_selectorIj11FixedVectorIiLj8EEEEZZNS1_16scan_by_key_implILNS1_25lookback_scan_determinismE0ELb0ES3_N6thrust23THRUST_200600_302600_NS6detail15normal_iteratorINSB_10device_ptrIjEEEENSD_INSE_IS6_EEEESI_S6_NSB_4plusIvEENSB_8equal_toIvEES6_EE10hipError_tPvRmT2_T3_T4_T5_mT6_T7_P12ihipStream_tbENKUlT_T0_E_clISt17integral_constantIbLb1EES12_IbLb0EEEEDaSY_SZ_EUlSY_E_NS1_11comp_targetILNS1_3genE5ELNS1_11target_archE942ELNS1_3gpuE9ELNS1_3repE0EEENS1_30default_config_static_selectorELNS0_4arch9wavefront6targetE0EEEvT1_
    .private_segment_fixed_size: 0
    .sgpr_count:     0
    .sgpr_spill_count: 0
    .symbol:         _ZN7rocprim17ROCPRIM_400000_NS6detail17trampoline_kernelINS0_14default_configENS1_27scan_by_key_config_selectorIj11FixedVectorIiLj8EEEEZZNS1_16scan_by_key_implILNS1_25lookback_scan_determinismE0ELb0ES3_N6thrust23THRUST_200600_302600_NS6detail15normal_iteratorINSB_10device_ptrIjEEEENSD_INSE_IS6_EEEESI_S6_NSB_4plusIvEENSB_8equal_toIvEES6_EE10hipError_tPvRmT2_T3_T4_T5_mT6_T7_P12ihipStream_tbENKUlT_T0_E_clISt17integral_constantIbLb1EES12_IbLb0EEEEDaSY_SZ_EUlSY_E_NS1_11comp_targetILNS1_3genE5ELNS1_11target_archE942ELNS1_3gpuE9ELNS1_3repE0EEENS1_30default_config_static_selectorELNS0_4arch9wavefront6targetE0EEEvT1_.kd
    .uniform_work_group_size: 1
    .uses_dynamic_stack: false
    .vgpr_count:     0
    .vgpr_spill_count: 0
    .wavefront_size: 32
    .workgroup_processor_mode: 1
  - .args:
      - .offset:         0
        .size:           160
        .value_kind:     by_value
    .group_segment_fixed_size: 0
    .kernarg_segment_align: 8
    .kernarg_segment_size: 160
    .language:       OpenCL C
    .language_version:
      - 2
      - 0
    .max_flat_workgroup_size: 256
    .name:           _ZN7rocprim17ROCPRIM_400000_NS6detail17trampoline_kernelINS0_14default_configENS1_27scan_by_key_config_selectorIj11FixedVectorIiLj8EEEEZZNS1_16scan_by_key_implILNS1_25lookback_scan_determinismE0ELb0ES3_N6thrust23THRUST_200600_302600_NS6detail15normal_iteratorINSB_10device_ptrIjEEEENSD_INSE_IS6_EEEESI_S6_NSB_4plusIvEENSB_8equal_toIvEES6_EE10hipError_tPvRmT2_T3_T4_T5_mT6_T7_P12ihipStream_tbENKUlT_T0_E_clISt17integral_constantIbLb1EES12_IbLb0EEEEDaSY_SZ_EUlSY_E_NS1_11comp_targetILNS1_3genE4ELNS1_11target_archE910ELNS1_3gpuE8ELNS1_3repE0EEENS1_30default_config_static_selectorELNS0_4arch9wavefront6targetE0EEEvT1_
    .private_segment_fixed_size: 0
    .sgpr_count:     0
    .sgpr_spill_count: 0
    .symbol:         _ZN7rocprim17ROCPRIM_400000_NS6detail17trampoline_kernelINS0_14default_configENS1_27scan_by_key_config_selectorIj11FixedVectorIiLj8EEEEZZNS1_16scan_by_key_implILNS1_25lookback_scan_determinismE0ELb0ES3_N6thrust23THRUST_200600_302600_NS6detail15normal_iteratorINSB_10device_ptrIjEEEENSD_INSE_IS6_EEEESI_S6_NSB_4plusIvEENSB_8equal_toIvEES6_EE10hipError_tPvRmT2_T3_T4_T5_mT6_T7_P12ihipStream_tbENKUlT_T0_E_clISt17integral_constantIbLb1EES12_IbLb0EEEEDaSY_SZ_EUlSY_E_NS1_11comp_targetILNS1_3genE4ELNS1_11target_archE910ELNS1_3gpuE8ELNS1_3repE0EEENS1_30default_config_static_selectorELNS0_4arch9wavefront6targetE0EEEvT1_.kd
    .uniform_work_group_size: 1
    .uses_dynamic_stack: false
    .vgpr_count:     0
    .vgpr_spill_count: 0
    .wavefront_size: 32
    .workgroup_processor_mode: 1
  - .args:
      - .offset:         0
        .size:           160
        .value_kind:     by_value
    .group_segment_fixed_size: 0
    .kernarg_segment_align: 8
    .kernarg_segment_size: 160
    .language:       OpenCL C
    .language_version:
      - 2
      - 0
    .max_flat_workgroup_size: 256
    .name:           _ZN7rocprim17ROCPRIM_400000_NS6detail17trampoline_kernelINS0_14default_configENS1_27scan_by_key_config_selectorIj11FixedVectorIiLj8EEEEZZNS1_16scan_by_key_implILNS1_25lookback_scan_determinismE0ELb0ES3_N6thrust23THRUST_200600_302600_NS6detail15normal_iteratorINSB_10device_ptrIjEEEENSD_INSE_IS6_EEEESI_S6_NSB_4plusIvEENSB_8equal_toIvEES6_EE10hipError_tPvRmT2_T3_T4_T5_mT6_T7_P12ihipStream_tbENKUlT_T0_E_clISt17integral_constantIbLb1EES12_IbLb0EEEEDaSY_SZ_EUlSY_E_NS1_11comp_targetILNS1_3genE3ELNS1_11target_archE908ELNS1_3gpuE7ELNS1_3repE0EEENS1_30default_config_static_selectorELNS0_4arch9wavefront6targetE0EEEvT1_
    .private_segment_fixed_size: 0
    .sgpr_count:     0
    .sgpr_spill_count: 0
    .symbol:         _ZN7rocprim17ROCPRIM_400000_NS6detail17trampoline_kernelINS0_14default_configENS1_27scan_by_key_config_selectorIj11FixedVectorIiLj8EEEEZZNS1_16scan_by_key_implILNS1_25lookback_scan_determinismE0ELb0ES3_N6thrust23THRUST_200600_302600_NS6detail15normal_iteratorINSB_10device_ptrIjEEEENSD_INSE_IS6_EEEESI_S6_NSB_4plusIvEENSB_8equal_toIvEES6_EE10hipError_tPvRmT2_T3_T4_T5_mT6_T7_P12ihipStream_tbENKUlT_T0_E_clISt17integral_constantIbLb1EES12_IbLb0EEEEDaSY_SZ_EUlSY_E_NS1_11comp_targetILNS1_3genE3ELNS1_11target_archE908ELNS1_3gpuE7ELNS1_3repE0EEENS1_30default_config_static_selectorELNS0_4arch9wavefront6targetE0EEEvT1_.kd
    .uniform_work_group_size: 1
    .uses_dynamic_stack: false
    .vgpr_count:     0
    .vgpr_spill_count: 0
    .wavefront_size: 32
    .workgroup_processor_mode: 1
  - .args:
      - .offset:         0
        .size:           160
        .value_kind:     by_value
    .group_segment_fixed_size: 0
    .kernarg_segment_align: 8
    .kernarg_segment_size: 160
    .language:       OpenCL C
    .language_version:
      - 2
      - 0
    .max_flat_workgroup_size: 256
    .name:           _ZN7rocprim17ROCPRIM_400000_NS6detail17trampoline_kernelINS0_14default_configENS1_27scan_by_key_config_selectorIj11FixedVectorIiLj8EEEEZZNS1_16scan_by_key_implILNS1_25lookback_scan_determinismE0ELb0ES3_N6thrust23THRUST_200600_302600_NS6detail15normal_iteratorINSB_10device_ptrIjEEEENSD_INSE_IS6_EEEESI_S6_NSB_4plusIvEENSB_8equal_toIvEES6_EE10hipError_tPvRmT2_T3_T4_T5_mT6_T7_P12ihipStream_tbENKUlT_T0_E_clISt17integral_constantIbLb1EES12_IbLb0EEEEDaSY_SZ_EUlSY_E_NS1_11comp_targetILNS1_3genE2ELNS1_11target_archE906ELNS1_3gpuE6ELNS1_3repE0EEENS1_30default_config_static_selectorELNS0_4arch9wavefront6targetE0EEEvT1_
    .private_segment_fixed_size: 0
    .sgpr_count:     0
    .sgpr_spill_count: 0
    .symbol:         _ZN7rocprim17ROCPRIM_400000_NS6detail17trampoline_kernelINS0_14default_configENS1_27scan_by_key_config_selectorIj11FixedVectorIiLj8EEEEZZNS1_16scan_by_key_implILNS1_25lookback_scan_determinismE0ELb0ES3_N6thrust23THRUST_200600_302600_NS6detail15normal_iteratorINSB_10device_ptrIjEEEENSD_INSE_IS6_EEEESI_S6_NSB_4plusIvEENSB_8equal_toIvEES6_EE10hipError_tPvRmT2_T3_T4_T5_mT6_T7_P12ihipStream_tbENKUlT_T0_E_clISt17integral_constantIbLb1EES12_IbLb0EEEEDaSY_SZ_EUlSY_E_NS1_11comp_targetILNS1_3genE2ELNS1_11target_archE906ELNS1_3gpuE6ELNS1_3repE0EEENS1_30default_config_static_selectorELNS0_4arch9wavefront6targetE0EEEvT1_.kd
    .uniform_work_group_size: 1
    .uses_dynamic_stack: false
    .vgpr_count:     0
    .vgpr_spill_count: 0
    .wavefront_size: 32
    .workgroup_processor_mode: 1
  - .args:
      - .offset:         0
        .size:           160
        .value_kind:     by_value
    .group_segment_fixed_size: 0
    .kernarg_segment_align: 8
    .kernarg_segment_size: 160
    .language:       OpenCL C
    .language_version:
      - 2
      - 0
    .max_flat_workgroup_size: 256
    .name:           _ZN7rocprim17ROCPRIM_400000_NS6detail17trampoline_kernelINS0_14default_configENS1_27scan_by_key_config_selectorIj11FixedVectorIiLj8EEEEZZNS1_16scan_by_key_implILNS1_25lookback_scan_determinismE0ELb0ES3_N6thrust23THRUST_200600_302600_NS6detail15normal_iteratorINSB_10device_ptrIjEEEENSD_INSE_IS6_EEEESI_S6_NSB_4plusIvEENSB_8equal_toIvEES6_EE10hipError_tPvRmT2_T3_T4_T5_mT6_T7_P12ihipStream_tbENKUlT_T0_E_clISt17integral_constantIbLb1EES12_IbLb0EEEEDaSY_SZ_EUlSY_E_NS1_11comp_targetILNS1_3genE10ELNS1_11target_archE1200ELNS1_3gpuE4ELNS1_3repE0EEENS1_30default_config_static_selectorELNS0_4arch9wavefront6targetE0EEEvT1_
    .private_segment_fixed_size: 0
    .sgpr_count:     0
    .sgpr_spill_count: 0
    .symbol:         _ZN7rocprim17ROCPRIM_400000_NS6detail17trampoline_kernelINS0_14default_configENS1_27scan_by_key_config_selectorIj11FixedVectorIiLj8EEEEZZNS1_16scan_by_key_implILNS1_25lookback_scan_determinismE0ELb0ES3_N6thrust23THRUST_200600_302600_NS6detail15normal_iteratorINSB_10device_ptrIjEEEENSD_INSE_IS6_EEEESI_S6_NSB_4plusIvEENSB_8equal_toIvEES6_EE10hipError_tPvRmT2_T3_T4_T5_mT6_T7_P12ihipStream_tbENKUlT_T0_E_clISt17integral_constantIbLb1EES12_IbLb0EEEEDaSY_SZ_EUlSY_E_NS1_11comp_targetILNS1_3genE10ELNS1_11target_archE1200ELNS1_3gpuE4ELNS1_3repE0EEENS1_30default_config_static_selectorELNS0_4arch9wavefront6targetE0EEEvT1_.kd
    .uniform_work_group_size: 1
    .uses_dynamic_stack: false
    .vgpr_count:     0
    .vgpr_spill_count: 0
    .wavefront_size: 32
    .workgroup_processor_mode: 1
  - .args:
      - .offset:         0
        .size:           160
        .value_kind:     by_value
    .group_segment_fixed_size: 0
    .kernarg_segment_align: 8
    .kernarg_segment_size: 160
    .language:       OpenCL C
    .language_version:
      - 2
      - 0
    .max_flat_workgroup_size: 256
    .name:           _ZN7rocprim17ROCPRIM_400000_NS6detail17trampoline_kernelINS0_14default_configENS1_27scan_by_key_config_selectorIj11FixedVectorIiLj8EEEEZZNS1_16scan_by_key_implILNS1_25lookback_scan_determinismE0ELb0ES3_N6thrust23THRUST_200600_302600_NS6detail15normal_iteratorINSB_10device_ptrIjEEEENSD_INSE_IS6_EEEESI_S6_NSB_4plusIvEENSB_8equal_toIvEES6_EE10hipError_tPvRmT2_T3_T4_T5_mT6_T7_P12ihipStream_tbENKUlT_T0_E_clISt17integral_constantIbLb1EES12_IbLb0EEEEDaSY_SZ_EUlSY_E_NS1_11comp_targetILNS1_3genE9ELNS1_11target_archE1100ELNS1_3gpuE3ELNS1_3repE0EEENS1_30default_config_static_selectorELNS0_4arch9wavefront6targetE0EEEvT1_
    .private_segment_fixed_size: 0
    .sgpr_count:     0
    .sgpr_spill_count: 0
    .symbol:         _ZN7rocprim17ROCPRIM_400000_NS6detail17trampoline_kernelINS0_14default_configENS1_27scan_by_key_config_selectorIj11FixedVectorIiLj8EEEEZZNS1_16scan_by_key_implILNS1_25lookback_scan_determinismE0ELb0ES3_N6thrust23THRUST_200600_302600_NS6detail15normal_iteratorINSB_10device_ptrIjEEEENSD_INSE_IS6_EEEESI_S6_NSB_4plusIvEENSB_8equal_toIvEES6_EE10hipError_tPvRmT2_T3_T4_T5_mT6_T7_P12ihipStream_tbENKUlT_T0_E_clISt17integral_constantIbLb1EES12_IbLb0EEEEDaSY_SZ_EUlSY_E_NS1_11comp_targetILNS1_3genE9ELNS1_11target_archE1100ELNS1_3gpuE3ELNS1_3repE0EEENS1_30default_config_static_selectorELNS0_4arch9wavefront6targetE0EEEvT1_.kd
    .uniform_work_group_size: 1
    .uses_dynamic_stack: false
    .vgpr_count:     0
    .vgpr_spill_count: 0
    .wavefront_size: 32
    .workgroup_processor_mode: 1
  - .args:
      - .offset:         0
        .size:           160
        .value_kind:     by_value
    .group_segment_fixed_size: 0
    .kernarg_segment_align: 8
    .kernarg_segment_size: 160
    .language:       OpenCL C
    .language_version:
      - 2
      - 0
    .max_flat_workgroup_size: 256
    .name:           _ZN7rocprim17ROCPRIM_400000_NS6detail17trampoline_kernelINS0_14default_configENS1_27scan_by_key_config_selectorIj11FixedVectorIiLj8EEEEZZNS1_16scan_by_key_implILNS1_25lookback_scan_determinismE0ELb0ES3_N6thrust23THRUST_200600_302600_NS6detail15normal_iteratorINSB_10device_ptrIjEEEENSD_INSE_IS6_EEEESI_S6_NSB_4plusIvEENSB_8equal_toIvEES6_EE10hipError_tPvRmT2_T3_T4_T5_mT6_T7_P12ihipStream_tbENKUlT_T0_E_clISt17integral_constantIbLb1EES12_IbLb0EEEEDaSY_SZ_EUlSY_E_NS1_11comp_targetILNS1_3genE8ELNS1_11target_archE1030ELNS1_3gpuE2ELNS1_3repE0EEENS1_30default_config_static_selectorELNS0_4arch9wavefront6targetE0EEEvT1_
    .private_segment_fixed_size: 0
    .sgpr_count:     0
    .sgpr_spill_count: 0
    .symbol:         _ZN7rocprim17ROCPRIM_400000_NS6detail17trampoline_kernelINS0_14default_configENS1_27scan_by_key_config_selectorIj11FixedVectorIiLj8EEEEZZNS1_16scan_by_key_implILNS1_25lookback_scan_determinismE0ELb0ES3_N6thrust23THRUST_200600_302600_NS6detail15normal_iteratorINSB_10device_ptrIjEEEENSD_INSE_IS6_EEEESI_S6_NSB_4plusIvEENSB_8equal_toIvEES6_EE10hipError_tPvRmT2_T3_T4_T5_mT6_T7_P12ihipStream_tbENKUlT_T0_E_clISt17integral_constantIbLb1EES12_IbLb0EEEEDaSY_SZ_EUlSY_E_NS1_11comp_targetILNS1_3genE8ELNS1_11target_archE1030ELNS1_3gpuE2ELNS1_3repE0EEENS1_30default_config_static_selectorELNS0_4arch9wavefront6targetE0EEEvT1_.kd
    .uniform_work_group_size: 1
    .uses_dynamic_stack: false
    .vgpr_count:     0
    .vgpr_spill_count: 0
    .wavefront_size: 32
    .workgroup_processor_mode: 1
  - .args:
      - .offset:         0
        .size:           24
        .value_kind:     by_value
      - .offset:         24
        .size:           4
        .value_kind:     by_value
      - .offset:         28
        .size:           4
        .value_kind:     by_value
      - .address_space:  global
        .offset:         32
        .size:           8
        .value_kind:     global_buffer
      - .address_space:  global
        .offset:         40
        .size:           8
        .value_kind:     global_buffer
      - .actual_access:  write_only
        .address_space:  global
        .offset:         48
        .size:           8
        .value_kind:     global_buffer
      - .offset:         56
        .size:           8
        .value_kind:     by_value
      - .offset:         64
        .size:           4
        .value_kind:     by_value
      - .address_space:  global
        .offset:         72
        .size:           8
        .value_kind:     global_buffer
      - .offset:         80
        .size:           4
        .value_kind:     hidden_block_count_x
      - .offset:         84
        .size:           4
        .value_kind:     hidden_block_count_y
      - .offset:         88
        .size:           4
        .value_kind:     hidden_block_count_z
      - .offset:         92
        .size:           2
        .value_kind:     hidden_group_size_x
      - .offset:         94
        .size:           2
        .value_kind:     hidden_group_size_y
      - .offset:         96
        .size:           2
        .value_kind:     hidden_group_size_z
      - .offset:         98
        .size:           2
        .value_kind:     hidden_remainder_x
      - .offset:         100
        .size:           2
        .value_kind:     hidden_remainder_y
      - .offset:         102
        .size:           2
        .value_kind:     hidden_remainder_z
      - .offset:         120
        .size:           8
        .value_kind:     hidden_global_offset_x
      - .offset:         128
        .size:           8
        .value_kind:     hidden_global_offset_y
      - .offset:         136
        .size:           8
        .value_kind:     hidden_global_offset_z
      - .offset:         144
        .size:           2
        .value_kind:     hidden_grid_dims
    .group_segment_fixed_size: 9216
    .kernarg_segment_align: 8
    .kernarg_segment_size: 336
    .language:       OpenCL C
    .language_version:
      - 2
      - 0
    .max_flat_workgroup_size: 256
    .name:           _ZN7rocprim17ROCPRIM_400000_NS6detail30init_device_scan_by_key_kernelINS1_19lookback_scan_stateINS0_5tupleIJ11FixedVectorIiLj8EEbEEELb0ELb0EEEN6thrust23THRUST_200600_302600_NS6detail15normal_iteratorINSA_10device_ptrIjEEEEjNS1_16block_id_wrapperIjLb1EEEEEvT_jjPNSI_10value_typeET0_PNSt15iterator_traitsISL_E10value_typeEmT1_T2_
    .private_segment_fixed_size: 0
    .sgpr_count:     23
    .sgpr_spill_count: 0
    .symbol:         _ZN7rocprim17ROCPRIM_400000_NS6detail30init_device_scan_by_key_kernelINS1_19lookback_scan_stateINS0_5tupleIJ11FixedVectorIiLj8EEbEEELb0ELb0EEEN6thrust23THRUST_200600_302600_NS6detail15normal_iteratorINSA_10device_ptrIjEEEEjNS1_16block_id_wrapperIjLb1EEEEEvT_jjPNSI_10value_typeET0_PNSt15iterator_traitsISL_E10value_typeEmT1_T2_.kd
    .uniform_work_group_size: 1
    .uses_dynamic_stack: false
    .vgpr_count:     12
    .vgpr_spill_count: 0
    .wavefront_size: 32
    .workgroup_processor_mode: 1
  - .args:
      - .offset:         0
        .size:           24
        .value_kind:     by_value
      - .offset:         24
        .size:           4
        .value_kind:     by_value
      - .offset:         28
        .size:           4
        .value_kind:     by_value
      - .address_space:  global
        .offset:         32
        .size:           8
        .value_kind:     global_buffer
      - .address_space:  global
        .offset:         40
        .size:           8
        .value_kind:     global_buffer
      - .offset:         48
        .size:           4
        .value_kind:     hidden_block_count_x
      - .offset:         52
        .size:           4
        .value_kind:     hidden_block_count_y
      - .offset:         56
        .size:           4
        .value_kind:     hidden_block_count_z
      - .offset:         60
        .size:           2
        .value_kind:     hidden_group_size_x
      - .offset:         62
        .size:           2
        .value_kind:     hidden_group_size_y
      - .offset:         64
        .size:           2
        .value_kind:     hidden_group_size_z
      - .offset:         66
        .size:           2
        .value_kind:     hidden_remainder_x
      - .offset:         68
        .size:           2
        .value_kind:     hidden_remainder_y
      - .offset:         70
        .size:           2
        .value_kind:     hidden_remainder_z
      - .offset:         88
        .size:           8
        .value_kind:     hidden_global_offset_x
      - .offset:         96
        .size:           8
        .value_kind:     hidden_global_offset_y
      - .offset:         104
        .size:           8
        .value_kind:     hidden_global_offset_z
      - .offset:         112
        .size:           2
        .value_kind:     hidden_grid_dims
    .group_segment_fixed_size: 9216
    .kernarg_segment_align: 8
    .kernarg_segment_size: 304
    .language:       OpenCL C
    .language_version:
      - 2
      - 0
    .max_flat_workgroup_size: 256
    .name:           _ZN7rocprim17ROCPRIM_400000_NS6detail30init_device_scan_by_key_kernelINS1_19lookback_scan_stateINS0_5tupleIJ11FixedVectorIiLj8EEbEEELb0ELb0EEENS1_16block_id_wrapperIjLb1EEEEEvT_jjPNSB_10value_typeET0_
    .private_segment_fixed_size: 0
    .sgpr_count:     22
    .sgpr_spill_count: 0
    .symbol:         _ZN7rocprim17ROCPRIM_400000_NS6detail30init_device_scan_by_key_kernelINS1_19lookback_scan_stateINS0_5tupleIJ11FixedVectorIiLj8EEbEEELb0ELb0EEENS1_16block_id_wrapperIjLb1EEEEEvT_jjPNSB_10value_typeET0_.kd
    .uniform_work_group_size: 1
    .uses_dynamic_stack: false
    .vgpr_count:     12
    .vgpr_spill_count: 0
    .wavefront_size: 32
    .workgroup_processor_mode: 1
  - .args:
      - .offset:         0
        .size:           160
        .value_kind:     by_value
    .group_segment_fixed_size: 0
    .kernarg_segment_align: 8
    .kernarg_segment_size: 160
    .language:       OpenCL C
    .language_version:
      - 2
      - 0
    .max_flat_workgroup_size: 256
    .name:           _ZN7rocprim17ROCPRIM_400000_NS6detail17trampoline_kernelINS0_14default_configENS1_27scan_by_key_config_selectorIj11FixedVectorIiLj8EEEEZZNS1_16scan_by_key_implILNS1_25lookback_scan_determinismE0ELb0ES3_N6thrust23THRUST_200600_302600_NS6detail15normal_iteratorINSB_10device_ptrIjEEEENSD_INSE_IS6_EEEESI_S6_NSB_4plusIvEENSB_8equal_toIvEES6_EE10hipError_tPvRmT2_T3_T4_T5_mT6_T7_P12ihipStream_tbENKUlT_T0_E_clISt17integral_constantIbLb0EES12_IbLb1EEEEDaSY_SZ_EUlSY_E_NS1_11comp_targetILNS1_3genE0ELNS1_11target_archE4294967295ELNS1_3gpuE0ELNS1_3repE0EEENS1_30default_config_static_selectorELNS0_4arch9wavefront6targetE0EEEvT1_
    .private_segment_fixed_size: 0
    .sgpr_count:     0
    .sgpr_spill_count: 0
    .symbol:         _ZN7rocprim17ROCPRIM_400000_NS6detail17trampoline_kernelINS0_14default_configENS1_27scan_by_key_config_selectorIj11FixedVectorIiLj8EEEEZZNS1_16scan_by_key_implILNS1_25lookback_scan_determinismE0ELb0ES3_N6thrust23THRUST_200600_302600_NS6detail15normal_iteratorINSB_10device_ptrIjEEEENSD_INSE_IS6_EEEESI_S6_NSB_4plusIvEENSB_8equal_toIvEES6_EE10hipError_tPvRmT2_T3_T4_T5_mT6_T7_P12ihipStream_tbENKUlT_T0_E_clISt17integral_constantIbLb0EES12_IbLb1EEEEDaSY_SZ_EUlSY_E_NS1_11comp_targetILNS1_3genE0ELNS1_11target_archE4294967295ELNS1_3gpuE0ELNS1_3repE0EEENS1_30default_config_static_selectorELNS0_4arch9wavefront6targetE0EEEvT1_.kd
    .uniform_work_group_size: 1
    .uses_dynamic_stack: false
    .vgpr_count:     0
    .vgpr_spill_count: 0
    .wavefront_size: 32
    .workgroup_processor_mode: 1
  - .args:
      - .offset:         0
        .size:           160
        .value_kind:     by_value
    .group_segment_fixed_size: 0
    .kernarg_segment_align: 8
    .kernarg_segment_size: 160
    .language:       OpenCL C
    .language_version:
      - 2
      - 0
    .max_flat_workgroup_size: 256
    .name:           _ZN7rocprim17ROCPRIM_400000_NS6detail17trampoline_kernelINS0_14default_configENS1_27scan_by_key_config_selectorIj11FixedVectorIiLj8EEEEZZNS1_16scan_by_key_implILNS1_25lookback_scan_determinismE0ELb0ES3_N6thrust23THRUST_200600_302600_NS6detail15normal_iteratorINSB_10device_ptrIjEEEENSD_INSE_IS6_EEEESI_S6_NSB_4plusIvEENSB_8equal_toIvEES6_EE10hipError_tPvRmT2_T3_T4_T5_mT6_T7_P12ihipStream_tbENKUlT_T0_E_clISt17integral_constantIbLb0EES12_IbLb1EEEEDaSY_SZ_EUlSY_E_NS1_11comp_targetILNS1_3genE10ELNS1_11target_archE1201ELNS1_3gpuE5ELNS1_3repE0EEENS1_30default_config_static_selectorELNS0_4arch9wavefront6targetE0EEEvT1_
    .private_segment_fixed_size: 0
    .sgpr_count:     0
    .sgpr_spill_count: 0
    .symbol:         _ZN7rocprim17ROCPRIM_400000_NS6detail17trampoline_kernelINS0_14default_configENS1_27scan_by_key_config_selectorIj11FixedVectorIiLj8EEEEZZNS1_16scan_by_key_implILNS1_25lookback_scan_determinismE0ELb0ES3_N6thrust23THRUST_200600_302600_NS6detail15normal_iteratorINSB_10device_ptrIjEEEENSD_INSE_IS6_EEEESI_S6_NSB_4plusIvEENSB_8equal_toIvEES6_EE10hipError_tPvRmT2_T3_T4_T5_mT6_T7_P12ihipStream_tbENKUlT_T0_E_clISt17integral_constantIbLb0EES12_IbLb1EEEEDaSY_SZ_EUlSY_E_NS1_11comp_targetILNS1_3genE10ELNS1_11target_archE1201ELNS1_3gpuE5ELNS1_3repE0EEENS1_30default_config_static_selectorELNS0_4arch9wavefront6targetE0EEEvT1_.kd
    .uniform_work_group_size: 1
    .uses_dynamic_stack: false
    .vgpr_count:     0
    .vgpr_spill_count: 0
    .wavefront_size: 32
    .workgroup_processor_mode: 1
  - .args:
      - .offset:         0
        .size:           160
        .value_kind:     by_value
    .group_segment_fixed_size: 0
    .kernarg_segment_align: 8
    .kernarg_segment_size: 160
    .language:       OpenCL C
    .language_version:
      - 2
      - 0
    .max_flat_workgroup_size: 256
    .name:           _ZN7rocprim17ROCPRIM_400000_NS6detail17trampoline_kernelINS0_14default_configENS1_27scan_by_key_config_selectorIj11FixedVectorIiLj8EEEEZZNS1_16scan_by_key_implILNS1_25lookback_scan_determinismE0ELb0ES3_N6thrust23THRUST_200600_302600_NS6detail15normal_iteratorINSB_10device_ptrIjEEEENSD_INSE_IS6_EEEESI_S6_NSB_4plusIvEENSB_8equal_toIvEES6_EE10hipError_tPvRmT2_T3_T4_T5_mT6_T7_P12ihipStream_tbENKUlT_T0_E_clISt17integral_constantIbLb0EES12_IbLb1EEEEDaSY_SZ_EUlSY_E_NS1_11comp_targetILNS1_3genE5ELNS1_11target_archE942ELNS1_3gpuE9ELNS1_3repE0EEENS1_30default_config_static_selectorELNS0_4arch9wavefront6targetE0EEEvT1_
    .private_segment_fixed_size: 0
    .sgpr_count:     0
    .sgpr_spill_count: 0
    .symbol:         _ZN7rocprim17ROCPRIM_400000_NS6detail17trampoline_kernelINS0_14default_configENS1_27scan_by_key_config_selectorIj11FixedVectorIiLj8EEEEZZNS1_16scan_by_key_implILNS1_25lookback_scan_determinismE0ELb0ES3_N6thrust23THRUST_200600_302600_NS6detail15normal_iteratorINSB_10device_ptrIjEEEENSD_INSE_IS6_EEEESI_S6_NSB_4plusIvEENSB_8equal_toIvEES6_EE10hipError_tPvRmT2_T3_T4_T5_mT6_T7_P12ihipStream_tbENKUlT_T0_E_clISt17integral_constantIbLb0EES12_IbLb1EEEEDaSY_SZ_EUlSY_E_NS1_11comp_targetILNS1_3genE5ELNS1_11target_archE942ELNS1_3gpuE9ELNS1_3repE0EEENS1_30default_config_static_selectorELNS0_4arch9wavefront6targetE0EEEvT1_.kd
    .uniform_work_group_size: 1
    .uses_dynamic_stack: false
    .vgpr_count:     0
    .vgpr_spill_count: 0
    .wavefront_size: 32
    .workgroup_processor_mode: 1
  - .args:
      - .offset:         0
        .size:           160
        .value_kind:     by_value
    .group_segment_fixed_size: 0
    .kernarg_segment_align: 8
    .kernarg_segment_size: 160
    .language:       OpenCL C
    .language_version:
      - 2
      - 0
    .max_flat_workgroup_size: 256
    .name:           _ZN7rocprim17ROCPRIM_400000_NS6detail17trampoline_kernelINS0_14default_configENS1_27scan_by_key_config_selectorIj11FixedVectorIiLj8EEEEZZNS1_16scan_by_key_implILNS1_25lookback_scan_determinismE0ELb0ES3_N6thrust23THRUST_200600_302600_NS6detail15normal_iteratorINSB_10device_ptrIjEEEENSD_INSE_IS6_EEEESI_S6_NSB_4plusIvEENSB_8equal_toIvEES6_EE10hipError_tPvRmT2_T3_T4_T5_mT6_T7_P12ihipStream_tbENKUlT_T0_E_clISt17integral_constantIbLb0EES12_IbLb1EEEEDaSY_SZ_EUlSY_E_NS1_11comp_targetILNS1_3genE4ELNS1_11target_archE910ELNS1_3gpuE8ELNS1_3repE0EEENS1_30default_config_static_selectorELNS0_4arch9wavefront6targetE0EEEvT1_
    .private_segment_fixed_size: 0
    .sgpr_count:     0
    .sgpr_spill_count: 0
    .symbol:         _ZN7rocprim17ROCPRIM_400000_NS6detail17trampoline_kernelINS0_14default_configENS1_27scan_by_key_config_selectorIj11FixedVectorIiLj8EEEEZZNS1_16scan_by_key_implILNS1_25lookback_scan_determinismE0ELb0ES3_N6thrust23THRUST_200600_302600_NS6detail15normal_iteratorINSB_10device_ptrIjEEEENSD_INSE_IS6_EEEESI_S6_NSB_4plusIvEENSB_8equal_toIvEES6_EE10hipError_tPvRmT2_T3_T4_T5_mT6_T7_P12ihipStream_tbENKUlT_T0_E_clISt17integral_constantIbLb0EES12_IbLb1EEEEDaSY_SZ_EUlSY_E_NS1_11comp_targetILNS1_3genE4ELNS1_11target_archE910ELNS1_3gpuE8ELNS1_3repE0EEENS1_30default_config_static_selectorELNS0_4arch9wavefront6targetE0EEEvT1_.kd
    .uniform_work_group_size: 1
    .uses_dynamic_stack: false
    .vgpr_count:     0
    .vgpr_spill_count: 0
    .wavefront_size: 32
    .workgroup_processor_mode: 1
  - .args:
      - .offset:         0
        .size:           160
        .value_kind:     by_value
    .group_segment_fixed_size: 0
    .kernarg_segment_align: 8
    .kernarg_segment_size: 160
    .language:       OpenCL C
    .language_version:
      - 2
      - 0
    .max_flat_workgroup_size: 256
    .name:           _ZN7rocprim17ROCPRIM_400000_NS6detail17trampoline_kernelINS0_14default_configENS1_27scan_by_key_config_selectorIj11FixedVectorIiLj8EEEEZZNS1_16scan_by_key_implILNS1_25lookback_scan_determinismE0ELb0ES3_N6thrust23THRUST_200600_302600_NS6detail15normal_iteratorINSB_10device_ptrIjEEEENSD_INSE_IS6_EEEESI_S6_NSB_4plusIvEENSB_8equal_toIvEES6_EE10hipError_tPvRmT2_T3_T4_T5_mT6_T7_P12ihipStream_tbENKUlT_T0_E_clISt17integral_constantIbLb0EES12_IbLb1EEEEDaSY_SZ_EUlSY_E_NS1_11comp_targetILNS1_3genE3ELNS1_11target_archE908ELNS1_3gpuE7ELNS1_3repE0EEENS1_30default_config_static_selectorELNS0_4arch9wavefront6targetE0EEEvT1_
    .private_segment_fixed_size: 0
    .sgpr_count:     0
    .sgpr_spill_count: 0
    .symbol:         _ZN7rocprim17ROCPRIM_400000_NS6detail17trampoline_kernelINS0_14default_configENS1_27scan_by_key_config_selectorIj11FixedVectorIiLj8EEEEZZNS1_16scan_by_key_implILNS1_25lookback_scan_determinismE0ELb0ES3_N6thrust23THRUST_200600_302600_NS6detail15normal_iteratorINSB_10device_ptrIjEEEENSD_INSE_IS6_EEEESI_S6_NSB_4plusIvEENSB_8equal_toIvEES6_EE10hipError_tPvRmT2_T3_T4_T5_mT6_T7_P12ihipStream_tbENKUlT_T0_E_clISt17integral_constantIbLb0EES12_IbLb1EEEEDaSY_SZ_EUlSY_E_NS1_11comp_targetILNS1_3genE3ELNS1_11target_archE908ELNS1_3gpuE7ELNS1_3repE0EEENS1_30default_config_static_selectorELNS0_4arch9wavefront6targetE0EEEvT1_.kd
    .uniform_work_group_size: 1
    .uses_dynamic_stack: false
    .vgpr_count:     0
    .vgpr_spill_count: 0
    .wavefront_size: 32
    .workgroup_processor_mode: 1
  - .args:
      - .offset:         0
        .size:           160
        .value_kind:     by_value
    .group_segment_fixed_size: 0
    .kernarg_segment_align: 8
    .kernarg_segment_size: 160
    .language:       OpenCL C
    .language_version:
      - 2
      - 0
    .max_flat_workgroup_size: 256
    .name:           _ZN7rocprim17ROCPRIM_400000_NS6detail17trampoline_kernelINS0_14default_configENS1_27scan_by_key_config_selectorIj11FixedVectorIiLj8EEEEZZNS1_16scan_by_key_implILNS1_25lookback_scan_determinismE0ELb0ES3_N6thrust23THRUST_200600_302600_NS6detail15normal_iteratorINSB_10device_ptrIjEEEENSD_INSE_IS6_EEEESI_S6_NSB_4plusIvEENSB_8equal_toIvEES6_EE10hipError_tPvRmT2_T3_T4_T5_mT6_T7_P12ihipStream_tbENKUlT_T0_E_clISt17integral_constantIbLb0EES12_IbLb1EEEEDaSY_SZ_EUlSY_E_NS1_11comp_targetILNS1_3genE2ELNS1_11target_archE906ELNS1_3gpuE6ELNS1_3repE0EEENS1_30default_config_static_selectorELNS0_4arch9wavefront6targetE0EEEvT1_
    .private_segment_fixed_size: 0
    .sgpr_count:     0
    .sgpr_spill_count: 0
    .symbol:         _ZN7rocprim17ROCPRIM_400000_NS6detail17trampoline_kernelINS0_14default_configENS1_27scan_by_key_config_selectorIj11FixedVectorIiLj8EEEEZZNS1_16scan_by_key_implILNS1_25lookback_scan_determinismE0ELb0ES3_N6thrust23THRUST_200600_302600_NS6detail15normal_iteratorINSB_10device_ptrIjEEEENSD_INSE_IS6_EEEESI_S6_NSB_4plusIvEENSB_8equal_toIvEES6_EE10hipError_tPvRmT2_T3_T4_T5_mT6_T7_P12ihipStream_tbENKUlT_T0_E_clISt17integral_constantIbLb0EES12_IbLb1EEEEDaSY_SZ_EUlSY_E_NS1_11comp_targetILNS1_3genE2ELNS1_11target_archE906ELNS1_3gpuE6ELNS1_3repE0EEENS1_30default_config_static_selectorELNS0_4arch9wavefront6targetE0EEEvT1_.kd
    .uniform_work_group_size: 1
    .uses_dynamic_stack: false
    .vgpr_count:     0
    .vgpr_spill_count: 0
    .wavefront_size: 32
    .workgroup_processor_mode: 1
  - .args:
      - .offset:         0
        .size:           160
        .value_kind:     by_value
    .group_segment_fixed_size: 0
    .kernarg_segment_align: 8
    .kernarg_segment_size: 160
    .language:       OpenCL C
    .language_version:
      - 2
      - 0
    .max_flat_workgroup_size: 256
    .name:           _ZN7rocprim17ROCPRIM_400000_NS6detail17trampoline_kernelINS0_14default_configENS1_27scan_by_key_config_selectorIj11FixedVectorIiLj8EEEEZZNS1_16scan_by_key_implILNS1_25lookback_scan_determinismE0ELb0ES3_N6thrust23THRUST_200600_302600_NS6detail15normal_iteratorINSB_10device_ptrIjEEEENSD_INSE_IS6_EEEESI_S6_NSB_4plusIvEENSB_8equal_toIvEES6_EE10hipError_tPvRmT2_T3_T4_T5_mT6_T7_P12ihipStream_tbENKUlT_T0_E_clISt17integral_constantIbLb0EES12_IbLb1EEEEDaSY_SZ_EUlSY_E_NS1_11comp_targetILNS1_3genE10ELNS1_11target_archE1200ELNS1_3gpuE4ELNS1_3repE0EEENS1_30default_config_static_selectorELNS0_4arch9wavefront6targetE0EEEvT1_
    .private_segment_fixed_size: 0
    .sgpr_count:     0
    .sgpr_spill_count: 0
    .symbol:         _ZN7rocprim17ROCPRIM_400000_NS6detail17trampoline_kernelINS0_14default_configENS1_27scan_by_key_config_selectorIj11FixedVectorIiLj8EEEEZZNS1_16scan_by_key_implILNS1_25lookback_scan_determinismE0ELb0ES3_N6thrust23THRUST_200600_302600_NS6detail15normal_iteratorINSB_10device_ptrIjEEEENSD_INSE_IS6_EEEESI_S6_NSB_4plusIvEENSB_8equal_toIvEES6_EE10hipError_tPvRmT2_T3_T4_T5_mT6_T7_P12ihipStream_tbENKUlT_T0_E_clISt17integral_constantIbLb0EES12_IbLb1EEEEDaSY_SZ_EUlSY_E_NS1_11comp_targetILNS1_3genE10ELNS1_11target_archE1200ELNS1_3gpuE4ELNS1_3repE0EEENS1_30default_config_static_selectorELNS0_4arch9wavefront6targetE0EEEvT1_.kd
    .uniform_work_group_size: 1
    .uses_dynamic_stack: false
    .vgpr_count:     0
    .vgpr_spill_count: 0
    .wavefront_size: 32
    .workgroup_processor_mode: 1
  - .args:
      - .offset:         0
        .size:           160
        .value_kind:     by_value
    .group_segment_fixed_size: 0
    .kernarg_segment_align: 8
    .kernarg_segment_size: 160
    .language:       OpenCL C
    .language_version:
      - 2
      - 0
    .max_flat_workgroup_size: 256
    .name:           _ZN7rocprim17ROCPRIM_400000_NS6detail17trampoline_kernelINS0_14default_configENS1_27scan_by_key_config_selectorIj11FixedVectorIiLj8EEEEZZNS1_16scan_by_key_implILNS1_25lookback_scan_determinismE0ELb0ES3_N6thrust23THRUST_200600_302600_NS6detail15normal_iteratorINSB_10device_ptrIjEEEENSD_INSE_IS6_EEEESI_S6_NSB_4plusIvEENSB_8equal_toIvEES6_EE10hipError_tPvRmT2_T3_T4_T5_mT6_T7_P12ihipStream_tbENKUlT_T0_E_clISt17integral_constantIbLb0EES12_IbLb1EEEEDaSY_SZ_EUlSY_E_NS1_11comp_targetILNS1_3genE9ELNS1_11target_archE1100ELNS1_3gpuE3ELNS1_3repE0EEENS1_30default_config_static_selectorELNS0_4arch9wavefront6targetE0EEEvT1_
    .private_segment_fixed_size: 0
    .sgpr_count:     0
    .sgpr_spill_count: 0
    .symbol:         _ZN7rocprim17ROCPRIM_400000_NS6detail17trampoline_kernelINS0_14default_configENS1_27scan_by_key_config_selectorIj11FixedVectorIiLj8EEEEZZNS1_16scan_by_key_implILNS1_25lookback_scan_determinismE0ELb0ES3_N6thrust23THRUST_200600_302600_NS6detail15normal_iteratorINSB_10device_ptrIjEEEENSD_INSE_IS6_EEEESI_S6_NSB_4plusIvEENSB_8equal_toIvEES6_EE10hipError_tPvRmT2_T3_T4_T5_mT6_T7_P12ihipStream_tbENKUlT_T0_E_clISt17integral_constantIbLb0EES12_IbLb1EEEEDaSY_SZ_EUlSY_E_NS1_11comp_targetILNS1_3genE9ELNS1_11target_archE1100ELNS1_3gpuE3ELNS1_3repE0EEENS1_30default_config_static_selectorELNS0_4arch9wavefront6targetE0EEEvT1_.kd
    .uniform_work_group_size: 1
    .uses_dynamic_stack: false
    .vgpr_count:     0
    .vgpr_spill_count: 0
    .wavefront_size: 32
    .workgroup_processor_mode: 1
  - .args:
      - .offset:         0
        .size:           160
        .value_kind:     by_value
    .group_segment_fixed_size: 24576
    .kernarg_segment_align: 8
    .kernarg_segment_size: 160
    .language:       OpenCL C
    .language_version:
      - 2
      - 0
    .max_flat_workgroup_size: 256
    .name:           _ZN7rocprim17ROCPRIM_400000_NS6detail17trampoline_kernelINS0_14default_configENS1_27scan_by_key_config_selectorIj11FixedVectorIiLj8EEEEZZNS1_16scan_by_key_implILNS1_25lookback_scan_determinismE0ELb0ES3_N6thrust23THRUST_200600_302600_NS6detail15normal_iteratorINSB_10device_ptrIjEEEENSD_INSE_IS6_EEEESI_S6_NSB_4plusIvEENSB_8equal_toIvEES6_EE10hipError_tPvRmT2_T3_T4_T5_mT6_T7_P12ihipStream_tbENKUlT_T0_E_clISt17integral_constantIbLb0EES12_IbLb1EEEEDaSY_SZ_EUlSY_E_NS1_11comp_targetILNS1_3genE8ELNS1_11target_archE1030ELNS1_3gpuE2ELNS1_3repE0EEENS1_30default_config_static_selectorELNS0_4arch9wavefront6targetE0EEEvT1_
    .private_segment_fixed_size: 432
    .sgpr_count:     49
    .sgpr_spill_count: 0
    .symbol:         _ZN7rocprim17ROCPRIM_400000_NS6detail17trampoline_kernelINS0_14default_configENS1_27scan_by_key_config_selectorIj11FixedVectorIiLj8EEEEZZNS1_16scan_by_key_implILNS1_25lookback_scan_determinismE0ELb0ES3_N6thrust23THRUST_200600_302600_NS6detail15normal_iteratorINSB_10device_ptrIjEEEENSD_INSE_IS6_EEEESI_S6_NSB_4plusIvEENSB_8equal_toIvEES6_EE10hipError_tPvRmT2_T3_T4_T5_mT6_T7_P12ihipStream_tbENKUlT_T0_E_clISt17integral_constantIbLb0EES12_IbLb1EEEEDaSY_SZ_EUlSY_E_NS1_11comp_targetILNS1_3genE8ELNS1_11target_archE1030ELNS1_3gpuE2ELNS1_3repE0EEENS1_30default_config_static_selectorELNS0_4arch9wavefront6targetE0EEEvT1_.kd
    .uniform_work_group_size: 1
    .uses_dynamic_stack: false
    .vgpr_count:     45
    .vgpr_spill_count: 0
    .wavefront_size: 32
    .workgroup_processor_mode: 1
  - .args:
      - .offset:         0
        .size:           160
        .value_kind:     by_value
    .group_segment_fixed_size: 0
    .kernarg_segment_align: 8
    .kernarg_segment_size: 160
    .language:       OpenCL C
    .language_version:
      - 2
      - 0
    .max_flat_workgroup_size: 256
    .name:           _ZN7rocprim17ROCPRIM_400000_NS6detail17trampoline_kernelINS0_14default_configENS1_27scan_by_key_config_selectorIj11FixedVectorIiLj8EEEEZZNS1_16scan_by_key_implILNS1_25lookback_scan_determinismE0ELb1ES3_N6thrust23THRUST_200600_302600_NS6detail15normal_iteratorINSB_10device_ptrIjEEEENSD_INSE_IS6_EEEESI_S6_NSB_4plusIvEENSB_8equal_toIvEES6_EE10hipError_tPvRmT2_T3_T4_T5_mT6_T7_P12ihipStream_tbENKUlT_T0_E_clISt17integral_constantIbLb0EES13_EEDaSY_SZ_EUlSY_E_NS1_11comp_targetILNS1_3genE0ELNS1_11target_archE4294967295ELNS1_3gpuE0ELNS1_3repE0EEENS1_30default_config_static_selectorELNS0_4arch9wavefront6targetE0EEEvT1_
    .private_segment_fixed_size: 0
    .sgpr_count:     0
    .sgpr_spill_count: 0
    .symbol:         _ZN7rocprim17ROCPRIM_400000_NS6detail17trampoline_kernelINS0_14default_configENS1_27scan_by_key_config_selectorIj11FixedVectorIiLj8EEEEZZNS1_16scan_by_key_implILNS1_25lookback_scan_determinismE0ELb1ES3_N6thrust23THRUST_200600_302600_NS6detail15normal_iteratorINSB_10device_ptrIjEEEENSD_INSE_IS6_EEEESI_S6_NSB_4plusIvEENSB_8equal_toIvEES6_EE10hipError_tPvRmT2_T3_T4_T5_mT6_T7_P12ihipStream_tbENKUlT_T0_E_clISt17integral_constantIbLb0EES13_EEDaSY_SZ_EUlSY_E_NS1_11comp_targetILNS1_3genE0ELNS1_11target_archE4294967295ELNS1_3gpuE0ELNS1_3repE0EEENS1_30default_config_static_selectorELNS0_4arch9wavefront6targetE0EEEvT1_.kd
    .uniform_work_group_size: 1
    .uses_dynamic_stack: false
    .vgpr_count:     0
    .vgpr_spill_count: 0
    .wavefront_size: 32
    .workgroup_processor_mode: 1
  - .args:
      - .offset:         0
        .size:           160
        .value_kind:     by_value
    .group_segment_fixed_size: 0
    .kernarg_segment_align: 8
    .kernarg_segment_size: 160
    .language:       OpenCL C
    .language_version:
      - 2
      - 0
    .max_flat_workgroup_size: 256
    .name:           _ZN7rocprim17ROCPRIM_400000_NS6detail17trampoline_kernelINS0_14default_configENS1_27scan_by_key_config_selectorIj11FixedVectorIiLj8EEEEZZNS1_16scan_by_key_implILNS1_25lookback_scan_determinismE0ELb1ES3_N6thrust23THRUST_200600_302600_NS6detail15normal_iteratorINSB_10device_ptrIjEEEENSD_INSE_IS6_EEEESI_S6_NSB_4plusIvEENSB_8equal_toIvEES6_EE10hipError_tPvRmT2_T3_T4_T5_mT6_T7_P12ihipStream_tbENKUlT_T0_E_clISt17integral_constantIbLb0EES13_EEDaSY_SZ_EUlSY_E_NS1_11comp_targetILNS1_3genE10ELNS1_11target_archE1201ELNS1_3gpuE5ELNS1_3repE0EEENS1_30default_config_static_selectorELNS0_4arch9wavefront6targetE0EEEvT1_
    .private_segment_fixed_size: 0
    .sgpr_count:     0
    .sgpr_spill_count: 0
    .symbol:         _ZN7rocprim17ROCPRIM_400000_NS6detail17trampoline_kernelINS0_14default_configENS1_27scan_by_key_config_selectorIj11FixedVectorIiLj8EEEEZZNS1_16scan_by_key_implILNS1_25lookback_scan_determinismE0ELb1ES3_N6thrust23THRUST_200600_302600_NS6detail15normal_iteratorINSB_10device_ptrIjEEEENSD_INSE_IS6_EEEESI_S6_NSB_4plusIvEENSB_8equal_toIvEES6_EE10hipError_tPvRmT2_T3_T4_T5_mT6_T7_P12ihipStream_tbENKUlT_T0_E_clISt17integral_constantIbLb0EES13_EEDaSY_SZ_EUlSY_E_NS1_11comp_targetILNS1_3genE10ELNS1_11target_archE1201ELNS1_3gpuE5ELNS1_3repE0EEENS1_30default_config_static_selectorELNS0_4arch9wavefront6targetE0EEEvT1_.kd
    .uniform_work_group_size: 1
    .uses_dynamic_stack: false
    .vgpr_count:     0
    .vgpr_spill_count: 0
    .wavefront_size: 32
    .workgroup_processor_mode: 1
  - .args:
      - .offset:         0
        .size:           160
        .value_kind:     by_value
    .group_segment_fixed_size: 0
    .kernarg_segment_align: 8
    .kernarg_segment_size: 160
    .language:       OpenCL C
    .language_version:
      - 2
      - 0
    .max_flat_workgroup_size: 256
    .name:           _ZN7rocprim17ROCPRIM_400000_NS6detail17trampoline_kernelINS0_14default_configENS1_27scan_by_key_config_selectorIj11FixedVectorIiLj8EEEEZZNS1_16scan_by_key_implILNS1_25lookback_scan_determinismE0ELb1ES3_N6thrust23THRUST_200600_302600_NS6detail15normal_iteratorINSB_10device_ptrIjEEEENSD_INSE_IS6_EEEESI_S6_NSB_4plusIvEENSB_8equal_toIvEES6_EE10hipError_tPvRmT2_T3_T4_T5_mT6_T7_P12ihipStream_tbENKUlT_T0_E_clISt17integral_constantIbLb0EES13_EEDaSY_SZ_EUlSY_E_NS1_11comp_targetILNS1_3genE5ELNS1_11target_archE942ELNS1_3gpuE9ELNS1_3repE0EEENS1_30default_config_static_selectorELNS0_4arch9wavefront6targetE0EEEvT1_
    .private_segment_fixed_size: 0
    .sgpr_count:     0
    .sgpr_spill_count: 0
    .symbol:         _ZN7rocprim17ROCPRIM_400000_NS6detail17trampoline_kernelINS0_14default_configENS1_27scan_by_key_config_selectorIj11FixedVectorIiLj8EEEEZZNS1_16scan_by_key_implILNS1_25lookback_scan_determinismE0ELb1ES3_N6thrust23THRUST_200600_302600_NS6detail15normal_iteratorINSB_10device_ptrIjEEEENSD_INSE_IS6_EEEESI_S6_NSB_4plusIvEENSB_8equal_toIvEES6_EE10hipError_tPvRmT2_T3_T4_T5_mT6_T7_P12ihipStream_tbENKUlT_T0_E_clISt17integral_constantIbLb0EES13_EEDaSY_SZ_EUlSY_E_NS1_11comp_targetILNS1_3genE5ELNS1_11target_archE942ELNS1_3gpuE9ELNS1_3repE0EEENS1_30default_config_static_selectorELNS0_4arch9wavefront6targetE0EEEvT1_.kd
    .uniform_work_group_size: 1
    .uses_dynamic_stack: false
    .vgpr_count:     0
    .vgpr_spill_count: 0
    .wavefront_size: 32
    .workgroup_processor_mode: 1
  - .args:
      - .offset:         0
        .size:           160
        .value_kind:     by_value
    .group_segment_fixed_size: 0
    .kernarg_segment_align: 8
    .kernarg_segment_size: 160
    .language:       OpenCL C
    .language_version:
      - 2
      - 0
    .max_flat_workgroup_size: 256
    .name:           _ZN7rocprim17ROCPRIM_400000_NS6detail17trampoline_kernelINS0_14default_configENS1_27scan_by_key_config_selectorIj11FixedVectorIiLj8EEEEZZNS1_16scan_by_key_implILNS1_25lookback_scan_determinismE0ELb1ES3_N6thrust23THRUST_200600_302600_NS6detail15normal_iteratorINSB_10device_ptrIjEEEENSD_INSE_IS6_EEEESI_S6_NSB_4plusIvEENSB_8equal_toIvEES6_EE10hipError_tPvRmT2_T3_T4_T5_mT6_T7_P12ihipStream_tbENKUlT_T0_E_clISt17integral_constantIbLb0EES13_EEDaSY_SZ_EUlSY_E_NS1_11comp_targetILNS1_3genE4ELNS1_11target_archE910ELNS1_3gpuE8ELNS1_3repE0EEENS1_30default_config_static_selectorELNS0_4arch9wavefront6targetE0EEEvT1_
    .private_segment_fixed_size: 0
    .sgpr_count:     0
    .sgpr_spill_count: 0
    .symbol:         _ZN7rocprim17ROCPRIM_400000_NS6detail17trampoline_kernelINS0_14default_configENS1_27scan_by_key_config_selectorIj11FixedVectorIiLj8EEEEZZNS1_16scan_by_key_implILNS1_25lookback_scan_determinismE0ELb1ES3_N6thrust23THRUST_200600_302600_NS6detail15normal_iteratorINSB_10device_ptrIjEEEENSD_INSE_IS6_EEEESI_S6_NSB_4plusIvEENSB_8equal_toIvEES6_EE10hipError_tPvRmT2_T3_T4_T5_mT6_T7_P12ihipStream_tbENKUlT_T0_E_clISt17integral_constantIbLb0EES13_EEDaSY_SZ_EUlSY_E_NS1_11comp_targetILNS1_3genE4ELNS1_11target_archE910ELNS1_3gpuE8ELNS1_3repE0EEENS1_30default_config_static_selectorELNS0_4arch9wavefront6targetE0EEEvT1_.kd
    .uniform_work_group_size: 1
    .uses_dynamic_stack: false
    .vgpr_count:     0
    .vgpr_spill_count: 0
    .wavefront_size: 32
    .workgroup_processor_mode: 1
  - .args:
      - .offset:         0
        .size:           160
        .value_kind:     by_value
    .group_segment_fixed_size: 0
    .kernarg_segment_align: 8
    .kernarg_segment_size: 160
    .language:       OpenCL C
    .language_version:
      - 2
      - 0
    .max_flat_workgroup_size: 256
    .name:           _ZN7rocprim17ROCPRIM_400000_NS6detail17trampoline_kernelINS0_14default_configENS1_27scan_by_key_config_selectorIj11FixedVectorIiLj8EEEEZZNS1_16scan_by_key_implILNS1_25lookback_scan_determinismE0ELb1ES3_N6thrust23THRUST_200600_302600_NS6detail15normal_iteratorINSB_10device_ptrIjEEEENSD_INSE_IS6_EEEESI_S6_NSB_4plusIvEENSB_8equal_toIvEES6_EE10hipError_tPvRmT2_T3_T4_T5_mT6_T7_P12ihipStream_tbENKUlT_T0_E_clISt17integral_constantIbLb0EES13_EEDaSY_SZ_EUlSY_E_NS1_11comp_targetILNS1_3genE3ELNS1_11target_archE908ELNS1_3gpuE7ELNS1_3repE0EEENS1_30default_config_static_selectorELNS0_4arch9wavefront6targetE0EEEvT1_
    .private_segment_fixed_size: 0
    .sgpr_count:     0
    .sgpr_spill_count: 0
    .symbol:         _ZN7rocprim17ROCPRIM_400000_NS6detail17trampoline_kernelINS0_14default_configENS1_27scan_by_key_config_selectorIj11FixedVectorIiLj8EEEEZZNS1_16scan_by_key_implILNS1_25lookback_scan_determinismE0ELb1ES3_N6thrust23THRUST_200600_302600_NS6detail15normal_iteratorINSB_10device_ptrIjEEEENSD_INSE_IS6_EEEESI_S6_NSB_4plusIvEENSB_8equal_toIvEES6_EE10hipError_tPvRmT2_T3_T4_T5_mT6_T7_P12ihipStream_tbENKUlT_T0_E_clISt17integral_constantIbLb0EES13_EEDaSY_SZ_EUlSY_E_NS1_11comp_targetILNS1_3genE3ELNS1_11target_archE908ELNS1_3gpuE7ELNS1_3repE0EEENS1_30default_config_static_selectorELNS0_4arch9wavefront6targetE0EEEvT1_.kd
    .uniform_work_group_size: 1
    .uses_dynamic_stack: false
    .vgpr_count:     0
    .vgpr_spill_count: 0
    .wavefront_size: 32
    .workgroup_processor_mode: 1
  - .args:
      - .offset:         0
        .size:           160
        .value_kind:     by_value
    .group_segment_fixed_size: 0
    .kernarg_segment_align: 8
    .kernarg_segment_size: 160
    .language:       OpenCL C
    .language_version:
      - 2
      - 0
    .max_flat_workgroup_size: 256
    .name:           _ZN7rocprim17ROCPRIM_400000_NS6detail17trampoline_kernelINS0_14default_configENS1_27scan_by_key_config_selectorIj11FixedVectorIiLj8EEEEZZNS1_16scan_by_key_implILNS1_25lookback_scan_determinismE0ELb1ES3_N6thrust23THRUST_200600_302600_NS6detail15normal_iteratorINSB_10device_ptrIjEEEENSD_INSE_IS6_EEEESI_S6_NSB_4plusIvEENSB_8equal_toIvEES6_EE10hipError_tPvRmT2_T3_T4_T5_mT6_T7_P12ihipStream_tbENKUlT_T0_E_clISt17integral_constantIbLb0EES13_EEDaSY_SZ_EUlSY_E_NS1_11comp_targetILNS1_3genE2ELNS1_11target_archE906ELNS1_3gpuE6ELNS1_3repE0EEENS1_30default_config_static_selectorELNS0_4arch9wavefront6targetE0EEEvT1_
    .private_segment_fixed_size: 0
    .sgpr_count:     0
    .sgpr_spill_count: 0
    .symbol:         _ZN7rocprim17ROCPRIM_400000_NS6detail17trampoline_kernelINS0_14default_configENS1_27scan_by_key_config_selectorIj11FixedVectorIiLj8EEEEZZNS1_16scan_by_key_implILNS1_25lookback_scan_determinismE0ELb1ES3_N6thrust23THRUST_200600_302600_NS6detail15normal_iteratorINSB_10device_ptrIjEEEENSD_INSE_IS6_EEEESI_S6_NSB_4plusIvEENSB_8equal_toIvEES6_EE10hipError_tPvRmT2_T3_T4_T5_mT6_T7_P12ihipStream_tbENKUlT_T0_E_clISt17integral_constantIbLb0EES13_EEDaSY_SZ_EUlSY_E_NS1_11comp_targetILNS1_3genE2ELNS1_11target_archE906ELNS1_3gpuE6ELNS1_3repE0EEENS1_30default_config_static_selectorELNS0_4arch9wavefront6targetE0EEEvT1_.kd
    .uniform_work_group_size: 1
    .uses_dynamic_stack: false
    .vgpr_count:     0
    .vgpr_spill_count: 0
    .wavefront_size: 32
    .workgroup_processor_mode: 1
  - .args:
      - .offset:         0
        .size:           160
        .value_kind:     by_value
    .group_segment_fixed_size: 0
    .kernarg_segment_align: 8
    .kernarg_segment_size: 160
    .language:       OpenCL C
    .language_version:
      - 2
      - 0
    .max_flat_workgroup_size: 256
    .name:           _ZN7rocprim17ROCPRIM_400000_NS6detail17trampoline_kernelINS0_14default_configENS1_27scan_by_key_config_selectorIj11FixedVectorIiLj8EEEEZZNS1_16scan_by_key_implILNS1_25lookback_scan_determinismE0ELb1ES3_N6thrust23THRUST_200600_302600_NS6detail15normal_iteratorINSB_10device_ptrIjEEEENSD_INSE_IS6_EEEESI_S6_NSB_4plusIvEENSB_8equal_toIvEES6_EE10hipError_tPvRmT2_T3_T4_T5_mT6_T7_P12ihipStream_tbENKUlT_T0_E_clISt17integral_constantIbLb0EES13_EEDaSY_SZ_EUlSY_E_NS1_11comp_targetILNS1_3genE10ELNS1_11target_archE1200ELNS1_3gpuE4ELNS1_3repE0EEENS1_30default_config_static_selectorELNS0_4arch9wavefront6targetE0EEEvT1_
    .private_segment_fixed_size: 0
    .sgpr_count:     0
    .sgpr_spill_count: 0
    .symbol:         _ZN7rocprim17ROCPRIM_400000_NS6detail17trampoline_kernelINS0_14default_configENS1_27scan_by_key_config_selectorIj11FixedVectorIiLj8EEEEZZNS1_16scan_by_key_implILNS1_25lookback_scan_determinismE0ELb1ES3_N6thrust23THRUST_200600_302600_NS6detail15normal_iteratorINSB_10device_ptrIjEEEENSD_INSE_IS6_EEEESI_S6_NSB_4plusIvEENSB_8equal_toIvEES6_EE10hipError_tPvRmT2_T3_T4_T5_mT6_T7_P12ihipStream_tbENKUlT_T0_E_clISt17integral_constantIbLb0EES13_EEDaSY_SZ_EUlSY_E_NS1_11comp_targetILNS1_3genE10ELNS1_11target_archE1200ELNS1_3gpuE4ELNS1_3repE0EEENS1_30default_config_static_selectorELNS0_4arch9wavefront6targetE0EEEvT1_.kd
    .uniform_work_group_size: 1
    .uses_dynamic_stack: false
    .vgpr_count:     0
    .vgpr_spill_count: 0
    .wavefront_size: 32
    .workgroup_processor_mode: 1
  - .args:
      - .offset:         0
        .size:           160
        .value_kind:     by_value
    .group_segment_fixed_size: 0
    .kernarg_segment_align: 8
    .kernarg_segment_size: 160
    .language:       OpenCL C
    .language_version:
      - 2
      - 0
    .max_flat_workgroup_size: 256
    .name:           _ZN7rocprim17ROCPRIM_400000_NS6detail17trampoline_kernelINS0_14default_configENS1_27scan_by_key_config_selectorIj11FixedVectorIiLj8EEEEZZNS1_16scan_by_key_implILNS1_25lookback_scan_determinismE0ELb1ES3_N6thrust23THRUST_200600_302600_NS6detail15normal_iteratorINSB_10device_ptrIjEEEENSD_INSE_IS6_EEEESI_S6_NSB_4plusIvEENSB_8equal_toIvEES6_EE10hipError_tPvRmT2_T3_T4_T5_mT6_T7_P12ihipStream_tbENKUlT_T0_E_clISt17integral_constantIbLb0EES13_EEDaSY_SZ_EUlSY_E_NS1_11comp_targetILNS1_3genE9ELNS1_11target_archE1100ELNS1_3gpuE3ELNS1_3repE0EEENS1_30default_config_static_selectorELNS0_4arch9wavefront6targetE0EEEvT1_
    .private_segment_fixed_size: 0
    .sgpr_count:     0
    .sgpr_spill_count: 0
    .symbol:         _ZN7rocprim17ROCPRIM_400000_NS6detail17trampoline_kernelINS0_14default_configENS1_27scan_by_key_config_selectorIj11FixedVectorIiLj8EEEEZZNS1_16scan_by_key_implILNS1_25lookback_scan_determinismE0ELb1ES3_N6thrust23THRUST_200600_302600_NS6detail15normal_iteratorINSB_10device_ptrIjEEEENSD_INSE_IS6_EEEESI_S6_NSB_4plusIvEENSB_8equal_toIvEES6_EE10hipError_tPvRmT2_T3_T4_T5_mT6_T7_P12ihipStream_tbENKUlT_T0_E_clISt17integral_constantIbLb0EES13_EEDaSY_SZ_EUlSY_E_NS1_11comp_targetILNS1_3genE9ELNS1_11target_archE1100ELNS1_3gpuE3ELNS1_3repE0EEENS1_30default_config_static_selectorELNS0_4arch9wavefront6targetE0EEEvT1_.kd
    .uniform_work_group_size: 1
    .uses_dynamic_stack: false
    .vgpr_count:     0
    .vgpr_spill_count: 0
    .wavefront_size: 32
    .workgroup_processor_mode: 1
  - .args:
      - .offset:         0
        .size:           160
        .value_kind:     by_value
    .group_segment_fixed_size: 24576
    .kernarg_segment_align: 8
    .kernarg_segment_size: 160
    .language:       OpenCL C
    .language_version:
      - 2
      - 0
    .max_flat_workgroup_size: 256
    .name:           _ZN7rocprim17ROCPRIM_400000_NS6detail17trampoline_kernelINS0_14default_configENS1_27scan_by_key_config_selectorIj11FixedVectorIiLj8EEEEZZNS1_16scan_by_key_implILNS1_25lookback_scan_determinismE0ELb1ES3_N6thrust23THRUST_200600_302600_NS6detail15normal_iteratorINSB_10device_ptrIjEEEENSD_INSE_IS6_EEEESI_S6_NSB_4plusIvEENSB_8equal_toIvEES6_EE10hipError_tPvRmT2_T3_T4_T5_mT6_T7_P12ihipStream_tbENKUlT_T0_E_clISt17integral_constantIbLb0EES13_EEDaSY_SZ_EUlSY_E_NS1_11comp_targetILNS1_3genE8ELNS1_11target_archE1030ELNS1_3gpuE2ELNS1_3repE0EEENS1_30default_config_static_selectorELNS0_4arch9wavefront6targetE0EEEvT1_
    .private_segment_fixed_size: 432
    .sgpr_count:     49
    .sgpr_spill_count: 0
    .symbol:         _ZN7rocprim17ROCPRIM_400000_NS6detail17trampoline_kernelINS0_14default_configENS1_27scan_by_key_config_selectorIj11FixedVectorIiLj8EEEEZZNS1_16scan_by_key_implILNS1_25lookback_scan_determinismE0ELb1ES3_N6thrust23THRUST_200600_302600_NS6detail15normal_iteratorINSB_10device_ptrIjEEEENSD_INSE_IS6_EEEESI_S6_NSB_4plusIvEENSB_8equal_toIvEES6_EE10hipError_tPvRmT2_T3_T4_T5_mT6_T7_P12ihipStream_tbENKUlT_T0_E_clISt17integral_constantIbLb0EES13_EEDaSY_SZ_EUlSY_E_NS1_11comp_targetILNS1_3genE8ELNS1_11target_archE1030ELNS1_3gpuE2ELNS1_3repE0EEENS1_30default_config_static_selectorELNS0_4arch9wavefront6targetE0EEEvT1_.kd
    .uniform_work_group_size: 1
    .uses_dynamic_stack: false
    .vgpr_count:     45
    .vgpr_spill_count: 0
    .wavefront_size: 32
    .workgroup_processor_mode: 1
  - .args:
      - .offset:         0
        .size:           160
        .value_kind:     by_value
    .group_segment_fixed_size: 0
    .kernarg_segment_align: 8
    .kernarg_segment_size: 160
    .language:       OpenCL C
    .language_version:
      - 2
      - 0
    .max_flat_workgroup_size: 256
    .name:           _ZN7rocprim17ROCPRIM_400000_NS6detail17trampoline_kernelINS0_14default_configENS1_27scan_by_key_config_selectorIj11FixedVectorIiLj8EEEEZZNS1_16scan_by_key_implILNS1_25lookback_scan_determinismE0ELb1ES3_N6thrust23THRUST_200600_302600_NS6detail15normal_iteratorINSB_10device_ptrIjEEEENSD_INSE_IS6_EEEESI_S6_NSB_4plusIvEENSB_8equal_toIvEES6_EE10hipError_tPvRmT2_T3_T4_T5_mT6_T7_P12ihipStream_tbENKUlT_T0_E_clISt17integral_constantIbLb1EES13_EEDaSY_SZ_EUlSY_E_NS1_11comp_targetILNS1_3genE0ELNS1_11target_archE4294967295ELNS1_3gpuE0ELNS1_3repE0EEENS1_30default_config_static_selectorELNS0_4arch9wavefront6targetE0EEEvT1_
    .private_segment_fixed_size: 0
    .sgpr_count:     0
    .sgpr_spill_count: 0
    .symbol:         _ZN7rocprim17ROCPRIM_400000_NS6detail17trampoline_kernelINS0_14default_configENS1_27scan_by_key_config_selectorIj11FixedVectorIiLj8EEEEZZNS1_16scan_by_key_implILNS1_25lookback_scan_determinismE0ELb1ES3_N6thrust23THRUST_200600_302600_NS6detail15normal_iteratorINSB_10device_ptrIjEEEENSD_INSE_IS6_EEEESI_S6_NSB_4plusIvEENSB_8equal_toIvEES6_EE10hipError_tPvRmT2_T3_T4_T5_mT6_T7_P12ihipStream_tbENKUlT_T0_E_clISt17integral_constantIbLb1EES13_EEDaSY_SZ_EUlSY_E_NS1_11comp_targetILNS1_3genE0ELNS1_11target_archE4294967295ELNS1_3gpuE0ELNS1_3repE0EEENS1_30default_config_static_selectorELNS0_4arch9wavefront6targetE0EEEvT1_.kd
    .uniform_work_group_size: 1
    .uses_dynamic_stack: false
    .vgpr_count:     0
    .vgpr_spill_count: 0
    .wavefront_size: 32
    .workgroup_processor_mode: 1
  - .args:
      - .offset:         0
        .size:           160
        .value_kind:     by_value
    .group_segment_fixed_size: 0
    .kernarg_segment_align: 8
    .kernarg_segment_size: 160
    .language:       OpenCL C
    .language_version:
      - 2
      - 0
    .max_flat_workgroup_size: 256
    .name:           _ZN7rocprim17ROCPRIM_400000_NS6detail17trampoline_kernelINS0_14default_configENS1_27scan_by_key_config_selectorIj11FixedVectorIiLj8EEEEZZNS1_16scan_by_key_implILNS1_25lookback_scan_determinismE0ELb1ES3_N6thrust23THRUST_200600_302600_NS6detail15normal_iteratorINSB_10device_ptrIjEEEENSD_INSE_IS6_EEEESI_S6_NSB_4plusIvEENSB_8equal_toIvEES6_EE10hipError_tPvRmT2_T3_T4_T5_mT6_T7_P12ihipStream_tbENKUlT_T0_E_clISt17integral_constantIbLb1EES13_EEDaSY_SZ_EUlSY_E_NS1_11comp_targetILNS1_3genE10ELNS1_11target_archE1201ELNS1_3gpuE5ELNS1_3repE0EEENS1_30default_config_static_selectorELNS0_4arch9wavefront6targetE0EEEvT1_
    .private_segment_fixed_size: 0
    .sgpr_count:     0
    .sgpr_spill_count: 0
    .symbol:         _ZN7rocprim17ROCPRIM_400000_NS6detail17trampoline_kernelINS0_14default_configENS1_27scan_by_key_config_selectorIj11FixedVectorIiLj8EEEEZZNS1_16scan_by_key_implILNS1_25lookback_scan_determinismE0ELb1ES3_N6thrust23THRUST_200600_302600_NS6detail15normal_iteratorINSB_10device_ptrIjEEEENSD_INSE_IS6_EEEESI_S6_NSB_4plusIvEENSB_8equal_toIvEES6_EE10hipError_tPvRmT2_T3_T4_T5_mT6_T7_P12ihipStream_tbENKUlT_T0_E_clISt17integral_constantIbLb1EES13_EEDaSY_SZ_EUlSY_E_NS1_11comp_targetILNS1_3genE10ELNS1_11target_archE1201ELNS1_3gpuE5ELNS1_3repE0EEENS1_30default_config_static_selectorELNS0_4arch9wavefront6targetE0EEEvT1_.kd
    .uniform_work_group_size: 1
    .uses_dynamic_stack: false
    .vgpr_count:     0
    .vgpr_spill_count: 0
    .wavefront_size: 32
    .workgroup_processor_mode: 1
  - .args:
      - .offset:         0
        .size:           160
        .value_kind:     by_value
    .group_segment_fixed_size: 0
    .kernarg_segment_align: 8
    .kernarg_segment_size: 160
    .language:       OpenCL C
    .language_version:
      - 2
      - 0
    .max_flat_workgroup_size: 256
    .name:           _ZN7rocprim17ROCPRIM_400000_NS6detail17trampoline_kernelINS0_14default_configENS1_27scan_by_key_config_selectorIj11FixedVectorIiLj8EEEEZZNS1_16scan_by_key_implILNS1_25lookback_scan_determinismE0ELb1ES3_N6thrust23THRUST_200600_302600_NS6detail15normal_iteratorINSB_10device_ptrIjEEEENSD_INSE_IS6_EEEESI_S6_NSB_4plusIvEENSB_8equal_toIvEES6_EE10hipError_tPvRmT2_T3_T4_T5_mT6_T7_P12ihipStream_tbENKUlT_T0_E_clISt17integral_constantIbLb1EES13_EEDaSY_SZ_EUlSY_E_NS1_11comp_targetILNS1_3genE5ELNS1_11target_archE942ELNS1_3gpuE9ELNS1_3repE0EEENS1_30default_config_static_selectorELNS0_4arch9wavefront6targetE0EEEvT1_
    .private_segment_fixed_size: 0
    .sgpr_count:     0
    .sgpr_spill_count: 0
    .symbol:         _ZN7rocprim17ROCPRIM_400000_NS6detail17trampoline_kernelINS0_14default_configENS1_27scan_by_key_config_selectorIj11FixedVectorIiLj8EEEEZZNS1_16scan_by_key_implILNS1_25lookback_scan_determinismE0ELb1ES3_N6thrust23THRUST_200600_302600_NS6detail15normal_iteratorINSB_10device_ptrIjEEEENSD_INSE_IS6_EEEESI_S6_NSB_4plusIvEENSB_8equal_toIvEES6_EE10hipError_tPvRmT2_T3_T4_T5_mT6_T7_P12ihipStream_tbENKUlT_T0_E_clISt17integral_constantIbLb1EES13_EEDaSY_SZ_EUlSY_E_NS1_11comp_targetILNS1_3genE5ELNS1_11target_archE942ELNS1_3gpuE9ELNS1_3repE0EEENS1_30default_config_static_selectorELNS0_4arch9wavefront6targetE0EEEvT1_.kd
    .uniform_work_group_size: 1
    .uses_dynamic_stack: false
    .vgpr_count:     0
    .vgpr_spill_count: 0
    .wavefront_size: 32
    .workgroup_processor_mode: 1
  - .args:
      - .offset:         0
        .size:           160
        .value_kind:     by_value
    .group_segment_fixed_size: 0
    .kernarg_segment_align: 8
    .kernarg_segment_size: 160
    .language:       OpenCL C
    .language_version:
      - 2
      - 0
    .max_flat_workgroup_size: 256
    .name:           _ZN7rocprim17ROCPRIM_400000_NS6detail17trampoline_kernelINS0_14default_configENS1_27scan_by_key_config_selectorIj11FixedVectorIiLj8EEEEZZNS1_16scan_by_key_implILNS1_25lookback_scan_determinismE0ELb1ES3_N6thrust23THRUST_200600_302600_NS6detail15normal_iteratorINSB_10device_ptrIjEEEENSD_INSE_IS6_EEEESI_S6_NSB_4plusIvEENSB_8equal_toIvEES6_EE10hipError_tPvRmT2_T3_T4_T5_mT6_T7_P12ihipStream_tbENKUlT_T0_E_clISt17integral_constantIbLb1EES13_EEDaSY_SZ_EUlSY_E_NS1_11comp_targetILNS1_3genE4ELNS1_11target_archE910ELNS1_3gpuE8ELNS1_3repE0EEENS1_30default_config_static_selectorELNS0_4arch9wavefront6targetE0EEEvT1_
    .private_segment_fixed_size: 0
    .sgpr_count:     0
    .sgpr_spill_count: 0
    .symbol:         _ZN7rocprim17ROCPRIM_400000_NS6detail17trampoline_kernelINS0_14default_configENS1_27scan_by_key_config_selectorIj11FixedVectorIiLj8EEEEZZNS1_16scan_by_key_implILNS1_25lookback_scan_determinismE0ELb1ES3_N6thrust23THRUST_200600_302600_NS6detail15normal_iteratorINSB_10device_ptrIjEEEENSD_INSE_IS6_EEEESI_S6_NSB_4plusIvEENSB_8equal_toIvEES6_EE10hipError_tPvRmT2_T3_T4_T5_mT6_T7_P12ihipStream_tbENKUlT_T0_E_clISt17integral_constantIbLb1EES13_EEDaSY_SZ_EUlSY_E_NS1_11comp_targetILNS1_3genE4ELNS1_11target_archE910ELNS1_3gpuE8ELNS1_3repE0EEENS1_30default_config_static_selectorELNS0_4arch9wavefront6targetE0EEEvT1_.kd
    .uniform_work_group_size: 1
    .uses_dynamic_stack: false
    .vgpr_count:     0
    .vgpr_spill_count: 0
    .wavefront_size: 32
    .workgroup_processor_mode: 1
  - .args:
      - .offset:         0
        .size:           160
        .value_kind:     by_value
    .group_segment_fixed_size: 0
    .kernarg_segment_align: 8
    .kernarg_segment_size: 160
    .language:       OpenCL C
    .language_version:
      - 2
      - 0
    .max_flat_workgroup_size: 256
    .name:           _ZN7rocprim17ROCPRIM_400000_NS6detail17trampoline_kernelINS0_14default_configENS1_27scan_by_key_config_selectorIj11FixedVectorIiLj8EEEEZZNS1_16scan_by_key_implILNS1_25lookback_scan_determinismE0ELb1ES3_N6thrust23THRUST_200600_302600_NS6detail15normal_iteratorINSB_10device_ptrIjEEEENSD_INSE_IS6_EEEESI_S6_NSB_4plusIvEENSB_8equal_toIvEES6_EE10hipError_tPvRmT2_T3_T4_T5_mT6_T7_P12ihipStream_tbENKUlT_T0_E_clISt17integral_constantIbLb1EES13_EEDaSY_SZ_EUlSY_E_NS1_11comp_targetILNS1_3genE3ELNS1_11target_archE908ELNS1_3gpuE7ELNS1_3repE0EEENS1_30default_config_static_selectorELNS0_4arch9wavefront6targetE0EEEvT1_
    .private_segment_fixed_size: 0
    .sgpr_count:     0
    .sgpr_spill_count: 0
    .symbol:         _ZN7rocprim17ROCPRIM_400000_NS6detail17trampoline_kernelINS0_14default_configENS1_27scan_by_key_config_selectorIj11FixedVectorIiLj8EEEEZZNS1_16scan_by_key_implILNS1_25lookback_scan_determinismE0ELb1ES3_N6thrust23THRUST_200600_302600_NS6detail15normal_iteratorINSB_10device_ptrIjEEEENSD_INSE_IS6_EEEESI_S6_NSB_4plusIvEENSB_8equal_toIvEES6_EE10hipError_tPvRmT2_T3_T4_T5_mT6_T7_P12ihipStream_tbENKUlT_T0_E_clISt17integral_constantIbLb1EES13_EEDaSY_SZ_EUlSY_E_NS1_11comp_targetILNS1_3genE3ELNS1_11target_archE908ELNS1_3gpuE7ELNS1_3repE0EEENS1_30default_config_static_selectorELNS0_4arch9wavefront6targetE0EEEvT1_.kd
    .uniform_work_group_size: 1
    .uses_dynamic_stack: false
    .vgpr_count:     0
    .vgpr_spill_count: 0
    .wavefront_size: 32
    .workgroup_processor_mode: 1
  - .args:
      - .offset:         0
        .size:           160
        .value_kind:     by_value
    .group_segment_fixed_size: 0
    .kernarg_segment_align: 8
    .kernarg_segment_size: 160
    .language:       OpenCL C
    .language_version:
      - 2
      - 0
    .max_flat_workgroup_size: 256
    .name:           _ZN7rocprim17ROCPRIM_400000_NS6detail17trampoline_kernelINS0_14default_configENS1_27scan_by_key_config_selectorIj11FixedVectorIiLj8EEEEZZNS1_16scan_by_key_implILNS1_25lookback_scan_determinismE0ELb1ES3_N6thrust23THRUST_200600_302600_NS6detail15normal_iteratorINSB_10device_ptrIjEEEENSD_INSE_IS6_EEEESI_S6_NSB_4plusIvEENSB_8equal_toIvEES6_EE10hipError_tPvRmT2_T3_T4_T5_mT6_T7_P12ihipStream_tbENKUlT_T0_E_clISt17integral_constantIbLb1EES13_EEDaSY_SZ_EUlSY_E_NS1_11comp_targetILNS1_3genE2ELNS1_11target_archE906ELNS1_3gpuE6ELNS1_3repE0EEENS1_30default_config_static_selectorELNS0_4arch9wavefront6targetE0EEEvT1_
    .private_segment_fixed_size: 0
    .sgpr_count:     0
    .sgpr_spill_count: 0
    .symbol:         _ZN7rocprim17ROCPRIM_400000_NS6detail17trampoline_kernelINS0_14default_configENS1_27scan_by_key_config_selectorIj11FixedVectorIiLj8EEEEZZNS1_16scan_by_key_implILNS1_25lookback_scan_determinismE0ELb1ES3_N6thrust23THRUST_200600_302600_NS6detail15normal_iteratorINSB_10device_ptrIjEEEENSD_INSE_IS6_EEEESI_S6_NSB_4plusIvEENSB_8equal_toIvEES6_EE10hipError_tPvRmT2_T3_T4_T5_mT6_T7_P12ihipStream_tbENKUlT_T0_E_clISt17integral_constantIbLb1EES13_EEDaSY_SZ_EUlSY_E_NS1_11comp_targetILNS1_3genE2ELNS1_11target_archE906ELNS1_3gpuE6ELNS1_3repE0EEENS1_30default_config_static_selectorELNS0_4arch9wavefront6targetE0EEEvT1_.kd
    .uniform_work_group_size: 1
    .uses_dynamic_stack: false
    .vgpr_count:     0
    .vgpr_spill_count: 0
    .wavefront_size: 32
    .workgroup_processor_mode: 1
  - .args:
      - .offset:         0
        .size:           160
        .value_kind:     by_value
    .group_segment_fixed_size: 0
    .kernarg_segment_align: 8
    .kernarg_segment_size: 160
    .language:       OpenCL C
    .language_version:
      - 2
      - 0
    .max_flat_workgroup_size: 256
    .name:           _ZN7rocprim17ROCPRIM_400000_NS6detail17trampoline_kernelINS0_14default_configENS1_27scan_by_key_config_selectorIj11FixedVectorIiLj8EEEEZZNS1_16scan_by_key_implILNS1_25lookback_scan_determinismE0ELb1ES3_N6thrust23THRUST_200600_302600_NS6detail15normal_iteratorINSB_10device_ptrIjEEEENSD_INSE_IS6_EEEESI_S6_NSB_4plusIvEENSB_8equal_toIvEES6_EE10hipError_tPvRmT2_T3_T4_T5_mT6_T7_P12ihipStream_tbENKUlT_T0_E_clISt17integral_constantIbLb1EES13_EEDaSY_SZ_EUlSY_E_NS1_11comp_targetILNS1_3genE10ELNS1_11target_archE1200ELNS1_3gpuE4ELNS1_3repE0EEENS1_30default_config_static_selectorELNS0_4arch9wavefront6targetE0EEEvT1_
    .private_segment_fixed_size: 0
    .sgpr_count:     0
    .sgpr_spill_count: 0
    .symbol:         _ZN7rocprim17ROCPRIM_400000_NS6detail17trampoline_kernelINS0_14default_configENS1_27scan_by_key_config_selectorIj11FixedVectorIiLj8EEEEZZNS1_16scan_by_key_implILNS1_25lookback_scan_determinismE0ELb1ES3_N6thrust23THRUST_200600_302600_NS6detail15normal_iteratorINSB_10device_ptrIjEEEENSD_INSE_IS6_EEEESI_S6_NSB_4plusIvEENSB_8equal_toIvEES6_EE10hipError_tPvRmT2_T3_T4_T5_mT6_T7_P12ihipStream_tbENKUlT_T0_E_clISt17integral_constantIbLb1EES13_EEDaSY_SZ_EUlSY_E_NS1_11comp_targetILNS1_3genE10ELNS1_11target_archE1200ELNS1_3gpuE4ELNS1_3repE0EEENS1_30default_config_static_selectorELNS0_4arch9wavefront6targetE0EEEvT1_.kd
    .uniform_work_group_size: 1
    .uses_dynamic_stack: false
    .vgpr_count:     0
    .vgpr_spill_count: 0
    .wavefront_size: 32
    .workgroup_processor_mode: 1
  - .args:
      - .offset:         0
        .size:           160
        .value_kind:     by_value
    .group_segment_fixed_size: 0
    .kernarg_segment_align: 8
    .kernarg_segment_size: 160
    .language:       OpenCL C
    .language_version:
      - 2
      - 0
    .max_flat_workgroup_size: 256
    .name:           _ZN7rocprim17ROCPRIM_400000_NS6detail17trampoline_kernelINS0_14default_configENS1_27scan_by_key_config_selectorIj11FixedVectorIiLj8EEEEZZNS1_16scan_by_key_implILNS1_25lookback_scan_determinismE0ELb1ES3_N6thrust23THRUST_200600_302600_NS6detail15normal_iteratorINSB_10device_ptrIjEEEENSD_INSE_IS6_EEEESI_S6_NSB_4plusIvEENSB_8equal_toIvEES6_EE10hipError_tPvRmT2_T3_T4_T5_mT6_T7_P12ihipStream_tbENKUlT_T0_E_clISt17integral_constantIbLb1EES13_EEDaSY_SZ_EUlSY_E_NS1_11comp_targetILNS1_3genE9ELNS1_11target_archE1100ELNS1_3gpuE3ELNS1_3repE0EEENS1_30default_config_static_selectorELNS0_4arch9wavefront6targetE0EEEvT1_
    .private_segment_fixed_size: 0
    .sgpr_count:     0
    .sgpr_spill_count: 0
    .symbol:         _ZN7rocprim17ROCPRIM_400000_NS6detail17trampoline_kernelINS0_14default_configENS1_27scan_by_key_config_selectorIj11FixedVectorIiLj8EEEEZZNS1_16scan_by_key_implILNS1_25lookback_scan_determinismE0ELb1ES3_N6thrust23THRUST_200600_302600_NS6detail15normal_iteratorINSB_10device_ptrIjEEEENSD_INSE_IS6_EEEESI_S6_NSB_4plusIvEENSB_8equal_toIvEES6_EE10hipError_tPvRmT2_T3_T4_T5_mT6_T7_P12ihipStream_tbENKUlT_T0_E_clISt17integral_constantIbLb1EES13_EEDaSY_SZ_EUlSY_E_NS1_11comp_targetILNS1_3genE9ELNS1_11target_archE1100ELNS1_3gpuE3ELNS1_3repE0EEENS1_30default_config_static_selectorELNS0_4arch9wavefront6targetE0EEEvT1_.kd
    .uniform_work_group_size: 1
    .uses_dynamic_stack: false
    .vgpr_count:     0
    .vgpr_spill_count: 0
    .wavefront_size: 32
    .workgroup_processor_mode: 1
  - .args:
      - .offset:         0
        .size:           160
        .value_kind:     by_value
    .group_segment_fixed_size: 0
    .kernarg_segment_align: 8
    .kernarg_segment_size: 160
    .language:       OpenCL C
    .language_version:
      - 2
      - 0
    .max_flat_workgroup_size: 256
    .name:           _ZN7rocprim17ROCPRIM_400000_NS6detail17trampoline_kernelINS0_14default_configENS1_27scan_by_key_config_selectorIj11FixedVectorIiLj8EEEEZZNS1_16scan_by_key_implILNS1_25lookback_scan_determinismE0ELb1ES3_N6thrust23THRUST_200600_302600_NS6detail15normal_iteratorINSB_10device_ptrIjEEEENSD_INSE_IS6_EEEESI_S6_NSB_4plusIvEENSB_8equal_toIvEES6_EE10hipError_tPvRmT2_T3_T4_T5_mT6_T7_P12ihipStream_tbENKUlT_T0_E_clISt17integral_constantIbLb1EES13_EEDaSY_SZ_EUlSY_E_NS1_11comp_targetILNS1_3genE8ELNS1_11target_archE1030ELNS1_3gpuE2ELNS1_3repE0EEENS1_30default_config_static_selectorELNS0_4arch9wavefront6targetE0EEEvT1_
    .private_segment_fixed_size: 0
    .sgpr_count:     0
    .sgpr_spill_count: 0
    .symbol:         _ZN7rocprim17ROCPRIM_400000_NS6detail17trampoline_kernelINS0_14default_configENS1_27scan_by_key_config_selectorIj11FixedVectorIiLj8EEEEZZNS1_16scan_by_key_implILNS1_25lookback_scan_determinismE0ELb1ES3_N6thrust23THRUST_200600_302600_NS6detail15normal_iteratorINSB_10device_ptrIjEEEENSD_INSE_IS6_EEEESI_S6_NSB_4plusIvEENSB_8equal_toIvEES6_EE10hipError_tPvRmT2_T3_T4_T5_mT6_T7_P12ihipStream_tbENKUlT_T0_E_clISt17integral_constantIbLb1EES13_EEDaSY_SZ_EUlSY_E_NS1_11comp_targetILNS1_3genE8ELNS1_11target_archE1030ELNS1_3gpuE2ELNS1_3repE0EEENS1_30default_config_static_selectorELNS0_4arch9wavefront6targetE0EEEvT1_.kd
    .uniform_work_group_size: 1
    .uses_dynamic_stack: false
    .vgpr_count:     0
    .vgpr_spill_count: 0
    .wavefront_size: 32
    .workgroup_processor_mode: 1
  - .args:
      - .offset:         0
        .size:           160
        .value_kind:     by_value
    .group_segment_fixed_size: 0
    .kernarg_segment_align: 8
    .kernarg_segment_size: 160
    .language:       OpenCL C
    .language_version:
      - 2
      - 0
    .max_flat_workgroup_size: 256
    .name:           _ZN7rocprim17ROCPRIM_400000_NS6detail17trampoline_kernelINS0_14default_configENS1_27scan_by_key_config_selectorIj11FixedVectorIiLj8EEEEZZNS1_16scan_by_key_implILNS1_25lookback_scan_determinismE0ELb1ES3_N6thrust23THRUST_200600_302600_NS6detail15normal_iteratorINSB_10device_ptrIjEEEENSD_INSE_IS6_EEEESI_S6_NSB_4plusIvEENSB_8equal_toIvEES6_EE10hipError_tPvRmT2_T3_T4_T5_mT6_T7_P12ihipStream_tbENKUlT_T0_E_clISt17integral_constantIbLb1EES12_IbLb0EEEEDaSY_SZ_EUlSY_E_NS1_11comp_targetILNS1_3genE0ELNS1_11target_archE4294967295ELNS1_3gpuE0ELNS1_3repE0EEENS1_30default_config_static_selectorELNS0_4arch9wavefront6targetE0EEEvT1_
    .private_segment_fixed_size: 0
    .sgpr_count:     0
    .sgpr_spill_count: 0
    .symbol:         _ZN7rocprim17ROCPRIM_400000_NS6detail17trampoline_kernelINS0_14default_configENS1_27scan_by_key_config_selectorIj11FixedVectorIiLj8EEEEZZNS1_16scan_by_key_implILNS1_25lookback_scan_determinismE0ELb1ES3_N6thrust23THRUST_200600_302600_NS6detail15normal_iteratorINSB_10device_ptrIjEEEENSD_INSE_IS6_EEEESI_S6_NSB_4plusIvEENSB_8equal_toIvEES6_EE10hipError_tPvRmT2_T3_T4_T5_mT6_T7_P12ihipStream_tbENKUlT_T0_E_clISt17integral_constantIbLb1EES12_IbLb0EEEEDaSY_SZ_EUlSY_E_NS1_11comp_targetILNS1_3genE0ELNS1_11target_archE4294967295ELNS1_3gpuE0ELNS1_3repE0EEENS1_30default_config_static_selectorELNS0_4arch9wavefront6targetE0EEEvT1_.kd
    .uniform_work_group_size: 1
    .uses_dynamic_stack: false
    .vgpr_count:     0
    .vgpr_spill_count: 0
    .wavefront_size: 32
    .workgroup_processor_mode: 1
  - .args:
      - .offset:         0
        .size:           160
        .value_kind:     by_value
    .group_segment_fixed_size: 0
    .kernarg_segment_align: 8
    .kernarg_segment_size: 160
    .language:       OpenCL C
    .language_version:
      - 2
      - 0
    .max_flat_workgroup_size: 256
    .name:           _ZN7rocprim17ROCPRIM_400000_NS6detail17trampoline_kernelINS0_14default_configENS1_27scan_by_key_config_selectorIj11FixedVectorIiLj8EEEEZZNS1_16scan_by_key_implILNS1_25lookback_scan_determinismE0ELb1ES3_N6thrust23THRUST_200600_302600_NS6detail15normal_iteratorINSB_10device_ptrIjEEEENSD_INSE_IS6_EEEESI_S6_NSB_4plusIvEENSB_8equal_toIvEES6_EE10hipError_tPvRmT2_T3_T4_T5_mT6_T7_P12ihipStream_tbENKUlT_T0_E_clISt17integral_constantIbLb1EES12_IbLb0EEEEDaSY_SZ_EUlSY_E_NS1_11comp_targetILNS1_3genE10ELNS1_11target_archE1201ELNS1_3gpuE5ELNS1_3repE0EEENS1_30default_config_static_selectorELNS0_4arch9wavefront6targetE0EEEvT1_
    .private_segment_fixed_size: 0
    .sgpr_count:     0
    .sgpr_spill_count: 0
    .symbol:         _ZN7rocprim17ROCPRIM_400000_NS6detail17trampoline_kernelINS0_14default_configENS1_27scan_by_key_config_selectorIj11FixedVectorIiLj8EEEEZZNS1_16scan_by_key_implILNS1_25lookback_scan_determinismE0ELb1ES3_N6thrust23THRUST_200600_302600_NS6detail15normal_iteratorINSB_10device_ptrIjEEEENSD_INSE_IS6_EEEESI_S6_NSB_4plusIvEENSB_8equal_toIvEES6_EE10hipError_tPvRmT2_T3_T4_T5_mT6_T7_P12ihipStream_tbENKUlT_T0_E_clISt17integral_constantIbLb1EES12_IbLb0EEEEDaSY_SZ_EUlSY_E_NS1_11comp_targetILNS1_3genE10ELNS1_11target_archE1201ELNS1_3gpuE5ELNS1_3repE0EEENS1_30default_config_static_selectorELNS0_4arch9wavefront6targetE0EEEvT1_.kd
    .uniform_work_group_size: 1
    .uses_dynamic_stack: false
    .vgpr_count:     0
    .vgpr_spill_count: 0
    .wavefront_size: 32
    .workgroup_processor_mode: 1
  - .args:
      - .offset:         0
        .size:           160
        .value_kind:     by_value
    .group_segment_fixed_size: 0
    .kernarg_segment_align: 8
    .kernarg_segment_size: 160
    .language:       OpenCL C
    .language_version:
      - 2
      - 0
    .max_flat_workgroup_size: 256
    .name:           _ZN7rocprim17ROCPRIM_400000_NS6detail17trampoline_kernelINS0_14default_configENS1_27scan_by_key_config_selectorIj11FixedVectorIiLj8EEEEZZNS1_16scan_by_key_implILNS1_25lookback_scan_determinismE0ELb1ES3_N6thrust23THRUST_200600_302600_NS6detail15normal_iteratorINSB_10device_ptrIjEEEENSD_INSE_IS6_EEEESI_S6_NSB_4plusIvEENSB_8equal_toIvEES6_EE10hipError_tPvRmT2_T3_T4_T5_mT6_T7_P12ihipStream_tbENKUlT_T0_E_clISt17integral_constantIbLb1EES12_IbLb0EEEEDaSY_SZ_EUlSY_E_NS1_11comp_targetILNS1_3genE5ELNS1_11target_archE942ELNS1_3gpuE9ELNS1_3repE0EEENS1_30default_config_static_selectorELNS0_4arch9wavefront6targetE0EEEvT1_
    .private_segment_fixed_size: 0
    .sgpr_count:     0
    .sgpr_spill_count: 0
    .symbol:         _ZN7rocprim17ROCPRIM_400000_NS6detail17trampoline_kernelINS0_14default_configENS1_27scan_by_key_config_selectorIj11FixedVectorIiLj8EEEEZZNS1_16scan_by_key_implILNS1_25lookback_scan_determinismE0ELb1ES3_N6thrust23THRUST_200600_302600_NS6detail15normal_iteratorINSB_10device_ptrIjEEEENSD_INSE_IS6_EEEESI_S6_NSB_4plusIvEENSB_8equal_toIvEES6_EE10hipError_tPvRmT2_T3_T4_T5_mT6_T7_P12ihipStream_tbENKUlT_T0_E_clISt17integral_constantIbLb1EES12_IbLb0EEEEDaSY_SZ_EUlSY_E_NS1_11comp_targetILNS1_3genE5ELNS1_11target_archE942ELNS1_3gpuE9ELNS1_3repE0EEENS1_30default_config_static_selectorELNS0_4arch9wavefront6targetE0EEEvT1_.kd
    .uniform_work_group_size: 1
    .uses_dynamic_stack: false
    .vgpr_count:     0
    .vgpr_spill_count: 0
    .wavefront_size: 32
    .workgroup_processor_mode: 1
  - .args:
      - .offset:         0
        .size:           160
        .value_kind:     by_value
    .group_segment_fixed_size: 0
    .kernarg_segment_align: 8
    .kernarg_segment_size: 160
    .language:       OpenCL C
    .language_version:
      - 2
      - 0
    .max_flat_workgroup_size: 256
    .name:           _ZN7rocprim17ROCPRIM_400000_NS6detail17trampoline_kernelINS0_14default_configENS1_27scan_by_key_config_selectorIj11FixedVectorIiLj8EEEEZZNS1_16scan_by_key_implILNS1_25lookback_scan_determinismE0ELb1ES3_N6thrust23THRUST_200600_302600_NS6detail15normal_iteratorINSB_10device_ptrIjEEEENSD_INSE_IS6_EEEESI_S6_NSB_4plusIvEENSB_8equal_toIvEES6_EE10hipError_tPvRmT2_T3_T4_T5_mT6_T7_P12ihipStream_tbENKUlT_T0_E_clISt17integral_constantIbLb1EES12_IbLb0EEEEDaSY_SZ_EUlSY_E_NS1_11comp_targetILNS1_3genE4ELNS1_11target_archE910ELNS1_3gpuE8ELNS1_3repE0EEENS1_30default_config_static_selectorELNS0_4arch9wavefront6targetE0EEEvT1_
    .private_segment_fixed_size: 0
    .sgpr_count:     0
    .sgpr_spill_count: 0
    .symbol:         _ZN7rocprim17ROCPRIM_400000_NS6detail17trampoline_kernelINS0_14default_configENS1_27scan_by_key_config_selectorIj11FixedVectorIiLj8EEEEZZNS1_16scan_by_key_implILNS1_25lookback_scan_determinismE0ELb1ES3_N6thrust23THRUST_200600_302600_NS6detail15normal_iteratorINSB_10device_ptrIjEEEENSD_INSE_IS6_EEEESI_S6_NSB_4plusIvEENSB_8equal_toIvEES6_EE10hipError_tPvRmT2_T3_T4_T5_mT6_T7_P12ihipStream_tbENKUlT_T0_E_clISt17integral_constantIbLb1EES12_IbLb0EEEEDaSY_SZ_EUlSY_E_NS1_11comp_targetILNS1_3genE4ELNS1_11target_archE910ELNS1_3gpuE8ELNS1_3repE0EEENS1_30default_config_static_selectorELNS0_4arch9wavefront6targetE0EEEvT1_.kd
    .uniform_work_group_size: 1
    .uses_dynamic_stack: false
    .vgpr_count:     0
    .vgpr_spill_count: 0
    .wavefront_size: 32
    .workgroup_processor_mode: 1
  - .args:
      - .offset:         0
        .size:           160
        .value_kind:     by_value
    .group_segment_fixed_size: 0
    .kernarg_segment_align: 8
    .kernarg_segment_size: 160
    .language:       OpenCL C
    .language_version:
      - 2
      - 0
    .max_flat_workgroup_size: 256
    .name:           _ZN7rocprim17ROCPRIM_400000_NS6detail17trampoline_kernelINS0_14default_configENS1_27scan_by_key_config_selectorIj11FixedVectorIiLj8EEEEZZNS1_16scan_by_key_implILNS1_25lookback_scan_determinismE0ELb1ES3_N6thrust23THRUST_200600_302600_NS6detail15normal_iteratorINSB_10device_ptrIjEEEENSD_INSE_IS6_EEEESI_S6_NSB_4plusIvEENSB_8equal_toIvEES6_EE10hipError_tPvRmT2_T3_T4_T5_mT6_T7_P12ihipStream_tbENKUlT_T0_E_clISt17integral_constantIbLb1EES12_IbLb0EEEEDaSY_SZ_EUlSY_E_NS1_11comp_targetILNS1_3genE3ELNS1_11target_archE908ELNS1_3gpuE7ELNS1_3repE0EEENS1_30default_config_static_selectorELNS0_4arch9wavefront6targetE0EEEvT1_
    .private_segment_fixed_size: 0
    .sgpr_count:     0
    .sgpr_spill_count: 0
    .symbol:         _ZN7rocprim17ROCPRIM_400000_NS6detail17trampoline_kernelINS0_14default_configENS1_27scan_by_key_config_selectorIj11FixedVectorIiLj8EEEEZZNS1_16scan_by_key_implILNS1_25lookback_scan_determinismE0ELb1ES3_N6thrust23THRUST_200600_302600_NS6detail15normal_iteratorINSB_10device_ptrIjEEEENSD_INSE_IS6_EEEESI_S6_NSB_4plusIvEENSB_8equal_toIvEES6_EE10hipError_tPvRmT2_T3_T4_T5_mT6_T7_P12ihipStream_tbENKUlT_T0_E_clISt17integral_constantIbLb1EES12_IbLb0EEEEDaSY_SZ_EUlSY_E_NS1_11comp_targetILNS1_3genE3ELNS1_11target_archE908ELNS1_3gpuE7ELNS1_3repE0EEENS1_30default_config_static_selectorELNS0_4arch9wavefront6targetE0EEEvT1_.kd
    .uniform_work_group_size: 1
    .uses_dynamic_stack: false
    .vgpr_count:     0
    .vgpr_spill_count: 0
    .wavefront_size: 32
    .workgroup_processor_mode: 1
  - .args:
      - .offset:         0
        .size:           160
        .value_kind:     by_value
    .group_segment_fixed_size: 0
    .kernarg_segment_align: 8
    .kernarg_segment_size: 160
    .language:       OpenCL C
    .language_version:
      - 2
      - 0
    .max_flat_workgroup_size: 256
    .name:           _ZN7rocprim17ROCPRIM_400000_NS6detail17trampoline_kernelINS0_14default_configENS1_27scan_by_key_config_selectorIj11FixedVectorIiLj8EEEEZZNS1_16scan_by_key_implILNS1_25lookback_scan_determinismE0ELb1ES3_N6thrust23THRUST_200600_302600_NS6detail15normal_iteratorINSB_10device_ptrIjEEEENSD_INSE_IS6_EEEESI_S6_NSB_4plusIvEENSB_8equal_toIvEES6_EE10hipError_tPvRmT2_T3_T4_T5_mT6_T7_P12ihipStream_tbENKUlT_T0_E_clISt17integral_constantIbLb1EES12_IbLb0EEEEDaSY_SZ_EUlSY_E_NS1_11comp_targetILNS1_3genE2ELNS1_11target_archE906ELNS1_3gpuE6ELNS1_3repE0EEENS1_30default_config_static_selectorELNS0_4arch9wavefront6targetE0EEEvT1_
    .private_segment_fixed_size: 0
    .sgpr_count:     0
    .sgpr_spill_count: 0
    .symbol:         _ZN7rocprim17ROCPRIM_400000_NS6detail17trampoline_kernelINS0_14default_configENS1_27scan_by_key_config_selectorIj11FixedVectorIiLj8EEEEZZNS1_16scan_by_key_implILNS1_25lookback_scan_determinismE0ELb1ES3_N6thrust23THRUST_200600_302600_NS6detail15normal_iteratorINSB_10device_ptrIjEEEENSD_INSE_IS6_EEEESI_S6_NSB_4plusIvEENSB_8equal_toIvEES6_EE10hipError_tPvRmT2_T3_T4_T5_mT6_T7_P12ihipStream_tbENKUlT_T0_E_clISt17integral_constantIbLb1EES12_IbLb0EEEEDaSY_SZ_EUlSY_E_NS1_11comp_targetILNS1_3genE2ELNS1_11target_archE906ELNS1_3gpuE6ELNS1_3repE0EEENS1_30default_config_static_selectorELNS0_4arch9wavefront6targetE0EEEvT1_.kd
    .uniform_work_group_size: 1
    .uses_dynamic_stack: false
    .vgpr_count:     0
    .vgpr_spill_count: 0
    .wavefront_size: 32
    .workgroup_processor_mode: 1
  - .args:
      - .offset:         0
        .size:           160
        .value_kind:     by_value
    .group_segment_fixed_size: 0
    .kernarg_segment_align: 8
    .kernarg_segment_size: 160
    .language:       OpenCL C
    .language_version:
      - 2
      - 0
    .max_flat_workgroup_size: 256
    .name:           _ZN7rocprim17ROCPRIM_400000_NS6detail17trampoline_kernelINS0_14default_configENS1_27scan_by_key_config_selectorIj11FixedVectorIiLj8EEEEZZNS1_16scan_by_key_implILNS1_25lookback_scan_determinismE0ELb1ES3_N6thrust23THRUST_200600_302600_NS6detail15normal_iteratorINSB_10device_ptrIjEEEENSD_INSE_IS6_EEEESI_S6_NSB_4plusIvEENSB_8equal_toIvEES6_EE10hipError_tPvRmT2_T3_T4_T5_mT6_T7_P12ihipStream_tbENKUlT_T0_E_clISt17integral_constantIbLb1EES12_IbLb0EEEEDaSY_SZ_EUlSY_E_NS1_11comp_targetILNS1_3genE10ELNS1_11target_archE1200ELNS1_3gpuE4ELNS1_3repE0EEENS1_30default_config_static_selectorELNS0_4arch9wavefront6targetE0EEEvT1_
    .private_segment_fixed_size: 0
    .sgpr_count:     0
    .sgpr_spill_count: 0
    .symbol:         _ZN7rocprim17ROCPRIM_400000_NS6detail17trampoline_kernelINS0_14default_configENS1_27scan_by_key_config_selectorIj11FixedVectorIiLj8EEEEZZNS1_16scan_by_key_implILNS1_25lookback_scan_determinismE0ELb1ES3_N6thrust23THRUST_200600_302600_NS6detail15normal_iteratorINSB_10device_ptrIjEEEENSD_INSE_IS6_EEEESI_S6_NSB_4plusIvEENSB_8equal_toIvEES6_EE10hipError_tPvRmT2_T3_T4_T5_mT6_T7_P12ihipStream_tbENKUlT_T0_E_clISt17integral_constantIbLb1EES12_IbLb0EEEEDaSY_SZ_EUlSY_E_NS1_11comp_targetILNS1_3genE10ELNS1_11target_archE1200ELNS1_3gpuE4ELNS1_3repE0EEENS1_30default_config_static_selectorELNS0_4arch9wavefront6targetE0EEEvT1_.kd
    .uniform_work_group_size: 1
    .uses_dynamic_stack: false
    .vgpr_count:     0
    .vgpr_spill_count: 0
    .wavefront_size: 32
    .workgroup_processor_mode: 1
  - .args:
      - .offset:         0
        .size:           160
        .value_kind:     by_value
    .group_segment_fixed_size: 0
    .kernarg_segment_align: 8
    .kernarg_segment_size: 160
    .language:       OpenCL C
    .language_version:
      - 2
      - 0
    .max_flat_workgroup_size: 256
    .name:           _ZN7rocprim17ROCPRIM_400000_NS6detail17trampoline_kernelINS0_14default_configENS1_27scan_by_key_config_selectorIj11FixedVectorIiLj8EEEEZZNS1_16scan_by_key_implILNS1_25lookback_scan_determinismE0ELb1ES3_N6thrust23THRUST_200600_302600_NS6detail15normal_iteratorINSB_10device_ptrIjEEEENSD_INSE_IS6_EEEESI_S6_NSB_4plusIvEENSB_8equal_toIvEES6_EE10hipError_tPvRmT2_T3_T4_T5_mT6_T7_P12ihipStream_tbENKUlT_T0_E_clISt17integral_constantIbLb1EES12_IbLb0EEEEDaSY_SZ_EUlSY_E_NS1_11comp_targetILNS1_3genE9ELNS1_11target_archE1100ELNS1_3gpuE3ELNS1_3repE0EEENS1_30default_config_static_selectorELNS0_4arch9wavefront6targetE0EEEvT1_
    .private_segment_fixed_size: 0
    .sgpr_count:     0
    .sgpr_spill_count: 0
    .symbol:         _ZN7rocprim17ROCPRIM_400000_NS6detail17trampoline_kernelINS0_14default_configENS1_27scan_by_key_config_selectorIj11FixedVectorIiLj8EEEEZZNS1_16scan_by_key_implILNS1_25lookback_scan_determinismE0ELb1ES3_N6thrust23THRUST_200600_302600_NS6detail15normal_iteratorINSB_10device_ptrIjEEEENSD_INSE_IS6_EEEESI_S6_NSB_4plusIvEENSB_8equal_toIvEES6_EE10hipError_tPvRmT2_T3_T4_T5_mT6_T7_P12ihipStream_tbENKUlT_T0_E_clISt17integral_constantIbLb1EES12_IbLb0EEEEDaSY_SZ_EUlSY_E_NS1_11comp_targetILNS1_3genE9ELNS1_11target_archE1100ELNS1_3gpuE3ELNS1_3repE0EEENS1_30default_config_static_selectorELNS0_4arch9wavefront6targetE0EEEvT1_.kd
    .uniform_work_group_size: 1
    .uses_dynamic_stack: false
    .vgpr_count:     0
    .vgpr_spill_count: 0
    .wavefront_size: 32
    .workgroup_processor_mode: 1
  - .args:
      - .offset:         0
        .size:           160
        .value_kind:     by_value
    .group_segment_fixed_size: 0
    .kernarg_segment_align: 8
    .kernarg_segment_size: 160
    .language:       OpenCL C
    .language_version:
      - 2
      - 0
    .max_flat_workgroup_size: 256
    .name:           _ZN7rocprim17ROCPRIM_400000_NS6detail17trampoline_kernelINS0_14default_configENS1_27scan_by_key_config_selectorIj11FixedVectorIiLj8EEEEZZNS1_16scan_by_key_implILNS1_25lookback_scan_determinismE0ELb1ES3_N6thrust23THRUST_200600_302600_NS6detail15normal_iteratorINSB_10device_ptrIjEEEENSD_INSE_IS6_EEEESI_S6_NSB_4plusIvEENSB_8equal_toIvEES6_EE10hipError_tPvRmT2_T3_T4_T5_mT6_T7_P12ihipStream_tbENKUlT_T0_E_clISt17integral_constantIbLb1EES12_IbLb0EEEEDaSY_SZ_EUlSY_E_NS1_11comp_targetILNS1_3genE8ELNS1_11target_archE1030ELNS1_3gpuE2ELNS1_3repE0EEENS1_30default_config_static_selectorELNS0_4arch9wavefront6targetE0EEEvT1_
    .private_segment_fixed_size: 0
    .sgpr_count:     0
    .sgpr_spill_count: 0
    .symbol:         _ZN7rocprim17ROCPRIM_400000_NS6detail17trampoline_kernelINS0_14default_configENS1_27scan_by_key_config_selectorIj11FixedVectorIiLj8EEEEZZNS1_16scan_by_key_implILNS1_25lookback_scan_determinismE0ELb1ES3_N6thrust23THRUST_200600_302600_NS6detail15normal_iteratorINSB_10device_ptrIjEEEENSD_INSE_IS6_EEEESI_S6_NSB_4plusIvEENSB_8equal_toIvEES6_EE10hipError_tPvRmT2_T3_T4_T5_mT6_T7_P12ihipStream_tbENKUlT_T0_E_clISt17integral_constantIbLb1EES12_IbLb0EEEEDaSY_SZ_EUlSY_E_NS1_11comp_targetILNS1_3genE8ELNS1_11target_archE1030ELNS1_3gpuE2ELNS1_3repE0EEENS1_30default_config_static_selectorELNS0_4arch9wavefront6targetE0EEEvT1_.kd
    .uniform_work_group_size: 1
    .uses_dynamic_stack: false
    .vgpr_count:     0
    .vgpr_spill_count: 0
    .wavefront_size: 32
    .workgroup_processor_mode: 1
  - .args:
      - .offset:         0
        .size:           160
        .value_kind:     by_value
    .group_segment_fixed_size: 0
    .kernarg_segment_align: 8
    .kernarg_segment_size: 160
    .language:       OpenCL C
    .language_version:
      - 2
      - 0
    .max_flat_workgroup_size: 256
    .name:           _ZN7rocprim17ROCPRIM_400000_NS6detail17trampoline_kernelINS0_14default_configENS1_27scan_by_key_config_selectorIj11FixedVectorIiLj8EEEEZZNS1_16scan_by_key_implILNS1_25lookback_scan_determinismE0ELb1ES3_N6thrust23THRUST_200600_302600_NS6detail15normal_iteratorINSB_10device_ptrIjEEEENSD_INSE_IS6_EEEESI_S6_NSB_4plusIvEENSB_8equal_toIvEES6_EE10hipError_tPvRmT2_T3_T4_T5_mT6_T7_P12ihipStream_tbENKUlT_T0_E_clISt17integral_constantIbLb0EES12_IbLb1EEEEDaSY_SZ_EUlSY_E_NS1_11comp_targetILNS1_3genE0ELNS1_11target_archE4294967295ELNS1_3gpuE0ELNS1_3repE0EEENS1_30default_config_static_selectorELNS0_4arch9wavefront6targetE0EEEvT1_
    .private_segment_fixed_size: 0
    .sgpr_count:     0
    .sgpr_spill_count: 0
    .symbol:         _ZN7rocprim17ROCPRIM_400000_NS6detail17trampoline_kernelINS0_14default_configENS1_27scan_by_key_config_selectorIj11FixedVectorIiLj8EEEEZZNS1_16scan_by_key_implILNS1_25lookback_scan_determinismE0ELb1ES3_N6thrust23THRUST_200600_302600_NS6detail15normal_iteratorINSB_10device_ptrIjEEEENSD_INSE_IS6_EEEESI_S6_NSB_4plusIvEENSB_8equal_toIvEES6_EE10hipError_tPvRmT2_T3_T4_T5_mT6_T7_P12ihipStream_tbENKUlT_T0_E_clISt17integral_constantIbLb0EES12_IbLb1EEEEDaSY_SZ_EUlSY_E_NS1_11comp_targetILNS1_3genE0ELNS1_11target_archE4294967295ELNS1_3gpuE0ELNS1_3repE0EEENS1_30default_config_static_selectorELNS0_4arch9wavefront6targetE0EEEvT1_.kd
    .uniform_work_group_size: 1
    .uses_dynamic_stack: false
    .vgpr_count:     0
    .vgpr_spill_count: 0
    .wavefront_size: 32
    .workgroup_processor_mode: 1
  - .args:
      - .offset:         0
        .size:           160
        .value_kind:     by_value
    .group_segment_fixed_size: 0
    .kernarg_segment_align: 8
    .kernarg_segment_size: 160
    .language:       OpenCL C
    .language_version:
      - 2
      - 0
    .max_flat_workgroup_size: 256
    .name:           _ZN7rocprim17ROCPRIM_400000_NS6detail17trampoline_kernelINS0_14default_configENS1_27scan_by_key_config_selectorIj11FixedVectorIiLj8EEEEZZNS1_16scan_by_key_implILNS1_25lookback_scan_determinismE0ELb1ES3_N6thrust23THRUST_200600_302600_NS6detail15normal_iteratorINSB_10device_ptrIjEEEENSD_INSE_IS6_EEEESI_S6_NSB_4plusIvEENSB_8equal_toIvEES6_EE10hipError_tPvRmT2_T3_T4_T5_mT6_T7_P12ihipStream_tbENKUlT_T0_E_clISt17integral_constantIbLb0EES12_IbLb1EEEEDaSY_SZ_EUlSY_E_NS1_11comp_targetILNS1_3genE10ELNS1_11target_archE1201ELNS1_3gpuE5ELNS1_3repE0EEENS1_30default_config_static_selectorELNS0_4arch9wavefront6targetE0EEEvT1_
    .private_segment_fixed_size: 0
    .sgpr_count:     0
    .sgpr_spill_count: 0
    .symbol:         _ZN7rocprim17ROCPRIM_400000_NS6detail17trampoline_kernelINS0_14default_configENS1_27scan_by_key_config_selectorIj11FixedVectorIiLj8EEEEZZNS1_16scan_by_key_implILNS1_25lookback_scan_determinismE0ELb1ES3_N6thrust23THRUST_200600_302600_NS6detail15normal_iteratorINSB_10device_ptrIjEEEENSD_INSE_IS6_EEEESI_S6_NSB_4plusIvEENSB_8equal_toIvEES6_EE10hipError_tPvRmT2_T3_T4_T5_mT6_T7_P12ihipStream_tbENKUlT_T0_E_clISt17integral_constantIbLb0EES12_IbLb1EEEEDaSY_SZ_EUlSY_E_NS1_11comp_targetILNS1_3genE10ELNS1_11target_archE1201ELNS1_3gpuE5ELNS1_3repE0EEENS1_30default_config_static_selectorELNS0_4arch9wavefront6targetE0EEEvT1_.kd
    .uniform_work_group_size: 1
    .uses_dynamic_stack: false
    .vgpr_count:     0
    .vgpr_spill_count: 0
    .wavefront_size: 32
    .workgroup_processor_mode: 1
  - .args:
      - .offset:         0
        .size:           160
        .value_kind:     by_value
    .group_segment_fixed_size: 0
    .kernarg_segment_align: 8
    .kernarg_segment_size: 160
    .language:       OpenCL C
    .language_version:
      - 2
      - 0
    .max_flat_workgroup_size: 256
    .name:           _ZN7rocprim17ROCPRIM_400000_NS6detail17trampoline_kernelINS0_14default_configENS1_27scan_by_key_config_selectorIj11FixedVectorIiLj8EEEEZZNS1_16scan_by_key_implILNS1_25lookback_scan_determinismE0ELb1ES3_N6thrust23THRUST_200600_302600_NS6detail15normal_iteratorINSB_10device_ptrIjEEEENSD_INSE_IS6_EEEESI_S6_NSB_4plusIvEENSB_8equal_toIvEES6_EE10hipError_tPvRmT2_T3_T4_T5_mT6_T7_P12ihipStream_tbENKUlT_T0_E_clISt17integral_constantIbLb0EES12_IbLb1EEEEDaSY_SZ_EUlSY_E_NS1_11comp_targetILNS1_3genE5ELNS1_11target_archE942ELNS1_3gpuE9ELNS1_3repE0EEENS1_30default_config_static_selectorELNS0_4arch9wavefront6targetE0EEEvT1_
    .private_segment_fixed_size: 0
    .sgpr_count:     0
    .sgpr_spill_count: 0
    .symbol:         _ZN7rocprim17ROCPRIM_400000_NS6detail17trampoline_kernelINS0_14default_configENS1_27scan_by_key_config_selectorIj11FixedVectorIiLj8EEEEZZNS1_16scan_by_key_implILNS1_25lookback_scan_determinismE0ELb1ES3_N6thrust23THRUST_200600_302600_NS6detail15normal_iteratorINSB_10device_ptrIjEEEENSD_INSE_IS6_EEEESI_S6_NSB_4plusIvEENSB_8equal_toIvEES6_EE10hipError_tPvRmT2_T3_T4_T5_mT6_T7_P12ihipStream_tbENKUlT_T0_E_clISt17integral_constantIbLb0EES12_IbLb1EEEEDaSY_SZ_EUlSY_E_NS1_11comp_targetILNS1_3genE5ELNS1_11target_archE942ELNS1_3gpuE9ELNS1_3repE0EEENS1_30default_config_static_selectorELNS0_4arch9wavefront6targetE0EEEvT1_.kd
    .uniform_work_group_size: 1
    .uses_dynamic_stack: false
    .vgpr_count:     0
    .vgpr_spill_count: 0
    .wavefront_size: 32
    .workgroup_processor_mode: 1
  - .args:
      - .offset:         0
        .size:           160
        .value_kind:     by_value
    .group_segment_fixed_size: 0
    .kernarg_segment_align: 8
    .kernarg_segment_size: 160
    .language:       OpenCL C
    .language_version:
      - 2
      - 0
    .max_flat_workgroup_size: 256
    .name:           _ZN7rocprim17ROCPRIM_400000_NS6detail17trampoline_kernelINS0_14default_configENS1_27scan_by_key_config_selectorIj11FixedVectorIiLj8EEEEZZNS1_16scan_by_key_implILNS1_25lookback_scan_determinismE0ELb1ES3_N6thrust23THRUST_200600_302600_NS6detail15normal_iteratorINSB_10device_ptrIjEEEENSD_INSE_IS6_EEEESI_S6_NSB_4plusIvEENSB_8equal_toIvEES6_EE10hipError_tPvRmT2_T3_T4_T5_mT6_T7_P12ihipStream_tbENKUlT_T0_E_clISt17integral_constantIbLb0EES12_IbLb1EEEEDaSY_SZ_EUlSY_E_NS1_11comp_targetILNS1_3genE4ELNS1_11target_archE910ELNS1_3gpuE8ELNS1_3repE0EEENS1_30default_config_static_selectorELNS0_4arch9wavefront6targetE0EEEvT1_
    .private_segment_fixed_size: 0
    .sgpr_count:     0
    .sgpr_spill_count: 0
    .symbol:         _ZN7rocprim17ROCPRIM_400000_NS6detail17trampoline_kernelINS0_14default_configENS1_27scan_by_key_config_selectorIj11FixedVectorIiLj8EEEEZZNS1_16scan_by_key_implILNS1_25lookback_scan_determinismE0ELb1ES3_N6thrust23THRUST_200600_302600_NS6detail15normal_iteratorINSB_10device_ptrIjEEEENSD_INSE_IS6_EEEESI_S6_NSB_4plusIvEENSB_8equal_toIvEES6_EE10hipError_tPvRmT2_T3_T4_T5_mT6_T7_P12ihipStream_tbENKUlT_T0_E_clISt17integral_constantIbLb0EES12_IbLb1EEEEDaSY_SZ_EUlSY_E_NS1_11comp_targetILNS1_3genE4ELNS1_11target_archE910ELNS1_3gpuE8ELNS1_3repE0EEENS1_30default_config_static_selectorELNS0_4arch9wavefront6targetE0EEEvT1_.kd
    .uniform_work_group_size: 1
    .uses_dynamic_stack: false
    .vgpr_count:     0
    .vgpr_spill_count: 0
    .wavefront_size: 32
    .workgroup_processor_mode: 1
  - .args:
      - .offset:         0
        .size:           160
        .value_kind:     by_value
    .group_segment_fixed_size: 0
    .kernarg_segment_align: 8
    .kernarg_segment_size: 160
    .language:       OpenCL C
    .language_version:
      - 2
      - 0
    .max_flat_workgroup_size: 256
    .name:           _ZN7rocprim17ROCPRIM_400000_NS6detail17trampoline_kernelINS0_14default_configENS1_27scan_by_key_config_selectorIj11FixedVectorIiLj8EEEEZZNS1_16scan_by_key_implILNS1_25lookback_scan_determinismE0ELb1ES3_N6thrust23THRUST_200600_302600_NS6detail15normal_iteratorINSB_10device_ptrIjEEEENSD_INSE_IS6_EEEESI_S6_NSB_4plusIvEENSB_8equal_toIvEES6_EE10hipError_tPvRmT2_T3_T4_T5_mT6_T7_P12ihipStream_tbENKUlT_T0_E_clISt17integral_constantIbLb0EES12_IbLb1EEEEDaSY_SZ_EUlSY_E_NS1_11comp_targetILNS1_3genE3ELNS1_11target_archE908ELNS1_3gpuE7ELNS1_3repE0EEENS1_30default_config_static_selectorELNS0_4arch9wavefront6targetE0EEEvT1_
    .private_segment_fixed_size: 0
    .sgpr_count:     0
    .sgpr_spill_count: 0
    .symbol:         _ZN7rocprim17ROCPRIM_400000_NS6detail17trampoline_kernelINS0_14default_configENS1_27scan_by_key_config_selectorIj11FixedVectorIiLj8EEEEZZNS1_16scan_by_key_implILNS1_25lookback_scan_determinismE0ELb1ES3_N6thrust23THRUST_200600_302600_NS6detail15normal_iteratorINSB_10device_ptrIjEEEENSD_INSE_IS6_EEEESI_S6_NSB_4plusIvEENSB_8equal_toIvEES6_EE10hipError_tPvRmT2_T3_T4_T5_mT6_T7_P12ihipStream_tbENKUlT_T0_E_clISt17integral_constantIbLb0EES12_IbLb1EEEEDaSY_SZ_EUlSY_E_NS1_11comp_targetILNS1_3genE3ELNS1_11target_archE908ELNS1_3gpuE7ELNS1_3repE0EEENS1_30default_config_static_selectorELNS0_4arch9wavefront6targetE0EEEvT1_.kd
    .uniform_work_group_size: 1
    .uses_dynamic_stack: false
    .vgpr_count:     0
    .vgpr_spill_count: 0
    .wavefront_size: 32
    .workgroup_processor_mode: 1
  - .args:
      - .offset:         0
        .size:           160
        .value_kind:     by_value
    .group_segment_fixed_size: 0
    .kernarg_segment_align: 8
    .kernarg_segment_size: 160
    .language:       OpenCL C
    .language_version:
      - 2
      - 0
    .max_flat_workgroup_size: 256
    .name:           _ZN7rocprim17ROCPRIM_400000_NS6detail17trampoline_kernelINS0_14default_configENS1_27scan_by_key_config_selectorIj11FixedVectorIiLj8EEEEZZNS1_16scan_by_key_implILNS1_25lookback_scan_determinismE0ELb1ES3_N6thrust23THRUST_200600_302600_NS6detail15normal_iteratorINSB_10device_ptrIjEEEENSD_INSE_IS6_EEEESI_S6_NSB_4plusIvEENSB_8equal_toIvEES6_EE10hipError_tPvRmT2_T3_T4_T5_mT6_T7_P12ihipStream_tbENKUlT_T0_E_clISt17integral_constantIbLb0EES12_IbLb1EEEEDaSY_SZ_EUlSY_E_NS1_11comp_targetILNS1_3genE2ELNS1_11target_archE906ELNS1_3gpuE6ELNS1_3repE0EEENS1_30default_config_static_selectorELNS0_4arch9wavefront6targetE0EEEvT1_
    .private_segment_fixed_size: 0
    .sgpr_count:     0
    .sgpr_spill_count: 0
    .symbol:         _ZN7rocprim17ROCPRIM_400000_NS6detail17trampoline_kernelINS0_14default_configENS1_27scan_by_key_config_selectorIj11FixedVectorIiLj8EEEEZZNS1_16scan_by_key_implILNS1_25lookback_scan_determinismE0ELb1ES3_N6thrust23THRUST_200600_302600_NS6detail15normal_iteratorINSB_10device_ptrIjEEEENSD_INSE_IS6_EEEESI_S6_NSB_4plusIvEENSB_8equal_toIvEES6_EE10hipError_tPvRmT2_T3_T4_T5_mT6_T7_P12ihipStream_tbENKUlT_T0_E_clISt17integral_constantIbLb0EES12_IbLb1EEEEDaSY_SZ_EUlSY_E_NS1_11comp_targetILNS1_3genE2ELNS1_11target_archE906ELNS1_3gpuE6ELNS1_3repE0EEENS1_30default_config_static_selectorELNS0_4arch9wavefront6targetE0EEEvT1_.kd
    .uniform_work_group_size: 1
    .uses_dynamic_stack: false
    .vgpr_count:     0
    .vgpr_spill_count: 0
    .wavefront_size: 32
    .workgroup_processor_mode: 1
  - .args:
      - .offset:         0
        .size:           160
        .value_kind:     by_value
    .group_segment_fixed_size: 0
    .kernarg_segment_align: 8
    .kernarg_segment_size: 160
    .language:       OpenCL C
    .language_version:
      - 2
      - 0
    .max_flat_workgroup_size: 256
    .name:           _ZN7rocprim17ROCPRIM_400000_NS6detail17trampoline_kernelINS0_14default_configENS1_27scan_by_key_config_selectorIj11FixedVectorIiLj8EEEEZZNS1_16scan_by_key_implILNS1_25lookback_scan_determinismE0ELb1ES3_N6thrust23THRUST_200600_302600_NS6detail15normal_iteratorINSB_10device_ptrIjEEEENSD_INSE_IS6_EEEESI_S6_NSB_4plusIvEENSB_8equal_toIvEES6_EE10hipError_tPvRmT2_T3_T4_T5_mT6_T7_P12ihipStream_tbENKUlT_T0_E_clISt17integral_constantIbLb0EES12_IbLb1EEEEDaSY_SZ_EUlSY_E_NS1_11comp_targetILNS1_3genE10ELNS1_11target_archE1200ELNS1_3gpuE4ELNS1_3repE0EEENS1_30default_config_static_selectorELNS0_4arch9wavefront6targetE0EEEvT1_
    .private_segment_fixed_size: 0
    .sgpr_count:     0
    .sgpr_spill_count: 0
    .symbol:         _ZN7rocprim17ROCPRIM_400000_NS6detail17trampoline_kernelINS0_14default_configENS1_27scan_by_key_config_selectorIj11FixedVectorIiLj8EEEEZZNS1_16scan_by_key_implILNS1_25lookback_scan_determinismE0ELb1ES3_N6thrust23THRUST_200600_302600_NS6detail15normal_iteratorINSB_10device_ptrIjEEEENSD_INSE_IS6_EEEESI_S6_NSB_4plusIvEENSB_8equal_toIvEES6_EE10hipError_tPvRmT2_T3_T4_T5_mT6_T7_P12ihipStream_tbENKUlT_T0_E_clISt17integral_constantIbLb0EES12_IbLb1EEEEDaSY_SZ_EUlSY_E_NS1_11comp_targetILNS1_3genE10ELNS1_11target_archE1200ELNS1_3gpuE4ELNS1_3repE0EEENS1_30default_config_static_selectorELNS0_4arch9wavefront6targetE0EEEvT1_.kd
    .uniform_work_group_size: 1
    .uses_dynamic_stack: false
    .vgpr_count:     0
    .vgpr_spill_count: 0
    .wavefront_size: 32
    .workgroup_processor_mode: 1
  - .args:
      - .offset:         0
        .size:           160
        .value_kind:     by_value
    .group_segment_fixed_size: 0
    .kernarg_segment_align: 8
    .kernarg_segment_size: 160
    .language:       OpenCL C
    .language_version:
      - 2
      - 0
    .max_flat_workgroup_size: 256
    .name:           _ZN7rocprim17ROCPRIM_400000_NS6detail17trampoline_kernelINS0_14default_configENS1_27scan_by_key_config_selectorIj11FixedVectorIiLj8EEEEZZNS1_16scan_by_key_implILNS1_25lookback_scan_determinismE0ELb1ES3_N6thrust23THRUST_200600_302600_NS6detail15normal_iteratorINSB_10device_ptrIjEEEENSD_INSE_IS6_EEEESI_S6_NSB_4plusIvEENSB_8equal_toIvEES6_EE10hipError_tPvRmT2_T3_T4_T5_mT6_T7_P12ihipStream_tbENKUlT_T0_E_clISt17integral_constantIbLb0EES12_IbLb1EEEEDaSY_SZ_EUlSY_E_NS1_11comp_targetILNS1_3genE9ELNS1_11target_archE1100ELNS1_3gpuE3ELNS1_3repE0EEENS1_30default_config_static_selectorELNS0_4arch9wavefront6targetE0EEEvT1_
    .private_segment_fixed_size: 0
    .sgpr_count:     0
    .sgpr_spill_count: 0
    .symbol:         _ZN7rocprim17ROCPRIM_400000_NS6detail17trampoline_kernelINS0_14default_configENS1_27scan_by_key_config_selectorIj11FixedVectorIiLj8EEEEZZNS1_16scan_by_key_implILNS1_25lookback_scan_determinismE0ELb1ES3_N6thrust23THRUST_200600_302600_NS6detail15normal_iteratorINSB_10device_ptrIjEEEENSD_INSE_IS6_EEEESI_S6_NSB_4plusIvEENSB_8equal_toIvEES6_EE10hipError_tPvRmT2_T3_T4_T5_mT6_T7_P12ihipStream_tbENKUlT_T0_E_clISt17integral_constantIbLb0EES12_IbLb1EEEEDaSY_SZ_EUlSY_E_NS1_11comp_targetILNS1_3genE9ELNS1_11target_archE1100ELNS1_3gpuE3ELNS1_3repE0EEENS1_30default_config_static_selectorELNS0_4arch9wavefront6targetE0EEEvT1_.kd
    .uniform_work_group_size: 1
    .uses_dynamic_stack: false
    .vgpr_count:     0
    .vgpr_spill_count: 0
    .wavefront_size: 32
    .workgroup_processor_mode: 1
  - .args:
      - .offset:         0
        .size:           160
        .value_kind:     by_value
    .group_segment_fixed_size: 24576
    .kernarg_segment_align: 8
    .kernarg_segment_size: 160
    .language:       OpenCL C
    .language_version:
      - 2
      - 0
    .max_flat_workgroup_size: 256
    .name:           _ZN7rocprim17ROCPRIM_400000_NS6detail17trampoline_kernelINS0_14default_configENS1_27scan_by_key_config_selectorIj11FixedVectorIiLj8EEEEZZNS1_16scan_by_key_implILNS1_25lookback_scan_determinismE0ELb1ES3_N6thrust23THRUST_200600_302600_NS6detail15normal_iteratorINSB_10device_ptrIjEEEENSD_INSE_IS6_EEEESI_S6_NSB_4plusIvEENSB_8equal_toIvEES6_EE10hipError_tPvRmT2_T3_T4_T5_mT6_T7_P12ihipStream_tbENKUlT_T0_E_clISt17integral_constantIbLb0EES12_IbLb1EEEEDaSY_SZ_EUlSY_E_NS1_11comp_targetILNS1_3genE8ELNS1_11target_archE1030ELNS1_3gpuE2ELNS1_3repE0EEENS1_30default_config_static_selectorELNS0_4arch9wavefront6targetE0EEEvT1_
    .private_segment_fixed_size: 432
    .sgpr_count:     51
    .sgpr_spill_count: 0
    .symbol:         _ZN7rocprim17ROCPRIM_400000_NS6detail17trampoline_kernelINS0_14default_configENS1_27scan_by_key_config_selectorIj11FixedVectorIiLj8EEEEZZNS1_16scan_by_key_implILNS1_25lookback_scan_determinismE0ELb1ES3_N6thrust23THRUST_200600_302600_NS6detail15normal_iteratorINSB_10device_ptrIjEEEENSD_INSE_IS6_EEEESI_S6_NSB_4plusIvEENSB_8equal_toIvEES6_EE10hipError_tPvRmT2_T3_T4_T5_mT6_T7_P12ihipStream_tbENKUlT_T0_E_clISt17integral_constantIbLb0EES12_IbLb1EEEEDaSY_SZ_EUlSY_E_NS1_11comp_targetILNS1_3genE8ELNS1_11target_archE1030ELNS1_3gpuE2ELNS1_3repE0EEENS1_30default_config_static_selectorELNS0_4arch9wavefront6targetE0EEEvT1_.kd
    .uniform_work_group_size: 1
    .uses_dynamic_stack: false
    .vgpr_count:     45
    .vgpr_spill_count: 0
    .wavefront_size: 32
    .workgroup_processor_mode: 1
  - .args:
      - .address_space:  global
        .offset:         0
        .size:           8
        .value_kind:     global_buffer
      - .offset:         8
        .size:           4
        .value_kind:     by_value
      - .offset:         12
        .size:           4
        .value_kind:     by_value
      - .address_space:  global
        .offset:         16
        .size:           8
        .value_kind:     global_buffer
      - .address_space:  global
        .offset:         24
        .size:           8
        .value_kind:     global_buffer
      - .actual_access:  write_only
        .address_space:  global
        .offset:         32
        .size:           8
        .value_kind:     global_buffer
      - .offset:         40
        .size:           8
        .value_kind:     by_value
      - .offset:         48
        .size:           4
        .value_kind:     by_value
      - .offset:         52
        .size:           1
        .value_kind:     by_value
      - .offset:         56
        .size:           4
        .value_kind:     hidden_block_count_x
      - .offset:         60
        .size:           4
        .value_kind:     hidden_block_count_y
      - .offset:         64
        .size:           4
        .value_kind:     hidden_block_count_z
      - .offset:         68
        .size:           2
        .value_kind:     hidden_group_size_x
      - .offset:         70
        .size:           2
        .value_kind:     hidden_group_size_y
      - .offset:         72
        .size:           2
        .value_kind:     hidden_group_size_z
      - .offset:         74
        .size:           2
        .value_kind:     hidden_remainder_x
      - .offset:         76
        .size:           2
        .value_kind:     hidden_remainder_y
      - .offset:         78
        .size:           2
        .value_kind:     hidden_remainder_z
      - .offset:         96
        .size:           8
        .value_kind:     hidden_global_offset_x
      - .offset:         104
        .size:           8
        .value_kind:     hidden_global_offset_y
      - .offset:         112
        .size:           8
        .value_kind:     hidden_global_offset_z
      - .offset:         120
        .size:           2
        .value_kind:     hidden_grid_dims
    .group_segment_fixed_size: 0
    .kernarg_segment_align: 8
    .kernarg_segment_size: 312
    .language:       OpenCL C
    .language_version:
      - 2
      - 0
    .max_flat_workgroup_size: 256
    .name:           _ZN7rocprim17ROCPRIM_400000_NS6detail30init_device_scan_by_key_kernelINS1_19lookback_scan_stateINS0_5tupleIJibEEELb0ELb1EEEN6thrust23THRUST_200600_302600_NS10device_ptrIiEEjNS1_16block_id_wrapperIjLb0EEEEEvT_jjPNSD_10value_typeET0_PNSt15iterator_traitsISG_E10value_typeEmT1_T2_
    .private_segment_fixed_size: 0
    .sgpr_count:     19
    .sgpr_spill_count: 0
    .symbol:         _ZN7rocprim17ROCPRIM_400000_NS6detail30init_device_scan_by_key_kernelINS1_19lookback_scan_stateINS0_5tupleIJibEEELb0ELb1EEEN6thrust23THRUST_200600_302600_NS10device_ptrIiEEjNS1_16block_id_wrapperIjLb0EEEEEvT_jjPNSD_10value_typeET0_PNSt15iterator_traitsISG_E10value_typeEmT1_T2_.kd
    .uniform_work_group_size: 1
    .uses_dynamic_stack: false
    .vgpr_count:     9
    .vgpr_spill_count: 0
    .wavefront_size: 32
    .workgroup_processor_mode: 1
  - .args:
      - .offset:         0
        .size:           112
        .value_kind:     by_value
    .group_segment_fixed_size: 0
    .kernarg_segment_align: 8
    .kernarg_segment_size: 112
    .language:       OpenCL C
    .language_version:
      - 2
      - 0
    .max_flat_workgroup_size: 256
    .name:           _ZN7rocprim17ROCPRIM_400000_NS6detail17trampoline_kernelINS0_14default_configENS1_27scan_by_key_config_selectorIiiEEZZNS1_16scan_by_key_implILNS1_25lookback_scan_determinismE0ELb0ES3_N6thrust23THRUST_200600_302600_NS10device_ptrIiEESB_SB_iNS9_4plusIvEENS9_8equal_toIvEEiEE10hipError_tPvRmT2_T3_T4_T5_mT6_T7_P12ihipStream_tbENKUlT_T0_E_clISt17integral_constantIbLb0EESW_EEDaSR_SS_EUlSR_E_NS1_11comp_targetILNS1_3genE0ELNS1_11target_archE4294967295ELNS1_3gpuE0ELNS1_3repE0EEENS1_30default_config_static_selectorELNS0_4arch9wavefront6targetE0EEEvT1_
    .private_segment_fixed_size: 0
    .sgpr_count:     0
    .sgpr_spill_count: 0
    .symbol:         _ZN7rocprim17ROCPRIM_400000_NS6detail17trampoline_kernelINS0_14default_configENS1_27scan_by_key_config_selectorIiiEEZZNS1_16scan_by_key_implILNS1_25lookback_scan_determinismE0ELb0ES3_N6thrust23THRUST_200600_302600_NS10device_ptrIiEESB_SB_iNS9_4plusIvEENS9_8equal_toIvEEiEE10hipError_tPvRmT2_T3_T4_T5_mT6_T7_P12ihipStream_tbENKUlT_T0_E_clISt17integral_constantIbLb0EESW_EEDaSR_SS_EUlSR_E_NS1_11comp_targetILNS1_3genE0ELNS1_11target_archE4294967295ELNS1_3gpuE0ELNS1_3repE0EEENS1_30default_config_static_selectorELNS0_4arch9wavefront6targetE0EEEvT1_.kd
    .uniform_work_group_size: 1
    .uses_dynamic_stack: false
    .vgpr_count:     0
    .vgpr_spill_count: 0
    .wavefront_size: 32
    .workgroup_processor_mode: 1
  - .args:
      - .offset:         0
        .size:           112
        .value_kind:     by_value
    .group_segment_fixed_size: 0
    .kernarg_segment_align: 8
    .kernarg_segment_size: 112
    .language:       OpenCL C
    .language_version:
      - 2
      - 0
    .max_flat_workgroup_size: 256
    .name:           _ZN7rocprim17ROCPRIM_400000_NS6detail17trampoline_kernelINS0_14default_configENS1_27scan_by_key_config_selectorIiiEEZZNS1_16scan_by_key_implILNS1_25lookback_scan_determinismE0ELb0ES3_N6thrust23THRUST_200600_302600_NS10device_ptrIiEESB_SB_iNS9_4plusIvEENS9_8equal_toIvEEiEE10hipError_tPvRmT2_T3_T4_T5_mT6_T7_P12ihipStream_tbENKUlT_T0_E_clISt17integral_constantIbLb0EESW_EEDaSR_SS_EUlSR_E_NS1_11comp_targetILNS1_3genE10ELNS1_11target_archE1201ELNS1_3gpuE5ELNS1_3repE0EEENS1_30default_config_static_selectorELNS0_4arch9wavefront6targetE0EEEvT1_
    .private_segment_fixed_size: 0
    .sgpr_count:     0
    .sgpr_spill_count: 0
    .symbol:         _ZN7rocprim17ROCPRIM_400000_NS6detail17trampoline_kernelINS0_14default_configENS1_27scan_by_key_config_selectorIiiEEZZNS1_16scan_by_key_implILNS1_25lookback_scan_determinismE0ELb0ES3_N6thrust23THRUST_200600_302600_NS10device_ptrIiEESB_SB_iNS9_4plusIvEENS9_8equal_toIvEEiEE10hipError_tPvRmT2_T3_T4_T5_mT6_T7_P12ihipStream_tbENKUlT_T0_E_clISt17integral_constantIbLb0EESW_EEDaSR_SS_EUlSR_E_NS1_11comp_targetILNS1_3genE10ELNS1_11target_archE1201ELNS1_3gpuE5ELNS1_3repE0EEENS1_30default_config_static_selectorELNS0_4arch9wavefront6targetE0EEEvT1_.kd
    .uniform_work_group_size: 1
    .uses_dynamic_stack: false
    .vgpr_count:     0
    .vgpr_spill_count: 0
    .wavefront_size: 32
    .workgroup_processor_mode: 1
  - .args:
      - .offset:         0
        .size:           112
        .value_kind:     by_value
    .group_segment_fixed_size: 0
    .kernarg_segment_align: 8
    .kernarg_segment_size: 112
    .language:       OpenCL C
    .language_version:
      - 2
      - 0
    .max_flat_workgroup_size: 256
    .name:           _ZN7rocprim17ROCPRIM_400000_NS6detail17trampoline_kernelINS0_14default_configENS1_27scan_by_key_config_selectorIiiEEZZNS1_16scan_by_key_implILNS1_25lookback_scan_determinismE0ELb0ES3_N6thrust23THRUST_200600_302600_NS10device_ptrIiEESB_SB_iNS9_4plusIvEENS9_8equal_toIvEEiEE10hipError_tPvRmT2_T3_T4_T5_mT6_T7_P12ihipStream_tbENKUlT_T0_E_clISt17integral_constantIbLb0EESW_EEDaSR_SS_EUlSR_E_NS1_11comp_targetILNS1_3genE5ELNS1_11target_archE942ELNS1_3gpuE9ELNS1_3repE0EEENS1_30default_config_static_selectorELNS0_4arch9wavefront6targetE0EEEvT1_
    .private_segment_fixed_size: 0
    .sgpr_count:     0
    .sgpr_spill_count: 0
    .symbol:         _ZN7rocprim17ROCPRIM_400000_NS6detail17trampoline_kernelINS0_14default_configENS1_27scan_by_key_config_selectorIiiEEZZNS1_16scan_by_key_implILNS1_25lookback_scan_determinismE0ELb0ES3_N6thrust23THRUST_200600_302600_NS10device_ptrIiEESB_SB_iNS9_4plusIvEENS9_8equal_toIvEEiEE10hipError_tPvRmT2_T3_T4_T5_mT6_T7_P12ihipStream_tbENKUlT_T0_E_clISt17integral_constantIbLb0EESW_EEDaSR_SS_EUlSR_E_NS1_11comp_targetILNS1_3genE5ELNS1_11target_archE942ELNS1_3gpuE9ELNS1_3repE0EEENS1_30default_config_static_selectorELNS0_4arch9wavefront6targetE0EEEvT1_.kd
    .uniform_work_group_size: 1
    .uses_dynamic_stack: false
    .vgpr_count:     0
    .vgpr_spill_count: 0
    .wavefront_size: 32
    .workgroup_processor_mode: 1
  - .args:
      - .offset:         0
        .size:           112
        .value_kind:     by_value
    .group_segment_fixed_size: 0
    .kernarg_segment_align: 8
    .kernarg_segment_size: 112
    .language:       OpenCL C
    .language_version:
      - 2
      - 0
    .max_flat_workgroup_size: 256
    .name:           _ZN7rocprim17ROCPRIM_400000_NS6detail17trampoline_kernelINS0_14default_configENS1_27scan_by_key_config_selectorIiiEEZZNS1_16scan_by_key_implILNS1_25lookback_scan_determinismE0ELb0ES3_N6thrust23THRUST_200600_302600_NS10device_ptrIiEESB_SB_iNS9_4plusIvEENS9_8equal_toIvEEiEE10hipError_tPvRmT2_T3_T4_T5_mT6_T7_P12ihipStream_tbENKUlT_T0_E_clISt17integral_constantIbLb0EESW_EEDaSR_SS_EUlSR_E_NS1_11comp_targetILNS1_3genE4ELNS1_11target_archE910ELNS1_3gpuE8ELNS1_3repE0EEENS1_30default_config_static_selectorELNS0_4arch9wavefront6targetE0EEEvT1_
    .private_segment_fixed_size: 0
    .sgpr_count:     0
    .sgpr_spill_count: 0
    .symbol:         _ZN7rocprim17ROCPRIM_400000_NS6detail17trampoline_kernelINS0_14default_configENS1_27scan_by_key_config_selectorIiiEEZZNS1_16scan_by_key_implILNS1_25lookback_scan_determinismE0ELb0ES3_N6thrust23THRUST_200600_302600_NS10device_ptrIiEESB_SB_iNS9_4plusIvEENS9_8equal_toIvEEiEE10hipError_tPvRmT2_T3_T4_T5_mT6_T7_P12ihipStream_tbENKUlT_T0_E_clISt17integral_constantIbLb0EESW_EEDaSR_SS_EUlSR_E_NS1_11comp_targetILNS1_3genE4ELNS1_11target_archE910ELNS1_3gpuE8ELNS1_3repE0EEENS1_30default_config_static_selectorELNS0_4arch9wavefront6targetE0EEEvT1_.kd
    .uniform_work_group_size: 1
    .uses_dynamic_stack: false
    .vgpr_count:     0
    .vgpr_spill_count: 0
    .wavefront_size: 32
    .workgroup_processor_mode: 1
  - .args:
      - .offset:         0
        .size:           112
        .value_kind:     by_value
    .group_segment_fixed_size: 0
    .kernarg_segment_align: 8
    .kernarg_segment_size: 112
    .language:       OpenCL C
    .language_version:
      - 2
      - 0
    .max_flat_workgroup_size: 256
    .name:           _ZN7rocprim17ROCPRIM_400000_NS6detail17trampoline_kernelINS0_14default_configENS1_27scan_by_key_config_selectorIiiEEZZNS1_16scan_by_key_implILNS1_25lookback_scan_determinismE0ELb0ES3_N6thrust23THRUST_200600_302600_NS10device_ptrIiEESB_SB_iNS9_4plusIvEENS9_8equal_toIvEEiEE10hipError_tPvRmT2_T3_T4_T5_mT6_T7_P12ihipStream_tbENKUlT_T0_E_clISt17integral_constantIbLb0EESW_EEDaSR_SS_EUlSR_E_NS1_11comp_targetILNS1_3genE3ELNS1_11target_archE908ELNS1_3gpuE7ELNS1_3repE0EEENS1_30default_config_static_selectorELNS0_4arch9wavefront6targetE0EEEvT1_
    .private_segment_fixed_size: 0
    .sgpr_count:     0
    .sgpr_spill_count: 0
    .symbol:         _ZN7rocprim17ROCPRIM_400000_NS6detail17trampoline_kernelINS0_14default_configENS1_27scan_by_key_config_selectorIiiEEZZNS1_16scan_by_key_implILNS1_25lookback_scan_determinismE0ELb0ES3_N6thrust23THRUST_200600_302600_NS10device_ptrIiEESB_SB_iNS9_4plusIvEENS9_8equal_toIvEEiEE10hipError_tPvRmT2_T3_T4_T5_mT6_T7_P12ihipStream_tbENKUlT_T0_E_clISt17integral_constantIbLb0EESW_EEDaSR_SS_EUlSR_E_NS1_11comp_targetILNS1_3genE3ELNS1_11target_archE908ELNS1_3gpuE7ELNS1_3repE0EEENS1_30default_config_static_selectorELNS0_4arch9wavefront6targetE0EEEvT1_.kd
    .uniform_work_group_size: 1
    .uses_dynamic_stack: false
    .vgpr_count:     0
    .vgpr_spill_count: 0
    .wavefront_size: 32
    .workgroup_processor_mode: 1
  - .args:
      - .offset:         0
        .size:           112
        .value_kind:     by_value
    .group_segment_fixed_size: 0
    .kernarg_segment_align: 8
    .kernarg_segment_size: 112
    .language:       OpenCL C
    .language_version:
      - 2
      - 0
    .max_flat_workgroup_size: 256
    .name:           _ZN7rocprim17ROCPRIM_400000_NS6detail17trampoline_kernelINS0_14default_configENS1_27scan_by_key_config_selectorIiiEEZZNS1_16scan_by_key_implILNS1_25lookback_scan_determinismE0ELb0ES3_N6thrust23THRUST_200600_302600_NS10device_ptrIiEESB_SB_iNS9_4plusIvEENS9_8equal_toIvEEiEE10hipError_tPvRmT2_T3_T4_T5_mT6_T7_P12ihipStream_tbENKUlT_T0_E_clISt17integral_constantIbLb0EESW_EEDaSR_SS_EUlSR_E_NS1_11comp_targetILNS1_3genE2ELNS1_11target_archE906ELNS1_3gpuE6ELNS1_3repE0EEENS1_30default_config_static_selectorELNS0_4arch9wavefront6targetE0EEEvT1_
    .private_segment_fixed_size: 0
    .sgpr_count:     0
    .sgpr_spill_count: 0
    .symbol:         _ZN7rocprim17ROCPRIM_400000_NS6detail17trampoline_kernelINS0_14default_configENS1_27scan_by_key_config_selectorIiiEEZZNS1_16scan_by_key_implILNS1_25lookback_scan_determinismE0ELb0ES3_N6thrust23THRUST_200600_302600_NS10device_ptrIiEESB_SB_iNS9_4plusIvEENS9_8equal_toIvEEiEE10hipError_tPvRmT2_T3_T4_T5_mT6_T7_P12ihipStream_tbENKUlT_T0_E_clISt17integral_constantIbLb0EESW_EEDaSR_SS_EUlSR_E_NS1_11comp_targetILNS1_3genE2ELNS1_11target_archE906ELNS1_3gpuE6ELNS1_3repE0EEENS1_30default_config_static_selectorELNS0_4arch9wavefront6targetE0EEEvT1_.kd
    .uniform_work_group_size: 1
    .uses_dynamic_stack: false
    .vgpr_count:     0
    .vgpr_spill_count: 0
    .wavefront_size: 32
    .workgroup_processor_mode: 1
  - .args:
      - .offset:         0
        .size:           112
        .value_kind:     by_value
    .group_segment_fixed_size: 0
    .kernarg_segment_align: 8
    .kernarg_segment_size: 112
    .language:       OpenCL C
    .language_version:
      - 2
      - 0
    .max_flat_workgroup_size: 256
    .name:           _ZN7rocprim17ROCPRIM_400000_NS6detail17trampoline_kernelINS0_14default_configENS1_27scan_by_key_config_selectorIiiEEZZNS1_16scan_by_key_implILNS1_25lookback_scan_determinismE0ELb0ES3_N6thrust23THRUST_200600_302600_NS10device_ptrIiEESB_SB_iNS9_4plusIvEENS9_8equal_toIvEEiEE10hipError_tPvRmT2_T3_T4_T5_mT6_T7_P12ihipStream_tbENKUlT_T0_E_clISt17integral_constantIbLb0EESW_EEDaSR_SS_EUlSR_E_NS1_11comp_targetILNS1_3genE10ELNS1_11target_archE1200ELNS1_3gpuE4ELNS1_3repE0EEENS1_30default_config_static_selectorELNS0_4arch9wavefront6targetE0EEEvT1_
    .private_segment_fixed_size: 0
    .sgpr_count:     0
    .sgpr_spill_count: 0
    .symbol:         _ZN7rocprim17ROCPRIM_400000_NS6detail17trampoline_kernelINS0_14default_configENS1_27scan_by_key_config_selectorIiiEEZZNS1_16scan_by_key_implILNS1_25lookback_scan_determinismE0ELb0ES3_N6thrust23THRUST_200600_302600_NS10device_ptrIiEESB_SB_iNS9_4plusIvEENS9_8equal_toIvEEiEE10hipError_tPvRmT2_T3_T4_T5_mT6_T7_P12ihipStream_tbENKUlT_T0_E_clISt17integral_constantIbLb0EESW_EEDaSR_SS_EUlSR_E_NS1_11comp_targetILNS1_3genE10ELNS1_11target_archE1200ELNS1_3gpuE4ELNS1_3repE0EEENS1_30default_config_static_selectorELNS0_4arch9wavefront6targetE0EEEvT1_.kd
    .uniform_work_group_size: 1
    .uses_dynamic_stack: false
    .vgpr_count:     0
    .vgpr_spill_count: 0
    .wavefront_size: 32
    .workgroup_processor_mode: 1
  - .args:
      - .offset:         0
        .size:           112
        .value_kind:     by_value
    .group_segment_fixed_size: 0
    .kernarg_segment_align: 8
    .kernarg_segment_size: 112
    .language:       OpenCL C
    .language_version:
      - 2
      - 0
    .max_flat_workgroup_size: 256
    .name:           _ZN7rocprim17ROCPRIM_400000_NS6detail17trampoline_kernelINS0_14default_configENS1_27scan_by_key_config_selectorIiiEEZZNS1_16scan_by_key_implILNS1_25lookback_scan_determinismE0ELb0ES3_N6thrust23THRUST_200600_302600_NS10device_ptrIiEESB_SB_iNS9_4plusIvEENS9_8equal_toIvEEiEE10hipError_tPvRmT2_T3_T4_T5_mT6_T7_P12ihipStream_tbENKUlT_T0_E_clISt17integral_constantIbLb0EESW_EEDaSR_SS_EUlSR_E_NS1_11comp_targetILNS1_3genE9ELNS1_11target_archE1100ELNS1_3gpuE3ELNS1_3repE0EEENS1_30default_config_static_selectorELNS0_4arch9wavefront6targetE0EEEvT1_
    .private_segment_fixed_size: 0
    .sgpr_count:     0
    .sgpr_spill_count: 0
    .symbol:         _ZN7rocprim17ROCPRIM_400000_NS6detail17trampoline_kernelINS0_14default_configENS1_27scan_by_key_config_selectorIiiEEZZNS1_16scan_by_key_implILNS1_25lookback_scan_determinismE0ELb0ES3_N6thrust23THRUST_200600_302600_NS10device_ptrIiEESB_SB_iNS9_4plusIvEENS9_8equal_toIvEEiEE10hipError_tPvRmT2_T3_T4_T5_mT6_T7_P12ihipStream_tbENKUlT_T0_E_clISt17integral_constantIbLb0EESW_EEDaSR_SS_EUlSR_E_NS1_11comp_targetILNS1_3genE9ELNS1_11target_archE1100ELNS1_3gpuE3ELNS1_3repE0EEENS1_30default_config_static_selectorELNS0_4arch9wavefront6targetE0EEEvT1_.kd
    .uniform_work_group_size: 1
    .uses_dynamic_stack: false
    .vgpr_count:     0
    .vgpr_spill_count: 0
    .wavefront_size: 32
    .workgroup_processor_mode: 1
  - .args:
      - .offset:         0
        .size:           112
        .value_kind:     by_value
    .group_segment_fixed_size: 5120
    .kernarg_segment_align: 8
    .kernarg_segment_size: 112
    .language:       OpenCL C
    .language_version:
      - 2
      - 0
    .max_flat_workgroup_size: 256
    .name:           _ZN7rocprim17ROCPRIM_400000_NS6detail17trampoline_kernelINS0_14default_configENS1_27scan_by_key_config_selectorIiiEEZZNS1_16scan_by_key_implILNS1_25lookback_scan_determinismE0ELb0ES3_N6thrust23THRUST_200600_302600_NS10device_ptrIiEESB_SB_iNS9_4plusIvEENS9_8equal_toIvEEiEE10hipError_tPvRmT2_T3_T4_T5_mT6_T7_P12ihipStream_tbENKUlT_T0_E_clISt17integral_constantIbLb0EESW_EEDaSR_SS_EUlSR_E_NS1_11comp_targetILNS1_3genE8ELNS1_11target_archE1030ELNS1_3gpuE2ELNS1_3repE0EEENS1_30default_config_static_selectorELNS0_4arch9wavefront6targetE0EEEvT1_
    .private_segment_fixed_size: 0
    .sgpr_count:     33
    .sgpr_spill_count: 0
    .symbol:         _ZN7rocprim17ROCPRIM_400000_NS6detail17trampoline_kernelINS0_14default_configENS1_27scan_by_key_config_selectorIiiEEZZNS1_16scan_by_key_implILNS1_25lookback_scan_determinismE0ELb0ES3_N6thrust23THRUST_200600_302600_NS10device_ptrIiEESB_SB_iNS9_4plusIvEENS9_8equal_toIvEEiEE10hipError_tPvRmT2_T3_T4_T5_mT6_T7_P12ihipStream_tbENKUlT_T0_E_clISt17integral_constantIbLb0EESW_EEDaSR_SS_EUlSR_E_NS1_11comp_targetILNS1_3genE8ELNS1_11target_archE1030ELNS1_3gpuE2ELNS1_3repE0EEENS1_30default_config_static_selectorELNS0_4arch9wavefront6targetE0EEEvT1_.kd
    .uniform_work_group_size: 1
    .uses_dynamic_stack: false
    .vgpr_count:     42
    .vgpr_spill_count: 0
    .wavefront_size: 32
    .workgroup_processor_mode: 1
  - .args:
      - .address_space:  global
        .offset:         0
        .size:           8
        .value_kind:     global_buffer
      - .offset:         8
        .size:           4
        .value_kind:     by_value
      - .offset:         12
        .size:           4
        .value_kind:     by_value
      - .address_space:  global
        .offset:         16
        .size:           8
        .value_kind:     global_buffer
      - .address_space:  global
        .offset:         24
        .size:           8
        .value_kind:     global_buffer
      - .actual_access:  write_only
        .address_space:  global
        .offset:         32
        .size:           8
        .value_kind:     global_buffer
      - .offset:         40
        .size:           8
        .value_kind:     by_value
      - .offset:         48
        .size:           4
        .value_kind:     by_value
      - .address_space:  global
        .offset:         56
        .size:           8
        .value_kind:     global_buffer
      - .offset:         64
        .size:           4
        .value_kind:     hidden_block_count_x
      - .offset:         68
        .size:           4
        .value_kind:     hidden_block_count_y
      - .offset:         72
        .size:           4
        .value_kind:     hidden_block_count_z
      - .offset:         76
        .size:           2
        .value_kind:     hidden_group_size_x
      - .offset:         78
        .size:           2
        .value_kind:     hidden_group_size_y
      - .offset:         80
        .size:           2
        .value_kind:     hidden_group_size_z
      - .offset:         82
        .size:           2
        .value_kind:     hidden_remainder_x
      - .offset:         84
        .size:           2
        .value_kind:     hidden_remainder_y
      - .offset:         86
        .size:           2
        .value_kind:     hidden_remainder_z
      - .offset:         104
        .size:           8
        .value_kind:     hidden_global_offset_x
      - .offset:         112
        .size:           8
        .value_kind:     hidden_global_offset_y
      - .offset:         120
        .size:           8
        .value_kind:     hidden_global_offset_z
      - .offset:         128
        .size:           2
        .value_kind:     hidden_grid_dims
    .group_segment_fixed_size: 0
    .kernarg_segment_align: 8
    .kernarg_segment_size: 320
    .language:       OpenCL C
    .language_version:
      - 2
      - 0
    .max_flat_workgroup_size: 256
    .name:           _ZN7rocprim17ROCPRIM_400000_NS6detail30init_device_scan_by_key_kernelINS1_19lookback_scan_stateINS0_5tupleIJibEEELb1ELb1EEEN6thrust23THRUST_200600_302600_NS10device_ptrIiEEjNS1_16block_id_wrapperIjLb1EEEEEvT_jjPNSD_10value_typeET0_PNSt15iterator_traitsISG_E10value_typeEmT1_T2_
    .private_segment_fixed_size: 0
    .sgpr_count:     19
    .sgpr_spill_count: 0
    .symbol:         _ZN7rocprim17ROCPRIM_400000_NS6detail30init_device_scan_by_key_kernelINS1_19lookback_scan_stateINS0_5tupleIJibEEELb1ELb1EEEN6thrust23THRUST_200600_302600_NS10device_ptrIiEEjNS1_16block_id_wrapperIjLb1EEEEEvT_jjPNSD_10value_typeET0_PNSt15iterator_traitsISG_E10value_typeEmT1_T2_.kd
    .uniform_work_group_size: 1
    .uses_dynamic_stack: false
    .vgpr_count:     9
    .vgpr_spill_count: 0
    .wavefront_size: 32
    .workgroup_processor_mode: 1
  - .args:
      - .offset:         0
        .size:           112
        .value_kind:     by_value
    .group_segment_fixed_size: 0
    .kernarg_segment_align: 8
    .kernarg_segment_size: 112
    .language:       OpenCL C
    .language_version:
      - 2
      - 0
    .max_flat_workgroup_size: 256
    .name:           _ZN7rocprim17ROCPRIM_400000_NS6detail17trampoline_kernelINS0_14default_configENS1_27scan_by_key_config_selectorIiiEEZZNS1_16scan_by_key_implILNS1_25lookback_scan_determinismE0ELb0ES3_N6thrust23THRUST_200600_302600_NS10device_ptrIiEESB_SB_iNS9_4plusIvEENS9_8equal_toIvEEiEE10hipError_tPvRmT2_T3_T4_T5_mT6_T7_P12ihipStream_tbENKUlT_T0_E_clISt17integral_constantIbLb1EESW_EEDaSR_SS_EUlSR_E_NS1_11comp_targetILNS1_3genE0ELNS1_11target_archE4294967295ELNS1_3gpuE0ELNS1_3repE0EEENS1_30default_config_static_selectorELNS0_4arch9wavefront6targetE0EEEvT1_
    .private_segment_fixed_size: 0
    .sgpr_count:     0
    .sgpr_spill_count: 0
    .symbol:         _ZN7rocprim17ROCPRIM_400000_NS6detail17trampoline_kernelINS0_14default_configENS1_27scan_by_key_config_selectorIiiEEZZNS1_16scan_by_key_implILNS1_25lookback_scan_determinismE0ELb0ES3_N6thrust23THRUST_200600_302600_NS10device_ptrIiEESB_SB_iNS9_4plusIvEENS9_8equal_toIvEEiEE10hipError_tPvRmT2_T3_T4_T5_mT6_T7_P12ihipStream_tbENKUlT_T0_E_clISt17integral_constantIbLb1EESW_EEDaSR_SS_EUlSR_E_NS1_11comp_targetILNS1_3genE0ELNS1_11target_archE4294967295ELNS1_3gpuE0ELNS1_3repE0EEENS1_30default_config_static_selectorELNS0_4arch9wavefront6targetE0EEEvT1_.kd
    .uniform_work_group_size: 1
    .uses_dynamic_stack: false
    .vgpr_count:     0
    .vgpr_spill_count: 0
    .wavefront_size: 32
    .workgroup_processor_mode: 1
  - .args:
      - .offset:         0
        .size:           112
        .value_kind:     by_value
    .group_segment_fixed_size: 0
    .kernarg_segment_align: 8
    .kernarg_segment_size: 112
    .language:       OpenCL C
    .language_version:
      - 2
      - 0
    .max_flat_workgroup_size: 256
    .name:           _ZN7rocprim17ROCPRIM_400000_NS6detail17trampoline_kernelINS0_14default_configENS1_27scan_by_key_config_selectorIiiEEZZNS1_16scan_by_key_implILNS1_25lookback_scan_determinismE0ELb0ES3_N6thrust23THRUST_200600_302600_NS10device_ptrIiEESB_SB_iNS9_4plusIvEENS9_8equal_toIvEEiEE10hipError_tPvRmT2_T3_T4_T5_mT6_T7_P12ihipStream_tbENKUlT_T0_E_clISt17integral_constantIbLb1EESW_EEDaSR_SS_EUlSR_E_NS1_11comp_targetILNS1_3genE10ELNS1_11target_archE1201ELNS1_3gpuE5ELNS1_3repE0EEENS1_30default_config_static_selectorELNS0_4arch9wavefront6targetE0EEEvT1_
    .private_segment_fixed_size: 0
    .sgpr_count:     0
    .sgpr_spill_count: 0
    .symbol:         _ZN7rocprim17ROCPRIM_400000_NS6detail17trampoline_kernelINS0_14default_configENS1_27scan_by_key_config_selectorIiiEEZZNS1_16scan_by_key_implILNS1_25lookback_scan_determinismE0ELb0ES3_N6thrust23THRUST_200600_302600_NS10device_ptrIiEESB_SB_iNS9_4plusIvEENS9_8equal_toIvEEiEE10hipError_tPvRmT2_T3_T4_T5_mT6_T7_P12ihipStream_tbENKUlT_T0_E_clISt17integral_constantIbLb1EESW_EEDaSR_SS_EUlSR_E_NS1_11comp_targetILNS1_3genE10ELNS1_11target_archE1201ELNS1_3gpuE5ELNS1_3repE0EEENS1_30default_config_static_selectorELNS0_4arch9wavefront6targetE0EEEvT1_.kd
    .uniform_work_group_size: 1
    .uses_dynamic_stack: false
    .vgpr_count:     0
    .vgpr_spill_count: 0
    .wavefront_size: 32
    .workgroup_processor_mode: 1
  - .args:
      - .offset:         0
        .size:           112
        .value_kind:     by_value
    .group_segment_fixed_size: 0
    .kernarg_segment_align: 8
    .kernarg_segment_size: 112
    .language:       OpenCL C
    .language_version:
      - 2
      - 0
    .max_flat_workgroup_size: 256
    .name:           _ZN7rocprim17ROCPRIM_400000_NS6detail17trampoline_kernelINS0_14default_configENS1_27scan_by_key_config_selectorIiiEEZZNS1_16scan_by_key_implILNS1_25lookback_scan_determinismE0ELb0ES3_N6thrust23THRUST_200600_302600_NS10device_ptrIiEESB_SB_iNS9_4plusIvEENS9_8equal_toIvEEiEE10hipError_tPvRmT2_T3_T4_T5_mT6_T7_P12ihipStream_tbENKUlT_T0_E_clISt17integral_constantIbLb1EESW_EEDaSR_SS_EUlSR_E_NS1_11comp_targetILNS1_3genE5ELNS1_11target_archE942ELNS1_3gpuE9ELNS1_3repE0EEENS1_30default_config_static_selectorELNS0_4arch9wavefront6targetE0EEEvT1_
    .private_segment_fixed_size: 0
    .sgpr_count:     0
    .sgpr_spill_count: 0
    .symbol:         _ZN7rocprim17ROCPRIM_400000_NS6detail17trampoline_kernelINS0_14default_configENS1_27scan_by_key_config_selectorIiiEEZZNS1_16scan_by_key_implILNS1_25lookback_scan_determinismE0ELb0ES3_N6thrust23THRUST_200600_302600_NS10device_ptrIiEESB_SB_iNS9_4plusIvEENS9_8equal_toIvEEiEE10hipError_tPvRmT2_T3_T4_T5_mT6_T7_P12ihipStream_tbENKUlT_T0_E_clISt17integral_constantIbLb1EESW_EEDaSR_SS_EUlSR_E_NS1_11comp_targetILNS1_3genE5ELNS1_11target_archE942ELNS1_3gpuE9ELNS1_3repE0EEENS1_30default_config_static_selectorELNS0_4arch9wavefront6targetE0EEEvT1_.kd
    .uniform_work_group_size: 1
    .uses_dynamic_stack: false
    .vgpr_count:     0
    .vgpr_spill_count: 0
    .wavefront_size: 32
    .workgroup_processor_mode: 1
  - .args:
      - .offset:         0
        .size:           112
        .value_kind:     by_value
    .group_segment_fixed_size: 0
    .kernarg_segment_align: 8
    .kernarg_segment_size: 112
    .language:       OpenCL C
    .language_version:
      - 2
      - 0
    .max_flat_workgroup_size: 256
    .name:           _ZN7rocprim17ROCPRIM_400000_NS6detail17trampoline_kernelINS0_14default_configENS1_27scan_by_key_config_selectorIiiEEZZNS1_16scan_by_key_implILNS1_25lookback_scan_determinismE0ELb0ES3_N6thrust23THRUST_200600_302600_NS10device_ptrIiEESB_SB_iNS9_4plusIvEENS9_8equal_toIvEEiEE10hipError_tPvRmT2_T3_T4_T5_mT6_T7_P12ihipStream_tbENKUlT_T0_E_clISt17integral_constantIbLb1EESW_EEDaSR_SS_EUlSR_E_NS1_11comp_targetILNS1_3genE4ELNS1_11target_archE910ELNS1_3gpuE8ELNS1_3repE0EEENS1_30default_config_static_selectorELNS0_4arch9wavefront6targetE0EEEvT1_
    .private_segment_fixed_size: 0
    .sgpr_count:     0
    .sgpr_spill_count: 0
    .symbol:         _ZN7rocprim17ROCPRIM_400000_NS6detail17trampoline_kernelINS0_14default_configENS1_27scan_by_key_config_selectorIiiEEZZNS1_16scan_by_key_implILNS1_25lookback_scan_determinismE0ELb0ES3_N6thrust23THRUST_200600_302600_NS10device_ptrIiEESB_SB_iNS9_4plusIvEENS9_8equal_toIvEEiEE10hipError_tPvRmT2_T3_T4_T5_mT6_T7_P12ihipStream_tbENKUlT_T0_E_clISt17integral_constantIbLb1EESW_EEDaSR_SS_EUlSR_E_NS1_11comp_targetILNS1_3genE4ELNS1_11target_archE910ELNS1_3gpuE8ELNS1_3repE0EEENS1_30default_config_static_selectorELNS0_4arch9wavefront6targetE0EEEvT1_.kd
    .uniform_work_group_size: 1
    .uses_dynamic_stack: false
    .vgpr_count:     0
    .vgpr_spill_count: 0
    .wavefront_size: 32
    .workgroup_processor_mode: 1
  - .args:
      - .offset:         0
        .size:           112
        .value_kind:     by_value
    .group_segment_fixed_size: 0
    .kernarg_segment_align: 8
    .kernarg_segment_size: 112
    .language:       OpenCL C
    .language_version:
      - 2
      - 0
    .max_flat_workgroup_size: 256
    .name:           _ZN7rocprim17ROCPRIM_400000_NS6detail17trampoline_kernelINS0_14default_configENS1_27scan_by_key_config_selectorIiiEEZZNS1_16scan_by_key_implILNS1_25lookback_scan_determinismE0ELb0ES3_N6thrust23THRUST_200600_302600_NS10device_ptrIiEESB_SB_iNS9_4plusIvEENS9_8equal_toIvEEiEE10hipError_tPvRmT2_T3_T4_T5_mT6_T7_P12ihipStream_tbENKUlT_T0_E_clISt17integral_constantIbLb1EESW_EEDaSR_SS_EUlSR_E_NS1_11comp_targetILNS1_3genE3ELNS1_11target_archE908ELNS1_3gpuE7ELNS1_3repE0EEENS1_30default_config_static_selectorELNS0_4arch9wavefront6targetE0EEEvT1_
    .private_segment_fixed_size: 0
    .sgpr_count:     0
    .sgpr_spill_count: 0
    .symbol:         _ZN7rocprim17ROCPRIM_400000_NS6detail17trampoline_kernelINS0_14default_configENS1_27scan_by_key_config_selectorIiiEEZZNS1_16scan_by_key_implILNS1_25lookback_scan_determinismE0ELb0ES3_N6thrust23THRUST_200600_302600_NS10device_ptrIiEESB_SB_iNS9_4plusIvEENS9_8equal_toIvEEiEE10hipError_tPvRmT2_T3_T4_T5_mT6_T7_P12ihipStream_tbENKUlT_T0_E_clISt17integral_constantIbLb1EESW_EEDaSR_SS_EUlSR_E_NS1_11comp_targetILNS1_3genE3ELNS1_11target_archE908ELNS1_3gpuE7ELNS1_3repE0EEENS1_30default_config_static_selectorELNS0_4arch9wavefront6targetE0EEEvT1_.kd
    .uniform_work_group_size: 1
    .uses_dynamic_stack: false
    .vgpr_count:     0
    .vgpr_spill_count: 0
    .wavefront_size: 32
    .workgroup_processor_mode: 1
  - .args:
      - .offset:         0
        .size:           112
        .value_kind:     by_value
    .group_segment_fixed_size: 0
    .kernarg_segment_align: 8
    .kernarg_segment_size: 112
    .language:       OpenCL C
    .language_version:
      - 2
      - 0
    .max_flat_workgroup_size: 256
    .name:           _ZN7rocprim17ROCPRIM_400000_NS6detail17trampoline_kernelINS0_14default_configENS1_27scan_by_key_config_selectorIiiEEZZNS1_16scan_by_key_implILNS1_25lookback_scan_determinismE0ELb0ES3_N6thrust23THRUST_200600_302600_NS10device_ptrIiEESB_SB_iNS9_4plusIvEENS9_8equal_toIvEEiEE10hipError_tPvRmT2_T3_T4_T5_mT6_T7_P12ihipStream_tbENKUlT_T0_E_clISt17integral_constantIbLb1EESW_EEDaSR_SS_EUlSR_E_NS1_11comp_targetILNS1_3genE2ELNS1_11target_archE906ELNS1_3gpuE6ELNS1_3repE0EEENS1_30default_config_static_selectorELNS0_4arch9wavefront6targetE0EEEvT1_
    .private_segment_fixed_size: 0
    .sgpr_count:     0
    .sgpr_spill_count: 0
    .symbol:         _ZN7rocprim17ROCPRIM_400000_NS6detail17trampoline_kernelINS0_14default_configENS1_27scan_by_key_config_selectorIiiEEZZNS1_16scan_by_key_implILNS1_25lookback_scan_determinismE0ELb0ES3_N6thrust23THRUST_200600_302600_NS10device_ptrIiEESB_SB_iNS9_4plusIvEENS9_8equal_toIvEEiEE10hipError_tPvRmT2_T3_T4_T5_mT6_T7_P12ihipStream_tbENKUlT_T0_E_clISt17integral_constantIbLb1EESW_EEDaSR_SS_EUlSR_E_NS1_11comp_targetILNS1_3genE2ELNS1_11target_archE906ELNS1_3gpuE6ELNS1_3repE0EEENS1_30default_config_static_selectorELNS0_4arch9wavefront6targetE0EEEvT1_.kd
    .uniform_work_group_size: 1
    .uses_dynamic_stack: false
    .vgpr_count:     0
    .vgpr_spill_count: 0
    .wavefront_size: 32
    .workgroup_processor_mode: 1
  - .args:
      - .offset:         0
        .size:           112
        .value_kind:     by_value
    .group_segment_fixed_size: 0
    .kernarg_segment_align: 8
    .kernarg_segment_size: 112
    .language:       OpenCL C
    .language_version:
      - 2
      - 0
    .max_flat_workgroup_size: 256
    .name:           _ZN7rocprim17ROCPRIM_400000_NS6detail17trampoline_kernelINS0_14default_configENS1_27scan_by_key_config_selectorIiiEEZZNS1_16scan_by_key_implILNS1_25lookback_scan_determinismE0ELb0ES3_N6thrust23THRUST_200600_302600_NS10device_ptrIiEESB_SB_iNS9_4plusIvEENS9_8equal_toIvEEiEE10hipError_tPvRmT2_T3_T4_T5_mT6_T7_P12ihipStream_tbENKUlT_T0_E_clISt17integral_constantIbLb1EESW_EEDaSR_SS_EUlSR_E_NS1_11comp_targetILNS1_3genE10ELNS1_11target_archE1200ELNS1_3gpuE4ELNS1_3repE0EEENS1_30default_config_static_selectorELNS0_4arch9wavefront6targetE0EEEvT1_
    .private_segment_fixed_size: 0
    .sgpr_count:     0
    .sgpr_spill_count: 0
    .symbol:         _ZN7rocprim17ROCPRIM_400000_NS6detail17trampoline_kernelINS0_14default_configENS1_27scan_by_key_config_selectorIiiEEZZNS1_16scan_by_key_implILNS1_25lookback_scan_determinismE0ELb0ES3_N6thrust23THRUST_200600_302600_NS10device_ptrIiEESB_SB_iNS9_4plusIvEENS9_8equal_toIvEEiEE10hipError_tPvRmT2_T3_T4_T5_mT6_T7_P12ihipStream_tbENKUlT_T0_E_clISt17integral_constantIbLb1EESW_EEDaSR_SS_EUlSR_E_NS1_11comp_targetILNS1_3genE10ELNS1_11target_archE1200ELNS1_3gpuE4ELNS1_3repE0EEENS1_30default_config_static_selectorELNS0_4arch9wavefront6targetE0EEEvT1_.kd
    .uniform_work_group_size: 1
    .uses_dynamic_stack: false
    .vgpr_count:     0
    .vgpr_spill_count: 0
    .wavefront_size: 32
    .workgroup_processor_mode: 1
  - .args:
      - .offset:         0
        .size:           112
        .value_kind:     by_value
    .group_segment_fixed_size: 0
    .kernarg_segment_align: 8
    .kernarg_segment_size: 112
    .language:       OpenCL C
    .language_version:
      - 2
      - 0
    .max_flat_workgroup_size: 256
    .name:           _ZN7rocprim17ROCPRIM_400000_NS6detail17trampoline_kernelINS0_14default_configENS1_27scan_by_key_config_selectorIiiEEZZNS1_16scan_by_key_implILNS1_25lookback_scan_determinismE0ELb0ES3_N6thrust23THRUST_200600_302600_NS10device_ptrIiEESB_SB_iNS9_4plusIvEENS9_8equal_toIvEEiEE10hipError_tPvRmT2_T3_T4_T5_mT6_T7_P12ihipStream_tbENKUlT_T0_E_clISt17integral_constantIbLb1EESW_EEDaSR_SS_EUlSR_E_NS1_11comp_targetILNS1_3genE9ELNS1_11target_archE1100ELNS1_3gpuE3ELNS1_3repE0EEENS1_30default_config_static_selectorELNS0_4arch9wavefront6targetE0EEEvT1_
    .private_segment_fixed_size: 0
    .sgpr_count:     0
    .sgpr_spill_count: 0
    .symbol:         _ZN7rocprim17ROCPRIM_400000_NS6detail17trampoline_kernelINS0_14default_configENS1_27scan_by_key_config_selectorIiiEEZZNS1_16scan_by_key_implILNS1_25lookback_scan_determinismE0ELb0ES3_N6thrust23THRUST_200600_302600_NS10device_ptrIiEESB_SB_iNS9_4plusIvEENS9_8equal_toIvEEiEE10hipError_tPvRmT2_T3_T4_T5_mT6_T7_P12ihipStream_tbENKUlT_T0_E_clISt17integral_constantIbLb1EESW_EEDaSR_SS_EUlSR_E_NS1_11comp_targetILNS1_3genE9ELNS1_11target_archE1100ELNS1_3gpuE3ELNS1_3repE0EEENS1_30default_config_static_selectorELNS0_4arch9wavefront6targetE0EEEvT1_.kd
    .uniform_work_group_size: 1
    .uses_dynamic_stack: false
    .vgpr_count:     0
    .vgpr_spill_count: 0
    .wavefront_size: 32
    .workgroup_processor_mode: 1
  - .args:
      - .offset:         0
        .size:           112
        .value_kind:     by_value
    .group_segment_fixed_size: 0
    .kernarg_segment_align: 8
    .kernarg_segment_size: 112
    .language:       OpenCL C
    .language_version:
      - 2
      - 0
    .max_flat_workgroup_size: 256
    .name:           _ZN7rocprim17ROCPRIM_400000_NS6detail17trampoline_kernelINS0_14default_configENS1_27scan_by_key_config_selectorIiiEEZZNS1_16scan_by_key_implILNS1_25lookback_scan_determinismE0ELb0ES3_N6thrust23THRUST_200600_302600_NS10device_ptrIiEESB_SB_iNS9_4plusIvEENS9_8equal_toIvEEiEE10hipError_tPvRmT2_T3_T4_T5_mT6_T7_P12ihipStream_tbENKUlT_T0_E_clISt17integral_constantIbLb1EESW_EEDaSR_SS_EUlSR_E_NS1_11comp_targetILNS1_3genE8ELNS1_11target_archE1030ELNS1_3gpuE2ELNS1_3repE0EEENS1_30default_config_static_selectorELNS0_4arch9wavefront6targetE0EEEvT1_
    .private_segment_fixed_size: 0
    .sgpr_count:     0
    .sgpr_spill_count: 0
    .symbol:         _ZN7rocprim17ROCPRIM_400000_NS6detail17trampoline_kernelINS0_14default_configENS1_27scan_by_key_config_selectorIiiEEZZNS1_16scan_by_key_implILNS1_25lookback_scan_determinismE0ELb0ES3_N6thrust23THRUST_200600_302600_NS10device_ptrIiEESB_SB_iNS9_4plusIvEENS9_8equal_toIvEEiEE10hipError_tPvRmT2_T3_T4_T5_mT6_T7_P12ihipStream_tbENKUlT_T0_E_clISt17integral_constantIbLb1EESW_EEDaSR_SS_EUlSR_E_NS1_11comp_targetILNS1_3genE8ELNS1_11target_archE1030ELNS1_3gpuE2ELNS1_3repE0EEENS1_30default_config_static_selectorELNS0_4arch9wavefront6targetE0EEEvT1_.kd
    .uniform_work_group_size: 1
    .uses_dynamic_stack: false
    .vgpr_count:     0
    .vgpr_spill_count: 0
    .wavefront_size: 32
    .workgroup_processor_mode: 1
  - .args:
      - .address_space:  global
        .offset:         0
        .size:           8
        .value_kind:     global_buffer
      - .offset:         8
        .size:           4
        .value_kind:     by_value
      - .offset:         12
        .size:           4
        .value_kind:     by_value
      - .address_space:  global
        .offset:         16
        .size:           8
        .value_kind:     global_buffer
      - .address_space:  global
        .offset:         24
        .size:           8
        .value_kind:     global_buffer
      - .actual_access:  write_only
        .address_space:  global
        .offset:         32
        .size:           8
        .value_kind:     global_buffer
      - .offset:         40
        .size:           8
        .value_kind:     by_value
      - .offset:         48
        .size:           4
        .value_kind:     by_value
      - .offset:         52
        .size:           1
        .value_kind:     by_value
      - .offset:         56
        .size:           4
        .value_kind:     hidden_block_count_x
      - .offset:         60
        .size:           4
        .value_kind:     hidden_block_count_y
      - .offset:         64
        .size:           4
        .value_kind:     hidden_block_count_z
      - .offset:         68
        .size:           2
        .value_kind:     hidden_group_size_x
      - .offset:         70
        .size:           2
        .value_kind:     hidden_group_size_y
      - .offset:         72
        .size:           2
        .value_kind:     hidden_group_size_z
      - .offset:         74
        .size:           2
        .value_kind:     hidden_remainder_x
      - .offset:         76
        .size:           2
        .value_kind:     hidden_remainder_y
      - .offset:         78
        .size:           2
        .value_kind:     hidden_remainder_z
      - .offset:         96
        .size:           8
        .value_kind:     hidden_global_offset_x
      - .offset:         104
        .size:           8
        .value_kind:     hidden_global_offset_y
      - .offset:         112
        .size:           8
        .value_kind:     hidden_global_offset_z
      - .offset:         120
        .size:           2
        .value_kind:     hidden_grid_dims
    .group_segment_fixed_size: 0
    .kernarg_segment_align: 8
    .kernarg_segment_size: 312
    .language:       OpenCL C
    .language_version:
      - 2
      - 0
    .max_flat_workgroup_size: 256
    .name:           _ZN7rocprim17ROCPRIM_400000_NS6detail30init_device_scan_by_key_kernelINS1_19lookback_scan_stateINS0_5tupleIJibEEELb1ELb1EEEN6thrust23THRUST_200600_302600_NS10device_ptrIiEEjNS1_16block_id_wrapperIjLb0EEEEEvT_jjPNSD_10value_typeET0_PNSt15iterator_traitsISG_E10value_typeEmT1_T2_
    .private_segment_fixed_size: 0
    .sgpr_count:     19
    .sgpr_spill_count: 0
    .symbol:         _ZN7rocprim17ROCPRIM_400000_NS6detail30init_device_scan_by_key_kernelINS1_19lookback_scan_stateINS0_5tupleIJibEEELb1ELb1EEEN6thrust23THRUST_200600_302600_NS10device_ptrIiEEjNS1_16block_id_wrapperIjLb0EEEEEvT_jjPNSD_10value_typeET0_PNSt15iterator_traitsISG_E10value_typeEmT1_T2_.kd
    .uniform_work_group_size: 1
    .uses_dynamic_stack: false
    .vgpr_count:     9
    .vgpr_spill_count: 0
    .wavefront_size: 32
    .workgroup_processor_mode: 1
  - .args:
      - .offset:         0
        .size:           112
        .value_kind:     by_value
    .group_segment_fixed_size: 0
    .kernarg_segment_align: 8
    .kernarg_segment_size: 112
    .language:       OpenCL C
    .language_version:
      - 2
      - 0
    .max_flat_workgroup_size: 256
    .name:           _ZN7rocprim17ROCPRIM_400000_NS6detail17trampoline_kernelINS0_14default_configENS1_27scan_by_key_config_selectorIiiEEZZNS1_16scan_by_key_implILNS1_25lookback_scan_determinismE0ELb0ES3_N6thrust23THRUST_200600_302600_NS10device_ptrIiEESB_SB_iNS9_4plusIvEENS9_8equal_toIvEEiEE10hipError_tPvRmT2_T3_T4_T5_mT6_T7_P12ihipStream_tbENKUlT_T0_E_clISt17integral_constantIbLb1EESV_IbLb0EEEEDaSR_SS_EUlSR_E_NS1_11comp_targetILNS1_3genE0ELNS1_11target_archE4294967295ELNS1_3gpuE0ELNS1_3repE0EEENS1_30default_config_static_selectorELNS0_4arch9wavefront6targetE0EEEvT1_
    .private_segment_fixed_size: 0
    .sgpr_count:     0
    .sgpr_spill_count: 0
    .symbol:         _ZN7rocprim17ROCPRIM_400000_NS6detail17trampoline_kernelINS0_14default_configENS1_27scan_by_key_config_selectorIiiEEZZNS1_16scan_by_key_implILNS1_25lookback_scan_determinismE0ELb0ES3_N6thrust23THRUST_200600_302600_NS10device_ptrIiEESB_SB_iNS9_4plusIvEENS9_8equal_toIvEEiEE10hipError_tPvRmT2_T3_T4_T5_mT6_T7_P12ihipStream_tbENKUlT_T0_E_clISt17integral_constantIbLb1EESV_IbLb0EEEEDaSR_SS_EUlSR_E_NS1_11comp_targetILNS1_3genE0ELNS1_11target_archE4294967295ELNS1_3gpuE0ELNS1_3repE0EEENS1_30default_config_static_selectorELNS0_4arch9wavefront6targetE0EEEvT1_.kd
    .uniform_work_group_size: 1
    .uses_dynamic_stack: false
    .vgpr_count:     0
    .vgpr_spill_count: 0
    .wavefront_size: 32
    .workgroup_processor_mode: 1
  - .args:
      - .offset:         0
        .size:           112
        .value_kind:     by_value
    .group_segment_fixed_size: 0
    .kernarg_segment_align: 8
    .kernarg_segment_size: 112
    .language:       OpenCL C
    .language_version:
      - 2
      - 0
    .max_flat_workgroup_size: 256
    .name:           _ZN7rocprim17ROCPRIM_400000_NS6detail17trampoline_kernelINS0_14default_configENS1_27scan_by_key_config_selectorIiiEEZZNS1_16scan_by_key_implILNS1_25lookback_scan_determinismE0ELb0ES3_N6thrust23THRUST_200600_302600_NS10device_ptrIiEESB_SB_iNS9_4plusIvEENS9_8equal_toIvEEiEE10hipError_tPvRmT2_T3_T4_T5_mT6_T7_P12ihipStream_tbENKUlT_T0_E_clISt17integral_constantIbLb1EESV_IbLb0EEEEDaSR_SS_EUlSR_E_NS1_11comp_targetILNS1_3genE10ELNS1_11target_archE1201ELNS1_3gpuE5ELNS1_3repE0EEENS1_30default_config_static_selectorELNS0_4arch9wavefront6targetE0EEEvT1_
    .private_segment_fixed_size: 0
    .sgpr_count:     0
    .sgpr_spill_count: 0
    .symbol:         _ZN7rocprim17ROCPRIM_400000_NS6detail17trampoline_kernelINS0_14default_configENS1_27scan_by_key_config_selectorIiiEEZZNS1_16scan_by_key_implILNS1_25lookback_scan_determinismE0ELb0ES3_N6thrust23THRUST_200600_302600_NS10device_ptrIiEESB_SB_iNS9_4plusIvEENS9_8equal_toIvEEiEE10hipError_tPvRmT2_T3_T4_T5_mT6_T7_P12ihipStream_tbENKUlT_T0_E_clISt17integral_constantIbLb1EESV_IbLb0EEEEDaSR_SS_EUlSR_E_NS1_11comp_targetILNS1_3genE10ELNS1_11target_archE1201ELNS1_3gpuE5ELNS1_3repE0EEENS1_30default_config_static_selectorELNS0_4arch9wavefront6targetE0EEEvT1_.kd
    .uniform_work_group_size: 1
    .uses_dynamic_stack: false
    .vgpr_count:     0
    .vgpr_spill_count: 0
    .wavefront_size: 32
    .workgroup_processor_mode: 1
  - .args:
      - .offset:         0
        .size:           112
        .value_kind:     by_value
    .group_segment_fixed_size: 0
    .kernarg_segment_align: 8
    .kernarg_segment_size: 112
    .language:       OpenCL C
    .language_version:
      - 2
      - 0
    .max_flat_workgroup_size: 256
    .name:           _ZN7rocprim17ROCPRIM_400000_NS6detail17trampoline_kernelINS0_14default_configENS1_27scan_by_key_config_selectorIiiEEZZNS1_16scan_by_key_implILNS1_25lookback_scan_determinismE0ELb0ES3_N6thrust23THRUST_200600_302600_NS10device_ptrIiEESB_SB_iNS9_4plusIvEENS9_8equal_toIvEEiEE10hipError_tPvRmT2_T3_T4_T5_mT6_T7_P12ihipStream_tbENKUlT_T0_E_clISt17integral_constantIbLb1EESV_IbLb0EEEEDaSR_SS_EUlSR_E_NS1_11comp_targetILNS1_3genE5ELNS1_11target_archE942ELNS1_3gpuE9ELNS1_3repE0EEENS1_30default_config_static_selectorELNS0_4arch9wavefront6targetE0EEEvT1_
    .private_segment_fixed_size: 0
    .sgpr_count:     0
    .sgpr_spill_count: 0
    .symbol:         _ZN7rocprim17ROCPRIM_400000_NS6detail17trampoline_kernelINS0_14default_configENS1_27scan_by_key_config_selectorIiiEEZZNS1_16scan_by_key_implILNS1_25lookback_scan_determinismE0ELb0ES3_N6thrust23THRUST_200600_302600_NS10device_ptrIiEESB_SB_iNS9_4plusIvEENS9_8equal_toIvEEiEE10hipError_tPvRmT2_T3_T4_T5_mT6_T7_P12ihipStream_tbENKUlT_T0_E_clISt17integral_constantIbLb1EESV_IbLb0EEEEDaSR_SS_EUlSR_E_NS1_11comp_targetILNS1_3genE5ELNS1_11target_archE942ELNS1_3gpuE9ELNS1_3repE0EEENS1_30default_config_static_selectorELNS0_4arch9wavefront6targetE0EEEvT1_.kd
    .uniform_work_group_size: 1
    .uses_dynamic_stack: false
    .vgpr_count:     0
    .vgpr_spill_count: 0
    .wavefront_size: 32
    .workgroup_processor_mode: 1
  - .args:
      - .offset:         0
        .size:           112
        .value_kind:     by_value
    .group_segment_fixed_size: 0
    .kernarg_segment_align: 8
    .kernarg_segment_size: 112
    .language:       OpenCL C
    .language_version:
      - 2
      - 0
    .max_flat_workgroup_size: 256
    .name:           _ZN7rocprim17ROCPRIM_400000_NS6detail17trampoline_kernelINS0_14default_configENS1_27scan_by_key_config_selectorIiiEEZZNS1_16scan_by_key_implILNS1_25lookback_scan_determinismE0ELb0ES3_N6thrust23THRUST_200600_302600_NS10device_ptrIiEESB_SB_iNS9_4plusIvEENS9_8equal_toIvEEiEE10hipError_tPvRmT2_T3_T4_T5_mT6_T7_P12ihipStream_tbENKUlT_T0_E_clISt17integral_constantIbLb1EESV_IbLb0EEEEDaSR_SS_EUlSR_E_NS1_11comp_targetILNS1_3genE4ELNS1_11target_archE910ELNS1_3gpuE8ELNS1_3repE0EEENS1_30default_config_static_selectorELNS0_4arch9wavefront6targetE0EEEvT1_
    .private_segment_fixed_size: 0
    .sgpr_count:     0
    .sgpr_spill_count: 0
    .symbol:         _ZN7rocprim17ROCPRIM_400000_NS6detail17trampoline_kernelINS0_14default_configENS1_27scan_by_key_config_selectorIiiEEZZNS1_16scan_by_key_implILNS1_25lookback_scan_determinismE0ELb0ES3_N6thrust23THRUST_200600_302600_NS10device_ptrIiEESB_SB_iNS9_4plusIvEENS9_8equal_toIvEEiEE10hipError_tPvRmT2_T3_T4_T5_mT6_T7_P12ihipStream_tbENKUlT_T0_E_clISt17integral_constantIbLb1EESV_IbLb0EEEEDaSR_SS_EUlSR_E_NS1_11comp_targetILNS1_3genE4ELNS1_11target_archE910ELNS1_3gpuE8ELNS1_3repE0EEENS1_30default_config_static_selectorELNS0_4arch9wavefront6targetE0EEEvT1_.kd
    .uniform_work_group_size: 1
    .uses_dynamic_stack: false
    .vgpr_count:     0
    .vgpr_spill_count: 0
    .wavefront_size: 32
    .workgroup_processor_mode: 1
  - .args:
      - .offset:         0
        .size:           112
        .value_kind:     by_value
    .group_segment_fixed_size: 0
    .kernarg_segment_align: 8
    .kernarg_segment_size: 112
    .language:       OpenCL C
    .language_version:
      - 2
      - 0
    .max_flat_workgroup_size: 256
    .name:           _ZN7rocprim17ROCPRIM_400000_NS6detail17trampoline_kernelINS0_14default_configENS1_27scan_by_key_config_selectorIiiEEZZNS1_16scan_by_key_implILNS1_25lookback_scan_determinismE0ELb0ES3_N6thrust23THRUST_200600_302600_NS10device_ptrIiEESB_SB_iNS9_4plusIvEENS9_8equal_toIvEEiEE10hipError_tPvRmT2_T3_T4_T5_mT6_T7_P12ihipStream_tbENKUlT_T0_E_clISt17integral_constantIbLb1EESV_IbLb0EEEEDaSR_SS_EUlSR_E_NS1_11comp_targetILNS1_3genE3ELNS1_11target_archE908ELNS1_3gpuE7ELNS1_3repE0EEENS1_30default_config_static_selectorELNS0_4arch9wavefront6targetE0EEEvT1_
    .private_segment_fixed_size: 0
    .sgpr_count:     0
    .sgpr_spill_count: 0
    .symbol:         _ZN7rocprim17ROCPRIM_400000_NS6detail17trampoline_kernelINS0_14default_configENS1_27scan_by_key_config_selectorIiiEEZZNS1_16scan_by_key_implILNS1_25lookback_scan_determinismE0ELb0ES3_N6thrust23THRUST_200600_302600_NS10device_ptrIiEESB_SB_iNS9_4plusIvEENS9_8equal_toIvEEiEE10hipError_tPvRmT2_T3_T4_T5_mT6_T7_P12ihipStream_tbENKUlT_T0_E_clISt17integral_constantIbLb1EESV_IbLb0EEEEDaSR_SS_EUlSR_E_NS1_11comp_targetILNS1_3genE3ELNS1_11target_archE908ELNS1_3gpuE7ELNS1_3repE0EEENS1_30default_config_static_selectorELNS0_4arch9wavefront6targetE0EEEvT1_.kd
    .uniform_work_group_size: 1
    .uses_dynamic_stack: false
    .vgpr_count:     0
    .vgpr_spill_count: 0
    .wavefront_size: 32
    .workgroup_processor_mode: 1
  - .args:
      - .offset:         0
        .size:           112
        .value_kind:     by_value
    .group_segment_fixed_size: 0
    .kernarg_segment_align: 8
    .kernarg_segment_size: 112
    .language:       OpenCL C
    .language_version:
      - 2
      - 0
    .max_flat_workgroup_size: 256
    .name:           _ZN7rocprim17ROCPRIM_400000_NS6detail17trampoline_kernelINS0_14default_configENS1_27scan_by_key_config_selectorIiiEEZZNS1_16scan_by_key_implILNS1_25lookback_scan_determinismE0ELb0ES3_N6thrust23THRUST_200600_302600_NS10device_ptrIiEESB_SB_iNS9_4plusIvEENS9_8equal_toIvEEiEE10hipError_tPvRmT2_T3_T4_T5_mT6_T7_P12ihipStream_tbENKUlT_T0_E_clISt17integral_constantIbLb1EESV_IbLb0EEEEDaSR_SS_EUlSR_E_NS1_11comp_targetILNS1_3genE2ELNS1_11target_archE906ELNS1_3gpuE6ELNS1_3repE0EEENS1_30default_config_static_selectorELNS0_4arch9wavefront6targetE0EEEvT1_
    .private_segment_fixed_size: 0
    .sgpr_count:     0
    .sgpr_spill_count: 0
    .symbol:         _ZN7rocprim17ROCPRIM_400000_NS6detail17trampoline_kernelINS0_14default_configENS1_27scan_by_key_config_selectorIiiEEZZNS1_16scan_by_key_implILNS1_25lookback_scan_determinismE0ELb0ES3_N6thrust23THRUST_200600_302600_NS10device_ptrIiEESB_SB_iNS9_4plusIvEENS9_8equal_toIvEEiEE10hipError_tPvRmT2_T3_T4_T5_mT6_T7_P12ihipStream_tbENKUlT_T0_E_clISt17integral_constantIbLb1EESV_IbLb0EEEEDaSR_SS_EUlSR_E_NS1_11comp_targetILNS1_3genE2ELNS1_11target_archE906ELNS1_3gpuE6ELNS1_3repE0EEENS1_30default_config_static_selectorELNS0_4arch9wavefront6targetE0EEEvT1_.kd
    .uniform_work_group_size: 1
    .uses_dynamic_stack: false
    .vgpr_count:     0
    .vgpr_spill_count: 0
    .wavefront_size: 32
    .workgroup_processor_mode: 1
  - .args:
      - .offset:         0
        .size:           112
        .value_kind:     by_value
    .group_segment_fixed_size: 0
    .kernarg_segment_align: 8
    .kernarg_segment_size: 112
    .language:       OpenCL C
    .language_version:
      - 2
      - 0
    .max_flat_workgroup_size: 256
    .name:           _ZN7rocprim17ROCPRIM_400000_NS6detail17trampoline_kernelINS0_14default_configENS1_27scan_by_key_config_selectorIiiEEZZNS1_16scan_by_key_implILNS1_25lookback_scan_determinismE0ELb0ES3_N6thrust23THRUST_200600_302600_NS10device_ptrIiEESB_SB_iNS9_4plusIvEENS9_8equal_toIvEEiEE10hipError_tPvRmT2_T3_T4_T5_mT6_T7_P12ihipStream_tbENKUlT_T0_E_clISt17integral_constantIbLb1EESV_IbLb0EEEEDaSR_SS_EUlSR_E_NS1_11comp_targetILNS1_3genE10ELNS1_11target_archE1200ELNS1_3gpuE4ELNS1_3repE0EEENS1_30default_config_static_selectorELNS0_4arch9wavefront6targetE0EEEvT1_
    .private_segment_fixed_size: 0
    .sgpr_count:     0
    .sgpr_spill_count: 0
    .symbol:         _ZN7rocprim17ROCPRIM_400000_NS6detail17trampoline_kernelINS0_14default_configENS1_27scan_by_key_config_selectorIiiEEZZNS1_16scan_by_key_implILNS1_25lookback_scan_determinismE0ELb0ES3_N6thrust23THRUST_200600_302600_NS10device_ptrIiEESB_SB_iNS9_4plusIvEENS9_8equal_toIvEEiEE10hipError_tPvRmT2_T3_T4_T5_mT6_T7_P12ihipStream_tbENKUlT_T0_E_clISt17integral_constantIbLb1EESV_IbLb0EEEEDaSR_SS_EUlSR_E_NS1_11comp_targetILNS1_3genE10ELNS1_11target_archE1200ELNS1_3gpuE4ELNS1_3repE0EEENS1_30default_config_static_selectorELNS0_4arch9wavefront6targetE0EEEvT1_.kd
    .uniform_work_group_size: 1
    .uses_dynamic_stack: false
    .vgpr_count:     0
    .vgpr_spill_count: 0
    .wavefront_size: 32
    .workgroup_processor_mode: 1
  - .args:
      - .offset:         0
        .size:           112
        .value_kind:     by_value
    .group_segment_fixed_size: 0
    .kernarg_segment_align: 8
    .kernarg_segment_size: 112
    .language:       OpenCL C
    .language_version:
      - 2
      - 0
    .max_flat_workgroup_size: 256
    .name:           _ZN7rocprim17ROCPRIM_400000_NS6detail17trampoline_kernelINS0_14default_configENS1_27scan_by_key_config_selectorIiiEEZZNS1_16scan_by_key_implILNS1_25lookback_scan_determinismE0ELb0ES3_N6thrust23THRUST_200600_302600_NS10device_ptrIiEESB_SB_iNS9_4plusIvEENS9_8equal_toIvEEiEE10hipError_tPvRmT2_T3_T4_T5_mT6_T7_P12ihipStream_tbENKUlT_T0_E_clISt17integral_constantIbLb1EESV_IbLb0EEEEDaSR_SS_EUlSR_E_NS1_11comp_targetILNS1_3genE9ELNS1_11target_archE1100ELNS1_3gpuE3ELNS1_3repE0EEENS1_30default_config_static_selectorELNS0_4arch9wavefront6targetE0EEEvT1_
    .private_segment_fixed_size: 0
    .sgpr_count:     0
    .sgpr_spill_count: 0
    .symbol:         _ZN7rocprim17ROCPRIM_400000_NS6detail17trampoline_kernelINS0_14default_configENS1_27scan_by_key_config_selectorIiiEEZZNS1_16scan_by_key_implILNS1_25lookback_scan_determinismE0ELb0ES3_N6thrust23THRUST_200600_302600_NS10device_ptrIiEESB_SB_iNS9_4plusIvEENS9_8equal_toIvEEiEE10hipError_tPvRmT2_T3_T4_T5_mT6_T7_P12ihipStream_tbENKUlT_T0_E_clISt17integral_constantIbLb1EESV_IbLb0EEEEDaSR_SS_EUlSR_E_NS1_11comp_targetILNS1_3genE9ELNS1_11target_archE1100ELNS1_3gpuE3ELNS1_3repE0EEENS1_30default_config_static_selectorELNS0_4arch9wavefront6targetE0EEEvT1_.kd
    .uniform_work_group_size: 1
    .uses_dynamic_stack: false
    .vgpr_count:     0
    .vgpr_spill_count: 0
    .wavefront_size: 32
    .workgroup_processor_mode: 1
  - .args:
      - .offset:         0
        .size:           112
        .value_kind:     by_value
    .group_segment_fixed_size: 0
    .kernarg_segment_align: 8
    .kernarg_segment_size: 112
    .language:       OpenCL C
    .language_version:
      - 2
      - 0
    .max_flat_workgroup_size: 256
    .name:           _ZN7rocprim17ROCPRIM_400000_NS6detail17trampoline_kernelINS0_14default_configENS1_27scan_by_key_config_selectorIiiEEZZNS1_16scan_by_key_implILNS1_25lookback_scan_determinismE0ELb0ES3_N6thrust23THRUST_200600_302600_NS10device_ptrIiEESB_SB_iNS9_4plusIvEENS9_8equal_toIvEEiEE10hipError_tPvRmT2_T3_T4_T5_mT6_T7_P12ihipStream_tbENKUlT_T0_E_clISt17integral_constantIbLb1EESV_IbLb0EEEEDaSR_SS_EUlSR_E_NS1_11comp_targetILNS1_3genE8ELNS1_11target_archE1030ELNS1_3gpuE2ELNS1_3repE0EEENS1_30default_config_static_selectorELNS0_4arch9wavefront6targetE0EEEvT1_
    .private_segment_fixed_size: 0
    .sgpr_count:     0
    .sgpr_spill_count: 0
    .symbol:         _ZN7rocprim17ROCPRIM_400000_NS6detail17trampoline_kernelINS0_14default_configENS1_27scan_by_key_config_selectorIiiEEZZNS1_16scan_by_key_implILNS1_25lookback_scan_determinismE0ELb0ES3_N6thrust23THRUST_200600_302600_NS10device_ptrIiEESB_SB_iNS9_4plusIvEENS9_8equal_toIvEEiEE10hipError_tPvRmT2_T3_T4_T5_mT6_T7_P12ihipStream_tbENKUlT_T0_E_clISt17integral_constantIbLb1EESV_IbLb0EEEEDaSR_SS_EUlSR_E_NS1_11comp_targetILNS1_3genE8ELNS1_11target_archE1030ELNS1_3gpuE2ELNS1_3repE0EEENS1_30default_config_static_selectorELNS0_4arch9wavefront6targetE0EEEvT1_.kd
    .uniform_work_group_size: 1
    .uses_dynamic_stack: false
    .vgpr_count:     0
    .vgpr_spill_count: 0
    .wavefront_size: 32
    .workgroup_processor_mode: 1
  - .args:
      - .address_space:  global
        .offset:         0
        .size:           8
        .value_kind:     global_buffer
      - .offset:         8
        .size:           4
        .value_kind:     by_value
      - .offset:         12
        .size:           4
        .value_kind:     by_value
      - .address_space:  global
        .offset:         16
        .size:           8
        .value_kind:     global_buffer
      - .address_space:  global
        .offset:         24
        .size:           8
        .value_kind:     global_buffer
      - .actual_access:  write_only
        .address_space:  global
        .offset:         32
        .size:           8
        .value_kind:     global_buffer
      - .offset:         40
        .size:           8
        .value_kind:     by_value
      - .offset:         48
        .size:           4
        .value_kind:     by_value
      - .address_space:  global
        .offset:         56
        .size:           8
        .value_kind:     global_buffer
      - .offset:         64
        .size:           4
        .value_kind:     hidden_block_count_x
      - .offset:         68
        .size:           4
        .value_kind:     hidden_block_count_y
      - .offset:         72
        .size:           4
        .value_kind:     hidden_block_count_z
      - .offset:         76
        .size:           2
        .value_kind:     hidden_group_size_x
      - .offset:         78
        .size:           2
        .value_kind:     hidden_group_size_y
      - .offset:         80
        .size:           2
        .value_kind:     hidden_group_size_z
      - .offset:         82
        .size:           2
        .value_kind:     hidden_remainder_x
      - .offset:         84
        .size:           2
        .value_kind:     hidden_remainder_y
      - .offset:         86
        .size:           2
        .value_kind:     hidden_remainder_z
      - .offset:         104
        .size:           8
        .value_kind:     hidden_global_offset_x
      - .offset:         112
        .size:           8
        .value_kind:     hidden_global_offset_y
      - .offset:         120
        .size:           8
        .value_kind:     hidden_global_offset_z
      - .offset:         128
        .size:           2
        .value_kind:     hidden_grid_dims
    .group_segment_fixed_size: 0
    .kernarg_segment_align: 8
    .kernarg_segment_size: 320
    .language:       OpenCL C
    .language_version:
      - 2
      - 0
    .max_flat_workgroup_size: 256
    .name:           _ZN7rocprim17ROCPRIM_400000_NS6detail30init_device_scan_by_key_kernelINS1_19lookback_scan_stateINS0_5tupleIJibEEELb0ELb1EEEN6thrust23THRUST_200600_302600_NS10device_ptrIiEEjNS1_16block_id_wrapperIjLb1EEEEEvT_jjPNSD_10value_typeET0_PNSt15iterator_traitsISG_E10value_typeEmT1_T2_
    .private_segment_fixed_size: 0
    .sgpr_count:     19
    .sgpr_spill_count: 0
    .symbol:         _ZN7rocprim17ROCPRIM_400000_NS6detail30init_device_scan_by_key_kernelINS1_19lookback_scan_stateINS0_5tupleIJibEEELb0ELb1EEEN6thrust23THRUST_200600_302600_NS10device_ptrIiEEjNS1_16block_id_wrapperIjLb1EEEEEvT_jjPNSD_10value_typeET0_PNSt15iterator_traitsISG_E10value_typeEmT1_T2_.kd
    .uniform_work_group_size: 1
    .uses_dynamic_stack: false
    .vgpr_count:     9
    .vgpr_spill_count: 0
    .wavefront_size: 32
    .workgroup_processor_mode: 1
  - .args:
      - .offset:         0
        .size:           112
        .value_kind:     by_value
    .group_segment_fixed_size: 0
    .kernarg_segment_align: 8
    .kernarg_segment_size: 112
    .language:       OpenCL C
    .language_version:
      - 2
      - 0
    .max_flat_workgroup_size: 256
    .name:           _ZN7rocprim17ROCPRIM_400000_NS6detail17trampoline_kernelINS0_14default_configENS1_27scan_by_key_config_selectorIiiEEZZNS1_16scan_by_key_implILNS1_25lookback_scan_determinismE0ELb0ES3_N6thrust23THRUST_200600_302600_NS10device_ptrIiEESB_SB_iNS9_4plusIvEENS9_8equal_toIvEEiEE10hipError_tPvRmT2_T3_T4_T5_mT6_T7_P12ihipStream_tbENKUlT_T0_E_clISt17integral_constantIbLb0EESV_IbLb1EEEEDaSR_SS_EUlSR_E_NS1_11comp_targetILNS1_3genE0ELNS1_11target_archE4294967295ELNS1_3gpuE0ELNS1_3repE0EEENS1_30default_config_static_selectorELNS0_4arch9wavefront6targetE0EEEvT1_
    .private_segment_fixed_size: 0
    .sgpr_count:     0
    .sgpr_spill_count: 0
    .symbol:         _ZN7rocprim17ROCPRIM_400000_NS6detail17trampoline_kernelINS0_14default_configENS1_27scan_by_key_config_selectorIiiEEZZNS1_16scan_by_key_implILNS1_25lookback_scan_determinismE0ELb0ES3_N6thrust23THRUST_200600_302600_NS10device_ptrIiEESB_SB_iNS9_4plusIvEENS9_8equal_toIvEEiEE10hipError_tPvRmT2_T3_T4_T5_mT6_T7_P12ihipStream_tbENKUlT_T0_E_clISt17integral_constantIbLb0EESV_IbLb1EEEEDaSR_SS_EUlSR_E_NS1_11comp_targetILNS1_3genE0ELNS1_11target_archE4294967295ELNS1_3gpuE0ELNS1_3repE0EEENS1_30default_config_static_selectorELNS0_4arch9wavefront6targetE0EEEvT1_.kd
    .uniform_work_group_size: 1
    .uses_dynamic_stack: false
    .vgpr_count:     0
    .vgpr_spill_count: 0
    .wavefront_size: 32
    .workgroup_processor_mode: 1
  - .args:
      - .offset:         0
        .size:           112
        .value_kind:     by_value
    .group_segment_fixed_size: 0
    .kernarg_segment_align: 8
    .kernarg_segment_size: 112
    .language:       OpenCL C
    .language_version:
      - 2
      - 0
    .max_flat_workgroup_size: 256
    .name:           _ZN7rocprim17ROCPRIM_400000_NS6detail17trampoline_kernelINS0_14default_configENS1_27scan_by_key_config_selectorIiiEEZZNS1_16scan_by_key_implILNS1_25lookback_scan_determinismE0ELb0ES3_N6thrust23THRUST_200600_302600_NS10device_ptrIiEESB_SB_iNS9_4plusIvEENS9_8equal_toIvEEiEE10hipError_tPvRmT2_T3_T4_T5_mT6_T7_P12ihipStream_tbENKUlT_T0_E_clISt17integral_constantIbLb0EESV_IbLb1EEEEDaSR_SS_EUlSR_E_NS1_11comp_targetILNS1_3genE10ELNS1_11target_archE1201ELNS1_3gpuE5ELNS1_3repE0EEENS1_30default_config_static_selectorELNS0_4arch9wavefront6targetE0EEEvT1_
    .private_segment_fixed_size: 0
    .sgpr_count:     0
    .sgpr_spill_count: 0
    .symbol:         _ZN7rocprim17ROCPRIM_400000_NS6detail17trampoline_kernelINS0_14default_configENS1_27scan_by_key_config_selectorIiiEEZZNS1_16scan_by_key_implILNS1_25lookback_scan_determinismE0ELb0ES3_N6thrust23THRUST_200600_302600_NS10device_ptrIiEESB_SB_iNS9_4plusIvEENS9_8equal_toIvEEiEE10hipError_tPvRmT2_T3_T4_T5_mT6_T7_P12ihipStream_tbENKUlT_T0_E_clISt17integral_constantIbLb0EESV_IbLb1EEEEDaSR_SS_EUlSR_E_NS1_11comp_targetILNS1_3genE10ELNS1_11target_archE1201ELNS1_3gpuE5ELNS1_3repE0EEENS1_30default_config_static_selectorELNS0_4arch9wavefront6targetE0EEEvT1_.kd
    .uniform_work_group_size: 1
    .uses_dynamic_stack: false
    .vgpr_count:     0
    .vgpr_spill_count: 0
    .wavefront_size: 32
    .workgroup_processor_mode: 1
  - .args:
      - .offset:         0
        .size:           112
        .value_kind:     by_value
    .group_segment_fixed_size: 0
    .kernarg_segment_align: 8
    .kernarg_segment_size: 112
    .language:       OpenCL C
    .language_version:
      - 2
      - 0
    .max_flat_workgroup_size: 256
    .name:           _ZN7rocprim17ROCPRIM_400000_NS6detail17trampoline_kernelINS0_14default_configENS1_27scan_by_key_config_selectorIiiEEZZNS1_16scan_by_key_implILNS1_25lookback_scan_determinismE0ELb0ES3_N6thrust23THRUST_200600_302600_NS10device_ptrIiEESB_SB_iNS9_4plusIvEENS9_8equal_toIvEEiEE10hipError_tPvRmT2_T3_T4_T5_mT6_T7_P12ihipStream_tbENKUlT_T0_E_clISt17integral_constantIbLb0EESV_IbLb1EEEEDaSR_SS_EUlSR_E_NS1_11comp_targetILNS1_3genE5ELNS1_11target_archE942ELNS1_3gpuE9ELNS1_3repE0EEENS1_30default_config_static_selectorELNS0_4arch9wavefront6targetE0EEEvT1_
    .private_segment_fixed_size: 0
    .sgpr_count:     0
    .sgpr_spill_count: 0
    .symbol:         _ZN7rocprim17ROCPRIM_400000_NS6detail17trampoline_kernelINS0_14default_configENS1_27scan_by_key_config_selectorIiiEEZZNS1_16scan_by_key_implILNS1_25lookback_scan_determinismE0ELb0ES3_N6thrust23THRUST_200600_302600_NS10device_ptrIiEESB_SB_iNS9_4plusIvEENS9_8equal_toIvEEiEE10hipError_tPvRmT2_T3_T4_T5_mT6_T7_P12ihipStream_tbENKUlT_T0_E_clISt17integral_constantIbLb0EESV_IbLb1EEEEDaSR_SS_EUlSR_E_NS1_11comp_targetILNS1_3genE5ELNS1_11target_archE942ELNS1_3gpuE9ELNS1_3repE0EEENS1_30default_config_static_selectorELNS0_4arch9wavefront6targetE0EEEvT1_.kd
    .uniform_work_group_size: 1
    .uses_dynamic_stack: false
    .vgpr_count:     0
    .vgpr_spill_count: 0
    .wavefront_size: 32
    .workgroup_processor_mode: 1
  - .args:
      - .offset:         0
        .size:           112
        .value_kind:     by_value
    .group_segment_fixed_size: 0
    .kernarg_segment_align: 8
    .kernarg_segment_size: 112
    .language:       OpenCL C
    .language_version:
      - 2
      - 0
    .max_flat_workgroup_size: 256
    .name:           _ZN7rocprim17ROCPRIM_400000_NS6detail17trampoline_kernelINS0_14default_configENS1_27scan_by_key_config_selectorIiiEEZZNS1_16scan_by_key_implILNS1_25lookback_scan_determinismE0ELb0ES3_N6thrust23THRUST_200600_302600_NS10device_ptrIiEESB_SB_iNS9_4plusIvEENS9_8equal_toIvEEiEE10hipError_tPvRmT2_T3_T4_T5_mT6_T7_P12ihipStream_tbENKUlT_T0_E_clISt17integral_constantIbLb0EESV_IbLb1EEEEDaSR_SS_EUlSR_E_NS1_11comp_targetILNS1_3genE4ELNS1_11target_archE910ELNS1_3gpuE8ELNS1_3repE0EEENS1_30default_config_static_selectorELNS0_4arch9wavefront6targetE0EEEvT1_
    .private_segment_fixed_size: 0
    .sgpr_count:     0
    .sgpr_spill_count: 0
    .symbol:         _ZN7rocprim17ROCPRIM_400000_NS6detail17trampoline_kernelINS0_14default_configENS1_27scan_by_key_config_selectorIiiEEZZNS1_16scan_by_key_implILNS1_25lookback_scan_determinismE0ELb0ES3_N6thrust23THRUST_200600_302600_NS10device_ptrIiEESB_SB_iNS9_4plusIvEENS9_8equal_toIvEEiEE10hipError_tPvRmT2_T3_T4_T5_mT6_T7_P12ihipStream_tbENKUlT_T0_E_clISt17integral_constantIbLb0EESV_IbLb1EEEEDaSR_SS_EUlSR_E_NS1_11comp_targetILNS1_3genE4ELNS1_11target_archE910ELNS1_3gpuE8ELNS1_3repE0EEENS1_30default_config_static_selectorELNS0_4arch9wavefront6targetE0EEEvT1_.kd
    .uniform_work_group_size: 1
    .uses_dynamic_stack: false
    .vgpr_count:     0
    .vgpr_spill_count: 0
    .wavefront_size: 32
    .workgroup_processor_mode: 1
  - .args:
      - .offset:         0
        .size:           112
        .value_kind:     by_value
    .group_segment_fixed_size: 0
    .kernarg_segment_align: 8
    .kernarg_segment_size: 112
    .language:       OpenCL C
    .language_version:
      - 2
      - 0
    .max_flat_workgroup_size: 256
    .name:           _ZN7rocprim17ROCPRIM_400000_NS6detail17trampoline_kernelINS0_14default_configENS1_27scan_by_key_config_selectorIiiEEZZNS1_16scan_by_key_implILNS1_25lookback_scan_determinismE0ELb0ES3_N6thrust23THRUST_200600_302600_NS10device_ptrIiEESB_SB_iNS9_4plusIvEENS9_8equal_toIvEEiEE10hipError_tPvRmT2_T3_T4_T5_mT6_T7_P12ihipStream_tbENKUlT_T0_E_clISt17integral_constantIbLb0EESV_IbLb1EEEEDaSR_SS_EUlSR_E_NS1_11comp_targetILNS1_3genE3ELNS1_11target_archE908ELNS1_3gpuE7ELNS1_3repE0EEENS1_30default_config_static_selectorELNS0_4arch9wavefront6targetE0EEEvT1_
    .private_segment_fixed_size: 0
    .sgpr_count:     0
    .sgpr_spill_count: 0
    .symbol:         _ZN7rocprim17ROCPRIM_400000_NS6detail17trampoline_kernelINS0_14default_configENS1_27scan_by_key_config_selectorIiiEEZZNS1_16scan_by_key_implILNS1_25lookback_scan_determinismE0ELb0ES3_N6thrust23THRUST_200600_302600_NS10device_ptrIiEESB_SB_iNS9_4plusIvEENS9_8equal_toIvEEiEE10hipError_tPvRmT2_T3_T4_T5_mT6_T7_P12ihipStream_tbENKUlT_T0_E_clISt17integral_constantIbLb0EESV_IbLb1EEEEDaSR_SS_EUlSR_E_NS1_11comp_targetILNS1_3genE3ELNS1_11target_archE908ELNS1_3gpuE7ELNS1_3repE0EEENS1_30default_config_static_selectorELNS0_4arch9wavefront6targetE0EEEvT1_.kd
    .uniform_work_group_size: 1
    .uses_dynamic_stack: false
    .vgpr_count:     0
    .vgpr_spill_count: 0
    .wavefront_size: 32
    .workgroup_processor_mode: 1
  - .args:
      - .offset:         0
        .size:           112
        .value_kind:     by_value
    .group_segment_fixed_size: 0
    .kernarg_segment_align: 8
    .kernarg_segment_size: 112
    .language:       OpenCL C
    .language_version:
      - 2
      - 0
    .max_flat_workgroup_size: 256
    .name:           _ZN7rocprim17ROCPRIM_400000_NS6detail17trampoline_kernelINS0_14default_configENS1_27scan_by_key_config_selectorIiiEEZZNS1_16scan_by_key_implILNS1_25lookback_scan_determinismE0ELb0ES3_N6thrust23THRUST_200600_302600_NS10device_ptrIiEESB_SB_iNS9_4plusIvEENS9_8equal_toIvEEiEE10hipError_tPvRmT2_T3_T4_T5_mT6_T7_P12ihipStream_tbENKUlT_T0_E_clISt17integral_constantIbLb0EESV_IbLb1EEEEDaSR_SS_EUlSR_E_NS1_11comp_targetILNS1_3genE2ELNS1_11target_archE906ELNS1_3gpuE6ELNS1_3repE0EEENS1_30default_config_static_selectorELNS0_4arch9wavefront6targetE0EEEvT1_
    .private_segment_fixed_size: 0
    .sgpr_count:     0
    .sgpr_spill_count: 0
    .symbol:         _ZN7rocprim17ROCPRIM_400000_NS6detail17trampoline_kernelINS0_14default_configENS1_27scan_by_key_config_selectorIiiEEZZNS1_16scan_by_key_implILNS1_25lookback_scan_determinismE0ELb0ES3_N6thrust23THRUST_200600_302600_NS10device_ptrIiEESB_SB_iNS9_4plusIvEENS9_8equal_toIvEEiEE10hipError_tPvRmT2_T3_T4_T5_mT6_T7_P12ihipStream_tbENKUlT_T0_E_clISt17integral_constantIbLb0EESV_IbLb1EEEEDaSR_SS_EUlSR_E_NS1_11comp_targetILNS1_3genE2ELNS1_11target_archE906ELNS1_3gpuE6ELNS1_3repE0EEENS1_30default_config_static_selectorELNS0_4arch9wavefront6targetE0EEEvT1_.kd
    .uniform_work_group_size: 1
    .uses_dynamic_stack: false
    .vgpr_count:     0
    .vgpr_spill_count: 0
    .wavefront_size: 32
    .workgroup_processor_mode: 1
  - .args:
      - .offset:         0
        .size:           112
        .value_kind:     by_value
    .group_segment_fixed_size: 0
    .kernarg_segment_align: 8
    .kernarg_segment_size: 112
    .language:       OpenCL C
    .language_version:
      - 2
      - 0
    .max_flat_workgroup_size: 256
    .name:           _ZN7rocprim17ROCPRIM_400000_NS6detail17trampoline_kernelINS0_14default_configENS1_27scan_by_key_config_selectorIiiEEZZNS1_16scan_by_key_implILNS1_25lookback_scan_determinismE0ELb0ES3_N6thrust23THRUST_200600_302600_NS10device_ptrIiEESB_SB_iNS9_4plusIvEENS9_8equal_toIvEEiEE10hipError_tPvRmT2_T3_T4_T5_mT6_T7_P12ihipStream_tbENKUlT_T0_E_clISt17integral_constantIbLb0EESV_IbLb1EEEEDaSR_SS_EUlSR_E_NS1_11comp_targetILNS1_3genE10ELNS1_11target_archE1200ELNS1_3gpuE4ELNS1_3repE0EEENS1_30default_config_static_selectorELNS0_4arch9wavefront6targetE0EEEvT1_
    .private_segment_fixed_size: 0
    .sgpr_count:     0
    .sgpr_spill_count: 0
    .symbol:         _ZN7rocprim17ROCPRIM_400000_NS6detail17trampoline_kernelINS0_14default_configENS1_27scan_by_key_config_selectorIiiEEZZNS1_16scan_by_key_implILNS1_25lookback_scan_determinismE0ELb0ES3_N6thrust23THRUST_200600_302600_NS10device_ptrIiEESB_SB_iNS9_4plusIvEENS9_8equal_toIvEEiEE10hipError_tPvRmT2_T3_T4_T5_mT6_T7_P12ihipStream_tbENKUlT_T0_E_clISt17integral_constantIbLb0EESV_IbLb1EEEEDaSR_SS_EUlSR_E_NS1_11comp_targetILNS1_3genE10ELNS1_11target_archE1200ELNS1_3gpuE4ELNS1_3repE0EEENS1_30default_config_static_selectorELNS0_4arch9wavefront6targetE0EEEvT1_.kd
    .uniform_work_group_size: 1
    .uses_dynamic_stack: false
    .vgpr_count:     0
    .vgpr_spill_count: 0
    .wavefront_size: 32
    .workgroup_processor_mode: 1
  - .args:
      - .offset:         0
        .size:           112
        .value_kind:     by_value
    .group_segment_fixed_size: 0
    .kernarg_segment_align: 8
    .kernarg_segment_size: 112
    .language:       OpenCL C
    .language_version:
      - 2
      - 0
    .max_flat_workgroup_size: 256
    .name:           _ZN7rocprim17ROCPRIM_400000_NS6detail17trampoline_kernelINS0_14default_configENS1_27scan_by_key_config_selectorIiiEEZZNS1_16scan_by_key_implILNS1_25lookback_scan_determinismE0ELb0ES3_N6thrust23THRUST_200600_302600_NS10device_ptrIiEESB_SB_iNS9_4plusIvEENS9_8equal_toIvEEiEE10hipError_tPvRmT2_T3_T4_T5_mT6_T7_P12ihipStream_tbENKUlT_T0_E_clISt17integral_constantIbLb0EESV_IbLb1EEEEDaSR_SS_EUlSR_E_NS1_11comp_targetILNS1_3genE9ELNS1_11target_archE1100ELNS1_3gpuE3ELNS1_3repE0EEENS1_30default_config_static_selectorELNS0_4arch9wavefront6targetE0EEEvT1_
    .private_segment_fixed_size: 0
    .sgpr_count:     0
    .sgpr_spill_count: 0
    .symbol:         _ZN7rocprim17ROCPRIM_400000_NS6detail17trampoline_kernelINS0_14default_configENS1_27scan_by_key_config_selectorIiiEEZZNS1_16scan_by_key_implILNS1_25lookback_scan_determinismE0ELb0ES3_N6thrust23THRUST_200600_302600_NS10device_ptrIiEESB_SB_iNS9_4plusIvEENS9_8equal_toIvEEiEE10hipError_tPvRmT2_T3_T4_T5_mT6_T7_P12ihipStream_tbENKUlT_T0_E_clISt17integral_constantIbLb0EESV_IbLb1EEEEDaSR_SS_EUlSR_E_NS1_11comp_targetILNS1_3genE9ELNS1_11target_archE1100ELNS1_3gpuE3ELNS1_3repE0EEENS1_30default_config_static_selectorELNS0_4arch9wavefront6targetE0EEEvT1_.kd
    .uniform_work_group_size: 1
    .uses_dynamic_stack: false
    .vgpr_count:     0
    .vgpr_spill_count: 0
    .wavefront_size: 32
    .workgroup_processor_mode: 1
  - .args:
      - .offset:         0
        .size:           112
        .value_kind:     by_value
    .group_segment_fixed_size: 5120
    .kernarg_segment_align: 8
    .kernarg_segment_size: 112
    .language:       OpenCL C
    .language_version:
      - 2
      - 0
    .max_flat_workgroup_size: 256
    .name:           _ZN7rocprim17ROCPRIM_400000_NS6detail17trampoline_kernelINS0_14default_configENS1_27scan_by_key_config_selectorIiiEEZZNS1_16scan_by_key_implILNS1_25lookback_scan_determinismE0ELb0ES3_N6thrust23THRUST_200600_302600_NS10device_ptrIiEESB_SB_iNS9_4plusIvEENS9_8equal_toIvEEiEE10hipError_tPvRmT2_T3_T4_T5_mT6_T7_P12ihipStream_tbENKUlT_T0_E_clISt17integral_constantIbLb0EESV_IbLb1EEEEDaSR_SS_EUlSR_E_NS1_11comp_targetILNS1_3genE8ELNS1_11target_archE1030ELNS1_3gpuE2ELNS1_3repE0EEENS1_30default_config_static_selectorELNS0_4arch9wavefront6targetE0EEEvT1_
    .private_segment_fixed_size: 0
    .sgpr_count:     36
    .sgpr_spill_count: 0
    .symbol:         _ZN7rocprim17ROCPRIM_400000_NS6detail17trampoline_kernelINS0_14default_configENS1_27scan_by_key_config_selectorIiiEEZZNS1_16scan_by_key_implILNS1_25lookback_scan_determinismE0ELb0ES3_N6thrust23THRUST_200600_302600_NS10device_ptrIiEESB_SB_iNS9_4plusIvEENS9_8equal_toIvEEiEE10hipError_tPvRmT2_T3_T4_T5_mT6_T7_P12ihipStream_tbENKUlT_T0_E_clISt17integral_constantIbLb0EESV_IbLb1EEEEDaSR_SS_EUlSR_E_NS1_11comp_targetILNS1_3genE8ELNS1_11target_archE1030ELNS1_3gpuE2ELNS1_3repE0EEENS1_30default_config_static_selectorELNS0_4arch9wavefront6targetE0EEEvT1_.kd
    .uniform_work_group_size: 1
    .uses_dynamic_stack: false
    .vgpr_count:     42
    .vgpr_spill_count: 0
    .wavefront_size: 32
    .workgroup_processor_mode: 1
  - .args:
      - .offset:         0
        .size:           112
        .value_kind:     by_value
    .group_segment_fixed_size: 0
    .kernarg_segment_align: 8
    .kernarg_segment_size: 112
    .language:       OpenCL C
    .language_version:
      - 2
      - 0
    .max_flat_workgroup_size: 256
    .name:           _ZN7rocprim17ROCPRIM_400000_NS6detail17trampoline_kernelINS0_14default_configENS1_27scan_by_key_config_selectorIiiEEZZNS1_16scan_by_key_implILNS1_25lookback_scan_determinismE0ELb1ES3_N6thrust23THRUST_200600_302600_NS10device_ptrIiEESB_SB_iNS9_4plusIvEENS9_8equal_toIvEEiEE10hipError_tPvRmT2_T3_T4_T5_mT6_T7_P12ihipStream_tbENKUlT_T0_E_clISt17integral_constantIbLb0EESW_EEDaSR_SS_EUlSR_E_NS1_11comp_targetILNS1_3genE0ELNS1_11target_archE4294967295ELNS1_3gpuE0ELNS1_3repE0EEENS1_30default_config_static_selectorELNS0_4arch9wavefront6targetE0EEEvT1_
    .private_segment_fixed_size: 0
    .sgpr_count:     0
    .sgpr_spill_count: 0
    .symbol:         _ZN7rocprim17ROCPRIM_400000_NS6detail17trampoline_kernelINS0_14default_configENS1_27scan_by_key_config_selectorIiiEEZZNS1_16scan_by_key_implILNS1_25lookback_scan_determinismE0ELb1ES3_N6thrust23THRUST_200600_302600_NS10device_ptrIiEESB_SB_iNS9_4plusIvEENS9_8equal_toIvEEiEE10hipError_tPvRmT2_T3_T4_T5_mT6_T7_P12ihipStream_tbENKUlT_T0_E_clISt17integral_constantIbLb0EESW_EEDaSR_SS_EUlSR_E_NS1_11comp_targetILNS1_3genE0ELNS1_11target_archE4294967295ELNS1_3gpuE0ELNS1_3repE0EEENS1_30default_config_static_selectorELNS0_4arch9wavefront6targetE0EEEvT1_.kd
    .uniform_work_group_size: 1
    .uses_dynamic_stack: false
    .vgpr_count:     0
    .vgpr_spill_count: 0
    .wavefront_size: 32
    .workgroup_processor_mode: 1
  - .args:
      - .offset:         0
        .size:           112
        .value_kind:     by_value
    .group_segment_fixed_size: 0
    .kernarg_segment_align: 8
    .kernarg_segment_size: 112
    .language:       OpenCL C
    .language_version:
      - 2
      - 0
    .max_flat_workgroup_size: 256
    .name:           _ZN7rocprim17ROCPRIM_400000_NS6detail17trampoline_kernelINS0_14default_configENS1_27scan_by_key_config_selectorIiiEEZZNS1_16scan_by_key_implILNS1_25lookback_scan_determinismE0ELb1ES3_N6thrust23THRUST_200600_302600_NS10device_ptrIiEESB_SB_iNS9_4plusIvEENS9_8equal_toIvEEiEE10hipError_tPvRmT2_T3_T4_T5_mT6_T7_P12ihipStream_tbENKUlT_T0_E_clISt17integral_constantIbLb0EESW_EEDaSR_SS_EUlSR_E_NS1_11comp_targetILNS1_3genE10ELNS1_11target_archE1201ELNS1_3gpuE5ELNS1_3repE0EEENS1_30default_config_static_selectorELNS0_4arch9wavefront6targetE0EEEvT1_
    .private_segment_fixed_size: 0
    .sgpr_count:     0
    .sgpr_spill_count: 0
    .symbol:         _ZN7rocprim17ROCPRIM_400000_NS6detail17trampoline_kernelINS0_14default_configENS1_27scan_by_key_config_selectorIiiEEZZNS1_16scan_by_key_implILNS1_25lookback_scan_determinismE0ELb1ES3_N6thrust23THRUST_200600_302600_NS10device_ptrIiEESB_SB_iNS9_4plusIvEENS9_8equal_toIvEEiEE10hipError_tPvRmT2_T3_T4_T5_mT6_T7_P12ihipStream_tbENKUlT_T0_E_clISt17integral_constantIbLb0EESW_EEDaSR_SS_EUlSR_E_NS1_11comp_targetILNS1_3genE10ELNS1_11target_archE1201ELNS1_3gpuE5ELNS1_3repE0EEENS1_30default_config_static_selectorELNS0_4arch9wavefront6targetE0EEEvT1_.kd
    .uniform_work_group_size: 1
    .uses_dynamic_stack: false
    .vgpr_count:     0
    .vgpr_spill_count: 0
    .wavefront_size: 32
    .workgroup_processor_mode: 1
  - .args:
      - .offset:         0
        .size:           112
        .value_kind:     by_value
    .group_segment_fixed_size: 0
    .kernarg_segment_align: 8
    .kernarg_segment_size: 112
    .language:       OpenCL C
    .language_version:
      - 2
      - 0
    .max_flat_workgroup_size: 256
    .name:           _ZN7rocprim17ROCPRIM_400000_NS6detail17trampoline_kernelINS0_14default_configENS1_27scan_by_key_config_selectorIiiEEZZNS1_16scan_by_key_implILNS1_25lookback_scan_determinismE0ELb1ES3_N6thrust23THRUST_200600_302600_NS10device_ptrIiEESB_SB_iNS9_4plusIvEENS9_8equal_toIvEEiEE10hipError_tPvRmT2_T3_T4_T5_mT6_T7_P12ihipStream_tbENKUlT_T0_E_clISt17integral_constantIbLb0EESW_EEDaSR_SS_EUlSR_E_NS1_11comp_targetILNS1_3genE5ELNS1_11target_archE942ELNS1_3gpuE9ELNS1_3repE0EEENS1_30default_config_static_selectorELNS0_4arch9wavefront6targetE0EEEvT1_
    .private_segment_fixed_size: 0
    .sgpr_count:     0
    .sgpr_spill_count: 0
    .symbol:         _ZN7rocprim17ROCPRIM_400000_NS6detail17trampoline_kernelINS0_14default_configENS1_27scan_by_key_config_selectorIiiEEZZNS1_16scan_by_key_implILNS1_25lookback_scan_determinismE0ELb1ES3_N6thrust23THRUST_200600_302600_NS10device_ptrIiEESB_SB_iNS9_4plusIvEENS9_8equal_toIvEEiEE10hipError_tPvRmT2_T3_T4_T5_mT6_T7_P12ihipStream_tbENKUlT_T0_E_clISt17integral_constantIbLb0EESW_EEDaSR_SS_EUlSR_E_NS1_11comp_targetILNS1_3genE5ELNS1_11target_archE942ELNS1_3gpuE9ELNS1_3repE0EEENS1_30default_config_static_selectorELNS0_4arch9wavefront6targetE0EEEvT1_.kd
    .uniform_work_group_size: 1
    .uses_dynamic_stack: false
    .vgpr_count:     0
    .vgpr_spill_count: 0
    .wavefront_size: 32
    .workgroup_processor_mode: 1
  - .args:
      - .offset:         0
        .size:           112
        .value_kind:     by_value
    .group_segment_fixed_size: 0
    .kernarg_segment_align: 8
    .kernarg_segment_size: 112
    .language:       OpenCL C
    .language_version:
      - 2
      - 0
    .max_flat_workgroup_size: 256
    .name:           _ZN7rocprim17ROCPRIM_400000_NS6detail17trampoline_kernelINS0_14default_configENS1_27scan_by_key_config_selectorIiiEEZZNS1_16scan_by_key_implILNS1_25lookback_scan_determinismE0ELb1ES3_N6thrust23THRUST_200600_302600_NS10device_ptrIiEESB_SB_iNS9_4plusIvEENS9_8equal_toIvEEiEE10hipError_tPvRmT2_T3_T4_T5_mT6_T7_P12ihipStream_tbENKUlT_T0_E_clISt17integral_constantIbLb0EESW_EEDaSR_SS_EUlSR_E_NS1_11comp_targetILNS1_3genE4ELNS1_11target_archE910ELNS1_3gpuE8ELNS1_3repE0EEENS1_30default_config_static_selectorELNS0_4arch9wavefront6targetE0EEEvT1_
    .private_segment_fixed_size: 0
    .sgpr_count:     0
    .sgpr_spill_count: 0
    .symbol:         _ZN7rocprim17ROCPRIM_400000_NS6detail17trampoline_kernelINS0_14default_configENS1_27scan_by_key_config_selectorIiiEEZZNS1_16scan_by_key_implILNS1_25lookback_scan_determinismE0ELb1ES3_N6thrust23THRUST_200600_302600_NS10device_ptrIiEESB_SB_iNS9_4plusIvEENS9_8equal_toIvEEiEE10hipError_tPvRmT2_T3_T4_T5_mT6_T7_P12ihipStream_tbENKUlT_T0_E_clISt17integral_constantIbLb0EESW_EEDaSR_SS_EUlSR_E_NS1_11comp_targetILNS1_3genE4ELNS1_11target_archE910ELNS1_3gpuE8ELNS1_3repE0EEENS1_30default_config_static_selectorELNS0_4arch9wavefront6targetE0EEEvT1_.kd
    .uniform_work_group_size: 1
    .uses_dynamic_stack: false
    .vgpr_count:     0
    .vgpr_spill_count: 0
    .wavefront_size: 32
    .workgroup_processor_mode: 1
  - .args:
      - .offset:         0
        .size:           112
        .value_kind:     by_value
    .group_segment_fixed_size: 0
    .kernarg_segment_align: 8
    .kernarg_segment_size: 112
    .language:       OpenCL C
    .language_version:
      - 2
      - 0
    .max_flat_workgroup_size: 256
    .name:           _ZN7rocprim17ROCPRIM_400000_NS6detail17trampoline_kernelINS0_14default_configENS1_27scan_by_key_config_selectorIiiEEZZNS1_16scan_by_key_implILNS1_25lookback_scan_determinismE0ELb1ES3_N6thrust23THRUST_200600_302600_NS10device_ptrIiEESB_SB_iNS9_4plusIvEENS9_8equal_toIvEEiEE10hipError_tPvRmT2_T3_T4_T5_mT6_T7_P12ihipStream_tbENKUlT_T0_E_clISt17integral_constantIbLb0EESW_EEDaSR_SS_EUlSR_E_NS1_11comp_targetILNS1_3genE3ELNS1_11target_archE908ELNS1_3gpuE7ELNS1_3repE0EEENS1_30default_config_static_selectorELNS0_4arch9wavefront6targetE0EEEvT1_
    .private_segment_fixed_size: 0
    .sgpr_count:     0
    .sgpr_spill_count: 0
    .symbol:         _ZN7rocprim17ROCPRIM_400000_NS6detail17trampoline_kernelINS0_14default_configENS1_27scan_by_key_config_selectorIiiEEZZNS1_16scan_by_key_implILNS1_25lookback_scan_determinismE0ELb1ES3_N6thrust23THRUST_200600_302600_NS10device_ptrIiEESB_SB_iNS9_4plusIvEENS9_8equal_toIvEEiEE10hipError_tPvRmT2_T3_T4_T5_mT6_T7_P12ihipStream_tbENKUlT_T0_E_clISt17integral_constantIbLb0EESW_EEDaSR_SS_EUlSR_E_NS1_11comp_targetILNS1_3genE3ELNS1_11target_archE908ELNS1_3gpuE7ELNS1_3repE0EEENS1_30default_config_static_selectorELNS0_4arch9wavefront6targetE0EEEvT1_.kd
    .uniform_work_group_size: 1
    .uses_dynamic_stack: false
    .vgpr_count:     0
    .vgpr_spill_count: 0
    .wavefront_size: 32
    .workgroup_processor_mode: 1
  - .args:
      - .offset:         0
        .size:           112
        .value_kind:     by_value
    .group_segment_fixed_size: 0
    .kernarg_segment_align: 8
    .kernarg_segment_size: 112
    .language:       OpenCL C
    .language_version:
      - 2
      - 0
    .max_flat_workgroup_size: 256
    .name:           _ZN7rocprim17ROCPRIM_400000_NS6detail17trampoline_kernelINS0_14default_configENS1_27scan_by_key_config_selectorIiiEEZZNS1_16scan_by_key_implILNS1_25lookback_scan_determinismE0ELb1ES3_N6thrust23THRUST_200600_302600_NS10device_ptrIiEESB_SB_iNS9_4plusIvEENS9_8equal_toIvEEiEE10hipError_tPvRmT2_T3_T4_T5_mT6_T7_P12ihipStream_tbENKUlT_T0_E_clISt17integral_constantIbLb0EESW_EEDaSR_SS_EUlSR_E_NS1_11comp_targetILNS1_3genE2ELNS1_11target_archE906ELNS1_3gpuE6ELNS1_3repE0EEENS1_30default_config_static_selectorELNS0_4arch9wavefront6targetE0EEEvT1_
    .private_segment_fixed_size: 0
    .sgpr_count:     0
    .sgpr_spill_count: 0
    .symbol:         _ZN7rocprim17ROCPRIM_400000_NS6detail17trampoline_kernelINS0_14default_configENS1_27scan_by_key_config_selectorIiiEEZZNS1_16scan_by_key_implILNS1_25lookback_scan_determinismE0ELb1ES3_N6thrust23THRUST_200600_302600_NS10device_ptrIiEESB_SB_iNS9_4plusIvEENS9_8equal_toIvEEiEE10hipError_tPvRmT2_T3_T4_T5_mT6_T7_P12ihipStream_tbENKUlT_T0_E_clISt17integral_constantIbLb0EESW_EEDaSR_SS_EUlSR_E_NS1_11comp_targetILNS1_3genE2ELNS1_11target_archE906ELNS1_3gpuE6ELNS1_3repE0EEENS1_30default_config_static_selectorELNS0_4arch9wavefront6targetE0EEEvT1_.kd
    .uniform_work_group_size: 1
    .uses_dynamic_stack: false
    .vgpr_count:     0
    .vgpr_spill_count: 0
    .wavefront_size: 32
    .workgroup_processor_mode: 1
  - .args:
      - .offset:         0
        .size:           112
        .value_kind:     by_value
    .group_segment_fixed_size: 0
    .kernarg_segment_align: 8
    .kernarg_segment_size: 112
    .language:       OpenCL C
    .language_version:
      - 2
      - 0
    .max_flat_workgroup_size: 256
    .name:           _ZN7rocprim17ROCPRIM_400000_NS6detail17trampoline_kernelINS0_14default_configENS1_27scan_by_key_config_selectorIiiEEZZNS1_16scan_by_key_implILNS1_25lookback_scan_determinismE0ELb1ES3_N6thrust23THRUST_200600_302600_NS10device_ptrIiEESB_SB_iNS9_4plusIvEENS9_8equal_toIvEEiEE10hipError_tPvRmT2_T3_T4_T5_mT6_T7_P12ihipStream_tbENKUlT_T0_E_clISt17integral_constantIbLb0EESW_EEDaSR_SS_EUlSR_E_NS1_11comp_targetILNS1_3genE10ELNS1_11target_archE1200ELNS1_3gpuE4ELNS1_3repE0EEENS1_30default_config_static_selectorELNS0_4arch9wavefront6targetE0EEEvT1_
    .private_segment_fixed_size: 0
    .sgpr_count:     0
    .sgpr_spill_count: 0
    .symbol:         _ZN7rocprim17ROCPRIM_400000_NS6detail17trampoline_kernelINS0_14default_configENS1_27scan_by_key_config_selectorIiiEEZZNS1_16scan_by_key_implILNS1_25lookback_scan_determinismE0ELb1ES3_N6thrust23THRUST_200600_302600_NS10device_ptrIiEESB_SB_iNS9_4plusIvEENS9_8equal_toIvEEiEE10hipError_tPvRmT2_T3_T4_T5_mT6_T7_P12ihipStream_tbENKUlT_T0_E_clISt17integral_constantIbLb0EESW_EEDaSR_SS_EUlSR_E_NS1_11comp_targetILNS1_3genE10ELNS1_11target_archE1200ELNS1_3gpuE4ELNS1_3repE0EEENS1_30default_config_static_selectorELNS0_4arch9wavefront6targetE0EEEvT1_.kd
    .uniform_work_group_size: 1
    .uses_dynamic_stack: false
    .vgpr_count:     0
    .vgpr_spill_count: 0
    .wavefront_size: 32
    .workgroup_processor_mode: 1
  - .args:
      - .offset:         0
        .size:           112
        .value_kind:     by_value
    .group_segment_fixed_size: 0
    .kernarg_segment_align: 8
    .kernarg_segment_size: 112
    .language:       OpenCL C
    .language_version:
      - 2
      - 0
    .max_flat_workgroup_size: 256
    .name:           _ZN7rocprim17ROCPRIM_400000_NS6detail17trampoline_kernelINS0_14default_configENS1_27scan_by_key_config_selectorIiiEEZZNS1_16scan_by_key_implILNS1_25lookback_scan_determinismE0ELb1ES3_N6thrust23THRUST_200600_302600_NS10device_ptrIiEESB_SB_iNS9_4plusIvEENS9_8equal_toIvEEiEE10hipError_tPvRmT2_T3_T4_T5_mT6_T7_P12ihipStream_tbENKUlT_T0_E_clISt17integral_constantIbLb0EESW_EEDaSR_SS_EUlSR_E_NS1_11comp_targetILNS1_3genE9ELNS1_11target_archE1100ELNS1_3gpuE3ELNS1_3repE0EEENS1_30default_config_static_selectorELNS0_4arch9wavefront6targetE0EEEvT1_
    .private_segment_fixed_size: 0
    .sgpr_count:     0
    .sgpr_spill_count: 0
    .symbol:         _ZN7rocprim17ROCPRIM_400000_NS6detail17trampoline_kernelINS0_14default_configENS1_27scan_by_key_config_selectorIiiEEZZNS1_16scan_by_key_implILNS1_25lookback_scan_determinismE0ELb1ES3_N6thrust23THRUST_200600_302600_NS10device_ptrIiEESB_SB_iNS9_4plusIvEENS9_8equal_toIvEEiEE10hipError_tPvRmT2_T3_T4_T5_mT6_T7_P12ihipStream_tbENKUlT_T0_E_clISt17integral_constantIbLb0EESW_EEDaSR_SS_EUlSR_E_NS1_11comp_targetILNS1_3genE9ELNS1_11target_archE1100ELNS1_3gpuE3ELNS1_3repE0EEENS1_30default_config_static_selectorELNS0_4arch9wavefront6targetE0EEEvT1_.kd
    .uniform_work_group_size: 1
    .uses_dynamic_stack: false
    .vgpr_count:     0
    .vgpr_spill_count: 0
    .wavefront_size: 32
    .workgroup_processor_mode: 1
  - .args:
      - .offset:         0
        .size:           112
        .value_kind:     by_value
    .group_segment_fixed_size: 5120
    .kernarg_segment_align: 8
    .kernarg_segment_size: 112
    .language:       OpenCL C
    .language_version:
      - 2
      - 0
    .max_flat_workgroup_size: 256
    .name:           _ZN7rocprim17ROCPRIM_400000_NS6detail17trampoline_kernelINS0_14default_configENS1_27scan_by_key_config_selectorIiiEEZZNS1_16scan_by_key_implILNS1_25lookback_scan_determinismE0ELb1ES3_N6thrust23THRUST_200600_302600_NS10device_ptrIiEESB_SB_iNS9_4plusIvEENS9_8equal_toIvEEiEE10hipError_tPvRmT2_T3_T4_T5_mT6_T7_P12ihipStream_tbENKUlT_T0_E_clISt17integral_constantIbLb0EESW_EEDaSR_SS_EUlSR_E_NS1_11comp_targetILNS1_3genE8ELNS1_11target_archE1030ELNS1_3gpuE2ELNS1_3repE0EEENS1_30default_config_static_selectorELNS0_4arch9wavefront6targetE0EEEvT1_
    .private_segment_fixed_size: 0
    .sgpr_count:     32
    .sgpr_spill_count: 0
    .symbol:         _ZN7rocprim17ROCPRIM_400000_NS6detail17trampoline_kernelINS0_14default_configENS1_27scan_by_key_config_selectorIiiEEZZNS1_16scan_by_key_implILNS1_25lookback_scan_determinismE0ELb1ES3_N6thrust23THRUST_200600_302600_NS10device_ptrIiEESB_SB_iNS9_4plusIvEENS9_8equal_toIvEEiEE10hipError_tPvRmT2_T3_T4_T5_mT6_T7_P12ihipStream_tbENKUlT_T0_E_clISt17integral_constantIbLb0EESW_EEDaSR_SS_EUlSR_E_NS1_11comp_targetILNS1_3genE8ELNS1_11target_archE1030ELNS1_3gpuE2ELNS1_3repE0EEENS1_30default_config_static_selectorELNS0_4arch9wavefront6targetE0EEEvT1_.kd
    .uniform_work_group_size: 1
    .uses_dynamic_stack: false
    .vgpr_count:     42
    .vgpr_spill_count: 0
    .wavefront_size: 32
    .workgroup_processor_mode: 1
  - .args:
      - .offset:         0
        .size:           112
        .value_kind:     by_value
    .group_segment_fixed_size: 0
    .kernarg_segment_align: 8
    .kernarg_segment_size: 112
    .language:       OpenCL C
    .language_version:
      - 2
      - 0
    .max_flat_workgroup_size: 256
    .name:           _ZN7rocprim17ROCPRIM_400000_NS6detail17trampoline_kernelINS0_14default_configENS1_27scan_by_key_config_selectorIiiEEZZNS1_16scan_by_key_implILNS1_25lookback_scan_determinismE0ELb1ES3_N6thrust23THRUST_200600_302600_NS10device_ptrIiEESB_SB_iNS9_4plusIvEENS9_8equal_toIvEEiEE10hipError_tPvRmT2_T3_T4_T5_mT6_T7_P12ihipStream_tbENKUlT_T0_E_clISt17integral_constantIbLb1EESW_EEDaSR_SS_EUlSR_E_NS1_11comp_targetILNS1_3genE0ELNS1_11target_archE4294967295ELNS1_3gpuE0ELNS1_3repE0EEENS1_30default_config_static_selectorELNS0_4arch9wavefront6targetE0EEEvT1_
    .private_segment_fixed_size: 0
    .sgpr_count:     0
    .sgpr_spill_count: 0
    .symbol:         _ZN7rocprim17ROCPRIM_400000_NS6detail17trampoline_kernelINS0_14default_configENS1_27scan_by_key_config_selectorIiiEEZZNS1_16scan_by_key_implILNS1_25lookback_scan_determinismE0ELb1ES3_N6thrust23THRUST_200600_302600_NS10device_ptrIiEESB_SB_iNS9_4plusIvEENS9_8equal_toIvEEiEE10hipError_tPvRmT2_T3_T4_T5_mT6_T7_P12ihipStream_tbENKUlT_T0_E_clISt17integral_constantIbLb1EESW_EEDaSR_SS_EUlSR_E_NS1_11comp_targetILNS1_3genE0ELNS1_11target_archE4294967295ELNS1_3gpuE0ELNS1_3repE0EEENS1_30default_config_static_selectorELNS0_4arch9wavefront6targetE0EEEvT1_.kd
    .uniform_work_group_size: 1
    .uses_dynamic_stack: false
    .vgpr_count:     0
    .vgpr_spill_count: 0
    .wavefront_size: 32
    .workgroup_processor_mode: 1
  - .args:
      - .offset:         0
        .size:           112
        .value_kind:     by_value
    .group_segment_fixed_size: 0
    .kernarg_segment_align: 8
    .kernarg_segment_size: 112
    .language:       OpenCL C
    .language_version:
      - 2
      - 0
    .max_flat_workgroup_size: 256
    .name:           _ZN7rocprim17ROCPRIM_400000_NS6detail17trampoline_kernelINS0_14default_configENS1_27scan_by_key_config_selectorIiiEEZZNS1_16scan_by_key_implILNS1_25lookback_scan_determinismE0ELb1ES3_N6thrust23THRUST_200600_302600_NS10device_ptrIiEESB_SB_iNS9_4plusIvEENS9_8equal_toIvEEiEE10hipError_tPvRmT2_T3_T4_T5_mT6_T7_P12ihipStream_tbENKUlT_T0_E_clISt17integral_constantIbLb1EESW_EEDaSR_SS_EUlSR_E_NS1_11comp_targetILNS1_3genE10ELNS1_11target_archE1201ELNS1_3gpuE5ELNS1_3repE0EEENS1_30default_config_static_selectorELNS0_4arch9wavefront6targetE0EEEvT1_
    .private_segment_fixed_size: 0
    .sgpr_count:     0
    .sgpr_spill_count: 0
    .symbol:         _ZN7rocprim17ROCPRIM_400000_NS6detail17trampoline_kernelINS0_14default_configENS1_27scan_by_key_config_selectorIiiEEZZNS1_16scan_by_key_implILNS1_25lookback_scan_determinismE0ELb1ES3_N6thrust23THRUST_200600_302600_NS10device_ptrIiEESB_SB_iNS9_4plusIvEENS9_8equal_toIvEEiEE10hipError_tPvRmT2_T3_T4_T5_mT6_T7_P12ihipStream_tbENKUlT_T0_E_clISt17integral_constantIbLb1EESW_EEDaSR_SS_EUlSR_E_NS1_11comp_targetILNS1_3genE10ELNS1_11target_archE1201ELNS1_3gpuE5ELNS1_3repE0EEENS1_30default_config_static_selectorELNS0_4arch9wavefront6targetE0EEEvT1_.kd
    .uniform_work_group_size: 1
    .uses_dynamic_stack: false
    .vgpr_count:     0
    .vgpr_spill_count: 0
    .wavefront_size: 32
    .workgroup_processor_mode: 1
  - .args:
      - .offset:         0
        .size:           112
        .value_kind:     by_value
    .group_segment_fixed_size: 0
    .kernarg_segment_align: 8
    .kernarg_segment_size: 112
    .language:       OpenCL C
    .language_version:
      - 2
      - 0
    .max_flat_workgroup_size: 256
    .name:           _ZN7rocprim17ROCPRIM_400000_NS6detail17trampoline_kernelINS0_14default_configENS1_27scan_by_key_config_selectorIiiEEZZNS1_16scan_by_key_implILNS1_25lookback_scan_determinismE0ELb1ES3_N6thrust23THRUST_200600_302600_NS10device_ptrIiEESB_SB_iNS9_4plusIvEENS9_8equal_toIvEEiEE10hipError_tPvRmT2_T3_T4_T5_mT6_T7_P12ihipStream_tbENKUlT_T0_E_clISt17integral_constantIbLb1EESW_EEDaSR_SS_EUlSR_E_NS1_11comp_targetILNS1_3genE5ELNS1_11target_archE942ELNS1_3gpuE9ELNS1_3repE0EEENS1_30default_config_static_selectorELNS0_4arch9wavefront6targetE0EEEvT1_
    .private_segment_fixed_size: 0
    .sgpr_count:     0
    .sgpr_spill_count: 0
    .symbol:         _ZN7rocprim17ROCPRIM_400000_NS6detail17trampoline_kernelINS0_14default_configENS1_27scan_by_key_config_selectorIiiEEZZNS1_16scan_by_key_implILNS1_25lookback_scan_determinismE0ELb1ES3_N6thrust23THRUST_200600_302600_NS10device_ptrIiEESB_SB_iNS9_4plusIvEENS9_8equal_toIvEEiEE10hipError_tPvRmT2_T3_T4_T5_mT6_T7_P12ihipStream_tbENKUlT_T0_E_clISt17integral_constantIbLb1EESW_EEDaSR_SS_EUlSR_E_NS1_11comp_targetILNS1_3genE5ELNS1_11target_archE942ELNS1_3gpuE9ELNS1_3repE0EEENS1_30default_config_static_selectorELNS0_4arch9wavefront6targetE0EEEvT1_.kd
    .uniform_work_group_size: 1
    .uses_dynamic_stack: false
    .vgpr_count:     0
    .vgpr_spill_count: 0
    .wavefront_size: 32
    .workgroup_processor_mode: 1
  - .args:
      - .offset:         0
        .size:           112
        .value_kind:     by_value
    .group_segment_fixed_size: 0
    .kernarg_segment_align: 8
    .kernarg_segment_size: 112
    .language:       OpenCL C
    .language_version:
      - 2
      - 0
    .max_flat_workgroup_size: 256
    .name:           _ZN7rocprim17ROCPRIM_400000_NS6detail17trampoline_kernelINS0_14default_configENS1_27scan_by_key_config_selectorIiiEEZZNS1_16scan_by_key_implILNS1_25lookback_scan_determinismE0ELb1ES3_N6thrust23THRUST_200600_302600_NS10device_ptrIiEESB_SB_iNS9_4plusIvEENS9_8equal_toIvEEiEE10hipError_tPvRmT2_T3_T4_T5_mT6_T7_P12ihipStream_tbENKUlT_T0_E_clISt17integral_constantIbLb1EESW_EEDaSR_SS_EUlSR_E_NS1_11comp_targetILNS1_3genE4ELNS1_11target_archE910ELNS1_3gpuE8ELNS1_3repE0EEENS1_30default_config_static_selectorELNS0_4arch9wavefront6targetE0EEEvT1_
    .private_segment_fixed_size: 0
    .sgpr_count:     0
    .sgpr_spill_count: 0
    .symbol:         _ZN7rocprim17ROCPRIM_400000_NS6detail17trampoline_kernelINS0_14default_configENS1_27scan_by_key_config_selectorIiiEEZZNS1_16scan_by_key_implILNS1_25lookback_scan_determinismE0ELb1ES3_N6thrust23THRUST_200600_302600_NS10device_ptrIiEESB_SB_iNS9_4plusIvEENS9_8equal_toIvEEiEE10hipError_tPvRmT2_T3_T4_T5_mT6_T7_P12ihipStream_tbENKUlT_T0_E_clISt17integral_constantIbLb1EESW_EEDaSR_SS_EUlSR_E_NS1_11comp_targetILNS1_3genE4ELNS1_11target_archE910ELNS1_3gpuE8ELNS1_3repE0EEENS1_30default_config_static_selectorELNS0_4arch9wavefront6targetE0EEEvT1_.kd
    .uniform_work_group_size: 1
    .uses_dynamic_stack: false
    .vgpr_count:     0
    .vgpr_spill_count: 0
    .wavefront_size: 32
    .workgroup_processor_mode: 1
  - .args:
      - .offset:         0
        .size:           112
        .value_kind:     by_value
    .group_segment_fixed_size: 0
    .kernarg_segment_align: 8
    .kernarg_segment_size: 112
    .language:       OpenCL C
    .language_version:
      - 2
      - 0
    .max_flat_workgroup_size: 256
    .name:           _ZN7rocprim17ROCPRIM_400000_NS6detail17trampoline_kernelINS0_14default_configENS1_27scan_by_key_config_selectorIiiEEZZNS1_16scan_by_key_implILNS1_25lookback_scan_determinismE0ELb1ES3_N6thrust23THRUST_200600_302600_NS10device_ptrIiEESB_SB_iNS9_4plusIvEENS9_8equal_toIvEEiEE10hipError_tPvRmT2_T3_T4_T5_mT6_T7_P12ihipStream_tbENKUlT_T0_E_clISt17integral_constantIbLb1EESW_EEDaSR_SS_EUlSR_E_NS1_11comp_targetILNS1_3genE3ELNS1_11target_archE908ELNS1_3gpuE7ELNS1_3repE0EEENS1_30default_config_static_selectorELNS0_4arch9wavefront6targetE0EEEvT1_
    .private_segment_fixed_size: 0
    .sgpr_count:     0
    .sgpr_spill_count: 0
    .symbol:         _ZN7rocprim17ROCPRIM_400000_NS6detail17trampoline_kernelINS0_14default_configENS1_27scan_by_key_config_selectorIiiEEZZNS1_16scan_by_key_implILNS1_25lookback_scan_determinismE0ELb1ES3_N6thrust23THRUST_200600_302600_NS10device_ptrIiEESB_SB_iNS9_4plusIvEENS9_8equal_toIvEEiEE10hipError_tPvRmT2_T3_T4_T5_mT6_T7_P12ihipStream_tbENKUlT_T0_E_clISt17integral_constantIbLb1EESW_EEDaSR_SS_EUlSR_E_NS1_11comp_targetILNS1_3genE3ELNS1_11target_archE908ELNS1_3gpuE7ELNS1_3repE0EEENS1_30default_config_static_selectorELNS0_4arch9wavefront6targetE0EEEvT1_.kd
    .uniform_work_group_size: 1
    .uses_dynamic_stack: false
    .vgpr_count:     0
    .vgpr_spill_count: 0
    .wavefront_size: 32
    .workgroup_processor_mode: 1
  - .args:
      - .offset:         0
        .size:           112
        .value_kind:     by_value
    .group_segment_fixed_size: 0
    .kernarg_segment_align: 8
    .kernarg_segment_size: 112
    .language:       OpenCL C
    .language_version:
      - 2
      - 0
    .max_flat_workgroup_size: 256
    .name:           _ZN7rocprim17ROCPRIM_400000_NS6detail17trampoline_kernelINS0_14default_configENS1_27scan_by_key_config_selectorIiiEEZZNS1_16scan_by_key_implILNS1_25lookback_scan_determinismE0ELb1ES3_N6thrust23THRUST_200600_302600_NS10device_ptrIiEESB_SB_iNS9_4plusIvEENS9_8equal_toIvEEiEE10hipError_tPvRmT2_T3_T4_T5_mT6_T7_P12ihipStream_tbENKUlT_T0_E_clISt17integral_constantIbLb1EESW_EEDaSR_SS_EUlSR_E_NS1_11comp_targetILNS1_3genE2ELNS1_11target_archE906ELNS1_3gpuE6ELNS1_3repE0EEENS1_30default_config_static_selectorELNS0_4arch9wavefront6targetE0EEEvT1_
    .private_segment_fixed_size: 0
    .sgpr_count:     0
    .sgpr_spill_count: 0
    .symbol:         _ZN7rocprim17ROCPRIM_400000_NS6detail17trampoline_kernelINS0_14default_configENS1_27scan_by_key_config_selectorIiiEEZZNS1_16scan_by_key_implILNS1_25lookback_scan_determinismE0ELb1ES3_N6thrust23THRUST_200600_302600_NS10device_ptrIiEESB_SB_iNS9_4plusIvEENS9_8equal_toIvEEiEE10hipError_tPvRmT2_T3_T4_T5_mT6_T7_P12ihipStream_tbENKUlT_T0_E_clISt17integral_constantIbLb1EESW_EEDaSR_SS_EUlSR_E_NS1_11comp_targetILNS1_3genE2ELNS1_11target_archE906ELNS1_3gpuE6ELNS1_3repE0EEENS1_30default_config_static_selectorELNS0_4arch9wavefront6targetE0EEEvT1_.kd
    .uniform_work_group_size: 1
    .uses_dynamic_stack: false
    .vgpr_count:     0
    .vgpr_spill_count: 0
    .wavefront_size: 32
    .workgroup_processor_mode: 1
  - .args:
      - .offset:         0
        .size:           112
        .value_kind:     by_value
    .group_segment_fixed_size: 0
    .kernarg_segment_align: 8
    .kernarg_segment_size: 112
    .language:       OpenCL C
    .language_version:
      - 2
      - 0
    .max_flat_workgroup_size: 256
    .name:           _ZN7rocprim17ROCPRIM_400000_NS6detail17trampoline_kernelINS0_14default_configENS1_27scan_by_key_config_selectorIiiEEZZNS1_16scan_by_key_implILNS1_25lookback_scan_determinismE0ELb1ES3_N6thrust23THRUST_200600_302600_NS10device_ptrIiEESB_SB_iNS9_4plusIvEENS9_8equal_toIvEEiEE10hipError_tPvRmT2_T3_T4_T5_mT6_T7_P12ihipStream_tbENKUlT_T0_E_clISt17integral_constantIbLb1EESW_EEDaSR_SS_EUlSR_E_NS1_11comp_targetILNS1_3genE10ELNS1_11target_archE1200ELNS1_3gpuE4ELNS1_3repE0EEENS1_30default_config_static_selectorELNS0_4arch9wavefront6targetE0EEEvT1_
    .private_segment_fixed_size: 0
    .sgpr_count:     0
    .sgpr_spill_count: 0
    .symbol:         _ZN7rocprim17ROCPRIM_400000_NS6detail17trampoline_kernelINS0_14default_configENS1_27scan_by_key_config_selectorIiiEEZZNS1_16scan_by_key_implILNS1_25lookback_scan_determinismE0ELb1ES3_N6thrust23THRUST_200600_302600_NS10device_ptrIiEESB_SB_iNS9_4plusIvEENS9_8equal_toIvEEiEE10hipError_tPvRmT2_T3_T4_T5_mT6_T7_P12ihipStream_tbENKUlT_T0_E_clISt17integral_constantIbLb1EESW_EEDaSR_SS_EUlSR_E_NS1_11comp_targetILNS1_3genE10ELNS1_11target_archE1200ELNS1_3gpuE4ELNS1_3repE0EEENS1_30default_config_static_selectorELNS0_4arch9wavefront6targetE0EEEvT1_.kd
    .uniform_work_group_size: 1
    .uses_dynamic_stack: false
    .vgpr_count:     0
    .vgpr_spill_count: 0
    .wavefront_size: 32
    .workgroup_processor_mode: 1
  - .args:
      - .offset:         0
        .size:           112
        .value_kind:     by_value
    .group_segment_fixed_size: 0
    .kernarg_segment_align: 8
    .kernarg_segment_size: 112
    .language:       OpenCL C
    .language_version:
      - 2
      - 0
    .max_flat_workgroup_size: 256
    .name:           _ZN7rocprim17ROCPRIM_400000_NS6detail17trampoline_kernelINS0_14default_configENS1_27scan_by_key_config_selectorIiiEEZZNS1_16scan_by_key_implILNS1_25lookback_scan_determinismE0ELb1ES3_N6thrust23THRUST_200600_302600_NS10device_ptrIiEESB_SB_iNS9_4plusIvEENS9_8equal_toIvEEiEE10hipError_tPvRmT2_T3_T4_T5_mT6_T7_P12ihipStream_tbENKUlT_T0_E_clISt17integral_constantIbLb1EESW_EEDaSR_SS_EUlSR_E_NS1_11comp_targetILNS1_3genE9ELNS1_11target_archE1100ELNS1_3gpuE3ELNS1_3repE0EEENS1_30default_config_static_selectorELNS0_4arch9wavefront6targetE0EEEvT1_
    .private_segment_fixed_size: 0
    .sgpr_count:     0
    .sgpr_spill_count: 0
    .symbol:         _ZN7rocprim17ROCPRIM_400000_NS6detail17trampoline_kernelINS0_14default_configENS1_27scan_by_key_config_selectorIiiEEZZNS1_16scan_by_key_implILNS1_25lookback_scan_determinismE0ELb1ES3_N6thrust23THRUST_200600_302600_NS10device_ptrIiEESB_SB_iNS9_4plusIvEENS9_8equal_toIvEEiEE10hipError_tPvRmT2_T3_T4_T5_mT6_T7_P12ihipStream_tbENKUlT_T0_E_clISt17integral_constantIbLb1EESW_EEDaSR_SS_EUlSR_E_NS1_11comp_targetILNS1_3genE9ELNS1_11target_archE1100ELNS1_3gpuE3ELNS1_3repE0EEENS1_30default_config_static_selectorELNS0_4arch9wavefront6targetE0EEEvT1_.kd
    .uniform_work_group_size: 1
    .uses_dynamic_stack: false
    .vgpr_count:     0
    .vgpr_spill_count: 0
    .wavefront_size: 32
    .workgroup_processor_mode: 1
  - .args:
      - .offset:         0
        .size:           112
        .value_kind:     by_value
    .group_segment_fixed_size: 0
    .kernarg_segment_align: 8
    .kernarg_segment_size: 112
    .language:       OpenCL C
    .language_version:
      - 2
      - 0
    .max_flat_workgroup_size: 256
    .name:           _ZN7rocprim17ROCPRIM_400000_NS6detail17trampoline_kernelINS0_14default_configENS1_27scan_by_key_config_selectorIiiEEZZNS1_16scan_by_key_implILNS1_25lookback_scan_determinismE0ELb1ES3_N6thrust23THRUST_200600_302600_NS10device_ptrIiEESB_SB_iNS9_4plusIvEENS9_8equal_toIvEEiEE10hipError_tPvRmT2_T3_T4_T5_mT6_T7_P12ihipStream_tbENKUlT_T0_E_clISt17integral_constantIbLb1EESW_EEDaSR_SS_EUlSR_E_NS1_11comp_targetILNS1_3genE8ELNS1_11target_archE1030ELNS1_3gpuE2ELNS1_3repE0EEENS1_30default_config_static_selectorELNS0_4arch9wavefront6targetE0EEEvT1_
    .private_segment_fixed_size: 0
    .sgpr_count:     0
    .sgpr_spill_count: 0
    .symbol:         _ZN7rocprim17ROCPRIM_400000_NS6detail17trampoline_kernelINS0_14default_configENS1_27scan_by_key_config_selectorIiiEEZZNS1_16scan_by_key_implILNS1_25lookback_scan_determinismE0ELb1ES3_N6thrust23THRUST_200600_302600_NS10device_ptrIiEESB_SB_iNS9_4plusIvEENS9_8equal_toIvEEiEE10hipError_tPvRmT2_T3_T4_T5_mT6_T7_P12ihipStream_tbENKUlT_T0_E_clISt17integral_constantIbLb1EESW_EEDaSR_SS_EUlSR_E_NS1_11comp_targetILNS1_3genE8ELNS1_11target_archE1030ELNS1_3gpuE2ELNS1_3repE0EEENS1_30default_config_static_selectorELNS0_4arch9wavefront6targetE0EEEvT1_.kd
    .uniform_work_group_size: 1
    .uses_dynamic_stack: false
    .vgpr_count:     0
    .vgpr_spill_count: 0
    .wavefront_size: 32
    .workgroup_processor_mode: 1
  - .args:
      - .offset:         0
        .size:           112
        .value_kind:     by_value
    .group_segment_fixed_size: 0
    .kernarg_segment_align: 8
    .kernarg_segment_size: 112
    .language:       OpenCL C
    .language_version:
      - 2
      - 0
    .max_flat_workgroup_size: 256
    .name:           _ZN7rocprim17ROCPRIM_400000_NS6detail17trampoline_kernelINS0_14default_configENS1_27scan_by_key_config_selectorIiiEEZZNS1_16scan_by_key_implILNS1_25lookback_scan_determinismE0ELb1ES3_N6thrust23THRUST_200600_302600_NS10device_ptrIiEESB_SB_iNS9_4plusIvEENS9_8equal_toIvEEiEE10hipError_tPvRmT2_T3_T4_T5_mT6_T7_P12ihipStream_tbENKUlT_T0_E_clISt17integral_constantIbLb1EESV_IbLb0EEEEDaSR_SS_EUlSR_E_NS1_11comp_targetILNS1_3genE0ELNS1_11target_archE4294967295ELNS1_3gpuE0ELNS1_3repE0EEENS1_30default_config_static_selectorELNS0_4arch9wavefront6targetE0EEEvT1_
    .private_segment_fixed_size: 0
    .sgpr_count:     0
    .sgpr_spill_count: 0
    .symbol:         _ZN7rocprim17ROCPRIM_400000_NS6detail17trampoline_kernelINS0_14default_configENS1_27scan_by_key_config_selectorIiiEEZZNS1_16scan_by_key_implILNS1_25lookback_scan_determinismE0ELb1ES3_N6thrust23THRUST_200600_302600_NS10device_ptrIiEESB_SB_iNS9_4plusIvEENS9_8equal_toIvEEiEE10hipError_tPvRmT2_T3_T4_T5_mT6_T7_P12ihipStream_tbENKUlT_T0_E_clISt17integral_constantIbLb1EESV_IbLb0EEEEDaSR_SS_EUlSR_E_NS1_11comp_targetILNS1_3genE0ELNS1_11target_archE4294967295ELNS1_3gpuE0ELNS1_3repE0EEENS1_30default_config_static_selectorELNS0_4arch9wavefront6targetE0EEEvT1_.kd
    .uniform_work_group_size: 1
    .uses_dynamic_stack: false
    .vgpr_count:     0
    .vgpr_spill_count: 0
    .wavefront_size: 32
    .workgroup_processor_mode: 1
  - .args:
      - .offset:         0
        .size:           112
        .value_kind:     by_value
    .group_segment_fixed_size: 0
    .kernarg_segment_align: 8
    .kernarg_segment_size: 112
    .language:       OpenCL C
    .language_version:
      - 2
      - 0
    .max_flat_workgroup_size: 256
    .name:           _ZN7rocprim17ROCPRIM_400000_NS6detail17trampoline_kernelINS0_14default_configENS1_27scan_by_key_config_selectorIiiEEZZNS1_16scan_by_key_implILNS1_25lookback_scan_determinismE0ELb1ES3_N6thrust23THRUST_200600_302600_NS10device_ptrIiEESB_SB_iNS9_4plusIvEENS9_8equal_toIvEEiEE10hipError_tPvRmT2_T3_T4_T5_mT6_T7_P12ihipStream_tbENKUlT_T0_E_clISt17integral_constantIbLb1EESV_IbLb0EEEEDaSR_SS_EUlSR_E_NS1_11comp_targetILNS1_3genE10ELNS1_11target_archE1201ELNS1_3gpuE5ELNS1_3repE0EEENS1_30default_config_static_selectorELNS0_4arch9wavefront6targetE0EEEvT1_
    .private_segment_fixed_size: 0
    .sgpr_count:     0
    .sgpr_spill_count: 0
    .symbol:         _ZN7rocprim17ROCPRIM_400000_NS6detail17trampoline_kernelINS0_14default_configENS1_27scan_by_key_config_selectorIiiEEZZNS1_16scan_by_key_implILNS1_25lookback_scan_determinismE0ELb1ES3_N6thrust23THRUST_200600_302600_NS10device_ptrIiEESB_SB_iNS9_4plusIvEENS9_8equal_toIvEEiEE10hipError_tPvRmT2_T3_T4_T5_mT6_T7_P12ihipStream_tbENKUlT_T0_E_clISt17integral_constantIbLb1EESV_IbLb0EEEEDaSR_SS_EUlSR_E_NS1_11comp_targetILNS1_3genE10ELNS1_11target_archE1201ELNS1_3gpuE5ELNS1_3repE0EEENS1_30default_config_static_selectorELNS0_4arch9wavefront6targetE0EEEvT1_.kd
    .uniform_work_group_size: 1
    .uses_dynamic_stack: false
    .vgpr_count:     0
    .vgpr_spill_count: 0
    .wavefront_size: 32
    .workgroup_processor_mode: 1
  - .args:
      - .offset:         0
        .size:           112
        .value_kind:     by_value
    .group_segment_fixed_size: 0
    .kernarg_segment_align: 8
    .kernarg_segment_size: 112
    .language:       OpenCL C
    .language_version:
      - 2
      - 0
    .max_flat_workgroup_size: 256
    .name:           _ZN7rocprim17ROCPRIM_400000_NS6detail17trampoline_kernelINS0_14default_configENS1_27scan_by_key_config_selectorIiiEEZZNS1_16scan_by_key_implILNS1_25lookback_scan_determinismE0ELb1ES3_N6thrust23THRUST_200600_302600_NS10device_ptrIiEESB_SB_iNS9_4plusIvEENS9_8equal_toIvEEiEE10hipError_tPvRmT2_T3_T4_T5_mT6_T7_P12ihipStream_tbENKUlT_T0_E_clISt17integral_constantIbLb1EESV_IbLb0EEEEDaSR_SS_EUlSR_E_NS1_11comp_targetILNS1_3genE5ELNS1_11target_archE942ELNS1_3gpuE9ELNS1_3repE0EEENS1_30default_config_static_selectorELNS0_4arch9wavefront6targetE0EEEvT1_
    .private_segment_fixed_size: 0
    .sgpr_count:     0
    .sgpr_spill_count: 0
    .symbol:         _ZN7rocprim17ROCPRIM_400000_NS6detail17trampoline_kernelINS0_14default_configENS1_27scan_by_key_config_selectorIiiEEZZNS1_16scan_by_key_implILNS1_25lookback_scan_determinismE0ELb1ES3_N6thrust23THRUST_200600_302600_NS10device_ptrIiEESB_SB_iNS9_4plusIvEENS9_8equal_toIvEEiEE10hipError_tPvRmT2_T3_T4_T5_mT6_T7_P12ihipStream_tbENKUlT_T0_E_clISt17integral_constantIbLb1EESV_IbLb0EEEEDaSR_SS_EUlSR_E_NS1_11comp_targetILNS1_3genE5ELNS1_11target_archE942ELNS1_3gpuE9ELNS1_3repE0EEENS1_30default_config_static_selectorELNS0_4arch9wavefront6targetE0EEEvT1_.kd
    .uniform_work_group_size: 1
    .uses_dynamic_stack: false
    .vgpr_count:     0
    .vgpr_spill_count: 0
    .wavefront_size: 32
    .workgroup_processor_mode: 1
  - .args:
      - .offset:         0
        .size:           112
        .value_kind:     by_value
    .group_segment_fixed_size: 0
    .kernarg_segment_align: 8
    .kernarg_segment_size: 112
    .language:       OpenCL C
    .language_version:
      - 2
      - 0
    .max_flat_workgroup_size: 256
    .name:           _ZN7rocprim17ROCPRIM_400000_NS6detail17trampoline_kernelINS0_14default_configENS1_27scan_by_key_config_selectorIiiEEZZNS1_16scan_by_key_implILNS1_25lookback_scan_determinismE0ELb1ES3_N6thrust23THRUST_200600_302600_NS10device_ptrIiEESB_SB_iNS9_4plusIvEENS9_8equal_toIvEEiEE10hipError_tPvRmT2_T3_T4_T5_mT6_T7_P12ihipStream_tbENKUlT_T0_E_clISt17integral_constantIbLb1EESV_IbLb0EEEEDaSR_SS_EUlSR_E_NS1_11comp_targetILNS1_3genE4ELNS1_11target_archE910ELNS1_3gpuE8ELNS1_3repE0EEENS1_30default_config_static_selectorELNS0_4arch9wavefront6targetE0EEEvT1_
    .private_segment_fixed_size: 0
    .sgpr_count:     0
    .sgpr_spill_count: 0
    .symbol:         _ZN7rocprim17ROCPRIM_400000_NS6detail17trampoline_kernelINS0_14default_configENS1_27scan_by_key_config_selectorIiiEEZZNS1_16scan_by_key_implILNS1_25lookback_scan_determinismE0ELb1ES3_N6thrust23THRUST_200600_302600_NS10device_ptrIiEESB_SB_iNS9_4plusIvEENS9_8equal_toIvEEiEE10hipError_tPvRmT2_T3_T4_T5_mT6_T7_P12ihipStream_tbENKUlT_T0_E_clISt17integral_constantIbLb1EESV_IbLb0EEEEDaSR_SS_EUlSR_E_NS1_11comp_targetILNS1_3genE4ELNS1_11target_archE910ELNS1_3gpuE8ELNS1_3repE0EEENS1_30default_config_static_selectorELNS0_4arch9wavefront6targetE0EEEvT1_.kd
    .uniform_work_group_size: 1
    .uses_dynamic_stack: false
    .vgpr_count:     0
    .vgpr_spill_count: 0
    .wavefront_size: 32
    .workgroup_processor_mode: 1
  - .args:
      - .offset:         0
        .size:           112
        .value_kind:     by_value
    .group_segment_fixed_size: 0
    .kernarg_segment_align: 8
    .kernarg_segment_size: 112
    .language:       OpenCL C
    .language_version:
      - 2
      - 0
    .max_flat_workgroup_size: 256
    .name:           _ZN7rocprim17ROCPRIM_400000_NS6detail17trampoline_kernelINS0_14default_configENS1_27scan_by_key_config_selectorIiiEEZZNS1_16scan_by_key_implILNS1_25lookback_scan_determinismE0ELb1ES3_N6thrust23THRUST_200600_302600_NS10device_ptrIiEESB_SB_iNS9_4plusIvEENS9_8equal_toIvEEiEE10hipError_tPvRmT2_T3_T4_T5_mT6_T7_P12ihipStream_tbENKUlT_T0_E_clISt17integral_constantIbLb1EESV_IbLb0EEEEDaSR_SS_EUlSR_E_NS1_11comp_targetILNS1_3genE3ELNS1_11target_archE908ELNS1_3gpuE7ELNS1_3repE0EEENS1_30default_config_static_selectorELNS0_4arch9wavefront6targetE0EEEvT1_
    .private_segment_fixed_size: 0
    .sgpr_count:     0
    .sgpr_spill_count: 0
    .symbol:         _ZN7rocprim17ROCPRIM_400000_NS6detail17trampoline_kernelINS0_14default_configENS1_27scan_by_key_config_selectorIiiEEZZNS1_16scan_by_key_implILNS1_25lookback_scan_determinismE0ELb1ES3_N6thrust23THRUST_200600_302600_NS10device_ptrIiEESB_SB_iNS9_4plusIvEENS9_8equal_toIvEEiEE10hipError_tPvRmT2_T3_T4_T5_mT6_T7_P12ihipStream_tbENKUlT_T0_E_clISt17integral_constantIbLb1EESV_IbLb0EEEEDaSR_SS_EUlSR_E_NS1_11comp_targetILNS1_3genE3ELNS1_11target_archE908ELNS1_3gpuE7ELNS1_3repE0EEENS1_30default_config_static_selectorELNS0_4arch9wavefront6targetE0EEEvT1_.kd
    .uniform_work_group_size: 1
    .uses_dynamic_stack: false
    .vgpr_count:     0
    .vgpr_spill_count: 0
    .wavefront_size: 32
    .workgroup_processor_mode: 1
  - .args:
      - .offset:         0
        .size:           112
        .value_kind:     by_value
    .group_segment_fixed_size: 0
    .kernarg_segment_align: 8
    .kernarg_segment_size: 112
    .language:       OpenCL C
    .language_version:
      - 2
      - 0
    .max_flat_workgroup_size: 256
    .name:           _ZN7rocprim17ROCPRIM_400000_NS6detail17trampoline_kernelINS0_14default_configENS1_27scan_by_key_config_selectorIiiEEZZNS1_16scan_by_key_implILNS1_25lookback_scan_determinismE0ELb1ES3_N6thrust23THRUST_200600_302600_NS10device_ptrIiEESB_SB_iNS9_4plusIvEENS9_8equal_toIvEEiEE10hipError_tPvRmT2_T3_T4_T5_mT6_T7_P12ihipStream_tbENKUlT_T0_E_clISt17integral_constantIbLb1EESV_IbLb0EEEEDaSR_SS_EUlSR_E_NS1_11comp_targetILNS1_3genE2ELNS1_11target_archE906ELNS1_3gpuE6ELNS1_3repE0EEENS1_30default_config_static_selectorELNS0_4arch9wavefront6targetE0EEEvT1_
    .private_segment_fixed_size: 0
    .sgpr_count:     0
    .sgpr_spill_count: 0
    .symbol:         _ZN7rocprim17ROCPRIM_400000_NS6detail17trampoline_kernelINS0_14default_configENS1_27scan_by_key_config_selectorIiiEEZZNS1_16scan_by_key_implILNS1_25lookback_scan_determinismE0ELb1ES3_N6thrust23THRUST_200600_302600_NS10device_ptrIiEESB_SB_iNS9_4plusIvEENS9_8equal_toIvEEiEE10hipError_tPvRmT2_T3_T4_T5_mT6_T7_P12ihipStream_tbENKUlT_T0_E_clISt17integral_constantIbLb1EESV_IbLb0EEEEDaSR_SS_EUlSR_E_NS1_11comp_targetILNS1_3genE2ELNS1_11target_archE906ELNS1_3gpuE6ELNS1_3repE0EEENS1_30default_config_static_selectorELNS0_4arch9wavefront6targetE0EEEvT1_.kd
    .uniform_work_group_size: 1
    .uses_dynamic_stack: false
    .vgpr_count:     0
    .vgpr_spill_count: 0
    .wavefront_size: 32
    .workgroup_processor_mode: 1
  - .args:
      - .offset:         0
        .size:           112
        .value_kind:     by_value
    .group_segment_fixed_size: 0
    .kernarg_segment_align: 8
    .kernarg_segment_size: 112
    .language:       OpenCL C
    .language_version:
      - 2
      - 0
    .max_flat_workgroup_size: 256
    .name:           _ZN7rocprim17ROCPRIM_400000_NS6detail17trampoline_kernelINS0_14default_configENS1_27scan_by_key_config_selectorIiiEEZZNS1_16scan_by_key_implILNS1_25lookback_scan_determinismE0ELb1ES3_N6thrust23THRUST_200600_302600_NS10device_ptrIiEESB_SB_iNS9_4plusIvEENS9_8equal_toIvEEiEE10hipError_tPvRmT2_T3_T4_T5_mT6_T7_P12ihipStream_tbENKUlT_T0_E_clISt17integral_constantIbLb1EESV_IbLb0EEEEDaSR_SS_EUlSR_E_NS1_11comp_targetILNS1_3genE10ELNS1_11target_archE1200ELNS1_3gpuE4ELNS1_3repE0EEENS1_30default_config_static_selectorELNS0_4arch9wavefront6targetE0EEEvT1_
    .private_segment_fixed_size: 0
    .sgpr_count:     0
    .sgpr_spill_count: 0
    .symbol:         _ZN7rocprim17ROCPRIM_400000_NS6detail17trampoline_kernelINS0_14default_configENS1_27scan_by_key_config_selectorIiiEEZZNS1_16scan_by_key_implILNS1_25lookback_scan_determinismE0ELb1ES3_N6thrust23THRUST_200600_302600_NS10device_ptrIiEESB_SB_iNS9_4plusIvEENS9_8equal_toIvEEiEE10hipError_tPvRmT2_T3_T4_T5_mT6_T7_P12ihipStream_tbENKUlT_T0_E_clISt17integral_constantIbLb1EESV_IbLb0EEEEDaSR_SS_EUlSR_E_NS1_11comp_targetILNS1_3genE10ELNS1_11target_archE1200ELNS1_3gpuE4ELNS1_3repE0EEENS1_30default_config_static_selectorELNS0_4arch9wavefront6targetE0EEEvT1_.kd
    .uniform_work_group_size: 1
    .uses_dynamic_stack: false
    .vgpr_count:     0
    .vgpr_spill_count: 0
    .wavefront_size: 32
    .workgroup_processor_mode: 1
  - .args:
      - .offset:         0
        .size:           112
        .value_kind:     by_value
    .group_segment_fixed_size: 0
    .kernarg_segment_align: 8
    .kernarg_segment_size: 112
    .language:       OpenCL C
    .language_version:
      - 2
      - 0
    .max_flat_workgroup_size: 256
    .name:           _ZN7rocprim17ROCPRIM_400000_NS6detail17trampoline_kernelINS0_14default_configENS1_27scan_by_key_config_selectorIiiEEZZNS1_16scan_by_key_implILNS1_25lookback_scan_determinismE0ELb1ES3_N6thrust23THRUST_200600_302600_NS10device_ptrIiEESB_SB_iNS9_4plusIvEENS9_8equal_toIvEEiEE10hipError_tPvRmT2_T3_T4_T5_mT6_T7_P12ihipStream_tbENKUlT_T0_E_clISt17integral_constantIbLb1EESV_IbLb0EEEEDaSR_SS_EUlSR_E_NS1_11comp_targetILNS1_3genE9ELNS1_11target_archE1100ELNS1_3gpuE3ELNS1_3repE0EEENS1_30default_config_static_selectorELNS0_4arch9wavefront6targetE0EEEvT1_
    .private_segment_fixed_size: 0
    .sgpr_count:     0
    .sgpr_spill_count: 0
    .symbol:         _ZN7rocprim17ROCPRIM_400000_NS6detail17trampoline_kernelINS0_14default_configENS1_27scan_by_key_config_selectorIiiEEZZNS1_16scan_by_key_implILNS1_25lookback_scan_determinismE0ELb1ES3_N6thrust23THRUST_200600_302600_NS10device_ptrIiEESB_SB_iNS9_4plusIvEENS9_8equal_toIvEEiEE10hipError_tPvRmT2_T3_T4_T5_mT6_T7_P12ihipStream_tbENKUlT_T0_E_clISt17integral_constantIbLb1EESV_IbLb0EEEEDaSR_SS_EUlSR_E_NS1_11comp_targetILNS1_3genE9ELNS1_11target_archE1100ELNS1_3gpuE3ELNS1_3repE0EEENS1_30default_config_static_selectorELNS0_4arch9wavefront6targetE0EEEvT1_.kd
    .uniform_work_group_size: 1
    .uses_dynamic_stack: false
    .vgpr_count:     0
    .vgpr_spill_count: 0
    .wavefront_size: 32
    .workgroup_processor_mode: 1
  - .args:
      - .offset:         0
        .size:           112
        .value_kind:     by_value
    .group_segment_fixed_size: 0
    .kernarg_segment_align: 8
    .kernarg_segment_size: 112
    .language:       OpenCL C
    .language_version:
      - 2
      - 0
    .max_flat_workgroup_size: 256
    .name:           _ZN7rocprim17ROCPRIM_400000_NS6detail17trampoline_kernelINS0_14default_configENS1_27scan_by_key_config_selectorIiiEEZZNS1_16scan_by_key_implILNS1_25lookback_scan_determinismE0ELb1ES3_N6thrust23THRUST_200600_302600_NS10device_ptrIiEESB_SB_iNS9_4plusIvEENS9_8equal_toIvEEiEE10hipError_tPvRmT2_T3_T4_T5_mT6_T7_P12ihipStream_tbENKUlT_T0_E_clISt17integral_constantIbLb1EESV_IbLb0EEEEDaSR_SS_EUlSR_E_NS1_11comp_targetILNS1_3genE8ELNS1_11target_archE1030ELNS1_3gpuE2ELNS1_3repE0EEENS1_30default_config_static_selectorELNS0_4arch9wavefront6targetE0EEEvT1_
    .private_segment_fixed_size: 0
    .sgpr_count:     0
    .sgpr_spill_count: 0
    .symbol:         _ZN7rocprim17ROCPRIM_400000_NS6detail17trampoline_kernelINS0_14default_configENS1_27scan_by_key_config_selectorIiiEEZZNS1_16scan_by_key_implILNS1_25lookback_scan_determinismE0ELb1ES3_N6thrust23THRUST_200600_302600_NS10device_ptrIiEESB_SB_iNS9_4plusIvEENS9_8equal_toIvEEiEE10hipError_tPvRmT2_T3_T4_T5_mT6_T7_P12ihipStream_tbENKUlT_T0_E_clISt17integral_constantIbLb1EESV_IbLb0EEEEDaSR_SS_EUlSR_E_NS1_11comp_targetILNS1_3genE8ELNS1_11target_archE1030ELNS1_3gpuE2ELNS1_3repE0EEENS1_30default_config_static_selectorELNS0_4arch9wavefront6targetE0EEEvT1_.kd
    .uniform_work_group_size: 1
    .uses_dynamic_stack: false
    .vgpr_count:     0
    .vgpr_spill_count: 0
    .wavefront_size: 32
    .workgroup_processor_mode: 1
  - .args:
      - .offset:         0
        .size:           112
        .value_kind:     by_value
    .group_segment_fixed_size: 0
    .kernarg_segment_align: 8
    .kernarg_segment_size: 112
    .language:       OpenCL C
    .language_version:
      - 2
      - 0
    .max_flat_workgroup_size: 256
    .name:           _ZN7rocprim17ROCPRIM_400000_NS6detail17trampoline_kernelINS0_14default_configENS1_27scan_by_key_config_selectorIiiEEZZNS1_16scan_by_key_implILNS1_25lookback_scan_determinismE0ELb1ES3_N6thrust23THRUST_200600_302600_NS10device_ptrIiEESB_SB_iNS9_4plusIvEENS9_8equal_toIvEEiEE10hipError_tPvRmT2_T3_T4_T5_mT6_T7_P12ihipStream_tbENKUlT_T0_E_clISt17integral_constantIbLb0EESV_IbLb1EEEEDaSR_SS_EUlSR_E_NS1_11comp_targetILNS1_3genE0ELNS1_11target_archE4294967295ELNS1_3gpuE0ELNS1_3repE0EEENS1_30default_config_static_selectorELNS0_4arch9wavefront6targetE0EEEvT1_
    .private_segment_fixed_size: 0
    .sgpr_count:     0
    .sgpr_spill_count: 0
    .symbol:         _ZN7rocprim17ROCPRIM_400000_NS6detail17trampoline_kernelINS0_14default_configENS1_27scan_by_key_config_selectorIiiEEZZNS1_16scan_by_key_implILNS1_25lookback_scan_determinismE0ELb1ES3_N6thrust23THRUST_200600_302600_NS10device_ptrIiEESB_SB_iNS9_4plusIvEENS9_8equal_toIvEEiEE10hipError_tPvRmT2_T3_T4_T5_mT6_T7_P12ihipStream_tbENKUlT_T0_E_clISt17integral_constantIbLb0EESV_IbLb1EEEEDaSR_SS_EUlSR_E_NS1_11comp_targetILNS1_3genE0ELNS1_11target_archE4294967295ELNS1_3gpuE0ELNS1_3repE0EEENS1_30default_config_static_selectorELNS0_4arch9wavefront6targetE0EEEvT1_.kd
    .uniform_work_group_size: 1
    .uses_dynamic_stack: false
    .vgpr_count:     0
    .vgpr_spill_count: 0
    .wavefront_size: 32
    .workgroup_processor_mode: 1
  - .args:
      - .offset:         0
        .size:           112
        .value_kind:     by_value
    .group_segment_fixed_size: 0
    .kernarg_segment_align: 8
    .kernarg_segment_size: 112
    .language:       OpenCL C
    .language_version:
      - 2
      - 0
    .max_flat_workgroup_size: 256
    .name:           _ZN7rocprim17ROCPRIM_400000_NS6detail17trampoline_kernelINS0_14default_configENS1_27scan_by_key_config_selectorIiiEEZZNS1_16scan_by_key_implILNS1_25lookback_scan_determinismE0ELb1ES3_N6thrust23THRUST_200600_302600_NS10device_ptrIiEESB_SB_iNS9_4plusIvEENS9_8equal_toIvEEiEE10hipError_tPvRmT2_T3_T4_T5_mT6_T7_P12ihipStream_tbENKUlT_T0_E_clISt17integral_constantIbLb0EESV_IbLb1EEEEDaSR_SS_EUlSR_E_NS1_11comp_targetILNS1_3genE10ELNS1_11target_archE1201ELNS1_3gpuE5ELNS1_3repE0EEENS1_30default_config_static_selectorELNS0_4arch9wavefront6targetE0EEEvT1_
    .private_segment_fixed_size: 0
    .sgpr_count:     0
    .sgpr_spill_count: 0
    .symbol:         _ZN7rocprim17ROCPRIM_400000_NS6detail17trampoline_kernelINS0_14default_configENS1_27scan_by_key_config_selectorIiiEEZZNS1_16scan_by_key_implILNS1_25lookback_scan_determinismE0ELb1ES3_N6thrust23THRUST_200600_302600_NS10device_ptrIiEESB_SB_iNS9_4plusIvEENS9_8equal_toIvEEiEE10hipError_tPvRmT2_T3_T4_T5_mT6_T7_P12ihipStream_tbENKUlT_T0_E_clISt17integral_constantIbLb0EESV_IbLb1EEEEDaSR_SS_EUlSR_E_NS1_11comp_targetILNS1_3genE10ELNS1_11target_archE1201ELNS1_3gpuE5ELNS1_3repE0EEENS1_30default_config_static_selectorELNS0_4arch9wavefront6targetE0EEEvT1_.kd
    .uniform_work_group_size: 1
    .uses_dynamic_stack: false
    .vgpr_count:     0
    .vgpr_spill_count: 0
    .wavefront_size: 32
    .workgroup_processor_mode: 1
  - .args:
      - .offset:         0
        .size:           112
        .value_kind:     by_value
    .group_segment_fixed_size: 0
    .kernarg_segment_align: 8
    .kernarg_segment_size: 112
    .language:       OpenCL C
    .language_version:
      - 2
      - 0
    .max_flat_workgroup_size: 256
    .name:           _ZN7rocprim17ROCPRIM_400000_NS6detail17trampoline_kernelINS0_14default_configENS1_27scan_by_key_config_selectorIiiEEZZNS1_16scan_by_key_implILNS1_25lookback_scan_determinismE0ELb1ES3_N6thrust23THRUST_200600_302600_NS10device_ptrIiEESB_SB_iNS9_4plusIvEENS9_8equal_toIvEEiEE10hipError_tPvRmT2_T3_T4_T5_mT6_T7_P12ihipStream_tbENKUlT_T0_E_clISt17integral_constantIbLb0EESV_IbLb1EEEEDaSR_SS_EUlSR_E_NS1_11comp_targetILNS1_3genE5ELNS1_11target_archE942ELNS1_3gpuE9ELNS1_3repE0EEENS1_30default_config_static_selectorELNS0_4arch9wavefront6targetE0EEEvT1_
    .private_segment_fixed_size: 0
    .sgpr_count:     0
    .sgpr_spill_count: 0
    .symbol:         _ZN7rocprim17ROCPRIM_400000_NS6detail17trampoline_kernelINS0_14default_configENS1_27scan_by_key_config_selectorIiiEEZZNS1_16scan_by_key_implILNS1_25lookback_scan_determinismE0ELb1ES3_N6thrust23THRUST_200600_302600_NS10device_ptrIiEESB_SB_iNS9_4plusIvEENS9_8equal_toIvEEiEE10hipError_tPvRmT2_T3_T4_T5_mT6_T7_P12ihipStream_tbENKUlT_T0_E_clISt17integral_constantIbLb0EESV_IbLb1EEEEDaSR_SS_EUlSR_E_NS1_11comp_targetILNS1_3genE5ELNS1_11target_archE942ELNS1_3gpuE9ELNS1_3repE0EEENS1_30default_config_static_selectorELNS0_4arch9wavefront6targetE0EEEvT1_.kd
    .uniform_work_group_size: 1
    .uses_dynamic_stack: false
    .vgpr_count:     0
    .vgpr_spill_count: 0
    .wavefront_size: 32
    .workgroup_processor_mode: 1
  - .args:
      - .offset:         0
        .size:           112
        .value_kind:     by_value
    .group_segment_fixed_size: 0
    .kernarg_segment_align: 8
    .kernarg_segment_size: 112
    .language:       OpenCL C
    .language_version:
      - 2
      - 0
    .max_flat_workgroup_size: 256
    .name:           _ZN7rocprim17ROCPRIM_400000_NS6detail17trampoline_kernelINS0_14default_configENS1_27scan_by_key_config_selectorIiiEEZZNS1_16scan_by_key_implILNS1_25lookback_scan_determinismE0ELb1ES3_N6thrust23THRUST_200600_302600_NS10device_ptrIiEESB_SB_iNS9_4plusIvEENS9_8equal_toIvEEiEE10hipError_tPvRmT2_T3_T4_T5_mT6_T7_P12ihipStream_tbENKUlT_T0_E_clISt17integral_constantIbLb0EESV_IbLb1EEEEDaSR_SS_EUlSR_E_NS1_11comp_targetILNS1_3genE4ELNS1_11target_archE910ELNS1_3gpuE8ELNS1_3repE0EEENS1_30default_config_static_selectorELNS0_4arch9wavefront6targetE0EEEvT1_
    .private_segment_fixed_size: 0
    .sgpr_count:     0
    .sgpr_spill_count: 0
    .symbol:         _ZN7rocprim17ROCPRIM_400000_NS6detail17trampoline_kernelINS0_14default_configENS1_27scan_by_key_config_selectorIiiEEZZNS1_16scan_by_key_implILNS1_25lookback_scan_determinismE0ELb1ES3_N6thrust23THRUST_200600_302600_NS10device_ptrIiEESB_SB_iNS9_4plusIvEENS9_8equal_toIvEEiEE10hipError_tPvRmT2_T3_T4_T5_mT6_T7_P12ihipStream_tbENKUlT_T0_E_clISt17integral_constantIbLb0EESV_IbLb1EEEEDaSR_SS_EUlSR_E_NS1_11comp_targetILNS1_3genE4ELNS1_11target_archE910ELNS1_3gpuE8ELNS1_3repE0EEENS1_30default_config_static_selectorELNS0_4arch9wavefront6targetE0EEEvT1_.kd
    .uniform_work_group_size: 1
    .uses_dynamic_stack: false
    .vgpr_count:     0
    .vgpr_spill_count: 0
    .wavefront_size: 32
    .workgroup_processor_mode: 1
  - .args:
      - .offset:         0
        .size:           112
        .value_kind:     by_value
    .group_segment_fixed_size: 0
    .kernarg_segment_align: 8
    .kernarg_segment_size: 112
    .language:       OpenCL C
    .language_version:
      - 2
      - 0
    .max_flat_workgroup_size: 256
    .name:           _ZN7rocprim17ROCPRIM_400000_NS6detail17trampoline_kernelINS0_14default_configENS1_27scan_by_key_config_selectorIiiEEZZNS1_16scan_by_key_implILNS1_25lookback_scan_determinismE0ELb1ES3_N6thrust23THRUST_200600_302600_NS10device_ptrIiEESB_SB_iNS9_4plusIvEENS9_8equal_toIvEEiEE10hipError_tPvRmT2_T3_T4_T5_mT6_T7_P12ihipStream_tbENKUlT_T0_E_clISt17integral_constantIbLb0EESV_IbLb1EEEEDaSR_SS_EUlSR_E_NS1_11comp_targetILNS1_3genE3ELNS1_11target_archE908ELNS1_3gpuE7ELNS1_3repE0EEENS1_30default_config_static_selectorELNS0_4arch9wavefront6targetE0EEEvT1_
    .private_segment_fixed_size: 0
    .sgpr_count:     0
    .sgpr_spill_count: 0
    .symbol:         _ZN7rocprim17ROCPRIM_400000_NS6detail17trampoline_kernelINS0_14default_configENS1_27scan_by_key_config_selectorIiiEEZZNS1_16scan_by_key_implILNS1_25lookback_scan_determinismE0ELb1ES3_N6thrust23THRUST_200600_302600_NS10device_ptrIiEESB_SB_iNS9_4plusIvEENS9_8equal_toIvEEiEE10hipError_tPvRmT2_T3_T4_T5_mT6_T7_P12ihipStream_tbENKUlT_T0_E_clISt17integral_constantIbLb0EESV_IbLb1EEEEDaSR_SS_EUlSR_E_NS1_11comp_targetILNS1_3genE3ELNS1_11target_archE908ELNS1_3gpuE7ELNS1_3repE0EEENS1_30default_config_static_selectorELNS0_4arch9wavefront6targetE0EEEvT1_.kd
    .uniform_work_group_size: 1
    .uses_dynamic_stack: false
    .vgpr_count:     0
    .vgpr_spill_count: 0
    .wavefront_size: 32
    .workgroup_processor_mode: 1
  - .args:
      - .offset:         0
        .size:           112
        .value_kind:     by_value
    .group_segment_fixed_size: 0
    .kernarg_segment_align: 8
    .kernarg_segment_size: 112
    .language:       OpenCL C
    .language_version:
      - 2
      - 0
    .max_flat_workgroup_size: 256
    .name:           _ZN7rocprim17ROCPRIM_400000_NS6detail17trampoline_kernelINS0_14default_configENS1_27scan_by_key_config_selectorIiiEEZZNS1_16scan_by_key_implILNS1_25lookback_scan_determinismE0ELb1ES3_N6thrust23THRUST_200600_302600_NS10device_ptrIiEESB_SB_iNS9_4plusIvEENS9_8equal_toIvEEiEE10hipError_tPvRmT2_T3_T4_T5_mT6_T7_P12ihipStream_tbENKUlT_T0_E_clISt17integral_constantIbLb0EESV_IbLb1EEEEDaSR_SS_EUlSR_E_NS1_11comp_targetILNS1_3genE2ELNS1_11target_archE906ELNS1_3gpuE6ELNS1_3repE0EEENS1_30default_config_static_selectorELNS0_4arch9wavefront6targetE0EEEvT1_
    .private_segment_fixed_size: 0
    .sgpr_count:     0
    .sgpr_spill_count: 0
    .symbol:         _ZN7rocprim17ROCPRIM_400000_NS6detail17trampoline_kernelINS0_14default_configENS1_27scan_by_key_config_selectorIiiEEZZNS1_16scan_by_key_implILNS1_25lookback_scan_determinismE0ELb1ES3_N6thrust23THRUST_200600_302600_NS10device_ptrIiEESB_SB_iNS9_4plusIvEENS9_8equal_toIvEEiEE10hipError_tPvRmT2_T3_T4_T5_mT6_T7_P12ihipStream_tbENKUlT_T0_E_clISt17integral_constantIbLb0EESV_IbLb1EEEEDaSR_SS_EUlSR_E_NS1_11comp_targetILNS1_3genE2ELNS1_11target_archE906ELNS1_3gpuE6ELNS1_3repE0EEENS1_30default_config_static_selectorELNS0_4arch9wavefront6targetE0EEEvT1_.kd
    .uniform_work_group_size: 1
    .uses_dynamic_stack: false
    .vgpr_count:     0
    .vgpr_spill_count: 0
    .wavefront_size: 32
    .workgroup_processor_mode: 1
  - .args:
      - .offset:         0
        .size:           112
        .value_kind:     by_value
    .group_segment_fixed_size: 0
    .kernarg_segment_align: 8
    .kernarg_segment_size: 112
    .language:       OpenCL C
    .language_version:
      - 2
      - 0
    .max_flat_workgroup_size: 256
    .name:           _ZN7rocprim17ROCPRIM_400000_NS6detail17trampoline_kernelINS0_14default_configENS1_27scan_by_key_config_selectorIiiEEZZNS1_16scan_by_key_implILNS1_25lookback_scan_determinismE0ELb1ES3_N6thrust23THRUST_200600_302600_NS10device_ptrIiEESB_SB_iNS9_4plusIvEENS9_8equal_toIvEEiEE10hipError_tPvRmT2_T3_T4_T5_mT6_T7_P12ihipStream_tbENKUlT_T0_E_clISt17integral_constantIbLb0EESV_IbLb1EEEEDaSR_SS_EUlSR_E_NS1_11comp_targetILNS1_3genE10ELNS1_11target_archE1200ELNS1_3gpuE4ELNS1_3repE0EEENS1_30default_config_static_selectorELNS0_4arch9wavefront6targetE0EEEvT1_
    .private_segment_fixed_size: 0
    .sgpr_count:     0
    .sgpr_spill_count: 0
    .symbol:         _ZN7rocprim17ROCPRIM_400000_NS6detail17trampoline_kernelINS0_14default_configENS1_27scan_by_key_config_selectorIiiEEZZNS1_16scan_by_key_implILNS1_25lookback_scan_determinismE0ELb1ES3_N6thrust23THRUST_200600_302600_NS10device_ptrIiEESB_SB_iNS9_4plusIvEENS9_8equal_toIvEEiEE10hipError_tPvRmT2_T3_T4_T5_mT6_T7_P12ihipStream_tbENKUlT_T0_E_clISt17integral_constantIbLb0EESV_IbLb1EEEEDaSR_SS_EUlSR_E_NS1_11comp_targetILNS1_3genE10ELNS1_11target_archE1200ELNS1_3gpuE4ELNS1_3repE0EEENS1_30default_config_static_selectorELNS0_4arch9wavefront6targetE0EEEvT1_.kd
    .uniform_work_group_size: 1
    .uses_dynamic_stack: false
    .vgpr_count:     0
    .vgpr_spill_count: 0
    .wavefront_size: 32
    .workgroup_processor_mode: 1
  - .args:
      - .offset:         0
        .size:           112
        .value_kind:     by_value
    .group_segment_fixed_size: 0
    .kernarg_segment_align: 8
    .kernarg_segment_size: 112
    .language:       OpenCL C
    .language_version:
      - 2
      - 0
    .max_flat_workgroup_size: 256
    .name:           _ZN7rocprim17ROCPRIM_400000_NS6detail17trampoline_kernelINS0_14default_configENS1_27scan_by_key_config_selectorIiiEEZZNS1_16scan_by_key_implILNS1_25lookback_scan_determinismE0ELb1ES3_N6thrust23THRUST_200600_302600_NS10device_ptrIiEESB_SB_iNS9_4plusIvEENS9_8equal_toIvEEiEE10hipError_tPvRmT2_T3_T4_T5_mT6_T7_P12ihipStream_tbENKUlT_T0_E_clISt17integral_constantIbLb0EESV_IbLb1EEEEDaSR_SS_EUlSR_E_NS1_11comp_targetILNS1_3genE9ELNS1_11target_archE1100ELNS1_3gpuE3ELNS1_3repE0EEENS1_30default_config_static_selectorELNS0_4arch9wavefront6targetE0EEEvT1_
    .private_segment_fixed_size: 0
    .sgpr_count:     0
    .sgpr_spill_count: 0
    .symbol:         _ZN7rocprim17ROCPRIM_400000_NS6detail17trampoline_kernelINS0_14default_configENS1_27scan_by_key_config_selectorIiiEEZZNS1_16scan_by_key_implILNS1_25lookback_scan_determinismE0ELb1ES3_N6thrust23THRUST_200600_302600_NS10device_ptrIiEESB_SB_iNS9_4plusIvEENS9_8equal_toIvEEiEE10hipError_tPvRmT2_T3_T4_T5_mT6_T7_P12ihipStream_tbENKUlT_T0_E_clISt17integral_constantIbLb0EESV_IbLb1EEEEDaSR_SS_EUlSR_E_NS1_11comp_targetILNS1_3genE9ELNS1_11target_archE1100ELNS1_3gpuE3ELNS1_3repE0EEENS1_30default_config_static_selectorELNS0_4arch9wavefront6targetE0EEEvT1_.kd
    .uniform_work_group_size: 1
    .uses_dynamic_stack: false
    .vgpr_count:     0
    .vgpr_spill_count: 0
    .wavefront_size: 32
    .workgroup_processor_mode: 1
  - .args:
      - .offset:         0
        .size:           112
        .value_kind:     by_value
    .group_segment_fixed_size: 5120
    .kernarg_segment_align: 8
    .kernarg_segment_size: 112
    .language:       OpenCL C
    .language_version:
      - 2
      - 0
    .max_flat_workgroup_size: 256
    .name:           _ZN7rocprim17ROCPRIM_400000_NS6detail17trampoline_kernelINS0_14default_configENS1_27scan_by_key_config_selectorIiiEEZZNS1_16scan_by_key_implILNS1_25lookback_scan_determinismE0ELb1ES3_N6thrust23THRUST_200600_302600_NS10device_ptrIiEESB_SB_iNS9_4plusIvEENS9_8equal_toIvEEiEE10hipError_tPvRmT2_T3_T4_T5_mT6_T7_P12ihipStream_tbENKUlT_T0_E_clISt17integral_constantIbLb0EESV_IbLb1EEEEDaSR_SS_EUlSR_E_NS1_11comp_targetILNS1_3genE8ELNS1_11target_archE1030ELNS1_3gpuE2ELNS1_3repE0EEENS1_30default_config_static_selectorELNS0_4arch9wavefront6targetE0EEEvT1_
    .private_segment_fixed_size: 0
    .sgpr_count:     26
    .sgpr_spill_count: 0
    .symbol:         _ZN7rocprim17ROCPRIM_400000_NS6detail17trampoline_kernelINS0_14default_configENS1_27scan_by_key_config_selectorIiiEEZZNS1_16scan_by_key_implILNS1_25lookback_scan_determinismE0ELb1ES3_N6thrust23THRUST_200600_302600_NS10device_ptrIiEESB_SB_iNS9_4plusIvEENS9_8equal_toIvEEiEE10hipError_tPvRmT2_T3_T4_T5_mT6_T7_P12ihipStream_tbENKUlT_T0_E_clISt17integral_constantIbLb0EESV_IbLb1EEEEDaSR_SS_EUlSR_E_NS1_11comp_targetILNS1_3genE8ELNS1_11target_archE1030ELNS1_3gpuE2ELNS1_3repE0EEENS1_30default_config_static_selectorELNS0_4arch9wavefront6targetE0EEEvT1_.kd
    .uniform_work_group_size: 1
    .uses_dynamic_stack: false
    .vgpr_count:     44
    .vgpr_spill_count: 0
    .wavefront_size: 32
    .workgroup_processor_mode: 1
amdhsa.target:   amdgcn-amd-amdhsa--gfx1030
amdhsa.version:
  - 1
  - 2
...

	.end_amdgpu_metadata
